;; amdgpu-corpus repo=ROCm/rocThrust kind=compiled arch=gfx942 opt=O3
	.text
	.amdgcn_target "amdgcn-amd-amdhsa--gfx942"
	.amdhsa_code_object_version 6
	.protected	_Z24InclusiveScanByKeyKerneliPiS_S_ ; -- Begin function _Z24InclusiveScanByKeyKerneliPiS_S_
	.globl	_Z24InclusiveScanByKeyKerneliPiS_S_
	.p2align	8
	.type	_Z24InclusiveScanByKeyKerneliPiS_S_,@function
_Z24InclusiveScanByKeyKerneliPiS_S_:    ; @_Z24InclusiveScanByKeyKerneliPiS_S_
; %bb.0:
	v_cmp_eq_u32_e32 vcc, 0, v0
	s_and_saveexec_b64 s[2:3], vcc
	s_cbranch_execz .LBB0_5
; %bb.1:
	s_load_dword s2, s[0:1], 0x0
	s_waitcnt lgkmcnt(0)
	s_ashr_i32 s3, s2, 31
	s_lshl_b64 s[8:9], s[2:3], 2
	s_cmp_eq_u64 s[8:9], 0
	s_cbranch_scc1 .LBB0_5
; %bb.2:
	s_load_dwordx4 s[4:7], s[0:1], 0x8
	s_load_dwordx2 s[10:11], s[0:1], 0x18
	v_mov_b32_e32 v0, 0
	s_cmp_eq_u32 s2, 1
	s_waitcnt lgkmcnt(0)
	s_load_dword s12, s[4:5], 0x0
	s_load_dword s13, s[6:7], 0x0
	s_waitcnt lgkmcnt(0)
	v_mov_b32_e32 v1, s12
	global_store_dword v0, v1, s[10:11]
	s_cbranch_scc1 .LBB0_5
; %bb.3:
	s_add_u32 s0, s6, 4
	s_addc_u32 s1, s7, 0
	s_add_u32 s2, s10, 4
	s_addc_u32 s3, s11, 0
	;; [unrolled: 2-line block ×3, first 2 shown]
	s_add_u32 s6, s8, -4
	s_addc_u32 s7, s9, -1
	v_mov_b32_e32 v2, s13
	v_mov_b32_e32 v1, s12
.LBB0_4:                                ; =>This Inner Loop Header: Depth=1
	global_load_dword v3, v0, s[0:1]
	global_load_dword v4, v0, s[4:5]
	s_add_u32 s0, s0, 4
	s_addc_u32 s1, s1, 0
	s_waitcnt vmcnt(1)
	v_cmp_eq_u32_e32 vcc, v2, v3
	s_nop 1
	v_cndmask_b32_e32 v1, 0, v1, vcc
	s_waitcnt vmcnt(0)
	v_add_u32_e32 v1, v1, v4
	global_store_dword v0, v1, s[2:3]
	s_add_u32 s2, s2, 4
	s_addc_u32 s3, s3, 0
	s_add_u32 s4, s4, 4
	s_addc_u32 s5, s5, 0
	s_add_u32 s6, s6, -4
	s_addc_u32 s7, s7, -1
	s_cmp_lg_u64 s[6:7], 0
	v_mov_b32_e32 v2, v3
	s_cbranch_scc1 .LBB0_4
.LBB0_5:
	s_endpgm
	.section	.rodata,"a",@progbits
	.p2align	6, 0x0
	.amdhsa_kernel _Z24InclusiveScanByKeyKerneliPiS_S_
		.amdhsa_group_segment_fixed_size 0
		.amdhsa_private_segment_fixed_size 0
		.amdhsa_kernarg_size 32
		.amdhsa_user_sgpr_count 2
		.amdhsa_user_sgpr_dispatch_ptr 0
		.amdhsa_user_sgpr_queue_ptr 0
		.amdhsa_user_sgpr_kernarg_segment_ptr 1
		.amdhsa_user_sgpr_dispatch_id 0
		.amdhsa_user_sgpr_kernarg_preload_length 0
		.amdhsa_user_sgpr_kernarg_preload_offset 0
		.amdhsa_user_sgpr_private_segment_size 0
		.amdhsa_uses_dynamic_stack 0
		.amdhsa_enable_private_segment 0
		.amdhsa_system_sgpr_workgroup_id_x 1
		.amdhsa_system_sgpr_workgroup_id_y 0
		.amdhsa_system_sgpr_workgroup_id_z 0
		.amdhsa_system_sgpr_workgroup_info 0
		.amdhsa_system_vgpr_workitem_id 0
		.amdhsa_next_free_vgpr 5
		.amdhsa_next_free_sgpr 14
		.amdhsa_accum_offset 8
		.amdhsa_reserve_vcc 1
		.amdhsa_float_round_mode_32 0
		.amdhsa_float_round_mode_16_64 0
		.amdhsa_float_denorm_mode_32 3
		.amdhsa_float_denorm_mode_16_64 3
		.amdhsa_dx10_clamp 1
		.amdhsa_ieee_mode 1
		.amdhsa_fp16_overflow 0
		.amdhsa_tg_split 0
		.amdhsa_exception_fp_ieee_invalid_op 0
		.amdhsa_exception_fp_denorm_src 0
		.amdhsa_exception_fp_ieee_div_zero 0
		.amdhsa_exception_fp_ieee_overflow 0
		.amdhsa_exception_fp_ieee_underflow 0
		.amdhsa_exception_fp_ieee_inexact 0
		.amdhsa_exception_int_div_zero 0
	.end_amdhsa_kernel
	.text
.Lfunc_end0:
	.size	_Z24InclusiveScanByKeyKerneliPiS_S_, .Lfunc_end0-_Z24InclusiveScanByKeyKerneliPiS_S_
                                        ; -- End function
	.section	.AMDGPU.csdata,"",@progbits
; Kernel info:
; codeLenInByte = 240
; NumSgprs: 20
; NumVgprs: 5
; NumAgprs: 0
; TotalNumVgprs: 5
; ScratchSize: 0
; MemoryBound: 0
; FloatMode: 240
; IeeeMode: 1
; LDSByteSize: 0 bytes/workgroup (compile time only)
; SGPRBlocks: 2
; VGPRBlocks: 0
; NumSGPRsForWavesPerEU: 20
; NumVGPRsForWavesPerEU: 5
; AccumOffset: 8
; Occupancy: 8
; WaveLimiterHint : 0
; COMPUTE_PGM_RSRC2:SCRATCH_EN: 0
; COMPUTE_PGM_RSRC2:USER_SGPR: 2
; COMPUTE_PGM_RSRC2:TRAP_HANDLER: 0
; COMPUTE_PGM_RSRC2:TGID_X_EN: 1
; COMPUTE_PGM_RSRC2:TGID_Y_EN: 0
; COMPUTE_PGM_RSRC2:TGID_Z_EN: 0
; COMPUTE_PGM_RSRC2:TIDIG_COMP_CNT: 0
; COMPUTE_PGM_RSRC3_GFX90A:ACCUM_OFFSET: 1
; COMPUTE_PGM_RSRC3_GFX90A:TG_SPLIT: 0
	.text
	.protected	_Z24ExclusiveScanByKeyKerneliPiS_S_ ; -- Begin function _Z24ExclusiveScanByKeyKerneliPiS_S_
	.globl	_Z24ExclusiveScanByKeyKerneliPiS_S_
	.p2align	8
	.type	_Z24ExclusiveScanByKeyKerneliPiS_S_,@function
_Z24ExclusiveScanByKeyKerneliPiS_S_:    ; @_Z24ExclusiveScanByKeyKerneliPiS_S_
; %bb.0:
	v_cmp_eq_u32_e32 vcc, 0, v0
	s_and_saveexec_b64 s[2:3], vcc
	s_cbranch_execz .LBB1_5
; %bb.1:
	s_load_dword s2, s[0:1], 0x0
	s_waitcnt lgkmcnt(0)
	s_ashr_i32 s3, s2, 31
	s_lshl_b64 s[8:9], s[2:3], 2
	s_cmp_eq_u64 s[8:9], 0
	s_cbranch_scc1 .LBB1_5
; %bb.2:
	s_load_dwordx4 s[4:7], s[0:1], 0x8
	s_load_dwordx2 s[10:11], s[0:1], 0x18
	v_mov_b32_e32 v0, 0
	s_cmp_eq_u32 s2, 1
	s_waitcnt lgkmcnt(0)
	s_load_dword s12, s[6:7], 0x0
	s_load_dword s13, s[4:5], 0x0
	global_store_dword v0, v0, s[10:11]
	s_cbranch_scc1 .LBB1_5
; %bb.3:
	s_add_u32 s0, s6, 4
	s_addc_u32 s1, s7, 0
	s_add_u32 s2, s10, 4
	s_addc_u32 s3, s11, 0
	s_add_u32 s6, s8, -4
	s_addc_u32 s7, s9, -1
	s_add_u32 s4, s4, 4
	s_addc_u32 s5, s5, 0
	s_waitcnt lgkmcnt(0)
	v_mov_b32_e32 v1, s12
	v_mov_b32_e32 v2, s13
.LBB1_4:                                ; =>This Inner Loop Header: Depth=1
	global_load_dword v3, v0, s[0:1]
	global_load_dword v4, v0, s[4:5]
	s_add_u32 s0, s0, 4
	s_addc_u32 s1, s1, 0
	s_waitcnt vmcnt(1)
	v_cmp_eq_u32_e32 vcc, v1, v3
	s_nop 1
	v_cndmask_b32_e32 v2, 0, v2, vcc
	global_store_dword v0, v2, s[2:3]
	s_add_u32 s2, s2, 4
	s_addc_u32 s3, s3, 0
	s_add_u32 s6, s6, -4
	s_addc_u32 s7, s7, -1
	s_add_u32 s4, s4, 4
	s_addc_u32 s5, s5, 0
	v_mov_b32_e32 v1, v3
	s_cmp_lg_u64 s[6:7], 0
	s_waitcnt vmcnt(1)
	v_add_u32_e32 v2, v2, v4
	s_cbranch_scc1 .LBB1_4
.LBB1_5:
	s_endpgm
	.section	.rodata,"a",@progbits
	.p2align	6, 0x0
	.amdhsa_kernel _Z24ExclusiveScanByKeyKerneliPiS_S_
		.amdhsa_group_segment_fixed_size 0
		.amdhsa_private_segment_fixed_size 0
		.amdhsa_kernarg_size 32
		.amdhsa_user_sgpr_count 2
		.amdhsa_user_sgpr_dispatch_ptr 0
		.amdhsa_user_sgpr_queue_ptr 0
		.amdhsa_user_sgpr_kernarg_segment_ptr 1
		.amdhsa_user_sgpr_dispatch_id 0
		.amdhsa_user_sgpr_kernarg_preload_length 0
		.amdhsa_user_sgpr_kernarg_preload_offset 0
		.amdhsa_user_sgpr_private_segment_size 0
		.amdhsa_uses_dynamic_stack 0
		.amdhsa_enable_private_segment 0
		.amdhsa_system_sgpr_workgroup_id_x 1
		.amdhsa_system_sgpr_workgroup_id_y 0
		.amdhsa_system_sgpr_workgroup_id_z 0
		.amdhsa_system_sgpr_workgroup_info 0
		.amdhsa_system_vgpr_workitem_id 0
		.amdhsa_next_free_vgpr 5
		.amdhsa_next_free_sgpr 14
		.amdhsa_accum_offset 8
		.amdhsa_reserve_vcc 1
		.amdhsa_float_round_mode_32 0
		.amdhsa_float_round_mode_16_64 0
		.amdhsa_float_denorm_mode_32 3
		.amdhsa_float_denorm_mode_16_64 3
		.amdhsa_dx10_clamp 1
		.amdhsa_ieee_mode 1
		.amdhsa_fp16_overflow 0
		.amdhsa_tg_split 0
		.amdhsa_exception_fp_ieee_invalid_op 0
		.amdhsa_exception_fp_denorm_src 0
		.amdhsa_exception_fp_ieee_div_zero 0
		.amdhsa_exception_fp_ieee_overflow 0
		.amdhsa_exception_fp_ieee_underflow 0
		.amdhsa_exception_fp_ieee_inexact 0
		.amdhsa_exception_int_div_zero 0
	.end_amdhsa_kernel
	.text
.Lfunc_end1:
	.size	_Z24ExclusiveScanByKeyKerneliPiS_S_, .Lfunc_end1-_Z24ExclusiveScanByKeyKerneliPiS_S_
                                        ; -- End function
	.section	.AMDGPU.csdata,"",@progbits
; Kernel info:
; codeLenInByte = 236
; NumSgprs: 20
; NumVgprs: 5
; NumAgprs: 0
; TotalNumVgprs: 5
; ScratchSize: 0
; MemoryBound: 0
; FloatMode: 240
; IeeeMode: 1
; LDSByteSize: 0 bytes/workgroup (compile time only)
; SGPRBlocks: 2
; VGPRBlocks: 0
; NumSGPRsForWavesPerEU: 20
; NumVGPRsForWavesPerEU: 5
; AccumOffset: 8
; Occupancy: 8
; WaveLimiterHint : 0
; COMPUTE_PGM_RSRC2:SCRATCH_EN: 0
; COMPUTE_PGM_RSRC2:USER_SGPR: 2
; COMPUTE_PGM_RSRC2:TRAP_HANDLER: 0
; COMPUTE_PGM_RSRC2:TGID_X_EN: 1
; COMPUTE_PGM_RSRC2:TGID_Y_EN: 0
; COMPUTE_PGM_RSRC2:TGID_Z_EN: 0
; COMPUTE_PGM_RSRC2:TIDIG_COMP_CNT: 0
; COMPUTE_PGM_RSRC3_GFX90A:ACCUM_OFFSET: 1
; COMPUTE_PGM_RSRC3_GFX90A:TG_SPLIT: 0
	.section	.text._ZN6thrust23THRUST_200600_302600_NS11hip_rocprim14__parallel_for6kernelILj256ENS1_20__uninitialized_fill7functorINS0_10device_ptrIxEExEEmLj1EEEvT0_T1_SA_,"axG",@progbits,_ZN6thrust23THRUST_200600_302600_NS11hip_rocprim14__parallel_for6kernelILj256ENS1_20__uninitialized_fill7functorINS0_10device_ptrIxEExEEmLj1EEEvT0_T1_SA_,comdat
	.protected	_ZN6thrust23THRUST_200600_302600_NS11hip_rocprim14__parallel_for6kernelILj256ENS1_20__uninitialized_fill7functorINS0_10device_ptrIxEExEEmLj1EEEvT0_T1_SA_ ; -- Begin function _ZN6thrust23THRUST_200600_302600_NS11hip_rocprim14__parallel_for6kernelILj256ENS1_20__uninitialized_fill7functorINS0_10device_ptrIxEExEEmLj1EEEvT0_T1_SA_
	.globl	_ZN6thrust23THRUST_200600_302600_NS11hip_rocprim14__parallel_for6kernelILj256ENS1_20__uninitialized_fill7functorINS0_10device_ptrIxEExEEmLj1EEEvT0_T1_SA_
	.p2align	8
	.type	_ZN6thrust23THRUST_200600_302600_NS11hip_rocprim14__parallel_for6kernelILj256ENS1_20__uninitialized_fill7functorINS0_10device_ptrIxEExEEmLj1EEEvT0_T1_SA_,@function
_ZN6thrust23THRUST_200600_302600_NS11hip_rocprim14__parallel_for6kernelILj256ENS1_20__uninitialized_fill7functorINS0_10device_ptrIxEExEEmLj1EEEvT0_T1_SA_: ; @_ZN6thrust23THRUST_200600_302600_NS11hip_rocprim14__parallel_for6kernelILj256ENS1_20__uninitialized_fill7functorINS0_10device_ptrIxEExEEmLj1EEEvT0_T1_SA_
; %bb.0:
	s_load_dwordx8 s[4:11], s[0:1], 0x0
	s_lshl_b32 s0, s2, 8
	v_mov_b64_e32 v[2:3], 0x100
	s_waitcnt lgkmcnt(0)
	s_add_u32 s0, s0, s10
	s_addc_u32 s1, 0, s11
	s_sub_u32 s2, s8, s0
	s_subb_u32 s3, s9, s1
	v_cmp_lt_u64_e32 vcc, s[2:3], v[2:3]
	s_cbranch_vccz .LBB2_2
; %bb.1:
	v_cmp_gt_u32_e32 vcc, s2, v0
	s_and_b64 s[2:3], vcc, exec
	s_cbranch_execz .LBB2_3
	s_branch .LBB2_4
.LBB2_2:
	s_mov_b64 s[2:3], 0
.LBB2_3:
	s_or_b64 s[2:3], s[2:3], exec
.LBB2_4:
	s_and_saveexec_b64 s[8:9], s[2:3]
	s_cbranch_execnz .LBB2_6
; %bb.5:
	s_endpgm
.LBB2_6:
	s_lshl_b64 s[0:1], s[0:1], 3
	s_add_u32 s0, s4, s0
	v_mov_b32_e32 v1, 0
	s_addc_u32 s1, s5, s1
	v_mov_b32_e32 v2, s6
	v_mov_b32_e32 v3, s7
	v_lshl_add_u64 v[0:1], v[0:1], 3, s[0:1]
	flat_store_dwordx2 v[0:1], v[2:3]
	s_endpgm
	.section	.rodata,"a",@progbits
	.p2align	6, 0x0
	.amdhsa_kernel _ZN6thrust23THRUST_200600_302600_NS11hip_rocprim14__parallel_for6kernelILj256ENS1_20__uninitialized_fill7functorINS0_10device_ptrIxEExEEmLj1EEEvT0_T1_SA_
		.amdhsa_group_segment_fixed_size 0
		.amdhsa_private_segment_fixed_size 0
		.amdhsa_kernarg_size 32
		.amdhsa_user_sgpr_count 2
		.amdhsa_user_sgpr_dispatch_ptr 0
		.amdhsa_user_sgpr_queue_ptr 0
		.amdhsa_user_sgpr_kernarg_segment_ptr 1
		.amdhsa_user_sgpr_dispatch_id 0
		.amdhsa_user_sgpr_kernarg_preload_length 0
		.amdhsa_user_sgpr_kernarg_preload_offset 0
		.amdhsa_user_sgpr_private_segment_size 0
		.amdhsa_uses_dynamic_stack 0
		.amdhsa_enable_private_segment 0
		.amdhsa_system_sgpr_workgroup_id_x 1
		.amdhsa_system_sgpr_workgroup_id_y 0
		.amdhsa_system_sgpr_workgroup_id_z 0
		.amdhsa_system_sgpr_workgroup_info 0
		.amdhsa_system_vgpr_workitem_id 0
		.amdhsa_next_free_vgpr 4
		.amdhsa_next_free_sgpr 12
		.amdhsa_accum_offset 4
		.amdhsa_reserve_vcc 1
		.amdhsa_float_round_mode_32 0
		.amdhsa_float_round_mode_16_64 0
		.amdhsa_float_denorm_mode_32 3
		.amdhsa_float_denorm_mode_16_64 3
		.amdhsa_dx10_clamp 1
		.amdhsa_ieee_mode 1
		.amdhsa_fp16_overflow 0
		.amdhsa_tg_split 0
		.amdhsa_exception_fp_ieee_invalid_op 0
		.amdhsa_exception_fp_denorm_src 0
		.amdhsa_exception_fp_ieee_div_zero 0
		.amdhsa_exception_fp_ieee_overflow 0
		.amdhsa_exception_fp_ieee_underflow 0
		.amdhsa_exception_fp_ieee_inexact 0
		.amdhsa_exception_int_div_zero 0
	.end_amdhsa_kernel
	.section	.text._ZN6thrust23THRUST_200600_302600_NS11hip_rocprim14__parallel_for6kernelILj256ENS1_20__uninitialized_fill7functorINS0_10device_ptrIxEExEEmLj1EEEvT0_T1_SA_,"axG",@progbits,_ZN6thrust23THRUST_200600_302600_NS11hip_rocprim14__parallel_for6kernelILj256ENS1_20__uninitialized_fill7functorINS0_10device_ptrIxEExEEmLj1EEEvT0_T1_SA_,comdat
.Lfunc_end2:
	.size	_ZN6thrust23THRUST_200600_302600_NS11hip_rocprim14__parallel_for6kernelILj256ENS1_20__uninitialized_fill7functorINS0_10device_ptrIxEExEEmLj1EEEvT0_T1_SA_, .Lfunc_end2-_ZN6thrust23THRUST_200600_302600_NS11hip_rocprim14__parallel_for6kernelILj256ENS1_20__uninitialized_fill7functorINS0_10device_ptrIxEExEEmLj1EEEvT0_T1_SA_
                                        ; -- End function
	.section	.AMDGPU.csdata,"",@progbits
; Kernel info:
; codeLenInByte = 128
; NumSgprs: 18
; NumVgprs: 4
; NumAgprs: 0
; TotalNumVgprs: 4
; ScratchSize: 0
; MemoryBound: 0
; FloatMode: 240
; IeeeMode: 1
; LDSByteSize: 0 bytes/workgroup (compile time only)
; SGPRBlocks: 2
; VGPRBlocks: 0
; NumSGPRsForWavesPerEU: 18
; NumVGPRsForWavesPerEU: 4
; AccumOffset: 4
; Occupancy: 8
; WaveLimiterHint : 0
; COMPUTE_PGM_RSRC2:SCRATCH_EN: 0
; COMPUTE_PGM_RSRC2:USER_SGPR: 2
; COMPUTE_PGM_RSRC2:TRAP_HANDLER: 0
; COMPUTE_PGM_RSRC2:TGID_X_EN: 1
; COMPUTE_PGM_RSRC2:TGID_Y_EN: 0
; COMPUTE_PGM_RSRC2:TGID_Z_EN: 0
; COMPUTE_PGM_RSRC2:TIDIG_COMP_CNT: 0
; COMPUTE_PGM_RSRC3_GFX90A:ACCUM_OFFSET: 0
; COMPUTE_PGM_RSRC3_GFX90A:TG_SPLIT: 0
	.section	.text._ZN7rocprim17ROCPRIM_400000_NS6detail30init_device_scan_by_key_kernelINS1_19lookback_scan_stateINS0_5tupleIJxbEEELb0ELb0EEEN6thrust23THRUST_200600_302600_NS6detail15normal_iteratorINS8_10device_ptrIxEEEEjNS1_16block_id_wrapperIjLb0EEEEEvT_jjPNSG_10value_typeET0_PNSt15iterator_traitsISJ_E10value_typeEmT1_T2_,"axG",@progbits,_ZN7rocprim17ROCPRIM_400000_NS6detail30init_device_scan_by_key_kernelINS1_19lookback_scan_stateINS0_5tupleIJxbEEELb0ELb0EEEN6thrust23THRUST_200600_302600_NS6detail15normal_iteratorINS8_10device_ptrIxEEEEjNS1_16block_id_wrapperIjLb0EEEEEvT_jjPNSG_10value_typeET0_PNSt15iterator_traitsISJ_E10value_typeEmT1_T2_,comdat
	.protected	_ZN7rocprim17ROCPRIM_400000_NS6detail30init_device_scan_by_key_kernelINS1_19lookback_scan_stateINS0_5tupleIJxbEEELb0ELb0EEEN6thrust23THRUST_200600_302600_NS6detail15normal_iteratorINS8_10device_ptrIxEEEEjNS1_16block_id_wrapperIjLb0EEEEEvT_jjPNSG_10value_typeET0_PNSt15iterator_traitsISJ_E10value_typeEmT1_T2_ ; -- Begin function _ZN7rocprim17ROCPRIM_400000_NS6detail30init_device_scan_by_key_kernelINS1_19lookback_scan_stateINS0_5tupleIJxbEEELb0ELb0EEEN6thrust23THRUST_200600_302600_NS6detail15normal_iteratorINS8_10device_ptrIxEEEEjNS1_16block_id_wrapperIjLb0EEEEEvT_jjPNSG_10value_typeET0_PNSt15iterator_traitsISJ_E10value_typeEmT1_T2_
	.globl	_ZN7rocprim17ROCPRIM_400000_NS6detail30init_device_scan_by_key_kernelINS1_19lookback_scan_stateINS0_5tupleIJxbEEELb0ELb0EEEN6thrust23THRUST_200600_302600_NS6detail15normal_iteratorINS8_10device_ptrIxEEEEjNS1_16block_id_wrapperIjLb0EEEEEvT_jjPNSG_10value_typeET0_PNSt15iterator_traitsISJ_E10value_typeEmT1_T2_
	.p2align	8
	.type	_ZN7rocprim17ROCPRIM_400000_NS6detail30init_device_scan_by_key_kernelINS1_19lookback_scan_stateINS0_5tupleIJxbEEELb0ELb0EEEN6thrust23THRUST_200600_302600_NS6detail15normal_iteratorINS8_10device_ptrIxEEEEjNS1_16block_id_wrapperIjLb0EEEEEvT_jjPNSG_10value_typeET0_PNSt15iterator_traitsISJ_E10value_typeEmT1_T2_,@function
_ZN7rocprim17ROCPRIM_400000_NS6detail30init_device_scan_by_key_kernelINS1_19lookback_scan_stateINS0_5tupleIJxbEEELb0ELb0EEEN6thrust23THRUST_200600_302600_NS6detail15normal_iteratorINS8_10device_ptrIxEEEEjNS1_16block_id_wrapperIjLb0EEEEEvT_jjPNSG_10value_typeET0_PNSt15iterator_traitsISJ_E10value_typeEmT1_T2_: ; @_ZN7rocprim17ROCPRIM_400000_NS6detail30init_device_scan_by_key_kernelINS1_19lookback_scan_stateINS0_5tupleIJxbEEELb0ELb0EEEN6thrust23THRUST_200600_302600_NS6detail15normal_iteratorINS8_10device_ptrIxEEEEjNS1_16block_id_wrapperIjLb0EEEEEvT_jjPNSG_10value_typeET0_PNSt15iterator_traitsISJ_E10value_typeEmT1_T2_
; %bb.0:
	s_load_dword s3, s[0:1], 0x54
	s_load_dwordx8 s[4:11], s[0:1], 0x10
	s_load_dword s20, s[0:1], 0x48
	s_waitcnt lgkmcnt(0)
	s_and_b32 s21, s3, 0xffff
	s_mul_i32 s2, s2, s21
	s_cmp_eq_u64 s[8:9], 0
	v_add_u32_e32 v0, s2, v0
	s_cbranch_scc1 .LBB3_7
; %bb.1:
	s_cmp_lt_u32 s7, s6
	s_cselect_b32 s2, s7, 0
	s_mov_b32 s17, 0
	v_cmp_eq_u32_e32 vcc, s2, v0
	s_and_saveexec_b64 s[2:3], vcc
	s_cbranch_execz .LBB3_6
; %bb.2:
	s_add_i32 s16, s7, 64
	v_mov_b32_e32 v1, s16
	global_load_ubyte v1, v1, s[4:5] sc1
	s_load_dwordx4 s[12:15], s[0:1], 0x0
	s_add_u32 s18, s4, s16
	s_addc_u32 s19, s5, 0
	s_waitcnt vmcnt(0)
	v_cmp_ne_u16_e32 vcc, 0, v1
	v_readfirstlane_b32 s7, v1
	s_cbranch_vccnz .LBB3_5
; %bb.3:
	v_mov_b32_e32 v1, 0
.LBB3_4:                                ; =>This Inner Loop Header: Depth=1
	global_load_ubyte v2, v1, s[18:19] sc1
	s_waitcnt vmcnt(0)
	v_cmp_eq_u16_e32 vcc, 0, v2
	v_readfirstlane_b32 s7, v2
	s_cbranch_vccnz .LBB3_4
.LBB3_5:
	s_and_b32 s7, 0xffff, s7
	s_cmp_eq_u32 s7, 1
	s_waitcnt lgkmcnt(0)
	s_cselect_b32 s7, s13, s15
	s_cselect_b32 s14, s12, s14
	s_lshl_b64 s[12:13], s[16:17], 4
	s_add_u32 s12, s14, s12
	s_addc_u32 s13, s7, s13
	v_mov_b32_e32 v1, 0
	s_waitcnt vmcnt(0)
	global_load_dword v2, v1, s[12:13] sc1
	global_load_dword v3, v1, s[12:13] offset:4 sc1
	global_load_dword v4, v1, s[12:13] offset:8 sc1
	;; [unrolled: 1-line block ×3, first 2 shown]
	s_waitcnt vmcnt(2)
	global_store_dwordx2 v1, v[2:3], s[8:9]
	s_waitcnt vmcnt(2)
	global_store_byte v1, v4, s[8:9] offset:8
.LBB3_6:
	s_or_b64 exec, exec, s[2:3]
.LBB3_7:
	v_cmp_gt_u32_e32 vcc, s6, v0
	s_and_saveexec_b64 s[2:3], vcc
	s_cbranch_execz .LBB3_9
; %bb.8:
	v_add_u32_e32 v1, 64, v0
	v_mov_b32_e32 v2, 0
	global_store_byte v1, v2, s[4:5]
.LBB3_9:
	s_or_b64 exec, exec, s[2:3]
	v_cmp_gt_u32_e32 vcc, 64, v0
	v_mov_b32_e32 v1, 0
	s_and_saveexec_b64 s[2:3], vcc
	s_cbranch_execz .LBB3_11
; %bb.10:
	v_lshl_add_u64 v[2:3], s[4:5], 0, v[0:1]
	v_mov_b32_e32 v4, 0xff
	global_store_byte v[2:3], v4, off
.LBB3_11:
	s_or_b64 exec, exec, s[2:3]
	s_load_dwordx2 s[2:3], s[0:1], 0x38
	s_waitcnt lgkmcnt(0)
	v_cmp_gt_u64_e32 vcc, s[2:3], v[0:1]
	s_and_saveexec_b64 s[4:5], vcc
	s_cbranch_execz .LBB3_14
; %bb.12:
	s_load_dword s12, s[0:1], 0x40
	s_load_dwordx2 s[6:7], s[0:1], 0x30
	s_mov_b32 s5, 0
	s_mov_b32 s1, s5
	s_mul_i32 s0, s20, s21
	s_waitcnt lgkmcnt(0)
	s_add_i32 s4, s12, -1
	s_lshl_b64 s[4:5], s[4:5], 3
	s_add_u32 s4, s10, s4
	v_mad_u64_u32 v[2:3], s[8:9], s12, v0, 0
	s_addc_u32 s5, s11, s5
	v_lshl_add_u64 v[2:3], v[2:3], 3, s[4:5]
	s_mul_hi_u32 s5, s12, s0
	s_mul_i32 s4, s12, s0
	s_lshl_b64 s[4:5], s[4:5], 3
	s_waitcnt vmcnt(2)
	v_lshl_add_u64 v[4:5], v[0:1], 3, s[6:7]
	s_lshl_b64 s[6:7], s[0:1], 3
	s_mov_b64 s[8:9], 0
.LBB3_13:                               ; =>This Inner Loop Header: Depth=1
	global_load_dwordx2 v[6:7], v[2:3], off
	v_lshl_add_u64 v[0:1], v[0:1], 0, s[0:1]
	v_cmp_le_u64_e32 vcc, s[2:3], v[0:1]
	v_lshl_add_u64 v[2:3], v[2:3], 0, s[4:5]
	s_or_b64 s[8:9], vcc, s[8:9]
	s_waitcnt vmcnt(0)
	global_store_dwordx2 v[4:5], v[6:7], off
	v_lshl_add_u64 v[4:5], v[4:5], 0, s[6:7]
	s_andn2_b64 exec, exec, s[8:9]
	s_cbranch_execnz .LBB3_13
.LBB3_14:
	s_endpgm
	.section	.rodata,"a",@progbits
	.p2align	6, 0x0
	.amdhsa_kernel _ZN7rocprim17ROCPRIM_400000_NS6detail30init_device_scan_by_key_kernelINS1_19lookback_scan_stateINS0_5tupleIJxbEEELb0ELb0EEEN6thrust23THRUST_200600_302600_NS6detail15normal_iteratorINS8_10device_ptrIxEEEEjNS1_16block_id_wrapperIjLb0EEEEEvT_jjPNSG_10value_typeET0_PNSt15iterator_traitsISJ_E10value_typeEmT1_T2_
		.amdhsa_group_segment_fixed_size 0
		.amdhsa_private_segment_fixed_size 0
		.amdhsa_kernarg_size 328
		.amdhsa_user_sgpr_count 2
		.amdhsa_user_sgpr_dispatch_ptr 0
		.amdhsa_user_sgpr_queue_ptr 0
		.amdhsa_user_sgpr_kernarg_segment_ptr 1
		.amdhsa_user_sgpr_dispatch_id 0
		.amdhsa_user_sgpr_kernarg_preload_length 0
		.amdhsa_user_sgpr_kernarg_preload_offset 0
		.amdhsa_user_sgpr_private_segment_size 0
		.amdhsa_uses_dynamic_stack 0
		.amdhsa_enable_private_segment 0
		.amdhsa_system_sgpr_workgroup_id_x 1
		.amdhsa_system_sgpr_workgroup_id_y 0
		.amdhsa_system_sgpr_workgroup_id_z 0
		.amdhsa_system_sgpr_workgroup_info 0
		.amdhsa_system_vgpr_workitem_id 0
		.amdhsa_next_free_vgpr 8
		.amdhsa_next_free_sgpr 22
		.amdhsa_accum_offset 8
		.amdhsa_reserve_vcc 1
		.amdhsa_float_round_mode_32 0
		.amdhsa_float_round_mode_16_64 0
		.amdhsa_float_denorm_mode_32 3
		.amdhsa_float_denorm_mode_16_64 3
		.amdhsa_dx10_clamp 1
		.amdhsa_ieee_mode 1
		.amdhsa_fp16_overflow 0
		.amdhsa_tg_split 0
		.amdhsa_exception_fp_ieee_invalid_op 0
		.amdhsa_exception_fp_denorm_src 0
		.amdhsa_exception_fp_ieee_div_zero 0
		.amdhsa_exception_fp_ieee_overflow 0
		.amdhsa_exception_fp_ieee_underflow 0
		.amdhsa_exception_fp_ieee_inexact 0
		.amdhsa_exception_int_div_zero 0
	.end_amdhsa_kernel
	.section	.text._ZN7rocprim17ROCPRIM_400000_NS6detail30init_device_scan_by_key_kernelINS1_19lookback_scan_stateINS0_5tupleIJxbEEELb0ELb0EEEN6thrust23THRUST_200600_302600_NS6detail15normal_iteratorINS8_10device_ptrIxEEEEjNS1_16block_id_wrapperIjLb0EEEEEvT_jjPNSG_10value_typeET0_PNSt15iterator_traitsISJ_E10value_typeEmT1_T2_,"axG",@progbits,_ZN7rocprim17ROCPRIM_400000_NS6detail30init_device_scan_by_key_kernelINS1_19lookback_scan_stateINS0_5tupleIJxbEEELb0ELb0EEEN6thrust23THRUST_200600_302600_NS6detail15normal_iteratorINS8_10device_ptrIxEEEEjNS1_16block_id_wrapperIjLb0EEEEEvT_jjPNSG_10value_typeET0_PNSt15iterator_traitsISJ_E10value_typeEmT1_T2_,comdat
.Lfunc_end3:
	.size	_ZN7rocprim17ROCPRIM_400000_NS6detail30init_device_scan_by_key_kernelINS1_19lookback_scan_stateINS0_5tupleIJxbEEELb0ELb0EEEN6thrust23THRUST_200600_302600_NS6detail15normal_iteratorINS8_10device_ptrIxEEEEjNS1_16block_id_wrapperIjLb0EEEEEvT_jjPNSG_10value_typeET0_PNSt15iterator_traitsISJ_E10value_typeEmT1_T2_, .Lfunc_end3-_ZN7rocprim17ROCPRIM_400000_NS6detail30init_device_scan_by_key_kernelINS1_19lookback_scan_stateINS0_5tupleIJxbEEELb0ELb0EEEN6thrust23THRUST_200600_302600_NS6detail15normal_iteratorINS8_10device_ptrIxEEEEjNS1_16block_id_wrapperIjLb0EEEEEvT_jjPNSG_10value_typeET0_PNSt15iterator_traitsISJ_E10value_typeEmT1_T2_
                                        ; -- End function
	.section	.AMDGPU.csdata,"",@progbits
; Kernel info:
; codeLenInByte = 516
; NumSgprs: 28
; NumVgprs: 8
; NumAgprs: 0
; TotalNumVgprs: 8
; ScratchSize: 0
; MemoryBound: 0
; FloatMode: 240
; IeeeMode: 1
; LDSByteSize: 0 bytes/workgroup (compile time only)
; SGPRBlocks: 3
; VGPRBlocks: 0
; NumSGPRsForWavesPerEU: 28
; NumVGPRsForWavesPerEU: 8
; AccumOffset: 8
; Occupancy: 8
; WaveLimiterHint : 0
; COMPUTE_PGM_RSRC2:SCRATCH_EN: 0
; COMPUTE_PGM_RSRC2:USER_SGPR: 2
; COMPUTE_PGM_RSRC2:TRAP_HANDLER: 0
; COMPUTE_PGM_RSRC2:TGID_X_EN: 1
; COMPUTE_PGM_RSRC2:TGID_Y_EN: 0
; COMPUTE_PGM_RSRC2:TGID_Z_EN: 0
; COMPUTE_PGM_RSRC2:TIDIG_COMP_CNT: 0
; COMPUTE_PGM_RSRC3_GFX90A:ACCUM_OFFSET: 1
; COMPUTE_PGM_RSRC3_GFX90A:TG_SPLIT: 0
	.section	.text._ZN7rocprim17ROCPRIM_400000_NS6detail30init_device_scan_by_key_kernelINS1_19lookback_scan_stateINS0_5tupleIJxbEEELb0ELb0EEENS1_16block_id_wrapperIjLb0EEEEEvT_jjPNS9_10value_typeET0_,"axG",@progbits,_ZN7rocprim17ROCPRIM_400000_NS6detail30init_device_scan_by_key_kernelINS1_19lookback_scan_stateINS0_5tupleIJxbEEELb0ELb0EEENS1_16block_id_wrapperIjLb0EEEEEvT_jjPNS9_10value_typeET0_,comdat
	.protected	_ZN7rocprim17ROCPRIM_400000_NS6detail30init_device_scan_by_key_kernelINS1_19lookback_scan_stateINS0_5tupleIJxbEEELb0ELb0EEENS1_16block_id_wrapperIjLb0EEEEEvT_jjPNS9_10value_typeET0_ ; -- Begin function _ZN7rocprim17ROCPRIM_400000_NS6detail30init_device_scan_by_key_kernelINS1_19lookback_scan_stateINS0_5tupleIJxbEEELb0ELb0EEENS1_16block_id_wrapperIjLb0EEEEEvT_jjPNS9_10value_typeET0_
	.globl	_ZN7rocprim17ROCPRIM_400000_NS6detail30init_device_scan_by_key_kernelINS1_19lookback_scan_stateINS0_5tupleIJxbEEELb0ELb0EEENS1_16block_id_wrapperIjLb0EEEEEvT_jjPNS9_10value_typeET0_
	.p2align	8
	.type	_ZN7rocprim17ROCPRIM_400000_NS6detail30init_device_scan_by_key_kernelINS1_19lookback_scan_stateINS0_5tupleIJxbEEELb0ELb0EEENS1_16block_id_wrapperIjLb0EEEEEvT_jjPNS9_10value_typeET0_,@function
_ZN7rocprim17ROCPRIM_400000_NS6detail30init_device_scan_by_key_kernelINS1_19lookback_scan_stateINS0_5tupleIJxbEEELb0ELb0EEENS1_16block_id_wrapperIjLb0EEEEEvT_jjPNS9_10value_typeET0_: ; @_ZN7rocprim17ROCPRIM_400000_NS6detail30init_device_scan_by_key_kernelINS1_19lookback_scan_stateINS0_5tupleIJxbEEELb0ELb0EEENS1_16block_id_wrapperIjLb0EEEEEvT_jjPNS9_10value_typeET0_
; %bb.0:
	s_load_dword s3, s[0:1], 0x3c
	s_load_dwordx2 s[8:9], s[0:1], 0x20
	s_load_dwordx4 s[4:7], s[0:1], 0x10
	s_waitcnt lgkmcnt(0)
	s_and_b32 s3, s3, 0xffff
	s_mul_i32 s2, s2, s3
	s_cmp_eq_u64 s[8:9], 0
	v_add_u32_e32 v0, s2, v0
	s_cbranch_scc1 .LBB4_7
; %bb.1:
	s_cmp_lt_u32 s7, s6
	s_cselect_b32 s2, s7, 0
	s_mov_b32 s13, 0
	v_cmp_eq_u32_e32 vcc, s2, v0
	s_and_saveexec_b64 s[10:11], vcc
	s_cbranch_execz .LBB4_6
; %bb.2:
	s_add_i32 s12, s7, 64
	v_mov_b32_e32 v1, s12
	global_load_ubyte v1, v1, s[4:5] sc1
	s_load_dwordx4 s[0:3], s[0:1], 0x0
	s_add_u32 s14, s4, s12
	s_addc_u32 s15, s5, 0
	s_waitcnt vmcnt(0)
	v_cmp_ne_u16_e32 vcc, 0, v1
	v_readfirstlane_b32 s7, v1
	s_cbranch_vccnz .LBB4_5
; %bb.3:
	v_mov_b32_e32 v1, 0
.LBB4_4:                                ; =>This Inner Loop Header: Depth=1
	global_load_ubyte v2, v1, s[14:15] sc1
	s_waitcnt vmcnt(0)
	v_cmp_eq_u16_e32 vcc, 0, v2
	v_readfirstlane_b32 s7, v2
	s_cbranch_vccnz .LBB4_4
.LBB4_5:
	s_and_b32 s7, 0xffff, s7
	s_cmp_eq_u32 s7, 1
	s_waitcnt lgkmcnt(0)
	s_cselect_b32 s3, s1, s3
	s_cselect_b32 s2, s0, s2
	s_lshl_b64 s[0:1], s[12:13], 4
	s_add_u32 s0, s2, s0
	s_addc_u32 s1, s3, s1
	v_mov_b32_e32 v1, 0
	s_waitcnt vmcnt(0)
	global_load_dword v2, v1, s[0:1] sc1
	global_load_dword v3, v1, s[0:1] offset:4 sc1
	global_load_dword v4, v1, s[0:1] offset:8 sc1
	;; [unrolled: 1-line block ×3, first 2 shown]
	s_waitcnt vmcnt(2)
	global_store_dwordx2 v1, v[2:3], s[8:9]
	s_waitcnt vmcnt(2)
	global_store_byte v1, v4, s[8:9] offset:8
.LBB4_6:
	s_or_b64 exec, exec, s[10:11]
.LBB4_7:
	v_cmp_gt_u32_e32 vcc, s6, v0
	s_and_saveexec_b64 s[0:1], vcc
	s_cbranch_execnz .LBB4_10
; %bb.8:
	s_or_b64 exec, exec, s[0:1]
	v_cmp_gt_u32_e32 vcc, 64, v0
	s_and_saveexec_b64 s[0:1], vcc
	s_cbranch_execnz .LBB4_11
.LBB4_9:
	s_endpgm
.LBB4_10:
	v_add_u32_e32 v1, 64, v0
	v_mov_b32_e32 v2, 0
	global_store_byte v1, v2, s[4:5]
	s_or_b64 exec, exec, s[0:1]
	v_cmp_gt_u32_e32 vcc, 64, v0
	s_and_saveexec_b64 s[0:1], vcc
	s_cbranch_execz .LBB4_9
.LBB4_11:
	v_mov_b32_e32 v1, 0xff
	global_store_byte v0, v1, s[4:5]
	s_endpgm
	.section	.rodata,"a",@progbits
	.p2align	6, 0x0
	.amdhsa_kernel _ZN7rocprim17ROCPRIM_400000_NS6detail30init_device_scan_by_key_kernelINS1_19lookback_scan_stateINS0_5tupleIJxbEEELb0ELb0EEENS1_16block_id_wrapperIjLb0EEEEEvT_jjPNS9_10value_typeET0_
		.amdhsa_group_segment_fixed_size 0
		.amdhsa_private_segment_fixed_size 0
		.amdhsa_kernarg_size 304
		.amdhsa_user_sgpr_count 2
		.amdhsa_user_sgpr_dispatch_ptr 0
		.amdhsa_user_sgpr_queue_ptr 0
		.amdhsa_user_sgpr_kernarg_segment_ptr 1
		.amdhsa_user_sgpr_dispatch_id 0
		.amdhsa_user_sgpr_kernarg_preload_length 0
		.amdhsa_user_sgpr_kernarg_preload_offset 0
		.amdhsa_user_sgpr_private_segment_size 0
		.amdhsa_uses_dynamic_stack 0
		.amdhsa_enable_private_segment 0
		.amdhsa_system_sgpr_workgroup_id_x 1
		.amdhsa_system_sgpr_workgroup_id_y 0
		.amdhsa_system_sgpr_workgroup_id_z 0
		.amdhsa_system_sgpr_workgroup_info 0
		.amdhsa_system_vgpr_workitem_id 0
		.amdhsa_next_free_vgpr 6
		.amdhsa_next_free_sgpr 16
		.amdhsa_accum_offset 8
		.amdhsa_reserve_vcc 1
		.amdhsa_float_round_mode_32 0
		.amdhsa_float_round_mode_16_64 0
		.amdhsa_float_denorm_mode_32 3
		.amdhsa_float_denorm_mode_16_64 3
		.amdhsa_dx10_clamp 1
		.amdhsa_ieee_mode 1
		.amdhsa_fp16_overflow 0
		.amdhsa_tg_split 0
		.amdhsa_exception_fp_ieee_invalid_op 0
		.amdhsa_exception_fp_denorm_src 0
		.amdhsa_exception_fp_ieee_div_zero 0
		.amdhsa_exception_fp_ieee_overflow 0
		.amdhsa_exception_fp_ieee_underflow 0
		.amdhsa_exception_fp_ieee_inexact 0
		.amdhsa_exception_int_div_zero 0
	.end_amdhsa_kernel
	.section	.text._ZN7rocprim17ROCPRIM_400000_NS6detail30init_device_scan_by_key_kernelINS1_19lookback_scan_stateINS0_5tupleIJxbEEELb0ELb0EEENS1_16block_id_wrapperIjLb0EEEEEvT_jjPNS9_10value_typeET0_,"axG",@progbits,_ZN7rocprim17ROCPRIM_400000_NS6detail30init_device_scan_by_key_kernelINS1_19lookback_scan_stateINS0_5tupleIJxbEEELb0ELb0EEENS1_16block_id_wrapperIjLb0EEEEEvT_jjPNS9_10value_typeET0_,comdat
.Lfunc_end4:
	.size	_ZN7rocprim17ROCPRIM_400000_NS6detail30init_device_scan_by_key_kernelINS1_19lookback_scan_stateINS0_5tupleIJxbEEELb0ELb0EEENS1_16block_id_wrapperIjLb0EEEEEvT_jjPNS9_10value_typeET0_, .Lfunc_end4-_ZN7rocprim17ROCPRIM_400000_NS6detail30init_device_scan_by_key_kernelINS1_19lookback_scan_stateINS0_5tupleIJxbEEELb0ELb0EEENS1_16block_id_wrapperIjLb0EEEEEvT_jjPNS9_10value_typeET0_
                                        ; -- End function
	.section	.AMDGPU.csdata,"",@progbits
; Kernel info:
; codeLenInByte = 340
; NumSgprs: 22
; NumVgprs: 6
; NumAgprs: 0
; TotalNumVgprs: 6
; ScratchSize: 0
; MemoryBound: 0
; FloatMode: 240
; IeeeMode: 1
; LDSByteSize: 0 bytes/workgroup (compile time only)
; SGPRBlocks: 2
; VGPRBlocks: 0
; NumSGPRsForWavesPerEU: 22
; NumVGPRsForWavesPerEU: 6
; AccumOffset: 8
; Occupancy: 8
; WaveLimiterHint : 0
; COMPUTE_PGM_RSRC2:SCRATCH_EN: 0
; COMPUTE_PGM_RSRC2:USER_SGPR: 2
; COMPUTE_PGM_RSRC2:TRAP_HANDLER: 0
; COMPUTE_PGM_RSRC2:TGID_X_EN: 1
; COMPUTE_PGM_RSRC2:TGID_Y_EN: 0
; COMPUTE_PGM_RSRC2:TGID_Z_EN: 0
; COMPUTE_PGM_RSRC2:TIDIG_COMP_CNT: 0
; COMPUTE_PGM_RSRC3_GFX90A:ACCUM_OFFSET: 1
; COMPUTE_PGM_RSRC3_GFX90A:TG_SPLIT: 0
	.section	.text._ZN7rocprim17ROCPRIM_400000_NS6detail17trampoline_kernelINS0_14default_configENS1_27scan_by_key_config_selectorIxxEEZZNS1_16scan_by_key_implILNS1_25lookback_scan_determinismE0ELb0ES3_N6thrust23THRUST_200600_302600_NS6detail15normal_iteratorINS9_10device_ptrIxEEEESE_SE_xNS9_4plusIvEENS9_8equal_toIvEExEE10hipError_tPvRmT2_T3_T4_T5_mT6_T7_P12ihipStream_tbENKUlT_T0_E_clISt17integral_constantIbLb0EESZ_EEDaSU_SV_EUlSU_E_NS1_11comp_targetILNS1_3genE0ELNS1_11target_archE4294967295ELNS1_3gpuE0ELNS1_3repE0EEENS1_30default_config_static_selectorELNS0_4arch9wavefront6targetE1EEEvT1_,"axG",@progbits,_ZN7rocprim17ROCPRIM_400000_NS6detail17trampoline_kernelINS0_14default_configENS1_27scan_by_key_config_selectorIxxEEZZNS1_16scan_by_key_implILNS1_25lookback_scan_determinismE0ELb0ES3_N6thrust23THRUST_200600_302600_NS6detail15normal_iteratorINS9_10device_ptrIxEEEESE_SE_xNS9_4plusIvEENS9_8equal_toIvEExEE10hipError_tPvRmT2_T3_T4_T5_mT6_T7_P12ihipStream_tbENKUlT_T0_E_clISt17integral_constantIbLb0EESZ_EEDaSU_SV_EUlSU_E_NS1_11comp_targetILNS1_3genE0ELNS1_11target_archE4294967295ELNS1_3gpuE0ELNS1_3repE0EEENS1_30default_config_static_selectorELNS0_4arch9wavefront6targetE1EEEvT1_,comdat
	.protected	_ZN7rocprim17ROCPRIM_400000_NS6detail17trampoline_kernelINS0_14default_configENS1_27scan_by_key_config_selectorIxxEEZZNS1_16scan_by_key_implILNS1_25lookback_scan_determinismE0ELb0ES3_N6thrust23THRUST_200600_302600_NS6detail15normal_iteratorINS9_10device_ptrIxEEEESE_SE_xNS9_4plusIvEENS9_8equal_toIvEExEE10hipError_tPvRmT2_T3_T4_T5_mT6_T7_P12ihipStream_tbENKUlT_T0_E_clISt17integral_constantIbLb0EESZ_EEDaSU_SV_EUlSU_E_NS1_11comp_targetILNS1_3genE0ELNS1_11target_archE4294967295ELNS1_3gpuE0ELNS1_3repE0EEENS1_30default_config_static_selectorELNS0_4arch9wavefront6targetE1EEEvT1_ ; -- Begin function _ZN7rocprim17ROCPRIM_400000_NS6detail17trampoline_kernelINS0_14default_configENS1_27scan_by_key_config_selectorIxxEEZZNS1_16scan_by_key_implILNS1_25lookback_scan_determinismE0ELb0ES3_N6thrust23THRUST_200600_302600_NS6detail15normal_iteratorINS9_10device_ptrIxEEEESE_SE_xNS9_4plusIvEENS9_8equal_toIvEExEE10hipError_tPvRmT2_T3_T4_T5_mT6_T7_P12ihipStream_tbENKUlT_T0_E_clISt17integral_constantIbLb0EESZ_EEDaSU_SV_EUlSU_E_NS1_11comp_targetILNS1_3genE0ELNS1_11target_archE4294967295ELNS1_3gpuE0ELNS1_3repE0EEENS1_30default_config_static_selectorELNS0_4arch9wavefront6targetE1EEEvT1_
	.globl	_ZN7rocprim17ROCPRIM_400000_NS6detail17trampoline_kernelINS0_14default_configENS1_27scan_by_key_config_selectorIxxEEZZNS1_16scan_by_key_implILNS1_25lookback_scan_determinismE0ELb0ES3_N6thrust23THRUST_200600_302600_NS6detail15normal_iteratorINS9_10device_ptrIxEEEESE_SE_xNS9_4plusIvEENS9_8equal_toIvEExEE10hipError_tPvRmT2_T3_T4_T5_mT6_T7_P12ihipStream_tbENKUlT_T0_E_clISt17integral_constantIbLb0EESZ_EEDaSU_SV_EUlSU_E_NS1_11comp_targetILNS1_3genE0ELNS1_11target_archE4294967295ELNS1_3gpuE0ELNS1_3repE0EEENS1_30default_config_static_selectorELNS0_4arch9wavefront6targetE1EEEvT1_
	.p2align	8
	.type	_ZN7rocprim17ROCPRIM_400000_NS6detail17trampoline_kernelINS0_14default_configENS1_27scan_by_key_config_selectorIxxEEZZNS1_16scan_by_key_implILNS1_25lookback_scan_determinismE0ELb0ES3_N6thrust23THRUST_200600_302600_NS6detail15normal_iteratorINS9_10device_ptrIxEEEESE_SE_xNS9_4plusIvEENS9_8equal_toIvEExEE10hipError_tPvRmT2_T3_T4_T5_mT6_T7_P12ihipStream_tbENKUlT_T0_E_clISt17integral_constantIbLb0EESZ_EEDaSU_SV_EUlSU_E_NS1_11comp_targetILNS1_3genE0ELNS1_11target_archE4294967295ELNS1_3gpuE0ELNS1_3repE0EEENS1_30default_config_static_selectorELNS0_4arch9wavefront6targetE1EEEvT1_,@function
_ZN7rocprim17ROCPRIM_400000_NS6detail17trampoline_kernelINS0_14default_configENS1_27scan_by_key_config_selectorIxxEEZZNS1_16scan_by_key_implILNS1_25lookback_scan_determinismE0ELb0ES3_N6thrust23THRUST_200600_302600_NS6detail15normal_iteratorINS9_10device_ptrIxEEEESE_SE_xNS9_4plusIvEENS9_8equal_toIvEExEE10hipError_tPvRmT2_T3_T4_T5_mT6_T7_P12ihipStream_tbENKUlT_T0_E_clISt17integral_constantIbLb0EESZ_EEDaSU_SV_EUlSU_E_NS1_11comp_targetILNS1_3genE0ELNS1_11target_archE4294967295ELNS1_3gpuE0ELNS1_3repE0EEENS1_30default_config_static_selectorELNS0_4arch9wavefront6targetE1EEEvT1_: ; @_ZN7rocprim17ROCPRIM_400000_NS6detail17trampoline_kernelINS0_14default_configENS1_27scan_by_key_config_selectorIxxEEZZNS1_16scan_by_key_implILNS1_25lookback_scan_determinismE0ELb0ES3_N6thrust23THRUST_200600_302600_NS6detail15normal_iteratorINS9_10device_ptrIxEEEESE_SE_xNS9_4plusIvEENS9_8equal_toIvEExEE10hipError_tPvRmT2_T3_T4_T5_mT6_T7_P12ihipStream_tbENKUlT_T0_E_clISt17integral_constantIbLb0EESZ_EEDaSU_SV_EUlSU_E_NS1_11comp_targetILNS1_3genE0ELNS1_11target_archE4294967295ELNS1_3gpuE0ELNS1_3repE0EEENS1_30default_config_static_selectorELNS0_4arch9wavefront6targetE1EEEvT1_
; %bb.0:
	.section	.rodata,"a",@progbits
	.p2align	6, 0x0
	.amdhsa_kernel _ZN7rocprim17ROCPRIM_400000_NS6detail17trampoline_kernelINS0_14default_configENS1_27scan_by_key_config_selectorIxxEEZZNS1_16scan_by_key_implILNS1_25lookback_scan_determinismE0ELb0ES3_N6thrust23THRUST_200600_302600_NS6detail15normal_iteratorINS9_10device_ptrIxEEEESE_SE_xNS9_4plusIvEENS9_8equal_toIvEExEE10hipError_tPvRmT2_T3_T4_T5_mT6_T7_P12ihipStream_tbENKUlT_T0_E_clISt17integral_constantIbLb0EESZ_EEDaSU_SV_EUlSU_E_NS1_11comp_targetILNS1_3genE0ELNS1_11target_archE4294967295ELNS1_3gpuE0ELNS1_3repE0EEENS1_30default_config_static_selectorELNS0_4arch9wavefront6targetE1EEEvT1_
		.amdhsa_group_segment_fixed_size 0
		.amdhsa_private_segment_fixed_size 0
		.amdhsa_kernarg_size 136
		.amdhsa_user_sgpr_count 2
		.amdhsa_user_sgpr_dispatch_ptr 0
		.amdhsa_user_sgpr_queue_ptr 0
		.amdhsa_user_sgpr_kernarg_segment_ptr 1
		.amdhsa_user_sgpr_dispatch_id 0
		.amdhsa_user_sgpr_kernarg_preload_length 0
		.amdhsa_user_sgpr_kernarg_preload_offset 0
		.amdhsa_user_sgpr_private_segment_size 0
		.amdhsa_uses_dynamic_stack 0
		.amdhsa_enable_private_segment 0
		.amdhsa_system_sgpr_workgroup_id_x 1
		.amdhsa_system_sgpr_workgroup_id_y 0
		.amdhsa_system_sgpr_workgroup_id_z 0
		.amdhsa_system_sgpr_workgroup_info 0
		.amdhsa_system_vgpr_workitem_id 0
		.amdhsa_next_free_vgpr 1
		.amdhsa_next_free_sgpr 0
		.amdhsa_accum_offset 4
		.amdhsa_reserve_vcc 0
		.amdhsa_float_round_mode_32 0
		.amdhsa_float_round_mode_16_64 0
		.amdhsa_float_denorm_mode_32 3
		.amdhsa_float_denorm_mode_16_64 3
		.amdhsa_dx10_clamp 1
		.amdhsa_ieee_mode 1
		.amdhsa_fp16_overflow 0
		.amdhsa_tg_split 0
		.amdhsa_exception_fp_ieee_invalid_op 0
		.amdhsa_exception_fp_denorm_src 0
		.amdhsa_exception_fp_ieee_div_zero 0
		.amdhsa_exception_fp_ieee_overflow 0
		.amdhsa_exception_fp_ieee_underflow 0
		.amdhsa_exception_fp_ieee_inexact 0
		.amdhsa_exception_int_div_zero 0
	.end_amdhsa_kernel
	.section	.text._ZN7rocprim17ROCPRIM_400000_NS6detail17trampoline_kernelINS0_14default_configENS1_27scan_by_key_config_selectorIxxEEZZNS1_16scan_by_key_implILNS1_25lookback_scan_determinismE0ELb0ES3_N6thrust23THRUST_200600_302600_NS6detail15normal_iteratorINS9_10device_ptrIxEEEESE_SE_xNS9_4plusIvEENS9_8equal_toIvEExEE10hipError_tPvRmT2_T3_T4_T5_mT6_T7_P12ihipStream_tbENKUlT_T0_E_clISt17integral_constantIbLb0EESZ_EEDaSU_SV_EUlSU_E_NS1_11comp_targetILNS1_3genE0ELNS1_11target_archE4294967295ELNS1_3gpuE0ELNS1_3repE0EEENS1_30default_config_static_selectorELNS0_4arch9wavefront6targetE1EEEvT1_,"axG",@progbits,_ZN7rocprim17ROCPRIM_400000_NS6detail17trampoline_kernelINS0_14default_configENS1_27scan_by_key_config_selectorIxxEEZZNS1_16scan_by_key_implILNS1_25lookback_scan_determinismE0ELb0ES3_N6thrust23THRUST_200600_302600_NS6detail15normal_iteratorINS9_10device_ptrIxEEEESE_SE_xNS9_4plusIvEENS9_8equal_toIvEExEE10hipError_tPvRmT2_T3_T4_T5_mT6_T7_P12ihipStream_tbENKUlT_T0_E_clISt17integral_constantIbLb0EESZ_EEDaSU_SV_EUlSU_E_NS1_11comp_targetILNS1_3genE0ELNS1_11target_archE4294967295ELNS1_3gpuE0ELNS1_3repE0EEENS1_30default_config_static_selectorELNS0_4arch9wavefront6targetE1EEEvT1_,comdat
.Lfunc_end5:
	.size	_ZN7rocprim17ROCPRIM_400000_NS6detail17trampoline_kernelINS0_14default_configENS1_27scan_by_key_config_selectorIxxEEZZNS1_16scan_by_key_implILNS1_25lookback_scan_determinismE0ELb0ES3_N6thrust23THRUST_200600_302600_NS6detail15normal_iteratorINS9_10device_ptrIxEEEESE_SE_xNS9_4plusIvEENS9_8equal_toIvEExEE10hipError_tPvRmT2_T3_T4_T5_mT6_T7_P12ihipStream_tbENKUlT_T0_E_clISt17integral_constantIbLb0EESZ_EEDaSU_SV_EUlSU_E_NS1_11comp_targetILNS1_3genE0ELNS1_11target_archE4294967295ELNS1_3gpuE0ELNS1_3repE0EEENS1_30default_config_static_selectorELNS0_4arch9wavefront6targetE1EEEvT1_, .Lfunc_end5-_ZN7rocprim17ROCPRIM_400000_NS6detail17trampoline_kernelINS0_14default_configENS1_27scan_by_key_config_selectorIxxEEZZNS1_16scan_by_key_implILNS1_25lookback_scan_determinismE0ELb0ES3_N6thrust23THRUST_200600_302600_NS6detail15normal_iteratorINS9_10device_ptrIxEEEESE_SE_xNS9_4plusIvEENS9_8equal_toIvEExEE10hipError_tPvRmT2_T3_T4_T5_mT6_T7_P12ihipStream_tbENKUlT_T0_E_clISt17integral_constantIbLb0EESZ_EEDaSU_SV_EUlSU_E_NS1_11comp_targetILNS1_3genE0ELNS1_11target_archE4294967295ELNS1_3gpuE0ELNS1_3repE0EEENS1_30default_config_static_selectorELNS0_4arch9wavefront6targetE1EEEvT1_
                                        ; -- End function
	.section	.AMDGPU.csdata,"",@progbits
; Kernel info:
; codeLenInByte = 0
; NumSgprs: 6
; NumVgprs: 0
; NumAgprs: 0
; TotalNumVgprs: 0
; ScratchSize: 0
; MemoryBound: 0
; FloatMode: 240
; IeeeMode: 1
; LDSByteSize: 0 bytes/workgroup (compile time only)
; SGPRBlocks: 0
; VGPRBlocks: 0
; NumSGPRsForWavesPerEU: 6
; NumVGPRsForWavesPerEU: 1
; AccumOffset: 4
; Occupancy: 8
; WaveLimiterHint : 0
; COMPUTE_PGM_RSRC2:SCRATCH_EN: 0
; COMPUTE_PGM_RSRC2:USER_SGPR: 2
; COMPUTE_PGM_RSRC2:TRAP_HANDLER: 0
; COMPUTE_PGM_RSRC2:TGID_X_EN: 1
; COMPUTE_PGM_RSRC2:TGID_Y_EN: 0
; COMPUTE_PGM_RSRC2:TGID_Z_EN: 0
; COMPUTE_PGM_RSRC2:TIDIG_COMP_CNT: 0
; COMPUTE_PGM_RSRC3_GFX90A:ACCUM_OFFSET: 0
; COMPUTE_PGM_RSRC3_GFX90A:TG_SPLIT: 0
	.section	.text._ZN7rocprim17ROCPRIM_400000_NS6detail17trampoline_kernelINS0_14default_configENS1_27scan_by_key_config_selectorIxxEEZZNS1_16scan_by_key_implILNS1_25lookback_scan_determinismE0ELb0ES3_N6thrust23THRUST_200600_302600_NS6detail15normal_iteratorINS9_10device_ptrIxEEEESE_SE_xNS9_4plusIvEENS9_8equal_toIvEExEE10hipError_tPvRmT2_T3_T4_T5_mT6_T7_P12ihipStream_tbENKUlT_T0_E_clISt17integral_constantIbLb0EESZ_EEDaSU_SV_EUlSU_E_NS1_11comp_targetILNS1_3genE10ELNS1_11target_archE1201ELNS1_3gpuE5ELNS1_3repE0EEENS1_30default_config_static_selectorELNS0_4arch9wavefront6targetE1EEEvT1_,"axG",@progbits,_ZN7rocprim17ROCPRIM_400000_NS6detail17trampoline_kernelINS0_14default_configENS1_27scan_by_key_config_selectorIxxEEZZNS1_16scan_by_key_implILNS1_25lookback_scan_determinismE0ELb0ES3_N6thrust23THRUST_200600_302600_NS6detail15normal_iteratorINS9_10device_ptrIxEEEESE_SE_xNS9_4plusIvEENS9_8equal_toIvEExEE10hipError_tPvRmT2_T3_T4_T5_mT6_T7_P12ihipStream_tbENKUlT_T0_E_clISt17integral_constantIbLb0EESZ_EEDaSU_SV_EUlSU_E_NS1_11comp_targetILNS1_3genE10ELNS1_11target_archE1201ELNS1_3gpuE5ELNS1_3repE0EEENS1_30default_config_static_selectorELNS0_4arch9wavefront6targetE1EEEvT1_,comdat
	.protected	_ZN7rocprim17ROCPRIM_400000_NS6detail17trampoline_kernelINS0_14default_configENS1_27scan_by_key_config_selectorIxxEEZZNS1_16scan_by_key_implILNS1_25lookback_scan_determinismE0ELb0ES3_N6thrust23THRUST_200600_302600_NS6detail15normal_iteratorINS9_10device_ptrIxEEEESE_SE_xNS9_4plusIvEENS9_8equal_toIvEExEE10hipError_tPvRmT2_T3_T4_T5_mT6_T7_P12ihipStream_tbENKUlT_T0_E_clISt17integral_constantIbLb0EESZ_EEDaSU_SV_EUlSU_E_NS1_11comp_targetILNS1_3genE10ELNS1_11target_archE1201ELNS1_3gpuE5ELNS1_3repE0EEENS1_30default_config_static_selectorELNS0_4arch9wavefront6targetE1EEEvT1_ ; -- Begin function _ZN7rocprim17ROCPRIM_400000_NS6detail17trampoline_kernelINS0_14default_configENS1_27scan_by_key_config_selectorIxxEEZZNS1_16scan_by_key_implILNS1_25lookback_scan_determinismE0ELb0ES3_N6thrust23THRUST_200600_302600_NS6detail15normal_iteratorINS9_10device_ptrIxEEEESE_SE_xNS9_4plusIvEENS9_8equal_toIvEExEE10hipError_tPvRmT2_T3_T4_T5_mT6_T7_P12ihipStream_tbENKUlT_T0_E_clISt17integral_constantIbLb0EESZ_EEDaSU_SV_EUlSU_E_NS1_11comp_targetILNS1_3genE10ELNS1_11target_archE1201ELNS1_3gpuE5ELNS1_3repE0EEENS1_30default_config_static_selectorELNS0_4arch9wavefront6targetE1EEEvT1_
	.globl	_ZN7rocprim17ROCPRIM_400000_NS6detail17trampoline_kernelINS0_14default_configENS1_27scan_by_key_config_selectorIxxEEZZNS1_16scan_by_key_implILNS1_25lookback_scan_determinismE0ELb0ES3_N6thrust23THRUST_200600_302600_NS6detail15normal_iteratorINS9_10device_ptrIxEEEESE_SE_xNS9_4plusIvEENS9_8equal_toIvEExEE10hipError_tPvRmT2_T3_T4_T5_mT6_T7_P12ihipStream_tbENKUlT_T0_E_clISt17integral_constantIbLb0EESZ_EEDaSU_SV_EUlSU_E_NS1_11comp_targetILNS1_3genE10ELNS1_11target_archE1201ELNS1_3gpuE5ELNS1_3repE0EEENS1_30default_config_static_selectorELNS0_4arch9wavefront6targetE1EEEvT1_
	.p2align	8
	.type	_ZN7rocprim17ROCPRIM_400000_NS6detail17trampoline_kernelINS0_14default_configENS1_27scan_by_key_config_selectorIxxEEZZNS1_16scan_by_key_implILNS1_25lookback_scan_determinismE0ELb0ES3_N6thrust23THRUST_200600_302600_NS6detail15normal_iteratorINS9_10device_ptrIxEEEESE_SE_xNS9_4plusIvEENS9_8equal_toIvEExEE10hipError_tPvRmT2_T3_T4_T5_mT6_T7_P12ihipStream_tbENKUlT_T0_E_clISt17integral_constantIbLb0EESZ_EEDaSU_SV_EUlSU_E_NS1_11comp_targetILNS1_3genE10ELNS1_11target_archE1201ELNS1_3gpuE5ELNS1_3repE0EEENS1_30default_config_static_selectorELNS0_4arch9wavefront6targetE1EEEvT1_,@function
_ZN7rocprim17ROCPRIM_400000_NS6detail17trampoline_kernelINS0_14default_configENS1_27scan_by_key_config_selectorIxxEEZZNS1_16scan_by_key_implILNS1_25lookback_scan_determinismE0ELb0ES3_N6thrust23THRUST_200600_302600_NS6detail15normal_iteratorINS9_10device_ptrIxEEEESE_SE_xNS9_4plusIvEENS9_8equal_toIvEExEE10hipError_tPvRmT2_T3_T4_T5_mT6_T7_P12ihipStream_tbENKUlT_T0_E_clISt17integral_constantIbLb0EESZ_EEDaSU_SV_EUlSU_E_NS1_11comp_targetILNS1_3genE10ELNS1_11target_archE1201ELNS1_3gpuE5ELNS1_3repE0EEENS1_30default_config_static_selectorELNS0_4arch9wavefront6targetE1EEEvT1_: ; @_ZN7rocprim17ROCPRIM_400000_NS6detail17trampoline_kernelINS0_14default_configENS1_27scan_by_key_config_selectorIxxEEZZNS1_16scan_by_key_implILNS1_25lookback_scan_determinismE0ELb0ES3_N6thrust23THRUST_200600_302600_NS6detail15normal_iteratorINS9_10device_ptrIxEEEESE_SE_xNS9_4plusIvEENS9_8equal_toIvEExEE10hipError_tPvRmT2_T3_T4_T5_mT6_T7_P12ihipStream_tbENKUlT_T0_E_clISt17integral_constantIbLb0EESZ_EEDaSU_SV_EUlSU_E_NS1_11comp_targetILNS1_3genE10ELNS1_11target_archE1201ELNS1_3gpuE5ELNS1_3repE0EEENS1_30default_config_static_selectorELNS0_4arch9wavefront6targetE1EEEvT1_
; %bb.0:
	.section	.rodata,"a",@progbits
	.p2align	6, 0x0
	.amdhsa_kernel _ZN7rocprim17ROCPRIM_400000_NS6detail17trampoline_kernelINS0_14default_configENS1_27scan_by_key_config_selectorIxxEEZZNS1_16scan_by_key_implILNS1_25lookback_scan_determinismE0ELb0ES3_N6thrust23THRUST_200600_302600_NS6detail15normal_iteratorINS9_10device_ptrIxEEEESE_SE_xNS9_4plusIvEENS9_8equal_toIvEExEE10hipError_tPvRmT2_T3_T4_T5_mT6_T7_P12ihipStream_tbENKUlT_T0_E_clISt17integral_constantIbLb0EESZ_EEDaSU_SV_EUlSU_E_NS1_11comp_targetILNS1_3genE10ELNS1_11target_archE1201ELNS1_3gpuE5ELNS1_3repE0EEENS1_30default_config_static_selectorELNS0_4arch9wavefront6targetE1EEEvT1_
		.amdhsa_group_segment_fixed_size 0
		.amdhsa_private_segment_fixed_size 0
		.amdhsa_kernarg_size 136
		.amdhsa_user_sgpr_count 2
		.amdhsa_user_sgpr_dispatch_ptr 0
		.amdhsa_user_sgpr_queue_ptr 0
		.amdhsa_user_sgpr_kernarg_segment_ptr 1
		.amdhsa_user_sgpr_dispatch_id 0
		.amdhsa_user_sgpr_kernarg_preload_length 0
		.amdhsa_user_sgpr_kernarg_preload_offset 0
		.amdhsa_user_sgpr_private_segment_size 0
		.amdhsa_uses_dynamic_stack 0
		.amdhsa_enable_private_segment 0
		.amdhsa_system_sgpr_workgroup_id_x 1
		.amdhsa_system_sgpr_workgroup_id_y 0
		.amdhsa_system_sgpr_workgroup_id_z 0
		.amdhsa_system_sgpr_workgroup_info 0
		.amdhsa_system_vgpr_workitem_id 0
		.amdhsa_next_free_vgpr 1
		.amdhsa_next_free_sgpr 0
		.amdhsa_accum_offset 4
		.amdhsa_reserve_vcc 0
		.amdhsa_float_round_mode_32 0
		.amdhsa_float_round_mode_16_64 0
		.amdhsa_float_denorm_mode_32 3
		.amdhsa_float_denorm_mode_16_64 3
		.amdhsa_dx10_clamp 1
		.amdhsa_ieee_mode 1
		.amdhsa_fp16_overflow 0
		.amdhsa_tg_split 0
		.amdhsa_exception_fp_ieee_invalid_op 0
		.amdhsa_exception_fp_denorm_src 0
		.amdhsa_exception_fp_ieee_div_zero 0
		.amdhsa_exception_fp_ieee_overflow 0
		.amdhsa_exception_fp_ieee_underflow 0
		.amdhsa_exception_fp_ieee_inexact 0
		.amdhsa_exception_int_div_zero 0
	.end_amdhsa_kernel
	.section	.text._ZN7rocprim17ROCPRIM_400000_NS6detail17trampoline_kernelINS0_14default_configENS1_27scan_by_key_config_selectorIxxEEZZNS1_16scan_by_key_implILNS1_25lookback_scan_determinismE0ELb0ES3_N6thrust23THRUST_200600_302600_NS6detail15normal_iteratorINS9_10device_ptrIxEEEESE_SE_xNS9_4plusIvEENS9_8equal_toIvEExEE10hipError_tPvRmT2_T3_T4_T5_mT6_T7_P12ihipStream_tbENKUlT_T0_E_clISt17integral_constantIbLb0EESZ_EEDaSU_SV_EUlSU_E_NS1_11comp_targetILNS1_3genE10ELNS1_11target_archE1201ELNS1_3gpuE5ELNS1_3repE0EEENS1_30default_config_static_selectorELNS0_4arch9wavefront6targetE1EEEvT1_,"axG",@progbits,_ZN7rocprim17ROCPRIM_400000_NS6detail17trampoline_kernelINS0_14default_configENS1_27scan_by_key_config_selectorIxxEEZZNS1_16scan_by_key_implILNS1_25lookback_scan_determinismE0ELb0ES3_N6thrust23THRUST_200600_302600_NS6detail15normal_iteratorINS9_10device_ptrIxEEEESE_SE_xNS9_4plusIvEENS9_8equal_toIvEExEE10hipError_tPvRmT2_T3_T4_T5_mT6_T7_P12ihipStream_tbENKUlT_T0_E_clISt17integral_constantIbLb0EESZ_EEDaSU_SV_EUlSU_E_NS1_11comp_targetILNS1_3genE10ELNS1_11target_archE1201ELNS1_3gpuE5ELNS1_3repE0EEENS1_30default_config_static_selectorELNS0_4arch9wavefront6targetE1EEEvT1_,comdat
.Lfunc_end6:
	.size	_ZN7rocprim17ROCPRIM_400000_NS6detail17trampoline_kernelINS0_14default_configENS1_27scan_by_key_config_selectorIxxEEZZNS1_16scan_by_key_implILNS1_25lookback_scan_determinismE0ELb0ES3_N6thrust23THRUST_200600_302600_NS6detail15normal_iteratorINS9_10device_ptrIxEEEESE_SE_xNS9_4plusIvEENS9_8equal_toIvEExEE10hipError_tPvRmT2_T3_T4_T5_mT6_T7_P12ihipStream_tbENKUlT_T0_E_clISt17integral_constantIbLb0EESZ_EEDaSU_SV_EUlSU_E_NS1_11comp_targetILNS1_3genE10ELNS1_11target_archE1201ELNS1_3gpuE5ELNS1_3repE0EEENS1_30default_config_static_selectorELNS0_4arch9wavefront6targetE1EEEvT1_, .Lfunc_end6-_ZN7rocprim17ROCPRIM_400000_NS6detail17trampoline_kernelINS0_14default_configENS1_27scan_by_key_config_selectorIxxEEZZNS1_16scan_by_key_implILNS1_25lookback_scan_determinismE0ELb0ES3_N6thrust23THRUST_200600_302600_NS6detail15normal_iteratorINS9_10device_ptrIxEEEESE_SE_xNS9_4plusIvEENS9_8equal_toIvEExEE10hipError_tPvRmT2_T3_T4_T5_mT6_T7_P12ihipStream_tbENKUlT_T0_E_clISt17integral_constantIbLb0EESZ_EEDaSU_SV_EUlSU_E_NS1_11comp_targetILNS1_3genE10ELNS1_11target_archE1201ELNS1_3gpuE5ELNS1_3repE0EEENS1_30default_config_static_selectorELNS0_4arch9wavefront6targetE1EEEvT1_
                                        ; -- End function
	.section	.AMDGPU.csdata,"",@progbits
; Kernel info:
; codeLenInByte = 0
; NumSgprs: 6
; NumVgprs: 0
; NumAgprs: 0
; TotalNumVgprs: 0
; ScratchSize: 0
; MemoryBound: 0
; FloatMode: 240
; IeeeMode: 1
; LDSByteSize: 0 bytes/workgroup (compile time only)
; SGPRBlocks: 0
; VGPRBlocks: 0
; NumSGPRsForWavesPerEU: 6
; NumVGPRsForWavesPerEU: 1
; AccumOffset: 4
; Occupancy: 8
; WaveLimiterHint : 0
; COMPUTE_PGM_RSRC2:SCRATCH_EN: 0
; COMPUTE_PGM_RSRC2:USER_SGPR: 2
; COMPUTE_PGM_RSRC2:TRAP_HANDLER: 0
; COMPUTE_PGM_RSRC2:TGID_X_EN: 1
; COMPUTE_PGM_RSRC2:TGID_Y_EN: 0
; COMPUTE_PGM_RSRC2:TGID_Z_EN: 0
; COMPUTE_PGM_RSRC2:TIDIG_COMP_CNT: 0
; COMPUTE_PGM_RSRC3_GFX90A:ACCUM_OFFSET: 0
; COMPUTE_PGM_RSRC3_GFX90A:TG_SPLIT: 0
	.section	.text._ZN7rocprim17ROCPRIM_400000_NS6detail17trampoline_kernelINS0_14default_configENS1_27scan_by_key_config_selectorIxxEEZZNS1_16scan_by_key_implILNS1_25lookback_scan_determinismE0ELb0ES3_N6thrust23THRUST_200600_302600_NS6detail15normal_iteratorINS9_10device_ptrIxEEEESE_SE_xNS9_4plusIvEENS9_8equal_toIvEExEE10hipError_tPvRmT2_T3_T4_T5_mT6_T7_P12ihipStream_tbENKUlT_T0_E_clISt17integral_constantIbLb0EESZ_EEDaSU_SV_EUlSU_E_NS1_11comp_targetILNS1_3genE5ELNS1_11target_archE942ELNS1_3gpuE9ELNS1_3repE0EEENS1_30default_config_static_selectorELNS0_4arch9wavefront6targetE1EEEvT1_,"axG",@progbits,_ZN7rocprim17ROCPRIM_400000_NS6detail17trampoline_kernelINS0_14default_configENS1_27scan_by_key_config_selectorIxxEEZZNS1_16scan_by_key_implILNS1_25lookback_scan_determinismE0ELb0ES3_N6thrust23THRUST_200600_302600_NS6detail15normal_iteratorINS9_10device_ptrIxEEEESE_SE_xNS9_4plusIvEENS9_8equal_toIvEExEE10hipError_tPvRmT2_T3_T4_T5_mT6_T7_P12ihipStream_tbENKUlT_T0_E_clISt17integral_constantIbLb0EESZ_EEDaSU_SV_EUlSU_E_NS1_11comp_targetILNS1_3genE5ELNS1_11target_archE942ELNS1_3gpuE9ELNS1_3repE0EEENS1_30default_config_static_selectorELNS0_4arch9wavefront6targetE1EEEvT1_,comdat
	.protected	_ZN7rocprim17ROCPRIM_400000_NS6detail17trampoline_kernelINS0_14default_configENS1_27scan_by_key_config_selectorIxxEEZZNS1_16scan_by_key_implILNS1_25lookback_scan_determinismE0ELb0ES3_N6thrust23THRUST_200600_302600_NS6detail15normal_iteratorINS9_10device_ptrIxEEEESE_SE_xNS9_4plusIvEENS9_8equal_toIvEExEE10hipError_tPvRmT2_T3_T4_T5_mT6_T7_P12ihipStream_tbENKUlT_T0_E_clISt17integral_constantIbLb0EESZ_EEDaSU_SV_EUlSU_E_NS1_11comp_targetILNS1_3genE5ELNS1_11target_archE942ELNS1_3gpuE9ELNS1_3repE0EEENS1_30default_config_static_selectorELNS0_4arch9wavefront6targetE1EEEvT1_ ; -- Begin function _ZN7rocprim17ROCPRIM_400000_NS6detail17trampoline_kernelINS0_14default_configENS1_27scan_by_key_config_selectorIxxEEZZNS1_16scan_by_key_implILNS1_25lookback_scan_determinismE0ELb0ES3_N6thrust23THRUST_200600_302600_NS6detail15normal_iteratorINS9_10device_ptrIxEEEESE_SE_xNS9_4plusIvEENS9_8equal_toIvEExEE10hipError_tPvRmT2_T3_T4_T5_mT6_T7_P12ihipStream_tbENKUlT_T0_E_clISt17integral_constantIbLb0EESZ_EEDaSU_SV_EUlSU_E_NS1_11comp_targetILNS1_3genE5ELNS1_11target_archE942ELNS1_3gpuE9ELNS1_3repE0EEENS1_30default_config_static_selectorELNS0_4arch9wavefront6targetE1EEEvT1_
	.globl	_ZN7rocprim17ROCPRIM_400000_NS6detail17trampoline_kernelINS0_14default_configENS1_27scan_by_key_config_selectorIxxEEZZNS1_16scan_by_key_implILNS1_25lookback_scan_determinismE0ELb0ES3_N6thrust23THRUST_200600_302600_NS6detail15normal_iteratorINS9_10device_ptrIxEEEESE_SE_xNS9_4plusIvEENS9_8equal_toIvEExEE10hipError_tPvRmT2_T3_T4_T5_mT6_T7_P12ihipStream_tbENKUlT_T0_E_clISt17integral_constantIbLb0EESZ_EEDaSU_SV_EUlSU_E_NS1_11comp_targetILNS1_3genE5ELNS1_11target_archE942ELNS1_3gpuE9ELNS1_3repE0EEENS1_30default_config_static_selectorELNS0_4arch9wavefront6targetE1EEEvT1_
	.p2align	8
	.type	_ZN7rocprim17ROCPRIM_400000_NS6detail17trampoline_kernelINS0_14default_configENS1_27scan_by_key_config_selectorIxxEEZZNS1_16scan_by_key_implILNS1_25lookback_scan_determinismE0ELb0ES3_N6thrust23THRUST_200600_302600_NS6detail15normal_iteratorINS9_10device_ptrIxEEEESE_SE_xNS9_4plusIvEENS9_8equal_toIvEExEE10hipError_tPvRmT2_T3_T4_T5_mT6_T7_P12ihipStream_tbENKUlT_T0_E_clISt17integral_constantIbLb0EESZ_EEDaSU_SV_EUlSU_E_NS1_11comp_targetILNS1_3genE5ELNS1_11target_archE942ELNS1_3gpuE9ELNS1_3repE0EEENS1_30default_config_static_selectorELNS0_4arch9wavefront6targetE1EEEvT1_,@function
_ZN7rocprim17ROCPRIM_400000_NS6detail17trampoline_kernelINS0_14default_configENS1_27scan_by_key_config_selectorIxxEEZZNS1_16scan_by_key_implILNS1_25lookback_scan_determinismE0ELb0ES3_N6thrust23THRUST_200600_302600_NS6detail15normal_iteratorINS9_10device_ptrIxEEEESE_SE_xNS9_4plusIvEENS9_8equal_toIvEExEE10hipError_tPvRmT2_T3_T4_T5_mT6_T7_P12ihipStream_tbENKUlT_T0_E_clISt17integral_constantIbLb0EESZ_EEDaSU_SV_EUlSU_E_NS1_11comp_targetILNS1_3genE5ELNS1_11target_archE942ELNS1_3gpuE9ELNS1_3repE0EEENS1_30default_config_static_selectorELNS0_4arch9wavefront6targetE1EEEvT1_: ; @_ZN7rocprim17ROCPRIM_400000_NS6detail17trampoline_kernelINS0_14default_configENS1_27scan_by_key_config_selectorIxxEEZZNS1_16scan_by_key_implILNS1_25lookback_scan_determinismE0ELb0ES3_N6thrust23THRUST_200600_302600_NS6detail15normal_iteratorINS9_10device_ptrIxEEEESE_SE_xNS9_4plusIvEENS9_8equal_toIvEExEE10hipError_tPvRmT2_T3_T4_T5_mT6_T7_P12ihipStream_tbENKUlT_T0_E_clISt17integral_constantIbLb0EESZ_EEDaSU_SV_EUlSU_E_NS1_11comp_targetILNS1_3genE5ELNS1_11target_archE942ELNS1_3gpuE9ELNS1_3repE0EEENS1_30default_config_static_selectorELNS0_4arch9wavefront6targetE1EEEvT1_
; %bb.0:
	s_load_dwordx8 s[44:51], s[0:1], 0x0
	s_load_dwordx8 s[36:43], s[0:1], 0x30
	s_load_dwordx2 s[60:61], s[0:1], 0x50
	s_load_dword s3, s[0:1], 0x58
	s_load_dwordx8 s[52:59], s[0:1], 0x60
	s_waitcnt lgkmcnt(0)
	s_lshl_b64 s[46:47], s[46:47], 3
	s_add_u32 s4, s44, s46
	s_addc_u32 s5, s45, s47
	s_add_u32 s6, s48, s46
	s_mul_i32 s0, s61, s3
	s_mul_hi_u32 s1, s60, s3
	s_addc_u32 s7, s49, s47
	s_add_i32 s8, s1, s0
	s_cmp_lg_u64 s[56:57], 0
	s_mul_i32 s0, s2, 0xe00
	s_mov_b32 s1, 0
	s_cselect_b64 s[56:57], -1, 0
	s_lshl_b64 s[44:45], s[0:1], 3
	s_add_u32 s48, s4, s44
	s_addc_u32 s49, s5, s45
	s_add_u32 s34, s6, s44
	s_mul_i32 s3, s60, s3
	s_addc_u32 s35, s7, s45
	s_add_u32 s62, s3, s2
	s_addc_u32 s63, s8, 0
	s_add_u32 s4, s52, -1
	s_addc_u32 s5, s53, -1
	v_mov_b64_e32 v[2:3], s[4:5]
	v_cmp_ge_u64_e64 s[0:1], s[62:63], v[2:3]
	s_mov_b64 s[10:11], 0
	s_mov_b64 s[6:7], -1
	s_and_b64 vcc, exec, s[0:1]
	s_mul_i32 s33, s4, 0xfffff200
	s_barrier
	s_cbranch_vccz .LBB7_77
; %bb.1:
	v_mov_b64_e32 v[2:3], s[48:49]
	flat_load_dwordx2 v[28:29], v[2:3]
	s_add_i32 s43, s33, s42
	v_cmp_gt_u32_e64 s[30:31], s43, v0
	s_waitcnt vmcnt(0) lgkmcnt(0)
	v_mov_b64_e32 v[30:31], v[28:29]
	s_and_saveexec_b64 s[4:5], s[30:31]
	s_cbranch_execz .LBB7_3
; %bb.2:
	v_lshlrev_b32_e32 v2, 3, v0
	v_mov_b32_e32 v3, 0
	v_lshl_add_u64 v[2:3], s[48:49], 0, v[2:3]
	flat_load_dwordx2 v[30:31], v[2:3]
.LBB7_3:
	s_or_b64 exec, exec, s[4:5]
	v_or_b32_e32 v1, 0x100, v0
	v_cmp_gt_u32_e64 s[4:5], s43, v1
	v_mov_b64_e32 v[32:33], v[28:29]
	s_and_saveexec_b64 s[6:7], s[4:5]
	s_cbranch_execz .LBB7_5
; %bb.4:
	v_lshlrev_b32_e32 v2, 3, v0
	v_mov_b32_e32 v3, 0
	v_lshl_add_u64 v[2:3], s[48:49], 0, v[2:3]
	flat_load_dwordx2 v[32:33], v[2:3] offset:2048
.LBB7_5:
	s_or_b64 exec, exec, s[6:7]
	v_or_b32_e32 v1, 0x200, v0
	v_cmp_gt_u32_e64 s[6:7], s43, v1
	v_lshlrev_b32_e32 v2, 3, v1
	v_mov_b64_e32 v[34:35], v[28:29]
	s_and_saveexec_b64 s[8:9], s[6:7]
	s_cbranch_execz .LBB7_7
; %bb.6:
	v_mov_b32_e32 v3, 0
	v_lshl_add_u64 v[4:5], s[48:49], 0, v[2:3]
	flat_load_dwordx2 v[34:35], v[4:5]
.LBB7_7:
	s_or_b64 exec, exec, s[8:9]
	v_or_b32_e32 v1, 0x300, v0
	v_cmp_gt_u32_e64 s[8:9], s43, v1
	v_lshlrev_b32_e32 v4, 3, v1
	v_mov_b64_e32 v[36:37], v[28:29]
	s_and_saveexec_b64 s[10:11], s[8:9]
	s_cbranch_execz .LBB7_9
; %bb.8:
	v_mov_b32_e32 v5, 0
	v_lshl_add_u64 v[6:7], s[48:49], 0, v[4:5]
	flat_load_dwordx2 v[36:37], v[6:7]
.LBB7_9:
	;; [unrolled: 12-line block ×11, first 2 shown]
	s_or_b64 exec, exec, s[28:29]
	v_or_b32_e32 v1, 0xd00, v0
	v_cmp_gt_u32_e64 s[28:29], s43, v1
	v_lshlrev_b32_e32 v24, 3, v1
	s_and_saveexec_b64 s[52:53], s[28:29]
	s_cbranch_execz .LBB7_29
; %bb.28:
	v_mov_b32_e32 v25, 0
	v_lshl_add_u64 v[26:27], s[48:49], 0, v[24:25]
	flat_load_dwordx2 v[28:29], v[26:27]
.LBB7_29:
	s_or_b64 exec, exec, s[52:53]
	v_lshlrev_b32_e32 v26, 3, v0
	s_movk_i32 s3, 0x68
	s_waitcnt vmcnt(0) lgkmcnt(0)
	ds_write2st64_b64 v26, v[30:31], v[32:33] offset1:4
	ds_write2st64_b64 v26, v[34:35], v[36:37] offset0:8 offset1:12
	ds_write2st64_b64 v26, v[38:39], v[40:41] offset0:16 offset1:20
	;; [unrolled: 1-line block ×6, first 2 shown]
	v_mad_u32_u24 v36, v0, s3, v26
	s_waitcnt lgkmcnt(0)
	s_barrier
	ds_read_b128 v[74:77], v36
	ds_read_b128 v[70:73], v36 offset:16
	ds_read_b128 v[66:69], v36 offset:32
	;; [unrolled: 1-line block ×6, first 2 shown]
	s_cmp_eq_u64 s[62:63], 0
	s_mov_b64 s[52:53], s[48:49]
	s_cbranch_scc1 .LBB7_33
; %bb.30:
	s_andn2_b64 vcc, exec, s[56:57]
	s_cbranch_vccnz .LBB7_231
; %bb.31:
	s_lshl_b64 s[52:53], s[62:63], 3
	s_add_u32 s3, s58, s52
	s_addc_u32 s53, s59, s53
	s_add_u32 s52, s3, -8
	s_addc_u32 s53, s53, -1
	s_cbranch_execnz .LBB7_33
.LBB7_32:
	s_add_u32 s52, s48, -8
	s_addc_u32 s53, s49, -1
.LBB7_33:
	v_mov_b64_e32 v[28:29], s[52:53]
	flat_load_dwordx2 v[28:29], v[28:29]
	s_movk_i32 s3, 0xff98
	v_mad_i32_i24 v1, v0, s3, v36
	v_cmp_ne_u32_e32 vcc, 0, v0
	s_waitcnt lgkmcnt(0)
	ds_write_b64 v1, v[60:61] offset:28672
	s_waitcnt lgkmcnt(0)
	s_barrier
	s_and_saveexec_b64 s[52:53], vcc
	s_cbranch_execz .LBB7_35
; %bb.34:
	v_mul_i32_i24_e32 v1, 0xffffff98, v0
	v_add_u32_e32 v1, v36, v1
	s_waitcnt vmcnt(0)
	ds_read_b64 v[28:29], v1 offset:28664
.LBB7_35:
	s_or_b64 exec, exec, s[52:53]
	v_mov_b32_e32 v27, 0
	s_waitcnt lgkmcnt(0)
	s_barrier
	s_waitcnt lgkmcnt(0)
                                        ; implicit-def: $vgpr30_vgpr31
	s_and_saveexec_b64 s[52:53], s[30:31]
	s_cbranch_execnz .LBB7_218
; %bb.36:
	s_or_b64 exec, exec, s[52:53]
                                        ; implicit-def: $vgpr32_vgpr33
	s_and_saveexec_b64 s[30:31], s[4:5]
	s_cbranch_execnz .LBB7_219
.LBB7_37:
	s_or_b64 exec, exec, s[30:31]
                                        ; implicit-def: $vgpr34_vgpr35
	s_and_saveexec_b64 s[4:5], s[6:7]
	s_cbranch_execnz .LBB7_220
.LBB7_38:
	s_or_b64 exec, exec, s[4:5]
                                        ; implicit-def: $vgpr2_vgpr3
	s_and_saveexec_b64 s[4:5], s[8:9]
	s_cbranch_execnz .LBB7_221
.LBB7_39:
	s_or_b64 exec, exec, s[4:5]
                                        ; implicit-def: $vgpr4_vgpr5
	s_and_saveexec_b64 s[4:5], s[10:11]
	s_cbranch_execnz .LBB7_222
.LBB7_40:
	s_or_b64 exec, exec, s[4:5]
                                        ; implicit-def: $vgpr6_vgpr7
	s_and_saveexec_b64 s[4:5], s[12:13]
	s_cbranch_execnz .LBB7_223
.LBB7_41:
	s_or_b64 exec, exec, s[4:5]
                                        ; implicit-def: $vgpr8_vgpr9
	s_and_saveexec_b64 s[4:5], s[14:15]
	s_cbranch_execnz .LBB7_224
.LBB7_42:
	s_or_b64 exec, exec, s[4:5]
                                        ; implicit-def: $vgpr10_vgpr11
	s_and_saveexec_b64 s[4:5], s[16:17]
	s_cbranch_execnz .LBB7_225
.LBB7_43:
	s_or_b64 exec, exec, s[4:5]
                                        ; implicit-def: $vgpr12_vgpr13
	s_and_saveexec_b64 s[4:5], s[18:19]
	s_cbranch_execnz .LBB7_226
.LBB7_44:
	s_or_b64 exec, exec, s[4:5]
                                        ; implicit-def: $vgpr14_vgpr15
	s_and_saveexec_b64 s[4:5], s[20:21]
	s_cbranch_execnz .LBB7_227
.LBB7_45:
	s_or_b64 exec, exec, s[4:5]
                                        ; implicit-def: $vgpr16_vgpr17
	s_and_saveexec_b64 s[4:5], s[22:23]
	s_cbranch_execnz .LBB7_228
.LBB7_46:
	s_or_b64 exec, exec, s[4:5]
                                        ; implicit-def: $vgpr18_vgpr19
	s_and_saveexec_b64 s[4:5], s[24:25]
	s_cbranch_execnz .LBB7_229
.LBB7_47:
	s_or_b64 exec, exec, s[4:5]
                                        ; implicit-def: $vgpr20_vgpr21
	s_and_saveexec_b64 s[4:5], s[26:27]
	s_cbranch_execnz .LBB7_230
.LBB7_48:
	s_or_b64 exec, exec, s[4:5]
                                        ; implicit-def: $vgpr22_vgpr23
	s_and_saveexec_b64 s[4:5], s[28:29]
	s_cbranch_execz .LBB7_50
.LBB7_49:
	v_mov_b32_e32 v25, 0
	v_lshl_add_u64 v[22:23], s[34:35], 0, v[24:25]
	flat_load_dwordx2 v[22:23], v[22:23]
.LBB7_50:
	s_or_b64 exec, exec, s[4:5]
	v_mul_u32_u24_e32 v37, 14, v0
	v_mov_b64_e32 v[78:79], 0
	s_waitcnt vmcnt(0) lgkmcnt(0)
	ds_write2st64_b64 v26, v[30:31], v[32:33] offset1:4
	ds_write2st64_b64 v26, v[34:35], v[2:3] offset0:8 offset1:12
	ds_write2st64_b64 v26, v[4:5], v[6:7] offset0:16 offset1:20
	;; [unrolled: 1-line block ×6, first 2 shown]
	v_cmp_gt_u32_e32 vcc, s43, v37
	s_mov_b64 s[10:11], 0
	s_mov_b64 s[6:7], 0
	s_mov_b32 s3, 0
	v_mov_b32_e32 v80, 0
	v_mov_b32_e32 v91, 0
	v_mov_b64_e32 v[46:47], v[78:79]
	v_mov_b32_e32 v90, 0
	v_mov_b64_e32 v[34:35], v[78:79]
	;; [unrolled: 2-line block ×12, first 2 shown]
	s_waitcnt lgkmcnt(0)
	s_barrier
	s_waitcnt lgkmcnt(0)
                                        ; implicit-def: $sgpr4_sgpr5
                                        ; implicit-def: $vgpr52_vgpr53
	s_and_saveexec_b64 s[8:9], vcc
	s_cbranch_execz .LBB7_76
; %bb.51:
	ds_read_b64 v[2:3], v36
	v_cmp_ne_u64_e32 vcc, v[28:29], v[74:75]
	v_or_b32_e32 v4, 1, v37
	v_mov_b64_e32 v[78:79], 0
	v_cndmask_b32_e64 v1, 0, 1, vcc
	v_cmp_gt_u32_e32 vcc, s43, v4
	s_mov_b64 s[12:13], 0
	s_mov_b64 s[4:5], 0
	v_mov_b32_e32 v80, 0
	v_mov_b32_e32 v91, 0
	v_mov_b64_e32 v[46:47], v[78:79]
	v_mov_b32_e32 v90, 0
	v_mov_b64_e32 v[34:35], v[78:79]
	;; [unrolled: 2-line block ×11, first 2 shown]
                                        ; implicit-def: $sgpr14_sgpr15
                                        ; implicit-def: $vgpr52_vgpr53
	s_and_saveexec_b64 s[10:11], vcc
	s_cbranch_execz .LBB7_75
; %bb.52:
	ds_read2_b64 v[14:17], v36 offset0:1 offset1:2
	v_cmp_ne_u64_e32 vcc, v[74:75], v[76:77]
	v_add_u32_e32 v4, 2, v37
	v_mov_b64_e32 v[78:79], 0
	v_cndmask_b32_e64 v82, 0, 1, vcc
	v_cmp_gt_u32_e32 vcc, s43, v4
	s_mov_b64 s[16:17], 0
	v_mov_b32_e32 v80, 0
	v_mov_b32_e32 v91, 0
	v_mov_b64_e32 v[46:47], v[78:79]
	v_mov_b32_e32 v90, 0
	v_mov_b64_e32 v[34:35], v[78:79]
	;; [unrolled: 2-line block ×10, first 2 shown]
                                        ; implicit-def: $sgpr14_sgpr15
                                        ; implicit-def: $vgpr52_vgpr53
	s_and_saveexec_b64 s[12:13], vcc
	s_cbranch_execz .LBB7_74
; %bb.53:
	v_cmp_ne_u64_e32 vcc, v[76:77], v[70:71]
	v_add_u32_e32 v4, 3, v37
	v_mov_b64_e32 v[78:79], 0
	s_waitcnt lgkmcnt(0)
	v_mov_b32_e32 v6, v16
	v_mov_b32_e32 v7, v17
	v_cndmask_b32_e64 v81, 0, 1, vcc
	v_cmp_gt_u32_e32 vcc, s43, v4
	v_mov_b32_e32 v80, 0
	v_mov_b32_e32 v91, 0
	v_mov_b64_e32 v[46:47], v[78:79]
	v_mov_b32_e32 v90, 0
	v_mov_b64_e32 v[34:35], v[78:79]
	;; [unrolled: 2-line block ×9, first 2 shown]
                                        ; implicit-def: $sgpr18_sgpr19
                                        ; implicit-def: $vgpr52_vgpr53
	s_and_saveexec_b64 s[14:15], vcc
	s_cbranch_execz .LBB7_73
; %bb.54:
	ds_read2_b64 v[22:25], v36 offset0:3 offset1:4
	v_cmp_ne_u64_e32 vcc, v[70:71], v[72:73]
	v_add_u32_e32 v4, 4, v37
	v_mov_b64_e32 v[78:79], 0
	v_cndmask_b32_e64 v83, 0, 1, vcc
	v_cmp_gt_u32_e32 vcc, s43, v4
	s_mov_b64 s[20:21], 0
	v_mov_b32_e32 v80, 0
	v_mov_b32_e32 v91, 0
	v_mov_b64_e32 v[46:47], v[78:79]
	v_mov_b32_e32 v90, 0
	v_mov_b64_e32 v[34:35], v[78:79]
	v_mov_b32_e32 v89, 0
	v_mov_b64_e32 v[42:43], v[78:79]
	v_mov_b32_e32 v88, 0
	v_mov_b64_e32 v[26:27], v[78:79]
	v_mov_b32_e32 v87, 0
	v_mov_b64_e32 v[38:39], v[78:79]
	v_mov_b32_e32 v86, 0
	v_mov_b64_e32 v[18:19], v[78:79]
	v_mov_b32_e32 v85, 0
	v_mov_b64_e32 v[30:31], v[78:79]
	v_mov_b32_e32 v84, 0
	v_mov_b64_e32 v[10:11], v[78:79]
                                        ; implicit-def: $sgpr18_sgpr19
                                        ; implicit-def: $vgpr52_vgpr53
	s_and_saveexec_b64 s[16:17], vcc
	s_cbranch_execz .LBB7_72
; %bb.55:
	v_cmp_ne_u64_e32 vcc, v[72:73], v[66:67]
	v_add_u32_e32 v4, 5, v37
	v_mov_b64_e32 v[78:79], 0
	s_waitcnt lgkmcnt(0)
	v_mov_b32_e32 v10, v24
	v_mov_b32_e32 v11, v25
	v_cndmask_b32_e64 v84, 0, 1, vcc
	v_cmp_gt_u32_e32 vcc, s43, v4
	v_mov_b32_e32 v80, 0
	v_mov_b32_e32 v91, 0
	v_mov_b64_e32 v[46:47], v[78:79]
	v_mov_b32_e32 v90, 0
	v_mov_b64_e32 v[34:35], v[78:79]
	;; [unrolled: 2-line block ×7, first 2 shown]
                                        ; implicit-def: $sgpr22_sgpr23
                                        ; implicit-def: $vgpr52_vgpr53
	s_and_saveexec_b64 s[18:19], vcc
	s_cbranch_execz .LBB7_71
; %bb.56:
	ds_read2_b64 v[30:33], v36 offset0:5 offset1:6
	v_cmp_ne_u64_e32 vcc, v[66:67], v[68:69]
	v_add_u32_e32 v4, 6, v37
	v_mov_b64_e32 v[78:79], 0
	v_cndmask_b32_e64 v85, 0, 1, vcc
	v_cmp_gt_u32_e32 vcc, s43, v4
	s_mov_b64 s[24:25], 0
	v_mov_b32_e32 v80, 0
	v_mov_b32_e32 v91, 0
	v_mov_b64_e32 v[46:47], v[78:79]
	v_mov_b32_e32 v90, 0
	v_mov_b64_e32 v[34:35], v[78:79]
	;; [unrolled: 2-line block ×6, first 2 shown]
                                        ; implicit-def: $sgpr22_sgpr23
                                        ; implicit-def: $vgpr52_vgpr53
	s_and_saveexec_b64 s[20:21], vcc
	s_cbranch_execz .LBB7_70
; %bb.57:
	v_cmp_ne_u64_e32 vcc, v[68:69], v[62:63]
	v_add_u32_e32 v4, 7, v37
	v_mov_b64_e32 v[78:79], 0
	s_waitcnt lgkmcnt(0)
	v_mov_b32_e32 v18, v32
	v_mov_b32_e32 v19, v33
	v_cndmask_b32_e64 v86, 0, 1, vcc
	v_cmp_gt_u32_e32 vcc, s43, v4
	v_mov_b32_e32 v80, 0
	v_mov_b32_e32 v91, 0
	v_mov_b64_e32 v[46:47], v[78:79]
	v_mov_b32_e32 v90, 0
	v_mov_b64_e32 v[34:35], v[78:79]
	;; [unrolled: 2-line block ×5, first 2 shown]
                                        ; implicit-def: $sgpr26_sgpr27
                                        ; implicit-def: $vgpr52_vgpr53
	s_and_saveexec_b64 s[22:23], vcc
	s_cbranch_execz .LBB7_69
; %bb.58:
	ds_read2_b64 v[38:41], v36 offset0:7 offset1:8
	v_cmp_ne_u64_e32 vcc, v[62:63], v[64:65]
	v_add_u32_e32 v4, 8, v37
	v_mov_b64_e32 v[78:79], 0
	v_cndmask_b32_e64 v87, 0, 1, vcc
	v_cmp_gt_u32_e32 vcc, s43, v4
	s_mov_b64 s[28:29], 0
	v_mov_b32_e32 v80, 0
	v_mov_b32_e32 v91, 0
	v_mov_b64_e32 v[46:47], v[78:79]
	v_mov_b32_e32 v90, 0
	v_mov_b64_e32 v[34:35], v[78:79]
	;; [unrolled: 2-line block ×4, first 2 shown]
                                        ; implicit-def: $sgpr26_sgpr27
                                        ; implicit-def: $vgpr52_vgpr53
	s_and_saveexec_b64 s[24:25], vcc
	s_cbranch_execz .LBB7_68
; %bb.59:
	v_cmp_ne_u64_e32 vcc, v[64:65], v[48:49]
	v_add_u32_e32 v4, 9, v37
	v_mov_b64_e32 v[78:79], 0
	s_waitcnt lgkmcnt(0)
	v_mov_b32_e32 v26, v40
	v_mov_b32_e32 v27, v41
	v_cndmask_b32_e64 v88, 0, 1, vcc
	v_cmp_gt_u32_e32 vcc, s43, v4
	v_mov_b32_e32 v80, 0
	v_mov_b32_e32 v91, 0
	v_mov_b64_e32 v[46:47], v[78:79]
	v_mov_b32_e32 v90, 0
	v_mov_b64_e32 v[34:35], v[78:79]
	;; [unrolled: 2-line block ×3, first 2 shown]
                                        ; implicit-def: $sgpr30_sgpr31
                                        ; implicit-def: $vgpr52_vgpr53
	s_and_saveexec_b64 s[26:27], vcc
	s_cbranch_execz .LBB7_67
; %bb.60:
	ds_read2_b64 v[42:45], v36 offset0:9 offset1:10
	v_cmp_ne_u64_e32 vcc, v[48:49], v[50:51]
	v_add_u32_e32 v4, 10, v37
	v_mov_b64_e32 v[78:79], 0
	v_cndmask_b32_e64 v89, 0, 1, vcc
	v_cmp_gt_u32_e32 vcc, s43, v4
	s_mov_b64 s[52:53], 0
	v_mov_b32_e32 v80, 0
	v_mov_b32_e32 v91, 0
	v_mov_b64_e32 v[46:47], v[78:79]
	v_mov_b32_e32 v90, 0
	v_mov_b64_e32 v[34:35], v[78:79]
                                        ; implicit-def: $sgpr30_sgpr31
                                        ; implicit-def: $vgpr52_vgpr53
	s_and_saveexec_b64 s[28:29], vcc
	s_cbranch_execz .LBB7_66
; %bb.61:
	v_cmp_ne_u64_e32 vcc, v[50:51], v[54:55]
	v_add_u32_e32 v4, 11, v37
	v_mov_b64_e32 v[78:79], 0
	s_waitcnt lgkmcnt(0)
	v_mov_b32_e32 v34, v44
	v_mov_b32_e32 v35, v45
	v_cndmask_b32_e64 v90, 0, 1, vcc
	v_cmp_gt_u32_e32 vcc, s43, v4
	v_mov_b32_e32 v80, 0
	v_mov_b32_e32 v91, 0
	v_mov_b64_e32 v[46:47], v[78:79]
                                        ; implicit-def: $sgpr64_sgpr65
                                        ; implicit-def: $vgpr52_vgpr53
	s_and_saveexec_b64 s[30:31], vcc
	s_cbranch_execz .LBB7_65
; %bb.62:
	ds_read2_b64 v[46:49], v36 offset0:11 offset1:12
	v_cmp_ne_u64_e32 vcc, v[54:55], v[56:57]
	v_add_u32_e32 v4, 12, v37
	v_mov_b32_e32 v80, 0
	v_cndmask_b32_e64 v91, 0, 1, vcc
	v_cmp_gt_u32_e32 vcc, s43, v4
	v_mov_b64_e32 v[78:79], 0
                                        ; implicit-def: $sgpr52_sgpr53
                                        ; implicit-def: $vgpr52_vgpr53
	s_and_saveexec_b64 s[64:65], vcc
	s_xor_b64 s[64:65], exec, s[64:65]
	s_cbranch_execz .LBB7_64
; %bb.63:
	ds_read_b64 v[52:53], v36 offset:104
	v_cmp_ne_u64_e64 s[4:5], v[56:57], v[58:59]
	v_add_u32_e32 v4, 13, v37
	v_cmp_ne_u64_e32 vcc, v[58:59], v[60:61]
	v_cndmask_b32_e64 v80, 0, 1, s[4:5]
	v_cmp_gt_u32_e64 s[4:5], s43, v4
	s_and_b64 s[52:53], vcc, exec
	s_and_b64 s[4:5], s[4:5], exec
	s_waitcnt lgkmcnt(1)
	v_mov_b64_e32 v[50:51], v[48:49]
	v_mov_b64_e32 v[78:79], v[48:49]
.LBB7_64:
	s_or_b64 exec, exec, s[64:65]
	s_and_b64 s[64:65], s[52:53], exec
	s_and_b64 s[52:53], s[4:5], exec
.LBB7_65:
	s_or_b64 exec, exec, s[30:31]
	s_and_b64 s[30:31], s[64:65], exec
	s_and_b64 s[4:5], s[52:53], exec
	s_waitcnt lgkmcnt(0)
	v_mov_b64_e32 v[36:37], v[46:47]
	v_mov_b64_e32 v[28:29], v[42:43]
	;; [unrolled: 1-line block ×6, first 2 shown]
.LBB7_66:
	s_or_b64 exec, exec, s[28:29]
	s_and_b64 s[30:31], s[30:31], exec
	s_and_b64 s[28:29], s[4:5], exec
.LBB7_67:
	s_or_b64 exec, exec, s[26:27]
	s_and_b64 s[26:27], s[30:31], exec
	s_and_b64 s[4:5], s[28:29], exec
.LBB7_68:
	s_or_b64 exec, exec, s[24:25]
	s_and_b64 s[26:27], s[26:27], exec
	s_and_b64 s[24:25], s[4:5], exec
.LBB7_69:
	s_or_b64 exec, exec, s[22:23]
	s_and_b64 s[22:23], s[26:27], exec
	s_and_b64 s[4:5], s[24:25], exec
.LBB7_70:
	s_or_b64 exec, exec, s[20:21]
	s_and_b64 s[22:23], s[22:23], exec
	s_and_b64 s[20:21], s[4:5], exec
.LBB7_71:
	s_or_b64 exec, exec, s[18:19]
	s_and_b64 s[18:19], s[22:23], exec
	s_and_b64 s[4:5], s[20:21], exec
.LBB7_72:
	s_or_b64 exec, exec, s[16:17]
	s_and_b64 s[18:19], s[18:19], exec
	s_and_b64 s[16:17], s[4:5], exec
.LBB7_73:
	s_or_b64 exec, exec, s[14:15]
	s_and_b64 s[14:15], s[18:19], exec
	s_and_b64 s[4:5], s[16:17], exec
.LBB7_74:
	s_or_b64 exec, exec, s[12:13]
	s_and_b64 s[14:15], s[14:15], exec
	s_and_b64 s[12:13], s[4:5], exec
.LBB7_75:
	s_or_b64 exec, exec, s[10:11]
	s_and_b64 s[4:5], s[14:15], exec
	s_and_b64 s[10:11], s[12:13], exec
.LBB7_76:
	s_or_b64 exec, exec, s[8:9]
	s_mov_b64 s[8:9], 0
	s_and_b64 vcc, exec, s[6:7]
	s_waitcnt lgkmcnt(0)
	v_lshlrev_b32_e32 v32, 3, v0
	s_cbranch_vccnz .LBB7_78
	s_branch .LBB7_86
.LBB7_77:
                                        ; implicit-def: $sgpr4_sgpr5
                                        ; implicit-def: $vgpr52_vgpr53
                                        ; implicit-def: $vgpr80
                                        ; implicit-def: $vgpr91
                                        ; implicit-def: $vgpr36_vgpr37
                                        ; implicit-def: $vgpr90
                                        ; implicit-def: $vgpr89
                                        ; implicit-def: $vgpr28_vgpr29
                                        ; implicit-def: $vgpr88
                                        ; implicit-def: $vgpr87
                                        ; implicit-def: $vgpr20_vgpr21
                                        ; implicit-def: $vgpr86
                                        ; implicit-def: $vgpr85
                                        ; implicit-def: $vgpr12_vgpr13
                                        ; implicit-def: $vgpr84
                                        ; implicit-def: $vgpr83
                                        ; implicit-def: $vgpr8_vgpr9
                                        ; implicit-def: $vgpr81
                                        ; implicit-def: $vgpr82
                                        ; implicit-def: $vgpr4_vgpr5
                                        ; implicit-def: $vgpr1
                                        ; implicit-def: $sgpr3
                                        ; implicit-def: $sgpr8_sgpr9
                                        ; implicit-def: $vgpr78_vgpr79
                                        ; implicit-def: $vgpr46_vgpr47
                                        ; implicit-def: $vgpr42_vgpr43
                                        ; implicit-def: $vgpr38_vgpr39
                                        ; implicit-def: $vgpr30_vgpr31
                                        ; implicit-def: $vgpr22_vgpr23
                                        ; implicit-def: $vgpr14_vgpr15
	s_and_b64 vcc, exec, s[6:7]
	v_lshlrev_b32_e32 v32, 3, v0
	s_cbranch_vccz .LBB7_86
.LBB7_78:
	v_mov_b32_e32 v33, 0
	v_lshl_add_u64 v[2:3], s[48:49], 0, v[32:33]
	v_add_co_u32_e32 v4, vcc, 0x1000, v2
	s_movk_i32 s3, 0x68
	s_nop 0
	v_addc_co_u32_e32 v5, vcc, 0, v3, vcc
	flat_load_dwordx2 v[6:7], v[2:3]
	flat_load_dwordx2 v[8:9], v[2:3] offset:2048
	flat_load_dwordx2 v[10:11], v[4:5]
	flat_load_dwordx2 v[12:13], v[4:5] offset:2048
	v_add_co_u32_e32 v4, vcc, 0x2000, v2
	v_mad_u32_u24 v1, v0, s3, v32
	s_nop 0
	v_addc_co_u32_e32 v5, vcc, 0, v3, vcc
	v_add_co_u32_e32 v14, vcc, 0x3000, v2
	s_cmp_eq_u64 s[62:63], 0
	s_nop 0
	v_addc_co_u32_e32 v15, vcc, 0, v3, vcc
	flat_load_dwordx2 v[16:17], v[4:5]
	flat_load_dwordx2 v[18:19], v[4:5] offset:2048
	flat_load_dwordx2 v[20:21], v[14:15]
	flat_load_dwordx2 v[22:23], v[14:15] offset:2048
	v_add_co_u32_e32 v4, vcc, 0x4000, v2
	s_nop 1
	v_addc_co_u32_e32 v5, vcc, 0, v3, vcc
	v_add_co_u32_e32 v14, vcc, 0x5000, v2
	s_nop 1
	v_addc_co_u32_e32 v15, vcc, 0, v3, vcc
	v_add_co_u32_e32 v2, vcc, 0x6000, v2
	flat_load_dwordx2 v[24:25], v[4:5]
	flat_load_dwordx2 v[26:27], v[4:5] offset:2048
	flat_load_dwordx2 v[28:29], v[14:15]
	flat_load_dwordx2 v[30:31], v[14:15] offset:2048
	v_addc_co_u32_e32 v3, vcc, 0, v3, vcc
	flat_load_dwordx2 v[4:5], v[2:3]
	flat_load_dwordx2 v[14:15], v[2:3] offset:2048
	s_waitcnt vmcnt(0) lgkmcnt(0)
	ds_write2st64_b64 v32, v[6:7], v[8:9] offset1:4
	ds_write2st64_b64 v32, v[10:11], v[12:13] offset0:8 offset1:12
	ds_write2st64_b64 v32, v[16:17], v[18:19] offset0:16 offset1:20
	;; [unrolled: 1-line block ×6, first 2 shown]
	s_waitcnt lgkmcnt(0)
	s_barrier
	ds_read_b128 v[14:17], v1
	ds_read_b128 v[2:5], v1 offset:16
	ds_read_b128 v[6:9], v1 offset:32
	;; [unrolled: 1-line block ×6, first 2 shown]
	s_cbranch_scc1 .LBB7_83
; %bb.79:
	s_andn2_b64 vcc, exec, s[56:57]
	s_cbranch_vccnz .LBB7_232
; %bb.80:
	s_lshl_b64 s[4:5], s[62:63], 3
	s_add_u32 s3, s58, s4
	s_addc_u32 s5, s59, s5
	s_add_u32 s4, s3, -8
	s_addc_u32 s5, s5, -1
	s_cbranch_execnz .LBB7_82
.LBB7_81:
	s_add_u32 s4, s48, -8
	s_addc_u32 s5, s49, -1
.LBB7_82:
	s_mov_b64 s[48:49], s[4:5]
.LBB7_83:
	v_mov_b64_e32 v[30:31], s[48:49]
	flat_load_dwordx2 v[30:31], v[30:31]
	s_movk_i32 s3, 0xff98
	v_mad_i32_i24 v33, v0, s3, v1
	v_cmp_ne_u32_e32 vcc, 0, v0
	s_waitcnt lgkmcnt(0)
	ds_write_b64 v33, v[28:29] offset:28672
	s_waitcnt lgkmcnt(0)
	s_barrier
	s_and_saveexec_b64 s[4:5], vcc
	s_cbranch_execz .LBB7_85
; %bb.84:
	s_waitcnt vmcnt(0)
	v_mul_i32_i24_e32 v30, 0xffffff98, v0
	v_add_u32_e32 v30, v1, v30
	ds_read_b64 v[30:31], v30 offset:28664
.LBB7_85:
	s_or_b64 exec, exec, s[4:5]
	v_mov_b32_e32 v33, 0
	v_lshl_add_u64 v[34:35], s[34:35], 0, v[32:33]
	s_movk_i32 s3, 0x1000
	v_add_co_u32_e32 v36, vcc, s3, v34
	s_movk_i32 s3, 0x2000
	s_nop 0
	v_addc_co_u32_e32 v37, vcc, 0, v35, vcc
	s_waitcnt lgkmcnt(0)
	s_barrier
	flat_load_dwordx2 v[38:39], v[34:35]
	flat_load_dwordx2 v[40:41], v[34:35] offset:2048
	flat_load_dwordx2 v[42:43], v[36:37]
	flat_load_dwordx2 v[44:45], v[36:37] offset:2048
	v_add_co_u32_e32 v36, vcc, s3, v34
	s_movk_i32 s3, 0x3000
	s_nop 0
	v_addc_co_u32_e32 v37, vcc, 0, v35, vcc
	v_add_co_u32_e32 v46, vcc, s3, v34
	s_movk_i32 s3, 0x4000
	s_nop 0
	v_addc_co_u32_e32 v47, vcc, 0, v35, vcc
	flat_load_dwordx2 v[48:49], v[36:37]
	flat_load_dwordx2 v[50:51], v[36:37] offset:2048
	flat_load_dwordx2 v[52:53], v[46:47]
	flat_load_dwordx2 v[54:55], v[46:47] offset:2048
	v_add_co_u32_e32 v36, vcc, s3, v34
	s_movk_i32 s3, 0x5000
	s_nop 0
	v_addc_co_u32_e32 v37, vcc, 0, v35, vcc
	v_add_co_u32_e32 v46, vcc, s3, v34
	s_movk_i32 s3, 0x6000
	s_nop 0
	v_addc_co_u32_e32 v47, vcc, 0, v35, vcc
	v_add_co_u32_e32 v34, vcc, s3, v34
	flat_load_dwordx2 v[56:57], v[36:37]
	flat_load_dwordx2 v[58:59], v[36:37] offset:2048
	flat_load_dwordx2 v[60:61], v[46:47]
	flat_load_dwordx2 v[62:63], v[46:47] offset:2048
	v_addc_co_u32_e32 v35, vcc, 0, v35, vcc
	flat_load_dwordx2 v[36:37], v[34:35]
	flat_load_dwordx2 v[46:47], v[34:35] offset:2048
	v_cmp_ne_u64_e32 vcc, v[24:25], v[26:27]
	v_cmp_ne_u64_e64 s[4:5], v[26:27], v[28:29]
	s_mov_b64 s[10:11], -1
	v_cndmask_b32_e64 v80, 0, 1, vcc
	v_cmp_ne_u64_e32 vcc, v[22:23], v[24:25]
                                        ; implicit-def: $sgpr3
                                        ; implicit-def: $sgpr8_sgpr9
                                        ; implicit-def: $vgpr78_vgpr79
	s_waitcnt vmcnt(0) lgkmcnt(0)
	ds_write2st64_b64 v32, v[38:39], v[40:41] offset1:4
	ds_write2st64_b64 v32, v[42:43], v[44:45] offset0:8 offset1:12
	ds_write2st64_b64 v32, v[48:49], v[50:51] offset0:16 offset1:20
	;; [unrolled: 1-line block ×6, first 2 shown]
	v_cndmask_b32_e64 v91, 0, 1, vcc
	v_cmp_ne_u64_e32 vcc, v[20:21], v[22:23]
	s_waitcnt lgkmcnt(0)
	s_barrier
	v_cndmask_b32_e64 v90, 0, 1, vcc
	v_cmp_ne_u64_e32 vcc, v[18:19], v[20:21]
	s_waitcnt lgkmcnt(0)
                                        ; implicit-def: $vgpr46_vgpr47
                                        ; implicit-def: $vgpr42_vgpr43
                                        ; implicit-def: $vgpr38_vgpr39
                                        ; implicit-def: $vgpr22_vgpr23
	s_nop 0
	v_cndmask_b32_e64 v89, 0, 1, vcc
	v_cmp_ne_u64_e32 vcc, v[12:13], v[18:19]
	s_nop 1
	v_cndmask_b32_e64 v88, 0, 1, vcc
	v_cmp_ne_u64_e32 vcc, v[10:11], v[12:13]
	;; [unrolled: 3-line block ×7, first 2 shown]
	ds_read_b128 v[2:5], v1
	ds_read_b128 v[6:9], v1 offset:16
	ds_read_b128 v[10:13], v1 offset:32
	;; [unrolled: 1-line block ×6, first 2 shown]
	v_cndmask_b32_e64 v81, 0, 1, vcc
	v_cmp_ne_u64_e32 vcc, v[14:15], v[16:17]
	s_nop 1
	v_cndmask_b32_e64 v82, 0, 1, vcc
	v_cmp_ne_u64_e32 vcc, v[30:31], v[14:15]
                                        ; implicit-def: $vgpr30_vgpr31
                                        ; implicit-def: $vgpr14_vgpr15
	s_nop 1
	v_cndmask_b32_e64 v1, 0, 1, vcc
.LBB7_86:
	v_mov_b64_e32 v[16:17], s[8:9]
	v_mov_b32_e32 v33, s3
	s_and_saveexec_b64 s[6:7], s[10:11]
	s_cbranch_execz .LBB7_88
; %bb.87:
	v_cndmask_b32_e64 v33, 0, 1, s[4:5]
	s_waitcnt lgkmcnt(6)
	v_mov_b64_e32 v[14:15], v[4:5]
	s_waitcnt lgkmcnt(5)
	v_mov_b64_e32 v[22:23], v[8:9]
	;; [unrolled: 2-line block ×7, first 2 shown]
	v_mov_b64_e32 v[16:17], v[52:53]
.LBB7_88:
	s_or_b64 exec, exec, s[6:7]
	s_waitcnt lgkmcnt(6)
	v_or_b32_e32 v4, v33, v80
	s_cmp_lg_u32 s2, 0
	s_waitcnt lgkmcnt(2)
	v_or_b32_e32 v29, v4, v91
	v_mbcnt_lo_u32_b32 v28, -1, 0
	s_waitcnt lgkmcnt(0)
	s_barrier
	s_cbranch_scc0 .LBB7_155
; %bb.89:
	v_mov_b32_e32 v8, 0
	v_cmp_eq_u16_sdwa s[30:31], v82, v8 src0_sel:BYTE_0 src1_sel:DWORD
	v_cmp_eq_u16_sdwa s[4:5], v81, v8 src0_sel:BYTE_0 src1_sel:DWORD
	v_cmp_eq_u16_sdwa s[6:7], v83, v8 src0_sel:BYTE_0 src1_sel:DWORD
	v_cndmask_b32_e64 v5, 0, v3, s[30:31]
	v_cndmask_b32_e64 v4, 0, v2, s[30:31]
	v_lshl_add_u64 v[4:5], v[4:5], 0, v[14:15]
	v_cndmask_b32_e64 v5, 0, v5, s[4:5]
	v_cndmask_b32_e64 v4, 0, v4, s[4:5]
	v_lshl_add_u64 v[4:5], v[4:5], 0, v[6:7]
	v_cndmask_b32_e64 v5, 0, v5, s[6:7]
	v_cndmask_b32_e64 v4, 0, v4, s[6:7]
	v_lshl_add_u64 v[4:5], v[4:5], 0, v[22:23]
	v_cmp_eq_u16_sdwa s[8:9], v84, v8 src0_sel:BYTE_0 src1_sel:DWORD
	v_cmp_eq_u16_sdwa s[10:11], v85, v8 src0_sel:BYTE_0 src1_sel:DWORD
	v_cmp_eq_u16_sdwa s[12:13], v86, v8 src0_sel:BYTE_0 src1_sel:DWORD
	v_cndmask_b32_e64 v5, 0, v5, s[8:9]
	v_cndmask_b32_e64 v4, 0, v4, s[8:9]
	v_lshl_add_u64 v[4:5], v[4:5], 0, v[10:11]
	v_cndmask_b32_e64 v5, 0, v5, s[10:11]
	v_cndmask_b32_e64 v4, 0, v4, s[10:11]
	v_lshl_add_u64 v[4:5], v[4:5], 0, v[30:31]
	v_cndmask_b32_e64 v5, 0, v5, s[12:13]
	v_cndmask_b32_e64 v4, 0, v4, s[12:13]
	v_lshl_add_u64 v[4:5], v[4:5], 0, v[18:19]
	;; [unrolled: 12-line block ×4, first 2 shown]
	v_cmp_eq_u16_sdwa s[26:27], v33, v8 src0_sel:BYTE_0 src1_sel:DWORD
	v_and_b32_e32 v12, 0xff, v1
	v_mbcnt_hi_u32_b32 v44, -1, v28
	v_cndmask_b32_e64 v5, 0, v5, s[26:27]
	v_cndmask_b32_e64 v4, 0, v4, s[26:27]
	v_lshl_add_u64 v[8:9], v[4:5], 0, v[16:17]
	v_or_b32_e32 v4, v29, v90
	v_or_b32_e32 v4, v4, v89
	;; [unrolled: 1-line block ×10, first 2 shown]
	v_and_b32_e32 v4, 1, v4
	v_cmp_eq_u32_e32 vcc, 1, v4
	v_and_b32_e32 v4, 15, v44
	v_mov_b32_dpp v13, v8 row_shr:1 row_mask:0xf bank_mask:0xf
	v_cndmask_b32_e64 v12, v12, 1, vcc
	v_mov_b32_dpp v20, v9 row_shr:1 row_mask:0xf bank_mask:0xf
	v_cmp_ne_u32_e32 vcc, 0, v4
	v_mov_b32_dpp v5, v12 row_shr:1 row_mask:0xf bank_mask:0xf
	s_and_saveexec_b64 s[28:29], vcc
; %bb.90:
	v_cmp_eq_u32_e32 vcc, 0, v12
	v_and_or_b32 v12, v5, 1, v12
	s_nop 0
	v_cndmask_b32_e32 v21, 0, v20, vcc
	v_cndmask_b32_e32 v20, 0, v13, vcc
	v_lshl_add_u64 v[8:9], v[20:21], 0, v[8:9]
; %bb.91:
	s_or_b64 exec, exec, s[28:29]
	s_nop 0
	v_mov_b32_dpp v13, v8 row_shr:2 row_mask:0xf bank_mask:0xf
	v_mov_b32_dpp v20, v9 row_shr:2 row_mask:0xf bank_mask:0xf
	v_mov_b32_dpp v5, v12 row_shr:2 row_mask:0xf bank_mask:0xf
	v_cmp_lt_u32_e32 vcc, 1, v4
	s_and_saveexec_b64 s[28:29], vcc
; %bb.92:
	v_cmp_eq_u32_e32 vcc, 0, v12
	v_or_b32_e32 v5, v5, v12
	v_and_b32_e32 v12, 1, v5
	v_cndmask_b32_e32 v21, 0, v20, vcc
	v_cndmask_b32_e32 v20, 0, v13, vcc
	v_lshl_add_u64 v[8:9], v[20:21], 0, v[8:9]
; %bb.93:
	s_or_b64 exec, exec, s[28:29]
	s_nop 0
	v_mov_b32_dpp v13, v8 row_shr:4 row_mask:0xf bank_mask:0xf
	v_mov_b32_dpp v20, v9 row_shr:4 row_mask:0xf bank_mask:0xf
	v_mov_b32_dpp v5, v12 row_shr:4 row_mask:0xf bank_mask:0xf
	v_cmp_lt_u32_e32 vcc, 3, v4
	s_and_saveexec_b64 s[28:29], vcc
; %bb.94:
	v_cmp_eq_u32_e32 vcc, 0, v12
	v_or_b32_e32 v5, v5, v12
	v_and_b32_e32 v12, 1, v5
	;; [unrolled: 15-line block ×3, first 2 shown]
	v_cndmask_b32_e32 v21, 0, v20, vcc
	v_cndmask_b32_e32 v20, 0, v13, vcc
	v_lshl_add_u64 v[8:9], v[20:21], 0, v[8:9]
; %bb.97:
	s_or_b64 exec, exec, s[28:29]
	v_and_b32_e32 v20, 16, v44
	v_mov_b32_dpp v5, v8 row_bcast:15 row_mask:0xf bank_mask:0xf
	v_mov_b32_dpp v13, v9 row_bcast:15 row_mask:0xf bank_mask:0xf
	;; [unrolled: 1-line block ×3, first 2 shown]
	v_cmp_ne_u32_e32 vcc, 0, v20
	s_and_saveexec_b64 s[28:29], vcc
; %bb.98:
	v_cmp_eq_u32_e32 vcc, 0, v12
	v_or_b32_e32 v4, v4, v12
	v_and_b32_e32 v12, 1, v4
	v_cndmask_b32_e32 v21, 0, v13, vcc
	v_cndmask_b32_e32 v20, 0, v5, vcc
	v_lshl_add_u64 v[8:9], v[20:21], 0, v[8:9]
; %bb.99:
	s_or_b64 exec, exec, s[28:29]
	s_nop 0
	v_mov_b32_dpp v13, v8 row_bcast:31 row_mask:0xf bank_mask:0xf
	v_mov_b32_dpp v20, v9 row_bcast:31 row_mask:0xf bank_mask:0xf
	v_mov_b32_dpp v5, v12 row_bcast:31 row_mask:0xf bank_mask:0xf
	v_cmp_lt_u32_e32 vcc, 31, v44
	v_mov_b32_e32 v4, v12
	s_and_saveexec_b64 s[28:29], vcc
; %bb.100:
	v_cmp_eq_u32_e32 vcc, 0, v12
	v_or_b32_e32 v5, v5, v12
	v_and_b32_e32 v4, 1, v5
	v_cndmask_b32_e32 v21, 0, v20, vcc
	v_cndmask_b32_e32 v20, 0, v13, vcc
	v_lshl_add_u64 v[8:9], v[20:21], 0, v[8:9]
	v_and_b32_e32 v12, 1, v5
; %bb.101:
	s_or_b64 exec, exec, s[28:29]
	v_or_b32_e32 v5, 63, v0
	v_lshrrev_b32_e32 v13, 6, v0
	v_cmp_eq_u32_e32 vcc, v5, v0
	s_and_saveexec_b64 s[28:29], vcc
	s_cbranch_execz .LBB7_103
; %bb.102:
	v_lshlrev_b32_e32 v5, 4, v13
	ds_write_b64 v5, v[8:9]
	ds_write_b8 v5, v4 offset:8
.LBB7_103:
	s_or_b64 exec, exec, s[28:29]
	v_cmp_gt_u32_e32 vcc, 4, v0
	s_waitcnt lgkmcnt(0)
	s_barrier
	s_and_saveexec_b64 s[34:35], vcc
	s_cbranch_execz .LBB7_109
; %bb.104:
	v_lshlrev_b32_e32 v20, 4, v0
	ds_read_b64 v[4:5], v20
	ds_read_b32 v21, v20 offset:8
	v_and_b32_e32 v24, 3, v44
	v_cmp_ne_u32_e32 vcc, 0, v24
	s_waitcnt lgkmcnt(1)
	v_mov_b32_dpp v40, v4 row_shr:1 row_mask:0xf bank_mask:0xf
	v_mov_b32_dpp v41, v5 row_shr:1 row_mask:0xf bank_mask:0xf
	s_waitcnt lgkmcnt(0)
	v_mov_b32_dpp v37, v21 row_shr:1 row_mask:0xf bank_mask:0xf
	v_mov_b32_e32 v25, v21
	v_mov_b32_e32 v36, v21
	s_and_saveexec_b64 s[28:29], vcc
; %bb.105:
	v_mov_b32_e32 v25, 0
	v_cmp_eq_u16_sdwa vcc, v21, v25 src0_sel:BYTE_0 src1_sel:DWORD
	v_or_b32_e32 v36, v37, v21
	v_and_b32_e32 v25, 1, v36
	v_cndmask_b32_e32 v41, 0, v41, vcc
	v_cndmask_b32_e32 v40, 0, v40, vcc
	v_and_b32_e32 v36, 1, v36
	s_movk_i32 s3, 0xff00
	v_lshl_add_u64 v[4:5], v[40:41], 0, v[4:5]
	v_and_or_b32 v21, v21, s3, v36
; %bb.106:
	s_or_b64 exec, exec, s[28:29]
	v_mov_b32_dpp v37, v4 row_shr:2 row_mask:0xf bank_mask:0xf
	v_mov_b32_dpp v40, v5 row_shr:2 row_mask:0xf bank_mask:0xf
	v_mov_b32_dpp v21, v21 row_shr:2 row_mask:0xf bank_mask:0xf
	v_cmp_lt_u32_e32 vcc, 1, v24
	s_and_saveexec_b64 s[48:49], vcc
; %bb.107:
	v_mov_b32_e32 v24, 0
	v_cmp_eq_u16_sdwa vcc, v36, v24 src0_sel:BYTE_0 src1_sel:DWORD
	v_and_b32_e32 v21, 1, v21
	v_cmp_eq_u32_e64 s[28:29], 1, v21
	v_cndmask_b32_e32 v25, 0, v40, vcc
	v_cndmask_b32_e32 v24, 0, v37, vcc
	v_lshl_add_u64 v[4:5], v[24:25], 0, v[4:5]
	v_and_b32_e32 v24, 1, v36
	v_cmp_eq_u32_e32 vcc, 1, v24
	s_or_b64 s[28:29], vcc, s[28:29]
	v_cndmask_b32_e64 v25, 0, 1, s[28:29]
; %bb.108:
	s_or_b64 exec, exec, s[48:49]
	ds_write_b64 v20, v[4:5]
	ds_write_b8 v20, v25 offset:8
.LBB7_109:
	s_or_b64 exec, exec, s[34:35]
	v_cmp_gt_u32_e32 vcc, 64, v0
	v_cmp_lt_u32_e64 s[28:29], 63, v0
	v_mov_b32_e32 v36, 0
	v_mov_b64_e32 v[4:5], 0
	s_waitcnt lgkmcnt(0)
	s_barrier
	s_and_saveexec_b64 s[34:35], s[28:29]
	s_cbranch_execz .LBB7_111
; %bb.110:
	v_lshl_add_u32 v13, v13, 4, -16
	ds_read_b64 v[4:5], v13
	ds_read_u8 v36, v13 offset:8
	v_and_b32_e32 v20, 1, v12
	v_cmp_eq_u32_e64 s[28:29], 0, v12
	s_waitcnt lgkmcnt(1)
	s_nop 0
	v_cndmask_b32_e64 v13, 0, v5, s[28:29]
	v_cndmask_b32_e64 v12, 0, v4, s[28:29]
	v_cmp_eq_u32_e64 s[28:29], 1, v20
	v_lshl_add_u64 v[8:9], v[12:13], 0, v[8:9]
	s_waitcnt lgkmcnt(0)
	v_cndmask_b32_e64 v12, v36, 1, s[28:29]
.LBB7_111:
	s_or_b64 exec, exec, s[34:35]
	v_add_u32_e32 v13, -1, v44
	v_and_b32_e32 v20, 64, v44
	v_cmp_lt_i32_e64 s[28:29], v13, v20
	s_nop 1
	v_cndmask_b32_e64 v13, v13, v44, s[28:29]
	v_lshlrev_b32_e32 v13, 2, v13
	ds_bpermute_b32 v37, v13, v8
	ds_bpermute_b32 v40, v13, v9
	;; [unrolled: 1-line block ×3, first 2 shown]
	v_cmp_eq_u32_e64 s[28:29], 0, v44
	s_and_saveexec_b64 s[48:49], vcc
	s_cbranch_execz .LBB7_154
; %bb.112:
	v_mov_b32_e32 v13, 0
	ds_read2_b64 v[48:51], v13 offset0:6 offset1:7
	s_and_saveexec_b64 s[34:35], s[28:29]
	s_cbranch_execz .LBB7_114
; %bb.113:
	s_add_i32 s52, s2, 64
	s_mov_b32 s53, 0
	s_lshl_b64 s[56:57], s[52:53], 4
	s_add_u32 s56, s36, s56
	s_addc_u32 s57, s37, s57
	v_mov_b32_e32 v8, s52
	v_mov_b32_e32 v9, 1
	s_waitcnt lgkmcnt(0)
	global_store_dword v13, v48, s[56:57] sc1
	global_store_dword v13, v49, s[56:57] offset:4 sc1
	global_store_dword v13, v50, s[56:57] offset:8 sc1
	;; [unrolled: 1-line block ×3, first 2 shown]
	s_waitcnt vmcnt(0)
	global_store_byte v8, v9, s[40:41] sc1
.LBB7_114:
	s_or_b64 exec, exec, s[34:35]
	v_xad_u32 v8, v44, -1, s2
	v_add_u32_e32 v12, 64, v8
	global_load_ubyte v45, v12, s[40:41] sc1
	s_waitcnt vmcnt(0)
	v_cmp_eq_u16_e32 vcc, 0, v45
	s_and_saveexec_b64 s[34:35], vcc
	s_cbranch_execz .LBB7_118
; %bb.115:
	v_lshl_add_u64 v[20:21], s[40:41], 0, v[12:13]
	s_mov_b64 s[52:53], 0
.LBB7_116:                              ; =>This Inner Loop Header: Depth=1
	global_load_ubyte v45, v[20:21], off sc1
	s_waitcnt vmcnt(0)
	v_cmp_ne_u16_e32 vcc, 0, v45
	s_or_b64 s[52:53], vcc, s[52:53]
	s_andn2_b64 exec, exec, s[52:53]
	s_cbranch_execnz .LBB7_116
; %bb.117:
	s_or_b64 exec, exec, s[52:53]
.LBB7_118:
	s_or_b64 exec, exec, s[34:35]
	v_mov_b32_e32 v9, s39
	v_mov_b32_e32 v20, s37
	v_cmp_eq_u16_e32 vcc, 1, v45
	s_waitcnt vmcnt(0) lgkmcnt(0)
	s_nop 0
	v_cndmask_b32_e32 v21, v9, v20, vcc
	v_mov_b32_e32 v9, s38
	v_mov_b32_e32 v20, s36
	v_cndmask_b32_e32 v20, v9, v20, vcc
	v_lshl_add_u64 v[12:13], v[12:13], 4, v[20:21]
	global_load_dword v24, v[12:13], off sc1
	global_load_dword v25, v[12:13], off offset:4 sc1
	global_load_dword v64, v[12:13], off offset:8 sc1
	;; [unrolled: 1-line block ×3, first 2 shown]
	v_cmp_eq_u16_e32 vcc, 2, v45
	v_lshlrev_b64 v[12:13], v44, -1
	v_and_b32_e32 v51, 63, v44
	s_waitcnt vmcnt(0)
	v_and_b32_e32 v9, vcc_hi, v13
	v_and_b32_e32 v55, vcc_lo, v12
	v_cmp_ne_u32_e32 vcc, 63, v51
	v_or_b32_e32 v9, 0x80000000, v9
	v_ffbl_b32_e32 v9, v9
	v_addc_co_u32_e32 v20, vcc, 0, v44, vcc
	v_lshlrev_b32_e32 v52, 2, v20
	v_add_u32_e32 v9, 32, v9
	v_ffbl_b32_e32 v55, v55
	v_min_u32_e32 v9, v55, v9
	v_cmp_lt_u32_e32 vcc, v51, v9
	ds_bpermute_b32 v53, v52, v24
	ds_bpermute_b32 v54, v52, v25
	v_and_b32_e32 v20, 0xff, v64
	ds_bpermute_b32 v21, v52, v20
	s_and_saveexec_b64 s[34:35], vcc
	s_cbranch_execz .LBB7_120
; %bb.119:
	v_mov_b32_e32 v20, 0
	v_cmp_eq_u16_sdwa vcc, v64, v20 src0_sel:BYTE_0 src1_sel:DWORD
	s_waitcnt lgkmcnt(0)
	v_or_b32_e32 v20, v21, v64
	v_and_b32_e32 v64, 1, v20
	v_cndmask_b32_e32 v55, 0, v54, vcc
	v_cndmask_b32_e32 v54, 0, v53, vcc
	v_lshl_add_u64 v[24:25], v[54:55], 0, v[24:25]
	v_and_b32_e32 v20, 1, v20
.LBB7_120:
	s_or_b64 exec, exec, s[34:35]
	v_cmp_gt_u32_e32 vcc, 62, v51
	s_waitcnt lgkmcnt(1)
	v_add_u32_e32 v54, 2, v51
	s_waitcnt lgkmcnt(0)
	v_cndmask_b32_e64 v21, 0, 1, vcc
	v_lshlrev_b32_e32 v21, 1, v21
	v_add_lshl_u32 v53, v21, v44, 2
	ds_bpermute_b32 v55, v53, v24
	ds_bpermute_b32 v56, v53, v25
	ds_bpermute_b32 v21, v53, v20
	v_cmp_le_u32_e32 vcc, v54, v9
	s_and_saveexec_b64 s[52:53], vcc
	s_cbranch_execz .LBB7_122
; %bb.121:
	v_mov_b32_e32 v20, 0
	v_cmp_eq_u16_sdwa vcc, v64, v20 src0_sel:BYTE_0 src1_sel:DWORD
	v_and_b32_e32 v20, 1, v64
	s_waitcnt lgkmcnt(1)
	v_cndmask_b32_e32 v57, 0, v56, vcc
	v_cndmask_b32_e32 v56, 0, v55, vcc
	v_cmp_eq_u32_e32 vcc, 1, v20
	s_waitcnt lgkmcnt(0)
	v_and_b32_e32 v20, 1, v21
	v_cmp_eq_u32_e64 s[34:35], 1, v20
	s_or_b64 s[34:35], vcc, s[34:35]
	v_lshl_add_u64 v[24:25], v[56:57], 0, v[24:25]
	v_cndmask_b32_e64 v64, 0, 1, s[34:35]
	v_cndmask_b32_e64 v20, 0, 1, s[34:35]
.LBB7_122:
	s_or_b64 exec, exec, s[52:53]
	v_cmp_gt_u32_e32 vcc, 60, v51
	s_waitcnt lgkmcnt(1)
	v_add_u32_e32 v56, 4, v51
	s_waitcnt lgkmcnt(0)
	v_cndmask_b32_e64 v21, 0, 1, vcc
	v_lshlrev_b32_e32 v21, 2, v21
	v_add_lshl_u32 v55, v21, v44, 2
	ds_bpermute_b32 v57, v55, v24
	ds_bpermute_b32 v58, v55, v25
	ds_bpermute_b32 v21, v55, v20
	v_cmp_le_u32_e32 vcc, v56, v9
	s_and_saveexec_b64 s[52:53], vcc
	s_cbranch_execz .LBB7_124
; %bb.123:
	v_mov_b32_e32 v20, 0
	v_cmp_eq_u16_sdwa vcc, v64, v20 src0_sel:BYTE_0 src1_sel:DWORD
	v_and_b32_e32 v20, 1, v64
	s_waitcnt lgkmcnt(1)
	v_cndmask_b32_e32 v59, 0, v58, vcc
	v_cndmask_b32_e32 v58, 0, v57, vcc
	v_cmp_eq_u32_e32 vcc, 1, v20
	s_waitcnt lgkmcnt(0)
	v_and_b32_e32 v20, 1, v21
	v_cmp_eq_u32_e64 s[34:35], 1, v20
	s_or_b64 s[34:35], vcc, s[34:35]
	v_lshl_add_u64 v[24:25], v[58:59], 0, v[24:25]
	v_cndmask_b32_e64 v64, 0, 1, s[34:35]
	v_cndmask_b32_e64 v20, 0, 1, s[34:35]
.LBB7_124:
	;; [unrolled: 30-line block ×4, first 2 shown]
	s_or_b64 exec, exec, s[52:53]
	v_cmp_gt_u32_e32 vcc, 32, v51
	s_waitcnt lgkmcnt(1)
	v_add_u32_e32 v62, 32, v51
	s_waitcnt lgkmcnt(0)
	v_cndmask_b32_e64 v21, 0, 1, vcc
	v_lshlrev_b32_e32 v21, 5, v21
	v_add_lshl_u32 v61, v21, v44, 2
	ds_bpermute_b32 v21, v61, v24
	ds_bpermute_b32 v44, v61, v25
	;; [unrolled: 1-line block ×3, first 2 shown]
	v_cmp_le_u32_e32 vcc, v62, v9
	s_and_saveexec_b64 s[52:53], vcc
	s_cbranch_execz .LBB7_130
; %bb.129:
	v_mov_b32_e32 v9, 0
	v_cmp_eq_u16_sdwa vcc, v64, v9 src0_sel:BYTE_0 src1_sel:DWORD
	v_and_b32_e32 v9, 1, v64
	s_waitcnt lgkmcnt(1)
	v_cndmask_b32_e32 v67, 0, v44, vcc
	v_cndmask_b32_e32 v66, 0, v21, vcc
	v_cmp_eq_u32_e32 vcc, 1, v9
	s_waitcnt lgkmcnt(0)
	v_and_b32_e32 v9, 1, v20
	v_cmp_eq_u32_e64 s[34:35], 1, v9
	s_or_b64 s[34:35], vcc, s[34:35]
	v_lshl_add_u64 v[24:25], v[66:67], 0, v[24:25]
	v_cndmask_b32_e64 v64, 0, 1, s[34:35]
.LBB7_130:
	s_or_b64 exec, exec, s[52:53]
	v_mov_b32_e32 v9, 0
	v_mov_b32_e32 v63, 2
	s_branch .LBB7_132
.LBB7_131:                              ;   in Loop: Header=BB7_132 Depth=1
	s_or_b64 exec, exec, s[56:57]
	v_cmp_eq_u16_sdwa vcc, v44, v9 src0_sel:BYTE_0 src1_sel:DWORD
	v_and_b32_e32 v64, 1, v44
	v_subrev_u32_e32 v8, 64, v8
	v_cndmask_b32_e32 v25, 0, v25, vcc
	v_cndmask_b32_e32 v24, 0, v24, vcc
	v_cmp_eq_u32_e32 vcc, 1, v64
	s_or_b64 s[34:35], vcc, s[52:53]
	v_lshl_add_u64 v[24:25], v[24:25], 0, v[20:21]
	v_cndmask_b32_e64 v64, 0, 1, s[34:35]
.LBB7_132:                              ; =>This Loop Header: Depth=1
                                        ;     Child Loop BB7_135 Depth 2
	v_cmp_ne_u16_sdwa s[34:35], v45, v63 src0_sel:BYTE_0 src1_sel:DWORD
	s_waitcnt lgkmcnt(1)
	v_mov_b32_e32 v44, v64
	s_waitcnt lgkmcnt(0)
	v_cndmask_b32_e64 v20, 0, 1, s[34:35]
	;;#ASMSTART
	;;#ASMEND
	s_nop 0
	v_cmp_ne_u32_e32 vcc, 0, v20
	s_cmp_lg_u64 vcc, exec
	v_mov_b64_e32 v[20:21], v[24:25]
	s_cbranch_scc1 .LBB7_149
; %bb.133:                              ;   in Loop: Header=BB7_132 Depth=1
	global_load_ubyte v45, v8, s[40:41] sc1
	s_waitcnt vmcnt(0)
	v_cmp_eq_u16_e32 vcc, 0, v45
	s_and_saveexec_b64 s[34:35], vcc
	s_cbranch_execz .LBB7_137
; %bb.134:                              ;   in Loop: Header=BB7_132 Depth=1
	v_lshl_add_u64 v[24:25], s[40:41], 0, v[8:9]
	s_mov_b64 s[52:53], 0
.LBB7_135:                              ;   Parent Loop BB7_132 Depth=1
                                        ; =>  This Inner Loop Header: Depth=2
	global_load_ubyte v45, v[24:25], off sc1
	s_waitcnt vmcnt(0)
	v_cmp_ne_u16_e32 vcc, 0, v45
	s_or_b64 s[52:53], vcc, s[52:53]
	s_andn2_b64 exec, exec, s[52:53]
	s_cbranch_execnz .LBB7_135
; %bb.136:                              ;   in Loop: Header=BB7_132 Depth=1
	s_or_b64 exec, exec, s[52:53]
.LBB7_137:                              ;   in Loop: Header=BB7_132 Depth=1
	s_or_b64 exec, exec, s[34:35]
	v_mov_b32_e32 v24, s39
	v_mov_b32_e32 v25, s37
	v_cmp_eq_u16_e32 vcc, 1, v45
	v_mov_b32_e32 v64, s36
	s_waitcnt vmcnt(0)
	v_cndmask_b32_e32 v25, v24, v25, vcc
	v_mov_b32_e32 v24, s38
	v_cndmask_b32_e32 v24, v24, v64, vcc
	v_lshl_add_u64 v[66:67], v[8:9], 4, v[24:25]
	global_load_dword v24, v[66:67], off sc1
	global_load_dword v25, v[66:67], off offset:4 sc1
	global_load_dword v64, v[66:67], off offset:8 sc1
	;; [unrolled: 1-line block ×3, first 2 shown]
	v_cmp_eq_u16_e32 vcc, 2, v45
	s_waitcnt vmcnt(3)
	ds_bpermute_b32 v68, v52, v24
	s_waitcnt vmcnt(0)
	v_and_b32_e32 v65, vcc_hi, v13
	v_and_b32_e32 v66, 0xff, v64
	v_or_b32_e32 v65, 0x80000000, v65
	ds_bpermute_b32 v69, v52, v25
	ds_bpermute_b32 v67, v52, v66
	v_and_b32_e32 v70, vcc_lo, v12
	v_ffbl_b32_e32 v65, v65
	v_add_u32_e32 v65, 32, v65
	v_ffbl_b32_e32 v70, v70
	v_min_u32_e32 v65, v70, v65
	v_cmp_lt_u32_e32 vcc, v51, v65
	s_and_saveexec_b64 s[34:35], vcc
	s_cbranch_execz .LBB7_139
; %bb.138:                              ;   in Loop: Header=BB7_132 Depth=1
	v_cmp_eq_u16_sdwa vcc, v64, v9 src0_sel:BYTE_0 src1_sel:DWORD
	s_waitcnt lgkmcnt(0)
	v_or_b32_e32 v66, v67, v64
	v_and_b32_e32 v64, 1, v66
	v_cndmask_b32_e32 v69, 0, v69, vcc
	v_cndmask_b32_e32 v68, 0, v68, vcc
	v_lshl_add_u64 v[24:25], v[68:69], 0, v[24:25]
	v_and_b32_e32 v66, 1, v66
.LBB7_139:                              ;   in Loop: Header=BB7_132 Depth=1
	s_or_b64 exec, exec, s[34:35]
	s_waitcnt lgkmcnt(2)
	ds_bpermute_b32 v68, v53, v24
	s_waitcnt lgkmcnt(2)
	ds_bpermute_b32 v69, v53, v25
	;; [unrolled: 2-line block ×3, first 2 shown]
	v_and_b32_e32 v70, 1, v64
	v_cmp_le_u32_e32 vcc, v54, v65
	v_cmp_eq_u32_e64 s[52:53], 1, v70
	s_and_saveexec_b64 s[34:35], vcc
	s_cbranch_execz .LBB7_141
; %bb.140:                              ;   in Loop: Header=BB7_132 Depth=1
	v_cmp_eq_u16_sdwa vcc, v64, v9 src0_sel:BYTE_0 src1_sel:DWORD
	s_waitcnt lgkmcnt(0)
	v_and_b32_e32 v64, 1, v67
	v_cndmask_b32_e32 v69, 0, v69, vcc
	v_cndmask_b32_e32 v68, 0, v68, vcc
	v_cmp_eq_u32_e32 vcc, 1, v64
	s_or_b64 s[56:57], s[52:53], vcc
	v_cndmask_b32_e64 v64, 0, 1, s[56:57]
	v_cndmask_b32_e64 v66, 0, 1, s[56:57]
	s_andn2_b64 s[52:53], s[52:53], exec
	s_and_b64 s[56:57], s[56:57], exec
	v_lshl_add_u64 v[24:25], v[68:69], 0, v[24:25]
	s_or_b64 s[52:53], s[52:53], s[56:57]
.LBB7_141:                              ;   in Loop: Header=BB7_132 Depth=1
	s_or_b64 exec, exec, s[34:35]
	s_waitcnt lgkmcnt(2)
	ds_bpermute_b32 v68, v55, v24
	s_waitcnt lgkmcnt(2)
	ds_bpermute_b32 v69, v55, v25
	s_waitcnt lgkmcnt(2)
	ds_bpermute_b32 v67, v55, v66
	v_cmp_le_u32_e32 vcc, v56, v65
	s_and_saveexec_b64 s[56:57], vcc
	s_cbranch_execz .LBB7_143
; %bb.142:                              ;   in Loop: Header=BB7_132 Depth=1
	v_cmp_eq_u16_sdwa vcc, v64, v9 src0_sel:BYTE_0 src1_sel:DWORD
	v_and_b32_e32 v64, 1, v64
	s_andn2_b64 s[52:53], s[52:53], exec
	s_waitcnt lgkmcnt(1)
	v_cndmask_b32_e32 v69, 0, v69, vcc
	v_cndmask_b32_e32 v68, 0, v68, vcc
	v_cmp_eq_u32_e32 vcc, 1, v64
	s_waitcnt lgkmcnt(0)
	v_and_b32_e32 v64, 1, v67
	v_cmp_eq_u32_e64 s[34:35], 1, v64
	s_or_b64 s[34:35], vcc, s[34:35]
	v_lshl_add_u64 v[24:25], v[68:69], 0, v[24:25]
	v_cndmask_b32_e64 v64, 0, 1, s[34:35]
	v_cndmask_b32_e64 v66, 0, 1, s[34:35]
	s_and_b64 s[34:35], s[34:35], exec
	s_or_b64 s[52:53], s[52:53], s[34:35]
.LBB7_143:                              ;   in Loop: Header=BB7_132 Depth=1
	s_or_b64 exec, exec, s[56:57]
	s_waitcnt lgkmcnt(2)
	ds_bpermute_b32 v68, v57, v24
	s_waitcnt lgkmcnt(2)
	ds_bpermute_b32 v69, v57, v25
	s_waitcnt lgkmcnt(2)
	ds_bpermute_b32 v67, v57, v66
	v_cmp_le_u32_e32 vcc, v58, v65
	s_and_saveexec_b64 s[56:57], vcc
	s_cbranch_execz .LBB7_145
; %bb.144:                              ;   in Loop: Header=BB7_132 Depth=1
	v_cmp_eq_u16_sdwa vcc, v64, v9 src0_sel:BYTE_0 src1_sel:DWORD
	v_and_b32_e32 v64, 1, v64
	s_andn2_b64 s[52:53], s[52:53], exec
	s_waitcnt lgkmcnt(1)
	v_cndmask_b32_e32 v69, 0, v69, vcc
	v_cndmask_b32_e32 v68, 0, v68, vcc
	v_cmp_eq_u32_e32 vcc, 1, v64
	s_waitcnt lgkmcnt(0)
	v_and_b32_e32 v64, 1, v67
	v_cmp_eq_u32_e64 s[34:35], 1, v64
	s_or_b64 s[34:35], vcc, s[34:35]
	v_lshl_add_u64 v[24:25], v[68:69], 0, v[24:25]
	v_cndmask_b32_e64 v64, 0, 1, s[34:35]
	v_cndmask_b32_e64 v66, 0, 1, s[34:35]
	s_and_b64 s[34:35], s[34:35], exec
	s_or_b64 s[52:53], s[52:53], s[34:35]
.LBB7_145:                              ;   in Loop: Header=BB7_132 Depth=1
	;; [unrolled: 28-line block ×3, first 2 shown]
	s_or_b64 exec, exec, s[56:57]
	s_waitcnt lgkmcnt(0)
	ds_bpermute_b32 v67, v61, v24
	ds_bpermute_b32 v68, v61, v25
	;; [unrolled: 1-line block ×3, first 2 shown]
	v_cmp_le_u32_e32 vcc, v62, v65
	s_and_saveexec_b64 s[56:57], vcc
	s_cbranch_execz .LBB7_131
; %bb.148:                              ;   in Loop: Header=BB7_132 Depth=1
	v_cmp_eq_u16_sdwa vcc, v64, v9 src0_sel:BYTE_0 src1_sel:DWORD
	v_and_b32_e32 v64, 1, v64
	s_andn2_b64 s[52:53], s[52:53], exec
	s_waitcnt lgkmcnt(1)
	v_cndmask_b32_e32 v69, 0, v68, vcc
	v_cndmask_b32_e32 v68, 0, v67, vcc
	v_cmp_eq_u32_e32 vcc, 1, v64
	s_waitcnt lgkmcnt(0)
	v_and_b32_e32 v64, 1, v66
	v_cmp_eq_u32_e64 s[34:35], 1, v64
	s_or_b64 s[34:35], vcc, s[34:35]
	s_and_b64 s[34:35], s[34:35], exec
	v_lshl_add_u64 v[24:25], v[68:69], 0, v[24:25]
	s_or_b64 s[52:53], s[52:53], s[34:35]
	s_branch .LBB7_131
.LBB7_149:                              ;   in Loop: Header=BB7_132 Depth=1
                                        ; implicit-def: $vgpr64
                                        ; implicit-def: $vgpr24_vgpr25
                                        ; implicit-def: $vgpr45
	s_cbranch_execz .LBB7_132
; %bb.150:
	s_and_saveexec_b64 s[34:35], s[28:29]
	s_cbranch_execz .LBB7_152
; %bb.151:
	s_mov_b32 s3, 0
	v_mov_b32_e32 v12, 0
	s_add_i32 s2, s2, 64
	v_cmp_eq_u32_sdwa vcc, v50, v12 src0_sel:BYTE_0 src1_sel:DWORD
	s_lshl_b64 s[36:37], s[2:3], 4
	v_and_b32_e32 v13, 1, v50
	v_cndmask_b32_e32 v9, 0, v21, vcc
	v_cndmask_b32_e32 v8, 0, v20, vcc
	s_add_u32 s36, s38, s36
	v_lshl_add_u64 v[8:9], v[8:9], 0, v[48:49]
	v_and_b32_e32 v24, 1, v44
	v_cmp_eq_u32_e32 vcc, 1, v13
	s_addc_u32 s37, s39, s37
	s_nop 0
	v_cndmask_b32_e64 v13, v24, 1, vcc
	global_store_dword v12, v8, s[36:37] sc1
	global_store_dword v12, v9, s[36:37] offset:4 sc1
	global_store_dword v12, v13, s[36:37] offset:8 sc1
	;; [unrolled: 1-line block ×3, first 2 shown]
	v_mov_b32_e32 v8, s2
	v_mov_b32_e32 v9, 2
	s_waitcnt vmcnt(0) lgkmcnt(0)
	global_store_byte v8, v9, s[40:41] sc1
.LBB7_152:
	s_or_b64 exec, exec, s[34:35]
	v_cmp_eq_u32_e32 vcc, 0, v0
	s_and_b64 exec, exec, vcc
	s_cbranch_execz .LBB7_154
; %bb.153:
	v_mov_b32_e32 v8, 0
	ds_write_b64 v8, v[20:21] offset:48
	ds_write_b8 v8, v44 offset:56
.LBB7_154:
	s_or_b64 exec, exec, s[48:49]
	s_waitcnt lgkmcnt(0)
	v_cndmask_b32_e64 v8, v41, v36, s[28:29]
	v_mov_b32_e32 v13, 0
	v_cndmask_b32_e64 v9, v40, v5, s[28:29]
	v_cndmask_b32_e64 v12, v37, v4, s[28:29]
	v_cmp_eq_u16_sdwa vcc, v1, v13 src0_sel:BYTE_0 src1_sel:DWORD
	v_and_b32_e32 v20, 1, v1
	v_and_b32_e32 v8, 1, v8
	s_barrier
	ds_read_b64 v[4:5], v13 offset:48
	v_cndmask_b32_e32 v12, 0, v12, vcc
	v_cndmask_b32_e32 v9, 0, v9, vcc
	v_cmp_eq_u32_e32 vcc, 1, v20
	v_cmp_eq_u32_e64 s[2:3], 1, v8
	s_or_b64 s[2:3], vcc, s[2:3]
	v_cmp_eq_u32_e32 vcc, 0, v0
	v_cndmask_b32_e64 v8, 0, 1, s[2:3]
	s_nop 0
	v_cndmask_b32_e32 v20, v8, v1, vcc
	v_cndmask_b32_e64 v9, v9, 0, vcc
	v_cndmask_b32_e64 v8, v12, 0, vcc
	v_cmp_eq_u16_sdwa vcc, v20, v13 src0_sel:BYTE_0 src1_sel:DWORD
	v_lshl_add_u64 v[8:9], v[8:9], 0, v[2:3]
	s_waitcnt lgkmcnt(0)
	v_cndmask_b32_e32 v5, 0, v5, vcc
	v_cndmask_b32_e32 v4, 0, v4, vcc
	v_lshl_add_u64 v[48:49], v[8:9], 0, v[4:5]
	v_cndmask_b32_e64 v5, 0, v49, s[30:31]
	v_cndmask_b32_e64 v4, 0, v48, s[30:31]
	v_lshl_add_u64 v[50:51], v[4:5], 0, v[14:15]
	v_cndmask_b32_e64 v5, 0, v51, s[4:5]
	v_cndmask_b32_e64 v4, 0, v50, s[4:5]
	;; [unrolled: 3-line block ×13, first 2 shown]
	v_lshl_add_u64 v[74:75], v[4:5], 0, v[16:17]
	s_branch .LBB7_185
.LBB7_155:
                                        ; implicit-def: $vgpr74_vgpr75
                                        ; implicit-def: $vgpr70_vgpr71
                                        ; implicit-def: $vgpr66_vgpr67
                                        ; implicit-def: $vgpr62_vgpr63
                                        ; implicit-def: $vgpr58_vgpr59
                                        ; implicit-def: $vgpr54_vgpr55
                                        ; implicit-def: $vgpr50_vgpr51
	s_cbranch_execz .LBB7_185
; %bb.156:
	s_cmp_lg_u64 s[60:61], 0
	s_cselect_b32 s5, s55, 0
	s_cselect_b32 s4, s54, 0
	s_cmp_lg_u64 s[4:5], 0
	s_cselect_b64 s[6:7], -1, 0
	v_cmp_eq_u32_e32 vcc, 0, v0
	v_cmp_ne_u32_e64 s[2:3], 0, v0
	s_and_b64 s[8:9], vcc, s[6:7]
	s_and_saveexec_b64 s[6:7], s[8:9]
	s_cbranch_execz .LBB7_158
; %bb.157:
	v_mov_b32_e32 v8, 0
	global_load_dwordx2 v[4:5], v8, s[4:5]
	global_load_ubyte v9, v8, s[4:5] offset:8
	v_cmp_eq_u16_sdwa s[4:5], v1, v8 src0_sel:BYTE_0 src1_sel:DWORD
	s_waitcnt vmcnt(0)
	v_or_b32_e32 v1, v1, v9
	v_cndmask_b32_e64 v5, 0, v5, s[4:5]
	v_cndmask_b32_e64 v4, 0, v4, s[4:5]
	v_lshl_add_u64 v[2:3], v[4:5], 0, v[2:3]
	v_and_b32_e32 v1, 1, v1
.LBB7_158:
	s_or_b64 exec, exec, s[6:7]
	v_mov_b32_e32 v9, 0
	v_cmp_eq_u16_sdwa s[4:5], v82, v9 src0_sel:BYTE_0 src1_sel:DWORD
	v_cmp_eq_u16_sdwa s[6:7], v81, v9 src0_sel:BYTE_0 src1_sel:DWORD
	v_cmp_eq_u16_sdwa s[8:9], v83, v9 src0_sel:BYTE_0 src1_sel:DWORD
	v_cndmask_b32_e64 v5, 0, v3, s[4:5]
	v_cndmask_b32_e64 v4, 0, v2, s[4:5]
	v_lshl_add_u64 v[50:51], v[4:5], 0, v[14:15]
	v_cndmask_b32_e64 v5, 0, v51, s[6:7]
	v_cndmask_b32_e64 v4, 0, v50, s[6:7]
	v_lshl_add_u64 v[52:53], v[4:5], 0, v[6:7]
	v_cndmask_b32_e64 v5, 0, v53, s[8:9]
	v_cndmask_b32_e64 v4, 0, v52, s[8:9]
	v_lshl_add_u64 v[54:55], v[4:5], 0, v[22:23]
	v_cmp_eq_u16_sdwa s[10:11], v84, v9 src0_sel:BYTE_0 src1_sel:DWORD
	v_cmp_eq_u16_sdwa s[12:13], v85, v9 src0_sel:BYTE_0 src1_sel:DWORD
	v_cmp_eq_u16_sdwa s[14:15], v86, v9 src0_sel:BYTE_0 src1_sel:DWORD
	v_cndmask_b32_e64 v5, 0, v55, s[10:11]
	v_cndmask_b32_e64 v4, 0, v54, s[10:11]
	v_lshl_add_u64 v[56:57], v[4:5], 0, v[10:11]
	v_cndmask_b32_e64 v5, 0, v57, s[12:13]
	v_cndmask_b32_e64 v4, 0, v56, s[12:13]
	v_lshl_add_u64 v[58:59], v[4:5], 0, v[30:31]
	v_cndmask_b32_e64 v5, 0, v59, s[14:15]
	v_cndmask_b32_e64 v4, 0, v58, s[14:15]
	v_lshl_add_u64 v[60:61], v[4:5], 0, v[18:19]
	;; [unrolled: 12-line block ×4, first 2 shown]
	v_cmp_eq_u16_sdwa s[28:29], v33, v9 src0_sel:BYTE_0 src1_sel:DWORD
	v_and_b32_e32 v8, 0xff, v1
	v_mbcnt_hi_u32_b32 v12, -1, v28
	v_cndmask_b32_e64 v5, 0, v73, s[28:29]
	v_cndmask_b32_e64 v4, 0, v72, s[28:29]
	v_lshl_add_u64 v[74:75], v[4:5], 0, v[16:17]
	v_or_b32_e32 v4, v29, v90
	v_or_b32_e32 v4, v4, v89
	;; [unrolled: 1-line block ×10, first 2 shown]
	v_and_b32_e32 v4, 1, v4
	v_cmp_eq_u32_e64 s[30:31], 1, v4
	v_and_b32_e32 v20, 15, v12
	v_mov_b32_dpp v24, v74 row_shr:1 row_mask:0xf bank_mask:0xf
	v_cndmask_b32_e64 v13, v8, 1, s[30:31]
	v_mov_b32_dpp v25, v75 row_shr:1 row_mask:0xf bank_mask:0xf
	v_cmp_ne_u32_e64 s[30:31], 0, v20
	v_mov_b32_dpp v21, v13 row_shr:1 row_mask:0xf bank_mask:0xf
	v_mov_b64_e32 v[4:5], v[74:75]
	v_mov_b32_e32 v9, v75
	v_mov_b32_e32 v8, v74
	s_and_saveexec_b64 s[34:35], s[30:31]
; %bb.159:
	v_cmp_eq_u32_e64 s[30:31], 0, v13
	v_and_or_b32 v13, v21, 1, v13
	s_nop 0
	v_cndmask_b32_e64 v5, 0, v25, s[30:31]
	v_cndmask_b32_e64 v4, 0, v24, s[30:31]
	v_lshl_add_u64 v[4:5], v[74:75], 0, v[4:5]
	v_mov_b32_e32 v9, v5
	v_mov_b32_e32 v8, v4
; %bb.160:
	s_or_b64 exec, exec, s[34:35]
	s_nop 0
	v_mov_b32_dpp v24, v8 row_shr:2 row_mask:0xf bank_mask:0xf
	v_mov_b32_dpp v25, v9 row_shr:2 row_mask:0xf bank_mask:0xf
	v_mov_b32_dpp v21, v13 row_shr:2 row_mask:0xf bank_mask:0xf
	v_cmp_lt_u32_e64 s[30:31], 1, v20
	s_and_saveexec_b64 s[34:35], s[30:31]
; %bb.161:
	v_cmp_eq_u32_e64 s[30:31], 0, v13
	s_nop 1
	v_cndmask_b32_e64 v9, 0, v25, s[30:31]
	v_cndmask_b32_e64 v8, 0, v24, s[30:31]
	v_lshl_add_u64 v[8:9], v[8:9], 0, v[4:5]
	v_or_b32_e32 v4, v21, v13
	v_and_b32_e32 v13, 1, v4
	v_mov_b64_e32 v[4:5], v[8:9]
; %bb.162:
	s_or_b64 exec, exec, s[34:35]
	v_mov_b32_dpp v24, v8 row_shr:4 row_mask:0xf bank_mask:0xf
	v_mov_b32_dpp v25, v9 row_shr:4 row_mask:0xf bank_mask:0xf
	v_mov_b32_dpp v21, v13 row_shr:4 row_mask:0xf bank_mask:0xf
	v_cmp_lt_u32_e64 s[30:31], 3, v20
	s_and_saveexec_b64 s[34:35], s[30:31]
; %bb.163:
	v_cmp_eq_u32_e64 s[30:31], 0, v13
	s_nop 1
	v_cndmask_b32_e64 v9, 0, v25, s[30:31]
	v_cndmask_b32_e64 v8, 0, v24, s[30:31]
	v_lshl_add_u64 v[8:9], v[8:9], 0, v[4:5]
	v_or_b32_e32 v4, v21, v13
	v_and_b32_e32 v13, 1, v4
	v_mov_b64_e32 v[4:5], v[8:9]
; %bb.164:
	s_or_b64 exec, exec, s[34:35]
	;; [unrolled: 16-line block ×3, first 2 shown]
	v_and_b32_e32 v25, 16, v12
	v_mov_b32_dpp v21, v8 row_bcast:15 row_mask:0xf bank_mask:0xf
	v_mov_b32_dpp v24, v9 row_bcast:15 row_mask:0xf bank_mask:0xf
	;; [unrolled: 1-line block ×3, first 2 shown]
	v_cmp_ne_u32_e64 s[30:31], 0, v25
	s_and_saveexec_b64 s[34:35], s[30:31]
; %bb.167:
	v_cmp_eq_u32_e64 s[30:31], 0, v13
	s_nop 1
	v_cndmask_b32_e64 v9, 0, v24, s[30:31]
	v_cndmask_b32_e64 v8, 0, v21, s[30:31]
	v_lshl_add_u64 v[4:5], v[8:9], 0, v[4:5]
	v_or_b32_e32 v8, v20, v13
	v_and_b32_e32 v13, 1, v8
	v_mov_b32_e32 v9, v5
	v_mov_b32_e32 v8, v4
; %bb.168:
	s_or_b64 exec, exec, s[34:35]
	s_nop 0
	v_mov_b32_dpp v20, v8 row_bcast:31 row_mask:0xf bank_mask:0xf
	v_mov_b32_dpp v21, v9 row_bcast:31 row_mask:0xf bank_mask:0xf
	;; [unrolled: 1-line block ×3, first 2 shown]
	v_cmp_lt_u32_e64 s[30:31], 31, v12
	v_mov_b32_e32 v8, v13
	s_and_saveexec_b64 s[34:35], s[30:31]
; %bb.169:
	v_cmp_eq_u32_e64 s[30:31], 0, v13
	v_or_b32_e32 v9, v9, v13
	v_and_b32_e32 v8, 1, v9
	v_cndmask_b32_e64 v21, 0, v21, s[30:31]
	v_cndmask_b32_e64 v20, 0, v20, s[30:31]
	v_lshl_add_u64 v[4:5], v[20:21], 0, v[4:5]
	v_and_b32_e32 v13, 1, v9
; %bb.170:
	s_or_b64 exec, exec, s[34:35]
	v_or_b32_e32 v9, 63, v0
	v_lshrrev_b32_e32 v20, 6, v0
	v_cmp_eq_u32_e64 s[30:31], v9, v0
	s_and_saveexec_b64 s[34:35], s[30:31]
	s_cbranch_execz .LBB7_172
; %bb.171:
	v_lshlrev_b32_e32 v9, 4, v20
	ds_write_b64 v9, v[4:5]
	ds_write_b8 v9, v8 offset:8
.LBB7_172:
	s_or_b64 exec, exec, s[34:35]
	v_cmp_gt_u32_e64 s[30:31], 4, v0
	s_waitcnt lgkmcnt(0)
	s_barrier
	s_and_saveexec_b64 s[36:37], s[30:31]
	s_cbranch_execz .LBB7_178
; %bb.173:
	v_lshlrev_b32_e32 v21, 4, v0
	ds_read_b64 v[8:9], v21
	ds_read_b32 v24, v21 offset:8
	v_and_b32_e32 v25, 3, v12
	v_cmp_ne_u32_e64 s[30:31], 0, v25
	s_waitcnt lgkmcnt(1)
	v_mov_b32_dpp v36, v8 row_shr:1 row_mask:0xf bank_mask:0xf
	v_mov_b32_dpp v37, v9 row_shr:1 row_mask:0xf bank_mask:0xf
	s_waitcnt lgkmcnt(0)
	v_mov_b32_dpp v33, v24 row_shr:1 row_mask:0xf bank_mask:0xf
	v_mov_b32_e32 v28, v24
	v_mov_b32_e32 v29, v24
	s_and_saveexec_b64 s[34:35], s[30:31]
; %bb.174:
	v_mov_b32_e32 v28, 0
	v_cmp_eq_u16_sdwa s[30:31], v24, v28 src0_sel:BYTE_0 src1_sel:DWORD
	s_nop 1
	v_cndmask_b32_e64 v29, 0, v37, s[30:31]
	v_cndmask_b32_e64 v28, 0, v36, s[30:31]
	v_lshl_add_u64 v[8:9], v[28:29], 0, v[8:9]
	v_or_b32_e32 v29, v33, v24
	v_and_b32_e32 v28, 1, v29
	v_and_b32_e32 v29, 1, v29
	s_movk_i32 s30, 0xff00
	v_and_or_b32 v24, v24, s30, v29
; %bb.175:
	s_or_b64 exec, exec, s[34:35]
	v_mov_b32_dpp v33, v8 row_shr:2 row_mask:0xf bank_mask:0xf
	v_mov_b32_dpp v36, v9 row_shr:2 row_mask:0xf bank_mask:0xf
	v_mov_b32_dpp v24, v24 row_shr:2 row_mask:0xf bank_mask:0xf
	v_cmp_lt_u32_e64 s[30:31], 1, v25
	s_and_saveexec_b64 s[48:49], s[30:31]
; %bb.176:
	v_mov_b32_e32 v25, 0
	v_cmp_eq_u16_sdwa s[30:31], v29, v25 src0_sel:BYTE_0 src1_sel:DWORD
	v_and_b32_e32 v25, 1, v29
	v_and_b32_e32 v24, 1, v24
	v_cndmask_b32_e64 v37, 0, v36, s[30:31]
	v_cndmask_b32_e64 v36, 0, v33, s[30:31]
	v_cmp_eq_u32_e64 s[30:31], 1, v25
	v_cmp_eq_u32_e64 s[34:35], 1, v24
	s_or_b64 s[30:31], s[30:31], s[34:35]
	v_lshl_add_u64 v[8:9], v[36:37], 0, v[8:9]
	v_cndmask_b32_e64 v28, 0, 1, s[30:31]
; %bb.177:
	s_or_b64 exec, exec, s[48:49]
	ds_write_b64 v21, v[8:9]
	ds_write_b8 v21, v28 offset:8
.LBB7_178:
	s_or_b64 exec, exec, s[36:37]
	v_cmp_lt_u32_e64 s[30:31], 63, v0
	v_mov_b64_e32 v[8:9], 0
	s_waitcnt lgkmcnt(0)
	s_barrier
	s_and_saveexec_b64 s[34:35], s[30:31]
	s_cbranch_execz .LBB7_180
; %bb.179:
	v_lshl_add_u32 v8, v20, 4, -16
	ds_read_b64 v[8:9], v8
	v_cmp_eq_u32_e64 s[30:31], 0, v13
	s_waitcnt lgkmcnt(0)
	s_nop 0
	v_cndmask_b32_e64 v21, 0, v9, s[30:31]
	v_cndmask_b32_e64 v20, 0, v8, s[30:31]
	v_lshl_add_u64 v[4:5], v[20:21], 0, v[4:5]
.LBB7_180:
	s_or_b64 exec, exec, s[34:35]
	v_add_u32_e32 v13, -1, v12
	v_and_b32_e32 v20, 64, v12
	v_cmp_lt_i32_e64 s[30:31], v13, v20
	s_nop 1
	v_cndmask_b32_e64 v13, v13, v12, s[30:31]
	v_lshlrev_b32_e32 v13, 2, v13
	ds_bpermute_b32 v4, v13, v4
	ds_bpermute_b32 v5, v13, v5
	s_and_saveexec_b64 s[30:31], s[2:3]
	s_cbranch_execz .LBB7_182
; %bb.181:
	v_cmp_eq_u32_e64 s[2:3], 0, v12
	;;#ASMSTART
	;;#ASMEND
	s_waitcnt lgkmcnt(1)
	s_nop 0
	v_cndmask_b32_e64 v4, v4, v8, s[2:3]
	v_mov_b32_e32 v8, 0
	s_waitcnt lgkmcnt(0)
	v_cndmask_b32_e64 v5, v5, v9, s[2:3]
	v_cmp_eq_u16_sdwa s[2:3], v1, v8 src0_sel:BYTE_0 src1_sel:DWORD
	s_nop 1
	v_cndmask_b32_e64 v5, 0, v5, s[2:3]
	v_cndmask_b32_e64 v4, 0, v4, s[2:3]
	v_lshl_add_u64 v[2:3], v[4:5], 0, v[2:3]
	v_cndmask_b32_e64 v5, 0, v3, s[4:5]
	v_cndmask_b32_e64 v4, 0, v2, s[4:5]
	v_lshl_add_u64 v[50:51], v[4:5], 0, v[14:15]
	;; [unrolled: 3-line block ×14, first 2 shown]
.LBB7_182:
	s_or_b64 exec, exec, s[30:31]
	s_and_saveexec_b64 s[2:3], vcc
	s_cbranch_execz .LBB7_184
; %bb.183:
	v_mov_b32_e32 v1, 0
	s_waitcnt lgkmcnt(0)
	ds_read_b64 v[4:5], v1 offset:48
	ds_read_u8 v6, v1 offset:56
	s_waitcnt lgkmcnt(1)
	global_store_dword v1, v4, s[38:39] offset:1024 sc1
	global_store_dword v1, v5, s[38:39] offset:1028 sc1
	s_waitcnt lgkmcnt(0)
	global_store_dword v1, v6, s[38:39] offset:1032 sc1
	global_store_dword v1, v1, s[38:39] offset:1036 sc1
	v_mov_b32_e32 v4, 2
	s_waitcnt vmcnt(0)
	global_store_byte v1, v4, s[40:41] offset:64 sc1
.LBB7_184:
	s_or_b64 exec, exec, s[2:3]
	v_mov_b64_e32 v[48:49], v[2:3]
.LBB7_185:
	s_add_u32 s2, s50, s46
	s_addc_u32 s3, s51, s47
	s_add_u32 s2, s2, s44
	v_mul_u32_u24_e32 v1, 14, v0
	s_addc_u32 s3, s3, s45
	s_and_b64 vcc, exec, s[0:1]
	v_lshlrev_b32_e32 v30, 3, v1
	s_cbranch_vccz .LBB7_213
; %bb.186:
	s_movk_i32 s0, 0xff98
	v_mad_i32_i24 v1, v0, s0, v30
	s_waitcnt lgkmcnt(0)
	s_barrier
	ds_write_b128 v30, v[48:51]
	ds_write_b128 v30, v[52:55] offset:16
	ds_write_b128 v30, v[56:59] offset:32
	;; [unrolled: 1-line block ×6, first 2 shown]
	s_waitcnt lgkmcnt(0)
	s_barrier
	ds_read2st64_b64 v[26:29], v1 offset0:4 offset1:8
	ds_read2st64_b64 v[22:25], v1 offset0:12 offset1:16
	;; [unrolled: 1-line block ×6, first 2 shown]
	ds_read_b64 v[4:5], v1 offset:26624
	s_add_i32 s33, s33, s42
	v_mov_b32_e32 v33, 0
	v_lshl_add_u64 v[2:3], s[2:3], 0, v[32:33]
	v_cmp_gt_u32_e32 vcc, s33, v0
	s_and_saveexec_b64 s[0:1], vcc
	s_cbranch_execz .LBB7_188
; %bb.187:
	v_mul_i32_i24_e32 v1, 0xffffff98, v0
	v_add_u32_e32 v1, v30, v1
	ds_read_b64 v[34:35], v1
	s_waitcnt lgkmcnt(0)
	flat_store_dwordx2 v[2:3], v[34:35]
.LBB7_188:
	s_or_b64 exec, exec, s[0:1]
	v_or_b32_e32 v1, 0x100, v0
	v_cmp_gt_u32_e32 vcc, s33, v1
	s_and_saveexec_b64 s[0:1], vcc
	s_cbranch_execz .LBB7_190
; %bb.189:
	s_waitcnt lgkmcnt(0)
	flat_store_dwordx2 v[2:3], v[26:27] offset:2048
.LBB7_190:
	s_or_b64 exec, exec, s[0:1]
	v_or_b32_e32 v1, 0x200, v0
	v_cmp_gt_u32_e32 vcc, s33, v1
	s_and_saveexec_b64 s[0:1], vcc
	s_cbranch_execz .LBB7_192
; %bb.191:
	s_waitcnt lgkmcnt(0)
	v_add_co_u32_e32 v26, vcc, 0x1000, v2
	s_nop 1
	v_addc_co_u32_e32 v27, vcc, 0, v3, vcc
	flat_store_dwordx2 v[26:27], v[28:29]
.LBB7_192:
	s_or_b64 exec, exec, s[0:1]
	v_or_b32_e32 v1, 0x300, v0
	v_cmp_gt_u32_e32 vcc, s33, v1
	s_and_saveexec_b64 s[0:1], vcc
	s_cbranch_execz .LBB7_194
; %bb.193:
	s_waitcnt lgkmcnt(0)
	v_add_co_u32_e32 v26, vcc, 0x1000, v2
	s_nop 1
	v_addc_co_u32_e32 v27, vcc, 0, v3, vcc
	flat_store_dwordx2 v[26:27], v[22:23] offset:2048
.LBB7_194:
	s_or_b64 exec, exec, s[0:1]
	v_or_b32_e32 v1, 0x400, v0
	v_cmp_gt_u32_e32 vcc, s33, v1
	s_and_saveexec_b64 s[0:1], vcc
	s_cbranch_execz .LBB7_196
; %bb.195:
	s_waitcnt lgkmcnt(0)
	v_add_co_u32_e32 v22, vcc, 0x2000, v2
	s_nop 1
	v_addc_co_u32_e32 v23, vcc, 0, v3, vcc
	flat_store_dwordx2 v[22:23], v[24:25]
.LBB7_196:
	s_or_b64 exec, exec, s[0:1]
	v_or_b32_e32 v1, 0x500, v0
	v_cmp_gt_u32_e32 vcc, s33, v1
	s_and_saveexec_b64 s[0:1], vcc
	s_cbranch_execz .LBB7_198
; %bb.197:
	s_waitcnt lgkmcnt(0)
	v_add_co_u32_e32 v22, vcc, 0x2000, v2
	s_nop 1
	v_addc_co_u32_e32 v23, vcc, 0, v3, vcc
	flat_store_dwordx2 v[22:23], v[18:19] offset:2048
.LBB7_198:
	;; [unrolled: 24-line block ×5, first 2 shown]
	s_or_b64 exec, exec, s[0:1]
	v_or_b32_e32 v1, 0xc00, v0
	v_cmp_gt_u32_e32 vcc, s33, v1
	s_and_saveexec_b64 s[0:1], vcc
	s_cbranch_execz .LBB7_212
; %bb.211:
	v_add_co_u32_e32 v2, vcc, 0x6000, v2
	s_nop 1
	v_addc_co_u32_e32 v3, vcc, 0, v3, vcc
	s_waitcnt lgkmcnt(0)
	flat_store_dwordx2 v[2:3], v[8:9]
.LBB7_212:
	s_or_b64 exec, exec, s[0:1]
	v_or_b32_e32 v2, 0xd00, v0
	v_mov_b32_e32 v1, v33
	v_cmp_gt_u32_e64 s[0:1], s33, v2
	s_branch .LBB7_215
.LBB7_213:
	s_mov_b64 s[0:1], 0
                                        ; implicit-def: $vgpr4_vgpr5
	s_cbranch_execz .LBB7_215
; %bb.214:
	v_mov_b32_e32 v1, 0
	s_movk_i32 s4, 0xff98
	v_mad_i32_i24 v2, v0, s4, v30
	v_mov_b32_e32 v33, v1
	s_waitcnt lgkmcnt(0)
	s_barrier
	ds_write_b128 v30, v[48:51]
	ds_write_b128 v30, v[52:55] offset:16
	ds_write_b128 v30, v[56:59] offset:32
	;; [unrolled: 1-line block ×6, first 2 shown]
	s_waitcnt lgkmcnt(0)
	s_barrier
	ds_read2st64_b64 v[6:9], v2 offset1:4
	ds_read2st64_b64 v[10:13], v2 offset0:8 offset1:12
	ds_read2st64_b64 v[14:17], v2 offset0:16 offset1:20
	;; [unrolled: 1-line block ×6, first 2 shown]
	v_lshl_add_u64 v[30:31], s[2:3], 0, v[32:33]
	s_movk_i32 s4, 0x1000
	s_waitcnt lgkmcnt(0)
	flat_store_dwordx2 v[30:31], v[6:7]
	flat_store_dwordx2 v[30:31], v[8:9] offset:2048
	v_add_co_u32_e32 v6, vcc, s4, v30
	s_movk_i32 s4, 0x2000
	s_nop 0
	v_addc_co_u32_e32 v7, vcc, 0, v31, vcc
	flat_store_dwordx2 v[6:7], v[10:11]
	flat_store_dwordx2 v[6:7], v[12:13] offset:2048
	v_add_co_u32_e32 v6, vcc, s4, v30
	s_movk_i32 s4, 0x3000
	s_nop 0
	v_addc_co_u32_e32 v7, vcc, 0, v31, vcc
	;; [unrolled: 6-line block ×3, first 2 shown]
	flat_store_dwordx2 v[6:7], v[18:19]
	flat_store_dwordx2 v[6:7], v[20:21] offset:2048
	v_add_co_u32_e32 v6, vcc, s4, v30
	s_or_b64 s[0:1], s[0:1], exec
	s_nop 0
	v_addc_co_u32_e32 v7, vcc, 0, v31, vcc
	flat_store_dwordx2 v[6:7], v[22:23]
	flat_store_dwordx2 v[6:7], v[24:25] offset:2048
	v_add_co_u32_e32 v6, vcc, 0x5000, v30
	s_nop 1
	v_addc_co_u32_e32 v7, vcc, 0, v31, vcc
	flat_store_dwordx2 v[6:7], v[26:27]
	flat_store_dwordx2 v[6:7], v[28:29] offset:2048
	v_add_co_u32_e32 v6, vcc, 0x6000, v30
	s_nop 1
	v_addc_co_u32_e32 v7, vcc, 0, v31, vcc
	flat_store_dwordx2 v[6:7], v[2:3]
.LBB7_215:
	s_and_saveexec_b64 s[4:5], s[0:1]
	s_cbranch_execnz .LBB7_217
; %bb.216:
	s_endpgm
.LBB7_217:
	v_lshl_add_u64 v[0:1], v[0:1], 3, s[2:3]
	v_add_co_u32_e32 v0, vcc, 0x6000, v0
	s_nop 1
	v_addc_co_u32_e32 v1, vcc, 0, v1, vcc
	s_waitcnt lgkmcnt(0)
	flat_store_dwordx2 v[0:1], v[4:5] offset:2048
	s_endpgm
.LBB7_218:
	v_lshl_add_u64 v[30:31], s[34:35], 0, v[26:27]
	flat_load_dwordx2 v[30:31], v[30:31]
	s_or_b64 exec, exec, s[52:53]
                                        ; implicit-def: $vgpr32_vgpr33
	s_and_saveexec_b64 s[30:31], s[4:5]
	s_cbranch_execz .LBB7_37
.LBB7_219:
	v_mov_b32_e32 v27, 0
	v_lshl_add_u64 v[32:33], s[34:35], 0, v[26:27]
	flat_load_dwordx2 v[32:33], v[32:33] offset:2048
	s_or_b64 exec, exec, s[30:31]
                                        ; implicit-def: $vgpr34_vgpr35
	s_and_saveexec_b64 s[4:5], s[6:7]
	s_cbranch_execz .LBB7_38
.LBB7_220:
	v_mov_b32_e32 v3, 0
	v_lshl_add_u64 v[2:3], s[34:35], 0, v[2:3]
	flat_load_dwordx2 v[34:35], v[2:3]
	s_or_b64 exec, exec, s[4:5]
                                        ; implicit-def: $vgpr2_vgpr3
	s_and_saveexec_b64 s[4:5], s[8:9]
	s_cbranch_execz .LBB7_39
.LBB7_221:
	v_mov_b32_e32 v5, 0
	v_lshl_add_u64 v[2:3], s[34:35], 0, v[4:5]
	flat_load_dwordx2 v[2:3], v[2:3]
	s_or_b64 exec, exec, s[4:5]
                                        ; implicit-def: $vgpr4_vgpr5
	s_and_saveexec_b64 s[4:5], s[10:11]
	s_cbranch_execz .LBB7_40
.LBB7_222:
	v_mov_b32_e32 v7, 0
	v_lshl_add_u64 v[4:5], s[34:35], 0, v[6:7]
	flat_load_dwordx2 v[4:5], v[4:5]
	s_or_b64 exec, exec, s[4:5]
                                        ; implicit-def: $vgpr6_vgpr7
	s_and_saveexec_b64 s[4:5], s[12:13]
	s_cbranch_execz .LBB7_41
.LBB7_223:
	v_mov_b32_e32 v9, 0
	v_lshl_add_u64 v[6:7], s[34:35], 0, v[8:9]
	flat_load_dwordx2 v[6:7], v[6:7]
	s_or_b64 exec, exec, s[4:5]
                                        ; implicit-def: $vgpr8_vgpr9
	s_and_saveexec_b64 s[4:5], s[14:15]
	s_cbranch_execz .LBB7_42
.LBB7_224:
	v_mov_b32_e32 v11, 0
	v_lshl_add_u64 v[8:9], s[34:35], 0, v[10:11]
	flat_load_dwordx2 v[8:9], v[8:9]
	s_or_b64 exec, exec, s[4:5]
                                        ; implicit-def: $vgpr10_vgpr11
	s_and_saveexec_b64 s[4:5], s[16:17]
	s_cbranch_execz .LBB7_43
.LBB7_225:
	v_mov_b32_e32 v13, 0
	v_lshl_add_u64 v[10:11], s[34:35], 0, v[12:13]
	flat_load_dwordx2 v[10:11], v[10:11]
	s_or_b64 exec, exec, s[4:5]
                                        ; implicit-def: $vgpr12_vgpr13
	s_and_saveexec_b64 s[4:5], s[18:19]
	s_cbranch_execz .LBB7_44
.LBB7_226:
	v_mov_b32_e32 v15, 0
	v_lshl_add_u64 v[12:13], s[34:35], 0, v[14:15]
	flat_load_dwordx2 v[12:13], v[12:13]
	s_or_b64 exec, exec, s[4:5]
                                        ; implicit-def: $vgpr14_vgpr15
	s_and_saveexec_b64 s[4:5], s[20:21]
	s_cbranch_execz .LBB7_45
.LBB7_227:
	v_mov_b32_e32 v17, 0
	v_lshl_add_u64 v[14:15], s[34:35], 0, v[16:17]
	flat_load_dwordx2 v[14:15], v[14:15]
	s_or_b64 exec, exec, s[4:5]
                                        ; implicit-def: $vgpr16_vgpr17
	s_and_saveexec_b64 s[4:5], s[22:23]
	s_cbranch_execz .LBB7_46
.LBB7_228:
	v_mov_b32_e32 v19, 0
	v_lshl_add_u64 v[16:17], s[34:35], 0, v[18:19]
	flat_load_dwordx2 v[16:17], v[16:17]
	s_or_b64 exec, exec, s[4:5]
                                        ; implicit-def: $vgpr18_vgpr19
	s_and_saveexec_b64 s[4:5], s[24:25]
	s_cbranch_execz .LBB7_47
.LBB7_229:
	v_mov_b32_e32 v21, 0
	v_lshl_add_u64 v[18:19], s[34:35], 0, v[20:21]
	flat_load_dwordx2 v[18:19], v[18:19]
	s_or_b64 exec, exec, s[4:5]
                                        ; implicit-def: $vgpr20_vgpr21
	s_and_saveexec_b64 s[4:5], s[26:27]
	s_cbranch_execz .LBB7_48
.LBB7_230:
	v_mov_b32_e32 v23, 0
	v_lshl_add_u64 v[20:21], s[34:35], 0, v[22:23]
	flat_load_dwordx2 v[20:21], v[20:21]
	s_or_b64 exec, exec, s[4:5]
                                        ; implicit-def: $vgpr22_vgpr23
	s_and_saveexec_b64 s[4:5], s[28:29]
	s_cbranch_execnz .LBB7_49
	s_branch .LBB7_50
.LBB7_231:
                                        ; implicit-def: $sgpr52_sgpr53
	s_branch .LBB7_32
.LBB7_232:
                                        ; implicit-def: $sgpr4_sgpr5
	s_branch .LBB7_81
	.section	.rodata,"a",@progbits
	.p2align	6, 0x0
	.amdhsa_kernel _ZN7rocprim17ROCPRIM_400000_NS6detail17trampoline_kernelINS0_14default_configENS1_27scan_by_key_config_selectorIxxEEZZNS1_16scan_by_key_implILNS1_25lookback_scan_determinismE0ELb0ES3_N6thrust23THRUST_200600_302600_NS6detail15normal_iteratorINS9_10device_ptrIxEEEESE_SE_xNS9_4plusIvEENS9_8equal_toIvEExEE10hipError_tPvRmT2_T3_T4_T5_mT6_T7_P12ihipStream_tbENKUlT_T0_E_clISt17integral_constantIbLb0EESZ_EEDaSU_SV_EUlSU_E_NS1_11comp_targetILNS1_3genE5ELNS1_11target_archE942ELNS1_3gpuE9ELNS1_3repE0EEENS1_30default_config_static_selectorELNS0_4arch9wavefront6targetE1EEEvT1_
		.amdhsa_group_segment_fixed_size 32768
		.amdhsa_private_segment_fixed_size 0
		.amdhsa_kernarg_size 136
		.amdhsa_user_sgpr_count 2
		.amdhsa_user_sgpr_dispatch_ptr 0
		.amdhsa_user_sgpr_queue_ptr 0
		.amdhsa_user_sgpr_kernarg_segment_ptr 1
		.amdhsa_user_sgpr_dispatch_id 0
		.amdhsa_user_sgpr_kernarg_preload_length 0
		.amdhsa_user_sgpr_kernarg_preload_offset 0
		.amdhsa_user_sgpr_private_segment_size 0
		.amdhsa_uses_dynamic_stack 0
		.amdhsa_enable_private_segment 0
		.amdhsa_system_sgpr_workgroup_id_x 1
		.amdhsa_system_sgpr_workgroup_id_y 0
		.amdhsa_system_sgpr_workgroup_id_z 0
		.amdhsa_system_sgpr_workgroup_info 0
		.amdhsa_system_vgpr_workitem_id 0
		.amdhsa_next_free_vgpr 92
		.amdhsa_next_free_sgpr 66
		.amdhsa_accum_offset 92
		.amdhsa_reserve_vcc 1
		.amdhsa_float_round_mode_32 0
		.amdhsa_float_round_mode_16_64 0
		.amdhsa_float_denorm_mode_32 3
		.amdhsa_float_denorm_mode_16_64 3
		.amdhsa_dx10_clamp 1
		.amdhsa_ieee_mode 1
		.amdhsa_fp16_overflow 0
		.amdhsa_tg_split 0
		.amdhsa_exception_fp_ieee_invalid_op 0
		.amdhsa_exception_fp_denorm_src 0
		.amdhsa_exception_fp_ieee_div_zero 0
		.amdhsa_exception_fp_ieee_overflow 0
		.amdhsa_exception_fp_ieee_underflow 0
		.amdhsa_exception_fp_ieee_inexact 0
		.amdhsa_exception_int_div_zero 0
	.end_amdhsa_kernel
	.section	.text._ZN7rocprim17ROCPRIM_400000_NS6detail17trampoline_kernelINS0_14default_configENS1_27scan_by_key_config_selectorIxxEEZZNS1_16scan_by_key_implILNS1_25lookback_scan_determinismE0ELb0ES3_N6thrust23THRUST_200600_302600_NS6detail15normal_iteratorINS9_10device_ptrIxEEEESE_SE_xNS9_4plusIvEENS9_8equal_toIvEExEE10hipError_tPvRmT2_T3_T4_T5_mT6_T7_P12ihipStream_tbENKUlT_T0_E_clISt17integral_constantIbLb0EESZ_EEDaSU_SV_EUlSU_E_NS1_11comp_targetILNS1_3genE5ELNS1_11target_archE942ELNS1_3gpuE9ELNS1_3repE0EEENS1_30default_config_static_selectorELNS0_4arch9wavefront6targetE1EEEvT1_,"axG",@progbits,_ZN7rocprim17ROCPRIM_400000_NS6detail17trampoline_kernelINS0_14default_configENS1_27scan_by_key_config_selectorIxxEEZZNS1_16scan_by_key_implILNS1_25lookback_scan_determinismE0ELb0ES3_N6thrust23THRUST_200600_302600_NS6detail15normal_iteratorINS9_10device_ptrIxEEEESE_SE_xNS9_4plusIvEENS9_8equal_toIvEExEE10hipError_tPvRmT2_T3_T4_T5_mT6_T7_P12ihipStream_tbENKUlT_T0_E_clISt17integral_constantIbLb0EESZ_EEDaSU_SV_EUlSU_E_NS1_11comp_targetILNS1_3genE5ELNS1_11target_archE942ELNS1_3gpuE9ELNS1_3repE0EEENS1_30default_config_static_selectorELNS0_4arch9wavefront6targetE1EEEvT1_,comdat
.Lfunc_end7:
	.size	_ZN7rocprim17ROCPRIM_400000_NS6detail17trampoline_kernelINS0_14default_configENS1_27scan_by_key_config_selectorIxxEEZZNS1_16scan_by_key_implILNS1_25lookback_scan_determinismE0ELb0ES3_N6thrust23THRUST_200600_302600_NS6detail15normal_iteratorINS9_10device_ptrIxEEEESE_SE_xNS9_4plusIvEENS9_8equal_toIvEExEE10hipError_tPvRmT2_T3_T4_T5_mT6_T7_P12ihipStream_tbENKUlT_T0_E_clISt17integral_constantIbLb0EESZ_EEDaSU_SV_EUlSU_E_NS1_11comp_targetILNS1_3genE5ELNS1_11target_archE942ELNS1_3gpuE9ELNS1_3repE0EEENS1_30default_config_static_selectorELNS0_4arch9wavefront6targetE1EEEvT1_, .Lfunc_end7-_ZN7rocprim17ROCPRIM_400000_NS6detail17trampoline_kernelINS0_14default_configENS1_27scan_by_key_config_selectorIxxEEZZNS1_16scan_by_key_implILNS1_25lookback_scan_determinismE0ELb0ES3_N6thrust23THRUST_200600_302600_NS6detail15normal_iteratorINS9_10device_ptrIxEEEESE_SE_xNS9_4plusIvEENS9_8equal_toIvEExEE10hipError_tPvRmT2_T3_T4_T5_mT6_T7_P12ihipStream_tbENKUlT_T0_E_clISt17integral_constantIbLb0EESZ_EEDaSU_SV_EUlSU_E_NS1_11comp_targetILNS1_3genE5ELNS1_11target_archE942ELNS1_3gpuE9ELNS1_3repE0EEENS1_30default_config_static_selectorELNS0_4arch9wavefront6targetE1EEEvT1_
                                        ; -- End function
	.section	.AMDGPU.csdata,"",@progbits
; Kernel info:
; codeLenInByte = 12352
; NumSgprs: 72
; NumVgprs: 92
; NumAgprs: 0
; TotalNumVgprs: 92
; ScratchSize: 0
; MemoryBound: 0
; FloatMode: 240
; IeeeMode: 1
; LDSByteSize: 32768 bytes/workgroup (compile time only)
; SGPRBlocks: 8
; VGPRBlocks: 11
; NumSGPRsForWavesPerEU: 72
; NumVGPRsForWavesPerEU: 92
; AccumOffset: 92
; Occupancy: 2
; WaveLimiterHint : 1
; COMPUTE_PGM_RSRC2:SCRATCH_EN: 0
; COMPUTE_PGM_RSRC2:USER_SGPR: 2
; COMPUTE_PGM_RSRC2:TRAP_HANDLER: 0
; COMPUTE_PGM_RSRC2:TGID_X_EN: 1
; COMPUTE_PGM_RSRC2:TGID_Y_EN: 0
; COMPUTE_PGM_RSRC2:TGID_Z_EN: 0
; COMPUTE_PGM_RSRC2:TIDIG_COMP_CNT: 0
; COMPUTE_PGM_RSRC3_GFX90A:ACCUM_OFFSET: 22
; COMPUTE_PGM_RSRC3_GFX90A:TG_SPLIT: 0
	.section	.text._ZN7rocprim17ROCPRIM_400000_NS6detail17trampoline_kernelINS0_14default_configENS1_27scan_by_key_config_selectorIxxEEZZNS1_16scan_by_key_implILNS1_25lookback_scan_determinismE0ELb0ES3_N6thrust23THRUST_200600_302600_NS6detail15normal_iteratorINS9_10device_ptrIxEEEESE_SE_xNS9_4plusIvEENS9_8equal_toIvEExEE10hipError_tPvRmT2_T3_T4_T5_mT6_T7_P12ihipStream_tbENKUlT_T0_E_clISt17integral_constantIbLb0EESZ_EEDaSU_SV_EUlSU_E_NS1_11comp_targetILNS1_3genE4ELNS1_11target_archE910ELNS1_3gpuE8ELNS1_3repE0EEENS1_30default_config_static_selectorELNS0_4arch9wavefront6targetE1EEEvT1_,"axG",@progbits,_ZN7rocprim17ROCPRIM_400000_NS6detail17trampoline_kernelINS0_14default_configENS1_27scan_by_key_config_selectorIxxEEZZNS1_16scan_by_key_implILNS1_25lookback_scan_determinismE0ELb0ES3_N6thrust23THRUST_200600_302600_NS6detail15normal_iteratorINS9_10device_ptrIxEEEESE_SE_xNS9_4plusIvEENS9_8equal_toIvEExEE10hipError_tPvRmT2_T3_T4_T5_mT6_T7_P12ihipStream_tbENKUlT_T0_E_clISt17integral_constantIbLb0EESZ_EEDaSU_SV_EUlSU_E_NS1_11comp_targetILNS1_3genE4ELNS1_11target_archE910ELNS1_3gpuE8ELNS1_3repE0EEENS1_30default_config_static_selectorELNS0_4arch9wavefront6targetE1EEEvT1_,comdat
	.protected	_ZN7rocprim17ROCPRIM_400000_NS6detail17trampoline_kernelINS0_14default_configENS1_27scan_by_key_config_selectorIxxEEZZNS1_16scan_by_key_implILNS1_25lookback_scan_determinismE0ELb0ES3_N6thrust23THRUST_200600_302600_NS6detail15normal_iteratorINS9_10device_ptrIxEEEESE_SE_xNS9_4plusIvEENS9_8equal_toIvEExEE10hipError_tPvRmT2_T3_T4_T5_mT6_T7_P12ihipStream_tbENKUlT_T0_E_clISt17integral_constantIbLb0EESZ_EEDaSU_SV_EUlSU_E_NS1_11comp_targetILNS1_3genE4ELNS1_11target_archE910ELNS1_3gpuE8ELNS1_3repE0EEENS1_30default_config_static_selectorELNS0_4arch9wavefront6targetE1EEEvT1_ ; -- Begin function _ZN7rocprim17ROCPRIM_400000_NS6detail17trampoline_kernelINS0_14default_configENS1_27scan_by_key_config_selectorIxxEEZZNS1_16scan_by_key_implILNS1_25lookback_scan_determinismE0ELb0ES3_N6thrust23THRUST_200600_302600_NS6detail15normal_iteratorINS9_10device_ptrIxEEEESE_SE_xNS9_4plusIvEENS9_8equal_toIvEExEE10hipError_tPvRmT2_T3_T4_T5_mT6_T7_P12ihipStream_tbENKUlT_T0_E_clISt17integral_constantIbLb0EESZ_EEDaSU_SV_EUlSU_E_NS1_11comp_targetILNS1_3genE4ELNS1_11target_archE910ELNS1_3gpuE8ELNS1_3repE0EEENS1_30default_config_static_selectorELNS0_4arch9wavefront6targetE1EEEvT1_
	.globl	_ZN7rocprim17ROCPRIM_400000_NS6detail17trampoline_kernelINS0_14default_configENS1_27scan_by_key_config_selectorIxxEEZZNS1_16scan_by_key_implILNS1_25lookback_scan_determinismE0ELb0ES3_N6thrust23THRUST_200600_302600_NS6detail15normal_iteratorINS9_10device_ptrIxEEEESE_SE_xNS9_4plusIvEENS9_8equal_toIvEExEE10hipError_tPvRmT2_T3_T4_T5_mT6_T7_P12ihipStream_tbENKUlT_T0_E_clISt17integral_constantIbLb0EESZ_EEDaSU_SV_EUlSU_E_NS1_11comp_targetILNS1_3genE4ELNS1_11target_archE910ELNS1_3gpuE8ELNS1_3repE0EEENS1_30default_config_static_selectorELNS0_4arch9wavefront6targetE1EEEvT1_
	.p2align	8
	.type	_ZN7rocprim17ROCPRIM_400000_NS6detail17trampoline_kernelINS0_14default_configENS1_27scan_by_key_config_selectorIxxEEZZNS1_16scan_by_key_implILNS1_25lookback_scan_determinismE0ELb0ES3_N6thrust23THRUST_200600_302600_NS6detail15normal_iteratorINS9_10device_ptrIxEEEESE_SE_xNS9_4plusIvEENS9_8equal_toIvEExEE10hipError_tPvRmT2_T3_T4_T5_mT6_T7_P12ihipStream_tbENKUlT_T0_E_clISt17integral_constantIbLb0EESZ_EEDaSU_SV_EUlSU_E_NS1_11comp_targetILNS1_3genE4ELNS1_11target_archE910ELNS1_3gpuE8ELNS1_3repE0EEENS1_30default_config_static_selectorELNS0_4arch9wavefront6targetE1EEEvT1_,@function
_ZN7rocprim17ROCPRIM_400000_NS6detail17trampoline_kernelINS0_14default_configENS1_27scan_by_key_config_selectorIxxEEZZNS1_16scan_by_key_implILNS1_25lookback_scan_determinismE0ELb0ES3_N6thrust23THRUST_200600_302600_NS6detail15normal_iteratorINS9_10device_ptrIxEEEESE_SE_xNS9_4plusIvEENS9_8equal_toIvEExEE10hipError_tPvRmT2_T3_T4_T5_mT6_T7_P12ihipStream_tbENKUlT_T0_E_clISt17integral_constantIbLb0EESZ_EEDaSU_SV_EUlSU_E_NS1_11comp_targetILNS1_3genE4ELNS1_11target_archE910ELNS1_3gpuE8ELNS1_3repE0EEENS1_30default_config_static_selectorELNS0_4arch9wavefront6targetE1EEEvT1_: ; @_ZN7rocprim17ROCPRIM_400000_NS6detail17trampoline_kernelINS0_14default_configENS1_27scan_by_key_config_selectorIxxEEZZNS1_16scan_by_key_implILNS1_25lookback_scan_determinismE0ELb0ES3_N6thrust23THRUST_200600_302600_NS6detail15normal_iteratorINS9_10device_ptrIxEEEESE_SE_xNS9_4plusIvEENS9_8equal_toIvEExEE10hipError_tPvRmT2_T3_T4_T5_mT6_T7_P12ihipStream_tbENKUlT_T0_E_clISt17integral_constantIbLb0EESZ_EEDaSU_SV_EUlSU_E_NS1_11comp_targetILNS1_3genE4ELNS1_11target_archE910ELNS1_3gpuE8ELNS1_3repE0EEENS1_30default_config_static_selectorELNS0_4arch9wavefront6targetE1EEEvT1_
; %bb.0:
	.section	.rodata,"a",@progbits
	.p2align	6, 0x0
	.amdhsa_kernel _ZN7rocprim17ROCPRIM_400000_NS6detail17trampoline_kernelINS0_14default_configENS1_27scan_by_key_config_selectorIxxEEZZNS1_16scan_by_key_implILNS1_25lookback_scan_determinismE0ELb0ES3_N6thrust23THRUST_200600_302600_NS6detail15normal_iteratorINS9_10device_ptrIxEEEESE_SE_xNS9_4plusIvEENS9_8equal_toIvEExEE10hipError_tPvRmT2_T3_T4_T5_mT6_T7_P12ihipStream_tbENKUlT_T0_E_clISt17integral_constantIbLb0EESZ_EEDaSU_SV_EUlSU_E_NS1_11comp_targetILNS1_3genE4ELNS1_11target_archE910ELNS1_3gpuE8ELNS1_3repE0EEENS1_30default_config_static_selectorELNS0_4arch9wavefront6targetE1EEEvT1_
		.amdhsa_group_segment_fixed_size 0
		.amdhsa_private_segment_fixed_size 0
		.amdhsa_kernarg_size 136
		.amdhsa_user_sgpr_count 2
		.amdhsa_user_sgpr_dispatch_ptr 0
		.amdhsa_user_sgpr_queue_ptr 0
		.amdhsa_user_sgpr_kernarg_segment_ptr 1
		.amdhsa_user_sgpr_dispatch_id 0
		.amdhsa_user_sgpr_kernarg_preload_length 0
		.amdhsa_user_sgpr_kernarg_preload_offset 0
		.amdhsa_user_sgpr_private_segment_size 0
		.amdhsa_uses_dynamic_stack 0
		.amdhsa_enable_private_segment 0
		.amdhsa_system_sgpr_workgroup_id_x 1
		.amdhsa_system_sgpr_workgroup_id_y 0
		.amdhsa_system_sgpr_workgroup_id_z 0
		.amdhsa_system_sgpr_workgroup_info 0
		.amdhsa_system_vgpr_workitem_id 0
		.amdhsa_next_free_vgpr 1
		.amdhsa_next_free_sgpr 0
		.amdhsa_accum_offset 4
		.amdhsa_reserve_vcc 0
		.amdhsa_float_round_mode_32 0
		.amdhsa_float_round_mode_16_64 0
		.amdhsa_float_denorm_mode_32 3
		.amdhsa_float_denorm_mode_16_64 3
		.amdhsa_dx10_clamp 1
		.amdhsa_ieee_mode 1
		.amdhsa_fp16_overflow 0
		.amdhsa_tg_split 0
		.amdhsa_exception_fp_ieee_invalid_op 0
		.amdhsa_exception_fp_denorm_src 0
		.amdhsa_exception_fp_ieee_div_zero 0
		.amdhsa_exception_fp_ieee_overflow 0
		.amdhsa_exception_fp_ieee_underflow 0
		.amdhsa_exception_fp_ieee_inexact 0
		.amdhsa_exception_int_div_zero 0
	.end_amdhsa_kernel
	.section	.text._ZN7rocprim17ROCPRIM_400000_NS6detail17trampoline_kernelINS0_14default_configENS1_27scan_by_key_config_selectorIxxEEZZNS1_16scan_by_key_implILNS1_25lookback_scan_determinismE0ELb0ES3_N6thrust23THRUST_200600_302600_NS6detail15normal_iteratorINS9_10device_ptrIxEEEESE_SE_xNS9_4plusIvEENS9_8equal_toIvEExEE10hipError_tPvRmT2_T3_T4_T5_mT6_T7_P12ihipStream_tbENKUlT_T0_E_clISt17integral_constantIbLb0EESZ_EEDaSU_SV_EUlSU_E_NS1_11comp_targetILNS1_3genE4ELNS1_11target_archE910ELNS1_3gpuE8ELNS1_3repE0EEENS1_30default_config_static_selectorELNS0_4arch9wavefront6targetE1EEEvT1_,"axG",@progbits,_ZN7rocprim17ROCPRIM_400000_NS6detail17trampoline_kernelINS0_14default_configENS1_27scan_by_key_config_selectorIxxEEZZNS1_16scan_by_key_implILNS1_25lookback_scan_determinismE0ELb0ES3_N6thrust23THRUST_200600_302600_NS6detail15normal_iteratorINS9_10device_ptrIxEEEESE_SE_xNS9_4plusIvEENS9_8equal_toIvEExEE10hipError_tPvRmT2_T3_T4_T5_mT6_T7_P12ihipStream_tbENKUlT_T0_E_clISt17integral_constantIbLb0EESZ_EEDaSU_SV_EUlSU_E_NS1_11comp_targetILNS1_3genE4ELNS1_11target_archE910ELNS1_3gpuE8ELNS1_3repE0EEENS1_30default_config_static_selectorELNS0_4arch9wavefront6targetE1EEEvT1_,comdat
.Lfunc_end8:
	.size	_ZN7rocprim17ROCPRIM_400000_NS6detail17trampoline_kernelINS0_14default_configENS1_27scan_by_key_config_selectorIxxEEZZNS1_16scan_by_key_implILNS1_25lookback_scan_determinismE0ELb0ES3_N6thrust23THRUST_200600_302600_NS6detail15normal_iteratorINS9_10device_ptrIxEEEESE_SE_xNS9_4plusIvEENS9_8equal_toIvEExEE10hipError_tPvRmT2_T3_T4_T5_mT6_T7_P12ihipStream_tbENKUlT_T0_E_clISt17integral_constantIbLb0EESZ_EEDaSU_SV_EUlSU_E_NS1_11comp_targetILNS1_3genE4ELNS1_11target_archE910ELNS1_3gpuE8ELNS1_3repE0EEENS1_30default_config_static_selectorELNS0_4arch9wavefront6targetE1EEEvT1_, .Lfunc_end8-_ZN7rocprim17ROCPRIM_400000_NS6detail17trampoline_kernelINS0_14default_configENS1_27scan_by_key_config_selectorIxxEEZZNS1_16scan_by_key_implILNS1_25lookback_scan_determinismE0ELb0ES3_N6thrust23THRUST_200600_302600_NS6detail15normal_iteratorINS9_10device_ptrIxEEEESE_SE_xNS9_4plusIvEENS9_8equal_toIvEExEE10hipError_tPvRmT2_T3_T4_T5_mT6_T7_P12ihipStream_tbENKUlT_T0_E_clISt17integral_constantIbLb0EESZ_EEDaSU_SV_EUlSU_E_NS1_11comp_targetILNS1_3genE4ELNS1_11target_archE910ELNS1_3gpuE8ELNS1_3repE0EEENS1_30default_config_static_selectorELNS0_4arch9wavefront6targetE1EEEvT1_
                                        ; -- End function
	.section	.AMDGPU.csdata,"",@progbits
; Kernel info:
; codeLenInByte = 0
; NumSgprs: 6
; NumVgprs: 0
; NumAgprs: 0
; TotalNumVgprs: 0
; ScratchSize: 0
; MemoryBound: 0
; FloatMode: 240
; IeeeMode: 1
; LDSByteSize: 0 bytes/workgroup (compile time only)
; SGPRBlocks: 0
; VGPRBlocks: 0
; NumSGPRsForWavesPerEU: 6
; NumVGPRsForWavesPerEU: 1
; AccumOffset: 4
; Occupancy: 8
; WaveLimiterHint : 0
; COMPUTE_PGM_RSRC2:SCRATCH_EN: 0
; COMPUTE_PGM_RSRC2:USER_SGPR: 2
; COMPUTE_PGM_RSRC2:TRAP_HANDLER: 0
; COMPUTE_PGM_RSRC2:TGID_X_EN: 1
; COMPUTE_PGM_RSRC2:TGID_Y_EN: 0
; COMPUTE_PGM_RSRC2:TGID_Z_EN: 0
; COMPUTE_PGM_RSRC2:TIDIG_COMP_CNT: 0
; COMPUTE_PGM_RSRC3_GFX90A:ACCUM_OFFSET: 0
; COMPUTE_PGM_RSRC3_GFX90A:TG_SPLIT: 0
	.section	.text._ZN7rocprim17ROCPRIM_400000_NS6detail17trampoline_kernelINS0_14default_configENS1_27scan_by_key_config_selectorIxxEEZZNS1_16scan_by_key_implILNS1_25lookback_scan_determinismE0ELb0ES3_N6thrust23THRUST_200600_302600_NS6detail15normal_iteratorINS9_10device_ptrIxEEEESE_SE_xNS9_4plusIvEENS9_8equal_toIvEExEE10hipError_tPvRmT2_T3_T4_T5_mT6_T7_P12ihipStream_tbENKUlT_T0_E_clISt17integral_constantIbLb0EESZ_EEDaSU_SV_EUlSU_E_NS1_11comp_targetILNS1_3genE3ELNS1_11target_archE908ELNS1_3gpuE7ELNS1_3repE0EEENS1_30default_config_static_selectorELNS0_4arch9wavefront6targetE1EEEvT1_,"axG",@progbits,_ZN7rocprim17ROCPRIM_400000_NS6detail17trampoline_kernelINS0_14default_configENS1_27scan_by_key_config_selectorIxxEEZZNS1_16scan_by_key_implILNS1_25lookback_scan_determinismE0ELb0ES3_N6thrust23THRUST_200600_302600_NS6detail15normal_iteratorINS9_10device_ptrIxEEEESE_SE_xNS9_4plusIvEENS9_8equal_toIvEExEE10hipError_tPvRmT2_T3_T4_T5_mT6_T7_P12ihipStream_tbENKUlT_T0_E_clISt17integral_constantIbLb0EESZ_EEDaSU_SV_EUlSU_E_NS1_11comp_targetILNS1_3genE3ELNS1_11target_archE908ELNS1_3gpuE7ELNS1_3repE0EEENS1_30default_config_static_selectorELNS0_4arch9wavefront6targetE1EEEvT1_,comdat
	.protected	_ZN7rocprim17ROCPRIM_400000_NS6detail17trampoline_kernelINS0_14default_configENS1_27scan_by_key_config_selectorIxxEEZZNS1_16scan_by_key_implILNS1_25lookback_scan_determinismE0ELb0ES3_N6thrust23THRUST_200600_302600_NS6detail15normal_iteratorINS9_10device_ptrIxEEEESE_SE_xNS9_4plusIvEENS9_8equal_toIvEExEE10hipError_tPvRmT2_T3_T4_T5_mT6_T7_P12ihipStream_tbENKUlT_T0_E_clISt17integral_constantIbLb0EESZ_EEDaSU_SV_EUlSU_E_NS1_11comp_targetILNS1_3genE3ELNS1_11target_archE908ELNS1_3gpuE7ELNS1_3repE0EEENS1_30default_config_static_selectorELNS0_4arch9wavefront6targetE1EEEvT1_ ; -- Begin function _ZN7rocprim17ROCPRIM_400000_NS6detail17trampoline_kernelINS0_14default_configENS1_27scan_by_key_config_selectorIxxEEZZNS1_16scan_by_key_implILNS1_25lookback_scan_determinismE0ELb0ES3_N6thrust23THRUST_200600_302600_NS6detail15normal_iteratorINS9_10device_ptrIxEEEESE_SE_xNS9_4plusIvEENS9_8equal_toIvEExEE10hipError_tPvRmT2_T3_T4_T5_mT6_T7_P12ihipStream_tbENKUlT_T0_E_clISt17integral_constantIbLb0EESZ_EEDaSU_SV_EUlSU_E_NS1_11comp_targetILNS1_3genE3ELNS1_11target_archE908ELNS1_3gpuE7ELNS1_3repE0EEENS1_30default_config_static_selectorELNS0_4arch9wavefront6targetE1EEEvT1_
	.globl	_ZN7rocprim17ROCPRIM_400000_NS6detail17trampoline_kernelINS0_14default_configENS1_27scan_by_key_config_selectorIxxEEZZNS1_16scan_by_key_implILNS1_25lookback_scan_determinismE0ELb0ES3_N6thrust23THRUST_200600_302600_NS6detail15normal_iteratorINS9_10device_ptrIxEEEESE_SE_xNS9_4plusIvEENS9_8equal_toIvEExEE10hipError_tPvRmT2_T3_T4_T5_mT6_T7_P12ihipStream_tbENKUlT_T0_E_clISt17integral_constantIbLb0EESZ_EEDaSU_SV_EUlSU_E_NS1_11comp_targetILNS1_3genE3ELNS1_11target_archE908ELNS1_3gpuE7ELNS1_3repE0EEENS1_30default_config_static_selectorELNS0_4arch9wavefront6targetE1EEEvT1_
	.p2align	8
	.type	_ZN7rocprim17ROCPRIM_400000_NS6detail17trampoline_kernelINS0_14default_configENS1_27scan_by_key_config_selectorIxxEEZZNS1_16scan_by_key_implILNS1_25lookback_scan_determinismE0ELb0ES3_N6thrust23THRUST_200600_302600_NS6detail15normal_iteratorINS9_10device_ptrIxEEEESE_SE_xNS9_4plusIvEENS9_8equal_toIvEExEE10hipError_tPvRmT2_T3_T4_T5_mT6_T7_P12ihipStream_tbENKUlT_T0_E_clISt17integral_constantIbLb0EESZ_EEDaSU_SV_EUlSU_E_NS1_11comp_targetILNS1_3genE3ELNS1_11target_archE908ELNS1_3gpuE7ELNS1_3repE0EEENS1_30default_config_static_selectorELNS0_4arch9wavefront6targetE1EEEvT1_,@function
_ZN7rocprim17ROCPRIM_400000_NS6detail17trampoline_kernelINS0_14default_configENS1_27scan_by_key_config_selectorIxxEEZZNS1_16scan_by_key_implILNS1_25lookback_scan_determinismE0ELb0ES3_N6thrust23THRUST_200600_302600_NS6detail15normal_iteratorINS9_10device_ptrIxEEEESE_SE_xNS9_4plusIvEENS9_8equal_toIvEExEE10hipError_tPvRmT2_T3_T4_T5_mT6_T7_P12ihipStream_tbENKUlT_T0_E_clISt17integral_constantIbLb0EESZ_EEDaSU_SV_EUlSU_E_NS1_11comp_targetILNS1_3genE3ELNS1_11target_archE908ELNS1_3gpuE7ELNS1_3repE0EEENS1_30default_config_static_selectorELNS0_4arch9wavefront6targetE1EEEvT1_: ; @_ZN7rocprim17ROCPRIM_400000_NS6detail17trampoline_kernelINS0_14default_configENS1_27scan_by_key_config_selectorIxxEEZZNS1_16scan_by_key_implILNS1_25lookback_scan_determinismE0ELb0ES3_N6thrust23THRUST_200600_302600_NS6detail15normal_iteratorINS9_10device_ptrIxEEEESE_SE_xNS9_4plusIvEENS9_8equal_toIvEExEE10hipError_tPvRmT2_T3_T4_T5_mT6_T7_P12ihipStream_tbENKUlT_T0_E_clISt17integral_constantIbLb0EESZ_EEDaSU_SV_EUlSU_E_NS1_11comp_targetILNS1_3genE3ELNS1_11target_archE908ELNS1_3gpuE7ELNS1_3repE0EEENS1_30default_config_static_selectorELNS0_4arch9wavefront6targetE1EEEvT1_
; %bb.0:
	.section	.rodata,"a",@progbits
	.p2align	6, 0x0
	.amdhsa_kernel _ZN7rocprim17ROCPRIM_400000_NS6detail17trampoline_kernelINS0_14default_configENS1_27scan_by_key_config_selectorIxxEEZZNS1_16scan_by_key_implILNS1_25lookback_scan_determinismE0ELb0ES3_N6thrust23THRUST_200600_302600_NS6detail15normal_iteratorINS9_10device_ptrIxEEEESE_SE_xNS9_4plusIvEENS9_8equal_toIvEExEE10hipError_tPvRmT2_T3_T4_T5_mT6_T7_P12ihipStream_tbENKUlT_T0_E_clISt17integral_constantIbLb0EESZ_EEDaSU_SV_EUlSU_E_NS1_11comp_targetILNS1_3genE3ELNS1_11target_archE908ELNS1_3gpuE7ELNS1_3repE0EEENS1_30default_config_static_selectorELNS0_4arch9wavefront6targetE1EEEvT1_
		.amdhsa_group_segment_fixed_size 0
		.amdhsa_private_segment_fixed_size 0
		.amdhsa_kernarg_size 136
		.amdhsa_user_sgpr_count 2
		.amdhsa_user_sgpr_dispatch_ptr 0
		.amdhsa_user_sgpr_queue_ptr 0
		.amdhsa_user_sgpr_kernarg_segment_ptr 1
		.amdhsa_user_sgpr_dispatch_id 0
		.amdhsa_user_sgpr_kernarg_preload_length 0
		.amdhsa_user_sgpr_kernarg_preload_offset 0
		.amdhsa_user_sgpr_private_segment_size 0
		.amdhsa_uses_dynamic_stack 0
		.amdhsa_enable_private_segment 0
		.amdhsa_system_sgpr_workgroup_id_x 1
		.amdhsa_system_sgpr_workgroup_id_y 0
		.amdhsa_system_sgpr_workgroup_id_z 0
		.amdhsa_system_sgpr_workgroup_info 0
		.amdhsa_system_vgpr_workitem_id 0
		.amdhsa_next_free_vgpr 1
		.amdhsa_next_free_sgpr 0
		.amdhsa_accum_offset 4
		.amdhsa_reserve_vcc 0
		.amdhsa_float_round_mode_32 0
		.amdhsa_float_round_mode_16_64 0
		.amdhsa_float_denorm_mode_32 3
		.amdhsa_float_denorm_mode_16_64 3
		.amdhsa_dx10_clamp 1
		.amdhsa_ieee_mode 1
		.amdhsa_fp16_overflow 0
		.amdhsa_tg_split 0
		.amdhsa_exception_fp_ieee_invalid_op 0
		.amdhsa_exception_fp_denorm_src 0
		.amdhsa_exception_fp_ieee_div_zero 0
		.amdhsa_exception_fp_ieee_overflow 0
		.amdhsa_exception_fp_ieee_underflow 0
		.amdhsa_exception_fp_ieee_inexact 0
		.amdhsa_exception_int_div_zero 0
	.end_amdhsa_kernel
	.section	.text._ZN7rocprim17ROCPRIM_400000_NS6detail17trampoline_kernelINS0_14default_configENS1_27scan_by_key_config_selectorIxxEEZZNS1_16scan_by_key_implILNS1_25lookback_scan_determinismE0ELb0ES3_N6thrust23THRUST_200600_302600_NS6detail15normal_iteratorINS9_10device_ptrIxEEEESE_SE_xNS9_4plusIvEENS9_8equal_toIvEExEE10hipError_tPvRmT2_T3_T4_T5_mT6_T7_P12ihipStream_tbENKUlT_T0_E_clISt17integral_constantIbLb0EESZ_EEDaSU_SV_EUlSU_E_NS1_11comp_targetILNS1_3genE3ELNS1_11target_archE908ELNS1_3gpuE7ELNS1_3repE0EEENS1_30default_config_static_selectorELNS0_4arch9wavefront6targetE1EEEvT1_,"axG",@progbits,_ZN7rocprim17ROCPRIM_400000_NS6detail17trampoline_kernelINS0_14default_configENS1_27scan_by_key_config_selectorIxxEEZZNS1_16scan_by_key_implILNS1_25lookback_scan_determinismE0ELb0ES3_N6thrust23THRUST_200600_302600_NS6detail15normal_iteratorINS9_10device_ptrIxEEEESE_SE_xNS9_4plusIvEENS9_8equal_toIvEExEE10hipError_tPvRmT2_T3_T4_T5_mT6_T7_P12ihipStream_tbENKUlT_T0_E_clISt17integral_constantIbLb0EESZ_EEDaSU_SV_EUlSU_E_NS1_11comp_targetILNS1_3genE3ELNS1_11target_archE908ELNS1_3gpuE7ELNS1_3repE0EEENS1_30default_config_static_selectorELNS0_4arch9wavefront6targetE1EEEvT1_,comdat
.Lfunc_end9:
	.size	_ZN7rocprim17ROCPRIM_400000_NS6detail17trampoline_kernelINS0_14default_configENS1_27scan_by_key_config_selectorIxxEEZZNS1_16scan_by_key_implILNS1_25lookback_scan_determinismE0ELb0ES3_N6thrust23THRUST_200600_302600_NS6detail15normal_iteratorINS9_10device_ptrIxEEEESE_SE_xNS9_4plusIvEENS9_8equal_toIvEExEE10hipError_tPvRmT2_T3_T4_T5_mT6_T7_P12ihipStream_tbENKUlT_T0_E_clISt17integral_constantIbLb0EESZ_EEDaSU_SV_EUlSU_E_NS1_11comp_targetILNS1_3genE3ELNS1_11target_archE908ELNS1_3gpuE7ELNS1_3repE0EEENS1_30default_config_static_selectorELNS0_4arch9wavefront6targetE1EEEvT1_, .Lfunc_end9-_ZN7rocprim17ROCPRIM_400000_NS6detail17trampoline_kernelINS0_14default_configENS1_27scan_by_key_config_selectorIxxEEZZNS1_16scan_by_key_implILNS1_25lookback_scan_determinismE0ELb0ES3_N6thrust23THRUST_200600_302600_NS6detail15normal_iteratorINS9_10device_ptrIxEEEESE_SE_xNS9_4plusIvEENS9_8equal_toIvEExEE10hipError_tPvRmT2_T3_T4_T5_mT6_T7_P12ihipStream_tbENKUlT_T0_E_clISt17integral_constantIbLb0EESZ_EEDaSU_SV_EUlSU_E_NS1_11comp_targetILNS1_3genE3ELNS1_11target_archE908ELNS1_3gpuE7ELNS1_3repE0EEENS1_30default_config_static_selectorELNS0_4arch9wavefront6targetE1EEEvT1_
                                        ; -- End function
	.section	.AMDGPU.csdata,"",@progbits
; Kernel info:
; codeLenInByte = 0
; NumSgprs: 6
; NumVgprs: 0
; NumAgprs: 0
; TotalNumVgprs: 0
; ScratchSize: 0
; MemoryBound: 0
; FloatMode: 240
; IeeeMode: 1
; LDSByteSize: 0 bytes/workgroup (compile time only)
; SGPRBlocks: 0
; VGPRBlocks: 0
; NumSGPRsForWavesPerEU: 6
; NumVGPRsForWavesPerEU: 1
; AccumOffset: 4
; Occupancy: 8
; WaveLimiterHint : 0
; COMPUTE_PGM_RSRC2:SCRATCH_EN: 0
; COMPUTE_PGM_RSRC2:USER_SGPR: 2
; COMPUTE_PGM_RSRC2:TRAP_HANDLER: 0
; COMPUTE_PGM_RSRC2:TGID_X_EN: 1
; COMPUTE_PGM_RSRC2:TGID_Y_EN: 0
; COMPUTE_PGM_RSRC2:TGID_Z_EN: 0
; COMPUTE_PGM_RSRC2:TIDIG_COMP_CNT: 0
; COMPUTE_PGM_RSRC3_GFX90A:ACCUM_OFFSET: 0
; COMPUTE_PGM_RSRC3_GFX90A:TG_SPLIT: 0
	.section	.text._ZN7rocprim17ROCPRIM_400000_NS6detail17trampoline_kernelINS0_14default_configENS1_27scan_by_key_config_selectorIxxEEZZNS1_16scan_by_key_implILNS1_25lookback_scan_determinismE0ELb0ES3_N6thrust23THRUST_200600_302600_NS6detail15normal_iteratorINS9_10device_ptrIxEEEESE_SE_xNS9_4plusIvEENS9_8equal_toIvEExEE10hipError_tPvRmT2_T3_T4_T5_mT6_T7_P12ihipStream_tbENKUlT_T0_E_clISt17integral_constantIbLb0EESZ_EEDaSU_SV_EUlSU_E_NS1_11comp_targetILNS1_3genE2ELNS1_11target_archE906ELNS1_3gpuE6ELNS1_3repE0EEENS1_30default_config_static_selectorELNS0_4arch9wavefront6targetE1EEEvT1_,"axG",@progbits,_ZN7rocprim17ROCPRIM_400000_NS6detail17trampoline_kernelINS0_14default_configENS1_27scan_by_key_config_selectorIxxEEZZNS1_16scan_by_key_implILNS1_25lookback_scan_determinismE0ELb0ES3_N6thrust23THRUST_200600_302600_NS6detail15normal_iteratorINS9_10device_ptrIxEEEESE_SE_xNS9_4plusIvEENS9_8equal_toIvEExEE10hipError_tPvRmT2_T3_T4_T5_mT6_T7_P12ihipStream_tbENKUlT_T0_E_clISt17integral_constantIbLb0EESZ_EEDaSU_SV_EUlSU_E_NS1_11comp_targetILNS1_3genE2ELNS1_11target_archE906ELNS1_3gpuE6ELNS1_3repE0EEENS1_30default_config_static_selectorELNS0_4arch9wavefront6targetE1EEEvT1_,comdat
	.protected	_ZN7rocprim17ROCPRIM_400000_NS6detail17trampoline_kernelINS0_14default_configENS1_27scan_by_key_config_selectorIxxEEZZNS1_16scan_by_key_implILNS1_25lookback_scan_determinismE0ELb0ES3_N6thrust23THRUST_200600_302600_NS6detail15normal_iteratorINS9_10device_ptrIxEEEESE_SE_xNS9_4plusIvEENS9_8equal_toIvEExEE10hipError_tPvRmT2_T3_T4_T5_mT6_T7_P12ihipStream_tbENKUlT_T0_E_clISt17integral_constantIbLb0EESZ_EEDaSU_SV_EUlSU_E_NS1_11comp_targetILNS1_3genE2ELNS1_11target_archE906ELNS1_3gpuE6ELNS1_3repE0EEENS1_30default_config_static_selectorELNS0_4arch9wavefront6targetE1EEEvT1_ ; -- Begin function _ZN7rocprim17ROCPRIM_400000_NS6detail17trampoline_kernelINS0_14default_configENS1_27scan_by_key_config_selectorIxxEEZZNS1_16scan_by_key_implILNS1_25lookback_scan_determinismE0ELb0ES3_N6thrust23THRUST_200600_302600_NS6detail15normal_iteratorINS9_10device_ptrIxEEEESE_SE_xNS9_4plusIvEENS9_8equal_toIvEExEE10hipError_tPvRmT2_T3_T4_T5_mT6_T7_P12ihipStream_tbENKUlT_T0_E_clISt17integral_constantIbLb0EESZ_EEDaSU_SV_EUlSU_E_NS1_11comp_targetILNS1_3genE2ELNS1_11target_archE906ELNS1_3gpuE6ELNS1_3repE0EEENS1_30default_config_static_selectorELNS0_4arch9wavefront6targetE1EEEvT1_
	.globl	_ZN7rocprim17ROCPRIM_400000_NS6detail17trampoline_kernelINS0_14default_configENS1_27scan_by_key_config_selectorIxxEEZZNS1_16scan_by_key_implILNS1_25lookback_scan_determinismE0ELb0ES3_N6thrust23THRUST_200600_302600_NS6detail15normal_iteratorINS9_10device_ptrIxEEEESE_SE_xNS9_4plusIvEENS9_8equal_toIvEExEE10hipError_tPvRmT2_T3_T4_T5_mT6_T7_P12ihipStream_tbENKUlT_T0_E_clISt17integral_constantIbLb0EESZ_EEDaSU_SV_EUlSU_E_NS1_11comp_targetILNS1_3genE2ELNS1_11target_archE906ELNS1_3gpuE6ELNS1_3repE0EEENS1_30default_config_static_selectorELNS0_4arch9wavefront6targetE1EEEvT1_
	.p2align	8
	.type	_ZN7rocprim17ROCPRIM_400000_NS6detail17trampoline_kernelINS0_14default_configENS1_27scan_by_key_config_selectorIxxEEZZNS1_16scan_by_key_implILNS1_25lookback_scan_determinismE0ELb0ES3_N6thrust23THRUST_200600_302600_NS6detail15normal_iteratorINS9_10device_ptrIxEEEESE_SE_xNS9_4plusIvEENS9_8equal_toIvEExEE10hipError_tPvRmT2_T3_T4_T5_mT6_T7_P12ihipStream_tbENKUlT_T0_E_clISt17integral_constantIbLb0EESZ_EEDaSU_SV_EUlSU_E_NS1_11comp_targetILNS1_3genE2ELNS1_11target_archE906ELNS1_3gpuE6ELNS1_3repE0EEENS1_30default_config_static_selectorELNS0_4arch9wavefront6targetE1EEEvT1_,@function
_ZN7rocprim17ROCPRIM_400000_NS6detail17trampoline_kernelINS0_14default_configENS1_27scan_by_key_config_selectorIxxEEZZNS1_16scan_by_key_implILNS1_25lookback_scan_determinismE0ELb0ES3_N6thrust23THRUST_200600_302600_NS6detail15normal_iteratorINS9_10device_ptrIxEEEESE_SE_xNS9_4plusIvEENS9_8equal_toIvEExEE10hipError_tPvRmT2_T3_T4_T5_mT6_T7_P12ihipStream_tbENKUlT_T0_E_clISt17integral_constantIbLb0EESZ_EEDaSU_SV_EUlSU_E_NS1_11comp_targetILNS1_3genE2ELNS1_11target_archE906ELNS1_3gpuE6ELNS1_3repE0EEENS1_30default_config_static_selectorELNS0_4arch9wavefront6targetE1EEEvT1_: ; @_ZN7rocprim17ROCPRIM_400000_NS6detail17trampoline_kernelINS0_14default_configENS1_27scan_by_key_config_selectorIxxEEZZNS1_16scan_by_key_implILNS1_25lookback_scan_determinismE0ELb0ES3_N6thrust23THRUST_200600_302600_NS6detail15normal_iteratorINS9_10device_ptrIxEEEESE_SE_xNS9_4plusIvEENS9_8equal_toIvEExEE10hipError_tPvRmT2_T3_T4_T5_mT6_T7_P12ihipStream_tbENKUlT_T0_E_clISt17integral_constantIbLb0EESZ_EEDaSU_SV_EUlSU_E_NS1_11comp_targetILNS1_3genE2ELNS1_11target_archE906ELNS1_3gpuE6ELNS1_3repE0EEENS1_30default_config_static_selectorELNS0_4arch9wavefront6targetE1EEEvT1_
; %bb.0:
	.section	.rodata,"a",@progbits
	.p2align	6, 0x0
	.amdhsa_kernel _ZN7rocprim17ROCPRIM_400000_NS6detail17trampoline_kernelINS0_14default_configENS1_27scan_by_key_config_selectorIxxEEZZNS1_16scan_by_key_implILNS1_25lookback_scan_determinismE0ELb0ES3_N6thrust23THRUST_200600_302600_NS6detail15normal_iteratorINS9_10device_ptrIxEEEESE_SE_xNS9_4plusIvEENS9_8equal_toIvEExEE10hipError_tPvRmT2_T3_T4_T5_mT6_T7_P12ihipStream_tbENKUlT_T0_E_clISt17integral_constantIbLb0EESZ_EEDaSU_SV_EUlSU_E_NS1_11comp_targetILNS1_3genE2ELNS1_11target_archE906ELNS1_3gpuE6ELNS1_3repE0EEENS1_30default_config_static_selectorELNS0_4arch9wavefront6targetE1EEEvT1_
		.amdhsa_group_segment_fixed_size 0
		.amdhsa_private_segment_fixed_size 0
		.amdhsa_kernarg_size 136
		.amdhsa_user_sgpr_count 2
		.amdhsa_user_sgpr_dispatch_ptr 0
		.amdhsa_user_sgpr_queue_ptr 0
		.amdhsa_user_sgpr_kernarg_segment_ptr 1
		.amdhsa_user_sgpr_dispatch_id 0
		.amdhsa_user_sgpr_kernarg_preload_length 0
		.amdhsa_user_sgpr_kernarg_preload_offset 0
		.amdhsa_user_sgpr_private_segment_size 0
		.amdhsa_uses_dynamic_stack 0
		.amdhsa_enable_private_segment 0
		.amdhsa_system_sgpr_workgroup_id_x 1
		.amdhsa_system_sgpr_workgroup_id_y 0
		.amdhsa_system_sgpr_workgroup_id_z 0
		.amdhsa_system_sgpr_workgroup_info 0
		.amdhsa_system_vgpr_workitem_id 0
		.amdhsa_next_free_vgpr 1
		.amdhsa_next_free_sgpr 0
		.amdhsa_accum_offset 4
		.amdhsa_reserve_vcc 0
		.amdhsa_float_round_mode_32 0
		.amdhsa_float_round_mode_16_64 0
		.amdhsa_float_denorm_mode_32 3
		.amdhsa_float_denorm_mode_16_64 3
		.amdhsa_dx10_clamp 1
		.amdhsa_ieee_mode 1
		.amdhsa_fp16_overflow 0
		.amdhsa_tg_split 0
		.amdhsa_exception_fp_ieee_invalid_op 0
		.amdhsa_exception_fp_denorm_src 0
		.amdhsa_exception_fp_ieee_div_zero 0
		.amdhsa_exception_fp_ieee_overflow 0
		.amdhsa_exception_fp_ieee_underflow 0
		.amdhsa_exception_fp_ieee_inexact 0
		.amdhsa_exception_int_div_zero 0
	.end_amdhsa_kernel
	.section	.text._ZN7rocprim17ROCPRIM_400000_NS6detail17trampoline_kernelINS0_14default_configENS1_27scan_by_key_config_selectorIxxEEZZNS1_16scan_by_key_implILNS1_25lookback_scan_determinismE0ELb0ES3_N6thrust23THRUST_200600_302600_NS6detail15normal_iteratorINS9_10device_ptrIxEEEESE_SE_xNS9_4plusIvEENS9_8equal_toIvEExEE10hipError_tPvRmT2_T3_T4_T5_mT6_T7_P12ihipStream_tbENKUlT_T0_E_clISt17integral_constantIbLb0EESZ_EEDaSU_SV_EUlSU_E_NS1_11comp_targetILNS1_3genE2ELNS1_11target_archE906ELNS1_3gpuE6ELNS1_3repE0EEENS1_30default_config_static_selectorELNS0_4arch9wavefront6targetE1EEEvT1_,"axG",@progbits,_ZN7rocprim17ROCPRIM_400000_NS6detail17trampoline_kernelINS0_14default_configENS1_27scan_by_key_config_selectorIxxEEZZNS1_16scan_by_key_implILNS1_25lookback_scan_determinismE0ELb0ES3_N6thrust23THRUST_200600_302600_NS6detail15normal_iteratorINS9_10device_ptrIxEEEESE_SE_xNS9_4plusIvEENS9_8equal_toIvEExEE10hipError_tPvRmT2_T3_T4_T5_mT6_T7_P12ihipStream_tbENKUlT_T0_E_clISt17integral_constantIbLb0EESZ_EEDaSU_SV_EUlSU_E_NS1_11comp_targetILNS1_3genE2ELNS1_11target_archE906ELNS1_3gpuE6ELNS1_3repE0EEENS1_30default_config_static_selectorELNS0_4arch9wavefront6targetE1EEEvT1_,comdat
.Lfunc_end10:
	.size	_ZN7rocprim17ROCPRIM_400000_NS6detail17trampoline_kernelINS0_14default_configENS1_27scan_by_key_config_selectorIxxEEZZNS1_16scan_by_key_implILNS1_25lookback_scan_determinismE0ELb0ES3_N6thrust23THRUST_200600_302600_NS6detail15normal_iteratorINS9_10device_ptrIxEEEESE_SE_xNS9_4plusIvEENS9_8equal_toIvEExEE10hipError_tPvRmT2_T3_T4_T5_mT6_T7_P12ihipStream_tbENKUlT_T0_E_clISt17integral_constantIbLb0EESZ_EEDaSU_SV_EUlSU_E_NS1_11comp_targetILNS1_3genE2ELNS1_11target_archE906ELNS1_3gpuE6ELNS1_3repE0EEENS1_30default_config_static_selectorELNS0_4arch9wavefront6targetE1EEEvT1_, .Lfunc_end10-_ZN7rocprim17ROCPRIM_400000_NS6detail17trampoline_kernelINS0_14default_configENS1_27scan_by_key_config_selectorIxxEEZZNS1_16scan_by_key_implILNS1_25lookback_scan_determinismE0ELb0ES3_N6thrust23THRUST_200600_302600_NS6detail15normal_iteratorINS9_10device_ptrIxEEEESE_SE_xNS9_4plusIvEENS9_8equal_toIvEExEE10hipError_tPvRmT2_T3_T4_T5_mT6_T7_P12ihipStream_tbENKUlT_T0_E_clISt17integral_constantIbLb0EESZ_EEDaSU_SV_EUlSU_E_NS1_11comp_targetILNS1_3genE2ELNS1_11target_archE906ELNS1_3gpuE6ELNS1_3repE0EEENS1_30default_config_static_selectorELNS0_4arch9wavefront6targetE1EEEvT1_
                                        ; -- End function
	.section	.AMDGPU.csdata,"",@progbits
; Kernel info:
; codeLenInByte = 0
; NumSgprs: 6
; NumVgprs: 0
; NumAgprs: 0
; TotalNumVgprs: 0
; ScratchSize: 0
; MemoryBound: 0
; FloatMode: 240
; IeeeMode: 1
; LDSByteSize: 0 bytes/workgroup (compile time only)
; SGPRBlocks: 0
; VGPRBlocks: 0
; NumSGPRsForWavesPerEU: 6
; NumVGPRsForWavesPerEU: 1
; AccumOffset: 4
; Occupancy: 8
; WaveLimiterHint : 0
; COMPUTE_PGM_RSRC2:SCRATCH_EN: 0
; COMPUTE_PGM_RSRC2:USER_SGPR: 2
; COMPUTE_PGM_RSRC2:TRAP_HANDLER: 0
; COMPUTE_PGM_RSRC2:TGID_X_EN: 1
; COMPUTE_PGM_RSRC2:TGID_Y_EN: 0
; COMPUTE_PGM_RSRC2:TGID_Z_EN: 0
; COMPUTE_PGM_RSRC2:TIDIG_COMP_CNT: 0
; COMPUTE_PGM_RSRC3_GFX90A:ACCUM_OFFSET: 0
; COMPUTE_PGM_RSRC3_GFX90A:TG_SPLIT: 0
	.section	.text._ZN7rocprim17ROCPRIM_400000_NS6detail17trampoline_kernelINS0_14default_configENS1_27scan_by_key_config_selectorIxxEEZZNS1_16scan_by_key_implILNS1_25lookback_scan_determinismE0ELb0ES3_N6thrust23THRUST_200600_302600_NS6detail15normal_iteratorINS9_10device_ptrIxEEEESE_SE_xNS9_4plusIvEENS9_8equal_toIvEExEE10hipError_tPvRmT2_T3_T4_T5_mT6_T7_P12ihipStream_tbENKUlT_T0_E_clISt17integral_constantIbLb0EESZ_EEDaSU_SV_EUlSU_E_NS1_11comp_targetILNS1_3genE10ELNS1_11target_archE1200ELNS1_3gpuE4ELNS1_3repE0EEENS1_30default_config_static_selectorELNS0_4arch9wavefront6targetE1EEEvT1_,"axG",@progbits,_ZN7rocprim17ROCPRIM_400000_NS6detail17trampoline_kernelINS0_14default_configENS1_27scan_by_key_config_selectorIxxEEZZNS1_16scan_by_key_implILNS1_25lookback_scan_determinismE0ELb0ES3_N6thrust23THRUST_200600_302600_NS6detail15normal_iteratorINS9_10device_ptrIxEEEESE_SE_xNS9_4plusIvEENS9_8equal_toIvEExEE10hipError_tPvRmT2_T3_T4_T5_mT6_T7_P12ihipStream_tbENKUlT_T0_E_clISt17integral_constantIbLb0EESZ_EEDaSU_SV_EUlSU_E_NS1_11comp_targetILNS1_3genE10ELNS1_11target_archE1200ELNS1_3gpuE4ELNS1_3repE0EEENS1_30default_config_static_selectorELNS0_4arch9wavefront6targetE1EEEvT1_,comdat
	.protected	_ZN7rocprim17ROCPRIM_400000_NS6detail17trampoline_kernelINS0_14default_configENS1_27scan_by_key_config_selectorIxxEEZZNS1_16scan_by_key_implILNS1_25lookback_scan_determinismE0ELb0ES3_N6thrust23THRUST_200600_302600_NS6detail15normal_iteratorINS9_10device_ptrIxEEEESE_SE_xNS9_4plusIvEENS9_8equal_toIvEExEE10hipError_tPvRmT2_T3_T4_T5_mT6_T7_P12ihipStream_tbENKUlT_T0_E_clISt17integral_constantIbLb0EESZ_EEDaSU_SV_EUlSU_E_NS1_11comp_targetILNS1_3genE10ELNS1_11target_archE1200ELNS1_3gpuE4ELNS1_3repE0EEENS1_30default_config_static_selectorELNS0_4arch9wavefront6targetE1EEEvT1_ ; -- Begin function _ZN7rocprim17ROCPRIM_400000_NS6detail17trampoline_kernelINS0_14default_configENS1_27scan_by_key_config_selectorIxxEEZZNS1_16scan_by_key_implILNS1_25lookback_scan_determinismE0ELb0ES3_N6thrust23THRUST_200600_302600_NS6detail15normal_iteratorINS9_10device_ptrIxEEEESE_SE_xNS9_4plusIvEENS9_8equal_toIvEExEE10hipError_tPvRmT2_T3_T4_T5_mT6_T7_P12ihipStream_tbENKUlT_T0_E_clISt17integral_constantIbLb0EESZ_EEDaSU_SV_EUlSU_E_NS1_11comp_targetILNS1_3genE10ELNS1_11target_archE1200ELNS1_3gpuE4ELNS1_3repE0EEENS1_30default_config_static_selectorELNS0_4arch9wavefront6targetE1EEEvT1_
	.globl	_ZN7rocprim17ROCPRIM_400000_NS6detail17trampoline_kernelINS0_14default_configENS1_27scan_by_key_config_selectorIxxEEZZNS1_16scan_by_key_implILNS1_25lookback_scan_determinismE0ELb0ES3_N6thrust23THRUST_200600_302600_NS6detail15normal_iteratorINS9_10device_ptrIxEEEESE_SE_xNS9_4plusIvEENS9_8equal_toIvEExEE10hipError_tPvRmT2_T3_T4_T5_mT6_T7_P12ihipStream_tbENKUlT_T0_E_clISt17integral_constantIbLb0EESZ_EEDaSU_SV_EUlSU_E_NS1_11comp_targetILNS1_3genE10ELNS1_11target_archE1200ELNS1_3gpuE4ELNS1_3repE0EEENS1_30default_config_static_selectorELNS0_4arch9wavefront6targetE1EEEvT1_
	.p2align	8
	.type	_ZN7rocprim17ROCPRIM_400000_NS6detail17trampoline_kernelINS0_14default_configENS1_27scan_by_key_config_selectorIxxEEZZNS1_16scan_by_key_implILNS1_25lookback_scan_determinismE0ELb0ES3_N6thrust23THRUST_200600_302600_NS6detail15normal_iteratorINS9_10device_ptrIxEEEESE_SE_xNS9_4plusIvEENS9_8equal_toIvEExEE10hipError_tPvRmT2_T3_T4_T5_mT6_T7_P12ihipStream_tbENKUlT_T0_E_clISt17integral_constantIbLb0EESZ_EEDaSU_SV_EUlSU_E_NS1_11comp_targetILNS1_3genE10ELNS1_11target_archE1200ELNS1_3gpuE4ELNS1_3repE0EEENS1_30default_config_static_selectorELNS0_4arch9wavefront6targetE1EEEvT1_,@function
_ZN7rocprim17ROCPRIM_400000_NS6detail17trampoline_kernelINS0_14default_configENS1_27scan_by_key_config_selectorIxxEEZZNS1_16scan_by_key_implILNS1_25lookback_scan_determinismE0ELb0ES3_N6thrust23THRUST_200600_302600_NS6detail15normal_iteratorINS9_10device_ptrIxEEEESE_SE_xNS9_4plusIvEENS9_8equal_toIvEExEE10hipError_tPvRmT2_T3_T4_T5_mT6_T7_P12ihipStream_tbENKUlT_T0_E_clISt17integral_constantIbLb0EESZ_EEDaSU_SV_EUlSU_E_NS1_11comp_targetILNS1_3genE10ELNS1_11target_archE1200ELNS1_3gpuE4ELNS1_3repE0EEENS1_30default_config_static_selectorELNS0_4arch9wavefront6targetE1EEEvT1_: ; @_ZN7rocprim17ROCPRIM_400000_NS6detail17trampoline_kernelINS0_14default_configENS1_27scan_by_key_config_selectorIxxEEZZNS1_16scan_by_key_implILNS1_25lookback_scan_determinismE0ELb0ES3_N6thrust23THRUST_200600_302600_NS6detail15normal_iteratorINS9_10device_ptrIxEEEESE_SE_xNS9_4plusIvEENS9_8equal_toIvEExEE10hipError_tPvRmT2_T3_T4_T5_mT6_T7_P12ihipStream_tbENKUlT_T0_E_clISt17integral_constantIbLb0EESZ_EEDaSU_SV_EUlSU_E_NS1_11comp_targetILNS1_3genE10ELNS1_11target_archE1200ELNS1_3gpuE4ELNS1_3repE0EEENS1_30default_config_static_selectorELNS0_4arch9wavefront6targetE1EEEvT1_
; %bb.0:
	.section	.rodata,"a",@progbits
	.p2align	6, 0x0
	.amdhsa_kernel _ZN7rocprim17ROCPRIM_400000_NS6detail17trampoline_kernelINS0_14default_configENS1_27scan_by_key_config_selectorIxxEEZZNS1_16scan_by_key_implILNS1_25lookback_scan_determinismE0ELb0ES3_N6thrust23THRUST_200600_302600_NS6detail15normal_iteratorINS9_10device_ptrIxEEEESE_SE_xNS9_4plusIvEENS9_8equal_toIvEExEE10hipError_tPvRmT2_T3_T4_T5_mT6_T7_P12ihipStream_tbENKUlT_T0_E_clISt17integral_constantIbLb0EESZ_EEDaSU_SV_EUlSU_E_NS1_11comp_targetILNS1_3genE10ELNS1_11target_archE1200ELNS1_3gpuE4ELNS1_3repE0EEENS1_30default_config_static_selectorELNS0_4arch9wavefront6targetE1EEEvT1_
		.amdhsa_group_segment_fixed_size 0
		.amdhsa_private_segment_fixed_size 0
		.amdhsa_kernarg_size 136
		.amdhsa_user_sgpr_count 2
		.amdhsa_user_sgpr_dispatch_ptr 0
		.amdhsa_user_sgpr_queue_ptr 0
		.amdhsa_user_sgpr_kernarg_segment_ptr 1
		.amdhsa_user_sgpr_dispatch_id 0
		.amdhsa_user_sgpr_kernarg_preload_length 0
		.amdhsa_user_sgpr_kernarg_preload_offset 0
		.amdhsa_user_sgpr_private_segment_size 0
		.amdhsa_uses_dynamic_stack 0
		.amdhsa_enable_private_segment 0
		.amdhsa_system_sgpr_workgroup_id_x 1
		.amdhsa_system_sgpr_workgroup_id_y 0
		.amdhsa_system_sgpr_workgroup_id_z 0
		.amdhsa_system_sgpr_workgroup_info 0
		.amdhsa_system_vgpr_workitem_id 0
		.amdhsa_next_free_vgpr 1
		.amdhsa_next_free_sgpr 0
		.amdhsa_accum_offset 4
		.amdhsa_reserve_vcc 0
		.amdhsa_float_round_mode_32 0
		.amdhsa_float_round_mode_16_64 0
		.amdhsa_float_denorm_mode_32 3
		.amdhsa_float_denorm_mode_16_64 3
		.amdhsa_dx10_clamp 1
		.amdhsa_ieee_mode 1
		.amdhsa_fp16_overflow 0
		.amdhsa_tg_split 0
		.amdhsa_exception_fp_ieee_invalid_op 0
		.amdhsa_exception_fp_denorm_src 0
		.amdhsa_exception_fp_ieee_div_zero 0
		.amdhsa_exception_fp_ieee_overflow 0
		.amdhsa_exception_fp_ieee_underflow 0
		.amdhsa_exception_fp_ieee_inexact 0
		.amdhsa_exception_int_div_zero 0
	.end_amdhsa_kernel
	.section	.text._ZN7rocprim17ROCPRIM_400000_NS6detail17trampoline_kernelINS0_14default_configENS1_27scan_by_key_config_selectorIxxEEZZNS1_16scan_by_key_implILNS1_25lookback_scan_determinismE0ELb0ES3_N6thrust23THRUST_200600_302600_NS6detail15normal_iteratorINS9_10device_ptrIxEEEESE_SE_xNS9_4plusIvEENS9_8equal_toIvEExEE10hipError_tPvRmT2_T3_T4_T5_mT6_T7_P12ihipStream_tbENKUlT_T0_E_clISt17integral_constantIbLb0EESZ_EEDaSU_SV_EUlSU_E_NS1_11comp_targetILNS1_3genE10ELNS1_11target_archE1200ELNS1_3gpuE4ELNS1_3repE0EEENS1_30default_config_static_selectorELNS0_4arch9wavefront6targetE1EEEvT1_,"axG",@progbits,_ZN7rocprim17ROCPRIM_400000_NS6detail17trampoline_kernelINS0_14default_configENS1_27scan_by_key_config_selectorIxxEEZZNS1_16scan_by_key_implILNS1_25lookback_scan_determinismE0ELb0ES3_N6thrust23THRUST_200600_302600_NS6detail15normal_iteratorINS9_10device_ptrIxEEEESE_SE_xNS9_4plusIvEENS9_8equal_toIvEExEE10hipError_tPvRmT2_T3_T4_T5_mT6_T7_P12ihipStream_tbENKUlT_T0_E_clISt17integral_constantIbLb0EESZ_EEDaSU_SV_EUlSU_E_NS1_11comp_targetILNS1_3genE10ELNS1_11target_archE1200ELNS1_3gpuE4ELNS1_3repE0EEENS1_30default_config_static_selectorELNS0_4arch9wavefront6targetE1EEEvT1_,comdat
.Lfunc_end11:
	.size	_ZN7rocprim17ROCPRIM_400000_NS6detail17trampoline_kernelINS0_14default_configENS1_27scan_by_key_config_selectorIxxEEZZNS1_16scan_by_key_implILNS1_25lookback_scan_determinismE0ELb0ES3_N6thrust23THRUST_200600_302600_NS6detail15normal_iteratorINS9_10device_ptrIxEEEESE_SE_xNS9_4plusIvEENS9_8equal_toIvEExEE10hipError_tPvRmT2_T3_T4_T5_mT6_T7_P12ihipStream_tbENKUlT_T0_E_clISt17integral_constantIbLb0EESZ_EEDaSU_SV_EUlSU_E_NS1_11comp_targetILNS1_3genE10ELNS1_11target_archE1200ELNS1_3gpuE4ELNS1_3repE0EEENS1_30default_config_static_selectorELNS0_4arch9wavefront6targetE1EEEvT1_, .Lfunc_end11-_ZN7rocprim17ROCPRIM_400000_NS6detail17trampoline_kernelINS0_14default_configENS1_27scan_by_key_config_selectorIxxEEZZNS1_16scan_by_key_implILNS1_25lookback_scan_determinismE0ELb0ES3_N6thrust23THRUST_200600_302600_NS6detail15normal_iteratorINS9_10device_ptrIxEEEESE_SE_xNS9_4plusIvEENS9_8equal_toIvEExEE10hipError_tPvRmT2_T3_T4_T5_mT6_T7_P12ihipStream_tbENKUlT_T0_E_clISt17integral_constantIbLb0EESZ_EEDaSU_SV_EUlSU_E_NS1_11comp_targetILNS1_3genE10ELNS1_11target_archE1200ELNS1_3gpuE4ELNS1_3repE0EEENS1_30default_config_static_selectorELNS0_4arch9wavefront6targetE1EEEvT1_
                                        ; -- End function
	.section	.AMDGPU.csdata,"",@progbits
; Kernel info:
; codeLenInByte = 0
; NumSgprs: 6
; NumVgprs: 0
; NumAgprs: 0
; TotalNumVgprs: 0
; ScratchSize: 0
; MemoryBound: 0
; FloatMode: 240
; IeeeMode: 1
; LDSByteSize: 0 bytes/workgroup (compile time only)
; SGPRBlocks: 0
; VGPRBlocks: 0
; NumSGPRsForWavesPerEU: 6
; NumVGPRsForWavesPerEU: 1
; AccumOffset: 4
; Occupancy: 8
; WaveLimiterHint : 0
; COMPUTE_PGM_RSRC2:SCRATCH_EN: 0
; COMPUTE_PGM_RSRC2:USER_SGPR: 2
; COMPUTE_PGM_RSRC2:TRAP_HANDLER: 0
; COMPUTE_PGM_RSRC2:TGID_X_EN: 1
; COMPUTE_PGM_RSRC2:TGID_Y_EN: 0
; COMPUTE_PGM_RSRC2:TGID_Z_EN: 0
; COMPUTE_PGM_RSRC2:TIDIG_COMP_CNT: 0
; COMPUTE_PGM_RSRC3_GFX90A:ACCUM_OFFSET: 0
; COMPUTE_PGM_RSRC3_GFX90A:TG_SPLIT: 0
	.section	.text._ZN7rocprim17ROCPRIM_400000_NS6detail17trampoline_kernelINS0_14default_configENS1_27scan_by_key_config_selectorIxxEEZZNS1_16scan_by_key_implILNS1_25lookback_scan_determinismE0ELb0ES3_N6thrust23THRUST_200600_302600_NS6detail15normal_iteratorINS9_10device_ptrIxEEEESE_SE_xNS9_4plusIvEENS9_8equal_toIvEExEE10hipError_tPvRmT2_T3_T4_T5_mT6_T7_P12ihipStream_tbENKUlT_T0_E_clISt17integral_constantIbLb0EESZ_EEDaSU_SV_EUlSU_E_NS1_11comp_targetILNS1_3genE9ELNS1_11target_archE1100ELNS1_3gpuE3ELNS1_3repE0EEENS1_30default_config_static_selectorELNS0_4arch9wavefront6targetE1EEEvT1_,"axG",@progbits,_ZN7rocprim17ROCPRIM_400000_NS6detail17trampoline_kernelINS0_14default_configENS1_27scan_by_key_config_selectorIxxEEZZNS1_16scan_by_key_implILNS1_25lookback_scan_determinismE0ELb0ES3_N6thrust23THRUST_200600_302600_NS6detail15normal_iteratorINS9_10device_ptrIxEEEESE_SE_xNS9_4plusIvEENS9_8equal_toIvEExEE10hipError_tPvRmT2_T3_T4_T5_mT6_T7_P12ihipStream_tbENKUlT_T0_E_clISt17integral_constantIbLb0EESZ_EEDaSU_SV_EUlSU_E_NS1_11comp_targetILNS1_3genE9ELNS1_11target_archE1100ELNS1_3gpuE3ELNS1_3repE0EEENS1_30default_config_static_selectorELNS0_4arch9wavefront6targetE1EEEvT1_,comdat
	.protected	_ZN7rocprim17ROCPRIM_400000_NS6detail17trampoline_kernelINS0_14default_configENS1_27scan_by_key_config_selectorIxxEEZZNS1_16scan_by_key_implILNS1_25lookback_scan_determinismE0ELb0ES3_N6thrust23THRUST_200600_302600_NS6detail15normal_iteratorINS9_10device_ptrIxEEEESE_SE_xNS9_4plusIvEENS9_8equal_toIvEExEE10hipError_tPvRmT2_T3_T4_T5_mT6_T7_P12ihipStream_tbENKUlT_T0_E_clISt17integral_constantIbLb0EESZ_EEDaSU_SV_EUlSU_E_NS1_11comp_targetILNS1_3genE9ELNS1_11target_archE1100ELNS1_3gpuE3ELNS1_3repE0EEENS1_30default_config_static_selectorELNS0_4arch9wavefront6targetE1EEEvT1_ ; -- Begin function _ZN7rocprim17ROCPRIM_400000_NS6detail17trampoline_kernelINS0_14default_configENS1_27scan_by_key_config_selectorIxxEEZZNS1_16scan_by_key_implILNS1_25lookback_scan_determinismE0ELb0ES3_N6thrust23THRUST_200600_302600_NS6detail15normal_iteratorINS9_10device_ptrIxEEEESE_SE_xNS9_4plusIvEENS9_8equal_toIvEExEE10hipError_tPvRmT2_T3_T4_T5_mT6_T7_P12ihipStream_tbENKUlT_T0_E_clISt17integral_constantIbLb0EESZ_EEDaSU_SV_EUlSU_E_NS1_11comp_targetILNS1_3genE9ELNS1_11target_archE1100ELNS1_3gpuE3ELNS1_3repE0EEENS1_30default_config_static_selectorELNS0_4arch9wavefront6targetE1EEEvT1_
	.globl	_ZN7rocprim17ROCPRIM_400000_NS6detail17trampoline_kernelINS0_14default_configENS1_27scan_by_key_config_selectorIxxEEZZNS1_16scan_by_key_implILNS1_25lookback_scan_determinismE0ELb0ES3_N6thrust23THRUST_200600_302600_NS6detail15normal_iteratorINS9_10device_ptrIxEEEESE_SE_xNS9_4plusIvEENS9_8equal_toIvEExEE10hipError_tPvRmT2_T3_T4_T5_mT6_T7_P12ihipStream_tbENKUlT_T0_E_clISt17integral_constantIbLb0EESZ_EEDaSU_SV_EUlSU_E_NS1_11comp_targetILNS1_3genE9ELNS1_11target_archE1100ELNS1_3gpuE3ELNS1_3repE0EEENS1_30default_config_static_selectorELNS0_4arch9wavefront6targetE1EEEvT1_
	.p2align	8
	.type	_ZN7rocprim17ROCPRIM_400000_NS6detail17trampoline_kernelINS0_14default_configENS1_27scan_by_key_config_selectorIxxEEZZNS1_16scan_by_key_implILNS1_25lookback_scan_determinismE0ELb0ES3_N6thrust23THRUST_200600_302600_NS6detail15normal_iteratorINS9_10device_ptrIxEEEESE_SE_xNS9_4plusIvEENS9_8equal_toIvEExEE10hipError_tPvRmT2_T3_T4_T5_mT6_T7_P12ihipStream_tbENKUlT_T0_E_clISt17integral_constantIbLb0EESZ_EEDaSU_SV_EUlSU_E_NS1_11comp_targetILNS1_3genE9ELNS1_11target_archE1100ELNS1_3gpuE3ELNS1_3repE0EEENS1_30default_config_static_selectorELNS0_4arch9wavefront6targetE1EEEvT1_,@function
_ZN7rocprim17ROCPRIM_400000_NS6detail17trampoline_kernelINS0_14default_configENS1_27scan_by_key_config_selectorIxxEEZZNS1_16scan_by_key_implILNS1_25lookback_scan_determinismE0ELb0ES3_N6thrust23THRUST_200600_302600_NS6detail15normal_iteratorINS9_10device_ptrIxEEEESE_SE_xNS9_4plusIvEENS9_8equal_toIvEExEE10hipError_tPvRmT2_T3_T4_T5_mT6_T7_P12ihipStream_tbENKUlT_T0_E_clISt17integral_constantIbLb0EESZ_EEDaSU_SV_EUlSU_E_NS1_11comp_targetILNS1_3genE9ELNS1_11target_archE1100ELNS1_3gpuE3ELNS1_3repE0EEENS1_30default_config_static_selectorELNS0_4arch9wavefront6targetE1EEEvT1_: ; @_ZN7rocprim17ROCPRIM_400000_NS6detail17trampoline_kernelINS0_14default_configENS1_27scan_by_key_config_selectorIxxEEZZNS1_16scan_by_key_implILNS1_25lookback_scan_determinismE0ELb0ES3_N6thrust23THRUST_200600_302600_NS6detail15normal_iteratorINS9_10device_ptrIxEEEESE_SE_xNS9_4plusIvEENS9_8equal_toIvEExEE10hipError_tPvRmT2_T3_T4_T5_mT6_T7_P12ihipStream_tbENKUlT_T0_E_clISt17integral_constantIbLb0EESZ_EEDaSU_SV_EUlSU_E_NS1_11comp_targetILNS1_3genE9ELNS1_11target_archE1100ELNS1_3gpuE3ELNS1_3repE0EEENS1_30default_config_static_selectorELNS0_4arch9wavefront6targetE1EEEvT1_
; %bb.0:
	.section	.rodata,"a",@progbits
	.p2align	6, 0x0
	.amdhsa_kernel _ZN7rocprim17ROCPRIM_400000_NS6detail17trampoline_kernelINS0_14default_configENS1_27scan_by_key_config_selectorIxxEEZZNS1_16scan_by_key_implILNS1_25lookback_scan_determinismE0ELb0ES3_N6thrust23THRUST_200600_302600_NS6detail15normal_iteratorINS9_10device_ptrIxEEEESE_SE_xNS9_4plusIvEENS9_8equal_toIvEExEE10hipError_tPvRmT2_T3_T4_T5_mT6_T7_P12ihipStream_tbENKUlT_T0_E_clISt17integral_constantIbLb0EESZ_EEDaSU_SV_EUlSU_E_NS1_11comp_targetILNS1_3genE9ELNS1_11target_archE1100ELNS1_3gpuE3ELNS1_3repE0EEENS1_30default_config_static_selectorELNS0_4arch9wavefront6targetE1EEEvT1_
		.amdhsa_group_segment_fixed_size 0
		.amdhsa_private_segment_fixed_size 0
		.amdhsa_kernarg_size 136
		.amdhsa_user_sgpr_count 2
		.amdhsa_user_sgpr_dispatch_ptr 0
		.amdhsa_user_sgpr_queue_ptr 0
		.amdhsa_user_sgpr_kernarg_segment_ptr 1
		.amdhsa_user_sgpr_dispatch_id 0
		.amdhsa_user_sgpr_kernarg_preload_length 0
		.amdhsa_user_sgpr_kernarg_preload_offset 0
		.amdhsa_user_sgpr_private_segment_size 0
		.amdhsa_uses_dynamic_stack 0
		.amdhsa_enable_private_segment 0
		.amdhsa_system_sgpr_workgroup_id_x 1
		.amdhsa_system_sgpr_workgroup_id_y 0
		.amdhsa_system_sgpr_workgroup_id_z 0
		.amdhsa_system_sgpr_workgroup_info 0
		.amdhsa_system_vgpr_workitem_id 0
		.amdhsa_next_free_vgpr 1
		.amdhsa_next_free_sgpr 0
		.amdhsa_accum_offset 4
		.amdhsa_reserve_vcc 0
		.amdhsa_float_round_mode_32 0
		.amdhsa_float_round_mode_16_64 0
		.amdhsa_float_denorm_mode_32 3
		.amdhsa_float_denorm_mode_16_64 3
		.amdhsa_dx10_clamp 1
		.amdhsa_ieee_mode 1
		.amdhsa_fp16_overflow 0
		.amdhsa_tg_split 0
		.amdhsa_exception_fp_ieee_invalid_op 0
		.amdhsa_exception_fp_denorm_src 0
		.amdhsa_exception_fp_ieee_div_zero 0
		.amdhsa_exception_fp_ieee_overflow 0
		.amdhsa_exception_fp_ieee_underflow 0
		.amdhsa_exception_fp_ieee_inexact 0
		.amdhsa_exception_int_div_zero 0
	.end_amdhsa_kernel
	.section	.text._ZN7rocprim17ROCPRIM_400000_NS6detail17trampoline_kernelINS0_14default_configENS1_27scan_by_key_config_selectorIxxEEZZNS1_16scan_by_key_implILNS1_25lookback_scan_determinismE0ELb0ES3_N6thrust23THRUST_200600_302600_NS6detail15normal_iteratorINS9_10device_ptrIxEEEESE_SE_xNS9_4plusIvEENS9_8equal_toIvEExEE10hipError_tPvRmT2_T3_T4_T5_mT6_T7_P12ihipStream_tbENKUlT_T0_E_clISt17integral_constantIbLb0EESZ_EEDaSU_SV_EUlSU_E_NS1_11comp_targetILNS1_3genE9ELNS1_11target_archE1100ELNS1_3gpuE3ELNS1_3repE0EEENS1_30default_config_static_selectorELNS0_4arch9wavefront6targetE1EEEvT1_,"axG",@progbits,_ZN7rocprim17ROCPRIM_400000_NS6detail17trampoline_kernelINS0_14default_configENS1_27scan_by_key_config_selectorIxxEEZZNS1_16scan_by_key_implILNS1_25lookback_scan_determinismE0ELb0ES3_N6thrust23THRUST_200600_302600_NS6detail15normal_iteratorINS9_10device_ptrIxEEEESE_SE_xNS9_4plusIvEENS9_8equal_toIvEExEE10hipError_tPvRmT2_T3_T4_T5_mT6_T7_P12ihipStream_tbENKUlT_T0_E_clISt17integral_constantIbLb0EESZ_EEDaSU_SV_EUlSU_E_NS1_11comp_targetILNS1_3genE9ELNS1_11target_archE1100ELNS1_3gpuE3ELNS1_3repE0EEENS1_30default_config_static_selectorELNS0_4arch9wavefront6targetE1EEEvT1_,comdat
.Lfunc_end12:
	.size	_ZN7rocprim17ROCPRIM_400000_NS6detail17trampoline_kernelINS0_14default_configENS1_27scan_by_key_config_selectorIxxEEZZNS1_16scan_by_key_implILNS1_25lookback_scan_determinismE0ELb0ES3_N6thrust23THRUST_200600_302600_NS6detail15normal_iteratorINS9_10device_ptrIxEEEESE_SE_xNS9_4plusIvEENS9_8equal_toIvEExEE10hipError_tPvRmT2_T3_T4_T5_mT6_T7_P12ihipStream_tbENKUlT_T0_E_clISt17integral_constantIbLb0EESZ_EEDaSU_SV_EUlSU_E_NS1_11comp_targetILNS1_3genE9ELNS1_11target_archE1100ELNS1_3gpuE3ELNS1_3repE0EEENS1_30default_config_static_selectorELNS0_4arch9wavefront6targetE1EEEvT1_, .Lfunc_end12-_ZN7rocprim17ROCPRIM_400000_NS6detail17trampoline_kernelINS0_14default_configENS1_27scan_by_key_config_selectorIxxEEZZNS1_16scan_by_key_implILNS1_25lookback_scan_determinismE0ELb0ES3_N6thrust23THRUST_200600_302600_NS6detail15normal_iteratorINS9_10device_ptrIxEEEESE_SE_xNS9_4plusIvEENS9_8equal_toIvEExEE10hipError_tPvRmT2_T3_T4_T5_mT6_T7_P12ihipStream_tbENKUlT_T0_E_clISt17integral_constantIbLb0EESZ_EEDaSU_SV_EUlSU_E_NS1_11comp_targetILNS1_3genE9ELNS1_11target_archE1100ELNS1_3gpuE3ELNS1_3repE0EEENS1_30default_config_static_selectorELNS0_4arch9wavefront6targetE1EEEvT1_
                                        ; -- End function
	.section	.AMDGPU.csdata,"",@progbits
; Kernel info:
; codeLenInByte = 0
; NumSgprs: 6
; NumVgprs: 0
; NumAgprs: 0
; TotalNumVgprs: 0
; ScratchSize: 0
; MemoryBound: 0
; FloatMode: 240
; IeeeMode: 1
; LDSByteSize: 0 bytes/workgroup (compile time only)
; SGPRBlocks: 0
; VGPRBlocks: 0
; NumSGPRsForWavesPerEU: 6
; NumVGPRsForWavesPerEU: 1
; AccumOffset: 4
; Occupancy: 8
; WaveLimiterHint : 0
; COMPUTE_PGM_RSRC2:SCRATCH_EN: 0
; COMPUTE_PGM_RSRC2:USER_SGPR: 2
; COMPUTE_PGM_RSRC2:TRAP_HANDLER: 0
; COMPUTE_PGM_RSRC2:TGID_X_EN: 1
; COMPUTE_PGM_RSRC2:TGID_Y_EN: 0
; COMPUTE_PGM_RSRC2:TGID_Z_EN: 0
; COMPUTE_PGM_RSRC2:TIDIG_COMP_CNT: 0
; COMPUTE_PGM_RSRC3_GFX90A:ACCUM_OFFSET: 0
; COMPUTE_PGM_RSRC3_GFX90A:TG_SPLIT: 0
	.section	.text._ZN7rocprim17ROCPRIM_400000_NS6detail17trampoline_kernelINS0_14default_configENS1_27scan_by_key_config_selectorIxxEEZZNS1_16scan_by_key_implILNS1_25lookback_scan_determinismE0ELb0ES3_N6thrust23THRUST_200600_302600_NS6detail15normal_iteratorINS9_10device_ptrIxEEEESE_SE_xNS9_4plusIvEENS9_8equal_toIvEExEE10hipError_tPvRmT2_T3_T4_T5_mT6_T7_P12ihipStream_tbENKUlT_T0_E_clISt17integral_constantIbLb0EESZ_EEDaSU_SV_EUlSU_E_NS1_11comp_targetILNS1_3genE8ELNS1_11target_archE1030ELNS1_3gpuE2ELNS1_3repE0EEENS1_30default_config_static_selectorELNS0_4arch9wavefront6targetE1EEEvT1_,"axG",@progbits,_ZN7rocprim17ROCPRIM_400000_NS6detail17trampoline_kernelINS0_14default_configENS1_27scan_by_key_config_selectorIxxEEZZNS1_16scan_by_key_implILNS1_25lookback_scan_determinismE0ELb0ES3_N6thrust23THRUST_200600_302600_NS6detail15normal_iteratorINS9_10device_ptrIxEEEESE_SE_xNS9_4plusIvEENS9_8equal_toIvEExEE10hipError_tPvRmT2_T3_T4_T5_mT6_T7_P12ihipStream_tbENKUlT_T0_E_clISt17integral_constantIbLb0EESZ_EEDaSU_SV_EUlSU_E_NS1_11comp_targetILNS1_3genE8ELNS1_11target_archE1030ELNS1_3gpuE2ELNS1_3repE0EEENS1_30default_config_static_selectorELNS0_4arch9wavefront6targetE1EEEvT1_,comdat
	.protected	_ZN7rocprim17ROCPRIM_400000_NS6detail17trampoline_kernelINS0_14default_configENS1_27scan_by_key_config_selectorIxxEEZZNS1_16scan_by_key_implILNS1_25lookback_scan_determinismE0ELb0ES3_N6thrust23THRUST_200600_302600_NS6detail15normal_iteratorINS9_10device_ptrIxEEEESE_SE_xNS9_4plusIvEENS9_8equal_toIvEExEE10hipError_tPvRmT2_T3_T4_T5_mT6_T7_P12ihipStream_tbENKUlT_T0_E_clISt17integral_constantIbLb0EESZ_EEDaSU_SV_EUlSU_E_NS1_11comp_targetILNS1_3genE8ELNS1_11target_archE1030ELNS1_3gpuE2ELNS1_3repE0EEENS1_30default_config_static_selectorELNS0_4arch9wavefront6targetE1EEEvT1_ ; -- Begin function _ZN7rocprim17ROCPRIM_400000_NS6detail17trampoline_kernelINS0_14default_configENS1_27scan_by_key_config_selectorIxxEEZZNS1_16scan_by_key_implILNS1_25lookback_scan_determinismE0ELb0ES3_N6thrust23THRUST_200600_302600_NS6detail15normal_iteratorINS9_10device_ptrIxEEEESE_SE_xNS9_4plusIvEENS9_8equal_toIvEExEE10hipError_tPvRmT2_T3_T4_T5_mT6_T7_P12ihipStream_tbENKUlT_T0_E_clISt17integral_constantIbLb0EESZ_EEDaSU_SV_EUlSU_E_NS1_11comp_targetILNS1_3genE8ELNS1_11target_archE1030ELNS1_3gpuE2ELNS1_3repE0EEENS1_30default_config_static_selectorELNS0_4arch9wavefront6targetE1EEEvT1_
	.globl	_ZN7rocprim17ROCPRIM_400000_NS6detail17trampoline_kernelINS0_14default_configENS1_27scan_by_key_config_selectorIxxEEZZNS1_16scan_by_key_implILNS1_25lookback_scan_determinismE0ELb0ES3_N6thrust23THRUST_200600_302600_NS6detail15normal_iteratorINS9_10device_ptrIxEEEESE_SE_xNS9_4plusIvEENS9_8equal_toIvEExEE10hipError_tPvRmT2_T3_T4_T5_mT6_T7_P12ihipStream_tbENKUlT_T0_E_clISt17integral_constantIbLb0EESZ_EEDaSU_SV_EUlSU_E_NS1_11comp_targetILNS1_3genE8ELNS1_11target_archE1030ELNS1_3gpuE2ELNS1_3repE0EEENS1_30default_config_static_selectorELNS0_4arch9wavefront6targetE1EEEvT1_
	.p2align	8
	.type	_ZN7rocprim17ROCPRIM_400000_NS6detail17trampoline_kernelINS0_14default_configENS1_27scan_by_key_config_selectorIxxEEZZNS1_16scan_by_key_implILNS1_25lookback_scan_determinismE0ELb0ES3_N6thrust23THRUST_200600_302600_NS6detail15normal_iteratorINS9_10device_ptrIxEEEESE_SE_xNS9_4plusIvEENS9_8equal_toIvEExEE10hipError_tPvRmT2_T3_T4_T5_mT6_T7_P12ihipStream_tbENKUlT_T0_E_clISt17integral_constantIbLb0EESZ_EEDaSU_SV_EUlSU_E_NS1_11comp_targetILNS1_3genE8ELNS1_11target_archE1030ELNS1_3gpuE2ELNS1_3repE0EEENS1_30default_config_static_selectorELNS0_4arch9wavefront6targetE1EEEvT1_,@function
_ZN7rocprim17ROCPRIM_400000_NS6detail17trampoline_kernelINS0_14default_configENS1_27scan_by_key_config_selectorIxxEEZZNS1_16scan_by_key_implILNS1_25lookback_scan_determinismE0ELb0ES3_N6thrust23THRUST_200600_302600_NS6detail15normal_iteratorINS9_10device_ptrIxEEEESE_SE_xNS9_4plusIvEENS9_8equal_toIvEExEE10hipError_tPvRmT2_T3_T4_T5_mT6_T7_P12ihipStream_tbENKUlT_T0_E_clISt17integral_constantIbLb0EESZ_EEDaSU_SV_EUlSU_E_NS1_11comp_targetILNS1_3genE8ELNS1_11target_archE1030ELNS1_3gpuE2ELNS1_3repE0EEENS1_30default_config_static_selectorELNS0_4arch9wavefront6targetE1EEEvT1_: ; @_ZN7rocprim17ROCPRIM_400000_NS6detail17trampoline_kernelINS0_14default_configENS1_27scan_by_key_config_selectorIxxEEZZNS1_16scan_by_key_implILNS1_25lookback_scan_determinismE0ELb0ES3_N6thrust23THRUST_200600_302600_NS6detail15normal_iteratorINS9_10device_ptrIxEEEESE_SE_xNS9_4plusIvEENS9_8equal_toIvEExEE10hipError_tPvRmT2_T3_T4_T5_mT6_T7_P12ihipStream_tbENKUlT_T0_E_clISt17integral_constantIbLb0EESZ_EEDaSU_SV_EUlSU_E_NS1_11comp_targetILNS1_3genE8ELNS1_11target_archE1030ELNS1_3gpuE2ELNS1_3repE0EEENS1_30default_config_static_selectorELNS0_4arch9wavefront6targetE1EEEvT1_
; %bb.0:
	.section	.rodata,"a",@progbits
	.p2align	6, 0x0
	.amdhsa_kernel _ZN7rocprim17ROCPRIM_400000_NS6detail17trampoline_kernelINS0_14default_configENS1_27scan_by_key_config_selectorIxxEEZZNS1_16scan_by_key_implILNS1_25lookback_scan_determinismE0ELb0ES3_N6thrust23THRUST_200600_302600_NS6detail15normal_iteratorINS9_10device_ptrIxEEEESE_SE_xNS9_4plusIvEENS9_8equal_toIvEExEE10hipError_tPvRmT2_T3_T4_T5_mT6_T7_P12ihipStream_tbENKUlT_T0_E_clISt17integral_constantIbLb0EESZ_EEDaSU_SV_EUlSU_E_NS1_11comp_targetILNS1_3genE8ELNS1_11target_archE1030ELNS1_3gpuE2ELNS1_3repE0EEENS1_30default_config_static_selectorELNS0_4arch9wavefront6targetE1EEEvT1_
		.amdhsa_group_segment_fixed_size 0
		.amdhsa_private_segment_fixed_size 0
		.amdhsa_kernarg_size 136
		.amdhsa_user_sgpr_count 2
		.amdhsa_user_sgpr_dispatch_ptr 0
		.amdhsa_user_sgpr_queue_ptr 0
		.amdhsa_user_sgpr_kernarg_segment_ptr 1
		.amdhsa_user_sgpr_dispatch_id 0
		.amdhsa_user_sgpr_kernarg_preload_length 0
		.amdhsa_user_sgpr_kernarg_preload_offset 0
		.amdhsa_user_sgpr_private_segment_size 0
		.amdhsa_uses_dynamic_stack 0
		.amdhsa_enable_private_segment 0
		.amdhsa_system_sgpr_workgroup_id_x 1
		.amdhsa_system_sgpr_workgroup_id_y 0
		.amdhsa_system_sgpr_workgroup_id_z 0
		.amdhsa_system_sgpr_workgroup_info 0
		.amdhsa_system_vgpr_workitem_id 0
		.amdhsa_next_free_vgpr 1
		.amdhsa_next_free_sgpr 0
		.amdhsa_accum_offset 4
		.amdhsa_reserve_vcc 0
		.amdhsa_float_round_mode_32 0
		.amdhsa_float_round_mode_16_64 0
		.amdhsa_float_denorm_mode_32 3
		.amdhsa_float_denorm_mode_16_64 3
		.amdhsa_dx10_clamp 1
		.amdhsa_ieee_mode 1
		.amdhsa_fp16_overflow 0
		.amdhsa_tg_split 0
		.amdhsa_exception_fp_ieee_invalid_op 0
		.amdhsa_exception_fp_denorm_src 0
		.amdhsa_exception_fp_ieee_div_zero 0
		.amdhsa_exception_fp_ieee_overflow 0
		.amdhsa_exception_fp_ieee_underflow 0
		.amdhsa_exception_fp_ieee_inexact 0
		.amdhsa_exception_int_div_zero 0
	.end_amdhsa_kernel
	.section	.text._ZN7rocprim17ROCPRIM_400000_NS6detail17trampoline_kernelINS0_14default_configENS1_27scan_by_key_config_selectorIxxEEZZNS1_16scan_by_key_implILNS1_25lookback_scan_determinismE0ELb0ES3_N6thrust23THRUST_200600_302600_NS6detail15normal_iteratorINS9_10device_ptrIxEEEESE_SE_xNS9_4plusIvEENS9_8equal_toIvEExEE10hipError_tPvRmT2_T3_T4_T5_mT6_T7_P12ihipStream_tbENKUlT_T0_E_clISt17integral_constantIbLb0EESZ_EEDaSU_SV_EUlSU_E_NS1_11comp_targetILNS1_3genE8ELNS1_11target_archE1030ELNS1_3gpuE2ELNS1_3repE0EEENS1_30default_config_static_selectorELNS0_4arch9wavefront6targetE1EEEvT1_,"axG",@progbits,_ZN7rocprim17ROCPRIM_400000_NS6detail17trampoline_kernelINS0_14default_configENS1_27scan_by_key_config_selectorIxxEEZZNS1_16scan_by_key_implILNS1_25lookback_scan_determinismE0ELb0ES3_N6thrust23THRUST_200600_302600_NS6detail15normal_iteratorINS9_10device_ptrIxEEEESE_SE_xNS9_4plusIvEENS9_8equal_toIvEExEE10hipError_tPvRmT2_T3_T4_T5_mT6_T7_P12ihipStream_tbENKUlT_T0_E_clISt17integral_constantIbLb0EESZ_EEDaSU_SV_EUlSU_E_NS1_11comp_targetILNS1_3genE8ELNS1_11target_archE1030ELNS1_3gpuE2ELNS1_3repE0EEENS1_30default_config_static_selectorELNS0_4arch9wavefront6targetE1EEEvT1_,comdat
.Lfunc_end13:
	.size	_ZN7rocprim17ROCPRIM_400000_NS6detail17trampoline_kernelINS0_14default_configENS1_27scan_by_key_config_selectorIxxEEZZNS1_16scan_by_key_implILNS1_25lookback_scan_determinismE0ELb0ES3_N6thrust23THRUST_200600_302600_NS6detail15normal_iteratorINS9_10device_ptrIxEEEESE_SE_xNS9_4plusIvEENS9_8equal_toIvEExEE10hipError_tPvRmT2_T3_T4_T5_mT6_T7_P12ihipStream_tbENKUlT_T0_E_clISt17integral_constantIbLb0EESZ_EEDaSU_SV_EUlSU_E_NS1_11comp_targetILNS1_3genE8ELNS1_11target_archE1030ELNS1_3gpuE2ELNS1_3repE0EEENS1_30default_config_static_selectorELNS0_4arch9wavefront6targetE1EEEvT1_, .Lfunc_end13-_ZN7rocprim17ROCPRIM_400000_NS6detail17trampoline_kernelINS0_14default_configENS1_27scan_by_key_config_selectorIxxEEZZNS1_16scan_by_key_implILNS1_25lookback_scan_determinismE0ELb0ES3_N6thrust23THRUST_200600_302600_NS6detail15normal_iteratorINS9_10device_ptrIxEEEESE_SE_xNS9_4plusIvEENS9_8equal_toIvEExEE10hipError_tPvRmT2_T3_T4_T5_mT6_T7_P12ihipStream_tbENKUlT_T0_E_clISt17integral_constantIbLb0EESZ_EEDaSU_SV_EUlSU_E_NS1_11comp_targetILNS1_3genE8ELNS1_11target_archE1030ELNS1_3gpuE2ELNS1_3repE0EEENS1_30default_config_static_selectorELNS0_4arch9wavefront6targetE1EEEvT1_
                                        ; -- End function
	.section	.AMDGPU.csdata,"",@progbits
; Kernel info:
; codeLenInByte = 0
; NumSgprs: 6
; NumVgprs: 0
; NumAgprs: 0
; TotalNumVgprs: 0
; ScratchSize: 0
; MemoryBound: 0
; FloatMode: 240
; IeeeMode: 1
; LDSByteSize: 0 bytes/workgroup (compile time only)
; SGPRBlocks: 0
; VGPRBlocks: 0
; NumSGPRsForWavesPerEU: 6
; NumVGPRsForWavesPerEU: 1
; AccumOffset: 4
; Occupancy: 8
; WaveLimiterHint : 0
; COMPUTE_PGM_RSRC2:SCRATCH_EN: 0
; COMPUTE_PGM_RSRC2:USER_SGPR: 2
; COMPUTE_PGM_RSRC2:TRAP_HANDLER: 0
; COMPUTE_PGM_RSRC2:TGID_X_EN: 1
; COMPUTE_PGM_RSRC2:TGID_Y_EN: 0
; COMPUTE_PGM_RSRC2:TGID_Z_EN: 0
; COMPUTE_PGM_RSRC2:TIDIG_COMP_CNT: 0
; COMPUTE_PGM_RSRC3_GFX90A:ACCUM_OFFSET: 0
; COMPUTE_PGM_RSRC3_GFX90A:TG_SPLIT: 0
	.section	.text._ZN7rocprim17ROCPRIM_400000_NS6detail30init_device_scan_by_key_kernelINS1_19lookback_scan_stateINS0_5tupleIJxbEEELb1ELb0EEEN6thrust23THRUST_200600_302600_NS6detail15normal_iteratorINS8_10device_ptrIxEEEEjNS1_16block_id_wrapperIjLb1EEEEEvT_jjPNSG_10value_typeET0_PNSt15iterator_traitsISJ_E10value_typeEmT1_T2_,"axG",@progbits,_ZN7rocprim17ROCPRIM_400000_NS6detail30init_device_scan_by_key_kernelINS1_19lookback_scan_stateINS0_5tupleIJxbEEELb1ELb0EEEN6thrust23THRUST_200600_302600_NS6detail15normal_iteratorINS8_10device_ptrIxEEEEjNS1_16block_id_wrapperIjLb1EEEEEvT_jjPNSG_10value_typeET0_PNSt15iterator_traitsISJ_E10value_typeEmT1_T2_,comdat
	.protected	_ZN7rocprim17ROCPRIM_400000_NS6detail30init_device_scan_by_key_kernelINS1_19lookback_scan_stateINS0_5tupleIJxbEEELb1ELb0EEEN6thrust23THRUST_200600_302600_NS6detail15normal_iteratorINS8_10device_ptrIxEEEEjNS1_16block_id_wrapperIjLb1EEEEEvT_jjPNSG_10value_typeET0_PNSt15iterator_traitsISJ_E10value_typeEmT1_T2_ ; -- Begin function _ZN7rocprim17ROCPRIM_400000_NS6detail30init_device_scan_by_key_kernelINS1_19lookback_scan_stateINS0_5tupleIJxbEEELb1ELb0EEEN6thrust23THRUST_200600_302600_NS6detail15normal_iteratorINS8_10device_ptrIxEEEEjNS1_16block_id_wrapperIjLb1EEEEEvT_jjPNSG_10value_typeET0_PNSt15iterator_traitsISJ_E10value_typeEmT1_T2_
	.globl	_ZN7rocprim17ROCPRIM_400000_NS6detail30init_device_scan_by_key_kernelINS1_19lookback_scan_stateINS0_5tupleIJxbEEELb1ELb0EEEN6thrust23THRUST_200600_302600_NS6detail15normal_iteratorINS8_10device_ptrIxEEEEjNS1_16block_id_wrapperIjLb1EEEEEvT_jjPNSG_10value_typeET0_PNSt15iterator_traitsISJ_E10value_typeEmT1_T2_
	.p2align	8
	.type	_ZN7rocprim17ROCPRIM_400000_NS6detail30init_device_scan_by_key_kernelINS1_19lookback_scan_stateINS0_5tupleIJxbEEELb1ELb0EEEN6thrust23THRUST_200600_302600_NS6detail15normal_iteratorINS8_10device_ptrIxEEEEjNS1_16block_id_wrapperIjLb1EEEEEvT_jjPNSG_10value_typeET0_PNSt15iterator_traitsISJ_E10value_typeEmT1_T2_,@function
_ZN7rocprim17ROCPRIM_400000_NS6detail30init_device_scan_by_key_kernelINS1_19lookback_scan_stateINS0_5tupleIJxbEEELb1ELb0EEEN6thrust23THRUST_200600_302600_NS6detail15normal_iteratorINS8_10device_ptrIxEEEEjNS1_16block_id_wrapperIjLb1EEEEEvT_jjPNSG_10value_typeET0_PNSt15iterator_traitsISJ_E10value_typeEmT1_T2_: ; @_ZN7rocprim17ROCPRIM_400000_NS6detail30init_device_scan_by_key_kernelINS1_19lookback_scan_stateINS0_5tupleIJxbEEELb1ELb0EEEN6thrust23THRUST_200600_302600_NS6detail15normal_iteratorINS8_10device_ptrIxEEEEjNS1_16block_id_wrapperIjLb1EEEEEvT_jjPNSG_10value_typeET0_PNSt15iterator_traitsISJ_E10value_typeEmT1_T2_
; %bb.0:
	s_load_dword s3, s[0:1], 0x5c
	s_load_dwordx8 s[4:11], s[0:1], 0x10
	s_load_dword s20, s[0:1], 0x50
	s_waitcnt lgkmcnt(0)
	s_and_b32 s21, s3, 0xffff
	s_mul_i32 s2, s2, s21
	s_cmp_eq_u64 s[8:9], 0
	v_add_u32_e32 v0, s2, v0
	s_cbranch_scc1 .LBB14_11
; %bb.1:
	s_cmp_lt_u32 s7, s6
	s_cselect_b32 s2, s7, 0
	s_mov_b32 s17, 0
	v_cmp_eq_u32_e32 vcc, s2, v0
	s_and_saveexec_b64 s[2:3], vcc
	s_cbranch_execz .LBB14_10
; %bb.2:
	s_add_i32 s16, s7, 64
	v_mov_b32_e32 v1, s16
	global_load_ubyte v1, v1, s[4:5] sc1
	s_load_dwordx4 s[12:15], s[0:1], 0x0
	s_add_u32 s18, s4, s16
	s_addc_u32 s19, s5, 0
	s_waitcnt vmcnt(0)
	v_cmp_ne_u16_e32 vcc, 0, v1
	v_readfirstlane_b32 s7, v1
	s_cbranch_vccz .LBB14_4
; %bb.3:
	s_and_b32 s7, 0xffff, s7
	s_branch .LBB14_9
.LBB14_4:
	s_mov_b32 s7, 1
	v_mov_b32_e32 v1, 0
.LBB14_5:                               ; =>This Loop Header: Depth=1
                                        ;     Child Loop BB14_6 Depth 2
	s_max_u32 s22, s7, 1
.LBB14_6:                               ;   Parent Loop BB14_5 Depth=1
                                        ; =>  This Inner Loop Header: Depth=2
	s_add_i32 s22, s22, -1
	s_cmp_eq_u32 s22, 0
	s_sleep 1
	s_cbranch_scc0 .LBB14_6
; %bb.7:                                ;   in Loop: Header=BB14_5 Depth=1
	global_load_ubyte v2, v1, s[18:19] sc1
	s_cmp_lt_u32 s7, 32
	s_cselect_b64 s[22:23], -1, 0
	s_cmp_lg_u64 s[22:23], 0
	s_addc_u32 s7, s7, 0
	s_waitcnt vmcnt(0)
	v_cmp_ne_u16_e32 vcc, 0, v2
	v_readfirstlane_b32 s22, v2
	s_cbranch_vccz .LBB14_5
; %bb.8:
	s_and_b32 s7, 0xffff, s22
.LBB14_9:
	s_cmp_eq_u32 s7, 1
	s_waitcnt lgkmcnt(0)
	s_cselect_b32 s7, s13, s15
	s_cselect_b32 s14, s12, s14
	s_lshl_b64 s[12:13], s[16:17], 4
	s_add_u32 s12, s14, s12
	s_addc_u32 s13, s7, s13
	v_mov_b32_e32 v1, 0
	s_waitcnt vmcnt(0)
	global_load_dword v2, v1, s[12:13] sc1
	global_load_dword v3, v1, s[12:13] offset:4 sc1
	global_load_dword v4, v1, s[12:13] offset:8 sc1
	;; [unrolled: 1-line block ×3, first 2 shown]
	s_waitcnt vmcnt(2)
	global_store_dwordx2 v1, v[2:3], s[8:9]
	s_waitcnt vmcnt(2)
	global_store_byte v1, v4, s[8:9] offset:8
.LBB14_10:
	s_or_b64 exec, exec, s[2:3]
.LBB14_11:
	v_cmp_eq_u32_e32 vcc, 0, v0
	s_and_saveexec_b64 s[2:3], vcc
	s_cbranch_execz .LBB14_13
; %bb.12:
	s_load_dwordx2 s[8:9], s[0:1], 0x48
	v_mov_b32_e32 v1, 0
	s_waitcnt lgkmcnt(0)
	global_store_dword v1, v1, s[8:9]
.LBB14_13:
	s_or_b64 exec, exec, s[2:3]
	v_cmp_gt_u32_e32 vcc, s6, v0
	s_and_saveexec_b64 s[2:3], vcc
	s_cbranch_execz .LBB14_15
; %bb.14:
	v_add_u32_e32 v1, 64, v0
	v_mov_b32_e32 v2, 0
	global_store_byte v1, v2, s[4:5]
.LBB14_15:
	s_or_b64 exec, exec, s[2:3]
	v_cmp_gt_u32_e32 vcc, 64, v0
	v_mov_b32_e32 v1, 0
	s_and_saveexec_b64 s[2:3], vcc
	s_cbranch_execz .LBB14_17
; %bb.16:
	v_lshl_add_u64 v[2:3], s[4:5], 0, v[0:1]
	v_mov_b32_e32 v4, 0xff
	global_store_byte v[2:3], v4, off
.LBB14_17:
	s_or_b64 exec, exec, s[2:3]
	s_load_dwordx2 s[2:3], s[0:1], 0x38
	s_waitcnt lgkmcnt(0)
	v_cmp_gt_u64_e32 vcc, s[2:3], v[0:1]
	s_and_saveexec_b64 s[4:5], vcc
	s_cbranch_execz .LBB14_20
; %bb.18:
	s_load_dword s12, s[0:1], 0x40
	s_load_dwordx2 s[6:7], s[0:1], 0x30
	s_mov_b32 s5, 0
	s_mov_b32 s1, s5
	s_mul_i32 s0, s20, s21
	s_waitcnt lgkmcnt(0)
	s_add_i32 s4, s12, -1
	s_lshl_b64 s[4:5], s[4:5], 3
	s_add_u32 s4, s10, s4
	v_mad_u64_u32 v[2:3], s[8:9], s12, v0, 0
	s_addc_u32 s5, s11, s5
	v_lshl_add_u64 v[2:3], v[2:3], 3, s[4:5]
	s_mul_hi_u32 s5, s12, s0
	s_mul_i32 s4, s12, s0
	s_lshl_b64 s[4:5], s[4:5], 3
	s_waitcnt vmcnt(2)
	v_lshl_add_u64 v[4:5], v[0:1], 3, s[6:7]
	s_lshl_b64 s[6:7], s[0:1], 3
	s_mov_b64 s[8:9], 0
.LBB14_19:                              ; =>This Inner Loop Header: Depth=1
	global_load_dwordx2 v[6:7], v[2:3], off
	v_lshl_add_u64 v[0:1], v[0:1], 0, s[0:1]
	v_cmp_le_u64_e32 vcc, s[2:3], v[0:1]
	v_lshl_add_u64 v[2:3], v[2:3], 0, s[4:5]
	s_or_b64 s[8:9], vcc, s[8:9]
	s_waitcnt vmcnt(0)
	global_store_dwordx2 v[4:5], v[6:7], off
	v_lshl_add_u64 v[4:5], v[4:5], 0, s[6:7]
	s_andn2_b64 exec, exec, s[8:9]
	s_cbranch_execnz .LBB14_19
.LBB14_20:
	s_endpgm
	.section	.rodata,"a",@progbits
	.p2align	6, 0x0
	.amdhsa_kernel _ZN7rocprim17ROCPRIM_400000_NS6detail30init_device_scan_by_key_kernelINS1_19lookback_scan_stateINS0_5tupleIJxbEEELb1ELb0EEEN6thrust23THRUST_200600_302600_NS6detail15normal_iteratorINS8_10device_ptrIxEEEEjNS1_16block_id_wrapperIjLb1EEEEEvT_jjPNSG_10value_typeET0_PNSt15iterator_traitsISJ_E10value_typeEmT1_T2_
		.amdhsa_group_segment_fixed_size 0
		.amdhsa_private_segment_fixed_size 0
		.amdhsa_kernarg_size 336
		.amdhsa_user_sgpr_count 2
		.amdhsa_user_sgpr_dispatch_ptr 0
		.amdhsa_user_sgpr_queue_ptr 0
		.amdhsa_user_sgpr_kernarg_segment_ptr 1
		.amdhsa_user_sgpr_dispatch_id 0
		.amdhsa_user_sgpr_kernarg_preload_length 0
		.amdhsa_user_sgpr_kernarg_preload_offset 0
		.amdhsa_user_sgpr_private_segment_size 0
		.amdhsa_uses_dynamic_stack 0
		.amdhsa_enable_private_segment 0
		.amdhsa_system_sgpr_workgroup_id_x 1
		.amdhsa_system_sgpr_workgroup_id_y 0
		.amdhsa_system_sgpr_workgroup_id_z 0
		.amdhsa_system_sgpr_workgroup_info 0
		.amdhsa_system_vgpr_workitem_id 0
		.amdhsa_next_free_vgpr 8
		.amdhsa_next_free_sgpr 24
		.amdhsa_accum_offset 8
		.amdhsa_reserve_vcc 1
		.amdhsa_float_round_mode_32 0
		.amdhsa_float_round_mode_16_64 0
		.amdhsa_float_denorm_mode_32 3
		.amdhsa_float_denorm_mode_16_64 3
		.amdhsa_dx10_clamp 1
		.amdhsa_ieee_mode 1
		.amdhsa_fp16_overflow 0
		.amdhsa_tg_split 0
		.amdhsa_exception_fp_ieee_invalid_op 0
		.amdhsa_exception_fp_denorm_src 0
		.amdhsa_exception_fp_ieee_div_zero 0
		.amdhsa_exception_fp_ieee_overflow 0
		.amdhsa_exception_fp_ieee_underflow 0
		.amdhsa_exception_fp_ieee_inexact 0
		.amdhsa_exception_int_div_zero 0
	.end_amdhsa_kernel
	.section	.text._ZN7rocprim17ROCPRIM_400000_NS6detail30init_device_scan_by_key_kernelINS1_19lookback_scan_stateINS0_5tupleIJxbEEELb1ELb0EEEN6thrust23THRUST_200600_302600_NS6detail15normal_iteratorINS8_10device_ptrIxEEEEjNS1_16block_id_wrapperIjLb1EEEEEvT_jjPNSG_10value_typeET0_PNSt15iterator_traitsISJ_E10value_typeEmT1_T2_,"axG",@progbits,_ZN7rocprim17ROCPRIM_400000_NS6detail30init_device_scan_by_key_kernelINS1_19lookback_scan_stateINS0_5tupleIJxbEEELb1ELb0EEEN6thrust23THRUST_200600_302600_NS6detail15normal_iteratorINS8_10device_ptrIxEEEEjNS1_16block_id_wrapperIjLb1EEEEEvT_jjPNSG_10value_typeET0_PNSt15iterator_traitsISJ_E10value_typeEmT1_T2_,comdat
.Lfunc_end14:
	.size	_ZN7rocprim17ROCPRIM_400000_NS6detail30init_device_scan_by_key_kernelINS1_19lookback_scan_stateINS0_5tupleIJxbEEELb1ELb0EEEN6thrust23THRUST_200600_302600_NS6detail15normal_iteratorINS8_10device_ptrIxEEEEjNS1_16block_id_wrapperIjLb1EEEEEvT_jjPNSG_10value_typeET0_PNSt15iterator_traitsISJ_E10value_typeEmT1_T2_, .Lfunc_end14-_ZN7rocprim17ROCPRIM_400000_NS6detail30init_device_scan_by_key_kernelINS1_19lookback_scan_stateINS0_5tupleIJxbEEELb1ELb0EEEN6thrust23THRUST_200600_302600_NS6detail15normal_iteratorINS8_10device_ptrIxEEEEjNS1_16block_id_wrapperIjLb1EEEEEvT_jjPNSG_10value_typeET0_PNSt15iterator_traitsISJ_E10value_typeEmT1_T2_
                                        ; -- End function
	.section	.AMDGPU.csdata,"",@progbits
; Kernel info:
; codeLenInByte = 608
; NumSgprs: 30
; NumVgprs: 8
; NumAgprs: 0
; TotalNumVgprs: 8
; ScratchSize: 0
; MemoryBound: 0
; FloatMode: 240
; IeeeMode: 1
; LDSByteSize: 0 bytes/workgroup (compile time only)
; SGPRBlocks: 3
; VGPRBlocks: 0
; NumSGPRsForWavesPerEU: 30
; NumVGPRsForWavesPerEU: 8
; AccumOffset: 8
; Occupancy: 8
; WaveLimiterHint : 0
; COMPUTE_PGM_RSRC2:SCRATCH_EN: 0
; COMPUTE_PGM_RSRC2:USER_SGPR: 2
; COMPUTE_PGM_RSRC2:TRAP_HANDLER: 0
; COMPUTE_PGM_RSRC2:TGID_X_EN: 1
; COMPUTE_PGM_RSRC2:TGID_Y_EN: 0
; COMPUTE_PGM_RSRC2:TGID_Z_EN: 0
; COMPUTE_PGM_RSRC2:TIDIG_COMP_CNT: 0
; COMPUTE_PGM_RSRC3_GFX90A:ACCUM_OFFSET: 1
; COMPUTE_PGM_RSRC3_GFX90A:TG_SPLIT: 0
	.section	.text._ZN7rocprim17ROCPRIM_400000_NS6detail30init_device_scan_by_key_kernelINS1_19lookback_scan_stateINS0_5tupleIJxbEEELb1ELb0EEENS1_16block_id_wrapperIjLb1EEEEEvT_jjPNS9_10value_typeET0_,"axG",@progbits,_ZN7rocprim17ROCPRIM_400000_NS6detail30init_device_scan_by_key_kernelINS1_19lookback_scan_stateINS0_5tupleIJxbEEELb1ELb0EEENS1_16block_id_wrapperIjLb1EEEEEvT_jjPNS9_10value_typeET0_,comdat
	.protected	_ZN7rocprim17ROCPRIM_400000_NS6detail30init_device_scan_by_key_kernelINS1_19lookback_scan_stateINS0_5tupleIJxbEEELb1ELb0EEENS1_16block_id_wrapperIjLb1EEEEEvT_jjPNS9_10value_typeET0_ ; -- Begin function _ZN7rocprim17ROCPRIM_400000_NS6detail30init_device_scan_by_key_kernelINS1_19lookback_scan_stateINS0_5tupleIJxbEEELb1ELb0EEENS1_16block_id_wrapperIjLb1EEEEEvT_jjPNS9_10value_typeET0_
	.globl	_ZN7rocprim17ROCPRIM_400000_NS6detail30init_device_scan_by_key_kernelINS1_19lookback_scan_stateINS0_5tupleIJxbEEELb1ELb0EEENS1_16block_id_wrapperIjLb1EEEEEvT_jjPNS9_10value_typeET0_
	.p2align	8
	.type	_ZN7rocprim17ROCPRIM_400000_NS6detail30init_device_scan_by_key_kernelINS1_19lookback_scan_stateINS0_5tupleIJxbEEELb1ELb0EEENS1_16block_id_wrapperIjLb1EEEEEvT_jjPNS9_10value_typeET0_,@function
_ZN7rocprim17ROCPRIM_400000_NS6detail30init_device_scan_by_key_kernelINS1_19lookback_scan_stateINS0_5tupleIJxbEEELb1ELb0EEENS1_16block_id_wrapperIjLb1EEEEEvT_jjPNS9_10value_typeET0_: ; @_ZN7rocprim17ROCPRIM_400000_NS6detail30init_device_scan_by_key_kernelINS1_19lookback_scan_stateINS0_5tupleIJxbEEELb1ELb0EEENS1_16block_id_wrapperIjLb1EEEEEvT_jjPNS9_10value_typeET0_
; %bb.0:
	s_load_dword s3, s[0:1], 0x3c
	s_load_dwordx8 s[4:11], s[0:1], 0x10
	s_waitcnt lgkmcnt(0)
	s_and_b32 s3, s3, 0xffff
	s_mul_i32 s2, s2, s3
	s_cmp_eq_u64 s[8:9], 0
	v_add_u32_e32 v0, s2, v0
	s_cbranch_scc1 .LBB15_11
; %bb.1:
	s_cmp_lt_u32 s7, s6
	s_cselect_b32 s2, s7, 0
	s_mov_b32 s15, 0
	v_cmp_eq_u32_e32 vcc, s2, v0
	s_and_saveexec_b64 s[12:13], vcc
	s_cbranch_execz .LBB15_10
; %bb.2:
	s_add_i32 s14, s7, 64
	v_mov_b32_e32 v1, s14
	global_load_ubyte v1, v1, s[4:5] sc1
	s_load_dwordx4 s[0:3], s[0:1], 0x0
	s_add_u32 s16, s4, s14
	s_addc_u32 s17, s5, 0
	s_waitcnt vmcnt(0)
	v_cmp_ne_u16_e32 vcc, 0, v1
	v_readfirstlane_b32 s7, v1
	s_cbranch_vccz .LBB15_4
; %bb.3:
	s_and_b32 s7, 0xffff, s7
	s_branch .LBB15_9
.LBB15_4:
	s_mov_b32 s7, 1
	v_mov_b32_e32 v1, 0
.LBB15_5:                               ; =>This Loop Header: Depth=1
                                        ;     Child Loop BB15_6 Depth 2
	s_max_u32 s18, s7, 1
.LBB15_6:                               ;   Parent Loop BB15_5 Depth=1
                                        ; =>  This Inner Loop Header: Depth=2
	s_add_i32 s18, s18, -1
	s_cmp_eq_u32 s18, 0
	s_sleep 1
	s_cbranch_scc0 .LBB15_6
; %bb.7:                                ;   in Loop: Header=BB15_5 Depth=1
	global_load_ubyte v2, v1, s[16:17] sc1
	s_cmp_lt_u32 s7, 32
	s_cselect_b64 s[18:19], -1, 0
	s_cmp_lg_u64 s[18:19], 0
	s_addc_u32 s7, s7, 0
	s_waitcnt vmcnt(0)
	v_cmp_ne_u16_e32 vcc, 0, v2
	v_readfirstlane_b32 s18, v2
	s_cbranch_vccz .LBB15_5
; %bb.8:
	s_and_b32 s7, 0xffff, s18
.LBB15_9:
	s_cmp_eq_u32 s7, 1
	s_waitcnt lgkmcnt(0)
	s_cselect_b32 s3, s1, s3
	s_cselect_b32 s2, s0, s2
	s_lshl_b64 s[0:1], s[14:15], 4
	s_add_u32 s0, s2, s0
	s_addc_u32 s1, s3, s1
	v_mov_b32_e32 v1, 0
	s_waitcnt vmcnt(0)
	global_load_dword v2, v1, s[0:1] sc1
	global_load_dword v3, v1, s[0:1] offset:4 sc1
	global_load_dword v4, v1, s[0:1] offset:8 sc1
	;; [unrolled: 1-line block ×3, first 2 shown]
	s_waitcnt vmcnt(2)
	global_store_dwordx2 v1, v[2:3], s[8:9]
	s_waitcnt vmcnt(2)
	global_store_byte v1, v4, s[8:9] offset:8
.LBB15_10:
	s_or_b64 exec, exec, s[12:13]
.LBB15_11:
	v_cmp_eq_u32_e32 vcc, 0, v0
	s_and_saveexec_b64 s[0:1], vcc
	s_cbranch_execnz .LBB15_15
; %bb.12:
	s_or_b64 exec, exec, s[0:1]
	v_cmp_gt_u32_e32 vcc, s6, v0
	s_and_saveexec_b64 s[0:1], vcc
	s_cbranch_execnz .LBB15_16
.LBB15_13:
	s_or_b64 exec, exec, s[0:1]
	v_cmp_gt_u32_e32 vcc, 64, v0
	s_and_saveexec_b64 s[0:1], vcc
	s_cbranch_execnz .LBB15_17
.LBB15_14:
	s_endpgm
.LBB15_15:
	v_mov_b32_e32 v1, 0
	global_store_dword v1, v1, s[10:11]
	s_or_b64 exec, exec, s[0:1]
	v_cmp_gt_u32_e32 vcc, s6, v0
	s_and_saveexec_b64 s[0:1], vcc
	s_cbranch_execz .LBB15_13
.LBB15_16:
	v_add_u32_e32 v1, 64, v0
	v_mov_b32_e32 v2, 0
	global_store_byte v1, v2, s[4:5]
	s_or_b64 exec, exec, s[0:1]
	v_cmp_gt_u32_e32 vcc, 64, v0
	s_and_saveexec_b64 s[0:1], vcc
	s_cbranch_execz .LBB15_14
.LBB15_17:
	v_mov_b32_e32 v1, 0xff
	global_store_byte v0, v1, s[4:5]
	s_endpgm
	.section	.rodata,"a",@progbits
	.p2align	6, 0x0
	.amdhsa_kernel _ZN7rocprim17ROCPRIM_400000_NS6detail30init_device_scan_by_key_kernelINS1_19lookback_scan_stateINS0_5tupleIJxbEEELb1ELb0EEENS1_16block_id_wrapperIjLb1EEEEEvT_jjPNS9_10value_typeET0_
		.amdhsa_group_segment_fixed_size 0
		.amdhsa_private_segment_fixed_size 0
		.amdhsa_kernarg_size 304
		.amdhsa_user_sgpr_count 2
		.amdhsa_user_sgpr_dispatch_ptr 0
		.amdhsa_user_sgpr_queue_ptr 0
		.amdhsa_user_sgpr_kernarg_segment_ptr 1
		.amdhsa_user_sgpr_dispatch_id 0
		.amdhsa_user_sgpr_kernarg_preload_length 0
		.amdhsa_user_sgpr_kernarg_preload_offset 0
		.amdhsa_user_sgpr_private_segment_size 0
		.amdhsa_uses_dynamic_stack 0
		.amdhsa_enable_private_segment 0
		.amdhsa_system_sgpr_workgroup_id_x 1
		.amdhsa_system_sgpr_workgroup_id_y 0
		.amdhsa_system_sgpr_workgroup_id_z 0
		.amdhsa_system_sgpr_workgroup_info 0
		.amdhsa_system_vgpr_workitem_id 0
		.amdhsa_next_free_vgpr 6
		.amdhsa_next_free_sgpr 20
		.amdhsa_accum_offset 8
		.amdhsa_reserve_vcc 1
		.amdhsa_float_round_mode_32 0
		.amdhsa_float_round_mode_16_64 0
		.amdhsa_float_denorm_mode_32 3
		.amdhsa_float_denorm_mode_16_64 3
		.amdhsa_dx10_clamp 1
		.amdhsa_ieee_mode 1
		.amdhsa_fp16_overflow 0
		.amdhsa_tg_split 0
		.amdhsa_exception_fp_ieee_invalid_op 0
		.amdhsa_exception_fp_denorm_src 0
		.amdhsa_exception_fp_ieee_div_zero 0
		.amdhsa_exception_fp_ieee_overflow 0
		.amdhsa_exception_fp_ieee_underflow 0
		.amdhsa_exception_fp_ieee_inexact 0
		.amdhsa_exception_int_div_zero 0
	.end_amdhsa_kernel
	.section	.text._ZN7rocprim17ROCPRIM_400000_NS6detail30init_device_scan_by_key_kernelINS1_19lookback_scan_stateINS0_5tupleIJxbEEELb1ELb0EEENS1_16block_id_wrapperIjLb1EEEEEvT_jjPNS9_10value_typeET0_,"axG",@progbits,_ZN7rocprim17ROCPRIM_400000_NS6detail30init_device_scan_by_key_kernelINS1_19lookback_scan_stateINS0_5tupleIJxbEEELb1ELb0EEENS1_16block_id_wrapperIjLb1EEEEEvT_jjPNS9_10value_typeET0_,comdat
.Lfunc_end15:
	.size	_ZN7rocprim17ROCPRIM_400000_NS6detail30init_device_scan_by_key_kernelINS1_19lookback_scan_stateINS0_5tupleIJxbEEELb1ELb0EEENS1_16block_id_wrapperIjLb1EEEEEvT_jjPNS9_10value_typeET0_, .Lfunc_end15-_ZN7rocprim17ROCPRIM_400000_NS6detail30init_device_scan_by_key_kernelINS1_19lookback_scan_stateINS0_5tupleIJxbEEELb1ELb0EEENS1_16block_id_wrapperIjLb1EEEEEvT_jjPNS9_10value_typeET0_
                                        ; -- End function
	.section	.AMDGPU.csdata,"",@progbits
; Kernel info:
; codeLenInByte = 428
; NumSgprs: 26
; NumVgprs: 6
; NumAgprs: 0
; TotalNumVgprs: 6
; ScratchSize: 0
; MemoryBound: 0
; FloatMode: 240
; IeeeMode: 1
; LDSByteSize: 0 bytes/workgroup (compile time only)
; SGPRBlocks: 3
; VGPRBlocks: 0
; NumSGPRsForWavesPerEU: 26
; NumVGPRsForWavesPerEU: 6
; AccumOffset: 8
; Occupancy: 8
; WaveLimiterHint : 0
; COMPUTE_PGM_RSRC2:SCRATCH_EN: 0
; COMPUTE_PGM_RSRC2:USER_SGPR: 2
; COMPUTE_PGM_RSRC2:TRAP_HANDLER: 0
; COMPUTE_PGM_RSRC2:TGID_X_EN: 1
; COMPUTE_PGM_RSRC2:TGID_Y_EN: 0
; COMPUTE_PGM_RSRC2:TGID_Z_EN: 0
; COMPUTE_PGM_RSRC2:TIDIG_COMP_CNT: 0
; COMPUTE_PGM_RSRC3_GFX90A:ACCUM_OFFSET: 1
; COMPUTE_PGM_RSRC3_GFX90A:TG_SPLIT: 0
	.section	.text._ZN7rocprim17ROCPRIM_400000_NS6detail17trampoline_kernelINS0_14default_configENS1_27scan_by_key_config_selectorIxxEEZZNS1_16scan_by_key_implILNS1_25lookback_scan_determinismE0ELb0ES3_N6thrust23THRUST_200600_302600_NS6detail15normal_iteratorINS9_10device_ptrIxEEEESE_SE_xNS9_4plusIvEENS9_8equal_toIvEExEE10hipError_tPvRmT2_T3_T4_T5_mT6_T7_P12ihipStream_tbENKUlT_T0_E_clISt17integral_constantIbLb1EESZ_EEDaSU_SV_EUlSU_E_NS1_11comp_targetILNS1_3genE0ELNS1_11target_archE4294967295ELNS1_3gpuE0ELNS1_3repE0EEENS1_30default_config_static_selectorELNS0_4arch9wavefront6targetE1EEEvT1_,"axG",@progbits,_ZN7rocprim17ROCPRIM_400000_NS6detail17trampoline_kernelINS0_14default_configENS1_27scan_by_key_config_selectorIxxEEZZNS1_16scan_by_key_implILNS1_25lookback_scan_determinismE0ELb0ES3_N6thrust23THRUST_200600_302600_NS6detail15normal_iteratorINS9_10device_ptrIxEEEESE_SE_xNS9_4plusIvEENS9_8equal_toIvEExEE10hipError_tPvRmT2_T3_T4_T5_mT6_T7_P12ihipStream_tbENKUlT_T0_E_clISt17integral_constantIbLb1EESZ_EEDaSU_SV_EUlSU_E_NS1_11comp_targetILNS1_3genE0ELNS1_11target_archE4294967295ELNS1_3gpuE0ELNS1_3repE0EEENS1_30default_config_static_selectorELNS0_4arch9wavefront6targetE1EEEvT1_,comdat
	.protected	_ZN7rocprim17ROCPRIM_400000_NS6detail17trampoline_kernelINS0_14default_configENS1_27scan_by_key_config_selectorIxxEEZZNS1_16scan_by_key_implILNS1_25lookback_scan_determinismE0ELb0ES3_N6thrust23THRUST_200600_302600_NS6detail15normal_iteratorINS9_10device_ptrIxEEEESE_SE_xNS9_4plusIvEENS9_8equal_toIvEExEE10hipError_tPvRmT2_T3_T4_T5_mT6_T7_P12ihipStream_tbENKUlT_T0_E_clISt17integral_constantIbLb1EESZ_EEDaSU_SV_EUlSU_E_NS1_11comp_targetILNS1_3genE0ELNS1_11target_archE4294967295ELNS1_3gpuE0ELNS1_3repE0EEENS1_30default_config_static_selectorELNS0_4arch9wavefront6targetE1EEEvT1_ ; -- Begin function _ZN7rocprim17ROCPRIM_400000_NS6detail17trampoline_kernelINS0_14default_configENS1_27scan_by_key_config_selectorIxxEEZZNS1_16scan_by_key_implILNS1_25lookback_scan_determinismE0ELb0ES3_N6thrust23THRUST_200600_302600_NS6detail15normal_iteratorINS9_10device_ptrIxEEEESE_SE_xNS9_4plusIvEENS9_8equal_toIvEExEE10hipError_tPvRmT2_T3_T4_T5_mT6_T7_P12ihipStream_tbENKUlT_T0_E_clISt17integral_constantIbLb1EESZ_EEDaSU_SV_EUlSU_E_NS1_11comp_targetILNS1_3genE0ELNS1_11target_archE4294967295ELNS1_3gpuE0ELNS1_3repE0EEENS1_30default_config_static_selectorELNS0_4arch9wavefront6targetE1EEEvT1_
	.globl	_ZN7rocprim17ROCPRIM_400000_NS6detail17trampoline_kernelINS0_14default_configENS1_27scan_by_key_config_selectorIxxEEZZNS1_16scan_by_key_implILNS1_25lookback_scan_determinismE0ELb0ES3_N6thrust23THRUST_200600_302600_NS6detail15normal_iteratorINS9_10device_ptrIxEEEESE_SE_xNS9_4plusIvEENS9_8equal_toIvEExEE10hipError_tPvRmT2_T3_T4_T5_mT6_T7_P12ihipStream_tbENKUlT_T0_E_clISt17integral_constantIbLb1EESZ_EEDaSU_SV_EUlSU_E_NS1_11comp_targetILNS1_3genE0ELNS1_11target_archE4294967295ELNS1_3gpuE0ELNS1_3repE0EEENS1_30default_config_static_selectorELNS0_4arch9wavefront6targetE1EEEvT1_
	.p2align	8
	.type	_ZN7rocprim17ROCPRIM_400000_NS6detail17trampoline_kernelINS0_14default_configENS1_27scan_by_key_config_selectorIxxEEZZNS1_16scan_by_key_implILNS1_25lookback_scan_determinismE0ELb0ES3_N6thrust23THRUST_200600_302600_NS6detail15normal_iteratorINS9_10device_ptrIxEEEESE_SE_xNS9_4plusIvEENS9_8equal_toIvEExEE10hipError_tPvRmT2_T3_T4_T5_mT6_T7_P12ihipStream_tbENKUlT_T0_E_clISt17integral_constantIbLb1EESZ_EEDaSU_SV_EUlSU_E_NS1_11comp_targetILNS1_3genE0ELNS1_11target_archE4294967295ELNS1_3gpuE0ELNS1_3repE0EEENS1_30default_config_static_selectorELNS0_4arch9wavefront6targetE1EEEvT1_,@function
_ZN7rocprim17ROCPRIM_400000_NS6detail17trampoline_kernelINS0_14default_configENS1_27scan_by_key_config_selectorIxxEEZZNS1_16scan_by_key_implILNS1_25lookback_scan_determinismE0ELb0ES3_N6thrust23THRUST_200600_302600_NS6detail15normal_iteratorINS9_10device_ptrIxEEEESE_SE_xNS9_4plusIvEENS9_8equal_toIvEExEE10hipError_tPvRmT2_T3_T4_T5_mT6_T7_P12ihipStream_tbENKUlT_T0_E_clISt17integral_constantIbLb1EESZ_EEDaSU_SV_EUlSU_E_NS1_11comp_targetILNS1_3genE0ELNS1_11target_archE4294967295ELNS1_3gpuE0ELNS1_3repE0EEENS1_30default_config_static_selectorELNS0_4arch9wavefront6targetE1EEEvT1_: ; @_ZN7rocprim17ROCPRIM_400000_NS6detail17trampoline_kernelINS0_14default_configENS1_27scan_by_key_config_selectorIxxEEZZNS1_16scan_by_key_implILNS1_25lookback_scan_determinismE0ELb0ES3_N6thrust23THRUST_200600_302600_NS6detail15normal_iteratorINS9_10device_ptrIxEEEESE_SE_xNS9_4plusIvEENS9_8equal_toIvEExEE10hipError_tPvRmT2_T3_T4_T5_mT6_T7_P12ihipStream_tbENKUlT_T0_E_clISt17integral_constantIbLb1EESZ_EEDaSU_SV_EUlSU_E_NS1_11comp_targetILNS1_3genE0ELNS1_11target_archE4294967295ELNS1_3gpuE0ELNS1_3repE0EEENS1_30default_config_static_selectorELNS0_4arch9wavefront6targetE1EEEvT1_
; %bb.0:
	.section	.rodata,"a",@progbits
	.p2align	6, 0x0
	.amdhsa_kernel _ZN7rocprim17ROCPRIM_400000_NS6detail17trampoline_kernelINS0_14default_configENS1_27scan_by_key_config_selectorIxxEEZZNS1_16scan_by_key_implILNS1_25lookback_scan_determinismE0ELb0ES3_N6thrust23THRUST_200600_302600_NS6detail15normal_iteratorINS9_10device_ptrIxEEEESE_SE_xNS9_4plusIvEENS9_8equal_toIvEExEE10hipError_tPvRmT2_T3_T4_T5_mT6_T7_P12ihipStream_tbENKUlT_T0_E_clISt17integral_constantIbLb1EESZ_EEDaSU_SV_EUlSU_E_NS1_11comp_targetILNS1_3genE0ELNS1_11target_archE4294967295ELNS1_3gpuE0ELNS1_3repE0EEENS1_30default_config_static_selectorELNS0_4arch9wavefront6targetE1EEEvT1_
		.amdhsa_group_segment_fixed_size 0
		.amdhsa_private_segment_fixed_size 0
		.amdhsa_kernarg_size 136
		.amdhsa_user_sgpr_count 2
		.amdhsa_user_sgpr_dispatch_ptr 0
		.amdhsa_user_sgpr_queue_ptr 0
		.amdhsa_user_sgpr_kernarg_segment_ptr 1
		.amdhsa_user_sgpr_dispatch_id 0
		.amdhsa_user_sgpr_kernarg_preload_length 0
		.amdhsa_user_sgpr_kernarg_preload_offset 0
		.amdhsa_user_sgpr_private_segment_size 0
		.amdhsa_uses_dynamic_stack 0
		.amdhsa_enable_private_segment 0
		.amdhsa_system_sgpr_workgroup_id_x 1
		.amdhsa_system_sgpr_workgroup_id_y 0
		.amdhsa_system_sgpr_workgroup_id_z 0
		.amdhsa_system_sgpr_workgroup_info 0
		.amdhsa_system_vgpr_workitem_id 0
		.amdhsa_next_free_vgpr 1
		.amdhsa_next_free_sgpr 0
		.amdhsa_accum_offset 4
		.amdhsa_reserve_vcc 0
		.amdhsa_float_round_mode_32 0
		.amdhsa_float_round_mode_16_64 0
		.amdhsa_float_denorm_mode_32 3
		.amdhsa_float_denorm_mode_16_64 3
		.amdhsa_dx10_clamp 1
		.amdhsa_ieee_mode 1
		.amdhsa_fp16_overflow 0
		.amdhsa_tg_split 0
		.amdhsa_exception_fp_ieee_invalid_op 0
		.amdhsa_exception_fp_denorm_src 0
		.amdhsa_exception_fp_ieee_div_zero 0
		.amdhsa_exception_fp_ieee_overflow 0
		.amdhsa_exception_fp_ieee_underflow 0
		.amdhsa_exception_fp_ieee_inexact 0
		.amdhsa_exception_int_div_zero 0
	.end_amdhsa_kernel
	.section	.text._ZN7rocprim17ROCPRIM_400000_NS6detail17trampoline_kernelINS0_14default_configENS1_27scan_by_key_config_selectorIxxEEZZNS1_16scan_by_key_implILNS1_25lookback_scan_determinismE0ELb0ES3_N6thrust23THRUST_200600_302600_NS6detail15normal_iteratorINS9_10device_ptrIxEEEESE_SE_xNS9_4plusIvEENS9_8equal_toIvEExEE10hipError_tPvRmT2_T3_T4_T5_mT6_T7_P12ihipStream_tbENKUlT_T0_E_clISt17integral_constantIbLb1EESZ_EEDaSU_SV_EUlSU_E_NS1_11comp_targetILNS1_3genE0ELNS1_11target_archE4294967295ELNS1_3gpuE0ELNS1_3repE0EEENS1_30default_config_static_selectorELNS0_4arch9wavefront6targetE1EEEvT1_,"axG",@progbits,_ZN7rocprim17ROCPRIM_400000_NS6detail17trampoline_kernelINS0_14default_configENS1_27scan_by_key_config_selectorIxxEEZZNS1_16scan_by_key_implILNS1_25lookback_scan_determinismE0ELb0ES3_N6thrust23THRUST_200600_302600_NS6detail15normal_iteratorINS9_10device_ptrIxEEEESE_SE_xNS9_4plusIvEENS9_8equal_toIvEExEE10hipError_tPvRmT2_T3_T4_T5_mT6_T7_P12ihipStream_tbENKUlT_T0_E_clISt17integral_constantIbLb1EESZ_EEDaSU_SV_EUlSU_E_NS1_11comp_targetILNS1_3genE0ELNS1_11target_archE4294967295ELNS1_3gpuE0ELNS1_3repE0EEENS1_30default_config_static_selectorELNS0_4arch9wavefront6targetE1EEEvT1_,comdat
.Lfunc_end16:
	.size	_ZN7rocprim17ROCPRIM_400000_NS6detail17trampoline_kernelINS0_14default_configENS1_27scan_by_key_config_selectorIxxEEZZNS1_16scan_by_key_implILNS1_25lookback_scan_determinismE0ELb0ES3_N6thrust23THRUST_200600_302600_NS6detail15normal_iteratorINS9_10device_ptrIxEEEESE_SE_xNS9_4plusIvEENS9_8equal_toIvEExEE10hipError_tPvRmT2_T3_T4_T5_mT6_T7_P12ihipStream_tbENKUlT_T0_E_clISt17integral_constantIbLb1EESZ_EEDaSU_SV_EUlSU_E_NS1_11comp_targetILNS1_3genE0ELNS1_11target_archE4294967295ELNS1_3gpuE0ELNS1_3repE0EEENS1_30default_config_static_selectorELNS0_4arch9wavefront6targetE1EEEvT1_, .Lfunc_end16-_ZN7rocprim17ROCPRIM_400000_NS6detail17trampoline_kernelINS0_14default_configENS1_27scan_by_key_config_selectorIxxEEZZNS1_16scan_by_key_implILNS1_25lookback_scan_determinismE0ELb0ES3_N6thrust23THRUST_200600_302600_NS6detail15normal_iteratorINS9_10device_ptrIxEEEESE_SE_xNS9_4plusIvEENS9_8equal_toIvEExEE10hipError_tPvRmT2_T3_T4_T5_mT6_T7_P12ihipStream_tbENKUlT_T0_E_clISt17integral_constantIbLb1EESZ_EEDaSU_SV_EUlSU_E_NS1_11comp_targetILNS1_3genE0ELNS1_11target_archE4294967295ELNS1_3gpuE0ELNS1_3repE0EEENS1_30default_config_static_selectorELNS0_4arch9wavefront6targetE1EEEvT1_
                                        ; -- End function
	.section	.AMDGPU.csdata,"",@progbits
; Kernel info:
; codeLenInByte = 0
; NumSgprs: 6
; NumVgprs: 0
; NumAgprs: 0
; TotalNumVgprs: 0
; ScratchSize: 0
; MemoryBound: 0
; FloatMode: 240
; IeeeMode: 1
; LDSByteSize: 0 bytes/workgroup (compile time only)
; SGPRBlocks: 0
; VGPRBlocks: 0
; NumSGPRsForWavesPerEU: 6
; NumVGPRsForWavesPerEU: 1
; AccumOffset: 4
; Occupancy: 8
; WaveLimiterHint : 0
; COMPUTE_PGM_RSRC2:SCRATCH_EN: 0
; COMPUTE_PGM_RSRC2:USER_SGPR: 2
; COMPUTE_PGM_RSRC2:TRAP_HANDLER: 0
; COMPUTE_PGM_RSRC2:TGID_X_EN: 1
; COMPUTE_PGM_RSRC2:TGID_Y_EN: 0
; COMPUTE_PGM_RSRC2:TGID_Z_EN: 0
; COMPUTE_PGM_RSRC2:TIDIG_COMP_CNT: 0
; COMPUTE_PGM_RSRC3_GFX90A:ACCUM_OFFSET: 0
; COMPUTE_PGM_RSRC3_GFX90A:TG_SPLIT: 0
	.section	.text._ZN7rocprim17ROCPRIM_400000_NS6detail17trampoline_kernelINS0_14default_configENS1_27scan_by_key_config_selectorIxxEEZZNS1_16scan_by_key_implILNS1_25lookback_scan_determinismE0ELb0ES3_N6thrust23THRUST_200600_302600_NS6detail15normal_iteratorINS9_10device_ptrIxEEEESE_SE_xNS9_4plusIvEENS9_8equal_toIvEExEE10hipError_tPvRmT2_T3_T4_T5_mT6_T7_P12ihipStream_tbENKUlT_T0_E_clISt17integral_constantIbLb1EESZ_EEDaSU_SV_EUlSU_E_NS1_11comp_targetILNS1_3genE10ELNS1_11target_archE1201ELNS1_3gpuE5ELNS1_3repE0EEENS1_30default_config_static_selectorELNS0_4arch9wavefront6targetE1EEEvT1_,"axG",@progbits,_ZN7rocprim17ROCPRIM_400000_NS6detail17trampoline_kernelINS0_14default_configENS1_27scan_by_key_config_selectorIxxEEZZNS1_16scan_by_key_implILNS1_25lookback_scan_determinismE0ELb0ES3_N6thrust23THRUST_200600_302600_NS6detail15normal_iteratorINS9_10device_ptrIxEEEESE_SE_xNS9_4plusIvEENS9_8equal_toIvEExEE10hipError_tPvRmT2_T3_T4_T5_mT6_T7_P12ihipStream_tbENKUlT_T0_E_clISt17integral_constantIbLb1EESZ_EEDaSU_SV_EUlSU_E_NS1_11comp_targetILNS1_3genE10ELNS1_11target_archE1201ELNS1_3gpuE5ELNS1_3repE0EEENS1_30default_config_static_selectorELNS0_4arch9wavefront6targetE1EEEvT1_,comdat
	.protected	_ZN7rocprim17ROCPRIM_400000_NS6detail17trampoline_kernelINS0_14default_configENS1_27scan_by_key_config_selectorIxxEEZZNS1_16scan_by_key_implILNS1_25lookback_scan_determinismE0ELb0ES3_N6thrust23THRUST_200600_302600_NS6detail15normal_iteratorINS9_10device_ptrIxEEEESE_SE_xNS9_4plusIvEENS9_8equal_toIvEExEE10hipError_tPvRmT2_T3_T4_T5_mT6_T7_P12ihipStream_tbENKUlT_T0_E_clISt17integral_constantIbLb1EESZ_EEDaSU_SV_EUlSU_E_NS1_11comp_targetILNS1_3genE10ELNS1_11target_archE1201ELNS1_3gpuE5ELNS1_3repE0EEENS1_30default_config_static_selectorELNS0_4arch9wavefront6targetE1EEEvT1_ ; -- Begin function _ZN7rocprim17ROCPRIM_400000_NS6detail17trampoline_kernelINS0_14default_configENS1_27scan_by_key_config_selectorIxxEEZZNS1_16scan_by_key_implILNS1_25lookback_scan_determinismE0ELb0ES3_N6thrust23THRUST_200600_302600_NS6detail15normal_iteratorINS9_10device_ptrIxEEEESE_SE_xNS9_4plusIvEENS9_8equal_toIvEExEE10hipError_tPvRmT2_T3_T4_T5_mT6_T7_P12ihipStream_tbENKUlT_T0_E_clISt17integral_constantIbLb1EESZ_EEDaSU_SV_EUlSU_E_NS1_11comp_targetILNS1_3genE10ELNS1_11target_archE1201ELNS1_3gpuE5ELNS1_3repE0EEENS1_30default_config_static_selectorELNS0_4arch9wavefront6targetE1EEEvT1_
	.globl	_ZN7rocprim17ROCPRIM_400000_NS6detail17trampoline_kernelINS0_14default_configENS1_27scan_by_key_config_selectorIxxEEZZNS1_16scan_by_key_implILNS1_25lookback_scan_determinismE0ELb0ES3_N6thrust23THRUST_200600_302600_NS6detail15normal_iteratorINS9_10device_ptrIxEEEESE_SE_xNS9_4plusIvEENS9_8equal_toIvEExEE10hipError_tPvRmT2_T3_T4_T5_mT6_T7_P12ihipStream_tbENKUlT_T0_E_clISt17integral_constantIbLb1EESZ_EEDaSU_SV_EUlSU_E_NS1_11comp_targetILNS1_3genE10ELNS1_11target_archE1201ELNS1_3gpuE5ELNS1_3repE0EEENS1_30default_config_static_selectorELNS0_4arch9wavefront6targetE1EEEvT1_
	.p2align	8
	.type	_ZN7rocprim17ROCPRIM_400000_NS6detail17trampoline_kernelINS0_14default_configENS1_27scan_by_key_config_selectorIxxEEZZNS1_16scan_by_key_implILNS1_25lookback_scan_determinismE0ELb0ES3_N6thrust23THRUST_200600_302600_NS6detail15normal_iteratorINS9_10device_ptrIxEEEESE_SE_xNS9_4plusIvEENS9_8equal_toIvEExEE10hipError_tPvRmT2_T3_T4_T5_mT6_T7_P12ihipStream_tbENKUlT_T0_E_clISt17integral_constantIbLb1EESZ_EEDaSU_SV_EUlSU_E_NS1_11comp_targetILNS1_3genE10ELNS1_11target_archE1201ELNS1_3gpuE5ELNS1_3repE0EEENS1_30default_config_static_selectorELNS0_4arch9wavefront6targetE1EEEvT1_,@function
_ZN7rocprim17ROCPRIM_400000_NS6detail17trampoline_kernelINS0_14default_configENS1_27scan_by_key_config_selectorIxxEEZZNS1_16scan_by_key_implILNS1_25lookback_scan_determinismE0ELb0ES3_N6thrust23THRUST_200600_302600_NS6detail15normal_iteratorINS9_10device_ptrIxEEEESE_SE_xNS9_4plusIvEENS9_8equal_toIvEExEE10hipError_tPvRmT2_T3_T4_T5_mT6_T7_P12ihipStream_tbENKUlT_T0_E_clISt17integral_constantIbLb1EESZ_EEDaSU_SV_EUlSU_E_NS1_11comp_targetILNS1_3genE10ELNS1_11target_archE1201ELNS1_3gpuE5ELNS1_3repE0EEENS1_30default_config_static_selectorELNS0_4arch9wavefront6targetE1EEEvT1_: ; @_ZN7rocprim17ROCPRIM_400000_NS6detail17trampoline_kernelINS0_14default_configENS1_27scan_by_key_config_selectorIxxEEZZNS1_16scan_by_key_implILNS1_25lookback_scan_determinismE0ELb0ES3_N6thrust23THRUST_200600_302600_NS6detail15normal_iteratorINS9_10device_ptrIxEEEESE_SE_xNS9_4plusIvEENS9_8equal_toIvEExEE10hipError_tPvRmT2_T3_T4_T5_mT6_T7_P12ihipStream_tbENKUlT_T0_E_clISt17integral_constantIbLb1EESZ_EEDaSU_SV_EUlSU_E_NS1_11comp_targetILNS1_3genE10ELNS1_11target_archE1201ELNS1_3gpuE5ELNS1_3repE0EEENS1_30default_config_static_selectorELNS0_4arch9wavefront6targetE1EEEvT1_
; %bb.0:
	.section	.rodata,"a",@progbits
	.p2align	6, 0x0
	.amdhsa_kernel _ZN7rocprim17ROCPRIM_400000_NS6detail17trampoline_kernelINS0_14default_configENS1_27scan_by_key_config_selectorIxxEEZZNS1_16scan_by_key_implILNS1_25lookback_scan_determinismE0ELb0ES3_N6thrust23THRUST_200600_302600_NS6detail15normal_iteratorINS9_10device_ptrIxEEEESE_SE_xNS9_4plusIvEENS9_8equal_toIvEExEE10hipError_tPvRmT2_T3_T4_T5_mT6_T7_P12ihipStream_tbENKUlT_T0_E_clISt17integral_constantIbLb1EESZ_EEDaSU_SV_EUlSU_E_NS1_11comp_targetILNS1_3genE10ELNS1_11target_archE1201ELNS1_3gpuE5ELNS1_3repE0EEENS1_30default_config_static_selectorELNS0_4arch9wavefront6targetE1EEEvT1_
		.amdhsa_group_segment_fixed_size 0
		.amdhsa_private_segment_fixed_size 0
		.amdhsa_kernarg_size 136
		.amdhsa_user_sgpr_count 2
		.amdhsa_user_sgpr_dispatch_ptr 0
		.amdhsa_user_sgpr_queue_ptr 0
		.amdhsa_user_sgpr_kernarg_segment_ptr 1
		.amdhsa_user_sgpr_dispatch_id 0
		.amdhsa_user_sgpr_kernarg_preload_length 0
		.amdhsa_user_sgpr_kernarg_preload_offset 0
		.amdhsa_user_sgpr_private_segment_size 0
		.amdhsa_uses_dynamic_stack 0
		.amdhsa_enable_private_segment 0
		.amdhsa_system_sgpr_workgroup_id_x 1
		.amdhsa_system_sgpr_workgroup_id_y 0
		.amdhsa_system_sgpr_workgroup_id_z 0
		.amdhsa_system_sgpr_workgroup_info 0
		.amdhsa_system_vgpr_workitem_id 0
		.amdhsa_next_free_vgpr 1
		.amdhsa_next_free_sgpr 0
		.amdhsa_accum_offset 4
		.amdhsa_reserve_vcc 0
		.amdhsa_float_round_mode_32 0
		.amdhsa_float_round_mode_16_64 0
		.amdhsa_float_denorm_mode_32 3
		.amdhsa_float_denorm_mode_16_64 3
		.amdhsa_dx10_clamp 1
		.amdhsa_ieee_mode 1
		.amdhsa_fp16_overflow 0
		.amdhsa_tg_split 0
		.amdhsa_exception_fp_ieee_invalid_op 0
		.amdhsa_exception_fp_denorm_src 0
		.amdhsa_exception_fp_ieee_div_zero 0
		.amdhsa_exception_fp_ieee_overflow 0
		.amdhsa_exception_fp_ieee_underflow 0
		.amdhsa_exception_fp_ieee_inexact 0
		.amdhsa_exception_int_div_zero 0
	.end_amdhsa_kernel
	.section	.text._ZN7rocprim17ROCPRIM_400000_NS6detail17trampoline_kernelINS0_14default_configENS1_27scan_by_key_config_selectorIxxEEZZNS1_16scan_by_key_implILNS1_25lookback_scan_determinismE0ELb0ES3_N6thrust23THRUST_200600_302600_NS6detail15normal_iteratorINS9_10device_ptrIxEEEESE_SE_xNS9_4plusIvEENS9_8equal_toIvEExEE10hipError_tPvRmT2_T3_T4_T5_mT6_T7_P12ihipStream_tbENKUlT_T0_E_clISt17integral_constantIbLb1EESZ_EEDaSU_SV_EUlSU_E_NS1_11comp_targetILNS1_3genE10ELNS1_11target_archE1201ELNS1_3gpuE5ELNS1_3repE0EEENS1_30default_config_static_selectorELNS0_4arch9wavefront6targetE1EEEvT1_,"axG",@progbits,_ZN7rocprim17ROCPRIM_400000_NS6detail17trampoline_kernelINS0_14default_configENS1_27scan_by_key_config_selectorIxxEEZZNS1_16scan_by_key_implILNS1_25lookback_scan_determinismE0ELb0ES3_N6thrust23THRUST_200600_302600_NS6detail15normal_iteratorINS9_10device_ptrIxEEEESE_SE_xNS9_4plusIvEENS9_8equal_toIvEExEE10hipError_tPvRmT2_T3_T4_T5_mT6_T7_P12ihipStream_tbENKUlT_T0_E_clISt17integral_constantIbLb1EESZ_EEDaSU_SV_EUlSU_E_NS1_11comp_targetILNS1_3genE10ELNS1_11target_archE1201ELNS1_3gpuE5ELNS1_3repE0EEENS1_30default_config_static_selectorELNS0_4arch9wavefront6targetE1EEEvT1_,comdat
.Lfunc_end17:
	.size	_ZN7rocprim17ROCPRIM_400000_NS6detail17trampoline_kernelINS0_14default_configENS1_27scan_by_key_config_selectorIxxEEZZNS1_16scan_by_key_implILNS1_25lookback_scan_determinismE0ELb0ES3_N6thrust23THRUST_200600_302600_NS6detail15normal_iteratorINS9_10device_ptrIxEEEESE_SE_xNS9_4plusIvEENS9_8equal_toIvEExEE10hipError_tPvRmT2_T3_T4_T5_mT6_T7_P12ihipStream_tbENKUlT_T0_E_clISt17integral_constantIbLb1EESZ_EEDaSU_SV_EUlSU_E_NS1_11comp_targetILNS1_3genE10ELNS1_11target_archE1201ELNS1_3gpuE5ELNS1_3repE0EEENS1_30default_config_static_selectorELNS0_4arch9wavefront6targetE1EEEvT1_, .Lfunc_end17-_ZN7rocprim17ROCPRIM_400000_NS6detail17trampoline_kernelINS0_14default_configENS1_27scan_by_key_config_selectorIxxEEZZNS1_16scan_by_key_implILNS1_25lookback_scan_determinismE0ELb0ES3_N6thrust23THRUST_200600_302600_NS6detail15normal_iteratorINS9_10device_ptrIxEEEESE_SE_xNS9_4plusIvEENS9_8equal_toIvEExEE10hipError_tPvRmT2_T3_T4_T5_mT6_T7_P12ihipStream_tbENKUlT_T0_E_clISt17integral_constantIbLb1EESZ_EEDaSU_SV_EUlSU_E_NS1_11comp_targetILNS1_3genE10ELNS1_11target_archE1201ELNS1_3gpuE5ELNS1_3repE0EEENS1_30default_config_static_selectorELNS0_4arch9wavefront6targetE1EEEvT1_
                                        ; -- End function
	.section	.AMDGPU.csdata,"",@progbits
; Kernel info:
; codeLenInByte = 0
; NumSgprs: 6
; NumVgprs: 0
; NumAgprs: 0
; TotalNumVgprs: 0
; ScratchSize: 0
; MemoryBound: 0
; FloatMode: 240
; IeeeMode: 1
; LDSByteSize: 0 bytes/workgroup (compile time only)
; SGPRBlocks: 0
; VGPRBlocks: 0
; NumSGPRsForWavesPerEU: 6
; NumVGPRsForWavesPerEU: 1
; AccumOffset: 4
; Occupancy: 8
; WaveLimiterHint : 0
; COMPUTE_PGM_RSRC2:SCRATCH_EN: 0
; COMPUTE_PGM_RSRC2:USER_SGPR: 2
; COMPUTE_PGM_RSRC2:TRAP_HANDLER: 0
; COMPUTE_PGM_RSRC2:TGID_X_EN: 1
; COMPUTE_PGM_RSRC2:TGID_Y_EN: 0
; COMPUTE_PGM_RSRC2:TGID_Z_EN: 0
; COMPUTE_PGM_RSRC2:TIDIG_COMP_CNT: 0
; COMPUTE_PGM_RSRC3_GFX90A:ACCUM_OFFSET: 0
; COMPUTE_PGM_RSRC3_GFX90A:TG_SPLIT: 0
	.section	.text._ZN7rocprim17ROCPRIM_400000_NS6detail17trampoline_kernelINS0_14default_configENS1_27scan_by_key_config_selectorIxxEEZZNS1_16scan_by_key_implILNS1_25lookback_scan_determinismE0ELb0ES3_N6thrust23THRUST_200600_302600_NS6detail15normal_iteratorINS9_10device_ptrIxEEEESE_SE_xNS9_4plusIvEENS9_8equal_toIvEExEE10hipError_tPvRmT2_T3_T4_T5_mT6_T7_P12ihipStream_tbENKUlT_T0_E_clISt17integral_constantIbLb1EESZ_EEDaSU_SV_EUlSU_E_NS1_11comp_targetILNS1_3genE5ELNS1_11target_archE942ELNS1_3gpuE9ELNS1_3repE0EEENS1_30default_config_static_selectorELNS0_4arch9wavefront6targetE1EEEvT1_,"axG",@progbits,_ZN7rocprim17ROCPRIM_400000_NS6detail17trampoline_kernelINS0_14default_configENS1_27scan_by_key_config_selectorIxxEEZZNS1_16scan_by_key_implILNS1_25lookback_scan_determinismE0ELb0ES3_N6thrust23THRUST_200600_302600_NS6detail15normal_iteratorINS9_10device_ptrIxEEEESE_SE_xNS9_4plusIvEENS9_8equal_toIvEExEE10hipError_tPvRmT2_T3_T4_T5_mT6_T7_P12ihipStream_tbENKUlT_T0_E_clISt17integral_constantIbLb1EESZ_EEDaSU_SV_EUlSU_E_NS1_11comp_targetILNS1_3genE5ELNS1_11target_archE942ELNS1_3gpuE9ELNS1_3repE0EEENS1_30default_config_static_selectorELNS0_4arch9wavefront6targetE1EEEvT1_,comdat
	.protected	_ZN7rocprim17ROCPRIM_400000_NS6detail17trampoline_kernelINS0_14default_configENS1_27scan_by_key_config_selectorIxxEEZZNS1_16scan_by_key_implILNS1_25lookback_scan_determinismE0ELb0ES3_N6thrust23THRUST_200600_302600_NS6detail15normal_iteratorINS9_10device_ptrIxEEEESE_SE_xNS9_4plusIvEENS9_8equal_toIvEExEE10hipError_tPvRmT2_T3_T4_T5_mT6_T7_P12ihipStream_tbENKUlT_T0_E_clISt17integral_constantIbLb1EESZ_EEDaSU_SV_EUlSU_E_NS1_11comp_targetILNS1_3genE5ELNS1_11target_archE942ELNS1_3gpuE9ELNS1_3repE0EEENS1_30default_config_static_selectorELNS0_4arch9wavefront6targetE1EEEvT1_ ; -- Begin function _ZN7rocprim17ROCPRIM_400000_NS6detail17trampoline_kernelINS0_14default_configENS1_27scan_by_key_config_selectorIxxEEZZNS1_16scan_by_key_implILNS1_25lookback_scan_determinismE0ELb0ES3_N6thrust23THRUST_200600_302600_NS6detail15normal_iteratorINS9_10device_ptrIxEEEESE_SE_xNS9_4plusIvEENS9_8equal_toIvEExEE10hipError_tPvRmT2_T3_T4_T5_mT6_T7_P12ihipStream_tbENKUlT_T0_E_clISt17integral_constantIbLb1EESZ_EEDaSU_SV_EUlSU_E_NS1_11comp_targetILNS1_3genE5ELNS1_11target_archE942ELNS1_3gpuE9ELNS1_3repE0EEENS1_30default_config_static_selectorELNS0_4arch9wavefront6targetE1EEEvT1_
	.globl	_ZN7rocprim17ROCPRIM_400000_NS6detail17trampoline_kernelINS0_14default_configENS1_27scan_by_key_config_selectorIxxEEZZNS1_16scan_by_key_implILNS1_25lookback_scan_determinismE0ELb0ES3_N6thrust23THRUST_200600_302600_NS6detail15normal_iteratorINS9_10device_ptrIxEEEESE_SE_xNS9_4plusIvEENS9_8equal_toIvEExEE10hipError_tPvRmT2_T3_T4_T5_mT6_T7_P12ihipStream_tbENKUlT_T0_E_clISt17integral_constantIbLb1EESZ_EEDaSU_SV_EUlSU_E_NS1_11comp_targetILNS1_3genE5ELNS1_11target_archE942ELNS1_3gpuE9ELNS1_3repE0EEENS1_30default_config_static_selectorELNS0_4arch9wavefront6targetE1EEEvT1_
	.p2align	8
	.type	_ZN7rocprim17ROCPRIM_400000_NS6detail17trampoline_kernelINS0_14default_configENS1_27scan_by_key_config_selectorIxxEEZZNS1_16scan_by_key_implILNS1_25lookback_scan_determinismE0ELb0ES3_N6thrust23THRUST_200600_302600_NS6detail15normal_iteratorINS9_10device_ptrIxEEEESE_SE_xNS9_4plusIvEENS9_8equal_toIvEExEE10hipError_tPvRmT2_T3_T4_T5_mT6_T7_P12ihipStream_tbENKUlT_T0_E_clISt17integral_constantIbLb1EESZ_EEDaSU_SV_EUlSU_E_NS1_11comp_targetILNS1_3genE5ELNS1_11target_archE942ELNS1_3gpuE9ELNS1_3repE0EEENS1_30default_config_static_selectorELNS0_4arch9wavefront6targetE1EEEvT1_,@function
_ZN7rocprim17ROCPRIM_400000_NS6detail17trampoline_kernelINS0_14default_configENS1_27scan_by_key_config_selectorIxxEEZZNS1_16scan_by_key_implILNS1_25lookback_scan_determinismE0ELb0ES3_N6thrust23THRUST_200600_302600_NS6detail15normal_iteratorINS9_10device_ptrIxEEEESE_SE_xNS9_4plusIvEENS9_8equal_toIvEExEE10hipError_tPvRmT2_T3_T4_T5_mT6_T7_P12ihipStream_tbENKUlT_T0_E_clISt17integral_constantIbLb1EESZ_EEDaSU_SV_EUlSU_E_NS1_11comp_targetILNS1_3genE5ELNS1_11target_archE942ELNS1_3gpuE9ELNS1_3repE0EEENS1_30default_config_static_selectorELNS0_4arch9wavefront6targetE1EEEvT1_: ; @_ZN7rocprim17ROCPRIM_400000_NS6detail17trampoline_kernelINS0_14default_configENS1_27scan_by_key_config_selectorIxxEEZZNS1_16scan_by_key_implILNS1_25lookback_scan_determinismE0ELb0ES3_N6thrust23THRUST_200600_302600_NS6detail15normal_iteratorINS9_10device_ptrIxEEEESE_SE_xNS9_4plusIvEENS9_8equal_toIvEExEE10hipError_tPvRmT2_T3_T4_T5_mT6_T7_P12ihipStream_tbENKUlT_T0_E_clISt17integral_constantIbLb1EESZ_EEDaSU_SV_EUlSU_E_NS1_11comp_targetILNS1_3genE5ELNS1_11target_archE942ELNS1_3gpuE9ELNS1_3repE0EEENS1_30default_config_static_selectorELNS0_4arch9wavefront6targetE1EEEvT1_
; %bb.0:
	s_load_dwordx8 s[40:47], s[0:1], 0x30
	s_load_dwordx2 s[64:65], s[0:1], 0x50
	v_cmp_ne_u32_e64 s[4:5], 0, v0
	v_cmp_eq_u32_e64 s[36:37], 0, v0
	s_and_saveexec_b64 s[2:3], s[36:37]
	s_cbranch_execz .LBB18_4
; %bb.1:
	s_mov_b64 s[8:9], exec
	v_mbcnt_lo_u32_b32 v1, s8, 0
	v_mbcnt_hi_u32_b32 v1, s9, v1
	v_cmp_eq_u32_e32 vcc, 0, v1
                                        ; implicit-def: $vgpr2
	s_and_saveexec_b64 s[6:7], vcc
	s_cbranch_execz .LBB18_3
; %bb.2:
	s_load_dwordx2 s[10:11], s[0:1], 0x80
	s_bcnt1_i32_b64 s8, s[8:9]
	v_mov_b32_e32 v2, 0
	v_mov_b32_e32 v3, s8
	s_waitcnt lgkmcnt(0)
	global_atomic_add v2, v2, v3, s[10:11] sc0
.LBB18_3:
	s_or_b64 exec, exec, s[6:7]
	s_waitcnt vmcnt(0)
	v_readfirstlane_b32 s6, v2
	v_mov_b32_e32 v2, 0
	s_nop 0
	v_add_u32_e32 v1, s6, v1
	ds_write_b32 v2, v1
.LBB18_4:
	s_or_b64 exec, exec, s[2:3]
	s_load_dwordx8 s[48:55], s[0:1], 0x0
	s_load_dword s2, s[0:1], 0x58
	s_load_dwordx8 s[56:63], s[0:1], 0x60
	v_mov_b32_e32 v1, 0
	s_waitcnt lgkmcnt(0)
	s_barrier
	ds_read_b32 v1, v1
	s_lshl_b64 s[38:39], s[50:51], 3
	s_add_u32 s3, s48, s38
	s_addc_u32 s6, s49, s39
	s_add_u32 s7, s52, s38
	s_mul_i32 s0, s65, s2
	s_mul_hi_u32 s1, s64, s2
	s_addc_u32 s8, s53, s39
	s_add_i32 s9, s1, s0
	s_waitcnt lgkmcnt(0)
	v_readfirstlane_b32 s47, v1
	s_cmp_lg_u64 s[60:61], 0
	s_mov_b32 s1, 0
	s_mul_i32 s0, s47, 0xe00
	s_cselect_b64 s[60:61], -1, 0
	s_lshl_b64 s[48:49], s[0:1], 3
	s_add_u32 s52, s3, s48
	s_addc_u32 s53, s6, s49
	s_add_u32 s50, s7, s48
	s_mul_i32 s2, s64, s2
	s_addc_u32 s51, s8, s49
	s_add_u32 s66, s2, s47
	s_addc_u32 s67, s9, 0
	s_add_u32 s0, s56, -1
	s_addc_u32 s1, s57, -1
	v_mov_b64_e32 v[2:3], s[0:1]
	v_cmp_ge_u64_e64 s[2:3], s[66:67], v[2:3]
	s_mov_b64 s[10:11], 0
	s_mov_b64 s[6:7], -1
	s_and_b64 vcc, exec, s[2:3]
	s_mul_i32 s33, s0, 0xfffff200
	s_barrier
	s_barrier
	s_cbranch_vccz .LBB18_81
; %bb.5:
	v_mov_b64_e32 v[2:3], s[52:53]
	flat_load_dwordx2 v[4:5], v[2:3]
	s_add_i32 s69, s33, s46
	v_cmp_gt_u32_e64 s[6:7], s69, v0
	s_waitcnt vmcnt(0) lgkmcnt(0)
	v_mov_b64_e32 v[6:7], v[4:5]
	s_and_saveexec_b64 s[0:1], s[6:7]
	s_cbranch_execz .LBB18_7
; %bb.6:
	v_lshlrev_b32_e32 v2, 3, v0
	v_mov_b32_e32 v3, 0
	v_lshl_add_u64 v[2:3], s[52:53], 0, v[2:3]
	flat_load_dwordx2 v[6:7], v[2:3]
.LBB18_7:
	s_or_b64 exec, exec, s[0:1]
	v_or_b32_e32 v1, 0x100, v0
	v_cmp_gt_u32_e64 s[8:9], s69, v1
	v_mov_b64_e32 v[8:9], v[4:5]
	s_and_saveexec_b64 s[0:1], s[8:9]
	s_cbranch_execz .LBB18_9
; %bb.8:
	v_lshlrev_b32_e32 v2, 3, v0
	v_mov_b32_e32 v3, 0
	v_lshl_add_u64 v[2:3], s[52:53], 0, v[2:3]
	flat_load_dwordx2 v[8:9], v[2:3] offset:2048
.LBB18_9:
	s_or_b64 exec, exec, s[0:1]
	v_or_b32_e32 v1, 0x200, v0
	v_cmp_gt_u32_e64 s[10:11], s69, v1
	v_mov_b64_e32 v[10:11], v[4:5]
	s_and_saveexec_b64 s[0:1], s[10:11]
	s_cbranch_execz .LBB18_11
; %bb.10:
	v_lshlrev_b32_e32 v2, 3, v1
	v_mov_b32_e32 v3, 0
	v_lshl_add_u64 v[2:3], s[52:53], 0, v[2:3]
	flat_load_dwordx2 v[10:11], v[2:3]
.LBB18_11:
	s_or_b64 exec, exec, s[0:1]
	v_or_b32_e32 v32, 0x300, v0
	v_cmp_gt_u32_e64 s[12:13], s69, v32
	v_mov_b64_e32 v[12:13], v[4:5]
	s_and_saveexec_b64 s[0:1], s[12:13]
	s_cbranch_execz .LBB18_13
; %bb.12:
	v_lshlrev_b32_e32 v2, 3, v32
	v_mov_b32_e32 v3, 0
	v_lshl_add_u64 v[2:3], s[52:53], 0, v[2:3]
	flat_load_dwordx2 v[12:13], v[2:3]
.LBB18_13:
	;; [unrolled: 12-line block ×11, first 2 shown]
	s_or_b64 exec, exec, s[0:1]
	v_or_b32_e32 v43, 0xd00, v0
	v_cmp_gt_u32_e64 s[34:35], s69, v43
	s_and_saveexec_b64 s[0:1], s[34:35]
	s_cbranch_execz .LBB18_33
; %bb.32:
	v_lshlrev_b32_e32 v2, 3, v43
	v_mov_b32_e32 v3, 0
	v_lshl_add_u64 v[2:3], s[52:53], 0, v[2:3]
	flat_load_dwordx2 v[4:5], v[2:3]
.LBB18_33:
	s_or_b64 exec, exec, s[0:1]
	v_lshlrev_b32_e32 v2, 3, v0
	s_movk_i32 s0, 0x68
	v_mad_u32_u24 v36, v0, s0, v2
	s_waitcnt vmcnt(0) lgkmcnt(0)
	ds_write2st64_b64 v2, v[6:7], v[8:9] offset1:4
	ds_write2st64_b64 v2, v[10:11], v[12:13] offset0:8 offset1:12
	ds_write2st64_b64 v2, v[14:15], v[16:17] offset0:16 offset1:20
	;; [unrolled: 1-line block ×6, first 2 shown]
	s_waitcnt lgkmcnt(0)
	s_barrier
	ds_read_b128 v[74:77], v36
	ds_read_b128 v[70:73], v36 offset:16
	ds_read_b128 v[66:69], v36 offset:32
	;; [unrolled: 1-line block ×6, first 2 shown]
	s_cmp_eq_u64 s[66:67], 0
	s_mov_b64 s[0:1], s[52:53]
	s_cbranch_scc1 .LBB18_37
; %bb.34:
	s_andn2_b64 vcc, exec, s[60:61]
	s_cbranch_vccnz .LBB18_239
; %bb.35:
	s_lshl_b64 s[0:1], s[66:67], 3
	s_add_u32 s0, s62, s0
	s_addc_u32 s1, s63, s1
	s_add_u32 s0, s0, -8
	s_addc_u32 s1, s1, -1
	s_cbranch_execnz .LBB18_37
.LBB18_36:
	s_add_u32 s0, s52, -8
	s_addc_u32 s1, s53, -1
.LBB18_37:
	v_mov_b64_e32 v[4:5], s[0:1]
	flat_load_dwordx2 v[4:5], v[4:5]
	s_movk_i32 s0, 0xff98
	v_mad_i32_i24 v3, v0, s0, v36
	s_waitcnt lgkmcnt(0)
	ds_write_b64 v3, v[60:61] offset:28672
	s_waitcnt lgkmcnt(0)
	s_barrier
	s_and_saveexec_b64 s[0:1], s[4:5]
	s_cbranch_execz .LBB18_39
; %bb.38:
	v_mul_i32_i24_e32 v3, 0xffffff98, v0
	v_add_u32_e32 v3, v36, v3
	s_waitcnt vmcnt(0)
	ds_read_b64 v[4:5], v3 offset:28664
.LBB18_39:
	s_or_b64 exec, exec, s[0:1]
	v_mov_b32_e32 v3, 0
	s_waitcnt lgkmcnt(0)
	s_barrier
	s_waitcnt lgkmcnt(0)
                                        ; implicit-def: $vgpr6_vgpr7
	s_and_saveexec_b64 s[0:1], s[6:7]
	s_cbranch_execnz .LBB18_226
; %bb.40:
	s_or_b64 exec, exec, s[0:1]
                                        ; implicit-def: $vgpr8_vgpr9
	s_and_saveexec_b64 s[0:1], s[8:9]
	s_cbranch_execnz .LBB18_227
.LBB18_41:
	s_or_b64 exec, exec, s[0:1]
                                        ; implicit-def: $vgpr10_vgpr11
	s_and_saveexec_b64 s[0:1], s[10:11]
	s_cbranch_execnz .LBB18_228
.LBB18_42:
	s_or_b64 exec, exec, s[0:1]
                                        ; implicit-def: $vgpr12_vgpr13
	s_and_saveexec_b64 s[0:1], s[12:13]
	s_cbranch_execnz .LBB18_229
.LBB18_43:
	s_or_b64 exec, exec, s[0:1]
                                        ; implicit-def: $vgpr14_vgpr15
	s_and_saveexec_b64 s[0:1], s[14:15]
	s_cbranch_execnz .LBB18_230
.LBB18_44:
	s_or_b64 exec, exec, s[0:1]
                                        ; implicit-def: $vgpr16_vgpr17
	s_and_saveexec_b64 s[0:1], s[16:17]
	s_cbranch_execnz .LBB18_231
.LBB18_45:
	s_or_b64 exec, exec, s[0:1]
                                        ; implicit-def: $vgpr18_vgpr19
	s_and_saveexec_b64 s[0:1], s[18:19]
	s_cbranch_execnz .LBB18_232
.LBB18_46:
	s_or_b64 exec, exec, s[0:1]
                                        ; implicit-def: $vgpr20_vgpr21
	s_and_saveexec_b64 s[0:1], s[20:21]
	s_cbranch_execnz .LBB18_233
.LBB18_47:
	s_or_b64 exec, exec, s[0:1]
                                        ; implicit-def: $vgpr22_vgpr23
	s_and_saveexec_b64 s[0:1], s[22:23]
	s_cbranch_execnz .LBB18_234
.LBB18_48:
	s_or_b64 exec, exec, s[0:1]
                                        ; implicit-def: $vgpr24_vgpr25
	s_and_saveexec_b64 s[0:1], s[24:25]
	s_cbranch_execnz .LBB18_235
.LBB18_49:
	s_or_b64 exec, exec, s[0:1]
                                        ; implicit-def: $vgpr26_vgpr27
	s_and_saveexec_b64 s[0:1], s[26:27]
	s_cbranch_execnz .LBB18_236
.LBB18_50:
	s_or_b64 exec, exec, s[0:1]
                                        ; implicit-def: $vgpr28_vgpr29
	s_and_saveexec_b64 s[0:1], s[28:29]
	s_cbranch_execnz .LBB18_237
.LBB18_51:
	s_or_b64 exec, exec, s[0:1]
                                        ; implicit-def: $vgpr30_vgpr31
	s_and_saveexec_b64 s[0:1], s[30:31]
	s_cbranch_execnz .LBB18_238
.LBB18_52:
	s_or_b64 exec, exec, s[0:1]
                                        ; implicit-def: $vgpr32_vgpr33
	s_and_saveexec_b64 s[0:1], s[34:35]
	s_cbranch_execz .LBB18_54
.LBB18_53:
	v_lshlrev_b32_e32 v32, 3, v43
	v_mov_b32_e32 v33, 0
	v_lshl_add_u64 v[32:33], s[50:51], 0, v[32:33]
	flat_load_dwordx2 v[32:33], v[32:33]
.LBB18_54:
	s_or_b64 exec, exec, s[0:1]
	v_mul_u32_u24_e32 v37, 14, v0
	v_mov_b64_e32 v[78:79], 0
	s_waitcnt vmcnt(0) lgkmcnt(0)
	ds_write2st64_b64 v2, v[6:7], v[8:9] offset1:4
	ds_write2st64_b64 v2, v[10:11], v[12:13] offset0:8 offset1:12
	ds_write2st64_b64 v2, v[14:15], v[16:17] offset0:16 offset1:20
	;; [unrolled: 1-line block ×6, first 2 shown]
	v_cmp_gt_u32_e32 vcc, s69, v37
	s_mov_b64 s[10:11], 0
	s_mov_b64 s[6:7], 0
	s_mov_b32 s68, 0
	v_mov_b32_e32 v80, 0
	v_mov_b32_e32 v91, 0
	v_mov_b64_e32 v[46:47], v[78:79]
	v_mov_b32_e32 v90, 0
	v_mov_b64_e32 v[34:35], v[78:79]
	;; [unrolled: 2-line block ×12, first 2 shown]
	s_waitcnt lgkmcnt(0)
	s_barrier
	s_waitcnt lgkmcnt(0)
                                        ; implicit-def: $sgpr0_sgpr1
                                        ; implicit-def: $vgpr52_vgpr53
	s_and_saveexec_b64 s[8:9], vcc
	s_cbranch_execz .LBB18_80
; %bb.55:
	ds_read_b64 v[2:3], v36
	v_cmp_ne_u64_e32 vcc, v[4:5], v[74:75]
	v_or_b32_e32 v4, 1, v37
	v_mov_b64_e32 v[78:79], 0
	v_cndmask_b32_e64 v1, 0, 1, vcc
	v_cmp_gt_u32_e32 vcc, s69, v4
	s_mov_b64 s[12:13], 0
	s_mov_b64 s[0:1], 0
	v_mov_b32_e32 v80, 0
	v_mov_b32_e32 v91, 0
	v_mov_b64_e32 v[46:47], v[78:79]
	v_mov_b32_e32 v90, 0
	v_mov_b64_e32 v[34:35], v[78:79]
	;; [unrolled: 2-line block ×11, first 2 shown]
                                        ; implicit-def: $sgpr14_sgpr15
                                        ; implicit-def: $vgpr52_vgpr53
	s_and_saveexec_b64 s[10:11], vcc
	s_cbranch_execz .LBB18_79
; %bb.56:
	ds_read2_b64 v[14:17], v36 offset0:1 offset1:2
	v_cmp_ne_u64_e32 vcc, v[74:75], v[76:77]
	v_add_u32_e32 v4, 2, v37
	v_mov_b64_e32 v[78:79], 0
	v_cndmask_b32_e64 v82, 0, 1, vcc
	v_cmp_gt_u32_e32 vcc, s69, v4
	s_mov_b64 s[16:17], 0
	v_mov_b32_e32 v80, 0
	v_mov_b32_e32 v91, 0
	v_mov_b64_e32 v[46:47], v[78:79]
	v_mov_b32_e32 v90, 0
	v_mov_b64_e32 v[34:35], v[78:79]
	;; [unrolled: 2-line block ×10, first 2 shown]
                                        ; implicit-def: $sgpr14_sgpr15
                                        ; implicit-def: $vgpr52_vgpr53
	s_and_saveexec_b64 s[12:13], vcc
	s_cbranch_execz .LBB18_78
; %bb.57:
	v_cmp_ne_u64_e32 vcc, v[76:77], v[70:71]
	v_add_u32_e32 v4, 3, v37
	v_mov_b64_e32 v[78:79], 0
	s_waitcnt lgkmcnt(0)
	v_mov_b32_e32 v6, v16
	v_mov_b32_e32 v7, v17
	v_cndmask_b32_e64 v81, 0, 1, vcc
	v_cmp_gt_u32_e32 vcc, s69, v4
	v_mov_b32_e32 v80, 0
	v_mov_b32_e32 v91, 0
	v_mov_b64_e32 v[46:47], v[78:79]
	v_mov_b32_e32 v90, 0
	v_mov_b64_e32 v[34:35], v[78:79]
	;; [unrolled: 2-line block ×9, first 2 shown]
                                        ; implicit-def: $sgpr18_sgpr19
                                        ; implicit-def: $vgpr52_vgpr53
	s_and_saveexec_b64 s[14:15], vcc
	s_cbranch_execz .LBB18_77
; %bb.58:
	ds_read2_b64 v[22:25], v36 offset0:3 offset1:4
	v_cmp_ne_u64_e32 vcc, v[70:71], v[72:73]
	v_add_u32_e32 v4, 4, v37
	v_mov_b64_e32 v[78:79], 0
	v_cndmask_b32_e64 v83, 0, 1, vcc
	v_cmp_gt_u32_e32 vcc, s69, v4
	s_mov_b64 s[20:21], 0
	v_mov_b32_e32 v80, 0
	v_mov_b32_e32 v91, 0
	v_mov_b64_e32 v[46:47], v[78:79]
	v_mov_b32_e32 v90, 0
	v_mov_b64_e32 v[34:35], v[78:79]
	;; [unrolled: 2-line block ×8, first 2 shown]
                                        ; implicit-def: $sgpr18_sgpr19
                                        ; implicit-def: $vgpr52_vgpr53
	s_and_saveexec_b64 s[16:17], vcc
	s_cbranch_execz .LBB18_76
; %bb.59:
	v_cmp_ne_u64_e32 vcc, v[72:73], v[66:67]
	v_add_u32_e32 v4, 5, v37
	v_mov_b64_e32 v[78:79], 0
	s_waitcnt lgkmcnt(0)
	v_mov_b32_e32 v10, v24
	v_mov_b32_e32 v11, v25
	v_cndmask_b32_e64 v84, 0, 1, vcc
	v_cmp_gt_u32_e32 vcc, s69, v4
	v_mov_b32_e32 v80, 0
	v_mov_b32_e32 v91, 0
	v_mov_b64_e32 v[46:47], v[78:79]
	v_mov_b32_e32 v90, 0
	v_mov_b64_e32 v[34:35], v[78:79]
	;; [unrolled: 2-line block ×7, first 2 shown]
                                        ; implicit-def: $sgpr22_sgpr23
                                        ; implicit-def: $vgpr52_vgpr53
	s_and_saveexec_b64 s[18:19], vcc
	s_cbranch_execz .LBB18_75
; %bb.60:
	ds_read2_b64 v[30:33], v36 offset0:5 offset1:6
	v_cmp_ne_u64_e32 vcc, v[66:67], v[68:69]
	v_add_u32_e32 v4, 6, v37
	v_mov_b64_e32 v[78:79], 0
	v_cndmask_b32_e64 v85, 0, 1, vcc
	v_cmp_gt_u32_e32 vcc, s69, v4
	s_mov_b64 s[24:25], 0
	v_mov_b32_e32 v80, 0
	v_mov_b32_e32 v91, 0
	v_mov_b64_e32 v[46:47], v[78:79]
	v_mov_b32_e32 v90, 0
	v_mov_b64_e32 v[34:35], v[78:79]
	;; [unrolled: 2-line block ×6, first 2 shown]
                                        ; implicit-def: $sgpr22_sgpr23
                                        ; implicit-def: $vgpr52_vgpr53
	s_and_saveexec_b64 s[20:21], vcc
	s_cbranch_execz .LBB18_74
; %bb.61:
	v_cmp_ne_u64_e32 vcc, v[68:69], v[62:63]
	v_add_u32_e32 v4, 7, v37
	v_mov_b64_e32 v[78:79], 0
	s_waitcnt lgkmcnt(0)
	v_mov_b32_e32 v18, v32
	v_mov_b32_e32 v19, v33
	v_cndmask_b32_e64 v86, 0, 1, vcc
	v_cmp_gt_u32_e32 vcc, s69, v4
	v_mov_b32_e32 v80, 0
	v_mov_b32_e32 v91, 0
	v_mov_b64_e32 v[46:47], v[78:79]
	v_mov_b32_e32 v90, 0
	v_mov_b64_e32 v[34:35], v[78:79]
	;; [unrolled: 2-line block ×5, first 2 shown]
                                        ; implicit-def: $sgpr26_sgpr27
                                        ; implicit-def: $vgpr52_vgpr53
	s_and_saveexec_b64 s[22:23], vcc
	s_cbranch_execz .LBB18_73
; %bb.62:
	ds_read2_b64 v[38:41], v36 offset0:7 offset1:8
	v_cmp_ne_u64_e32 vcc, v[62:63], v[64:65]
	v_add_u32_e32 v4, 8, v37
	v_mov_b64_e32 v[78:79], 0
	v_cndmask_b32_e64 v87, 0, 1, vcc
	v_cmp_gt_u32_e32 vcc, s69, v4
	s_mov_b64 s[28:29], 0
	v_mov_b32_e32 v80, 0
	v_mov_b32_e32 v91, 0
	v_mov_b64_e32 v[46:47], v[78:79]
	v_mov_b32_e32 v90, 0
	v_mov_b64_e32 v[34:35], v[78:79]
	;; [unrolled: 2-line block ×4, first 2 shown]
                                        ; implicit-def: $sgpr26_sgpr27
                                        ; implicit-def: $vgpr52_vgpr53
	s_and_saveexec_b64 s[24:25], vcc
	s_cbranch_execz .LBB18_72
; %bb.63:
	v_cmp_ne_u64_e32 vcc, v[64:65], v[48:49]
	v_add_u32_e32 v4, 9, v37
	v_mov_b64_e32 v[78:79], 0
	s_waitcnt lgkmcnt(0)
	v_mov_b32_e32 v26, v40
	v_mov_b32_e32 v27, v41
	v_cndmask_b32_e64 v88, 0, 1, vcc
	v_cmp_gt_u32_e32 vcc, s69, v4
	v_mov_b32_e32 v80, 0
	v_mov_b32_e32 v91, 0
	v_mov_b64_e32 v[46:47], v[78:79]
	v_mov_b32_e32 v90, 0
	v_mov_b64_e32 v[34:35], v[78:79]
	;; [unrolled: 2-line block ×3, first 2 shown]
                                        ; implicit-def: $sgpr30_sgpr31
                                        ; implicit-def: $vgpr52_vgpr53
	s_and_saveexec_b64 s[26:27], vcc
	s_cbranch_execz .LBB18_71
; %bb.64:
	ds_read2_b64 v[42:45], v36 offset0:9 offset1:10
	v_cmp_ne_u64_e32 vcc, v[48:49], v[50:51]
	v_add_u32_e32 v4, 10, v37
	v_mov_b64_e32 v[78:79], 0
	v_cndmask_b32_e64 v89, 0, 1, vcc
	v_cmp_gt_u32_e32 vcc, s69, v4
	s_mov_b64 s[34:35], 0
	v_mov_b32_e32 v80, 0
	v_mov_b32_e32 v91, 0
	v_mov_b64_e32 v[46:47], v[78:79]
	v_mov_b32_e32 v90, 0
	v_mov_b64_e32 v[34:35], v[78:79]
                                        ; implicit-def: $sgpr30_sgpr31
                                        ; implicit-def: $vgpr52_vgpr53
	s_and_saveexec_b64 s[28:29], vcc
	s_cbranch_execz .LBB18_70
; %bb.65:
	v_cmp_ne_u64_e32 vcc, v[50:51], v[54:55]
	v_add_u32_e32 v4, 11, v37
	v_mov_b64_e32 v[78:79], 0
	s_waitcnt lgkmcnt(0)
	v_mov_b32_e32 v34, v44
	v_mov_b32_e32 v35, v45
	v_cndmask_b32_e64 v90, 0, 1, vcc
	v_cmp_gt_u32_e32 vcc, s69, v4
	v_mov_b32_e32 v80, 0
	v_mov_b32_e32 v91, 0
	v_mov_b64_e32 v[46:47], v[78:79]
                                        ; implicit-def: $sgpr56_sgpr57
                                        ; implicit-def: $vgpr52_vgpr53
	s_and_saveexec_b64 s[30:31], vcc
	s_cbranch_execz .LBB18_69
; %bb.66:
	ds_read2_b64 v[46:49], v36 offset0:11 offset1:12
	v_cmp_ne_u64_e32 vcc, v[54:55], v[56:57]
	v_add_u32_e32 v4, 12, v37
	v_mov_b32_e32 v80, 0
	v_cndmask_b32_e64 v91, 0, 1, vcc
	v_cmp_gt_u32_e32 vcc, s69, v4
	v_mov_b64_e32 v[78:79], 0
                                        ; implicit-def: $sgpr34_sgpr35
                                        ; implicit-def: $vgpr52_vgpr53
	s_and_saveexec_b64 s[56:57], vcc
	s_xor_b64 s[56:57], exec, s[56:57]
	s_cbranch_execz .LBB18_68
; %bb.67:
	ds_read_b64 v[52:53], v36 offset:104
	v_cmp_ne_u64_e64 s[0:1], v[56:57], v[58:59]
	v_add_u32_e32 v4, 13, v37
	v_cmp_ne_u64_e32 vcc, v[58:59], v[60:61]
	v_cndmask_b32_e64 v80, 0, 1, s[0:1]
	v_cmp_gt_u32_e64 s[0:1], s69, v4
	s_and_b64 s[34:35], vcc, exec
	s_and_b64 s[0:1], s[0:1], exec
	s_waitcnt lgkmcnt(1)
	v_mov_b64_e32 v[50:51], v[48:49]
	v_mov_b64_e32 v[78:79], v[48:49]
.LBB18_68:
	s_or_b64 exec, exec, s[56:57]
	s_and_b64 s[56:57], s[34:35], exec
	s_and_b64 s[34:35], s[0:1], exec
.LBB18_69:
	s_or_b64 exec, exec, s[30:31]
	s_and_b64 s[30:31], s[56:57], exec
	s_and_b64 s[0:1], s[34:35], exec
	s_waitcnt lgkmcnt(0)
	v_mov_b64_e32 v[36:37], v[46:47]
	v_mov_b64_e32 v[28:29], v[42:43]
	;; [unrolled: 1-line block ×6, first 2 shown]
.LBB18_70:
	s_or_b64 exec, exec, s[28:29]
	s_and_b64 s[30:31], s[30:31], exec
	s_and_b64 s[28:29], s[0:1], exec
.LBB18_71:
	s_or_b64 exec, exec, s[26:27]
	s_and_b64 s[26:27], s[30:31], exec
	s_and_b64 s[0:1], s[28:29], exec
.LBB18_72:
	s_or_b64 exec, exec, s[24:25]
	s_and_b64 s[26:27], s[26:27], exec
	s_and_b64 s[24:25], s[0:1], exec
.LBB18_73:
	s_or_b64 exec, exec, s[22:23]
	s_and_b64 s[22:23], s[26:27], exec
	s_and_b64 s[0:1], s[24:25], exec
.LBB18_74:
	s_or_b64 exec, exec, s[20:21]
	s_and_b64 s[22:23], s[22:23], exec
	s_and_b64 s[20:21], s[0:1], exec
.LBB18_75:
	s_or_b64 exec, exec, s[18:19]
	s_and_b64 s[18:19], s[22:23], exec
	s_and_b64 s[0:1], s[20:21], exec
.LBB18_76:
	s_or_b64 exec, exec, s[16:17]
	s_and_b64 s[18:19], s[18:19], exec
	s_and_b64 s[16:17], s[0:1], exec
.LBB18_77:
	s_or_b64 exec, exec, s[14:15]
	s_and_b64 s[14:15], s[18:19], exec
	s_and_b64 s[0:1], s[16:17], exec
.LBB18_78:
	s_or_b64 exec, exec, s[12:13]
	s_and_b64 s[14:15], s[14:15], exec
	s_and_b64 s[12:13], s[0:1], exec
.LBB18_79:
	s_or_b64 exec, exec, s[10:11]
	s_and_b64 s[0:1], s[14:15], exec
	s_and_b64 s[10:11], s[12:13], exec
.LBB18_80:
	s_or_b64 exec, exec, s[8:9]
	s_mov_b64 s[8:9], 0
	s_and_b64 vcc, exec, s[6:7]
	s_waitcnt lgkmcnt(0)
	v_lshlrev_b32_e32 v32, 3, v0
	s_cbranch_vccnz .LBB18_82
	s_branch .LBB18_90
.LBB18_81:
                                        ; implicit-def: $sgpr0_sgpr1
                                        ; implicit-def: $vgpr52_vgpr53
                                        ; implicit-def: $vgpr80
                                        ; implicit-def: $vgpr91
                                        ; implicit-def: $vgpr36_vgpr37
                                        ; implicit-def: $vgpr90
                                        ; implicit-def: $vgpr89
                                        ; implicit-def: $vgpr28_vgpr29
                                        ; implicit-def: $vgpr88
                                        ; implicit-def: $vgpr87
                                        ; implicit-def: $vgpr20_vgpr21
                                        ; implicit-def: $vgpr86
                                        ; implicit-def: $vgpr85
                                        ; implicit-def: $vgpr12_vgpr13
                                        ; implicit-def: $vgpr84
                                        ; implicit-def: $vgpr83
                                        ; implicit-def: $vgpr8_vgpr9
                                        ; implicit-def: $vgpr81
                                        ; implicit-def: $vgpr82
                                        ; implicit-def: $vgpr4_vgpr5
                                        ; implicit-def: $vgpr1
                                        ; implicit-def: $sgpr68
                                        ; implicit-def: $sgpr8_sgpr9
                                        ; implicit-def: $vgpr78_vgpr79
                                        ; implicit-def: $vgpr46_vgpr47
                                        ; implicit-def: $vgpr42_vgpr43
                                        ; implicit-def: $vgpr38_vgpr39
                                        ; implicit-def: $vgpr30_vgpr31
                                        ; implicit-def: $vgpr22_vgpr23
                                        ; implicit-def: $vgpr14_vgpr15
	s_and_b64 vcc, exec, s[6:7]
	v_lshlrev_b32_e32 v32, 3, v0
	s_cbranch_vccz .LBB18_90
.LBB18_82:
	v_mov_b32_e32 v33, 0
	v_lshl_add_u64 v[2:3], s[52:53], 0, v[32:33]
	v_add_co_u32_e32 v4, vcc, 0x1000, v2
	s_movk_i32 s0, 0x68
	s_nop 0
	v_addc_co_u32_e32 v5, vcc, 0, v3, vcc
	flat_load_dwordx2 v[6:7], v[2:3]
	flat_load_dwordx2 v[8:9], v[2:3] offset:2048
	flat_load_dwordx2 v[10:11], v[4:5]
	flat_load_dwordx2 v[12:13], v[4:5] offset:2048
	v_add_co_u32_e32 v4, vcc, 0x2000, v2
	v_mad_u32_u24 v1, v0, s0, v32
	s_nop 0
	v_addc_co_u32_e32 v5, vcc, 0, v3, vcc
	v_add_co_u32_e32 v14, vcc, 0x3000, v2
	s_cmp_eq_u64 s[66:67], 0
	s_nop 0
	v_addc_co_u32_e32 v15, vcc, 0, v3, vcc
	flat_load_dwordx2 v[16:17], v[4:5]
	flat_load_dwordx2 v[18:19], v[4:5] offset:2048
	flat_load_dwordx2 v[20:21], v[14:15]
	flat_load_dwordx2 v[22:23], v[14:15] offset:2048
	v_add_co_u32_e32 v4, vcc, 0x4000, v2
	s_nop 1
	v_addc_co_u32_e32 v5, vcc, 0, v3, vcc
	v_add_co_u32_e32 v14, vcc, 0x5000, v2
	s_nop 1
	v_addc_co_u32_e32 v15, vcc, 0, v3, vcc
	v_add_co_u32_e32 v2, vcc, 0x6000, v2
	flat_load_dwordx2 v[24:25], v[4:5]
	flat_load_dwordx2 v[26:27], v[4:5] offset:2048
	flat_load_dwordx2 v[28:29], v[14:15]
	flat_load_dwordx2 v[30:31], v[14:15] offset:2048
	v_addc_co_u32_e32 v3, vcc, 0, v3, vcc
	flat_load_dwordx2 v[4:5], v[2:3]
	flat_load_dwordx2 v[14:15], v[2:3] offset:2048
	s_waitcnt vmcnt(0) lgkmcnt(0)
	ds_write2st64_b64 v32, v[6:7], v[8:9] offset1:4
	ds_write2st64_b64 v32, v[10:11], v[12:13] offset0:8 offset1:12
	ds_write2st64_b64 v32, v[16:17], v[18:19] offset0:16 offset1:20
	;; [unrolled: 1-line block ×6, first 2 shown]
	s_waitcnt lgkmcnt(0)
	s_barrier
	ds_read_b128 v[14:17], v1
	ds_read_b128 v[2:5], v1 offset:16
	ds_read_b128 v[6:9], v1 offset:32
	;; [unrolled: 1-line block ×6, first 2 shown]
	s_cbranch_scc1 .LBB18_87
; %bb.83:
	s_andn2_b64 vcc, exec, s[60:61]
	s_cbranch_vccnz .LBB18_240
; %bb.84:
	s_lshl_b64 s[0:1], s[66:67], 3
	s_add_u32 s0, s62, s0
	s_addc_u32 s1, s63, s1
	s_add_u32 s0, s0, -8
	s_addc_u32 s1, s1, -1
	s_cbranch_execnz .LBB18_86
.LBB18_85:
	s_add_u32 s0, s52, -8
	s_addc_u32 s1, s53, -1
.LBB18_86:
	s_mov_b64 s[52:53], s[0:1]
.LBB18_87:
	v_mov_b64_e32 v[30:31], s[52:53]
	flat_load_dwordx2 v[30:31], v[30:31]
	s_movk_i32 s0, 0xff98
	v_mad_i32_i24 v33, v0, s0, v1
	s_waitcnt lgkmcnt(0)
	ds_write_b64 v33, v[28:29] offset:28672
	s_waitcnt lgkmcnt(0)
	s_barrier
	s_and_saveexec_b64 s[0:1], s[4:5]
	s_cbranch_execz .LBB18_89
; %bb.88:
	s_waitcnt vmcnt(0)
	v_mul_i32_i24_e32 v30, 0xffffff98, v0
	v_add_u32_e32 v30, v1, v30
	ds_read_b64 v[30:31], v30 offset:28664
.LBB18_89:
	s_or_b64 exec, exec, s[0:1]
	v_mov_b32_e32 v33, 0
	v_lshl_add_u64 v[34:35], s[50:51], 0, v[32:33]
	s_movk_i32 s0, 0x1000
	v_add_co_u32_e32 v36, vcc, s0, v34
	s_movk_i32 s0, 0x2000
	s_nop 0
	v_addc_co_u32_e32 v37, vcc, 0, v35, vcc
	s_waitcnt lgkmcnt(0)
	s_barrier
	flat_load_dwordx2 v[38:39], v[34:35]
	flat_load_dwordx2 v[40:41], v[34:35] offset:2048
	flat_load_dwordx2 v[42:43], v[36:37]
	flat_load_dwordx2 v[44:45], v[36:37] offset:2048
	v_add_co_u32_e32 v36, vcc, s0, v34
	s_movk_i32 s0, 0x3000
	s_nop 0
	v_addc_co_u32_e32 v37, vcc, 0, v35, vcc
	v_add_co_u32_e32 v46, vcc, s0, v34
	s_movk_i32 s0, 0x4000
	s_nop 0
	v_addc_co_u32_e32 v47, vcc, 0, v35, vcc
	flat_load_dwordx2 v[48:49], v[36:37]
	flat_load_dwordx2 v[50:51], v[36:37] offset:2048
	flat_load_dwordx2 v[52:53], v[46:47]
	flat_load_dwordx2 v[54:55], v[46:47] offset:2048
	v_add_co_u32_e32 v36, vcc, s0, v34
	s_movk_i32 s0, 0x5000
	s_nop 0
	v_addc_co_u32_e32 v37, vcc, 0, v35, vcc
	v_add_co_u32_e32 v46, vcc, s0, v34
	s_movk_i32 s0, 0x6000
	s_nop 0
	v_addc_co_u32_e32 v47, vcc, 0, v35, vcc
	v_add_co_u32_e32 v34, vcc, s0, v34
	flat_load_dwordx2 v[56:57], v[36:37]
	flat_load_dwordx2 v[58:59], v[36:37] offset:2048
	flat_load_dwordx2 v[60:61], v[46:47]
	flat_load_dwordx2 v[62:63], v[46:47] offset:2048
	v_addc_co_u32_e32 v35, vcc, 0, v35, vcc
	flat_load_dwordx2 v[36:37], v[34:35]
	flat_load_dwordx2 v[46:47], v[34:35] offset:2048
	v_cmp_ne_u64_e32 vcc, v[24:25], v[26:27]
	v_cmp_ne_u64_e64 s[0:1], v[26:27], v[28:29]
	s_mov_b64 s[10:11], -1
	v_cndmask_b32_e64 v80, 0, 1, vcc
	v_cmp_ne_u64_e32 vcc, v[22:23], v[24:25]
                                        ; implicit-def: $sgpr68
                                        ; implicit-def: $sgpr8_sgpr9
                                        ; implicit-def: $vgpr78_vgpr79
	s_waitcnt vmcnt(0) lgkmcnt(0)
	ds_write2st64_b64 v32, v[38:39], v[40:41] offset1:4
	ds_write2st64_b64 v32, v[42:43], v[44:45] offset0:8 offset1:12
	ds_write2st64_b64 v32, v[48:49], v[50:51] offset0:16 offset1:20
	;; [unrolled: 1-line block ×6, first 2 shown]
	v_cndmask_b32_e64 v91, 0, 1, vcc
	v_cmp_ne_u64_e32 vcc, v[20:21], v[22:23]
	s_waitcnt lgkmcnt(0)
	s_barrier
	v_cndmask_b32_e64 v90, 0, 1, vcc
	v_cmp_ne_u64_e32 vcc, v[18:19], v[20:21]
	s_waitcnt lgkmcnt(0)
                                        ; implicit-def: $vgpr46_vgpr47
                                        ; implicit-def: $vgpr42_vgpr43
                                        ; implicit-def: $vgpr38_vgpr39
                                        ; implicit-def: $vgpr22_vgpr23
	s_nop 0
	v_cndmask_b32_e64 v89, 0, 1, vcc
	v_cmp_ne_u64_e32 vcc, v[12:13], v[18:19]
	s_nop 1
	v_cndmask_b32_e64 v88, 0, 1, vcc
	v_cmp_ne_u64_e32 vcc, v[10:11], v[12:13]
	;; [unrolled: 3-line block ×7, first 2 shown]
	ds_read_b128 v[2:5], v1
	ds_read_b128 v[6:9], v1 offset:16
	ds_read_b128 v[10:13], v1 offset:32
	;; [unrolled: 1-line block ×6, first 2 shown]
	v_cndmask_b32_e64 v81, 0, 1, vcc
	v_cmp_ne_u64_e32 vcc, v[14:15], v[16:17]
	s_nop 1
	v_cndmask_b32_e64 v82, 0, 1, vcc
	v_cmp_ne_u64_e32 vcc, v[30:31], v[14:15]
                                        ; implicit-def: $vgpr30_vgpr31
                                        ; implicit-def: $vgpr14_vgpr15
	s_nop 1
	v_cndmask_b32_e64 v1, 0, 1, vcc
.LBB18_90:
	v_mov_b64_e32 v[16:17], s[8:9]
	v_mov_b32_e32 v33, s68
	s_and_saveexec_b64 s[6:7], s[10:11]
	s_cbranch_execz .LBB18_92
; %bb.91:
	v_cndmask_b32_e64 v33, 0, 1, s[0:1]
	s_waitcnt lgkmcnt(6)
	v_mov_b64_e32 v[14:15], v[4:5]
	s_waitcnt lgkmcnt(5)
	v_mov_b64_e32 v[22:23], v[8:9]
	;; [unrolled: 2-line block ×7, first 2 shown]
	v_mov_b64_e32 v[16:17], v[52:53]
.LBB18_92:
	s_or_b64 exec, exec, s[6:7]
	s_waitcnt lgkmcnt(6)
	v_or_b32_e32 v4, v33, v80
	s_cmp_lg_u32 s47, 0
	s_waitcnt lgkmcnt(2)
	v_or_b32_e32 v29, v4, v91
	v_mbcnt_lo_u32_b32 v28, -1, 0
	s_waitcnt lgkmcnt(0)
	s_barrier
	s_cbranch_scc0 .LBB18_163
; %bb.93:
	v_mov_b32_e32 v8, 0
	v_cmp_eq_u16_sdwa s[6:7], v82, v8 src0_sel:BYTE_0 src1_sel:DWORD
	v_cmp_eq_u16_sdwa s[8:9], v81, v8 src0_sel:BYTE_0 src1_sel:DWORD
	v_cmp_eq_u16_sdwa s[10:11], v83, v8 src0_sel:BYTE_0 src1_sel:DWORD
	v_cndmask_b32_e64 v5, 0, v3, s[6:7]
	v_cndmask_b32_e64 v4, 0, v2, s[6:7]
	v_lshl_add_u64 v[4:5], v[4:5], 0, v[14:15]
	v_cndmask_b32_e64 v5, 0, v5, s[8:9]
	v_cndmask_b32_e64 v4, 0, v4, s[8:9]
	v_lshl_add_u64 v[4:5], v[4:5], 0, v[6:7]
	v_cndmask_b32_e64 v5, 0, v5, s[10:11]
	v_cndmask_b32_e64 v4, 0, v4, s[10:11]
	v_lshl_add_u64 v[4:5], v[4:5], 0, v[22:23]
	v_cmp_eq_u16_sdwa s[12:13], v84, v8 src0_sel:BYTE_0 src1_sel:DWORD
	v_cmp_eq_u16_sdwa s[14:15], v85, v8 src0_sel:BYTE_0 src1_sel:DWORD
	v_cmp_eq_u16_sdwa s[16:17], v86, v8 src0_sel:BYTE_0 src1_sel:DWORD
	v_cndmask_b32_e64 v5, 0, v5, s[12:13]
	v_cndmask_b32_e64 v4, 0, v4, s[12:13]
	v_lshl_add_u64 v[4:5], v[4:5], 0, v[10:11]
	v_cndmask_b32_e64 v5, 0, v5, s[14:15]
	v_cndmask_b32_e64 v4, 0, v4, s[14:15]
	v_lshl_add_u64 v[4:5], v[4:5], 0, v[30:31]
	v_cndmask_b32_e64 v5, 0, v5, s[16:17]
	v_cndmask_b32_e64 v4, 0, v4, s[16:17]
	v_lshl_add_u64 v[4:5], v[4:5], 0, v[18:19]
	;; [unrolled: 12-line block ×4, first 2 shown]
	v_cmp_eq_u16_sdwa s[30:31], v33, v8 src0_sel:BYTE_0 src1_sel:DWORD
	v_and_b32_e32 v12, 0xff, v1
	v_mbcnt_hi_u32_b32 v44, -1, v28
	v_cndmask_b32_e64 v5, 0, v5, s[30:31]
	v_cndmask_b32_e64 v4, 0, v4, s[30:31]
	v_lshl_add_u64 v[8:9], v[4:5], 0, v[16:17]
	v_or_b32_e32 v4, v29, v90
	v_or_b32_e32 v4, v4, v89
	;; [unrolled: 1-line block ×10, first 2 shown]
	v_and_b32_e32 v4, 1, v4
	v_cmp_eq_u32_e32 vcc, 1, v4
	v_and_b32_e32 v4, 15, v44
	v_mov_b32_dpp v13, v8 row_shr:1 row_mask:0xf bank_mask:0xf
	v_cndmask_b32_e64 v12, v12, 1, vcc
	v_mov_b32_dpp v20, v9 row_shr:1 row_mask:0xf bank_mask:0xf
	v_cmp_ne_u32_e32 vcc, 0, v4
	v_mov_b32_dpp v5, v12 row_shr:1 row_mask:0xf bank_mask:0xf
	s_and_saveexec_b64 s[0:1], vcc
; %bb.94:
	v_cmp_eq_u32_e32 vcc, 0, v12
	v_and_or_b32 v12, v5, 1, v12
	s_nop 0
	v_cndmask_b32_e32 v21, 0, v20, vcc
	v_cndmask_b32_e32 v20, 0, v13, vcc
	v_lshl_add_u64 v[8:9], v[20:21], 0, v[8:9]
; %bb.95:
	s_or_b64 exec, exec, s[0:1]
	s_nop 0
	v_mov_b32_dpp v13, v8 row_shr:2 row_mask:0xf bank_mask:0xf
	v_mov_b32_dpp v20, v9 row_shr:2 row_mask:0xf bank_mask:0xf
	v_mov_b32_dpp v5, v12 row_shr:2 row_mask:0xf bank_mask:0xf
	v_cmp_lt_u32_e32 vcc, 1, v4
	s_and_saveexec_b64 s[0:1], vcc
; %bb.96:
	v_cmp_eq_u32_e32 vcc, 0, v12
	v_or_b32_e32 v5, v5, v12
	v_and_b32_e32 v12, 1, v5
	v_cndmask_b32_e32 v21, 0, v20, vcc
	v_cndmask_b32_e32 v20, 0, v13, vcc
	v_lshl_add_u64 v[8:9], v[20:21], 0, v[8:9]
; %bb.97:
	s_or_b64 exec, exec, s[0:1]
	s_nop 0
	v_mov_b32_dpp v13, v8 row_shr:4 row_mask:0xf bank_mask:0xf
	v_mov_b32_dpp v20, v9 row_shr:4 row_mask:0xf bank_mask:0xf
	v_mov_b32_dpp v5, v12 row_shr:4 row_mask:0xf bank_mask:0xf
	v_cmp_lt_u32_e32 vcc, 3, v4
	s_and_saveexec_b64 s[0:1], vcc
; %bb.98:
	v_cmp_eq_u32_e32 vcc, 0, v12
	v_or_b32_e32 v5, v5, v12
	v_and_b32_e32 v12, 1, v5
	;; [unrolled: 15-line block ×3, first 2 shown]
	v_cndmask_b32_e32 v21, 0, v20, vcc
	v_cndmask_b32_e32 v20, 0, v13, vcc
	v_lshl_add_u64 v[8:9], v[20:21], 0, v[8:9]
; %bb.101:
	s_or_b64 exec, exec, s[0:1]
	v_and_b32_e32 v20, 16, v44
	v_mov_b32_dpp v5, v8 row_bcast:15 row_mask:0xf bank_mask:0xf
	v_mov_b32_dpp v13, v9 row_bcast:15 row_mask:0xf bank_mask:0xf
	;; [unrolled: 1-line block ×3, first 2 shown]
	v_cmp_ne_u32_e32 vcc, 0, v20
	s_and_saveexec_b64 s[0:1], vcc
; %bb.102:
	v_cmp_eq_u32_e32 vcc, 0, v12
	v_or_b32_e32 v4, v4, v12
	v_and_b32_e32 v12, 1, v4
	v_cndmask_b32_e32 v21, 0, v13, vcc
	v_cndmask_b32_e32 v20, 0, v5, vcc
	v_lshl_add_u64 v[8:9], v[20:21], 0, v[8:9]
; %bb.103:
	s_or_b64 exec, exec, s[0:1]
	s_nop 0
	v_mov_b32_dpp v13, v8 row_bcast:31 row_mask:0xf bank_mask:0xf
	v_mov_b32_dpp v20, v9 row_bcast:31 row_mask:0xf bank_mask:0xf
	;; [unrolled: 1-line block ×3, first 2 shown]
	v_cmp_lt_u32_e32 vcc, 31, v44
	v_mov_b32_e32 v4, v12
	s_and_saveexec_b64 s[0:1], vcc
; %bb.104:
	v_cmp_eq_u32_e32 vcc, 0, v12
	v_or_b32_e32 v5, v5, v12
	v_and_b32_e32 v4, 1, v5
	v_cndmask_b32_e32 v21, 0, v20, vcc
	v_cndmask_b32_e32 v20, 0, v13, vcc
	v_lshl_add_u64 v[8:9], v[20:21], 0, v[8:9]
	v_and_b32_e32 v12, 1, v5
; %bb.105:
	s_or_b64 exec, exec, s[0:1]
	v_or_b32_e32 v5, 63, v0
	v_lshrrev_b32_e32 v13, 6, v0
	v_cmp_eq_u32_e32 vcc, v5, v0
	s_and_saveexec_b64 s[0:1], vcc
	s_cbranch_execz .LBB18_107
; %bb.106:
	v_lshlrev_b32_e32 v5, 4, v13
	ds_write_b64 v5, v[8:9]
	ds_write_b8 v5, v4 offset:8
.LBB18_107:
	s_or_b64 exec, exec, s[0:1]
	v_cmp_gt_u32_e32 vcc, 4, v0
	s_waitcnt lgkmcnt(0)
	s_barrier
	s_and_saveexec_b64 s[34:35], vcc
	s_cbranch_execz .LBB18_113
; %bb.108:
	v_lshlrev_b32_e32 v20, 4, v0
	ds_read_b64 v[4:5], v20
	ds_read_b32 v21, v20 offset:8
	v_and_b32_e32 v24, 3, v44
	v_cmp_ne_u32_e32 vcc, 0, v24
	s_waitcnt lgkmcnt(1)
	v_mov_b32_dpp v40, v4 row_shr:1 row_mask:0xf bank_mask:0xf
	v_mov_b32_dpp v41, v5 row_shr:1 row_mask:0xf bank_mask:0xf
	s_waitcnt lgkmcnt(0)
	v_mov_b32_dpp v37, v21 row_shr:1 row_mask:0xf bank_mask:0xf
	v_mov_b32_e32 v25, v21
	v_mov_b32_e32 v36, v21
	s_and_saveexec_b64 s[0:1], vcc
; %bb.109:
	v_mov_b32_e32 v25, 0
	v_cmp_eq_u16_sdwa vcc, v21, v25 src0_sel:BYTE_0 src1_sel:DWORD
	v_or_b32_e32 v36, v37, v21
	v_and_b32_e32 v25, 1, v36
	v_cndmask_b32_e32 v41, 0, v41, vcc
	v_cndmask_b32_e32 v40, 0, v40, vcc
	v_and_b32_e32 v36, 1, v36
	s_movk_i32 s50, 0xff00
	v_lshl_add_u64 v[4:5], v[40:41], 0, v[4:5]
	v_and_or_b32 v21, v21, s50, v36
; %bb.110:
	s_or_b64 exec, exec, s[0:1]
	v_mov_b32_dpp v37, v4 row_shr:2 row_mask:0xf bank_mask:0xf
	v_mov_b32_dpp v40, v5 row_shr:2 row_mask:0xf bank_mask:0xf
	;; [unrolled: 1-line block ×3, first 2 shown]
	v_cmp_lt_u32_e32 vcc, 1, v24
	s_and_saveexec_b64 s[50:51], vcc
; %bb.111:
	v_mov_b32_e32 v24, 0
	v_cmp_eq_u16_sdwa vcc, v36, v24 src0_sel:BYTE_0 src1_sel:DWORD
	v_and_b32_e32 v21, 1, v21
	v_cmp_eq_u32_e64 s[0:1], 1, v21
	v_cndmask_b32_e32 v25, 0, v40, vcc
	v_cndmask_b32_e32 v24, 0, v37, vcc
	v_lshl_add_u64 v[4:5], v[24:25], 0, v[4:5]
	v_and_b32_e32 v24, 1, v36
	v_cmp_eq_u32_e32 vcc, 1, v24
	s_or_b64 s[0:1], vcc, s[0:1]
	v_cndmask_b32_e64 v25, 0, 1, s[0:1]
; %bb.112:
	s_or_b64 exec, exec, s[50:51]
	ds_write_b64 v20, v[4:5]
	ds_write_b8 v20, v25 offset:8
.LBB18_113:
	s_or_b64 exec, exec, s[34:35]
	v_cmp_gt_u32_e32 vcc, 64, v0
	v_cmp_lt_u32_e64 s[0:1], 63, v0
	v_mov_b32_e32 v36, 0
	v_mov_b64_e32 v[4:5], 0
	s_waitcnt lgkmcnt(0)
	s_barrier
	s_and_saveexec_b64 s[34:35], s[0:1]
	s_cbranch_execz .LBB18_115
; %bb.114:
	v_lshl_add_u32 v13, v13, 4, -16
	ds_read_b64 v[4:5], v13
	ds_read_u8 v36, v13 offset:8
	v_and_b32_e32 v20, 1, v12
	v_cmp_eq_u32_e64 s[0:1], 0, v12
	s_waitcnt lgkmcnt(1)
	s_nop 0
	v_cndmask_b32_e64 v13, 0, v5, s[0:1]
	v_cndmask_b32_e64 v12, 0, v4, s[0:1]
	v_cmp_eq_u32_e64 s[0:1], 1, v20
	v_lshl_add_u64 v[8:9], v[12:13], 0, v[8:9]
	s_waitcnt lgkmcnt(0)
	v_cndmask_b32_e64 v12, v36, 1, s[0:1]
.LBB18_115:
	s_or_b64 exec, exec, s[34:35]
	v_add_u32_e32 v13, -1, v44
	v_and_b32_e32 v20, 64, v44
	v_cmp_lt_i32_e64 s[0:1], v13, v20
	v_cmp_eq_u32_e64 s[34:35], 0, v44
	s_nop 0
	v_cndmask_b32_e64 v13, v13, v44, s[0:1]
	v_lshlrev_b32_e32 v13, 2, v13
	ds_bpermute_b32 v37, v13, v8
	ds_bpermute_b32 v40, v13, v9
	;; [unrolled: 1-line block ×3, first 2 shown]
	s_and_saveexec_b64 s[50:51], vcc
	s_cbranch_execz .LBB18_162
; %bb.116:
	v_mov_b32_e32 v13, 0
	ds_read2_b64 v[48:51], v13 offset0:6 offset1:7
	s_and_saveexec_b64 s[0:1], s[34:35]
	s_cbranch_execz .LBB18_118
; %bb.117:
	s_add_i32 s52, s47, 64
	s_mov_b32 s53, 0
	s_lshl_b64 s[56:57], s[52:53], 4
	s_add_u32 s56, s40, s56
	s_addc_u32 s57, s41, s57
	v_mov_b32_e32 v8, s52
	v_mov_b32_e32 v9, 1
	s_waitcnt lgkmcnt(0)
	global_store_dword v13, v48, s[56:57] sc1
	global_store_dword v13, v49, s[56:57] offset:4 sc1
	global_store_dword v13, v50, s[56:57] offset:8 sc1
	;; [unrolled: 1-line block ×3, first 2 shown]
	s_waitcnt vmcnt(0)
	global_store_byte v8, v9, s[44:45] sc1
.LBB18_118:
	s_or_b64 exec, exec, s[0:1]
	v_xad_u32 v8, v44, -1, s47
	v_add_u32_e32 v12, 64, v8
	global_load_ubyte v45, v12, s[44:45] sc1
	s_waitcnt vmcnt(0)
	v_cmp_eq_u16_e32 vcc, 0, v45
	s_and_saveexec_b64 s[0:1], vcc
	s_cbranch_execz .LBB18_124
; %bb.119:
	v_lshl_add_u64 v[20:21], s[44:45], 0, v[12:13]
	s_mov_b32 s56, 1
	s_mov_b64 s[52:53], 0
.LBB18_120:                             ; =>This Loop Header: Depth=1
                                        ;     Child Loop BB18_121 Depth 2
	s_max_u32 s57, s56, 1
.LBB18_121:                             ;   Parent Loop BB18_120 Depth=1
                                        ; =>  This Inner Loop Header: Depth=2
	s_add_i32 s57, s57, -1
	s_cmp_eq_u32 s57, 0
	s_sleep 1
	s_cbranch_scc0 .LBB18_121
; %bb.122:                              ;   in Loop: Header=BB18_120 Depth=1
	global_load_ubyte v45, v[20:21], off sc1
	s_cmp_lt_u32 s56, 32
	s_cselect_b64 s[60:61], -1, 0
	s_cmp_lg_u64 s[60:61], 0
	s_addc_u32 s56, s56, 0
	s_waitcnt vmcnt(0)
	v_cmp_ne_u16_e32 vcc, 0, v45
	s_or_b64 s[52:53], vcc, s[52:53]
	s_andn2_b64 exec, exec, s[52:53]
	s_cbranch_execnz .LBB18_120
; %bb.123:
	s_or_b64 exec, exec, s[52:53]
.LBB18_124:
	s_or_b64 exec, exec, s[0:1]
	v_mov_b32_e32 v9, s43
	v_mov_b32_e32 v20, s41
	v_cmp_eq_u16_e32 vcc, 1, v45
	s_waitcnt vmcnt(0) lgkmcnt(0)
	s_nop 0
	v_cndmask_b32_e32 v21, v9, v20, vcc
	v_mov_b32_e32 v9, s42
	v_mov_b32_e32 v20, s40
	v_cndmask_b32_e32 v20, v9, v20, vcc
	v_lshl_add_u64 v[12:13], v[12:13], 4, v[20:21]
	global_load_dword v24, v[12:13], off sc1
	global_load_dword v25, v[12:13], off offset:4 sc1
	global_load_dword v64, v[12:13], off offset:8 sc1
	;; [unrolled: 1-line block ×3, first 2 shown]
	v_cmp_eq_u16_e32 vcc, 2, v45
	v_lshlrev_b64 v[12:13], v44, -1
	v_and_b32_e32 v51, 63, v44
	s_waitcnt vmcnt(0)
	v_and_b32_e32 v9, vcc_hi, v13
	v_and_b32_e32 v55, vcc_lo, v12
	v_cmp_ne_u32_e32 vcc, 63, v51
	v_or_b32_e32 v9, 0x80000000, v9
	v_ffbl_b32_e32 v9, v9
	v_addc_co_u32_e32 v20, vcc, 0, v44, vcc
	v_lshlrev_b32_e32 v52, 2, v20
	v_add_u32_e32 v9, 32, v9
	v_ffbl_b32_e32 v55, v55
	v_min_u32_e32 v9, v55, v9
	v_cmp_lt_u32_e32 vcc, v51, v9
	ds_bpermute_b32 v53, v52, v24
	ds_bpermute_b32 v54, v52, v25
	v_and_b32_e32 v20, 0xff, v64
	ds_bpermute_b32 v21, v52, v20
	s_and_saveexec_b64 s[0:1], vcc
	s_cbranch_execz .LBB18_126
; %bb.125:
	v_mov_b32_e32 v20, 0
	v_cmp_eq_u16_sdwa vcc, v64, v20 src0_sel:BYTE_0 src1_sel:DWORD
	s_waitcnt lgkmcnt(0)
	v_or_b32_e32 v20, v21, v64
	v_and_b32_e32 v64, 1, v20
	v_cndmask_b32_e32 v55, 0, v54, vcc
	v_cndmask_b32_e32 v54, 0, v53, vcc
	v_lshl_add_u64 v[24:25], v[54:55], 0, v[24:25]
	v_and_b32_e32 v20, 1, v20
.LBB18_126:
	s_or_b64 exec, exec, s[0:1]
	v_cmp_gt_u32_e32 vcc, 62, v51
	s_waitcnt lgkmcnt(1)
	v_add_u32_e32 v54, 2, v51
	s_waitcnt lgkmcnt(0)
	v_cndmask_b32_e64 v21, 0, 1, vcc
	v_lshlrev_b32_e32 v21, 1, v21
	v_add_lshl_u32 v53, v21, v44, 2
	ds_bpermute_b32 v55, v53, v24
	ds_bpermute_b32 v56, v53, v25
	ds_bpermute_b32 v21, v53, v20
	v_cmp_le_u32_e32 vcc, v54, v9
	s_and_saveexec_b64 s[52:53], vcc
	s_cbranch_execz .LBB18_128
; %bb.127:
	v_mov_b32_e32 v20, 0
	v_cmp_eq_u16_sdwa vcc, v64, v20 src0_sel:BYTE_0 src1_sel:DWORD
	v_and_b32_e32 v20, 1, v64
	s_waitcnt lgkmcnt(1)
	v_cndmask_b32_e32 v57, 0, v56, vcc
	v_cndmask_b32_e32 v56, 0, v55, vcc
	v_cmp_eq_u32_e32 vcc, 1, v20
	s_waitcnt lgkmcnt(0)
	v_and_b32_e32 v20, 1, v21
	v_cmp_eq_u32_e64 s[0:1], 1, v20
	s_or_b64 s[0:1], vcc, s[0:1]
	v_lshl_add_u64 v[24:25], v[56:57], 0, v[24:25]
	v_cndmask_b32_e64 v64, 0, 1, s[0:1]
	v_cndmask_b32_e64 v20, 0, 1, s[0:1]
.LBB18_128:
	s_or_b64 exec, exec, s[52:53]
	v_cmp_gt_u32_e32 vcc, 60, v51
	s_waitcnt lgkmcnt(1)
	v_add_u32_e32 v56, 4, v51
	s_waitcnt lgkmcnt(0)
	v_cndmask_b32_e64 v21, 0, 1, vcc
	v_lshlrev_b32_e32 v21, 2, v21
	v_add_lshl_u32 v55, v21, v44, 2
	ds_bpermute_b32 v57, v55, v24
	ds_bpermute_b32 v58, v55, v25
	ds_bpermute_b32 v21, v55, v20
	v_cmp_le_u32_e32 vcc, v56, v9
	s_and_saveexec_b64 s[52:53], vcc
	s_cbranch_execz .LBB18_130
; %bb.129:
	v_mov_b32_e32 v20, 0
	v_cmp_eq_u16_sdwa vcc, v64, v20 src0_sel:BYTE_0 src1_sel:DWORD
	v_and_b32_e32 v20, 1, v64
	s_waitcnt lgkmcnt(1)
	v_cndmask_b32_e32 v59, 0, v58, vcc
	v_cndmask_b32_e32 v58, 0, v57, vcc
	v_cmp_eq_u32_e32 vcc, 1, v20
	s_waitcnt lgkmcnt(0)
	v_and_b32_e32 v20, 1, v21
	v_cmp_eq_u32_e64 s[0:1], 1, v20
	s_or_b64 s[0:1], vcc, s[0:1]
	v_lshl_add_u64 v[24:25], v[58:59], 0, v[24:25]
	v_cndmask_b32_e64 v64, 0, 1, s[0:1]
	v_cndmask_b32_e64 v20, 0, 1, s[0:1]
.LBB18_130:
	;; [unrolled: 30-line block ×4, first 2 shown]
	s_or_b64 exec, exec, s[52:53]
	v_cmp_gt_u32_e32 vcc, 32, v51
	s_waitcnt lgkmcnt(1)
	v_add_u32_e32 v62, 32, v51
	s_waitcnt lgkmcnt(0)
	v_cndmask_b32_e64 v21, 0, 1, vcc
	v_lshlrev_b32_e32 v21, 5, v21
	v_add_lshl_u32 v61, v21, v44, 2
	ds_bpermute_b32 v21, v61, v24
	ds_bpermute_b32 v44, v61, v25
	;; [unrolled: 1-line block ×3, first 2 shown]
	v_cmp_le_u32_e32 vcc, v62, v9
	s_and_saveexec_b64 s[52:53], vcc
	s_cbranch_execz .LBB18_136
; %bb.135:
	v_mov_b32_e32 v9, 0
	v_cmp_eq_u16_sdwa vcc, v64, v9 src0_sel:BYTE_0 src1_sel:DWORD
	v_and_b32_e32 v9, 1, v64
	s_waitcnt lgkmcnt(1)
	v_cndmask_b32_e32 v67, 0, v44, vcc
	v_cndmask_b32_e32 v66, 0, v21, vcc
	v_cmp_eq_u32_e32 vcc, 1, v9
	s_waitcnt lgkmcnt(0)
	v_and_b32_e32 v9, 1, v20
	v_cmp_eq_u32_e64 s[0:1], 1, v9
	s_or_b64 s[0:1], vcc, s[0:1]
	v_lshl_add_u64 v[24:25], v[66:67], 0, v[24:25]
	v_cndmask_b32_e64 v64, 0, 1, s[0:1]
.LBB18_136:
	s_or_b64 exec, exec, s[52:53]
	v_mov_b32_e32 v9, 0
	v_mov_b32_e32 v63, 2
	s_branch .LBB18_138
.LBB18_137:                             ;   in Loop: Header=BB18_138 Depth=1
	s_or_b64 exec, exec, s[56:57]
	v_cmp_eq_u16_sdwa vcc, v44, v9 src0_sel:BYTE_0 src1_sel:DWORD
	v_and_b32_e32 v64, 1, v44
	v_subrev_u32_e32 v8, 64, v8
	v_cndmask_b32_e32 v25, 0, v25, vcc
	v_cndmask_b32_e32 v24, 0, v24, vcc
	v_cmp_eq_u32_e32 vcc, 1, v64
	s_or_b64 s[0:1], vcc, s[52:53]
	v_lshl_add_u64 v[24:25], v[24:25], 0, v[20:21]
	v_cndmask_b32_e64 v64, 0, 1, s[0:1]
.LBB18_138:                             ; =>This Loop Header: Depth=1
                                        ;     Child Loop BB18_141 Depth 2
                                        ;       Child Loop BB18_142 Depth 3
	v_cmp_ne_u16_sdwa s[0:1], v45, v63 src0_sel:BYTE_0 src1_sel:DWORD
	s_waitcnt lgkmcnt(1)
	v_mov_b32_e32 v44, v64
	s_waitcnt lgkmcnt(0)
	v_cndmask_b32_e64 v20, 0, 1, s[0:1]
	;;#ASMSTART
	;;#ASMEND
	s_nop 0
	v_cmp_ne_u32_e32 vcc, 0, v20
	s_cmp_lg_u64 vcc, exec
	v_mov_b64_e32 v[20:21], v[24:25]
	s_cbranch_scc1 .LBB18_157
; %bb.139:                              ;   in Loop: Header=BB18_138 Depth=1
	global_load_ubyte v45, v8, s[44:45] sc1
	s_waitcnt vmcnt(0)
	v_cmp_eq_u16_e32 vcc, 0, v45
	s_and_saveexec_b64 s[0:1], vcc
	s_cbranch_execz .LBB18_145
; %bb.140:                              ;   in Loop: Header=BB18_138 Depth=1
	v_lshl_add_u64 v[24:25], s[44:45], 0, v[8:9]
	s_mov_b32 s56, 1
	s_mov_b64 s[52:53], 0
.LBB18_141:                             ;   Parent Loop BB18_138 Depth=1
                                        ; =>  This Loop Header: Depth=2
                                        ;       Child Loop BB18_142 Depth 3
	s_max_u32 s57, s56, 1
.LBB18_142:                             ;   Parent Loop BB18_138 Depth=1
                                        ;     Parent Loop BB18_141 Depth=2
                                        ; =>    This Inner Loop Header: Depth=3
	s_add_i32 s57, s57, -1
	s_cmp_eq_u32 s57, 0
	s_sleep 1
	s_cbranch_scc0 .LBB18_142
; %bb.143:                              ;   in Loop: Header=BB18_141 Depth=2
	global_load_ubyte v45, v[24:25], off sc1
	s_cmp_lt_u32 s56, 32
	s_cselect_b64 s[60:61], -1, 0
	s_cmp_lg_u64 s[60:61], 0
	s_addc_u32 s56, s56, 0
	s_waitcnt vmcnt(0)
	v_cmp_ne_u16_e32 vcc, 0, v45
	s_or_b64 s[52:53], vcc, s[52:53]
	s_andn2_b64 exec, exec, s[52:53]
	s_cbranch_execnz .LBB18_141
; %bb.144:                              ;   in Loop: Header=BB18_138 Depth=1
	s_or_b64 exec, exec, s[52:53]
.LBB18_145:                             ;   in Loop: Header=BB18_138 Depth=1
	s_or_b64 exec, exec, s[0:1]
	v_mov_b32_e32 v24, s43
	v_mov_b32_e32 v25, s41
	v_cmp_eq_u16_e32 vcc, 1, v45
	v_mov_b32_e32 v64, s40
	s_waitcnt vmcnt(0)
	v_cndmask_b32_e32 v25, v24, v25, vcc
	v_mov_b32_e32 v24, s42
	v_cndmask_b32_e32 v24, v24, v64, vcc
	v_lshl_add_u64 v[66:67], v[8:9], 4, v[24:25]
	global_load_dword v24, v[66:67], off sc1
	global_load_dword v25, v[66:67], off offset:4 sc1
	global_load_dword v64, v[66:67], off offset:8 sc1
	global_load_dword v65, v[66:67], off offset:12 sc1
	v_cmp_eq_u16_e32 vcc, 2, v45
	s_waitcnt vmcnt(3)
	ds_bpermute_b32 v68, v52, v24
	s_waitcnt vmcnt(0)
	v_and_b32_e32 v65, vcc_hi, v13
	v_and_b32_e32 v66, 0xff, v64
	v_or_b32_e32 v65, 0x80000000, v65
	ds_bpermute_b32 v69, v52, v25
	ds_bpermute_b32 v67, v52, v66
	v_and_b32_e32 v70, vcc_lo, v12
	v_ffbl_b32_e32 v65, v65
	v_add_u32_e32 v65, 32, v65
	v_ffbl_b32_e32 v70, v70
	v_min_u32_e32 v65, v70, v65
	v_cmp_lt_u32_e32 vcc, v51, v65
	s_and_saveexec_b64 s[0:1], vcc
	s_cbranch_execz .LBB18_147
; %bb.146:                              ;   in Loop: Header=BB18_138 Depth=1
	v_cmp_eq_u16_sdwa vcc, v64, v9 src0_sel:BYTE_0 src1_sel:DWORD
	s_waitcnt lgkmcnt(0)
	v_or_b32_e32 v66, v67, v64
	v_and_b32_e32 v64, 1, v66
	v_cndmask_b32_e32 v69, 0, v69, vcc
	v_cndmask_b32_e32 v68, 0, v68, vcc
	v_lshl_add_u64 v[24:25], v[68:69], 0, v[24:25]
	v_and_b32_e32 v66, 1, v66
.LBB18_147:                             ;   in Loop: Header=BB18_138 Depth=1
	s_or_b64 exec, exec, s[0:1]
	s_waitcnt lgkmcnt(2)
	ds_bpermute_b32 v68, v53, v24
	s_waitcnt lgkmcnt(2)
	ds_bpermute_b32 v69, v53, v25
	;; [unrolled: 2-line block ×3, first 2 shown]
	v_and_b32_e32 v70, 1, v64
	v_cmp_le_u32_e32 vcc, v54, v65
	v_cmp_eq_u32_e64 s[52:53], 1, v70
	s_and_saveexec_b64 s[0:1], vcc
	s_cbranch_execz .LBB18_149
; %bb.148:                              ;   in Loop: Header=BB18_138 Depth=1
	v_cmp_eq_u16_sdwa vcc, v64, v9 src0_sel:BYTE_0 src1_sel:DWORD
	s_waitcnt lgkmcnt(0)
	v_and_b32_e32 v64, 1, v67
	v_cndmask_b32_e32 v69, 0, v69, vcc
	v_cndmask_b32_e32 v68, 0, v68, vcc
	v_cmp_eq_u32_e32 vcc, 1, v64
	s_or_b64 s[56:57], s[52:53], vcc
	v_cndmask_b32_e64 v64, 0, 1, s[56:57]
	v_cndmask_b32_e64 v66, 0, 1, s[56:57]
	s_andn2_b64 s[52:53], s[52:53], exec
	s_and_b64 s[56:57], s[56:57], exec
	v_lshl_add_u64 v[24:25], v[68:69], 0, v[24:25]
	s_or_b64 s[52:53], s[52:53], s[56:57]
.LBB18_149:                             ;   in Loop: Header=BB18_138 Depth=1
	s_or_b64 exec, exec, s[0:1]
	s_waitcnt lgkmcnt(2)
	ds_bpermute_b32 v68, v55, v24
	s_waitcnt lgkmcnt(2)
	ds_bpermute_b32 v69, v55, v25
	s_waitcnt lgkmcnt(2)
	ds_bpermute_b32 v67, v55, v66
	v_cmp_le_u32_e32 vcc, v56, v65
	s_and_saveexec_b64 s[56:57], vcc
	s_cbranch_execz .LBB18_151
; %bb.150:                              ;   in Loop: Header=BB18_138 Depth=1
	v_cmp_eq_u16_sdwa vcc, v64, v9 src0_sel:BYTE_0 src1_sel:DWORD
	v_and_b32_e32 v64, 1, v64
	s_andn2_b64 s[52:53], s[52:53], exec
	s_waitcnt lgkmcnt(1)
	v_cndmask_b32_e32 v69, 0, v69, vcc
	v_cndmask_b32_e32 v68, 0, v68, vcc
	v_cmp_eq_u32_e32 vcc, 1, v64
	s_waitcnt lgkmcnt(0)
	v_and_b32_e32 v64, 1, v67
	v_cmp_eq_u32_e64 s[0:1], 1, v64
	s_or_b64 s[0:1], vcc, s[0:1]
	v_lshl_add_u64 v[24:25], v[68:69], 0, v[24:25]
	v_cndmask_b32_e64 v64, 0, 1, s[0:1]
	v_cndmask_b32_e64 v66, 0, 1, s[0:1]
	s_and_b64 s[0:1], s[0:1], exec
	s_or_b64 s[52:53], s[52:53], s[0:1]
.LBB18_151:                             ;   in Loop: Header=BB18_138 Depth=1
	s_or_b64 exec, exec, s[56:57]
	s_waitcnt lgkmcnt(2)
	ds_bpermute_b32 v68, v57, v24
	s_waitcnt lgkmcnt(2)
	ds_bpermute_b32 v69, v57, v25
	s_waitcnt lgkmcnt(2)
	ds_bpermute_b32 v67, v57, v66
	v_cmp_le_u32_e32 vcc, v58, v65
	s_and_saveexec_b64 s[56:57], vcc
	s_cbranch_execz .LBB18_153
; %bb.152:                              ;   in Loop: Header=BB18_138 Depth=1
	v_cmp_eq_u16_sdwa vcc, v64, v9 src0_sel:BYTE_0 src1_sel:DWORD
	v_and_b32_e32 v64, 1, v64
	s_andn2_b64 s[52:53], s[52:53], exec
	s_waitcnt lgkmcnt(1)
	v_cndmask_b32_e32 v69, 0, v69, vcc
	v_cndmask_b32_e32 v68, 0, v68, vcc
	v_cmp_eq_u32_e32 vcc, 1, v64
	s_waitcnt lgkmcnt(0)
	v_and_b32_e32 v64, 1, v67
	v_cmp_eq_u32_e64 s[0:1], 1, v64
	s_or_b64 s[0:1], vcc, s[0:1]
	v_lshl_add_u64 v[24:25], v[68:69], 0, v[24:25]
	v_cndmask_b32_e64 v64, 0, 1, s[0:1]
	v_cndmask_b32_e64 v66, 0, 1, s[0:1]
	s_and_b64 s[0:1], s[0:1], exec
	s_or_b64 s[52:53], s[52:53], s[0:1]
.LBB18_153:                             ;   in Loop: Header=BB18_138 Depth=1
	;; [unrolled: 28-line block ×3, first 2 shown]
	s_or_b64 exec, exec, s[56:57]
	s_waitcnt lgkmcnt(0)
	ds_bpermute_b32 v67, v61, v24
	ds_bpermute_b32 v68, v61, v25
	;; [unrolled: 1-line block ×3, first 2 shown]
	v_cmp_le_u32_e32 vcc, v62, v65
	s_and_saveexec_b64 s[56:57], vcc
	s_cbranch_execz .LBB18_137
; %bb.156:                              ;   in Loop: Header=BB18_138 Depth=1
	v_cmp_eq_u16_sdwa vcc, v64, v9 src0_sel:BYTE_0 src1_sel:DWORD
	v_and_b32_e32 v64, 1, v64
	s_andn2_b64 s[52:53], s[52:53], exec
	s_waitcnt lgkmcnt(1)
	v_cndmask_b32_e32 v69, 0, v68, vcc
	v_cndmask_b32_e32 v68, 0, v67, vcc
	v_cmp_eq_u32_e32 vcc, 1, v64
	s_waitcnt lgkmcnt(0)
	v_and_b32_e32 v64, 1, v66
	v_cmp_eq_u32_e64 s[0:1], 1, v64
	s_or_b64 s[0:1], vcc, s[0:1]
	s_and_b64 s[0:1], s[0:1], exec
	v_lshl_add_u64 v[24:25], v[68:69], 0, v[24:25]
	s_or_b64 s[52:53], s[52:53], s[0:1]
	s_branch .LBB18_137
.LBB18_157:                             ;   in Loop: Header=BB18_138 Depth=1
                                        ; implicit-def: $vgpr64
                                        ; implicit-def: $vgpr24_vgpr25
                                        ; implicit-def: $vgpr45
	s_cbranch_execz .LBB18_138
; %bb.158:
	s_and_saveexec_b64 s[0:1], s[34:35]
	s_cbranch_execz .LBB18_160
; %bb.159:
	s_mov_b32 s41, 0
	v_mov_b32_e32 v12, 0
	s_add_i32 s40, s47, 64
	v_cmp_eq_u32_sdwa vcc, v50, v12 src0_sel:BYTE_0 src1_sel:DWORD
	s_lshl_b64 s[52:53], s[40:41], 4
	v_and_b32_e32 v13, 1, v50
	v_cndmask_b32_e32 v9, 0, v21, vcc
	v_cndmask_b32_e32 v8, 0, v20, vcc
	s_add_u32 s52, s42, s52
	v_lshl_add_u64 v[8:9], v[8:9], 0, v[48:49]
	v_and_b32_e32 v24, 1, v44
	v_cmp_eq_u32_e32 vcc, 1, v13
	s_addc_u32 s53, s43, s53
	s_nop 0
	v_cndmask_b32_e64 v13, v24, 1, vcc
	global_store_dword v12, v8, s[52:53] sc1
	global_store_dword v12, v9, s[52:53] offset:4 sc1
	global_store_dword v12, v13, s[52:53] offset:8 sc1
	;; [unrolled: 1-line block ×3, first 2 shown]
	v_mov_b32_e32 v8, s40
	v_mov_b32_e32 v9, 2
	s_waitcnt vmcnt(0) lgkmcnt(0)
	global_store_byte v8, v9, s[44:45] sc1
.LBB18_160:
	s_or_b64 exec, exec, s[0:1]
	s_and_b64 exec, exec, s[36:37]
	s_cbranch_execz .LBB18_162
; %bb.161:
	v_mov_b32_e32 v8, 0
	ds_write_b64 v8, v[20:21] offset:48
	ds_write_b8 v8, v44 offset:56
.LBB18_162:
	s_or_b64 exec, exec, s[50:51]
	s_waitcnt lgkmcnt(0)
	v_cndmask_b32_e64 v8, v41, v36, s[34:35]
	v_mov_b32_e32 v13, 0
	v_cndmask_b32_e64 v9, v40, v5, s[34:35]
	v_cndmask_b32_e64 v12, v37, v4, s[34:35]
	v_cmp_eq_u16_sdwa vcc, v1, v13 src0_sel:BYTE_0 src1_sel:DWORD
	v_and_b32_e32 v20, 1, v1
	v_and_b32_e32 v8, 1, v8
	s_barrier
	ds_read_b64 v[4:5], v13 offset:48
	v_cndmask_b32_e32 v12, 0, v12, vcc
	v_cndmask_b32_e32 v9, 0, v9, vcc
	v_cmp_eq_u32_e32 vcc, 1, v20
	v_cmp_eq_u32_e64 s[0:1], 1, v8
	s_or_b64 s[0:1], vcc, s[0:1]
	v_cndmask_b32_e64 v9, v9, 0, s[36:37]
	v_cndmask_b32_e64 v8, 0, 1, s[0:1]
	;; [unrolled: 1-line block ×4, first 2 shown]
	v_cmp_eq_u16_sdwa vcc, v20, v13 src0_sel:BYTE_0 src1_sel:DWORD
	v_lshl_add_u64 v[8:9], v[8:9], 0, v[2:3]
	s_waitcnt lgkmcnt(0)
	v_cndmask_b32_e32 v5, 0, v5, vcc
	v_cndmask_b32_e32 v4, 0, v4, vcc
	v_lshl_add_u64 v[48:49], v[8:9], 0, v[4:5]
	v_cndmask_b32_e64 v5, 0, v49, s[6:7]
	v_cndmask_b32_e64 v4, 0, v48, s[6:7]
	v_lshl_add_u64 v[50:51], v[4:5], 0, v[14:15]
	v_cndmask_b32_e64 v5, 0, v51, s[8:9]
	v_cndmask_b32_e64 v4, 0, v50, s[8:9]
	;; [unrolled: 3-line block ×13, first 2 shown]
	v_lshl_add_u64 v[74:75], v[4:5], 0, v[16:17]
	s_branch .LBB18_193
.LBB18_163:
                                        ; implicit-def: $vgpr74_vgpr75
                                        ; implicit-def: $vgpr70_vgpr71
                                        ; implicit-def: $vgpr66_vgpr67
                                        ; implicit-def: $vgpr62_vgpr63
                                        ; implicit-def: $vgpr58_vgpr59
                                        ; implicit-def: $vgpr54_vgpr55
                                        ; implicit-def: $vgpr50_vgpr51
	s_cbranch_execz .LBB18_193
; %bb.164:
	s_cmp_lg_u64 s[64:65], 0
	s_cselect_b32 s7, s59, 0
	s_cselect_b32 s6, s58, 0
	s_cmp_lg_u64 s[6:7], 0
	s_cselect_b64 s[0:1], -1, 0
	s_and_b64 s[8:9], s[36:37], s[0:1]
	s_and_saveexec_b64 s[0:1], s[8:9]
	s_cbranch_execz .LBB18_166
; %bb.165:
	v_mov_b32_e32 v8, 0
	global_load_dwordx2 v[4:5], v8, s[6:7]
	global_load_ubyte v9, v8, s[6:7] offset:8
	v_cmp_eq_u16_sdwa vcc, v1, v8 src0_sel:BYTE_0 src1_sel:DWORD
	s_waitcnt vmcnt(0)
	v_or_b32_e32 v1, v1, v9
	v_cndmask_b32_e32 v5, 0, v5, vcc
	v_cndmask_b32_e32 v4, 0, v4, vcc
	v_lshl_add_u64 v[2:3], v[4:5], 0, v[2:3]
	v_and_b32_e32 v1, 1, v1
.LBB18_166:
	s_or_b64 exec, exec, s[0:1]
	v_mov_b32_e32 v9, 0
	v_cmp_eq_u16_sdwa vcc, v82, v9 src0_sel:BYTE_0 src1_sel:DWORD
	v_cmp_eq_u16_sdwa s[6:7], v81, v9 src0_sel:BYTE_0 src1_sel:DWORD
	v_cmp_eq_u16_sdwa s[8:9], v83, v9 src0_sel:BYTE_0 src1_sel:DWORD
	v_cndmask_b32_e32 v5, 0, v3, vcc
	v_cndmask_b32_e32 v4, 0, v2, vcc
	v_lshl_add_u64 v[50:51], v[4:5], 0, v[14:15]
	v_cndmask_b32_e64 v5, 0, v51, s[6:7]
	v_cndmask_b32_e64 v4, 0, v50, s[6:7]
	v_lshl_add_u64 v[52:53], v[4:5], 0, v[6:7]
	v_cndmask_b32_e64 v5, 0, v53, s[8:9]
	v_cndmask_b32_e64 v4, 0, v52, s[8:9]
	v_lshl_add_u64 v[54:55], v[4:5], 0, v[22:23]
	v_cmp_eq_u16_sdwa s[10:11], v84, v9 src0_sel:BYTE_0 src1_sel:DWORD
	v_cmp_eq_u16_sdwa s[12:13], v85, v9 src0_sel:BYTE_0 src1_sel:DWORD
	v_cmp_eq_u16_sdwa s[14:15], v86, v9 src0_sel:BYTE_0 src1_sel:DWORD
	v_cndmask_b32_e64 v5, 0, v55, s[10:11]
	v_cndmask_b32_e64 v4, 0, v54, s[10:11]
	v_lshl_add_u64 v[56:57], v[4:5], 0, v[10:11]
	v_cndmask_b32_e64 v5, 0, v57, s[12:13]
	v_cndmask_b32_e64 v4, 0, v56, s[12:13]
	v_lshl_add_u64 v[58:59], v[4:5], 0, v[30:31]
	v_cndmask_b32_e64 v5, 0, v59, s[14:15]
	v_cndmask_b32_e64 v4, 0, v58, s[14:15]
	v_lshl_add_u64 v[60:61], v[4:5], 0, v[18:19]
	v_cmp_eq_u16_sdwa s[16:17], v87, v9 src0_sel:BYTE_0 src1_sel:DWORD
	v_cmp_eq_u16_sdwa s[18:19], v88, v9 src0_sel:BYTE_0 src1_sel:DWORD
	v_cmp_eq_u16_sdwa s[20:21], v89, v9 src0_sel:BYTE_0 src1_sel:DWORD
	v_cndmask_b32_e64 v5, 0, v61, s[16:17]
	v_cndmask_b32_e64 v4, 0, v60, s[16:17]
	;; [unrolled: 12-line block ×3, first 2 shown]
	v_lshl_add_u64 v[68:69], v[4:5], 0, v[34:35]
	v_cndmask_b32_e64 v5, 0, v69, s[24:25]
	v_cndmask_b32_e64 v4, 0, v68, s[24:25]
	v_lshl_add_u64 v[70:71], v[4:5], 0, v[46:47]
	v_cndmask_b32_e64 v5, 0, v71, s[26:27]
	v_cndmask_b32_e64 v4, 0, v70, s[26:27]
	v_lshl_add_u64 v[72:73], v[4:5], 0, v[78:79]
	v_cmp_eq_u16_sdwa s[28:29], v33, v9 src0_sel:BYTE_0 src1_sel:DWORD
	v_and_b32_e32 v8, 0xff, v1
	v_mbcnt_hi_u32_b32 v12, -1, v28
	v_cndmask_b32_e64 v5, 0, v73, s[28:29]
	v_cndmask_b32_e64 v4, 0, v72, s[28:29]
	v_lshl_add_u64 v[74:75], v[4:5], 0, v[16:17]
	v_or_b32_e32 v4, v29, v90
	v_or_b32_e32 v4, v4, v89
	;; [unrolled: 1-line block ×10, first 2 shown]
	v_and_b32_e32 v4, 1, v4
	v_cmp_eq_u32_e64 s[0:1], 1, v4
	v_and_b32_e32 v20, 15, v12
	v_mov_b32_dpp v24, v74 row_shr:1 row_mask:0xf bank_mask:0xf
	v_cndmask_b32_e64 v13, v8, 1, s[0:1]
	v_mov_b32_dpp v25, v75 row_shr:1 row_mask:0xf bank_mask:0xf
	v_cmp_ne_u32_e64 s[0:1], 0, v20
	v_mov_b32_dpp v21, v13 row_shr:1 row_mask:0xf bank_mask:0xf
	v_mov_b64_e32 v[4:5], v[74:75]
	v_mov_b32_e32 v9, v75
	v_mov_b32_e32 v8, v74
	s_and_saveexec_b64 s[30:31], s[0:1]
; %bb.167:
	v_cmp_eq_u32_e64 s[0:1], 0, v13
	v_and_or_b32 v13, v21, 1, v13
	s_nop 0
	v_cndmask_b32_e64 v5, 0, v25, s[0:1]
	v_cndmask_b32_e64 v4, 0, v24, s[0:1]
	v_lshl_add_u64 v[4:5], v[74:75], 0, v[4:5]
	v_mov_b32_e32 v9, v5
	v_mov_b32_e32 v8, v4
; %bb.168:
	s_or_b64 exec, exec, s[30:31]
	s_nop 0
	v_mov_b32_dpp v24, v8 row_shr:2 row_mask:0xf bank_mask:0xf
	v_mov_b32_dpp v25, v9 row_shr:2 row_mask:0xf bank_mask:0xf
	v_mov_b32_dpp v21, v13 row_shr:2 row_mask:0xf bank_mask:0xf
	v_cmp_lt_u32_e64 s[0:1], 1, v20
	s_and_saveexec_b64 s[30:31], s[0:1]
; %bb.169:
	v_cmp_eq_u32_e64 s[0:1], 0, v13
	s_nop 1
	v_cndmask_b32_e64 v9, 0, v25, s[0:1]
	v_cndmask_b32_e64 v8, 0, v24, s[0:1]
	v_lshl_add_u64 v[8:9], v[8:9], 0, v[4:5]
	v_or_b32_e32 v4, v21, v13
	v_and_b32_e32 v13, 1, v4
	v_mov_b64_e32 v[4:5], v[8:9]
; %bb.170:
	s_or_b64 exec, exec, s[30:31]
	v_mov_b32_dpp v24, v8 row_shr:4 row_mask:0xf bank_mask:0xf
	v_mov_b32_dpp v25, v9 row_shr:4 row_mask:0xf bank_mask:0xf
	v_mov_b32_dpp v21, v13 row_shr:4 row_mask:0xf bank_mask:0xf
	v_cmp_lt_u32_e64 s[0:1], 3, v20
	s_and_saveexec_b64 s[30:31], s[0:1]
; %bb.171:
	v_cmp_eq_u32_e64 s[0:1], 0, v13
	s_nop 1
	v_cndmask_b32_e64 v9, 0, v25, s[0:1]
	v_cndmask_b32_e64 v8, 0, v24, s[0:1]
	v_lshl_add_u64 v[8:9], v[8:9], 0, v[4:5]
	v_or_b32_e32 v4, v21, v13
	v_and_b32_e32 v13, 1, v4
	v_mov_b64_e32 v[4:5], v[8:9]
; %bb.172:
	s_or_b64 exec, exec, s[30:31]
	v_mov_b32_dpp v24, v8 row_shr:8 row_mask:0xf bank_mask:0xf
	v_mov_b32_dpp v25, v9 row_shr:8 row_mask:0xf bank_mask:0xf
	v_mov_b32_dpp v21, v13 row_shr:8 row_mask:0xf bank_mask:0xf
	v_cmp_lt_u32_e64 s[0:1], 7, v20
	s_and_saveexec_b64 s[30:31], s[0:1]
; %bb.173:
	v_cmp_eq_u32_e64 s[0:1], 0, v13
	s_nop 1
	v_cndmask_b32_e64 v9, 0, v25, s[0:1]
	v_cndmask_b32_e64 v8, 0, v24, s[0:1]
	v_lshl_add_u64 v[8:9], v[8:9], 0, v[4:5]
	v_or_b32_e32 v4, v21, v13
	v_and_b32_e32 v13, 1, v4
	v_mov_b64_e32 v[4:5], v[8:9]
; %bb.174:
	s_or_b64 exec, exec, s[30:31]
	v_and_b32_e32 v25, 16, v12
	v_mov_b32_dpp v21, v8 row_bcast:15 row_mask:0xf bank_mask:0xf
	v_mov_b32_dpp v24, v9 row_bcast:15 row_mask:0xf bank_mask:0xf
	;; [unrolled: 1-line block ×3, first 2 shown]
	v_cmp_ne_u32_e64 s[0:1], 0, v25
	s_and_saveexec_b64 s[30:31], s[0:1]
; %bb.175:
	v_cmp_eq_u32_e64 s[0:1], 0, v13
	s_nop 1
	v_cndmask_b32_e64 v9, 0, v24, s[0:1]
	v_cndmask_b32_e64 v8, 0, v21, s[0:1]
	v_lshl_add_u64 v[4:5], v[8:9], 0, v[4:5]
	v_or_b32_e32 v8, v20, v13
	v_and_b32_e32 v13, 1, v8
	v_mov_b32_e32 v9, v5
	v_mov_b32_e32 v8, v4
; %bb.176:
	s_or_b64 exec, exec, s[30:31]
	s_nop 0
	v_mov_b32_dpp v20, v8 row_bcast:31 row_mask:0xf bank_mask:0xf
	v_mov_b32_dpp v21, v9 row_bcast:31 row_mask:0xf bank_mask:0xf
	;; [unrolled: 1-line block ×3, first 2 shown]
	v_cmp_lt_u32_e64 s[0:1], 31, v12
	v_mov_b32_e32 v8, v13
	s_and_saveexec_b64 s[30:31], s[0:1]
; %bb.177:
	v_cmp_eq_u32_e64 s[0:1], 0, v13
	v_or_b32_e32 v9, v9, v13
	v_and_b32_e32 v8, 1, v9
	v_cndmask_b32_e64 v21, 0, v21, s[0:1]
	v_cndmask_b32_e64 v20, 0, v20, s[0:1]
	v_lshl_add_u64 v[4:5], v[20:21], 0, v[4:5]
	v_and_b32_e32 v13, 1, v9
; %bb.178:
	s_or_b64 exec, exec, s[30:31]
	v_or_b32_e32 v9, 63, v0
	v_lshrrev_b32_e32 v20, 6, v0
	v_cmp_eq_u32_e64 s[0:1], v9, v0
	s_and_saveexec_b64 s[30:31], s[0:1]
	s_cbranch_execz .LBB18_180
; %bb.179:
	v_lshlrev_b32_e32 v9, 4, v20
	ds_write_b64 v9, v[4:5]
	ds_write_b8 v9, v8 offset:8
.LBB18_180:
	s_or_b64 exec, exec, s[30:31]
	v_cmp_gt_u32_e64 s[0:1], 4, v0
	s_waitcnt lgkmcnt(0)
	s_barrier
	s_and_saveexec_b64 s[34:35], s[0:1]
	s_cbranch_execz .LBB18_186
; %bb.181:
	v_lshlrev_b32_e32 v21, 4, v0
	ds_read_b64 v[8:9], v21
	ds_read_b32 v24, v21 offset:8
	v_and_b32_e32 v25, 3, v12
	v_cmp_ne_u32_e64 s[0:1], 0, v25
	s_waitcnt lgkmcnt(1)
	v_mov_b32_dpp v36, v8 row_shr:1 row_mask:0xf bank_mask:0xf
	v_mov_b32_dpp v37, v9 row_shr:1 row_mask:0xf bank_mask:0xf
	s_waitcnt lgkmcnt(0)
	v_mov_b32_dpp v33, v24 row_shr:1 row_mask:0xf bank_mask:0xf
	v_mov_b32_e32 v28, v24
	v_mov_b32_e32 v29, v24
	s_and_saveexec_b64 s[30:31], s[0:1]
; %bb.182:
	v_mov_b32_e32 v28, 0
	v_cmp_eq_u16_sdwa s[0:1], v24, v28 src0_sel:BYTE_0 src1_sel:DWORD
	s_nop 1
	v_cndmask_b32_e64 v29, 0, v37, s[0:1]
	v_cndmask_b32_e64 v28, 0, v36, s[0:1]
	v_lshl_add_u64 v[8:9], v[28:29], 0, v[8:9]
	v_or_b32_e32 v29, v33, v24
	v_and_b32_e32 v28, 1, v29
	v_and_b32_e32 v29, 1, v29
	s_movk_i32 s0, 0xff00
	v_and_or_b32 v24, v24, s0, v29
; %bb.183:
	s_or_b64 exec, exec, s[30:31]
	v_mov_b32_dpp v33, v8 row_shr:2 row_mask:0xf bank_mask:0xf
	v_mov_b32_dpp v36, v9 row_shr:2 row_mask:0xf bank_mask:0xf
	;; [unrolled: 1-line block ×3, first 2 shown]
	v_cmp_lt_u32_e64 s[0:1], 1, v25
	s_and_saveexec_b64 s[40:41], s[0:1]
; %bb.184:
	v_mov_b32_e32 v25, 0
	v_cmp_eq_u16_sdwa s[0:1], v29, v25 src0_sel:BYTE_0 src1_sel:DWORD
	v_and_b32_e32 v25, 1, v29
	v_and_b32_e32 v24, 1, v24
	v_cndmask_b32_e64 v37, 0, v36, s[0:1]
	v_cndmask_b32_e64 v36, 0, v33, s[0:1]
	v_cmp_eq_u32_e64 s[0:1], 1, v25
	v_cmp_eq_u32_e64 s[30:31], 1, v24
	s_or_b64 s[0:1], s[0:1], s[30:31]
	v_lshl_add_u64 v[8:9], v[36:37], 0, v[8:9]
	v_cndmask_b32_e64 v28, 0, 1, s[0:1]
; %bb.185:
	s_or_b64 exec, exec, s[40:41]
	ds_write_b64 v21, v[8:9]
	ds_write_b8 v21, v28 offset:8
.LBB18_186:
	s_or_b64 exec, exec, s[34:35]
	v_cmp_lt_u32_e64 s[0:1], 63, v0
	v_mov_b64_e32 v[8:9], 0
	s_waitcnt lgkmcnt(0)
	s_barrier
	s_and_saveexec_b64 s[30:31], s[0:1]
	s_cbranch_execz .LBB18_188
; %bb.187:
	v_lshl_add_u32 v8, v20, 4, -16
	ds_read_b64 v[8:9], v8
	v_cmp_eq_u32_e64 s[0:1], 0, v13
	s_waitcnt lgkmcnt(0)
	s_nop 0
	v_cndmask_b32_e64 v21, 0, v9, s[0:1]
	v_cndmask_b32_e64 v20, 0, v8, s[0:1]
	v_lshl_add_u64 v[4:5], v[20:21], 0, v[4:5]
.LBB18_188:
	s_or_b64 exec, exec, s[30:31]
	v_add_u32_e32 v13, -1, v12
	v_and_b32_e32 v20, 64, v12
	v_cmp_lt_i32_e64 s[0:1], v13, v20
	s_nop 1
	v_cndmask_b32_e64 v13, v13, v12, s[0:1]
	v_lshlrev_b32_e32 v13, 2, v13
	ds_bpermute_b32 v4, v13, v4
	ds_bpermute_b32 v5, v13, v5
	s_and_saveexec_b64 s[30:31], s[4:5]
	s_cbranch_execz .LBB18_190
; %bb.189:
	v_cmp_eq_u32_e64 s[0:1], 0, v12
	;;#ASMSTART
	;;#ASMEND
	s_waitcnt lgkmcnt(1)
	s_nop 0
	v_cndmask_b32_e64 v4, v4, v8, s[0:1]
	v_mov_b32_e32 v8, 0
	s_waitcnt lgkmcnt(0)
	v_cndmask_b32_e64 v5, v5, v9, s[0:1]
	v_cmp_eq_u16_sdwa s[0:1], v1, v8 src0_sel:BYTE_0 src1_sel:DWORD
	s_nop 1
	v_cndmask_b32_e64 v5, 0, v5, s[0:1]
	v_cndmask_b32_e64 v4, 0, v4, s[0:1]
	v_lshl_add_u64 v[2:3], v[4:5], 0, v[2:3]
	v_cndmask_b32_e32 v5, 0, v3, vcc
	v_cndmask_b32_e32 v4, 0, v2, vcc
	v_lshl_add_u64 v[50:51], v[4:5], 0, v[14:15]
	v_cndmask_b32_e64 v5, 0, v51, s[6:7]
	v_cndmask_b32_e64 v4, 0, v50, s[6:7]
	v_lshl_add_u64 v[52:53], v[4:5], 0, v[6:7]
	v_cndmask_b32_e64 v5, 0, v53, s[8:9]
	v_cndmask_b32_e64 v4, 0, v52, s[8:9]
	;; [unrolled: 3-line block ×12, first 2 shown]
	v_lshl_add_u64 v[74:75], v[4:5], 0, v[16:17]
.LBB18_190:
	s_or_b64 exec, exec, s[30:31]
	s_and_saveexec_b64 s[0:1], s[36:37]
	s_cbranch_execz .LBB18_192
; %bb.191:
	v_mov_b32_e32 v1, 0
	s_waitcnt lgkmcnt(0)
	ds_read_b64 v[4:5], v1 offset:48
	ds_read_u8 v6, v1 offset:56
	s_waitcnt lgkmcnt(1)
	global_store_dword v1, v4, s[42:43] offset:1024 sc1
	global_store_dword v1, v5, s[42:43] offset:1028 sc1
	s_waitcnt lgkmcnt(0)
	global_store_dword v1, v6, s[42:43] offset:1032 sc1
	global_store_dword v1, v1, s[42:43] offset:1036 sc1
	v_mov_b32_e32 v4, 2
	s_waitcnt vmcnt(0)
	global_store_byte v1, v4, s[44:45] offset:64 sc1
.LBB18_192:
	s_or_b64 exec, exec, s[0:1]
	v_mov_b64_e32 v[48:49], v[2:3]
.LBB18_193:
	s_add_u32 s0, s54, s38
	s_addc_u32 s1, s55, s39
	s_add_u32 s0, s0, s48
	v_mul_u32_u24_e32 v1, 14, v0
	s_addc_u32 s1, s1, s49
	s_and_b64 vcc, exec, s[2:3]
	v_lshlrev_b32_e32 v30, 3, v1
	s_cbranch_vccz .LBB18_221
; %bb.194:
	s_movk_i32 s2, 0xff98
	v_mad_i32_i24 v1, v0, s2, v30
	s_waitcnt lgkmcnt(0)
	s_barrier
	ds_write_b128 v30, v[48:51]
	ds_write_b128 v30, v[52:55] offset:16
	ds_write_b128 v30, v[56:59] offset:32
	ds_write_b128 v30, v[60:63] offset:48
	ds_write_b128 v30, v[64:67] offset:64
	ds_write_b128 v30, v[68:71] offset:80
	ds_write_b128 v30, v[72:75] offset:96
	s_waitcnt lgkmcnt(0)
	s_barrier
	ds_read2st64_b64 v[26:29], v1 offset0:4 offset1:8
	ds_read2st64_b64 v[22:25], v1 offset0:12 offset1:16
	;; [unrolled: 1-line block ×6, first 2 shown]
	ds_read_b64 v[4:5], v1 offset:26624
	s_add_i32 s33, s33, s46
	v_mov_b32_e32 v33, 0
	v_lshl_add_u64 v[2:3], s[0:1], 0, v[32:33]
	v_cmp_gt_u32_e32 vcc, s33, v0
	s_and_saveexec_b64 s[2:3], vcc
	s_cbranch_execz .LBB18_196
; %bb.195:
	v_mul_i32_i24_e32 v1, 0xffffff98, v0
	v_add_u32_e32 v1, v30, v1
	ds_read_b64 v[34:35], v1
	s_waitcnt lgkmcnt(0)
	flat_store_dwordx2 v[2:3], v[34:35]
.LBB18_196:
	s_or_b64 exec, exec, s[2:3]
	v_or_b32_e32 v1, 0x100, v0
	v_cmp_gt_u32_e32 vcc, s33, v1
	s_and_saveexec_b64 s[2:3], vcc
	s_cbranch_execz .LBB18_198
; %bb.197:
	s_waitcnt lgkmcnt(0)
	flat_store_dwordx2 v[2:3], v[26:27] offset:2048
.LBB18_198:
	s_or_b64 exec, exec, s[2:3]
	v_or_b32_e32 v1, 0x200, v0
	v_cmp_gt_u32_e32 vcc, s33, v1
	s_and_saveexec_b64 s[2:3], vcc
	s_cbranch_execz .LBB18_200
; %bb.199:
	s_waitcnt lgkmcnt(0)
	v_add_co_u32_e32 v26, vcc, 0x1000, v2
	s_nop 1
	v_addc_co_u32_e32 v27, vcc, 0, v3, vcc
	flat_store_dwordx2 v[26:27], v[28:29]
.LBB18_200:
	s_or_b64 exec, exec, s[2:3]
	v_or_b32_e32 v1, 0x300, v0
	v_cmp_gt_u32_e32 vcc, s33, v1
	s_and_saveexec_b64 s[2:3], vcc
	s_cbranch_execz .LBB18_202
; %bb.201:
	s_waitcnt lgkmcnt(0)
	v_add_co_u32_e32 v26, vcc, 0x1000, v2
	s_nop 1
	v_addc_co_u32_e32 v27, vcc, 0, v3, vcc
	flat_store_dwordx2 v[26:27], v[22:23] offset:2048
.LBB18_202:
	s_or_b64 exec, exec, s[2:3]
	v_or_b32_e32 v1, 0x400, v0
	v_cmp_gt_u32_e32 vcc, s33, v1
	s_and_saveexec_b64 s[2:3], vcc
	s_cbranch_execz .LBB18_204
; %bb.203:
	s_waitcnt lgkmcnt(0)
	v_add_co_u32_e32 v22, vcc, 0x2000, v2
	s_nop 1
	v_addc_co_u32_e32 v23, vcc, 0, v3, vcc
	flat_store_dwordx2 v[22:23], v[24:25]
.LBB18_204:
	s_or_b64 exec, exec, s[2:3]
	v_or_b32_e32 v1, 0x500, v0
	v_cmp_gt_u32_e32 vcc, s33, v1
	s_and_saveexec_b64 s[2:3], vcc
	s_cbranch_execz .LBB18_206
; %bb.205:
	s_waitcnt lgkmcnt(0)
	v_add_co_u32_e32 v22, vcc, 0x2000, v2
	s_nop 1
	v_addc_co_u32_e32 v23, vcc, 0, v3, vcc
	flat_store_dwordx2 v[22:23], v[18:19] offset:2048
.LBB18_206:
	;; [unrolled: 24-line block ×5, first 2 shown]
	s_or_b64 exec, exec, s[2:3]
	v_or_b32_e32 v1, 0xc00, v0
	v_cmp_gt_u32_e32 vcc, s33, v1
	s_and_saveexec_b64 s[2:3], vcc
	s_cbranch_execz .LBB18_220
; %bb.219:
	v_add_co_u32_e32 v2, vcc, 0x6000, v2
	s_nop 1
	v_addc_co_u32_e32 v3, vcc, 0, v3, vcc
	s_waitcnt lgkmcnt(0)
	flat_store_dwordx2 v[2:3], v[8:9]
.LBB18_220:
	s_or_b64 exec, exec, s[2:3]
	v_or_b32_e32 v2, 0xd00, v0
	v_mov_b32_e32 v1, v33
	v_cmp_gt_u32_e64 s[2:3], s33, v2
	s_branch .LBB18_223
.LBB18_221:
	s_mov_b64 s[2:3], 0
                                        ; implicit-def: $vgpr4_vgpr5
	s_cbranch_execz .LBB18_223
; %bb.222:
	v_mov_b32_e32 v1, 0
	s_movk_i32 s4, 0xff98
	v_mad_i32_i24 v2, v0, s4, v30
	v_mov_b32_e32 v33, v1
	s_waitcnt lgkmcnt(0)
	s_barrier
	ds_write_b128 v30, v[48:51]
	ds_write_b128 v30, v[52:55] offset:16
	ds_write_b128 v30, v[56:59] offset:32
	;; [unrolled: 1-line block ×6, first 2 shown]
	s_waitcnt lgkmcnt(0)
	s_barrier
	ds_read2st64_b64 v[6:9], v2 offset1:4
	ds_read2st64_b64 v[10:13], v2 offset0:8 offset1:12
	ds_read2st64_b64 v[14:17], v2 offset0:16 offset1:20
	;; [unrolled: 1-line block ×6, first 2 shown]
	v_lshl_add_u64 v[30:31], s[0:1], 0, v[32:33]
	s_movk_i32 s4, 0x1000
	s_waitcnt lgkmcnt(0)
	flat_store_dwordx2 v[30:31], v[6:7]
	flat_store_dwordx2 v[30:31], v[8:9] offset:2048
	v_add_co_u32_e32 v6, vcc, s4, v30
	s_movk_i32 s4, 0x2000
	s_nop 0
	v_addc_co_u32_e32 v7, vcc, 0, v31, vcc
	flat_store_dwordx2 v[6:7], v[10:11]
	flat_store_dwordx2 v[6:7], v[12:13] offset:2048
	v_add_co_u32_e32 v6, vcc, s4, v30
	s_movk_i32 s4, 0x3000
	s_nop 0
	v_addc_co_u32_e32 v7, vcc, 0, v31, vcc
	;; [unrolled: 6-line block ×3, first 2 shown]
	flat_store_dwordx2 v[6:7], v[18:19]
	flat_store_dwordx2 v[6:7], v[20:21] offset:2048
	v_add_co_u32_e32 v6, vcc, s4, v30
	s_or_b64 s[2:3], s[2:3], exec
	s_nop 0
	v_addc_co_u32_e32 v7, vcc, 0, v31, vcc
	flat_store_dwordx2 v[6:7], v[22:23]
	flat_store_dwordx2 v[6:7], v[24:25] offset:2048
	v_add_co_u32_e32 v6, vcc, 0x5000, v30
	s_nop 1
	v_addc_co_u32_e32 v7, vcc, 0, v31, vcc
	flat_store_dwordx2 v[6:7], v[26:27]
	flat_store_dwordx2 v[6:7], v[28:29] offset:2048
	v_add_co_u32_e32 v6, vcc, 0x6000, v30
	s_nop 1
	v_addc_co_u32_e32 v7, vcc, 0, v31, vcc
	flat_store_dwordx2 v[6:7], v[2:3]
.LBB18_223:
	s_and_saveexec_b64 s[4:5], s[2:3]
	s_cbranch_execnz .LBB18_225
; %bb.224:
	s_endpgm
.LBB18_225:
	v_lshl_add_u64 v[0:1], v[0:1], 3, s[0:1]
	v_add_co_u32_e32 v0, vcc, 0x6000, v0
	s_nop 1
	v_addc_co_u32_e32 v1, vcc, 0, v1, vcc
	s_waitcnt lgkmcnt(0)
	flat_store_dwordx2 v[0:1], v[4:5] offset:2048
	s_endpgm
.LBB18_226:
	v_lshl_add_u64 v[6:7], s[50:51], 0, v[2:3]
	flat_load_dwordx2 v[6:7], v[6:7]
	s_or_b64 exec, exec, s[0:1]
                                        ; implicit-def: $vgpr8_vgpr9
	s_and_saveexec_b64 s[0:1], s[8:9]
	s_cbranch_execz .LBB18_41
.LBB18_227:
	v_mov_b32_e32 v3, 0
	v_lshl_add_u64 v[8:9], s[50:51], 0, v[2:3]
	flat_load_dwordx2 v[8:9], v[8:9] offset:2048
	s_or_b64 exec, exec, s[0:1]
                                        ; implicit-def: $vgpr10_vgpr11
	s_and_saveexec_b64 s[0:1], s[10:11]
	s_cbranch_execz .LBB18_42
.LBB18_228:
	v_lshlrev_b32_e32 v10, 3, v1
	v_mov_b32_e32 v11, 0
	v_lshl_add_u64 v[10:11], s[50:51], 0, v[10:11]
	flat_load_dwordx2 v[10:11], v[10:11]
	s_or_b64 exec, exec, s[0:1]
                                        ; implicit-def: $vgpr12_vgpr13
	s_and_saveexec_b64 s[0:1], s[12:13]
	s_cbranch_execz .LBB18_43
.LBB18_229:
	v_lshlrev_b32_e32 v12, 3, v32
	v_mov_b32_e32 v13, 0
	v_lshl_add_u64 v[12:13], s[50:51], 0, v[12:13]
	flat_load_dwordx2 v[12:13], v[12:13]
	s_or_b64 exec, exec, s[0:1]
                                        ; implicit-def: $vgpr14_vgpr15
	s_and_saveexec_b64 s[0:1], s[14:15]
	s_cbranch_execz .LBB18_44
.LBB18_230:
	v_lshlrev_b32_e32 v14, 3, v33
	v_mov_b32_e32 v15, 0
	v_lshl_add_u64 v[14:15], s[50:51], 0, v[14:15]
	flat_load_dwordx2 v[14:15], v[14:15]
	s_or_b64 exec, exec, s[0:1]
                                        ; implicit-def: $vgpr16_vgpr17
	s_and_saveexec_b64 s[0:1], s[16:17]
	s_cbranch_execz .LBB18_45
.LBB18_231:
	v_lshlrev_b32_e32 v16, 3, v34
	v_mov_b32_e32 v17, 0
	v_lshl_add_u64 v[16:17], s[50:51], 0, v[16:17]
	flat_load_dwordx2 v[16:17], v[16:17]
	s_or_b64 exec, exec, s[0:1]
                                        ; implicit-def: $vgpr18_vgpr19
	s_and_saveexec_b64 s[0:1], s[18:19]
	s_cbranch_execz .LBB18_46
.LBB18_232:
	v_lshlrev_b32_e32 v18, 3, v35
	v_mov_b32_e32 v19, 0
	v_lshl_add_u64 v[18:19], s[50:51], 0, v[18:19]
	flat_load_dwordx2 v[18:19], v[18:19]
	s_or_b64 exec, exec, s[0:1]
                                        ; implicit-def: $vgpr20_vgpr21
	s_and_saveexec_b64 s[0:1], s[20:21]
	s_cbranch_execz .LBB18_47
.LBB18_233:
	v_lshlrev_b32_e32 v20, 3, v37
	v_mov_b32_e32 v21, 0
	v_lshl_add_u64 v[20:21], s[50:51], 0, v[20:21]
	flat_load_dwordx2 v[20:21], v[20:21]
	s_or_b64 exec, exec, s[0:1]
                                        ; implicit-def: $vgpr22_vgpr23
	s_and_saveexec_b64 s[0:1], s[22:23]
	s_cbranch_execz .LBB18_48
.LBB18_234:
	v_lshlrev_b32_e32 v22, 3, v38
	v_mov_b32_e32 v23, 0
	v_lshl_add_u64 v[22:23], s[50:51], 0, v[22:23]
	flat_load_dwordx2 v[22:23], v[22:23]
	s_or_b64 exec, exec, s[0:1]
                                        ; implicit-def: $vgpr24_vgpr25
	s_and_saveexec_b64 s[0:1], s[24:25]
	s_cbranch_execz .LBB18_49
.LBB18_235:
	v_lshlrev_b32_e32 v24, 3, v39
	v_mov_b32_e32 v25, 0
	v_lshl_add_u64 v[24:25], s[50:51], 0, v[24:25]
	flat_load_dwordx2 v[24:25], v[24:25]
	s_or_b64 exec, exec, s[0:1]
                                        ; implicit-def: $vgpr26_vgpr27
	s_and_saveexec_b64 s[0:1], s[26:27]
	s_cbranch_execz .LBB18_50
.LBB18_236:
	v_lshlrev_b32_e32 v26, 3, v40
	v_mov_b32_e32 v27, 0
	v_lshl_add_u64 v[26:27], s[50:51], 0, v[26:27]
	flat_load_dwordx2 v[26:27], v[26:27]
	s_or_b64 exec, exec, s[0:1]
                                        ; implicit-def: $vgpr28_vgpr29
	s_and_saveexec_b64 s[0:1], s[28:29]
	s_cbranch_execz .LBB18_51
.LBB18_237:
	v_lshlrev_b32_e32 v28, 3, v41
	v_mov_b32_e32 v29, 0
	v_lshl_add_u64 v[28:29], s[50:51], 0, v[28:29]
	flat_load_dwordx2 v[28:29], v[28:29]
	s_or_b64 exec, exec, s[0:1]
                                        ; implicit-def: $vgpr30_vgpr31
	s_and_saveexec_b64 s[0:1], s[30:31]
	s_cbranch_execz .LBB18_52
.LBB18_238:
	v_lshlrev_b32_e32 v30, 3, v42
	v_mov_b32_e32 v31, 0
	v_lshl_add_u64 v[30:31], s[50:51], 0, v[30:31]
	flat_load_dwordx2 v[30:31], v[30:31]
	s_or_b64 exec, exec, s[0:1]
                                        ; implicit-def: $vgpr32_vgpr33
	s_and_saveexec_b64 s[0:1], s[34:35]
	s_cbranch_execnz .LBB18_53
	s_branch .LBB18_54
.LBB18_239:
                                        ; implicit-def: $sgpr0_sgpr1
	s_branch .LBB18_36
.LBB18_240:
                                        ; implicit-def: $sgpr0_sgpr1
	s_branch .LBB18_85
	.section	.rodata,"a",@progbits
	.p2align	6, 0x0
	.amdhsa_kernel _ZN7rocprim17ROCPRIM_400000_NS6detail17trampoline_kernelINS0_14default_configENS1_27scan_by_key_config_selectorIxxEEZZNS1_16scan_by_key_implILNS1_25lookback_scan_determinismE0ELb0ES3_N6thrust23THRUST_200600_302600_NS6detail15normal_iteratorINS9_10device_ptrIxEEEESE_SE_xNS9_4plusIvEENS9_8equal_toIvEExEE10hipError_tPvRmT2_T3_T4_T5_mT6_T7_P12ihipStream_tbENKUlT_T0_E_clISt17integral_constantIbLb1EESZ_EEDaSU_SV_EUlSU_E_NS1_11comp_targetILNS1_3genE5ELNS1_11target_archE942ELNS1_3gpuE9ELNS1_3repE0EEENS1_30default_config_static_selectorELNS0_4arch9wavefront6targetE1EEEvT1_
		.amdhsa_group_segment_fixed_size 32768
		.amdhsa_private_segment_fixed_size 0
		.amdhsa_kernarg_size 136
		.amdhsa_user_sgpr_count 2
		.amdhsa_user_sgpr_dispatch_ptr 0
		.amdhsa_user_sgpr_queue_ptr 0
		.amdhsa_user_sgpr_kernarg_segment_ptr 1
		.amdhsa_user_sgpr_dispatch_id 0
		.amdhsa_user_sgpr_kernarg_preload_length 0
		.amdhsa_user_sgpr_kernarg_preload_offset 0
		.amdhsa_user_sgpr_private_segment_size 0
		.amdhsa_uses_dynamic_stack 0
		.amdhsa_enable_private_segment 0
		.amdhsa_system_sgpr_workgroup_id_x 1
		.amdhsa_system_sgpr_workgroup_id_y 0
		.amdhsa_system_sgpr_workgroup_id_z 0
		.amdhsa_system_sgpr_workgroup_info 0
		.amdhsa_system_vgpr_workitem_id 0
		.amdhsa_next_free_vgpr 92
		.amdhsa_next_free_sgpr 70
		.amdhsa_accum_offset 92
		.amdhsa_reserve_vcc 1
		.amdhsa_float_round_mode_32 0
		.amdhsa_float_round_mode_16_64 0
		.amdhsa_float_denorm_mode_32 3
		.amdhsa_float_denorm_mode_16_64 3
		.amdhsa_dx10_clamp 1
		.amdhsa_ieee_mode 1
		.amdhsa_fp16_overflow 0
		.amdhsa_tg_split 0
		.amdhsa_exception_fp_ieee_invalid_op 0
		.amdhsa_exception_fp_denorm_src 0
		.amdhsa_exception_fp_ieee_div_zero 0
		.amdhsa_exception_fp_ieee_overflow 0
		.amdhsa_exception_fp_ieee_underflow 0
		.amdhsa_exception_fp_ieee_inexact 0
		.amdhsa_exception_int_div_zero 0
	.end_amdhsa_kernel
	.section	.text._ZN7rocprim17ROCPRIM_400000_NS6detail17trampoline_kernelINS0_14default_configENS1_27scan_by_key_config_selectorIxxEEZZNS1_16scan_by_key_implILNS1_25lookback_scan_determinismE0ELb0ES3_N6thrust23THRUST_200600_302600_NS6detail15normal_iteratorINS9_10device_ptrIxEEEESE_SE_xNS9_4plusIvEENS9_8equal_toIvEExEE10hipError_tPvRmT2_T3_T4_T5_mT6_T7_P12ihipStream_tbENKUlT_T0_E_clISt17integral_constantIbLb1EESZ_EEDaSU_SV_EUlSU_E_NS1_11comp_targetILNS1_3genE5ELNS1_11target_archE942ELNS1_3gpuE9ELNS1_3repE0EEENS1_30default_config_static_selectorELNS0_4arch9wavefront6targetE1EEEvT1_,"axG",@progbits,_ZN7rocprim17ROCPRIM_400000_NS6detail17trampoline_kernelINS0_14default_configENS1_27scan_by_key_config_selectorIxxEEZZNS1_16scan_by_key_implILNS1_25lookback_scan_determinismE0ELb0ES3_N6thrust23THRUST_200600_302600_NS6detail15normal_iteratorINS9_10device_ptrIxEEEESE_SE_xNS9_4plusIvEENS9_8equal_toIvEExEE10hipError_tPvRmT2_T3_T4_T5_mT6_T7_P12ihipStream_tbENKUlT_T0_E_clISt17integral_constantIbLb1EESZ_EEDaSU_SV_EUlSU_E_NS1_11comp_targetILNS1_3genE5ELNS1_11target_archE942ELNS1_3gpuE9ELNS1_3repE0EEENS1_30default_config_static_selectorELNS0_4arch9wavefront6targetE1EEEvT1_,comdat
.Lfunc_end18:
	.size	_ZN7rocprim17ROCPRIM_400000_NS6detail17trampoline_kernelINS0_14default_configENS1_27scan_by_key_config_selectorIxxEEZZNS1_16scan_by_key_implILNS1_25lookback_scan_determinismE0ELb0ES3_N6thrust23THRUST_200600_302600_NS6detail15normal_iteratorINS9_10device_ptrIxEEEESE_SE_xNS9_4plusIvEENS9_8equal_toIvEExEE10hipError_tPvRmT2_T3_T4_T5_mT6_T7_P12ihipStream_tbENKUlT_T0_E_clISt17integral_constantIbLb1EESZ_EEDaSU_SV_EUlSU_E_NS1_11comp_targetILNS1_3genE5ELNS1_11target_archE942ELNS1_3gpuE9ELNS1_3repE0EEENS1_30default_config_static_selectorELNS0_4arch9wavefront6targetE1EEEvT1_, .Lfunc_end18-_ZN7rocprim17ROCPRIM_400000_NS6detail17trampoline_kernelINS0_14default_configENS1_27scan_by_key_config_selectorIxxEEZZNS1_16scan_by_key_implILNS1_25lookback_scan_determinismE0ELb0ES3_N6thrust23THRUST_200600_302600_NS6detail15normal_iteratorINS9_10device_ptrIxEEEESE_SE_xNS9_4plusIvEENS9_8equal_toIvEExEE10hipError_tPvRmT2_T3_T4_T5_mT6_T7_P12ihipStream_tbENKUlT_T0_E_clISt17integral_constantIbLb1EESZ_EEDaSU_SV_EUlSU_E_NS1_11comp_targetILNS1_3genE5ELNS1_11target_archE942ELNS1_3gpuE9ELNS1_3repE0EEENS1_30default_config_static_selectorELNS0_4arch9wavefront6targetE1EEEvT1_
                                        ; -- End function
	.section	.AMDGPU.csdata,"",@progbits
; Kernel info:
; codeLenInByte = 12580
; NumSgprs: 76
; NumVgprs: 92
; NumAgprs: 0
; TotalNumVgprs: 92
; ScratchSize: 0
; MemoryBound: 0
; FloatMode: 240
; IeeeMode: 1
; LDSByteSize: 32768 bytes/workgroup (compile time only)
; SGPRBlocks: 9
; VGPRBlocks: 11
; NumSGPRsForWavesPerEU: 76
; NumVGPRsForWavesPerEU: 92
; AccumOffset: 92
; Occupancy: 2
; WaveLimiterHint : 1
; COMPUTE_PGM_RSRC2:SCRATCH_EN: 0
; COMPUTE_PGM_RSRC2:USER_SGPR: 2
; COMPUTE_PGM_RSRC2:TRAP_HANDLER: 0
; COMPUTE_PGM_RSRC2:TGID_X_EN: 1
; COMPUTE_PGM_RSRC2:TGID_Y_EN: 0
; COMPUTE_PGM_RSRC2:TGID_Z_EN: 0
; COMPUTE_PGM_RSRC2:TIDIG_COMP_CNT: 0
; COMPUTE_PGM_RSRC3_GFX90A:ACCUM_OFFSET: 22
; COMPUTE_PGM_RSRC3_GFX90A:TG_SPLIT: 0
	.section	.text._ZN7rocprim17ROCPRIM_400000_NS6detail17trampoline_kernelINS0_14default_configENS1_27scan_by_key_config_selectorIxxEEZZNS1_16scan_by_key_implILNS1_25lookback_scan_determinismE0ELb0ES3_N6thrust23THRUST_200600_302600_NS6detail15normal_iteratorINS9_10device_ptrIxEEEESE_SE_xNS9_4plusIvEENS9_8equal_toIvEExEE10hipError_tPvRmT2_T3_T4_T5_mT6_T7_P12ihipStream_tbENKUlT_T0_E_clISt17integral_constantIbLb1EESZ_EEDaSU_SV_EUlSU_E_NS1_11comp_targetILNS1_3genE4ELNS1_11target_archE910ELNS1_3gpuE8ELNS1_3repE0EEENS1_30default_config_static_selectorELNS0_4arch9wavefront6targetE1EEEvT1_,"axG",@progbits,_ZN7rocprim17ROCPRIM_400000_NS6detail17trampoline_kernelINS0_14default_configENS1_27scan_by_key_config_selectorIxxEEZZNS1_16scan_by_key_implILNS1_25lookback_scan_determinismE0ELb0ES3_N6thrust23THRUST_200600_302600_NS6detail15normal_iteratorINS9_10device_ptrIxEEEESE_SE_xNS9_4plusIvEENS9_8equal_toIvEExEE10hipError_tPvRmT2_T3_T4_T5_mT6_T7_P12ihipStream_tbENKUlT_T0_E_clISt17integral_constantIbLb1EESZ_EEDaSU_SV_EUlSU_E_NS1_11comp_targetILNS1_3genE4ELNS1_11target_archE910ELNS1_3gpuE8ELNS1_3repE0EEENS1_30default_config_static_selectorELNS0_4arch9wavefront6targetE1EEEvT1_,comdat
	.protected	_ZN7rocprim17ROCPRIM_400000_NS6detail17trampoline_kernelINS0_14default_configENS1_27scan_by_key_config_selectorIxxEEZZNS1_16scan_by_key_implILNS1_25lookback_scan_determinismE0ELb0ES3_N6thrust23THRUST_200600_302600_NS6detail15normal_iteratorINS9_10device_ptrIxEEEESE_SE_xNS9_4plusIvEENS9_8equal_toIvEExEE10hipError_tPvRmT2_T3_T4_T5_mT6_T7_P12ihipStream_tbENKUlT_T0_E_clISt17integral_constantIbLb1EESZ_EEDaSU_SV_EUlSU_E_NS1_11comp_targetILNS1_3genE4ELNS1_11target_archE910ELNS1_3gpuE8ELNS1_3repE0EEENS1_30default_config_static_selectorELNS0_4arch9wavefront6targetE1EEEvT1_ ; -- Begin function _ZN7rocprim17ROCPRIM_400000_NS6detail17trampoline_kernelINS0_14default_configENS1_27scan_by_key_config_selectorIxxEEZZNS1_16scan_by_key_implILNS1_25lookback_scan_determinismE0ELb0ES3_N6thrust23THRUST_200600_302600_NS6detail15normal_iteratorINS9_10device_ptrIxEEEESE_SE_xNS9_4plusIvEENS9_8equal_toIvEExEE10hipError_tPvRmT2_T3_T4_T5_mT6_T7_P12ihipStream_tbENKUlT_T0_E_clISt17integral_constantIbLb1EESZ_EEDaSU_SV_EUlSU_E_NS1_11comp_targetILNS1_3genE4ELNS1_11target_archE910ELNS1_3gpuE8ELNS1_3repE0EEENS1_30default_config_static_selectorELNS0_4arch9wavefront6targetE1EEEvT1_
	.globl	_ZN7rocprim17ROCPRIM_400000_NS6detail17trampoline_kernelINS0_14default_configENS1_27scan_by_key_config_selectorIxxEEZZNS1_16scan_by_key_implILNS1_25lookback_scan_determinismE0ELb0ES3_N6thrust23THRUST_200600_302600_NS6detail15normal_iteratorINS9_10device_ptrIxEEEESE_SE_xNS9_4plusIvEENS9_8equal_toIvEExEE10hipError_tPvRmT2_T3_T4_T5_mT6_T7_P12ihipStream_tbENKUlT_T0_E_clISt17integral_constantIbLb1EESZ_EEDaSU_SV_EUlSU_E_NS1_11comp_targetILNS1_3genE4ELNS1_11target_archE910ELNS1_3gpuE8ELNS1_3repE0EEENS1_30default_config_static_selectorELNS0_4arch9wavefront6targetE1EEEvT1_
	.p2align	8
	.type	_ZN7rocprim17ROCPRIM_400000_NS6detail17trampoline_kernelINS0_14default_configENS1_27scan_by_key_config_selectorIxxEEZZNS1_16scan_by_key_implILNS1_25lookback_scan_determinismE0ELb0ES3_N6thrust23THRUST_200600_302600_NS6detail15normal_iteratorINS9_10device_ptrIxEEEESE_SE_xNS9_4plusIvEENS9_8equal_toIvEExEE10hipError_tPvRmT2_T3_T4_T5_mT6_T7_P12ihipStream_tbENKUlT_T0_E_clISt17integral_constantIbLb1EESZ_EEDaSU_SV_EUlSU_E_NS1_11comp_targetILNS1_3genE4ELNS1_11target_archE910ELNS1_3gpuE8ELNS1_3repE0EEENS1_30default_config_static_selectorELNS0_4arch9wavefront6targetE1EEEvT1_,@function
_ZN7rocprim17ROCPRIM_400000_NS6detail17trampoline_kernelINS0_14default_configENS1_27scan_by_key_config_selectorIxxEEZZNS1_16scan_by_key_implILNS1_25lookback_scan_determinismE0ELb0ES3_N6thrust23THRUST_200600_302600_NS6detail15normal_iteratorINS9_10device_ptrIxEEEESE_SE_xNS9_4plusIvEENS9_8equal_toIvEExEE10hipError_tPvRmT2_T3_T4_T5_mT6_T7_P12ihipStream_tbENKUlT_T0_E_clISt17integral_constantIbLb1EESZ_EEDaSU_SV_EUlSU_E_NS1_11comp_targetILNS1_3genE4ELNS1_11target_archE910ELNS1_3gpuE8ELNS1_3repE0EEENS1_30default_config_static_selectorELNS0_4arch9wavefront6targetE1EEEvT1_: ; @_ZN7rocprim17ROCPRIM_400000_NS6detail17trampoline_kernelINS0_14default_configENS1_27scan_by_key_config_selectorIxxEEZZNS1_16scan_by_key_implILNS1_25lookback_scan_determinismE0ELb0ES3_N6thrust23THRUST_200600_302600_NS6detail15normal_iteratorINS9_10device_ptrIxEEEESE_SE_xNS9_4plusIvEENS9_8equal_toIvEExEE10hipError_tPvRmT2_T3_T4_T5_mT6_T7_P12ihipStream_tbENKUlT_T0_E_clISt17integral_constantIbLb1EESZ_EEDaSU_SV_EUlSU_E_NS1_11comp_targetILNS1_3genE4ELNS1_11target_archE910ELNS1_3gpuE8ELNS1_3repE0EEENS1_30default_config_static_selectorELNS0_4arch9wavefront6targetE1EEEvT1_
; %bb.0:
	.section	.rodata,"a",@progbits
	.p2align	6, 0x0
	.amdhsa_kernel _ZN7rocprim17ROCPRIM_400000_NS6detail17trampoline_kernelINS0_14default_configENS1_27scan_by_key_config_selectorIxxEEZZNS1_16scan_by_key_implILNS1_25lookback_scan_determinismE0ELb0ES3_N6thrust23THRUST_200600_302600_NS6detail15normal_iteratorINS9_10device_ptrIxEEEESE_SE_xNS9_4plusIvEENS9_8equal_toIvEExEE10hipError_tPvRmT2_T3_T4_T5_mT6_T7_P12ihipStream_tbENKUlT_T0_E_clISt17integral_constantIbLb1EESZ_EEDaSU_SV_EUlSU_E_NS1_11comp_targetILNS1_3genE4ELNS1_11target_archE910ELNS1_3gpuE8ELNS1_3repE0EEENS1_30default_config_static_selectorELNS0_4arch9wavefront6targetE1EEEvT1_
		.amdhsa_group_segment_fixed_size 0
		.amdhsa_private_segment_fixed_size 0
		.amdhsa_kernarg_size 136
		.amdhsa_user_sgpr_count 2
		.amdhsa_user_sgpr_dispatch_ptr 0
		.amdhsa_user_sgpr_queue_ptr 0
		.amdhsa_user_sgpr_kernarg_segment_ptr 1
		.amdhsa_user_sgpr_dispatch_id 0
		.amdhsa_user_sgpr_kernarg_preload_length 0
		.amdhsa_user_sgpr_kernarg_preload_offset 0
		.amdhsa_user_sgpr_private_segment_size 0
		.amdhsa_uses_dynamic_stack 0
		.amdhsa_enable_private_segment 0
		.amdhsa_system_sgpr_workgroup_id_x 1
		.amdhsa_system_sgpr_workgroup_id_y 0
		.amdhsa_system_sgpr_workgroup_id_z 0
		.amdhsa_system_sgpr_workgroup_info 0
		.amdhsa_system_vgpr_workitem_id 0
		.amdhsa_next_free_vgpr 1
		.amdhsa_next_free_sgpr 0
		.amdhsa_accum_offset 4
		.amdhsa_reserve_vcc 0
		.amdhsa_float_round_mode_32 0
		.amdhsa_float_round_mode_16_64 0
		.amdhsa_float_denorm_mode_32 3
		.amdhsa_float_denorm_mode_16_64 3
		.amdhsa_dx10_clamp 1
		.amdhsa_ieee_mode 1
		.amdhsa_fp16_overflow 0
		.amdhsa_tg_split 0
		.amdhsa_exception_fp_ieee_invalid_op 0
		.amdhsa_exception_fp_denorm_src 0
		.amdhsa_exception_fp_ieee_div_zero 0
		.amdhsa_exception_fp_ieee_overflow 0
		.amdhsa_exception_fp_ieee_underflow 0
		.amdhsa_exception_fp_ieee_inexact 0
		.amdhsa_exception_int_div_zero 0
	.end_amdhsa_kernel
	.section	.text._ZN7rocprim17ROCPRIM_400000_NS6detail17trampoline_kernelINS0_14default_configENS1_27scan_by_key_config_selectorIxxEEZZNS1_16scan_by_key_implILNS1_25lookback_scan_determinismE0ELb0ES3_N6thrust23THRUST_200600_302600_NS6detail15normal_iteratorINS9_10device_ptrIxEEEESE_SE_xNS9_4plusIvEENS9_8equal_toIvEExEE10hipError_tPvRmT2_T3_T4_T5_mT6_T7_P12ihipStream_tbENKUlT_T0_E_clISt17integral_constantIbLb1EESZ_EEDaSU_SV_EUlSU_E_NS1_11comp_targetILNS1_3genE4ELNS1_11target_archE910ELNS1_3gpuE8ELNS1_3repE0EEENS1_30default_config_static_selectorELNS0_4arch9wavefront6targetE1EEEvT1_,"axG",@progbits,_ZN7rocprim17ROCPRIM_400000_NS6detail17trampoline_kernelINS0_14default_configENS1_27scan_by_key_config_selectorIxxEEZZNS1_16scan_by_key_implILNS1_25lookback_scan_determinismE0ELb0ES3_N6thrust23THRUST_200600_302600_NS6detail15normal_iteratorINS9_10device_ptrIxEEEESE_SE_xNS9_4plusIvEENS9_8equal_toIvEExEE10hipError_tPvRmT2_T3_T4_T5_mT6_T7_P12ihipStream_tbENKUlT_T0_E_clISt17integral_constantIbLb1EESZ_EEDaSU_SV_EUlSU_E_NS1_11comp_targetILNS1_3genE4ELNS1_11target_archE910ELNS1_3gpuE8ELNS1_3repE0EEENS1_30default_config_static_selectorELNS0_4arch9wavefront6targetE1EEEvT1_,comdat
.Lfunc_end19:
	.size	_ZN7rocprim17ROCPRIM_400000_NS6detail17trampoline_kernelINS0_14default_configENS1_27scan_by_key_config_selectorIxxEEZZNS1_16scan_by_key_implILNS1_25lookback_scan_determinismE0ELb0ES3_N6thrust23THRUST_200600_302600_NS6detail15normal_iteratorINS9_10device_ptrIxEEEESE_SE_xNS9_4plusIvEENS9_8equal_toIvEExEE10hipError_tPvRmT2_T3_T4_T5_mT6_T7_P12ihipStream_tbENKUlT_T0_E_clISt17integral_constantIbLb1EESZ_EEDaSU_SV_EUlSU_E_NS1_11comp_targetILNS1_3genE4ELNS1_11target_archE910ELNS1_3gpuE8ELNS1_3repE0EEENS1_30default_config_static_selectorELNS0_4arch9wavefront6targetE1EEEvT1_, .Lfunc_end19-_ZN7rocprim17ROCPRIM_400000_NS6detail17trampoline_kernelINS0_14default_configENS1_27scan_by_key_config_selectorIxxEEZZNS1_16scan_by_key_implILNS1_25lookback_scan_determinismE0ELb0ES3_N6thrust23THRUST_200600_302600_NS6detail15normal_iteratorINS9_10device_ptrIxEEEESE_SE_xNS9_4plusIvEENS9_8equal_toIvEExEE10hipError_tPvRmT2_T3_T4_T5_mT6_T7_P12ihipStream_tbENKUlT_T0_E_clISt17integral_constantIbLb1EESZ_EEDaSU_SV_EUlSU_E_NS1_11comp_targetILNS1_3genE4ELNS1_11target_archE910ELNS1_3gpuE8ELNS1_3repE0EEENS1_30default_config_static_selectorELNS0_4arch9wavefront6targetE1EEEvT1_
                                        ; -- End function
	.section	.AMDGPU.csdata,"",@progbits
; Kernel info:
; codeLenInByte = 0
; NumSgprs: 6
; NumVgprs: 0
; NumAgprs: 0
; TotalNumVgprs: 0
; ScratchSize: 0
; MemoryBound: 0
; FloatMode: 240
; IeeeMode: 1
; LDSByteSize: 0 bytes/workgroup (compile time only)
; SGPRBlocks: 0
; VGPRBlocks: 0
; NumSGPRsForWavesPerEU: 6
; NumVGPRsForWavesPerEU: 1
; AccumOffset: 4
; Occupancy: 8
; WaveLimiterHint : 0
; COMPUTE_PGM_RSRC2:SCRATCH_EN: 0
; COMPUTE_PGM_RSRC2:USER_SGPR: 2
; COMPUTE_PGM_RSRC2:TRAP_HANDLER: 0
; COMPUTE_PGM_RSRC2:TGID_X_EN: 1
; COMPUTE_PGM_RSRC2:TGID_Y_EN: 0
; COMPUTE_PGM_RSRC2:TGID_Z_EN: 0
; COMPUTE_PGM_RSRC2:TIDIG_COMP_CNT: 0
; COMPUTE_PGM_RSRC3_GFX90A:ACCUM_OFFSET: 0
; COMPUTE_PGM_RSRC3_GFX90A:TG_SPLIT: 0
	.section	.text._ZN7rocprim17ROCPRIM_400000_NS6detail17trampoline_kernelINS0_14default_configENS1_27scan_by_key_config_selectorIxxEEZZNS1_16scan_by_key_implILNS1_25lookback_scan_determinismE0ELb0ES3_N6thrust23THRUST_200600_302600_NS6detail15normal_iteratorINS9_10device_ptrIxEEEESE_SE_xNS9_4plusIvEENS9_8equal_toIvEExEE10hipError_tPvRmT2_T3_T4_T5_mT6_T7_P12ihipStream_tbENKUlT_T0_E_clISt17integral_constantIbLb1EESZ_EEDaSU_SV_EUlSU_E_NS1_11comp_targetILNS1_3genE3ELNS1_11target_archE908ELNS1_3gpuE7ELNS1_3repE0EEENS1_30default_config_static_selectorELNS0_4arch9wavefront6targetE1EEEvT1_,"axG",@progbits,_ZN7rocprim17ROCPRIM_400000_NS6detail17trampoline_kernelINS0_14default_configENS1_27scan_by_key_config_selectorIxxEEZZNS1_16scan_by_key_implILNS1_25lookback_scan_determinismE0ELb0ES3_N6thrust23THRUST_200600_302600_NS6detail15normal_iteratorINS9_10device_ptrIxEEEESE_SE_xNS9_4plusIvEENS9_8equal_toIvEExEE10hipError_tPvRmT2_T3_T4_T5_mT6_T7_P12ihipStream_tbENKUlT_T0_E_clISt17integral_constantIbLb1EESZ_EEDaSU_SV_EUlSU_E_NS1_11comp_targetILNS1_3genE3ELNS1_11target_archE908ELNS1_3gpuE7ELNS1_3repE0EEENS1_30default_config_static_selectorELNS0_4arch9wavefront6targetE1EEEvT1_,comdat
	.protected	_ZN7rocprim17ROCPRIM_400000_NS6detail17trampoline_kernelINS0_14default_configENS1_27scan_by_key_config_selectorIxxEEZZNS1_16scan_by_key_implILNS1_25lookback_scan_determinismE0ELb0ES3_N6thrust23THRUST_200600_302600_NS6detail15normal_iteratorINS9_10device_ptrIxEEEESE_SE_xNS9_4plusIvEENS9_8equal_toIvEExEE10hipError_tPvRmT2_T3_T4_T5_mT6_T7_P12ihipStream_tbENKUlT_T0_E_clISt17integral_constantIbLb1EESZ_EEDaSU_SV_EUlSU_E_NS1_11comp_targetILNS1_3genE3ELNS1_11target_archE908ELNS1_3gpuE7ELNS1_3repE0EEENS1_30default_config_static_selectorELNS0_4arch9wavefront6targetE1EEEvT1_ ; -- Begin function _ZN7rocprim17ROCPRIM_400000_NS6detail17trampoline_kernelINS0_14default_configENS1_27scan_by_key_config_selectorIxxEEZZNS1_16scan_by_key_implILNS1_25lookback_scan_determinismE0ELb0ES3_N6thrust23THRUST_200600_302600_NS6detail15normal_iteratorINS9_10device_ptrIxEEEESE_SE_xNS9_4plusIvEENS9_8equal_toIvEExEE10hipError_tPvRmT2_T3_T4_T5_mT6_T7_P12ihipStream_tbENKUlT_T0_E_clISt17integral_constantIbLb1EESZ_EEDaSU_SV_EUlSU_E_NS1_11comp_targetILNS1_3genE3ELNS1_11target_archE908ELNS1_3gpuE7ELNS1_3repE0EEENS1_30default_config_static_selectorELNS0_4arch9wavefront6targetE1EEEvT1_
	.globl	_ZN7rocprim17ROCPRIM_400000_NS6detail17trampoline_kernelINS0_14default_configENS1_27scan_by_key_config_selectorIxxEEZZNS1_16scan_by_key_implILNS1_25lookback_scan_determinismE0ELb0ES3_N6thrust23THRUST_200600_302600_NS6detail15normal_iteratorINS9_10device_ptrIxEEEESE_SE_xNS9_4plusIvEENS9_8equal_toIvEExEE10hipError_tPvRmT2_T3_T4_T5_mT6_T7_P12ihipStream_tbENKUlT_T0_E_clISt17integral_constantIbLb1EESZ_EEDaSU_SV_EUlSU_E_NS1_11comp_targetILNS1_3genE3ELNS1_11target_archE908ELNS1_3gpuE7ELNS1_3repE0EEENS1_30default_config_static_selectorELNS0_4arch9wavefront6targetE1EEEvT1_
	.p2align	8
	.type	_ZN7rocprim17ROCPRIM_400000_NS6detail17trampoline_kernelINS0_14default_configENS1_27scan_by_key_config_selectorIxxEEZZNS1_16scan_by_key_implILNS1_25lookback_scan_determinismE0ELb0ES3_N6thrust23THRUST_200600_302600_NS6detail15normal_iteratorINS9_10device_ptrIxEEEESE_SE_xNS9_4plusIvEENS9_8equal_toIvEExEE10hipError_tPvRmT2_T3_T4_T5_mT6_T7_P12ihipStream_tbENKUlT_T0_E_clISt17integral_constantIbLb1EESZ_EEDaSU_SV_EUlSU_E_NS1_11comp_targetILNS1_3genE3ELNS1_11target_archE908ELNS1_3gpuE7ELNS1_3repE0EEENS1_30default_config_static_selectorELNS0_4arch9wavefront6targetE1EEEvT1_,@function
_ZN7rocprim17ROCPRIM_400000_NS6detail17trampoline_kernelINS0_14default_configENS1_27scan_by_key_config_selectorIxxEEZZNS1_16scan_by_key_implILNS1_25lookback_scan_determinismE0ELb0ES3_N6thrust23THRUST_200600_302600_NS6detail15normal_iteratorINS9_10device_ptrIxEEEESE_SE_xNS9_4plusIvEENS9_8equal_toIvEExEE10hipError_tPvRmT2_T3_T4_T5_mT6_T7_P12ihipStream_tbENKUlT_T0_E_clISt17integral_constantIbLb1EESZ_EEDaSU_SV_EUlSU_E_NS1_11comp_targetILNS1_3genE3ELNS1_11target_archE908ELNS1_3gpuE7ELNS1_3repE0EEENS1_30default_config_static_selectorELNS0_4arch9wavefront6targetE1EEEvT1_: ; @_ZN7rocprim17ROCPRIM_400000_NS6detail17trampoline_kernelINS0_14default_configENS1_27scan_by_key_config_selectorIxxEEZZNS1_16scan_by_key_implILNS1_25lookback_scan_determinismE0ELb0ES3_N6thrust23THRUST_200600_302600_NS6detail15normal_iteratorINS9_10device_ptrIxEEEESE_SE_xNS9_4plusIvEENS9_8equal_toIvEExEE10hipError_tPvRmT2_T3_T4_T5_mT6_T7_P12ihipStream_tbENKUlT_T0_E_clISt17integral_constantIbLb1EESZ_EEDaSU_SV_EUlSU_E_NS1_11comp_targetILNS1_3genE3ELNS1_11target_archE908ELNS1_3gpuE7ELNS1_3repE0EEENS1_30default_config_static_selectorELNS0_4arch9wavefront6targetE1EEEvT1_
; %bb.0:
	.section	.rodata,"a",@progbits
	.p2align	6, 0x0
	.amdhsa_kernel _ZN7rocprim17ROCPRIM_400000_NS6detail17trampoline_kernelINS0_14default_configENS1_27scan_by_key_config_selectorIxxEEZZNS1_16scan_by_key_implILNS1_25lookback_scan_determinismE0ELb0ES3_N6thrust23THRUST_200600_302600_NS6detail15normal_iteratorINS9_10device_ptrIxEEEESE_SE_xNS9_4plusIvEENS9_8equal_toIvEExEE10hipError_tPvRmT2_T3_T4_T5_mT6_T7_P12ihipStream_tbENKUlT_T0_E_clISt17integral_constantIbLb1EESZ_EEDaSU_SV_EUlSU_E_NS1_11comp_targetILNS1_3genE3ELNS1_11target_archE908ELNS1_3gpuE7ELNS1_3repE0EEENS1_30default_config_static_selectorELNS0_4arch9wavefront6targetE1EEEvT1_
		.amdhsa_group_segment_fixed_size 0
		.amdhsa_private_segment_fixed_size 0
		.amdhsa_kernarg_size 136
		.amdhsa_user_sgpr_count 2
		.amdhsa_user_sgpr_dispatch_ptr 0
		.amdhsa_user_sgpr_queue_ptr 0
		.amdhsa_user_sgpr_kernarg_segment_ptr 1
		.amdhsa_user_sgpr_dispatch_id 0
		.amdhsa_user_sgpr_kernarg_preload_length 0
		.amdhsa_user_sgpr_kernarg_preload_offset 0
		.amdhsa_user_sgpr_private_segment_size 0
		.amdhsa_uses_dynamic_stack 0
		.amdhsa_enable_private_segment 0
		.amdhsa_system_sgpr_workgroup_id_x 1
		.amdhsa_system_sgpr_workgroup_id_y 0
		.amdhsa_system_sgpr_workgroup_id_z 0
		.amdhsa_system_sgpr_workgroup_info 0
		.amdhsa_system_vgpr_workitem_id 0
		.amdhsa_next_free_vgpr 1
		.amdhsa_next_free_sgpr 0
		.amdhsa_accum_offset 4
		.amdhsa_reserve_vcc 0
		.amdhsa_float_round_mode_32 0
		.amdhsa_float_round_mode_16_64 0
		.amdhsa_float_denorm_mode_32 3
		.amdhsa_float_denorm_mode_16_64 3
		.amdhsa_dx10_clamp 1
		.amdhsa_ieee_mode 1
		.amdhsa_fp16_overflow 0
		.amdhsa_tg_split 0
		.amdhsa_exception_fp_ieee_invalid_op 0
		.amdhsa_exception_fp_denorm_src 0
		.amdhsa_exception_fp_ieee_div_zero 0
		.amdhsa_exception_fp_ieee_overflow 0
		.amdhsa_exception_fp_ieee_underflow 0
		.amdhsa_exception_fp_ieee_inexact 0
		.amdhsa_exception_int_div_zero 0
	.end_amdhsa_kernel
	.section	.text._ZN7rocprim17ROCPRIM_400000_NS6detail17trampoline_kernelINS0_14default_configENS1_27scan_by_key_config_selectorIxxEEZZNS1_16scan_by_key_implILNS1_25lookback_scan_determinismE0ELb0ES3_N6thrust23THRUST_200600_302600_NS6detail15normal_iteratorINS9_10device_ptrIxEEEESE_SE_xNS9_4plusIvEENS9_8equal_toIvEExEE10hipError_tPvRmT2_T3_T4_T5_mT6_T7_P12ihipStream_tbENKUlT_T0_E_clISt17integral_constantIbLb1EESZ_EEDaSU_SV_EUlSU_E_NS1_11comp_targetILNS1_3genE3ELNS1_11target_archE908ELNS1_3gpuE7ELNS1_3repE0EEENS1_30default_config_static_selectorELNS0_4arch9wavefront6targetE1EEEvT1_,"axG",@progbits,_ZN7rocprim17ROCPRIM_400000_NS6detail17trampoline_kernelINS0_14default_configENS1_27scan_by_key_config_selectorIxxEEZZNS1_16scan_by_key_implILNS1_25lookback_scan_determinismE0ELb0ES3_N6thrust23THRUST_200600_302600_NS6detail15normal_iteratorINS9_10device_ptrIxEEEESE_SE_xNS9_4plusIvEENS9_8equal_toIvEExEE10hipError_tPvRmT2_T3_T4_T5_mT6_T7_P12ihipStream_tbENKUlT_T0_E_clISt17integral_constantIbLb1EESZ_EEDaSU_SV_EUlSU_E_NS1_11comp_targetILNS1_3genE3ELNS1_11target_archE908ELNS1_3gpuE7ELNS1_3repE0EEENS1_30default_config_static_selectorELNS0_4arch9wavefront6targetE1EEEvT1_,comdat
.Lfunc_end20:
	.size	_ZN7rocprim17ROCPRIM_400000_NS6detail17trampoline_kernelINS0_14default_configENS1_27scan_by_key_config_selectorIxxEEZZNS1_16scan_by_key_implILNS1_25lookback_scan_determinismE0ELb0ES3_N6thrust23THRUST_200600_302600_NS6detail15normal_iteratorINS9_10device_ptrIxEEEESE_SE_xNS9_4plusIvEENS9_8equal_toIvEExEE10hipError_tPvRmT2_T3_T4_T5_mT6_T7_P12ihipStream_tbENKUlT_T0_E_clISt17integral_constantIbLb1EESZ_EEDaSU_SV_EUlSU_E_NS1_11comp_targetILNS1_3genE3ELNS1_11target_archE908ELNS1_3gpuE7ELNS1_3repE0EEENS1_30default_config_static_selectorELNS0_4arch9wavefront6targetE1EEEvT1_, .Lfunc_end20-_ZN7rocprim17ROCPRIM_400000_NS6detail17trampoline_kernelINS0_14default_configENS1_27scan_by_key_config_selectorIxxEEZZNS1_16scan_by_key_implILNS1_25lookback_scan_determinismE0ELb0ES3_N6thrust23THRUST_200600_302600_NS6detail15normal_iteratorINS9_10device_ptrIxEEEESE_SE_xNS9_4plusIvEENS9_8equal_toIvEExEE10hipError_tPvRmT2_T3_T4_T5_mT6_T7_P12ihipStream_tbENKUlT_T0_E_clISt17integral_constantIbLb1EESZ_EEDaSU_SV_EUlSU_E_NS1_11comp_targetILNS1_3genE3ELNS1_11target_archE908ELNS1_3gpuE7ELNS1_3repE0EEENS1_30default_config_static_selectorELNS0_4arch9wavefront6targetE1EEEvT1_
                                        ; -- End function
	.section	.AMDGPU.csdata,"",@progbits
; Kernel info:
; codeLenInByte = 0
; NumSgprs: 6
; NumVgprs: 0
; NumAgprs: 0
; TotalNumVgprs: 0
; ScratchSize: 0
; MemoryBound: 0
; FloatMode: 240
; IeeeMode: 1
; LDSByteSize: 0 bytes/workgroup (compile time only)
; SGPRBlocks: 0
; VGPRBlocks: 0
; NumSGPRsForWavesPerEU: 6
; NumVGPRsForWavesPerEU: 1
; AccumOffset: 4
; Occupancy: 8
; WaveLimiterHint : 0
; COMPUTE_PGM_RSRC2:SCRATCH_EN: 0
; COMPUTE_PGM_RSRC2:USER_SGPR: 2
; COMPUTE_PGM_RSRC2:TRAP_HANDLER: 0
; COMPUTE_PGM_RSRC2:TGID_X_EN: 1
; COMPUTE_PGM_RSRC2:TGID_Y_EN: 0
; COMPUTE_PGM_RSRC2:TGID_Z_EN: 0
; COMPUTE_PGM_RSRC2:TIDIG_COMP_CNT: 0
; COMPUTE_PGM_RSRC3_GFX90A:ACCUM_OFFSET: 0
; COMPUTE_PGM_RSRC3_GFX90A:TG_SPLIT: 0
	.section	.text._ZN7rocprim17ROCPRIM_400000_NS6detail17trampoline_kernelINS0_14default_configENS1_27scan_by_key_config_selectorIxxEEZZNS1_16scan_by_key_implILNS1_25lookback_scan_determinismE0ELb0ES3_N6thrust23THRUST_200600_302600_NS6detail15normal_iteratorINS9_10device_ptrIxEEEESE_SE_xNS9_4plusIvEENS9_8equal_toIvEExEE10hipError_tPvRmT2_T3_T4_T5_mT6_T7_P12ihipStream_tbENKUlT_T0_E_clISt17integral_constantIbLb1EESZ_EEDaSU_SV_EUlSU_E_NS1_11comp_targetILNS1_3genE2ELNS1_11target_archE906ELNS1_3gpuE6ELNS1_3repE0EEENS1_30default_config_static_selectorELNS0_4arch9wavefront6targetE1EEEvT1_,"axG",@progbits,_ZN7rocprim17ROCPRIM_400000_NS6detail17trampoline_kernelINS0_14default_configENS1_27scan_by_key_config_selectorIxxEEZZNS1_16scan_by_key_implILNS1_25lookback_scan_determinismE0ELb0ES3_N6thrust23THRUST_200600_302600_NS6detail15normal_iteratorINS9_10device_ptrIxEEEESE_SE_xNS9_4plusIvEENS9_8equal_toIvEExEE10hipError_tPvRmT2_T3_T4_T5_mT6_T7_P12ihipStream_tbENKUlT_T0_E_clISt17integral_constantIbLb1EESZ_EEDaSU_SV_EUlSU_E_NS1_11comp_targetILNS1_3genE2ELNS1_11target_archE906ELNS1_3gpuE6ELNS1_3repE0EEENS1_30default_config_static_selectorELNS0_4arch9wavefront6targetE1EEEvT1_,comdat
	.protected	_ZN7rocprim17ROCPRIM_400000_NS6detail17trampoline_kernelINS0_14default_configENS1_27scan_by_key_config_selectorIxxEEZZNS1_16scan_by_key_implILNS1_25lookback_scan_determinismE0ELb0ES3_N6thrust23THRUST_200600_302600_NS6detail15normal_iteratorINS9_10device_ptrIxEEEESE_SE_xNS9_4plusIvEENS9_8equal_toIvEExEE10hipError_tPvRmT2_T3_T4_T5_mT6_T7_P12ihipStream_tbENKUlT_T0_E_clISt17integral_constantIbLb1EESZ_EEDaSU_SV_EUlSU_E_NS1_11comp_targetILNS1_3genE2ELNS1_11target_archE906ELNS1_3gpuE6ELNS1_3repE0EEENS1_30default_config_static_selectorELNS0_4arch9wavefront6targetE1EEEvT1_ ; -- Begin function _ZN7rocprim17ROCPRIM_400000_NS6detail17trampoline_kernelINS0_14default_configENS1_27scan_by_key_config_selectorIxxEEZZNS1_16scan_by_key_implILNS1_25lookback_scan_determinismE0ELb0ES3_N6thrust23THRUST_200600_302600_NS6detail15normal_iteratorINS9_10device_ptrIxEEEESE_SE_xNS9_4plusIvEENS9_8equal_toIvEExEE10hipError_tPvRmT2_T3_T4_T5_mT6_T7_P12ihipStream_tbENKUlT_T0_E_clISt17integral_constantIbLb1EESZ_EEDaSU_SV_EUlSU_E_NS1_11comp_targetILNS1_3genE2ELNS1_11target_archE906ELNS1_3gpuE6ELNS1_3repE0EEENS1_30default_config_static_selectorELNS0_4arch9wavefront6targetE1EEEvT1_
	.globl	_ZN7rocprim17ROCPRIM_400000_NS6detail17trampoline_kernelINS0_14default_configENS1_27scan_by_key_config_selectorIxxEEZZNS1_16scan_by_key_implILNS1_25lookback_scan_determinismE0ELb0ES3_N6thrust23THRUST_200600_302600_NS6detail15normal_iteratorINS9_10device_ptrIxEEEESE_SE_xNS9_4plusIvEENS9_8equal_toIvEExEE10hipError_tPvRmT2_T3_T4_T5_mT6_T7_P12ihipStream_tbENKUlT_T0_E_clISt17integral_constantIbLb1EESZ_EEDaSU_SV_EUlSU_E_NS1_11comp_targetILNS1_3genE2ELNS1_11target_archE906ELNS1_3gpuE6ELNS1_3repE0EEENS1_30default_config_static_selectorELNS0_4arch9wavefront6targetE1EEEvT1_
	.p2align	8
	.type	_ZN7rocprim17ROCPRIM_400000_NS6detail17trampoline_kernelINS0_14default_configENS1_27scan_by_key_config_selectorIxxEEZZNS1_16scan_by_key_implILNS1_25lookback_scan_determinismE0ELb0ES3_N6thrust23THRUST_200600_302600_NS6detail15normal_iteratorINS9_10device_ptrIxEEEESE_SE_xNS9_4plusIvEENS9_8equal_toIvEExEE10hipError_tPvRmT2_T3_T4_T5_mT6_T7_P12ihipStream_tbENKUlT_T0_E_clISt17integral_constantIbLb1EESZ_EEDaSU_SV_EUlSU_E_NS1_11comp_targetILNS1_3genE2ELNS1_11target_archE906ELNS1_3gpuE6ELNS1_3repE0EEENS1_30default_config_static_selectorELNS0_4arch9wavefront6targetE1EEEvT1_,@function
_ZN7rocprim17ROCPRIM_400000_NS6detail17trampoline_kernelINS0_14default_configENS1_27scan_by_key_config_selectorIxxEEZZNS1_16scan_by_key_implILNS1_25lookback_scan_determinismE0ELb0ES3_N6thrust23THRUST_200600_302600_NS6detail15normal_iteratorINS9_10device_ptrIxEEEESE_SE_xNS9_4plusIvEENS9_8equal_toIvEExEE10hipError_tPvRmT2_T3_T4_T5_mT6_T7_P12ihipStream_tbENKUlT_T0_E_clISt17integral_constantIbLb1EESZ_EEDaSU_SV_EUlSU_E_NS1_11comp_targetILNS1_3genE2ELNS1_11target_archE906ELNS1_3gpuE6ELNS1_3repE0EEENS1_30default_config_static_selectorELNS0_4arch9wavefront6targetE1EEEvT1_: ; @_ZN7rocprim17ROCPRIM_400000_NS6detail17trampoline_kernelINS0_14default_configENS1_27scan_by_key_config_selectorIxxEEZZNS1_16scan_by_key_implILNS1_25lookback_scan_determinismE0ELb0ES3_N6thrust23THRUST_200600_302600_NS6detail15normal_iteratorINS9_10device_ptrIxEEEESE_SE_xNS9_4plusIvEENS9_8equal_toIvEExEE10hipError_tPvRmT2_T3_T4_T5_mT6_T7_P12ihipStream_tbENKUlT_T0_E_clISt17integral_constantIbLb1EESZ_EEDaSU_SV_EUlSU_E_NS1_11comp_targetILNS1_3genE2ELNS1_11target_archE906ELNS1_3gpuE6ELNS1_3repE0EEENS1_30default_config_static_selectorELNS0_4arch9wavefront6targetE1EEEvT1_
; %bb.0:
	.section	.rodata,"a",@progbits
	.p2align	6, 0x0
	.amdhsa_kernel _ZN7rocprim17ROCPRIM_400000_NS6detail17trampoline_kernelINS0_14default_configENS1_27scan_by_key_config_selectorIxxEEZZNS1_16scan_by_key_implILNS1_25lookback_scan_determinismE0ELb0ES3_N6thrust23THRUST_200600_302600_NS6detail15normal_iteratorINS9_10device_ptrIxEEEESE_SE_xNS9_4plusIvEENS9_8equal_toIvEExEE10hipError_tPvRmT2_T3_T4_T5_mT6_T7_P12ihipStream_tbENKUlT_T0_E_clISt17integral_constantIbLb1EESZ_EEDaSU_SV_EUlSU_E_NS1_11comp_targetILNS1_3genE2ELNS1_11target_archE906ELNS1_3gpuE6ELNS1_3repE0EEENS1_30default_config_static_selectorELNS0_4arch9wavefront6targetE1EEEvT1_
		.amdhsa_group_segment_fixed_size 0
		.amdhsa_private_segment_fixed_size 0
		.amdhsa_kernarg_size 136
		.amdhsa_user_sgpr_count 2
		.amdhsa_user_sgpr_dispatch_ptr 0
		.amdhsa_user_sgpr_queue_ptr 0
		.amdhsa_user_sgpr_kernarg_segment_ptr 1
		.amdhsa_user_sgpr_dispatch_id 0
		.amdhsa_user_sgpr_kernarg_preload_length 0
		.amdhsa_user_sgpr_kernarg_preload_offset 0
		.amdhsa_user_sgpr_private_segment_size 0
		.amdhsa_uses_dynamic_stack 0
		.amdhsa_enable_private_segment 0
		.amdhsa_system_sgpr_workgroup_id_x 1
		.amdhsa_system_sgpr_workgroup_id_y 0
		.amdhsa_system_sgpr_workgroup_id_z 0
		.amdhsa_system_sgpr_workgroup_info 0
		.amdhsa_system_vgpr_workitem_id 0
		.amdhsa_next_free_vgpr 1
		.amdhsa_next_free_sgpr 0
		.amdhsa_accum_offset 4
		.amdhsa_reserve_vcc 0
		.amdhsa_float_round_mode_32 0
		.amdhsa_float_round_mode_16_64 0
		.amdhsa_float_denorm_mode_32 3
		.amdhsa_float_denorm_mode_16_64 3
		.amdhsa_dx10_clamp 1
		.amdhsa_ieee_mode 1
		.amdhsa_fp16_overflow 0
		.amdhsa_tg_split 0
		.amdhsa_exception_fp_ieee_invalid_op 0
		.amdhsa_exception_fp_denorm_src 0
		.amdhsa_exception_fp_ieee_div_zero 0
		.amdhsa_exception_fp_ieee_overflow 0
		.amdhsa_exception_fp_ieee_underflow 0
		.amdhsa_exception_fp_ieee_inexact 0
		.amdhsa_exception_int_div_zero 0
	.end_amdhsa_kernel
	.section	.text._ZN7rocprim17ROCPRIM_400000_NS6detail17trampoline_kernelINS0_14default_configENS1_27scan_by_key_config_selectorIxxEEZZNS1_16scan_by_key_implILNS1_25lookback_scan_determinismE0ELb0ES3_N6thrust23THRUST_200600_302600_NS6detail15normal_iteratorINS9_10device_ptrIxEEEESE_SE_xNS9_4plusIvEENS9_8equal_toIvEExEE10hipError_tPvRmT2_T3_T4_T5_mT6_T7_P12ihipStream_tbENKUlT_T0_E_clISt17integral_constantIbLb1EESZ_EEDaSU_SV_EUlSU_E_NS1_11comp_targetILNS1_3genE2ELNS1_11target_archE906ELNS1_3gpuE6ELNS1_3repE0EEENS1_30default_config_static_selectorELNS0_4arch9wavefront6targetE1EEEvT1_,"axG",@progbits,_ZN7rocprim17ROCPRIM_400000_NS6detail17trampoline_kernelINS0_14default_configENS1_27scan_by_key_config_selectorIxxEEZZNS1_16scan_by_key_implILNS1_25lookback_scan_determinismE0ELb0ES3_N6thrust23THRUST_200600_302600_NS6detail15normal_iteratorINS9_10device_ptrIxEEEESE_SE_xNS9_4plusIvEENS9_8equal_toIvEExEE10hipError_tPvRmT2_T3_T4_T5_mT6_T7_P12ihipStream_tbENKUlT_T0_E_clISt17integral_constantIbLb1EESZ_EEDaSU_SV_EUlSU_E_NS1_11comp_targetILNS1_3genE2ELNS1_11target_archE906ELNS1_3gpuE6ELNS1_3repE0EEENS1_30default_config_static_selectorELNS0_4arch9wavefront6targetE1EEEvT1_,comdat
.Lfunc_end21:
	.size	_ZN7rocprim17ROCPRIM_400000_NS6detail17trampoline_kernelINS0_14default_configENS1_27scan_by_key_config_selectorIxxEEZZNS1_16scan_by_key_implILNS1_25lookback_scan_determinismE0ELb0ES3_N6thrust23THRUST_200600_302600_NS6detail15normal_iteratorINS9_10device_ptrIxEEEESE_SE_xNS9_4plusIvEENS9_8equal_toIvEExEE10hipError_tPvRmT2_T3_T4_T5_mT6_T7_P12ihipStream_tbENKUlT_T0_E_clISt17integral_constantIbLb1EESZ_EEDaSU_SV_EUlSU_E_NS1_11comp_targetILNS1_3genE2ELNS1_11target_archE906ELNS1_3gpuE6ELNS1_3repE0EEENS1_30default_config_static_selectorELNS0_4arch9wavefront6targetE1EEEvT1_, .Lfunc_end21-_ZN7rocprim17ROCPRIM_400000_NS6detail17trampoline_kernelINS0_14default_configENS1_27scan_by_key_config_selectorIxxEEZZNS1_16scan_by_key_implILNS1_25lookback_scan_determinismE0ELb0ES3_N6thrust23THRUST_200600_302600_NS6detail15normal_iteratorINS9_10device_ptrIxEEEESE_SE_xNS9_4plusIvEENS9_8equal_toIvEExEE10hipError_tPvRmT2_T3_T4_T5_mT6_T7_P12ihipStream_tbENKUlT_T0_E_clISt17integral_constantIbLb1EESZ_EEDaSU_SV_EUlSU_E_NS1_11comp_targetILNS1_3genE2ELNS1_11target_archE906ELNS1_3gpuE6ELNS1_3repE0EEENS1_30default_config_static_selectorELNS0_4arch9wavefront6targetE1EEEvT1_
                                        ; -- End function
	.section	.AMDGPU.csdata,"",@progbits
; Kernel info:
; codeLenInByte = 0
; NumSgprs: 6
; NumVgprs: 0
; NumAgprs: 0
; TotalNumVgprs: 0
; ScratchSize: 0
; MemoryBound: 0
; FloatMode: 240
; IeeeMode: 1
; LDSByteSize: 0 bytes/workgroup (compile time only)
; SGPRBlocks: 0
; VGPRBlocks: 0
; NumSGPRsForWavesPerEU: 6
; NumVGPRsForWavesPerEU: 1
; AccumOffset: 4
; Occupancy: 8
; WaveLimiterHint : 0
; COMPUTE_PGM_RSRC2:SCRATCH_EN: 0
; COMPUTE_PGM_RSRC2:USER_SGPR: 2
; COMPUTE_PGM_RSRC2:TRAP_HANDLER: 0
; COMPUTE_PGM_RSRC2:TGID_X_EN: 1
; COMPUTE_PGM_RSRC2:TGID_Y_EN: 0
; COMPUTE_PGM_RSRC2:TGID_Z_EN: 0
; COMPUTE_PGM_RSRC2:TIDIG_COMP_CNT: 0
; COMPUTE_PGM_RSRC3_GFX90A:ACCUM_OFFSET: 0
; COMPUTE_PGM_RSRC3_GFX90A:TG_SPLIT: 0
	.section	.text._ZN7rocprim17ROCPRIM_400000_NS6detail17trampoline_kernelINS0_14default_configENS1_27scan_by_key_config_selectorIxxEEZZNS1_16scan_by_key_implILNS1_25lookback_scan_determinismE0ELb0ES3_N6thrust23THRUST_200600_302600_NS6detail15normal_iteratorINS9_10device_ptrIxEEEESE_SE_xNS9_4plusIvEENS9_8equal_toIvEExEE10hipError_tPvRmT2_T3_T4_T5_mT6_T7_P12ihipStream_tbENKUlT_T0_E_clISt17integral_constantIbLb1EESZ_EEDaSU_SV_EUlSU_E_NS1_11comp_targetILNS1_3genE10ELNS1_11target_archE1200ELNS1_3gpuE4ELNS1_3repE0EEENS1_30default_config_static_selectorELNS0_4arch9wavefront6targetE1EEEvT1_,"axG",@progbits,_ZN7rocprim17ROCPRIM_400000_NS6detail17trampoline_kernelINS0_14default_configENS1_27scan_by_key_config_selectorIxxEEZZNS1_16scan_by_key_implILNS1_25lookback_scan_determinismE0ELb0ES3_N6thrust23THRUST_200600_302600_NS6detail15normal_iteratorINS9_10device_ptrIxEEEESE_SE_xNS9_4plusIvEENS9_8equal_toIvEExEE10hipError_tPvRmT2_T3_T4_T5_mT6_T7_P12ihipStream_tbENKUlT_T0_E_clISt17integral_constantIbLb1EESZ_EEDaSU_SV_EUlSU_E_NS1_11comp_targetILNS1_3genE10ELNS1_11target_archE1200ELNS1_3gpuE4ELNS1_3repE0EEENS1_30default_config_static_selectorELNS0_4arch9wavefront6targetE1EEEvT1_,comdat
	.protected	_ZN7rocprim17ROCPRIM_400000_NS6detail17trampoline_kernelINS0_14default_configENS1_27scan_by_key_config_selectorIxxEEZZNS1_16scan_by_key_implILNS1_25lookback_scan_determinismE0ELb0ES3_N6thrust23THRUST_200600_302600_NS6detail15normal_iteratorINS9_10device_ptrIxEEEESE_SE_xNS9_4plusIvEENS9_8equal_toIvEExEE10hipError_tPvRmT2_T3_T4_T5_mT6_T7_P12ihipStream_tbENKUlT_T0_E_clISt17integral_constantIbLb1EESZ_EEDaSU_SV_EUlSU_E_NS1_11comp_targetILNS1_3genE10ELNS1_11target_archE1200ELNS1_3gpuE4ELNS1_3repE0EEENS1_30default_config_static_selectorELNS0_4arch9wavefront6targetE1EEEvT1_ ; -- Begin function _ZN7rocprim17ROCPRIM_400000_NS6detail17trampoline_kernelINS0_14default_configENS1_27scan_by_key_config_selectorIxxEEZZNS1_16scan_by_key_implILNS1_25lookback_scan_determinismE0ELb0ES3_N6thrust23THRUST_200600_302600_NS6detail15normal_iteratorINS9_10device_ptrIxEEEESE_SE_xNS9_4plusIvEENS9_8equal_toIvEExEE10hipError_tPvRmT2_T3_T4_T5_mT6_T7_P12ihipStream_tbENKUlT_T0_E_clISt17integral_constantIbLb1EESZ_EEDaSU_SV_EUlSU_E_NS1_11comp_targetILNS1_3genE10ELNS1_11target_archE1200ELNS1_3gpuE4ELNS1_3repE0EEENS1_30default_config_static_selectorELNS0_4arch9wavefront6targetE1EEEvT1_
	.globl	_ZN7rocprim17ROCPRIM_400000_NS6detail17trampoline_kernelINS0_14default_configENS1_27scan_by_key_config_selectorIxxEEZZNS1_16scan_by_key_implILNS1_25lookback_scan_determinismE0ELb0ES3_N6thrust23THRUST_200600_302600_NS6detail15normal_iteratorINS9_10device_ptrIxEEEESE_SE_xNS9_4plusIvEENS9_8equal_toIvEExEE10hipError_tPvRmT2_T3_T4_T5_mT6_T7_P12ihipStream_tbENKUlT_T0_E_clISt17integral_constantIbLb1EESZ_EEDaSU_SV_EUlSU_E_NS1_11comp_targetILNS1_3genE10ELNS1_11target_archE1200ELNS1_3gpuE4ELNS1_3repE0EEENS1_30default_config_static_selectorELNS0_4arch9wavefront6targetE1EEEvT1_
	.p2align	8
	.type	_ZN7rocprim17ROCPRIM_400000_NS6detail17trampoline_kernelINS0_14default_configENS1_27scan_by_key_config_selectorIxxEEZZNS1_16scan_by_key_implILNS1_25lookback_scan_determinismE0ELb0ES3_N6thrust23THRUST_200600_302600_NS6detail15normal_iteratorINS9_10device_ptrIxEEEESE_SE_xNS9_4plusIvEENS9_8equal_toIvEExEE10hipError_tPvRmT2_T3_T4_T5_mT6_T7_P12ihipStream_tbENKUlT_T0_E_clISt17integral_constantIbLb1EESZ_EEDaSU_SV_EUlSU_E_NS1_11comp_targetILNS1_3genE10ELNS1_11target_archE1200ELNS1_3gpuE4ELNS1_3repE0EEENS1_30default_config_static_selectorELNS0_4arch9wavefront6targetE1EEEvT1_,@function
_ZN7rocprim17ROCPRIM_400000_NS6detail17trampoline_kernelINS0_14default_configENS1_27scan_by_key_config_selectorIxxEEZZNS1_16scan_by_key_implILNS1_25lookback_scan_determinismE0ELb0ES3_N6thrust23THRUST_200600_302600_NS6detail15normal_iteratorINS9_10device_ptrIxEEEESE_SE_xNS9_4plusIvEENS9_8equal_toIvEExEE10hipError_tPvRmT2_T3_T4_T5_mT6_T7_P12ihipStream_tbENKUlT_T0_E_clISt17integral_constantIbLb1EESZ_EEDaSU_SV_EUlSU_E_NS1_11comp_targetILNS1_3genE10ELNS1_11target_archE1200ELNS1_3gpuE4ELNS1_3repE0EEENS1_30default_config_static_selectorELNS0_4arch9wavefront6targetE1EEEvT1_: ; @_ZN7rocprim17ROCPRIM_400000_NS6detail17trampoline_kernelINS0_14default_configENS1_27scan_by_key_config_selectorIxxEEZZNS1_16scan_by_key_implILNS1_25lookback_scan_determinismE0ELb0ES3_N6thrust23THRUST_200600_302600_NS6detail15normal_iteratorINS9_10device_ptrIxEEEESE_SE_xNS9_4plusIvEENS9_8equal_toIvEExEE10hipError_tPvRmT2_T3_T4_T5_mT6_T7_P12ihipStream_tbENKUlT_T0_E_clISt17integral_constantIbLb1EESZ_EEDaSU_SV_EUlSU_E_NS1_11comp_targetILNS1_3genE10ELNS1_11target_archE1200ELNS1_3gpuE4ELNS1_3repE0EEENS1_30default_config_static_selectorELNS0_4arch9wavefront6targetE1EEEvT1_
; %bb.0:
	.section	.rodata,"a",@progbits
	.p2align	6, 0x0
	.amdhsa_kernel _ZN7rocprim17ROCPRIM_400000_NS6detail17trampoline_kernelINS0_14default_configENS1_27scan_by_key_config_selectorIxxEEZZNS1_16scan_by_key_implILNS1_25lookback_scan_determinismE0ELb0ES3_N6thrust23THRUST_200600_302600_NS6detail15normal_iteratorINS9_10device_ptrIxEEEESE_SE_xNS9_4plusIvEENS9_8equal_toIvEExEE10hipError_tPvRmT2_T3_T4_T5_mT6_T7_P12ihipStream_tbENKUlT_T0_E_clISt17integral_constantIbLb1EESZ_EEDaSU_SV_EUlSU_E_NS1_11comp_targetILNS1_3genE10ELNS1_11target_archE1200ELNS1_3gpuE4ELNS1_3repE0EEENS1_30default_config_static_selectorELNS0_4arch9wavefront6targetE1EEEvT1_
		.amdhsa_group_segment_fixed_size 0
		.amdhsa_private_segment_fixed_size 0
		.amdhsa_kernarg_size 136
		.amdhsa_user_sgpr_count 2
		.amdhsa_user_sgpr_dispatch_ptr 0
		.amdhsa_user_sgpr_queue_ptr 0
		.amdhsa_user_sgpr_kernarg_segment_ptr 1
		.amdhsa_user_sgpr_dispatch_id 0
		.amdhsa_user_sgpr_kernarg_preload_length 0
		.amdhsa_user_sgpr_kernarg_preload_offset 0
		.amdhsa_user_sgpr_private_segment_size 0
		.amdhsa_uses_dynamic_stack 0
		.amdhsa_enable_private_segment 0
		.amdhsa_system_sgpr_workgroup_id_x 1
		.amdhsa_system_sgpr_workgroup_id_y 0
		.amdhsa_system_sgpr_workgroup_id_z 0
		.amdhsa_system_sgpr_workgroup_info 0
		.amdhsa_system_vgpr_workitem_id 0
		.amdhsa_next_free_vgpr 1
		.amdhsa_next_free_sgpr 0
		.amdhsa_accum_offset 4
		.amdhsa_reserve_vcc 0
		.amdhsa_float_round_mode_32 0
		.amdhsa_float_round_mode_16_64 0
		.amdhsa_float_denorm_mode_32 3
		.amdhsa_float_denorm_mode_16_64 3
		.amdhsa_dx10_clamp 1
		.amdhsa_ieee_mode 1
		.amdhsa_fp16_overflow 0
		.amdhsa_tg_split 0
		.amdhsa_exception_fp_ieee_invalid_op 0
		.amdhsa_exception_fp_denorm_src 0
		.amdhsa_exception_fp_ieee_div_zero 0
		.amdhsa_exception_fp_ieee_overflow 0
		.amdhsa_exception_fp_ieee_underflow 0
		.amdhsa_exception_fp_ieee_inexact 0
		.amdhsa_exception_int_div_zero 0
	.end_amdhsa_kernel
	.section	.text._ZN7rocprim17ROCPRIM_400000_NS6detail17trampoline_kernelINS0_14default_configENS1_27scan_by_key_config_selectorIxxEEZZNS1_16scan_by_key_implILNS1_25lookback_scan_determinismE0ELb0ES3_N6thrust23THRUST_200600_302600_NS6detail15normal_iteratorINS9_10device_ptrIxEEEESE_SE_xNS9_4plusIvEENS9_8equal_toIvEExEE10hipError_tPvRmT2_T3_T4_T5_mT6_T7_P12ihipStream_tbENKUlT_T0_E_clISt17integral_constantIbLb1EESZ_EEDaSU_SV_EUlSU_E_NS1_11comp_targetILNS1_3genE10ELNS1_11target_archE1200ELNS1_3gpuE4ELNS1_3repE0EEENS1_30default_config_static_selectorELNS0_4arch9wavefront6targetE1EEEvT1_,"axG",@progbits,_ZN7rocprim17ROCPRIM_400000_NS6detail17trampoline_kernelINS0_14default_configENS1_27scan_by_key_config_selectorIxxEEZZNS1_16scan_by_key_implILNS1_25lookback_scan_determinismE0ELb0ES3_N6thrust23THRUST_200600_302600_NS6detail15normal_iteratorINS9_10device_ptrIxEEEESE_SE_xNS9_4plusIvEENS9_8equal_toIvEExEE10hipError_tPvRmT2_T3_T4_T5_mT6_T7_P12ihipStream_tbENKUlT_T0_E_clISt17integral_constantIbLb1EESZ_EEDaSU_SV_EUlSU_E_NS1_11comp_targetILNS1_3genE10ELNS1_11target_archE1200ELNS1_3gpuE4ELNS1_3repE0EEENS1_30default_config_static_selectorELNS0_4arch9wavefront6targetE1EEEvT1_,comdat
.Lfunc_end22:
	.size	_ZN7rocprim17ROCPRIM_400000_NS6detail17trampoline_kernelINS0_14default_configENS1_27scan_by_key_config_selectorIxxEEZZNS1_16scan_by_key_implILNS1_25lookback_scan_determinismE0ELb0ES3_N6thrust23THRUST_200600_302600_NS6detail15normal_iteratorINS9_10device_ptrIxEEEESE_SE_xNS9_4plusIvEENS9_8equal_toIvEExEE10hipError_tPvRmT2_T3_T4_T5_mT6_T7_P12ihipStream_tbENKUlT_T0_E_clISt17integral_constantIbLb1EESZ_EEDaSU_SV_EUlSU_E_NS1_11comp_targetILNS1_3genE10ELNS1_11target_archE1200ELNS1_3gpuE4ELNS1_3repE0EEENS1_30default_config_static_selectorELNS0_4arch9wavefront6targetE1EEEvT1_, .Lfunc_end22-_ZN7rocprim17ROCPRIM_400000_NS6detail17trampoline_kernelINS0_14default_configENS1_27scan_by_key_config_selectorIxxEEZZNS1_16scan_by_key_implILNS1_25lookback_scan_determinismE0ELb0ES3_N6thrust23THRUST_200600_302600_NS6detail15normal_iteratorINS9_10device_ptrIxEEEESE_SE_xNS9_4plusIvEENS9_8equal_toIvEExEE10hipError_tPvRmT2_T3_T4_T5_mT6_T7_P12ihipStream_tbENKUlT_T0_E_clISt17integral_constantIbLb1EESZ_EEDaSU_SV_EUlSU_E_NS1_11comp_targetILNS1_3genE10ELNS1_11target_archE1200ELNS1_3gpuE4ELNS1_3repE0EEENS1_30default_config_static_selectorELNS0_4arch9wavefront6targetE1EEEvT1_
                                        ; -- End function
	.section	.AMDGPU.csdata,"",@progbits
; Kernel info:
; codeLenInByte = 0
; NumSgprs: 6
; NumVgprs: 0
; NumAgprs: 0
; TotalNumVgprs: 0
; ScratchSize: 0
; MemoryBound: 0
; FloatMode: 240
; IeeeMode: 1
; LDSByteSize: 0 bytes/workgroup (compile time only)
; SGPRBlocks: 0
; VGPRBlocks: 0
; NumSGPRsForWavesPerEU: 6
; NumVGPRsForWavesPerEU: 1
; AccumOffset: 4
; Occupancy: 8
; WaveLimiterHint : 0
; COMPUTE_PGM_RSRC2:SCRATCH_EN: 0
; COMPUTE_PGM_RSRC2:USER_SGPR: 2
; COMPUTE_PGM_RSRC2:TRAP_HANDLER: 0
; COMPUTE_PGM_RSRC2:TGID_X_EN: 1
; COMPUTE_PGM_RSRC2:TGID_Y_EN: 0
; COMPUTE_PGM_RSRC2:TGID_Z_EN: 0
; COMPUTE_PGM_RSRC2:TIDIG_COMP_CNT: 0
; COMPUTE_PGM_RSRC3_GFX90A:ACCUM_OFFSET: 0
; COMPUTE_PGM_RSRC3_GFX90A:TG_SPLIT: 0
	.section	.text._ZN7rocprim17ROCPRIM_400000_NS6detail17trampoline_kernelINS0_14default_configENS1_27scan_by_key_config_selectorIxxEEZZNS1_16scan_by_key_implILNS1_25lookback_scan_determinismE0ELb0ES3_N6thrust23THRUST_200600_302600_NS6detail15normal_iteratorINS9_10device_ptrIxEEEESE_SE_xNS9_4plusIvEENS9_8equal_toIvEExEE10hipError_tPvRmT2_T3_T4_T5_mT6_T7_P12ihipStream_tbENKUlT_T0_E_clISt17integral_constantIbLb1EESZ_EEDaSU_SV_EUlSU_E_NS1_11comp_targetILNS1_3genE9ELNS1_11target_archE1100ELNS1_3gpuE3ELNS1_3repE0EEENS1_30default_config_static_selectorELNS0_4arch9wavefront6targetE1EEEvT1_,"axG",@progbits,_ZN7rocprim17ROCPRIM_400000_NS6detail17trampoline_kernelINS0_14default_configENS1_27scan_by_key_config_selectorIxxEEZZNS1_16scan_by_key_implILNS1_25lookback_scan_determinismE0ELb0ES3_N6thrust23THRUST_200600_302600_NS6detail15normal_iteratorINS9_10device_ptrIxEEEESE_SE_xNS9_4plusIvEENS9_8equal_toIvEExEE10hipError_tPvRmT2_T3_T4_T5_mT6_T7_P12ihipStream_tbENKUlT_T0_E_clISt17integral_constantIbLb1EESZ_EEDaSU_SV_EUlSU_E_NS1_11comp_targetILNS1_3genE9ELNS1_11target_archE1100ELNS1_3gpuE3ELNS1_3repE0EEENS1_30default_config_static_selectorELNS0_4arch9wavefront6targetE1EEEvT1_,comdat
	.protected	_ZN7rocprim17ROCPRIM_400000_NS6detail17trampoline_kernelINS0_14default_configENS1_27scan_by_key_config_selectorIxxEEZZNS1_16scan_by_key_implILNS1_25lookback_scan_determinismE0ELb0ES3_N6thrust23THRUST_200600_302600_NS6detail15normal_iteratorINS9_10device_ptrIxEEEESE_SE_xNS9_4plusIvEENS9_8equal_toIvEExEE10hipError_tPvRmT2_T3_T4_T5_mT6_T7_P12ihipStream_tbENKUlT_T0_E_clISt17integral_constantIbLb1EESZ_EEDaSU_SV_EUlSU_E_NS1_11comp_targetILNS1_3genE9ELNS1_11target_archE1100ELNS1_3gpuE3ELNS1_3repE0EEENS1_30default_config_static_selectorELNS0_4arch9wavefront6targetE1EEEvT1_ ; -- Begin function _ZN7rocprim17ROCPRIM_400000_NS6detail17trampoline_kernelINS0_14default_configENS1_27scan_by_key_config_selectorIxxEEZZNS1_16scan_by_key_implILNS1_25lookback_scan_determinismE0ELb0ES3_N6thrust23THRUST_200600_302600_NS6detail15normal_iteratorINS9_10device_ptrIxEEEESE_SE_xNS9_4plusIvEENS9_8equal_toIvEExEE10hipError_tPvRmT2_T3_T4_T5_mT6_T7_P12ihipStream_tbENKUlT_T0_E_clISt17integral_constantIbLb1EESZ_EEDaSU_SV_EUlSU_E_NS1_11comp_targetILNS1_3genE9ELNS1_11target_archE1100ELNS1_3gpuE3ELNS1_3repE0EEENS1_30default_config_static_selectorELNS0_4arch9wavefront6targetE1EEEvT1_
	.globl	_ZN7rocprim17ROCPRIM_400000_NS6detail17trampoline_kernelINS0_14default_configENS1_27scan_by_key_config_selectorIxxEEZZNS1_16scan_by_key_implILNS1_25lookback_scan_determinismE0ELb0ES3_N6thrust23THRUST_200600_302600_NS6detail15normal_iteratorINS9_10device_ptrIxEEEESE_SE_xNS9_4plusIvEENS9_8equal_toIvEExEE10hipError_tPvRmT2_T3_T4_T5_mT6_T7_P12ihipStream_tbENKUlT_T0_E_clISt17integral_constantIbLb1EESZ_EEDaSU_SV_EUlSU_E_NS1_11comp_targetILNS1_3genE9ELNS1_11target_archE1100ELNS1_3gpuE3ELNS1_3repE0EEENS1_30default_config_static_selectorELNS0_4arch9wavefront6targetE1EEEvT1_
	.p2align	8
	.type	_ZN7rocprim17ROCPRIM_400000_NS6detail17trampoline_kernelINS0_14default_configENS1_27scan_by_key_config_selectorIxxEEZZNS1_16scan_by_key_implILNS1_25lookback_scan_determinismE0ELb0ES3_N6thrust23THRUST_200600_302600_NS6detail15normal_iteratorINS9_10device_ptrIxEEEESE_SE_xNS9_4plusIvEENS9_8equal_toIvEExEE10hipError_tPvRmT2_T3_T4_T5_mT6_T7_P12ihipStream_tbENKUlT_T0_E_clISt17integral_constantIbLb1EESZ_EEDaSU_SV_EUlSU_E_NS1_11comp_targetILNS1_3genE9ELNS1_11target_archE1100ELNS1_3gpuE3ELNS1_3repE0EEENS1_30default_config_static_selectorELNS0_4arch9wavefront6targetE1EEEvT1_,@function
_ZN7rocprim17ROCPRIM_400000_NS6detail17trampoline_kernelINS0_14default_configENS1_27scan_by_key_config_selectorIxxEEZZNS1_16scan_by_key_implILNS1_25lookback_scan_determinismE0ELb0ES3_N6thrust23THRUST_200600_302600_NS6detail15normal_iteratorINS9_10device_ptrIxEEEESE_SE_xNS9_4plusIvEENS9_8equal_toIvEExEE10hipError_tPvRmT2_T3_T4_T5_mT6_T7_P12ihipStream_tbENKUlT_T0_E_clISt17integral_constantIbLb1EESZ_EEDaSU_SV_EUlSU_E_NS1_11comp_targetILNS1_3genE9ELNS1_11target_archE1100ELNS1_3gpuE3ELNS1_3repE0EEENS1_30default_config_static_selectorELNS0_4arch9wavefront6targetE1EEEvT1_: ; @_ZN7rocprim17ROCPRIM_400000_NS6detail17trampoline_kernelINS0_14default_configENS1_27scan_by_key_config_selectorIxxEEZZNS1_16scan_by_key_implILNS1_25lookback_scan_determinismE0ELb0ES3_N6thrust23THRUST_200600_302600_NS6detail15normal_iteratorINS9_10device_ptrIxEEEESE_SE_xNS9_4plusIvEENS9_8equal_toIvEExEE10hipError_tPvRmT2_T3_T4_T5_mT6_T7_P12ihipStream_tbENKUlT_T0_E_clISt17integral_constantIbLb1EESZ_EEDaSU_SV_EUlSU_E_NS1_11comp_targetILNS1_3genE9ELNS1_11target_archE1100ELNS1_3gpuE3ELNS1_3repE0EEENS1_30default_config_static_selectorELNS0_4arch9wavefront6targetE1EEEvT1_
; %bb.0:
	.section	.rodata,"a",@progbits
	.p2align	6, 0x0
	.amdhsa_kernel _ZN7rocprim17ROCPRIM_400000_NS6detail17trampoline_kernelINS0_14default_configENS1_27scan_by_key_config_selectorIxxEEZZNS1_16scan_by_key_implILNS1_25lookback_scan_determinismE0ELb0ES3_N6thrust23THRUST_200600_302600_NS6detail15normal_iteratorINS9_10device_ptrIxEEEESE_SE_xNS9_4plusIvEENS9_8equal_toIvEExEE10hipError_tPvRmT2_T3_T4_T5_mT6_T7_P12ihipStream_tbENKUlT_T0_E_clISt17integral_constantIbLb1EESZ_EEDaSU_SV_EUlSU_E_NS1_11comp_targetILNS1_3genE9ELNS1_11target_archE1100ELNS1_3gpuE3ELNS1_3repE0EEENS1_30default_config_static_selectorELNS0_4arch9wavefront6targetE1EEEvT1_
		.amdhsa_group_segment_fixed_size 0
		.amdhsa_private_segment_fixed_size 0
		.amdhsa_kernarg_size 136
		.amdhsa_user_sgpr_count 2
		.amdhsa_user_sgpr_dispatch_ptr 0
		.amdhsa_user_sgpr_queue_ptr 0
		.amdhsa_user_sgpr_kernarg_segment_ptr 1
		.amdhsa_user_sgpr_dispatch_id 0
		.amdhsa_user_sgpr_kernarg_preload_length 0
		.amdhsa_user_sgpr_kernarg_preload_offset 0
		.amdhsa_user_sgpr_private_segment_size 0
		.amdhsa_uses_dynamic_stack 0
		.amdhsa_enable_private_segment 0
		.amdhsa_system_sgpr_workgroup_id_x 1
		.amdhsa_system_sgpr_workgroup_id_y 0
		.amdhsa_system_sgpr_workgroup_id_z 0
		.amdhsa_system_sgpr_workgroup_info 0
		.amdhsa_system_vgpr_workitem_id 0
		.amdhsa_next_free_vgpr 1
		.amdhsa_next_free_sgpr 0
		.amdhsa_accum_offset 4
		.amdhsa_reserve_vcc 0
		.amdhsa_float_round_mode_32 0
		.amdhsa_float_round_mode_16_64 0
		.amdhsa_float_denorm_mode_32 3
		.amdhsa_float_denorm_mode_16_64 3
		.amdhsa_dx10_clamp 1
		.amdhsa_ieee_mode 1
		.amdhsa_fp16_overflow 0
		.amdhsa_tg_split 0
		.amdhsa_exception_fp_ieee_invalid_op 0
		.amdhsa_exception_fp_denorm_src 0
		.amdhsa_exception_fp_ieee_div_zero 0
		.amdhsa_exception_fp_ieee_overflow 0
		.amdhsa_exception_fp_ieee_underflow 0
		.amdhsa_exception_fp_ieee_inexact 0
		.amdhsa_exception_int_div_zero 0
	.end_amdhsa_kernel
	.section	.text._ZN7rocprim17ROCPRIM_400000_NS6detail17trampoline_kernelINS0_14default_configENS1_27scan_by_key_config_selectorIxxEEZZNS1_16scan_by_key_implILNS1_25lookback_scan_determinismE0ELb0ES3_N6thrust23THRUST_200600_302600_NS6detail15normal_iteratorINS9_10device_ptrIxEEEESE_SE_xNS9_4plusIvEENS9_8equal_toIvEExEE10hipError_tPvRmT2_T3_T4_T5_mT6_T7_P12ihipStream_tbENKUlT_T0_E_clISt17integral_constantIbLb1EESZ_EEDaSU_SV_EUlSU_E_NS1_11comp_targetILNS1_3genE9ELNS1_11target_archE1100ELNS1_3gpuE3ELNS1_3repE0EEENS1_30default_config_static_selectorELNS0_4arch9wavefront6targetE1EEEvT1_,"axG",@progbits,_ZN7rocprim17ROCPRIM_400000_NS6detail17trampoline_kernelINS0_14default_configENS1_27scan_by_key_config_selectorIxxEEZZNS1_16scan_by_key_implILNS1_25lookback_scan_determinismE0ELb0ES3_N6thrust23THRUST_200600_302600_NS6detail15normal_iteratorINS9_10device_ptrIxEEEESE_SE_xNS9_4plusIvEENS9_8equal_toIvEExEE10hipError_tPvRmT2_T3_T4_T5_mT6_T7_P12ihipStream_tbENKUlT_T0_E_clISt17integral_constantIbLb1EESZ_EEDaSU_SV_EUlSU_E_NS1_11comp_targetILNS1_3genE9ELNS1_11target_archE1100ELNS1_3gpuE3ELNS1_3repE0EEENS1_30default_config_static_selectorELNS0_4arch9wavefront6targetE1EEEvT1_,comdat
.Lfunc_end23:
	.size	_ZN7rocprim17ROCPRIM_400000_NS6detail17trampoline_kernelINS0_14default_configENS1_27scan_by_key_config_selectorIxxEEZZNS1_16scan_by_key_implILNS1_25lookback_scan_determinismE0ELb0ES3_N6thrust23THRUST_200600_302600_NS6detail15normal_iteratorINS9_10device_ptrIxEEEESE_SE_xNS9_4plusIvEENS9_8equal_toIvEExEE10hipError_tPvRmT2_T3_T4_T5_mT6_T7_P12ihipStream_tbENKUlT_T0_E_clISt17integral_constantIbLb1EESZ_EEDaSU_SV_EUlSU_E_NS1_11comp_targetILNS1_3genE9ELNS1_11target_archE1100ELNS1_3gpuE3ELNS1_3repE0EEENS1_30default_config_static_selectorELNS0_4arch9wavefront6targetE1EEEvT1_, .Lfunc_end23-_ZN7rocprim17ROCPRIM_400000_NS6detail17trampoline_kernelINS0_14default_configENS1_27scan_by_key_config_selectorIxxEEZZNS1_16scan_by_key_implILNS1_25lookback_scan_determinismE0ELb0ES3_N6thrust23THRUST_200600_302600_NS6detail15normal_iteratorINS9_10device_ptrIxEEEESE_SE_xNS9_4plusIvEENS9_8equal_toIvEExEE10hipError_tPvRmT2_T3_T4_T5_mT6_T7_P12ihipStream_tbENKUlT_T0_E_clISt17integral_constantIbLb1EESZ_EEDaSU_SV_EUlSU_E_NS1_11comp_targetILNS1_3genE9ELNS1_11target_archE1100ELNS1_3gpuE3ELNS1_3repE0EEENS1_30default_config_static_selectorELNS0_4arch9wavefront6targetE1EEEvT1_
                                        ; -- End function
	.section	.AMDGPU.csdata,"",@progbits
; Kernel info:
; codeLenInByte = 0
; NumSgprs: 6
; NumVgprs: 0
; NumAgprs: 0
; TotalNumVgprs: 0
; ScratchSize: 0
; MemoryBound: 0
; FloatMode: 240
; IeeeMode: 1
; LDSByteSize: 0 bytes/workgroup (compile time only)
; SGPRBlocks: 0
; VGPRBlocks: 0
; NumSGPRsForWavesPerEU: 6
; NumVGPRsForWavesPerEU: 1
; AccumOffset: 4
; Occupancy: 8
; WaveLimiterHint : 0
; COMPUTE_PGM_RSRC2:SCRATCH_EN: 0
; COMPUTE_PGM_RSRC2:USER_SGPR: 2
; COMPUTE_PGM_RSRC2:TRAP_HANDLER: 0
; COMPUTE_PGM_RSRC2:TGID_X_EN: 1
; COMPUTE_PGM_RSRC2:TGID_Y_EN: 0
; COMPUTE_PGM_RSRC2:TGID_Z_EN: 0
; COMPUTE_PGM_RSRC2:TIDIG_COMP_CNT: 0
; COMPUTE_PGM_RSRC3_GFX90A:ACCUM_OFFSET: 0
; COMPUTE_PGM_RSRC3_GFX90A:TG_SPLIT: 0
	.section	.text._ZN7rocprim17ROCPRIM_400000_NS6detail17trampoline_kernelINS0_14default_configENS1_27scan_by_key_config_selectorIxxEEZZNS1_16scan_by_key_implILNS1_25lookback_scan_determinismE0ELb0ES3_N6thrust23THRUST_200600_302600_NS6detail15normal_iteratorINS9_10device_ptrIxEEEESE_SE_xNS9_4plusIvEENS9_8equal_toIvEExEE10hipError_tPvRmT2_T3_T4_T5_mT6_T7_P12ihipStream_tbENKUlT_T0_E_clISt17integral_constantIbLb1EESZ_EEDaSU_SV_EUlSU_E_NS1_11comp_targetILNS1_3genE8ELNS1_11target_archE1030ELNS1_3gpuE2ELNS1_3repE0EEENS1_30default_config_static_selectorELNS0_4arch9wavefront6targetE1EEEvT1_,"axG",@progbits,_ZN7rocprim17ROCPRIM_400000_NS6detail17trampoline_kernelINS0_14default_configENS1_27scan_by_key_config_selectorIxxEEZZNS1_16scan_by_key_implILNS1_25lookback_scan_determinismE0ELb0ES3_N6thrust23THRUST_200600_302600_NS6detail15normal_iteratorINS9_10device_ptrIxEEEESE_SE_xNS9_4plusIvEENS9_8equal_toIvEExEE10hipError_tPvRmT2_T3_T4_T5_mT6_T7_P12ihipStream_tbENKUlT_T0_E_clISt17integral_constantIbLb1EESZ_EEDaSU_SV_EUlSU_E_NS1_11comp_targetILNS1_3genE8ELNS1_11target_archE1030ELNS1_3gpuE2ELNS1_3repE0EEENS1_30default_config_static_selectorELNS0_4arch9wavefront6targetE1EEEvT1_,comdat
	.protected	_ZN7rocprim17ROCPRIM_400000_NS6detail17trampoline_kernelINS0_14default_configENS1_27scan_by_key_config_selectorIxxEEZZNS1_16scan_by_key_implILNS1_25lookback_scan_determinismE0ELb0ES3_N6thrust23THRUST_200600_302600_NS6detail15normal_iteratorINS9_10device_ptrIxEEEESE_SE_xNS9_4plusIvEENS9_8equal_toIvEExEE10hipError_tPvRmT2_T3_T4_T5_mT6_T7_P12ihipStream_tbENKUlT_T0_E_clISt17integral_constantIbLb1EESZ_EEDaSU_SV_EUlSU_E_NS1_11comp_targetILNS1_3genE8ELNS1_11target_archE1030ELNS1_3gpuE2ELNS1_3repE0EEENS1_30default_config_static_selectorELNS0_4arch9wavefront6targetE1EEEvT1_ ; -- Begin function _ZN7rocprim17ROCPRIM_400000_NS6detail17trampoline_kernelINS0_14default_configENS1_27scan_by_key_config_selectorIxxEEZZNS1_16scan_by_key_implILNS1_25lookback_scan_determinismE0ELb0ES3_N6thrust23THRUST_200600_302600_NS6detail15normal_iteratorINS9_10device_ptrIxEEEESE_SE_xNS9_4plusIvEENS9_8equal_toIvEExEE10hipError_tPvRmT2_T3_T4_T5_mT6_T7_P12ihipStream_tbENKUlT_T0_E_clISt17integral_constantIbLb1EESZ_EEDaSU_SV_EUlSU_E_NS1_11comp_targetILNS1_3genE8ELNS1_11target_archE1030ELNS1_3gpuE2ELNS1_3repE0EEENS1_30default_config_static_selectorELNS0_4arch9wavefront6targetE1EEEvT1_
	.globl	_ZN7rocprim17ROCPRIM_400000_NS6detail17trampoline_kernelINS0_14default_configENS1_27scan_by_key_config_selectorIxxEEZZNS1_16scan_by_key_implILNS1_25lookback_scan_determinismE0ELb0ES3_N6thrust23THRUST_200600_302600_NS6detail15normal_iteratorINS9_10device_ptrIxEEEESE_SE_xNS9_4plusIvEENS9_8equal_toIvEExEE10hipError_tPvRmT2_T3_T4_T5_mT6_T7_P12ihipStream_tbENKUlT_T0_E_clISt17integral_constantIbLb1EESZ_EEDaSU_SV_EUlSU_E_NS1_11comp_targetILNS1_3genE8ELNS1_11target_archE1030ELNS1_3gpuE2ELNS1_3repE0EEENS1_30default_config_static_selectorELNS0_4arch9wavefront6targetE1EEEvT1_
	.p2align	8
	.type	_ZN7rocprim17ROCPRIM_400000_NS6detail17trampoline_kernelINS0_14default_configENS1_27scan_by_key_config_selectorIxxEEZZNS1_16scan_by_key_implILNS1_25lookback_scan_determinismE0ELb0ES3_N6thrust23THRUST_200600_302600_NS6detail15normal_iteratorINS9_10device_ptrIxEEEESE_SE_xNS9_4plusIvEENS9_8equal_toIvEExEE10hipError_tPvRmT2_T3_T4_T5_mT6_T7_P12ihipStream_tbENKUlT_T0_E_clISt17integral_constantIbLb1EESZ_EEDaSU_SV_EUlSU_E_NS1_11comp_targetILNS1_3genE8ELNS1_11target_archE1030ELNS1_3gpuE2ELNS1_3repE0EEENS1_30default_config_static_selectorELNS0_4arch9wavefront6targetE1EEEvT1_,@function
_ZN7rocprim17ROCPRIM_400000_NS6detail17trampoline_kernelINS0_14default_configENS1_27scan_by_key_config_selectorIxxEEZZNS1_16scan_by_key_implILNS1_25lookback_scan_determinismE0ELb0ES3_N6thrust23THRUST_200600_302600_NS6detail15normal_iteratorINS9_10device_ptrIxEEEESE_SE_xNS9_4plusIvEENS9_8equal_toIvEExEE10hipError_tPvRmT2_T3_T4_T5_mT6_T7_P12ihipStream_tbENKUlT_T0_E_clISt17integral_constantIbLb1EESZ_EEDaSU_SV_EUlSU_E_NS1_11comp_targetILNS1_3genE8ELNS1_11target_archE1030ELNS1_3gpuE2ELNS1_3repE0EEENS1_30default_config_static_selectorELNS0_4arch9wavefront6targetE1EEEvT1_: ; @_ZN7rocprim17ROCPRIM_400000_NS6detail17trampoline_kernelINS0_14default_configENS1_27scan_by_key_config_selectorIxxEEZZNS1_16scan_by_key_implILNS1_25lookback_scan_determinismE0ELb0ES3_N6thrust23THRUST_200600_302600_NS6detail15normal_iteratorINS9_10device_ptrIxEEEESE_SE_xNS9_4plusIvEENS9_8equal_toIvEExEE10hipError_tPvRmT2_T3_T4_T5_mT6_T7_P12ihipStream_tbENKUlT_T0_E_clISt17integral_constantIbLb1EESZ_EEDaSU_SV_EUlSU_E_NS1_11comp_targetILNS1_3genE8ELNS1_11target_archE1030ELNS1_3gpuE2ELNS1_3repE0EEENS1_30default_config_static_selectorELNS0_4arch9wavefront6targetE1EEEvT1_
; %bb.0:
	.section	.rodata,"a",@progbits
	.p2align	6, 0x0
	.amdhsa_kernel _ZN7rocprim17ROCPRIM_400000_NS6detail17trampoline_kernelINS0_14default_configENS1_27scan_by_key_config_selectorIxxEEZZNS1_16scan_by_key_implILNS1_25lookback_scan_determinismE0ELb0ES3_N6thrust23THRUST_200600_302600_NS6detail15normal_iteratorINS9_10device_ptrIxEEEESE_SE_xNS9_4plusIvEENS9_8equal_toIvEExEE10hipError_tPvRmT2_T3_T4_T5_mT6_T7_P12ihipStream_tbENKUlT_T0_E_clISt17integral_constantIbLb1EESZ_EEDaSU_SV_EUlSU_E_NS1_11comp_targetILNS1_3genE8ELNS1_11target_archE1030ELNS1_3gpuE2ELNS1_3repE0EEENS1_30default_config_static_selectorELNS0_4arch9wavefront6targetE1EEEvT1_
		.amdhsa_group_segment_fixed_size 0
		.amdhsa_private_segment_fixed_size 0
		.amdhsa_kernarg_size 136
		.amdhsa_user_sgpr_count 2
		.amdhsa_user_sgpr_dispatch_ptr 0
		.amdhsa_user_sgpr_queue_ptr 0
		.amdhsa_user_sgpr_kernarg_segment_ptr 1
		.amdhsa_user_sgpr_dispatch_id 0
		.amdhsa_user_sgpr_kernarg_preload_length 0
		.amdhsa_user_sgpr_kernarg_preload_offset 0
		.amdhsa_user_sgpr_private_segment_size 0
		.amdhsa_uses_dynamic_stack 0
		.amdhsa_enable_private_segment 0
		.amdhsa_system_sgpr_workgroup_id_x 1
		.amdhsa_system_sgpr_workgroup_id_y 0
		.amdhsa_system_sgpr_workgroup_id_z 0
		.amdhsa_system_sgpr_workgroup_info 0
		.amdhsa_system_vgpr_workitem_id 0
		.amdhsa_next_free_vgpr 1
		.amdhsa_next_free_sgpr 0
		.amdhsa_accum_offset 4
		.amdhsa_reserve_vcc 0
		.amdhsa_float_round_mode_32 0
		.amdhsa_float_round_mode_16_64 0
		.amdhsa_float_denorm_mode_32 3
		.amdhsa_float_denorm_mode_16_64 3
		.amdhsa_dx10_clamp 1
		.amdhsa_ieee_mode 1
		.amdhsa_fp16_overflow 0
		.amdhsa_tg_split 0
		.amdhsa_exception_fp_ieee_invalid_op 0
		.amdhsa_exception_fp_denorm_src 0
		.amdhsa_exception_fp_ieee_div_zero 0
		.amdhsa_exception_fp_ieee_overflow 0
		.amdhsa_exception_fp_ieee_underflow 0
		.amdhsa_exception_fp_ieee_inexact 0
		.amdhsa_exception_int_div_zero 0
	.end_amdhsa_kernel
	.section	.text._ZN7rocprim17ROCPRIM_400000_NS6detail17trampoline_kernelINS0_14default_configENS1_27scan_by_key_config_selectorIxxEEZZNS1_16scan_by_key_implILNS1_25lookback_scan_determinismE0ELb0ES3_N6thrust23THRUST_200600_302600_NS6detail15normal_iteratorINS9_10device_ptrIxEEEESE_SE_xNS9_4plusIvEENS9_8equal_toIvEExEE10hipError_tPvRmT2_T3_T4_T5_mT6_T7_P12ihipStream_tbENKUlT_T0_E_clISt17integral_constantIbLb1EESZ_EEDaSU_SV_EUlSU_E_NS1_11comp_targetILNS1_3genE8ELNS1_11target_archE1030ELNS1_3gpuE2ELNS1_3repE0EEENS1_30default_config_static_selectorELNS0_4arch9wavefront6targetE1EEEvT1_,"axG",@progbits,_ZN7rocprim17ROCPRIM_400000_NS6detail17trampoline_kernelINS0_14default_configENS1_27scan_by_key_config_selectorIxxEEZZNS1_16scan_by_key_implILNS1_25lookback_scan_determinismE0ELb0ES3_N6thrust23THRUST_200600_302600_NS6detail15normal_iteratorINS9_10device_ptrIxEEEESE_SE_xNS9_4plusIvEENS9_8equal_toIvEExEE10hipError_tPvRmT2_T3_T4_T5_mT6_T7_P12ihipStream_tbENKUlT_T0_E_clISt17integral_constantIbLb1EESZ_EEDaSU_SV_EUlSU_E_NS1_11comp_targetILNS1_3genE8ELNS1_11target_archE1030ELNS1_3gpuE2ELNS1_3repE0EEENS1_30default_config_static_selectorELNS0_4arch9wavefront6targetE1EEEvT1_,comdat
.Lfunc_end24:
	.size	_ZN7rocprim17ROCPRIM_400000_NS6detail17trampoline_kernelINS0_14default_configENS1_27scan_by_key_config_selectorIxxEEZZNS1_16scan_by_key_implILNS1_25lookback_scan_determinismE0ELb0ES3_N6thrust23THRUST_200600_302600_NS6detail15normal_iteratorINS9_10device_ptrIxEEEESE_SE_xNS9_4plusIvEENS9_8equal_toIvEExEE10hipError_tPvRmT2_T3_T4_T5_mT6_T7_P12ihipStream_tbENKUlT_T0_E_clISt17integral_constantIbLb1EESZ_EEDaSU_SV_EUlSU_E_NS1_11comp_targetILNS1_3genE8ELNS1_11target_archE1030ELNS1_3gpuE2ELNS1_3repE0EEENS1_30default_config_static_selectorELNS0_4arch9wavefront6targetE1EEEvT1_, .Lfunc_end24-_ZN7rocprim17ROCPRIM_400000_NS6detail17trampoline_kernelINS0_14default_configENS1_27scan_by_key_config_selectorIxxEEZZNS1_16scan_by_key_implILNS1_25lookback_scan_determinismE0ELb0ES3_N6thrust23THRUST_200600_302600_NS6detail15normal_iteratorINS9_10device_ptrIxEEEESE_SE_xNS9_4plusIvEENS9_8equal_toIvEExEE10hipError_tPvRmT2_T3_T4_T5_mT6_T7_P12ihipStream_tbENKUlT_T0_E_clISt17integral_constantIbLb1EESZ_EEDaSU_SV_EUlSU_E_NS1_11comp_targetILNS1_3genE8ELNS1_11target_archE1030ELNS1_3gpuE2ELNS1_3repE0EEENS1_30default_config_static_selectorELNS0_4arch9wavefront6targetE1EEEvT1_
                                        ; -- End function
	.section	.AMDGPU.csdata,"",@progbits
; Kernel info:
; codeLenInByte = 0
; NumSgprs: 6
; NumVgprs: 0
; NumAgprs: 0
; TotalNumVgprs: 0
; ScratchSize: 0
; MemoryBound: 0
; FloatMode: 240
; IeeeMode: 1
; LDSByteSize: 0 bytes/workgroup (compile time only)
; SGPRBlocks: 0
; VGPRBlocks: 0
; NumSGPRsForWavesPerEU: 6
; NumVGPRsForWavesPerEU: 1
; AccumOffset: 4
; Occupancy: 8
; WaveLimiterHint : 0
; COMPUTE_PGM_RSRC2:SCRATCH_EN: 0
; COMPUTE_PGM_RSRC2:USER_SGPR: 2
; COMPUTE_PGM_RSRC2:TRAP_HANDLER: 0
; COMPUTE_PGM_RSRC2:TGID_X_EN: 1
; COMPUTE_PGM_RSRC2:TGID_Y_EN: 0
; COMPUTE_PGM_RSRC2:TGID_Z_EN: 0
; COMPUTE_PGM_RSRC2:TIDIG_COMP_CNT: 0
; COMPUTE_PGM_RSRC3_GFX90A:ACCUM_OFFSET: 0
; COMPUTE_PGM_RSRC3_GFX90A:TG_SPLIT: 0
	.section	.text._ZN7rocprim17ROCPRIM_400000_NS6detail30init_device_scan_by_key_kernelINS1_19lookback_scan_stateINS0_5tupleIJxbEEELb1ELb0EEEN6thrust23THRUST_200600_302600_NS6detail15normal_iteratorINS8_10device_ptrIxEEEEjNS1_16block_id_wrapperIjLb0EEEEEvT_jjPNSG_10value_typeET0_PNSt15iterator_traitsISJ_E10value_typeEmT1_T2_,"axG",@progbits,_ZN7rocprim17ROCPRIM_400000_NS6detail30init_device_scan_by_key_kernelINS1_19lookback_scan_stateINS0_5tupleIJxbEEELb1ELb0EEEN6thrust23THRUST_200600_302600_NS6detail15normal_iteratorINS8_10device_ptrIxEEEEjNS1_16block_id_wrapperIjLb0EEEEEvT_jjPNSG_10value_typeET0_PNSt15iterator_traitsISJ_E10value_typeEmT1_T2_,comdat
	.protected	_ZN7rocprim17ROCPRIM_400000_NS6detail30init_device_scan_by_key_kernelINS1_19lookback_scan_stateINS0_5tupleIJxbEEELb1ELb0EEEN6thrust23THRUST_200600_302600_NS6detail15normal_iteratorINS8_10device_ptrIxEEEEjNS1_16block_id_wrapperIjLb0EEEEEvT_jjPNSG_10value_typeET0_PNSt15iterator_traitsISJ_E10value_typeEmT1_T2_ ; -- Begin function _ZN7rocprim17ROCPRIM_400000_NS6detail30init_device_scan_by_key_kernelINS1_19lookback_scan_stateINS0_5tupleIJxbEEELb1ELb0EEEN6thrust23THRUST_200600_302600_NS6detail15normal_iteratorINS8_10device_ptrIxEEEEjNS1_16block_id_wrapperIjLb0EEEEEvT_jjPNSG_10value_typeET0_PNSt15iterator_traitsISJ_E10value_typeEmT1_T2_
	.globl	_ZN7rocprim17ROCPRIM_400000_NS6detail30init_device_scan_by_key_kernelINS1_19lookback_scan_stateINS0_5tupleIJxbEEELb1ELb0EEEN6thrust23THRUST_200600_302600_NS6detail15normal_iteratorINS8_10device_ptrIxEEEEjNS1_16block_id_wrapperIjLb0EEEEEvT_jjPNSG_10value_typeET0_PNSt15iterator_traitsISJ_E10value_typeEmT1_T2_
	.p2align	8
	.type	_ZN7rocprim17ROCPRIM_400000_NS6detail30init_device_scan_by_key_kernelINS1_19lookback_scan_stateINS0_5tupleIJxbEEELb1ELb0EEEN6thrust23THRUST_200600_302600_NS6detail15normal_iteratorINS8_10device_ptrIxEEEEjNS1_16block_id_wrapperIjLb0EEEEEvT_jjPNSG_10value_typeET0_PNSt15iterator_traitsISJ_E10value_typeEmT1_T2_,@function
_ZN7rocprim17ROCPRIM_400000_NS6detail30init_device_scan_by_key_kernelINS1_19lookback_scan_stateINS0_5tupleIJxbEEELb1ELb0EEEN6thrust23THRUST_200600_302600_NS6detail15normal_iteratorINS8_10device_ptrIxEEEEjNS1_16block_id_wrapperIjLb0EEEEEvT_jjPNSG_10value_typeET0_PNSt15iterator_traitsISJ_E10value_typeEmT1_T2_: ; @_ZN7rocprim17ROCPRIM_400000_NS6detail30init_device_scan_by_key_kernelINS1_19lookback_scan_stateINS0_5tupleIJxbEEELb1ELb0EEEN6thrust23THRUST_200600_302600_NS6detail15normal_iteratorINS8_10device_ptrIxEEEEjNS1_16block_id_wrapperIjLb0EEEEEvT_jjPNSG_10value_typeET0_PNSt15iterator_traitsISJ_E10value_typeEmT1_T2_
; %bb.0:
	s_load_dword s3, s[0:1], 0x54
	s_load_dwordx8 s[4:11], s[0:1], 0x10
	s_load_dword s20, s[0:1], 0x48
	s_waitcnt lgkmcnt(0)
	s_and_b32 s21, s3, 0xffff
	s_mul_i32 s2, s2, s21
	s_cmp_eq_u64 s[8:9], 0
	v_add_u32_e32 v0, s2, v0
	s_cbranch_scc1 .LBB25_11
; %bb.1:
	s_cmp_lt_u32 s7, s6
	s_cselect_b32 s2, s7, 0
	s_mov_b32 s17, 0
	v_cmp_eq_u32_e32 vcc, s2, v0
	s_and_saveexec_b64 s[2:3], vcc
	s_cbranch_execz .LBB25_10
; %bb.2:
	s_add_i32 s16, s7, 64
	v_mov_b32_e32 v1, s16
	global_load_ubyte v1, v1, s[4:5] sc1
	s_load_dwordx4 s[12:15], s[0:1], 0x0
	s_add_u32 s18, s4, s16
	s_addc_u32 s19, s5, 0
	s_waitcnt vmcnt(0)
	v_cmp_ne_u16_e32 vcc, 0, v1
	v_readfirstlane_b32 s7, v1
	s_cbranch_vccz .LBB25_4
; %bb.3:
	s_and_b32 s7, 0xffff, s7
	s_branch .LBB25_9
.LBB25_4:
	s_mov_b32 s7, 1
	v_mov_b32_e32 v1, 0
.LBB25_5:                               ; =>This Loop Header: Depth=1
                                        ;     Child Loop BB25_6 Depth 2
	s_max_u32 s22, s7, 1
.LBB25_6:                               ;   Parent Loop BB25_5 Depth=1
                                        ; =>  This Inner Loop Header: Depth=2
	s_add_i32 s22, s22, -1
	s_cmp_eq_u32 s22, 0
	s_sleep 1
	s_cbranch_scc0 .LBB25_6
; %bb.7:                                ;   in Loop: Header=BB25_5 Depth=1
	global_load_ubyte v2, v1, s[18:19] sc1
	s_cmp_lt_u32 s7, 32
	s_cselect_b64 s[22:23], -1, 0
	s_cmp_lg_u64 s[22:23], 0
	s_addc_u32 s7, s7, 0
	s_waitcnt vmcnt(0)
	v_cmp_ne_u16_e32 vcc, 0, v2
	v_readfirstlane_b32 s22, v2
	s_cbranch_vccz .LBB25_5
; %bb.8:
	s_and_b32 s7, 0xffff, s22
.LBB25_9:
	s_cmp_eq_u32 s7, 1
	s_waitcnt lgkmcnt(0)
	s_cselect_b32 s7, s13, s15
	s_cselect_b32 s14, s12, s14
	s_lshl_b64 s[12:13], s[16:17], 4
	s_add_u32 s12, s14, s12
	s_addc_u32 s13, s7, s13
	v_mov_b32_e32 v1, 0
	s_waitcnt vmcnt(0)
	global_load_dword v2, v1, s[12:13] sc1
	global_load_dword v3, v1, s[12:13] offset:4 sc1
	global_load_dword v4, v1, s[12:13] offset:8 sc1
	global_load_dword v5, v1, s[12:13] offset:12 sc1
	s_waitcnt vmcnt(2)
	global_store_dwordx2 v1, v[2:3], s[8:9]
	s_waitcnt vmcnt(2)
	global_store_byte v1, v4, s[8:9] offset:8
.LBB25_10:
	s_or_b64 exec, exec, s[2:3]
.LBB25_11:
	v_cmp_gt_u32_e32 vcc, s6, v0
	s_and_saveexec_b64 s[2:3], vcc
	s_cbranch_execz .LBB25_13
; %bb.12:
	v_add_u32_e32 v1, 64, v0
	v_mov_b32_e32 v2, 0
	global_store_byte v1, v2, s[4:5]
.LBB25_13:
	s_or_b64 exec, exec, s[2:3]
	v_cmp_gt_u32_e32 vcc, 64, v0
	v_mov_b32_e32 v1, 0
	s_and_saveexec_b64 s[2:3], vcc
	s_cbranch_execz .LBB25_15
; %bb.14:
	v_lshl_add_u64 v[2:3], s[4:5], 0, v[0:1]
	v_mov_b32_e32 v4, 0xff
	global_store_byte v[2:3], v4, off
.LBB25_15:
	s_or_b64 exec, exec, s[2:3]
	s_load_dwordx2 s[2:3], s[0:1], 0x38
	s_waitcnt lgkmcnt(0)
	v_cmp_gt_u64_e32 vcc, s[2:3], v[0:1]
	s_and_saveexec_b64 s[4:5], vcc
	s_cbranch_execz .LBB25_18
; %bb.16:
	s_load_dword s12, s[0:1], 0x40
	s_load_dwordx2 s[6:7], s[0:1], 0x30
	s_mov_b32 s5, 0
	s_mov_b32 s1, s5
	s_mul_i32 s0, s20, s21
	s_waitcnt lgkmcnt(0)
	s_add_i32 s4, s12, -1
	s_lshl_b64 s[4:5], s[4:5], 3
	s_add_u32 s4, s10, s4
	v_mad_u64_u32 v[2:3], s[8:9], s12, v0, 0
	s_addc_u32 s5, s11, s5
	v_lshl_add_u64 v[2:3], v[2:3], 3, s[4:5]
	s_mul_hi_u32 s5, s12, s0
	s_mul_i32 s4, s12, s0
	s_lshl_b64 s[4:5], s[4:5], 3
	s_waitcnt vmcnt(2)
	v_lshl_add_u64 v[4:5], v[0:1], 3, s[6:7]
	s_lshl_b64 s[6:7], s[0:1], 3
	s_mov_b64 s[8:9], 0
.LBB25_17:                              ; =>This Inner Loop Header: Depth=1
	global_load_dwordx2 v[6:7], v[2:3], off
	v_lshl_add_u64 v[0:1], v[0:1], 0, s[0:1]
	v_cmp_le_u64_e32 vcc, s[2:3], v[0:1]
	v_lshl_add_u64 v[2:3], v[2:3], 0, s[4:5]
	s_or_b64 s[8:9], vcc, s[8:9]
	s_waitcnt vmcnt(0)
	global_store_dwordx2 v[4:5], v[6:7], off
	v_lshl_add_u64 v[4:5], v[4:5], 0, s[6:7]
	s_andn2_b64 exec, exec, s[8:9]
	s_cbranch_execnz .LBB25_17
.LBB25_18:
	s_endpgm
	.section	.rodata,"a",@progbits
	.p2align	6, 0x0
	.amdhsa_kernel _ZN7rocprim17ROCPRIM_400000_NS6detail30init_device_scan_by_key_kernelINS1_19lookback_scan_stateINS0_5tupleIJxbEEELb1ELb0EEEN6thrust23THRUST_200600_302600_NS6detail15normal_iteratorINS8_10device_ptrIxEEEEjNS1_16block_id_wrapperIjLb0EEEEEvT_jjPNSG_10value_typeET0_PNSt15iterator_traitsISJ_E10value_typeEmT1_T2_
		.amdhsa_group_segment_fixed_size 0
		.amdhsa_private_segment_fixed_size 0
		.amdhsa_kernarg_size 328
		.amdhsa_user_sgpr_count 2
		.amdhsa_user_sgpr_dispatch_ptr 0
		.amdhsa_user_sgpr_queue_ptr 0
		.amdhsa_user_sgpr_kernarg_segment_ptr 1
		.amdhsa_user_sgpr_dispatch_id 0
		.amdhsa_user_sgpr_kernarg_preload_length 0
		.amdhsa_user_sgpr_kernarg_preload_offset 0
		.amdhsa_user_sgpr_private_segment_size 0
		.amdhsa_uses_dynamic_stack 0
		.amdhsa_enable_private_segment 0
		.amdhsa_system_sgpr_workgroup_id_x 1
		.amdhsa_system_sgpr_workgroup_id_y 0
		.amdhsa_system_sgpr_workgroup_id_z 0
		.amdhsa_system_sgpr_workgroup_info 0
		.amdhsa_system_vgpr_workitem_id 0
		.amdhsa_next_free_vgpr 8
		.amdhsa_next_free_sgpr 24
		.amdhsa_accum_offset 8
		.amdhsa_reserve_vcc 1
		.amdhsa_float_round_mode_32 0
		.amdhsa_float_round_mode_16_64 0
		.amdhsa_float_denorm_mode_32 3
		.amdhsa_float_denorm_mode_16_64 3
		.amdhsa_dx10_clamp 1
		.amdhsa_ieee_mode 1
		.amdhsa_fp16_overflow 0
		.amdhsa_tg_split 0
		.amdhsa_exception_fp_ieee_invalid_op 0
		.amdhsa_exception_fp_denorm_src 0
		.amdhsa_exception_fp_ieee_div_zero 0
		.amdhsa_exception_fp_ieee_overflow 0
		.amdhsa_exception_fp_ieee_underflow 0
		.amdhsa_exception_fp_ieee_inexact 0
		.amdhsa_exception_int_div_zero 0
	.end_amdhsa_kernel
	.section	.text._ZN7rocprim17ROCPRIM_400000_NS6detail30init_device_scan_by_key_kernelINS1_19lookback_scan_stateINS0_5tupleIJxbEEELb1ELb0EEEN6thrust23THRUST_200600_302600_NS6detail15normal_iteratorINS8_10device_ptrIxEEEEjNS1_16block_id_wrapperIjLb0EEEEEvT_jjPNSG_10value_typeET0_PNSt15iterator_traitsISJ_E10value_typeEmT1_T2_,"axG",@progbits,_ZN7rocprim17ROCPRIM_400000_NS6detail30init_device_scan_by_key_kernelINS1_19lookback_scan_stateINS0_5tupleIJxbEEELb1ELb0EEEN6thrust23THRUST_200600_302600_NS6detail15normal_iteratorINS8_10device_ptrIxEEEEjNS1_16block_id_wrapperIjLb0EEEEEvT_jjPNSG_10value_typeET0_PNSt15iterator_traitsISJ_E10value_typeEmT1_T2_,comdat
.Lfunc_end25:
	.size	_ZN7rocprim17ROCPRIM_400000_NS6detail30init_device_scan_by_key_kernelINS1_19lookback_scan_stateINS0_5tupleIJxbEEELb1ELb0EEEN6thrust23THRUST_200600_302600_NS6detail15normal_iteratorINS8_10device_ptrIxEEEEjNS1_16block_id_wrapperIjLb0EEEEEvT_jjPNSG_10value_typeET0_PNSt15iterator_traitsISJ_E10value_typeEmT1_T2_, .Lfunc_end25-_ZN7rocprim17ROCPRIM_400000_NS6detail30init_device_scan_by_key_kernelINS1_19lookback_scan_stateINS0_5tupleIJxbEEELb1ELb0EEEN6thrust23THRUST_200600_302600_NS6detail15normal_iteratorINS8_10device_ptrIxEEEEjNS1_16block_id_wrapperIjLb0EEEEEvT_jjPNSG_10value_typeET0_PNSt15iterator_traitsISJ_E10value_typeEmT1_T2_
                                        ; -- End function
	.section	.AMDGPU.csdata,"",@progbits
; Kernel info:
; codeLenInByte = 568
; NumSgprs: 30
; NumVgprs: 8
; NumAgprs: 0
; TotalNumVgprs: 8
; ScratchSize: 0
; MemoryBound: 0
; FloatMode: 240
; IeeeMode: 1
; LDSByteSize: 0 bytes/workgroup (compile time only)
; SGPRBlocks: 3
; VGPRBlocks: 0
; NumSGPRsForWavesPerEU: 30
; NumVGPRsForWavesPerEU: 8
; AccumOffset: 8
; Occupancy: 8
; WaveLimiterHint : 0
; COMPUTE_PGM_RSRC2:SCRATCH_EN: 0
; COMPUTE_PGM_RSRC2:USER_SGPR: 2
; COMPUTE_PGM_RSRC2:TRAP_HANDLER: 0
; COMPUTE_PGM_RSRC2:TGID_X_EN: 1
; COMPUTE_PGM_RSRC2:TGID_Y_EN: 0
; COMPUTE_PGM_RSRC2:TGID_Z_EN: 0
; COMPUTE_PGM_RSRC2:TIDIG_COMP_CNT: 0
; COMPUTE_PGM_RSRC3_GFX90A:ACCUM_OFFSET: 1
; COMPUTE_PGM_RSRC3_GFX90A:TG_SPLIT: 0
	.section	.text._ZN7rocprim17ROCPRIM_400000_NS6detail30init_device_scan_by_key_kernelINS1_19lookback_scan_stateINS0_5tupleIJxbEEELb1ELb0EEENS1_16block_id_wrapperIjLb0EEEEEvT_jjPNS9_10value_typeET0_,"axG",@progbits,_ZN7rocprim17ROCPRIM_400000_NS6detail30init_device_scan_by_key_kernelINS1_19lookback_scan_stateINS0_5tupleIJxbEEELb1ELb0EEENS1_16block_id_wrapperIjLb0EEEEEvT_jjPNS9_10value_typeET0_,comdat
	.protected	_ZN7rocprim17ROCPRIM_400000_NS6detail30init_device_scan_by_key_kernelINS1_19lookback_scan_stateINS0_5tupleIJxbEEELb1ELb0EEENS1_16block_id_wrapperIjLb0EEEEEvT_jjPNS9_10value_typeET0_ ; -- Begin function _ZN7rocprim17ROCPRIM_400000_NS6detail30init_device_scan_by_key_kernelINS1_19lookback_scan_stateINS0_5tupleIJxbEEELb1ELb0EEENS1_16block_id_wrapperIjLb0EEEEEvT_jjPNS9_10value_typeET0_
	.globl	_ZN7rocprim17ROCPRIM_400000_NS6detail30init_device_scan_by_key_kernelINS1_19lookback_scan_stateINS0_5tupleIJxbEEELb1ELb0EEENS1_16block_id_wrapperIjLb0EEEEEvT_jjPNS9_10value_typeET0_
	.p2align	8
	.type	_ZN7rocprim17ROCPRIM_400000_NS6detail30init_device_scan_by_key_kernelINS1_19lookback_scan_stateINS0_5tupleIJxbEEELb1ELb0EEENS1_16block_id_wrapperIjLb0EEEEEvT_jjPNS9_10value_typeET0_,@function
_ZN7rocprim17ROCPRIM_400000_NS6detail30init_device_scan_by_key_kernelINS1_19lookback_scan_stateINS0_5tupleIJxbEEELb1ELb0EEENS1_16block_id_wrapperIjLb0EEEEEvT_jjPNS9_10value_typeET0_: ; @_ZN7rocprim17ROCPRIM_400000_NS6detail30init_device_scan_by_key_kernelINS1_19lookback_scan_stateINS0_5tupleIJxbEEELb1ELb0EEENS1_16block_id_wrapperIjLb0EEEEEvT_jjPNS9_10value_typeET0_
; %bb.0:
	s_load_dword s3, s[0:1], 0x3c
	s_load_dwordx2 s[8:9], s[0:1], 0x20
	s_load_dwordx4 s[4:7], s[0:1], 0x10
	s_waitcnt lgkmcnt(0)
	s_and_b32 s3, s3, 0xffff
	s_mul_i32 s2, s2, s3
	s_cmp_eq_u64 s[8:9], 0
	v_add_u32_e32 v0, s2, v0
	s_cbranch_scc1 .LBB26_11
; %bb.1:
	s_cmp_lt_u32 s7, s6
	s_cselect_b32 s2, s7, 0
	s_mov_b32 s13, 0
	v_cmp_eq_u32_e32 vcc, s2, v0
	s_and_saveexec_b64 s[10:11], vcc
	s_cbranch_execz .LBB26_10
; %bb.2:
	s_add_i32 s12, s7, 64
	v_mov_b32_e32 v1, s12
	global_load_ubyte v1, v1, s[4:5] sc1
	s_load_dwordx4 s[0:3], s[0:1], 0x0
	s_add_u32 s14, s4, s12
	s_addc_u32 s15, s5, 0
	s_waitcnt vmcnt(0)
	v_cmp_ne_u16_e32 vcc, 0, v1
	v_readfirstlane_b32 s7, v1
	s_cbranch_vccz .LBB26_4
; %bb.3:
	s_and_b32 s7, 0xffff, s7
	s_branch .LBB26_9
.LBB26_4:
	s_mov_b32 s7, 1
	v_mov_b32_e32 v1, 0
.LBB26_5:                               ; =>This Loop Header: Depth=1
                                        ;     Child Loop BB26_6 Depth 2
	s_max_u32 s16, s7, 1
.LBB26_6:                               ;   Parent Loop BB26_5 Depth=1
                                        ; =>  This Inner Loop Header: Depth=2
	s_add_i32 s16, s16, -1
	s_cmp_eq_u32 s16, 0
	s_sleep 1
	s_cbranch_scc0 .LBB26_6
; %bb.7:                                ;   in Loop: Header=BB26_5 Depth=1
	global_load_ubyte v2, v1, s[14:15] sc1
	s_cmp_lt_u32 s7, 32
	s_cselect_b64 s[16:17], -1, 0
	s_cmp_lg_u64 s[16:17], 0
	s_addc_u32 s7, s7, 0
	s_waitcnt vmcnt(0)
	v_cmp_ne_u16_e32 vcc, 0, v2
	v_readfirstlane_b32 s16, v2
	s_cbranch_vccz .LBB26_5
; %bb.8:
	s_and_b32 s7, 0xffff, s16
.LBB26_9:
	s_cmp_eq_u32 s7, 1
	s_waitcnt lgkmcnt(0)
	s_cselect_b32 s3, s1, s3
	s_cselect_b32 s2, s0, s2
	s_lshl_b64 s[0:1], s[12:13], 4
	s_add_u32 s0, s2, s0
	s_addc_u32 s1, s3, s1
	v_mov_b32_e32 v1, 0
	s_waitcnt vmcnt(0)
	global_load_dword v2, v1, s[0:1] sc1
	global_load_dword v3, v1, s[0:1] offset:4 sc1
	global_load_dword v4, v1, s[0:1] offset:8 sc1
	;; [unrolled: 1-line block ×3, first 2 shown]
	s_waitcnt vmcnt(2)
	global_store_dwordx2 v1, v[2:3], s[8:9]
	s_waitcnt vmcnt(2)
	global_store_byte v1, v4, s[8:9] offset:8
.LBB26_10:
	s_or_b64 exec, exec, s[10:11]
.LBB26_11:
	v_cmp_gt_u32_e32 vcc, s6, v0
	s_and_saveexec_b64 s[0:1], vcc
	s_cbranch_execnz .LBB26_14
; %bb.12:
	s_or_b64 exec, exec, s[0:1]
	v_cmp_gt_u32_e32 vcc, 64, v0
	s_and_saveexec_b64 s[0:1], vcc
	s_cbranch_execnz .LBB26_15
.LBB26_13:
	s_endpgm
.LBB26_14:
	v_add_u32_e32 v1, 64, v0
	v_mov_b32_e32 v2, 0
	global_store_byte v1, v2, s[4:5]
	s_or_b64 exec, exec, s[0:1]
	v_cmp_gt_u32_e32 vcc, 64, v0
	s_and_saveexec_b64 s[0:1], vcc
	s_cbranch_execz .LBB26_13
.LBB26_15:
	v_mov_b32_e32 v1, 0xff
	global_store_byte v0, v1, s[4:5]
	s_endpgm
	.section	.rodata,"a",@progbits
	.p2align	6, 0x0
	.amdhsa_kernel _ZN7rocprim17ROCPRIM_400000_NS6detail30init_device_scan_by_key_kernelINS1_19lookback_scan_stateINS0_5tupleIJxbEEELb1ELb0EEENS1_16block_id_wrapperIjLb0EEEEEvT_jjPNS9_10value_typeET0_
		.amdhsa_group_segment_fixed_size 0
		.amdhsa_private_segment_fixed_size 0
		.amdhsa_kernarg_size 304
		.amdhsa_user_sgpr_count 2
		.amdhsa_user_sgpr_dispatch_ptr 0
		.amdhsa_user_sgpr_queue_ptr 0
		.amdhsa_user_sgpr_kernarg_segment_ptr 1
		.amdhsa_user_sgpr_dispatch_id 0
		.amdhsa_user_sgpr_kernarg_preload_length 0
		.amdhsa_user_sgpr_kernarg_preload_offset 0
		.amdhsa_user_sgpr_private_segment_size 0
		.amdhsa_uses_dynamic_stack 0
		.amdhsa_enable_private_segment 0
		.amdhsa_system_sgpr_workgroup_id_x 1
		.amdhsa_system_sgpr_workgroup_id_y 0
		.amdhsa_system_sgpr_workgroup_id_z 0
		.amdhsa_system_sgpr_workgroup_info 0
		.amdhsa_system_vgpr_workitem_id 0
		.amdhsa_next_free_vgpr 6
		.amdhsa_next_free_sgpr 18
		.amdhsa_accum_offset 8
		.amdhsa_reserve_vcc 1
		.amdhsa_float_round_mode_32 0
		.amdhsa_float_round_mode_16_64 0
		.amdhsa_float_denorm_mode_32 3
		.amdhsa_float_denorm_mode_16_64 3
		.amdhsa_dx10_clamp 1
		.amdhsa_ieee_mode 1
		.amdhsa_fp16_overflow 0
		.amdhsa_tg_split 0
		.amdhsa_exception_fp_ieee_invalid_op 0
		.amdhsa_exception_fp_denorm_src 0
		.amdhsa_exception_fp_ieee_div_zero 0
		.amdhsa_exception_fp_ieee_overflow 0
		.amdhsa_exception_fp_ieee_underflow 0
		.amdhsa_exception_fp_ieee_inexact 0
		.amdhsa_exception_int_div_zero 0
	.end_amdhsa_kernel
	.section	.text._ZN7rocprim17ROCPRIM_400000_NS6detail30init_device_scan_by_key_kernelINS1_19lookback_scan_stateINS0_5tupleIJxbEEELb1ELb0EEENS1_16block_id_wrapperIjLb0EEEEEvT_jjPNS9_10value_typeET0_,"axG",@progbits,_ZN7rocprim17ROCPRIM_400000_NS6detail30init_device_scan_by_key_kernelINS1_19lookback_scan_stateINS0_5tupleIJxbEEELb1ELb0EEENS1_16block_id_wrapperIjLb0EEEEEvT_jjPNS9_10value_typeET0_,comdat
.Lfunc_end26:
	.size	_ZN7rocprim17ROCPRIM_400000_NS6detail30init_device_scan_by_key_kernelINS1_19lookback_scan_stateINS0_5tupleIJxbEEELb1ELb0EEENS1_16block_id_wrapperIjLb0EEEEEvT_jjPNS9_10value_typeET0_, .Lfunc_end26-_ZN7rocprim17ROCPRIM_400000_NS6detail30init_device_scan_by_key_kernelINS1_19lookback_scan_stateINS0_5tupleIJxbEEELb1ELb0EEENS1_16block_id_wrapperIjLb0EEEEEvT_jjPNS9_10value_typeET0_
                                        ; -- End function
	.section	.AMDGPU.csdata,"",@progbits
; Kernel info:
; codeLenInByte = 392
; NumSgprs: 24
; NumVgprs: 6
; NumAgprs: 0
; TotalNumVgprs: 6
; ScratchSize: 0
; MemoryBound: 0
; FloatMode: 240
; IeeeMode: 1
; LDSByteSize: 0 bytes/workgroup (compile time only)
; SGPRBlocks: 2
; VGPRBlocks: 0
; NumSGPRsForWavesPerEU: 24
; NumVGPRsForWavesPerEU: 6
; AccumOffset: 8
; Occupancy: 8
; WaveLimiterHint : 0
; COMPUTE_PGM_RSRC2:SCRATCH_EN: 0
; COMPUTE_PGM_RSRC2:USER_SGPR: 2
; COMPUTE_PGM_RSRC2:TRAP_HANDLER: 0
; COMPUTE_PGM_RSRC2:TGID_X_EN: 1
; COMPUTE_PGM_RSRC2:TGID_Y_EN: 0
; COMPUTE_PGM_RSRC2:TGID_Z_EN: 0
; COMPUTE_PGM_RSRC2:TIDIG_COMP_CNT: 0
; COMPUTE_PGM_RSRC3_GFX90A:ACCUM_OFFSET: 1
; COMPUTE_PGM_RSRC3_GFX90A:TG_SPLIT: 0
	.section	.text._ZN7rocprim17ROCPRIM_400000_NS6detail17trampoline_kernelINS0_14default_configENS1_27scan_by_key_config_selectorIxxEEZZNS1_16scan_by_key_implILNS1_25lookback_scan_determinismE0ELb0ES3_N6thrust23THRUST_200600_302600_NS6detail15normal_iteratorINS9_10device_ptrIxEEEESE_SE_xNS9_4plusIvEENS9_8equal_toIvEExEE10hipError_tPvRmT2_T3_T4_T5_mT6_T7_P12ihipStream_tbENKUlT_T0_E_clISt17integral_constantIbLb1EESY_IbLb0EEEEDaSU_SV_EUlSU_E_NS1_11comp_targetILNS1_3genE0ELNS1_11target_archE4294967295ELNS1_3gpuE0ELNS1_3repE0EEENS1_30default_config_static_selectorELNS0_4arch9wavefront6targetE1EEEvT1_,"axG",@progbits,_ZN7rocprim17ROCPRIM_400000_NS6detail17trampoline_kernelINS0_14default_configENS1_27scan_by_key_config_selectorIxxEEZZNS1_16scan_by_key_implILNS1_25lookback_scan_determinismE0ELb0ES3_N6thrust23THRUST_200600_302600_NS6detail15normal_iteratorINS9_10device_ptrIxEEEESE_SE_xNS9_4plusIvEENS9_8equal_toIvEExEE10hipError_tPvRmT2_T3_T4_T5_mT6_T7_P12ihipStream_tbENKUlT_T0_E_clISt17integral_constantIbLb1EESY_IbLb0EEEEDaSU_SV_EUlSU_E_NS1_11comp_targetILNS1_3genE0ELNS1_11target_archE4294967295ELNS1_3gpuE0ELNS1_3repE0EEENS1_30default_config_static_selectorELNS0_4arch9wavefront6targetE1EEEvT1_,comdat
	.protected	_ZN7rocprim17ROCPRIM_400000_NS6detail17trampoline_kernelINS0_14default_configENS1_27scan_by_key_config_selectorIxxEEZZNS1_16scan_by_key_implILNS1_25lookback_scan_determinismE0ELb0ES3_N6thrust23THRUST_200600_302600_NS6detail15normal_iteratorINS9_10device_ptrIxEEEESE_SE_xNS9_4plusIvEENS9_8equal_toIvEExEE10hipError_tPvRmT2_T3_T4_T5_mT6_T7_P12ihipStream_tbENKUlT_T0_E_clISt17integral_constantIbLb1EESY_IbLb0EEEEDaSU_SV_EUlSU_E_NS1_11comp_targetILNS1_3genE0ELNS1_11target_archE4294967295ELNS1_3gpuE0ELNS1_3repE0EEENS1_30default_config_static_selectorELNS0_4arch9wavefront6targetE1EEEvT1_ ; -- Begin function _ZN7rocprim17ROCPRIM_400000_NS6detail17trampoline_kernelINS0_14default_configENS1_27scan_by_key_config_selectorIxxEEZZNS1_16scan_by_key_implILNS1_25lookback_scan_determinismE0ELb0ES3_N6thrust23THRUST_200600_302600_NS6detail15normal_iteratorINS9_10device_ptrIxEEEESE_SE_xNS9_4plusIvEENS9_8equal_toIvEExEE10hipError_tPvRmT2_T3_T4_T5_mT6_T7_P12ihipStream_tbENKUlT_T0_E_clISt17integral_constantIbLb1EESY_IbLb0EEEEDaSU_SV_EUlSU_E_NS1_11comp_targetILNS1_3genE0ELNS1_11target_archE4294967295ELNS1_3gpuE0ELNS1_3repE0EEENS1_30default_config_static_selectorELNS0_4arch9wavefront6targetE1EEEvT1_
	.globl	_ZN7rocprim17ROCPRIM_400000_NS6detail17trampoline_kernelINS0_14default_configENS1_27scan_by_key_config_selectorIxxEEZZNS1_16scan_by_key_implILNS1_25lookback_scan_determinismE0ELb0ES3_N6thrust23THRUST_200600_302600_NS6detail15normal_iteratorINS9_10device_ptrIxEEEESE_SE_xNS9_4plusIvEENS9_8equal_toIvEExEE10hipError_tPvRmT2_T3_T4_T5_mT6_T7_P12ihipStream_tbENKUlT_T0_E_clISt17integral_constantIbLb1EESY_IbLb0EEEEDaSU_SV_EUlSU_E_NS1_11comp_targetILNS1_3genE0ELNS1_11target_archE4294967295ELNS1_3gpuE0ELNS1_3repE0EEENS1_30default_config_static_selectorELNS0_4arch9wavefront6targetE1EEEvT1_
	.p2align	8
	.type	_ZN7rocprim17ROCPRIM_400000_NS6detail17trampoline_kernelINS0_14default_configENS1_27scan_by_key_config_selectorIxxEEZZNS1_16scan_by_key_implILNS1_25lookback_scan_determinismE0ELb0ES3_N6thrust23THRUST_200600_302600_NS6detail15normal_iteratorINS9_10device_ptrIxEEEESE_SE_xNS9_4plusIvEENS9_8equal_toIvEExEE10hipError_tPvRmT2_T3_T4_T5_mT6_T7_P12ihipStream_tbENKUlT_T0_E_clISt17integral_constantIbLb1EESY_IbLb0EEEEDaSU_SV_EUlSU_E_NS1_11comp_targetILNS1_3genE0ELNS1_11target_archE4294967295ELNS1_3gpuE0ELNS1_3repE0EEENS1_30default_config_static_selectorELNS0_4arch9wavefront6targetE1EEEvT1_,@function
_ZN7rocprim17ROCPRIM_400000_NS6detail17trampoline_kernelINS0_14default_configENS1_27scan_by_key_config_selectorIxxEEZZNS1_16scan_by_key_implILNS1_25lookback_scan_determinismE0ELb0ES3_N6thrust23THRUST_200600_302600_NS6detail15normal_iteratorINS9_10device_ptrIxEEEESE_SE_xNS9_4plusIvEENS9_8equal_toIvEExEE10hipError_tPvRmT2_T3_T4_T5_mT6_T7_P12ihipStream_tbENKUlT_T0_E_clISt17integral_constantIbLb1EESY_IbLb0EEEEDaSU_SV_EUlSU_E_NS1_11comp_targetILNS1_3genE0ELNS1_11target_archE4294967295ELNS1_3gpuE0ELNS1_3repE0EEENS1_30default_config_static_selectorELNS0_4arch9wavefront6targetE1EEEvT1_: ; @_ZN7rocprim17ROCPRIM_400000_NS6detail17trampoline_kernelINS0_14default_configENS1_27scan_by_key_config_selectorIxxEEZZNS1_16scan_by_key_implILNS1_25lookback_scan_determinismE0ELb0ES3_N6thrust23THRUST_200600_302600_NS6detail15normal_iteratorINS9_10device_ptrIxEEEESE_SE_xNS9_4plusIvEENS9_8equal_toIvEExEE10hipError_tPvRmT2_T3_T4_T5_mT6_T7_P12ihipStream_tbENKUlT_T0_E_clISt17integral_constantIbLb1EESY_IbLb0EEEEDaSU_SV_EUlSU_E_NS1_11comp_targetILNS1_3genE0ELNS1_11target_archE4294967295ELNS1_3gpuE0ELNS1_3repE0EEENS1_30default_config_static_selectorELNS0_4arch9wavefront6targetE1EEEvT1_
; %bb.0:
	.section	.rodata,"a",@progbits
	.p2align	6, 0x0
	.amdhsa_kernel _ZN7rocprim17ROCPRIM_400000_NS6detail17trampoline_kernelINS0_14default_configENS1_27scan_by_key_config_selectorIxxEEZZNS1_16scan_by_key_implILNS1_25lookback_scan_determinismE0ELb0ES3_N6thrust23THRUST_200600_302600_NS6detail15normal_iteratorINS9_10device_ptrIxEEEESE_SE_xNS9_4plusIvEENS9_8equal_toIvEExEE10hipError_tPvRmT2_T3_T4_T5_mT6_T7_P12ihipStream_tbENKUlT_T0_E_clISt17integral_constantIbLb1EESY_IbLb0EEEEDaSU_SV_EUlSU_E_NS1_11comp_targetILNS1_3genE0ELNS1_11target_archE4294967295ELNS1_3gpuE0ELNS1_3repE0EEENS1_30default_config_static_selectorELNS0_4arch9wavefront6targetE1EEEvT1_
		.amdhsa_group_segment_fixed_size 0
		.amdhsa_private_segment_fixed_size 0
		.amdhsa_kernarg_size 136
		.amdhsa_user_sgpr_count 2
		.amdhsa_user_sgpr_dispatch_ptr 0
		.amdhsa_user_sgpr_queue_ptr 0
		.amdhsa_user_sgpr_kernarg_segment_ptr 1
		.amdhsa_user_sgpr_dispatch_id 0
		.amdhsa_user_sgpr_kernarg_preload_length 0
		.amdhsa_user_sgpr_kernarg_preload_offset 0
		.amdhsa_user_sgpr_private_segment_size 0
		.amdhsa_uses_dynamic_stack 0
		.amdhsa_enable_private_segment 0
		.amdhsa_system_sgpr_workgroup_id_x 1
		.amdhsa_system_sgpr_workgroup_id_y 0
		.amdhsa_system_sgpr_workgroup_id_z 0
		.amdhsa_system_sgpr_workgroup_info 0
		.amdhsa_system_vgpr_workitem_id 0
		.amdhsa_next_free_vgpr 1
		.amdhsa_next_free_sgpr 0
		.amdhsa_accum_offset 4
		.amdhsa_reserve_vcc 0
		.amdhsa_float_round_mode_32 0
		.amdhsa_float_round_mode_16_64 0
		.amdhsa_float_denorm_mode_32 3
		.amdhsa_float_denorm_mode_16_64 3
		.amdhsa_dx10_clamp 1
		.amdhsa_ieee_mode 1
		.amdhsa_fp16_overflow 0
		.amdhsa_tg_split 0
		.amdhsa_exception_fp_ieee_invalid_op 0
		.amdhsa_exception_fp_denorm_src 0
		.amdhsa_exception_fp_ieee_div_zero 0
		.amdhsa_exception_fp_ieee_overflow 0
		.amdhsa_exception_fp_ieee_underflow 0
		.amdhsa_exception_fp_ieee_inexact 0
		.amdhsa_exception_int_div_zero 0
	.end_amdhsa_kernel
	.section	.text._ZN7rocprim17ROCPRIM_400000_NS6detail17trampoline_kernelINS0_14default_configENS1_27scan_by_key_config_selectorIxxEEZZNS1_16scan_by_key_implILNS1_25lookback_scan_determinismE0ELb0ES3_N6thrust23THRUST_200600_302600_NS6detail15normal_iteratorINS9_10device_ptrIxEEEESE_SE_xNS9_4plusIvEENS9_8equal_toIvEExEE10hipError_tPvRmT2_T3_T4_T5_mT6_T7_P12ihipStream_tbENKUlT_T0_E_clISt17integral_constantIbLb1EESY_IbLb0EEEEDaSU_SV_EUlSU_E_NS1_11comp_targetILNS1_3genE0ELNS1_11target_archE4294967295ELNS1_3gpuE0ELNS1_3repE0EEENS1_30default_config_static_selectorELNS0_4arch9wavefront6targetE1EEEvT1_,"axG",@progbits,_ZN7rocprim17ROCPRIM_400000_NS6detail17trampoline_kernelINS0_14default_configENS1_27scan_by_key_config_selectorIxxEEZZNS1_16scan_by_key_implILNS1_25lookback_scan_determinismE0ELb0ES3_N6thrust23THRUST_200600_302600_NS6detail15normal_iteratorINS9_10device_ptrIxEEEESE_SE_xNS9_4plusIvEENS9_8equal_toIvEExEE10hipError_tPvRmT2_T3_T4_T5_mT6_T7_P12ihipStream_tbENKUlT_T0_E_clISt17integral_constantIbLb1EESY_IbLb0EEEEDaSU_SV_EUlSU_E_NS1_11comp_targetILNS1_3genE0ELNS1_11target_archE4294967295ELNS1_3gpuE0ELNS1_3repE0EEENS1_30default_config_static_selectorELNS0_4arch9wavefront6targetE1EEEvT1_,comdat
.Lfunc_end27:
	.size	_ZN7rocprim17ROCPRIM_400000_NS6detail17trampoline_kernelINS0_14default_configENS1_27scan_by_key_config_selectorIxxEEZZNS1_16scan_by_key_implILNS1_25lookback_scan_determinismE0ELb0ES3_N6thrust23THRUST_200600_302600_NS6detail15normal_iteratorINS9_10device_ptrIxEEEESE_SE_xNS9_4plusIvEENS9_8equal_toIvEExEE10hipError_tPvRmT2_T3_T4_T5_mT6_T7_P12ihipStream_tbENKUlT_T0_E_clISt17integral_constantIbLb1EESY_IbLb0EEEEDaSU_SV_EUlSU_E_NS1_11comp_targetILNS1_3genE0ELNS1_11target_archE4294967295ELNS1_3gpuE0ELNS1_3repE0EEENS1_30default_config_static_selectorELNS0_4arch9wavefront6targetE1EEEvT1_, .Lfunc_end27-_ZN7rocprim17ROCPRIM_400000_NS6detail17trampoline_kernelINS0_14default_configENS1_27scan_by_key_config_selectorIxxEEZZNS1_16scan_by_key_implILNS1_25lookback_scan_determinismE0ELb0ES3_N6thrust23THRUST_200600_302600_NS6detail15normal_iteratorINS9_10device_ptrIxEEEESE_SE_xNS9_4plusIvEENS9_8equal_toIvEExEE10hipError_tPvRmT2_T3_T4_T5_mT6_T7_P12ihipStream_tbENKUlT_T0_E_clISt17integral_constantIbLb1EESY_IbLb0EEEEDaSU_SV_EUlSU_E_NS1_11comp_targetILNS1_3genE0ELNS1_11target_archE4294967295ELNS1_3gpuE0ELNS1_3repE0EEENS1_30default_config_static_selectorELNS0_4arch9wavefront6targetE1EEEvT1_
                                        ; -- End function
	.section	.AMDGPU.csdata,"",@progbits
; Kernel info:
; codeLenInByte = 0
; NumSgprs: 6
; NumVgprs: 0
; NumAgprs: 0
; TotalNumVgprs: 0
; ScratchSize: 0
; MemoryBound: 0
; FloatMode: 240
; IeeeMode: 1
; LDSByteSize: 0 bytes/workgroup (compile time only)
; SGPRBlocks: 0
; VGPRBlocks: 0
; NumSGPRsForWavesPerEU: 6
; NumVGPRsForWavesPerEU: 1
; AccumOffset: 4
; Occupancy: 8
; WaveLimiterHint : 0
; COMPUTE_PGM_RSRC2:SCRATCH_EN: 0
; COMPUTE_PGM_RSRC2:USER_SGPR: 2
; COMPUTE_PGM_RSRC2:TRAP_HANDLER: 0
; COMPUTE_PGM_RSRC2:TGID_X_EN: 1
; COMPUTE_PGM_RSRC2:TGID_Y_EN: 0
; COMPUTE_PGM_RSRC2:TGID_Z_EN: 0
; COMPUTE_PGM_RSRC2:TIDIG_COMP_CNT: 0
; COMPUTE_PGM_RSRC3_GFX90A:ACCUM_OFFSET: 0
; COMPUTE_PGM_RSRC3_GFX90A:TG_SPLIT: 0
	.section	.text._ZN7rocprim17ROCPRIM_400000_NS6detail17trampoline_kernelINS0_14default_configENS1_27scan_by_key_config_selectorIxxEEZZNS1_16scan_by_key_implILNS1_25lookback_scan_determinismE0ELb0ES3_N6thrust23THRUST_200600_302600_NS6detail15normal_iteratorINS9_10device_ptrIxEEEESE_SE_xNS9_4plusIvEENS9_8equal_toIvEExEE10hipError_tPvRmT2_T3_T4_T5_mT6_T7_P12ihipStream_tbENKUlT_T0_E_clISt17integral_constantIbLb1EESY_IbLb0EEEEDaSU_SV_EUlSU_E_NS1_11comp_targetILNS1_3genE10ELNS1_11target_archE1201ELNS1_3gpuE5ELNS1_3repE0EEENS1_30default_config_static_selectorELNS0_4arch9wavefront6targetE1EEEvT1_,"axG",@progbits,_ZN7rocprim17ROCPRIM_400000_NS6detail17trampoline_kernelINS0_14default_configENS1_27scan_by_key_config_selectorIxxEEZZNS1_16scan_by_key_implILNS1_25lookback_scan_determinismE0ELb0ES3_N6thrust23THRUST_200600_302600_NS6detail15normal_iteratorINS9_10device_ptrIxEEEESE_SE_xNS9_4plusIvEENS9_8equal_toIvEExEE10hipError_tPvRmT2_T3_T4_T5_mT6_T7_P12ihipStream_tbENKUlT_T0_E_clISt17integral_constantIbLb1EESY_IbLb0EEEEDaSU_SV_EUlSU_E_NS1_11comp_targetILNS1_3genE10ELNS1_11target_archE1201ELNS1_3gpuE5ELNS1_3repE0EEENS1_30default_config_static_selectorELNS0_4arch9wavefront6targetE1EEEvT1_,comdat
	.protected	_ZN7rocprim17ROCPRIM_400000_NS6detail17trampoline_kernelINS0_14default_configENS1_27scan_by_key_config_selectorIxxEEZZNS1_16scan_by_key_implILNS1_25lookback_scan_determinismE0ELb0ES3_N6thrust23THRUST_200600_302600_NS6detail15normal_iteratorINS9_10device_ptrIxEEEESE_SE_xNS9_4plusIvEENS9_8equal_toIvEExEE10hipError_tPvRmT2_T3_T4_T5_mT6_T7_P12ihipStream_tbENKUlT_T0_E_clISt17integral_constantIbLb1EESY_IbLb0EEEEDaSU_SV_EUlSU_E_NS1_11comp_targetILNS1_3genE10ELNS1_11target_archE1201ELNS1_3gpuE5ELNS1_3repE0EEENS1_30default_config_static_selectorELNS0_4arch9wavefront6targetE1EEEvT1_ ; -- Begin function _ZN7rocprim17ROCPRIM_400000_NS6detail17trampoline_kernelINS0_14default_configENS1_27scan_by_key_config_selectorIxxEEZZNS1_16scan_by_key_implILNS1_25lookback_scan_determinismE0ELb0ES3_N6thrust23THRUST_200600_302600_NS6detail15normal_iteratorINS9_10device_ptrIxEEEESE_SE_xNS9_4plusIvEENS9_8equal_toIvEExEE10hipError_tPvRmT2_T3_T4_T5_mT6_T7_P12ihipStream_tbENKUlT_T0_E_clISt17integral_constantIbLb1EESY_IbLb0EEEEDaSU_SV_EUlSU_E_NS1_11comp_targetILNS1_3genE10ELNS1_11target_archE1201ELNS1_3gpuE5ELNS1_3repE0EEENS1_30default_config_static_selectorELNS0_4arch9wavefront6targetE1EEEvT1_
	.globl	_ZN7rocprim17ROCPRIM_400000_NS6detail17trampoline_kernelINS0_14default_configENS1_27scan_by_key_config_selectorIxxEEZZNS1_16scan_by_key_implILNS1_25lookback_scan_determinismE0ELb0ES3_N6thrust23THRUST_200600_302600_NS6detail15normal_iteratorINS9_10device_ptrIxEEEESE_SE_xNS9_4plusIvEENS9_8equal_toIvEExEE10hipError_tPvRmT2_T3_T4_T5_mT6_T7_P12ihipStream_tbENKUlT_T0_E_clISt17integral_constantIbLb1EESY_IbLb0EEEEDaSU_SV_EUlSU_E_NS1_11comp_targetILNS1_3genE10ELNS1_11target_archE1201ELNS1_3gpuE5ELNS1_3repE0EEENS1_30default_config_static_selectorELNS0_4arch9wavefront6targetE1EEEvT1_
	.p2align	8
	.type	_ZN7rocprim17ROCPRIM_400000_NS6detail17trampoline_kernelINS0_14default_configENS1_27scan_by_key_config_selectorIxxEEZZNS1_16scan_by_key_implILNS1_25lookback_scan_determinismE0ELb0ES3_N6thrust23THRUST_200600_302600_NS6detail15normal_iteratorINS9_10device_ptrIxEEEESE_SE_xNS9_4plusIvEENS9_8equal_toIvEExEE10hipError_tPvRmT2_T3_T4_T5_mT6_T7_P12ihipStream_tbENKUlT_T0_E_clISt17integral_constantIbLb1EESY_IbLb0EEEEDaSU_SV_EUlSU_E_NS1_11comp_targetILNS1_3genE10ELNS1_11target_archE1201ELNS1_3gpuE5ELNS1_3repE0EEENS1_30default_config_static_selectorELNS0_4arch9wavefront6targetE1EEEvT1_,@function
_ZN7rocprim17ROCPRIM_400000_NS6detail17trampoline_kernelINS0_14default_configENS1_27scan_by_key_config_selectorIxxEEZZNS1_16scan_by_key_implILNS1_25lookback_scan_determinismE0ELb0ES3_N6thrust23THRUST_200600_302600_NS6detail15normal_iteratorINS9_10device_ptrIxEEEESE_SE_xNS9_4plusIvEENS9_8equal_toIvEExEE10hipError_tPvRmT2_T3_T4_T5_mT6_T7_P12ihipStream_tbENKUlT_T0_E_clISt17integral_constantIbLb1EESY_IbLb0EEEEDaSU_SV_EUlSU_E_NS1_11comp_targetILNS1_3genE10ELNS1_11target_archE1201ELNS1_3gpuE5ELNS1_3repE0EEENS1_30default_config_static_selectorELNS0_4arch9wavefront6targetE1EEEvT1_: ; @_ZN7rocprim17ROCPRIM_400000_NS6detail17trampoline_kernelINS0_14default_configENS1_27scan_by_key_config_selectorIxxEEZZNS1_16scan_by_key_implILNS1_25lookback_scan_determinismE0ELb0ES3_N6thrust23THRUST_200600_302600_NS6detail15normal_iteratorINS9_10device_ptrIxEEEESE_SE_xNS9_4plusIvEENS9_8equal_toIvEExEE10hipError_tPvRmT2_T3_T4_T5_mT6_T7_P12ihipStream_tbENKUlT_T0_E_clISt17integral_constantIbLb1EESY_IbLb0EEEEDaSU_SV_EUlSU_E_NS1_11comp_targetILNS1_3genE10ELNS1_11target_archE1201ELNS1_3gpuE5ELNS1_3repE0EEENS1_30default_config_static_selectorELNS0_4arch9wavefront6targetE1EEEvT1_
; %bb.0:
	.section	.rodata,"a",@progbits
	.p2align	6, 0x0
	.amdhsa_kernel _ZN7rocprim17ROCPRIM_400000_NS6detail17trampoline_kernelINS0_14default_configENS1_27scan_by_key_config_selectorIxxEEZZNS1_16scan_by_key_implILNS1_25lookback_scan_determinismE0ELb0ES3_N6thrust23THRUST_200600_302600_NS6detail15normal_iteratorINS9_10device_ptrIxEEEESE_SE_xNS9_4plusIvEENS9_8equal_toIvEExEE10hipError_tPvRmT2_T3_T4_T5_mT6_T7_P12ihipStream_tbENKUlT_T0_E_clISt17integral_constantIbLb1EESY_IbLb0EEEEDaSU_SV_EUlSU_E_NS1_11comp_targetILNS1_3genE10ELNS1_11target_archE1201ELNS1_3gpuE5ELNS1_3repE0EEENS1_30default_config_static_selectorELNS0_4arch9wavefront6targetE1EEEvT1_
		.amdhsa_group_segment_fixed_size 0
		.amdhsa_private_segment_fixed_size 0
		.amdhsa_kernarg_size 136
		.amdhsa_user_sgpr_count 2
		.amdhsa_user_sgpr_dispatch_ptr 0
		.amdhsa_user_sgpr_queue_ptr 0
		.amdhsa_user_sgpr_kernarg_segment_ptr 1
		.amdhsa_user_sgpr_dispatch_id 0
		.amdhsa_user_sgpr_kernarg_preload_length 0
		.amdhsa_user_sgpr_kernarg_preload_offset 0
		.amdhsa_user_sgpr_private_segment_size 0
		.amdhsa_uses_dynamic_stack 0
		.amdhsa_enable_private_segment 0
		.amdhsa_system_sgpr_workgroup_id_x 1
		.amdhsa_system_sgpr_workgroup_id_y 0
		.amdhsa_system_sgpr_workgroup_id_z 0
		.amdhsa_system_sgpr_workgroup_info 0
		.amdhsa_system_vgpr_workitem_id 0
		.amdhsa_next_free_vgpr 1
		.amdhsa_next_free_sgpr 0
		.amdhsa_accum_offset 4
		.amdhsa_reserve_vcc 0
		.amdhsa_float_round_mode_32 0
		.amdhsa_float_round_mode_16_64 0
		.amdhsa_float_denorm_mode_32 3
		.amdhsa_float_denorm_mode_16_64 3
		.amdhsa_dx10_clamp 1
		.amdhsa_ieee_mode 1
		.amdhsa_fp16_overflow 0
		.amdhsa_tg_split 0
		.amdhsa_exception_fp_ieee_invalid_op 0
		.amdhsa_exception_fp_denorm_src 0
		.amdhsa_exception_fp_ieee_div_zero 0
		.amdhsa_exception_fp_ieee_overflow 0
		.amdhsa_exception_fp_ieee_underflow 0
		.amdhsa_exception_fp_ieee_inexact 0
		.amdhsa_exception_int_div_zero 0
	.end_amdhsa_kernel
	.section	.text._ZN7rocprim17ROCPRIM_400000_NS6detail17trampoline_kernelINS0_14default_configENS1_27scan_by_key_config_selectorIxxEEZZNS1_16scan_by_key_implILNS1_25lookback_scan_determinismE0ELb0ES3_N6thrust23THRUST_200600_302600_NS6detail15normal_iteratorINS9_10device_ptrIxEEEESE_SE_xNS9_4plusIvEENS9_8equal_toIvEExEE10hipError_tPvRmT2_T3_T4_T5_mT6_T7_P12ihipStream_tbENKUlT_T0_E_clISt17integral_constantIbLb1EESY_IbLb0EEEEDaSU_SV_EUlSU_E_NS1_11comp_targetILNS1_3genE10ELNS1_11target_archE1201ELNS1_3gpuE5ELNS1_3repE0EEENS1_30default_config_static_selectorELNS0_4arch9wavefront6targetE1EEEvT1_,"axG",@progbits,_ZN7rocprim17ROCPRIM_400000_NS6detail17trampoline_kernelINS0_14default_configENS1_27scan_by_key_config_selectorIxxEEZZNS1_16scan_by_key_implILNS1_25lookback_scan_determinismE0ELb0ES3_N6thrust23THRUST_200600_302600_NS6detail15normal_iteratorINS9_10device_ptrIxEEEESE_SE_xNS9_4plusIvEENS9_8equal_toIvEExEE10hipError_tPvRmT2_T3_T4_T5_mT6_T7_P12ihipStream_tbENKUlT_T0_E_clISt17integral_constantIbLb1EESY_IbLb0EEEEDaSU_SV_EUlSU_E_NS1_11comp_targetILNS1_3genE10ELNS1_11target_archE1201ELNS1_3gpuE5ELNS1_3repE0EEENS1_30default_config_static_selectorELNS0_4arch9wavefront6targetE1EEEvT1_,comdat
.Lfunc_end28:
	.size	_ZN7rocprim17ROCPRIM_400000_NS6detail17trampoline_kernelINS0_14default_configENS1_27scan_by_key_config_selectorIxxEEZZNS1_16scan_by_key_implILNS1_25lookback_scan_determinismE0ELb0ES3_N6thrust23THRUST_200600_302600_NS6detail15normal_iteratorINS9_10device_ptrIxEEEESE_SE_xNS9_4plusIvEENS9_8equal_toIvEExEE10hipError_tPvRmT2_T3_T4_T5_mT6_T7_P12ihipStream_tbENKUlT_T0_E_clISt17integral_constantIbLb1EESY_IbLb0EEEEDaSU_SV_EUlSU_E_NS1_11comp_targetILNS1_3genE10ELNS1_11target_archE1201ELNS1_3gpuE5ELNS1_3repE0EEENS1_30default_config_static_selectorELNS0_4arch9wavefront6targetE1EEEvT1_, .Lfunc_end28-_ZN7rocprim17ROCPRIM_400000_NS6detail17trampoline_kernelINS0_14default_configENS1_27scan_by_key_config_selectorIxxEEZZNS1_16scan_by_key_implILNS1_25lookback_scan_determinismE0ELb0ES3_N6thrust23THRUST_200600_302600_NS6detail15normal_iteratorINS9_10device_ptrIxEEEESE_SE_xNS9_4plusIvEENS9_8equal_toIvEExEE10hipError_tPvRmT2_T3_T4_T5_mT6_T7_P12ihipStream_tbENKUlT_T0_E_clISt17integral_constantIbLb1EESY_IbLb0EEEEDaSU_SV_EUlSU_E_NS1_11comp_targetILNS1_3genE10ELNS1_11target_archE1201ELNS1_3gpuE5ELNS1_3repE0EEENS1_30default_config_static_selectorELNS0_4arch9wavefront6targetE1EEEvT1_
                                        ; -- End function
	.section	.AMDGPU.csdata,"",@progbits
; Kernel info:
; codeLenInByte = 0
; NumSgprs: 6
; NumVgprs: 0
; NumAgprs: 0
; TotalNumVgprs: 0
; ScratchSize: 0
; MemoryBound: 0
; FloatMode: 240
; IeeeMode: 1
; LDSByteSize: 0 bytes/workgroup (compile time only)
; SGPRBlocks: 0
; VGPRBlocks: 0
; NumSGPRsForWavesPerEU: 6
; NumVGPRsForWavesPerEU: 1
; AccumOffset: 4
; Occupancy: 8
; WaveLimiterHint : 0
; COMPUTE_PGM_RSRC2:SCRATCH_EN: 0
; COMPUTE_PGM_RSRC2:USER_SGPR: 2
; COMPUTE_PGM_RSRC2:TRAP_HANDLER: 0
; COMPUTE_PGM_RSRC2:TGID_X_EN: 1
; COMPUTE_PGM_RSRC2:TGID_Y_EN: 0
; COMPUTE_PGM_RSRC2:TGID_Z_EN: 0
; COMPUTE_PGM_RSRC2:TIDIG_COMP_CNT: 0
; COMPUTE_PGM_RSRC3_GFX90A:ACCUM_OFFSET: 0
; COMPUTE_PGM_RSRC3_GFX90A:TG_SPLIT: 0
	.section	.text._ZN7rocprim17ROCPRIM_400000_NS6detail17trampoline_kernelINS0_14default_configENS1_27scan_by_key_config_selectorIxxEEZZNS1_16scan_by_key_implILNS1_25lookback_scan_determinismE0ELb0ES3_N6thrust23THRUST_200600_302600_NS6detail15normal_iteratorINS9_10device_ptrIxEEEESE_SE_xNS9_4plusIvEENS9_8equal_toIvEExEE10hipError_tPvRmT2_T3_T4_T5_mT6_T7_P12ihipStream_tbENKUlT_T0_E_clISt17integral_constantIbLb1EESY_IbLb0EEEEDaSU_SV_EUlSU_E_NS1_11comp_targetILNS1_3genE5ELNS1_11target_archE942ELNS1_3gpuE9ELNS1_3repE0EEENS1_30default_config_static_selectorELNS0_4arch9wavefront6targetE1EEEvT1_,"axG",@progbits,_ZN7rocprim17ROCPRIM_400000_NS6detail17trampoline_kernelINS0_14default_configENS1_27scan_by_key_config_selectorIxxEEZZNS1_16scan_by_key_implILNS1_25lookback_scan_determinismE0ELb0ES3_N6thrust23THRUST_200600_302600_NS6detail15normal_iteratorINS9_10device_ptrIxEEEESE_SE_xNS9_4plusIvEENS9_8equal_toIvEExEE10hipError_tPvRmT2_T3_T4_T5_mT6_T7_P12ihipStream_tbENKUlT_T0_E_clISt17integral_constantIbLb1EESY_IbLb0EEEEDaSU_SV_EUlSU_E_NS1_11comp_targetILNS1_3genE5ELNS1_11target_archE942ELNS1_3gpuE9ELNS1_3repE0EEENS1_30default_config_static_selectorELNS0_4arch9wavefront6targetE1EEEvT1_,comdat
	.protected	_ZN7rocprim17ROCPRIM_400000_NS6detail17trampoline_kernelINS0_14default_configENS1_27scan_by_key_config_selectorIxxEEZZNS1_16scan_by_key_implILNS1_25lookback_scan_determinismE0ELb0ES3_N6thrust23THRUST_200600_302600_NS6detail15normal_iteratorINS9_10device_ptrIxEEEESE_SE_xNS9_4plusIvEENS9_8equal_toIvEExEE10hipError_tPvRmT2_T3_T4_T5_mT6_T7_P12ihipStream_tbENKUlT_T0_E_clISt17integral_constantIbLb1EESY_IbLb0EEEEDaSU_SV_EUlSU_E_NS1_11comp_targetILNS1_3genE5ELNS1_11target_archE942ELNS1_3gpuE9ELNS1_3repE0EEENS1_30default_config_static_selectorELNS0_4arch9wavefront6targetE1EEEvT1_ ; -- Begin function _ZN7rocprim17ROCPRIM_400000_NS6detail17trampoline_kernelINS0_14default_configENS1_27scan_by_key_config_selectorIxxEEZZNS1_16scan_by_key_implILNS1_25lookback_scan_determinismE0ELb0ES3_N6thrust23THRUST_200600_302600_NS6detail15normal_iteratorINS9_10device_ptrIxEEEESE_SE_xNS9_4plusIvEENS9_8equal_toIvEExEE10hipError_tPvRmT2_T3_T4_T5_mT6_T7_P12ihipStream_tbENKUlT_T0_E_clISt17integral_constantIbLb1EESY_IbLb0EEEEDaSU_SV_EUlSU_E_NS1_11comp_targetILNS1_3genE5ELNS1_11target_archE942ELNS1_3gpuE9ELNS1_3repE0EEENS1_30default_config_static_selectorELNS0_4arch9wavefront6targetE1EEEvT1_
	.globl	_ZN7rocprim17ROCPRIM_400000_NS6detail17trampoline_kernelINS0_14default_configENS1_27scan_by_key_config_selectorIxxEEZZNS1_16scan_by_key_implILNS1_25lookback_scan_determinismE0ELb0ES3_N6thrust23THRUST_200600_302600_NS6detail15normal_iteratorINS9_10device_ptrIxEEEESE_SE_xNS9_4plusIvEENS9_8equal_toIvEExEE10hipError_tPvRmT2_T3_T4_T5_mT6_T7_P12ihipStream_tbENKUlT_T0_E_clISt17integral_constantIbLb1EESY_IbLb0EEEEDaSU_SV_EUlSU_E_NS1_11comp_targetILNS1_3genE5ELNS1_11target_archE942ELNS1_3gpuE9ELNS1_3repE0EEENS1_30default_config_static_selectorELNS0_4arch9wavefront6targetE1EEEvT1_
	.p2align	8
	.type	_ZN7rocprim17ROCPRIM_400000_NS6detail17trampoline_kernelINS0_14default_configENS1_27scan_by_key_config_selectorIxxEEZZNS1_16scan_by_key_implILNS1_25lookback_scan_determinismE0ELb0ES3_N6thrust23THRUST_200600_302600_NS6detail15normal_iteratorINS9_10device_ptrIxEEEESE_SE_xNS9_4plusIvEENS9_8equal_toIvEExEE10hipError_tPvRmT2_T3_T4_T5_mT6_T7_P12ihipStream_tbENKUlT_T0_E_clISt17integral_constantIbLb1EESY_IbLb0EEEEDaSU_SV_EUlSU_E_NS1_11comp_targetILNS1_3genE5ELNS1_11target_archE942ELNS1_3gpuE9ELNS1_3repE0EEENS1_30default_config_static_selectorELNS0_4arch9wavefront6targetE1EEEvT1_,@function
_ZN7rocprim17ROCPRIM_400000_NS6detail17trampoline_kernelINS0_14default_configENS1_27scan_by_key_config_selectorIxxEEZZNS1_16scan_by_key_implILNS1_25lookback_scan_determinismE0ELb0ES3_N6thrust23THRUST_200600_302600_NS6detail15normal_iteratorINS9_10device_ptrIxEEEESE_SE_xNS9_4plusIvEENS9_8equal_toIvEExEE10hipError_tPvRmT2_T3_T4_T5_mT6_T7_P12ihipStream_tbENKUlT_T0_E_clISt17integral_constantIbLb1EESY_IbLb0EEEEDaSU_SV_EUlSU_E_NS1_11comp_targetILNS1_3genE5ELNS1_11target_archE942ELNS1_3gpuE9ELNS1_3repE0EEENS1_30default_config_static_selectorELNS0_4arch9wavefront6targetE1EEEvT1_: ; @_ZN7rocprim17ROCPRIM_400000_NS6detail17trampoline_kernelINS0_14default_configENS1_27scan_by_key_config_selectorIxxEEZZNS1_16scan_by_key_implILNS1_25lookback_scan_determinismE0ELb0ES3_N6thrust23THRUST_200600_302600_NS6detail15normal_iteratorINS9_10device_ptrIxEEEESE_SE_xNS9_4plusIvEENS9_8equal_toIvEExEE10hipError_tPvRmT2_T3_T4_T5_mT6_T7_P12ihipStream_tbENKUlT_T0_E_clISt17integral_constantIbLb1EESY_IbLb0EEEEDaSU_SV_EUlSU_E_NS1_11comp_targetILNS1_3genE5ELNS1_11target_archE942ELNS1_3gpuE9ELNS1_3repE0EEENS1_30default_config_static_selectorELNS0_4arch9wavefront6targetE1EEEvT1_
; %bb.0:
	s_load_dwordx8 s[44:51], s[0:1], 0x0
	s_load_dwordx8 s[36:43], s[0:1], 0x30
	s_load_dwordx2 s[60:61], s[0:1], 0x50
	s_load_dword s3, s[0:1], 0x58
	s_load_dwordx8 s[52:59], s[0:1], 0x60
	s_waitcnt lgkmcnt(0)
	s_lshl_b64 s[46:47], s[46:47], 3
	s_add_u32 s4, s44, s46
	s_addc_u32 s5, s45, s47
	s_add_u32 s6, s48, s46
	s_mul_i32 s0, s61, s3
	s_mul_hi_u32 s1, s60, s3
	s_addc_u32 s7, s49, s47
	s_add_i32 s8, s1, s0
	s_cmp_lg_u64 s[56:57], 0
	s_mul_i32 s0, s2, 0xe00
	s_mov_b32 s1, 0
	s_cselect_b64 s[56:57], -1, 0
	s_lshl_b64 s[44:45], s[0:1], 3
	s_add_u32 s48, s4, s44
	s_addc_u32 s49, s5, s45
	s_add_u32 s34, s6, s44
	s_mul_i32 s3, s60, s3
	s_addc_u32 s35, s7, s45
	s_add_u32 s62, s3, s2
	s_addc_u32 s63, s8, 0
	s_add_u32 s4, s52, -1
	s_addc_u32 s5, s53, -1
	v_mov_b64_e32 v[2:3], s[4:5]
	v_cmp_ge_u64_e64 s[0:1], s[62:63], v[2:3]
	s_mov_b64 s[10:11], 0
	s_mov_b64 s[6:7], -1
	s_and_b64 vcc, exec, s[0:1]
	s_mul_i32 s33, s4, 0xfffff200
	s_barrier
	s_cbranch_vccz .LBB29_77
; %bb.1:
	v_mov_b64_e32 v[2:3], s[48:49]
	flat_load_dwordx2 v[4:5], v[2:3]
	s_add_i32 s43, s33, s42
	v_cmp_gt_u32_e64 s[30:31], s43, v0
	s_waitcnt vmcnt(0) lgkmcnt(0)
	v_mov_b64_e32 v[6:7], v[4:5]
	s_and_saveexec_b64 s[4:5], s[30:31]
	s_cbranch_execz .LBB29_3
; %bb.2:
	v_lshlrev_b32_e32 v2, 3, v0
	v_mov_b32_e32 v3, 0
	v_lshl_add_u64 v[2:3], s[48:49], 0, v[2:3]
	flat_load_dwordx2 v[6:7], v[2:3]
.LBB29_3:
	s_or_b64 exec, exec, s[4:5]
	v_or_b32_e32 v1, 0x100, v0
	v_cmp_gt_u32_e64 s[4:5], s43, v1
	v_mov_b64_e32 v[8:9], v[4:5]
	s_and_saveexec_b64 s[6:7], s[4:5]
	s_cbranch_execz .LBB29_5
; %bb.4:
	v_lshlrev_b32_e32 v2, 3, v0
	v_mov_b32_e32 v3, 0
	v_lshl_add_u64 v[2:3], s[48:49], 0, v[2:3]
	flat_load_dwordx2 v[8:9], v[2:3] offset:2048
.LBB29_5:
	s_or_b64 exec, exec, s[6:7]
	v_or_b32_e32 v1, 0x200, v0
	v_cmp_gt_u32_e64 s[6:7], s43, v1
	v_mov_b64_e32 v[10:11], v[4:5]
	s_and_saveexec_b64 s[8:9], s[6:7]
	s_cbranch_execz .LBB29_7
; %bb.6:
	v_lshlrev_b32_e32 v2, 3, v1
	v_mov_b32_e32 v3, 0
	v_lshl_add_u64 v[2:3], s[48:49], 0, v[2:3]
	flat_load_dwordx2 v[10:11], v[2:3]
.LBB29_7:
	s_or_b64 exec, exec, s[8:9]
	v_or_b32_e32 v32, 0x300, v0
	v_cmp_gt_u32_e64 s[8:9], s43, v32
	v_mov_b64_e32 v[12:13], v[4:5]
	s_and_saveexec_b64 s[10:11], s[8:9]
	s_cbranch_execz .LBB29_9
; %bb.8:
	v_lshlrev_b32_e32 v2, 3, v32
	v_mov_b32_e32 v3, 0
	v_lshl_add_u64 v[2:3], s[48:49], 0, v[2:3]
	flat_load_dwordx2 v[12:13], v[2:3]
.LBB29_9:
	;; [unrolled: 12-line block ×11, first 2 shown]
	s_or_b64 exec, exec, s[28:29]
	v_or_b32_e32 v43, 0xd00, v0
	v_cmp_gt_u32_e64 s[28:29], s43, v43
	s_and_saveexec_b64 s[52:53], s[28:29]
	s_cbranch_execz .LBB29_29
; %bb.28:
	v_lshlrev_b32_e32 v2, 3, v43
	v_mov_b32_e32 v3, 0
	v_lshl_add_u64 v[2:3], s[48:49], 0, v[2:3]
	flat_load_dwordx2 v[4:5], v[2:3]
.LBB29_29:
	s_or_b64 exec, exec, s[52:53]
	v_lshlrev_b32_e32 v2, 3, v0
	s_movk_i32 s3, 0x68
	v_mad_u32_u24 v36, v0, s3, v2
	s_waitcnt vmcnt(0) lgkmcnt(0)
	ds_write2st64_b64 v2, v[6:7], v[8:9] offset1:4
	ds_write2st64_b64 v2, v[10:11], v[12:13] offset0:8 offset1:12
	ds_write2st64_b64 v2, v[14:15], v[16:17] offset0:16 offset1:20
	;; [unrolled: 1-line block ×6, first 2 shown]
	s_waitcnt lgkmcnt(0)
	s_barrier
	ds_read_b128 v[74:77], v36
	ds_read_b128 v[70:73], v36 offset:16
	ds_read_b128 v[66:69], v36 offset:32
	ds_read_b128 v[62:65], v36 offset:48
	ds_read_b128 v[48:51], v36 offset:64
	ds_read_b128 v[54:57], v36 offset:80
	ds_read_b128 v[58:61], v36 offset:96
	s_cmp_eq_u64 s[62:63], 0
	s_mov_b64 s[52:53], s[48:49]
	s_cbranch_scc1 .LBB29_33
; %bb.30:
	s_andn2_b64 vcc, exec, s[56:57]
	s_cbranch_vccnz .LBB29_235
; %bb.31:
	s_lshl_b64 s[52:53], s[62:63], 3
	s_add_u32 s3, s58, s52
	s_addc_u32 s53, s59, s53
	s_add_u32 s52, s3, -8
	s_addc_u32 s53, s53, -1
	s_cbranch_execnz .LBB29_33
.LBB29_32:
	s_add_u32 s52, s48, -8
	s_addc_u32 s53, s49, -1
.LBB29_33:
	v_mov_b64_e32 v[4:5], s[52:53]
	flat_load_dwordx2 v[4:5], v[4:5]
	s_movk_i32 s3, 0xff98
	v_mad_i32_i24 v3, v0, s3, v36
	v_cmp_ne_u32_e32 vcc, 0, v0
	s_waitcnt lgkmcnt(0)
	ds_write_b64 v3, v[60:61] offset:28672
	s_waitcnt lgkmcnt(0)
	s_barrier
	s_and_saveexec_b64 s[52:53], vcc
	s_cbranch_execz .LBB29_35
; %bb.34:
	v_mul_i32_i24_e32 v3, 0xffffff98, v0
	v_add_u32_e32 v3, v36, v3
	s_waitcnt vmcnt(0)
	ds_read_b64 v[4:5], v3 offset:28664
.LBB29_35:
	s_or_b64 exec, exec, s[52:53]
	v_mov_b32_e32 v3, 0
	s_waitcnt lgkmcnt(0)
	s_barrier
	s_waitcnt lgkmcnt(0)
                                        ; implicit-def: $vgpr6_vgpr7
	s_and_saveexec_b64 s[52:53], s[30:31]
	s_cbranch_execnz .LBB29_222
; %bb.36:
	s_or_b64 exec, exec, s[52:53]
                                        ; implicit-def: $vgpr8_vgpr9
	s_and_saveexec_b64 s[30:31], s[4:5]
	s_cbranch_execnz .LBB29_223
.LBB29_37:
	s_or_b64 exec, exec, s[30:31]
                                        ; implicit-def: $vgpr10_vgpr11
	s_and_saveexec_b64 s[4:5], s[6:7]
	s_cbranch_execnz .LBB29_224
.LBB29_38:
	s_or_b64 exec, exec, s[4:5]
                                        ; implicit-def: $vgpr12_vgpr13
	s_and_saveexec_b64 s[4:5], s[8:9]
	s_cbranch_execnz .LBB29_225
.LBB29_39:
	s_or_b64 exec, exec, s[4:5]
                                        ; implicit-def: $vgpr14_vgpr15
	s_and_saveexec_b64 s[4:5], s[10:11]
	s_cbranch_execnz .LBB29_226
.LBB29_40:
	s_or_b64 exec, exec, s[4:5]
                                        ; implicit-def: $vgpr16_vgpr17
	s_and_saveexec_b64 s[4:5], s[12:13]
	s_cbranch_execnz .LBB29_227
.LBB29_41:
	s_or_b64 exec, exec, s[4:5]
                                        ; implicit-def: $vgpr18_vgpr19
	s_and_saveexec_b64 s[4:5], s[14:15]
	s_cbranch_execnz .LBB29_228
.LBB29_42:
	s_or_b64 exec, exec, s[4:5]
                                        ; implicit-def: $vgpr20_vgpr21
	s_and_saveexec_b64 s[4:5], s[16:17]
	s_cbranch_execnz .LBB29_229
.LBB29_43:
	s_or_b64 exec, exec, s[4:5]
                                        ; implicit-def: $vgpr22_vgpr23
	s_and_saveexec_b64 s[4:5], s[18:19]
	s_cbranch_execnz .LBB29_230
.LBB29_44:
	s_or_b64 exec, exec, s[4:5]
                                        ; implicit-def: $vgpr24_vgpr25
	s_and_saveexec_b64 s[4:5], s[20:21]
	s_cbranch_execnz .LBB29_231
.LBB29_45:
	s_or_b64 exec, exec, s[4:5]
                                        ; implicit-def: $vgpr26_vgpr27
	s_and_saveexec_b64 s[4:5], s[22:23]
	s_cbranch_execnz .LBB29_232
.LBB29_46:
	s_or_b64 exec, exec, s[4:5]
                                        ; implicit-def: $vgpr28_vgpr29
	s_and_saveexec_b64 s[4:5], s[24:25]
	s_cbranch_execnz .LBB29_233
.LBB29_47:
	s_or_b64 exec, exec, s[4:5]
                                        ; implicit-def: $vgpr30_vgpr31
	s_and_saveexec_b64 s[4:5], s[26:27]
	s_cbranch_execnz .LBB29_234
.LBB29_48:
	s_or_b64 exec, exec, s[4:5]
                                        ; implicit-def: $vgpr32_vgpr33
	s_and_saveexec_b64 s[4:5], s[28:29]
	s_cbranch_execz .LBB29_50
.LBB29_49:
	v_lshlrev_b32_e32 v32, 3, v43
	v_mov_b32_e32 v33, 0
	v_lshl_add_u64 v[32:33], s[34:35], 0, v[32:33]
	flat_load_dwordx2 v[32:33], v[32:33]
.LBB29_50:
	s_or_b64 exec, exec, s[4:5]
	v_mul_u32_u24_e32 v37, 14, v0
	v_mov_b64_e32 v[78:79], 0
	s_waitcnt vmcnt(0) lgkmcnt(0)
	ds_write2st64_b64 v2, v[6:7], v[8:9] offset1:4
	ds_write2st64_b64 v2, v[10:11], v[12:13] offset0:8 offset1:12
	ds_write2st64_b64 v2, v[14:15], v[16:17] offset0:16 offset1:20
	;; [unrolled: 1-line block ×6, first 2 shown]
	v_cmp_gt_u32_e32 vcc, s43, v37
	s_mov_b64 s[10:11], 0
	s_mov_b64 s[6:7], 0
	s_mov_b32 s3, 0
	v_mov_b32_e32 v80, 0
	v_mov_b32_e32 v91, 0
	v_mov_b64_e32 v[46:47], v[78:79]
	v_mov_b32_e32 v90, 0
	v_mov_b64_e32 v[34:35], v[78:79]
	;; [unrolled: 2-line block ×12, first 2 shown]
	s_waitcnt lgkmcnt(0)
	s_barrier
	s_waitcnt lgkmcnt(0)
                                        ; implicit-def: $sgpr4_sgpr5
                                        ; implicit-def: $vgpr52_vgpr53
	s_and_saveexec_b64 s[8:9], vcc
	s_cbranch_execz .LBB29_76
; %bb.51:
	ds_read_b64 v[2:3], v36
	v_cmp_ne_u64_e32 vcc, v[4:5], v[74:75]
	v_or_b32_e32 v4, 1, v37
	v_mov_b64_e32 v[78:79], 0
	v_cndmask_b32_e64 v1, 0, 1, vcc
	v_cmp_gt_u32_e32 vcc, s43, v4
	s_mov_b64 s[12:13], 0
	s_mov_b64 s[4:5], 0
	v_mov_b32_e32 v80, 0
	v_mov_b32_e32 v91, 0
	v_mov_b64_e32 v[46:47], v[78:79]
	v_mov_b32_e32 v90, 0
	v_mov_b64_e32 v[34:35], v[78:79]
	;; [unrolled: 2-line block ×11, first 2 shown]
                                        ; implicit-def: $sgpr14_sgpr15
                                        ; implicit-def: $vgpr52_vgpr53
	s_and_saveexec_b64 s[10:11], vcc
	s_cbranch_execz .LBB29_75
; %bb.52:
	ds_read2_b64 v[14:17], v36 offset0:1 offset1:2
	v_cmp_ne_u64_e32 vcc, v[74:75], v[76:77]
	v_add_u32_e32 v4, 2, v37
	v_mov_b64_e32 v[78:79], 0
	v_cndmask_b32_e64 v82, 0, 1, vcc
	v_cmp_gt_u32_e32 vcc, s43, v4
	s_mov_b64 s[16:17], 0
	v_mov_b32_e32 v80, 0
	v_mov_b32_e32 v91, 0
	v_mov_b64_e32 v[46:47], v[78:79]
	v_mov_b32_e32 v90, 0
	v_mov_b64_e32 v[34:35], v[78:79]
	;; [unrolled: 2-line block ×10, first 2 shown]
                                        ; implicit-def: $sgpr14_sgpr15
                                        ; implicit-def: $vgpr52_vgpr53
	s_and_saveexec_b64 s[12:13], vcc
	s_cbranch_execz .LBB29_74
; %bb.53:
	v_cmp_ne_u64_e32 vcc, v[76:77], v[70:71]
	v_add_u32_e32 v4, 3, v37
	v_mov_b64_e32 v[78:79], 0
	s_waitcnt lgkmcnt(0)
	v_mov_b32_e32 v6, v16
	v_mov_b32_e32 v7, v17
	v_cndmask_b32_e64 v81, 0, 1, vcc
	v_cmp_gt_u32_e32 vcc, s43, v4
	v_mov_b32_e32 v80, 0
	v_mov_b32_e32 v91, 0
	v_mov_b64_e32 v[46:47], v[78:79]
	v_mov_b32_e32 v90, 0
	v_mov_b64_e32 v[34:35], v[78:79]
	;; [unrolled: 2-line block ×9, first 2 shown]
                                        ; implicit-def: $sgpr18_sgpr19
                                        ; implicit-def: $vgpr52_vgpr53
	s_and_saveexec_b64 s[14:15], vcc
	s_cbranch_execz .LBB29_73
; %bb.54:
	ds_read2_b64 v[22:25], v36 offset0:3 offset1:4
	v_cmp_ne_u64_e32 vcc, v[70:71], v[72:73]
	v_add_u32_e32 v4, 4, v37
	v_mov_b64_e32 v[78:79], 0
	v_cndmask_b32_e64 v83, 0, 1, vcc
	v_cmp_gt_u32_e32 vcc, s43, v4
	s_mov_b64 s[20:21], 0
	v_mov_b32_e32 v80, 0
	v_mov_b32_e32 v91, 0
	v_mov_b64_e32 v[46:47], v[78:79]
	v_mov_b32_e32 v90, 0
	v_mov_b64_e32 v[34:35], v[78:79]
	;; [unrolled: 2-line block ×8, first 2 shown]
                                        ; implicit-def: $sgpr18_sgpr19
                                        ; implicit-def: $vgpr52_vgpr53
	s_and_saveexec_b64 s[16:17], vcc
	s_cbranch_execz .LBB29_72
; %bb.55:
	v_cmp_ne_u64_e32 vcc, v[72:73], v[66:67]
	v_add_u32_e32 v4, 5, v37
	v_mov_b64_e32 v[78:79], 0
	s_waitcnt lgkmcnt(0)
	v_mov_b32_e32 v10, v24
	v_mov_b32_e32 v11, v25
	v_cndmask_b32_e64 v84, 0, 1, vcc
	v_cmp_gt_u32_e32 vcc, s43, v4
	v_mov_b32_e32 v80, 0
	v_mov_b32_e32 v91, 0
	v_mov_b64_e32 v[46:47], v[78:79]
	v_mov_b32_e32 v90, 0
	v_mov_b64_e32 v[34:35], v[78:79]
	;; [unrolled: 2-line block ×7, first 2 shown]
                                        ; implicit-def: $sgpr22_sgpr23
                                        ; implicit-def: $vgpr52_vgpr53
	s_and_saveexec_b64 s[18:19], vcc
	s_cbranch_execz .LBB29_71
; %bb.56:
	ds_read2_b64 v[30:33], v36 offset0:5 offset1:6
	v_cmp_ne_u64_e32 vcc, v[66:67], v[68:69]
	v_add_u32_e32 v4, 6, v37
	v_mov_b64_e32 v[78:79], 0
	v_cndmask_b32_e64 v85, 0, 1, vcc
	v_cmp_gt_u32_e32 vcc, s43, v4
	s_mov_b64 s[24:25], 0
	v_mov_b32_e32 v80, 0
	v_mov_b32_e32 v91, 0
	v_mov_b64_e32 v[46:47], v[78:79]
	v_mov_b32_e32 v90, 0
	v_mov_b64_e32 v[34:35], v[78:79]
	;; [unrolled: 2-line block ×6, first 2 shown]
                                        ; implicit-def: $sgpr22_sgpr23
                                        ; implicit-def: $vgpr52_vgpr53
	s_and_saveexec_b64 s[20:21], vcc
	s_cbranch_execz .LBB29_70
; %bb.57:
	v_cmp_ne_u64_e32 vcc, v[68:69], v[62:63]
	v_add_u32_e32 v4, 7, v37
	v_mov_b64_e32 v[78:79], 0
	s_waitcnt lgkmcnt(0)
	v_mov_b32_e32 v18, v32
	v_mov_b32_e32 v19, v33
	v_cndmask_b32_e64 v86, 0, 1, vcc
	v_cmp_gt_u32_e32 vcc, s43, v4
	v_mov_b32_e32 v80, 0
	v_mov_b32_e32 v91, 0
	v_mov_b64_e32 v[46:47], v[78:79]
	v_mov_b32_e32 v90, 0
	v_mov_b64_e32 v[34:35], v[78:79]
	;; [unrolled: 2-line block ×5, first 2 shown]
                                        ; implicit-def: $sgpr26_sgpr27
                                        ; implicit-def: $vgpr52_vgpr53
	s_and_saveexec_b64 s[22:23], vcc
	s_cbranch_execz .LBB29_69
; %bb.58:
	ds_read2_b64 v[38:41], v36 offset0:7 offset1:8
	v_cmp_ne_u64_e32 vcc, v[62:63], v[64:65]
	v_add_u32_e32 v4, 8, v37
	v_mov_b64_e32 v[78:79], 0
	v_cndmask_b32_e64 v87, 0, 1, vcc
	v_cmp_gt_u32_e32 vcc, s43, v4
	s_mov_b64 s[28:29], 0
	v_mov_b32_e32 v80, 0
	v_mov_b32_e32 v91, 0
	v_mov_b64_e32 v[46:47], v[78:79]
	v_mov_b32_e32 v90, 0
	v_mov_b64_e32 v[34:35], v[78:79]
	;; [unrolled: 2-line block ×4, first 2 shown]
                                        ; implicit-def: $sgpr26_sgpr27
                                        ; implicit-def: $vgpr52_vgpr53
	s_and_saveexec_b64 s[24:25], vcc
	s_cbranch_execz .LBB29_68
; %bb.59:
	v_cmp_ne_u64_e32 vcc, v[64:65], v[48:49]
	v_add_u32_e32 v4, 9, v37
	v_mov_b64_e32 v[78:79], 0
	s_waitcnt lgkmcnt(0)
	v_mov_b32_e32 v26, v40
	v_mov_b32_e32 v27, v41
	v_cndmask_b32_e64 v88, 0, 1, vcc
	v_cmp_gt_u32_e32 vcc, s43, v4
	v_mov_b32_e32 v80, 0
	v_mov_b32_e32 v91, 0
	v_mov_b64_e32 v[46:47], v[78:79]
	v_mov_b32_e32 v90, 0
	v_mov_b64_e32 v[34:35], v[78:79]
	;; [unrolled: 2-line block ×3, first 2 shown]
                                        ; implicit-def: $sgpr30_sgpr31
                                        ; implicit-def: $vgpr52_vgpr53
	s_and_saveexec_b64 s[26:27], vcc
	s_cbranch_execz .LBB29_67
; %bb.60:
	ds_read2_b64 v[42:45], v36 offset0:9 offset1:10
	v_cmp_ne_u64_e32 vcc, v[48:49], v[50:51]
	v_add_u32_e32 v4, 10, v37
	v_mov_b64_e32 v[78:79], 0
	v_cndmask_b32_e64 v89, 0, 1, vcc
	v_cmp_gt_u32_e32 vcc, s43, v4
	s_mov_b64 s[52:53], 0
	v_mov_b32_e32 v80, 0
	v_mov_b32_e32 v91, 0
	v_mov_b64_e32 v[46:47], v[78:79]
	v_mov_b32_e32 v90, 0
	v_mov_b64_e32 v[34:35], v[78:79]
                                        ; implicit-def: $sgpr30_sgpr31
                                        ; implicit-def: $vgpr52_vgpr53
	s_and_saveexec_b64 s[28:29], vcc
	s_cbranch_execz .LBB29_66
; %bb.61:
	v_cmp_ne_u64_e32 vcc, v[50:51], v[54:55]
	v_add_u32_e32 v4, 11, v37
	v_mov_b64_e32 v[78:79], 0
	s_waitcnt lgkmcnt(0)
	v_mov_b32_e32 v34, v44
	v_mov_b32_e32 v35, v45
	v_cndmask_b32_e64 v90, 0, 1, vcc
	v_cmp_gt_u32_e32 vcc, s43, v4
	v_mov_b32_e32 v80, 0
	v_mov_b32_e32 v91, 0
	v_mov_b64_e32 v[46:47], v[78:79]
                                        ; implicit-def: $sgpr64_sgpr65
                                        ; implicit-def: $vgpr52_vgpr53
	s_and_saveexec_b64 s[30:31], vcc
	s_cbranch_execz .LBB29_65
; %bb.62:
	ds_read2_b64 v[46:49], v36 offset0:11 offset1:12
	v_cmp_ne_u64_e32 vcc, v[54:55], v[56:57]
	v_add_u32_e32 v4, 12, v37
	v_mov_b32_e32 v80, 0
	v_cndmask_b32_e64 v91, 0, 1, vcc
	v_cmp_gt_u32_e32 vcc, s43, v4
	v_mov_b64_e32 v[78:79], 0
                                        ; implicit-def: $sgpr52_sgpr53
                                        ; implicit-def: $vgpr52_vgpr53
	s_and_saveexec_b64 s[64:65], vcc
	s_xor_b64 s[64:65], exec, s[64:65]
	s_cbranch_execz .LBB29_64
; %bb.63:
	ds_read_b64 v[52:53], v36 offset:104
	v_cmp_ne_u64_e64 s[4:5], v[56:57], v[58:59]
	v_add_u32_e32 v4, 13, v37
	v_cmp_ne_u64_e32 vcc, v[58:59], v[60:61]
	v_cndmask_b32_e64 v80, 0, 1, s[4:5]
	v_cmp_gt_u32_e64 s[4:5], s43, v4
	s_and_b64 s[52:53], vcc, exec
	s_and_b64 s[4:5], s[4:5], exec
	s_waitcnt lgkmcnt(1)
	v_mov_b64_e32 v[50:51], v[48:49]
	v_mov_b64_e32 v[78:79], v[48:49]
.LBB29_64:
	s_or_b64 exec, exec, s[64:65]
	s_and_b64 s[64:65], s[52:53], exec
	s_and_b64 s[52:53], s[4:5], exec
.LBB29_65:
	s_or_b64 exec, exec, s[30:31]
	s_and_b64 s[30:31], s[64:65], exec
	s_and_b64 s[4:5], s[52:53], exec
	s_waitcnt lgkmcnt(0)
	v_mov_b64_e32 v[36:37], v[46:47]
	v_mov_b64_e32 v[28:29], v[42:43]
	;; [unrolled: 1-line block ×6, first 2 shown]
.LBB29_66:
	s_or_b64 exec, exec, s[28:29]
	s_and_b64 s[30:31], s[30:31], exec
	s_and_b64 s[28:29], s[4:5], exec
.LBB29_67:
	s_or_b64 exec, exec, s[26:27]
	s_and_b64 s[26:27], s[30:31], exec
	s_and_b64 s[4:5], s[28:29], exec
.LBB29_68:
	s_or_b64 exec, exec, s[24:25]
	s_and_b64 s[26:27], s[26:27], exec
	s_and_b64 s[24:25], s[4:5], exec
.LBB29_69:
	s_or_b64 exec, exec, s[22:23]
	s_and_b64 s[22:23], s[26:27], exec
	s_and_b64 s[4:5], s[24:25], exec
.LBB29_70:
	s_or_b64 exec, exec, s[20:21]
	s_and_b64 s[22:23], s[22:23], exec
	s_and_b64 s[20:21], s[4:5], exec
.LBB29_71:
	s_or_b64 exec, exec, s[18:19]
	s_and_b64 s[18:19], s[22:23], exec
	s_and_b64 s[4:5], s[20:21], exec
.LBB29_72:
	s_or_b64 exec, exec, s[16:17]
	s_and_b64 s[18:19], s[18:19], exec
	s_and_b64 s[16:17], s[4:5], exec
.LBB29_73:
	s_or_b64 exec, exec, s[14:15]
	s_and_b64 s[14:15], s[18:19], exec
	s_and_b64 s[4:5], s[16:17], exec
.LBB29_74:
	s_or_b64 exec, exec, s[12:13]
	s_and_b64 s[14:15], s[14:15], exec
	s_and_b64 s[12:13], s[4:5], exec
.LBB29_75:
	s_or_b64 exec, exec, s[10:11]
	s_and_b64 s[4:5], s[14:15], exec
	s_and_b64 s[10:11], s[12:13], exec
.LBB29_76:
	s_or_b64 exec, exec, s[8:9]
	s_mov_b64 s[8:9], 0
	s_and_b64 vcc, exec, s[6:7]
	s_waitcnt lgkmcnt(0)
	v_lshlrev_b32_e32 v32, 3, v0
	s_cbranch_vccnz .LBB29_78
	s_branch .LBB29_86
.LBB29_77:
                                        ; implicit-def: $sgpr4_sgpr5
                                        ; implicit-def: $vgpr52_vgpr53
                                        ; implicit-def: $vgpr80
                                        ; implicit-def: $vgpr91
                                        ; implicit-def: $vgpr36_vgpr37
                                        ; implicit-def: $vgpr90
                                        ; implicit-def: $vgpr89
                                        ; implicit-def: $vgpr28_vgpr29
                                        ; implicit-def: $vgpr88
                                        ; implicit-def: $vgpr87
                                        ; implicit-def: $vgpr20_vgpr21
                                        ; implicit-def: $vgpr86
                                        ; implicit-def: $vgpr85
                                        ; implicit-def: $vgpr12_vgpr13
                                        ; implicit-def: $vgpr84
                                        ; implicit-def: $vgpr83
                                        ; implicit-def: $vgpr8_vgpr9
                                        ; implicit-def: $vgpr81
                                        ; implicit-def: $vgpr82
                                        ; implicit-def: $vgpr4_vgpr5
                                        ; implicit-def: $vgpr1
                                        ; implicit-def: $sgpr3
                                        ; implicit-def: $sgpr8_sgpr9
                                        ; implicit-def: $vgpr78_vgpr79
                                        ; implicit-def: $vgpr46_vgpr47
                                        ; implicit-def: $vgpr42_vgpr43
                                        ; implicit-def: $vgpr38_vgpr39
                                        ; implicit-def: $vgpr30_vgpr31
                                        ; implicit-def: $vgpr22_vgpr23
                                        ; implicit-def: $vgpr14_vgpr15
	s_and_b64 vcc, exec, s[6:7]
	v_lshlrev_b32_e32 v32, 3, v0
	s_cbranch_vccz .LBB29_86
.LBB29_78:
	v_mov_b32_e32 v33, 0
	v_lshl_add_u64 v[2:3], s[48:49], 0, v[32:33]
	v_add_co_u32_e32 v4, vcc, 0x1000, v2
	s_movk_i32 s3, 0x68
	s_nop 0
	v_addc_co_u32_e32 v5, vcc, 0, v3, vcc
	flat_load_dwordx2 v[6:7], v[2:3]
	flat_load_dwordx2 v[8:9], v[2:3] offset:2048
	flat_load_dwordx2 v[10:11], v[4:5]
	flat_load_dwordx2 v[12:13], v[4:5] offset:2048
	v_add_co_u32_e32 v4, vcc, 0x2000, v2
	v_mad_u32_u24 v1, v0, s3, v32
	s_nop 0
	v_addc_co_u32_e32 v5, vcc, 0, v3, vcc
	v_add_co_u32_e32 v14, vcc, 0x3000, v2
	s_cmp_eq_u64 s[62:63], 0
	s_nop 0
	v_addc_co_u32_e32 v15, vcc, 0, v3, vcc
	flat_load_dwordx2 v[16:17], v[4:5]
	flat_load_dwordx2 v[18:19], v[4:5] offset:2048
	flat_load_dwordx2 v[20:21], v[14:15]
	flat_load_dwordx2 v[22:23], v[14:15] offset:2048
	v_add_co_u32_e32 v4, vcc, 0x4000, v2
	s_nop 1
	v_addc_co_u32_e32 v5, vcc, 0, v3, vcc
	v_add_co_u32_e32 v14, vcc, 0x5000, v2
	s_nop 1
	v_addc_co_u32_e32 v15, vcc, 0, v3, vcc
	v_add_co_u32_e32 v2, vcc, 0x6000, v2
	flat_load_dwordx2 v[24:25], v[4:5]
	flat_load_dwordx2 v[26:27], v[4:5] offset:2048
	flat_load_dwordx2 v[28:29], v[14:15]
	flat_load_dwordx2 v[30:31], v[14:15] offset:2048
	v_addc_co_u32_e32 v3, vcc, 0, v3, vcc
	flat_load_dwordx2 v[4:5], v[2:3]
	flat_load_dwordx2 v[14:15], v[2:3] offset:2048
	s_waitcnt vmcnt(0) lgkmcnt(0)
	ds_write2st64_b64 v32, v[6:7], v[8:9] offset1:4
	ds_write2st64_b64 v32, v[10:11], v[12:13] offset0:8 offset1:12
	ds_write2st64_b64 v32, v[16:17], v[18:19] offset0:16 offset1:20
	;; [unrolled: 1-line block ×6, first 2 shown]
	s_waitcnt lgkmcnt(0)
	s_barrier
	ds_read_b128 v[14:17], v1
	ds_read_b128 v[2:5], v1 offset:16
	ds_read_b128 v[6:9], v1 offset:32
	;; [unrolled: 1-line block ×6, first 2 shown]
	s_cbranch_scc1 .LBB29_83
; %bb.79:
	s_andn2_b64 vcc, exec, s[56:57]
	s_cbranch_vccnz .LBB29_236
; %bb.80:
	s_lshl_b64 s[4:5], s[62:63], 3
	s_add_u32 s3, s58, s4
	s_addc_u32 s5, s59, s5
	s_add_u32 s4, s3, -8
	s_addc_u32 s5, s5, -1
	s_cbranch_execnz .LBB29_82
.LBB29_81:
	s_add_u32 s4, s48, -8
	s_addc_u32 s5, s49, -1
.LBB29_82:
	s_mov_b64 s[48:49], s[4:5]
.LBB29_83:
	v_mov_b64_e32 v[30:31], s[48:49]
	flat_load_dwordx2 v[30:31], v[30:31]
	s_movk_i32 s3, 0xff98
	v_mad_i32_i24 v33, v0, s3, v1
	v_cmp_ne_u32_e32 vcc, 0, v0
	s_waitcnt lgkmcnt(0)
	ds_write_b64 v33, v[28:29] offset:28672
	s_waitcnt lgkmcnt(0)
	s_barrier
	s_and_saveexec_b64 s[4:5], vcc
	s_cbranch_execz .LBB29_85
; %bb.84:
	s_waitcnt vmcnt(0)
	v_mul_i32_i24_e32 v30, 0xffffff98, v0
	v_add_u32_e32 v30, v1, v30
	ds_read_b64 v[30:31], v30 offset:28664
.LBB29_85:
	s_or_b64 exec, exec, s[4:5]
	v_mov_b32_e32 v33, 0
	v_lshl_add_u64 v[34:35], s[34:35], 0, v[32:33]
	s_movk_i32 s3, 0x1000
	v_add_co_u32_e32 v36, vcc, s3, v34
	s_movk_i32 s3, 0x2000
	s_nop 0
	v_addc_co_u32_e32 v37, vcc, 0, v35, vcc
	s_waitcnt lgkmcnt(0)
	s_barrier
	flat_load_dwordx2 v[38:39], v[34:35]
	flat_load_dwordx2 v[40:41], v[34:35] offset:2048
	flat_load_dwordx2 v[42:43], v[36:37]
	flat_load_dwordx2 v[44:45], v[36:37] offset:2048
	v_add_co_u32_e32 v36, vcc, s3, v34
	s_movk_i32 s3, 0x3000
	s_nop 0
	v_addc_co_u32_e32 v37, vcc, 0, v35, vcc
	v_add_co_u32_e32 v46, vcc, s3, v34
	s_movk_i32 s3, 0x4000
	s_nop 0
	v_addc_co_u32_e32 v47, vcc, 0, v35, vcc
	flat_load_dwordx2 v[48:49], v[36:37]
	flat_load_dwordx2 v[50:51], v[36:37] offset:2048
	flat_load_dwordx2 v[52:53], v[46:47]
	flat_load_dwordx2 v[54:55], v[46:47] offset:2048
	v_add_co_u32_e32 v36, vcc, s3, v34
	s_movk_i32 s3, 0x5000
	s_nop 0
	v_addc_co_u32_e32 v37, vcc, 0, v35, vcc
	v_add_co_u32_e32 v46, vcc, s3, v34
	s_movk_i32 s3, 0x6000
	s_nop 0
	v_addc_co_u32_e32 v47, vcc, 0, v35, vcc
	v_add_co_u32_e32 v34, vcc, s3, v34
	flat_load_dwordx2 v[56:57], v[36:37]
	flat_load_dwordx2 v[58:59], v[36:37] offset:2048
	flat_load_dwordx2 v[60:61], v[46:47]
	flat_load_dwordx2 v[62:63], v[46:47] offset:2048
	v_addc_co_u32_e32 v35, vcc, 0, v35, vcc
	flat_load_dwordx2 v[36:37], v[34:35]
	flat_load_dwordx2 v[46:47], v[34:35] offset:2048
	v_cmp_ne_u64_e32 vcc, v[24:25], v[26:27]
	v_cmp_ne_u64_e64 s[4:5], v[26:27], v[28:29]
	s_mov_b64 s[10:11], -1
	v_cndmask_b32_e64 v80, 0, 1, vcc
	v_cmp_ne_u64_e32 vcc, v[22:23], v[24:25]
                                        ; implicit-def: $sgpr3
                                        ; implicit-def: $sgpr8_sgpr9
                                        ; implicit-def: $vgpr78_vgpr79
	s_waitcnt vmcnt(0) lgkmcnt(0)
	ds_write2st64_b64 v32, v[38:39], v[40:41] offset1:4
	ds_write2st64_b64 v32, v[42:43], v[44:45] offset0:8 offset1:12
	ds_write2st64_b64 v32, v[48:49], v[50:51] offset0:16 offset1:20
	ds_write2st64_b64 v32, v[52:53], v[54:55] offset0:24 offset1:28
	ds_write2st64_b64 v32, v[56:57], v[58:59] offset0:32 offset1:36
	ds_write2st64_b64 v32, v[60:61], v[62:63] offset0:40 offset1:44
	ds_write2st64_b64 v32, v[36:37], v[46:47] offset0:48 offset1:52
	v_cndmask_b32_e64 v91, 0, 1, vcc
	v_cmp_ne_u64_e32 vcc, v[20:21], v[22:23]
	s_waitcnt lgkmcnt(0)
	s_barrier
	v_cndmask_b32_e64 v90, 0, 1, vcc
	v_cmp_ne_u64_e32 vcc, v[18:19], v[20:21]
	s_waitcnt lgkmcnt(0)
                                        ; implicit-def: $vgpr46_vgpr47
                                        ; implicit-def: $vgpr42_vgpr43
                                        ; implicit-def: $vgpr38_vgpr39
                                        ; implicit-def: $vgpr22_vgpr23
	s_nop 0
	v_cndmask_b32_e64 v89, 0, 1, vcc
	v_cmp_ne_u64_e32 vcc, v[12:13], v[18:19]
	s_nop 1
	v_cndmask_b32_e64 v88, 0, 1, vcc
	v_cmp_ne_u64_e32 vcc, v[10:11], v[12:13]
	;; [unrolled: 3-line block ×7, first 2 shown]
	ds_read_b128 v[2:5], v1
	ds_read_b128 v[6:9], v1 offset:16
	ds_read_b128 v[10:13], v1 offset:32
	;; [unrolled: 1-line block ×6, first 2 shown]
	v_cndmask_b32_e64 v81, 0, 1, vcc
	v_cmp_ne_u64_e32 vcc, v[14:15], v[16:17]
	s_nop 1
	v_cndmask_b32_e64 v82, 0, 1, vcc
	v_cmp_ne_u64_e32 vcc, v[30:31], v[14:15]
                                        ; implicit-def: $vgpr30_vgpr31
                                        ; implicit-def: $vgpr14_vgpr15
	s_nop 1
	v_cndmask_b32_e64 v1, 0, 1, vcc
.LBB29_86:
	v_mov_b64_e32 v[16:17], s[8:9]
	v_mov_b32_e32 v33, s3
	s_and_saveexec_b64 s[6:7], s[10:11]
	s_cbranch_execz .LBB29_88
; %bb.87:
	v_cndmask_b32_e64 v33, 0, 1, s[4:5]
	s_waitcnt lgkmcnt(6)
	v_mov_b64_e32 v[14:15], v[4:5]
	s_waitcnt lgkmcnt(5)
	v_mov_b64_e32 v[22:23], v[8:9]
	;; [unrolled: 2-line block ×7, first 2 shown]
	v_mov_b64_e32 v[16:17], v[52:53]
.LBB29_88:
	s_or_b64 exec, exec, s[6:7]
	s_waitcnt lgkmcnt(6)
	v_or_b32_e32 v4, v33, v80
	s_cmp_lg_u32 s2, 0
	s_waitcnt lgkmcnt(2)
	v_or_b32_e32 v29, v4, v91
	v_mbcnt_lo_u32_b32 v28, -1, 0
	s_waitcnt lgkmcnt(0)
	s_barrier
	s_cbranch_scc0 .LBB29_159
; %bb.89:
	v_mov_b32_e32 v8, 0
	v_cmp_eq_u16_sdwa s[30:31], v82, v8 src0_sel:BYTE_0 src1_sel:DWORD
	v_cmp_eq_u16_sdwa s[4:5], v81, v8 src0_sel:BYTE_0 src1_sel:DWORD
	v_cmp_eq_u16_sdwa s[6:7], v83, v8 src0_sel:BYTE_0 src1_sel:DWORD
	v_cndmask_b32_e64 v5, 0, v3, s[30:31]
	v_cndmask_b32_e64 v4, 0, v2, s[30:31]
	v_lshl_add_u64 v[4:5], v[4:5], 0, v[14:15]
	v_cndmask_b32_e64 v5, 0, v5, s[4:5]
	v_cndmask_b32_e64 v4, 0, v4, s[4:5]
	v_lshl_add_u64 v[4:5], v[4:5], 0, v[6:7]
	v_cndmask_b32_e64 v5, 0, v5, s[6:7]
	v_cndmask_b32_e64 v4, 0, v4, s[6:7]
	v_lshl_add_u64 v[4:5], v[4:5], 0, v[22:23]
	v_cmp_eq_u16_sdwa s[8:9], v84, v8 src0_sel:BYTE_0 src1_sel:DWORD
	v_cmp_eq_u16_sdwa s[10:11], v85, v8 src0_sel:BYTE_0 src1_sel:DWORD
	v_cmp_eq_u16_sdwa s[12:13], v86, v8 src0_sel:BYTE_0 src1_sel:DWORD
	v_cndmask_b32_e64 v5, 0, v5, s[8:9]
	v_cndmask_b32_e64 v4, 0, v4, s[8:9]
	v_lshl_add_u64 v[4:5], v[4:5], 0, v[10:11]
	v_cndmask_b32_e64 v5, 0, v5, s[10:11]
	v_cndmask_b32_e64 v4, 0, v4, s[10:11]
	v_lshl_add_u64 v[4:5], v[4:5], 0, v[30:31]
	v_cndmask_b32_e64 v5, 0, v5, s[12:13]
	v_cndmask_b32_e64 v4, 0, v4, s[12:13]
	v_lshl_add_u64 v[4:5], v[4:5], 0, v[18:19]
	;; [unrolled: 12-line block ×4, first 2 shown]
	v_cmp_eq_u16_sdwa s[26:27], v33, v8 src0_sel:BYTE_0 src1_sel:DWORD
	v_and_b32_e32 v12, 0xff, v1
	v_mbcnt_hi_u32_b32 v44, -1, v28
	v_cndmask_b32_e64 v5, 0, v5, s[26:27]
	v_cndmask_b32_e64 v4, 0, v4, s[26:27]
	v_lshl_add_u64 v[8:9], v[4:5], 0, v[16:17]
	v_or_b32_e32 v4, v29, v90
	v_or_b32_e32 v4, v4, v89
	;; [unrolled: 1-line block ×10, first 2 shown]
	v_and_b32_e32 v4, 1, v4
	v_cmp_eq_u32_e32 vcc, 1, v4
	v_and_b32_e32 v4, 15, v44
	v_mov_b32_dpp v13, v8 row_shr:1 row_mask:0xf bank_mask:0xf
	v_cndmask_b32_e64 v12, v12, 1, vcc
	v_mov_b32_dpp v20, v9 row_shr:1 row_mask:0xf bank_mask:0xf
	v_cmp_ne_u32_e32 vcc, 0, v4
	v_mov_b32_dpp v5, v12 row_shr:1 row_mask:0xf bank_mask:0xf
	s_and_saveexec_b64 s[28:29], vcc
; %bb.90:
	v_cmp_eq_u32_e32 vcc, 0, v12
	v_and_or_b32 v12, v5, 1, v12
	s_nop 0
	v_cndmask_b32_e32 v21, 0, v20, vcc
	v_cndmask_b32_e32 v20, 0, v13, vcc
	v_lshl_add_u64 v[8:9], v[20:21], 0, v[8:9]
; %bb.91:
	s_or_b64 exec, exec, s[28:29]
	s_nop 0
	v_mov_b32_dpp v13, v8 row_shr:2 row_mask:0xf bank_mask:0xf
	v_mov_b32_dpp v20, v9 row_shr:2 row_mask:0xf bank_mask:0xf
	v_mov_b32_dpp v5, v12 row_shr:2 row_mask:0xf bank_mask:0xf
	v_cmp_lt_u32_e32 vcc, 1, v4
	s_and_saveexec_b64 s[28:29], vcc
; %bb.92:
	v_cmp_eq_u32_e32 vcc, 0, v12
	v_or_b32_e32 v5, v5, v12
	v_and_b32_e32 v12, 1, v5
	v_cndmask_b32_e32 v21, 0, v20, vcc
	v_cndmask_b32_e32 v20, 0, v13, vcc
	v_lshl_add_u64 v[8:9], v[20:21], 0, v[8:9]
; %bb.93:
	s_or_b64 exec, exec, s[28:29]
	s_nop 0
	v_mov_b32_dpp v13, v8 row_shr:4 row_mask:0xf bank_mask:0xf
	v_mov_b32_dpp v20, v9 row_shr:4 row_mask:0xf bank_mask:0xf
	v_mov_b32_dpp v5, v12 row_shr:4 row_mask:0xf bank_mask:0xf
	v_cmp_lt_u32_e32 vcc, 3, v4
	s_and_saveexec_b64 s[28:29], vcc
; %bb.94:
	v_cmp_eq_u32_e32 vcc, 0, v12
	v_or_b32_e32 v5, v5, v12
	v_and_b32_e32 v12, 1, v5
	;; [unrolled: 15-line block ×3, first 2 shown]
	v_cndmask_b32_e32 v21, 0, v20, vcc
	v_cndmask_b32_e32 v20, 0, v13, vcc
	v_lshl_add_u64 v[8:9], v[20:21], 0, v[8:9]
; %bb.97:
	s_or_b64 exec, exec, s[28:29]
	v_and_b32_e32 v20, 16, v44
	v_mov_b32_dpp v5, v8 row_bcast:15 row_mask:0xf bank_mask:0xf
	v_mov_b32_dpp v13, v9 row_bcast:15 row_mask:0xf bank_mask:0xf
	v_mov_b32_dpp v4, v12 row_bcast:15 row_mask:0xf bank_mask:0xf
	v_cmp_ne_u32_e32 vcc, 0, v20
	s_and_saveexec_b64 s[28:29], vcc
; %bb.98:
	v_cmp_eq_u32_e32 vcc, 0, v12
	v_or_b32_e32 v4, v4, v12
	v_and_b32_e32 v12, 1, v4
	v_cndmask_b32_e32 v21, 0, v13, vcc
	v_cndmask_b32_e32 v20, 0, v5, vcc
	v_lshl_add_u64 v[8:9], v[20:21], 0, v[8:9]
; %bb.99:
	s_or_b64 exec, exec, s[28:29]
	s_nop 0
	v_mov_b32_dpp v13, v8 row_bcast:31 row_mask:0xf bank_mask:0xf
	v_mov_b32_dpp v20, v9 row_bcast:31 row_mask:0xf bank_mask:0xf
	;; [unrolled: 1-line block ×3, first 2 shown]
	v_cmp_lt_u32_e32 vcc, 31, v44
	v_mov_b32_e32 v4, v12
	s_and_saveexec_b64 s[28:29], vcc
; %bb.100:
	v_cmp_eq_u32_e32 vcc, 0, v12
	v_or_b32_e32 v5, v5, v12
	v_and_b32_e32 v4, 1, v5
	v_cndmask_b32_e32 v21, 0, v20, vcc
	v_cndmask_b32_e32 v20, 0, v13, vcc
	v_lshl_add_u64 v[8:9], v[20:21], 0, v[8:9]
	v_and_b32_e32 v12, 1, v5
; %bb.101:
	s_or_b64 exec, exec, s[28:29]
	v_or_b32_e32 v5, 63, v0
	v_lshrrev_b32_e32 v13, 6, v0
	v_cmp_eq_u32_e32 vcc, v5, v0
	s_and_saveexec_b64 s[28:29], vcc
	s_cbranch_execz .LBB29_103
; %bb.102:
	v_lshlrev_b32_e32 v5, 4, v13
	ds_write_b64 v5, v[8:9]
	ds_write_b8 v5, v4 offset:8
.LBB29_103:
	s_or_b64 exec, exec, s[28:29]
	v_cmp_gt_u32_e32 vcc, 4, v0
	s_waitcnt lgkmcnt(0)
	s_barrier
	s_and_saveexec_b64 s[34:35], vcc
	s_cbranch_execz .LBB29_109
; %bb.104:
	v_lshlrev_b32_e32 v20, 4, v0
	ds_read_b64 v[4:5], v20
	ds_read_b32 v21, v20 offset:8
	v_and_b32_e32 v24, 3, v44
	v_cmp_ne_u32_e32 vcc, 0, v24
	s_waitcnt lgkmcnt(1)
	v_mov_b32_dpp v40, v4 row_shr:1 row_mask:0xf bank_mask:0xf
	v_mov_b32_dpp v41, v5 row_shr:1 row_mask:0xf bank_mask:0xf
	s_waitcnt lgkmcnt(0)
	v_mov_b32_dpp v37, v21 row_shr:1 row_mask:0xf bank_mask:0xf
	v_mov_b32_e32 v25, v21
	v_mov_b32_e32 v36, v21
	s_and_saveexec_b64 s[28:29], vcc
; %bb.105:
	v_mov_b32_e32 v25, 0
	v_cmp_eq_u16_sdwa vcc, v21, v25 src0_sel:BYTE_0 src1_sel:DWORD
	v_or_b32_e32 v36, v37, v21
	v_and_b32_e32 v25, 1, v36
	v_cndmask_b32_e32 v41, 0, v41, vcc
	v_cndmask_b32_e32 v40, 0, v40, vcc
	v_and_b32_e32 v36, 1, v36
	s_movk_i32 s3, 0xff00
	v_lshl_add_u64 v[4:5], v[40:41], 0, v[4:5]
	v_and_or_b32 v21, v21, s3, v36
; %bb.106:
	s_or_b64 exec, exec, s[28:29]
	v_mov_b32_dpp v37, v4 row_shr:2 row_mask:0xf bank_mask:0xf
	v_mov_b32_dpp v40, v5 row_shr:2 row_mask:0xf bank_mask:0xf
	;; [unrolled: 1-line block ×3, first 2 shown]
	v_cmp_lt_u32_e32 vcc, 1, v24
	s_and_saveexec_b64 s[48:49], vcc
; %bb.107:
	v_mov_b32_e32 v24, 0
	v_cmp_eq_u16_sdwa vcc, v36, v24 src0_sel:BYTE_0 src1_sel:DWORD
	v_and_b32_e32 v21, 1, v21
	v_cmp_eq_u32_e64 s[28:29], 1, v21
	v_cndmask_b32_e32 v25, 0, v40, vcc
	v_cndmask_b32_e32 v24, 0, v37, vcc
	v_lshl_add_u64 v[4:5], v[24:25], 0, v[4:5]
	v_and_b32_e32 v24, 1, v36
	v_cmp_eq_u32_e32 vcc, 1, v24
	s_or_b64 s[28:29], vcc, s[28:29]
	v_cndmask_b32_e64 v25, 0, 1, s[28:29]
; %bb.108:
	s_or_b64 exec, exec, s[48:49]
	ds_write_b64 v20, v[4:5]
	ds_write_b8 v20, v25 offset:8
.LBB29_109:
	s_or_b64 exec, exec, s[34:35]
	v_cmp_gt_u32_e32 vcc, 64, v0
	v_cmp_lt_u32_e64 s[28:29], 63, v0
	v_mov_b32_e32 v36, 0
	v_mov_b64_e32 v[4:5], 0
	s_waitcnt lgkmcnt(0)
	s_barrier
	s_and_saveexec_b64 s[34:35], s[28:29]
	s_cbranch_execz .LBB29_111
; %bb.110:
	v_lshl_add_u32 v13, v13, 4, -16
	ds_read_b64 v[4:5], v13
	ds_read_u8 v36, v13 offset:8
	v_and_b32_e32 v20, 1, v12
	v_cmp_eq_u32_e64 s[28:29], 0, v12
	s_waitcnt lgkmcnt(1)
	s_nop 0
	v_cndmask_b32_e64 v13, 0, v5, s[28:29]
	v_cndmask_b32_e64 v12, 0, v4, s[28:29]
	v_cmp_eq_u32_e64 s[28:29], 1, v20
	v_lshl_add_u64 v[8:9], v[12:13], 0, v[8:9]
	s_waitcnt lgkmcnt(0)
	v_cndmask_b32_e64 v12, v36, 1, s[28:29]
.LBB29_111:
	s_or_b64 exec, exec, s[34:35]
	v_add_u32_e32 v13, -1, v44
	v_and_b32_e32 v20, 64, v44
	v_cmp_lt_i32_e64 s[28:29], v13, v20
	s_nop 1
	v_cndmask_b32_e64 v13, v13, v44, s[28:29]
	v_lshlrev_b32_e32 v13, 2, v13
	ds_bpermute_b32 v37, v13, v8
	ds_bpermute_b32 v40, v13, v9
	ds_bpermute_b32 v41, v13, v12
	v_cmp_eq_u32_e64 s[28:29], 0, v44
	s_and_saveexec_b64 s[48:49], vcc
	s_cbranch_execz .LBB29_158
; %bb.112:
	v_mov_b32_e32 v13, 0
	ds_read2_b64 v[48:51], v13 offset0:6 offset1:7
	s_and_saveexec_b64 s[34:35], s[28:29]
	s_cbranch_execz .LBB29_114
; %bb.113:
	s_add_i32 s52, s2, 64
	s_mov_b32 s53, 0
	s_lshl_b64 s[56:57], s[52:53], 4
	s_add_u32 s56, s36, s56
	s_addc_u32 s57, s37, s57
	v_mov_b32_e32 v8, s52
	v_mov_b32_e32 v9, 1
	s_waitcnt lgkmcnt(0)
	global_store_dword v13, v48, s[56:57] sc1
	global_store_dword v13, v49, s[56:57] offset:4 sc1
	global_store_dword v13, v50, s[56:57] offset:8 sc1
	;; [unrolled: 1-line block ×3, first 2 shown]
	s_waitcnt vmcnt(0)
	global_store_byte v8, v9, s[40:41] sc1
.LBB29_114:
	s_or_b64 exec, exec, s[34:35]
	v_xad_u32 v8, v44, -1, s2
	v_add_u32_e32 v12, 64, v8
	global_load_ubyte v45, v12, s[40:41] sc1
	s_waitcnt vmcnt(0)
	v_cmp_eq_u16_e32 vcc, 0, v45
	s_and_saveexec_b64 s[34:35], vcc
	s_cbranch_execz .LBB29_120
; %bb.115:
	v_lshl_add_u64 v[20:21], s[40:41], 0, v[12:13]
	s_mov_b32 s3, 1
	s_mov_b64 s[52:53], 0
.LBB29_116:                             ; =>This Loop Header: Depth=1
                                        ;     Child Loop BB29_117 Depth 2
	s_max_u32 s43, s3, 1
.LBB29_117:                             ;   Parent Loop BB29_116 Depth=1
                                        ; =>  This Inner Loop Header: Depth=2
	s_add_i32 s43, s43, -1
	s_cmp_eq_u32 s43, 0
	s_sleep 1
	s_cbranch_scc0 .LBB29_117
; %bb.118:                              ;   in Loop: Header=BB29_116 Depth=1
	global_load_ubyte v45, v[20:21], off sc1
	s_cmp_lt_u32 s3, 32
	s_cselect_b64 s[56:57], -1, 0
	s_cmp_lg_u64 s[56:57], 0
	s_addc_u32 s3, s3, 0
	s_waitcnt vmcnt(0)
	v_cmp_ne_u16_e32 vcc, 0, v45
	s_or_b64 s[52:53], vcc, s[52:53]
	s_andn2_b64 exec, exec, s[52:53]
	s_cbranch_execnz .LBB29_116
; %bb.119:
	s_or_b64 exec, exec, s[52:53]
.LBB29_120:
	s_or_b64 exec, exec, s[34:35]
	v_mov_b32_e32 v9, s39
	v_mov_b32_e32 v20, s37
	v_cmp_eq_u16_e32 vcc, 1, v45
	s_waitcnt vmcnt(0) lgkmcnt(0)
	s_nop 0
	v_cndmask_b32_e32 v21, v9, v20, vcc
	v_mov_b32_e32 v9, s38
	v_mov_b32_e32 v20, s36
	v_cndmask_b32_e32 v20, v9, v20, vcc
	v_lshl_add_u64 v[12:13], v[12:13], 4, v[20:21]
	global_load_dword v24, v[12:13], off sc1
	global_load_dword v25, v[12:13], off offset:4 sc1
	global_load_dword v64, v[12:13], off offset:8 sc1
	;; [unrolled: 1-line block ×3, first 2 shown]
	v_cmp_eq_u16_e32 vcc, 2, v45
	v_lshlrev_b64 v[12:13], v44, -1
	v_and_b32_e32 v51, 63, v44
	s_waitcnt vmcnt(0)
	v_and_b32_e32 v9, vcc_hi, v13
	v_and_b32_e32 v55, vcc_lo, v12
	v_cmp_ne_u32_e32 vcc, 63, v51
	v_or_b32_e32 v9, 0x80000000, v9
	v_ffbl_b32_e32 v9, v9
	v_addc_co_u32_e32 v20, vcc, 0, v44, vcc
	v_lshlrev_b32_e32 v52, 2, v20
	v_add_u32_e32 v9, 32, v9
	v_ffbl_b32_e32 v55, v55
	v_min_u32_e32 v9, v55, v9
	v_cmp_lt_u32_e32 vcc, v51, v9
	ds_bpermute_b32 v53, v52, v24
	ds_bpermute_b32 v54, v52, v25
	v_and_b32_e32 v20, 0xff, v64
	ds_bpermute_b32 v21, v52, v20
	s_and_saveexec_b64 s[34:35], vcc
	s_cbranch_execz .LBB29_122
; %bb.121:
	v_mov_b32_e32 v20, 0
	v_cmp_eq_u16_sdwa vcc, v64, v20 src0_sel:BYTE_0 src1_sel:DWORD
	s_waitcnt lgkmcnt(0)
	v_or_b32_e32 v20, v21, v64
	v_and_b32_e32 v64, 1, v20
	v_cndmask_b32_e32 v55, 0, v54, vcc
	v_cndmask_b32_e32 v54, 0, v53, vcc
	v_lshl_add_u64 v[24:25], v[54:55], 0, v[24:25]
	v_and_b32_e32 v20, 1, v20
.LBB29_122:
	s_or_b64 exec, exec, s[34:35]
	v_cmp_gt_u32_e32 vcc, 62, v51
	s_waitcnt lgkmcnt(1)
	v_add_u32_e32 v54, 2, v51
	s_waitcnt lgkmcnt(0)
	v_cndmask_b32_e64 v21, 0, 1, vcc
	v_lshlrev_b32_e32 v21, 1, v21
	v_add_lshl_u32 v53, v21, v44, 2
	ds_bpermute_b32 v55, v53, v24
	ds_bpermute_b32 v56, v53, v25
	ds_bpermute_b32 v21, v53, v20
	v_cmp_le_u32_e32 vcc, v54, v9
	s_and_saveexec_b64 s[52:53], vcc
	s_cbranch_execz .LBB29_124
; %bb.123:
	v_mov_b32_e32 v20, 0
	v_cmp_eq_u16_sdwa vcc, v64, v20 src0_sel:BYTE_0 src1_sel:DWORD
	v_and_b32_e32 v20, 1, v64
	s_waitcnt lgkmcnt(1)
	v_cndmask_b32_e32 v57, 0, v56, vcc
	v_cndmask_b32_e32 v56, 0, v55, vcc
	v_cmp_eq_u32_e32 vcc, 1, v20
	s_waitcnt lgkmcnt(0)
	v_and_b32_e32 v20, 1, v21
	v_cmp_eq_u32_e64 s[34:35], 1, v20
	s_or_b64 s[34:35], vcc, s[34:35]
	v_lshl_add_u64 v[24:25], v[56:57], 0, v[24:25]
	v_cndmask_b32_e64 v64, 0, 1, s[34:35]
	v_cndmask_b32_e64 v20, 0, 1, s[34:35]
.LBB29_124:
	s_or_b64 exec, exec, s[52:53]
	v_cmp_gt_u32_e32 vcc, 60, v51
	s_waitcnt lgkmcnt(1)
	v_add_u32_e32 v56, 4, v51
	s_waitcnt lgkmcnt(0)
	v_cndmask_b32_e64 v21, 0, 1, vcc
	v_lshlrev_b32_e32 v21, 2, v21
	v_add_lshl_u32 v55, v21, v44, 2
	ds_bpermute_b32 v57, v55, v24
	ds_bpermute_b32 v58, v55, v25
	ds_bpermute_b32 v21, v55, v20
	v_cmp_le_u32_e32 vcc, v56, v9
	s_and_saveexec_b64 s[52:53], vcc
	s_cbranch_execz .LBB29_126
; %bb.125:
	v_mov_b32_e32 v20, 0
	v_cmp_eq_u16_sdwa vcc, v64, v20 src0_sel:BYTE_0 src1_sel:DWORD
	v_and_b32_e32 v20, 1, v64
	s_waitcnt lgkmcnt(1)
	v_cndmask_b32_e32 v59, 0, v58, vcc
	v_cndmask_b32_e32 v58, 0, v57, vcc
	v_cmp_eq_u32_e32 vcc, 1, v20
	s_waitcnt lgkmcnt(0)
	v_and_b32_e32 v20, 1, v21
	v_cmp_eq_u32_e64 s[34:35], 1, v20
	s_or_b64 s[34:35], vcc, s[34:35]
	v_lshl_add_u64 v[24:25], v[58:59], 0, v[24:25]
	v_cndmask_b32_e64 v64, 0, 1, s[34:35]
	v_cndmask_b32_e64 v20, 0, 1, s[34:35]
.LBB29_126:
	;; [unrolled: 30-line block ×4, first 2 shown]
	s_or_b64 exec, exec, s[52:53]
	v_cmp_gt_u32_e32 vcc, 32, v51
	s_waitcnt lgkmcnt(1)
	v_add_u32_e32 v62, 32, v51
	s_waitcnt lgkmcnt(0)
	v_cndmask_b32_e64 v21, 0, 1, vcc
	v_lshlrev_b32_e32 v21, 5, v21
	v_add_lshl_u32 v61, v21, v44, 2
	ds_bpermute_b32 v21, v61, v24
	ds_bpermute_b32 v44, v61, v25
	;; [unrolled: 1-line block ×3, first 2 shown]
	v_cmp_le_u32_e32 vcc, v62, v9
	s_and_saveexec_b64 s[52:53], vcc
	s_cbranch_execz .LBB29_132
; %bb.131:
	v_mov_b32_e32 v9, 0
	v_cmp_eq_u16_sdwa vcc, v64, v9 src0_sel:BYTE_0 src1_sel:DWORD
	v_and_b32_e32 v9, 1, v64
	s_waitcnt lgkmcnt(1)
	v_cndmask_b32_e32 v67, 0, v44, vcc
	v_cndmask_b32_e32 v66, 0, v21, vcc
	v_cmp_eq_u32_e32 vcc, 1, v9
	s_waitcnt lgkmcnt(0)
	v_and_b32_e32 v9, 1, v20
	v_cmp_eq_u32_e64 s[34:35], 1, v9
	s_or_b64 s[34:35], vcc, s[34:35]
	v_lshl_add_u64 v[24:25], v[66:67], 0, v[24:25]
	v_cndmask_b32_e64 v64, 0, 1, s[34:35]
.LBB29_132:
	s_or_b64 exec, exec, s[52:53]
	v_mov_b32_e32 v9, 0
	v_mov_b32_e32 v63, 2
	s_branch .LBB29_134
.LBB29_133:                             ;   in Loop: Header=BB29_134 Depth=1
	s_or_b64 exec, exec, s[56:57]
	v_cmp_eq_u16_sdwa vcc, v44, v9 src0_sel:BYTE_0 src1_sel:DWORD
	v_and_b32_e32 v64, 1, v44
	v_subrev_u32_e32 v8, 64, v8
	v_cndmask_b32_e32 v25, 0, v25, vcc
	v_cndmask_b32_e32 v24, 0, v24, vcc
	v_cmp_eq_u32_e32 vcc, 1, v64
	s_or_b64 s[34:35], vcc, s[52:53]
	v_lshl_add_u64 v[24:25], v[24:25], 0, v[20:21]
	v_cndmask_b32_e64 v64, 0, 1, s[34:35]
.LBB29_134:                             ; =>This Loop Header: Depth=1
                                        ;     Child Loop BB29_137 Depth 2
                                        ;       Child Loop BB29_138 Depth 3
	v_cmp_ne_u16_sdwa s[34:35], v45, v63 src0_sel:BYTE_0 src1_sel:DWORD
	s_waitcnt lgkmcnt(1)
	v_mov_b32_e32 v44, v64
	s_waitcnt lgkmcnt(0)
	v_cndmask_b32_e64 v20, 0, 1, s[34:35]
	;;#ASMSTART
	;;#ASMEND
	s_nop 0
	v_cmp_ne_u32_e32 vcc, 0, v20
	s_cmp_lg_u64 vcc, exec
	v_mov_b64_e32 v[20:21], v[24:25]
	s_cbranch_scc1 .LBB29_153
; %bb.135:                              ;   in Loop: Header=BB29_134 Depth=1
	global_load_ubyte v45, v8, s[40:41] sc1
	s_waitcnt vmcnt(0)
	v_cmp_eq_u16_e32 vcc, 0, v45
	s_and_saveexec_b64 s[34:35], vcc
	s_cbranch_execz .LBB29_141
; %bb.136:                              ;   in Loop: Header=BB29_134 Depth=1
	v_lshl_add_u64 v[24:25], s[40:41], 0, v[8:9]
	s_mov_b32 s3, 1
	s_mov_b64 s[52:53], 0
.LBB29_137:                             ;   Parent Loop BB29_134 Depth=1
                                        ; =>  This Loop Header: Depth=2
                                        ;       Child Loop BB29_138 Depth 3
	s_max_u32 s43, s3, 1
.LBB29_138:                             ;   Parent Loop BB29_134 Depth=1
                                        ;     Parent Loop BB29_137 Depth=2
                                        ; =>    This Inner Loop Header: Depth=3
	s_add_i32 s43, s43, -1
	s_cmp_eq_u32 s43, 0
	s_sleep 1
	s_cbranch_scc0 .LBB29_138
; %bb.139:                              ;   in Loop: Header=BB29_137 Depth=2
	global_load_ubyte v45, v[24:25], off sc1
	s_cmp_lt_u32 s3, 32
	s_cselect_b64 s[56:57], -1, 0
	s_cmp_lg_u64 s[56:57], 0
	s_addc_u32 s3, s3, 0
	s_waitcnt vmcnt(0)
	v_cmp_ne_u16_e32 vcc, 0, v45
	s_or_b64 s[52:53], vcc, s[52:53]
	s_andn2_b64 exec, exec, s[52:53]
	s_cbranch_execnz .LBB29_137
; %bb.140:                              ;   in Loop: Header=BB29_134 Depth=1
	s_or_b64 exec, exec, s[52:53]
.LBB29_141:                             ;   in Loop: Header=BB29_134 Depth=1
	s_or_b64 exec, exec, s[34:35]
	v_mov_b32_e32 v24, s39
	v_mov_b32_e32 v25, s37
	v_cmp_eq_u16_e32 vcc, 1, v45
	v_mov_b32_e32 v64, s36
	s_waitcnt vmcnt(0)
	v_cndmask_b32_e32 v25, v24, v25, vcc
	v_mov_b32_e32 v24, s38
	v_cndmask_b32_e32 v24, v24, v64, vcc
	v_lshl_add_u64 v[66:67], v[8:9], 4, v[24:25]
	global_load_dword v24, v[66:67], off sc1
	global_load_dword v25, v[66:67], off offset:4 sc1
	global_load_dword v64, v[66:67], off offset:8 sc1
	;; [unrolled: 1-line block ×3, first 2 shown]
	v_cmp_eq_u16_e32 vcc, 2, v45
	s_waitcnt vmcnt(3)
	ds_bpermute_b32 v68, v52, v24
	s_waitcnt vmcnt(0)
	v_and_b32_e32 v65, vcc_hi, v13
	v_and_b32_e32 v66, 0xff, v64
	v_or_b32_e32 v65, 0x80000000, v65
	ds_bpermute_b32 v69, v52, v25
	ds_bpermute_b32 v67, v52, v66
	v_and_b32_e32 v70, vcc_lo, v12
	v_ffbl_b32_e32 v65, v65
	v_add_u32_e32 v65, 32, v65
	v_ffbl_b32_e32 v70, v70
	v_min_u32_e32 v65, v70, v65
	v_cmp_lt_u32_e32 vcc, v51, v65
	s_and_saveexec_b64 s[34:35], vcc
	s_cbranch_execz .LBB29_143
; %bb.142:                              ;   in Loop: Header=BB29_134 Depth=1
	v_cmp_eq_u16_sdwa vcc, v64, v9 src0_sel:BYTE_0 src1_sel:DWORD
	s_waitcnt lgkmcnt(0)
	v_or_b32_e32 v66, v67, v64
	v_and_b32_e32 v64, 1, v66
	v_cndmask_b32_e32 v69, 0, v69, vcc
	v_cndmask_b32_e32 v68, 0, v68, vcc
	v_lshl_add_u64 v[24:25], v[68:69], 0, v[24:25]
	v_and_b32_e32 v66, 1, v66
.LBB29_143:                             ;   in Loop: Header=BB29_134 Depth=1
	s_or_b64 exec, exec, s[34:35]
	s_waitcnt lgkmcnt(2)
	ds_bpermute_b32 v68, v53, v24
	s_waitcnt lgkmcnt(2)
	ds_bpermute_b32 v69, v53, v25
	;; [unrolled: 2-line block ×3, first 2 shown]
	v_and_b32_e32 v70, 1, v64
	v_cmp_le_u32_e32 vcc, v54, v65
	v_cmp_eq_u32_e64 s[52:53], 1, v70
	s_and_saveexec_b64 s[34:35], vcc
	s_cbranch_execz .LBB29_145
; %bb.144:                              ;   in Loop: Header=BB29_134 Depth=1
	v_cmp_eq_u16_sdwa vcc, v64, v9 src0_sel:BYTE_0 src1_sel:DWORD
	s_waitcnt lgkmcnt(0)
	v_and_b32_e32 v64, 1, v67
	v_cndmask_b32_e32 v69, 0, v69, vcc
	v_cndmask_b32_e32 v68, 0, v68, vcc
	v_cmp_eq_u32_e32 vcc, 1, v64
	s_or_b64 s[56:57], s[52:53], vcc
	v_cndmask_b32_e64 v64, 0, 1, s[56:57]
	v_cndmask_b32_e64 v66, 0, 1, s[56:57]
	s_andn2_b64 s[52:53], s[52:53], exec
	s_and_b64 s[56:57], s[56:57], exec
	v_lshl_add_u64 v[24:25], v[68:69], 0, v[24:25]
	s_or_b64 s[52:53], s[52:53], s[56:57]
.LBB29_145:                             ;   in Loop: Header=BB29_134 Depth=1
	s_or_b64 exec, exec, s[34:35]
	s_waitcnt lgkmcnt(2)
	ds_bpermute_b32 v68, v55, v24
	s_waitcnt lgkmcnt(2)
	ds_bpermute_b32 v69, v55, v25
	s_waitcnt lgkmcnt(2)
	ds_bpermute_b32 v67, v55, v66
	v_cmp_le_u32_e32 vcc, v56, v65
	s_and_saveexec_b64 s[56:57], vcc
	s_cbranch_execz .LBB29_147
; %bb.146:                              ;   in Loop: Header=BB29_134 Depth=1
	v_cmp_eq_u16_sdwa vcc, v64, v9 src0_sel:BYTE_0 src1_sel:DWORD
	v_and_b32_e32 v64, 1, v64
	s_andn2_b64 s[52:53], s[52:53], exec
	s_waitcnt lgkmcnt(1)
	v_cndmask_b32_e32 v69, 0, v69, vcc
	v_cndmask_b32_e32 v68, 0, v68, vcc
	v_cmp_eq_u32_e32 vcc, 1, v64
	s_waitcnt lgkmcnt(0)
	v_and_b32_e32 v64, 1, v67
	v_cmp_eq_u32_e64 s[34:35], 1, v64
	s_or_b64 s[34:35], vcc, s[34:35]
	v_lshl_add_u64 v[24:25], v[68:69], 0, v[24:25]
	v_cndmask_b32_e64 v64, 0, 1, s[34:35]
	v_cndmask_b32_e64 v66, 0, 1, s[34:35]
	s_and_b64 s[34:35], s[34:35], exec
	s_or_b64 s[52:53], s[52:53], s[34:35]
.LBB29_147:                             ;   in Loop: Header=BB29_134 Depth=1
	s_or_b64 exec, exec, s[56:57]
	s_waitcnt lgkmcnt(2)
	ds_bpermute_b32 v68, v57, v24
	s_waitcnt lgkmcnt(2)
	ds_bpermute_b32 v69, v57, v25
	s_waitcnt lgkmcnt(2)
	ds_bpermute_b32 v67, v57, v66
	v_cmp_le_u32_e32 vcc, v58, v65
	s_and_saveexec_b64 s[56:57], vcc
	s_cbranch_execz .LBB29_149
; %bb.148:                              ;   in Loop: Header=BB29_134 Depth=1
	v_cmp_eq_u16_sdwa vcc, v64, v9 src0_sel:BYTE_0 src1_sel:DWORD
	v_and_b32_e32 v64, 1, v64
	s_andn2_b64 s[52:53], s[52:53], exec
	s_waitcnt lgkmcnt(1)
	v_cndmask_b32_e32 v69, 0, v69, vcc
	v_cndmask_b32_e32 v68, 0, v68, vcc
	v_cmp_eq_u32_e32 vcc, 1, v64
	s_waitcnt lgkmcnt(0)
	v_and_b32_e32 v64, 1, v67
	v_cmp_eq_u32_e64 s[34:35], 1, v64
	s_or_b64 s[34:35], vcc, s[34:35]
	v_lshl_add_u64 v[24:25], v[68:69], 0, v[24:25]
	v_cndmask_b32_e64 v64, 0, 1, s[34:35]
	v_cndmask_b32_e64 v66, 0, 1, s[34:35]
	s_and_b64 s[34:35], s[34:35], exec
	s_or_b64 s[52:53], s[52:53], s[34:35]
.LBB29_149:                             ;   in Loop: Header=BB29_134 Depth=1
	;; [unrolled: 28-line block ×3, first 2 shown]
	s_or_b64 exec, exec, s[56:57]
	s_waitcnt lgkmcnt(0)
	ds_bpermute_b32 v67, v61, v24
	ds_bpermute_b32 v68, v61, v25
	;; [unrolled: 1-line block ×3, first 2 shown]
	v_cmp_le_u32_e32 vcc, v62, v65
	s_and_saveexec_b64 s[56:57], vcc
	s_cbranch_execz .LBB29_133
; %bb.152:                              ;   in Loop: Header=BB29_134 Depth=1
	v_cmp_eq_u16_sdwa vcc, v64, v9 src0_sel:BYTE_0 src1_sel:DWORD
	v_and_b32_e32 v64, 1, v64
	s_andn2_b64 s[52:53], s[52:53], exec
	s_waitcnt lgkmcnt(1)
	v_cndmask_b32_e32 v69, 0, v68, vcc
	v_cndmask_b32_e32 v68, 0, v67, vcc
	v_cmp_eq_u32_e32 vcc, 1, v64
	s_waitcnt lgkmcnt(0)
	v_and_b32_e32 v64, 1, v66
	v_cmp_eq_u32_e64 s[34:35], 1, v64
	s_or_b64 s[34:35], vcc, s[34:35]
	s_and_b64 s[34:35], s[34:35], exec
	v_lshl_add_u64 v[24:25], v[68:69], 0, v[24:25]
	s_or_b64 s[52:53], s[52:53], s[34:35]
	s_branch .LBB29_133
.LBB29_153:                             ;   in Loop: Header=BB29_134 Depth=1
                                        ; implicit-def: $vgpr64
                                        ; implicit-def: $vgpr24_vgpr25
                                        ; implicit-def: $vgpr45
	s_cbranch_execz .LBB29_134
; %bb.154:
	s_and_saveexec_b64 s[34:35], s[28:29]
	s_cbranch_execz .LBB29_156
; %bb.155:
	s_mov_b32 s3, 0
	v_mov_b32_e32 v12, 0
	s_add_i32 s2, s2, 64
	v_cmp_eq_u32_sdwa vcc, v50, v12 src0_sel:BYTE_0 src1_sel:DWORD
	s_lshl_b64 s[36:37], s[2:3], 4
	v_and_b32_e32 v13, 1, v50
	v_cndmask_b32_e32 v9, 0, v21, vcc
	v_cndmask_b32_e32 v8, 0, v20, vcc
	s_add_u32 s36, s38, s36
	v_lshl_add_u64 v[8:9], v[8:9], 0, v[48:49]
	v_and_b32_e32 v24, 1, v44
	v_cmp_eq_u32_e32 vcc, 1, v13
	s_addc_u32 s37, s39, s37
	s_nop 0
	v_cndmask_b32_e64 v13, v24, 1, vcc
	global_store_dword v12, v8, s[36:37] sc1
	global_store_dword v12, v9, s[36:37] offset:4 sc1
	global_store_dword v12, v13, s[36:37] offset:8 sc1
	;; [unrolled: 1-line block ×3, first 2 shown]
	v_mov_b32_e32 v8, s2
	v_mov_b32_e32 v9, 2
	s_waitcnt vmcnt(0) lgkmcnt(0)
	global_store_byte v8, v9, s[40:41] sc1
.LBB29_156:
	s_or_b64 exec, exec, s[34:35]
	v_cmp_eq_u32_e32 vcc, 0, v0
	s_and_b64 exec, exec, vcc
	s_cbranch_execz .LBB29_158
; %bb.157:
	v_mov_b32_e32 v8, 0
	ds_write_b64 v8, v[20:21] offset:48
	ds_write_b8 v8, v44 offset:56
.LBB29_158:
	s_or_b64 exec, exec, s[48:49]
	s_waitcnt lgkmcnt(0)
	v_cndmask_b32_e64 v8, v41, v36, s[28:29]
	v_mov_b32_e32 v13, 0
	v_cndmask_b32_e64 v9, v40, v5, s[28:29]
	v_cndmask_b32_e64 v12, v37, v4, s[28:29]
	v_cmp_eq_u16_sdwa vcc, v1, v13 src0_sel:BYTE_0 src1_sel:DWORD
	v_and_b32_e32 v20, 1, v1
	v_and_b32_e32 v8, 1, v8
	s_barrier
	ds_read_b64 v[4:5], v13 offset:48
	v_cndmask_b32_e32 v12, 0, v12, vcc
	v_cndmask_b32_e32 v9, 0, v9, vcc
	v_cmp_eq_u32_e32 vcc, 1, v20
	v_cmp_eq_u32_e64 s[2:3], 1, v8
	s_or_b64 s[2:3], vcc, s[2:3]
	v_cmp_eq_u32_e32 vcc, 0, v0
	v_cndmask_b32_e64 v8, 0, 1, s[2:3]
	s_nop 0
	v_cndmask_b32_e32 v20, v8, v1, vcc
	v_cndmask_b32_e64 v9, v9, 0, vcc
	v_cndmask_b32_e64 v8, v12, 0, vcc
	v_cmp_eq_u16_sdwa vcc, v20, v13 src0_sel:BYTE_0 src1_sel:DWORD
	v_lshl_add_u64 v[8:9], v[8:9], 0, v[2:3]
	s_waitcnt lgkmcnt(0)
	v_cndmask_b32_e32 v5, 0, v5, vcc
	v_cndmask_b32_e32 v4, 0, v4, vcc
	v_lshl_add_u64 v[48:49], v[8:9], 0, v[4:5]
	v_cndmask_b32_e64 v5, 0, v49, s[30:31]
	v_cndmask_b32_e64 v4, 0, v48, s[30:31]
	v_lshl_add_u64 v[50:51], v[4:5], 0, v[14:15]
	v_cndmask_b32_e64 v5, 0, v51, s[4:5]
	v_cndmask_b32_e64 v4, 0, v50, s[4:5]
	;; [unrolled: 3-line block ×13, first 2 shown]
	v_lshl_add_u64 v[74:75], v[4:5], 0, v[16:17]
	s_branch .LBB29_189
.LBB29_159:
                                        ; implicit-def: $vgpr74_vgpr75
                                        ; implicit-def: $vgpr70_vgpr71
                                        ; implicit-def: $vgpr66_vgpr67
                                        ; implicit-def: $vgpr62_vgpr63
                                        ; implicit-def: $vgpr58_vgpr59
                                        ; implicit-def: $vgpr54_vgpr55
                                        ; implicit-def: $vgpr50_vgpr51
	s_cbranch_execz .LBB29_189
; %bb.160:
	s_cmp_lg_u64 s[60:61], 0
	s_cselect_b32 s5, s55, 0
	s_cselect_b32 s4, s54, 0
	s_cmp_lg_u64 s[4:5], 0
	s_cselect_b64 s[6:7], -1, 0
	v_cmp_eq_u32_e32 vcc, 0, v0
	v_cmp_ne_u32_e64 s[2:3], 0, v0
	s_and_b64 s[8:9], vcc, s[6:7]
	s_and_saveexec_b64 s[6:7], s[8:9]
	s_cbranch_execz .LBB29_162
; %bb.161:
	v_mov_b32_e32 v8, 0
	global_load_dwordx2 v[4:5], v8, s[4:5]
	global_load_ubyte v9, v8, s[4:5] offset:8
	v_cmp_eq_u16_sdwa s[4:5], v1, v8 src0_sel:BYTE_0 src1_sel:DWORD
	s_waitcnt vmcnt(0)
	v_or_b32_e32 v1, v1, v9
	v_cndmask_b32_e64 v5, 0, v5, s[4:5]
	v_cndmask_b32_e64 v4, 0, v4, s[4:5]
	v_lshl_add_u64 v[2:3], v[4:5], 0, v[2:3]
	v_and_b32_e32 v1, 1, v1
.LBB29_162:
	s_or_b64 exec, exec, s[6:7]
	v_mov_b32_e32 v9, 0
	v_cmp_eq_u16_sdwa s[4:5], v82, v9 src0_sel:BYTE_0 src1_sel:DWORD
	v_cmp_eq_u16_sdwa s[6:7], v81, v9 src0_sel:BYTE_0 src1_sel:DWORD
	v_cmp_eq_u16_sdwa s[8:9], v83, v9 src0_sel:BYTE_0 src1_sel:DWORD
	v_cndmask_b32_e64 v5, 0, v3, s[4:5]
	v_cndmask_b32_e64 v4, 0, v2, s[4:5]
	v_lshl_add_u64 v[50:51], v[4:5], 0, v[14:15]
	v_cndmask_b32_e64 v5, 0, v51, s[6:7]
	v_cndmask_b32_e64 v4, 0, v50, s[6:7]
	v_lshl_add_u64 v[52:53], v[4:5], 0, v[6:7]
	v_cndmask_b32_e64 v5, 0, v53, s[8:9]
	v_cndmask_b32_e64 v4, 0, v52, s[8:9]
	v_lshl_add_u64 v[54:55], v[4:5], 0, v[22:23]
	v_cmp_eq_u16_sdwa s[10:11], v84, v9 src0_sel:BYTE_0 src1_sel:DWORD
	v_cmp_eq_u16_sdwa s[12:13], v85, v9 src0_sel:BYTE_0 src1_sel:DWORD
	v_cmp_eq_u16_sdwa s[14:15], v86, v9 src0_sel:BYTE_0 src1_sel:DWORD
	v_cndmask_b32_e64 v5, 0, v55, s[10:11]
	v_cndmask_b32_e64 v4, 0, v54, s[10:11]
	v_lshl_add_u64 v[56:57], v[4:5], 0, v[10:11]
	v_cndmask_b32_e64 v5, 0, v57, s[12:13]
	v_cndmask_b32_e64 v4, 0, v56, s[12:13]
	v_lshl_add_u64 v[58:59], v[4:5], 0, v[30:31]
	v_cndmask_b32_e64 v5, 0, v59, s[14:15]
	v_cndmask_b32_e64 v4, 0, v58, s[14:15]
	v_lshl_add_u64 v[60:61], v[4:5], 0, v[18:19]
	;; [unrolled: 12-line block ×4, first 2 shown]
	v_cmp_eq_u16_sdwa s[28:29], v33, v9 src0_sel:BYTE_0 src1_sel:DWORD
	v_and_b32_e32 v8, 0xff, v1
	v_mbcnt_hi_u32_b32 v12, -1, v28
	v_cndmask_b32_e64 v5, 0, v73, s[28:29]
	v_cndmask_b32_e64 v4, 0, v72, s[28:29]
	v_lshl_add_u64 v[74:75], v[4:5], 0, v[16:17]
	v_or_b32_e32 v4, v29, v90
	v_or_b32_e32 v4, v4, v89
	;; [unrolled: 1-line block ×10, first 2 shown]
	v_and_b32_e32 v4, 1, v4
	v_cmp_eq_u32_e64 s[30:31], 1, v4
	v_and_b32_e32 v20, 15, v12
	v_mov_b32_dpp v24, v74 row_shr:1 row_mask:0xf bank_mask:0xf
	v_cndmask_b32_e64 v13, v8, 1, s[30:31]
	v_mov_b32_dpp v25, v75 row_shr:1 row_mask:0xf bank_mask:0xf
	v_cmp_ne_u32_e64 s[30:31], 0, v20
	v_mov_b32_dpp v21, v13 row_shr:1 row_mask:0xf bank_mask:0xf
	v_mov_b64_e32 v[4:5], v[74:75]
	v_mov_b32_e32 v9, v75
	v_mov_b32_e32 v8, v74
	s_and_saveexec_b64 s[34:35], s[30:31]
; %bb.163:
	v_cmp_eq_u32_e64 s[30:31], 0, v13
	v_and_or_b32 v13, v21, 1, v13
	s_nop 0
	v_cndmask_b32_e64 v5, 0, v25, s[30:31]
	v_cndmask_b32_e64 v4, 0, v24, s[30:31]
	v_lshl_add_u64 v[4:5], v[74:75], 0, v[4:5]
	v_mov_b32_e32 v9, v5
	v_mov_b32_e32 v8, v4
; %bb.164:
	s_or_b64 exec, exec, s[34:35]
	s_nop 0
	v_mov_b32_dpp v24, v8 row_shr:2 row_mask:0xf bank_mask:0xf
	v_mov_b32_dpp v25, v9 row_shr:2 row_mask:0xf bank_mask:0xf
	v_mov_b32_dpp v21, v13 row_shr:2 row_mask:0xf bank_mask:0xf
	v_cmp_lt_u32_e64 s[30:31], 1, v20
	s_and_saveexec_b64 s[34:35], s[30:31]
; %bb.165:
	v_cmp_eq_u32_e64 s[30:31], 0, v13
	s_nop 1
	v_cndmask_b32_e64 v9, 0, v25, s[30:31]
	v_cndmask_b32_e64 v8, 0, v24, s[30:31]
	v_lshl_add_u64 v[8:9], v[8:9], 0, v[4:5]
	v_or_b32_e32 v4, v21, v13
	v_and_b32_e32 v13, 1, v4
	v_mov_b64_e32 v[4:5], v[8:9]
; %bb.166:
	s_or_b64 exec, exec, s[34:35]
	v_mov_b32_dpp v24, v8 row_shr:4 row_mask:0xf bank_mask:0xf
	v_mov_b32_dpp v25, v9 row_shr:4 row_mask:0xf bank_mask:0xf
	v_mov_b32_dpp v21, v13 row_shr:4 row_mask:0xf bank_mask:0xf
	v_cmp_lt_u32_e64 s[30:31], 3, v20
	s_and_saveexec_b64 s[34:35], s[30:31]
; %bb.167:
	v_cmp_eq_u32_e64 s[30:31], 0, v13
	s_nop 1
	v_cndmask_b32_e64 v9, 0, v25, s[30:31]
	v_cndmask_b32_e64 v8, 0, v24, s[30:31]
	v_lshl_add_u64 v[8:9], v[8:9], 0, v[4:5]
	v_or_b32_e32 v4, v21, v13
	v_and_b32_e32 v13, 1, v4
	v_mov_b64_e32 v[4:5], v[8:9]
; %bb.168:
	s_or_b64 exec, exec, s[34:35]
	;; [unrolled: 16-line block ×3, first 2 shown]
	v_and_b32_e32 v25, 16, v12
	v_mov_b32_dpp v21, v8 row_bcast:15 row_mask:0xf bank_mask:0xf
	v_mov_b32_dpp v24, v9 row_bcast:15 row_mask:0xf bank_mask:0xf
	;; [unrolled: 1-line block ×3, first 2 shown]
	v_cmp_ne_u32_e64 s[30:31], 0, v25
	s_and_saveexec_b64 s[34:35], s[30:31]
; %bb.171:
	v_cmp_eq_u32_e64 s[30:31], 0, v13
	s_nop 1
	v_cndmask_b32_e64 v9, 0, v24, s[30:31]
	v_cndmask_b32_e64 v8, 0, v21, s[30:31]
	v_lshl_add_u64 v[4:5], v[8:9], 0, v[4:5]
	v_or_b32_e32 v8, v20, v13
	v_and_b32_e32 v13, 1, v8
	v_mov_b32_e32 v9, v5
	v_mov_b32_e32 v8, v4
; %bb.172:
	s_or_b64 exec, exec, s[34:35]
	s_nop 0
	v_mov_b32_dpp v20, v8 row_bcast:31 row_mask:0xf bank_mask:0xf
	v_mov_b32_dpp v21, v9 row_bcast:31 row_mask:0xf bank_mask:0xf
	;; [unrolled: 1-line block ×3, first 2 shown]
	v_cmp_lt_u32_e64 s[30:31], 31, v12
	v_mov_b32_e32 v8, v13
	s_and_saveexec_b64 s[34:35], s[30:31]
; %bb.173:
	v_cmp_eq_u32_e64 s[30:31], 0, v13
	v_or_b32_e32 v9, v9, v13
	v_and_b32_e32 v8, 1, v9
	v_cndmask_b32_e64 v21, 0, v21, s[30:31]
	v_cndmask_b32_e64 v20, 0, v20, s[30:31]
	v_lshl_add_u64 v[4:5], v[20:21], 0, v[4:5]
	v_and_b32_e32 v13, 1, v9
; %bb.174:
	s_or_b64 exec, exec, s[34:35]
	v_or_b32_e32 v9, 63, v0
	v_lshrrev_b32_e32 v20, 6, v0
	v_cmp_eq_u32_e64 s[30:31], v9, v0
	s_and_saveexec_b64 s[34:35], s[30:31]
	s_cbranch_execz .LBB29_176
; %bb.175:
	v_lshlrev_b32_e32 v9, 4, v20
	ds_write_b64 v9, v[4:5]
	ds_write_b8 v9, v8 offset:8
.LBB29_176:
	s_or_b64 exec, exec, s[34:35]
	v_cmp_gt_u32_e64 s[30:31], 4, v0
	s_waitcnt lgkmcnt(0)
	s_barrier
	s_and_saveexec_b64 s[36:37], s[30:31]
	s_cbranch_execz .LBB29_182
; %bb.177:
	v_lshlrev_b32_e32 v21, 4, v0
	ds_read_b64 v[8:9], v21
	ds_read_b32 v24, v21 offset:8
	v_and_b32_e32 v25, 3, v12
	v_cmp_ne_u32_e64 s[30:31], 0, v25
	s_waitcnt lgkmcnt(1)
	v_mov_b32_dpp v36, v8 row_shr:1 row_mask:0xf bank_mask:0xf
	v_mov_b32_dpp v37, v9 row_shr:1 row_mask:0xf bank_mask:0xf
	s_waitcnt lgkmcnt(0)
	v_mov_b32_dpp v33, v24 row_shr:1 row_mask:0xf bank_mask:0xf
	v_mov_b32_e32 v28, v24
	v_mov_b32_e32 v29, v24
	s_and_saveexec_b64 s[34:35], s[30:31]
; %bb.178:
	v_mov_b32_e32 v28, 0
	v_cmp_eq_u16_sdwa s[30:31], v24, v28 src0_sel:BYTE_0 src1_sel:DWORD
	s_nop 1
	v_cndmask_b32_e64 v29, 0, v37, s[30:31]
	v_cndmask_b32_e64 v28, 0, v36, s[30:31]
	v_lshl_add_u64 v[8:9], v[28:29], 0, v[8:9]
	v_or_b32_e32 v29, v33, v24
	v_and_b32_e32 v28, 1, v29
	v_and_b32_e32 v29, 1, v29
	s_movk_i32 s30, 0xff00
	v_and_or_b32 v24, v24, s30, v29
; %bb.179:
	s_or_b64 exec, exec, s[34:35]
	v_mov_b32_dpp v33, v8 row_shr:2 row_mask:0xf bank_mask:0xf
	v_mov_b32_dpp v36, v9 row_shr:2 row_mask:0xf bank_mask:0xf
	;; [unrolled: 1-line block ×3, first 2 shown]
	v_cmp_lt_u32_e64 s[30:31], 1, v25
	s_and_saveexec_b64 s[48:49], s[30:31]
; %bb.180:
	v_mov_b32_e32 v25, 0
	v_cmp_eq_u16_sdwa s[30:31], v29, v25 src0_sel:BYTE_0 src1_sel:DWORD
	v_and_b32_e32 v25, 1, v29
	v_and_b32_e32 v24, 1, v24
	v_cndmask_b32_e64 v37, 0, v36, s[30:31]
	v_cndmask_b32_e64 v36, 0, v33, s[30:31]
	v_cmp_eq_u32_e64 s[30:31], 1, v25
	v_cmp_eq_u32_e64 s[34:35], 1, v24
	s_or_b64 s[30:31], s[30:31], s[34:35]
	v_lshl_add_u64 v[8:9], v[36:37], 0, v[8:9]
	v_cndmask_b32_e64 v28, 0, 1, s[30:31]
; %bb.181:
	s_or_b64 exec, exec, s[48:49]
	ds_write_b64 v21, v[8:9]
	ds_write_b8 v21, v28 offset:8
.LBB29_182:
	s_or_b64 exec, exec, s[36:37]
	v_cmp_lt_u32_e64 s[30:31], 63, v0
	v_mov_b64_e32 v[8:9], 0
	s_waitcnt lgkmcnt(0)
	s_barrier
	s_and_saveexec_b64 s[34:35], s[30:31]
	s_cbranch_execz .LBB29_184
; %bb.183:
	v_lshl_add_u32 v8, v20, 4, -16
	ds_read_b64 v[8:9], v8
	v_cmp_eq_u32_e64 s[30:31], 0, v13
	s_waitcnt lgkmcnt(0)
	s_nop 0
	v_cndmask_b32_e64 v21, 0, v9, s[30:31]
	v_cndmask_b32_e64 v20, 0, v8, s[30:31]
	v_lshl_add_u64 v[4:5], v[20:21], 0, v[4:5]
.LBB29_184:
	s_or_b64 exec, exec, s[34:35]
	v_add_u32_e32 v13, -1, v12
	v_and_b32_e32 v20, 64, v12
	v_cmp_lt_i32_e64 s[30:31], v13, v20
	s_nop 1
	v_cndmask_b32_e64 v13, v13, v12, s[30:31]
	v_lshlrev_b32_e32 v13, 2, v13
	ds_bpermute_b32 v4, v13, v4
	ds_bpermute_b32 v5, v13, v5
	s_and_saveexec_b64 s[30:31], s[2:3]
	s_cbranch_execz .LBB29_186
; %bb.185:
	v_cmp_eq_u32_e64 s[2:3], 0, v12
	;;#ASMSTART
	;;#ASMEND
	s_waitcnt lgkmcnt(1)
	s_nop 0
	v_cndmask_b32_e64 v4, v4, v8, s[2:3]
	v_mov_b32_e32 v8, 0
	s_waitcnt lgkmcnt(0)
	v_cndmask_b32_e64 v5, v5, v9, s[2:3]
	v_cmp_eq_u16_sdwa s[2:3], v1, v8 src0_sel:BYTE_0 src1_sel:DWORD
	s_nop 1
	v_cndmask_b32_e64 v5, 0, v5, s[2:3]
	v_cndmask_b32_e64 v4, 0, v4, s[2:3]
	v_lshl_add_u64 v[2:3], v[4:5], 0, v[2:3]
	v_cndmask_b32_e64 v5, 0, v3, s[4:5]
	v_cndmask_b32_e64 v4, 0, v2, s[4:5]
	v_lshl_add_u64 v[50:51], v[4:5], 0, v[14:15]
	v_cndmask_b32_e64 v5, 0, v51, s[6:7]
	v_cndmask_b32_e64 v4, 0, v50, s[6:7]
	v_lshl_add_u64 v[52:53], v[4:5], 0, v[6:7]
	v_cndmask_b32_e64 v5, 0, v53, s[8:9]
	v_cndmask_b32_e64 v4, 0, v52, s[8:9]
	v_lshl_add_u64 v[54:55], v[4:5], 0, v[22:23]
	v_cndmask_b32_e64 v5, 0, v55, s[10:11]
	v_cndmask_b32_e64 v4, 0, v54, s[10:11]
	v_lshl_add_u64 v[56:57], v[4:5], 0, v[10:11]
	v_cndmask_b32_e64 v5, 0, v57, s[12:13]
	v_cndmask_b32_e64 v4, 0, v56, s[12:13]
	v_lshl_add_u64 v[58:59], v[4:5], 0, v[30:31]
	v_cndmask_b32_e64 v5, 0, v59, s[14:15]
	v_cndmask_b32_e64 v4, 0, v58, s[14:15]
	v_lshl_add_u64 v[60:61], v[4:5], 0, v[18:19]
	v_cndmask_b32_e64 v5, 0, v61, s[16:17]
	v_cndmask_b32_e64 v4, 0, v60, s[16:17]
	v_lshl_add_u64 v[62:63], v[4:5], 0, v[38:39]
	v_cndmask_b32_e64 v5, 0, v63, s[18:19]
	v_cndmask_b32_e64 v4, 0, v62, s[18:19]
	v_lshl_add_u64 v[64:65], v[4:5], 0, v[26:27]
	v_cndmask_b32_e64 v5, 0, v65, s[20:21]
	v_cndmask_b32_e64 v4, 0, v64, s[20:21]
	v_lshl_add_u64 v[66:67], v[4:5], 0, v[42:43]
	v_cndmask_b32_e64 v5, 0, v67, s[22:23]
	v_cndmask_b32_e64 v4, 0, v66, s[22:23]
	v_lshl_add_u64 v[68:69], v[4:5], 0, v[34:35]
	v_cndmask_b32_e64 v5, 0, v69, s[24:25]
	v_cndmask_b32_e64 v4, 0, v68, s[24:25]
	v_lshl_add_u64 v[70:71], v[4:5], 0, v[46:47]
	v_cndmask_b32_e64 v5, 0, v71, s[26:27]
	v_cndmask_b32_e64 v4, 0, v70, s[26:27]
	v_lshl_add_u64 v[72:73], v[4:5], 0, v[78:79]
	v_cndmask_b32_e64 v5, 0, v73, s[28:29]
	v_cndmask_b32_e64 v4, 0, v72, s[28:29]
	v_lshl_add_u64 v[74:75], v[4:5], 0, v[16:17]
.LBB29_186:
	s_or_b64 exec, exec, s[30:31]
	s_and_saveexec_b64 s[2:3], vcc
	s_cbranch_execz .LBB29_188
; %bb.187:
	v_mov_b32_e32 v1, 0
	s_waitcnt lgkmcnt(0)
	ds_read_b64 v[4:5], v1 offset:48
	ds_read_u8 v6, v1 offset:56
	s_waitcnt lgkmcnt(1)
	global_store_dword v1, v4, s[38:39] offset:1024 sc1
	global_store_dword v1, v5, s[38:39] offset:1028 sc1
	s_waitcnt lgkmcnt(0)
	global_store_dword v1, v6, s[38:39] offset:1032 sc1
	global_store_dword v1, v1, s[38:39] offset:1036 sc1
	v_mov_b32_e32 v4, 2
	s_waitcnt vmcnt(0)
	global_store_byte v1, v4, s[40:41] offset:64 sc1
.LBB29_188:
	s_or_b64 exec, exec, s[2:3]
	v_mov_b64_e32 v[48:49], v[2:3]
.LBB29_189:
	s_add_u32 s2, s50, s46
	s_addc_u32 s3, s51, s47
	s_add_u32 s2, s2, s44
	v_mul_u32_u24_e32 v1, 14, v0
	s_addc_u32 s3, s3, s45
	s_and_b64 vcc, exec, s[0:1]
	v_lshlrev_b32_e32 v30, 3, v1
	s_cbranch_vccz .LBB29_217
; %bb.190:
	s_movk_i32 s0, 0xff98
	v_mad_i32_i24 v1, v0, s0, v30
	s_waitcnt lgkmcnt(0)
	s_barrier
	ds_write_b128 v30, v[48:51]
	ds_write_b128 v30, v[52:55] offset:16
	ds_write_b128 v30, v[56:59] offset:32
	;; [unrolled: 1-line block ×6, first 2 shown]
	s_waitcnt lgkmcnt(0)
	s_barrier
	ds_read2st64_b64 v[26:29], v1 offset0:4 offset1:8
	ds_read2st64_b64 v[22:25], v1 offset0:12 offset1:16
	ds_read2st64_b64 v[18:21], v1 offset0:20 offset1:24
	ds_read2st64_b64 v[14:17], v1 offset0:28 offset1:32
	ds_read2st64_b64 v[10:13], v1 offset0:36 offset1:40
	ds_read2st64_b64 v[6:9], v1 offset0:44 offset1:48
	ds_read_b64 v[4:5], v1 offset:26624
	s_add_i32 s33, s33, s42
	v_mov_b32_e32 v33, 0
	v_lshl_add_u64 v[2:3], s[2:3], 0, v[32:33]
	v_cmp_gt_u32_e32 vcc, s33, v0
	s_and_saveexec_b64 s[0:1], vcc
	s_cbranch_execz .LBB29_192
; %bb.191:
	v_mul_i32_i24_e32 v1, 0xffffff98, v0
	v_add_u32_e32 v1, v30, v1
	ds_read_b64 v[34:35], v1
	s_waitcnt lgkmcnt(0)
	flat_store_dwordx2 v[2:3], v[34:35]
.LBB29_192:
	s_or_b64 exec, exec, s[0:1]
	v_or_b32_e32 v1, 0x100, v0
	v_cmp_gt_u32_e32 vcc, s33, v1
	s_and_saveexec_b64 s[0:1], vcc
	s_cbranch_execz .LBB29_194
; %bb.193:
	s_waitcnt lgkmcnt(0)
	flat_store_dwordx2 v[2:3], v[26:27] offset:2048
.LBB29_194:
	s_or_b64 exec, exec, s[0:1]
	v_or_b32_e32 v1, 0x200, v0
	v_cmp_gt_u32_e32 vcc, s33, v1
	s_and_saveexec_b64 s[0:1], vcc
	s_cbranch_execz .LBB29_196
; %bb.195:
	s_waitcnt lgkmcnt(0)
	v_add_co_u32_e32 v26, vcc, 0x1000, v2
	s_nop 1
	v_addc_co_u32_e32 v27, vcc, 0, v3, vcc
	flat_store_dwordx2 v[26:27], v[28:29]
.LBB29_196:
	s_or_b64 exec, exec, s[0:1]
	v_or_b32_e32 v1, 0x300, v0
	v_cmp_gt_u32_e32 vcc, s33, v1
	s_and_saveexec_b64 s[0:1], vcc
	s_cbranch_execz .LBB29_198
; %bb.197:
	s_waitcnt lgkmcnt(0)
	v_add_co_u32_e32 v26, vcc, 0x1000, v2
	s_nop 1
	v_addc_co_u32_e32 v27, vcc, 0, v3, vcc
	flat_store_dwordx2 v[26:27], v[22:23] offset:2048
.LBB29_198:
	s_or_b64 exec, exec, s[0:1]
	v_or_b32_e32 v1, 0x400, v0
	v_cmp_gt_u32_e32 vcc, s33, v1
	s_and_saveexec_b64 s[0:1], vcc
	s_cbranch_execz .LBB29_200
; %bb.199:
	s_waitcnt lgkmcnt(0)
	v_add_co_u32_e32 v22, vcc, 0x2000, v2
	s_nop 1
	v_addc_co_u32_e32 v23, vcc, 0, v3, vcc
	flat_store_dwordx2 v[22:23], v[24:25]
.LBB29_200:
	s_or_b64 exec, exec, s[0:1]
	v_or_b32_e32 v1, 0x500, v0
	v_cmp_gt_u32_e32 vcc, s33, v1
	s_and_saveexec_b64 s[0:1], vcc
	s_cbranch_execz .LBB29_202
; %bb.201:
	s_waitcnt lgkmcnt(0)
	v_add_co_u32_e32 v22, vcc, 0x2000, v2
	s_nop 1
	v_addc_co_u32_e32 v23, vcc, 0, v3, vcc
	flat_store_dwordx2 v[22:23], v[18:19] offset:2048
.LBB29_202:
	;; [unrolled: 24-line block ×5, first 2 shown]
	s_or_b64 exec, exec, s[0:1]
	v_or_b32_e32 v1, 0xc00, v0
	v_cmp_gt_u32_e32 vcc, s33, v1
	s_and_saveexec_b64 s[0:1], vcc
	s_cbranch_execz .LBB29_216
; %bb.215:
	v_add_co_u32_e32 v2, vcc, 0x6000, v2
	s_nop 1
	v_addc_co_u32_e32 v3, vcc, 0, v3, vcc
	s_waitcnt lgkmcnt(0)
	flat_store_dwordx2 v[2:3], v[8:9]
.LBB29_216:
	s_or_b64 exec, exec, s[0:1]
	v_or_b32_e32 v2, 0xd00, v0
	v_mov_b32_e32 v1, v33
	v_cmp_gt_u32_e64 s[0:1], s33, v2
	s_branch .LBB29_219
.LBB29_217:
	s_mov_b64 s[0:1], 0
                                        ; implicit-def: $vgpr4_vgpr5
	s_cbranch_execz .LBB29_219
; %bb.218:
	v_mov_b32_e32 v1, 0
	s_movk_i32 s4, 0xff98
	v_mad_i32_i24 v2, v0, s4, v30
	v_mov_b32_e32 v33, v1
	s_waitcnt lgkmcnt(0)
	s_barrier
	ds_write_b128 v30, v[48:51]
	ds_write_b128 v30, v[52:55] offset:16
	ds_write_b128 v30, v[56:59] offset:32
	;; [unrolled: 1-line block ×6, first 2 shown]
	s_waitcnt lgkmcnt(0)
	s_barrier
	ds_read2st64_b64 v[6:9], v2 offset1:4
	ds_read2st64_b64 v[10:13], v2 offset0:8 offset1:12
	ds_read2st64_b64 v[14:17], v2 offset0:16 offset1:20
	;; [unrolled: 1-line block ×6, first 2 shown]
	v_lshl_add_u64 v[30:31], s[2:3], 0, v[32:33]
	s_movk_i32 s4, 0x1000
	s_waitcnt lgkmcnt(0)
	flat_store_dwordx2 v[30:31], v[6:7]
	flat_store_dwordx2 v[30:31], v[8:9] offset:2048
	v_add_co_u32_e32 v6, vcc, s4, v30
	s_movk_i32 s4, 0x2000
	s_nop 0
	v_addc_co_u32_e32 v7, vcc, 0, v31, vcc
	flat_store_dwordx2 v[6:7], v[10:11]
	flat_store_dwordx2 v[6:7], v[12:13] offset:2048
	v_add_co_u32_e32 v6, vcc, s4, v30
	s_movk_i32 s4, 0x3000
	s_nop 0
	v_addc_co_u32_e32 v7, vcc, 0, v31, vcc
	;; [unrolled: 6-line block ×3, first 2 shown]
	flat_store_dwordx2 v[6:7], v[18:19]
	flat_store_dwordx2 v[6:7], v[20:21] offset:2048
	v_add_co_u32_e32 v6, vcc, s4, v30
	s_or_b64 s[0:1], s[0:1], exec
	s_nop 0
	v_addc_co_u32_e32 v7, vcc, 0, v31, vcc
	flat_store_dwordx2 v[6:7], v[22:23]
	flat_store_dwordx2 v[6:7], v[24:25] offset:2048
	v_add_co_u32_e32 v6, vcc, 0x5000, v30
	s_nop 1
	v_addc_co_u32_e32 v7, vcc, 0, v31, vcc
	flat_store_dwordx2 v[6:7], v[26:27]
	flat_store_dwordx2 v[6:7], v[28:29] offset:2048
	v_add_co_u32_e32 v6, vcc, 0x6000, v30
	s_nop 1
	v_addc_co_u32_e32 v7, vcc, 0, v31, vcc
	flat_store_dwordx2 v[6:7], v[2:3]
.LBB29_219:
	s_and_saveexec_b64 s[4:5], s[0:1]
	s_cbranch_execnz .LBB29_221
; %bb.220:
	s_endpgm
.LBB29_221:
	v_lshl_add_u64 v[0:1], v[0:1], 3, s[2:3]
	v_add_co_u32_e32 v0, vcc, 0x6000, v0
	s_nop 1
	v_addc_co_u32_e32 v1, vcc, 0, v1, vcc
	s_waitcnt lgkmcnt(0)
	flat_store_dwordx2 v[0:1], v[4:5] offset:2048
	s_endpgm
.LBB29_222:
	v_lshl_add_u64 v[6:7], s[34:35], 0, v[2:3]
	flat_load_dwordx2 v[6:7], v[6:7]
	s_or_b64 exec, exec, s[52:53]
                                        ; implicit-def: $vgpr8_vgpr9
	s_and_saveexec_b64 s[30:31], s[4:5]
	s_cbranch_execz .LBB29_37
.LBB29_223:
	v_mov_b32_e32 v3, 0
	v_lshl_add_u64 v[8:9], s[34:35], 0, v[2:3]
	flat_load_dwordx2 v[8:9], v[8:9] offset:2048
	s_or_b64 exec, exec, s[30:31]
                                        ; implicit-def: $vgpr10_vgpr11
	s_and_saveexec_b64 s[4:5], s[6:7]
	s_cbranch_execz .LBB29_38
.LBB29_224:
	v_lshlrev_b32_e32 v10, 3, v1
	v_mov_b32_e32 v11, 0
	v_lshl_add_u64 v[10:11], s[34:35], 0, v[10:11]
	flat_load_dwordx2 v[10:11], v[10:11]
	s_or_b64 exec, exec, s[4:5]
                                        ; implicit-def: $vgpr12_vgpr13
	s_and_saveexec_b64 s[4:5], s[8:9]
	s_cbranch_execz .LBB29_39
.LBB29_225:
	v_lshlrev_b32_e32 v12, 3, v32
	v_mov_b32_e32 v13, 0
	v_lshl_add_u64 v[12:13], s[34:35], 0, v[12:13]
	flat_load_dwordx2 v[12:13], v[12:13]
	s_or_b64 exec, exec, s[4:5]
                                        ; implicit-def: $vgpr14_vgpr15
	s_and_saveexec_b64 s[4:5], s[10:11]
	s_cbranch_execz .LBB29_40
.LBB29_226:
	v_lshlrev_b32_e32 v14, 3, v33
	v_mov_b32_e32 v15, 0
	v_lshl_add_u64 v[14:15], s[34:35], 0, v[14:15]
	flat_load_dwordx2 v[14:15], v[14:15]
	s_or_b64 exec, exec, s[4:5]
                                        ; implicit-def: $vgpr16_vgpr17
	s_and_saveexec_b64 s[4:5], s[12:13]
	s_cbranch_execz .LBB29_41
.LBB29_227:
	v_lshlrev_b32_e32 v16, 3, v34
	v_mov_b32_e32 v17, 0
	v_lshl_add_u64 v[16:17], s[34:35], 0, v[16:17]
	flat_load_dwordx2 v[16:17], v[16:17]
	s_or_b64 exec, exec, s[4:5]
                                        ; implicit-def: $vgpr18_vgpr19
	s_and_saveexec_b64 s[4:5], s[14:15]
	s_cbranch_execz .LBB29_42
.LBB29_228:
	v_lshlrev_b32_e32 v18, 3, v35
	v_mov_b32_e32 v19, 0
	v_lshl_add_u64 v[18:19], s[34:35], 0, v[18:19]
	flat_load_dwordx2 v[18:19], v[18:19]
	s_or_b64 exec, exec, s[4:5]
                                        ; implicit-def: $vgpr20_vgpr21
	s_and_saveexec_b64 s[4:5], s[16:17]
	s_cbranch_execz .LBB29_43
.LBB29_229:
	v_lshlrev_b32_e32 v20, 3, v37
	v_mov_b32_e32 v21, 0
	v_lshl_add_u64 v[20:21], s[34:35], 0, v[20:21]
	flat_load_dwordx2 v[20:21], v[20:21]
	s_or_b64 exec, exec, s[4:5]
                                        ; implicit-def: $vgpr22_vgpr23
	s_and_saveexec_b64 s[4:5], s[18:19]
	s_cbranch_execz .LBB29_44
.LBB29_230:
	v_lshlrev_b32_e32 v22, 3, v38
	v_mov_b32_e32 v23, 0
	v_lshl_add_u64 v[22:23], s[34:35], 0, v[22:23]
	flat_load_dwordx2 v[22:23], v[22:23]
	s_or_b64 exec, exec, s[4:5]
                                        ; implicit-def: $vgpr24_vgpr25
	s_and_saveexec_b64 s[4:5], s[20:21]
	s_cbranch_execz .LBB29_45
.LBB29_231:
	v_lshlrev_b32_e32 v24, 3, v39
	v_mov_b32_e32 v25, 0
	v_lshl_add_u64 v[24:25], s[34:35], 0, v[24:25]
	flat_load_dwordx2 v[24:25], v[24:25]
	s_or_b64 exec, exec, s[4:5]
                                        ; implicit-def: $vgpr26_vgpr27
	s_and_saveexec_b64 s[4:5], s[22:23]
	s_cbranch_execz .LBB29_46
.LBB29_232:
	v_lshlrev_b32_e32 v26, 3, v40
	v_mov_b32_e32 v27, 0
	v_lshl_add_u64 v[26:27], s[34:35], 0, v[26:27]
	flat_load_dwordx2 v[26:27], v[26:27]
	s_or_b64 exec, exec, s[4:5]
                                        ; implicit-def: $vgpr28_vgpr29
	s_and_saveexec_b64 s[4:5], s[24:25]
	s_cbranch_execz .LBB29_47
.LBB29_233:
	v_lshlrev_b32_e32 v28, 3, v41
	v_mov_b32_e32 v29, 0
	v_lshl_add_u64 v[28:29], s[34:35], 0, v[28:29]
	flat_load_dwordx2 v[28:29], v[28:29]
	s_or_b64 exec, exec, s[4:5]
                                        ; implicit-def: $vgpr30_vgpr31
	s_and_saveexec_b64 s[4:5], s[26:27]
	s_cbranch_execz .LBB29_48
.LBB29_234:
	v_lshlrev_b32_e32 v30, 3, v42
	v_mov_b32_e32 v31, 0
	v_lshl_add_u64 v[30:31], s[34:35], 0, v[30:31]
	flat_load_dwordx2 v[30:31], v[30:31]
	s_or_b64 exec, exec, s[4:5]
                                        ; implicit-def: $vgpr32_vgpr33
	s_and_saveexec_b64 s[4:5], s[28:29]
	s_cbranch_execnz .LBB29_49
	s_branch .LBB29_50
.LBB29_235:
                                        ; implicit-def: $sgpr52_sgpr53
	s_branch .LBB29_32
.LBB29_236:
                                        ; implicit-def: $sgpr4_sgpr5
	s_branch .LBB29_81
	.section	.rodata,"a",@progbits
	.p2align	6, 0x0
	.amdhsa_kernel _ZN7rocprim17ROCPRIM_400000_NS6detail17trampoline_kernelINS0_14default_configENS1_27scan_by_key_config_selectorIxxEEZZNS1_16scan_by_key_implILNS1_25lookback_scan_determinismE0ELb0ES3_N6thrust23THRUST_200600_302600_NS6detail15normal_iteratorINS9_10device_ptrIxEEEESE_SE_xNS9_4plusIvEENS9_8equal_toIvEExEE10hipError_tPvRmT2_T3_T4_T5_mT6_T7_P12ihipStream_tbENKUlT_T0_E_clISt17integral_constantIbLb1EESY_IbLb0EEEEDaSU_SV_EUlSU_E_NS1_11comp_targetILNS1_3genE5ELNS1_11target_archE942ELNS1_3gpuE9ELNS1_3repE0EEENS1_30default_config_static_selectorELNS0_4arch9wavefront6targetE1EEEvT1_
		.amdhsa_group_segment_fixed_size 32768
		.amdhsa_private_segment_fixed_size 0
		.amdhsa_kernarg_size 136
		.amdhsa_user_sgpr_count 2
		.amdhsa_user_sgpr_dispatch_ptr 0
		.amdhsa_user_sgpr_queue_ptr 0
		.amdhsa_user_sgpr_kernarg_segment_ptr 1
		.amdhsa_user_sgpr_dispatch_id 0
		.amdhsa_user_sgpr_kernarg_preload_length 0
		.amdhsa_user_sgpr_kernarg_preload_offset 0
		.amdhsa_user_sgpr_private_segment_size 0
		.amdhsa_uses_dynamic_stack 0
		.amdhsa_enable_private_segment 0
		.amdhsa_system_sgpr_workgroup_id_x 1
		.amdhsa_system_sgpr_workgroup_id_y 0
		.amdhsa_system_sgpr_workgroup_id_z 0
		.amdhsa_system_sgpr_workgroup_info 0
		.amdhsa_system_vgpr_workitem_id 0
		.amdhsa_next_free_vgpr 92
		.amdhsa_next_free_sgpr 66
		.amdhsa_accum_offset 92
		.amdhsa_reserve_vcc 1
		.amdhsa_float_round_mode_32 0
		.amdhsa_float_round_mode_16_64 0
		.amdhsa_float_denorm_mode_32 3
		.amdhsa_float_denorm_mode_16_64 3
		.amdhsa_dx10_clamp 1
		.amdhsa_ieee_mode 1
		.amdhsa_fp16_overflow 0
		.amdhsa_tg_split 0
		.amdhsa_exception_fp_ieee_invalid_op 0
		.amdhsa_exception_fp_denorm_src 0
		.amdhsa_exception_fp_ieee_div_zero 0
		.amdhsa_exception_fp_ieee_overflow 0
		.amdhsa_exception_fp_ieee_underflow 0
		.amdhsa_exception_fp_ieee_inexact 0
		.amdhsa_exception_int_div_zero 0
	.end_amdhsa_kernel
	.section	.text._ZN7rocprim17ROCPRIM_400000_NS6detail17trampoline_kernelINS0_14default_configENS1_27scan_by_key_config_selectorIxxEEZZNS1_16scan_by_key_implILNS1_25lookback_scan_determinismE0ELb0ES3_N6thrust23THRUST_200600_302600_NS6detail15normal_iteratorINS9_10device_ptrIxEEEESE_SE_xNS9_4plusIvEENS9_8equal_toIvEExEE10hipError_tPvRmT2_T3_T4_T5_mT6_T7_P12ihipStream_tbENKUlT_T0_E_clISt17integral_constantIbLb1EESY_IbLb0EEEEDaSU_SV_EUlSU_E_NS1_11comp_targetILNS1_3genE5ELNS1_11target_archE942ELNS1_3gpuE9ELNS1_3repE0EEENS1_30default_config_static_selectorELNS0_4arch9wavefront6targetE1EEEvT1_,"axG",@progbits,_ZN7rocprim17ROCPRIM_400000_NS6detail17trampoline_kernelINS0_14default_configENS1_27scan_by_key_config_selectorIxxEEZZNS1_16scan_by_key_implILNS1_25lookback_scan_determinismE0ELb0ES3_N6thrust23THRUST_200600_302600_NS6detail15normal_iteratorINS9_10device_ptrIxEEEESE_SE_xNS9_4plusIvEENS9_8equal_toIvEExEE10hipError_tPvRmT2_T3_T4_T5_mT6_T7_P12ihipStream_tbENKUlT_T0_E_clISt17integral_constantIbLb1EESY_IbLb0EEEEDaSU_SV_EUlSU_E_NS1_11comp_targetILNS1_3genE5ELNS1_11target_archE942ELNS1_3gpuE9ELNS1_3repE0EEENS1_30default_config_static_selectorELNS0_4arch9wavefront6targetE1EEEvT1_,comdat
.Lfunc_end29:
	.size	_ZN7rocprim17ROCPRIM_400000_NS6detail17trampoline_kernelINS0_14default_configENS1_27scan_by_key_config_selectorIxxEEZZNS1_16scan_by_key_implILNS1_25lookback_scan_determinismE0ELb0ES3_N6thrust23THRUST_200600_302600_NS6detail15normal_iteratorINS9_10device_ptrIxEEEESE_SE_xNS9_4plusIvEENS9_8equal_toIvEExEE10hipError_tPvRmT2_T3_T4_T5_mT6_T7_P12ihipStream_tbENKUlT_T0_E_clISt17integral_constantIbLb1EESY_IbLb0EEEEDaSU_SV_EUlSU_E_NS1_11comp_targetILNS1_3genE5ELNS1_11target_archE942ELNS1_3gpuE9ELNS1_3repE0EEENS1_30default_config_static_selectorELNS0_4arch9wavefront6targetE1EEEvT1_, .Lfunc_end29-_ZN7rocprim17ROCPRIM_400000_NS6detail17trampoline_kernelINS0_14default_configENS1_27scan_by_key_config_selectorIxxEEZZNS1_16scan_by_key_implILNS1_25lookback_scan_determinismE0ELb0ES3_N6thrust23THRUST_200600_302600_NS6detail15normal_iteratorINS9_10device_ptrIxEEEESE_SE_xNS9_4plusIvEENS9_8equal_toIvEExEE10hipError_tPvRmT2_T3_T4_T5_mT6_T7_P12ihipStream_tbENKUlT_T0_E_clISt17integral_constantIbLb1EESY_IbLb0EEEEDaSU_SV_EUlSU_E_NS1_11comp_targetILNS1_3genE5ELNS1_11target_archE942ELNS1_3gpuE9ELNS1_3repE0EEENS1_30default_config_static_selectorELNS0_4arch9wavefront6targetE1EEEvT1_
                                        ; -- End function
	.section	.AMDGPU.csdata,"",@progbits
; Kernel info:
; codeLenInByte = 12480
; NumSgprs: 72
; NumVgprs: 92
; NumAgprs: 0
; TotalNumVgprs: 92
; ScratchSize: 0
; MemoryBound: 0
; FloatMode: 240
; IeeeMode: 1
; LDSByteSize: 32768 bytes/workgroup (compile time only)
; SGPRBlocks: 8
; VGPRBlocks: 11
; NumSGPRsForWavesPerEU: 72
; NumVGPRsForWavesPerEU: 92
; AccumOffset: 92
; Occupancy: 2
; WaveLimiterHint : 1
; COMPUTE_PGM_RSRC2:SCRATCH_EN: 0
; COMPUTE_PGM_RSRC2:USER_SGPR: 2
; COMPUTE_PGM_RSRC2:TRAP_HANDLER: 0
; COMPUTE_PGM_RSRC2:TGID_X_EN: 1
; COMPUTE_PGM_RSRC2:TGID_Y_EN: 0
; COMPUTE_PGM_RSRC2:TGID_Z_EN: 0
; COMPUTE_PGM_RSRC2:TIDIG_COMP_CNT: 0
; COMPUTE_PGM_RSRC3_GFX90A:ACCUM_OFFSET: 22
; COMPUTE_PGM_RSRC3_GFX90A:TG_SPLIT: 0
	.section	.text._ZN7rocprim17ROCPRIM_400000_NS6detail17trampoline_kernelINS0_14default_configENS1_27scan_by_key_config_selectorIxxEEZZNS1_16scan_by_key_implILNS1_25lookback_scan_determinismE0ELb0ES3_N6thrust23THRUST_200600_302600_NS6detail15normal_iteratorINS9_10device_ptrIxEEEESE_SE_xNS9_4plusIvEENS9_8equal_toIvEExEE10hipError_tPvRmT2_T3_T4_T5_mT6_T7_P12ihipStream_tbENKUlT_T0_E_clISt17integral_constantIbLb1EESY_IbLb0EEEEDaSU_SV_EUlSU_E_NS1_11comp_targetILNS1_3genE4ELNS1_11target_archE910ELNS1_3gpuE8ELNS1_3repE0EEENS1_30default_config_static_selectorELNS0_4arch9wavefront6targetE1EEEvT1_,"axG",@progbits,_ZN7rocprim17ROCPRIM_400000_NS6detail17trampoline_kernelINS0_14default_configENS1_27scan_by_key_config_selectorIxxEEZZNS1_16scan_by_key_implILNS1_25lookback_scan_determinismE0ELb0ES3_N6thrust23THRUST_200600_302600_NS6detail15normal_iteratorINS9_10device_ptrIxEEEESE_SE_xNS9_4plusIvEENS9_8equal_toIvEExEE10hipError_tPvRmT2_T3_T4_T5_mT6_T7_P12ihipStream_tbENKUlT_T0_E_clISt17integral_constantIbLb1EESY_IbLb0EEEEDaSU_SV_EUlSU_E_NS1_11comp_targetILNS1_3genE4ELNS1_11target_archE910ELNS1_3gpuE8ELNS1_3repE0EEENS1_30default_config_static_selectorELNS0_4arch9wavefront6targetE1EEEvT1_,comdat
	.protected	_ZN7rocprim17ROCPRIM_400000_NS6detail17trampoline_kernelINS0_14default_configENS1_27scan_by_key_config_selectorIxxEEZZNS1_16scan_by_key_implILNS1_25lookback_scan_determinismE0ELb0ES3_N6thrust23THRUST_200600_302600_NS6detail15normal_iteratorINS9_10device_ptrIxEEEESE_SE_xNS9_4plusIvEENS9_8equal_toIvEExEE10hipError_tPvRmT2_T3_T4_T5_mT6_T7_P12ihipStream_tbENKUlT_T0_E_clISt17integral_constantIbLb1EESY_IbLb0EEEEDaSU_SV_EUlSU_E_NS1_11comp_targetILNS1_3genE4ELNS1_11target_archE910ELNS1_3gpuE8ELNS1_3repE0EEENS1_30default_config_static_selectorELNS0_4arch9wavefront6targetE1EEEvT1_ ; -- Begin function _ZN7rocprim17ROCPRIM_400000_NS6detail17trampoline_kernelINS0_14default_configENS1_27scan_by_key_config_selectorIxxEEZZNS1_16scan_by_key_implILNS1_25lookback_scan_determinismE0ELb0ES3_N6thrust23THRUST_200600_302600_NS6detail15normal_iteratorINS9_10device_ptrIxEEEESE_SE_xNS9_4plusIvEENS9_8equal_toIvEExEE10hipError_tPvRmT2_T3_T4_T5_mT6_T7_P12ihipStream_tbENKUlT_T0_E_clISt17integral_constantIbLb1EESY_IbLb0EEEEDaSU_SV_EUlSU_E_NS1_11comp_targetILNS1_3genE4ELNS1_11target_archE910ELNS1_3gpuE8ELNS1_3repE0EEENS1_30default_config_static_selectorELNS0_4arch9wavefront6targetE1EEEvT1_
	.globl	_ZN7rocprim17ROCPRIM_400000_NS6detail17trampoline_kernelINS0_14default_configENS1_27scan_by_key_config_selectorIxxEEZZNS1_16scan_by_key_implILNS1_25lookback_scan_determinismE0ELb0ES3_N6thrust23THRUST_200600_302600_NS6detail15normal_iteratorINS9_10device_ptrIxEEEESE_SE_xNS9_4plusIvEENS9_8equal_toIvEExEE10hipError_tPvRmT2_T3_T4_T5_mT6_T7_P12ihipStream_tbENKUlT_T0_E_clISt17integral_constantIbLb1EESY_IbLb0EEEEDaSU_SV_EUlSU_E_NS1_11comp_targetILNS1_3genE4ELNS1_11target_archE910ELNS1_3gpuE8ELNS1_3repE0EEENS1_30default_config_static_selectorELNS0_4arch9wavefront6targetE1EEEvT1_
	.p2align	8
	.type	_ZN7rocprim17ROCPRIM_400000_NS6detail17trampoline_kernelINS0_14default_configENS1_27scan_by_key_config_selectorIxxEEZZNS1_16scan_by_key_implILNS1_25lookback_scan_determinismE0ELb0ES3_N6thrust23THRUST_200600_302600_NS6detail15normal_iteratorINS9_10device_ptrIxEEEESE_SE_xNS9_4plusIvEENS9_8equal_toIvEExEE10hipError_tPvRmT2_T3_T4_T5_mT6_T7_P12ihipStream_tbENKUlT_T0_E_clISt17integral_constantIbLb1EESY_IbLb0EEEEDaSU_SV_EUlSU_E_NS1_11comp_targetILNS1_3genE4ELNS1_11target_archE910ELNS1_3gpuE8ELNS1_3repE0EEENS1_30default_config_static_selectorELNS0_4arch9wavefront6targetE1EEEvT1_,@function
_ZN7rocprim17ROCPRIM_400000_NS6detail17trampoline_kernelINS0_14default_configENS1_27scan_by_key_config_selectorIxxEEZZNS1_16scan_by_key_implILNS1_25lookback_scan_determinismE0ELb0ES3_N6thrust23THRUST_200600_302600_NS6detail15normal_iteratorINS9_10device_ptrIxEEEESE_SE_xNS9_4plusIvEENS9_8equal_toIvEExEE10hipError_tPvRmT2_T3_T4_T5_mT6_T7_P12ihipStream_tbENKUlT_T0_E_clISt17integral_constantIbLb1EESY_IbLb0EEEEDaSU_SV_EUlSU_E_NS1_11comp_targetILNS1_3genE4ELNS1_11target_archE910ELNS1_3gpuE8ELNS1_3repE0EEENS1_30default_config_static_selectorELNS0_4arch9wavefront6targetE1EEEvT1_: ; @_ZN7rocprim17ROCPRIM_400000_NS6detail17trampoline_kernelINS0_14default_configENS1_27scan_by_key_config_selectorIxxEEZZNS1_16scan_by_key_implILNS1_25lookback_scan_determinismE0ELb0ES3_N6thrust23THRUST_200600_302600_NS6detail15normal_iteratorINS9_10device_ptrIxEEEESE_SE_xNS9_4plusIvEENS9_8equal_toIvEExEE10hipError_tPvRmT2_T3_T4_T5_mT6_T7_P12ihipStream_tbENKUlT_T0_E_clISt17integral_constantIbLb1EESY_IbLb0EEEEDaSU_SV_EUlSU_E_NS1_11comp_targetILNS1_3genE4ELNS1_11target_archE910ELNS1_3gpuE8ELNS1_3repE0EEENS1_30default_config_static_selectorELNS0_4arch9wavefront6targetE1EEEvT1_
; %bb.0:
	.section	.rodata,"a",@progbits
	.p2align	6, 0x0
	.amdhsa_kernel _ZN7rocprim17ROCPRIM_400000_NS6detail17trampoline_kernelINS0_14default_configENS1_27scan_by_key_config_selectorIxxEEZZNS1_16scan_by_key_implILNS1_25lookback_scan_determinismE0ELb0ES3_N6thrust23THRUST_200600_302600_NS6detail15normal_iteratorINS9_10device_ptrIxEEEESE_SE_xNS9_4plusIvEENS9_8equal_toIvEExEE10hipError_tPvRmT2_T3_T4_T5_mT6_T7_P12ihipStream_tbENKUlT_T0_E_clISt17integral_constantIbLb1EESY_IbLb0EEEEDaSU_SV_EUlSU_E_NS1_11comp_targetILNS1_3genE4ELNS1_11target_archE910ELNS1_3gpuE8ELNS1_3repE0EEENS1_30default_config_static_selectorELNS0_4arch9wavefront6targetE1EEEvT1_
		.amdhsa_group_segment_fixed_size 0
		.amdhsa_private_segment_fixed_size 0
		.amdhsa_kernarg_size 136
		.amdhsa_user_sgpr_count 2
		.amdhsa_user_sgpr_dispatch_ptr 0
		.amdhsa_user_sgpr_queue_ptr 0
		.amdhsa_user_sgpr_kernarg_segment_ptr 1
		.amdhsa_user_sgpr_dispatch_id 0
		.amdhsa_user_sgpr_kernarg_preload_length 0
		.amdhsa_user_sgpr_kernarg_preload_offset 0
		.amdhsa_user_sgpr_private_segment_size 0
		.amdhsa_uses_dynamic_stack 0
		.amdhsa_enable_private_segment 0
		.amdhsa_system_sgpr_workgroup_id_x 1
		.amdhsa_system_sgpr_workgroup_id_y 0
		.amdhsa_system_sgpr_workgroup_id_z 0
		.amdhsa_system_sgpr_workgroup_info 0
		.amdhsa_system_vgpr_workitem_id 0
		.amdhsa_next_free_vgpr 1
		.amdhsa_next_free_sgpr 0
		.amdhsa_accum_offset 4
		.amdhsa_reserve_vcc 0
		.amdhsa_float_round_mode_32 0
		.amdhsa_float_round_mode_16_64 0
		.amdhsa_float_denorm_mode_32 3
		.amdhsa_float_denorm_mode_16_64 3
		.amdhsa_dx10_clamp 1
		.amdhsa_ieee_mode 1
		.amdhsa_fp16_overflow 0
		.amdhsa_tg_split 0
		.amdhsa_exception_fp_ieee_invalid_op 0
		.amdhsa_exception_fp_denorm_src 0
		.amdhsa_exception_fp_ieee_div_zero 0
		.amdhsa_exception_fp_ieee_overflow 0
		.amdhsa_exception_fp_ieee_underflow 0
		.amdhsa_exception_fp_ieee_inexact 0
		.amdhsa_exception_int_div_zero 0
	.end_amdhsa_kernel
	.section	.text._ZN7rocprim17ROCPRIM_400000_NS6detail17trampoline_kernelINS0_14default_configENS1_27scan_by_key_config_selectorIxxEEZZNS1_16scan_by_key_implILNS1_25lookback_scan_determinismE0ELb0ES3_N6thrust23THRUST_200600_302600_NS6detail15normal_iteratorINS9_10device_ptrIxEEEESE_SE_xNS9_4plusIvEENS9_8equal_toIvEExEE10hipError_tPvRmT2_T3_T4_T5_mT6_T7_P12ihipStream_tbENKUlT_T0_E_clISt17integral_constantIbLb1EESY_IbLb0EEEEDaSU_SV_EUlSU_E_NS1_11comp_targetILNS1_3genE4ELNS1_11target_archE910ELNS1_3gpuE8ELNS1_3repE0EEENS1_30default_config_static_selectorELNS0_4arch9wavefront6targetE1EEEvT1_,"axG",@progbits,_ZN7rocprim17ROCPRIM_400000_NS6detail17trampoline_kernelINS0_14default_configENS1_27scan_by_key_config_selectorIxxEEZZNS1_16scan_by_key_implILNS1_25lookback_scan_determinismE0ELb0ES3_N6thrust23THRUST_200600_302600_NS6detail15normal_iteratorINS9_10device_ptrIxEEEESE_SE_xNS9_4plusIvEENS9_8equal_toIvEExEE10hipError_tPvRmT2_T3_T4_T5_mT6_T7_P12ihipStream_tbENKUlT_T0_E_clISt17integral_constantIbLb1EESY_IbLb0EEEEDaSU_SV_EUlSU_E_NS1_11comp_targetILNS1_3genE4ELNS1_11target_archE910ELNS1_3gpuE8ELNS1_3repE0EEENS1_30default_config_static_selectorELNS0_4arch9wavefront6targetE1EEEvT1_,comdat
.Lfunc_end30:
	.size	_ZN7rocprim17ROCPRIM_400000_NS6detail17trampoline_kernelINS0_14default_configENS1_27scan_by_key_config_selectorIxxEEZZNS1_16scan_by_key_implILNS1_25lookback_scan_determinismE0ELb0ES3_N6thrust23THRUST_200600_302600_NS6detail15normal_iteratorINS9_10device_ptrIxEEEESE_SE_xNS9_4plusIvEENS9_8equal_toIvEExEE10hipError_tPvRmT2_T3_T4_T5_mT6_T7_P12ihipStream_tbENKUlT_T0_E_clISt17integral_constantIbLb1EESY_IbLb0EEEEDaSU_SV_EUlSU_E_NS1_11comp_targetILNS1_3genE4ELNS1_11target_archE910ELNS1_3gpuE8ELNS1_3repE0EEENS1_30default_config_static_selectorELNS0_4arch9wavefront6targetE1EEEvT1_, .Lfunc_end30-_ZN7rocprim17ROCPRIM_400000_NS6detail17trampoline_kernelINS0_14default_configENS1_27scan_by_key_config_selectorIxxEEZZNS1_16scan_by_key_implILNS1_25lookback_scan_determinismE0ELb0ES3_N6thrust23THRUST_200600_302600_NS6detail15normal_iteratorINS9_10device_ptrIxEEEESE_SE_xNS9_4plusIvEENS9_8equal_toIvEExEE10hipError_tPvRmT2_T3_T4_T5_mT6_T7_P12ihipStream_tbENKUlT_T0_E_clISt17integral_constantIbLb1EESY_IbLb0EEEEDaSU_SV_EUlSU_E_NS1_11comp_targetILNS1_3genE4ELNS1_11target_archE910ELNS1_3gpuE8ELNS1_3repE0EEENS1_30default_config_static_selectorELNS0_4arch9wavefront6targetE1EEEvT1_
                                        ; -- End function
	.section	.AMDGPU.csdata,"",@progbits
; Kernel info:
; codeLenInByte = 0
; NumSgprs: 6
; NumVgprs: 0
; NumAgprs: 0
; TotalNumVgprs: 0
; ScratchSize: 0
; MemoryBound: 0
; FloatMode: 240
; IeeeMode: 1
; LDSByteSize: 0 bytes/workgroup (compile time only)
; SGPRBlocks: 0
; VGPRBlocks: 0
; NumSGPRsForWavesPerEU: 6
; NumVGPRsForWavesPerEU: 1
; AccumOffset: 4
; Occupancy: 8
; WaveLimiterHint : 0
; COMPUTE_PGM_RSRC2:SCRATCH_EN: 0
; COMPUTE_PGM_RSRC2:USER_SGPR: 2
; COMPUTE_PGM_RSRC2:TRAP_HANDLER: 0
; COMPUTE_PGM_RSRC2:TGID_X_EN: 1
; COMPUTE_PGM_RSRC2:TGID_Y_EN: 0
; COMPUTE_PGM_RSRC2:TGID_Z_EN: 0
; COMPUTE_PGM_RSRC2:TIDIG_COMP_CNT: 0
; COMPUTE_PGM_RSRC3_GFX90A:ACCUM_OFFSET: 0
; COMPUTE_PGM_RSRC3_GFX90A:TG_SPLIT: 0
	.section	.text._ZN7rocprim17ROCPRIM_400000_NS6detail17trampoline_kernelINS0_14default_configENS1_27scan_by_key_config_selectorIxxEEZZNS1_16scan_by_key_implILNS1_25lookback_scan_determinismE0ELb0ES3_N6thrust23THRUST_200600_302600_NS6detail15normal_iteratorINS9_10device_ptrIxEEEESE_SE_xNS9_4plusIvEENS9_8equal_toIvEExEE10hipError_tPvRmT2_T3_T4_T5_mT6_T7_P12ihipStream_tbENKUlT_T0_E_clISt17integral_constantIbLb1EESY_IbLb0EEEEDaSU_SV_EUlSU_E_NS1_11comp_targetILNS1_3genE3ELNS1_11target_archE908ELNS1_3gpuE7ELNS1_3repE0EEENS1_30default_config_static_selectorELNS0_4arch9wavefront6targetE1EEEvT1_,"axG",@progbits,_ZN7rocprim17ROCPRIM_400000_NS6detail17trampoline_kernelINS0_14default_configENS1_27scan_by_key_config_selectorIxxEEZZNS1_16scan_by_key_implILNS1_25lookback_scan_determinismE0ELb0ES3_N6thrust23THRUST_200600_302600_NS6detail15normal_iteratorINS9_10device_ptrIxEEEESE_SE_xNS9_4plusIvEENS9_8equal_toIvEExEE10hipError_tPvRmT2_T3_T4_T5_mT6_T7_P12ihipStream_tbENKUlT_T0_E_clISt17integral_constantIbLb1EESY_IbLb0EEEEDaSU_SV_EUlSU_E_NS1_11comp_targetILNS1_3genE3ELNS1_11target_archE908ELNS1_3gpuE7ELNS1_3repE0EEENS1_30default_config_static_selectorELNS0_4arch9wavefront6targetE1EEEvT1_,comdat
	.protected	_ZN7rocprim17ROCPRIM_400000_NS6detail17trampoline_kernelINS0_14default_configENS1_27scan_by_key_config_selectorIxxEEZZNS1_16scan_by_key_implILNS1_25lookback_scan_determinismE0ELb0ES3_N6thrust23THRUST_200600_302600_NS6detail15normal_iteratorINS9_10device_ptrIxEEEESE_SE_xNS9_4plusIvEENS9_8equal_toIvEExEE10hipError_tPvRmT2_T3_T4_T5_mT6_T7_P12ihipStream_tbENKUlT_T0_E_clISt17integral_constantIbLb1EESY_IbLb0EEEEDaSU_SV_EUlSU_E_NS1_11comp_targetILNS1_3genE3ELNS1_11target_archE908ELNS1_3gpuE7ELNS1_3repE0EEENS1_30default_config_static_selectorELNS0_4arch9wavefront6targetE1EEEvT1_ ; -- Begin function _ZN7rocprim17ROCPRIM_400000_NS6detail17trampoline_kernelINS0_14default_configENS1_27scan_by_key_config_selectorIxxEEZZNS1_16scan_by_key_implILNS1_25lookback_scan_determinismE0ELb0ES3_N6thrust23THRUST_200600_302600_NS6detail15normal_iteratorINS9_10device_ptrIxEEEESE_SE_xNS9_4plusIvEENS9_8equal_toIvEExEE10hipError_tPvRmT2_T3_T4_T5_mT6_T7_P12ihipStream_tbENKUlT_T0_E_clISt17integral_constantIbLb1EESY_IbLb0EEEEDaSU_SV_EUlSU_E_NS1_11comp_targetILNS1_3genE3ELNS1_11target_archE908ELNS1_3gpuE7ELNS1_3repE0EEENS1_30default_config_static_selectorELNS0_4arch9wavefront6targetE1EEEvT1_
	.globl	_ZN7rocprim17ROCPRIM_400000_NS6detail17trampoline_kernelINS0_14default_configENS1_27scan_by_key_config_selectorIxxEEZZNS1_16scan_by_key_implILNS1_25lookback_scan_determinismE0ELb0ES3_N6thrust23THRUST_200600_302600_NS6detail15normal_iteratorINS9_10device_ptrIxEEEESE_SE_xNS9_4plusIvEENS9_8equal_toIvEExEE10hipError_tPvRmT2_T3_T4_T5_mT6_T7_P12ihipStream_tbENKUlT_T0_E_clISt17integral_constantIbLb1EESY_IbLb0EEEEDaSU_SV_EUlSU_E_NS1_11comp_targetILNS1_3genE3ELNS1_11target_archE908ELNS1_3gpuE7ELNS1_3repE0EEENS1_30default_config_static_selectorELNS0_4arch9wavefront6targetE1EEEvT1_
	.p2align	8
	.type	_ZN7rocprim17ROCPRIM_400000_NS6detail17trampoline_kernelINS0_14default_configENS1_27scan_by_key_config_selectorIxxEEZZNS1_16scan_by_key_implILNS1_25lookback_scan_determinismE0ELb0ES3_N6thrust23THRUST_200600_302600_NS6detail15normal_iteratorINS9_10device_ptrIxEEEESE_SE_xNS9_4plusIvEENS9_8equal_toIvEExEE10hipError_tPvRmT2_T3_T4_T5_mT6_T7_P12ihipStream_tbENKUlT_T0_E_clISt17integral_constantIbLb1EESY_IbLb0EEEEDaSU_SV_EUlSU_E_NS1_11comp_targetILNS1_3genE3ELNS1_11target_archE908ELNS1_3gpuE7ELNS1_3repE0EEENS1_30default_config_static_selectorELNS0_4arch9wavefront6targetE1EEEvT1_,@function
_ZN7rocprim17ROCPRIM_400000_NS6detail17trampoline_kernelINS0_14default_configENS1_27scan_by_key_config_selectorIxxEEZZNS1_16scan_by_key_implILNS1_25lookback_scan_determinismE0ELb0ES3_N6thrust23THRUST_200600_302600_NS6detail15normal_iteratorINS9_10device_ptrIxEEEESE_SE_xNS9_4plusIvEENS9_8equal_toIvEExEE10hipError_tPvRmT2_T3_T4_T5_mT6_T7_P12ihipStream_tbENKUlT_T0_E_clISt17integral_constantIbLb1EESY_IbLb0EEEEDaSU_SV_EUlSU_E_NS1_11comp_targetILNS1_3genE3ELNS1_11target_archE908ELNS1_3gpuE7ELNS1_3repE0EEENS1_30default_config_static_selectorELNS0_4arch9wavefront6targetE1EEEvT1_: ; @_ZN7rocprim17ROCPRIM_400000_NS6detail17trampoline_kernelINS0_14default_configENS1_27scan_by_key_config_selectorIxxEEZZNS1_16scan_by_key_implILNS1_25lookback_scan_determinismE0ELb0ES3_N6thrust23THRUST_200600_302600_NS6detail15normal_iteratorINS9_10device_ptrIxEEEESE_SE_xNS9_4plusIvEENS9_8equal_toIvEExEE10hipError_tPvRmT2_T3_T4_T5_mT6_T7_P12ihipStream_tbENKUlT_T0_E_clISt17integral_constantIbLb1EESY_IbLb0EEEEDaSU_SV_EUlSU_E_NS1_11comp_targetILNS1_3genE3ELNS1_11target_archE908ELNS1_3gpuE7ELNS1_3repE0EEENS1_30default_config_static_selectorELNS0_4arch9wavefront6targetE1EEEvT1_
; %bb.0:
	.section	.rodata,"a",@progbits
	.p2align	6, 0x0
	.amdhsa_kernel _ZN7rocprim17ROCPRIM_400000_NS6detail17trampoline_kernelINS0_14default_configENS1_27scan_by_key_config_selectorIxxEEZZNS1_16scan_by_key_implILNS1_25lookback_scan_determinismE0ELb0ES3_N6thrust23THRUST_200600_302600_NS6detail15normal_iteratorINS9_10device_ptrIxEEEESE_SE_xNS9_4plusIvEENS9_8equal_toIvEExEE10hipError_tPvRmT2_T3_T4_T5_mT6_T7_P12ihipStream_tbENKUlT_T0_E_clISt17integral_constantIbLb1EESY_IbLb0EEEEDaSU_SV_EUlSU_E_NS1_11comp_targetILNS1_3genE3ELNS1_11target_archE908ELNS1_3gpuE7ELNS1_3repE0EEENS1_30default_config_static_selectorELNS0_4arch9wavefront6targetE1EEEvT1_
		.amdhsa_group_segment_fixed_size 0
		.amdhsa_private_segment_fixed_size 0
		.amdhsa_kernarg_size 136
		.amdhsa_user_sgpr_count 2
		.amdhsa_user_sgpr_dispatch_ptr 0
		.amdhsa_user_sgpr_queue_ptr 0
		.amdhsa_user_sgpr_kernarg_segment_ptr 1
		.amdhsa_user_sgpr_dispatch_id 0
		.amdhsa_user_sgpr_kernarg_preload_length 0
		.amdhsa_user_sgpr_kernarg_preload_offset 0
		.amdhsa_user_sgpr_private_segment_size 0
		.amdhsa_uses_dynamic_stack 0
		.amdhsa_enable_private_segment 0
		.amdhsa_system_sgpr_workgroup_id_x 1
		.amdhsa_system_sgpr_workgroup_id_y 0
		.amdhsa_system_sgpr_workgroup_id_z 0
		.amdhsa_system_sgpr_workgroup_info 0
		.amdhsa_system_vgpr_workitem_id 0
		.amdhsa_next_free_vgpr 1
		.amdhsa_next_free_sgpr 0
		.amdhsa_accum_offset 4
		.amdhsa_reserve_vcc 0
		.amdhsa_float_round_mode_32 0
		.amdhsa_float_round_mode_16_64 0
		.amdhsa_float_denorm_mode_32 3
		.amdhsa_float_denorm_mode_16_64 3
		.amdhsa_dx10_clamp 1
		.amdhsa_ieee_mode 1
		.amdhsa_fp16_overflow 0
		.amdhsa_tg_split 0
		.amdhsa_exception_fp_ieee_invalid_op 0
		.amdhsa_exception_fp_denorm_src 0
		.amdhsa_exception_fp_ieee_div_zero 0
		.amdhsa_exception_fp_ieee_overflow 0
		.amdhsa_exception_fp_ieee_underflow 0
		.amdhsa_exception_fp_ieee_inexact 0
		.amdhsa_exception_int_div_zero 0
	.end_amdhsa_kernel
	.section	.text._ZN7rocprim17ROCPRIM_400000_NS6detail17trampoline_kernelINS0_14default_configENS1_27scan_by_key_config_selectorIxxEEZZNS1_16scan_by_key_implILNS1_25lookback_scan_determinismE0ELb0ES3_N6thrust23THRUST_200600_302600_NS6detail15normal_iteratorINS9_10device_ptrIxEEEESE_SE_xNS9_4plusIvEENS9_8equal_toIvEExEE10hipError_tPvRmT2_T3_T4_T5_mT6_T7_P12ihipStream_tbENKUlT_T0_E_clISt17integral_constantIbLb1EESY_IbLb0EEEEDaSU_SV_EUlSU_E_NS1_11comp_targetILNS1_3genE3ELNS1_11target_archE908ELNS1_3gpuE7ELNS1_3repE0EEENS1_30default_config_static_selectorELNS0_4arch9wavefront6targetE1EEEvT1_,"axG",@progbits,_ZN7rocprim17ROCPRIM_400000_NS6detail17trampoline_kernelINS0_14default_configENS1_27scan_by_key_config_selectorIxxEEZZNS1_16scan_by_key_implILNS1_25lookback_scan_determinismE0ELb0ES3_N6thrust23THRUST_200600_302600_NS6detail15normal_iteratorINS9_10device_ptrIxEEEESE_SE_xNS9_4plusIvEENS9_8equal_toIvEExEE10hipError_tPvRmT2_T3_T4_T5_mT6_T7_P12ihipStream_tbENKUlT_T0_E_clISt17integral_constantIbLb1EESY_IbLb0EEEEDaSU_SV_EUlSU_E_NS1_11comp_targetILNS1_3genE3ELNS1_11target_archE908ELNS1_3gpuE7ELNS1_3repE0EEENS1_30default_config_static_selectorELNS0_4arch9wavefront6targetE1EEEvT1_,comdat
.Lfunc_end31:
	.size	_ZN7rocprim17ROCPRIM_400000_NS6detail17trampoline_kernelINS0_14default_configENS1_27scan_by_key_config_selectorIxxEEZZNS1_16scan_by_key_implILNS1_25lookback_scan_determinismE0ELb0ES3_N6thrust23THRUST_200600_302600_NS6detail15normal_iteratorINS9_10device_ptrIxEEEESE_SE_xNS9_4plusIvEENS9_8equal_toIvEExEE10hipError_tPvRmT2_T3_T4_T5_mT6_T7_P12ihipStream_tbENKUlT_T0_E_clISt17integral_constantIbLb1EESY_IbLb0EEEEDaSU_SV_EUlSU_E_NS1_11comp_targetILNS1_3genE3ELNS1_11target_archE908ELNS1_3gpuE7ELNS1_3repE0EEENS1_30default_config_static_selectorELNS0_4arch9wavefront6targetE1EEEvT1_, .Lfunc_end31-_ZN7rocprim17ROCPRIM_400000_NS6detail17trampoline_kernelINS0_14default_configENS1_27scan_by_key_config_selectorIxxEEZZNS1_16scan_by_key_implILNS1_25lookback_scan_determinismE0ELb0ES3_N6thrust23THRUST_200600_302600_NS6detail15normal_iteratorINS9_10device_ptrIxEEEESE_SE_xNS9_4plusIvEENS9_8equal_toIvEExEE10hipError_tPvRmT2_T3_T4_T5_mT6_T7_P12ihipStream_tbENKUlT_T0_E_clISt17integral_constantIbLb1EESY_IbLb0EEEEDaSU_SV_EUlSU_E_NS1_11comp_targetILNS1_3genE3ELNS1_11target_archE908ELNS1_3gpuE7ELNS1_3repE0EEENS1_30default_config_static_selectorELNS0_4arch9wavefront6targetE1EEEvT1_
                                        ; -- End function
	.section	.AMDGPU.csdata,"",@progbits
; Kernel info:
; codeLenInByte = 0
; NumSgprs: 6
; NumVgprs: 0
; NumAgprs: 0
; TotalNumVgprs: 0
; ScratchSize: 0
; MemoryBound: 0
; FloatMode: 240
; IeeeMode: 1
; LDSByteSize: 0 bytes/workgroup (compile time only)
; SGPRBlocks: 0
; VGPRBlocks: 0
; NumSGPRsForWavesPerEU: 6
; NumVGPRsForWavesPerEU: 1
; AccumOffset: 4
; Occupancy: 8
; WaveLimiterHint : 0
; COMPUTE_PGM_RSRC2:SCRATCH_EN: 0
; COMPUTE_PGM_RSRC2:USER_SGPR: 2
; COMPUTE_PGM_RSRC2:TRAP_HANDLER: 0
; COMPUTE_PGM_RSRC2:TGID_X_EN: 1
; COMPUTE_PGM_RSRC2:TGID_Y_EN: 0
; COMPUTE_PGM_RSRC2:TGID_Z_EN: 0
; COMPUTE_PGM_RSRC2:TIDIG_COMP_CNT: 0
; COMPUTE_PGM_RSRC3_GFX90A:ACCUM_OFFSET: 0
; COMPUTE_PGM_RSRC3_GFX90A:TG_SPLIT: 0
	.section	.text._ZN7rocprim17ROCPRIM_400000_NS6detail17trampoline_kernelINS0_14default_configENS1_27scan_by_key_config_selectorIxxEEZZNS1_16scan_by_key_implILNS1_25lookback_scan_determinismE0ELb0ES3_N6thrust23THRUST_200600_302600_NS6detail15normal_iteratorINS9_10device_ptrIxEEEESE_SE_xNS9_4plusIvEENS9_8equal_toIvEExEE10hipError_tPvRmT2_T3_T4_T5_mT6_T7_P12ihipStream_tbENKUlT_T0_E_clISt17integral_constantIbLb1EESY_IbLb0EEEEDaSU_SV_EUlSU_E_NS1_11comp_targetILNS1_3genE2ELNS1_11target_archE906ELNS1_3gpuE6ELNS1_3repE0EEENS1_30default_config_static_selectorELNS0_4arch9wavefront6targetE1EEEvT1_,"axG",@progbits,_ZN7rocprim17ROCPRIM_400000_NS6detail17trampoline_kernelINS0_14default_configENS1_27scan_by_key_config_selectorIxxEEZZNS1_16scan_by_key_implILNS1_25lookback_scan_determinismE0ELb0ES3_N6thrust23THRUST_200600_302600_NS6detail15normal_iteratorINS9_10device_ptrIxEEEESE_SE_xNS9_4plusIvEENS9_8equal_toIvEExEE10hipError_tPvRmT2_T3_T4_T5_mT6_T7_P12ihipStream_tbENKUlT_T0_E_clISt17integral_constantIbLb1EESY_IbLb0EEEEDaSU_SV_EUlSU_E_NS1_11comp_targetILNS1_3genE2ELNS1_11target_archE906ELNS1_3gpuE6ELNS1_3repE0EEENS1_30default_config_static_selectorELNS0_4arch9wavefront6targetE1EEEvT1_,comdat
	.protected	_ZN7rocprim17ROCPRIM_400000_NS6detail17trampoline_kernelINS0_14default_configENS1_27scan_by_key_config_selectorIxxEEZZNS1_16scan_by_key_implILNS1_25lookback_scan_determinismE0ELb0ES3_N6thrust23THRUST_200600_302600_NS6detail15normal_iteratorINS9_10device_ptrIxEEEESE_SE_xNS9_4plusIvEENS9_8equal_toIvEExEE10hipError_tPvRmT2_T3_T4_T5_mT6_T7_P12ihipStream_tbENKUlT_T0_E_clISt17integral_constantIbLb1EESY_IbLb0EEEEDaSU_SV_EUlSU_E_NS1_11comp_targetILNS1_3genE2ELNS1_11target_archE906ELNS1_3gpuE6ELNS1_3repE0EEENS1_30default_config_static_selectorELNS0_4arch9wavefront6targetE1EEEvT1_ ; -- Begin function _ZN7rocprim17ROCPRIM_400000_NS6detail17trampoline_kernelINS0_14default_configENS1_27scan_by_key_config_selectorIxxEEZZNS1_16scan_by_key_implILNS1_25lookback_scan_determinismE0ELb0ES3_N6thrust23THRUST_200600_302600_NS6detail15normal_iteratorINS9_10device_ptrIxEEEESE_SE_xNS9_4plusIvEENS9_8equal_toIvEExEE10hipError_tPvRmT2_T3_T4_T5_mT6_T7_P12ihipStream_tbENKUlT_T0_E_clISt17integral_constantIbLb1EESY_IbLb0EEEEDaSU_SV_EUlSU_E_NS1_11comp_targetILNS1_3genE2ELNS1_11target_archE906ELNS1_3gpuE6ELNS1_3repE0EEENS1_30default_config_static_selectorELNS0_4arch9wavefront6targetE1EEEvT1_
	.globl	_ZN7rocprim17ROCPRIM_400000_NS6detail17trampoline_kernelINS0_14default_configENS1_27scan_by_key_config_selectorIxxEEZZNS1_16scan_by_key_implILNS1_25lookback_scan_determinismE0ELb0ES3_N6thrust23THRUST_200600_302600_NS6detail15normal_iteratorINS9_10device_ptrIxEEEESE_SE_xNS9_4plusIvEENS9_8equal_toIvEExEE10hipError_tPvRmT2_T3_T4_T5_mT6_T7_P12ihipStream_tbENKUlT_T0_E_clISt17integral_constantIbLb1EESY_IbLb0EEEEDaSU_SV_EUlSU_E_NS1_11comp_targetILNS1_3genE2ELNS1_11target_archE906ELNS1_3gpuE6ELNS1_3repE0EEENS1_30default_config_static_selectorELNS0_4arch9wavefront6targetE1EEEvT1_
	.p2align	8
	.type	_ZN7rocprim17ROCPRIM_400000_NS6detail17trampoline_kernelINS0_14default_configENS1_27scan_by_key_config_selectorIxxEEZZNS1_16scan_by_key_implILNS1_25lookback_scan_determinismE0ELb0ES3_N6thrust23THRUST_200600_302600_NS6detail15normal_iteratorINS9_10device_ptrIxEEEESE_SE_xNS9_4plusIvEENS9_8equal_toIvEExEE10hipError_tPvRmT2_T3_T4_T5_mT6_T7_P12ihipStream_tbENKUlT_T0_E_clISt17integral_constantIbLb1EESY_IbLb0EEEEDaSU_SV_EUlSU_E_NS1_11comp_targetILNS1_3genE2ELNS1_11target_archE906ELNS1_3gpuE6ELNS1_3repE0EEENS1_30default_config_static_selectorELNS0_4arch9wavefront6targetE1EEEvT1_,@function
_ZN7rocprim17ROCPRIM_400000_NS6detail17trampoline_kernelINS0_14default_configENS1_27scan_by_key_config_selectorIxxEEZZNS1_16scan_by_key_implILNS1_25lookback_scan_determinismE0ELb0ES3_N6thrust23THRUST_200600_302600_NS6detail15normal_iteratorINS9_10device_ptrIxEEEESE_SE_xNS9_4plusIvEENS9_8equal_toIvEExEE10hipError_tPvRmT2_T3_T4_T5_mT6_T7_P12ihipStream_tbENKUlT_T0_E_clISt17integral_constantIbLb1EESY_IbLb0EEEEDaSU_SV_EUlSU_E_NS1_11comp_targetILNS1_3genE2ELNS1_11target_archE906ELNS1_3gpuE6ELNS1_3repE0EEENS1_30default_config_static_selectorELNS0_4arch9wavefront6targetE1EEEvT1_: ; @_ZN7rocprim17ROCPRIM_400000_NS6detail17trampoline_kernelINS0_14default_configENS1_27scan_by_key_config_selectorIxxEEZZNS1_16scan_by_key_implILNS1_25lookback_scan_determinismE0ELb0ES3_N6thrust23THRUST_200600_302600_NS6detail15normal_iteratorINS9_10device_ptrIxEEEESE_SE_xNS9_4plusIvEENS9_8equal_toIvEExEE10hipError_tPvRmT2_T3_T4_T5_mT6_T7_P12ihipStream_tbENKUlT_T0_E_clISt17integral_constantIbLb1EESY_IbLb0EEEEDaSU_SV_EUlSU_E_NS1_11comp_targetILNS1_3genE2ELNS1_11target_archE906ELNS1_3gpuE6ELNS1_3repE0EEENS1_30default_config_static_selectorELNS0_4arch9wavefront6targetE1EEEvT1_
; %bb.0:
	.section	.rodata,"a",@progbits
	.p2align	6, 0x0
	.amdhsa_kernel _ZN7rocprim17ROCPRIM_400000_NS6detail17trampoline_kernelINS0_14default_configENS1_27scan_by_key_config_selectorIxxEEZZNS1_16scan_by_key_implILNS1_25lookback_scan_determinismE0ELb0ES3_N6thrust23THRUST_200600_302600_NS6detail15normal_iteratorINS9_10device_ptrIxEEEESE_SE_xNS9_4plusIvEENS9_8equal_toIvEExEE10hipError_tPvRmT2_T3_T4_T5_mT6_T7_P12ihipStream_tbENKUlT_T0_E_clISt17integral_constantIbLb1EESY_IbLb0EEEEDaSU_SV_EUlSU_E_NS1_11comp_targetILNS1_3genE2ELNS1_11target_archE906ELNS1_3gpuE6ELNS1_3repE0EEENS1_30default_config_static_selectorELNS0_4arch9wavefront6targetE1EEEvT1_
		.amdhsa_group_segment_fixed_size 0
		.amdhsa_private_segment_fixed_size 0
		.amdhsa_kernarg_size 136
		.amdhsa_user_sgpr_count 2
		.amdhsa_user_sgpr_dispatch_ptr 0
		.amdhsa_user_sgpr_queue_ptr 0
		.amdhsa_user_sgpr_kernarg_segment_ptr 1
		.amdhsa_user_sgpr_dispatch_id 0
		.amdhsa_user_sgpr_kernarg_preload_length 0
		.amdhsa_user_sgpr_kernarg_preload_offset 0
		.amdhsa_user_sgpr_private_segment_size 0
		.amdhsa_uses_dynamic_stack 0
		.amdhsa_enable_private_segment 0
		.amdhsa_system_sgpr_workgroup_id_x 1
		.amdhsa_system_sgpr_workgroup_id_y 0
		.amdhsa_system_sgpr_workgroup_id_z 0
		.amdhsa_system_sgpr_workgroup_info 0
		.amdhsa_system_vgpr_workitem_id 0
		.amdhsa_next_free_vgpr 1
		.amdhsa_next_free_sgpr 0
		.amdhsa_accum_offset 4
		.amdhsa_reserve_vcc 0
		.amdhsa_float_round_mode_32 0
		.amdhsa_float_round_mode_16_64 0
		.amdhsa_float_denorm_mode_32 3
		.amdhsa_float_denorm_mode_16_64 3
		.amdhsa_dx10_clamp 1
		.amdhsa_ieee_mode 1
		.amdhsa_fp16_overflow 0
		.amdhsa_tg_split 0
		.amdhsa_exception_fp_ieee_invalid_op 0
		.amdhsa_exception_fp_denorm_src 0
		.amdhsa_exception_fp_ieee_div_zero 0
		.amdhsa_exception_fp_ieee_overflow 0
		.amdhsa_exception_fp_ieee_underflow 0
		.amdhsa_exception_fp_ieee_inexact 0
		.amdhsa_exception_int_div_zero 0
	.end_amdhsa_kernel
	.section	.text._ZN7rocprim17ROCPRIM_400000_NS6detail17trampoline_kernelINS0_14default_configENS1_27scan_by_key_config_selectorIxxEEZZNS1_16scan_by_key_implILNS1_25lookback_scan_determinismE0ELb0ES3_N6thrust23THRUST_200600_302600_NS6detail15normal_iteratorINS9_10device_ptrIxEEEESE_SE_xNS9_4plusIvEENS9_8equal_toIvEExEE10hipError_tPvRmT2_T3_T4_T5_mT6_T7_P12ihipStream_tbENKUlT_T0_E_clISt17integral_constantIbLb1EESY_IbLb0EEEEDaSU_SV_EUlSU_E_NS1_11comp_targetILNS1_3genE2ELNS1_11target_archE906ELNS1_3gpuE6ELNS1_3repE0EEENS1_30default_config_static_selectorELNS0_4arch9wavefront6targetE1EEEvT1_,"axG",@progbits,_ZN7rocprim17ROCPRIM_400000_NS6detail17trampoline_kernelINS0_14default_configENS1_27scan_by_key_config_selectorIxxEEZZNS1_16scan_by_key_implILNS1_25lookback_scan_determinismE0ELb0ES3_N6thrust23THRUST_200600_302600_NS6detail15normal_iteratorINS9_10device_ptrIxEEEESE_SE_xNS9_4plusIvEENS9_8equal_toIvEExEE10hipError_tPvRmT2_T3_T4_T5_mT6_T7_P12ihipStream_tbENKUlT_T0_E_clISt17integral_constantIbLb1EESY_IbLb0EEEEDaSU_SV_EUlSU_E_NS1_11comp_targetILNS1_3genE2ELNS1_11target_archE906ELNS1_3gpuE6ELNS1_3repE0EEENS1_30default_config_static_selectorELNS0_4arch9wavefront6targetE1EEEvT1_,comdat
.Lfunc_end32:
	.size	_ZN7rocprim17ROCPRIM_400000_NS6detail17trampoline_kernelINS0_14default_configENS1_27scan_by_key_config_selectorIxxEEZZNS1_16scan_by_key_implILNS1_25lookback_scan_determinismE0ELb0ES3_N6thrust23THRUST_200600_302600_NS6detail15normal_iteratorINS9_10device_ptrIxEEEESE_SE_xNS9_4plusIvEENS9_8equal_toIvEExEE10hipError_tPvRmT2_T3_T4_T5_mT6_T7_P12ihipStream_tbENKUlT_T0_E_clISt17integral_constantIbLb1EESY_IbLb0EEEEDaSU_SV_EUlSU_E_NS1_11comp_targetILNS1_3genE2ELNS1_11target_archE906ELNS1_3gpuE6ELNS1_3repE0EEENS1_30default_config_static_selectorELNS0_4arch9wavefront6targetE1EEEvT1_, .Lfunc_end32-_ZN7rocprim17ROCPRIM_400000_NS6detail17trampoline_kernelINS0_14default_configENS1_27scan_by_key_config_selectorIxxEEZZNS1_16scan_by_key_implILNS1_25lookback_scan_determinismE0ELb0ES3_N6thrust23THRUST_200600_302600_NS6detail15normal_iteratorINS9_10device_ptrIxEEEESE_SE_xNS9_4plusIvEENS9_8equal_toIvEExEE10hipError_tPvRmT2_T3_T4_T5_mT6_T7_P12ihipStream_tbENKUlT_T0_E_clISt17integral_constantIbLb1EESY_IbLb0EEEEDaSU_SV_EUlSU_E_NS1_11comp_targetILNS1_3genE2ELNS1_11target_archE906ELNS1_3gpuE6ELNS1_3repE0EEENS1_30default_config_static_selectorELNS0_4arch9wavefront6targetE1EEEvT1_
                                        ; -- End function
	.section	.AMDGPU.csdata,"",@progbits
; Kernel info:
; codeLenInByte = 0
; NumSgprs: 6
; NumVgprs: 0
; NumAgprs: 0
; TotalNumVgprs: 0
; ScratchSize: 0
; MemoryBound: 0
; FloatMode: 240
; IeeeMode: 1
; LDSByteSize: 0 bytes/workgroup (compile time only)
; SGPRBlocks: 0
; VGPRBlocks: 0
; NumSGPRsForWavesPerEU: 6
; NumVGPRsForWavesPerEU: 1
; AccumOffset: 4
; Occupancy: 8
; WaveLimiterHint : 0
; COMPUTE_PGM_RSRC2:SCRATCH_EN: 0
; COMPUTE_PGM_RSRC2:USER_SGPR: 2
; COMPUTE_PGM_RSRC2:TRAP_HANDLER: 0
; COMPUTE_PGM_RSRC2:TGID_X_EN: 1
; COMPUTE_PGM_RSRC2:TGID_Y_EN: 0
; COMPUTE_PGM_RSRC2:TGID_Z_EN: 0
; COMPUTE_PGM_RSRC2:TIDIG_COMP_CNT: 0
; COMPUTE_PGM_RSRC3_GFX90A:ACCUM_OFFSET: 0
; COMPUTE_PGM_RSRC3_GFX90A:TG_SPLIT: 0
	.section	.text._ZN7rocprim17ROCPRIM_400000_NS6detail17trampoline_kernelINS0_14default_configENS1_27scan_by_key_config_selectorIxxEEZZNS1_16scan_by_key_implILNS1_25lookback_scan_determinismE0ELb0ES3_N6thrust23THRUST_200600_302600_NS6detail15normal_iteratorINS9_10device_ptrIxEEEESE_SE_xNS9_4plusIvEENS9_8equal_toIvEExEE10hipError_tPvRmT2_T3_T4_T5_mT6_T7_P12ihipStream_tbENKUlT_T0_E_clISt17integral_constantIbLb1EESY_IbLb0EEEEDaSU_SV_EUlSU_E_NS1_11comp_targetILNS1_3genE10ELNS1_11target_archE1200ELNS1_3gpuE4ELNS1_3repE0EEENS1_30default_config_static_selectorELNS0_4arch9wavefront6targetE1EEEvT1_,"axG",@progbits,_ZN7rocprim17ROCPRIM_400000_NS6detail17trampoline_kernelINS0_14default_configENS1_27scan_by_key_config_selectorIxxEEZZNS1_16scan_by_key_implILNS1_25lookback_scan_determinismE0ELb0ES3_N6thrust23THRUST_200600_302600_NS6detail15normal_iteratorINS9_10device_ptrIxEEEESE_SE_xNS9_4plusIvEENS9_8equal_toIvEExEE10hipError_tPvRmT2_T3_T4_T5_mT6_T7_P12ihipStream_tbENKUlT_T0_E_clISt17integral_constantIbLb1EESY_IbLb0EEEEDaSU_SV_EUlSU_E_NS1_11comp_targetILNS1_3genE10ELNS1_11target_archE1200ELNS1_3gpuE4ELNS1_3repE0EEENS1_30default_config_static_selectorELNS0_4arch9wavefront6targetE1EEEvT1_,comdat
	.protected	_ZN7rocprim17ROCPRIM_400000_NS6detail17trampoline_kernelINS0_14default_configENS1_27scan_by_key_config_selectorIxxEEZZNS1_16scan_by_key_implILNS1_25lookback_scan_determinismE0ELb0ES3_N6thrust23THRUST_200600_302600_NS6detail15normal_iteratorINS9_10device_ptrIxEEEESE_SE_xNS9_4plusIvEENS9_8equal_toIvEExEE10hipError_tPvRmT2_T3_T4_T5_mT6_T7_P12ihipStream_tbENKUlT_T0_E_clISt17integral_constantIbLb1EESY_IbLb0EEEEDaSU_SV_EUlSU_E_NS1_11comp_targetILNS1_3genE10ELNS1_11target_archE1200ELNS1_3gpuE4ELNS1_3repE0EEENS1_30default_config_static_selectorELNS0_4arch9wavefront6targetE1EEEvT1_ ; -- Begin function _ZN7rocprim17ROCPRIM_400000_NS6detail17trampoline_kernelINS0_14default_configENS1_27scan_by_key_config_selectorIxxEEZZNS1_16scan_by_key_implILNS1_25lookback_scan_determinismE0ELb0ES3_N6thrust23THRUST_200600_302600_NS6detail15normal_iteratorINS9_10device_ptrIxEEEESE_SE_xNS9_4plusIvEENS9_8equal_toIvEExEE10hipError_tPvRmT2_T3_T4_T5_mT6_T7_P12ihipStream_tbENKUlT_T0_E_clISt17integral_constantIbLb1EESY_IbLb0EEEEDaSU_SV_EUlSU_E_NS1_11comp_targetILNS1_3genE10ELNS1_11target_archE1200ELNS1_3gpuE4ELNS1_3repE0EEENS1_30default_config_static_selectorELNS0_4arch9wavefront6targetE1EEEvT1_
	.globl	_ZN7rocprim17ROCPRIM_400000_NS6detail17trampoline_kernelINS0_14default_configENS1_27scan_by_key_config_selectorIxxEEZZNS1_16scan_by_key_implILNS1_25lookback_scan_determinismE0ELb0ES3_N6thrust23THRUST_200600_302600_NS6detail15normal_iteratorINS9_10device_ptrIxEEEESE_SE_xNS9_4plusIvEENS9_8equal_toIvEExEE10hipError_tPvRmT2_T3_T4_T5_mT6_T7_P12ihipStream_tbENKUlT_T0_E_clISt17integral_constantIbLb1EESY_IbLb0EEEEDaSU_SV_EUlSU_E_NS1_11comp_targetILNS1_3genE10ELNS1_11target_archE1200ELNS1_3gpuE4ELNS1_3repE0EEENS1_30default_config_static_selectorELNS0_4arch9wavefront6targetE1EEEvT1_
	.p2align	8
	.type	_ZN7rocprim17ROCPRIM_400000_NS6detail17trampoline_kernelINS0_14default_configENS1_27scan_by_key_config_selectorIxxEEZZNS1_16scan_by_key_implILNS1_25lookback_scan_determinismE0ELb0ES3_N6thrust23THRUST_200600_302600_NS6detail15normal_iteratorINS9_10device_ptrIxEEEESE_SE_xNS9_4plusIvEENS9_8equal_toIvEExEE10hipError_tPvRmT2_T3_T4_T5_mT6_T7_P12ihipStream_tbENKUlT_T0_E_clISt17integral_constantIbLb1EESY_IbLb0EEEEDaSU_SV_EUlSU_E_NS1_11comp_targetILNS1_3genE10ELNS1_11target_archE1200ELNS1_3gpuE4ELNS1_3repE0EEENS1_30default_config_static_selectorELNS0_4arch9wavefront6targetE1EEEvT1_,@function
_ZN7rocprim17ROCPRIM_400000_NS6detail17trampoline_kernelINS0_14default_configENS1_27scan_by_key_config_selectorIxxEEZZNS1_16scan_by_key_implILNS1_25lookback_scan_determinismE0ELb0ES3_N6thrust23THRUST_200600_302600_NS6detail15normal_iteratorINS9_10device_ptrIxEEEESE_SE_xNS9_4plusIvEENS9_8equal_toIvEExEE10hipError_tPvRmT2_T3_T4_T5_mT6_T7_P12ihipStream_tbENKUlT_T0_E_clISt17integral_constantIbLb1EESY_IbLb0EEEEDaSU_SV_EUlSU_E_NS1_11comp_targetILNS1_3genE10ELNS1_11target_archE1200ELNS1_3gpuE4ELNS1_3repE0EEENS1_30default_config_static_selectorELNS0_4arch9wavefront6targetE1EEEvT1_: ; @_ZN7rocprim17ROCPRIM_400000_NS6detail17trampoline_kernelINS0_14default_configENS1_27scan_by_key_config_selectorIxxEEZZNS1_16scan_by_key_implILNS1_25lookback_scan_determinismE0ELb0ES3_N6thrust23THRUST_200600_302600_NS6detail15normal_iteratorINS9_10device_ptrIxEEEESE_SE_xNS9_4plusIvEENS9_8equal_toIvEExEE10hipError_tPvRmT2_T3_T4_T5_mT6_T7_P12ihipStream_tbENKUlT_T0_E_clISt17integral_constantIbLb1EESY_IbLb0EEEEDaSU_SV_EUlSU_E_NS1_11comp_targetILNS1_3genE10ELNS1_11target_archE1200ELNS1_3gpuE4ELNS1_3repE0EEENS1_30default_config_static_selectorELNS0_4arch9wavefront6targetE1EEEvT1_
; %bb.0:
	.section	.rodata,"a",@progbits
	.p2align	6, 0x0
	.amdhsa_kernel _ZN7rocprim17ROCPRIM_400000_NS6detail17trampoline_kernelINS0_14default_configENS1_27scan_by_key_config_selectorIxxEEZZNS1_16scan_by_key_implILNS1_25lookback_scan_determinismE0ELb0ES3_N6thrust23THRUST_200600_302600_NS6detail15normal_iteratorINS9_10device_ptrIxEEEESE_SE_xNS9_4plusIvEENS9_8equal_toIvEExEE10hipError_tPvRmT2_T3_T4_T5_mT6_T7_P12ihipStream_tbENKUlT_T0_E_clISt17integral_constantIbLb1EESY_IbLb0EEEEDaSU_SV_EUlSU_E_NS1_11comp_targetILNS1_3genE10ELNS1_11target_archE1200ELNS1_3gpuE4ELNS1_3repE0EEENS1_30default_config_static_selectorELNS0_4arch9wavefront6targetE1EEEvT1_
		.amdhsa_group_segment_fixed_size 0
		.amdhsa_private_segment_fixed_size 0
		.amdhsa_kernarg_size 136
		.amdhsa_user_sgpr_count 2
		.amdhsa_user_sgpr_dispatch_ptr 0
		.amdhsa_user_sgpr_queue_ptr 0
		.amdhsa_user_sgpr_kernarg_segment_ptr 1
		.amdhsa_user_sgpr_dispatch_id 0
		.amdhsa_user_sgpr_kernarg_preload_length 0
		.amdhsa_user_sgpr_kernarg_preload_offset 0
		.amdhsa_user_sgpr_private_segment_size 0
		.amdhsa_uses_dynamic_stack 0
		.amdhsa_enable_private_segment 0
		.amdhsa_system_sgpr_workgroup_id_x 1
		.amdhsa_system_sgpr_workgroup_id_y 0
		.amdhsa_system_sgpr_workgroup_id_z 0
		.amdhsa_system_sgpr_workgroup_info 0
		.amdhsa_system_vgpr_workitem_id 0
		.amdhsa_next_free_vgpr 1
		.amdhsa_next_free_sgpr 0
		.amdhsa_accum_offset 4
		.amdhsa_reserve_vcc 0
		.amdhsa_float_round_mode_32 0
		.amdhsa_float_round_mode_16_64 0
		.amdhsa_float_denorm_mode_32 3
		.amdhsa_float_denorm_mode_16_64 3
		.amdhsa_dx10_clamp 1
		.amdhsa_ieee_mode 1
		.amdhsa_fp16_overflow 0
		.amdhsa_tg_split 0
		.amdhsa_exception_fp_ieee_invalid_op 0
		.amdhsa_exception_fp_denorm_src 0
		.amdhsa_exception_fp_ieee_div_zero 0
		.amdhsa_exception_fp_ieee_overflow 0
		.amdhsa_exception_fp_ieee_underflow 0
		.amdhsa_exception_fp_ieee_inexact 0
		.amdhsa_exception_int_div_zero 0
	.end_amdhsa_kernel
	.section	.text._ZN7rocprim17ROCPRIM_400000_NS6detail17trampoline_kernelINS0_14default_configENS1_27scan_by_key_config_selectorIxxEEZZNS1_16scan_by_key_implILNS1_25lookback_scan_determinismE0ELb0ES3_N6thrust23THRUST_200600_302600_NS6detail15normal_iteratorINS9_10device_ptrIxEEEESE_SE_xNS9_4plusIvEENS9_8equal_toIvEExEE10hipError_tPvRmT2_T3_T4_T5_mT6_T7_P12ihipStream_tbENKUlT_T0_E_clISt17integral_constantIbLb1EESY_IbLb0EEEEDaSU_SV_EUlSU_E_NS1_11comp_targetILNS1_3genE10ELNS1_11target_archE1200ELNS1_3gpuE4ELNS1_3repE0EEENS1_30default_config_static_selectorELNS0_4arch9wavefront6targetE1EEEvT1_,"axG",@progbits,_ZN7rocprim17ROCPRIM_400000_NS6detail17trampoline_kernelINS0_14default_configENS1_27scan_by_key_config_selectorIxxEEZZNS1_16scan_by_key_implILNS1_25lookback_scan_determinismE0ELb0ES3_N6thrust23THRUST_200600_302600_NS6detail15normal_iteratorINS9_10device_ptrIxEEEESE_SE_xNS9_4plusIvEENS9_8equal_toIvEExEE10hipError_tPvRmT2_T3_T4_T5_mT6_T7_P12ihipStream_tbENKUlT_T0_E_clISt17integral_constantIbLb1EESY_IbLb0EEEEDaSU_SV_EUlSU_E_NS1_11comp_targetILNS1_3genE10ELNS1_11target_archE1200ELNS1_3gpuE4ELNS1_3repE0EEENS1_30default_config_static_selectorELNS0_4arch9wavefront6targetE1EEEvT1_,comdat
.Lfunc_end33:
	.size	_ZN7rocprim17ROCPRIM_400000_NS6detail17trampoline_kernelINS0_14default_configENS1_27scan_by_key_config_selectorIxxEEZZNS1_16scan_by_key_implILNS1_25lookback_scan_determinismE0ELb0ES3_N6thrust23THRUST_200600_302600_NS6detail15normal_iteratorINS9_10device_ptrIxEEEESE_SE_xNS9_4plusIvEENS9_8equal_toIvEExEE10hipError_tPvRmT2_T3_T4_T5_mT6_T7_P12ihipStream_tbENKUlT_T0_E_clISt17integral_constantIbLb1EESY_IbLb0EEEEDaSU_SV_EUlSU_E_NS1_11comp_targetILNS1_3genE10ELNS1_11target_archE1200ELNS1_3gpuE4ELNS1_3repE0EEENS1_30default_config_static_selectorELNS0_4arch9wavefront6targetE1EEEvT1_, .Lfunc_end33-_ZN7rocprim17ROCPRIM_400000_NS6detail17trampoline_kernelINS0_14default_configENS1_27scan_by_key_config_selectorIxxEEZZNS1_16scan_by_key_implILNS1_25lookback_scan_determinismE0ELb0ES3_N6thrust23THRUST_200600_302600_NS6detail15normal_iteratorINS9_10device_ptrIxEEEESE_SE_xNS9_4plusIvEENS9_8equal_toIvEExEE10hipError_tPvRmT2_T3_T4_T5_mT6_T7_P12ihipStream_tbENKUlT_T0_E_clISt17integral_constantIbLb1EESY_IbLb0EEEEDaSU_SV_EUlSU_E_NS1_11comp_targetILNS1_3genE10ELNS1_11target_archE1200ELNS1_3gpuE4ELNS1_3repE0EEENS1_30default_config_static_selectorELNS0_4arch9wavefront6targetE1EEEvT1_
                                        ; -- End function
	.section	.AMDGPU.csdata,"",@progbits
; Kernel info:
; codeLenInByte = 0
; NumSgprs: 6
; NumVgprs: 0
; NumAgprs: 0
; TotalNumVgprs: 0
; ScratchSize: 0
; MemoryBound: 0
; FloatMode: 240
; IeeeMode: 1
; LDSByteSize: 0 bytes/workgroup (compile time only)
; SGPRBlocks: 0
; VGPRBlocks: 0
; NumSGPRsForWavesPerEU: 6
; NumVGPRsForWavesPerEU: 1
; AccumOffset: 4
; Occupancy: 8
; WaveLimiterHint : 0
; COMPUTE_PGM_RSRC2:SCRATCH_EN: 0
; COMPUTE_PGM_RSRC2:USER_SGPR: 2
; COMPUTE_PGM_RSRC2:TRAP_HANDLER: 0
; COMPUTE_PGM_RSRC2:TGID_X_EN: 1
; COMPUTE_PGM_RSRC2:TGID_Y_EN: 0
; COMPUTE_PGM_RSRC2:TGID_Z_EN: 0
; COMPUTE_PGM_RSRC2:TIDIG_COMP_CNT: 0
; COMPUTE_PGM_RSRC3_GFX90A:ACCUM_OFFSET: 0
; COMPUTE_PGM_RSRC3_GFX90A:TG_SPLIT: 0
	.section	.text._ZN7rocprim17ROCPRIM_400000_NS6detail17trampoline_kernelINS0_14default_configENS1_27scan_by_key_config_selectorIxxEEZZNS1_16scan_by_key_implILNS1_25lookback_scan_determinismE0ELb0ES3_N6thrust23THRUST_200600_302600_NS6detail15normal_iteratorINS9_10device_ptrIxEEEESE_SE_xNS9_4plusIvEENS9_8equal_toIvEExEE10hipError_tPvRmT2_T3_T4_T5_mT6_T7_P12ihipStream_tbENKUlT_T0_E_clISt17integral_constantIbLb1EESY_IbLb0EEEEDaSU_SV_EUlSU_E_NS1_11comp_targetILNS1_3genE9ELNS1_11target_archE1100ELNS1_3gpuE3ELNS1_3repE0EEENS1_30default_config_static_selectorELNS0_4arch9wavefront6targetE1EEEvT1_,"axG",@progbits,_ZN7rocprim17ROCPRIM_400000_NS6detail17trampoline_kernelINS0_14default_configENS1_27scan_by_key_config_selectorIxxEEZZNS1_16scan_by_key_implILNS1_25lookback_scan_determinismE0ELb0ES3_N6thrust23THRUST_200600_302600_NS6detail15normal_iteratorINS9_10device_ptrIxEEEESE_SE_xNS9_4plusIvEENS9_8equal_toIvEExEE10hipError_tPvRmT2_T3_T4_T5_mT6_T7_P12ihipStream_tbENKUlT_T0_E_clISt17integral_constantIbLb1EESY_IbLb0EEEEDaSU_SV_EUlSU_E_NS1_11comp_targetILNS1_3genE9ELNS1_11target_archE1100ELNS1_3gpuE3ELNS1_3repE0EEENS1_30default_config_static_selectorELNS0_4arch9wavefront6targetE1EEEvT1_,comdat
	.protected	_ZN7rocprim17ROCPRIM_400000_NS6detail17trampoline_kernelINS0_14default_configENS1_27scan_by_key_config_selectorIxxEEZZNS1_16scan_by_key_implILNS1_25lookback_scan_determinismE0ELb0ES3_N6thrust23THRUST_200600_302600_NS6detail15normal_iteratorINS9_10device_ptrIxEEEESE_SE_xNS9_4plusIvEENS9_8equal_toIvEExEE10hipError_tPvRmT2_T3_T4_T5_mT6_T7_P12ihipStream_tbENKUlT_T0_E_clISt17integral_constantIbLb1EESY_IbLb0EEEEDaSU_SV_EUlSU_E_NS1_11comp_targetILNS1_3genE9ELNS1_11target_archE1100ELNS1_3gpuE3ELNS1_3repE0EEENS1_30default_config_static_selectorELNS0_4arch9wavefront6targetE1EEEvT1_ ; -- Begin function _ZN7rocprim17ROCPRIM_400000_NS6detail17trampoline_kernelINS0_14default_configENS1_27scan_by_key_config_selectorIxxEEZZNS1_16scan_by_key_implILNS1_25lookback_scan_determinismE0ELb0ES3_N6thrust23THRUST_200600_302600_NS6detail15normal_iteratorINS9_10device_ptrIxEEEESE_SE_xNS9_4plusIvEENS9_8equal_toIvEExEE10hipError_tPvRmT2_T3_T4_T5_mT6_T7_P12ihipStream_tbENKUlT_T0_E_clISt17integral_constantIbLb1EESY_IbLb0EEEEDaSU_SV_EUlSU_E_NS1_11comp_targetILNS1_3genE9ELNS1_11target_archE1100ELNS1_3gpuE3ELNS1_3repE0EEENS1_30default_config_static_selectorELNS0_4arch9wavefront6targetE1EEEvT1_
	.globl	_ZN7rocprim17ROCPRIM_400000_NS6detail17trampoline_kernelINS0_14default_configENS1_27scan_by_key_config_selectorIxxEEZZNS1_16scan_by_key_implILNS1_25lookback_scan_determinismE0ELb0ES3_N6thrust23THRUST_200600_302600_NS6detail15normal_iteratorINS9_10device_ptrIxEEEESE_SE_xNS9_4plusIvEENS9_8equal_toIvEExEE10hipError_tPvRmT2_T3_T4_T5_mT6_T7_P12ihipStream_tbENKUlT_T0_E_clISt17integral_constantIbLb1EESY_IbLb0EEEEDaSU_SV_EUlSU_E_NS1_11comp_targetILNS1_3genE9ELNS1_11target_archE1100ELNS1_3gpuE3ELNS1_3repE0EEENS1_30default_config_static_selectorELNS0_4arch9wavefront6targetE1EEEvT1_
	.p2align	8
	.type	_ZN7rocprim17ROCPRIM_400000_NS6detail17trampoline_kernelINS0_14default_configENS1_27scan_by_key_config_selectorIxxEEZZNS1_16scan_by_key_implILNS1_25lookback_scan_determinismE0ELb0ES3_N6thrust23THRUST_200600_302600_NS6detail15normal_iteratorINS9_10device_ptrIxEEEESE_SE_xNS9_4plusIvEENS9_8equal_toIvEExEE10hipError_tPvRmT2_T3_T4_T5_mT6_T7_P12ihipStream_tbENKUlT_T0_E_clISt17integral_constantIbLb1EESY_IbLb0EEEEDaSU_SV_EUlSU_E_NS1_11comp_targetILNS1_3genE9ELNS1_11target_archE1100ELNS1_3gpuE3ELNS1_3repE0EEENS1_30default_config_static_selectorELNS0_4arch9wavefront6targetE1EEEvT1_,@function
_ZN7rocprim17ROCPRIM_400000_NS6detail17trampoline_kernelINS0_14default_configENS1_27scan_by_key_config_selectorIxxEEZZNS1_16scan_by_key_implILNS1_25lookback_scan_determinismE0ELb0ES3_N6thrust23THRUST_200600_302600_NS6detail15normal_iteratorINS9_10device_ptrIxEEEESE_SE_xNS9_4plusIvEENS9_8equal_toIvEExEE10hipError_tPvRmT2_T3_T4_T5_mT6_T7_P12ihipStream_tbENKUlT_T0_E_clISt17integral_constantIbLb1EESY_IbLb0EEEEDaSU_SV_EUlSU_E_NS1_11comp_targetILNS1_3genE9ELNS1_11target_archE1100ELNS1_3gpuE3ELNS1_3repE0EEENS1_30default_config_static_selectorELNS0_4arch9wavefront6targetE1EEEvT1_: ; @_ZN7rocprim17ROCPRIM_400000_NS6detail17trampoline_kernelINS0_14default_configENS1_27scan_by_key_config_selectorIxxEEZZNS1_16scan_by_key_implILNS1_25lookback_scan_determinismE0ELb0ES3_N6thrust23THRUST_200600_302600_NS6detail15normal_iteratorINS9_10device_ptrIxEEEESE_SE_xNS9_4plusIvEENS9_8equal_toIvEExEE10hipError_tPvRmT2_T3_T4_T5_mT6_T7_P12ihipStream_tbENKUlT_T0_E_clISt17integral_constantIbLb1EESY_IbLb0EEEEDaSU_SV_EUlSU_E_NS1_11comp_targetILNS1_3genE9ELNS1_11target_archE1100ELNS1_3gpuE3ELNS1_3repE0EEENS1_30default_config_static_selectorELNS0_4arch9wavefront6targetE1EEEvT1_
; %bb.0:
	.section	.rodata,"a",@progbits
	.p2align	6, 0x0
	.amdhsa_kernel _ZN7rocprim17ROCPRIM_400000_NS6detail17trampoline_kernelINS0_14default_configENS1_27scan_by_key_config_selectorIxxEEZZNS1_16scan_by_key_implILNS1_25lookback_scan_determinismE0ELb0ES3_N6thrust23THRUST_200600_302600_NS6detail15normal_iteratorINS9_10device_ptrIxEEEESE_SE_xNS9_4plusIvEENS9_8equal_toIvEExEE10hipError_tPvRmT2_T3_T4_T5_mT6_T7_P12ihipStream_tbENKUlT_T0_E_clISt17integral_constantIbLb1EESY_IbLb0EEEEDaSU_SV_EUlSU_E_NS1_11comp_targetILNS1_3genE9ELNS1_11target_archE1100ELNS1_3gpuE3ELNS1_3repE0EEENS1_30default_config_static_selectorELNS0_4arch9wavefront6targetE1EEEvT1_
		.amdhsa_group_segment_fixed_size 0
		.amdhsa_private_segment_fixed_size 0
		.amdhsa_kernarg_size 136
		.amdhsa_user_sgpr_count 2
		.amdhsa_user_sgpr_dispatch_ptr 0
		.amdhsa_user_sgpr_queue_ptr 0
		.amdhsa_user_sgpr_kernarg_segment_ptr 1
		.amdhsa_user_sgpr_dispatch_id 0
		.amdhsa_user_sgpr_kernarg_preload_length 0
		.amdhsa_user_sgpr_kernarg_preload_offset 0
		.amdhsa_user_sgpr_private_segment_size 0
		.amdhsa_uses_dynamic_stack 0
		.amdhsa_enable_private_segment 0
		.amdhsa_system_sgpr_workgroup_id_x 1
		.amdhsa_system_sgpr_workgroup_id_y 0
		.amdhsa_system_sgpr_workgroup_id_z 0
		.amdhsa_system_sgpr_workgroup_info 0
		.amdhsa_system_vgpr_workitem_id 0
		.amdhsa_next_free_vgpr 1
		.amdhsa_next_free_sgpr 0
		.amdhsa_accum_offset 4
		.amdhsa_reserve_vcc 0
		.amdhsa_float_round_mode_32 0
		.amdhsa_float_round_mode_16_64 0
		.amdhsa_float_denorm_mode_32 3
		.amdhsa_float_denorm_mode_16_64 3
		.amdhsa_dx10_clamp 1
		.amdhsa_ieee_mode 1
		.amdhsa_fp16_overflow 0
		.amdhsa_tg_split 0
		.amdhsa_exception_fp_ieee_invalid_op 0
		.amdhsa_exception_fp_denorm_src 0
		.amdhsa_exception_fp_ieee_div_zero 0
		.amdhsa_exception_fp_ieee_overflow 0
		.amdhsa_exception_fp_ieee_underflow 0
		.amdhsa_exception_fp_ieee_inexact 0
		.amdhsa_exception_int_div_zero 0
	.end_amdhsa_kernel
	.section	.text._ZN7rocprim17ROCPRIM_400000_NS6detail17trampoline_kernelINS0_14default_configENS1_27scan_by_key_config_selectorIxxEEZZNS1_16scan_by_key_implILNS1_25lookback_scan_determinismE0ELb0ES3_N6thrust23THRUST_200600_302600_NS6detail15normal_iteratorINS9_10device_ptrIxEEEESE_SE_xNS9_4plusIvEENS9_8equal_toIvEExEE10hipError_tPvRmT2_T3_T4_T5_mT6_T7_P12ihipStream_tbENKUlT_T0_E_clISt17integral_constantIbLb1EESY_IbLb0EEEEDaSU_SV_EUlSU_E_NS1_11comp_targetILNS1_3genE9ELNS1_11target_archE1100ELNS1_3gpuE3ELNS1_3repE0EEENS1_30default_config_static_selectorELNS0_4arch9wavefront6targetE1EEEvT1_,"axG",@progbits,_ZN7rocprim17ROCPRIM_400000_NS6detail17trampoline_kernelINS0_14default_configENS1_27scan_by_key_config_selectorIxxEEZZNS1_16scan_by_key_implILNS1_25lookback_scan_determinismE0ELb0ES3_N6thrust23THRUST_200600_302600_NS6detail15normal_iteratorINS9_10device_ptrIxEEEESE_SE_xNS9_4plusIvEENS9_8equal_toIvEExEE10hipError_tPvRmT2_T3_T4_T5_mT6_T7_P12ihipStream_tbENKUlT_T0_E_clISt17integral_constantIbLb1EESY_IbLb0EEEEDaSU_SV_EUlSU_E_NS1_11comp_targetILNS1_3genE9ELNS1_11target_archE1100ELNS1_3gpuE3ELNS1_3repE0EEENS1_30default_config_static_selectorELNS0_4arch9wavefront6targetE1EEEvT1_,comdat
.Lfunc_end34:
	.size	_ZN7rocprim17ROCPRIM_400000_NS6detail17trampoline_kernelINS0_14default_configENS1_27scan_by_key_config_selectorIxxEEZZNS1_16scan_by_key_implILNS1_25lookback_scan_determinismE0ELb0ES3_N6thrust23THRUST_200600_302600_NS6detail15normal_iteratorINS9_10device_ptrIxEEEESE_SE_xNS9_4plusIvEENS9_8equal_toIvEExEE10hipError_tPvRmT2_T3_T4_T5_mT6_T7_P12ihipStream_tbENKUlT_T0_E_clISt17integral_constantIbLb1EESY_IbLb0EEEEDaSU_SV_EUlSU_E_NS1_11comp_targetILNS1_3genE9ELNS1_11target_archE1100ELNS1_3gpuE3ELNS1_3repE0EEENS1_30default_config_static_selectorELNS0_4arch9wavefront6targetE1EEEvT1_, .Lfunc_end34-_ZN7rocprim17ROCPRIM_400000_NS6detail17trampoline_kernelINS0_14default_configENS1_27scan_by_key_config_selectorIxxEEZZNS1_16scan_by_key_implILNS1_25lookback_scan_determinismE0ELb0ES3_N6thrust23THRUST_200600_302600_NS6detail15normal_iteratorINS9_10device_ptrIxEEEESE_SE_xNS9_4plusIvEENS9_8equal_toIvEExEE10hipError_tPvRmT2_T3_T4_T5_mT6_T7_P12ihipStream_tbENKUlT_T0_E_clISt17integral_constantIbLb1EESY_IbLb0EEEEDaSU_SV_EUlSU_E_NS1_11comp_targetILNS1_3genE9ELNS1_11target_archE1100ELNS1_3gpuE3ELNS1_3repE0EEENS1_30default_config_static_selectorELNS0_4arch9wavefront6targetE1EEEvT1_
                                        ; -- End function
	.section	.AMDGPU.csdata,"",@progbits
; Kernel info:
; codeLenInByte = 0
; NumSgprs: 6
; NumVgprs: 0
; NumAgprs: 0
; TotalNumVgprs: 0
; ScratchSize: 0
; MemoryBound: 0
; FloatMode: 240
; IeeeMode: 1
; LDSByteSize: 0 bytes/workgroup (compile time only)
; SGPRBlocks: 0
; VGPRBlocks: 0
; NumSGPRsForWavesPerEU: 6
; NumVGPRsForWavesPerEU: 1
; AccumOffset: 4
; Occupancy: 8
; WaveLimiterHint : 0
; COMPUTE_PGM_RSRC2:SCRATCH_EN: 0
; COMPUTE_PGM_RSRC2:USER_SGPR: 2
; COMPUTE_PGM_RSRC2:TRAP_HANDLER: 0
; COMPUTE_PGM_RSRC2:TGID_X_EN: 1
; COMPUTE_PGM_RSRC2:TGID_Y_EN: 0
; COMPUTE_PGM_RSRC2:TGID_Z_EN: 0
; COMPUTE_PGM_RSRC2:TIDIG_COMP_CNT: 0
; COMPUTE_PGM_RSRC3_GFX90A:ACCUM_OFFSET: 0
; COMPUTE_PGM_RSRC3_GFX90A:TG_SPLIT: 0
	.section	.text._ZN7rocprim17ROCPRIM_400000_NS6detail17trampoline_kernelINS0_14default_configENS1_27scan_by_key_config_selectorIxxEEZZNS1_16scan_by_key_implILNS1_25lookback_scan_determinismE0ELb0ES3_N6thrust23THRUST_200600_302600_NS6detail15normal_iteratorINS9_10device_ptrIxEEEESE_SE_xNS9_4plusIvEENS9_8equal_toIvEExEE10hipError_tPvRmT2_T3_T4_T5_mT6_T7_P12ihipStream_tbENKUlT_T0_E_clISt17integral_constantIbLb1EESY_IbLb0EEEEDaSU_SV_EUlSU_E_NS1_11comp_targetILNS1_3genE8ELNS1_11target_archE1030ELNS1_3gpuE2ELNS1_3repE0EEENS1_30default_config_static_selectorELNS0_4arch9wavefront6targetE1EEEvT1_,"axG",@progbits,_ZN7rocprim17ROCPRIM_400000_NS6detail17trampoline_kernelINS0_14default_configENS1_27scan_by_key_config_selectorIxxEEZZNS1_16scan_by_key_implILNS1_25lookback_scan_determinismE0ELb0ES3_N6thrust23THRUST_200600_302600_NS6detail15normal_iteratorINS9_10device_ptrIxEEEESE_SE_xNS9_4plusIvEENS9_8equal_toIvEExEE10hipError_tPvRmT2_T3_T4_T5_mT6_T7_P12ihipStream_tbENKUlT_T0_E_clISt17integral_constantIbLb1EESY_IbLb0EEEEDaSU_SV_EUlSU_E_NS1_11comp_targetILNS1_3genE8ELNS1_11target_archE1030ELNS1_3gpuE2ELNS1_3repE0EEENS1_30default_config_static_selectorELNS0_4arch9wavefront6targetE1EEEvT1_,comdat
	.protected	_ZN7rocprim17ROCPRIM_400000_NS6detail17trampoline_kernelINS0_14default_configENS1_27scan_by_key_config_selectorIxxEEZZNS1_16scan_by_key_implILNS1_25lookback_scan_determinismE0ELb0ES3_N6thrust23THRUST_200600_302600_NS6detail15normal_iteratorINS9_10device_ptrIxEEEESE_SE_xNS9_4plusIvEENS9_8equal_toIvEExEE10hipError_tPvRmT2_T3_T4_T5_mT6_T7_P12ihipStream_tbENKUlT_T0_E_clISt17integral_constantIbLb1EESY_IbLb0EEEEDaSU_SV_EUlSU_E_NS1_11comp_targetILNS1_3genE8ELNS1_11target_archE1030ELNS1_3gpuE2ELNS1_3repE0EEENS1_30default_config_static_selectorELNS0_4arch9wavefront6targetE1EEEvT1_ ; -- Begin function _ZN7rocprim17ROCPRIM_400000_NS6detail17trampoline_kernelINS0_14default_configENS1_27scan_by_key_config_selectorIxxEEZZNS1_16scan_by_key_implILNS1_25lookback_scan_determinismE0ELb0ES3_N6thrust23THRUST_200600_302600_NS6detail15normal_iteratorINS9_10device_ptrIxEEEESE_SE_xNS9_4plusIvEENS9_8equal_toIvEExEE10hipError_tPvRmT2_T3_T4_T5_mT6_T7_P12ihipStream_tbENKUlT_T0_E_clISt17integral_constantIbLb1EESY_IbLb0EEEEDaSU_SV_EUlSU_E_NS1_11comp_targetILNS1_3genE8ELNS1_11target_archE1030ELNS1_3gpuE2ELNS1_3repE0EEENS1_30default_config_static_selectorELNS0_4arch9wavefront6targetE1EEEvT1_
	.globl	_ZN7rocprim17ROCPRIM_400000_NS6detail17trampoline_kernelINS0_14default_configENS1_27scan_by_key_config_selectorIxxEEZZNS1_16scan_by_key_implILNS1_25lookback_scan_determinismE0ELb0ES3_N6thrust23THRUST_200600_302600_NS6detail15normal_iteratorINS9_10device_ptrIxEEEESE_SE_xNS9_4plusIvEENS9_8equal_toIvEExEE10hipError_tPvRmT2_T3_T4_T5_mT6_T7_P12ihipStream_tbENKUlT_T0_E_clISt17integral_constantIbLb1EESY_IbLb0EEEEDaSU_SV_EUlSU_E_NS1_11comp_targetILNS1_3genE8ELNS1_11target_archE1030ELNS1_3gpuE2ELNS1_3repE0EEENS1_30default_config_static_selectorELNS0_4arch9wavefront6targetE1EEEvT1_
	.p2align	8
	.type	_ZN7rocprim17ROCPRIM_400000_NS6detail17trampoline_kernelINS0_14default_configENS1_27scan_by_key_config_selectorIxxEEZZNS1_16scan_by_key_implILNS1_25lookback_scan_determinismE0ELb0ES3_N6thrust23THRUST_200600_302600_NS6detail15normal_iteratorINS9_10device_ptrIxEEEESE_SE_xNS9_4plusIvEENS9_8equal_toIvEExEE10hipError_tPvRmT2_T3_T4_T5_mT6_T7_P12ihipStream_tbENKUlT_T0_E_clISt17integral_constantIbLb1EESY_IbLb0EEEEDaSU_SV_EUlSU_E_NS1_11comp_targetILNS1_3genE8ELNS1_11target_archE1030ELNS1_3gpuE2ELNS1_3repE0EEENS1_30default_config_static_selectorELNS0_4arch9wavefront6targetE1EEEvT1_,@function
_ZN7rocprim17ROCPRIM_400000_NS6detail17trampoline_kernelINS0_14default_configENS1_27scan_by_key_config_selectorIxxEEZZNS1_16scan_by_key_implILNS1_25lookback_scan_determinismE0ELb0ES3_N6thrust23THRUST_200600_302600_NS6detail15normal_iteratorINS9_10device_ptrIxEEEESE_SE_xNS9_4plusIvEENS9_8equal_toIvEExEE10hipError_tPvRmT2_T3_T4_T5_mT6_T7_P12ihipStream_tbENKUlT_T0_E_clISt17integral_constantIbLb1EESY_IbLb0EEEEDaSU_SV_EUlSU_E_NS1_11comp_targetILNS1_3genE8ELNS1_11target_archE1030ELNS1_3gpuE2ELNS1_3repE0EEENS1_30default_config_static_selectorELNS0_4arch9wavefront6targetE1EEEvT1_: ; @_ZN7rocprim17ROCPRIM_400000_NS6detail17trampoline_kernelINS0_14default_configENS1_27scan_by_key_config_selectorIxxEEZZNS1_16scan_by_key_implILNS1_25lookback_scan_determinismE0ELb0ES3_N6thrust23THRUST_200600_302600_NS6detail15normal_iteratorINS9_10device_ptrIxEEEESE_SE_xNS9_4plusIvEENS9_8equal_toIvEExEE10hipError_tPvRmT2_T3_T4_T5_mT6_T7_P12ihipStream_tbENKUlT_T0_E_clISt17integral_constantIbLb1EESY_IbLb0EEEEDaSU_SV_EUlSU_E_NS1_11comp_targetILNS1_3genE8ELNS1_11target_archE1030ELNS1_3gpuE2ELNS1_3repE0EEENS1_30default_config_static_selectorELNS0_4arch9wavefront6targetE1EEEvT1_
; %bb.0:
	.section	.rodata,"a",@progbits
	.p2align	6, 0x0
	.amdhsa_kernel _ZN7rocprim17ROCPRIM_400000_NS6detail17trampoline_kernelINS0_14default_configENS1_27scan_by_key_config_selectorIxxEEZZNS1_16scan_by_key_implILNS1_25lookback_scan_determinismE0ELb0ES3_N6thrust23THRUST_200600_302600_NS6detail15normal_iteratorINS9_10device_ptrIxEEEESE_SE_xNS9_4plusIvEENS9_8equal_toIvEExEE10hipError_tPvRmT2_T3_T4_T5_mT6_T7_P12ihipStream_tbENKUlT_T0_E_clISt17integral_constantIbLb1EESY_IbLb0EEEEDaSU_SV_EUlSU_E_NS1_11comp_targetILNS1_3genE8ELNS1_11target_archE1030ELNS1_3gpuE2ELNS1_3repE0EEENS1_30default_config_static_selectorELNS0_4arch9wavefront6targetE1EEEvT1_
		.amdhsa_group_segment_fixed_size 0
		.amdhsa_private_segment_fixed_size 0
		.amdhsa_kernarg_size 136
		.amdhsa_user_sgpr_count 2
		.amdhsa_user_sgpr_dispatch_ptr 0
		.amdhsa_user_sgpr_queue_ptr 0
		.amdhsa_user_sgpr_kernarg_segment_ptr 1
		.amdhsa_user_sgpr_dispatch_id 0
		.amdhsa_user_sgpr_kernarg_preload_length 0
		.amdhsa_user_sgpr_kernarg_preload_offset 0
		.amdhsa_user_sgpr_private_segment_size 0
		.amdhsa_uses_dynamic_stack 0
		.amdhsa_enable_private_segment 0
		.amdhsa_system_sgpr_workgroup_id_x 1
		.amdhsa_system_sgpr_workgroup_id_y 0
		.amdhsa_system_sgpr_workgroup_id_z 0
		.amdhsa_system_sgpr_workgroup_info 0
		.amdhsa_system_vgpr_workitem_id 0
		.amdhsa_next_free_vgpr 1
		.amdhsa_next_free_sgpr 0
		.amdhsa_accum_offset 4
		.amdhsa_reserve_vcc 0
		.amdhsa_float_round_mode_32 0
		.amdhsa_float_round_mode_16_64 0
		.amdhsa_float_denorm_mode_32 3
		.amdhsa_float_denorm_mode_16_64 3
		.amdhsa_dx10_clamp 1
		.amdhsa_ieee_mode 1
		.amdhsa_fp16_overflow 0
		.amdhsa_tg_split 0
		.amdhsa_exception_fp_ieee_invalid_op 0
		.amdhsa_exception_fp_denorm_src 0
		.amdhsa_exception_fp_ieee_div_zero 0
		.amdhsa_exception_fp_ieee_overflow 0
		.amdhsa_exception_fp_ieee_underflow 0
		.amdhsa_exception_fp_ieee_inexact 0
		.amdhsa_exception_int_div_zero 0
	.end_amdhsa_kernel
	.section	.text._ZN7rocprim17ROCPRIM_400000_NS6detail17trampoline_kernelINS0_14default_configENS1_27scan_by_key_config_selectorIxxEEZZNS1_16scan_by_key_implILNS1_25lookback_scan_determinismE0ELb0ES3_N6thrust23THRUST_200600_302600_NS6detail15normal_iteratorINS9_10device_ptrIxEEEESE_SE_xNS9_4plusIvEENS9_8equal_toIvEExEE10hipError_tPvRmT2_T3_T4_T5_mT6_T7_P12ihipStream_tbENKUlT_T0_E_clISt17integral_constantIbLb1EESY_IbLb0EEEEDaSU_SV_EUlSU_E_NS1_11comp_targetILNS1_3genE8ELNS1_11target_archE1030ELNS1_3gpuE2ELNS1_3repE0EEENS1_30default_config_static_selectorELNS0_4arch9wavefront6targetE1EEEvT1_,"axG",@progbits,_ZN7rocprim17ROCPRIM_400000_NS6detail17trampoline_kernelINS0_14default_configENS1_27scan_by_key_config_selectorIxxEEZZNS1_16scan_by_key_implILNS1_25lookback_scan_determinismE0ELb0ES3_N6thrust23THRUST_200600_302600_NS6detail15normal_iteratorINS9_10device_ptrIxEEEESE_SE_xNS9_4plusIvEENS9_8equal_toIvEExEE10hipError_tPvRmT2_T3_T4_T5_mT6_T7_P12ihipStream_tbENKUlT_T0_E_clISt17integral_constantIbLb1EESY_IbLb0EEEEDaSU_SV_EUlSU_E_NS1_11comp_targetILNS1_3genE8ELNS1_11target_archE1030ELNS1_3gpuE2ELNS1_3repE0EEENS1_30default_config_static_selectorELNS0_4arch9wavefront6targetE1EEEvT1_,comdat
.Lfunc_end35:
	.size	_ZN7rocprim17ROCPRIM_400000_NS6detail17trampoline_kernelINS0_14default_configENS1_27scan_by_key_config_selectorIxxEEZZNS1_16scan_by_key_implILNS1_25lookback_scan_determinismE0ELb0ES3_N6thrust23THRUST_200600_302600_NS6detail15normal_iteratorINS9_10device_ptrIxEEEESE_SE_xNS9_4plusIvEENS9_8equal_toIvEExEE10hipError_tPvRmT2_T3_T4_T5_mT6_T7_P12ihipStream_tbENKUlT_T0_E_clISt17integral_constantIbLb1EESY_IbLb0EEEEDaSU_SV_EUlSU_E_NS1_11comp_targetILNS1_3genE8ELNS1_11target_archE1030ELNS1_3gpuE2ELNS1_3repE0EEENS1_30default_config_static_selectorELNS0_4arch9wavefront6targetE1EEEvT1_, .Lfunc_end35-_ZN7rocprim17ROCPRIM_400000_NS6detail17trampoline_kernelINS0_14default_configENS1_27scan_by_key_config_selectorIxxEEZZNS1_16scan_by_key_implILNS1_25lookback_scan_determinismE0ELb0ES3_N6thrust23THRUST_200600_302600_NS6detail15normal_iteratorINS9_10device_ptrIxEEEESE_SE_xNS9_4plusIvEENS9_8equal_toIvEExEE10hipError_tPvRmT2_T3_T4_T5_mT6_T7_P12ihipStream_tbENKUlT_T0_E_clISt17integral_constantIbLb1EESY_IbLb0EEEEDaSU_SV_EUlSU_E_NS1_11comp_targetILNS1_3genE8ELNS1_11target_archE1030ELNS1_3gpuE2ELNS1_3repE0EEENS1_30default_config_static_selectorELNS0_4arch9wavefront6targetE1EEEvT1_
                                        ; -- End function
	.section	.AMDGPU.csdata,"",@progbits
; Kernel info:
; codeLenInByte = 0
; NumSgprs: 6
; NumVgprs: 0
; NumAgprs: 0
; TotalNumVgprs: 0
; ScratchSize: 0
; MemoryBound: 0
; FloatMode: 240
; IeeeMode: 1
; LDSByteSize: 0 bytes/workgroup (compile time only)
; SGPRBlocks: 0
; VGPRBlocks: 0
; NumSGPRsForWavesPerEU: 6
; NumVGPRsForWavesPerEU: 1
; AccumOffset: 4
; Occupancy: 8
; WaveLimiterHint : 0
; COMPUTE_PGM_RSRC2:SCRATCH_EN: 0
; COMPUTE_PGM_RSRC2:USER_SGPR: 2
; COMPUTE_PGM_RSRC2:TRAP_HANDLER: 0
; COMPUTE_PGM_RSRC2:TGID_X_EN: 1
; COMPUTE_PGM_RSRC2:TGID_Y_EN: 0
; COMPUTE_PGM_RSRC2:TGID_Z_EN: 0
; COMPUTE_PGM_RSRC2:TIDIG_COMP_CNT: 0
; COMPUTE_PGM_RSRC3_GFX90A:ACCUM_OFFSET: 0
; COMPUTE_PGM_RSRC3_GFX90A:TG_SPLIT: 0
	.section	.text._ZN7rocprim17ROCPRIM_400000_NS6detail30init_device_scan_by_key_kernelINS1_19lookback_scan_stateINS0_5tupleIJxbEEELb0ELb0EEEN6thrust23THRUST_200600_302600_NS6detail15normal_iteratorINS8_10device_ptrIxEEEEjNS1_16block_id_wrapperIjLb1EEEEEvT_jjPNSG_10value_typeET0_PNSt15iterator_traitsISJ_E10value_typeEmT1_T2_,"axG",@progbits,_ZN7rocprim17ROCPRIM_400000_NS6detail30init_device_scan_by_key_kernelINS1_19lookback_scan_stateINS0_5tupleIJxbEEELb0ELb0EEEN6thrust23THRUST_200600_302600_NS6detail15normal_iteratorINS8_10device_ptrIxEEEEjNS1_16block_id_wrapperIjLb1EEEEEvT_jjPNSG_10value_typeET0_PNSt15iterator_traitsISJ_E10value_typeEmT1_T2_,comdat
	.protected	_ZN7rocprim17ROCPRIM_400000_NS6detail30init_device_scan_by_key_kernelINS1_19lookback_scan_stateINS0_5tupleIJxbEEELb0ELb0EEEN6thrust23THRUST_200600_302600_NS6detail15normal_iteratorINS8_10device_ptrIxEEEEjNS1_16block_id_wrapperIjLb1EEEEEvT_jjPNSG_10value_typeET0_PNSt15iterator_traitsISJ_E10value_typeEmT1_T2_ ; -- Begin function _ZN7rocprim17ROCPRIM_400000_NS6detail30init_device_scan_by_key_kernelINS1_19lookback_scan_stateINS0_5tupleIJxbEEELb0ELb0EEEN6thrust23THRUST_200600_302600_NS6detail15normal_iteratorINS8_10device_ptrIxEEEEjNS1_16block_id_wrapperIjLb1EEEEEvT_jjPNSG_10value_typeET0_PNSt15iterator_traitsISJ_E10value_typeEmT1_T2_
	.globl	_ZN7rocprim17ROCPRIM_400000_NS6detail30init_device_scan_by_key_kernelINS1_19lookback_scan_stateINS0_5tupleIJxbEEELb0ELb0EEEN6thrust23THRUST_200600_302600_NS6detail15normal_iteratorINS8_10device_ptrIxEEEEjNS1_16block_id_wrapperIjLb1EEEEEvT_jjPNSG_10value_typeET0_PNSt15iterator_traitsISJ_E10value_typeEmT1_T2_
	.p2align	8
	.type	_ZN7rocprim17ROCPRIM_400000_NS6detail30init_device_scan_by_key_kernelINS1_19lookback_scan_stateINS0_5tupleIJxbEEELb0ELb0EEEN6thrust23THRUST_200600_302600_NS6detail15normal_iteratorINS8_10device_ptrIxEEEEjNS1_16block_id_wrapperIjLb1EEEEEvT_jjPNSG_10value_typeET0_PNSt15iterator_traitsISJ_E10value_typeEmT1_T2_,@function
_ZN7rocprim17ROCPRIM_400000_NS6detail30init_device_scan_by_key_kernelINS1_19lookback_scan_stateINS0_5tupleIJxbEEELb0ELb0EEEN6thrust23THRUST_200600_302600_NS6detail15normal_iteratorINS8_10device_ptrIxEEEEjNS1_16block_id_wrapperIjLb1EEEEEvT_jjPNSG_10value_typeET0_PNSt15iterator_traitsISJ_E10value_typeEmT1_T2_: ; @_ZN7rocprim17ROCPRIM_400000_NS6detail30init_device_scan_by_key_kernelINS1_19lookback_scan_stateINS0_5tupleIJxbEEELb0ELb0EEEN6thrust23THRUST_200600_302600_NS6detail15normal_iteratorINS8_10device_ptrIxEEEEjNS1_16block_id_wrapperIjLb1EEEEEvT_jjPNSG_10value_typeET0_PNSt15iterator_traitsISJ_E10value_typeEmT1_T2_
; %bb.0:
	s_load_dword s3, s[0:1], 0x5c
	s_load_dwordx8 s[4:11], s[0:1], 0x10
	s_load_dword s20, s[0:1], 0x50
	s_waitcnt lgkmcnt(0)
	s_and_b32 s21, s3, 0xffff
	s_mul_i32 s2, s2, s21
	s_cmp_eq_u64 s[8:9], 0
	v_add_u32_e32 v0, s2, v0
	s_cbranch_scc1 .LBB36_7
; %bb.1:
	s_cmp_lt_u32 s7, s6
	s_cselect_b32 s2, s7, 0
	s_mov_b32 s17, 0
	v_cmp_eq_u32_e32 vcc, s2, v0
	s_and_saveexec_b64 s[2:3], vcc
	s_cbranch_execz .LBB36_6
; %bb.2:
	s_add_i32 s16, s7, 64
	v_mov_b32_e32 v1, s16
	global_load_ubyte v1, v1, s[4:5] sc1
	s_load_dwordx4 s[12:15], s[0:1], 0x0
	s_add_u32 s18, s4, s16
	s_addc_u32 s19, s5, 0
	s_waitcnt vmcnt(0)
	v_cmp_ne_u16_e32 vcc, 0, v1
	v_readfirstlane_b32 s7, v1
	s_cbranch_vccnz .LBB36_5
; %bb.3:
	v_mov_b32_e32 v1, 0
.LBB36_4:                               ; =>This Inner Loop Header: Depth=1
	global_load_ubyte v2, v1, s[18:19] sc1
	s_waitcnt vmcnt(0)
	v_cmp_eq_u16_e32 vcc, 0, v2
	v_readfirstlane_b32 s7, v2
	s_cbranch_vccnz .LBB36_4
.LBB36_5:
	s_and_b32 s7, 0xffff, s7
	s_cmp_eq_u32 s7, 1
	s_waitcnt lgkmcnt(0)
	s_cselect_b32 s7, s13, s15
	s_cselect_b32 s14, s12, s14
	s_lshl_b64 s[12:13], s[16:17], 4
	s_add_u32 s12, s14, s12
	s_addc_u32 s13, s7, s13
	v_mov_b32_e32 v1, 0
	s_waitcnt vmcnt(0)
	global_load_dword v2, v1, s[12:13] sc1
	global_load_dword v3, v1, s[12:13] offset:4 sc1
	global_load_dword v4, v1, s[12:13] offset:8 sc1
	;; [unrolled: 1-line block ×3, first 2 shown]
	s_waitcnt vmcnt(2)
	global_store_dwordx2 v1, v[2:3], s[8:9]
	s_waitcnt vmcnt(2)
	global_store_byte v1, v4, s[8:9] offset:8
.LBB36_6:
	s_or_b64 exec, exec, s[2:3]
.LBB36_7:
	v_cmp_eq_u32_e32 vcc, 0, v0
	s_and_saveexec_b64 s[2:3], vcc
	s_cbranch_execz .LBB36_9
; %bb.8:
	s_load_dwordx2 s[8:9], s[0:1], 0x48
	v_mov_b32_e32 v1, 0
	s_waitcnt lgkmcnt(0)
	global_store_dword v1, v1, s[8:9]
.LBB36_9:
	s_or_b64 exec, exec, s[2:3]
	v_cmp_gt_u32_e32 vcc, s6, v0
	s_and_saveexec_b64 s[2:3], vcc
	s_cbranch_execz .LBB36_11
; %bb.10:
	v_add_u32_e32 v1, 64, v0
	v_mov_b32_e32 v2, 0
	global_store_byte v1, v2, s[4:5]
.LBB36_11:
	s_or_b64 exec, exec, s[2:3]
	v_cmp_gt_u32_e32 vcc, 64, v0
	v_mov_b32_e32 v1, 0
	s_and_saveexec_b64 s[2:3], vcc
	s_cbranch_execz .LBB36_13
; %bb.12:
	v_lshl_add_u64 v[2:3], s[4:5], 0, v[0:1]
	v_mov_b32_e32 v4, 0xff
	global_store_byte v[2:3], v4, off
.LBB36_13:
	s_or_b64 exec, exec, s[2:3]
	s_load_dwordx2 s[2:3], s[0:1], 0x38
	s_waitcnt lgkmcnt(0)
	v_cmp_gt_u64_e32 vcc, s[2:3], v[0:1]
	s_and_saveexec_b64 s[4:5], vcc
	s_cbranch_execz .LBB36_16
; %bb.14:
	s_load_dword s12, s[0:1], 0x40
	s_load_dwordx2 s[6:7], s[0:1], 0x30
	s_mov_b32 s5, 0
	s_mov_b32 s1, s5
	s_mul_i32 s0, s20, s21
	s_waitcnt lgkmcnt(0)
	s_add_i32 s4, s12, -1
	s_lshl_b64 s[4:5], s[4:5], 3
	s_add_u32 s4, s10, s4
	v_mad_u64_u32 v[2:3], s[8:9], s12, v0, 0
	s_addc_u32 s5, s11, s5
	v_lshl_add_u64 v[2:3], v[2:3], 3, s[4:5]
	s_mul_hi_u32 s5, s12, s0
	s_mul_i32 s4, s12, s0
	s_lshl_b64 s[4:5], s[4:5], 3
	s_waitcnt vmcnt(2)
	v_lshl_add_u64 v[4:5], v[0:1], 3, s[6:7]
	s_lshl_b64 s[6:7], s[0:1], 3
	s_mov_b64 s[8:9], 0
.LBB36_15:                              ; =>This Inner Loop Header: Depth=1
	global_load_dwordx2 v[6:7], v[2:3], off
	v_lshl_add_u64 v[0:1], v[0:1], 0, s[0:1]
	v_cmp_le_u64_e32 vcc, s[2:3], v[0:1]
	v_lshl_add_u64 v[2:3], v[2:3], 0, s[4:5]
	s_or_b64 s[8:9], vcc, s[8:9]
	s_waitcnt vmcnt(0)
	global_store_dwordx2 v[4:5], v[6:7], off
	v_lshl_add_u64 v[4:5], v[4:5], 0, s[6:7]
	s_andn2_b64 exec, exec, s[8:9]
	s_cbranch_execnz .LBB36_15
.LBB36_16:
	s_endpgm
	.section	.rodata,"a",@progbits
	.p2align	6, 0x0
	.amdhsa_kernel _ZN7rocprim17ROCPRIM_400000_NS6detail30init_device_scan_by_key_kernelINS1_19lookback_scan_stateINS0_5tupleIJxbEEELb0ELb0EEEN6thrust23THRUST_200600_302600_NS6detail15normal_iteratorINS8_10device_ptrIxEEEEjNS1_16block_id_wrapperIjLb1EEEEEvT_jjPNSG_10value_typeET0_PNSt15iterator_traitsISJ_E10value_typeEmT1_T2_
		.amdhsa_group_segment_fixed_size 0
		.amdhsa_private_segment_fixed_size 0
		.amdhsa_kernarg_size 336
		.amdhsa_user_sgpr_count 2
		.amdhsa_user_sgpr_dispatch_ptr 0
		.amdhsa_user_sgpr_queue_ptr 0
		.amdhsa_user_sgpr_kernarg_segment_ptr 1
		.amdhsa_user_sgpr_dispatch_id 0
		.amdhsa_user_sgpr_kernarg_preload_length 0
		.amdhsa_user_sgpr_kernarg_preload_offset 0
		.amdhsa_user_sgpr_private_segment_size 0
		.amdhsa_uses_dynamic_stack 0
		.amdhsa_enable_private_segment 0
		.amdhsa_system_sgpr_workgroup_id_x 1
		.amdhsa_system_sgpr_workgroup_id_y 0
		.amdhsa_system_sgpr_workgroup_id_z 0
		.amdhsa_system_sgpr_workgroup_info 0
		.amdhsa_system_vgpr_workitem_id 0
		.amdhsa_next_free_vgpr 8
		.amdhsa_next_free_sgpr 22
		.amdhsa_accum_offset 8
		.amdhsa_reserve_vcc 1
		.amdhsa_float_round_mode_32 0
		.amdhsa_float_round_mode_16_64 0
		.amdhsa_float_denorm_mode_32 3
		.amdhsa_float_denorm_mode_16_64 3
		.amdhsa_dx10_clamp 1
		.amdhsa_ieee_mode 1
		.amdhsa_fp16_overflow 0
		.amdhsa_tg_split 0
		.amdhsa_exception_fp_ieee_invalid_op 0
		.amdhsa_exception_fp_denorm_src 0
		.amdhsa_exception_fp_ieee_div_zero 0
		.amdhsa_exception_fp_ieee_overflow 0
		.amdhsa_exception_fp_ieee_underflow 0
		.amdhsa_exception_fp_ieee_inexact 0
		.amdhsa_exception_int_div_zero 0
	.end_amdhsa_kernel
	.section	.text._ZN7rocprim17ROCPRIM_400000_NS6detail30init_device_scan_by_key_kernelINS1_19lookback_scan_stateINS0_5tupleIJxbEEELb0ELb0EEEN6thrust23THRUST_200600_302600_NS6detail15normal_iteratorINS8_10device_ptrIxEEEEjNS1_16block_id_wrapperIjLb1EEEEEvT_jjPNSG_10value_typeET0_PNSt15iterator_traitsISJ_E10value_typeEmT1_T2_,"axG",@progbits,_ZN7rocprim17ROCPRIM_400000_NS6detail30init_device_scan_by_key_kernelINS1_19lookback_scan_stateINS0_5tupleIJxbEEELb0ELb0EEEN6thrust23THRUST_200600_302600_NS6detail15normal_iteratorINS8_10device_ptrIxEEEEjNS1_16block_id_wrapperIjLb1EEEEEvT_jjPNSG_10value_typeET0_PNSt15iterator_traitsISJ_E10value_typeEmT1_T2_,comdat
.Lfunc_end36:
	.size	_ZN7rocprim17ROCPRIM_400000_NS6detail30init_device_scan_by_key_kernelINS1_19lookback_scan_stateINS0_5tupleIJxbEEELb0ELb0EEEN6thrust23THRUST_200600_302600_NS6detail15normal_iteratorINS8_10device_ptrIxEEEEjNS1_16block_id_wrapperIjLb1EEEEEvT_jjPNSG_10value_typeET0_PNSt15iterator_traitsISJ_E10value_typeEmT1_T2_, .Lfunc_end36-_ZN7rocprim17ROCPRIM_400000_NS6detail30init_device_scan_by_key_kernelINS1_19lookback_scan_stateINS0_5tupleIJxbEEELb0ELb0EEEN6thrust23THRUST_200600_302600_NS6detail15normal_iteratorINS8_10device_ptrIxEEEEjNS1_16block_id_wrapperIjLb1EEEEEvT_jjPNSG_10value_typeET0_PNSt15iterator_traitsISJ_E10value_typeEmT1_T2_
                                        ; -- End function
	.section	.AMDGPU.csdata,"",@progbits
; Kernel info:
; codeLenInByte = 556
; NumSgprs: 28
; NumVgprs: 8
; NumAgprs: 0
; TotalNumVgprs: 8
; ScratchSize: 0
; MemoryBound: 0
; FloatMode: 240
; IeeeMode: 1
; LDSByteSize: 0 bytes/workgroup (compile time only)
; SGPRBlocks: 3
; VGPRBlocks: 0
; NumSGPRsForWavesPerEU: 28
; NumVGPRsForWavesPerEU: 8
; AccumOffset: 8
; Occupancy: 8
; WaveLimiterHint : 0
; COMPUTE_PGM_RSRC2:SCRATCH_EN: 0
; COMPUTE_PGM_RSRC2:USER_SGPR: 2
; COMPUTE_PGM_RSRC2:TRAP_HANDLER: 0
; COMPUTE_PGM_RSRC2:TGID_X_EN: 1
; COMPUTE_PGM_RSRC2:TGID_Y_EN: 0
; COMPUTE_PGM_RSRC2:TGID_Z_EN: 0
; COMPUTE_PGM_RSRC2:TIDIG_COMP_CNT: 0
; COMPUTE_PGM_RSRC3_GFX90A:ACCUM_OFFSET: 1
; COMPUTE_PGM_RSRC3_GFX90A:TG_SPLIT: 0
	.section	.text._ZN7rocprim17ROCPRIM_400000_NS6detail30init_device_scan_by_key_kernelINS1_19lookback_scan_stateINS0_5tupleIJxbEEELb0ELb0EEENS1_16block_id_wrapperIjLb1EEEEEvT_jjPNS9_10value_typeET0_,"axG",@progbits,_ZN7rocprim17ROCPRIM_400000_NS6detail30init_device_scan_by_key_kernelINS1_19lookback_scan_stateINS0_5tupleIJxbEEELb0ELb0EEENS1_16block_id_wrapperIjLb1EEEEEvT_jjPNS9_10value_typeET0_,comdat
	.protected	_ZN7rocprim17ROCPRIM_400000_NS6detail30init_device_scan_by_key_kernelINS1_19lookback_scan_stateINS0_5tupleIJxbEEELb0ELb0EEENS1_16block_id_wrapperIjLb1EEEEEvT_jjPNS9_10value_typeET0_ ; -- Begin function _ZN7rocprim17ROCPRIM_400000_NS6detail30init_device_scan_by_key_kernelINS1_19lookback_scan_stateINS0_5tupleIJxbEEELb0ELb0EEENS1_16block_id_wrapperIjLb1EEEEEvT_jjPNS9_10value_typeET0_
	.globl	_ZN7rocprim17ROCPRIM_400000_NS6detail30init_device_scan_by_key_kernelINS1_19lookback_scan_stateINS0_5tupleIJxbEEELb0ELb0EEENS1_16block_id_wrapperIjLb1EEEEEvT_jjPNS9_10value_typeET0_
	.p2align	8
	.type	_ZN7rocprim17ROCPRIM_400000_NS6detail30init_device_scan_by_key_kernelINS1_19lookback_scan_stateINS0_5tupleIJxbEEELb0ELb0EEENS1_16block_id_wrapperIjLb1EEEEEvT_jjPNS9_10value_typeET0_,@function
_ZN7rocprim17ROCPRIM_400000_NS6detail30init_device_scan_by_key_kernelINS1_19lookback_scan_stateINS0_5tupleIJxbEEELb0ELb0EEENS1_16block_id_wrapperIjLb1EEEEEvT_jjPNS9_10value_typeET0_: ; @_ZN7rocprim17ROCPRIM_400000_NS6detail30init_device_scan_by_key_kernelINS1_19lookback_scan_stateINS0_5tupleIJxbEEELb0ELb0EEENS1_16block_id_wrapperIjLb1EEEEEvT_jjPNS9_10value_typeET0_
; %bb.0:
	s_load_dword s3, s[0:1], 0x3c
	s_load_dwordx8 s[4:11], s[0:1], 0x10
	s_waitcnt lgkmcnt(0)
	s_and_b32 s3, s3, 0xffff
	s_mul_i32 s2, s2, s3
	s_cmp_eq_u64 s[8:9], 0
	v_add_u32_e32 v0, s2, v0
	s_cbranch_scc1 .LBB37_7
; %bb.1:
	s_cmp_lt_u32 s7, s6
	s_cselect_b32 s2, s7, 0
	s_mov_b32 s15, 0
	v_cmp_eq_u32_e32 vcc, s2, v0
	s_and_saveexec_b64 s[12:13], vcc
	s_cbranch_execz .LBB37_6
; %bb.2:
	s_add_i32 s14, s7, 64
	v_mov_b32_e32 v1, s14
	global_load_ubyte v1, v1, s[4:5] sc1
	s_load_dwordx4 s[0:3], s[0:1], 0x0
	s_add_u32 s16, s4, s14
	s_addc_u32 s17, s5, 0
	s_waitcnt vmcnt(0)
	v_cmp_ne_u16_e32 vcc, 0, v1
	v_readfirstlane_b32 s7, v1
	s_cbranch_vccnz .LBB37_5
; %bb.3:
	v_mov_b32_e32 v1, 0
.LBB37_4:                               ; =>This Inner Loop Header: Depth=1
	global_load_ubyte v2, v1, s[16:17] sc1
	s_waitcnt vmcnt(0)
	v_cmp_eq_u16_e32 vcc, 0, v2
	v_readfirstlane_b32 s7, v2
	s_cbranch_vccnz .LBB37_4
.LBB37_5:
	s_and_b32 s7, 0xffff, s7
	s_cmp_eq_u32 s7, 1
	s_waitcnt lgkmcnt(0)
	s_cselect_b32 s3, s1, s3
	s_cselect_b32 s2, s0, s2
	s_lshl_b64 s[0:1], s[14:15], 4
	s_add_u32 s0, s2, s0
	s_addc_u32 s1, s3, s1
	v_mov_b32_e32 v1, 0
	s_waitcnt vmcnt(0)
	global_load_dword v2, v1, s[0:1] sc1
	global_load_dword v3, v1, s[0:1] offset:4 sc1
	global_load_dword v4, v1, s[0:1] offset:8 sc1
	;; [unrolled: 1-line block ×3, first 2 shown]
	s_waitcnt vmcnt(2)
	global_store_dwordx2 v1, v[2:3], s[8:9]
	s_waitcnt vmcnt(2)
	global_store_byte v1, v4, s[8:9] offset:8
.LBB37_6:
	s_or_b64 exec, exec, s[12:13]
.LBB37_7:
	v_cmp_eq_u32_e32 vcc, 0, v0
	s_and_saveexec_b64 s[0:1], vcc
	s_cbranch_execnz .LBB37_11
; %bb.8:
	s_or_b64 exec, exec, s[0:1]
	v_cmp_gt_u32_e32 vcc, s6, v0
	s_and_saveexec_b64 s[0:1], vcc
	s_cbranch_execnz .LBB37_12
.LBB37_9:
	s_or_b64 exec, exec, s[0:1]
	v_cmp_gt_u32_e32 vcc, 64, v0
	s_and_saveexec_b64 s[0:1], vcc
	s_cbranch_execnz .LBB37_13
.LBB37_10:
	s_endpgm
.LBB37_11:
	v_mov_b32_e32 v1, 0
	global_store_dword v1, v1, s[10:11]
	s_or_b64 exec, exec, s[0:1]
	v_cmp_gt_u32_e32 vcc, s6, v0
	s_and_saveexec_b64 s[0:1], vcc
	s_cbranch_execz .LBB37_9
.LBB37_12:
	v_add_u32_e32 v1, 64, v0
	v_mov_b32_e32 v2, 0
	global_store_byte v1, v2, s[4:5]
	s_or_b64 exec, exec, s[0:1]
	v_cmp_gt_u32_e32 vcc, 64, v0
	s_and_saveexec_b64 s[0:1], vcc
	s_cbranch_execz .LBB37_10
.LBB37_13:
	v_mov_b32_e32 v1, 0xff
	global_store_byte v0, v1, s[4:5]
	s_endpgm
	.section	.rodata,"a",@progbits
	.p2align	6, 0x0
	.amdhsa_kernel _ZN7rocprim17ROCPRIM_400000_NS6detail30init_device_scan_by_key_kernelINS1_19lookback_scan_stateINS0_5tupleIJxbEEELb0ELb0EEENS1_16block_id_wrapperIjLb1EEEEEvT_jjPNS9_10value_typeET0_
		.amdhsa_group_segment_fixed_size 0
		.amdhsa_private_segment_fixed_size 0
		.amdhsa_kernarg_size 304
		.amdhsa_user_sgpr_count 2
		.amdhsa_user_sgpr_dispatch_ptr 0
		.amdhsa_user_sgpr_queue_ptr 0
		.amdhsa_user_sgpr_kernarg_segment_ptr 1
		.amdhsa_user_sgpr_dispatch_id 0
		.amdhsa_user_sgpr_kernarg_preload_length 0
		.amdhsa_user_sgpr_kernarg_preload_offset 0
		.amdhsa_user_sgpr_private_segment_size 0
		.amdhsa_uses_dynamic_stack 0
		.amdhsa_enable_private_segment 0
		.amdhsa_system_sgpr_workgroup_id_x 1
		.amdhsa_system_sgpr_workgroup_id_y 0
		.amdhsa_system_sgpr_workgroup_id_z 0
		.amdhsa_system_sgpr_workgroup_info 0
		.amdhsa_system_vgpr_workitem_id 0
		.amdhsa_next_free_vgpr 6
		.amdhsa_next_free_sgpr 18
		.amdhsa_accum_offset 8
		.amdhsa_reserve_vcc 1
		.amdhsa_float_round_mode_32 0
		.amdhsa_float_round_mode_16_64 0
		.amdhsa_float_denorm_mode_32 3
		.amdhsa_float_denorm_mode_16_64 3
		.amdhsa_dx10_clamp 1
		.amdhsa_ieee_mode 1
		.amdhsa_fp16_overflow 0
		.amdhsa_tg_split 0
		.amdhsa_exception_fp_ieee_invalid_op 0
		.amdhsa_exception_fp_denorm_src 0
		.amdhsa_exception_fp_ieee_div_zero 0
		.amdhsa_exception_fp_ieee_overflow 0
		.amdhsa_exception_fp_ieee_underflow 0
		.amdhsa_exception_fp_ieee_inexact 0
		.amdhsa_exception_int_div_zero 0
	.end_amdhsa_kernel
	.section	.text._ZN7rocprim17ROCPRIM_400000_NS6detail30init_device_scan_by_key_kernelINS1_19lookback_scan_stateINS0_5tupleIJxbEEELb0ELb0EEENS1_16block_id_wrapperIjLb1EEEEEvT_jjPNS9_10value_typeET0_,"axG",@progbits,_ZN7rocprim17ROCPRIM_400000_NS6detail30init_device_scan_by_key_kernelINS1_19lookback_scan_stateINS0_5tupleIJxbEEELb0ELb0EEENS1_16block_id_wrapperIjLb1EEEEEvT_jjPNS9_10value_typeET0_,comdat
.Lfunc_end37:
	.size	_ZN7rocprim17ROCPRIM_400000_NS6detail30init_device_scan_by_key_kernelINS1_19lookback_scan_stateINS0_5tupleIJxbEEELb0ELb0EEENS1_16block_id_wrapperIjLb1EEEEEvT_jjPNS9_10value_typeET0_, .Lfunc_end37-_ZN7rocprim17ROCPRIM_400000_NS6detail30init_device_scan_by_key_kernelINS1_19lookback_scan_stateINS0_5tupleIJxbEEELb0ELb0EEENS1_16block_id_wrapperIjLb1EEEEEvT_jjPNS9_10value_typeET0_
                                        ; -- End function
	.section	.AMDGPU.csdata,"",@progbits
; Kernel info:
; codeLenInByte = 376
; NumSgprs: 24
; NumVgprs: 6
; NumAgprs: 0
; TotalNumVgprs: 6
; ScratchSize: 0
; MemoryBound: 0
; FloatMode: 240
; IeeeMode: 1
; LDSByteSize: 0 bytes/workgroup (compile time only)
; SGPRBlocks: 2
; VGPRBlocks: 0
; NumSGPRsForWavesPerEU: 24
; NumVGPRsForWavesPerEU: 6
; AccumOffset: 8
; Occupancy: 8
; WaveLimiterHint : 0
; COMPUTE_PGM_RSRC2:SCRATCH_EN: 0
; COMPUTE_PGM_RSRC2:USER_SGPR: 2
; COMPUTE_PGM_RSRC2:TRAP_HANDLER: 0
; COMPUTE_PGM_RSRC2:TGID_X_EN: 1
; COMPUTE_PGM_RSRC2:TGID_Y_EN: 0
; COMPUTE_PGM_RSRC2:TGID_Z_EN: 0
; COMPUTE_PGM_RSRC2:TIDIG_COMP_CNT: 0
; COMPUTE_PGM_RSRC3_GFX90A:ACCUM_OFFSET: 1
; COMPUTE_PGM_RSRC3_GFX90A:TG_SPLIT: 0
	.section	.text._ZN7rocprim17ROCPRIM_400000_NS6detail17trampoline_kernelINS0_14default_configENS1_27scan_by_key_config_selectorIxxEEZZNS1_16scan_by_key_implILNS1_25lookback_scan_determinismE0ELb0ES3_N6thrust23THRUST_200600_302600_NS6detail15normal_iteratorINS9_10device_ptrIxEEEESE_SE_xNS9_4plusIvEENS9_8equal_toIvEExEE10hipError_tPvRmT2_T3_T4_T5_mT6_T7_P12ihipStream_tbENKUlT_T0_E_clISt17integral_constantIbLb0EESY_IbLb1EEEEDaSU_SV_EUlSU_E_NS1_11comp_targetILNS1_3genE0ELNS1_11target_archE4294967295ELNS1_3gpuE0ELNS1_3repE0EEENS1_30default_config_static_selectorELNS0_4arch9wavefront6targetE1EEEvT1_,"axG",@progbits,_ZN7rocprim17ROCPRIM_400000_NS6detail17trampoline_kernelINS0_14default_configENS1_27scan_by_key_config_selectorIxxEEZZNS1_16scan_by_key_implILNS1_25lookback_scan_determinismE0ELb0ES3_N6thrust23THRUST_200600_302600_NS6detail15normal_iteratorINS9_10device_ptrIxEEEESE_SE_xNS9_4plusIvEENS9_8equal_toIvEExEE10hipError_tPvRmT2_T3_T4_T5_mT6_T7_P12ihipStream_tbENKUlT_T0_E_clISt17integral_constantIbLb0EESY_IbLb1EEEEDaSU_SV_EUlSU_E_NS1_11comp_targetILNS1_3genE0ELNS1_11target_archE4294967295ELNS1_3gpuE0ELNS1_3repE0EEENS1_30default_config_static_selectorELNS0_4arch9wavefront6targetE1EEEvT1_,comdat
	.protected	_ZN7rocprim17ROCPRIM_400000_NS6detail17trampoline_kernelINS0_14default_configENS1_27scan_by_key_config_selectorIxxEEZZNS1_16scan_by_key_implILNS1_25lookback_scan_determinismE0ELb0ES3_N6thrust23THRUST_200600_302600_NS6detail15normal_iteratorINS9_10device_ptrIxEEEESE_SE_xNS9_4plusIvEENS9_8equal_toIvEExEE10hipError_tPvRmT2_T3_T4_T5_mT6_T7_P12ihipStream_tbENKUlT_T0_E_clISt17integral_constantIbLb0EESY_IbLb1EEEEDaSU_SV_EUlSU_E_NS1_11comp_targetILNS1_3genE0ELNS1_11target_archE4294967295ELNS1_3gpuE0ELNS1_3repE0EEENS1_30default_config_static_selectorELNS0_4arch9wavefront6targetE1EEEvT1_ ; -- Begin function _ZN7rocprim17ROCPRIM_400000_NS6detail17trampoline_kernelINS0_14default_configENS1_27scan_by_key_config_selectorIxxEEZZNS1_16scan_by_key_implILNS1_25lookback_scan_determinismE0ELb0ES3_N6thrust23THRUST_200600_302600_NS6detail15normal_iteratorINS9_10device_ptrIxEEEESE_SE_xNS9_4plusIvEENS9_8equal_toIvEExEE10hipError_tPvRmT2_T3_T4_T5_mT6_T7_P12ihipStream_tbENKUlT_T0_E_clISt17integral_constantIbLb0EESY_IbLb1EEEEDaSU_SV_EUlSU_E_NS1_11comp_targetILNS1_3genE0ELNS1_11target_archE4294967295ELNS1_3gpuE0ELNS1_3repE0EEENS1_30default_config_static_selectorELNS0_4arch9wavefront6targetE1EEEvT1_
	.globl	_ZN7rocprim17ROCPRIM_400000_NS6detail17trampoline_kernelINS0_14default_configENS1_27scan_by_key_config_selectorIxxEEZZNS1_16scan_by_key_implILNS1_25lookback_scan_determinismE0ELb0ES3_N6thrust23THRUST_200600_302600_NS6detail15normal_iteratorINS9_10device_ptrIxEEEESE_SE_xNS9_4plusIvEENS9_8equal_toIvEExEE10hipError_tPvRmT2_T3_T4_T5_mT6_T7_P12ihipStream_tbENKUlT_T0_E_clISt17integral_constantIbLb0EESY_IbLb1EEEEDaSU_SV_EUlSU_E_NS1_11comp_targetILNS1_3genE0ELNS1_11target_archE4294967295ELNS1_3gpuE0ELNS1_3repE0EEENS1_30default_config_static_selectorELNS0_4arch9wavefront6targetE1EEEvT1_
	.p2align	8
	.type	_ZN7rocprim17ROCPRIM_400000_NS6detail17trampoline_kernelINS0_14default_configENS1_27scan_by_key_config_selectorIxxEEZZNS1_16scan_by_key_implILNS1_25lookback_scan_determinismE0ELb0ES3_N6thrust23THRUST_200600_302600_NS6detail15normal_iteratorINS9_10device_ptrIxEEEESE_SE_xNS9_4plusIvEENS9_8equal_toIvEExEE10hipError_tPvRmT2_T3_T4_T5_mT6_T7_P12ihipStream_tbENKUlT_T0_E_clISt17integral_constantIbLb0EESY_IbLb1EEEEDaSU_SV_EUlSU_E_NS1_11comp_targetILNS1_3genE0ELNS1_11target_archE4294967295ELNS1_3gpuE0ELNS1_3repE0EEENS1_30default_config_static_selectorELNS0_4arch9wavefront6targetE1EEEvT1_,@function
_ZN7rocprim17ROCPRIM_400000_NS6detail17trampoline_kernelINS0_14default_configENS1_27scan_by_key_config_selectorIxxEEZZNS1_16scan_by_key_implILNS1_25lookback_scan_determinismE0ELb0ES3_N6thrust23THRUST_200600_302600_NS6detail15normal_iteratorINS9_10device_ptrIxEEEESE_SE_xNS9_4plusIvEENS9_8equal_toIvEExEE10hipError_tPvRmT2_T3_T4_T5_mT6_T7_P12ihipStream_tbENKUlT_T0_E_clISt17integral_constantIbLb0EESY_IbLb1EEEEDaSU_SV_EUlSU_E_NS1_11comp_targetILNS1_3genE0ELNS1_11target_archE4294967295ELNS1_3gpuE0ELNS1_3repE0EEENS1_30default_config_static_selectorELNS0_4arch9wavefront6targetE1EEEvT1_: ; @_ZN7rocprim17ROCPRIM_400000_NS6detail17trampoline_kernelINS0_14default_configENS1_27scan_by_key_config_selectorIxxEEZZNS1_16scan_by_key_implILNS1_25lookback_scan_determinismE0ELb0ES3_N6thrust23THRUST_200600_302600_NS6detail15normal_iteratorINS9_10device_ptrIxEEEESE_SE_xNS9_4plusIvEENS9_8equal_toIvEExEE10hipError_tPvRmT2_T3_T4_T5_mT6_T7_P12ihipStream_tbENKUlT_T0_E_clISt17integral_constantIbLb0EESY_IbLb1EEEEDaSU_SV_EUlSU_E_NS1_11comp_targetILNS1_3genE0ELNS1_11target_archE4294967295ELNS1_3gpuE0ELNS1_3repE0EEENS1_30default_config_static_selectorELNS0_4arch9wavefront6targetE1EEEvT1_
; %bb.0:
	.section	.rodata,"a",@progbits
	.p2align	6, 0x0
	.amdhsa_kernel _ZN7rocprim17ROCPRIM_400000_NS6detail17trampoline_kernelINS0_14default_configENS1_27scan_by_key_config_selectorIxxEEZZNS1_16scan_by_key_implILNS1_25lookback_scan_determinismE0ELb0ES3_N6thrust23THRUST_200600_302600_NS6detail15normal_iteratorINS9_10device_ptrIxEEEESE_SE_xNS9_4plusIvEENS9_8equal_toIvEExEE10hipError_tPvRmT2_T3_T4_T5_mT6_T7_P12ihipStream_tbENKUlT_T0_E_clISt17integral_constantIbLb0EESY_IbLb1EEEEDaSU_SV_EUlSU_E_NS1_11comp_targetILNS1_3genE0ELNS1_11target_archE4294967295ELNS1_3gpuE0ELNS1_3repE0EEENS1_30default_config_static_selectorELNS0_4arch9wavefront6targetE1EEEvT1_
		.amdhsa_group_segment_fixed_size 0
		.amdhsa_private_segment_fixed_size 0
		.amdhsa_kernarg_size 136
		.amdhsa_user_sgpr_count 2
		.amdhsa_user_sgpr_dispatch_ptr 0
		.amdhsa_user_sgpr_queue_ptr 0
		.amdhsa_user_sgpr_kernarg_segment_ptr 1
		.amdhsa_user_sgpr_dispatch_id 0
		.amdhsa_user_sgpr_kernarg_preload_length 0
		.amdhsa_user_sgpr_kernarg_preload_offset 0
		.amdhsa_user_sgpr_private_segment_size 0
		.amdhsa_uses_dynamic_stack 0
		.amdhsa_enable_private_segment 0
		.amdhsa_system_sgpr_workgroup_id_x 1
		.amdhsa_system_sgpr_workgroup_id_y 0
		.amdhsa_system_sgpr_workgroup_id_z 0
		.amdhsa_system_sgpr_workgroup_info 0
		.amdhsa_system_vgpr_workitem_id 0
		.amdhsa_next_free_vgpr 1
		.amdhsa_next_free_sgpr 0
		.amdhsa_accum_offset 4
		.amdhsa_reserve_vcc 0
		.amdhsa_float_round_mode_32 0
		.amdhsa_float_round_mode_16_64 0
		.amdhsa_float_denorm_mode_32 3
		.amdhsa_float_denorm_mode_16_64 3
		.amdhsa_dx10_clamp 1
		.amdhsa_ieee_mode 1
		.amdhsa_fp16_overflow 0
		.amdhsa_tg_split 0
		.amdhsa_exception_fp_ieee_invalid_op 0
		.amdhsa_exception_fp_denorm_src 0
		.amdhsa_exception_fp_ieee_div_zero 0
		.amdhsa_exception_fp_ieee_overflow 0
		.amdhsa_exception_fp_ieee_underflow 0
		.amdhsa_exception_fp_ieee_inexact 0
		.amdhsa_exception_int_div_zero 0
	.end_amdhsa_kernel
	.section	.text._ZN7rocprim17ROCPRIM_400000_NS6detail17trampoline_kernelINS0_14default_configENS1_27scan_by_key_config_selectorIxxEEZZNS1_16scan_by_key_implILNS1_25lookback_scan_determinismE0ELb0ES3_N6thrust23THRUST_200600_302600_NS6detail15normal_iteratorINS9_10device_ptrIxEEEESE_SE_xNS9_4plusIvEENS9_8equal_toIvEExEE10hipError_tPvRmT2_T3_T4_T5_mT6_T7_P12ihipStream_tbENKUlT_T0_E_clISt17integral_constantIbLb0EESY_IbLb1EEEEDaSU_SV_EUlSU_E_NS1_11comp_targetILNS1_3genE0ELNS1_11target_archE4294967295ELNS1_3gpuE0ELNS1_3repE0EEENS1_30default_config_static_selectorELNS0_4arch9wavefront6targetE1EEEvT1_,"axG",@progbits,_ZN7rocprim17ROCPRIM_400000_NS6detail17trampoline_kernelINS0_14default_configENS1_27scan_by_key_config_selectorIxxEEZZNS1_16scan_by_key_implILNS1_25lookback_scan_determinismE0ELb0ES3_N6thrust23THRUST_200600_302600_NS6detail15normal_iteratorINS9_10device_ptrIxEEEESE_SE_xNS9_4plusIvEENS9_8equal_toIvEExEE10hipError_tPvRmT2_T3_T4_T5_mT6_T7_P12ihipStream_tbENKUlT_T0_E_clISt17integral_constantIbLb0EESY_IbLb1EEEEDaSU_SV_EUlSU_E_NS1_11comp_targetILNS1_3genE0ELNS1_11target_archE4294967295ELNS1_3gpuE0ELNS1_3repE0EEENS1_30default_config_static_selectorELNS0_4arch9wavefront6targetE1EEEvT1_,comdat
.Lfunc_end38:
	.size	_ZN7rocprim17ROCPRIM_400000_NS6detail17trampoline_kernelINS0_14default_configENS1_27scan_by_key_config_selectorIxxEEZZNS1_16scan_by_key_implILNS1_25lookback_scan_determinismE0ELb0ES3_N6thrust23THRUST_200600_302600_NS6detail15normal_iteratorINS9_10device_ptrIxEEEESE_SE_xNS9_4plusIvEENS9_8equal_toIvEExEE10hipError_tPvRmT2_T3_T4_T5_mT6_T7_P12ihipStream_tbENKUlT_T0_E_clISt17integral_constantIbLb0EESY_IbLb1EEEEDaSU_SV_EUlSU_E_NS1_11comp_targetILNS1_3genE0ELNS1_11target_archE4294967295ELNS1_3gpuE0ELNS1_3repE0EEENS1_30default_config_static_selectorELNS0_4arch9wavefront6targetE1EEEvT1_, .Lfunc_end38-_ZN7rocprim17ROCPRIM_400000_NS6detail17trampoline_kernelINS0_14default_configENS1_27scan_by_key_config_selectorIxxEEZZNS1_16scan_by_key_implILNS1_25lookback_scan_determinismE0ELb0ES3_N6thrust23THRUST_200600_302600_NS6detail15normal_iteratorINS9_10device_ptrIxEEEESE_SE_xNS9_4plusIvEENS9_8equal_toIvEExEE10hipError_tPvRmT2_T3_T4_T5_mT6_T7_P12ihipStream_tbENKUlT_T0_E_clISt17integral_constantIbLb0EESY_IbLb1EEEEDaSU_SV_EUlSU_E_NS1_11comp_targetILNS1_3genE0ELNS1_11target_archE4294967295ELNS1_3gpuE0ELNS1_3repE0EEENS1_30default_config_static_selectorELNS0_4arch9wavefront6targetE1EEEvT1_
                                        ; -- End function
	.section	.AMDGPU.csdata,"",@progbits
; Kernel info:
; codeLenInByte = 0
; NumSgprs: 6
; NumVgprs: 0
; NumAgprs: 0
; TotalNumVgprs: 0
; ScratchSize: 0
; MemoryBound: 0
; FloatMode: 240
; IeeeMode: 1
; LDSByteSize: 0 bytes/workgroup (compile time only)
; SGPRBlocks: 0
; VGPRBlocks: 0
; NumSGPRsForWavesPerEU: 6
; NumVGPRsForWavesPerEU: 1
; AccumOffset: 4
; Occupancy: 8
; WaveLimiterHint : 0
; COMPUTE_PGM_RSRC2:SCRATCH_EN: 0
; COMPUTE_PGM_RSRC2:USER_SGPR: 2
; COMPUTE_PGM_RSRC2:TRAP_HANDLER: 0
; COMPUTE_PGM_RSRC2:TGID_X_EN: 1
; COMPUTE_PGM_RSRC2:TGID_Y_EN: 0
; COMPUTE_PGM_RSRC2:TGID_Z_EN: 0
; COMPUTE_PGM_RSRC2:TIDIG_COMP_CNT: 0
; COMPUTE_PGM_RSRC3_GFX90A:ACCUM_OFFSET: 0
; COMPUTE_PGM_RSRC3_GFX90A:TG_SPLIT: 0
	.section	.text._ZN7rocprim17ROCPRIM_400000_NS6detail17trampoline_kernelINS0_14default_configENS1_27scan_by_key_config_selectorIxxEEZZNS1_16scan_by_key_implILNS1_25lookback_scan_determinismE0ELb0ES3_N6thrust23THRUST_200600_302600_NS6detail15normal_iteratorINS9_10device_ptrIxEEEESE_SE_xNS9_4plusIvEENS9_8equal_toIvEExEE10hipError_tPvRmT2_T3_T4_T5_mT6_T7_P12ihipStream_tbENKUlT_T0_E_clISt17integral_constantIbLb0EESY_IbLb1EEEEDaSU_SV_EUlSU_E_NS1_11comp_targetILNS1_3genE10ELNS1_11target_archE1201ELNS1_3gpuE5ELNS1_3repE0EEENS1_30default_config_static_selectorELNS0_4arch9wavefront6targetE1EEEvT1_,"axG",@progbits,_ZN7rocprim17ROCPRIM_400000_NS6detail17trampoline_kernelINS0_14default_configENS1_27scan_by_key_config_selectorIxxEEZZNS1_16scan_by_key_implILNS1_25lookback_scan_determinismE0ELb0ES3_N6thrust23THRUST_200600_302600_NS6detail15normal_iteratorINS9_10device_ptrIxEEEESE_SE_xNS9_4plusIvEENS9_8equal_toIvEExEE10hipError_tPvRmT2_T3_T4_T5_mT6_T7_P12ihipStream_tbENKUlT_T0_E_clISt17integral_constantIbLb0EESY_IbLb1EEEEDaSU_SV_EUlSU_E_NS1_11comp_targetILNS1_3genE10ELNS1_11target_archE1201ELNS1_3gpuE5ELNS1_3repE0EEENS1_30default_config_static_selectorELNS0_4arch9wavefront6targetE1EEEvT1_,comdat
	.protected	_ZN7rocprim17ROCPRIM_400000_NS6detail17trampoline_kernelINS0_14default_configENS1_27scan_by_key_config_selectorIxxEEZZNS1_16scan_by_key_implILNS1_25lookback_scan_determinismE0ELb0ES3_N6thrust23THRUST_200600_302600_NS6detail15normal_iteratorINS9_10device_ptrIxEEEESE_SE_xNS9_4plusIvEENS9_8equal_toIvEExEE10hipError_tPvRmT2_T3_T4_T5_mT6_T7_P12ihipStream_tbENKUlT_T0_E_clISt17integral_constantIbLb0EESY_IbLb1EEEEDaSU_SV_EUlSU_E_NS1_11comp_targetILNS1_3genE10ELNS1_11target_archE1201ELNS1_3gpuE5ELNS1_3repE0EEENS1_30default_config_static_selectorELNS0_4arch9wavefront6targetE1EEEvT1_ ; -- Begin function _ZN7rocprim17ROCPRIM_400000_NS6detail17trampoline_kernelINS0_14default_configENS1_27scan_by_key_config_selectorIxxEEZZNS1_16scan_by_key_implILNS1_25lookback_scan_determinismE0ELb0ES3_N6thrust23THRUST_200600_302600_NS6detail15normal_iteratorINS9_10device_ptrIxEEEESE_SE_xNS9_4plusIvEENS9_8equal_toIvEExEE10hipError_tPvRmT2_T3_T4_T5_mT6_T7_P12ihipStream_tbENKUlT_T0_E_clISt17integral_constantIbLb0EESY_IbLb1EEEEDaSU_SV_EUlSU_E_NS1_11comp_targetILNS1_3genE10ELNS1_11target_archE1201ELNS1_3gpuE5ELNS1_3repE0EEENS1_30default_config_static_selectorELNS0_4arch9wavefront6targetE1EEEvT1_
	.globl	_ZN7rocprim17ROCPRIM_400000_NS6detail17trampoline_kernelINS0_14default_configENS1_27scan_by_key_config_selectorIxxEEZZNS1_16scan_by_key_implILNS1_25lookback_scan_determinismE0ELb0ES3_N6thrust23THRUST_200600_302600_NS6detail15normal_iteratorINS9_10device_ptrIxEEEESE_SE_xNS9_4plusIvEENS9_8equal_toIvEExEE10hipError_tPvRmT2_T3_T4_T5_mT6_T7_P12ihipStream_tbENKUlT_T0_E_clISt17integral_constantIbLb0EESY_IbLb1EEEEDaSU_SV_EUlSU_E_NS1_11comp_targetILNS1_3genE10ELNS1_11target_archE1201ELNS1_3gpuE5ELNS1_3repE0EEENS1_30default_config_static_selectorELNS0_4arch9wavefront6targetE1EEEvT1_
	.p2align	8
	.type	_ZN7rocprim17ROCPRIM_400000_NS6detail17trampoline_kernelINS0_14default_configENS1_27scan_by_key_config_selectorIxxEEZZNS1_16scan_by_key_implILNS1_25lookback_scan_determinismE0ELb0ES3_N6thrust23THRUST_200600_302600_NS6detail15normal_iteratorINS9_10device_ptrIxEEEESE_SE_xNS9_4plusIvEENS9_8equal_toIvEExEE10hipError_tPvRmT2_T3_T4_T5_mT6_T7_P12ihipStream_tbENKUlT_T0_E_clISt17integral_constantIbLb0EESY_IbLb1EEEEDaSU_SV_EUlSU_E_NS1_11comp_targetILNS1_3genE10ELNS1_11target_archE1201ELNS1_3gpuE5ELNS1_3repE0EEENS1_30default_config_static_selectorELNS0_4arch9wavefront6targetE1EEEvT1_,@function
_ZN7rocprim17ROCPRIM_400000_NS6detail17trampoline_kernelINS0_14default_configENS1_27scan_by_key_config_selectorIxxEEZZNS1_16scan_by_key_implILNS1_25lookback_scan_determinismE0ELb0ES3_N6thrust23THRUST_200600_302600_NS6detail15normal_iteratorINS9_10device_ptrIxEEEESE_SE_xNS9_4plusIvEENS9_8equal_toIvEExEE10hipError_tPvRmT2_T3_T4_T5_mT6_T7_P12ihipStream_tbENKUlT_T0_E_clISt17integral_constantIbLb0EESY_IbLb1EEEEDaSU_SV_EUlSU_E_NS1_11comp_targetILNS1_3genE10ELNS1_11target_archE1201ELNS1_3gpuE5ELNS1_3repE0EEENS1_30default_config_static_selectorELNS0_4arch9wavefront6targetE1EEEvT1_: ; @_ZN7rocprim17ROCPRIM_400000_NS6detail17trampoline_kernelINS0_14default_configENS1_27scan_by_key_config_selectorIxxEEZZNS1_16scan_by_key_implILNS1_25lookback_scan_determinismE0ELb0ES3_N6thrust23THRUST_200600_302600_NS6detail15normal_iteratorINS9_10device_ptrIxEEEESE_SE_xNS9_4plusIvEENS9_8equal_toIvEExEE10hipError_tPvRmT2_T3_T4_T5_mT6_T7_P12ihipStream_tbENKUlT_T0_E_clISt17integral_constantIbLb0EESY_IbLb1EEEEDaSU_SV_EUlSU_E_NS1_11comp_targetILNS1_3genE10ELNS1_11target_archE1201ELNS1_3gpuE5ELNS1_3repE0EEENS1_30default_config_static_selectorELNS0_4arch9wavefront6targetE1EEEvT1_
; %bb.0:
	.section	.rodata,"a",@progbits
	.p2align	6, 0x0
	.amdhsa_kernel _ZN7rocprim17ROCPRIM_400000_NS6detail17trampoline_kernelINS0_14default_configENS1_27scan_by_key_config_selectorIxxEEZZNS1_16scan_by_key_implILNS1_25lookback_scan_determinismE0ELb0ES3_N6thrust23THRUST_200600_302600_NS6detail15normal_iteratorINS9_10device_ptrIxEEEESE_SE_xNS9_4plusIvEENS9_8equal_toIvEExEE10hipError_tPvRmT2_T3_T4_T5_mT6_T7_P12ihipStream_tbENKUlT_T0_E_clISt17integral_constantIbLb0EESY_IbLb1EEEEDaSU_SV_EUlSU_E_NS1_11comp_targetILNS1_3genE10ELNS1_11target_archE1201ELNS1_3gpuE5ELNS1_3repE0EEENS1_30default_config_static_selectorELNS0_4arch9wavefront6targetE1EEEvT1_
		.amdhsa_group_segment_fixed_size 0
		.amdhsa_private_segment_fixed_size 0
		.amdhsa_kernarg_size 136
		.amdhsa_user_sgpr_count 2
		.amdhsa_user_sgpr_dispatch_ptr 0
		.amdhsa_user_sgpr_queue_ptr 0
		.amdhsa_user_sgpr_kernarg_segment_ptr 1
		.amdhsa_user_sgpr_dispatch_id 0
		.amdhsa_user_sgpr_kernarg_preload_length 0
		.amdhsa_user_sgpr_kernarg_preload_offset 0
		.amdhsa_user_sgpr_private_segment_size 0
		.amdhsa_uses_dynamic_stack 0
		.amdhsa_enable_private_segment 0
		.amdhsa_system_sgpr_workgroup_id_x 1
		.amdhsa_system_sgpr_workgroup_id_y 0
		.amdhsa_system_sgpr_workgroup_id_z 0
		.amdhsa_system_sgpr_workgroup_info 0
		.amdhsa_system_vgpr_workitem_id 0
		.amdhsa_next_free_vgpr 1
		.amdhsa_next_free_sgpr 0
		.amdhsa_accum_offset 4
		.amdhsa_reserve_vcc 0
		.amdhsa_float_round_mode_32 0
		.amdhsa_float_round_mode_16_64 0
		.amdhsa_float_denorm_mode_32 3
		.amdhsa_float_denorm_mode_16_64 3
		.amdhsa_dx10_clamp 1
		.amdhsa_ieee_mode 1
		.amdhsa_fp16_overflow 0
		.amdhsa_tg_split 0
		.amdhsa_exception_fp_ieee_invalid_op 0
		.amdhsa_exception_fp_denorm_src 0
		.amdhsa_exception_fp_ieee_div_zero 0
		.amdhsa_exception_fp_ieee_overflow 0
		.amdhsa_exception_fp_ieee_underflow 0
		.amdhsa_exception_fp_ieee_inexact 0
		.amdhsa_exception_int_div_zero 0
	.end_amdhsa_kernel
	.section	.text._ZN7rocprim17ROCPRIM_400000_NS6detail17trampoline_kernelINS0_14default_configENS1_27scan_by_key_config_selectorIxxEEZZNS1_16scan_by_key_implILNS1_25lookback_scan_determinismE0ELb0ES3_N6thrust23THRUST_200600_302600_NS6detail15normal_iteratorINS9_10device_ptrIxEEEESE_SE_xNS9_4plusIvEENS9_8equal_toIvEExEE10hipError_tPvRmT2_T3_T4_T5_mT6_T7_P12ihipStream_tbENKUlT_T0_E_clISt17integral_constantIbLb0EESY_IbLb1EEEEDaSU_SV_EUlSU_E_NS1_11comp_targetILNS1_3genE10ELNS1_11target_archE1201ELNS1_3gpuE5ELNS1_3repE0EEENS1_30default_config_static_selectorELNS0_4arch9wavefront6targetE1EEEvT1_,"axG",@progbits,_ZN7rocprim17ROCPRIM_400000_NS6detail17trampoline_kernelINS0_14default_configENS1_27scan_by_key_config_selectorIxxEEZZNS1_16scan_by_key_implILNS1_25lookback_scan_determinismE0ELb0ES3_N6thrust23THRUST_200600_302600_NS6detail15normal_iteratorINS9_10device_ptrIxEEEESE_SE_xNS9_4plusIvEENS9_8equal_toIvEExEE10hipError_tPvRmT2_T3_T4_T5_mT6_T7_P12ihipStream_tbENKUlT_T0_E_clISt17integral_constantIbLb0EESY_IbLb1EEEEDaSU_SV_EUlSU_E_NS1_11comp_targetILNS1_3genE10ELNS1_11target_archE1201ELNS1_3gpuE5ELNS1_3repE0EEENS1_30default_config_static_selectorELNS0_4arch9wavefront6targetE1EEEvT1_,comdat
.Lfunc_end39:
	.size	_ZN7rocprim17ROCPRIM_400000_NS6detail17trampoline_kernelINS0_14default_configENS1_27scan_by_key_config_selectorIxxEEZZNS1_16scan_by_key_implILNS1_25lookback_scan_determinismE0ELb0ES3_N6thrust23THRUST_200600_302600_NS6detail15normal_iteratorINS9_10device_ptrIxEEEESE_SE_xNS9_4plusIvEENS9_8equal_toIvEExEE10hipError_tPvRmT2_T3_T4_T5_mT6_T7_P12ihipStream_tbENKUlT_T0_E_clISt17integral_constantIbLb0EESY_IbLb1EEEEDaSU_SV_EUlSU_E_NS1_11comp_targetILNS1_3genE10ELNS1_11target_archE1201ELNS1_3gpuE5ELNS1_3repE0EEENS1_30default_config_static_selectorELNS0_4arch9wavefront6targetE1EEEvT1_, .Lfunc_end39-_ZN7rocprim17ROCPRIM_400000_NS6detail17trampoline_kernelINS0_14default_configENS1_27scan_by_key_config_selectorIxxEEZZNS1_16scan_by_key_implILNS1_25lookback_scan_determinismE0ELb0ES3_N6thrust23THRUST_200600_302600_NS6detail15normal_iteratorINS9_10device_ptrIxEEEESE_SE_xNS9_4plusIvEENS9_8equal_toIvEExEE10hipError_tPvRmT2_T3_T4_T5_mT6_T7_P12ihipStream_tbENKUlT_T0_E_clISt17integral_constantIbLb0EESY_IbLb1EEEEDaSU_SV_EUlSU_E_NS1_11comp_targetILNS1_3genE10ELNS1_11target_archE1201ELNS1_3gpuE5ELNS1_3repE0EEENS1_30default_config_static_selectorELNS0_4arch9wavefront6targetE1EEEvT1_
                                        ; -- End function
	.section	.AMDGPU.csdata,"",@progbits
; Kernel info:
; codeLenInByte = 0
; NumSgprs: 6
; NumVgprs: 0
; NumAgprs: 0
; TotalNumVgprs: 0
; ScratchSize: 0
; MemoryBound: 0
; FloatMode: 240
; IeeeMode: 1
; LDSByteSize: 0 bytes/workgroup (compile time only)
; SGPRBlocks: 0
; VGPRBlocks: 0
; NumSGPRsForWavesPerEU: 6
; NumVGPRsForWavesPerEU: 1
; AccumOffset: 4
; Occupancy: 8
; WaveLimiterHint : 0
; COMPUTE_PGM_RSRC2:SCRATCH_EN: 0
; COMPUTE_PGM_RSRC2:USER_SGPR: 2
; COMPUTE_PGM_RSRC2:TRAP_HANDLER: 0
; COMPUTE_PGM_RSRC2:TGID_X_EN: 1
; COMPUTE_PGM_RSRC2:TGID_Y_EN: 0
; COMPUTE_PGM_RSRC2:TGID_Z_EN: 0
; COMPUTE_PGM_RSRC2:TIDIG_COMP_CNT: 0
; COMPUTE_PGM_RSRC3_GFX90A:ACCUM_OFFSET: 0
; COMPUTE_PGM_RSRC3_GFX90A:TG_SPLIT: 0
	.section	.text._ZN7rocprim17ROCPRIM_400000_NS6detail17trampoline_kernelINS0_14default_configENS1_27scan_by_key_config_selectorIxxEEZZNS1_16scan_by_key_implILNS1_25lookback_scan_determinismE0ELb0ES3_N6thrust23THRUST_200600_302600_NS6detail15normal_iteratorINS9_10device_ptrIxEEEESE_SE_xNS9_4plusIvEENS9_8equal_toIvEExEE10hipError_tPvRmT2_T3_T4_T5_mT6_T7_P12ihipStream_tbENKUlT_T0_E_clISt17integral_constantIbLb0EESY_IbLb1EEEEDaSU_SV_EUlSU_E_NS1_11comp_targetILNS1_3genE5ELNS1_11target_archE942ELNS1_3gpuE9ELNS1_3repE0EEENS1_30default_config_static_selectorELNS0_4arch9wavefront6targetE1EEEvT1_,"axG",@progbits,_ZN7rocprim17ROCPRIM_400000_NS6detail17trampoline_kernelINS0_14default_configENS1_27scan_by_key_config_selectorIxxEEZZNS1_16scan_by_key_implILNS1_25lookback_scan_determinismE0ELb0ES3_N6thrust23THRUST_200600_302600_NS6detail15normal_iteratorINS9_10device_ptrIxEEEESE_SE_xNS9_4plusIvEENS9_8equal_toIvEExEE10hipError_tPvRmT2_T3_T4_T5_mT6_T7_P12ihipStream_tbENKUlT_T0_E_clISt17integral_constantIbLb0EESY_IbLb1EEEEDaSU_SV_EUlSU_E_NS1_11comp_targetILNS1_3genE5ELNS1_11target_archE942ELNS1_3gpuE9ELNS1_3repE0EEENS1_30default_config_static_selectorELNS0_4arch9wavefront6targetE1EEEvT1_,comdat
	.protected	_ZN7rocprim17ROCPRIM_400000_NS6detail17trampoline_kernelINS0_14default_configENS1_27scan_by_key_config_selectorIxxEEZZNS1_16scan_by_key_implILNS1_25lookback_scan_determinismE0ELb0ES3_N6thrust23THRUST_200600_302600_NS6detail15normal_iteratorINS9_10device_ptrIxEEEESE_SE_xNS9_4plusIvEENS9_8equal_toIvEExEE10hipError_tPvRmT2_T3_T4_T5_mT6_T7_P12ihipStream_tbENKUlT_T0_E_clISt17integral_constantIbLb0EESY_IbLb1EEEEDaSU_SV_EUlSU_E_NS1_11comp_targetILNS1_3genE5ELNS1_11target_archE942ELNS1_3gpuE9ELNS1_3repE0EEENS1_30default_config_static_selectorELNS0_4arch9wavefront6targetE1EEEvT1_ ; -- Begin function _ZN7rocprim17ROCPRIM_400000_NS6detail17trampoline_kernelINS0_14default_configENS1_27scan_by_key_config_selectorIxxEEZZNS1_16scan_by_key_implILNS1_25lookback_scan_determinismE0ELb0ES3_N6thrust23THRUST_200600_302600_NS6detail15normal_iteratorINS9_10device_ptrIxEEEESE_SE_xNS9_4plusIvEENS9_8equal_toIvEExEE10hipError_tPvRmT2_T3_T4_T5_mT6_T7_P12ihipStream_tbENKUlT_T0_E_clISt17integral_constantIbLb0EESY_IbLb1EEEEDaSU_SV_EUlSU_E_NS1_11comp_targetILNS1_3genE5ELNS1_11target_archE942ELNS1_3gpuE9ELNS1_3repE0EEENS1_30default_config_static_selectorELNS0_4arch9wavefront6targetE1EEEvT1_
	.globl	_ZN7rocprim17ROCPRIM_400000_NS6detail17trampoline_kernelINS0_14default_configENS1_27scan_by_key_config_selectorIxxEEZZNS1_16scan_by_key_implILNS1_25lookback_scan_determinismE0ELb0ES3_N6thrust23THRUST_200600_302600_NS6detail15normal_iteratorINS9_10device_ptrIxEEEESE_SE_xNS9_4plusIvEENS9_8equal_toIvEExEE10hipError_tPvRmT2_T3_T4_T5_mT6_T7_P12ihipStream_tbENKUlT_T0_E_clISt17integral_constantIbLb0EESY_IbLb1EEEEDaSU_SV_EUlSU_E_NS1_11comp_targetILNS1_3genE5ELNS1_11target_archE942ELNS1_3gpuE9ELNS1_3repE0EEENS1_30default_config_static_selectorELNS0_4arch9wavefront6targetE1EEEvT1_
	.p2align	8
	.type	_ZN7rocprim17ROCPRIM_400000_NS6detail17trampoline_kernelINS0_14default_configENS1_27scan_by_key_config_selectorIxxEEZZNS1_16scan_by_key_implILNS1_25lookback_scan_determinismE0ELb0ES3_N6thrust23THRUST_200600_302600_NS6detail15normal_iteratorINS9_10device_ptrIxEEEESE_SE_xNS9_4plusIvEENS9_8equal_toIvEExEE10hipError_tPvRmT2_T3_T4_T5_mT6_T7_P12ihipStream_tbENKUlT_T0_E_clISt17integral_constantIbLb0EESY_IbLb1EEEEDaSU_SV_EUlSU_E_NS1_11comp_targetILNS1_3genE5ELNS1_11target_archE942ELNS1_3gpuE9ELNS1_3repE0EEENS1_30default_config_static_selectorELNS0_4arch9wavefront6targetE1EEEvT1_,@function
_ZN7rocprim17ROCPRIM_400000_NS6detail17trampoline_kernelINS0_14default_configENS1_27scan_by_key_config_selectorIxxEEZZNS1_16scan_by_key_implILNS1_25lookback_scan_determinismE0ELb0ES3_N6thrust23THRUST_200600_302600_NS6detail15normal_iteratorINS9_10device_ptrIxEEEESE_SE_xNS9_4plusIvEENS9_8equal_toIvEExEE10hipError_tPvRmT2_T3_T4_T5_mT6_T7_P12ihipStream_tbENKUlT_T0_E_clISt17integral_constantIbLb0EESY_IbLb1EEEEDaSU_SV_EUlSU_E_NS1_11comp_targetILNS1_3genE5ELNS1_11target_archE942ELNS1_3gpuE9ELNS1_3repE0EEENS1_30default_config_static_selectorELNS0_4arch9wavefront6targetE1EEEvT1_: ; @_ZN7rocprim17ROCPRIM_400000_NS6detail17trampoline_kernelINS0_14default_configENS1_27scan_by_key_config_selectorIxxEEZZNS1_16scan_by_key_implILNS1_25lookback_scan_determinismE0ELb0ES3_N6thrust23THRUST_200600_302600_NS6detail15normal_iteratorINS9_10device_ptrIxEEEESE_SE_xNS9_4plusIvEENS9_8equal_toIvEExEE10hipError_tPvRmT2_T3_T4_T5_mT6_T7_P12ihipStream_tbENKUlT_T0_E_clISt17integral_constantIbLb0EESY_IbLb1EEEEDaSU_SV_EUlSU_E_NS1_11comp_targetILNS1_3genE5ELNS1_11target_archE942ELNS1_3gpuE9ELNS1_3repE0EEENS1_30default_config_static_selectorELNS0_4arch9wavefront6targetE1EEEvT1_
; %bb.0:
	s_load_dwordx8 s[40:47], s[0:1], 0x30
	s_load_dwordx2 s[64:65], s[0:1], 0x50
	v_cmp_ne_u32_e64 s[4:5], 0, v0
	v_cmp_eq_u32_e64 s[36:37], 0, v0
	s_and_saveexec_b64 s[2:3], s[36:37]
	s_cbranch_execz .LBB40_4
; %bb.1:
	s_mov_b64 s[8:9], exec
	v_mbcnt_lo_u32_b32 v1, s8, 0
	v_mbcnt_hi_u32_b32 v1, s9, v1
	v_cmp_eq_u32_e32 vcc, 0, v1
                                        ; implicit-def: $vgpr2
	s_and_saveexec_b64 s[6:7], vcc
	s_cbranch_execz .LBB40_3
; %bb.2:
	s_load_dwordx2 s[10:11], s[0:1], 0x80
	s_bcnt1_i32_b64 s8, s[8:9]
	v_mov_b32_e32 v2, 0
	v_mov_b32_e32 v3, s8
	s_waitcnt lgkmcnt(0)
	global_atomic_add v2, v2, v3, s[10:11] sc0
.LBB40_3:
	s_or_b64 exec, exec, s[6:7]
	s_waitcnt vmcnt(0)
	v_readfirstlane_b32 s6, v2
	v_mov_b32_e32 v2, 0
	s_nop 0
	v_add_u32_e32 v1, s6, v1
	ds_write_b32 v2, v1
.LBB40_4:
	s_or_b64 exec, exec, s[2:3]
	s_load_dwordx8 s[48:55], s[0:1], 0x0
	s_load_dword s2, s[0:1], 0x58
	s_load_dwordx8 s[56:63], s[0:1], 0x60
	v_mov_b32_e32 v1, 0
	s_waitcnt lgkmcnt(0)
	s_barrier
	ds_read_b32 v1, v1
	s_lshl_b64 s[38:39], s[50:51], 3
	s_add_u32 s3, s48, s38
	s_addc_u32 s6, s49, s39
	s_add_u32 s7, s52, s38
	s_mul_i32 s0, s65, s2
	s_mul_hi_u32 s1, s64, s2
	s_addc_u32 s8, s53, s39
	s_add_i32 s9, s1, s0
	s_waitcnt lgkmcnt(0)
	v_readfirstlane_b32 s47, v1
	s_cmp_lg_u64 s[60:61], 0
	s_mov_b32 s1, 0
	s_mul_i32 s0, s47, 0xe00
	s_cselect_b64 s[60:61], -1, 0
	s_lshl_b64 s[48:49], s[0:1], 3
	s_add_u32 s52, s3, s48
	s_addc_u32 s53, s6, s49
	s_add_u32 s50, s7, s48
	s_mul_i32 s2, s64, s2
	s_addc_u32 s51, s8, s49
	s_add_u32 s66, s2, s47
	s_addc_u32 s67, s9, 0
	s_add_u32 s0, s56, -1
	s_addc_u32 s1, s57, -1
	v_mov_b64_e32 v[2:3], s[0:1]
	v_cmp_ge_u64_e64 s[2:3], s[66:67], v[2:3]
	s_mov_b64 s[10:11], 0
	s_mov_b64 s[6:7], -1
	s_and_b64 vcc, exec, s[2:3]
	s_mul_i32 s33, s0, 0xfffff200
	s_barrier
	s_barrier
	s_cbranch_vccz .LBB40_81
; %bb.5:
	v_mov_b64_e32 v[2:3], s[52:53]
	flat_load_dwordx2 v[28:29], v[2:3]
	s_add_i32 s69, s33, s46
	v_cmp_gt_u32_e64 s[6:7], s69, v0
	s_waitcnt vmcnt(0) lgkmcnt(0)
	v_mov_b64_e32 v[30:31], v[28:29]
	s_and_saveexec_b64 s[0:1], s[6:7]
	s_cbranch_execz .LBB40_7
; %bb.6:
	v_lshlrev_b32_e32 v2, 3, v0
	v_mov_b32_e32 v3, 0
	v_lshl_add_u64 v[2:3], s[52:53], 0, v[2:3]
	flat_load_dwordx2 v[30:31], v[2:3]
.LBB40_7:
	s_or_b64 exec, exec, s[0:1]
	v_or_b32_e32 v1, 0x100, v0
	v_cmp_gt_u32_e64 s[8:9], s69, v1
	v_mov_b64_e32 v[32:33], v[28:29]
	s_and_saveexec_b64 s[0:1], s[8:9]
	s_cbranch_execz .LBB40_9
; %bb.8:
	v_lshlrev_b32_e32 v2, 3, v0
	v_mov_b32_e32 v3, 0
	v_lshl_add_u64 v[2:3], s[52:53], 0, v[2:3]
	flat_load_dwordx2 v[32:33], v[2:3] offset:2048
.LBB40_9:
	s_or_b64 exec, exec, s[0:1]
	v_or_b32_e32 v1, 0x200, v0
	v_cmp_gt_u32_e64 s[10:11], s69, v1
	v_lshlrev_b32_e32 v2, 3, v1
	v_mov_b64_e32 v[34:35], v[28:29]
	s_and_saveexec_b64 s[0:1], s[10:11]
	s_cbranch_execz .LBB40_11
; %bb.10:
	v_mov_b32_e32 v3, 0
	v_lshl_add_u64 v[4:5], s[52:53], 0, v[2:3]
	flat_load_dwordx2 v[34:35], v[4:5]
.LBB40_11:
	s_or_b64 exec, exec, s[0:1]
	v_or_b32_e32 v1, 0x300, v0
	v_cmp_gt_u32_e64 s[12:13], s69, v1
	v_lshlrev_b32_e32 v4, 3, v1
	v_mov_b64_e32 v[36:37], v[28:29]
	s_and_saveexec_b64 s[0:1], s[12:13]
	s_cbranch_execz .LBB40_13
; %bb.12:
	v_mov_b32_e32 v5, 0
	v_lshl_add_u64 v[6:7], s[52:53], 0, v[4:5]
	flat_load_dwordx2 v[36:37], v[6:7]
.LBB40_13:
	;; [unrolled: 12-line block ×11, first 2 shown]
	s_or_b64 exec, exec, s[0:1]
	v_or_b32_e32 v1, 0xd00, v0
	v_cmp_gt_u32_e64 s[34:35], s69, v1
	v_lshlrev_b32_e32 v24, 3, v1
	s_and_saveexec_b64 s[0:1], s[34:35]
	s_cbranch_execz .LBB40_33
; %bb.32:
	v_mov_b32_e32 v25, 0
	v_lshl_add_u64 v[26:27], s[52:53], 0, v[24:25]
	flat_load_dwordx2 v[28:29], v[26:27]
.LBB40_33:
	s_or_b64 exec, exec, s[0:1]
	v_lshlrev_b32_e32 v26, 3, v0
	s_movk_i32 s0, 0x68
	s_waitcnt vmcnt(0) lgkmcnt(0)
	ds_write2st64_b64 v26, v[30:31], v[32:33] offset1:4
	ds_write2st64_b64 v26, v[34:35], v[36:37] offset0:8 offset1:12
	ds_write2st64_b64 v26, v[38:39], v[40:41] offset0:16 offset1:20
	;; [unrolled: 1-line block ×6, first 2 shown]
	v_mad_u32_u24 v36, v0, s0, v26
	s_waitcnt lgkmcnt(0)
	s_barrier
	ds_read_b128 v[74:77], v36
	ds_read_b128 v[70:73], v36 offset:16
	ds_read_b128 v[66:69], v36 offset:32
	;; [unrolled: 1-line block ×6, first 2 shown]
	s_cmp_eq_u64 s[66:67], 0
	s_mov_b64 s[0:1], s[52:53]
	s_cbranch_scc1 .LBB40_37
; %bb.34:
	s_andn2_b64 vcc, exec, s[60:61]
	s_cbranch_vccnz .LBB40_235
; %bb.35:
	s_lshl_b64 s[0:1], s[66:67], 3
	s_add_u32 s0, s62, s0
	s_addc_u32 s1, s63, s1
	s_add_u32 s0, s0, -8
	s_addc_u32 s1, s1, -1
	s_cbranch_execnz .LBB40_37
.LBB40_36:
	s_add_u32 s0, s52, -8
	s_addc_u32 s1, s53, -1
.LBB40_37:
	v_mov_b64_e32 v[28:29], s[0:1]
	flat_load_dwordx2 v[28:29], v[28:29]
	s_movk_i32 s0, 0xff98
	v_mad_i32_i24 v1, v0, s0, v36
	s_waitcnt lgkmcnt(0)
	ds_write_b64 v1, v[60:61] offset:28672
	s_waitcnt lgkmcnt(0)
	s_barrier
	s_and_saveexec_b64 s[0:1], s[4:5]
	s_cbranch_execz .LBB40_39
; %bb.38:
	v_mul_i32_i24_e32 v1, 0xffffff98, v0
	v_add_u32_e32 v1, v36, v1
	s_waitcnt vmcnt(0)
	ds_read_b64 v[28:29], v1 offset:28664
.LBB40_39:
	s_or_b64 exec, exec, s[0:1]
	v_mov_b32_e32 v27, 0
	s_waitcnt lgkmcnt(0)
	s_barrier
	s_waitcnt lgkmcnt(0)
                                        ; implicit-def: $vgpr30_vgpr31
	s_and_saveexec_b64 s[0:1], s[6:7]
	s_cbranch_execnz .LBB40_222
; %bb.40:
	s_or_b64 exec, exec, s[0:1]
                                        ; implicit-def: $vgpr32_vgpr33
	s_and_saveexec_b64 s[0:1], s[8:9]
	s_cbranch_execnz .LBB40_223
.LBB40_41:
	s_or_b64 exec, exec, s[0:1]
                                        ; implicit-def: $vgpr34_vgpr35
	s_and_saveexec_b64 s[0:1], s[10:11]
	s_cbranch_execnz .LBB40_224
.LBB40_42:
	s_or_b64 exec, exec, s[0:1]
                                        ; implicit-def: $vgpr2_vgpr3
	s_and_saveexec_b64 s[0:1], s[12:13]
	s_cbranch_execnz .LBB40_225
.LBB40_43:
	s_or_b64 exec, exec, s[0:1]
                                        ; implicit-def: $vgpr4_vgpr5
	s_and_saveexec_b64 s[0:1], s[14:15]
	s_cbranch_execnz .LBB40_226
.LBB40_44:
	s_or_b64 exec, exec, s[0:1]
                                        ; implicit-def: $vgpr6_vgpr7
	s_and_saveexec_b64 s[0:1], s[16:17]
	s_cbranch_execnz .LBB40_227
.LBB40_45:
	s_or_b64 exec, exec, s[0:1]
                                        ; implicit-def: $vgpr8_vgpr9
	s_and_saveexec_b64 s[0:1], s[18:19]
	s_cbranch_execnz .LBB40_228
.LBB40_46:
	s_or_b64 exec, exec, s[0:1]
                                        ; implicit-def: $vgpr10_vgpr11
	s_and_saveexec_b64 s[0:1], s[20:21]
	s_cbranch_execnz .LBB40_229
.LBB40_47:
	s_or_b64 exec, exec, s[0:1]
                                        ; implicit-def: $vgpr12_vgpr13
	s_and_saveexec_b64 s[0:1], s[22:23]
	s_cbranch_execnz .LBB40_230
.LBB40_48:
	s_or_b64 exec, exec, s[0:1]
                                        ; implicit-def: $vgpr14_vgpr15
	s_and_saveexec_b64 s[0:1], s[24:25]
	s_cbranch_execnz .LBB40_231
.LBB40_49:
	s_or_b64 exec, exec, s[0:1]
                                        ; implicit-def: $vgpr16_vgpr17
	s_and_saveexec_b64 s[0:1], s[26:27]
	s_cbranch_execnz .LBB40_232
.LBB40_50:
	s_or_b64 exec, exec, s[0:1]
                                        ; implicit-def: $vgpr18_vgpr19
	s_and_saveexec_b64 s[0:1], s[28:29]
	s_cbranch_execnz .LBB40_233
.LBB40_51:
	s_or_b64 exec, exec, s[0:1]
                                        ; implicit-def: $vgpr20_vgpr21
	s_and_saveexec_b64 s[0:1], s[30:31]
	s_cbranch_execnz .LBB40_234
.LBB40_52:
	s_or_b64 exec, exec, s[0:1]
                                        ; implicit-def: $vgpr22_vgpr23
	s_and_saveexec_b64 s[0:1], s[34:35]
	s_cbranch_execz .LBB40_54
.LBB40_53:
	v_mov_b32_e32 v25, 0
	v_lshl_add_u64 v[22:23], s[50:51], 0, v[24:25]
	flat_load_dwordx2 v[22:23], v[22:23]
.LBB40_54:
	s_or_b64 exec, exec, s[0:1]
	v_mul_u32_u24_e32 v37, 14, v0
	v_mov_b64_e32 v[78:79], 0
	s_waitcnt vmcnt(0) lgkmcnt(0)
	ds_write2st64_b64 v26, v[30:31], v[32:33] offset1:4
	ds_write2st64_b64 v26, v[34:35], v[2:3] offset0:8 offset1:12
	ds_write2st64_b64 v26, v[4:5], v[6:7] offset0:16 offset1:20
	;; [unrolled: 1-line block ×6, first 2 shown]
	v_cmp_gt_u32_e32 vcc, s69, v37
	s_mov_b64 s[10:11], 0
	s_mov_b64 s[6:7], 0
	s_mov_b32 s68, 0
	v_mov_b32_e32 v80, 0
	v_mov_b32_e32 v91, 0
	v_mov_b64_e32 v[46:47], v[78:79]
	v_mov_b32_e32 v90, 0
	v_mov_b64_e32 v[34:35], v[78:79]
	;; [unrolled: 2-line block ×12, first 2 shown]
	s_waitcnt lgkmcnt(0)
	s_barrier
	s_waitcnt lgkmcnt(0)
                                        ; implicit-def: $sgpr0_sgpr1
                                        ; implicit-def: $vgpr52_vgpr53
	s_and_saveexec_b64 s[8:9], vcc
	s_cbranch_execz .LBB40_80
; %bb.55:
	ds_read_b64 v[2:3], v36
	v_cmp_ne_u64_e32 vcc, v[28:29], v[74:75]
	v_or_b32_e32 v4, 1, v37
	v_mov_b64_e32 v[78:79], 0
	v_cndmask_b32_e64 v1, 0, 1, vcc
	v_cmp_gt_u32_e32 vcc, s69, v4
	s_mov_b64 s[12:13], 0
	s_mov_b64 s[0:1], 0
	v_mov_b32_e32 v80, 0
	v_mov_b32_e32 v91, 0
	v_mov_b64_e32 v[46:47], v[78:79]
	v_mov_b32_e32 v90, 0
	v_mov_b64_e32 v[34:35], v[78:79]
	v_mov_b32_e32 v89, 0
	v_mov_b64_e32 v[42:43], v[78:79]
	v_mov_b32_e32 v88, 0
	v_mov_b64_e32 v[26:27], v[78:79]
	v_mov_b32_e32 v87, 0
	v_mov_b64_e32 v[38:39], v[78:79]
	v_mov_b32_e32 v86, 0
	v_mov_b64_e32 v[18:19], v[78:79]
	v_mov_b32_e32 v85, 0
	v_mov_b64_e32 v[30:31], v[78:79]
	v_mov_b32_e32 v84, 0
	v_mov_b64_e32 v[10:11], v[78:79]
	v_mov_b32_e32 v83, 0
	v_mov_b64_e32 v[22:23], v[78:79]
	v_mov_b32_e32 v81, 0
	v_mov_b64_e32 v[6:7], v[78:79]
	v_mov_b32_e32 v82, 0
	v_mov_b64_e32 v[14:15], v[78:79]
                                        ; implicit-def: $sgpr14_sgpr15
                                        ; implicit-def: $vgpr52_vgpr53
	s_and_saveexec_b64 s[10:11], vcc
	s_cbranch_execz .LBB40_79
; %bb.56:
	ds_read2_b64 v[14:17], v36 offset0:1 offset1:2
	v_cmp_ne_u64_e32 vcc, v[74:75], v[76:77]
	v_add_u32_e32 v4, 2, v37
	v_mov_b64_e32 v[78:79], 0
	v_cndmask_b32_e64 v82, 0, 1, vcc
	v_cmp_gt_u32_e32 vcc, s69, v4
	s_mov_b64 s[16:17], 0
	v_mov_b32_e32 v80, 0
	v_mov_b32_e32 v91, 0
	v_mov_b64_e32 v[46:47], v[78:79]
	v_mov_b32_e32 v90, 0
	v_mov_b64_e32 v[34:35], v[78:79]
	;; [unrolled: 2-line block ×10, first 2 shown]
                                        ; implicit-def: $sgpr14_sgpr15
                                        ; implicit-def: $vgpr52_vgpr53
	s_and_saveexec_b64 s[12:13], vcc
	s_cbranch_execz .LBB40_78
; %bb.57:
	v_cmp_ne_u64_e32 vcc, v[76:77], v[70:71]
	v_add_u32_e32 v4, 3, v37
	v_mov_b64_e32 v[78:79], 0
	s_waitcnt lgkmcnt(0)
	v_mov_b32_e32 v6, v16
	v_mov_b32_e32 v7, v17
	v_cndmask_b32_e64 v81, 0, 1, vcc
	v_cmp_gt_u32_e32 vcc, s69, v4
	v_mov_b32_e32 v80, 0
	v_mov_b32_e32 v91, 0
	v_mov_b64_e32 v[46:47], v[78:79]
	v_mov_b32_e32 v90, 0
	v_mov_b64_e32 v[34:35], v[78:79]
	;; [unrolled: 2-line block ×9, first 2 shown]
                                        ; implicit-def: $sgpr18_sgpr19
                                        ; implicit-def: $vgpr52_vgpr53
	s_and_saveexec_b64 s[14:15], vcc
	s_cbranch_execz .LBB40_77
; %bb.58:
	ds_read2_b64 v[22:25], v36 offset0:3 offset1:4
	v_cmp_ne_u64_e32 vcc, v[70:71], v[72:73]
	v_add_u32_e32 v4, 4, v37
	v_mov_b64_e32 v[78:79], 0
	v_cndmask_b32_e64 v83, 0, 1, vcc
	v_cmp_gt_u32_e32 vcc, s69, v4
	s_mov_b64 s[20:21], 0
	v_mov_b32_e32 v80, 0
	v_mov_b32_e32 v91, 0
	v_mov_b64_e32 v[46:47], v[78:79]
	v_mov_b32_e32 v90, 0
	v_mov_b64_e32 v[34:35], v[78:79]
	;; [unrolled: 2-line block ×8, first 2 shown]
                                        ; implicit-def: $sgpr18_sgpr19
                                        ; implicit-def: $vgpr52_vgpr53
	s_and_saveexec_b64 s[16:17], vcc
	s_cbranch_execz .LBB40_76
; %bb.59:
	v_cmp_ne_u64_e32 vcc, v[72:73], v[66:67]
	v_add_u32_e32 v4, 5, v37
	v_mov_b64_e32 v[78:79], 0
	s_waitcnt lgkmcnt(0)
	v_mov_b32_e32 v10, v24
	v_mov_b32_e32 v11, v25
	v_cndmask_b32_e64 v84, 0, 1, vcc
	v_cmp_gt_u32_e32 vcc, s69, v4
	v_mov_b32_e32 v80, 0
	v_mov_b32_e32 v91, 0
	v_mov_b64_e32 v[46:47], v[78:79]
	v_mov_b32_e32 v90, 0
	v_mov_b64_e32 v[34:35], v[78:79]
	;; [unrolled: 2-line block ×7, first 2 shown]
                                        ; implicit-def: $sgpr22_sgpr23
                                        ; implicit-def: $vgpr52_vgpr53
	s_and_saveexec_b64 s[18:19], vcc
	s_cbranch_execz .LBB40_75
; %bb.60:
	ds_read2_b64 v[30:33], v36 offset0:5 offset1:6
	v_cmp_ne_u64_e32 vcc, v[66:67], v[68:69]
	v_add_u32_e32 v4, 6, v37
	v_mov_b64_e32 v[78:79], 0
	v_cndmask_b32_e64 v85, 0, 1, vcc
	v_cmp_gt_u32_e32 vcc, s69, v4
	s_mov_b64 s[24:25], 0
	v_mov_b32_e32 v80, 0
	v_mov_b32_e32 v91, 0
	v_mov_b64_e32 v[46:47], v[78:79]
	v_mov_b32_e32 v90, 0
	v_mov_b64_e32 v[34:35], v[78:79]
	;; [unrolled: 2-line block ×6, first 2 shown]
                                        ; implicit-def: $sgpr22_sgpr23
                                        ; implicit-def: $vgpr52_vgpr53
	s_and_saveexec_b64 s[20:21], vcc
	s_cbranch_execz .LBB40_74
; %bb.61:
	v_cmp_ne_u64_e32 vcc, v[68:69], v[62:63]
	v_add_u32_e32 v4, 7, v37
	v_mov_b64_e32 v[78:79], 0
	s_waitcnt lgkmcnt(0)
	v_mov_b32_e32 v18, v32
	v_mov_b32_e32 v19, v33
	v_cndmask_b32_e64 v86, 0, 1, vcc
	v_cmp_gt_u32_e32 vcc, s69, v4
	v_mov_b32_e32 v80, 0
	v_mov_b32_e32 v91, 0
	v_mov_b64_e32 v[46:47], v[78:79]
	v_mov_b32_e32 v90, 0
	v_mov_b64_e32 v[34:35], v[78:79]
	;; [unrolled: 2-line block ×5, first 2 shown]
                                        ; implicit-def: $sgpr26_sgpr27
                                        ; implicit-def: $vgpr52_vgpr53
	s_and_saveexec_b64 s[22:23], vcc
	s_cbranch_execz .LBB40_73
; %bb.62:
	ds_read2_b64 v[38:41], v36 offset0:7 offset1:8
	v_cmp_ne_u64_e32 vcc, v[62:63], v[64:65]
	v_add_u32_e32 v4, 8, v37
	v_mov_b64_e32 v[78:79], 0
	v_cndmask_b32_e64 v87, 0, 1, vcc
	v_cmp_gt_u32_e32 vcc, s69, v4
	s_mov_b64 s[28:29], 0
	v_mov_b32_e32 v80, 0
	v_mov_b32_e32 v91, 0
	v_mov_b64_e32 v[46:47], v[78:79]
	v_mov_b32_e32 v90, 0
	v_mov_b64_e32 v[34:35], v[78:79]
	;; [unrolled: 2-line block ×4, first 2 shown]
                                        ; implicit-def: $sgpr26_sgpr27
                                        ; implicit-def: $vgpr52_vgpr53
	s_and_saveexec_b64 s[24:25], vcc
	s_cbranch_execz .LBB40_72
; %bb.63:
	v_cmp_ne_u64_e32 vcc, v[64:65], v[48:49]
	v_add_u32_e32 v4, 9, v37
	v_mov_b64_e32 v[78:79], 0
	s_waitcnt lgkmcnt(0)
	v_mov_b32_e32 v26, v40
	v_mov_b32_e32 v27, v41
	v_cndmask_b32_e64 v88, 0, 1, vcc
	v_cmp_gt_u32_e32 vcc, s69, v4
	v_mov_b32_e32 v80, 0
	v_mov_b32_e32 v91, 0
	v_mov_b64_e32 v[46:47], v[78:79]
	v_mov_b32_e32 v90, 0
	v_mov_b64_e32 v[34:35], v[78:79]
	v_mov_b32_e32 v89, 0
	v_mov_b64_e32 v[42:43], v[78:79]
                                        ; implicit-def: $sgpr30_sgpr31
                                        ; implicit-def: $vgpr52_vgpr53
	s_and_saveexec_b64 s[26:27], vcc
	s_cbranch_execz .LBB40_71
; %bb.64:
	ds_read2_b64 v[42:45], v36 offset0:9 offset1:10
	v_cmp_ne_u64_e32 vcc, v[48:49], v[50:51]
	v_add_u32_e32 v4, 10, v37
	v_mov_b64_e32 v[78:79], 0
	v_cndmask_b32_e64 v89, 0, 1, vcc
	v_cmp_gt_u32_e32 vcc, s69, v4
	s_mov_b64 s[34:35], 0
	v_mov_b32_e32 v80, 0
	v_mov_b32_e32 v91, 0
	v_mov_b64_e32 v[46:47], v[78:79]
	v_mov_b32_e32 v90, 0
	v_mov_b64_e32 v[34:35], v[78:79]
                                        ; implicit-def: $sgpr30_sgpr31
                                        ; implicit-def: $vgpr52_vgpr53
	s_and_saveexec_b64 s[28:29], vcc
	s_cbranch_execz .LBB40_70
; %bb.65:
	v_cmp_ne_u64_e32 vcc, v[50:51], v[54:55]
	v_add_u32_e32 v4, 11, v37
	v_mov_b64_e32 v[78:79], 0
	s_waitcnt lgkmcnt(0)
	v_mov_b32_e32 v34, v44
	v_mov_b32_e32 v35, v45
	v_cndmask_b32_e64 v90, 0, 1, vcc
	v_cmp_gt_u32_e32 vcc, s69, v4
	v_mov_b32_e32 v80, 0
	v_mov_b32_e32 v91, 0
	v_mov_b64_e32 v[46:47], v[78:79]
                                        ; implicit-def: $sgpr56_sgpr57
                                        ; implicit-def: $vgpr52_vgpr53
	s_and_saveexec_b64 s[30:31], vcc
	s_cbranch_execz .LBB40_69
; %bb.66:
	ds_read2_b64 v[46:49], v36 offset0:11 offset1:12
	v_cmp_ne_u64_e32 vcc, v[54:55], v[56:57]
	v_add_u32_e32 v4, 12, v37
	v_mov_b32_e32 v80, 0
	v_cndmask_b32_e64 v91, 0, 1, vcc
	v_cmp_gt_u32_e32 vcc, s69, v4
	v_mov_b64_e32 v[78:79], 0
                                        ; implicit-def: $sgpr34_sgpr35
                                        ; implicit-def: $vgpr52_vgpr53
	s_and_saveexec_b64 s[56:57], vcc
	s_xor_b64 s[56:57], exec, s[56:57]
	s_cbranch_execz .LBB40_68
; %bb.67:
	ds_read_b64 v[52:53], v36 offset:104
	v_cmp_ne_u64_e64 s[0:1], v[56:57], v[58:59]
	v_add_u32_e32 v4, 13, v37
	v_cmp_ne_u64_e32 vcc, v[58:59], v[60:61]
	v_cndmask_b32_e64 v80, 0, 1, s[0:1]
	v_cmp_gt_u32_e64 s[0:1], s69, v4
	s_and_b64 s[34:35], vcc, exec
	s_and_b64 s[0:1], s[0:1], exec
	s_waitcnt lgkmcnt(1)
	v_mov_b64_e32 v[50:51], v[48:49]
	v_mov_b64_e32 v[78:79], v[48:49]
.LBB40_68:
	s_or_b64 exec, exec, s[56:57]
	s_and_b64 s[56:57], s[34:35], exec
	s_and_b64 s[34:35], s[0:1], exec
.LBB40_69:
	s_or_b64 exec, exec, s[30:31]
	s_and_b64 s[30:31], s[56:57], exec
	s_and_b64 s[0:1], s[34:35], exec
	s_waitcnt lgkmcnt(0)
	v_mov_b64_e32 v[36:37], v[46:47]
	v_mov_b64_e32 v[28:29], v[42:43]
	;; [unrolled: 1-line block ×6, first 2 shown]
.LBB40_70:
	s_or_b64 exec, exec, s[28:29]
	s_and_b64 s[30:31], s[30:31], exec
	s_and_b64 s[28:29], s[0:1], exec
.LBB40_71:
	s_or_b64 exec, exec, s[26:27]
	s_and_b64 s[26:27], s[30:31], exec
	s_and_b64 s[0:1], s[28:29], exec
.LBB40_72:
	s_or_b64 exec, exec, s[24:25]
	s_and_b64 s[26:27], s[26:27], exec
	s_and_b64 s[24:25], s[0:1], exec
.LBB40_73:
	s_or_b64 exec, exec, s[22:23]
	s_and_b64 s[22:23], s[26:27], exec
	s_and_b64 s[0:1], s[24:25], exec
.LBB40_74:
	s_or_b64 exec, exec, s[20:21]
	s_and_b64 s[22:23], s[22:23], exec
	s_and_b64 s[20:21], s[0:1], exec
.LBB40_75:
	s_or_b64 exec, exec, s[18:19]
	s_and_b64 s[18:19], s[22:23], exec
	s_and_b64 s[0:1], s[20:21], exec
.LBB40_76:
	s_or_b64 exec, exec, s[16:17]
	s_and_b64 s[18:19], s[18:19], exec
	s_and_b64 s[16:17], s[0:1], exec
.LBB40_77:
	s_or_b64 exec, exec, s[14:15]
	s_and_b64 s[14:15], s[18:19], exec
	s_and_b64 s[0:1], s[16:17], exec
.LBB40_78:
	s_or_b64 exec, exec, s[12:13]
	s_and_b64 s[14:15], s[14:15], exec
	s_and_b64 s[12:13], s[0:1], exec
.LBB40_79:
	s_or_b64 exec, exec, s[10:11]
	s_and_b64 s[0:1], s[14:15], exec
	s_and_b64 s[10:11], s[12:13], exec
.LBB40_80:
	s_or_b64 exec, exec, s[8:9]
	s_mov_b64 s[8:9], 0
	s_and_b64 vcc, exec, s[6:7]
	s_waitcnt lgkmcnt(0)
	v_lshlrev_b32_e32 v32, 3, v0
	s_cbranch_vccnz .LBB40_82
	s_branch .LBB40_90
.LBB40_81:
                                        ; implicit-def: $sgpr0_sgpr1
                                        ; implicit-def: $vgpr52_vgpr53
                                        ; implicit-def: $vgpr80
                                        ; implicit-def: $vgpr91
                                        ; implicit-def: $vgpr36_vgpr37
                                        ; implicit-def: $vgpr90
                                        ; implicit-def: $vgpr89
                                        ; implicit-def: $vgpr28_vgpr29
                                        ; implicit-def: $vgpr88
                                        ; implicit-def: $vgpr87
                                        ; implicit-def: $vgpr20_vgpr21
                                        ; implicit-def: $vgpr86
                                        ; implicit-def: $vgpr85
                                        ; implicit-def: $vgpr12_vgpr13
                                        ; implicit-def: $vgpr84
                                        ; implicit-def: $vgpr83
                                        ; implicit-def: $vgpr8_vgpr9
                                        ; implicit-def: $vgpr81
                                        ; implicit-def: $vgpr82
                                        ; implicit-def: $vgpr4_vgpr5
                                        ; implicit-def: $vgpr1
                                        ; implicit-def: $sgpr68
                                        ; implicit-def: $sgpr8_sgpr9
                                        ; implicit-def: $vgpr78_vgpr79
                                        ; implicit-def: $vgpr46_vgpr47
                                        ; implicit-def: $vgpr42_vgpr43
                                        ; implicit-def: $vgpr38_vgpr39
                                        ; implicit-def: $vgpr30_vgpr31
                                        ; implicit-def: $vgpr22_vgpr23
                                        ; implicit-def: $vgpr14_vgpr15
	s_and_b64 vcc, exec, s[6:7]
	v_lshlrev_b32_e32 v32, 3, v0
	s_cbranch_vccz .LBB40_90
.LBB40_82:
	v_mov_b32_e32 v33, 0
	v_lshl_add_u64 v[2:3], s[52:53], 0, v[32:33]
	v_add_co_u32_e32 v4, vcc, 0x1000, v2
	s_movk_i32 s0, 0x68
	s_nop 0
	v_addc_co_u32_e32 v5, vcc, 0, v3, vcc
	flat_load_dwordx2 v[6:7], v[2:3]
	flat_load_dwordx2 v[8:9], v[2:3] offset:2048
	flat_load_dwordx2 v[10:11], v[4:5]
	flat_load_dwordx2 v[12:13], v[4:5] offset:2048
	v_add_co_u32_e32 v4, vcc, 0x2000, v2
	v_mad_u32_u24 v1, v0, s0, v32
	s_nop 0
	v_addc_co_u32_e32 v5, vcc, 0, v3, vcc
	v_add_co_u32_e32 v14, vcc, 0x3000, v2
	s_cmp_eq_u64 s[66:67], 0
	s_nop 0
	v_addc_co_u32_e32 v15, vcc, 0, v3, vcc
	flat_load_dwordx2 v[16:17], v[4:5]
	flat_load_dwordx2 v[18:19], v[4:5] offset:2048
	flat_load_dwordx2 v[20:21], v[14:15]
	flat_load_dwordx2 v[22:23], v[14:15] offset:2048
	v_add_co_u32_e32 v4, vcc, 0x4000, v2
	s_nop 1
	v_addc_co_u32_e32 v5, vcc, 0, v3, vcc
	v_add_co_u32_e32 v14, vcc, 0x5000, v2
	s_nop 1
	v_addc_co_u32_e32 v15, vcc, 0, v3, vcc
	v_add_co_u32_e32 v2, vcc, 0x6000, v2
	flat_load_dwordx2 v[24:25], v[4:5]
	flat_load_dwordx2 v[26:27], v[4:5] offset:2048
	flat_load_dwordx2 v[28:29], v[14:15]
	flat_load_dwordx2 v[30:31], v[14:15] offset:2048
	v_addc_co_u32_e32 v3, vcc, 0, v3, vcc
	flat_load_dwordx2 v[4:5], v[2:3]
	flat_load_dwordx2 v[14:15], v[2:3] offset:2048
	s_waitcnt vmcnt(0) lgkmcnt(0)
	ds_write2st64_b64 v32, v[6:7], v[8:9] offset1:4
	ds_write2st64_b64 v32, v[10:11], v[12:13] offset0:8 offset1:12
	ds_write2st64_b64 v32, v[16:17], v[18:19] offset0:16 offset1:20
	;; [unrolled: 1-line block ×6, first 2 shown]
	s_waitcnt lgkmcnt(0)
	s_barrier
	ds_read_b128 v[14:17], v1
	ds_read_b128 v[2:5], v1 offset:16
	ds_read_b128 v[6:9], v1 offset:32
	;; [unrolled: 1-line block ×6, first 2 shown]
	s_cbranch_scc1 .LBB40_87
; %bb.83:
	s_andn2_b64 vcc, exec, s[60:61]
	s_cbranch_vccnz .LBB40_236
; %bb.84:
	s_lshl_b64 s[0:1], s[66:67], 3
	s_add_u32 s0, s62, s0
	s_addc_u32 s1, s63, s1
	s_add_u32 s0, s0, -8
	s_addc_u32 s1, s1, -1
	s_cbranch_execnz .LBB40_86
.LBB40_85:
	s_add_u32 s0, s52, -8
	s_addc_u32 s1, s53, -1
.LBB40_86:
	s_mov_b64 s[52:53], s[0:1]
.LBB40_87:
	v_mov_b64_e32 v[30:31], s[52:53]
	flat_load_dwordx2 v[30:31], v[30:31]
	s_movk_i32 s0, 0xff98
	v_mad_i32_i24 v33, v0, s0, v1
	s_waitcnt lgkmcnt(0)
	ds_write_b64 v33, v[28:29] offset:28672
	s_waitcnt lgkmcnt(0)
	s_barrier
	s_and_saveexec_b64 s[0:1], s[4:5]
	s_cbranch_execz .LBB40_89
; %bb.88:
	s_waitcnt vmcnt(0)
	v_mul_i32_i24_e32 v30, 0xffffff98, v0
	v_add_u32_e32 v30, v1, v30
	ds_read_b64 v[30:31], v30 offset:28664
.LBB40_89:
	s_or_b64 exec, exec, s[0:1]
	v_mov_b32_e32 v33, 0
	v_lshl_add_u64 v[34:35], s[50:51], 0, v[32:33]
	s_movk_i32 s0, 0x1000
	v_add_co_u32_e32 v36, vcc, s0, v34
	s_movk_i32 s0, 0x2000
	s_nop 0
	v_addc_co_u32_e32 v37, vcc, 0, v35, vcc
	s_waitcnt lgkmcnt(0)
	s_barrier
	flat_load_dwordx2 v[38:39], v[34:35]
	flat_load_dwordx2 v[40:41], v[34:35] offset:2048
	flat_load_dwordx2 v[42:43], v[36:37]
	flat_load_dwordx2 v[44:45], v[36:37] offset:2048
	v_add_co_u32_e32 v36, vcc, s0, v34
	s_movk_i32 s0, 0x3000
	s_nop 0
	v_addc_co_u32_e32 v37, vcc, 0, v35, vcc
	v_add_co_u32_e32 v46, vcc, s0, v34
	s_movk_i32 s0, 0x4000
	s_nop 0
	v_addc_co_u32_e32 v47, vcc, 0, v35, vcc
	flat_load_dwordx2 v[48:49], v[36:37]
	flat_load_dwordx2 v[50:51], v[36:37] offset:2048
	flat_load_dwordx2 v[52:53], v[46:47]
	flat_load_dwordx2 v[54:55], v[46:47] offset:2048
	v_add_co_u32_e32 v36, vcc, s0, v34
	s_movk_i32 s0, 0x5000
	s_nop 0
	v_addc_co_u32_e32 v37, vcc, 0, v35, vcc
	v_add_co_u32_e32 v46, vcc, s0, v34
	s_movk_i32 s0, 0x6000
	s_nop 0
	v_addc_co_u32_e32 v47, vcc, 0, v35, vcc
	v_add_co_u32_e32 v34, vcc, s0, v34
	flat_load_dwordx2 v[56:57], v[36:37]
	flat_load_dwordx2 v[58:59], v[36:37] offset:2048
	flat_load_dwordx2 v[60:61], v[46:47]
	flat_load_dwordx2 v[62:63], v[46:47] offset:2048
	v_addc_co_u32_e32 v35, vcc, 0, v35, vcc
	flat_load_dwordx2 v[36:37], v[34:35]
	flat_load_dwordx2 v[46:47], v[34:35] offset:2048
	v_cmp_ne_u64_e32 vcc, v[24:25], v[26:27]
	v_cmp_ne_u64_e64 s[0:1], v[26:27], v[28:29]
	s_mov_b64 s[10:11], -1
	v_cndmask_b32_e64 v80, 0, 1, vcc
	v_cmp_ne_u64_e32 vcc, v[22:23], v[24:25]
                                        ; implicit-def: $sgpr68
                                        ; implicit-def: $sgpr8_sgpr9
                                        ; implicit-def: $vgpr78_vgpr79
	s_waitcnt vmcnt(0) lgkmcnt(0)
	ds_write2st64_b64 v32, v[38:39], v[40:41] offset1:4
	ds_write2st64_b64 v32, v[42:43], v[44:45] offset0:8 offset1:12
	ds_write2st64_b64 v32, v[48:49], v[50:51] offset0:16 offset1:20
	;; [unrolled: 1-line block ×6, first 2 shown]
	v_cndmask_b32_e64 v91, 0, 1, vcc
	v_cmp_ne_u64_e32 vcc, v[20:21], v[22:23]
	s_waitcnt lgkmcnt(0)
	s_barrier
	v_cndmask_b32_e64 v90, 0, 1, vcc
	v_cmp_ne_u64_e32 vcc, v[18:19], v[20:21]
	s_waitcnt lgkmcnt(0)
                                        ; implicit-def: $vgpr46_vgpr47
                                        ; implicit-def: $vgpr42_vgpr43
                                        ; implicit-def: $vgpr38_vgpr39
                                        ; implicit-def: $vgpr22_vgpr23
	s_nop 0
	v_cndmask_b32_e64 v89, 0, 1, vcc
	v_cmp_ne_u64_e32 vcc, v[12:13], v[18:19]
	s_nop 1
	v_cndmask_b32_e64 v88, 0, 1, vcc
	v_cmp_ne_u64_e32 vcc, v[10:11], v[12:13]
	s_nop 1
	v_cndmask_b32_e64 v87, 0, 1, vcc
	v_cmp_ne_u64_e32 vcc, v[8:9], v[10:11]
	s_nop 1
	v_cndmask_b32_e64 v86, 0, 1, vcc
	v_cmp_ne_u64_e32 vcc, v[6:7], v[8:9]
	s_nop 1
	v_cndmask_b32_e64 v85, 0, 1, vcc
	v_cmp_ne_u64_e32 vcc, v[4:5], v[6:7]
	s_nop 1
	v_cndmask_b32_e64 v84, 0, 1, vcc
	v_cmp_ne_u64_e32 vcc, v[2:3], v[4:5]
	s_nop 1
	v_cndmask_b32_e64 v83, 0, 1, vcc
	v_cmp_ne_u64_e32 vcc, v[16:17], v[2:3]
	ds_read_b128 v[2:5], v1
	ds_read_b128 v[6:9], v1 offset:16
	ds_read_b128 v[10:13], v1 offset:32
	;; [unrolled: 1-line block ×6, first 2 shown]
	v_cndmask_b32_e64 v81, 0, 1, vcc
	v_cmp_ne_u64_e32 vcc, v[14:15], v[16:17]
	s_nop 1
	v_cndmask_b32_e64 v82, 0, 1, vcc
	v_cmp_ne_u64_e32 vcc, v[30:31], v[14:15]
                                        ; implicit-def: $vgpr30_vgpr31
                                        ; implicit-def: $vgpr14_vgpr15
	s_nop 1
	v_cndmask_b32_e64 v1, 0, 1, vcc
.LBB40_90:
	v_mov_b64_e32 v[16:17], s[8:9]
	v_mov_b32_e32 v33, s68
	s_and_saveexec_b64 s[6:7], s[10:11]
	s_cbranch_execz .LBB40_92
; %bb.91:
	v_cndmask_b32_e64 v33, 0, 1, s[0:1]
	s_waitcnt lgkmcnt(6)
	v_mov_b64_e32 v[14:15], v[4:5]
	s_waitcnt lgkmcnt(5)
	v_mov_b64_e32 v[22:23], v[8:9]
	;; [unrolled: 2-line block ×7, first 2 shown]
	v_mov_b64_e32 v[16:17], v[52:53]
.LBB40_92:
	s_or_b64 exec, exec, s[6:7]
	s_waitcnt lgkmcnt(6)
	v_or_b32_e32 v4, v33, v80
	s_cmp_lg_u32 s47, 0
	s_waitcnt lgkmcnt(2)
	v_or_b32_e32 v29, v4, v91
	v_mbcnt_lo_u32_b32 v28, -1, 0
	s_waitcnt lgkmcnt(0)
	s_barrier
	s_cbranch_scc0 .LBB40_159
; %bb.93:
	v_mov_b32_e32 v8, 0
	v_cmp_eq_u16_sdwa s[6:7], v82, v8 src0_sel:BYTE_0 src1_sel:DWORD
	v_cmp_eq_u16_sdwa s[8:9], v81, v8 src0_sel:BYTE_0 src1_sel:DWORD
	v_cmp_eq_u16_sdwa s[10:11], v83, v8 src0_sel:BYTE_0 src1_sel:DWORD
	v_cndmask_b32_e64 v5, 0, v3, s[6:7]
	v_cndmask_b32_e64 v4, 0, v2, s[6:7]
	v_lshl_add_u64 v[4:5], v[4:5], 0, v[14:15]
	v_cndmask_b32_e64 v5, 0, v5, s[8:9]
	v_cndmask_b32_e64 v4, 0, v4, s[8:9]
	v_lshl_add_u64 v[4:5], v[4:5], 0, v[6:7]
	v_cndmask_b32_e64 v5, 0, v5, s[10:11]
	v_cndmask_b32_e64 v4, 0, v4, s[10:11]
	v_lshl_add_u64 v[4:5], v[4:5], 0, v[22:23]
	v_cmp_eq_u16_sdwa s[12:13], v84, v8 src0_sel:BYTE_0 src1_sel:DWORD
	v_cmp_eq_u16_sdwa s[14:15], v85, v8 src0_sel:BYTE_0 src1_sel:DWORD
	v_cmp_eq_u16_sdwa s[16:17], v86, v8 src0_sel:BYTE_0 src1_sel:DWORD
	v_cndmask_b32_e64 v5, 0, v5, s[12:13]
	v_cndmask_b32_e64 v4, 0, v4, s[12:13]
	v_lshl_add_u64 v[4:5], v[4:5], 0, v[10:11]
	v_cndmask_b32_e64 v5, 0, v5, s[14:15]
	v_cndmask_b32_e64 v4, 0, v4, s[14:15]
	v_lshl_add_u64 v[4:5], v[4:5], 0, v[30:31]
	v_cndmask_b32_e64 v5, 0, v5, s[16:17]
	v_cndmask_b32_e64 v4, 0, v4, s[16:17]
	v_lshl_add_u64 v[4:5], v[4:5], 0, v[18:19]
	v_cmp_eq_u16_sdwa s[18:19], v87, v8 src0_sel:BYTE_0 src1_sel:DWORD
	v_cmp_eq_u16_sdwa s[20:21], v88, v8 src0_sel:BYTE_0 src1_sel:DWORD
	v_cmp_eq_u16_sdwa s[22:23], v89, v8 src0_sel:BYTE_0 src1_sel:DWORD
	v_cndmask_b32_e64 v5, 0, v5, s[18:19]
	v_cndmask_b32_e64 v4, 0, v4, s[18:19]
	v_lshl_add_u64 v[4:5], v[4:5], 0, v[38:39]
	v_cndmask_b32_e64 v5, 0, v5, s[20:21]
	v_cndmask_b32_e64 v4, 0, v4, s[20:21]
	v_lshl_add_u64 v[4:5], v[4:5], 0, v[26:27]
	v_cndmask_b32_e64 v5, 0, v5, s[22:23]
	v_cndmask_b32_e64 v4, 0, v4, s[22:23]
	v_lshl_add_u64 v[4:5], v[4:5], 0, v[42:43]
	v_cmp_eq_u16_sdwa s[24:25], v90, v8 src0_sel:BYTE_0 src1_sel:DWORD
	v_cmp_eq_u16_sdwa s[26:27], v91, v8 src0_sel:BYTE_0 src1_sel:DWORD
	v_cmp_eq_u16_sdwa s[28:29], v80, v8 src0_sel:BYTE_0 src1_sel:DWORD
	v_cndmask_b32_e64 v5, 0, v5, s[24:25]
	v_cndmask_b32_e64 v4, 0, v4, s[24:25]
	v_lshl_add_u64 v[4:5], v[4:5], 0, v[34:35]
	v_cndmask_b32_e64 v5, 0, v5, s[26:27]
	v_cndmask_b32_e64 v4, 0, v4, s[26:27]
	v_lshl_add_u64 v[4:5], v[4:5], 0, v[46:47]
	v_cndmask_b32_e64 v5, 0, v5, s[28:29]
	v_cndmask_b32_e64 v4, 0, v4, s[28:29]
	v_lshl_add_u64 v[4:5], v[4:5], 0, v[78:79]
	v_cmp_eq_u16_sdwa s[30:31], v33, v8 src0_sel:BYTE_0 src1_sel:DWORD
	v_and_b32_e32 v12, 0xff, v1
	v_mbcnt_hi_u32_b32 v44, -1, v28
	v_cndmask_b32_e64 v5, 0, v5, s[30:31]
	v_cndmask_b32_e64 v4, 0, v4, s[30:31]
	v_lshl_add_u64 v[8:9], v[4:5], 0, v[16:17]
	v_or_b32_e32 v4, v29, v90
	v_or_b32_e32 v4, v4, v89
	v_or_b32_e32 v4, v4, v88
	v_or_b32_e32 v4, v4, v87
	v_or_b32_e32 v4, v4, v86
	v_or_b32_e32 v4, v4, v85
	v_or_b32_e32 v4, v4, v84
	v_or_b32_e32 v4, v4, v83
	v_or_b32_e32 v4, v4, v81
	v_or_b32_e32 v4, v4, v82
	v_and_b32_e32 v4, 1, v4
	v_cmp_eq_u32_e32 vcc, 1, v4
	v_and_b32_e32 v4, 15, v44
	v_mov_b32_dpp v13, v8 row_shr:1 row_mask:0xf bank_mask:0xf
	v_cndmask_b32_e64 v12, v12, 1, vcc
	v_mov_b32_dpp v20, v9 row_shr:1 row_mask:0xf bank_mask:0xf
	v_cmp_ne_u32_e32 vcc, 0, v4
	v_mov_b32_dpp v5, v12 row_shr:1 row_mask:0xf bank_mask:0xf
	s_and_saveexec_b64 s[0:1], vcc
; %bb.94:
	v_cmp_eq_u32_e32 vcc, 0, v12
	v_and_or_b32 v12, v5, 1, v12
	s_nop 0
	v_cndmask_b32_e32 v21, 0, v20, vcc
	v_cndmask_b32_e32 v20, 0, v13, vcc
	v_lshl_add_u64 v[8:9], v[20:21], 0, v[8:9]
; %bb.95:
	s_or_b64 exec, exec, s[0:1]
	s_nop 0
	v_mov_b32_dpp v13, v8 row_shr:2 row_mask:0xf bank_mask:0xf
	v_mov_b32_dpp v20, v9 row_shr:2 row_mask:0xf bank_mask:0xf
	v_mov_b32_dpp v5, v12 row_shr:2 row_mask:0xf bank_mask:0xf
	v_cmp_lt_u32_e32 vcc, 1, v4
	s_and_saveexec_b64 s[0:1], vcc
; %bb.96:
	v_cmp_eq_u32_e32 vcc, 0, v12
	v_or_b32_e32 v5, v5, v12
	v_and_b32_e32 v12, 1, v5
	v_cndmask_b32_e32 v21, 0, v20, vcc
	v_cndmask_b32_e32 v20, 0, v13, vcc
	v_lshl_add_u64 v[8:9], v[20:21], 0, v[8:9]
; %bb.97:
	s_or_b64 exec, exec, s[0:1]
	s_nop 0
	v_mov_b32_dpp v13, v8 row_shr:4 row_mask:0xf bank_mask:0xf
	v_mov_b32_dpp v20, v9 row_shr:4 row_mask:0xf bank_mask:0xf
	v_mov_b32_dpp v5, v12 row_shr:4 row_mask:0xf bank_mask:0xf
	v_cmp_lt_u32_e32 vcc, 3, v4
	s_and_saveexec_b64 s[0:1], vcc
; %bb.98:
	v_cmp_eq_u32_e32 vcc, 0, v12
	v_or_b32_e32 v5, v5, v12
	v_and_b32_e32 v12, 1, v5
	;; [unrolled: 15-line block ×3, first 2 shown]
	v_cndmask_b32_e32 v21, 0, v20, vcc
	v_cndmask_b32_e32 v20, 0, v13, vcc
	v_lshl_add_u64 v[8:9], v[20:21], 0, v[8:9]
; %bb.101:
	s_or_b64 exec, exec, s[0:1]
	v_and_b32_e32 v20, 16, v44
	v_mov_b32_dpp v5, v8 row_bcast:15 row_mask:0xf bank_mask:0xf
	v_mov_b32_dpp v13, v9 row_bcast:15 row_mask:0xf bank_mask:0xf
	;; [unrolled: 1-line block ×3, first 2 shown]
	v_cmp_ne_u32_e32 vcc, 0, v20
	s_and_saveexec_b64 s[0:1], vcc
; %bb.102:
	v_cmp_eq_u32_e32 vcc, 0, v12
	v_or_b32_e32 v4, v4, v12
	v_and_b32_e32 v12, 1, v4
	v_cndmask_b32_e32 v21, 0, v13, vcc
	v_cndmask_b32_e32 v20, 0, v5, vcc
	v_lshl_add_u64 v[8:9], v[20:21], 0, v[8:9]
; %bb.103:
	s_or_b64 exec, exec, s[0:1]
	s_nop 0
	v_mov_b32_dpp v13, v8 row_bcast:31 row_mask:0xf bank_mask:0xf
	v_mov_b32_dpp v20, v9 row_bcast:31 row_mask:0xf bank_mask:0xf
	;; [unrolled: 1-line block ×3, first 2 shown]
	v_cmp_lt_u32_e32 vcc, 31, v44
	v_mov_b32_e32 v4, v12
	s_and_saveexec_b64 s[0:1], vcc
; %bb.104:
	v_cmp_eq_u32_e32 vcc, 0, v12
	v_or_b32_e32 v5, v5, v12
	v_and_b32_e32 v4, 1, v5
	v_cndmask_b32_e32 v21, 0, v20, vcc
	v_cndmask_b32_e32 v20, 0, v13, vcc
	v_lshl_add_u64 v[8:9], v[20:21], 0, v[8:9]
	v_and_b32_e32 v12, 1, v5
; %bb.105:
	s_or_b64 exec, exec, s[0:1]
	v_or_b32_e32 v5, 63, v0
	v_lshrrev_b32_e32 v13, 6, v0
	v_cmp_eq_u32_e32 vcc, v5, v0
	s_and_saveexec_b64 s[0:1], vcc
	s_cbranch_execz .LBB40_107
; %bb.106:
	v_lshlrev_b32_e32 v5, 4, v13
	ds_write_b64 v5, v[8:9]
	ds_write_b8 v5, v4 offset:8
.LBB40_107:
	s_or_b64 exec, exec, s[0:1]
	v_cmp_gt_u32_e32 vcc, 4, v0
	s_waitcnt lgkmcnt(0)
	s_barrier
	s_and_saveexec_b64 s[34:35], vcc
	s_cbranch_execz .LBB40_113
; %bb.108:
	v_lshlrev_b32_e32 v20, 4, v0
	ds_read_b64 v[4:5], v20
	ds_read_b32 v21, v20 offset:8
	v_and_b32_e32 v24, 3, v44
	v_cmp_ne_u32_e32 vcc, 0, v24
	s_waitcnt lgkmcnt(1)
	v_mov_b32_dpp v40, v4 row_shr:1 row_mask:0xf bank_mask:0xf
	v_mov_b32_dpp v41, v5 row_shr:1 row_mask:0xf bank_mask:0xf
	s_waitcnt lgkmcnt(0)
	v_mov_b32_dpp v37, v21 row_shr:1 row_mask:0xf bank_mask:0xf
	v_mov_b32_e32 v25, v21
	v_mov_b32_e32 v36, v21
	s_and_saveexec_b64 s[0:1], vcc
; %bb.109:
	v_mov_b32_e32 v25, 0
	v_cmp_eq_u16_sdwa vcc, v21, v25 src0_sel:BYTE_0 src1_sel:DWORD
	v_or_b32_e32 v36, v37, v21
	v_and_b32_e32 v25, 1, v36
	v_cndmask_b32_e32 v41, 0, v41, vcc
	v_cndmask_b32_e32 v40, 0, v40, vcc
	v_and_b32_e32 v36, 1, v36
	s_movk_i32 s50, 0xff00
	v_lshl_add_u64 v[4:5], v[40:41], 0, v[4:5]
	v_and_or_b32 v21, v21, s50, v36
; %bb.110:
	s_or_b64 exec, exec, s[0:1]
	v_mov_b32_dpp v37, v4 row_shr:2 row_mask:0xf bank_mask:0xf
	v_mov_b32_dpp v40, v5 row_shr:2 row_mask:0xf bank_mask:0xf
	;; [unrolled: 1-line block ×3, first 2 shown]
	v_cmp_lt_u32_e32 vcc, 1, v24
	s_and_saveexec_b64 s[50:51], vcc
; %bb.111:
	v_mov_b32_e32 v24, 0
	v_cmp_eq_u16_sdwa vcc, v36, v24 src0_sel:BYTE_0 src1_sel:DWORD
	v_and_b32_e32 v21, 1, v21
	v_cmp_eq_u32_e64 s[0:1], 1, v21
	v_cndmask_b32_e32 v25, 0, v40, vcc
	v_cndmask_b32_e32 v24, 0, v37, vcc
	v_lshl_add_u64 v[4:5], v[24:25], 0, v[4:5]
	v_and_b32_e32 v24, 1, v36
	v_cmp_eq_u32_e32 vcc, 1, v24
	s_or_b64 s[0:1], vcc, s[0:1]
	v_cndmask_b32_e64 v25, 0, 1, s[0:1]
; %bb.112:
	s_or_b64 exec, exec, s[50:51]
	ds_write_b64 v20, v[4:5]
	ds_write_b8 v20, v25 offset:8
.LBB40_113:
	s_or_b64 exec, exec, s[34:35]
	v_cmp_gt_u32_e32 vcc, 64, v0
	v_cmp_lt_u32_e64 s[0:1], 63, v0
	v_mov_b32_e32 v36, 0
	v_mov_b64_e32 v[4:5], 0
	s_waitcnt lgkmcnt(0)
	s_barrier
	s_and_saveexec_b64 s[34:35], s[0:1]
	s_cbranch_execz .LBB40_115
; %bb.114:
	v_lshl_add_u32 v13, v13, 4, -16
	ds_read_b64 v[4:5], v13
	ds_read_u8 v36, v13 offset:8
	v_and_b32_e32 v20, 1, v12
	v_cmp_eq_u32_e64 s[0:1], 0, v12
	s_waitcnt lgkmcnt(1)
	s_nop 0
	v_cndmask_b32_e64 v13, 0, v5, s[0:1]
	v_cndmask_b32_e64 v12, 0, v4, s[0:1]
	v_cmp_eq_u32_e64 s[0:1], 1, v20
	v_lshl_add_u64 v[8:9], v[12:13], 0, v[8:9]
	s_waitcnt lgkmcnt(0)
	v_cndmask_b32_e64 v12, v36, 1, s[0:1]
.LBB40_115:
	s_or_b64 exec, exec, s[34:35]
	v_add_u32_e32 v13, -1, v44
	v_and_b32_e32 v20, 64, v44
	v_cmp_lt_i32_e64 s[0:1], v13, v20
	v_cmp_eq_u32_e64 s[34:35], 0, v44
	s_nop 0
	v_cndmask_b32_e64 v13, v13, v44, s[0:1]
	v_lshlrev_b32_e32 v13, 2, v13
	ds_bpermute_b32 v37, v13, v8
	ds_bpermute_b32 v40, v13, v9
	;; [unrolled: 1-line block ×3, first 2 shown]
	s_and_saveexec_b64 s[50:51], vcc
	s_cbranch_execz .LBB40_158
; %bb.116:
	v_mov_b32_e32 v13, 0
	ds_read2_b64 v[48:51], v13 offset0:6 offset1:7
	s_and_saveexec_b64 s[0:1], s[34:35]
	s_cbranch_execz .LBB40_118
; %bb.117:
	s_add_i32 s52, s47, 64
	s_mov_b32 s53, 0
	s_lshl_b64 s[56:57], s[52:53], 4
	s_add_u32 s56, s40, s56
	s_addc_u32 s57, s41, s57
	v_mov_b32_e32 v8, s52
	v_mov_b32_e32 v9, 1
	s_waitcnt lgkmcnt(0)
	global_store_dword v13, v48, s[56:57] sc1
	global_store_dword v13, v49, s[56:57] offset:4 sc1
	global_store_dword v13, v50, s[56:57] offset:8 sc1
	global_store_dword v13, v51, s[56:57] offset:12 sc1
	s_waitcnt vmcnt(0)
	global_store_byte v8, v9, s[44:45] sc1
.LBB40_118:
	s_or_b64 exec, exec, s[0:1]
	v_xad_u32 v8, v44, -1, s47
	v_add_u32_e32 v12, 64, v8
	global_load_ubyte v45, v12, s[44:45] sc1
	s_waitcnt vmcnt(0)
	v_cmp_eq_u16_e32 vcc, 0, v45
	s_and_saveexec_b64 s[0:1], vcc
	s_cbranch_execz .LBB40_122
; %bb.119:
	v_lshl_add_u64 v[20:21], s[44:45], 0, v[12:13]
	s_mov_b64 s[52:53], 0
.LBB40_120:                             ; =>This Inner Loop Header: Depth=1
	global_load_ubyte v45, v[20:21], off sc1
	s_waitcnt vmcnt(0)
	v_cmp_ne_u16_e32 vcc, 0, v45
	s_or_b64 s[52:53], vcc, s[52:53]
	s_andn2_b64 exec, exec, s[52:53]
	s_cbranch_execnz .LBB40_120
; %bb.121:
	s_or_b64 exec, exec, s[52:53]
.LBB40_122:
	s_or_b64 exec, exec, s[0:1]
	v_mov_b32_e32 v9, s43
	v_mov_b32_e32 v20, s41
	v_cmp_eq_u16_e32 vcc, 1, v45
	s_waitcnt vmcnt(0) lgkmcnt(0)
	s_nop 0
	v_cndmask_b32_e32 v21, v9, v20, vcc
	v_mov_b32_e32 v9, s42
	v_mov_b32_e32 v20, s40
	v_cndmask_b32_e32 v20, v9, v20, vcc
	v_lshl_add_u64 v[12:13], v[12:13], 4, v[20:21]
	global_load_dword v24, v[12:13], off sc1
	global_load_dword v25, v[12:13], off offset:4 sc1
	global_load_dword v64, v[12:13], off offset:8 sc1
	;; [unrolled: 1-line block ×3, first 2 shown]
	v_cmp_eq_u16_e32 vcc, 2, v45
	v_lshlrev_b64 v[12:13], v44, -1
	v_and_b32_e32 v51, 63, v44
	s_waitcnt vmcnt(0)
	v_and_b32_e32 v9, vcc_hi, v13
	v_and_b32_e32 v55, vcc_lo, v12
	v_cmp_ne_u32_e32 vcc, 63, v51
	v_or_b32_e32 v9, 0x80000000, v9
	v_ffbl_b32_e32 v9, v9
	v_addc_co_u32_e32 v20, vcc, 0, v44, vcc
	v_lshlrev_b32_e32 v52, 2, v20
	v_add_u32_e32 v9, 32, v9
	v_ffbl_b32_e32 v55, v55
	v_min_u32_e32 v9, v55, v9
	v_cmp_lt_u32_e32 vcc, v51, v9
	ds_bpermute_b32 v53, v52, v24
	ds_bpermute_b32 v54, v52, v25
	v_and_b32_e32 v20, 0xff, v64
	ds_bpermute_b32 v21, v52, v20
	s_and_saveexec_b64 s[0:1], vcc
	s_cbranch_execz .LBB40_124
; %bb.123:
	v_mov_b32_e32 v20, 0
	v_cmp_eq_u16_sdwa vcc, v64, v20 src0_sel:BYTE_0 src1_sel:DWORD
	s_waitcnt lgkmcnt(0)
	v_or_b32_e32 v20, v21, v64
	v_and_b32_e32 v64, 1, v20
	v_cndmask_b32_e32 v55, 0, v54, vcc
	v_cndmask_b32_e32 v54, 0, v53, vcc
	v_lshl_add_u64 v[24:25], v[54:55], 0, v[24:25]
	v_and_b32_e32 v20, 1, v20
.LBB40_124:
	s_or_b64 exec, exec, s[0:1]
	v_cmp_gt_u32_e32 vcc, 62, v51
	s_waitcnt lgkmcnt(1)
	v_add_u32_e32 v54, 2, v51
	s_waitcnt lgkmcnt(0)
	v_cndmask_b32_e64 v21, 0, 1, vcc
	v_lshlrev_b32_e32 v21, 1, v21
	v_add_lshl_u32 v53, v21, v44, 2
	ds_bpermute_b32 v55, v53, v24
	ds_bpermute_b32 v56, v53, v25
	ds_bpermute_b32 v21, v53, v20
	v_cmp_le_u32_e32 vcc, v54, v9
	s_and_saveexec_b64 s[52:53], vcc
	s_cbranch_execz .LBB40_126
; %bb.125:
	v_mov_b32_e32 v20, 0
	v_cmp_eq_u16_sdwa vcc, v64, v20 src0_sel:BYTE_0 src1_sel:DWORD
	v_and_b32_e32 v20, 1, v64
	s_waitcnt lgkmcnt(1)
	v_cndmask_b32_e32 v57, 0, v56, vcc
	v_cndmask_b32_e32 v56, 0, v55, vcc
	v_cmp_eq_u32_e32 vcc, 1, v20
	s_waitcnt lgkmcnt(0)
	v_and_b32_e32 v20, 1, v21
	v_cmp_eq_u32_e64 s[0:1], 1, v20
	s_or_b64 s[0:1], vcc, s[0:1]
	v_lshl_add_u64 v[24:25], v[56:57], 0, v[24:25]
	v_cndmask_b32_e64 v64, 0, 1, s[0:1]
	v_cndmask_b32_e64 v20, 0, 1, s[0:1]
.LBB40_126:
	s_or_b64 exec, exec, s[52:53]
	v_cmp_gt_u32_e32 vcc, 60, v51
	s_waitcnt lgkmcnt(1)
	v_add_u32_e32 v56, 4, v51
	s_waitcnt lgkmcnt(0)
	v_cndmask_b32_e64 v21, 0, 1, vcc
	v_lshlrev_b32_e32 v21, 2, v21
	v_add_lshl_u32 v55, v21, v44, 2
	ds_bpermute_b32 v57, v55, v24
	ds_bpermute_b32 v58, v55, v25
	ds_bpermute_b32 v21, v55, v20
	v_cmp_le_u32_e32 vcc, v56, v9
	s_and_saveexec_b64 s[52:53], vcc
	s_cbranch_execz .LBB40_128
; %bb.127:
	v_mov_b32_e32 v20, 0
	v_cmp_eq_u16_sdwa vcc, v64, v20 src0_sel:BYTE_0 src1_sel:DWORD
	v_and_b32_e32 v20, 1, v64
	s_waitcnt lgkmcnt(1)
	v_cndmask_b32_e32 v59, 0, v58, vcc
	v_cndmask_b32_e32 v58, 0, v57, vcc
	v_cmp_eq_u32_e32 vcc, 1, v20
	s_waitcnt lgkmcnt(0)
	v_and_b32_e32 v20, 1, v21
	v_cmp_eq_u32_e64 s[0:1], 1, v20
	s_or_b64 s[0:1], vcc, s[0:1]
	v_lshl_add_u64 v[24:25], v[58:59], 0, v[24:25]
	v_cndmask_b32_e64 v64, 0, 1, s[0:1]
	v_cndmask_b32_e64 v20, 0, 1, s[0:1]
.LBB40_128:
	s_or_b64 exec, exec, s[52:53]
	v_cmp_gt_u32_e32 vcc, 56, v51
	s_waitcnt lgkmcnt(1)
	v_add_u32_e32 v58, 8, v51
	s_waitcnt lgkmcnt(0)
	v_cndmask_b32_e64 v21, 0, 1, vcc
	v_lshlrev_b32_e32 v21, 3, v21
	v_add_lshl_u32 v57, v21, v44, 2
	ds_bpermute_b32 v59, v57, v24
	ds_bpermute_b32 v60, v57, v25
	ds_bpermute_b32 v21, v57, v20
	v_cmp_le_u32_e32 vcc, v58, v9
	s_and_saveexec_b64 s[52:53], vcc
	s_cbranch_execz .LBB40_130
; %bb.129:
	v_mov_b32_e32 v20, 0
	v_cmp_eq_u16_sdwa vcc, v64, v20 src0_sel:BYTE_0 src1_sel:DWORD
	v_and_b32_e32 v20, 1, v64
	s_waitcnt lgkmcnt(1)
	v_cndmask_b32_e32 v61, 0, v60, vcc
	v_cndmask_b32_e32 v60, 0, v59, vcc
	v_cmp_eq_u32_e32 vcc, 1, v20
	s_waitcnt lgkmcnt(0)
	v_and_b32_e32 v20, 1, v21
	v_cmp_eq_u32_e64 s[0:1], 1, v20
	s_or_b64 s[0:1], vcc, s[0:1]
	v_lshl_add_u64 v[24:25], v[60:61], 0, v[24:25]
	v_cndmask_b32_e64 v64, 0, 1, s[0:1]
	v_cndmask_b32_e64 v20, 0, 1, s[0:1]
.LBB40_130:
	s_or_b64 exec, exec, s[52:53]
	v_cmp_gt_u32_e32 vcc, 48, v51
	s_waitcnt lgkmcnt(1)
	v_add_u32_e32 v60, 16, v51
	s_waitcnt lgkmcnt(0)
	v_cndmask_b32_e64 v21, 0, 1, vcc
	v_lshlrev_b32_e32 v21, 4, v21
	v_add_lshl_u32 v59, v21, v44, 2
	ds_bpermute_b32 v61, v59, v24
	ds_bpermute_b32 v62, v59, v25
	ds_bpermute_b32 v21, v59, v20
	v_cmp_le_u32_e32 vcc, v60, v9
	s_and_saveexec_b64 s[52:53], vcc
	s_cbranch_execz .LBB40_132
; %bb.131:
	v_mov_b32_e32 v20, 0
	v_cmp_eq_u16_sdwa vcc, v64, v20 src0_sel:BYTE_0 src1_sel:DWORD
	v_and_b32_e32 v20, 1, v64
	s_waitcnt lgkmcnt(1)
	v_cndmask_b32_e32 v63, 0, v62, vcc
	v_cndmask_b32_e32 v62, 0, v61, vcc
	v_cmp_eq_u32_e32 vcc, 1, v20
	s_waitcnt lgkmcnt(0)
	v_and_b32_e32 v20, 1, v21
	v_cmp_eq_u32_e64 s[0:1], 1, v20
	s_or_b64 s[0:1], vcc, s[0:1]
	v_lshl_add_u64 v[24:25], v[62:63], 0, v[24:25]
	v_cndmask_b32_e64 v64, 0, 1, s[0:1]
	v_cndmask_b32_e64 v20, 0, 1, s[0:1]
.LBB40_132:
	s_or_b64 exec, exec, s[52:53]
	v_cmp_gt_u32_e32 vcc, 32, v51
	s_waitcnt lgkmcnt(1)
	v_add_u32_e32 v62, 32, v51
	s_waitcnt lgkmcnt(0)
	v_cndmask_b32_e64 v21, 0, 1, vcc
	v_lshlrev_b32_e32 v21, 5, v21
	v_add_lshl_u32 v61, v21, v44, 2
	ds_bpermute_b32 v21, v61, v24
	ds_bpermute_b32 v44, v61, v25
	;; [unrolled: 1-line block ×3, first 2 shown]
	v_cmp_le_u32_e32 vcc, v62, v9
	s_and_saveexec_b64 s[52:53], vcc
	s_cbranch_execz .LBB40_134
; %bb.133:
	v_mov_b32_e32 v9, 0
	v_cmp_eq_u16_sdwa vcc, v64, v9 src0_sel:BYTE_0 src1_sel:DWORD
	v_and_b32_e32 v9, 1, v64
	s_waitcnt lgkmcnt(1)
	v_cndmask_b32_e32 v67, 0, v44, vcc
	v_cndmask_b32_e32 v66, 0, v21, vcc
	v_cmp_eq_u32_e32 vcc, 1, v9
	s_waitcnt lgkmcnt(0)
	v_and_b32_e32 v9, 1, v20
	v_cmp_eq_u32_e64 s[0:1], 1, v9
	s_or_b64 s[0:1], vcc, s[0:1]
	v_lshl_add_u64 v[24:25], v[66:67], 0, v[24:25]
	v_cndmask_b32_e64 v64, 0, 1, s[0:1]
.LBB40_134:
	s_or_b64 exec, exec, s[52:53]
	v_mov_b32_e32 v9, 0
	v_mov_b32_e32 v63, 2
	s_branch .LBB40_136
.LBB40_135:                             ;   in Loop: Header=BB40_136 Depth=1
	s_or_b64 exec, exec, s[56:57]
	v_cmp_eq_u16_sdwa vcc, v44, v9 src0_sel:BYTE_0 src1_sel:DWORD
	v_and_b32_e32 v64, 1, v44
	v_subrev_u32_e32 v8, 64, v8
	v_cndmask_b32_e32 v25, 0, v25, vcc
	v_cndmask_b32_e32 v24, 0, v24, vcc
	v_cmp_eq_u32_e32 vcc, 1, v64
	s_or_b64 s[0:1], vcc, s[52:53]
	v_lshl_add_u64 v[24:25], v[24:25], 0, v[20:21]
	v_cndmask_b32_e64 v64, 0, 1, s[0:1]
.LBB40_136:                             ; =>This Loop Header: Depth=1
                                        ;     Child Loop BB40_139 Depth 2
	v_cmp_ne_u16_sdwa s[0:1], v45, v63 src0_sel:BYTE_0 src1_sel:DWORD
	s_waitcnt lgkmcnt(1)
	v_mov_b32_e32 v44, v64
	s_waitcnt lgkmcnt(0)
	v_cndmask_b32_e64 v20, 0, 1, s[0:1]
	;;#ASMSTART
	;;#ASMEND
	s_nop 0
	v_cmp_ne_u32_e32 vcc, 0, v20
	s_cmp_lg_u64 vcc, exec
	v_mov_b64_e32 v[20:21], v[24:25]
	s_cbranch_scc1 .LBB40_153
; %bb.137:                              ;   in Loop: Header=BB40_136 Depth=1
	global_load_ubyte v45, v8, s[44:45] sc1
	s_waitcnt vmcnt(0)
	v_cmp_eq_u16_e32 vcc, 0, v45
	s_and_saveexec_b64 s[0:1], vcc
	s_cbranch_execz .LBB40_141
; %bb.138:                              ;   in Loop: Header=BB40_136 Depth=1
	v_lshl_add_u64 v[24:25], s[44:45], 0, v[8:9]
	s_mov_b64 s[52:53], 0
.LBB40_139:                             ;   Parent Loop BB40_136 Depth=1
                                        ; =>  This Inner Loop Header: Depth=2
	global_load_ubyte v45, v[24:25], off sc1
	s_waitcnt vmcnt(0)
	v_cmp_ne_u16_e32 vcc, 0, v45
	s_or_b64 s[52:53], vcc, s[52:53]
	s_andn2_b64 exec, exec, s[52:53]
	s_cbranch_execnz .LBB40_139
; %bb.140:                              ;   in Loop: Header=BB40_136 Depth=1
	s_or_b64 exec, exec, s[52:53]
.LBB40_141:                             ;   in Loop: Header=BB40_136 Depth=1
	s_or_b64 exec, exec, s[0:1]
	v_mov_b32_e32 v24, s43
	v_mov_b32_e32 v25, s41
	v_cmp_eq_u16_e32 vcc, 1, v45
	v_mov_b32_e32 v64, s40
	s_waitcnt vmcnt(0)
	v_cndmask_b32_e32 v25, v24, v25, vcc
	v_mov_b32_e32 v24, s42
	v_cndmask_b32_e32 v24, v24, v64, vcc
	v_lshl_add_u64 v[66:67], v[8:9], 4, v[24:25]
	global_load_dword v24, v[66:67], off sc1
	global_load_dword v25, v[66:67], off offset:4 sc1
	global_load_dword v64, v[66:67], off offset:8 sc1
	;; [unrolled: 1-line block ×3, first 2 shown]
	v_cmp_eq_u16_e32 vcc, 2, v45
	s_waitcnt vmcnt(3)
	ds_bpermute_b32 v68, v52, v24
	s_waitcnt vmcnt(0)
	v_and_b32_e32 v65, vcc_hi, v13
	v_and_b32_e32 v66, 0xff, v64
	v_or_b32_e32 v65, 0x80000000, v65
	ds_bpermute_b32 v69, v52, v25
	ds_bpermute_b32 v67, v52, v66
	v_and_b32_e32 v70, vcc_lo, v12
	v_ffbl_b32_e32 v65, v65
	v_add_u32_e32 v65, 32, v65
	v_ffbl_b32_e32 v70, v70
	v_min_u32_e32 v65, v70, v65
	v_cmp_lt_u32_e32 vcc, v51, v65
	s_and_saveexec_b64 s[0:1], vcc
	s_cbranch_execz .LBB40_143
; %bb.142:                              ;   in Loop: Header=BB40_136 Depth=1
	v_cmp_eq_u16_sdwa vcc, v64, v9 src0_sel:BYTE_0 src1_sel:DWORD
	s_waitcnt lgkmcnt(0)
	v_or_b32_e32 v66, v67, v64
	v_and_b32_e32 v64, 1, v66
	v_cndmask_b32_e32 v69, 0, v69, vcc
	v_cndmask_b32_e32 v68, 0, v68, vcc
	v_lshl_add_u64 v[24:25], v[68:69], 0, v[24:25]
	v_and_b32_e32 v66, 1, v66
.LBB40_143:                             ;   in Loop: Header=BB40_136 Depth=1
	s_or_b64 exec, exec, s[0:1]
	s_waitcnt lgkmcnt(2)
	ds_bpermute_b32 v68, v53, v24
	s_waitcnt lgkmcnt(2)
	ds_bpermute_b32 v69, v53, v25
	;; [unrolled: 2-line block ×3, first 2 shown]
	v_and_b32_e32 v70, 1, v64
	v_cmp_le_u32_e32 vcc, v54, v65
	v_cmp_eq_u32_e64 s[52:53], 1, v70
	s_and_saveexec_b64 s[0:1], vcc
	s_cbranch_execz .LBB40_145
; %bb.144:                              ;   in Loop: Header=BB40_136 Depth=1
	v_cmp_eq_u16_sdwa vcc, v64, v9 src0_sel:BYTE_0 src1_sel:DWORD
	s_waitcnt lgkmcnt(0)
	v_and_b32_e32 v64, 1, v67
	v_cndmask_b32_e32 v69, 0, v69, vcc
	v_cndmask_b32_e32 v68, 0, v68, vcc
	v_cmp_eq_u32_e32 vcc, 1, v64
	s_or_b64 s[56:57], s[52:53], vcc
	v_cndmask_b32_e64 v64, 0, 1, s[56:57]
	v_cndmask_b32_e64 v66, 0, 1, s[56:57]
	s_andn2_b64 s[52:53], s[52:53], exec
	s_and_b64 s[56:57], s[56:57], exec
	v_lshl_add_u64 v[24:25], v[68:69], 0, v[24:25]
	s_or_b64 s[52:53], s[52:53], s[56:57]
.LBB40_145:                             ;   in Loop: Header=BB40_136 Depth=1
	s_or_b64 exec, exec, s[0:1]
	s_waitcnt lgkmcnt(2)
	ds_bpermute_b32 v68, v55, v24
	s_waitcnt lgkmcnt(2)
	ds_bpermute_b32 v69, v55, v25
	s_waitcnt lgkmcnt(2)
	ds_bpermute_b32 v67, v55, v66
	v_cmp_le_u32_e32 vcc, v56, v65
	s_and_saveexec_b64 s[56:57], vcc
	s_cbranch_execz .LBB40_147
; %bb.146:                              ;   in Loop: Header=BB40_136 Depth=1
	v_cmp_eq_u16_sdwa vcc, v64, v9 src0_sel:BYTE_0 src1_sel:DWORD
	v_and_b32_e32 v64, 1, v64
	s_andn2_b64 s[52:53], s[52:53], exec
	s_waitcnt lgkmcnt(1)
	v_cndmask_b32_e32 v69, 0, v69, vcc
	v_cndmask_b32_e32 v68, 0, v68, vcc
	v_cmp_eq_u32_e32 vcc, 1, v64
	s_waitcnt lgkmcnt(0)
	v_and_b32_e32 v64, 1, v67
	v_cmp_eq_u32_e64 s[0:1], 1, v64
	s_or_b64 s[0:1], vcc, s[0:1]
	v_lshl_add_u64 v[24:25], v[68:69], 0, v[24:25]
	v_cndmask_b32_e64 v64, 0, 1, s[0:1]
	v_cndmask_b32_e64 v66, 0, 1, s[0:1]
	s_and_b64 s[0:1], s[0:1], exec
	s_or_b64 s[52:53], s[52:53], s[0:1]
.LBB40_147:                             ;   in Loop: Header=BB40_136 Depth=1
	s_or_b64 exec, exec, s[56:57]
	s_waitcnt lgkmcnt(2)
	ds_bpermute_b32 v68, v57, v24
	s_waitcnt lgkmcnt(2)
	ds_bpermute_b32 v69, v57, v25
	s_waitcnt lgkmcnt(2)
	ds_bpermute_b32 v67, v57, v66
	v_cmp_le_u32_e32 vcc, v58, v65
	s_and_saveexec_b64 s[56:57], vcc
	s_cbranch_execz .LBB40_149
; %bb.148:                              ;   in Loop: Header=BB40_136 Depth=1
	v_cmp_eq_u16_sdwa vcc, v64, v9 src0_sel:BYTE_0 src1_sel:DWORD
	v_and_b32_e32 v64, 1, v64
	s_andn2_b64 s[52:53], s[52:53], exec
	s_waitcnt lgkmcnt(1)
	v_cndmask_b32_e32 v69, 0, v69, vcc
	v_cndmask_b32_e32 v68, 0, v68, vcc
	v_cmp_eq_u32_e32 vcc, 1, v64
	s_waitcnt lgkmcnt(0)
	v_and_b32_e32 v64, 1, v67
	v_cmp_eq_u32_e64 s[0:1], 1, v64
	s_or_b64 s[0:1], vcc, s[0:1]
	v_lshl_add_u64 v[24:25], v[68:69], 0, v[24:25]
	v_cndmask_b32_e64 v64, 0, 1, s[0:1]
	v_cndmask_b32_e64 v66, 0, 1, s[0:1]
	s_and_b64 s[0:1], s[0:1], exec
	s_or_b64 s[52:53], s[52:53], s[0:1]
.LBB40_149:                             ;   in Loop: Header=BB40_136 Depth=1
	;; [unrolled: 28-line block ×3, first 2 shown]
	s_or_b64 exec, exec, s[56:57]
	s_waitcnt lgkmcnt(0)
	ds_bpermute_b32 v67, v61, v24
	ds_bpermute_b32 v68, v61, v25
	ds_bpermute_b32 v66, v61, v66
	v_cmp_le_u32_e32 vcc, v62, v65
	s_and_saveexec_b64 s[56:57], vcc
	s_cbranch_execz .LBB40_135
; %bb.152:                              ;   in Loop: Header=BB40_136 Depth=1
	v_cmp_eq_u16_sdwa vcc, v64, v9 src0_sel:BYTE_0 src1_sel:DWORD
	v_and_b32_e32 v64, 1, v64
	s_andn2_b64 s[52:53], s[52:53], exec
	s_waitcnt lgkmcnt(1)
	v_cndmask_b32_e32 v69, 0, v68, vcc
	v_cndmask_b32_e32 v68, 0, v67, vcc
	v_cmp_eq_u32_e32 vcc, 1, v64
	s_waitcnt lgkmcnt(0)
	v_and_b32_e32 v64, 1, v66
	v_cmp_eq_u32_e64 s[0:1], 1, v64
	s_or_b64 s[0:1], vcc, s[0:1]
	s_and_b64 s[0:1], s[0:1], exec
	v_lshl_add_u64 v[24:25], v[68:69], 0, v[24:25]
	s_or_b64 s[52:53], s[52:53], s[0:1]
	s_branch .LBB40_135
.LBB40_153:                             ;   in Loop: Header=BB40_136 Depth=1
                                        ; implicit-def: $vgpr64
                                        ; implicit-def: $vgpr24_vgpr25
                                        ; implicit-def: $vgpr45
	s_cbranch_execz .LBB40_136
; %bb.154:
	s_and_saveexec_b64 s[0:1], s[34:35]
	s_cbranch_execz .LBB40_156
; %bb.155:
	s_mov_b32 s41, 0
	v_mov_b32_e32 v12, 0
	s_add_i32 s40, s47, 64
	v_cmp_eq_u32_sdwa vcc, v50, v12 src0_sel:BYTE_0 src1_sel:DWORD
	s_lshl_b64 s[52:53], s[40:41], 4
	v_and_b32_e32 v13, 1, v50
	v_cndmask_b32_e32 v9, 0, v21, vcc
	v_cndmask_b32_e32 v8, 0, v20, vcc
	s_add_u32 s52, s42, s52
	v_lshl_add_u64 v[8:9], v[8:9], 0, v[48:49]
	v_and_b32_e32 v24, 1, v44
	v_cmp_eq_u32_e32 vcc, 1, v13
	s_addc_u32 s53, s43, s53
	s_nop 0
	v_cndmask_b32_e64 v13, v24, 1, vcc
	global_store_dword v12, v8, s[52:53] sc1
	global_store_dword v12, v9, s[52:53] offset:4 sc1
	global_store_dword v12, v13, s[52:53] offset:8 sc1
	;; [unrolled: 1-line block ×3, first 2 shown]
	v_mov_b32_e32 v8, s40
	v_mov_b32_e32 v9, 2
	s_waitcnt vmcnt(0) lgkmcnt(0)
	global_store_byte v8, v9, s[44:45] sc1
.LBB40_156:
	s_or_b64 exec, exec, s[0:1]
	s_and_b64 exec, exec, s[36:37]
	s_cbranch_execz .LBB40_158
; %bb.157:
	v_mov_b32_e32 v8, 0
	ds_write_b64 v8, v[20:21] offset:48
	ds_write_b8 v8, v44 offset:56
.LBB40_158:
	s_or_b64 exec, exec, s[50:51]
	s_waitcnt lgkmcnt(0)
	v_cndmask_b32_e64 v8, v41, v36, s[34:35]
	v_mov_b32_e32 v13, 0
	v_cndmask_b32_e64 v9, v40, v5, s[34:35]
	v_cndmask_b32_e64 v12, v37, v4, s[34:35]
	v_cmp_eq_u16_sdwa vcc, v1, v13 src0_sel:BYTE_0 src1_sel:DWORD
	v_and_b32_e32 v20, 1, v1
	v_and_b32_e32 v8, 1, v8
	s_barrier
	ds_read_b64 v[4:5], v13 offset:48
	v_cndmask_b32_e32 v12, 0, v12, vcc
	v_cndmask_b32_e32 v9, 0, v9, vcc
	v_cmp_eq_u32_e32 vcc, 1, v20
	v_cmp_eq_u32_e64 s[0:1], 1, v8
	s_or_b64 s[0:1], vcc, s[0:1]
	v_cndmask_b32_e64 v9, v9, 0, s[36:37]
	v_cndmask_b32_e64 v8, 0, 1, s[0:1]
	;; [unrolled: 1-line block ×4, first 2 shown]
	v_cmp_eq_u16_sdwa vcc, v20, v13 src0_sel:BYTE_0 src1_sel:DWORD
	v_lshl_add_u64 v[8:9], v[8:9], 0, v[2:3]
	s_waitcnt lgkmcnt(0)
	v_cndmask_b32_e32 v5, 0, v5, vcc
	v_cndmask_b32_e32 v4, 0, v4, vcc
	v_lshl_add_u64 v[48:49], v[8:9], 0, v[4:5]
	v_cndmask_b32_e64 v5, 0, v49, s[6:7]
	v_cndmask_b32_e64 v4, 0, v48, s[6:7]
	v_lshl_add_u64 v[50:51], v[4:5], 0, v[14:15]
	v_cndmask_b32_e64 v5, 0, v51, s[8:9]
	v_cndmask_b32_e64 v4, 0, v50, s[8:9]
	;; [unrolled: 3-line block ×13, first 2 shown]
	v_lshl_add_u64 v[74:75], v[4:5], 0, v[16:17]
	s_branch .LBB40_189
.LBB40_159:
                                        ; implicit-def: $vgpr74_vgpr75
                                        ; implicit-def: $vgpr70_vgpr71
                                        ; implicit-def: $vgpr66_vgpr67
                                        ; implicit-def: $vgpr62_vgpr63
                                        ; implicit-def: $vgpr58_vgpr59
                                        ; implicit-def: $vgpr54_vgpr55
                                        ; implicit-def: $vgpr50_vgpr51
	s_cbranch_execz .LBB40_189
; %bb.160:
	s_cmp_lg_u64 s[64:65], 0
	s_cselect_b32 s7, s59, 0
	s_cselect_b32 s6, s58, 0
	s_cmp_lg_u64 s[6:7], 0
	s_cselect_b64 s[0:1], -1, 0
	s_and_b64 s[8:9], s[36:37], s[0:1]
	s_and_saveexec_b64 s[0:1], s[8:9]
	s_cbranch_execz .LBB40_162
; %bb.161:
	v_mov_b32_e32 v8, 0
	global_load_dwordx2 v[4:5], v8, s[6:7]
	global_load_ubyte v9, v8, s[6:7] offset:8
	v_cmp_eq_u16_sdwa vcc, v1, v8 src0_sel:BYTE_0 src1_sel:DWORD
	s_waitcnt vmcnt(0)
	v_or_b32_e32 v1, v1, v9
	v_cndmask_b32_e32 v5, 0, v5, vcc
	v_cndmask_b32_e32 v4, 0, v4, vcc
	v_lshl_add_u64 v[2:3], v[4:5], 0, v[2:3]
	v_and_b32_e32 v1, 1, v1
.LBB40_162:
	s_or_b64 exec, exec, s[0:1]
	v_mov_b32_e32 v9, 0
	v_cmp_eq_u16_sdwa vcc, v82, v9 src0_sel:BYTE_0 src1_sel:DWORD
	v_cmp_eq_u16_sdwa s[6:7], v81, v9 src0_sel:BYTE_0 src1_sel:DWORD
	v_cmp_eq_u16_sdwa s[8:9], v83, v9 src0_sel:BYTE_0 src1_sel:DWORD
	v_cndmask_b32_e32 v5, 0, v3, vcc
	v_cndmask_b32_e32 v4, 0, v2, vcc
	v_lshl_add_u64 v[50:51], v[4:5], 0, v[14:15]
	v_cndmask_b32_e64 v5, 0, v51, s[6:7]
	v_cndmask_b32_e64 v4, 0, v50, s[6:7]
	v_lshl_add_u64 v[52:53], v[4:5], 0, v[6:7]
	v_cndmask_b32_e64 v5, 0, v53, s[8:9]
	v_cndmask_b32_e64 v4, 0, v52, s[8:9]
	v_lshl_add_u64 v[54:55], v[4:5], 0, v[22:23]
	v_cmp_eq_u16_sdwa s[10:11], v84, v9 src0_sel:BYTE_0 src1_sel:DWORD
	v_cmp_eq_u16_sdwa s[12:13], v85, v9 src0_sel:BYTE_0 src1_sel:DWORD
	v_cmp_eq_u16_sdwa s[14:15], v86, v9 src0_sel:BYTE_0 src1_sel:DWORD
	v_cndmask_b32_e64 v5, 0, v55, s[10:11]
	v_cndmask_b32_e64 v4, 0, v54, s[10:11]
	v_lshl_add_u64 v[56:57], v[4:5], 0, v[10:11]
	v_cndmask_b32_e64 v5, 0, v57, s[12:13]
	v_cndmask_b32_e64 v4, 0, v56, s[12:13]
	v_lshl_add_u64 v[58:59], v[4:5], 0, v[30:31]
	v_cndmask_b32_e64 v5, 0, v59, s[14:15]
	v_cndmask_b32_e64 v4, 0, v58, s[14:15]
	v_lshl_add_u64 v[60:61], v[4:5], 0, v[18:19]
	v_cmp_eq_u16_sdwa s[16:17], v87, v9 src0_sel:BYTE_0 src1_sel:DWORD
	v_cmp_eq_u16_sdwa s[18:19], v88, v9 src0_sel:BYTE_0 src1_sel:DWORD
	v_cmp_eq_u16_sdwa s[20:21], v89, v9 src0_sel:BYTE_0 src1_sel:DWORD
	v_cndmask_b32_e64 v5, 0, v61, s[16:17]
	v_cndmask_b32_e64 v4, 0, v60, s[16:17]
	;; [unrolled: 12-line block ×3, first 2 shown]
	v_lshl_add_u64 v[68:69], v[4:5], 0, v[34:35]
	v_cndmask_b32_e64 v5, 0, v69, s[24:25]
	v_cndmask_b32_e64 v4, 0, v68, s[24:25]
	v_lshl_add_u64 v[70:71], v[4:5], 0, v[46:47]
	v_cndmask_b32_e64 v5, 0, v71, s[26:27]
	v_cndmask_b32_e64 v4, 0, v70, s[26:27]
	v_lshl_add_u64 v[72:73], v[4:5], 0, v[78:79]
	v_cmp_eq_u16_sdwa s[28:29], v33, v9 src0_sel:BYTE_0 src1_sel:DWORD
	v_and_b32_e32 v8, 0xff, v1
	v_mbcnt_hi_u32_b32 v12, -1, v28
	v_cndmask_b32_e64 v5, 0, v73, s[28:29]
	v_cndmask_b32_e64 v4, 0, v72, s[28:29]
	v_lshl_add_u64 v[74:75], v[4:5], 0, v[16:17]
	v_or_b32_e32 v4, v29, v90
	v_or_b32_e32 v4, v4, v89
	v_or_b32_e32 v4, v4, v88
	v_or_b32_e32 v4, v4, v87
	v_or_b32_e32 v4, v4, v86
	v_or_b32_e32 v4, v4, v85
	v_or_b32_e32 v4, v4, v84
	v_or_b32_e32 v4, v4, v83
	v_or_b32_e32 v4, v4, v81
	v_or_b32_e32 v4, v4, v82
	v_and_b32_e32 v4, 1, v4
	v_cmp_eq_u32_e64 s[0:1], 1, v4
	v_and_b32_e32 v20, 15, v12
	v_mov_b32_dpp v24, v74 row_shr:1 row_mask:0xf bank_mask:0xf
	v_cndmask_b32_e64 v13, v8, 1, s[0:1]
	v_mov_b32_dpp v25, v75 row_shr:1 row_mask:0xf bank_mask:0xf
	v_cmp_ne_u32_e64 s[0:1], 0, v20
	v_mov_b32_dpp v21, v13 row_shr:1 row_mask:0xf bank_mask:0xf
	v_mov_b64_e32 v[4:5], v[74:75]
	v_mov_b32_e32 v9, v75
	v_mov_b32_e32 v8, v74
	s_and_saveexec_b64 s[30:31], s[0:1]
; %bb.163:
	v_cmp_eq_u32_e64 s[0:1], 0, v13
	v_and_or_b32 v13, v21, 1, v13
	s_nop 0
	v_cndmask_b32_e64 v5, 0, v25, s[0:1]
	v_cndmask_b32_e64 v4, 0, v24, s[0:1]
	v_lshl_add_u64 v[4:5], v[74:75], 0, v[4:5]
	v_mov_b32_e32 v9, v5
	v_mov_b32_e32 v8, v4
; %bb.164:
	s_or_b64 exec, exec, s[30:31]
	s_nop 0
	v_mov_b32_dpp v24, v8 row_shr:2 row_mask:0xf bank_mask:0xf
	v_mov_b32_dpp v25, v9 row_shr:2 row_mask:0xf bank_mask:0xf
	v_mov_b32_dpp v21, v13 row_shr:2 row_mask:0xf bank_mask:0xf
	v_cmp_lt_u32_e64 s[0:1], 1, v20
	s_and_saveexec_b64 s[30:31], s[0:1]
; %bb.165:
	v_cmp_eq_u32_e64 s[0:1], 0, v13
	s_nop 1
	v_cndmask_b32_e64 v9, 0, v25, s[0:1]
	v_cndmask_b32_e64 v8, 0, v24, s[0:1]
	v_lshl_add_u64 v[8:9], v[8:9], 0, v[4:5]
	v_or_b32_e32 v4, v21, v13
	v_and_b32_e32 v13, 1, v4
	v_mov_b64_e32 v[4:5], v[8:9]
; %bb.166:
	s_or_b64 exec, exec, s[30:31]
	v_mov_b32_dpp v24, v8 row_shr:4 row_mask:0xf bank_mask:0xf
	v_mov_b32_dpp v25, v9 row_shr:4 row_mask:0xf bank_mask:0xf
	v_mov_b32_dpp v21, v13 row_shr:4 row_mask:0xf bank_mask:0xf
	v_cmp_lt_u32_e64 s[0:1], 3, v20
	s_and_saveexec_b64 s[30:31], s[0:1]
; %bb.167:
	v_cmp_eq_u32_e64 s[0:1], 0, v13
	s_nop 1
	v_cndmask_b32_e64 v9, 0, v25, s[0:1]
	v_cndmask_b32_e64 v8, 0, v24, s[0:1]
	v_lshl_add_u64 v[8:9], v[8:9], 0, v[4:5]
	v_or_b32_e32 v4, v21, v13
	v_and_b32_e32 v13, 1, v4
	v_mov_b64_e32 v[4:5], v[8:9]
; %bb.168:
	s_or_b64 exec, exec, s[30:31]
	;; [unrolled: 16-line block ×3, first 2 shown]
	v_and_b32_e32 v25, 16, v12
	v_mov_b32_dpp v21, v8 row_bcast:15 row_mask:0xf bank_mask:0xf
	v_mov_b32_dpp v24, v9 row_bcast:15 row_mask:0xf bank_mask:0xf
	;; [unrolled: 1-line block ×3, first 2 shown]
	v_cmp_ne_u32_e64 s[0:1], 0, v25
	s_and_saveexec_b64 s[30:31], s[0:1]
; %bb.171:
	v_cmp_eq_u32_e64 s[0:1], 0, v13
	s_nop 1
	v_cndmask_b32_e64 v9, 0, v24, s[0:1]
	v_cndmask_b32_e64 v8, 0, v21, s[0:1]
	v_lshl_add_u64 v[4:5], v[8:9], 0, v[4:5]
	v_or_b32_e32 v8, v20, v13
	v_and_b32_e32 v13, 1, v8
	v_mov_b32_e32 v9, v5
	v_mov_b32_e32 v8, v4
; %bb.172:
	s_or_b64 exec, exec, s[30:31]
	s_nop 0
	v_mov_b32_dpp v20, v8 row_bcast:31 row_mask:0xf bank_mask:0xf
	v_mov_b32_dpp v21, v9 row_bcast:31 row_mask:0xf bank_mask:0xf
	;; [unrolled: 1-line block ×3, first 2 shown]
	v_cmp_lt_u32_e64 s[0:1], 31, v12
	v_mov_b32_e32 v8, v13
	s_and_saveexec_b64 s[30:31], s[0:1]
; %bb.173:
	v_cmp_eq_u32_e64 s[0:1], 0, v13
	v_or_b32_e32 v9, v9, v13
	v_and_b32_e32 v8, 1, v9
	v_cndmask_b32_e64 v21, 0, v21, s[0:1]
	v_cndmask_b32_e64 v20, 0, v20, s[0:1]
	v_lshl_add_u64 v[4:5], v[20:21], 0, v[4:5]
	v_and_b32_e32 v13, 1, v9
; %bb.174:
	s_or_b64 exec, exec, s[30:31]
	v_or_b32_e32 v9, 63, v0
	v_lshrrev_b32_e32 v20, 6, v0
	v_cmp_eq_u32_e64 s[0:1], v9, v0
	s_and_saveexec_b64 s[30:31], s[0:1]
	s_cbranch_execz .LBB40_176
; %bb.175:
	v_lshlrev_b32_e32 v9, 4, v20
	ds_write_b64 v9, v[4:5]
	ds_write_b8 v9, v8 offset:8
.LBB40_176:
	s_or_b64 exec, exec, s[30:31]
	v_cmp_gt_u32_e64 s[0:1], 4, v0
	s_waitcnt lgkmcnt(0)
	s_barrier
	s_and_saveexec_b64 s[34:35], s[0:1]
	s_cbranch_execz .LBB40_182
; %bb.177:
	v_lshlrev_b32_e32 v21, 4, v0
	ds_read_b64 v[8:9], v21
	ds_read_b32 v24, v21 offset:8
	v_and_b32_e32 v25, 3, v12
	v_cmp_ne_u32_e64 s[0:1], 0, v25
	s_waitcnt lgkmcnt(1)
	v_mov_b32_dpp v36, v8 row_shr:1 row_mask:0xf bank_mask:0xf
	v_mov_b32_dpp v37, v9 row_shr:1 row_mask:0xf bank_mask:0xf
	s_waitcnt lgkmcnt(0)
	v_mov_b32_dpp v33, v24 row_shr:1 row_mask:0xf bank_mask:0xf
	v_mov_b32_e32 v28, v24
	v_mov_b32_e32 v29, v24
	s_and_saveexec_b64 s[30:31], s[0:1]
; %bb.178:
	v_mov_b32_e32 v28, 0
	v_cmp_eq_u16_sdwa s[0:1], v24, v28 src0_sel:BYTE_0 src1_sel:DWORD
	s_nop 1
	v_cndmask_b32_e64 v29, 0, v37, s[0:1]
	v_cndmask_b32_e64 v28, 0, v36, s[0:1]
	v_lshl_add_u64 v[8:9], v[28:29], 0, v[8:9]
	v_or_b32_e32 v29, v33, v24
	v_and_b32_e32 v28, 1, v29
	v_and_b32_e32 v29, 1, v29
	s_movk_i32 s0, 0xff00
	v_and_or_b32 v24, v24, s0, v29
; %bb.179:
	s_or_b64 exec, exec, s[30:31]
	v_mov_b32_dpp v33, v8 row_shr:2 row_mask:0xf bank_mask:0xf
	v_mov_b32_dpp v36, v9 row_shr:2 row_mask:0xf bank_mask:0xf
	;; [unrolled: 1-line block ×3, first 2 shown]
	v_cmp_lt_u32_e64 s[0:1], 1, v25
	s_and_saveexec_b64 s[40:41], s[0:1]
; %bb.180:
	v_mov_b32_e32 v25, 0
	v_cmp_eq_u16_sdwa s[0:1], v29, v25 src0_sel:BYTE_0 src1_sel:DWORD
	v_and_b32_e32 v25, 1, v29
	v_and_b32_e32 v24, 1, v24
	v_cndmask_b32_e64 v37, 0, v36, s[0:1]
	v_cndmask_b32_e64 v36, 0, v33, s[0:1]
	v_cmp_eq_u32_e64 s[0:1], 1, v25
	v_cmp_eq_u32_e64 s[30:31], 1, v24
	s_or_b64 s[0:1], s[0:1], s[30:31]
	v_lshl_add_u64 v[8:9], v[36:37], 0, v[8:9]
	v_cndmask_b32_e64 v28, 0, 1, s[0:1]
; %bb.181:
	s_or_b64 exec, exec, s[40:41]
	ds_write_b64 v21, v[8:9]
	ds_write_b8 v21, v28 offset:8
.LBB40_182:
	s_or_b64 exec, exec, s[34:35]
	v_cmp_lt_u32_e64 s[0:1], 63, v0
	v_mov_b64_e32 v[8:9], 0
	s_waitcnt lgkmcnt(0)
	s_barrier
	s_and_saveexec_b64 s[30:31], s[0:1]
	s_cbranch_execz .LBB40_184
; %bb.183:
	v_lshl_add_u32 v8, v20, 4, -16
	ds_read_b64 v[8:9], v8
	v_cmp_eq_u32_e64 s[0:1], 0, v13
	s_waitcnt lgkmcnt(0)
	s_nop 0
	v_cndmask_b32_e64 v21, 0, v9, s[0:1]
	v_cndmask_b32_e64 v20, 0, v8, s[0:1]
	v_lshl_add_u64 v[4:5], v[20:21], 0, v[4:5]
.LBB40_184:
	s_or_b64 exec, exec, s[30:31]
	v_add_u32_e32 v13, -1, v12
	v_and_b32_e32 v20, 64, v12
	v_cmp_lt_i32_e64 s[0:1], v13, v20
	s_nop 1
	v_cndmask_b32_e64 v13, v13, v12, s[0:1]
	v_lshlrev_b32_e32 v13, 2, v13
	ds_bpermute_b32 v4, v13, v4
	ds_bpermute_b32 v5, v13, v5
	s_and_saveexec_b64 s[30:31], s[4:5]
	s_cbranch_execz .LBB40_186
; %bb.185:
	v_cmp_eq_u32_e64 s[0:1], 0, v12
	;;#ASMSTART
	;;#ASMEND
	s_waitcnt lgkmcnt(1)
	s_nop 0
	v_cndmask_b32_e64 v4, v4, v8, s[0:1]
	v_mov_b32_e32 v8, 0
	s_waitcnt lgkmcnt(0)
	v_cndmask_b32_e64 v5, v5, v9, s[0:1]
	v_cmp_eq_u16_sdwa s[0:1], v1, v8 src0_sel:BYTE_0 src1_sel:DWORD
	s_nop 1
	v_cndmask_b32_e64 v5, 0, v5, s[0:1]
	v_cndmask_b32_e64 v4, 0, v4, s[0:1]
	v_lshl_add_u64 v[2:3], v[4:5], 0, v[2:3]
	v_cndmask_b32_e32 v5, 0, v3, vcc
	v_cndmask_b32_e32 v4, 0, v2, vcc
	v_lshl_add_u64 v[50:51], v[4:5], 0, v[14:15]
	v_cndmask_b32_e64 v5, 0, v51, s[6:7]
	v_cndmask_b32_e64 v4, 0, v50, s[6:7]
	v_lshl_add_u64 v[52:53], v[4:5], 0, v[6:7]
	v_cndmask_b32_e64 v5, 0, v53, s[8:9]
	v_cndmask_b32_e64 v4, 0, v52, s[8:9]
	;; [unrolled: 3-line block ×12, first 2 shown]
	v_lshl_add_u64 v[74:75], v[4:5], 0, v[16:17]
.LBB40_186:
	s_or_b64 exec, exec, s[30:31]
	s_and_saveexec_b64 s[0:1], s[36:37]
	s_cbranch_execz .LBB40_188
; %bb.187:
	v_mov_b32_e32 v1, 0
	s_waitcnt lgkmcnt(0)
	ds_read_b64 v[4:5], v1 offset:48
	ds_read_u8 v6, v1 offset:56
	s_waitcnt lgkmcnt(1)
	global_store_dword v1, v4, s[42:43] offset:1024 sc1
	global_store_dword v1, v5, s[42:43] offset:1028 sc1
	s_waitcnt lgkmcnt(0)
	global_store_dword v1, v6, s[42:43] offset:1032 sc1
	global_store_dword v1, v1, s[42:43] offset:1036 sc1
	v_mov_b32_e32 v4, 2
	s_waitcnt vmcnt(0)
	global_store_byte v1, v4, s[44:45] offset:64 sc1
.LBB40_188:
	s_or_b64 exec, exec, s[0:1]
	v_mov_b64_e32 v[48:49], v[2:3]
.LBB40_189:
	s_add_u32 s0, s54, s38
	s_addc_u32 s1, s55, s39
	s_add_u32 s0, s0, s48
	v_mul_u32_u24_e32 v1, 14, v0
	s_addc_u32 s1, s1, s49
	s_and_b64 vcc, exec, s[2:3]
	v_lshlrev_b32_e32 v30, 3, v1
	s_cbranch_vccz .LBB40_217
; %bb.190:
	s_movk_i32 s2, 0xff98
	v_mad_i32_i24 v1, v0, s2, v30
	s_waitcnt lgkmcnt(0)
	s_barrier
	ds_write_b128 v30, v[48:51]
	ds_write_b128 v30, v[52:55] offset:16
	ds_write_b128 v30, v[56:59] offset:32
	;; [unrolled: 1-line block ×6, first 2 shown]
	s_waitcnt lgkmcnt(0)
	s_barrier
	ds_read2st64_b64 v[26:29], v1 offset0:4 offset1:8
	ds_read2st64_b64 v[22:25], v1 offset0:12 offset1:16
	;; [unrolled: 1-line block ×6, first 2 shown]
	ds_read_b64 v[4:5], v1 offset:26624
	s_add_i32 s33, s33, s46
	v_mov_b32_e32 v33, 0
	v_lshl_add_u64 v[2:3], s[0:1], 0, v[32:33]
	v_cmp_gt_u32_e32 vcc, s33, v0
	s_and_saveexec_b64 s[2:3], vcc
	s_cbranch_execz .LBB40_192
; %bb.191:
	v_mul_i32_i24_e32 v1, 0xffffff98, v0
	v_add_u32_e32 v1, v30, v1
	ds_read_b64 v[34:35], v1
	s_waitcnt lgkmcnt(0)
	flat_store_dwordx2 v[2:3], v[34:35]
.LBB40_192:
	s_or_b64 exec, exec, s[2:3]
	v_or_b32_e32 v1, 0x100, v0
	v_cmp_gt_u32_e32 vcc, s33, v1
	s_and_saveexec_b64 s[2:3], vcc
	s_cbranch_execz .LBB40_194
; %bb.193:
	s_waitcnt lgkmcnt(0)
	flat_store_dwordx2 v[2:3], v[26:27] offset:2048
.LBB40_194:
	s_or_b64 exec, exec, s[2:3]
	v_or_b32_e32 v1, 0x200, v0
	v_cmp_gt_u32_e32 vcc, s33, v1
	s_and_saveexec_b64 s[2:3], vcc
	s_cbranch_execz .LBB40_196
; %bb.195:
	s_waitcnt lgkmcnt(0)
	v_add_co_u32_e32 v26, vcc, 0x1000, v2
	s_nop 1
	v_addc_co_u32_e32 v27, vcc, 0, v3, vcc
	flat_store_dwordx2 v[26:27], v[28:29]
.LBB40_196:
	s_or_b64 exec, exec, s[2:3]
	v_or_b32_e32 v1, 0x300, v0
	v_cmp_gt_u32_e32 vcc, s33, v1
	s_and_saveexec_b64 s[2:3], vcc
	s_cbranch_execz .LBB40_198
; %bb.197:
	s_waitcnt lgkmcnt(0)
	v_add_co_u32_e32 v26, vcc, 0x1000, v2
	s_nop 1
	v_addc_co_u32_e32 v27, vcc, 0, v3, vcc
	flat_store_dwordx2 v[26:27], v[22:23] offset:2048
.LBB40_198:
	s_or_b64 exec, exec, s[2:3]
	v_or_b32_e32 v1, 0x400, v0
	v_cmp_gt_u32_e32 vcc, s33, v1
	s_and_saveexec_b64 s[2:3], vcc
	s_cbranch_execz .LBB40_200
; %bb.199:
	s_waitcnt lgkmcnt(0)
	v_add_co_u32_e32 v22, vcc, 0x2000, v2
	s_nop 1
	v_addc_co_u32_e32 v23, vcc, 0, v3, vcc
	flat_store_dwordx2 v[22:23], v[24:25]
.LBB40_200:
	s_or_b64 exec, exec, s[2:3]
	v_or_b32_e32 v1, 0x500, v0
	v_cmp_gt_u32_e32 vcc, s33, v1
	s_and_saveexec_b64 s[2:3], vcc
	s_cbranch_execz .LBB40_202
; %bb.201:
	s_waitcnt lgkmcnt(0)
	v_add_co_u32_e32 v22, vcc, 0x2000, v2
	s_nop 1
	v_addc_co_u32_e32 v23, vcc, 0, v3, vcc
	flat_store_dwordx2 v[22:23], v[18:19] offset:2048
.LBB40_202:
	;; [unrolled: 24-line block ×5, first 2 shown]
	s_or_b64 exec, exec, s[2:3]
	v_or_b32_e32 v1, 0xc00, v0
	v_cmp_gt_u32_e32 vcc, s33, v1
	s_and_saveexec_b64 s[2:3], vcc
	s_cbranch_execz .LBB40_216
; %bb.215:
	v_add_co_u32_e32 v2, vcc, 0x6000, v2
	s_nop 1
	v_addc_co_u32_e32 v3, vcc, 0, v3, vcc
	s_waitcnt lgkmcnt(0)
	flat_store_dwordx2 v[2:3], v[8:9]
.LBB40_216:
	s_or_b64 exec, exec, s[2:3]
	v_or_b32_e32 v2, 0xd00, v0
	v_mov_b32_e32 v1, v33
	v_cmp_gt_u32_e64 s[2:3], s33, v2
	s_branch .LBB40_219
.LBB40_217:
	s_mov_b64 s[2:3], 0
                                        ; implicit-def: $vgpr4_vgpr5
	s_cbranch_execz .LBB40_219
; %bb.218:
	v_mov_b32_e32 v1, 0
	s_movk_i32 s4, 0xff98
	v_mad_i32_i24 v2, v0, s4, v30
	v_mov_b32_e32 v33, v1
	s_waitcnt lgkmcnt(0)
	s_barrier
	ds_write_b128 v30, v[48:51]
	ds_write_b128 v30, v[52:55] offset:16
	ds_write_b128 v30, v[56:59] offset:32
	ds_write_b128 v30, v[60:63] offset:48
	ds_write_b128 v30, v[64:67] offset:64
	ds_write_b128 v30, v[68:71] offset:80
	ds_write_b128 v30, v[72:75] offset:96
	s_waitcnt lgkmcnt(0)
	s_barrier
	ds_read2st64_b64 v[6:9], v2 offset1:4
	ds_read2st64_b64 v[10:13], v2 offset0:8 offset1:12
	ds_read2st64_b64 v[14:17], v2 offset0:16 offset1:20
	;; [unrolled: 1-line block ×6, first 2 shown]
	v_lshl_add_u64 v[30:31], s[0:1], 0, v[32:33]
	s_movk_i32 s4, 0x1000
	s_waitcnt lgkmcnt(0)
	flat_store_dwordx2 v[30:31], v[6:7]
	flat_store_dwordx2 v[30:31], v[8:9] offset:2048
	v_add_co_u32_e32 v6, vcc, s4, v30
	s_movk_i32 s4, 0x2000
	s_nop 0
	v_addc_co_u32_e32 v7, vcc, 0, v31, vcc
	flat_store_dwordx2 v[6:7], v[10:11]
	flat_store_dwordx2 v[6:7], v[12:13] offset:2048
	v_add_co_u32_e32 v6, vcc, s4, v30
	s_movk_i32 s4, 0x3000
	s_nop 0
	v_addc_co_u32_e32 v7, vcc, 0, v31, vcc
	;; [unrolled: 6-line block ×3, first 2 shown]
	flat_store_dwordx2 v[6:7], v[18:19]
	flat_store_dwordx2 v[6:7], v[20:21] offset:2048
	v_add_co_u32_e32 v6, vcc, s4, v30
	s_or_b64 s[2:3], s[2:3], exec
	s_nop 0
	v_addc_co_u32_e32 v7, vcc, 0, v31, vcc
	flat_store_dwordx2 v[6:7], v[22:23]
	flat_store_dwordx2 v[6:7], v[24:25] offset:2048
	v_add_co_u32_e32 v6, vcc, 0x5000, v30
	s_nop 1
	v_addc_co_u32_e32 v7, vcc, 0, v31, vcc
	flat_store_dwordx2 v[6:7], v[26:27]
	flat_store_dwordx2 v[6:7], v[28:29] offset:2048
	v_add_co_u32_e32 v6, vcc, 0x6000, v30
	s_nop 1
	v_addc_co_u32_e32 v7, vcc, 0, v31, vcc
	flat_store_dwordx2 v[6:7], v[2:3]
.LBB40_219:
	s_and_saveexec_b64 s[4:5], s[2:3]
	s_cbranch_execnz .LBB40_221
; %bb.220:
	s_endpgm
.LBB40_221:
	v_lshl_add_u64 v[0:1], v[0:1], 3, s[0:1]
	v_add_co_u32_e32 v0, vcc, 0x6000, v0
	s_nop 1
	v_addc_co_u32_e32 v1, vcc, 0, v1, vcc
	s_waitcnt lgkmcnt(0)
	flat_store_dwordx2 v[0:1], v[4:5] offset:2048
	s_endpgm
.LBB40_222:
	v_lshl_add_u64 v[30:31], s[50:51], 0, v[26:27]
	flat_load_dwordx2 v[30:31], v[30:31]
	s_or_b64 exec, exec, s[0:1]
                                        ; implicit-def: $vgpr32_vgpr33
	s_and_saveexec_b64 s[0:1], s[8:9]
	s_cbranch_execz .LBB40_41
.LBB40_223:
	v_mov_b32_e32 v27, 0
	v_lshl_add_u64 v[32:33], s[50:51], 0, v[26:27]
	flat_load_dwordx2 v[32:33], v[32:33] offset:2048
	s_or_b64 exec, exec, s[0:1]
                                        ; implicit-def: $vgpr34_vgpr35
	s_and_saveexec_b64 s[0:1], s[10:11]
	s_cbranch_execz .LBB40_42
.LBB40_224:
	v_mov_b32_e32 v3, 0
	v_lshl_add_u64 v[2:3], s[50:51], 0, v[2:3]
	flat_load_dwordx2 v[34:35], v[2:3]
	s_or_b64 exec, exec, s[0:1]
                                        ; implicit-def: $vgpr2_vgpr3
	s_and_saveexec_b64 s[0:1], s[12:13]
	s_cbranch_execz .LBB40_43
.LBB40_225:
	v_mov_b32_e32 v5, 0
	v_lshl_add_u64 v[2:3], s[50:51], 0, v[4:5]
	flat_load_dwordx2 v[2:3], v[2:3]
	s_or_b64 exec, exec, s[0:1]
                                        ; implicit-def: $vgpr4_vgpr5
	s_and_saveexec_b64 s[0:1], s[14:15]
	s_cbranch_execz .LBB40_44
.LBB40_226:
	v_mov_b32_e32 v7, 0
	v_lshl_add_u64 v[4:5], s[50:51], 0, v[6:7]
	flat_load_dwordx2 v[4:5], v[4:5]
	s_or_b64 exec, exec, s[0:1]
                                        ; implicit-def: $vgpr6_vgpr7
	s_and_saveexec_b64 s[0:1], s[16:17]
	s_cbranch_execz .LBB40_45
.LBB40_227:
	v_mov_b32_e32 v9, 0
	v_lshl_add_u64 v[6:7], s[50:51], 0, v[8:9]
	flat_load_dwordx2 v[6:7], v[6:7]
	s_or_b64 exec, exec, s[0:1]
                                        ; implicit-def: $vgpr8_vgpr9
	s_and_saveexec_b64 s[0:1], s[18:19]
	s_cbranch_execz .LBB40_46
.LBB40_228:
	v_mov_b32_e32 v11, 0
	v_lshl_add_u64 v[8:9], s[50:51], 0, v[10:11]
	flat_load_dwordx2 v[8:9], v[8:9]
	s_or_b64 exec, exec, s[0:1]
                                        ; implicit-def: $vgpr10_vgpr11
	s_and_saveexec_b64 s[0:1], s[20:21]
	s_cbranch_execz .LBB40_47
.LBB40_229:
	v_mov_b32_e32 v13, 0
	v_lshl_add_u64 v[10:11], s[50:51], 0, v[12:13]
	flat_load_dwordx2 v[10:11], v[10:11]
	s_or_b64 exec, exec, s[0:1]
                                        ; implicit-def: $vgpr12_vgpr13
	s_and_saveexec_b64 s[0:1], s[22:23]
	s_cbranch_execz .LBB40_48
.LBB40_230:
	v_mov_b32_e32 v15, 0
	v_lshl_add_u64 v[12:13], s[50:51], 0, v[14:15]
	flat_load_dwordx2 v[12:13], v[12:13]
	s_or_b64 exec, exec, s[0:1]
                                        ; implicit-def: $vgpr14_vgpr15
	s_and_saveexec_b64 s[0:1], s[24:25]
	s_cbranch_execz .LBB40_49
.LBB40_231:
	v_mov_b32_e32 v17, 0
	v_lshl_add_u64 v[14:15], s[50:51], 0, v[16:17]
	flat_load_dwordx2 v[14:15], v[14:15]
	s_or_b64 exec, exec, s[0:1]
                                        ; implicit-def: $vgpr16_vgpr17
	s_and_saveexec_b64 s[0:1], s[26:27]
	s_cbranch_execz .LBB40_50
.LBB40_232:
	v_mov_b32_e32 v19, 0
	v_lshl_add_u64 v[16:17], s[50:51], 0, v[18:19]
	flat_load_dwordx2 v[16:17], v[16:17]
	s_or_b64 exec, exec, s[0:1]
                                        ; implicit-def: $vgpr18_vgpr19
	s_and_saveexec_b64 s[0:1], s[28:29]
	s_cbranch_execz .LBB40_51
.LBB40_233:
	v_mov_b32_e32 v21, 0
	v_lshl_add_u64 v[18:19], s[50:51], 0, v[20:21]
	flat_load_dwordx2 v[18:19], v[18:19]
	s_or_b64 exec, exec, s[0:1]
                                        ; implicit-def: $vgpr20_vgpr21
	s_and_saveexec_b64 s[0:1], s[30:31]
	s_cbranch_execz .LBB40_52
.LBB40_234:
	v_mov_b32_e32 v23, 0
	v_lshl_add_u64 v[20:21], s[50:51], 0, v[22:23]
	flat_load_dwordx2 v[20:21], v[20:21]
	s_or_b64 exec, exec, s[0:1]
                                        ; implicit-def: $vgpr22_vgpr23
	s_and_saveexec_b64 s[0:1], s[34:35]
	s_cbranch_execnz .LBB40_53
	s_branch .LBB40_54
.LBB40_235:
                                        ; implicit-def: $sgpr0_sgpr1
	s_branch .LBB40_36
.LBB40_236:
                                        ; implicit-def: $sgpr0_sgpr1
	s_branch .LBB40_85
	.section	.rodata,"a",@progbits
	.p2align	6, 0x0
	.amdhsa_kernel _ZN7rocprim17ROCPRIM_400000_NS6detail17trampoline_kernelINS0_14default_configENS1_27scan_by_key_config_selectorIxxEEZZNS1_16scan_by_key_implILNS1_25lookback_scan_determinismE0ELb0ES3_N6thrust23THRUST_200600_302600_NS6detail15normal_iteratorINS9_10device_ptrIxEEEESE_SE_xNS9_4plusIvEENS9_8equal_toIvEExEE10hipError_tPvRmT2_T3_T4_T5_mT6_T7_P12ihipStream_tbENKUlT_T0_E_clISt17integral_constantIbLb0EESY_IbLb1EEEEDaSU_SV_EUlSU_E_NS1_11comp_targetILNS1_3genE5ELNS1_11target_archE942ELNS1_3gpuE9ELNS1_3repE0EEENS1_30default_config_static_selectorELNS0_4arch9wavefront6targetE1EEEvT1_
		.amdhsa_group_segment_fixed_size 32768
		.amdhsa_private_segment_fixed_size 0
		.amdhsa_kernarg_size 136
		.amdhsa_user_sgpr_count 2
		.amdhsa_user_sgpr_dispatch_ptr 0
		.amdhsa_user_sgpr_queue_ptr 0
		.amdhsa_user_sgpr_kernarg_segment_ptr 1
		.amdhsa_user_sgpr_dispatch_id 0
		.amdhsa_user_sgpr_kernarg_preload_length 0
		.amdhsa_user_sgpr_kernarg_preload_offset 0
		.amdhsa_user_sgpr_private_segment_size 0
		.amdhsa_uses_dynamic_stack 0
		.amdhsa_enable_private_segment 0
		.amdhsa_system_sgpr_workgroup_id_x 1
		.amdhsa_system_sgpr_workgroup_id_y 0
		.amdhsa_system_sgpr_workgroup_id_z 0
		.amdhsa_system_sgpr_workgroup_info 0
		.amdhsa_system_vgpr_workitem_id 0
		.amdhsa_next_free_vgpr 92
		.amdhsa_next_free_sgpr 70
		.amdhsa_accum_offset 92
		.amdhsa_reserve_vcc 1
		.amdhsa_float_round_mode_32 0
		.amdhsa_float_round_mode_16_64 0
		.amdhsa_float_denorm_mode_32 3
		.amdhsa_float_denorm_mode_16_64 3
		.amdhsa_dx10_clamp 1
		.amdhsa_ieee_mode 1
		.amdhsa_fp16_overflow 0
		.amdhsa_tg_split 0
		.amdhsa_exception_fp_ieee_invalid_op 0
		.amdhsa_exception_fp_denorm_src 0
		.amdhsa_exception_fp_ieee_div_zero 0
		.amdhsa_exception_fp_ieee_overflow 0
		.amdhsa_exception_fp_ieee_underflow 0
		.amdhsa_exception_fp_ieee_inexact 0
		.amdhsa_exception_int_div_zero 0
	.end_amdhsa_kernel
	.section	.text._ZN7rocprim17ROCPRIM_400000_NS6detail17trampoline_kernelINS0_14default_configENS1_27scan_by_key_config_selectorIxxEEZZNS1_16scan_by_key_implILNS1_25lookback_scan_determinismE0ELb0ES3_N6thrust23THRUST_200600_302600_NS6detail15normal_iteratorINS9_10device_ptrIxEEEESE_SE_xNS9_4plusIvEENS9_8equal_toIvEExEE10hipError_tPvRmT2_T3_T4_T5_mT6_T7_P12ihipStream_tbENKUlT_T0_E_clISt17integral_constantIbLb0EESY_IbLb1EEEEDaSU_SV_EUlSU_E_NS1_11comp_targetILNS1_3genE5ELNS1_11target_archE942ELNS1_3gpuE9ELNS1_3repE0EEENS1_30default_config_static_selectorELNS0_4arch9wavefront6targetE1EEEvT1_,"axG",@progbits,_ZN7rocprim17ROCPRIM_400000_NS6detail17trampoline_kernelINS0_14default_configENS1_27scan_by_key_config_selectorIxxEEZZNS1_16scan_by_key_implILNS1_25lookback_scan_determinismE0ELb0ES3_N6thrust23THRUST_200600_302600_NS6detail15normal_iteratorINS9_10device_ptrIxEEEESE_SE_xNS9_4plusIvEENS9_8equal_toIvEExEE10hipError_tPvRmT2_T3_T4_T5_mT6_T7_P12ihipStream_tbENKUlT_T0_E_clISt17integral_constantIbLb0EESY_IbLb1EEEEDaSU_SV_EUlSU_E_NS1_11comp_targetILNS1_3genE5ELNS1_11target_archE942ELNS1_3gpuE9ELNS1_3repE0EEENS1_30default_config_static_selectorELNS0_4arch9wavefront6targetE1EEEvT1_,comdat
.Lfunc_end40:
	.size	_ZN7rocprim17ROCPRIM_400000_NS6detail17trampoline_kernelINS0_14default_configENS1_27scan_by_key_config_selectorIxxEEZZNS1_16scan_by_key_implILNS1_25lookback_scan_determinismE0ELb0ES3_N6thrust23THRUST_200600_302600_NS6detail15normal_iteratorINS9_10device_ptrIxEEEESE_SE_xNS9_4plusIvEENS9_8equal_toIvEExEE10hipError_tPvRmT2_T3_T4_T5_mT6_T7_P12ihipStream_tbENKUlT_T0_E_clISt17integral_constantIbLb0EESY_IbLb1EEEEDaSU_SV_EUlSU_E_NS1_11comp_targetILNS1_3genE5ELNS1_11target_archE942ELNS1_3gpuE9ELNS1_3repE0EEENS1_30default_config_static_selectorELNS0_4arch9wavefront6targetE1EEEvT1_, .Lfunc_end40-_ZN7rocprim17ROCPRIM_400000_NS6detail17trampoline_kernelINS0_14default_configENS1_27scan_by_key_config_selectorIxxEEZZNS1_16scan_by_key_implILNS1_25lookback_scan_determinismE0ELb0ES3_N6thrust23THRUST_200600_302600_NS6detail15normal_iteratorINS9_10device_ptrIxEEEESE_SE_xNS9_4plusIvEENS9_8equal_toIvEExEE10hipError_tPvRmT2_T3_T4_T5_mT6_T7_P12ihipStream_tbENKUlT_T0_E_clISt17integral_constantIbLb0EESY_IbLb1EEEEDaSU_SV_EUlSU_E_NS1_11comp_targetILNS1_3genE5ELNS1_11target_archE942ELNS1_3gpuE9ELNS1_3repE0EEENS1_30default_config_static_selectorELNS0_4arch9wavefront6targetE1EEEvT1_
                                        ; -- End function
	.section	.AMDGPU.csdata,"",@progbits
; Kernel info:
; codeLenInByte = 12452
; NumSgprs: 76
; NumVgprs: 92
; NumAgprs: 0
; TotalNumVgprs: 92
; ScratchSize: 0
; MemoryBound: 0
; FloatMode: 240
; IeeeMode: 1
; LDSByteSize: 32768 bytes/workgroup (compile time only)
; SGPRBlocks: 9
; VGPRBlocks: 11
; NumSGPRsForWavesPerEU: 76
; NumVGPRsForWavesPerEU: 92
; AccumOffset: 92
; Occupancy: 2
; WaveLimiterHint : 1
; COMPUTE_PGM_RSRC2:SCRATCH_EN: 0
; COMPUTE_PGM_RSRC2:USER_SGPR: 2
; COMPUTE_PGM_RSRC2:TRAP_HANDLER: 0
; COMPUTE_PGM_RSRC2:TGID_X_EN: 1
; COMPUTE_PGM_RSRC2:TGID_Y_EN: 0
; COMPUTE_PGM_RSRC2:TGID_Z_EN: 0
; COMPUTE_PGM_RSRC2:TIDIG_COMP_CNT: 0
; COMPUTE_PGM_RSRC3_GFX90A:ACCUM_OFFSET: 22
; COMPUTE_PGM_RSRC3_GFX90A:TG_SPLIT: 0
	.section	.text._ZN7rocprim17ROCPRIM_400000_NS6detail17trampoline_kernelINS0_14default_configENS1_27scan_by_key_config_selectorIxxEEZZNS1_16scan_by_key_implILNS1_25lookback_scan_determinismE0ELb0ES3_N6thrust23THRUST_200600_302600_NS6detail15normal_iteratorINS9_10device_ptrIxEEEESE_SE_xNS9_4plusIvEENS9_8equal_toIvEExEE10hipError_tPvRmT2_T3_T4_T5_mT6_T7_P12ihipStream_tbENKUlT_T0_E_clISt17integral_constantIbLb0EESY_IbLb1EEEEDaSU_SV_EUlSU_E_NS1_11comp_targetILNS1_3genE4ELNS1_11target_archE910ELNS1_3gpuE8ELNS1_3repE0EEENS1_30default_config_static_selectorELNS0_4arch9wavefront6targetE1EEEvT1_,"axG",@progbits,_ZN7rocprim17ROCPRIM_400000_NS6detail17trampoline_kernelINS0_14default_configENS1_27scan_by_key_config_selectorIxxEEZZNS1_16scan_by_key_implILNS1_25lookback_scan_determinismE0ELb0ES3_N6thrust23THRUST_200600_302600_NS6detail15normal_iteratorINS9_10device_ptrIxEEEESE_SE_xNS9_4plusIvEENS9_8equal_toIvEExEE10hipError_tPvRmT2_T3_T4_T5_mT6_T7_P12ihipStream_tbENKUlT_T0_E_clISt17integral_constantIbLb0EESY_IbLb1EEEEDaSU_SV_EUlSU_E_NS1_11comp_targetILNS1_3genE4ELNS1_11target_archE910ELNS1_3gpuE8ELNS1_3repE0EEENS1_30default_config_static_selectorELNS0_4arch9wavefront6targetE1EEEvT1_,comdat
	.protected	_ZN7rocprim17ROCPRIM_400000_NS6detail17trampoline_kernelINS0_14default_configENS1_27scan_by_key_config_selectorIxxEEZZNS1_16scan_by_key_implILNS1_25lookback_scan_determinismE0ELb0ES3_N6thrust23THRUST_200600_302600_NS6detail15normal_iteratorINS9_10device_ptrIxEEEESE_SE_xNS9_4plusIvEENS9_8equal_toIvEExEE10hipError_tPvRmT2_T3_T4_T5_mT6_T7_P12ihipStream_tbENKUlT_T0_E_clISt17integral_constantIbLb0EESY_IbLb1EEEEDaSU_SV_EUlSU_E_NS1_11comp_targetILNS1_3genE4ELNS1_11target_archE910ELNS1_3gpuE8ELNS1_3repE0EEENS1_30default_config_static_selectorELNS0_4arch9wavefront6targetE1EEEvT1_ ; -- Begin function _ZN7rocprim17ROCPRIM_400000_NS6detail17trampoline_kernelINS0_14default_configENS1_27scan_by_key_config_selectorIxxEEZZNS1_16scan_by_key_implILNS1_25lookback_scan_determinismE0ELb0ES3_N6thrust23THRUST_200600_302600_NS6detail15normal_iteratorINS9_10device_ptrIxEEEESE_SE_xNS9_4plusIvEENS9_8equal_toIvEExEE10hipError_tPvRmT2_T3_T4_T5_mT6_T7_P12ihipStream_tbENKUlT_T0_E_clISt17integral_constantIbLb0EESY_IbLb1EEEEDaSU_SV_EUlSU_E_NS1_11comp_targetILNS1_3genE4ELNS1_11target_archE910ELNS1_3gpuE8ELNS1_3repE0EEENS1_30default_config_static_selectorELNS0_4arch9wavefront6targetE1EEEvT1_
	.globl	_ZN7rocprim17ROCPRIM_400000_NS6detail17trampoline_kernelINS0_14default_configENS1_27scan_by_key_config_selectorIxxEEZZNS1_16scan_by_key_implILNS1_25lookback_scan_determinismE0ELb0ES3_N6thrust23THRUST_200600_302600_NS6detail15normal_iteratorINS9_10device_ptrIxEEEESE_SE_xNS9_4plusIvEENS9_8equal_toIvEExEE10hipError_tPvRmT2_T3_T4_T5_mT6_T7_P12ihipStream_tbENKUlT_T0_E_clISt17integral_constantIbLb0EESY_IbLb1EEEEDaSU_SV_EUlSU_E_NS1_11comp_targetILNS1_3genE4ELNS1_11target_archE910ELNS1_3gpuE8ELNS1_3repE0EEENS1_30default_config_static_selectorELNS0_4arch9wavefront6targetE1EEEvT1_
	.p2align	8
	.type	_ZN7rocprim17ROCPRIM_400000_NS6detail17trampoline_kernelINS0_14default_configENS1_27scan_by_key_config_selectorIxxEEZZNS1_16scan_by_key_implILNS1_25lookback_scan_determinismE0ELb0ES3_N6thrust23THRUST_200600_302600_NS6detail15normal_iteratorINS9_10device_ptrIxEEEESE_SE_xNS9_4plusIvEENS9_8equal_toIvEExEE10hipError_tPvRmT2_T3_T4_T5_mT6_T7_P12ihipStream_tbENKUlT_T0_E_clISt17integral_constantIbLb0EESY_IbLb1EEEEDaSU_SV_EUlSU_E_NS1_11comp_targetILNS1_3genE4ELNS1_11target_archE910ELNS1_3gpuE8ELNS1_3repE0EEENS1_30default_config_static_selectorELNS0_4arch9wavefront6targetE1EEEvT1_,@function
_ZN7rocprim17ROCPRIM_400000_NS6detail17trampoline_kernelINS0_14default_configENS1_27scan_by_key_config_selectorIxxEEZZNS1_16scan_by_key_implILNS1_25lookback_scan_determinismE0ELb0ES3_N6thrust23THRUST_200600_302600_NS6detail15normal_iteratorINS9_10device_ptrIxEEEESE_SE_xNS9_4plusIvEENS9_8equal_toIvEExEE10hipError_tPvRmT2_T3_T4_T5_mT6_T7_P12ihipStream_tbENKUlT_T0_E_clISt17integral_constantIbLb0EESY_IbLb1EEEEDaSU_SV_EUlSU_E_NS1_11comp_targetILNS1_3genE4ELNS1_11target_archE910ELNS1_3gpuE8ELNS1_3repE0EEENS1_30default_config_static_selectorELNS0_4arch9wavefront6targetE1EEEvT1_: ; @_ZN7rocprim17ROCPRIM_400000_NS6detail17trampoline_kernelINS0_14default_configENS1_27scan_by_key_config_selectorIxxEEZZNS1_16scan_by_key_implILNS1_25lookback_scan_determinismE0ELb0ES3_N6thrust23THRUST_200600_302600_NS6detail15normal_iteratorINS9_10device_ptrIxEEEESE_SE_xNS9_4plusIvEENS9_8equal_toIvEExEE10hipError_tPvRmT2_T3_T4_T5_mT6_T7_P12ihipStream_tbENKUlT_T0_E_clISt17integral_constantIbLb0EESY_IbLb1EEEEDaSU_SV_EUlSU_E_NS1_11comp_targetILNS1_3genE4ELNS1_11target_archE910ELNS1_3gpuE8ELNS1_3repE0EEENS1_30default_config_static_selectorELNS0_4arch9wavefront6targetE1EEEvT1_
; %bb.0:
	.section	.rodata,"a",@progbits
	.p2align	6, 0x0
	.amdhsa_kernel _ZN7rocprim17ROCPRIM_400000_NS6detail17trampoline_kernelINS0_14default_configENS1_27scan_by_key_config_selectorIxxEEZZNS1_16scan_by_key_implILNS1_25lookback_scan_determinismE0ELb0ES3_N6thrust23THRUST_200600_302600_NS6detail15normal_iteratorINS9_10device_ptrIxEEEESE_SE_xNS9_4plusIvEENS9_8equal_toIvEExEE10hipError_tPvRmT2_T3_T4_T5_mT6_T7_P12ihipStream_tbENKUlT_T0_E_clISt17integral_constantIbLb0EESY_IbLb1EEEEDaSU_SV_EUlSU_E_NS1_11comp_targetILNS1_3genE4ELNS1_11target_archE910ELNS1_3gpuE8ELNS1_3repE0EEENS1_30default_config_static_selectorELNS0_4arch9wavefront6targetE1EEEvT1_
		.amdhsa_group_segment_fixed_size 0
		.amdhsa_private_segment_fixed_size 0
		.amdhsa_kernarg_size 136
		.amdhsa_user_sgpr_count 2
		.amdhsa_user_sgpr_dispatch_ptr 0
		.amdhsa_user_sgpr_queue_ptr 0
		.amdhsa_user_sgpr_kernarg_segment_ptr 1
		.amdhsa_user_sgpr_dispatch_id 0
		.amdhsa_user_sgpr_kernarg_preload_length 0
		.amdhsa_user_sgpr_kernarg_preload_offset 0
		.amdhsa_user_sgpr_private_segment_size 0
		.amdhsa_uses_dynamic_stack 0
		.amdhsa_enable_private_segment 0
		.amdhsa_system_sgpr_workgroup_id_x 1
		.amdhsa_system_sgpr_workgroup_id_y 0
		.amdhsa_system_sgpr_workgroup_id_z 0
		.amdhsa_system_sgpr_workgroup_info 0
		.amdhsa_system_vgpr_workitem_id 0
		.amdhsa_next_free_vgpr 1
		.amdhsa_next_free_sgpr 0
		.amdhsa_accum_offset 4
		.amdhsa_reserve_vcc 0
		.amdhsa_float_round_mode_32 0
		.amdhsa_float_round_mode_16_64 0
		.amdhsa_float_denorm_mode_32 3
		.amdhsa_float_denorm_mode_16_64 3
		.amdhsa_dx10_clamp 1
		.amdhsa_ieee_mode 1
		.amdhsa_fp16_overflow 0
		.amdhsa_tg_split 0
		.amdhsa_exception_fp_ieee_invalid_op 0
		.amdhsa_exception_fp_denorm_src 0
		.amdhsa_exception_fp_ieee_div_zero 0
		.amdhsa_exception_fp_ieee_overflow 0
		.amdhsa_exception_fp_ieee_underflow 0
		.amdhsa_exception_fp_ieee_inexact 0
		.amdhsa_exception_int_div_zero 0
	.end_amdhsa_kernel
	.section	.text._ZN7rocprim17ROCPRIM_400000_NS6detail17trampoline_kernelINS0_14default_configENS1_27scan_by_key_config_selectorIxxEEZZNS1_16scan_by_key_implILNS1_25lookback_scan_determinismE0ELb0ES3_N6thrust23THRUST_200600_302600_NS6detail15normal_iteratorINS9_10device_ptrIxEEEESE_SE_xNS9_4plusIvEENS9_8equal_toIvEExEE10hipError_tPvRmT2_T3_T4_T5_mT6_T7_P12ihipStream_tbENKUlT_T0_E_clISt17integral_constantIbLb0EESY_IbLb1EEEEDaSU_SV_EUlSU_E_NS1_11comp_targetILNS1_3genE4ELNS1_11target_archE910ELNS1_3gpuE8ELNS1_3repE0EEENS1_30default_config_static_selectorELNS0_4arch9wavefront6targetE1EEEvT1_,"axG",@progbits,_ZN7rocprim17ROCPRIM_400000_NS6detail17trampoline_kernelINS0_14default_configENS1_27scan_by_key_config_selectorIxxEEZZNS1_16scan_by_key_implILNS1_25lookback_scan_determinismE0ELb0ES3_N6thrust23THRUST_200600_302600_NS6detail15normal_iteratorINS9_10device_ptrIxEEEESE_SE_xNS9_4plusIvEENS9_8equal_toIvEExEE10hipError_tPvRmT2_T3_T4_T5_mT6_T7_P12ihipStream_tbENKUlT_T0_E_clISt17integral_constantIbLb0EESY_IbLb1EEEEDaSU_SV_EUlSU_E_NS1_11comp_targetILNS1_3genE4ELNS1_11target_archE910ELNS1_3gpuE8ELNS1_3repE0EEENS1_30default_config_static_selectorELNS0_4arch9wavefront6targetE1EEEvT1_,comdat
.Lfunc_end41:
	.size	_ZN7rocprim17ROCPRIM_400000_NS6detail17trampoline_kernelINS0_14default_configENS1_27scan_by_key_config_selectorIxxEEZZNS1_16scan_by_key_implILNS1_25lookback_scan_determinismE0ELb0ES3_N6thrust23THRUST_200600_302600_NS6detail15normal_iteratorINS9_10device_ptrIxEEEESE_SE_xNS9_4plusIvEENS9_8equal_toIvEExEE10hipError_tPvRmT2_T3_T4_T5_mT6_T7_P12ihipStream_tbENKUlT_T0_E_clISt17integral_constantIbLb0EESY_IbLb1EEEEDaSU_SV_EUlSU_E_NS1_11comp_targetILNS1_3genE4ELNS1_11target_archE910ELNS1_3gpuE8ELNS1_3repE0EEENS1_30default_config_static_selectorELNS0_4arch9wavefront6targetE1EEEvT1_, .Lfunc_end41-_ZN7rocprim17ROCPRIM_400000_NS6detail17trampoline_kernelINS0_14default_configENS1_27scan_by_key_config_selectorIxxEEZZNS1_16scan_by_key_implILNS1_25lookback_scan_determinismE0ELb0ES3_N6thrust23THRUST_200600_302600_NS6detail15normal_iteratorINS9_10device_ptrIxEEEESE_SE_xNS9_4plusIvEENS9_8equal_toIvEExEE10hipError_tPvRmT2_T3_T4_T5_mT6_T7_P12ihipStream_tbENKUlT_T0_E_clISt17integral_constantIbLb0EESY_IbLb1EEEEDaSU_SV_EUlSU_E_NS1_11comp_targetILNS1_3genE4ELNS1_11target_archE910ELNS1_3gpuE8ELNS1_3repE0EEENS1_30default_config_static_selectorELNS0_4arch9wavefront6targetE1EEEvT1_
                                        ; -- End function
	.section	.AMDGPU.csdata,"",@progbits
; Kernel info:
; codeLenInByte = 0
; NumSgprs: 6
; NumVgprs: 0
; NumAgprs: 0
; TotalNumVgprs: 0
; ScratchSize: 0
; MemoryBound: 0
; FloatMode: 240
; IeeeMode: 1
; LDSByteSize: 0 bytes/workgroup (compile time only)
; SGPRBlocks: 0
; VGPRBlocks: 0
; NumSGPRsForWavesPerEU: 6
; NumVGPRsForWavesPerEU: 1
; AccumOffset: 4
; Occupancy: 8
; WaveLimiterHint : 0
; COMPUTE_PGM_RSRC2:SCRATCH_EN: 0
; COMPUTE_PGM_RSRC2:USER_SGPR: 2
; COMPUTE_PGM_RSRC2:TRAP_HANDLER: 0
; COMPUTE_PGM_RSRC2:TGID_X_EN: 1
; COMPUTE_PGM_RSRC2:TGID_Y_EN: 0
; COMPUTE_PGM_RSRC2:TGID_Z_EN: 0
; COMPUTE_PGM_RSRC2:TIDIG_COMP_CNT: 0
; COMPUTE_PGM_RSRC3_GFX90A:ACCUM_OFFSET: 0
; COMPUTE_PGM_RSRC3_GFX90A:TG_SPLIT: 0
	.section	.text._ZN7rocprim17ROCPRIM_400000_NS6detail17trampoline_kernelINS0_14default_configENS1_27scan_by_key_config_selectorIxxEEZZNS1_16scan_by_key_implILNS1_25lookback_scan_determinismE0ELb0ES3_N6thrust23THRUST_200600_302600_NS6detail15normal_iteratorINS9_10device_ptrIxEEEESE_SE_xNS9_4plusIvEENS9_8equal_toIvEExEE10hipError_tPvRmT2_T3_T4_T5_mT6_T7_P12ihipStream_tbENKUlT_T0_E_clISt17integral_constantIbLb0EESY_IbLb1EEEEDaSU_SV_EUlSU_E_NS1_11comp_targetILNS1_3genE3ELNS1_11target_archE908ELNS1_3gpuE7ELNS1_3repE0EEENS1_30default_config_static_selectorELNS0_4arch9wavefront6targetE1EEEvT1_,"axG",@progbits,_ZN7rocprim17ROCPRIM_400000_NS6detail17trampoline_kernelINS0_14default_configENS1_27scan_by_key_config_selectorIxxEEZZNS1_16scan_by_key_implILNS1_25lookback_scan_determinismE0ELb0ES3_N6thrust23THRUST_200600_302600_NS6detail15normal_iteratorINS9_10device_ptrIxEEEESE_SE_xNS9_4plusIvEENS9_8equal_toIvEExEE10hipError_tPvRmT2_T3_T4_T5_mT6_T7_P12ihipStream_tbENKUlT_T0_E_clISt17integral_constantIbLb0EESY_IbLb1EEEEDaSU_SV_EUlSU_E_NS1_11comp_targetILNS1_3genE3ELNS1_11target_archE908ELNS1_3gpuE7ELNS1_3repE0EEENS1_30default_config_static_selectorELNS0_4arch9wavefront6targetE1EEEvT1_,comdat
	.protected	_ZN7rocprim17ROCPRIM_400000_NS6detail17trampoline_kernelINS0_14default_configENS1_27scan_by_key_config_selectorIxxEEZZNS1_16scan_by_key_implILNS1_25lookback_scan_determinismE0ELb0ES3_N6thrust23THRUST_200600_302600_NS6detail15normal_iteratorINS9_10device_ptrIxEEEESE_SE_xNS9_4plusIvEENS9_8equal_toIvEExEE10hipError_tPvRmT2_T3_T4_T5_mT6_T7_P12ihipStream_tbENKUlT_T0_E_clISt17integral_constantIbLb0EESY_IbLb1EEEEDaSU_SV_EUlSU_E_NS1_11comp_targetILNS1_3genE3ELNS1_11target_archE908ELNS1_3gpuE7ELNS1_3repE0EEENS1_30default_config_static_selectorELNS0_4arch9wavefront6targetE1EEEvT1_ ; -- Begin function _ZN7rocprim17ROCPRIM_400000_NS6detail17trampoline_kernelINS0_14default_configENS1_27scan_by_key_config_selectorIxxEEZZNS1_16scan_by_key_implILNS1_25lookback_scan_determinismE0ELb0ES3_N6thrust23THRUST_200600_302600_NS6detail15normal_iteratorINS9_10device_ptrIxEEEESE_SE_xNS9_4plusIvEENS9_8equal_toIvEExEE10hipError_tPvRmT2_T3_T4_T5_mT6_T7_P12ihipStream_tbENKUlT_T0_E_clISt17integral_constantIbLb0EESY_IbLb1EEEEDaSU_SV_EUlSU_E_NS1_11comp_targetILNS1_3genE3ELNS1_11target_archE908ELNS1_3gpuE7ELNS1_3repE0EEENS1_30default_config_static_selectorELNS0_4arch9wavefront6targetE1EEEvT1_
	.globl	_ZN7rocprim17ROCPRIM_400000_NS6detail17trampoline_kernelINS0_14default_configENS1_27scan_by_key_config_selectorIxxEEZZNS1_16scan_by_key_implILNS1_25lookback_scan_determinismE0ELb0ES3_N6thrust23THRUST_200600_302600_NS6detail15normal_iteratorINS9_10device_ptrIxEEEESE_SE_xNS9_4plusIvEENS9_8equal_toIvEExEE10hipError_tPvRmT2_T3_T4_T5_mT6_T7_P12ihipStream_tbENKUlT_T0_E_clISt17integral_constantIbLb0EESY_IbLb1EEEEDaSU_SV_EUlSU_E_NS1_11comp_targetILNS1_3genE3ELNS1_11target_archE908ELNS1_3gpuE7ELNS1_3repE0EEENS1_30default_config_static_selectorELNS0_4arch9wavefront6targetE1EEEvT1_
	.p2align	8
	.type	_ZN7rocprim17ROCPRIM_400000_NS6detail17trampoline_kernelINS0_14default_configENS1_27scan_by_key_config_selectorIxxEEZZNS1_16scan_by_key_implILNS1_25lookback_scan_determinismE0ELb0ES3_N6thrust23THRUST_200600_302600_NS6detail15normal_iteratorINS9_10device_ptrIxEEEESE_SE_xNS9_4plusIvEENS9_8equal_toIvEExEE10hipError_tPvRmT2_T3_T4_T5_mT6_T7_P12ihipStream_tbENKUlT_T0_E_clISt17integral_constantIbLb0EESY_IbLb1EEEEDaSU_SV_EUlSU_E_NS1_11comp_targetILNS1_3genE3ELNS1_11target_archE908ELNS1_3gpuE7ELNS1_3repE0EEENS1_30default_config_static_selectorELNS0_4arch9wavefront6targetE1EEEvT1_,@function
_ZN7rocprim17ROCPRIM_400000_NS6detail17trampoline_kernelINS0_14default_configENS1_27scan_by_key_config_selectorIxxEEZZNS1_16scan_by_key_implILNS1_25lookback_scan_determinismE0ELb0ES3_N6thrust23THRUST_200600_302600_NS6detail15normal_iteratorINS9_10device_ptrIxEEEESE_SE_xNS9_4plusIvEENS9_8equal_toIvEExEE10hipError_tPvRmT2_T3_T4_T5_mT6_T7_P12ihipStream_tbENKUlT_T0_E_clISt17integral_constantIbLb0EESY_IbLb1EEEEDaSU_SV_EUlSU_E_NS1_11comp_targetILNS1_3genE3ELNS1_11target_archE908ELNS1_3gpuE7ELNS1_3repE0EEENS1_30default_config_static_selectorELNS0_4arch9wavefront6targetE1EEEvT1_: ; @_ZN7rocprim17ROCPRIM_400000_NS6detail17trampoline_kernelINS0_14default_configENS1_27scan_by_key_config_selectorIxxEEZZNS1_16scan_by_key_implILNS1_25lookback_scan_determinismE0ELb0ES3_N6thrust23THRUST_200600_302600_NS6detail15normal_iteratorINS9_10device_ptrIxEEEESE_SE_xNS9_4plusIvEENS9_8equal_toIvEExEE10hipError_tPvRmT2_T3_T4_T5_mT6_T7_P12ihipStream_tbENKUlT_T0_E_clISt17integral_constantIbLb0EESY_IbLb1EEEEDaSU_SV_EUlSU_E_NS1_11comp_targetILNS1_3genE3ELNS1_11target_archE908ELNS1_3gpuE7ELNS1_3repE0EEENS1_30default_config_static_selectorELNS0_4arch9wavefront6targetE1EEEvT1_
; %bb.0:
	.section	.rodata,"a",@progbits
	.p2align	6, 0x0
	.amdhsa_kernel _ZN7rocprim17ROCPRIM_400000_NS6detail17trampoline_kernelINS0_14default_configENS1_27scan_by_key_config_selectorIxxEEZZNS1_16scan_by_key_implILNS1_25lookback_scan_determinismE0ELb0ES3_N6thrust23THRUST_200600_302600_NS6detail15normal_iteratorINS9_10device_ptrIxEEEESE_SE_xNS9_4plusIvEENS9_8equal_toIvEExEE10hipError_tPvRmT2_T3_T4_T5_mT6_T7_P12ihipStream_tbENKUlT_T0_E_clISt17integral_constantIbLb0EESY_IbLb1EEEEDaSU_SV_EUlSU_E_NS1_11comp_targetILNS1_3genE3ELNS1_11target_archE908ELNS1_3gpuE7ELNS1_3repE0EEENS1_30default_config_static_selectorELNS0_4arch9wavefront6targetE1EEEvT1_
		.amdhsa_group_segment_fixed_size 0
		.amdhsa_private_segment_fixed_size 0
		.amdhsa_kernarg_size 136
		.amdhsa_user_sgpr_count 2
		.amdhsa_user_sgpr_dispatch_ptr 0
		.amdhsa_user_sgpr_queue_ptr 0
		.amdhsa_user_sgpr_kernarg_segment_ptr 1
		.amdhsa_user_sgpr_dispatch_id 0
		.amdhsa_user_sgpr_kernarg_preload_length 0
		.amdhsa_user_sgpr_kernarg_preload_offset 0
		.amdhsa_user_sgpr_private_segment_size 0
		.amdhsa_uses_dynamic_stack 0
		.amdhsa_enable_private_segment 0
		.amdhsa_system_sgpr_workgroup_id_x 1
		.amdhsa_system_sgpr_workgroup_id_y 0
		.amdhsa_system_sgpr_workgroup_id_z 0
		.amdhsa_system_sgpr_workgroup_info 0
		.amdhsa_system_vgpr_workitem_id 0
		.amdhsa_next_free_vgpr 1
		.amdhsa_next_free_sgpr 0
		.amdhsa_accum_offset 4
		.amdhsa_reserve_vcc 0
		.amdhsa_float_round_mode_32 0
		.amdhsa_float_round_mode_16_64 0
		.amdhsa_float_denorm_mode_32 3
		.amdhsa_float_denorm_mode_16_64 3
		.amdhsa_dx10_clamp 1
		.amdhsa_ieee_mode 1
		.amdhsa_fp16_overflow 0
		.amdhsa_tg_split 0
		.amdhsa_exception_fp_ieee_invalid_op 0
		.amdhsa_exception_fp_denorm_src 0
		.amdhsa_exception_fp_ieee_div_zero 0
		.amdhsa_exception_fp_ieee_overflow 0
		.amdhsa_exception_fp_ieee_underflow 0
		.amdhsa_exception_fp_ieee_inexact 0
		.amdhsa_exception_int_div_zero 0
	.end_amdhsa_kernel
	.section	.text._ZN7rocprim17ROCPRIM_400000_NS6detail17trampoline_kernelINS0_14default_configENS1_27scan_by_key_config_selectorIxxEEZZNS1_16scan_by_key_implILNS1_25lookback_scan_determinismE0ELb0ES3_N6thrust23THRUST_200600_302600_NS6detail15normal_iteratorINS9_10device_ptrIxEEEESE_SE_xNS9_4plusIvEENS9_8equal_toIvEExEE10hipError_tPvRmT2_T3_T4_T5_mT6_T7_P12ihipStream_tbENKUlT_T0_E_clISt17integral_constantIbLb0EESY_IbLb1EEEEDaSU_SV_EUlSU_E_NS1_11comp_targetILNS1_3genE3ELNS1_11target_archE908ELNS1_3gpuE7ELNS1_3repE0EEENS1_30default_config_static_selectorELNS0_4arch9wavefront6targetE1EEEvT1_,"axG",@progbits,_ZN7rocprim17ROCPRIM_400000_NS6detail17trampoline_kernelINS0_14default_configENS1_27scan_by_key_config_selectorIxxEEZZNS1_16scan_by_key_implILNS1_25lookback_scan_determinismE0ELb0ES3_N6thrust23THRUST_200600_302600_NS6detail15normal_iteratorINS9_10device_ptrIxEEEESE_SE_xNS9_4plusIvEENS9_8equal_toIvEExEE10hipError_tPvRmT2_T3_T4_T5_mT6_T7_P12ihipStream_tbENKUlT_T0_E_clISt17integral_constantIbLb0EESY_IbLb1EEEEDaSU_SV_EUlSU_E_NS1_11comp_targetILNS1_3genE3ELNS1_11target_archE908ELNS1_3gpuE7ELNS1_3repE0EEENS1_30default_config_static_selectorELNS0_4arch9wavefront6targetE1EEEvT1_,comdat
.Lfunc_end42:
	.size	_ZN7rocprim17ROCPRIM_400000_NS6detail17trampoline_kernelINS0_14default_configENS1_27scan_by_key_config_selectorIxxEEZZNS1_16scan_by_key_implILNS1_25lookback_scan_determinismE0ELb0ES3_N6thrust23THRUST_200600_302600_NS6detail15normal_iteratorINS9_10device_ptrIxEEEESE_SE_xNS9_4plusIvEENS9_8equal_toIvEExEE10hipError_tPvRmT2_T3_T4_T5_mT6_T7_P12ihipStream_tbENKUlT_T0_E_clISt17integral_constantIbLb0EESY_IbLb1EEEEDaSU_SV_EUlSU_E_NS1_11comp_targetILNS1_3genE3ELNS1_11target_archE908ELNS1_3gpuE7ELNS1_3repE0EEENS1_30default_config_static_selectorELNS0_4arch9wavefront6targetE1EEEvT1_, .Lfunc_end42-_ZN7rocprim17ROCPRIM_400000_NS6detail17trampoline_kernelINS0_14default_configENS1_27scan_by_key_config_selectorIxxEEZZNS1_16scan_by_key_implILNS1_25lookback_scan_determinismE0ELb0ES3_N6thrust23THRUST_200600_302600_NS6detail15normal_iteratorINS9_10device_ptrIxEEEESE_SE_xNS9_4plusIvEENS9_8equal_toIvEExEE10hipError_tPvRmT2_T3_T4_T5_mT6_T7_P12ihipStream_tbENKUlT_T0_E_clISt17integral_constantIbLb0EESY_IbLb1EEEEDaSU_SV_EUlSU_E_NS1_11comp_targetILNS1_3genE3ELNS1_11target_archE908ELNS1_3gpuE7ELNS1_3repE0EEENS1_30default_config_static_selectorELNS0_4arch9wavefront6targetE1EEEvT1_
                                        ; -- End function
	.section	.AMDGPU.csdata,"",@progbits
; Kernel info:
; codeLenInByte = 0
; NumSgprs: 6
; NumVgprs: 0
; NumAgprs: 0
; TotalNumVgprs: 0
; ScratchSize: 0
; MemoryBound: 0
; FloatMode: 240
; IeeeMode: 1
; LDSByteSize: 0 bytes/workgroup (compile time only)
; SGPRBlocks: 0
; VGPRBlocks: 0
; NumSGPRsForWavesPerEU: 6
; NumVGPRsForWavesPerEU: 1
; AccumOffset: 4
; Occupancy: 8
; WaveLimiterHint : 0
; COMPUTE_PGM_RSRC2:SCRATCH_EN: 0
; COMPUTE_PGM_RSRC2:USER_SGPR: 2
; COMPUTE_PGM_RSRC2:TRAP_HANDLER: 0
; COMPUTE_PGM_RSRC2:TGID_X_EN: 1
; COMPUTE_PGM_RSRC2:TGID_Y_EN: 0
; COMPUTE_PGM_RSRC2:TGID_Z_EN: 0
; COMPUTE_PGM_RSRC2:TIDIG_COMP_CNT: 0
; COMPUTE_PGM_RSRC3_GFX90A:ACCUM_OFFSET: 0
; COMPUTE_PGM_RSRC3_GFX90A:TG_SPLIT: 0
	.section	.text._ZN7rocprim17ROCPRIM_400000_NS6detail17trampoline_kernelINS0_14default_configENS1_27scan_by_key_config_selectorIxxEEZZNS1_16scan_by_key_implILNS1_25lookback_scan_determinismE0ELb0ES3_N6thrust23THRUST_200600_302600_NS6detail15normal_iteratorINS9_10device_ptrIxEEEESE_SE_xNS9_4plusIvEENS9_8equal_toIvEExEE10hipError_tPvRmT2_T3_T4_T5_mT6_T7_P12ihipStream_tbENKUlT_T0_E_clISt17integral_constantIbLb0EESY_IbLb1EEEEDaSU_SV_EUlSU_E_NS1_11comp_targetILNS1_3genE2ELNS1_11target_archE906ELNS1_3gpuE6ELNS1_3repE0EEENS1_30default_config_static_selectorELNS0_4arch9wavefront6targetE1EEEvT1_,"axG",@progbits,_ZN7rocprim17ROCPRIM_400000_NS6detail17trampoline_kernelINS0_14default_configENS1_27scan_by_key_config_selectorIxxEEZZNS1_16scan_by_key_implILNS1_25lookback_scan_determinismE0ELb0ES3_N6thrust23THRUST_200600_302600_NS6detail15normal_iteratorINS9_10device_ptrIxEEEESE_SE_xNS9_4plusIvEENS9_8equal_toIvEExEE10hipError_tPvRmT2_T3_T4_T5_mT6_T7_P12ihipStream_tbENKUlT_T0_E_clISt17integral_constantIbLb0EESY_IbLb1EEEEDaSU_SV_EUlSU_E_NS1_11comp_targetILNS1_3genE2ELNS1_11target_archE906ELNS1_3gpuE6ELNS1_3repE0EEENS1_30default_config_static_selectorELNS0_4arch9wavefront6targetE1EEEvT1_,comdat
	.protected	_ZN7rocprim17ROCPRIM_400000_NS6detail17trampoline_kernelINS0_14default_configENS1_27scan_by_key_config_selectorIxxEEZZNS1_16scan_by_key_implILNS1_25lookback_scan_determinismE0ELb0ES3_N6thrust23THRUST_200600_302600_NS6detail15normal_iteratorINS9_10device_ptrIxEEEESE_SE_xNS9_4plusIvEENS9_8equal_toIvEExEE10hipError_tPvRmT2_T3_T4_T5_mT6_T7_P12ihipStream_tbENKUlT_T0_E_clISt17integral_constantIbLb0EESY_IbLb1EEEEDaSU_SV_EUlSU_E_NS1_11comp_targetILNS1_3genE2ELNS1_11target_archE906ELNS1_3gpuE6ELNS1_3repE0EEENS1_30default_config_static_selectorELNS0_4arch9wavefront6targetE1EEEvT1_ ; -- Begin function _ZN7rocprim17ROCPRIM_400000_NS6detail17trampoline_kernelINS0_14default_configENS1_27scan_by_key_config_selectorIxxEEZZNS1_16scan_by_key_implILNS1_25lookback_scan_determinismE0ELb0ES3_N6thrust23THRUST_200600_302600_NS6detail15normal_iteratorINS9_10device_ptrIxEEEESE_SE_xNS9_4plusIvEENS9_8equal_toIvEExEE10hipError_tPvRmT2_T3_T4_T5_mT6_T7_P12ihipStream_tbENKUlT_T0_E_clISt17integral_constantIbLb0EESY_IbLb1EEEEDaSU_SV_EUlSU_E_NS1_11comp_targetILNS1_3genE2ELNS1_11target_archE906ELNS1_3gpuE6ELNS1_3repE0EEENS1_30default_config_static_selectorELNS0_4arch9wavefront6targetE1EEEvT1_
	.globl	_ZN7rocprim17ROCPRIM_400000_NS6detail17trampoline_kernelINS0_14default_configENS1_27scan_by_key_config_selectorIxxEEZZNS1_16scan_by_key_implILNS1_25lookback_scan_determinismE0ELb0ES3_N6thrust23THRUST_200600_302600_NS6detail15normal_iteratorINS9_10device_ptrIxEEEESE_SE_xNS9_4plusIvEENS9_8equal_toIvEExEE10hipError_tPvRmT2_T3_T4_T5_mT6_T7_P12ihipStream_tbENKUlT_T0_E_clISt17integral_constantIbLb0EESY_IbLb1EEEEDaSU_SV_EUlSU_E_NS1_11comp_targetILNS1_3genE2ELNS1_11target_archE906ELNS1_3gpuE6ELNS1_3repE0EEENS1_30default_config_static_selectorELNS0_4arch9wavefront6targetE1EEEvT1_
	.p2align	8
	.type	_ZN7rocprim17ROCPRIM_400000_NS6detail17trampoline_kernelINS0_14default_configENS1_27scan_by_key_config_selectorIxxEEZZNS1_16scan_by_key_implILNS1_25lookback_scan_determinismE0ELb0ES3_N6thrust23THRUST_200600_302600_NS6detail15normal_iteratorINS9_10device_ptrIxEEEESE_SE_xNS9_4plusIvEENS9_8equal_toIvEExEE10hipError_tPvRmT2_T3_T4_T5_mT6_T7_P12ihipStream_tbENKUlT_T0_E_clISt17integral_constantIbLb0EESY_IbLb1EEEEDaSU_SV_EUlSU_E_NS1_11comp_targetILNS1_3genE2ELNS1_11target_archE906ELNS1_3gpuE6ELNS1_3repE0EEENS1_30default_config_static_selectorELNS0_4arch9wavefront6targetE1EEEvT1_,@function
_ZN7rocprim17ROCPRIM_400000_NS6detail17trampoline_kernelINS0_14default_configENS1_27scan_by_key_config_selectorIxxEEZZNS1_16scan_by_key_implILNS1_25lookback_scan_determinismE0ELb0ES3_N6thrust23THRUST_200600_302600_NS6detail15normal_iteratorINS9_10device_ptrIxEEEESE_SE_xNS9_4plusIvEENS9_8equal_toIvEExEE10hipError_tPvRmT2_T3_T4_T5_mT6_T7_P12ihipStream_tbENKUlT_T0_E_clISt17integral_constantIbLb0EESY_IbLb1EEEEDaSU_SV_EUlSU_E_NS1_11comp_targetILNS1_3genE2ELNS1_11target_archE906ELNS1_3gpuE6ELNS1_3repE0EEENS1_30default_config_static_selectorELNS0_4arch9wavefront6targetE1EEEvT1_: ; @_ZN7rocprim17ROCPRIM_400000_NS6detail17trampoline_kernelINS0_14default_configENS1_27scan_by_key_config_selectorIxxEEZZNS1_16scan_by_key_implILNS1_25lookback_scan_determinismE0ELb0ES3_N6thrust23THRUST_200600_302600_NS6detail15normal_iteratorINS9_10device_ptrIxEEEESE_SE_xNS9_4plusIvEENS9_8equal_toIvEExEE10hipError_tPvRmT2_T3_T4_T5_mT6_T7_P12ihipStream_tbENKUlT_T0_E_clISt17integral_constantIbLb0EESY_IbLb1EEEEDaSU_SV_EUlSU_E_NS1_11comp_targetILNS1_3genE2ELNS1_11target_archE906ELNS1_3gpuE6ELNS1_3repE0EEENS1_30default_config_static_selectorELNS0_4arch9wavefront6targetE1EEEvT1_
; %bb.0:
	.section	.rodata,"a",@progbits
	.p2align	6, 0x0
	.amdhsa_kernel _ZN7rocprim17ROCPRIM_400000_NS6detail17trampoline_kernelINS0_14default_configENS1_27scan_by_key_config_selectorIxxEEZZNS1_16scan_by_key_implILNS1_25lookback_scan_determinismE0ELb0ES3_N6thrust23THRUST_200600_302600_NS6detail15normal_iteratorINS9_10device_ptrIxEEEESE_SE_xNS9_4plusIvEENS9_8equal_toIvEExEE10hipError_tPvRmT2_T3_T4_T5_mT6_T7_P12ihipStream_tbENKUlT_T0_E_clISt17integral_constantIbLb0EESY_IbLb1EEEEDaSU_SV_EUlSU_E_NS1_11comp_targetILNS1_3genE2ELNS1_11target_archE906ELNS1_3gpuE6ELNS1_3repE0EEENS1_30default_config_static_selectorELNS0_4arch9wavefront6targetE1EEEvT1_
		.amdhsa_group_segment_fixed_size 0
		.amdhsa_private_segment_fixed_size 0
		.amdhsa_kernarg_size 136
		.amdhsa_user_sgpr_count 2
		.amdhsa_user_sgpr_dispatch_ptr 0
		.amdhsa_user_sgpr_queue_ptr 0
		.amdhsa_user_sgpr_kernarg_segment_ptr 1
		.amdhsa_user_sgpr_dispatch_id 0
		.amdhsa_user_sgpr_kernarg_preload_length 0
		.amdhsa_user_sgpr_kernarg_preload_offset 0
		.amdhsa_user_sgpr_private_segment_size 0
		.amdhsa_uses_dynamic_stack 0
		.amdhsa_enable_private_segment 0
		.amdhsa_system_sgpr_workgroup_id_x 1
		.amdhsa_system_sgpr_workgroup_id_y 0
		.amdhsa_system_sgpr_workgroup_id_z 0
		.amdhsa_system_sgpr_workgroup_info 0
		.amdhsa_system_vgpr_workitem_id 0
		.amdhsa_next_free_vgpr 1
		.amdhsa_next_free_sgpr 0
		.amdhsa_accum_offset 4
		.amdhsa_reserve_vcc 0
		.amdhsa_float_round_mode_32 0
		.amdhsa_float_round_mode_16_64 0
		.amdhsa_float_denorm_mode_32 3
		.amdhsa_float_denorm_mode_16_64 3
		.amdhsa_dx10_clamp 1
		.amdhsa_ieee_mode 1
		.amdhsa_fp16_overflow 0
		.amdhsa_tg_split 0
		.amdhsa_exception_fp_ieee_invalid_op 0
		.amdhsa_exception_fp_denorm_src 0
		.amdhsa_exception_fp_ieee_div_zero 0
		.amdhsa_exception_fp_ieee_overflow 0
		.amdhsa_exception_fp_ieee_underflow 0
		.amdhsa_exception_fp_ieee_inexact 0
		.amdhsa_exception_int_div_zero 0
	.end_amdhsa_kernel
	.section	.text._ZN7rocprim17ROCPRIM_400000_NS6detail17trampoline_kernelINS0_14default_configENS1_27scan_by_key_config_selectorIxxEEZZNS1_16scan_by_key_implILNS1_25lookback_scan_determinismE0ELb0ES3_N6thrust23THRUST_200600_302600_NS6detail15normal_iteratorINS9_10device_ptrIxEEEESE_SE_xNS9_4plusIvEENS9_8equal_toIvEExEE10hipError_tPvRmT2_T3_T4_T5_mT6_T7_P12ihipStream_tbENKUlT_T0_E_clISt17integral_constantIbLb0EESY_IbLb1EEEEDaSU_SV_EUlSU_E_NS1_11comp_targetILNS1_3genE2ELNS1_11target_archE906ELNS1_3gpuE6ELNS1_3repE0EEENS1_30default_config_static_selectorELNS0_4arch9wavefront6targetE1EEEvT1_,"axG",@progbits,_ZN7rocprim17ROCPRIM_400000_NS6detail17trampoline_kernelINS0_14default_configENS1_27scan_by_key_config_selectorIxxEEZZNS1_16scan_by_key_implILNS1_25lookback_scan_determinismE0ELb0ES3_N6thrust23THRUST_200600_302600_NS6detail15normal_iteratorINS9_10device_ptrIxEEEESE_SE_xNS9_4plusIvEENS9_8equal_toIvEExEE10hipError_tPvRmT2_T3_T4_T5_mT6_T7_P12ihipStream_tbENKUlT_T0_E_clISt17integral_constantIbLb0EESY_IbLb1EEEEDaSU_SV_EUlSU_E_NS1_11comp_targetILNS1_3genE2ELNS1_11target_archE906ELNS1_3gpuE6ELNS1_3repE0EEENS1_30default_config_static_selectorELNS0_4arch9wavefront6targetE1EEEvT1_,comdat
.Lfunc_end43:
	.size	_ZN7rocprim17ROCPRIM_400000_NS6detail17trampoline_kernelINS0_14default_configENS1_27scan_by_key_config_selectorIxxEEZZNS1_16scan_by_key_implILNS1_25lookback_scan_determinismE0ELb0ES3_N6thrust23THRUST_200600_302600_NS6detail15normal_iteratorINS9_10device_ptrIxEEEESE_SE_xNS9_4plusIvEENS9_8equal_toIvEExEE10hipError_tPvRmT2_T3_T4_T5_mT6_T7_P12ihipStream_tbENKUlT_T0_E_clISt17integral_constantIbLb0EESY_IbLb1EEEEDaSU_SV_EUlSU_E_NS1_11comp_targetILNS1_3genE2ELNS1_11target_archE906ELNS1_3gpuE6ELNS1_3repE0EEENS1_30default_config_static_selectorELNS0_4arch9wavefront6targetE1EEEvT1_, .Lfunc_end43-_ZN7rocprim17ROCPRIM_400000_NS6detail17trampoline_kernelINS0_14default_configENS1_27scan_by_key_config_selectorIxxEEZZNS1_16scan_by_key_implILNS1_25lookback_scan_determinismE0ELb0ES3_N6thrust23THRUST_200600_302600_NS6detail15normal_iteratorINS9_10device_ptrIxEEEESE_SE_xNS9_4plusIvEENS9_8equal_toIvEExEE10hipError_tPvRmT2_T3_T4_T5_mT6_T7_P12ihipStream_tbENKUlT_T0_E_clISt17integral_constantIbLb0EESY_IbLb1EEEEDaSU_SV_EUlSU_E_NS1_11comp_targetILNS1_3genE2ELNS1_11target_archE906ELNS1_3gpuE6ELNS1_3repE0EEENS1_30default_config_static_selectorELNS0_4arch9wavefront6targetE1EEEvT1_
                                        ; -- End function
	.section	.AMDGPU.csdata,"",@progbits
; Kernel info:
; codeLenInByte = 0
; NumSgprs: 6
; NumVgprs: 0
; NumAgprs: 0
; TotalNumVgprs: 0
; ScratchSize: 0
; MemoryBound: 0
; FloatMode: 240
; IeeeMode: 1
; LDSByteSize: 0 bytes/workgroup (compile time only)
; SGPRBlocks: 0
; VGPRBlocks: 0
; NumSGPRsForWavesPerEU: 6
; NumVGPRsForWavesPerEU: 1
; AccumOffset: 4
; Occupancy: 8
; WaveLimiterHint : 0
; COMPUTE_PGM_RSRC2:SCRATCH_EN: 0
; COMPUTE_PGM_RSRC2:USER_SGPR: 2
; COMPUTE_PGM_RSRC2:TRAP_HANDLER: 0
; COMPUTE_PGM_RSRC2:TGID_X_EN: 1
; COMPUTE_PGM_RSRC2:TGID_Y_EN: 0
; COMPUTE_PGM_RSRC2:TGID_Z_EN: 0
; COMPUTE_PGM_RSRC2:TIDIG_COMP_CNT: 0
; COMPUTE_PGM_RSRC3_GFX90A:ACCUM_OFFSET: 0
; COMPUTE_PGM_RSRC3_GFX90A:TG_SPLIT: 0
	.section	.text._ZN7rocprim17ROCPRIM_400000_NS6detail17trampoline_kernelINS0_14default_configENS1_27scan_by_key_config_selectorIxxEEZZNS1_16scan_by_key_implILNS1_25lookback_scan_determinismE0ELb0ES3_N6thrust23THRUST_200600_302600_NS6detail15normal_iteratorINS9_10device_ptrIxEEEESE_SE_xNS9_4plusIvEENS9_8equal_toIvEExEE10hipError_tPvRmT2_T3_T4_T5_mT6_T7_P12ihipStream_tbENKUlT_T0_E_clISt17integral_constantIbLb0EESY_IbLb1EEEEDaSU_SV_EUlSU_E_NS1_11comp_targetILNS1_3genE10ELNS1_11target_archE1200ELNS1_3gpuE4ELNS1_3repE0EEENS1_30default_config_static_selectorELNS0_4arch9wavefront6targetE1EEEvT1_,"axG",@progbits,_ZN7rocprim17ROCPRIM_400000_NS6detail17trampoline_kernelINS0_14default_configENS1_27scan_by_key_config_selectorIxxEEZZNS1_16scan_by_key_implILNS1_25lookback_scan_determinismE0ELb0ES3_N6thrust23THRUST_200600_302600_NS6detail15normal_iteratorINS9_10device_ptrIxEEEESE_SE_xNS9_4plusIvEENS9_8equal_toIvEExEE10hipError_tPvRmT2_T3_T4_T5_mT6_T7_P12ihipStream_tbENKUlT_T0_E_clISt17integral_constantIbLb0EESY_IbLb1EEEEDaSU_SV_EUlSU_E_NS1_11comp_targetILNS1_3genE10ELNS1_11target_archE1200ELNS1_3gpuE4ELNS1_3repE0EEENS1_30default_config_static_selectorELNS0_4arch9wavefront6targetE1EEEvT1_,comdat
	.protected	_ZN7rocprim17ROCPRIM_400000_NS6detail17trampoline_kernelINS0_14default_configENS1_27scan_by_key_config_selectorIxxEEZZNS1_16scan_by_key_implILNS1_25lookback_scan_determinismE0ELb0ES3_N6thrust23THRUST_200600_302600_NS6detail15normal_iteratorINS9_10device_ptrIxEEEESE_SE_xNS9_4plusIvEENS9_8equal_toIvEExEE10hipError_tPvRmT2_T3_T4_T5_mT6_T7_P12ihipStream_tbENKUlT_T0_E_clISt17integral_constantIbLb0EESY_IbLb1EEEEDaSU_SV_EUlSU_E_NS1_11comp_targetILNS1_3genE10ELNS1_11target_archE1200ELNS1_3gpuE4ELNS1_3repE0EEENS1_30default_config_static_selectorELNS0_4arch9wavefront6targetE1EEEvT1_ ; -- Begin function _ZN7rocprim17ROCPRIM_400000_NS6detail17trampoline_kernelINS0_14default_configENS1_27scan_by_key_config_selectorIxxEEZZNS1_16scan_by_key_implILNS1_25lookback_scan_determinismE0ELb0ES3_N6thrust23THRUST_200600_302600_NS6detail15normal_iteratorINS9_10device_ptrIxEEEESE_SE_xNS9_4plusIvEENS9_8equal_toIvEExEE10hipError_tPvRmT2_T3_T4_T5_mT6_T7_P12ihipStream_tbENKUlT_T0_E_clISt17integral_constantIbLb0EESY_IbLb1EEEEDaSU_SV_EUlSU_E_NS1_11comp_targetILNS1_3genE10ELNS1_11target_archE1200ELNS1_3gpuE4ELNS1_3repE0EEENS1_30default_config_static_selectorELNS0_4arch9wavefront6targetE1EEEvT1_
	.globl	_ZN7rocprim17ROCPRIM_400000_NS6detail17trampoline_kernelINS0_14default_configENS1_27scan_by_key_config_selectorIxxEEZZNS1_16scan_by_key_implILNS1_25lookback_scan_determinismE0ELb0ES3_N6thrust23THRUST_200600_302600_NS6detail15normal_iteratorINS9_10device_ptrIxEEEESE_SE_xNS9_4plusIvEENS9_8equal_toIvEExEE10hipError_tPvRmT2_T3_T4_T5_mT6_T7_P12ihipStream_tbENKUlT_T0_E_clISt17integral_constantIbLb0EESY_IbLb1EEEEDaSU_SV_EUlSU_E_NS1_11comp_targetILNS1_3genE10ELNS1_11target_archE1200ELNS1_3gpuE4ELNS1_3repE0EEENS1_30default_config_static_selectorELNS0_4arch9wavefront6targetE1EEEvT1_
	.p2align	8
	.type	_ZN7rocprim17ROCPRIM_400000_NS6detail17trampoline_kernelINS0_14default_configENS1_27scan_by_key_config_selectorIxxEEZZNS1_16scan_by_key_implILNS1_25lookback_scan_determinismE0ELb0ES3_N6thrust23THRUST_200600_302600_NS6detail15normal_iteratorINS9_10device_ptrIxEEEESE_SE_xNS9_4plusIvEENS9_8equal_toIvEExEE10hipError_tPvRmT2_T3_T4_T5_mT6_T7_P12ihipStream_tbENKUlT_T0_E_clISt17integral_constantIbLb0EESY_IbLb1EEEEDaSU_SV_EUlSU_E_NS1_11comp_targetILNS1_3genE10ELNS1_11target_archE1200ELNS1_3gpuE4ELNS1_3repE0EEENS1_30default_config_static_selectorELNS0_4arch9wavefront6targetE1EEEvT1_,@function
_ZN7rocprim17ROCPRIM_400000_NS6detail17trampoline_kernelINS0_14default_configENS1_27scan_by_key_config_selectorIxxEEZZNS1_16scan_by_key_implILNS1_25lookback_scan_determinismE0ELb0ES3_N6thrust23THRUST_200600_302600_NS6detail15normal_iteratorINS9_10device_ptrIxEEEESE_SE_xNS9_4plusIvEENS9_8equal_toIvEExEE10hipError_tPvRmT2_T3_T4_T5_mT6_T7_P12ihipStream_tbENKUlT_T0_E_clISt17integral_constantIbLb0EESY_IbLb1EEEEDaSU_SV_EUlSU_E_NS1_11comp_targetILNS1_3genE10ELNS1_11target_archE1200ELNS1_3gpuE4ELNS1_3repE0EEENS1_30default_config_static_selectorELNS0_4arch9wavefront6targetE1EEEvT1_: ; @_ZN7rocprim17ROCPRIM_400000_NS6detail17trampoline_kernelINS0_14default_configENS1_27scan_by_key_config_selectorIxxEEZZNS1_16scan_by_key_implILNS1_25lookback_scan_determinismE0ELb0ES3_N6thrust23THRUST_200600_302600_NS6detail15normal_iteratorINS9_10device_ptrIxEEEESE_SE_xNS9_4plusIvEENS9_8equal_toIvEExEE10hipError_tPvRmT2_T3_T4_T5_mT6_T7_P12ihipStream_tbENKUlT_T0_E_clISt17integral_constantIbLb0EESY_IbLb1EEEEDaSU_SV_EUlSU_E_NS1_11comp_targetILNS1_3genE10ELNS1_11target_archE1200ELNS1_3gpuE4ELNS1_3repE0EEENS1_30default_config_static_selectorELNS0_4arch9wavefront6targetE1EEEvT1_
; %bb.0:
	.section	.rodata,"a",@progbits
	.p2align	6, 0x0
	.amdhsa_kernel _ZN7rocprim17ROCPRIM_400000_NS6detail17trampoline_kernelINS0_14default_configENS1_27scan_by_key_config_selectorIxxEEZZNS1_16scan_by_key_implILNS1_25lookback_scan_determinismE0ELb0ES3_N6thrust23THRUST_200600_302600_NS6detail15normal_iteratorINS9_10device_ptrIxEEEESE_SE_xNS9_4plusIvEENS9_8equal_toIvEExEE10hipError_tPvRmT2_T3_T4_T5_mT6_T7_P12ihipStream_tbENKUlT_T0_E_clISt17integral_constantIbLb0EESY_IbLb1EEEEDaSU_SV_EUlSU_E_NS1_11comp_targetILNS1_3genE10ELNS1_11target_archE1200ELNS1_3gpuE4ELNS1_3repE0EEENS1_30default_config_static_selectorELNS0_4arch9wavefront6targetE1EEEvT1_
		.amdhsa_group_segment_fixed_size 0
		.amdhsa_private_segment_fixed_size 0
		.amdhsa_kernarg_size 136
		.amdhsa_user_sgpr_count 2
		.amdhsa_user_sgpr_dispatch_ptr 0
		.amdhsa_user_sgpr_queue_ptr 0
		.amdhsa_user_sgpr_kernarg_segment_ptr 1
		.amdhsa_user_sgpr_dispatch_id 0
		.amdhsa_user_sgpr_kernarg_preload_length 0
		.amdhsa_user_sgpr_kernarg_preload_offset 0
		.amdhsa_user_sgpr_private_segment_size 0
		.amdhsa_uses_dynamic_stack 0
		.amdhsa_enable_private_segment 0
		.amdhsa_system_sgpr_workgroup_id_x 1
		.amdhsa_system_sgpr_workgroup_id_y 0
		.amdhsa_system_sgpr_workgroup_id_z 0
		.amdhsa_system_sgpr_workgroup_info 0
		.amdhsa_system_vgpr_workitem_id 0
		.amdhsa_next_free_vgpr 1
		.amdhsa_next_free_sgpr 0
		.amdhsa_accum_offset 4
		.amdhsa_reserve_vcc 0
		.amdhsa_float_round_mode_32 0
		.amdhsa_float_round_mode_16_64 0
		.amdhsa_float_denorm_mode_32 3
		.amdhsa_float_denorm_mode_16_64 3
		.amdhsa_dx10_clamp 1
		.amdhsa_ieee_mode 1
		.amdhsa_fp16_overflow 0
		.amdhsa_tg_split 0
		.amdhsa_exception_fp_ieee_invalid_op 0
		.amdhsa_exception_fp_denorm_src 0
		.amdhsa_exception_fp_ieee_div_zero 0
		.amdhsa_exception_fp_ieee_overflow 0
		.amdhsa_exception_fp_ieee_underflow 0
		.amdhsa_exception_fp_ieee_inexact 0
		.amdhsa_exception_int_div_zero 0
	.end_amdhsa_kernel
	.section	.text._ZN7rocprim17ROCPRIM_400000_NS6detail17trampoline_kernelINS0_14default_configENS1_27scan_by_key_config_selectorIxxEEZZNS1_16scan_by_key_implILNS1_25lookback_scan_determinismE0ELb0ES3_N6thrust23THRUST_200600_302600_NS6detail15normal_iteratorINS9_10device_ptrIxEEEESE_SE_xNS9_4plusIvEENS9_8equal_toIvEExEE10hipError_tPvRmT2_T3_T4_T5_mT6_T7_P12ihipStream_tbENKUlT_T0_E_clISt17integral_constantIbLb0EESY_IbLb1EEEEDaSU_SV_EUlSU_E_NS1_11comp_targetILNS1_3genE10ELNS1_11target_archE1200ELNS1_3gpuE4ELNS1_3repE0EEENS1_30default_config_static_selectorELNS0_4arch9wavefront6targetE1EEEvT1_,"axG",@progbits,_ZN7rocprim17ROCPRIM_400000_NS6detail17trampoline_kernelINS0_14default_configENS1_27scan_by_key_config_selectorIxxEEZZNS1_16scan_by_key_implILNS1_25lookback_scan_determinismE0ELb0ES3_N6thrust23THRUST_200600_302600_NS6detail15normal_iteratorINS9_10device_ptrIxEEEESE_SE_xNS9_4plusIvEENS9_8equal_toIvEExEE10hipError_tPvRmT2_T3_T4_T5_mT6_T7_P12ihipStream_tbENKUlT_T0_E_clISt17integral_constantIbLb0EESY_IbLb1EEEEDaSU_SV_EUlSU_E_NS1_11comp_targetILNS1_3genE10ELNS1_11target_archE1200ELNS1_3gpuE4ELNS1_3repE0EEENS1_30default_config_static_selectorELNS0_4arch9wavefront6targetE1EEEvT1_,comdat
.Lfunc_end44:
	.size	_ZN7rocprim17ROCPRIM_400000_NS6detail17trampoline_kernelINS0_14default_configENS1_27scan_by_key_config_selectorIxxEEZZNS1_16scan_by_key_implILNS1_25lookback_scan_determinismE0ELb0ES3_N6thrust23THRUST_200600_302600_NS6detail15normal_iteratorINS9_10device_ptrIxEEEESE_SE_xNS9_4plusIvEENS9_8equal_toIvEExEE10hipError_tPvRmT2_T3_T4_T5_mT6_T7_P12ihipStream_tbENKUlT_T0_E_clISt17integral_constantIbLb0EESY_IbLb1EEEEDaSU_SV_EUlSU_E_NS1_11comp_targetILNS1_3genE10ELNS1_11target_archE1200ELNS1_3gpuE4ELNS1_3repE0EEENS1_30default_config_static_selectorELNS0_4arch9wavefront6targetE1EEEvT1_, .Lfunc_end44-_ZN7rocprim17ROCPRIM_400000_NS6detail17trampoline_kernelINS0_14default_configENS1_27scan_by_key_config_selectorIxxEEZZNS1_16scan_by_key_implILNS1_25lookback_scan_determinismE0ELb0ES3_N6thrust23THRUST_200600_302600_NS6detail15normal_iteratorINS9_10device_ptrIxEEEESE_SE_xNS9_4plusIvEENS9_8equal_toIvEExEE10hipError_tPvRmT2_T3_T4_T5_mT6_T7_P12ihipStream_tbENKUlT_T0_E_clISt17integral_constantIbLb0EESY_IbLb1EEEEDaSU_SV_EUlSU_E_NS1_11comp_targetILNS1_3genE10ELNS1_11target_archE1200ELNS1_3gpuE4ELNS1_3repE0EEENS1_30default_config_static_selectorELNS0_4arch9wavefront6targetE1EEEvT1_
                                        ; -- End function
	.section	.AMDGPU.csdata,"",@progbits
; Kernel info:
; codeLenInByte = 0
; NumSgprs: 6
; NumVgprs: 0
; NumAgprs: 0
; TotalNumVgprs: 0
; ScratchSize: 0
; MemoryBound: 0
; FloatMode: 240
; IeeeMode: 1
; LDSByteSize: 0 bytes/workgroup (compile time only)
; SGPRBlocks: 0
; VGPRBlocks: 0
; NumSGPRsForWavesPerEU: 6
; NumVGPRsForWavesPerEU: 1
; AccumOffset: 4
; Occupancy: 8
; WaveLimiterHint : 0
; COMPUTE_PGM_RSRC2:SCRATCH_EN: 0
; COMPUTE_PGM_RSRC2:USER_SGPR: 2
; COMPUTE_PGM_RSRC2:TRAP_HANDLER: 0
; COMPUTE_PGM_RSRC2:TGID_X_EN: 1
; COMPUTE_PGM_RSRC2:TGID_Y_EN: 0
; COMPUTE_PGM_RSRC2:TGID_Z_EN: 0
; COMPUTE_PGM_RSRC2:TIDIG_COMP_CNT: 0
; COMPUTE_PGM_RSRC3_GFX90A:ACCUM_OFFSET: 0
; COMPUTE_PGM_RSRC3_GFX90A:TG_SPLIT: 0
	.section	.text._ZN7rocprim17ROCPRIM_400000_NS6detail17trampoline_kernelINS0_14default_configENS1_27scan_by_key_config_selectorIxxEEZZNS1_16scan_by_key_implILNS1_25lookback_scan_determinismE0ELb0ES3_N6thrust23THRUST_200600_302600_NS6detail15normal_iteratorINS9_10device_ptrIxEEEESE_SE_xNS9_4plusIvEENS9_8equal_toIvEExEE10hipError_tPvRmT2_T3_T4_T5_mT6_T7_P12ihipStream_tbENKUlT_T0_E_clISt17integral_constantIbLb0EESY_IbLb1EEEEDaSU_SV_EUlSU_E_NS1_11comp_targetILNS1_3genE9ELNS1_11target_archE1100ELNS1_3gpuE3ELNS1_3repE0EEENS1_30default_config_static_selectorELNS0_4arch9wavefront6targetE1EEEvT1_,"axG",@progbits,_ZN7rocprim17ROCPRIM_400000_NS6detail17trampoline_kernelINS0_14default_configENS1_27scan_by_key_config_selectorIxxEEZZNS1_16scan_by_key_implILNS1_25lookback_scan_determinismE0ELb0ES3_N6thrust23THRUST_200600_302600_NS6detail15normal_iteratorINS9_10device_ptrIxEEEESE_SE_xNS9_4plusIvEENS9_8equal_toIvEExEE10hipError_tPvRmT2_T3_T4_T5_mT6_T7_P12ihipStream_tbENKUlT_T0_E_clISt17integral_constantIbLb0EESY_IbLb1EEEEDaSU_SV_EUlSU_E_NS1_11comp_targetILNS1_3genE9ELNS1_11target_archE1100ELNS1_3gpuE3ELNS1_3repE0EEENS1_30default_config_static_selectorELNS0_4arch9wavefront6targetE1EEEvT1_,comdat
	.protected	_ZN7rocprim17ROCPRIM_400000_NS6detail17trampoline_kernelINS0_14default_configENS1_27scan_by_key_config_selectorIxxEEZZNS1_16scan_by_key_implILNS1_25lookback_scan_determinismE0ELb0ES3_N6thrust23THRUST_200600_302600_NS6detail15normal_iteratorINS9_10device_ptrIxEEEESE_SE_xNS9_4plusIvEENS9_8equal_toIvEExEE10hipError_tPvRmT2_T3_T4_T5_mT6_T7_P12ihipStream_tbENKUlT_T0_E_clISt17integral_constantIbLb0EESY_IbLb1EEEEDaSU_SV_EUlSU_E_NS1_11comp_targetILNS1_3genE9ELNS1_11target_archE1100ELNS1_3gpuE3ELNS1_3repE0EEENS1_30default_config_static_selectorELNS0_4arch9wavefront6targetE1EEEvT1_ ; -- Begin function _ZN7rocprim17ROCPRIM_400000_NS6detail17trampoline_kernelINS0_14default_configENS1_27scan_by_key_config_selectorIxxEEZZNS1_16scan_by_key_implILNS1_25lookback_scan_determinismE0ELb0ES3_N6thrust23THRUST_200600_302600_NS6detail15normal_iteratorINS9_10device_ptrIxEEEESE_SE_xNS9_4plusIvEENS9_8equal_toIvEExEE10hipError_tPvRmT2_T3_T4_T5_mT6_T7_P12ihipStream_tbENKUlT_T0_E_clISt17integral_constantIbLb0EESY_IbLb1EEEEDaSU_SV_EUlSU_E_NS1_11comp_targetILNS1_3genE9ELNS1_11target_archE1100ELNS1_3gpuE3ELNS1_3repE0EEENS1_30default_config_static_selectorELNS0_4arch9wavefront6targetE1EEEvT1_
	.globl	_ZN7rocprim17ROCPRIM_400000_NS6detail17trampoline_kernelINS0_14default_configENS1_27scan_by_key_config_selectorIxxEEZZNS1_16scan_by_key_implILNS1_25lookback_scan_determinismE0ELb0ES3_N6thrust23THRUST_200600_302600_NS6detail15normal_iteratorINS9_10device_ptrIxEEEESE_SE_xNS9_4plusIvEENS9_8equal_toIvEExEE10hipError_tPvRmT2_T3_T4_T5_mT6_T7_P12ihipStream_tbENKUlT_T0_E_clISt17integral_constantIbLb0EESY_IbLb1EEEEDaSU_SV_EUlSU_E_NS1_11comp_targetILNS1_3genE9ELNS1_11target_archE1100ELNS1_3gpuE3ELNS1_3repE0EEENS1_30default_config_static_selectorELNS0_4arch9wavefront6targetE1EEEvT1_
	.p2align	8
	.type	_ZN7rocprim17ROCPRIM_400000_NS6detail17trampoline_kernelINS0_14default_configENS1_27scan_by_key_config_selectorIxxEEZZNS1_16scan_by_key_implILNS1_25lookback_scan_determinismE0ELb0ES3_N6thrust23THRUST_200600_302600_NS6detail15normal_iteratorINS9_10device_ptrIxEEEESE_SE_xNS9_4plusIvEENS9_8equal_toIvEExEE10hipError_tPvRmT2_T3_T4_T5_mT6_T7_P12ihipStream_tbENKUlT_T0_E_clISt17integral_constantIbLb0EESY_IbLb1EEEEDaSU_SV_EUlSU_E_NS1_11comp_targetILNS1_3genE9ELNS1_11target_archE1100ELNS1_3gpuE3ELNS1_3repE0EEENS1_30default_config_static_selectorELNS0_4arch9wavefront6targetE1EEEvT1_,@function
_ZN7rocprim17ROCPRIM_400000_NS6detail17trampoline_kernelINS0_14default_configENS1_27scan_by_key_config_selectorIxxEEZZNS1_16scan_by_key_implILNS1_25lookback_scan_determinismE0ELb0ES3_N6thrust23THRUST_200600_302600_NS6detail15normal_iteratorINS9_10device_ptrIxEEEESE_SE_xNS9_4plusIvEENS9_8equal_toIvEExEE10hipError_tPvRmT2_T3_T4_T5_mT6_T7_P12ihipStream_tbENKUlT_T0_E_clISt17integral_constantIbLb0EESY_IbLb1EEEEDaSU_SV_EUlSU_E_NS1_11comp_targetILNS1_3genE9ELNS1_11target_archE1100ELNS1_3gpuE3ELNS1_3repE0EEENS1_30default_config_static_selectorELNS0_4arch9wavefront6targetE1EEEvT1_: ; @_ZN7rocprim17ROCPRIM_400000_NS6detail17trampoline_kernelINS0_14default_configENS1_27scan_by_key_config_selectorIxxEEZZNS1_16scan_by_key_implILNS1_25lookback_scan_determinismE0ELb0ES3_N6thrust23THRUST_200600_302600_NS6detail15normal_iteratorINS9_10device_ptrIxEEEESE_SE_xNS9_4plusIvEENS9_8equal_toIvEExEE10hipError_tPvRmT2_T3_T4_T5_mT6_T7_P12ihipStream_tbENKUlT_T0_E_clISt17integral_constantIbLb0EESY_IbLb1EEEEDaSU_SV_EUlSU_E_NS1_11comp_targetILNS1_3genE9ELNS1_11target_archE1100ELNS1_3gpuE3ELNS1_3repE0EEENS1_30default_config_static_selectorELNS0_4arch9wavefront6targetE1EEEvT1_
; %bb.0:
	.section	.rodata,"a",@progbits
	.p2align	6, 0x0
	.amdhsa_kernel _ZN7rocprim17ROCPRIM_400000_NS6detail17trampoline_kernelINS0_14default_configENS1_27scan_by_key_config_selectorIxxEEZZNS1_16scan_by_key_implILNS1_25lookback_scan_determinismE0ELb0ES3_N6thrust23THRUST_200600_302600_NS6detail15normal_iteratorINS9_10device_ptrIxEEEESE_SE_xNS9_4plusIvEENS9_8equal_toIvEExEE10hipError_tPvRmT2_T3_T4_T5_mT6_T7_P12ihipStream_tbENKUlT_T0_E_clISt17integral_constantIbLb0EESY_IbLb1EEEEDaSU_SV_EUlSU_E_NS1_11comp_targetILNS1_3genE9ELNS1_11target_archE1100ELNS1_3gpuE3ELNS1_3repE0EEENS1_30default_config_static_selectorELNS0_4arch9wavefront6targetE1EEEvT1_
		.amdhsa_group_segment_fixed_size 0
		.amdhsa_private_segment_fixed_size 0
		.amdhsa_kernarg_size 136
		.amdhsa_user_sgpr_count 2
		.amdhsa_user_sgpr_dispatch_ptr 0
		.amdhsa_user_sgpr_queue_ptr 0
		.amdhsa_user_sgpr_kernarg_segment_ptr 1
		.amdhsa_user_sgpr_dispatch_id 0
		.amdhsa_user_sgpr_kernarg_preload_length 0
		.amdhsa_user_sgpr_kernarg_preload_offset 0
		.amdhsa_user_sgpr_private_segment_size 0
		.amdhsa_uses_dynamic_stack 0
		.amdhsa_enable_private_segment 0
		.amdhsa_system_sgpr_workgroup_id_x 1
		.amdhsa_system_sgpr_workgroup_id_y 0
		.amdhsa_system_sgpr_workgroup_id_z 0
		.amdhsa_system_sgpr_workgroup_info 0
		.amdhsa_system_vgpr_workitem_id 0
		.amdhsa_next_free_vgpr 1
		.amdhsa_next_free_sgpr 0
		.amdhsa_accum_offset 4
		.amdhsa_reserve_vcc 0
		.amdhsa_float_round_mode_32 0
		.amdhsa_float_round_mode_16_64 0
		.amdhsa_float_denorm_mode_32 3
		.amdhsa_float_denorm_mode_16_64 3
		.amdhsa_dx10_clamp 1
		.amdhsa_ieee_mode 1
		.amdhsa_fp16_overflow 0
		.amdhsa_tg_split 0
		.amdhsa_exception_fp_ieee_invalid_op 0
		.amdhsa_exception_fp_denorm_src 0
		.amdhsa_exception_fp_ieee_div_zero 0
		.amdhsa_exception_fp_ieee_overflow 0
		.amdhsa_exception_fp_ieee_underflow 0
		.amdhsa_exception_fp_ieee_inexact 0
		.amdhsa_exception_int_div_zero 0
	.end_amdhsa_kernel
	.section	.text._ZN7rocprim17ROCPRIM_400000_NS6detail17trampoline_kernelINS0_14default_configENS1_27scan_by_key_config_selectorIxxEEZZNS1_16scan_by_key_implILNS1_25lookback_scan_determinismE0ELb0ES3_N6thrust23THRUST_200600_302600_NS6detail15normal_iteratorINS9_10device_ptrIxEEEESE_SE_xNS9_4plusIvEENS9_8equal_toIvEExEE10hipError_tPvRmT2_T3_T4_T5_mT6_T7_P12ihipStream_tbENKUlT_T0_E_clISt17integral_constantIbLb0EESY_IbLb1EEEEDaSU_SV_EUlSU_E_NS1_11comp_targetILNS1_3genE9ELNS1_11target_archE1100ELNS1_3gpuE3ELNS1_3repE0EEENS1_30default_config_static_selectorELNS0_4arch9wavefront6targetE1EEEvT1_,"axG",@progbits,_ZN7rocprim17ROCPRIM_400000_NS6detail17trampoline_kernelINS0_14default_configENS1_27scan_by_key_config_selectorIxxEEZZNS1_16scan_by_key_implILNS1_25lookback_scan_determinismE0ELb0ES3_N6thrust23THRUST_200600_302600_NS6detail15normal_iteratorINS9_10device_ptrIxEEEESE_SE_xNS9_4plusIvEENS9_8equal_toIvEExEE10hipError_tPvRmT2_T3_T4_T5_mT6_T7_P12ihipStream_tbENKUlT_T0_E_clISt17integral_constantIbLb0EESY_IbLb1EEEEDaSU_SV_EUlSU_E_NS1_11comp_targetILNS1_3genE9ELNS1_11target_archE1100ELNS1_3gpuE3ELNS1_3repE0EEENS1_30default_config_static_selectorELNS0_4arch9wavefront6targetE1EEEvT1_,comdat
.Lfunc_end45:
	.size	_ZN7rocprim17ROCPRIM_400000_NS6detail17trampoline_kernelINS0_14default_configENS1_27scan_by_key_config_selectorIxxEEZZNS1_16scan_by_key_implILNS1_25lookback_scan_determinismE0ELb0ES3_N6thrust23THRUST_200600_302600_NS6detail15normal_iteratorINS9_10device_ptrIxEEEESE_SE_xNS9_4plusIvEENS9_8equal_toIvEExEE10hipError_tPvRmT2_T3_T4_T5_mT6_T7_P12ihipStream_tbENKUlT_T0_E_clISt17integral_constantIbLb0EESY_IbLb1EEEEDaSU_SV_EUlSU_E_NS1_11comp_targetILNS1_3genE9ELNS1_11target_archE1100ELNS1_3gpuE3ELNS1_3repE0EEENS1_30default_config_static_selectorELNS0_4arch9wavefront6targetE1EEEvT1_, .Lfunc_end45-_ZN7rocprim17ROCPRIM_400000_NS6detail17trampoline_kernelINS0_14default_configENS1_27scan_by_key_config_selectorIxxEEZZNS1_16scan_by_key_implILNS1_25lookback_scan_determinismE0ELb0ES3_N6thrust23THRUST_200600_302600_NS6detail15normal_iteratorINS9_10device_ptrIxEEEESE_SE_xNS9_4plusIvEENS9_8equal_toIvEExEE10hipError_tPvRmT2_T3_T4_T5_mT6_T7_P12ihipStream_tbENKUlT_T0_E_clISt17integral_constantIbLb0EESY_IbLb1EEEEDaSU_SV_EUlSU_E_NS1_11comp_targetILNS1_3genE9ELNS1_11target_archE1100ELNS1_3gpuE3ELNS1_3repE0EEENS1_30default_config_static_selectorELNS0_4arch9wavefront6targetE1EEEvT1_
                                        ; -- End function
	.section	.AMDGPU.csdata,"",@progbits
; Kernel info:
; codeLenInByte = 0
; NumSgprs: 6
; NumVgprs: 0
; NumAgprs: 0
; TotalNumVgprs: 0
; ScratchSize: 0
; MemoryBound: 0
; FloatMode: 240
; IeeeMode: 1
; LDSByteSize: 0 bytes/workgroup (compile time only)
; SGPRBlocks: 0
; VGPRBlocks: 0
; NumSGPRsForWavesPerEU: 6
; NumVGPRsForWavesPerEU: 1
; AccumOffset: 4
; Occupancy: 8
; WaveLimiterHint : 0
; COMPUTE_PGM_RSRC2:SCRATCH_EN: 0
; COMPUTE_PGM_RSRC2:USER_SGPR: 2
; COMPUTE_PGM_RSRC2:TRAP_HANDLER: 0
; COMPUTE_PGM_RSRC2:TGID_X_EN: 1
; COMPUTE_PGM_RSRC2:TGID_Y_EN: 0
; COMPUTE_PGM_RSRC2:TGID_Z_EN: 0
; COMPUTE_PGM_RSRC2:TIDIG_COMP_CNT: 0
; COMPUTE_PGM_RSRC3_GFX90A:ACCUM_OFFSET: 0
; COMPUTE_PGM_RSRC3_GFX90A:TG_SPLIT: 0
	.section	.text._ZN7rocprim17ROCPRIM_400000_NS6detail17trampoline_kernelINS0_14default_configENS1_27scan_by_key_config_selectorIxxEEZZNS1_16scan_by_key_implILNS1_25lookback_scan_determinismE0ELb0ES3_N6thrust23THRUST_200600_302600_NS6detail15normal_iteratorINS9_10device_ptrIxEEEESE_SE_xNS9_4plusIvEENS9_8equal_toIvEExEE10hipError_tPvRmT2_T3_T4_T5_mT6_T7_P12ihipStream_tbENKUlT_T0_E_clISt17integral_constantIbLb0EESY_IbLb1EEEEDaSU_SV_EUlSU_E_NS1_11comp_targetILNS1_3genE8ELNS1_11target_archE1030ELNS1_3gpuE2ELNS1_3repE0EEENS1_30default_config_static_selectorELNS0_4arch9wavefront6targetE1EEEvT1_,"axG",@progbits,_ZN7rocprim17ROCPRIM_400000_NS6detail17trampoline_kernelINS0_14default_configENS1_27scan_by_key_config_selectorIxxEEZZNS1_16scan_by_key_implILNS1_25lookback_scan_determinismE0ELb0ES3_N6thrust23THRUST_200600_302600_NS6detail15normal_iteratorINS9_10device_ptrIxEEEESE_SE_xNS9_4plusIvEENS9_8equal_toIvEExEE10hipError_tPvRmT2_T3_T4_T5_mT6_T7_P12ihipStream_tbENKUlT_T0_E_clISt17integral_constantIbLb0EESY_IbLb1EEEEDaSU_SV_EUlSU_E_NS1_11comp_targetILNS1_3genE8ELNS1_11target_archE1030ELNS1_3gpuE2ELNS1_3repE0EEENS1_30default_config_static_selectorELNS0_4arch9wavefront6targetE1EEEvT1_,comdat
	.protected	_ZN7rocprim17ROCPRIM_400000_NS6detail17trampoline_kernelINS0_14default_configENS1_27scan_by_key_config_selectorIxxEEZZNS1_16scan_by_key_implILNS1_25lookback_scan_determinismE0ELb0ES3_N6thrust23THRUST_200600_302600_NS6detail15normal_iteratorINS9_10device_ptrIxEEEESE_SE_xNS9_4plusIvEENS9_8equal_toIvEExEE10hipError_tPvRmT2_T3_T4_T5_mT6_T7_P12ihipStream_tbENKUlT_T0_E_clISt17integral_constantIbLb0EESY_IbLb1EEEEDaSU_SV_EUlSU_E_NS1_11comp_targetILNS1_3genE8ELNS1_11target_archE1030ELNS1_3gpuE2ELNS1_3repE0EEENS1_30default_config_static_selectorELNS0_4arch9wavefront6targetE1EEEvT1_ ; -- Begin function _ZN7rocprim17ROCPRIM_400000_NS6detail17trampoline_kernelINS0_14default_configENS1_27scan_by_key_config_selectorIxxEEZZNS1_16scan_by_key_implILNS1_25lookback_scan_determinismE0ELb0ES3_N6thrust23THRUST_200600_302600_NS6detail15normal_iteratorINS9_10device_ptrIxEEEESE_SE_xNS9_4plusIvEENS9_8equal_toIvEExEE10hipError_tPvRmT2_T3_T4_T5_mT6_T7_P12ihipStream_tbENKUlT_T0_E_clISt17integral_constantIbLb0EESY_IbLb1EEEEDaSU_SV_EUlSU_E_NS1_11comp_targetILNS1_3genE8ELNS1_11target_archE1030ELNS1_3gpuE2ELNS1_3repE0EEENS1_30default_config_static_selectorELNS0_4arch9wavefront6targetE1EEEvT1_
	.globl	_ZN7rocprim17ROCPRIM_400000_NS6detail17trampoline_kernelINS0_14default_configENS1_27scan_by_key_config_selectorIxxEEZZNS1_16scan_by_key_implILNS1_25lookback_scan_determinismE0ELb0ES3_N6thrust23THRUST_200600_302600_NS6detail15normal_iteratorINS9_10device_ptrIxEEEESE_SE_xNS9_4plusIvEENS9_8equal_toIvEExEE10hipError_tPvRmT2_T3_T4_T5_mT6_T7_P12ihipStream_tbENKUlT_T0_E_clISt17integral_constantIbLb0EESY_IbLb1EEEEDaSU_SV_EUlSU_E_NS1_11comp_targetILNS1_3genE8ELNS1_11target_archE1030ELNS1_3gpuE2ELNS1_3repE0EEENS1_30default_config_static_selectorELNS0_4arch9wavefront6targetE1EEEvT1_
	.p2align	8
	.type	_ZN7rocprim17ROCPRIM_400000_NS6detail17trampoline_kernelINS0_14default_configENS1_27scan_by_key_config_selectorIxxEEZZNS1_16scan_by_key_implILNS1_25lookback_scan_determinismE0ELb0ES3_N6thrust23THRUST_200600_302600_NS6detail15normal_iteratorINS9_10device_ptrIxEEEESE_SE_xNS9_4plusIvEENS9_8equal_toIvEExEE10hipError_tPvRmT2_T3_T4_T5_mT6_T7_P12ihipStream_tbENKUlT_T0_E_clISt17integral_constantIbLb0EESY_IbLb1EEEEDaSU_SV_EUlSU_E_NS1_11comp_targetILNS1_3genE8ELNS1_11target_archE1030ELNS1_3gpuE2ELNS1_3repE0EEENS1_30default_config_static_selectorELNS0_4arch9wavefront6targetE1EEEvT1_,@function
_ZN7rocprim17ROCPRIM_400000_NS6detail17trampoline_kernelINS0_14default_configENS1_27scan_by_key_config_selectorIxxEEZZNS1_16scan_by_key_implILNS1_25lookback_scan_determinismE0ELb0ES3_N6thrust23THRUST_200600_302600_NS6detail15normal_iteratorINS9_10device_ptrIxEEEESE_SE_xNS9_4plusIvEENS9_8equal_toIvEExEE10hipError_tPvRmT2_T3_T4_T5_mT6_T7_P12ihipStream_tbENKUlT_T0_E_clISt17integral_constantIbLb0EESY_IbLb1EEEEDaSU_SV_EUlSU_E_NS1_11comp_targetILNS1_3genE8ELNS1_11target_archE1030ELNS1_3gpuE2ELNS1_3repE0EEENS1_30default_config_static_selectorELNS0_4arch9wavefront6targetE1EEEvT1_: ; @_ZN7rocprim17ROCPRIM_400000_NS6detail17trampoline_kernelINS0_14default_configENS1_27scan_by_key_config_selectorIxxEEZZNS1_16scan_by_key_implILNS1_25lookback_scan_determinismE0ELb0ES3_N6thrust23THRUST_200600_302600_NS6detail15normal_iteratorINS9_10device_ptrIxEEEESE_SE_xNS9_4plusIvEENS9_8equal_toIvEExEE10hipError_tPvRmT2_T3_T4_T5_mT6_T7_P12ihipStream_tbENKUlT_T0_E_clISt17integral_constantIbLb0EESY_IbLb1EEEEDaSU_SV_EUlSU_E_NS1_11comp_targetILNS1_3genE8ELNS1_11target_archE1030ELNS1_3gpuE2ELNS1_3repE0EEENS1_30default_config_static_selectorELNS0_4arch9wavefront6targetE1EEEvT1_
; %bb.0:
	.section	.rodata,"a",@progbits
	.p2align	6, 0x0
	.amdhsa_kernel _ZN7rocprim17ROCPRIM_400000_NS6detail17trampoline_kernelINS0_14default_configENS1_27scan_by_key_config_selectorIxxEEZZNS1_16scan_by_key_implILNS1_25lookback_scan_determinismE0ELb0ES3_N6thrust23THRUST_200600_302600_NS6detail15normal_iteratorINS9_10device_ptrIxEEEESE_SE_xNS9_4plusIvEENS9_8equal_toIvEExEE10hipError_tPvRmT2_T3_T4_T5_mT6_T7_P12ihipStream_tbENKUlT_T0_E_clISt17integral_constantIbLb0EESY_IbLb1EEEEDaSU_SV_EUlSU_E_NS1_11comp_targetILNS1_3genE8ELNS1_11target_archE1030ELNS1_3gpuE2ELNS1_3repE0EEENS1_30default_config_static_selectorELNS0_4arch9wavefront6targetE1EEEvT1_
		.amdhsa_group_segment_fixed_size 0
		.amdhsa_private_segment_fixed_size 0
		.amdhsa_kernarg_size 136
		.amdhsa_user_sgpr_count 2
		.amdhsa_user_sgpr_dispatch_ptr 0
		.amdhsa_user_sgpr_queue_ptr 0
		.amdhsa_user_sgpr_kernarg_segment_ptr 1
		.amdhsa_user_sgpr_dispatch_id 0
		.amdhsa_user_sgpr_kernarg_preload_length 0
		.amdhsa_user_sgpr_kernarg_preload_offset 0
		.amdhsa_user_sgpr_private_segment_size 0
		.amdhsa_uses_dynamic_stack 0
		.amdhsa_enable_private_segment 0
		.amdhsa_system_sgpr_workgroup_id_x 1
		.amdhsa_system_sgpr_workgroup_id_y 0
		.amdhsa_system_sgpr_workgroup_id_z 0
		.amdhsa_system_sgpr_workgroup_info 0
		.amdhsa_system_vgpr_workitem_id 0
		.amdhsa_next_free_vgpr 1
		.amdhsa_next_free_sgpr 0
		.amdhsa_accum_offset 4
		.amdhsa_reserve_vcc 0
		.amdhsa_float_round_mode_32 0
		.amdhsa_float_round_mode_16_64 0
		.amdhsa_float_denorm_mode_32 3
		.amdhsa_float_denorm_mode_16_64 3
		.amdhsa_dx10_clamp 1
		.amdhsa_ieee_mode 1
		.amdhsa_fp16_overflow 0
		.amdhsa_tg_split 0
		.amdhsa_exception_fp_ieee_invalid_op 0
		.amdhsa_exception_fp_denorm_src 0
		.amdhsa_exception_fp_ieee_div_zero 0
		.amdhsa_exception_fp_ieee_overflow 0
		.amdhsa_exception_fp_ieee_underflow 0
		.amdhsa_exception_fp_ieee_inexact 0
		.amdhsa_exception_int_div_zero 0
	.end_amdhsa_kernel
	.section	.text._ZN7rocprim17ROCPRIM_400000_NS6detail17trampoline_kernelINS0_14default_configENS1_27scan_by_key_config_selectorIxxEEZZNS1_16scan_by_key_implILNS1_25lookback_scan_determinismE0ELb0ES3_N6thrust23THRUST_200600_302600_NS6detail15normal_iteratorINS9_10device_ptrIxEEEESE_SE_xNS9_4plusIvEENS9_8equal_toIvEExEE10hipError_tPvRmT2_T3_T4_T5_mT6_T7_P12ihipStream_tbENKUlT_T0_E_clISt17integral_constantIbLb0EESY_IbLb1EEEEDaSU_SV_EUlSU_E_NS1_11comp_targetILNS1_3genE8ELNS1_11target_archE1030ELNS1_3gpuE2ELNS1_3repE0EEENS1_30default_config_static_selectorELNS0_4arch9wavefront6targetE1EEEvT1_,"axG",@progbits,_ZN7rocprim17ROCPRIM_400000_NS6detail17trampoline_kernelINS0_14default_configENS1_27scan_by_key_config_selectorIxxEEZZNS1_16scan_by_key_implILNS1_25lookback_scan_determinismE0ELb0ES3_N6thrust23THRUST_200600_302600_NS6detail15normal_iteratorINS9_10device_ptrIxEEEESE_SE_xNS9_4plusIvEENS9_8equal_toIvEExEE10hipError_tPvRmT2_T3_T4_T5_mT6_T7_P12ihipStream_tbENKUlT_T0_E_clISt17integral_constantIbLb0EESY_IbLb1EEEEDaSU_SV_EUlSU_E_NS1_11comp_targetILNS1_3genE8ELNS1_11target_archE1030ELNS1_3gpuE2ELNS1_3repE0EEENS1_30default_config_static_selectorELNS0_4arch9wavefront6targetE1EEEvT1_,comdat
.Lfunc_end46:
	.size	_ZN7rocprim17ROCPRIM_400000_NS6detail17trampoline_kernelINS0_14default_configENS1_27scan_by_key_config_selectorIxxEEZZNS1_16scan_by_key_implILNS1_25lookback_scan_determinismE0ELb0ES3_N6thrust23THRUST_200600_302600_NS6detail15normal_iteratorINS9_10device_ptrIxEEEESE_SE_xNS9_4plusIvEENS9_8equal_toIvEExEE10hipError_tPvRmT2_T3_T4_T5_mT6_T7_P12ihipStream_tbENKUlT_T0_E_clISt17integral_constantIbLb0EESY_IbLb1EEEEDaSU_SV_EUlSU_E_NS1_11comp_targetILNS1_3genE8ELNS1_11target_archE1030ELNS1_3gpuE2ELNS1_3repE0EEENS1_30default_config_static_selectorELNS0_4arch9wavefront6targetE1EEEvT1_, .Lfunc_end46-_ZN7rocprim17ROCPRIM_400000_NS6detail17trampoline_kernelINS0_14default_configENS1_27scan_by_key_config_selectorIxxEEZZNS1_16scan_by_key_implILNS1_25lookback_scan_determinismE0ELb0ES3_N6thrust23THRUST_200600_302600_NS6detail15normal_iteratorINS9_10device_ptrIxEEEESE_SE_xNS9_4plusIvEENS9_8equal_toIvEExEE10hipError_tPvRmT2_T3_T4_T5_mT6_T7_P12ihipStream_tbENKUlT_T0_E_clISt17integral_constantIbLb0EESY_IbLb1EEEEDaSU_SV_EUlSU_E_NS1_11comp_targetILNS1_3genE8ELNS1_11target_archE1030ELNS1_3gpuE2ELNS1_3repE0EEENS1_30default_config_static_selectorELNS0_4arch9wavefront6targetE1EEEvT1_
                                        ; -- End function
	.section	.AMDGPU.csdata,"",@progbits
; Kernel info:
; codeLenInByte = 0
; NumSgprs: 6
; NumVgprs: 0
; NumAgprs: 0
; TotalNumVgprs: 0
; ScratchSize: 0
; MemoryBound: 0
; FloatMode: 240
; IeeeMode: 1
; LDSByteSize: 0 bytes/workgroup (compile time only)
; SGPRBlocks: 0
; VGPRBlocks: 0
; NumSGPRsForWavesPerEU: 6
; NumVGPRsForWavesPerEU: 1
; AccumOffset: 4
; Occupancy: 8
; WaveLimiterHint : 0
; COMPUTE_PGM_RSRC2:SCRATCH_EN: 0
; COMPUTE_PGM_RSRC2:USER_SGPR: 2
; COMPUTE_PGM_RSRC2:TRAP_HANDLER: 0
; COMPUTE_PGM_RSRC2:TGID_X_EN: 1
; COMPUTE_PGM_RSRC2:TGID_Y_EN: 0
; COMPUTE_PGM_RSRC2:TGID_Z_EN: 0
; COMPUTE_PGM_RSRC2:TIDIG_COMP_CNT: 0
; COMPUTE_PGM_RSRC3_GFX90A:ACCUM_OFFSET: 0
; COMPUTE_PGM_RSRC3_GFX90A:TG_SPLIT: 0
	.section	.text._ZN7rocprim17ROCPRIM_400000_NS6detail17trampoline_kernelINS0_14default_configENS1_27scan_by_key_config_selectorIxxEEZZNS1_16scan_by_key_implILNS1_25lookback_scan_determinismE0ELb0ES3_N6thrust23THRUST_200600_302600_NS6detail15normal_iteratorINS9_10device_ptrIxEEEESE_SE_xNS9_10multipliesIxEENS9_8equal_toIxEExEE10hipError_tPvRmT2_T3_T4_T5_mT6_T7_P12ihipStream_tbENKUlT_T0_E_clISt17integral_constantIbLb0EESZ_EEDaSU_SV_EUlSU_E_NS1_11comp_targetILNS1_3genE0ELNS1_11target_archE4294967295ELNS1_3gpuE0ELNS1_3repE0EEENS1_30default_config_static_selectorELNS0_4arch9wavefront6targetE1EEEvT1_,"axG",@progbits,_ZN7rocprim17ROCPRIM_400000_NS6detail17trampoline_kernelINS0_14default_configENS1_27scan_by_key_config_selectorIxxEEZZNS1_16scan_by_key_implILNS1_25lookback_scan_determinismE0ELb0ES3_N6thrust23THRUST_200600_302600_NS6detail15normal_iteratorINS9_10device_ptrIxEEEESE_SE_xNS9_10multipliesIxEENS9_8equal_toIxEExEE10hipError_tPvRmT2_T3_T4_T5_mT6_T7_P12ihipStream_tbENKUlT_T0_E_clISt17integral_constantIbLb0EESZ_EEDaSU_SV_EUlSU_E_NS1_11comp_targetILNS1_3genE0ELNS1_11target_archE4294967295ELNS1_3gpuE0ELNS1_3repE0EEENS1_30default_config_static_selectorELNS0_4arch9wavefront6targetE1EEEvT1_,comdat
	.protected	_ZN7rocprim17ROCPRIM_400000_NS6detail17trampoline_kernelINS0_14default_configENS1_27scan_by_key_config_selectorIxxEEZZNS1_16scan_by_key_implILNS1_25lookback_scan_determinismE0ELb0ES3_N6thrust23THRUST_200600_302600_NS6detail15normal_iteratorINS9_10device_ptrIxEEEESE_SE_xNS9_10multipliesIxEENS9_8equal_toIxEExEE10hipError_tPvRmT2_T3_T4_T5_mT6_T7_P12ihipStream_tbENKUlT_T0_E_clISt17integral_constantIbLb0EESZ_EEDaSU_SV_EUlSU_E_NS1_11comp_targetILNS1_3genE0ELNS1_11target_archE4294967295ELNS1_3gpuE0ELNS1_3repE0EEENS1_30default_config_static_selectorELNS0_4arch9wavefront6targetE1EEEvT1_ ; -- Begin function _ZN7rocprim17ROCPRIM_400000_NS6detail17trampoline_kernelINS0_14default_configENS1_27scan_by_key_config_selectorIxxEEZZNS1_16scan_by_key_implILNS1_25lookback_scan_determinismE0ELb0ES3_N6thrust23THRUST_200600_302600_NS6detail15normal_iteratorINS9_10device_ptrIxEEEESE_SE_xNS9_10multipliesIxEENS9_8equal_toIxEExEE10hipError_tPvRmT2_T3_T4_T5_mT6_T7_P12ihipStream_tbENKUlT_T0_E_clISt17integral_constantIbLb0EESZ_EEDaSU_SV_EUlSU_E_NS1_11comp_targetILNS1_3genE0ELNS1_11target_archE4294967295ELNS1_3gpuE0ELNS1_3repE0EEENS1_30default_config_static_selectorELNS0_4arch9wavefront6targetE1EEEvT1_
	.globl	_ZN7rocprim17ROCPRIM_400000_NS6detail17trampoline_kernelINS0_14default_configENS1_27scan_by_key_config_selectorIxxEEZZNS1_16scan_by_key_implILNS1_25lookback_scan_determinismE0ELb0ES3_N6thrust23THRUST_200600_302600_NS6detail15normal_iteratorINS9_10device_ptrIxEEEESE_SE_xNS9_10multipliesIxEENS9_8equal_toIxEExEE10hipError_tPvRmT2_T3_T4_T5_mT6_T7_P12ihipStream_tbENKUlT_T0_E_clISt17integral_constantIbLb0EESZ_EEDaSU_SV_EUlSU_E_NS1_11comp_targetILNS1_3genE0ELNS1_11target_archE4294967295ELNS1_3gpuE0ELNS1_3repE0EEENS1_30default_config_static_selectorELNS0_4arch9wavefront6targetE1EEEvT1_
	.p2align	8
	.type	_ZN7rocprim17ROCPRIM_400000_NS6detail17trampoline_kernelINS0_14default_configENS1_27scan_by_key_config_selectorIxxEEZZNS1_16scan_by_key_implILNS1_25lookback_scan_determinismE0ELb0ES3_N6thrust23THRUST_200600_302600_NS6detail15normal_iteratorINS9_10device_ptrIxEEEESE_SE_xNS9_10multipliesIxEENS9_8equal_toIxEExEE10hipError_tPvRmT2_T3_T4_T5_mT6_T7_P12ihipStream_tbENKUlT_T0_E_clISt17integral_constantIbLb0EESZ_EEDaSU_SV_EUlSU_E_NS1_11comp_targetILNS1_3genE0ELNS1_11target_archE4294967295ELNS1_3gpuE0ELNS1_3repE0EEENS1_30default_config_static_selectorELNS0_4arch9wavefront6targetE1EEEvT1_,@function
_ZN7rocprim17ROCPRIM_400000_NS6detail17trampoline_kernelINS0_14default_configENS1_27scan_by_key_config_selectorIxxEEZZNS1_16scan_by_key_implILNS1_25lookback_scan_determinismE0ELb0ES3_N6thrust23THRUST_200600_302600_NS6detail15normal_iteratorINS9_10device_ptrIxEEEESE_SE_xNS9_10multipliesIxEENS9_8equal_toIxEExEE10hipError_tPvRmT2_T3_T4_T5_mT6_T7_P12ihipStream_tbENKUlT_T0_E_clISt17integral_constantIbLb0EESZ_EEDaSU_SV_EUlSU_E_NS1_11comp_targetILNS1_3genE0ELNS1_11target_archE4294967295ELNS1_3gpuE0ELNS1_3repE0EEENS1_30default_config_static_selectorELNS0_4arch9wavefront6targetE1EEEvT1_: ; @_ZN7rocprim17ROCPRIM_400000_NS6detail17trampoline_kernelINS0_14default_configENS1_27scan_by_key_config_selectorIxxEEZZNS1_16scan_by_key_implILNS1_25lookback_scan_determinismE0ELb0ES3_N6thrust23THRUST_200600_302600_NS6detail15normal_iteratorINS9_10device_ptrIxEEEESE_SE_xNS9_10multipliesIxEENS9_8equal_toIxEExEE10hipError_tPvRmT2_T3_T4_T5_mT6_T7_P12ihipStream_tbENKUlT_T0_E_clISt17integral_constantIbLb0EESZ_EEDaSU_SV_EUlSU_E_NS1_11comp_targetILNS1_3genE0ELNS1_11target_archE4294967295ELNS1_3gpuE0ELNS1_3repE0EEENS1_30default_config_static_selectorELNS0_4arch9wavefront6targetE1EEEvT1_
; %bb.0:
	.section	.rodata,"a",@progbits
	.p2align	6, 0x0
	.amdhsa_kernel _ZN7rocprim17ROCPRIM_400000_NS6detail17trampoline_kernelINS0_14default_configENS1_27scan_by_key_config_selectorIxxEEZZNS1_16scan_by_key_implILNS1_25lookback_scan_determinismE0ELb0ES3_N6thrust23THRUST_200600_302600_NS6detail15normal_iteratorINS9_10device_ptrIxEEEESE_SE_xNS9_10multipliesIxEENS9_8equal_toIxEExEE10hipError_tPvRmT2_T3_T4_T5_mT6_T7_P12ihipStream_tbENKUlT_T0_E_clISt17integral_constantIbLb0EESZ_EEDaSU_SV_EUlSU_E_NS1_11comp_targetILNS1_3genE0ELNS1_11target_archE4294967295ELNS1_3gpuE0ELNS1_3repE0EEENS1_30default_config_static_selectorELNS0_4arch9wavefront6targetE1EEEvT1_
		.amdhsa_group_segment_fixed_size 0
		.amdhsa_private_segment_fixed_size 0
		.amdhsa_kernarg_size 136
		.amdhsa_user_sgpr_count 2
		.amdhsa_user_sgpr_dispatch_ptr 0
		.amdhsa_user_sgpr_queue_ptr 0
		.amdhsa_user_sgpr_kernarg_segment_ptr 1
		.amdhsa_user_sgpr_dispatch_id 0
		.amdhsa_user_sgpr_kernarg_preload_length 0
		.amdhsa_user_sgpr_kernarg_preload_offset 0
		.amdhsa_user_sgpr_private_segment_size 0
		.amdhsa_uses_dynamic_stack 0
		.amdhsa_enable_private_segment 0
		.amdhsa_system_sgpr_workgroup_id_x 1
		.amdhsa_system_sgpr_workgroup_id_y 0
		.amdhsa_system_sgpr_workgroup_id_z 0
		.amdhsa_system_sgpr_workgroup_info 0
		.amdhsa_system_vgpr_workitem_id 0
		.amdhsa_next_free_vgpr 1
		.amdhsa_next_free_sgpr 0
		.amdhsa_accum_offset 4
		.amdhsa_reserve_vcc 0
		.amdhsa_float_round_mode_32 0
		.amdhsa_float_round_mode_16_64 0
		.amdhsa_float_denorm_mode_32 3
		.amdhsa_float_denorm_mode_16_64 3
		.amdhsa_dx10_clamp 1
		.amdhsa_ieee_mode 1
		.amdhsa_fp16_overflow 0
		.amdhsa_tg_split 0
		.amdhsa_exception_fp_ieee_invalid_op 0
		.amdhsa_exception_fp_denorm_src 0
		.amdhsa_exception_fp_ieee_div_zero 0
		.amdhsa_exception_fp_ieee_overflow 0
		.amdhsa_exception_fp_ieee_underflow 0
		.amdhsa_exception_fp_ieee_inexact 0
		.amdhsa_exception_int_div_zero 0
	.end_amdhsa_kernel
	.section	.text._ZN7rocprim17ROCPRIM_400000_NS6detail17trampoline_kernelINS0_14default_configENS1_27scan_by_key_config_selectorIxxEEZZNS1_16scan_by_key_implILNS1_25lookback_scan_determinismE0ELb0ES3_N6thrust23THRUST_200600_302600_NS6detail15normal_iteratorINS9_10device_ptrIxEEEESE_SE_xNS9_10multipliesIxEENS9_8equal_toIxEExEE10hipError_tPvRmT2_T3_T4_T5_mT6_T7_P12ihipStream_tbENKUlT_T0_E_clISt17integral_constantIbLb0EESZ_EEDaSU_SV_EUlSU_E_NS1_11comp_targetILNS1_3genE0ELNS1_11target_archE4294967295ELNS1_3gpuE0ELNS1_3repE0EEENS1_30default_config_static_selectorELNS0_4arch9wavefront6targetE1EEEvT1_,"axG",@progbits,_ZN7rocprim17ROCPRIM_400000_NS6detail17trampoline_kernelINS0_14default_configENS1_27scan_by_key_config_selectorIxxEEZZNS1_16scan_by_key_implILNS1_25lookback_scan_determinismE0ELb0ES3_N6thrust23THRUST_200600_302600_NS6detail15normal_iteratorINS9_10device_ptrIxEEEESE_SE_xNS9_10multipliesIxEENS9_8equal_toIxEExEE10hipError_tPvRmT2_T3_T4_T5_mT6_T7_P12ihipStream_tbENKUlT_T0_E_clISt17integral_constantIbLb0EESZ_EEDaSU_SV_EUlSU_E_NS1_11comp_targetILNS1_3genE0ELNS1_11target_archE4294967295ELNS1_3gpuE0ELNS1_3repE0EEENS1_30default_config_static_selectorELNS0_4arch9wavefront6targetE1EEEvT1_,comdat
.Lfunc_end47:
	.size	_ZN7rocprim17ROCPRIM_400000_NS6detail17trampoline_kernelINS0_14default_configENS1_27scan_by_key_config_selectorIxxEEZZNS1_16scan_by_key_implILNS1_25lookback_scan_determinismE0ELb0ES3_N6thrust23THRUST_200600_302600_NS6detail15normal_iteratorINS9_10device_ptrIxEEEESE_SE_xNS9_10multipliesIxEENS9_8equal_toIxEExEE10hipError_tPvRmT2_T3_T4_T5_mT6_T7_P12ihipStream_tbENKUlT_T0_E_clISt17integral_constantIbLb0EESZ_EEDaSU_SV_EUlSU_E_NS1_11comp_targetILNS1_3genE0ELNS1_11target_archE4294967295ELNS1_3gpuE0ELNS1_3repE0EEENS1_30default_config_static_selectorELNS0_4arch9wavefront6targetE1EEEvT1_, .Lfunc_end47-_ZN7rocprim17ROCPRIM_400000_NS6detail17trampoline_kernelINS0_14default_configENS1_27scan_by_key_config_selectorIxxEEZZNS1_16scan_by_key_implILNS1_25lookback_scan_determinismE0ELb0ES3_N6thrust23THRUST_200600_302600_NS6detail15normal_iteratorINS9_10device_ptrIxEEEESE_SE_xNS9_10multipliesIxEENS9_8equal_toIxEExEE10hipError_tPvRmT2_T3_T4_T5_mT6_T7_P12ihipStream_tbENKUlT_T0_E_clISt17integral_constantIbLb0EESZ_EEDaSU_SV_EUlSU_E_NS1_11comp_targetILNS1_3genE0ELNS1_11target_archE4294967295ELNS1_3gpuE0ELNS1_3repE0EEENS1_30default_config_static_selectorELNS0_4arch9wavefront6targetE1EEEvT1_
                                        ; -- End function
	.section	.AMDGPU.csdata,"",@progbits
; Kernel info:
; codeLenInByte = 0
; NumSgprs: 6
; NumVgprs: 0
; NumAgprs: 0
; TotalNumVgprs: 0
; ScratchSize: 0
; MemoryBound: 0
; FloatMode: 240
; IeeeMode: 1
; LDSByteSize: 0 bytes/workgroup (compile time only)
; SGPRBlocks: 0
; VGPRBlocks: 0
; NumSGPRsForWavesPerEU: 6
; NumVGPRsForWavesPerEU: 1
; AccumOffset: 4
; Occupancy: 8
; WaveLimiterHint : 0
; COMPUTE_PGM_RSRC2:SCRATCH_EN: 0
; COMPUTE_PGM_RSRC2:USER_SGPR: 2
; COMPUTE_PGM_RSRC2:TRAP_HANDLER: 0
; COMPUTE_PGM_RSRC2:TGID_X_EN: 1
; COMPUTE_PGM_RSRC2:TGID_Y_EN: 0
; COMPUTE_PGM_RSRC2:TGID_Z_EN: 0
; COMPUTE_PGM_RSRC2:TIDIG_COMP_CNT: 0
; COMPUTE_PGM_RSRC3_GFX90A:ACCUM_OFFSET: 0
; COMPUTE_PGM_RSRC3_GFX90A:TG_SPLIT: 0
	.section	.text._ZN7rocprim17ROCPRIM_400000_NS6detail17trampoline_kernelINS0_14default_configENS1_27scan_by_key_config_selectorIxxEEZZNS1_16scan_by_key_implILNS1_25lookback_scan_determinismE0ELb0ES3_N6thrust23THRUST_200600_302600_NS6detail15normal_iteratorINS9_10device_ptrIxEEEESE_SE_xNS9_10multipliesIxEENS9_8equal_toIxEExEE10hipError_tPvRmT2_T3_T4_T5_mT6_T7_P12ihipStream_tbENKUlT_T0_E_clISt17integral_constantIbLb0EESZ_EEDaSU_SV_EUlSU_E_NS1_11comp_targetILNS1_3genE10ELNS1_11target_archE1201ELNS1_3gpuE5ELNS1_3repE0EEENS1_30default_config_static_selectorELNS0_4arch9wavefront6targetE1EEEvT1_,"axG",@progbits,_ZN7rocprim17ROCPRIM_400000_NS6detail17trampoline_kernelINS0_14default_configENS1_27scan_by_key_config_selectorIxxEEZZNS1_16scan_by_key_implILNS1_25lookback_scan_determinismE0ELb0ES3_N6thrust23THRUST_200600_302600_NS6detail15normal_iteratorINS9_10device_ptrIxEEEESE_SE_xNS9_10multipliesIxEENS9_8equal_toIxEExEE10hipError_tPvRmT2_T3_T4_T5_mT6_T7_P12ihipStream_tbENKUlT_T0_E_clISt17integral_constantIbLb0EESZ_EEDaSU_SV_EUlSU_E_NS1_11comp_targetILNS1_3genE10ELNS1_11target_archE1201ELNS1_3gpuE5ELNS1_3repE0EEENS1_30default_config_static_selectorELNS0_4arch9wavefront6targetE1EEEvT1_,comdat
	.protected	_ZN7rocprim17ROCPRIM_400000_NS6detail17trampoline_kernelINS0_14default_configENS1_27scan_by_key_config_selectorIxxEEZZNS1_16scan_by_key_implILNS1_25lookback_scan_determinismE0ELb0ES3_N6thrust23THRUST_200600_302600_NS6detail15normal_iteratorINS9_10device_ptrIxEEEESE_SE_xNS9_10multipliesIxEENS9_8equal_toIxEExEE10hipError_tPvRmT2_T3_T4_T5_mT6_T7_P12ihipStream_tbENKUlT_T0_E_clISt17integral_constantIbLb0EESZ_EEDaSU_SV_EUlSU_E_NS1_11comp_targetILNS1_3genE10ELNS1_11target_archE1201ELNS1_3gpuE5ELNS1_3repE0EEENS1_30default_config_static_selectorELNS0_4arch9wavefront6targetE1EEEvT1_ ; -- Begin function _ZN7rocprim17ROCPRIM_400000_NS6detail17trampoline_kernelINS0_14default_configENS1_27scan_by_key_config_selectorIxxEEZZNS1_16scan_by_key_implILNS1_25lookback_scan_determinismE0ELb0ES3_N6thrust23THRUST_200600_302600_NS6detail15normal_iteratorINS9_10device_ptrIxEEEESE_SE_xNS9_10multipliesIxEENS9_8equal_toIxEExEE10hipError_tPvRmT2_T3_T4_T5_mT6_T7_P12ihipStream_tbENKUlT_T0_E_clISt17integral_constantIbLb0EESZ_EEDaSU_SV_EUlSU_E_NS1_11comp_targetILNS1_3genE10ELNS1_11target_archE1201ELNS1_3gpuE5ELNS1_3repE0EEENS1_30default_config_static_selectorELNS0_4arch9wavefront6targetE1EEEvT1_
	.globl	_ZN7rocprim17ROCPRIM_400000_NS6detail17trampoline_kernelINS0_14default_configENS1_27scan_by_key_config_selectorIxxEEZZNS1_16scan_by_key_implILNS1_25lookback_scan_determinismE0ELb0ES3_N6thrust23THRUST_200600_302600_NS6detail15normal_iteratorINS9_10device_ptrIxEEEESE_SE_xNS9_10multipliesIxEENS9_8equal_toIxEExEE10hipError_tPvRmT2_T3_T4_T5_mT6_T7_P12ihipStream_tbENKUlT_T0_E_clISt17integral_constantIbLb0EESZ_EEDaSU_SV_EUlSU_E_NS1_11comp_targetILNS1_3genE10ELNS1_11target_archE1201ELNS1_3gpuE5ELNS1_3repE0EEENS1_30default_config_static_selectorELNS0_4arch9wavefront6targetE1EEEvT1_
	.p2align	8
	.type	_ZN7rocprim17ROCPRIM_400000_NS6detail17trampoline_kernelINS0_14default_configENS1_27scan_by_key_config_selectorIxxEEZZNS1_16scan_by_key_implILNS1_25lookback_scan_determinismE0ELb0ES3_N6thrust23THRUST_200600_302600_NS6detail15normal_iteratorINS9_10device_ptrIxEEEESE_SE_xNS9_10multipliesIxEENS9_8equal_toIxEExEE10hipError_tPvRmT2_T3_T4_T5_mT6_T7_P12ihipStream_tbENKUlT_T0_E_clISt17integral_constantIbLb0EESZ_EEDaSU_SV_EUlSU_E_NS1_11comp_targetILNS1_3genE10ELNS1_11target_archE1201ELNS1_3gpuE5ELNS1_3repE0EEENS1_30default_config_static_selectorELNS0_4arch9wavefront6targetE1EEEvT1_,@function
_ZN7rocprim17ROCPRIM_400000_NS6detail17trampoline_kernelINS0_14default_configENS1_27scan_by_key_config_selectorIxxEEZZNS1_16scan_by_key_implILNS1_25lookback_scan_determinismE0ELb0ES3_N6thrust23THRUST_200600_302600_NS6detail15normal_iteratorINS9_10device_ptrIxEEEESE_SE_xNS9_10multipliesIxEENS9_8equal_toIxEExEE10hipError_tPvRmT2_T3_T4_T5_mT6_T7_P12ihipStream_tbENKUlT_T0_E_clISt17integral_constantIbLb0EESZ_EEDaSU_SV_EUlSU_E_NS1_11comp_targetILNS1_3genE10ELNS1_11target_archE1201ELNS1_3gpuE5ELNS1_3repE0EEENS1_30default_config_static_selectorELNS0_4arch9wavefront6targetE1EEEvT1_: ; @_ZN7rocprim17ROCPRIM_400000_NS6detail17trampoline_kernelINS0_14default_configENS1_27scan_by_key_config_selectorIxxEEZZNS1_16scan_by_key_implILNS1_25lookback_scan_determinismE0ELb0ES3_N6thrust23THRUST_200600_302600_NS6detail15normal_iteratorINS9_10device_ptrIxEEEESE_SE_xNS9_10multipliesIxEENS9_8equal_toIxEExEE10hipError_tPvRmT2_T3_T4_T5_mT6_T7_P12ihipStream_tbENKUlT_T0_E_clISt17integral_constantIbLb0EESZ_EEDaSU_SV_EUlSU_E_NS1_11comp_targetILNS1_3genE10ELNS1_11target_archE1201ELNS1_3gpuE5ELNS1_3repE0EEENS1_30default_config_static_selectorELNS0_4arch9wavefront6targetE1EEEvT1_
; %bb.0:
	.section	.rodata,"a",@progbits
	.p2align	6, 0x0
	.amdhsa_kernel _ZN7rocprim17ROCPRIM_400000_NS6detail17trampoline_kernelINS0_14default_configENS1_27scan_by_key_config_selectorIxxEEZZNS1_16scan_by_key_implILNS1_25lookback_scan_determinismE0ELb0ES3_N6thrust23THRUST_200600_302600_NS6detail15normal_iteratorINS9_10device_ptrIxEEEESE_SE_xNS9_10multipliesIxEENS9_8equal_toIxEExEE10hipError_tPvRmT2_T3_T4_T5_mT6_T7_P12ihipStream_tbENKUlT_T0_E_clISt17integral_constantIbLb0EESZ_EEDaSU_SV_EUlSU_E_NS1_11comp_targetILNS1_3genE10ELNS1_11target_archE1201ELNS1_3gpuE5ELNS1_3repE0EEENS1_30default_config_static_selectorELNS0_4arch9wavefront6targetE1EEEvT1_
		.amdhsa_group_segment_fixed_size 0
		.amdhsa_private_segment_fixed_size 0
		.amdhsa_kernarg_size 136
		.amdhsa_user_sgpr_count 2
		.amdhsa_user_sgpr_dispatch_ptr 0
		.amdhsa_user_sgpr_queue_ptr 0
		.amdhsa_user_sgpr_kernarg_segment_ptr 1
		.amdhsa_user_sgpr_dispatch_id 0
		.amdhsa_user_sgpr_kernarg_preload_length 0
		.amdhsa_user_sgpr_kernarg_preload_offset 0
		.amdhsa_user_sgpr_private_segment_size 0
		.amdhsa_uses_dynamic_stack 0
		.amdhsa_enable_private_segment 0
		.amdhsa_system_sgpr_workgroup_id_x 1
		.amdhsa_system_sgpr_workgroup_id_y 0
		.amdhsa_system_sgpr_workgroup_id_z 0
		.amdhsa_system_sgpr_workgroup_info 0
		.amdhsa_system_vgpr_workitem_id 0
		.amdhsa_next_free_vgpr 1
		.amdhsa_next_free_sgpr 0
		.amdhsa_accum_offset 4
		.amdhsa_reserve_vcc 0
		.amdhsa_float_round_mode_32 0
		.amdhsa_float_round_mode_16_64 0
		.amdhsa_float_denorm_mode_32 3
		.amdhsa_float_denorm_mode_16_64 3
		.amdhsa_dx10_clamp 1
		.amdhsa_ieee_mode 1
		.amdhsa_fp16_overflow 0
		.amdhsa_tg_split 0
		.amdhsa_exception_fp_ieee_invalid_op 0
		.amdhsa_exception_fp_denorm_src 0
		.amdhsa_exception_fp_ieee_div_zero 0
		.amdhsa_exception_fp_ieee_overflow 0
		.amdhsa_exception_fp_ieee_underflow 0
		.amdhsa_exception_fp_ieee_inexact 0
		.amdhsa_exception_int_div_zero 0
	.end_amdhsa_kernel
	.section	.text._ZN7rocprim17ROCPRIM_400000_NS6detail17trampoline_kernelINS0_14default_configENS1_27scan_by_key_config_selectorIxxEEZZNS1_16scan_by_key_implILNS1_25lookback_scan_determinismE0ELb0ES3_N6thrust23THRUST_200600_302600_NS6detail15normal_iteratorINS9_10device_ptrIxEEEESE_SE_xNS9_10multipliesIxEENS9_8equal_toIxEExEE10hipError_tPvRmT2_T3_T4_T5_mT6_T7_P12ihipStream_tbENKUlT_T0_E_clISt17integral_constantIbLb0EESZ_EEDaSU_SV_EUlSU_E_NS1_11comp_targetILNS1_3genE10ELNS1_11target_archE1201ELNS1_3gpuE5ELNS1_3repE0EEENS1_30default_config_static_selectorELNS0_4arch9wavefront6targetE1EEEvT1_,"axG",@progbits,_ZN7rocprim17ROCPRIM_400000_NS6detail17trampoline_kernelINS0_14default_configENS1_27scan_by_key_config_selectorIxxEEZZNS1_16scan_by_key_implILNS1_25lookback_scan_determinismE0ELb0ES3_N6thrust23THRUST_200600_302600_NS6detail15normal_iteratorINS9_10device_ptrIxEEEESE_SE_xNS9_10multipliesIxEENS9_8equal_toIxEExEE10hipError_tPvRmT2_T3_T4_T5_mT6_T7_P12ihipStream_tbENKUlT_T0_E_clISt17integral_constantIbLb0EESZ_EEDaSU_SV_EUlSU_E_NS1_11comp_targetILNS1_3genE10ELNS1_11target_archE1201ELNS1_3gpuE5ELNS1_3repE0EEENS1_30default_config_static_selectorELNS0_4arch9wavefront6targetE1EEEvT1_,comdat
.Lfunc_end48:
	.size	_ZN7rocprim17ROCPRIM_400000_NS6detail17trampoline_kernelINS0_14default_configENS1_27scan_by_key_config_selectorIxxEEZZNS1_16scan_by_key_implILNS1_25lookback_scan_determinismE0ELb0ES3_N6thrust23THRUST_200600_302600_NS6detail15normal_iteratorINS9_10device_ptrIxEEEESE_SE_xNS9_10multipliesIxEENS9_8equal_toIxEExEE10hipError_tPvRmT2_T3_T4_T5_mT6_T7_P12ihipStream_tbENKUlT_T0_E_clISt17integral_constantIbLb0EESZ_EEDaSU_SV_EUlSU_E_NS1_11comp_targetILNS1_3genE10ELNS1_11target_archE1201ELNS1_3gpuE5ELNS1_3repE0EEENS1_30default_config_static_selectorELNS0_4arch9wavefront6targetE1EEEvT1_, .Lfunc_end48-_ZN7rocprim17ROCPRIM_400000_NS6detail17trampoline_kernelINS0_14default_configENS1_27scan_by_key_config_selectorIxxEEZZNS1_16scan_by_key_implILNS1_25lookback_scan_determinismE0ELb0ES3_N6thrust23THRUST_200600_302600_NS6detail15normal_iteratorINS9_10device_ptrIxEEEESE_SE_xNS9_10multipliesIxEENS9_8equal_toIxEExEE10hipError_tPvRmT2_T3_T4_T5_mT6_T7_P12ihipStream_tbENKUlT_T0_E_clISt17integral_constantIbLb0EESZ_EEDaSU_SV_EUlSU_E_NS1_11comp_targetILNS1_3genE10ELNS1_11target_archE1201ELNS1_3gpuE5ELNS1_3repE0EEENS1_30default_config_static_selectorELNS0_4arch9wavefront6targetE1EEEvT1_
                                        ; -- End function
	.section	.AMDGPU.csdata,"",@progbits
; Kernel info:
; codeLenInByte = 0
; NumSgprs: 6
; NumVgprs: 0
; NumAgprs: 0
; TotalNumVgprs: 0
; ScratchSize: 0
; MemoryBound: 0
; FloatMode: 240
; IeeeMode: 1
; LDSByteSize: 0 bytes/workgroup (compile time only)
; SGPRBlocks: 0
; VGPRBlocks: 0
; NumSGPRsForWavesPerEU: 6
; NumVGPRsForWavesPerEU: 1
; AccumOffset: 4
; Occupancy: 8
; WaveLimiterHint : 0
; COMPUTE_PGM_RSRC2:SCRATCH_EN: 0
; COMPUTE_PGM_RSRC2:USER_SGPR: 2
; COMPUTE_PGM_RSRC2:TRAP_HANDLER: 0
; COMPUTE_PGM_RSRC2:TGID_X_EN: 1
; COMPUTE_PGM_RSRC2:TGID_Y_EN: 0
; COMPUTE_PGM_RSRC2:TGID_Z_EN: 0
; COMPUTE_PGM_RSRC2:TIDIG_COMP_CNT: 0
; COMPUTE_PGM_RSRC3_GFX90A:ACCUM_OFFSET: 0
; COMPUTE_PGM_RSRC3_GFX90A:TG_SPLIT: 0
	.section	.text._ZN7rocprim17ROCPRIM_400000_NS6detail17trampoline_kernelINS0_14default_configENS1_27scan_by_key_config_selectorIxxEEZZNS1_16scan_by_key_implILNS1_25lookback_scan_determinismE0ELb0ES3_N6thrust23THRUST_200600_302600_NS6detail15normal_iteratorINS9_10device_ptrIxEEEESE_SE_xNS9_10multipliesIxEENS9_8equal_toIxEExEE10hipError_tPvRmT2_T3_T4_T5_mT6_T7_P12ihipStream_tbENKUlT_T0_E_clISt17integral_constantIbLb0EESZ_EEDaSU_SV_EUlSU_E_NS1_11comp_targetILNS1_3genE5ELNS1_11target_archE942ELNS1_3gpuE9ELNS1_3repE0EEENS1_30default_config_static_selectorELNS0_4arch9wavefront6targetE1EEEvT1_,"axG",@progbits,_ZN7rocprim17ROCPRIM_400000_NS6detail17trampoline_kernelINS0_14default_configENS1_27scan_by_key_config_selectorIxxEEZZNS1_16scan_by_key_implILNS1_25lookback_scan_determinismE0ELb0ES3_N6thrust23THRUST_200600_302600_NS6detail15normal_iteratorINS9_10device_ptrIxEEEESE_SE_xNS9_10multipliesIxEENS9_8equal_toIxEExEE10hipError_tPvRmT2_T3_T4_T5_mT6_T7_P12ihipStream_tbENKUlT_T0_E_clISt17integral_constantIbLb0EESZ_EEDaSU_SV_EUlSU_E_NS1_11comp_targetILNS1_3genE5ELNS1_11target_archE942ELNS1_3gpuE9ELNS1_3repE0EEENS1_30default_config_static_selectorELNS0_4arch9wavefront6targetE1EEEvT1_,comdat
	.protected	_ZN7rocprim17ROCPRIM_400000_NS6detail17trampoline_kernelINS0_14default_configENS1_27scan_by_key_config_selectorIxxEEZZNS1_16scan_by_key_implILNS1_25lookback_scan_determinismE0ELb0ES3_N6thrust23THRUST_200600_302600_NS6detail15normal_iteratorINS9_10device_ptrIxEEEESE_SE_xNS9_10multipliesIxEENS9_8equal_toIxEExEE10hipError_tPvRmT2_T3_T4_T5_mT6_T7_P12ihipStream_tbENKUlT_T0_E_clISt17integral_constantIbLb0EESZ_EEDaSU_SV_EUlSU_E_NS1_11comp_targetILNS1_3genE5ELNS1_11target_archE942ELNS1_3gpuE9ELNS1_3repE0EEENS1_30default_config_static_selectorELNS0_4arch9wavefront6targetE1EEEvT1_ ; -- Begin function _ZN7rocprim17ROCPRIM_400000_NS6detail17trampoline_kernelINS0_14default_configENS1_27scan_by_key_config_selectorIxxEEZZNS1_16scan_by_key_implILNS1_25lookback_scan_determinismE0ELb0ES3_N6thrust23THRUST_200600_302600_NS6detail15normal_iteratorINS9_10device_ptrIxEEEESE_SE_xNS9_10multipliesIxEENS9_8equal_toIxEExEE10hipError_tPvRmT2_T3_T4_T5_mT6_T7_P12ihipStream_tbENKUlT_T0_E_clISt17integral_constantIbLb0EESZ_EEDaSU_SV_EUlSU_E_NS1_11comp_targetILNS1_3genE5ELNS1_11target_archE942ELNS1_3gpuE9ELNS1_3repE0EEENS1_30default_config_static_selectorELNS0_4arch9wavefront6targetE1EEEvT1_
	.globl	_ZN7rocprim17ROCPRIM_400000_NS6detail17trampoline_kernelINS0_14default_configENS1_27scan_by_key_config_selectorIxxEEZZNS1_16scan_by_key_implILNS1_25lookback_scan_determinismE0ELb0ES3_N6thrust23THRUST_200600_302600_NS6detail15normal_iteratorINS9_10device_ptrIxEEEESE_SE_xNS9_10multipliesIxEENS9_8equal_toIxEExEE10hipError_tPvRmT2_T3_T4_T5_mT6_T7_P12ihipStream_tbENKUlT_T0_E_clISt17integral_constantIbLb0EESZ_EEDaSU_SV_EUlSU_E_NS1_11comp_targetILNS1_3genE5ELNS1_11target_archE942ELNS1_3gpuE9ELNS1_3repE0EEENS1_30default_config_static_selectorELNS0_4arch9wavefront6targetE1EEEvT1_
	.p2align	8
	.type	_ZN7rocprim17ROCPRIM_400000_NS6detail17trampoline_kernelINS0_14default_configENS1_27scan_by_key_config_selectorIxxEEZZNS1_16scan_by_key_implILNS1_25lookback_scan_determinismE0ELb0ES3_N6thrust23THRUST_200600_302600_NS6detail15normal_iteratorINS9_10device_ptrIxEEEESE_SE_xNS9_10multipliesIxEENS9_8equal_toIxEExEE10hipError_tPvRmT2_T3_T4_T5_mT6_T7_P12ihipStream_tbENKUlT_T0_E_clISt17integral_constantIbLb0EESZ_EEDaSU_SV_EUlSU_E_NS1_11comp_targetILNS1_3genE5ELNS1_11target_archE942ELNS1_3gpuE9ELNS1_3repE0EEENS1_30default_config_static_selectorELNS0_4arch9wavefront6targetE1EEEvT1_,@function
_ZN7rocprim17ROCPRIM_400000_NS6detail17trampoline_kernelINS0_14default_configENS1_27scan_by_key_config_selectorIxxEEZZNS1_16scan_by_key_implILNS1_25lookback_scan_determinismE0ELb0ES3_N6thrust23THRUST_200600_302600_NS6detail15normal_iteratorINS9_10device_ptrIxEEEESE_SE_xNS9_10multipliesIxEENS9_8equal_toIxEExEE10hipError_tPvRmT2_T3_T4_T5_mT6_T7_P12ihipStream_tbENKUlT_T0_E_clISt17integral_constantIbLb0EESZ_EEDaSU_SV_EUlSU_E_NS1_11comp_targetILNS1_3genE5ELNS1_11target_archE942ELNS1_3gpuE9ELNS1_3repE0EEENS1_30default_config_static_selectorELNS0_4arch9wavefront6targetE1EEEvT1_: ; @_ZN7rocprim17ROCPRIM_400000_NS6detail17trampoline_kernelINS0_14default_configENS1_27scan_by_key_config_selectorIxxEEZZNS1_16scan_by_key_implILNS1_25lookback_scan_determinismE0ELb0ES3_N6thrust23THRUST_200600_302600_NS6detail15normal_iteratorINS9_10device_ptrIxEEEESE_SE_xNS9_10multipliesIxEENS9_8equal_toIxEExEE10hipError_tPvRmT2_T3_T4_T5_mT6_T7_P12ihipStream_tbENKUlT_T0_E_clISt17integral_constantIbLb0EESZ_EEDaSU_SV_EUlSU_E_NS1_11comp_targetILNS1_3genE5ELNS1_11target_archE942ELNS1_3gpuE9ELNS1_3repE0EEENS1_30default_config_static_selectorELNS0_4arch9wavefront6targetE1EEEvT1_
; %bb.0:
	s_load_dwordx8 s[44:51], s[0:1], 0x0
	s_load_dwordx8 s[36:43], s[0:1], 0x30
	s_load_dwordx2 s[60:61], s[0:1], 0x50
	s_load_dword s3, s[0:1], 0x58
	s_load_dwordx8 s[52:59], s[0:1], 0x60
	s_waitcnt lgkmcnt(0)
	s_lshl_b64 s[46:47], s[46:47], 3
	s_add_u32 s4, s44, s46
	s_addc_u32 s5, s45, s47
	s_add_u32 s6, s48, s46
	s_mul_i32 s0, s61, s3
	s_mul_hi_u32 s1, s60, s3
	s_addc_u32 s7, s49, s47
	s_add_i32 s8, s1, s0
	s_cmp_lg_u64 s[56:57], 0
	s_mul_i32 s0, s2, 0xe00
	s_mov_b32 s1, 0
	s_cselect_b64 s[56:57], -1, 0
	s_lshl_b64 s[44:45], s[0:1], 3
	s_add_u32 s48, s4, s44
	s_addc_u32 s49, s5, s45
	s_add_u32 s34, s6, s44
	s_mul_i32 s3, s60, s3
	s_addc_u32 s35, s7, s45
	s_add_u32 s62, s3, s2
	s_addc_u32 s63, s8, 0
	s_add_u32 s4, s52, -1
	s_addc_u32 s5, s53, -1
	v_mov_b64_e32 v[2:3], s[4:5]
	v_cmp_ge_u64_e64 s[0:1], s[62:63], v[2:3]
	s_mov_b64 s[10:11], 0
	s_mov_b64 s[6:7], -1
	s_and_b64 vcc, exec, s[0:1]
	s_mul_i32 s33, s4, 0xfffff200
	s_barrier
	s_cbranch_vccz .LBB49_77
; %bb.1:
	v_mov_b64_e32 v[2:3], s[48:49]
	flat_load_dwordx2 v[28:29], v[2:3]
	s_add_i32 s43, s33, s42
	v_cmp_gt_u32_e64 s[30:31], s43, v0
	s_waitcnt vmcnt(0) lgkmcnt(0)
	v_mov_b64_e32 v[30:31], v[28:29]
	s_and_saveexec_b64 s[4:5], s[30:31]
	s_cbranch_execz .LBB49_3
; %bb.2:
	v_lshlrev_b32_e32 v2, 3, v0
	v_mov_b32_e32 v3, 0
	v_lshl_add_u64 v[2:3], s[48:49], 0, v[2:3]
	flat_load_dwordx2 v[30:31], v[2:3]
.LBB49_3:
	s_or_b64 exec, exec, s[4:5]
	v_or_b32_e32 v1, 0x100, v0
	v_cmp_gt_u32_e64 s[4:5], s43, v1
	v_mov_b64_e32 v[32:33], v[28:29]
	s_and_saveexec_b64 s[6:7], s[4:5]
	s_cbranch_execz .LBB49_5
; %bb.4:
	v_lshlrev_b32_e32 v2, 3, v0
	v_mov_b32_e32 v3, 0
	v_lshl_add_u64 v[2:3], s[48:49], 0, v[2:3]
	flat_load_dwordx2 v[32:33], v[2:3] offset:2048
.LBB49_5:
	s_or_b64 exec, exec, s[6:7]
	v_or_b32_e32 v1, 0x200, v0
	v_cmp_gt_u32_e64 s[6:7], s43, v1
	v_lshlrev_b32_e32 v2, 3, v1
	v_mov_b64_e32 v[34:35], v[28:29]
	s_and_saveexec_b64 s[8:9], s[6:7]
	s_cbranch_execz .LBB49_7
; %bb.6:
	v_mov_b32_e32 v3, 0
	v_lshl_add_u64 v[4:5], s[48:49], 0, v[2:3]
	flat_load_dwordx2 v[34:35], v[4:5]
.LBB49_7:
	s_or_b64 exec, exec, s[8:9]
	v_or_b32_e32 v1, 0x300, v0
	v_cmp_gt_u32_e64 s[8:9], s43, v1
	v_lshlrev_b32_e32 v4, 3, v1
	v_mov_b64_e32 v[36:37], v[28:29]
	s_and_saveexec_b64 s[10:11], s[8:9]
	s_cbranch_execz .LBB49_9
; %bb.8:
	v_mov_b32_e32 v5, 0
	v_lshl_add_u64 v[6:7], s[48:49], 0, v[4:5]
	flat_load_dwordx2 v[36:37], v[6:7]
.LBB49_9:
	;; [unrolled: 12-line block ×11, first 2 shown]
	s_or_b64 exec, exec, s[28:29]
	v_or_b32_e32 v1, 0xd00, v0
	v_cmp_gt_u32_e64 s[28:29], s43, v1
	v_lshlrev_b32_e32 v24, 3, v1
	s_and_saveexec_b64 s[52:53], s[28:29]
	s_cbranch_execz .LBB49_29
; %bb.28:
	v_mov_b32_e32 v25, 0
	v_lshl_add_u64 v[26:27], s[48:49], 0, v[24:25]
	flat_load_dwordx2 v[28:29], v[26:27]
.LBB49_29:
	s_or_b64 exec, exec, s[52:53]
	v_lshlrev_b32_e32 v26, 3, v0
	s_movk_i32 s3, 0x68
	s_waitcnt vmcnt(0) lgkmcnt(0)
	ds_write2st64_b64 v26, v[30:31], v[32:33] offset1:4
	ds_write2st64_b64 v26, v[34:35], v[36:37] offset0:8 offset1:12
	ds_write2st64_b64 v26, v[38:39], v[40:41] offset0:16 offset1:20
	ds_write2st64_b64 v26, v[42:43], v[44:45] offset0:24 offset1:28
	ds_write2st64_b64 v26, v[46:47], v[48:49] offset0:32 offset1:36
	ds_write2st64_b64 v26, v[50:51], v[52:53] offset0:40 offset1:44
	ds_write2st64_b64 v26, v[54:55], v[28:29] offset0:48 offset1:52
	v_mad_u32_u24 v36, v0, s3, v26
	s_waitcnt lgkmcnt(0)
	s_barrier
	ds_read_b128 v[74:77], v36
	ds_read_b128 v[70:73], v36 offset:16
	ds_read_b128 v[66:69], v36 offset:32
	;; [unrolled: 1-line block ×6, first 2 shown]
	s_cmp_eq_u64 s[62:63], 0
	s_mov_b64 s[52:53], s[48:49]
	s_cbranch_scc1 .LBB49_33
; %bb.30:
	s_andn2_b64 vcc, exec, s[56:57]
	s_cbranch_vccnz .LBB49_233
; %bb.31:
	s_lshl_b64 s[52:53], s[62:63], 3
	s_add_u32 s3, s58, s52
	s_addc_u32 s53, s59, s53
	s_add_u32 s52, s3, -8
	s_addc_u32 s53, s53, -1
	s_cbranch_execnz .LBB49_33
.LBB49_32:
	s_add_u32 s52, s48, -8
	s_addc_u32 s53, s49, -1
.LBB49_33:
	v_mov_b64_e32 v[28:29], s[52:53]
	flat_load_dwordx2 v[28:29], v[28:29]
	s_movk_i32 s3, 0xff98
	v_mad_i32_i24 v1, v0, s3, v36
	v_cmp_ne_u32_e32 vcc, 0, v0
	s_waitcnt lgkmcnt(0)
	ds_write_b64 v1, v[60:61] offset:28672
	s_waitcnt lgkmcnt(0)
	s_barrier
	s_and_saveexec_b64 s[52:53], vcc
	s_cbranch_execz .LBB49_35
; %bb.34:
	v_mul_i32_i24_e32 v1, 0xffffff98, v0
	v_add_u32_e32 v1, v36, v1
	s_waitcnt vmcnt(0)
	ds_read_b64 v[28:29], v1 offset:28664
.LBB49_35:
	s_or_b64 exec, exec, s[52:53]
	v_mov_b32_e32 v27, 0
	s_waitcnt lgkmcnt(0)
	s_barrier
	s_waitcnt lgkmcnt(0)
                                        ; implicit-def: $vgpr30_vgpr31
	s_and_saveexec_b64 s[52:53], s[30:31]
	s_cbranch_execnz .LBB49_220
; %bb.36:
	s_or_b64 exec, exec, s[52:53]
                                        ; implicit-def: $vgpr32_vgpr33
	s_and_saveexec_b64 s[30:31], s[4:5]
	s_cbranch_execnz .LBB49_221
.LBB49_37:
	s_or_b64 exec, exec, s[30:31]
                                        ; implicit-def: $vgpr34_vgpr35
	s_and_saveexec_b64 s[4:5], s[6:7]
	s_cbranch_execnz .LBB49_222
.LBB49_38:
	s_or_b64 exec, exec, s[4:5]
                                        ; implicit-def: $vgpr2_vgpr3
	s_and_saveexec_b64 s[4:5], s[8:9]
	s_cbranch_execnz .LBB49_223
.LBB49_39:
	s_or_b64 exec, exec, s[4:5]
                                        ; implicit-def: $vgpr4_vgpr5
	s_and_saveexec_b64 s[4:5], s[10:11]
	s_cbranch_execnz .LBB49_224
.LBB49_40:
	s_or_b64 exec, exec, s[4:5]
                                        ; implicit-def: $vgpr6_vgpr7
	s_and_saveexec_b64 s[4:5], s[12:13]
	s_cbranch_execnz .LBB49_225
.LBB49_41:
	s_or_b64 exec, exec, s[4:5]
                                        ; implicit-def: $vgpr8_vgpr9
	s_and_saveexec_b64 s[4:5], s[14:15]
	s_cbranch_execnz .LBB49_226
.LBB49_42:
	s_or_b64 exec, exec, s[4:5]
                                        ; implicit-def: $vgpr10_vgpr11
	s_and_saveexec_b64 s[4:5], s[16:17]
	s_cbranch_execnz .LBB49_227
.LBB49_43:
	s_or_b64 exec, exec, s[4:5]
                                        ; implicit-def: $vgpr12_vgpr13
	s_and_saveexec_b64 s[4:5], s[18:19]
	s_cbranch_execnz .LBB49_228
.LBB49_44:
	s_or_b64 exec, exec, s[4:5]
                                        ; implicit-def: $vgpr14_vgpr15
	s_and_saveexec_b64 s[4:5], s[20:21]
	s_cbranch_execnz .LBB49_229
.LBB49_45:
	s_or_b64 exec, exec, s[4:5]
                                        ; implicit-def: $vgpr16_vgpr17
	s_and_saveexec_b64 s[4:5], s[22:23]
	s_cbranch_execnz .LBB49_230
.LBB49_46:
	s_or_b64 exec, exec, s[4:5]
                                        ; implicit-def: $vgpr18_vgpr19
	s_and_saveexec_b64 s[4:5], s[24:25]
	s_cbranch_execnz .LBB49_231
.LBB49_47:
	s_or_b64 exec, exec, s[4:5]
                                        ; implicit-def: $vgpr20_vgpr21
	s_and_saveexec_b64 s[4:5], s[26:27]
	s_cbranch_execnz .LBB49_232
.LBB49_48:
	s_or_b64 exec, exec, s[4:5]
                                        ; implicit-def: $vgpr22_vgpr23
	s_and_saveexec_b64 s[4:5], s[28:29]
	s_cbranch_execz .LBB49_50
.LBB49_49:
	v_mov_b32_e32 v25, 0
	v_lshl_add_u64 v[22:23], s[34:35], 0, v[24:25]
	flat_load_dwordx2 v[22:23], v[22:23]
.LBB49_50:
	s_or_b64 exec, exec, s[4:5]
	v_mul_u32_u24_e32 v37, 14, v0
	v_mov_b64_e32 v[78:79], 0
	s_waitcnt vmcnt(0) lgkmcnt(0)
	ds_write2st64_b64 v26, v[30:31], v[32:33] offset1:4
	ds_write2st64_b64 v26, v[34:35], v[2:3] offset0:8 offset1:12
	ds_write2st64_b64 v26, v[4:5], v[6:7] offset0:16 offset1:20
	ds_write2st64_b64 v26, v[8:9], v[10:11] offset0:24 offset1:28
	ds_write2st64_b64 v26, v[12:13], v[14:15] offset0:32 offset1:36
	ds_write2st64_b64 v26, v[16:17], v[18:19] offset0:40 offset1:44
	ds_write2st64_b64 v26, v[20:21], v[22:23] offset0:48 offset1:52
	v_cmp_gt_u32_e32 vcc, s43, v37
	s_mov_b64 s[10:11], 0
	s_mov_b64 s[6:7], 0
	s_mov_b32 s3, 0
	v_mov_b32_e32 v80, 0
	v_mov_b32_e32 v91, 0
	v_mov_b64_e32 v[46:47], v[78:79]
	v_mov_b32_e32 v90, 0
	v_mov_b64_e32 v[34:35], v[78:79]
	;; [unrolled: 2-line block ×12, first 2 shown]
	s_waitcnt lgkmcnt(0)
	s_barrier
	s_waitcnt lgkmcnt(0)
                                        ; implicit-def: $sgpr4_sgpr5
                                        ; implicit-def: $vgpr52_vgpr53
	s_and_saveexec_b64 s[8:9], vcc
	s_cbranch_execz .LBB49_76
; %bb.51:
	ds_read_b64 v[2:3], v36
	v_cmp_ne_u64_e32 vcc, v[28:29], v[74:75]
	v_or_b32_e32 v4, 1, v37
	v_mov_b64_e32 v[78:79], 0
	v_cndmask_b32_e64 v1, 0, 1, vcc
	v_cmp_gt_u32_e32 vcc, s43, v4
	s_mov_b64 s[12:13], 0
	s_mov_b64 s[4:5], 0
	v_mov_b32_e32 v80, 0
	v_mov_b32_e32 v91, 0
	v_mov_b64_e32 v[46:47], v[78:79]
	v_mov_b32_e32 v90, 0
	v_mov_b64_e32 v[34:35], v[78:79]
	;; [unrolled: 2-line block ×11, first 2 shown]
                                        ; implicit-def: $sgpr14_sgpr15
                                        ; implicit-def: $vgpr52_vgpr53
	s_and_saveexec_b64 s[10:11], vcc
	s_cbranch_execz .LBB49_75
; %bb.52:
	ds_read2_b64 v[14:17], v36 offset0:1 offset1:2
	v_cmp_ne_u64_e32 vcc, v[74:75], v[76:77]
	v_add_u32_e32 v4, 2, v37
	v_mov_b64_e32 v[78:79], 0
	v_cndmask_b32_e64 v82, 0, 1, vcc
	v_cmp_gt_u32_e32 vcc, s43, v4
	s_mov_b64 s[16:17], 0
	v_mov_b32_e32 v80, 0
	v_mov_b32_e32 v91, 0
	v_mov_b64_e32 v[46:47], v[78:79]
	v_mov_b32_e32 v90, 0
	v_mov_b64_e32 v[34:35], v[78:79]
	;; [unrolled: 2-line block ×10, first 2 shown]
                                        ; implicit-def: $sgpr14_sgpr15
                                        ; implicit-def: $vgpr52_vgpr53
	s_and_saveexec_b64 s[12:13], vcc
	s_cbranch_execz .LBB49_74
; %bb.53:
	v_cmp_ne_u64_e32 vcc, v[76:77], v[70:71]
	v_add_u32_e32 v4, 3, v37
	v_mov_b64_e32 v[78:79], 0
	s_waitcnt lgkmcnt(0)
	v_mov_b32_e32 v6, v16
	v_mov_b32_e32 v7, v17
	v_cndmask_b32_e64 v81, 0, 1, vcc
	v_cmp_gt_u32_e32 vcc, s43, v4
	v_mov_b32_e32 v80, 0
	v_mov_b32_e32 v91, 0
	v_mov_b64_e32 v[46:47], v[78:79]
	v_mov_b32_e32 v90, 0
	v_mov_b64_e32 v[34:35], v[78:79]
	;; [unrolled: 2-line block ×9, first 2 shown]
                                        ; implicit-def: $sgpr18_sgpr19
                                        ; implicit-def: $vgpr52_vgpr53
	s_and_saveexec_b64 s[14:15], vcc
	s_cbranch_execz .LBB49_73
; %bb.54:
	ds_read2_b64 v[22:25], v36 offset0:3 offset1:4
	v_cmp_ne_u64_e32 vcc, v[70:71], v[72:73]
	v_add_u32_e32 v4, 4, v37
	v_mov_b64_e32 v[78:79], 0
	v_cndmask_b32_e64 v83, 0, 1, vcc
	v_cmp_gt_u32_e32 vcc, s43, v4
	s_mov_b64 s[20:21], 0
	v_mov_b32_e32 v80, 0
	v_mov_b32_e32 v91, 0
	v_mov_b64_e32 v[46:47], v[78:79]
	v_mov_b32_e32 v90, 0
	v_mov_b64_e32 v[34:35], v[78:79]
	;; [unrolled: 2-line block ×8, first 2 shown]
                                        ; implicit-def: $sgpr18_sgpr19
                                        ; implicit-def: $vgpr52_vgpr53
	s_and_saveexec_b64 s[16:17], vcc
	s_cbranch_execz .LBB49_72
; %bb.55:
	v_cmp_ne_u64_e32 vcc, v[72:73], v[66:67]
	v_add_u32_e32 v4, 5, v37
	v_mov_b64_e32 v[78:79], 0
	s_waitcnt lgkmcnt(0)
	v_mov_b32_e32 v10, v24
	v_mov_b32_e32 v11, v25
	v_cndmask_b32_e64 v84, 0, 1, vcc
	v_cmp_gt_u32_e32 vcc, s43, v4
	v_mov_b32_e32 v80, 0
	v_mov_b32_e32 v91, 0
	v_mov_b64_e32 v[46:47], v[78:79]
	v_mov_b32_e32 v90, 0
	v_mov_b64_e32 v[34:35], v[78:79]
	;; [unrolled: 2-line block ×7, first 2 shown]
                                        ; implicit-def: $sgpr22_sgpr23
                                        ; implicit-def: $vgpr52_vgpr53
	s_and_saveexec_b64 s[18:19], vcc
	s_cbranch_execz .LBB49_71
; %bb.56:
	ds_read2_b64 v[30:33], v36 offset0:5 offset1:6
	v_cmp_ne_u64_e32 vcc, v[66:67], v[68:69]
	v_add_u32_e32 v4, 6, v37
	v_mov_b64_e32 v[78:79], 0
	v_cndmask_b32_e64 v85, 0, 1, vcc
	v_cmp_gt_u32_e32 vcc, s43, v4
	s_mov_b64 s[24:25], 0
	v_mov_b32_e32 v80, 0
	v_mov_b32_e32 v91, 0
	v_mov_b64_e32 v[46:47], v[78:79]
	v_mov_b32_e32 v90, 0
	v_mov_b64_e32 v[34:35], v[78:79]
	;; [unrolled: 2-line block ×6, first 2 shown]
                                        ; implicit-def: $sgpr22_sgpr23
                                        ; implicit-def: $vgpr52_vgpr53
	s_and_saveexec_b64 s[20:21], vcc
	s_cbranch_execz .LBB49_70
; %bb.57:
	v_cmp_ne_u64_e32 vcc, v[68:69], v[62:63]
	v_add_u32_e32 v4, 7, v37
	v_mov_b64_e32 v[78:79], 0
	s_waitcnt lgkmcnt(0)
	v_mov_b32_e32 v18, v32
	v_mov_b32_e32 v19, v33
	v_cndmask_b32_e64 v86, 0, 1, vcc
	v_cmp_gt_u32_e32 vcc, s43, v4
	v_mov_b32_e32 v80, 0
	v_mov_b32_e32 v91, 0
	v_mov_b64_e32 v[46:47], v[78:79]
	v_mov_b32_e32 v90, 0
	v_mov_b64_e32 v[34:35], v[78:79]
	;; [unrolled: 2-line block ×5, first 2 shown]
                                        ; implicit-def: $sgpr26_sgpr27
                                        ; implicit-def: $vgpr52_vgpr53
	s_and_saveexec_b64 s[22:23], vcc
	s_cbranch_execz .LBB49_69
; %bb.58:
	ds_read2_b64 v[38:41], v36 offset0:7 offset1:8
	v_cmp_ne_u64_e32 vcc, v[62:63], v[64:65]
	v_add_u32_e32 v4, 8, v37
	v_mov_b64_e32 v[78:79], 0
	v_cndmask_b32_e64 v87, 0, 1, vcc
	v_cmp_gt_u32_e32 vcc, s43, v4
	s_mov_b64 s[28:29], 0
	v_mov_b32_e32 v80, 0
	v_mov_b32_e32 v91, 0
	v_mov_b64_e32 v[46:47], v[78:79]
	v_mov_b32_e32 v90, 0
	v_mov_b64_e32 v[34:35], v[78:79]
	;; [unrolled: 2-line block ×4, first 2 shown]
                                        ; implicit-def: $sgpr26_sgpr27
                                        ; implicit-def: $vgpr52_vgpr53
	s_and_saveexec_b64 s[24:25], vcc
	s_cbranch_execz .LBB49_68
; %bb.59:
	v_cmp_ne_u64_e32 vcc, v[64:65], v[48:49]
	v_add_u32_e32 v4, 9, v37
	v_mov_b64_e32 v[78:79], 0
	s_waitcnt lgkmcnt(0)
	v_mov_b32_e32 v26, v40
	v_mov_b32_e32 v27, v41
	v_cndmask_b32_e64 v88, 0, 1, vcc
	v_cmp_gt_u32_e32 vcc, s43, v4
	v_mov_b32_e32 v80, 0
	v_mov_b32_e32 v91, 0
	v_mov_b64_e32 v[46:47], v[78:79]
	v_mov_b32_e32 v90, 0
	v_mov_b64_e32 v[34:35], v[78:79]
	;; [unrolled: 2-line block ×3, first 2 shown]
                                        ; implicit-def: $sgpr30_sgpr31
                                        ; implicit-def: $vgpr52_vgpr53
	s_and_saveexec_b64 s[26:27], vcc
	s_cbranch_execz .LBB49_67
; %bb.60:
	ds_read2_b64 v[42:45], v36 offset0:9 offset1:10
	v_cmp_ne_u64_e32 vcc, v[48:49], v[50:51]
	v_add_u32_e32 v4, 10, v37
	v_mov_b64_e32 v[78:79], 0
	v_cndmask_b32_e64 v89, 0, 1, vcc
	v_cmp_gt_u32_e32 vcc, s43, v4
	s_mov_b64 s[52:53], 0
	v_mov_b32_e32 v80, 0
	v_mov_b32_e32 v91, 0
	v_mov_b64_e32 v[46:47], v[78:79]
	v_mov_b32_e32 v90, 0
	v_mov_b64_e32 v[34:35], v[78:79]
                                        ; implicit-def: $sgpr30_sgpr31
                                        ; implicit-def: $vgpr52_vgpr53
	s_and_saveexec_b64 s[28:29], vcc
	s_cbranch_execz .LBB49_66
; %bb.61:
	v_cmp_ne_u64_e32 vcc, v[50:51], v[54:55]
	v_add_u32_e32 v4, 11, v37
	v_mov_b64_e32 v[78:79], 0
	s_waitcnt lgkmcnt(0)
	v_mov_b32_e32 v34, v44
	v_mov_b32_e32 v35, v45
	v_cndmask_b32_e64 v90, 0, 1, vcc
	v_cmp_gt_u32_e32 vcc, s43, v4
	v_mov_b32_e32 v80, 0
	v_mov_b32_e32 v91, 0
	v_mov_b64_e32 v[46:47], v[78:79]
                                        ; implicit-def: $sgpr64_sgpr65
                                        ; implicit-def: $vgpr52_vgpr53
	s_and_saveexec_b64 s[30:31], vcc
	s_cbranch_execz .LBB49_65
; %bb.62:
	ds_read2_b64 v[46:49], v36 offset0:11 offset1:12
	v_cmp_ne_u64_e32 vcc, v[54:55], v[56:57]
	v_add_u32_e32 v4, 12, v37
	v_mov_b32_e32 v80, 0
	v_cndmask_b32_e64 v91, 0, 1, vcc
	v_cmp_gt_u32_e32 vcc, s43, v4
	v_mov_b64_e32 v[78:79], 0
                                        ; implicit-def: $sgpr52_sgpr53
                                        ; implicit-def: $vgpr52_vgpr53
	s_and_saveexec_b64 s[64:65], vcc
	s_xor_b64 s[64:65], exec, s[64:65]
	s_cbranch_execz .LBB49_64
; %bb.63:
	ds_read_b64 v[52:53], v36 offset:104
	v_cmp_ne_u64_e64 s[4:5], v[56:57], v[58:59]
	v_add_u32_e32 v4, 13, v37
	v_cmp_ne_u64_e32 vcc, v[58:59], v[60:61]
	v_cndmask_b32_e64 v80, 0, 1, s[4:5]
	v_cmp_gt_u32_e64 s[4:5], s43, v4
	s_and_b64 s[52:53], vcc, exec
	s_and_b64 s[4:5], s[4:5], exec
	s_waitcnt lgkmcnt(1)
	v_mov_b64_e32 v[50:51], v[48:49]
	v_mov_b64_e32 v[78:79], v[48:49]
.LBB49_64:
	s_or_b64 exec, exec, s[64:65]
	s_and_b64 s[64:65], s[52:53], exec
	s_and_b64 s[52:53], s[4:5], exec
.LBB49_65:
	s_or_b64 exec, exec, s[30:31]
	s_and_b64 s[30:31], s[64:65], exec
	s_and_b64 s[4:5], s[52:53], exec
	s_waitcnt lgkmcnt(0)
	v_mov_b64_e32 v[36:37], v[46:47]
	v_mov_b64_e32 v[28:29], v[42:43]
	;; [unrolled: 1-line block ×6, first 2 shown]
.LBB49_66:
	s_or_b64 exec, exec, s[28:29]
	s_and_b64 s[30:31], s[30:31], exec
	s_and_b64 s[28:29], s[4:5], exec
.LBB49_67:
	s_or_b64 exec, exec, s[26:27]
	s_and_b64 s[26:27], s[30:31], exec
	s_and_b64 s[4:5], s[28:29], exec
.LBB49_68:
	s_or_b64 exec, exec, s[24:25]
	s_and_b64 s[26:27], s[26:27], exec
	s_and_b64 s[24:25], s[4:5], exec
.LBB49_69:
	s_or_b64 exec, exec, s[22:23]
	s_and_b64 s[22:23], s[26:27], exec
	s_and_b64 s[4:5], s[24:25], exec
.LBB49_70:
	s_or_b64 exec, exec, s[20:21]
	s_and_b64 s[22:23], s[22:23], exec
	s_and_b64 s[20:21], s[4:5], exec
.LBB49_71:
	s_or_b64 exec, exec, s[18:19]
	s_and_b64 s[18:19], s[22:23], exec
	s_and_b64 s[4:5], s[20:21], exec
.LBB49_72:
	s_or_b64 exec, exec, s[16:17]
	s_and_b64 s[18:19], s[18:19], exec
	s_and_b64 s[16:17], s[4:5], exec
.LBB49_73:
	s_or_b64 exec, exec, s[14:15]
	s_and_b64 s[14:15], s[18:19], exec
	s_and_b64 s[4:5], s[16:17], exec
.LBB49_74:
	s_or_b64 exec, exec, s[12:13]
	s_and_b64 s[14:15], s[14:15], exec
	s_and_b64 s[12:13], s[4:5], exec
.LBB49_75:
	s_or_b64 exec, exec, s[10:11]
	s_and_b64 s[4:5], s[14:15], exec
	s_and_b64 s[10:11], s[12:13], exec
.LBB49_76:
	s_or_b64 exec, exec, s[8:9]
	s_mov_b64 s[8:9], 0
	s_and_b64 vcc, exec, s[6:7]
	s_waitcnt lgkmcnt(0)
	v_lshlrev_b32_e32 v32, 3, v0
	s_cbranch_vccnz .LBB49_78
	s_branch .LBB49_86
.LBB49_77:
                                        ; implicit-def: $sgpr4_sgpr5
                                        ; implicit-def: $vgpr52_vgpr53
                                        ; implicit-def: $vgpr80
                                        ; implicit-def: $vgpr91
                                        ; implicit-def: $vgpr36_vgpr37
                                        ; implicit-def: $vgpr90
                                        ; implicit-def: $vgpr89
                                        ; implicit-def: $vgpr28_vgpr29
                                        ; implicit-def: $vgpr88
                                        ; implicit-def: $vgpr87
                                        ; implicit-def: $vgpr20_vgpr21
                                        ; implicit-def: $vgpr86
                                        ; implicit-def: $vgpr85
                                        ; implicit-def: $vgpr12_vgpr13
                                        ; implicit-def: $vgpr84
                                        ; implicit-def: $vgpr83
                                        ; implicit-def: $vgpr8_vgpr9
                                        ; implicit-def: $vgpr81
                                        ; implicit-def: $vgpr82
                                        ; implicit-def: $vgpr4_vgpr5
                                        ; implicit-def: $vgpr1
                                        ; implicit-def: $sgpr3
                                        ; implicit-def: $sgpr8_sgpr9
                                        ; implicit-def: $vgpr78_vgpr79
                                        ; implicit-def: $vgpr46_vgpr47
                                        ; implicit-def: $vgpr42_vgpr43
                                        ; implicit-def: $vgpr38_vgpr39
                                        ; implicit-def: $vgpr30_vgpr31
                                        ; implicit-def: $vgpr22_vgpr23
                                        ; implicit-def: $vgpr14_vgpr15
	s_and_b64 vcc, exec, s[6:7]
	v_lshlrev_b32_e32 v32, 3, v0
	s_cbranch_vccz .LBB49_86
.LBB49_78:
	v_mov_b32_e32 v33, 0
	v_lshl_add_u64 v[2:3], s[48:49], 0, v[32:33]
	v_add_co_u32_e32 v4, vcc, 0x1000, v2
	s_movk_i32 s3, 0x68
	s_nop 0
	v_addc_co_u32_e32 v5, vcc, 0, v3, vcc
	flat_load_dwordx2 v[6:7], v[2:3]
	flat_load_dwordx2 v[8:9], v[2:3] offset:2048
	flat_load_dwordx2 v[10:11], v[4:5]
	flat_load_dwordx2 v[12:13], v[4:5] offset:2048
	v_add_co_u32_e32 v4, vcc, 0x2000, v2
	v_mad_u32_u24 v1, v0, s3, v32
	s_nop 0
	v_addc_co_u32_e32 v5, vcc, 0, v3, vcc
	v_add_co_u32_e32 v14, vcc, 0x3000, v2
	s_cmp_eq_u64 s[62:63], 0
	s_nop 0
	v_addc_co_u32_e32 v15, vcc, 0, v3, vcc
	flat_load_dwordx2 v[16:17], v[4:5]
	flat_load_dwordx2 v[18:19], v[4:5] offset:2048
	flat_load_dwordx2 v[20:21], v[14:15]
	flat_load_dwordx2 v[22:23], v[14:15] offset:2048
	v_add_co_u32_e32 v4, vcc, 0x4000, v2
	s_nop 1
	v_addc_co_u32_e32 v5, vcc, 0, v3, vcc
	v_add_co_u32_e32 v14, vcc, 0x5000, v2
	s_nop 1
	v_addc_co_u32_e32 v15, vcc, 0, v3, vcc
	v_add_co_u32_e32 v2, vcc, 0x6000, v2
	flat_load_dwordx2 v[24:25], v[4:5]
	flat_load_dwordx2 v[26:27], v[4:5] offset:2048
	flat_load_dwordx2 v[28:29], v[14:15]
	flat_load_dwordx2 v[30:31], v[14:15] offset:2048
	v_addc_co_u32_e32 v3, vcc, 0, v3, vcc
	flat_load_dwordx2 v[4:5], v[2:3]
	flat_load_dwordx2 v[14:15], v[2:3] offset:2048
	s_waitcnt vmcnt(0) lgkmcnt(0)
	ds_write2st64_b64 v32, v[6:7], v[8:9] offset1:4
	ds_write2st64_b64 v32, v[10:11], v[12:13] offset0:8 offset1:12
	ds_write2st64_b64 v32, v[16:17], v[18:19] offset0:16 offset1:20
	;; [unrolled: 1-line block ×6, first 2 shown]
	s_waitcnt lgkmcnt(0)
	s_barrier
	ds_read_b128 v[14:17], v1
	ds_read_b128 v[2:5], v1 offset:16
	ds_read_b128 v[6:9], v1 offset:32
	;; [unrolled: 1-line block ×6, first 2 shown]
	s_cbranch_scc1 .LBB49_83
; %bb.79:
	s_andn2_b64 vcc, exec, s[56:57]
	s_cbranch_vccnz .LBB49_234
; %bb.80:
	s_lshl_b64 s[4:5], s[62:63], 3
	s_add_u32 s3, s58, s4
	s_addc_u32 s5, s59, s5
	s_add_u32 s4, s3, -8
	s_addc_u32 s5, s5, -1
	s_cbranch_execnz .LBB49_82
.LBB49_81:
	s_add_u32 s4, s48, -8
	s_addc_u32 s5, s49, -1
.LBB49_82:
	s_mov_b64 s[48:49], s[4:5]
.LBB49_83:
	v_mov_b64_e32 v[30:31], s[48:49]
	flat_load_dwordx2 v[30:31], v[30:31]
	s_movk_i32 s3, 0xff98
	v_mad_i32_i24 v33, v0, s3, v1
	v_cmp_ne_u32_e32 vcc, 0, v0
	s_waitcnt lgkmcnt(0)
	ds_write_b64 v33, v[28:29] offset:28672
	s_waitcnt lgkmcnt(0)
	s_barrier
	s_and_saveexec_b64 s[4:5], vcc
	s_cbranch_execz .LBB49_85
; %bb.84:
	s_waitcnt vmcnt(0)
	v_mul_i32_i24_e32 v30, 0xffffff98, v0
	v_add_u32_e32 v30, v1, v30
	ds_read_b64 v[30:31], v30 offset:28664
.LBB49_85:
	s_or_b64 exec, exec, s[4:5]
	v_mov_b32_e32 v33, 0
	v_lshl_add_u64 v[34:35], s[34:35], 0, v[32:33]
	s_movk_i32 s3, 0x1000
	v_add_co_u32_e32 v36, vcc, s3, v34
	s_movk_i32 s3, 0x2000
	s_nop 0
	v_addc_co_u32_e32 v37, vcc, 0, v35, vcc
	s_waitcnt lgkmcnt(0)
	s_barrier
	flat_load_dwordx2 v[38:39], v[34:35]
	flat_load_dwordx2 v[40:41], v[34:35] offset:2048
	flat_load_dwordx2 v[42:43], v[36:37]
	flat_load_dwordx2 v[44:45], v[36:37] offset:2048
	v_add_co_u32_e32 v36, vcc, s3, v34
	s_movk_i32 s3, 0x3000
	s_nop 0
	v_addc_co_u32_e32 v37, vcc, 0, v35, vcc
	v_add_co_u32_e32 v46, vcc, s3, v34
	s_movk_i32 s3, 0x4000
	s_nop 0
	v_addc_co_u32_e32 v47, vcc, 0, v35, vcc
	flat_load_dwordx2 v[48:49], v[36:37]
	flat_load_dwordx2 v[50:51], v[36:37] offset:2048
	flat_load_dwordx2 v[52:53], v[46:47]
	flat_load_dwordx2 v[54:55], v[46:47] offset:2048
	v_add_co_u32_e32 v36, vcc, s3, v34
	s_movk_i32 s3, 0x5000
	s_nop 0
	v_addc_co_u32_e32 v37, vcc, 0, v35, vcc
	v_add_co_u32_e32 v46, vcc, s3, v34
	s_movk_i32 s3, 0x6000
	s_nop 0
	v_addc_co_u32_e32 v47, vcc, 0, v35, vcc
	v_add_co_u32_e32 v34, vcc, s3, v34
	flat_load_dwordx2 v[56:57], v[36:37]
	flat_load_dwordx2 v[58:59], v[36:37] offset:2048
	flat_load_dwordx2 v[60:61], v[46:47]
	flat_load_dwordx2 v[62:63], v[46:47] offset:2048
	v_addc_co_u32_e32 v35, vcc, 0, v35, vcc
	flat_load_dwordx2 v[36:37], v[34:35]
	flat_load_dwordx2 v[46:47], v[34:35] offset:2048
	v_cmp_ne_u64_e32 vcc, v[24:25], v[26:27]
	v_cmp_ne_u64_e64 s[4:5], v[26:27], v[28:29]
	s_mov_b64 s[10:11], -1
	v_cndmask_b32_e64 v80, 0, 1, vcc
	v_cmp_ne_u64_e32 vcc, v[22:23], v[24:25]
                                        ; implicit-def: $sgpr3
                                        ; implicit-def: $sgpr8_sgpr9
                                        ; implicit-def: $vgpr78_vgpr79
	s_waitcnt vmcnt(0) lgkmcnt(0)
	ds_write2st64_b64 v32, v[38:39], v[40:41] offset1:4
	ds_write2st64_b64 v32, v[42:43], v[44:45] offset0:8 offset1:12
	ds_write2st64_b64 v32, v[48:49], v[50:51] offset0:16 offset1:20
	;; [unrolled: 1-line block ×6, first 2 shown]
	v_cndmask_b32_e64 v91, 0, 1, vcc
	v_cmp_ne_u64_e32 vcc, v[20:21], v[22:23]
	s_waitcnt lgkmcnt(0)
	s_barrier
	v_cndmask_b32_e64 v90, 0, 1, vcc
	v_cmp_ne_u64_e32 vcc, v[18:19], v[20:21]
	s_waitcnt lgkmcnt(0)
                                        ; implicit-def: $vgpr46_vgpr47
                                        ; implicit-def: $vgpr42_vgpr43
                                        ; implicit-def: $vgpr38_vgpr39
                                        ; implicit-def: $vgpr22_vgpr23
	s_nop 0
	v_cndmask_b32_e64 v89, 0, 1, vcc
	v_cmp_ne_u64_e32 vcc, v[12:13], v[18:19]
	s_nop 1
	v_cndmask_b32_e64 v88, 0, 1, vcc
	v_cmp_ne_u64_e32 vcc, v[10:11], v[12:13]
	;; [unrolled: 3-line block ×7, first 2 shown]
	ds_read_b128 v[2:5], v1
	ds_read_b128 v[6:9], v1 offset:16
	ds_read_b128 v[10:13], v1 offset:32
	;; [unrolled: 1-line block ×6, first 2 shown]
	v_cndmask_b32_e64 v81, 0, 1, vcc
	v_cmp_ne_u64_e32 vcc, v[14:15], v[16:17]
	s_nop 1
	v_cndmask_b32_e64 v82, 0, 1, vcc
	v_cmp_ne_u64_e32 vcc, v[30:31], v[14:15]
                                        ; implicit-def: $vgpr30_vgpr31
                                        ; implicit-def: $vgpr14_vgpr15
	s_nop 1
	v_cndmask_b32_e64 v1, 0, 1, vcc
.LBB49_86:
	v_mov_b64_e32 v[16:17], s[8:9]
	v_mov_b32_e32 v33, s3
	s_and_saveexec_b64 s[6:7], s[10:11]
	s_cbranch_execz .LBB49_88
; %bb.87:
	v_cndmask_b32_e64 v33, 0, 1, s[4:5]
	s_waitcnt lgkmcnt(6)
	v_mov_b64_e32 v[14:15], v[4:5]
	s_waitcnt lgkmcnt(5)
	v_mov_b64_e32 v[22:23], v[8:9]
	;; [unrolled: 2-line block ×7, first 2 shown]
	v_mov_b64_e32 v[16:17], v[52:53]
.LBB49_88:
	s_or_b64 exec, exec, s[6:7]
	s_waitcnt lgkmcnt(6)
	v_or_b32_e32 v4, v33, v80
	s_cmp_lg_u32 s2, 0
	s_waitcnt lgkmcnt(1)
	v_or_b32_e32 v37, v4, v91
	v_mbcnt_lo_u32_b32 v36, -1, 0
	s_waitcnt lgkmcnt(0)
	s_barrier
	s_cbranch_scc0 .LBB49_157
; %bb.89:
	v_mov_b32_e32 v8, 0
	v_cmp_eq_u16_sdwa s[26:27], v82, v8 src0_sel:BYTE_0 src1_sel:DWORD
	v_cmp_eq_u16_sdwa s[24:25], v81, v8 src0_sel:BYTE_0 src1_sel:DWORD
	v_cmp_eq_u16_sdwa s[22:23], v83, v8 src0_sel:BYTE_0 src1_sel:DWORD
	v_cndmask_b32_e64 v4, 1, v2, s[26:27]
	v_cndmask_b32_e64 v5, 0, v3, s[26:27]
	v_mul_lo_u32 v9, v5, v14
	v_mul_lo_u32 v13, v4, v15
	v_mad_u64_u32 v[4:5], s[4:5], v4, v14, 0
	v_add3_u32 v5, v5, v13, v9
	v_cndmask_b32_e64 v5, 0, v5, s[24:25]
	v_cndmask_b32_e64 v4, 1, v4, s[24:25]
	v_mul_lo_u32 v9, v5, v6
	v_mul_lo_u32 v13, v4, v7
	v_mad_u64_u32 v[4:5], s[4:5], v4, v6, 0
	v_add3_u32 v5, v5, v13, v9
	v_cndmask_b32_e64 v5, 0, v5, s[22:23]
	v_cndmask_b32_e64 v4, 1, v4, s[22:23]
	v_mul_lo_u32 v9, v5, v22
	v_mul_lo_u32 v13, v4, v23
	v_mad_u64_u32 v[4:5], s[4:5], v4, v22, 0
	v_add3_u32 v5, v5, v13, v9
	v_cmp_eq_u16_sdwa s[20:21], v84, v8 src0_sel:BYTE_0 src1_sel:DWORD
	v_cmp_eq_u16_sdwa s[18:19], v85, v8 src0_sel:BYTE_0 src1_sel:DWORD
	v_cmp_eq_u16_sdwa s[16:17], v86, v8 src0_sel:BYTE_0 src1_sel:DWORD
	v_cndmask_b32_e64 v5, 0, v5, s[20:21]
	v_cndmask_b32_e64 v4, 1, v4, s[20:21]
	v_mul_lo_u32 v9, v5, v10
	v_mul_lo_u32 v13, v4, v11
	v_mad_u64_u32 v[4:5], s[4:5], v4, v10, 0
	v_add3_u32 v5, v5, v13, v9
	v_cndmask_b32_e64 v5, 0, v5, s[18:19]
	v_cndmask_b32_e64 v4, 1, v4, s[18:19]
	v_mul_lo_u32 v9, v5, v30
	v_mul_lo_u32 v13, v4, v31
	v_mad_u64_u32 v[4:5], s[4:5], v4, v30, 0
	v_add3_u32 v5, v5, v13, v9
	v_cndmask_b32_e64 v5, 0, v5, s[16:17]
	v_cndmask_b32_e64 v4, 1, v4, s[16:17]
	v_mul_lo_u32 v9, v5, v18
	v_mul_lo_u32 v13, v4, v19
	v_mad_u64_u32 v[4:5], s[4:5], v4, v18, 0
	v_add3_u32 v5, v5, v13, v9
	;; [unrolled: 21-line block ×3, first 2 shown]
	v_cmp_eq_u16_sdwa s[8:9], v90, v8 src0_sel:BYTE_0 src1_sel:DWORD
	v_cmp_eq_u16_sdwa s[6:7], v91, v8 src0_sel:BYTE_0 src1_sel:DWORD
	;; [unrolled: 1-line block ×3, first 2 shown]
	v_cndmask_b32_e64 v5, 0, v5, s[8:9]
	v_cndmask_b32_e64 v4, 1, v4, s[8:9]
	v_mul_lo_u32 v9, v5, v34
	v_mul_lo_u32 v13, v4, v35
	v_mad_u64_u32 v[4:5], s[4:5], v4, v34, 0
	v_add3_u32 v5, v5, v13, v9
	v_cndmask_b32_e64 v5, 0, v5, s[6:7]
	v_cndmask_b32_e64 v4, 1, v4, s[6:7]
	v_mul_lo_u32 v9, v5, v46
	v_mul_lo_u32 v13, v4, v47
	v_mad_u64_u32 v[4:5], s[4:5], v4, v46, 0
	v_add3_u32 v5, v5, v13, v9
	v_cmp_eq_u16_sdwa s[4:5], v80, v8 src0_sel:BYTE_0 src1_sel:DWORD
	v_and_b32_e32 v12, 0xff, v1
	v_mbcnt_hi_u32_b32 v28, -1, v36
	v_cndmask_b32_e64 v5, 0, v5, s[4:5]
	v_cndmask_b32_e64 v4, 1, v4, s[4:5]
	v_mul_lo_u32 v9, v5, v78
	v_mul_lo_u32 v13, v4, v79
	v_mad_u64_u32 v[4:5], s[28:29], v4, v78, 0
	v_cndmask_b32_e64 v4, 1, v4, s[30:31]
	v_add3_u32 v5, v5, v13, v9
	v_mul_lo_u32 v13, v4, v17
	v_mad_u64_u32 v[8:9], s[28:29], v4, v16, 0
	v_or_b32_e32 v4, v37, v90
	v_or_b32_e32 v4, v4, v89
	v_or_b32_e32 v4, v4, v88
	v_or_b32_e32 v4, v4, v87
	v_or_b32_e32 v4, v4, v86
	v_or_b32_e32 v4, v4, v85
	v_or_b32_e32 v4, v4, v84
	v_or_b32_e32 v4, v4, v83
	v_or_b32_e32 v4, v4, v81
	v_or_b32_e32 v4, v4, v82
	v_cndmask_b32_e64 v5, 0, v5, s[30:31]
	v_and_b32_e32 v4, 1, v4
	v_mul_lo_u32 v5, v5, v16
	v_cmp_eq_u32_e32 vcc, 1, v4
	v_add3_u32 v9, v9, v13, v5
	v_mov_b32_dpp v21, v8 row_shr:1 row_mask:0xf bank_mask:0xf
	v_cndmask_b32_e64 v20, v12, 1, vcc
	v_and_b32_e32 v12, 15, v28
	v_mov_b32_dpp v24, v9 row_shr:1 row_mask:0xf bank_mask:0xf
	v_mov_b32_dpp v13, v20 row_shr:1 row_mask:0xf bank_mask:0xf
	v_cmp_ne_u32_e32 vcc, 0, v12
	v_mov_b32_e32 v5, v9
	v_mov_b32_e32 v4, v8
	s_and_saveexec_b64 s[28:29], vcc
; %bb.90:
	v_cmp_eq_u32_e32 vcc, 0, v20
	v_and_or_b32 v20, v13, 1, v20
	s_nop 0
	v_cndmask_b32_e32 v4, 1, v21, vcc
	v_cndmask_b32_e32 v21, 0, v24, vcc
	v_mul_lo_u32 v9, v4, v9
	v_mad_u64_u32 v[4:5], s[34:35], v4, v8, 0
	v_mul_lo_u32 v8, v21, v8
	v_add3_u32 v5, v5, v9, v8
	v_mov_b64_e32 v[8:9], v[4:5]
; %bb.91:
	s_or_b64 exec, exec, s[28:29]
	v_mov_b32_dpp v21, v4 row_shr:2 row_mask:0xf bank_mask:0xf
	v_mov_b32_dpp v24, v5 row_shr:2 row_mask:0xf bank_mask:0xf
	v_mov_b32_dpp v13, v20 row_shr:2 row_mask:0xf bank_mask:0xf
	v_cmp_lt_u32_e32 vcc, 1, v12
	s_and_saveexec_b64 s[28:29], vcc
; %bb.92:
	v_cmp_eq_u32_e32 vcc, 0, v20
	s_nop 1
	v_cndmask_b32_e32 v4, 1, v21, vcc
	v_cndmask_b32_e32 v21, 0, v24, vcc
	v_mul_lo_u32 v9, v4, v9
	v_mad_u64_u32 v[4:5], s[34:35], v4, v8, 0
	v_mul_lo_u32 v8, v21, v8
	v_add3_u32 v5, v5, v9, v8
	v_or_b32_e32 v8, v13, v20
	v_and_b32_e32 v20, 1, v8
	v_mov_b64_e32 v[8:9], v[4:5]
; %bb.93:
	s_or_b64 exec, exec, s[28:29]
	v_mov_b32_dpp v21, v4 row_shr:4 row_mask:0xf bank_mask:0xf
	v_mov_b32_dpp v24, v5 row_shr:4 row_mask:0xf bank_mask:0xf
	v_mov_b32_dpp v13, v20 row_shr:4 row_mask:0xf bank_mask:0xf
	v_cmp_lt_u32_e32 vcc, 3, v12
	s_and_saveexec_b64 s[28:29], vcc
; %bb.94:
	v_cmp_eq_u32_e32 vcc, 0, v20
	s_nop 1
	v_cndmask_b32_e32 v4, 1, v21, vcc
	v_cndmask_b32_e32 v21, 0, v24, vcc
	v_mul_lo_u32 v9, v4, v9
	v_mad_u64_u32 v[4:5], s[34:35], v4, v8, 0
	v_mul_lo_u32 v8, v21, v8
	v_add3_u32 v5, v5, v9, v8
	v_or_b32_e32 v8, v13, v20
	v_and_b32_e32 v20, 1, v8
	;; [unrolled: 19-line block ×3, first 2 shown]
	v_mov_b64_e32 v[8:9], v[4:5]
; %bb.97:
	s_or_b64 exec, exec, s[28:29]
	v_and_b32_e32 v24, 16, v28
	v_mov_b32_dpp v13, v4 row_bcast:15 row_mask:0xf bank_mask:0xf
	v_mov_b32_dpp v21, v5 row_bcast:15 row_mask:0xf bank_mask:0xf
	;; [unrolled: 1-line block ×3, first 2 shown]
	v_cmp_ne_u32_e32 vcc, 0, v24
	s_and_saveexec_b64 s[28:29], vcc
; %bb.98:
	v_cmp_eq_u32_e32 vcc, 0, v20
	s_nop 1
	v_cndmask_b32_e32 v4, 1, v13, vcc
	v_cndmask_b32_e32 v13, 0, v21, vcc
	v_mul_lo_u32 v9, v4, v9
	v_mad_u64_u32 v[4:5], s[34:35], v4, v8, 0
	v_mul_lo_u32 v8, v13, v8
	v_add3_u32 v5, v5, v9, v8
	v_or_b32_e32 v8, v12, v20
	v_and_b32_e32 v20, 1, v8
	v_mov_b64_e32 v[8:9], v[4:5]
; %bb.99:
	s_or_b64 exec, exec, s[28:29]
	v_mov_b32_dpp v12, v4 row_bcast:31 row_mask:0xf bank_mask:0xf
	v_mov_b32_dpp v13, v5 row_bcast:31 row_mask:0xf bank_mask:0xf
	v_mov_b32_dpp v5, v20 row_bcast:31 row_mask:0xf bank_mask:0xf
	v_cmp_lt_u32_e32 vcc, 31, v28
	v_mov_b32_e32 v4, v20
	s_and_saveexec_b64 s[28:29], vcc
; %bb.100:
	v_cmp_eq_u32_e32 vcc, 0, v20
	v_or_b32_e32 v5, v5, v20
	v_and_b32_e32 v20, 1, v5
	v_cndmask_b32_e32 v4, 1, v12, vcc
	v_cndmask_b32_e32 v21, 0, v13, vcc
	v_mul_lo_u32 v9, v4, v9
	v_mad_u64_u32 v[12:13], s[34:35], v4, v8, 0
	v_mul_lo_u32 v4, v21, v8
	v_add3_u32 v13, v13, v9, v4
	v_and_b32_e32 v4, 1, v5
	v_mov_b64_e32 v[8:9], v[12:13]
; %bb.101:
	s_or_b64 exec, exec, s[28:29]
	v_or_b32_e32 v5, 63, v0
	v_lshrrev_b32_e32 v21, 6, v0
	v_cmp_eq_u32_e32 vcc, v5, v0
	s_and_saveexec_b64 s[28:29], vcc
	s_cbranch_execz .LBB49_103
; %bb.102:
	v_lshlrev_b32_e32 v5, 4, v21
	ds_write_b64 v5, v[8:9]
	ds_write_b8 v5, v4 offset:8
.LBB49_103:
	s_or_b64 exec, exec, s[28:29]
	v_cmp_gt_u32_e32 vcc, 4, v0
	s_waitcnt lgkmcnt(0)
	s_barrier
	s_and_saveexec_b64 s[34:35], vcc
	s_cbranch_execz .LBB49_109
; %bb.104:
	v_lshlrev_b32_e32 v24, 4, v0
	ds_read_b64 v[4:5], v24
	ds_read_b32 v25, v24 offset:8
	v_and_b32_e32 v29, 3, v28
	v_cmp_ne_u32_e32 vcc, 0, v29
	s_waitcnt lgkmcnt(1)
	v_mov_b32_dpp v45, v4 row_shr:1 row_mask:0xf bank_mask:0xf
	v_mov_b32_dpp v48, v5 row_shr:1 row_mask:0xf bank_mask:0xf
	s_waitcnt lgkmcnt(0)
	v_mov_b32_dpp v44, v25 row_shr:1 row_mask:0xf bank_mask:0xf
	v_mov_b32_e32 v41, v25
	v_mov_b32_e32 v40, v25
	;; [unrolled: 1-line block ×4, first 2 shown]
	s_and_saveexec_b64 s[28:29], vcc
	s_cbranch_execz .LBB49_106
; %bb.105:
	v_mov_b32_e32 v12, 0
	v_cmp_eq_u16_sdwa vcc, v25, v12 src0_sel:BYTE_0 src1_sel:DWORD
	s_movk_i32 s3, 0xff00
	s_nop 0
	v_cndmask_b32_e32 v12, 1, v45, vcc
	v_cndmask_b32_e32 v40, 0, v48, vcc
	v_mul_lo_u32 v5, v12, v5
	v_mad_u64_u32 v[12:13], s[48:49], v12, v4, 0
	v_mul_lo_u32 v4, v40, v4
	v_add3_u32 v13, v13, v5, v4
	v_or_b32_e32 v4, v44, v25
	v_and_b32_e32 v40, 1, v4
	v_and_b32_e32 v41, 1, v4
	v_and_or_b32 v25, v25, s3, v40
	v_mov_b64_e32 v[4:5], v[12:13]
.LBB49_106:
	s_or_b64 exec, exec, s[28:29]
	v_mov_b32_dpp v44, v12 row_shr:2 row_mask:0xf bank_mask:0xf
	v_mov_b32_dpp v13, v13 row_shr:2 row_mask:0xf bank_mask:0xf
	;; [unrolled: 1-line block ×3, first 2 shown]
	v_cmp_lt_u32_e32 vcc, 1, v29
	s_and_saveexec_b64 s[48:49], vcc
	s_cbranch_execz .LBB49_108
; %bb.107:
	v_mov_b32_e32 v25, 0
	v_cmp_eq_u16_sdwa vcc, v40, v25 src0_sel:BYTE_0 src1_sel:DWORD
	s_nop 1
	v_cndmask_b32_e32 v25, 1, v44, vcc
	v_cndmask_b32_e32 v13, 0, v13, vcc
	v_mul_lo_u32 v5, v25, v5
	v_mad_u64_u32 v[44:45], s[28:29], v25, v4, 0
	v_mul_lo_u32 v4, v13, v4
	v_add3_u32 v45, v45, v5, v4
	v_and_b32_e32 v4, 1, v40
	v_cmp_eq_u32_e32 vcc, 1, v4
	v_and_b32_e32 v4, 1, v12
	v_cmp_eq_u32_e64 s[28:29], 1, v4
	s_or_b64 s[28:29], vcc, s[28:29]
	v_mov_b64_e32 v[4:5], v[44:45]
	v_cndmask_b32_e64 v41, 0, 1, s[28:29]
.LBB49_108:
	s_or_b64 exec, exec, s[48:49]
	ds_write_b64 v24, v[4:5]
	ds_write_b8 v24, v41 offset:8
.LBB49_109:
	s_or_b64 exec, exec, s[34:35]
	v_cmp_gt_u32_e32 vcc, 64, v0
	v_cmp_lt_u32_e64 s[28:29], 63, v0
	v_mov_b32_e32 v40, 0
	v_mov_b64_e32 v[4:5], 0
	s_waitcnt lgkmcnt(0)
	s_barrier
	s_and_saveexec_b64 s[34:35], s[28:29]
	s_cbranch_execz .LBB49_111
; %bb.110:
	v_lshl_add_u32 v12, v21, 4, -16
	ds_read_b64 v[4:5], v12
	ds_read_u8 v40, v12 offset:8
	v_cmp_eq_u32_e64 s[28:29], 0, v20
	s_waitcnt lgkmcnt(1)
	s_nop 0
	v_cndmask_b32_e64 v12, 1, v4, s[28:29]
	v_cndmask_b32_e64 v13, 0, v5, s[28:29]
	v_mul_lo_u32 v13, v13, v8
	v_mul_lo_u32 v21, v12, v9
	v_mad_u64_u32 v[8:9], s[28:29], v12, v8, 0
	v_and_b32_e32 v12, 1, v20
	v_cmp_eq_u32_e64 s[28:29], 1, v12
	v_add3_u32 v9, v9, v21, v13
	s_waitcnt lgkmcnt(0)
	v_cndmask_b32_e64 v20, v40, 1, s[28:29]
.LBB49_111:
	s_or_b64 exec, exec, s[34:35]
	v_add_u32_e32 v12, -1, v28
	v_and_b32_e32 v13, 64, v28
	v_cmp_lt_i32_e64 s[28:29], v12, v13
	s_nop 1
	v_cndmask_b32_e64 v12, v12, v28, s[28:29]
	v_lshlrev_b32_e32 v12, 2, v12
	ds_bpermute_b32 v41, v12, v8
	ds_bpermute_b32 v45, v12, v9
	;; [unrolled: 1-line block ×3, first 2 shown]
	v_cmp_eq_u32_e64 s[28:29], 0, v28
	s_and_saveexec_b64 s[48:49], vcc
	s_cbranch_execz .LBB49_154
; %bb.112:
	v_mov_b32_e32 v13, 0
	ds_read2_b64 v[48:51], v13 offset0:6 offset1:7
	s_and_saveexec_b64 s[34:35], s[28:29]
	s_cbranch_execz .LBB49_114
; %bb.113:
	s_add_i32 s52, s2, 64
	s_mov_b32 s53, 0
	s_lshl_b64 s[56:57], s[52:53], 4
	s_add_u32 s56, s36, s56
	s_addc_u32 s57, s37, s57
	v_mov_b32_e32 v8, s52
	v_mov_b32_e32 v9, 1
	s_waitcnt lgkmcnt(0)
	global_store_dword v13, v48, s[56:57] sc1
	global_store_dword v13, v49, s[56:57] offset:4 sc1
	global_store_dword v13, v50, s[56:57] offset:8 sc1
	;; [unrolled: 1-line block ×3, first 2 shown]
	s_waitcnt vmcnt(0)
	global_store_byte v8, v9, s[40:41] sc1
.LBB49_114:
	s_or_b64 exec, exec, s[34:35]
	v_xad_u32 v8, v28, -1, s2
	v_add_u32_e32 v12, 64, v8
	s_waitcnt lgkmcnt(0)
	global_load_ubyte v51, v12, s[40:41] sc1
	s_waitcnt vmcnt(0)
	v_cmp_eq_u16_e32 vcc, 0, v51
	s_and_saveexec_b64 s[34:35], vcc
	s_cbranch_execz .LBB49_118
; %bb.115:
	v_lshl_add_u64 v[20:21], s[40:41], 0, v[12:13]
	s_mov_b64 s[52:53], 0
.LBB49_116:                             ; =>This Inner Loop Header: Depth=1
	global_load_ubyte v51, v[20:21], off sc1
	s_waitcnt vmcnt(0)
	v_cmp_ne_u16_e32 vcc, 0, v51
	s_or_b64 s[52:53], vcc, s[52:53]
	s_andn2_b64 exec, exec, s[52:53]
	s_cbranch_execnz .LBB49_116
; %bb.117:
	s_or_b64 exec, exec, s[52:53]
.LBB49_118:
	s_or_b64 exec, exec, s[34:35]
	v_mov_b32_e32 v9, s39
	v_mov_b32_e32 v20, s37
	v_cmp_eq_u16_e32 vcc, 1, v51
	s_waitcnt vmcnt(0)
	s_nop 0
	v_cndmask_b32_e32 v21, v9, v20, vcc
	v_mov_b32_e32 v9, s38
	v_mov_b32_e32 v20, s36
	v_cndmask_b32_e32 v20, v9, v20, vcc
	v_lshl_add_u64 v[12:13], v[12:13], 4, v[20:21]
	global_load_dword v20, v[12:13], off sc1
	global_load_dword v21, v[12:13], off offset:4 sc1
	global_load_dword v29, v[12:13], off offset:8 sc1
	;; [unrolled: 1-line block ×3, first 2 shown]
	v_cmp_eq_u16_e32 vcc, 2, v51
	v_lshlrev_b64 v[12:13], v28, -1
	v_and_b32_e32 v52, 63, v28
	s_waitcnt vmcnt(0)
	v_and_b32_e32 v9, vcc_hi, v13
	v_and_b32_e32 v24, vcc_lo, v12
	v_cmp_ne_u32_e32 vcc, 63, v52
	v_or_b32_e32 v9, 0x80000000, v9
	v_ffbl_b32_e32 v9, v9
	v_addc_co_u32_e32 v25, vcc, 0, v28, vcc
	v_lshlrev_b32_e32 v53, 2, v25
	v_add_u32_e32 v9, 32, v9
	v_ffbl_b32_e32 v24, v24
	v_min_u32_e32 v9, v24, v9
	v_cmp_lt_u32_e32 vcc, v52, v9
	ds_bpermute_b32 v55, v53, v20
	ds_bpermute_b32 v56, v53, v21
	v_and_b32_e32 v62, 0xff, v29
	ds_bpermute_b32 v54, v53, v62
	v_mov_b64_e32 v[24:25], v[20:21]
	s_and_saveexec_b64 s[34:35], vcc
	s_cbranch_execz .LBB49_120
; %bb.119:
	v_mov_b32_e32 v24, 0
	v_cmp_eq_u16_sdwa vcc, v29, v24 src0_sel:BYTE_0 src1_sel:DWORD
	s_waitcnt lgkmcnt(2)
	s_nop 0
	v_cndmask_b32_e32 v24, 1, v55, vcc
	s_waitcnt lgkmcnt(1)
	v_cndmask_b32_e32 v55, 0, v56, vcc
	v_mul_lo_u32 v21, v24, v21
	v_mad_u64_u32 v[24:25], s[52:53], v24, v20, 0
	v_mul_lo_u32 v20, v55, v20
	v_add3_u32 v25, v25, v21, v20
	s_waitcnt lgkmcnt(0)
	v_or_b32_e32 v20, v54, v29
	v_and_b32_e32 v29, 1, v20
	v_and_b32_e32 v62, 1, v20
	v_mov_b32_e32 v21, v25
	v_mov_b32_e32 v20, v24
.LBB49_120:
	s_or_b64 exec, exec, s[34:35]
	v_cmp_gt_u32_e32 vcc, 62, v52
	s_waitcnt lgkmcnt(2)
	v_add_u32_e32 v55, 2, v52
	s_waitcnt lgkmcnt(0)
	v_cndmask_b32_e64 v54, 0, 1, vcc
	v_lshlrev_b32_e32 v54, 1, v54
	v_add_lshl_u32 v54, v54, v28, 2
	ds_bpermute_b32 v57, v54, v20
	ds_bpermute_b32 v58, v54, v21
	ds_bpermute_b32 v56, v54, v62
	v_cmp_le_u32_e32 vcc, v55, v9
	s_and_saveexec_b64 s[52:53], vcc
	s_cbranch_execz .LBB49_122
; %bb.121:
	v_mov_b32_e32 v20, 0
	v_cmp_eq_u16_sdwa vcc, v29, v20 src0_sel:BYTE_0 src1_sel:DWORD
	s_waitcnt lgkmcnt(2)
	s_nop 0
	v_cndmask_b32_e32 v20, 1, v57, vcc
	s_waitcnt lgkmcnt(1)
	v_cndmask_b32_e32 v57, 0, v58, vcc
	v_mul_lo_u32 v25, v20, v25
	v_mad_u64_u32 v[20:21], s[34:35], v20, v24, 0
	v_mul_lo_u32 v24, v57, v24
	v_add3_u32 v21, v21, v25, v24
	v_and_b32_e32 v24, 1, v29
	v_cmp_eq_u32_e32 vcc, 1, v24
	s_waitcnt lgkmcnt(0)
	v_and_b32_e32 v24, 1, v56
	v_cmp_eq_u32_e64 s[34:35], 1, v24
	s_or_b64 s[34:35], vcc, s[34:35]
	v_mov_b64_e32 v[24:25], v[20:21]
	v_cndmask_b32_e64 v29, 0, 1, s[34:35]
	v_cndmask_b32_e64 v62, 0, 1, s[34:35]
.LBB49_122:
	s_or_b64 exec, exec, s[52:53]
	v_cmp_gt_u32_e32 vcc, 60, v52
	s_waitcnt lgkmcnt(2)
	v_add_u32_e32 v57, 4, v52
	s_waitcnt lgkmcnt(0)
	v_cndmask_b32_e64 v56, 0, 1, vcc
	v_lshlrev_b32_e32 v56, 2, v56
	v_add_lshl_u32 v56, v56, v28, 2
	ds_bpermute_b32 v59, v56, v20
	ds_bpermute_b32 v60, v56, v21
	ds_bpermute_b32 v58, v56, v62
	v_cmp_le_u32_e32 vcc, v57, v9
	s_and_saveexec_b64 s[52:53], vcc
	s_cbranch_execz .LBB49_124
; %bb.123:
	v_mov_b32_e32 v20, 0
	v_cmp_eq_u16_sdwa vcc, v29, v20 src0_sel:BYTE_0 src1_sel:DWORD
	s_waitcnt lgkmcnt(2)
	s_nop 0
	v_cndmask_b32_e32 v20, 1, v59, vcc
	s_waitcnt lgkmcnt(1)
	v_cndmask_b32_e32 v59, 0, v60, vcc
	v_mul_lo_u32 v25, v20, v25
	v_mad_u64_u32 v[20:21], s[34:35], v20, v24, 0
	v_mul_lo_u32 v24, v59, v24
	v_add3_u32 v21, v21, v25, v24
	v_and_b32_e32 v24, 1, v29
	v_cmp_eq_u32_e32 vcc, 1, v24
	s_waitcnt lgkmcnt(0)
	v_and_b32_e32 v24, 1, v58
	v_cmp_eq_u32_e64 s[34:35], 1, v24
	s_or_b64 s[34:35], vcc, s[34:35]
	v_mov_b64_e32 v[24:25], v[20:21]
	v_cndmask_b32_e64 v29, 0, 1, s[34:35]
	v_cndmask_b32_e64 v62, 0, 1, s[34:35]
.LBB49_124:
	;; [unrolled: 36-line block ×4, first 2 shown]
	s_or_b64 exec, exec, s[52:53]
	v_cmp_gt_u32_e32 vcc, 32, v52
	s_waitcnt lgkmcnt(2)
	v_add_u32_e32 v64, 32, v52
	s_waitcnt lgkmcnt(0)
	v_cndmask_b32_e64 v63, 0, 1, vcc
	v_lshlrev_b32_e32 v63, 5, v63
	v_add_lshl_u32 v63, v63, v28, 2
	ds_bpermute_b32 v28, v63, v20
	ds_bpermute_b32 v21, v63, v21
	;; [unrolled: 1-line block ×3, first 2 shown]
	v_cmp_le_u32_e32 vcc, v64, v9
	s_and_saveexec_b64 s[52:53], vcc
	s_cbranch_execz .LBB49_130
; %bb.129:
	v_mov_b32_e32 v9, 0
	v_cmp_eq_u16_sdwa vcc, v29, v9 src0_sel:BYTE_0 src1_sel:DWORD
	s_waitcnt lgkmcnt(2)
	s_nop 0
	v_cndmask_b32_e32 v9, 1, v28, vcc
	s_waitcnt lgkmcnt(1)
	v_cndmask_b32_e32 v21, 0, v21, vcc
	v_mul_lo_u32 v25, v9, v25
	v_mad_u64_u32 v[66:67], s[34:35], v9, v24, 0
	v_mul_lo_u32 v9, v21, v24
	v_add3_u32 v67, v67, v25, v9
	v_and_b32_e32 v9, 1, v29
	v_cmp_eq_u32_e32 vcc, 1, v9
	s_waitcnt lgkmcnt(0)
	v_and_b32_e32 v9, 1, v20
	v_cmp_eq_u32_e64 s[34:35], 1, v9
	s_or_b64 s[34:35], vcc, s[34:35]
	v_mov_b64_e32 v[24:25], v[66:67]
	v_cndmask_b32_e64 v29, 0, 1, s[34:35]
.LBB49_130:
	s_or_b64 exec, exec, s[52:53]
	v_mov_b32_e32 v9, 0
	v_mov_b32_e32 v65, 2
	s_branch .LBB49_132
.LBB49_131:                             ;   in Loop: Header=BB49_132 Depth=1
	s_or_b64 exec, exec, s[56:57]
	v_cmp_eq_u16_sdwa vcc, v62, v9 src0_sel:BYTE_0 src1_sel:DWORD
	v_subrev_u32_e32 v8, 64, v8
	s_waitcnt lgkmcnt(0)
	v_cndmask_b32_e32 v24, 1, v28, vcc
	v_cndmask_b32_e32 v25, 0, v29, vcc
	v_mul_lo_u32 v28, v25, v20
	v_mul_lo_u32 v29, v24, v21
	v_mad_u64_u32 v[24:25], s[34:35], v24, v20, 0
	v_add3_u32 v25, v25, v29, v28
	v_and_b32_e32 v28, 1, v62
	v_cmp_eq_u32_e32 vcc, 1, v28
	s_or_b64 s[34:35], vcc, s[52:53]
	v_cndmask_b32_e64 v29, 0, 1, s[34:35]
.LBB49_132:                             ; =>This Loop Header: Depth=1
                                        ;     Child Loop BB49_135 Depth 2
	v_cmp_ne_u16_sdwa s[34:35], v51, v65 src0_sel:BYTE_0 src1_sel:DWORD
	v_mov_b32_e32 v62, v29
	s_waitcnt lgkmcnt(0)
	v_cndmask_b32_e64 v20, 0, 1, s[34:35]
	;;#ASMSTART
	;;#ASMEND
	s_nop 0
	v_cmp_ne_u32_e32 vcc, 0, v20
	s_cmp_lg_u64 vcc, exec
	v_mov_b64_e32 v[20:21], v[24:25]
	s_cbranch_scc1 .LBB49_149
; %bb.133:                              ;   in Loop: Header=BB49_132 Depth=1
	global_load_ubyte v51, v8, s[40:41] sc1
	s_waitcnt vmcnt(0)
	v_cmp_eq_u16_e32 vcc, 0, v51
	s_and_saveexec_b64 s[34:35], vcc
	s_cbranch_execz .LBB49_137
; %bb.134:                              ;   in Loop: Header=BB49_132 Depth=1
	v_lshl_add_u64 v[24:25], s[40:41], 0, v[8:9]
	s_mov_b64 s[52:53], 0
.LBB49_135:                             ;   Parent Loop BB49_132 Depth=1
                                        ; =>  This Inner Loop Header: Depth=2
	global_load_ubyte v51, v[24:25], off sc1
	s_waitcnt vmcnt(0)
	v_cmp_ne_u16_e32 vcc, 0, v51
	s_or_b64 s[52:53], vcc, s[52:53]
	s_andn2_b64 exec, exec, s[52:53]
	s_cbranch_execnz .LBB49_135
; %bb.136:                              ;   in Loop: Header=BB49_132 Depth=1
	s_or_b64 exec, exec, s[52:53]
.LBB49_137:                             ;   in Loop: Header=BB49_132 Depth=1
	s_or_b64 exec, exec, s[34:35]
	v_mov_b32_e32 v24, s39
	v_mov_b32_e32 v25, s37
	v_cmp_eq_u16_e32 vcc, 1, v51
	v_mov_b32_e32 v28, s36
	s_waitcnt vmcnt(0)
	v_cndmask_b32_e32 v25, v24, v25, vcc
	v_mov_b32_e32 v24, s38
	v_cndmask_b32_e32 v24, v24, v28, vcc
	v_lshl_add_u64 v[28:29], v[8:9], 4, v[24:25]
	global_load_dword v24, v[28:29], off sc1
	global_load_dword v25, v[28:29], off offset:4 sc1
	global_load_dword v66, v[28:29], off offset:8 sc1
	s_nop 0
	global_load_dword v28, v[28:29], off offset:12 sc1
	v_cmp_eq_u16_e32 vcc, 2, v51
	s_waitcnt vmcnt(3)
	ds_bpermute_b32 v70, v53, v24
	s_waitcnt vmcnt(0)
	v_and_b32_e32 v28, vcc_hi, v13
	v_and_b32_e32 v68, 0xff, v66
	v_or_b32_e32 v28, 0x80000000, v28
	ds_bpermute_b32 v71, v53, v25
	ds_bpermute_b32 v69, v53, v68
	v_and_b32_e32 v29, vcc_lo, v12
	v_ffbl_b32_e32 v28, v28
	v_add_u32_e32 v28, 32, v28
	v_ffbl_b32_e32 v29, v29
	v_min_u32_e32 v67, v29, v28
	v_cmp_lt_u32_e32 vcc, v52, v67
	v_mov_b64_e32 v[28:29], v[24:25]
	s_and_saveexec_b64 s[34:35], vcc
	s_cbranch_execz .LBB49_139
; %bb.138:                              ;   in Loop: Header=BB49_132 Depth=1
	v_cmp_eq_u16_sdwa vcc, v66, v9 src0_sel:BYTE_0 src1_sel:DWORD
	s_waitcnt lgkmcnt(2)
	s_nop 0
	v_cndmask_b32_e32 v28, 1, v70, vcc
	s_waitcnt lgkmcnt(1)
	v_cndmask_b32_e32 v68, 0, v71, vcc
	v_mul_lo_u32 v25, v28, v25
	v_mad_u64_u32 v[28:29], s[52:53], v28, v24, 0
	v_mul_lo_u32 v24, v68, v24
	v_add3_u32 v29, v29, v25, v24
	s_waitcnt lgkmcnt(0)
	v_or_b32_e32 v24, v69, v66
	v_and_b32_e32 v66, 1, v24
	v_and_b32_e32 v68, 1, v24
	v_mov_b32_e32 v25, v29
	v_mov_b32_e32 v24, v28
.LBB49_139:                             ;   in Loop: Header=BB49_132 Depth=1
	s_or_b64 exec, exec, s[34:35]
	s_waitcnt lgkmcnt(2)
	ds_bpermute_b32 v70, v54, v24
	s_waitcnt lgkmcnt(2)
	ds_bpermute_b32 v71, v54, v25
	;; [unrolled: 2-line block ×3, first 2 shown]
	v_and_b32_e32 v72, 1, v66
	v_cmp_le_u32_e32 vcc, v55, v67
	v_cmp_eq_u32_e64 s[52:53], 1, v72
	s_and_saveexec_b64 s[34:35], vcc
	s_cbranch_execz .LBB49_141
; %bb.140:                              ;   in Loop: Header=BB49_132 Depth=1
	v_cmp_eq_u16_sdwa vcc, v66, v9 src0_sel:BYTE_0 src1_sel:DWORD
	s_waitcnt lgkmcnt(2)
	s_nop 0
	v_cndmask_b32_e32 v24, 1, v70, vcc
	s_waitcnt lgkmcnt(1)
	v_cndmask_b32_e32 v66, 0, v71, vcc
	v_mul_lo_u32 v29, v24, v29
	v_mad_u64_u32 v[24:25], s[56:57], v24, v28, 0
	v_mul_lo_u32 v28, v66, v28
	v_add3_u32 v25, v25, v29, v28
	s_waitcnt lgkmcnt(0)
	v_and_b32_e32 v28, 1, v69
	v_cmp_eq_u32_e32 vcc, 1, v28
	s_or_b64 s[56:57], s[52:53], vcc
	v_cndmask_b32_e64 v66, 0, 1, s[56:57]
	v_cndmask_b32_e64 v68, 0, 1, s[56:57]
	s_andn2_b64 s[52:53], s[52:53], exec
	s_and_b64 s[56:57], s[56:57], exec
	s_or_b64 s[52:53], s[52:53], s[56:57]
	v_mov_b64_e32 v[28:29], v[24:25]
.LBB49_141:                             ;   in Loop: Header=BB49_132 Depth=1
	s_or_b64 exec, exec, s[34:35]
	s_waitcnt lgkmcnt(2)
	ds_bpermute_b32 v70, v56, v24
	s_waitcnt lgkmcnt(2)
	ds_bpermute_b32 v71, v56, v25
	s_waitcnt lgkmcnt(2)
	ds_bpermute_b32 v69, v56, v68
	v_cmp_le_u32_e32 vcc, v57, v67
	s_and_saveexec_b64 s[56:57], vcc
	s_cbranch_execz .LBB49_143
; %bb.142:                              ;   in Loop: Header=BB49_132 Depth=1
	v_cmp_eq_u16_sdwa vcc, v66, v9 src0_sel:BYTE_0 src1_sel:DWORD
	s_andn2_b64 s[52:53], s[52:53], exec
	s_waitcnt lgkmcnt(2)
	v_cndmask_b32_e32 v24, 1, v70, vcc
	s_waitcnt lgkmcnt(1)
	v_cndmask_b32_e32 v68, 0, v71, vcc
	v_mul_lo_u32 v29, v24, v29
	v_mad_u64_u32 v[24:25], s[34:35], v24, v28, 0
	v_mul_lo_u32 v28, v68, v28
	v_add3_u32 v25, v25, v29, v28
	v_and_b32_e32 v28, 1, v66
	v_cmp_eq_u32_e32 vcc, 1, v28
	s_waitcnt lgkmcnt(0)
	v_and_b32_e32 v28, 1, v69
	v_cmp_eq_u32_e64 s[34:35], 1, v28
	s_or_b64 s[34:35], vcc, s[34:35]
	v_mov_b64_e32 v[28:29], v[24:25]
	v_cndmask_b32_e64 v66, 0, 1, s[34:35]
	v_cndmask_b32_e64 v68, 0, 1, s[34:35]
	s_and_b64 s[34:35], s[34:35], exec
	s_or_b64 s[52:53], s[52:53], s[34:35]
.LBB49_143:                             ;   in Loop: Header=BB49_132 Depth=1
	s_or_b64 exec, exec, s[56:57]
	s_waitcnt lgkmcnt(2)
	ds_bpermute_b32 v70, v58, v24
	s_waitcnt lgkmcnt(2)
	ds_bpermute_b32 v71, v58, v25
	s_waitcnt lgkmcnt(2)
	ds_bpermute_b32 v69, v58, v68
	v_cmp_le_u32_e32 vcc, v59, v67
	s_and_saveexec_b64 s[56:57], vcc
	s_cbranch_execz .LBB49_145
; %bb.144:                              ;   in Loop: Header=BB49_132 Depth=1
	v_cmp_eq_u16_sdwa vcc, v66, v9 src0_sel:BYTE_0 src1_sel:DWORD
	s_andn2_b64 s[52:53], s[52:53], exec
	s_waitcnt lgkmcnt(2)
	v_cndmask_b32_e32 v24, 1, v70, vcc
	s_waitcnt lgkmcnt(1)
	v_cndmask_b32_e32 v68, 0, v71, vcc
	v_mul_lo_u32 v29, v24, v29
	v_mad_u64_u32 v[24:25], s[34:35], v24, v28, 0
	v_mul_lo_u32 v28, v68, v28
	v_add3_u32 v25, v25, v29, v28
	v_and_b32_e32 v28, 1, v66
	v_cmp_eq_u32_e32 vcc, 1, v28
	s_waitcnt lgkmcnt(0)
	v_and_b32_e32 v28, 1, v69
	v_cmp_eq_u32_e64 s[34:35], 1, v28
	s_or_b64 s[34:35], vcc, s[34:35]
	v_mov_b64_e32 v[28:29], v[24:25]
	v_cndmask_b32_e64 v66, 0, 1, s[34:35]
	v_cndmask_b32_e64 v68, 0, 1, s[34:35]
	s_and_b64 s[34:35], s[34:35], exec
	s_or_b64 s[52:53], s[52:53], s[34:35]
.LBB49_145:                             ;   in Loop: Header=BB49_132 Depth=1
	;; [unrolled: 33-line block ×3, first 2 shown]
	s_or_b64 exec, exec, s[56:57]
	s_waitcnt lgkmcnt(0)
	ds_bpermute_b32 v69, v63, v24
	ds_bpermute_b32 v25, v63, v25
	;; [unrolled: 1-line block ×3, first 2 shown]
	v_cmp_le_u32_e32 vcc, v64, v67
	s_and_saveexec_b64 s[56:57], vcc
	s_cbranch_execz .LBB49_131
; %bb.148:                              ;   in Loop: Header=BB49_132 Depth=1
	v_cmp_eq_u16_sdwa vcc, v66, v9 src0_sel:BYTE_0 src1_sel:DWORD
	s_waitcnt lgkmcnt(0)
	v_and_b32_e32 v24, 1, v24
	s_andn2_b64 s[52:53], s[52:53], exec
	v_cndmask_b32_e32 v67, 1, v69, vcc
	v_cndmask_b32_e32 v25, 0, v25, vcc
	v_mul_lo_u32 v29, v67, v29
	v_mad_u64_u32 v[68:69], s[34:35], v67, v28, 0
	v_mul_lo_u32 v25, v25, v28
	v_add3_u32 v69, v69, v29, v25
	v_and_b32_e32 v25, 1, v66
	v_cmp_eq_u32_e32 vcc, 1, v25
	v_cmp_eq_u32_e64 s[34:35], 1, v24
	s_or_b64 s[34:35], vcc, s[34:35]
	s_and_b64 s[34:35], s[34:35], exec
	s_or_b64 s[52:53], s[52:53], s[34:35]
	v_mov_b64_e32 v[28:29], v[68:69]
	s_branch .LBB49_131
.LBB49_149:                             ;   in Loop: Header=BB49_132 Depth=1
                                        ; implicit-def: $vgpr29
                                        ; implicit-def: $vgpr24_vgpr25
                                        ; implicit-def: $vgpr51
	s_cbranch_execz .LBB49_132
; %bb.150:
	s_and_saveexec_b64 s[34:35], s[28:29]
	s_cbranch_execz .LBB49_152
; %bb.151:
	v_mov_b32_e32 v12, 0
	v_cmp_eq_u32_sdwa vcc, v50, v12 src0_sel:BYTE_0 src1_sel:DWORD
	s_mov_b32 s3, 0
	s_add_i32 s2, s2, 64
	v_cndmask_b32_e32 v8, 1, v20, vcc
	v_cndmask_b32_e32 v9, 0, v21, vcc
	v_mul_lo_u32 v13, v9, v48
	v_mul_lo_u32 v24, v8, v49
	v_mad_u64_u32 v[8:9], s[36:37], v8, v48, 0
	s_lshl_b64 s[36:37], s[2:3], 4
	v_add3_u32 v9, v9, v24, v13
	v_and_b32_e32 v13, 1, v50
	s_add_u32 s36, s38, s36
	v_and_b32_e32 v24, 1, v62
	v_cmp_eq_u32_e32 vcc, 1, v13
	s_addc_u32 s37, s39, s37
	s_nop 0
	v_cndmask_b32_e64 v13, v24, 1, vcc
	global_store_dword v12, v8, s[36:37] sc1
	global_store_dword v12, v9, s[36:37] offset:4 sc1
	global_store_dword v12, v13, s[36:37] offset:8 sc1
	;; [unrolled: 1-line block ×3, first 2 shown]
	v_mov_b32_e32 v8, s2
	v_mov_b32_e32 v9, 2
	s_waitcnt vmcnt(0)
	global_store_byte v8, v9, s[40:41] sc1
.LBB49_152:
	s_or_b64 exec, exec, s[34:35]
	v_cmp_eq_u32_e32 vcc, 0, v0
	s_and_b64 exec, exec, vcc
	s_cbranch_execz .LBB49_154
; %bb.153:
	v_mov_b32_e32 v8, 0
	ds_write_b64 v8, v[20:21] offset:48
	ds_write_b8 v8, v62 offset:56
.LBB49_154:
	s_or_b64 exec, exec, s[48:49]
	v_mov_b32_e32 v20, 0
	s_waitcnt lgkmcnt(0)
	s_barrier
	ds_read_b64 v[8:9], v20 offset:48
	v_cmp_ne_u32_e32 vcc, 0, v0
	v_mov_b32_e32 v21, v1
	v_mov_b64_e32 v[12:13], v[2:3]
	s_and_saveexec_b64 s[34:35], vcc
	s_cbranch_execz .LBB49_156
; %bb.155:
	v_cndmask_b32_e64 v12, v44, v40, s[28:29]
	v_and_b32_e32 v13, 1, v1
	v_and_b32_e32 v12, 1, v12
	v_cmp_eq_u32_e32 vcc, 1, v13
	v_cmp_eq_u32_e64 s[2:3], 1, v12
	v_cndmask_b32_e64 v5, v45, v5, s[28:29]
	v_cndmask_b32_e64 v4, v41, v4, s[28:29]
	s_or_b64 s[2:3], vcc, s[2:3]
	v_cmp_eq_u16_sdwa vcc, v1, v20 src0_sel:BYTE_0 src1_sel:DWORD
	v_cndmask_b32_e64 v21, 0, 1, s[2:3]
	s_nop 0
	v_cndmask_b32_e32 v4, 1, v4, vcc
	v_cndmask_b32_e32 v5, 0, v5, vcc
	v_mul_lo_u32 v5, v5, v2
	v_mul_lo_u32 v24, v4, v3
	v_mad_u64_u32 v[12:13], s[2:3], v4, v2, 0
	v_add3_u32 v13, v13, v24, v5
.LBB49_156:
	s_or_b64 exec, exec, s[34:35]
	v_cmp_eq_u16_sdwa vcc, v21, v20 src0_sel:BYTE_0 src1_sel:DWORD
	s_waitcnt lgkmcnt(0)
	s_nop 0
	v_cndmask_b32_e32 v4, 1, v8, vcc
	v_cndmask_b32_e32 v5, 0, v9, vcc
	v_mul_lo_u32 v5, v5, v12
	v_mul_lo_u32 v8, v4, v13
	v_mad_u64_u32 v[48:49], s[2:3], v4, v12, 0
	v_add3_u32 v49, v49, v8, v5
	v_cndmask_b32_e64 v4, 0, v49, s[26:27]
	v_cndmask_b32_e64 v5, 1, v48, s[26:27]
	v_mul_lo_u32 v4, v4, v14
	v_mul_lo_u32 v8, v5, v15
	v_mad_u64_u32 v[50:51], s[2:3], v5, v14, 0
	v_add3_u32 v51, v51, v8, v4
	v_cndmask_b32_e64 v4, 0, v51, s[24:25]
	v_cndmask_b32_e64 v5, 1, v50, s[24:25]
	;; [unrolled: 6-line block ×13, first 2 shown]
	v_mul_lo_u32 v4, v4, v16
	v_mul_lo_u32 v8, v5, v17
	v_mad_u64_u32 v[74:75], s[2:3], v5, v16, 0
	v_add3_u32 v75, v75, v8, v4
	s_branch .LBB49_187
.LBB49_157:
                                        ; implicit-def: $vgpr74_vgpr75
                                        ; implicit-def: $vgpr70_vgpr71
                                        ; implicit-def: $vgpr66_vgpr67
                                        ; implicit-def: $vgpr62_vgpr63
                                        ; implicit-def: $vgpr58_vgpr59
                                        ; implicit-def: $vgpr54_vgpr55
                                        ; implicit-def: $vgpr50_vgpr51
	s_cbranch_execz .LBB49_187
; %bb.158:
	s_cmp_lg_u64 s[60:61], 0
	s_cselect_b32 s3, s55, 0
	s_cselect_b32 s2, s54, 0
	s_cmp_lg_u64 s[2:3], 0
	s_cselect_b64 s[4:5], -1, 0
	v_cmp_eq_u32_e32 vcc, 0, v0
	v_cmp_ne_u32_e64 s[8:9], 0, v0
	s_and_b64 s[6:7], vcc, s[4:5]
	s_and_saveexec_b64 s[4:5], s[6:7]
	s_cbranch_execz .LBB49_160
; %bb.159:
	v_mov_b32_e32 v8, 0
	global_load_dwordx2 v[4:5], v8, s[2:3]
	global_load_ubyte v9, v8, s[2:3] offset:8
	v_cmp_eq_u16_sdwa s[2:3], v1, v8 src0_sel:BYTE_0 src1_sel:DWORD
	s_waitcnt vmcnt(0)
	v_or_b32_e32 v1, v1, v9
	v_cndmask_b32_e64 v4, 1, v4, s[2:3]
	v_cndmask_b32_e64 v5, 0, v5, s[2:3]
	v_mul_lo_u32 v5, v5, v2
	v_mul_lo_u32 v8, v4, v3
	v_mad_u64_u32 v[2:3], s[2:3], v4, v2, 0
	v_add3_u32 v3, v3, v8, v5
	v_and_b32_e32 v1, 1, v1
.LBB49_160:
	s_or_b64 exec, exec, s[4:5]
	v_mov_b32_e32 v5, 0
	v_cmp_eq_u16_sdwa s[28:29], v82, v5 src0_sel:BYTE_0 src1_sel:DWORD
	v_cmp_eq_u16_sdwa s[26:27], v81, v5 src0_sel:BYTE_0 src1_sel:DWORD
	v_cmp_eq_u16_sdwa s[24:25], v83, v5 src0_sel:BYTE_0 src1_sel:DWORD
	v_cndmask_b32_e64 v8, 1, v2, s[28:29]
	v_cndmask_b32_e64 v9, 0, v3, s[28:29]
	v_mul_lo_u32 v9, v9, v14
	v_mul_lo_u32 v12, v8, v15
	v_mad_u64_u32 v[50:51], s[2:3], v8, v14, 0
	v_add3_u32 v51, v51, v12, v9
	v_cndmask_b32_e64 v8, 0, v51, s[26:27]
	v_cndmask_b32_e64 v9, 1, v50, s[26:27]
	v_mul_lo_u32 v8, v8, v6
	v_mul_lo_u32 v12, v9, v7
	v_mad_u64_u32 v[52:53], s[2:3], v9, v6, 0
	v_add3_u32 v53, v53, v12, v8
	v_cndmask_b32_e64 v8, 0, v53, s[24:25]
	v_cndmask_b32_e64 v9, 1, v52, s[24:25]
	v_mul_lo_u32 v8, v8, v22
	v_mul_lo_u32 v12, v9, v23
	v_mad_u64_u32 v[54:55], s[2:3], v9, v22, 0
	v_add3_u32 v55, v55, v12, v8
	v_cmp_eq_u16_sdwa s[22:23], v84, v5 src0_sel:BYTE_0 src1_sel:DWORD
	v_cmp_eq_u16_sdwa s[20:21], v85, v5 src0_sel:BYTE_0 src1_sel:DWORD
	v_cmp_eq_u16_sdwa s[18:19], v86, v5 src0_sel:BYTE_0 src1_sel:DWORD
	v_cndmask_b32_e64 v8, 0, v55, s[22:23]
	v_cndmask_b32_e64 v9, 1, v54, s[22:23]
	v_mul_lo_u32 v8, v8, v10
	v_mul_lo_u32 v12, v9, v11
	v_mad_u64_u32 v[56:57], s[2:3], v9, v10, 0
	v_add3_u32 v57, v57, v12, v8
	v_cndmask_b32_e64 v8, 0, v57, s[20:21]
	v_cndmask_b32_e64 v9, 1, v56, s[20:21]
	v_mul_lo_u32 v8, v8, v30
	v_mul_lo_u32 v12, v9, v31
	v_mad_u64_u32 v[58:59], s[2:3], v9, v30, 0
	v_add3_u32 v59, v59, v12, v8
	v_cndmask_b32_e64 v8, 0, v59, s[18:19]
	v_cndmask_b32_e64 v9, 1, v58, s[18:19]
	v_mul_lo_u32 v8, v8, v18
	v_mul_lo_u32 v12, v9, v19
	v_mad_u64_u32 v[60:61], s[2:3], v9, v18, 0
	v_add3_u32 v61, v61, v12, v8
	;; [unrolled: 21-line block ×4, first 2 shown]
	v_cmp_eq_u16_sdwa s[2:3], v33, v5 src0_sel:BYTE_0 src1_sel:DWORD
	v_and_b32_e32 v4, 0xff, v1
	v_mbcnt_hi_u32_b32 v20, -1, v36
	v_cndmask_b32_e64 v5, 0, v73, s[2:3]
	v_cndmask_b32_e64 v8, 1, v72, s[2:3]
	v_mul_lo_u32 v5, v5, v16
	v_mul_lo_u32 v9, v8, v17
	v_mad_u64_u32 v[74:75], s[30:31], v8, v16, 0
	v_add3_u32 v75, v75, v9, v5
	v_or_b32_e32 v5, v37, v90
	v_or_b32_e32 v5, v5, v89
	;; [unrolled: 1-line block ×10, first 2 shown]
	v_and_b32_e32 v5, 1, v5
	v_cmp_eq_u32_e64 s[30:31], 1, v5
	v_and_b32_e32 v12, 15, v20
	v_mov_b32_dpp v24, v74 row_shr:1 row_mask:0xf bank_mask:0xf
	v_cndmask_b32_e64 v21, v4, 1, s[30:31]
	v_mov_b32_dpp v25, v75 row_shr:1 row_mask:0xf bank_mask:0xf
	v_cmp_ne_u32_e64 s[30:31], 0, v12
	v_mov_b32_dpp v13, v21 row_shr:1 row_mask:0xf bank_mask:0xf
	v_mov_b64_e32 v[4:5], v[74:75]
	v_mov_b32_e32 v9, v75
	v_mov_b32_e32 v8, v74
	s_and_saveexec_b64 s[34:35], s[30:31]
; %bb.161:
	v_cmp_eq_u32_e64 s[30:31], 0, v21
	v_and_or_b32 v21, v13, 1, v21
	s_nop 0
	v_cndmask_b32_e64 v4, 1, v24, s[30:31]
	v_cndmask_b32_e64 v8, 0, v25, s[30:31]
	v_mul_lo_u32 v9, v75, v4
	v_mad_u64_u32 v[4:5], s[30:31], v74, v4, 0
	v_mul_lo_u32 v8, v74, v8
	v_add3_u32 v5, v5, v8, v9
	v_mov_b32_e32 v9, v5
	v_mov_b32_e32 v8, v4
; %bb.162:
	s_or_b64 exec, exec, s[34:35]
	s_nop 0
	v_mov_b32_dpp v24, v8 row_shr:2 row_mask:0xf bank_mask:0xf
	v_mov_b32_dpp v25, v9 row_shr:2 row_mask:0xf bank_mask:0xf
	v_mov_b32_dpp v13, v21 row_shr:2 row_mask:0xf bank_mask:0xf
	v_cmp_lt_u32_e64 s[30:31], 1, v12
	s_and_saveexec_b64 s[34:35], s[30:31]
; %bb.163:
	v_cmp_eq_u32_e64 s[30:31], 0, v21
	s_nop 1
	v_cndmask_b32_e64 v8, 1, v24, s[30:31]
	v_cndmask_b32_e64 v24, 0, v25, s[30:31]
	v_mul_lo_u32 v5, v8, v5
	v_mad_u64_u32 v[8:9], s[30:31], v8, v4, 0
	v_mul_lo_u32 v4, v24, v4
	v_add3_u32 v9, v9, v5, v4
	v_or_b32_e32 v4, v13, v21
	v_and_b32_e32 v21, 1, v4
	v_mov_b64_e32 v[4:5], v[8:9]
; %bb.164:
	s_or_b64 exec, exec, s[34:35]
	v_mov_b32_dpp v24, v8 row_shr:4 row_mask:0xf bank_mask:0xf
	v_mov_b32_dpp v25, v9 row_shr:4 row_mask:0xf bank_mask:0xf
	v_mov_b32_dpp v13, v21 row_shr:4 row_mask:0xf bank_mask:0xf
	v_cmp_lt_u32_e64 s[30:31], 3, v12
	s_and_saveexec_b64 s[34:35], s[30:31]
; %bb.165:
	v_cmp_eq_u32_e64 s[30:31], 0, v21
	s_nop 1
	v_cndmask_b32_e64 v8, 1, v24, s[30:31]
	v_cndmask_b32_e64 v24, 0, v25, s[30:31]
	v_mul_lo_u32 v5, v8, v5
	v_mad_u64_u32 v[8:9], s[30:31], v8, v4, 0
	v_mul_lo_u32 v4, v24, v4
	v_add3_u32 v9, v9, v5, v4
	v_or_b32_e32 v4, v13, v21
	v_and_b32_e32 v21, 1, v4
	v_mov_b64_e32 v[4:5], v[8:9]
; %bb.166:
	s_or_b64 exec, exec, s[34:35]
	;; [unrolled: 19-line block ×3, first 2 shown]
	v_and_b32_e32 v25, 16, v20
	v_mov_b32_dpp v13, v8 row_bcast:15 row_mask:0xf bank_mask:0xf
	v_mov_b32_dpp v24, v9 row_bcast:15 row_mask:0xf bank_mask:0xf
	;; [unrolled: 1-line block ×3, first 2 shown]
	v_cmp_ne_u32_e64 s[30:31], 0, v25
	s_and_saveexec_b64 s[34:35], s[30:31]
; %bb.169:
	v_cmp_eq_u32_e64 s[30:31], 0, v21
	s_nop 1
	v_cndmask_b32_e64 v8, 1, v13, s[30:31]
	v_cndmask_b32_e64 v13, 0, v24, s[30:31]
	v_mul_lo_u32 v5, v8, v5
	v_mad_u64_u32 v[8:9], s[30:31], v8, v4, 0
	v_mul_lo_u32 v4, v13, v4
	v_add3_u32 v9, v9, v5, v4
	v_or_b32_e32 v4, v12, v21
	v_and_b32_e32 v21, 1, v4
	v_mov_b64_e32 v[4:5], v[8:9]
; %bb.170:
	s_or_b64 exec, exec, s[34:35]
	v_mov_b32_dpp v12, v8 row_bcast:31 row_mask:0xf bank_mask:0xf
	v_mov_b32_dpp v13, v9 row_bcast:31 row_mask:0xf bank_mask:0xf
	v_mov_b32_dpp v9, v21 row_bcast:31 row_mask:0xf bank_mask:0xf
	v_cmp_lt_u32_e64 s[30:31], 31, v20
	v_mov_b32_e32 v8, v21
	s_and_saveexec_b64 s[34:35], s[30:31]
; %bb.171:
	v_cmp_eq_u32_e64 s[30:31], 0, v21
	s_nop 1
	v_cndmask_b32_e64 v8, 1, v12, s[30:31]
	v_cndmask_b32_e64 v24, 0, v13, s[30:31]
	v_mul_lo_u32 v5, v8, v5
	v_mad_u64_u32 v[12:13], s[30:31], v8, v4, 0
	v_mul_lo_u32 v4, v24, v4
	v_add3_u32 v13, v13, v5, v4
	v_or_b32_e32 v4, v9, v21
	v_and_b32_e32 v8, 1, v4
	v_and_b32_e32 v21, 1, v4
	v_mov_b64_e32 v[4:5], v[12:13]
; %bb.172:
	s_or_b64 exec, exec, s[34:35]
	v_or_b32_e32 v9, 63, v0
	v_lshrrev_b32_e32 v24, 6, v0
	v_cmp_eq_u32_e64 s[30:31], v9, v0
	s_and_saveexec_b64 s[34:35], s[30:31]
	s_cbranch_execz .LBB49_174
; %bb.173:
	v_lshlrev_b32_e32 v9, 4, v24
	ds_write_b64 v9, v[4:5]
	ds_write_b8 v9, v8 offset:8
.LBB49_174:
	s_or_b64 exec, exec, s[34:35]
	v_cmp_gt_u32_e64 s[30:31], 4, v0
	s_waitcnt lgkmcnt(0)
	s_barrier
	s_and_saveexec_b64 s[36:37], s[30:31]
	s_cbranch_execz .LBB49_180
; %bb.175:
	v_lshlrev_b32_e32 v25, 4, v0
	ds_read_b64 v[8:9], v25
	ds_read_b32 v28, v25 offset:8
	v_and_b32_e32 v29, 3, v20
	v_cmp_ne_u32_e64 s[30:31], 0, v29
	s_waitcnt lgkmcnt(1)
	v_mov_b32_dpp v40, v8 row_shr:1 row_mask:0xf bank_mask:0xf
	v_mov_b32_dpp v41, v9 row_shr:1 row_mask:0xf bank_mask:0xf
	s_waitcnt lgkmcnt(0)
	v_mov_b32_dpp v37, v28 row_shr:1 row_mask:0xf bank_mask:0xf
	v_mov_b32_e32 v36, v28
	v_mov_b32_e32 v33, v28
	v_mov_b32_e32 v13, v9
	v_mov_b32_e32 v12, v8
	s_and_saveexec_b64 s[34:35], s[30:31]
	s_cbranch_execz .LBB49_177
; %bb.176:
	v_mov_b32_e32 v12, 0
	v_cmp_eq_u16_sdwa s[30:31], v28, v12 src0_sel:BYTE_0 src1_sel:DWORD
	s_nop 1
	v_cndmask_b32_e64 v12, 1, v40, s[30:31]
	v_cndmask_b32_e64 v33, 0, v41, s[30:31]
	v_mul_lo_u32 v9, v12, v9
	v_mad_u64_u32 v[12:13], s[30:31], v12, v8, 0
	v_mul_lo_u32 v8, v33, v8
	v_add3_u32 v13, v13, v9, v8
	v_or_b32_e32 v8, v37, v28
	v_and_b32_e32 v33, 1, v8
	s_movk_i32 s30, 0xff00
	v_and_b32_e32 v36, 1, v8
	v_and_or_b32 v28, v28, s30, v33
	v_mov_b64_e32 v[8:9], v[12:13]
.LBB49_177:
	s_or_b64 exec, exec, s[34:35]
	v_mov_b32_dpp v37, v12 row_shr:2 row_mask:0xf bank_mask:0xf
	v_mov_b32_dpp v13, v13 row_shr:2 row_mask:0xf bank_mask:0xf
	;; [unrolled: 1-line block ×3, first 2 shown]
	v_cmp_lt_u32_e64 s[30:31], 1, v29
	s_and_saveexec_b64 s[48:49], s[30:31]
	s_cbranch_execz .LBB49_179
; %bb.178:
	v_mov_b32_e32 v28, 0
	v_cmp_eq_u16_sdwa s[30:31], v33, v28 src0_sel:BYTE_0 src1_sel:DWORD
	s_nop 1
	v_cndmask_b32_e64 v28, 1, v37, s[30:31]
	v_cndmask_b32_e64 v13, 0, v13, s[30:31]
	v_mul_lo_u32 v9, v28, v9
	v_mad_u64_u32 v[28:29], s[30:31], v28, v8, 0
	v_mul_lo_u32 v8, v13, v8
	v_add3_u32 v29, v29, v9, v8
	v_and_b32_e32 v8, 1, v33
	v_cmp_eq_u32_e64 s[30:31], 1, v8
	v_and_b32_e32 v8, 1, v12
	v_cmp_eq_u32_e64 s[34:35], 1, v8
	s_or_b64 s[30:31], s[30:31], s[34:35]
	v_cndmask_b32_e64 v36, 0, 1, s[30:31]
	v_mov_b64_e32 v[8:9], v[28:29]
.LBB49_179:
	s_or_b64 exec, exec, s[48:49]
	ds_write_b64 v25, v[8:9]
	ds_write_b8 v25, v36 offset:8
.LBB49_180:
	s_or_b64 exec, exec, s[36:37]
	v_cmp_lt_u32_e64 s[30:31], 63, v0
	v_mov_b64_e32 v[8:9], 0
	s_waitcnt lgkmcnt(0)
	s_barrier
	s_and_saveexec_b64 s[34:35], s[30:31]
	s_cbranch_execz .LBB49_182
; %bb.181:
	v_lshl_add_u32 v8, v24, 4, -16
	ds_read_b64 v[8:9], v8
	v_cmp_eq_u32_e64 s[30:31], 0, v21
	s_waitcnt lgkmcnt(0)
	s_nop 0
	v_cndmask_b32_e64 v12, 1, v8, s[30:31]
	v_cndmask_b32_e64 v13, 0, v9, s[30:31]
	v_mul_lo_u32 v13, v13, v4
	v_mul_lo_u32 v21, v12, v5
	v_mad_u64_u32 v[4:5], s[30:31], v12, v4, 0
	v_add3_u32 v5, v5, v21, v13
.LBB49_182:
	s_or_b64 exec, exec, s[34:35]
	v_add_u32_e32 v12, -1, v20
	v_and_b32_e32 v13, 64, v20
	v_cmp_lt_i32_e64 s[30:31], v12, v13
	s_nop 1
	v_cndmask_b32_e64 v12, v12, v20, s[30:31]
	v_lshlrev_b32_e32 v12, 2, v12
	ds_bpermute_b32 v4, v12, v4
	ds_bpermute_b32 v5, v12, v5
	s_and_saveexec_b64 s[30:31], s[8:9]
	s_cbranch_execz .LBB49_184
; %bb.183:
	v_cmp_eq_u32_e64 s[8:9], 0, v20
	;;#ASMSTART
	;;#ASMEND
	s_waitcnt lgkmcnt(1)
	s_nop 0
	v_cndmask_b32_e64 v4, v4, v8, s[8:9]
	v_mov_b32_e32 v8, 0
	s_waitcnt lgkmcnt(0)
	v_cndmask_b32_e64 v5, v5, v9, s[8:9]
	v_cmp_eq_u16_sdwa s[8:9], v1, v8 src0_sel:BYTE_0 src1_sel:DWORD
	s_nop 1
	v_cndmask_b32_e64 v1, 1, v4, s[8:9]
	v_cndmask_b32_e64 v4, 0, v5, s[8:9]
	v_mul_lo_u32 v4, v4, v2
	v_mul_lo_u32 v5, v1, v3
	v_mad_u64_u32 v[2:3], s[8:9], v1, v2, 0
	v_add3_u32 v3, v3, v5, v4
	v_cndmask_b32_e64 v1, 0, v3, s[28:29]
	v_cndmask_b32_e64 v4, 1, v2, s[28:29]
	v_mul_lo_u32 v1, v1, v14
	v_mul_lo_u32 v5, v4, v15
	v_mad_u64_u32 v[50:51], s[8:9], v4, v14, 0
	v_add3_u32 v51, v51, v5, v1
	;; [unrolled: 6-line block ×14, first 2 shown]
.LBB49_184:
	s_or_b64 exec, exec, s[30:31]
	s_and_saveexec_b64 s[2:3], vcc
	s_cbranch_execz .LBB49_186
; %bb.185:
	v_mov_b32_e32 v1, 0
	s_waitcnt lgkmcnt(0)
	ds_read_b64 v[4:5], v1 offset:48
	ds_read_u8 v6, v1 offset:56
	s_waitcnt lgkmcnt(1)
	global_store_dword v1, v4, s[38:39] offset:1024 sc1
	global_store_dword v1, v5, s[38:39] offset:1028 sc1
	s_waitcnt lgkmcnt(0)
	global_store_dword v1, v6, s[38:39] offset:1032 sc1
	global_store_dword v1, v1, s[38:39] offset:1036 sc1
	v_mov_b32_e32 v4, 2
	s_waitcnt vmcnt(0)
	global_store_byte v1, v4, s[40:41] offset:64 sc1
.LBB49_186:
	s_or_b64 exec, exec, s[2:3]
	v_mov_b64_e32 v[48:49], v[2:3]
.LBB49_187:
	s_add_u32 s2, s50, s46
	s_addc_u32 s3, s51, s47
	s_add_u32 s2, s2, s44
	v_mul_u32_u24_e32 v1, 14, v0
	s_addc_u32 s3, s3, s45
	s_and_b64 vcc, exec, s[0:1]
	v_lshlrev_b32_e32 v30, 3, v1
	s_cbranch_vccz .LBB49_215
; %bb.188:
	s_movk_i32 s0, 0xff98
	v_mad_i32_i24 v1, v0, s0, v30
	s_waitcnt lgkmcnt(0)
	s_barrier
	ds_write_b128 v30, v[48:51]
	ds_write_b128 v30, v[52:55] offset:16
	ds_write_b128 v30, v[56:59] offset:32
	;; [unrolled: 1-line block ×6, first 2 shown]
	s_waitcnt lgkmcnt(0)
	s_barrier
	ds_read2st64_b64 v[26:29], v1 offset0:4 offset1:8
	ds_read2st64_b64 v[22:25], v1 offset0:12 offset1:16
	;; [unrolled: 1-line block ×6, first 2 shown]
	ds_read_b64 v[4:5], v1 offset:26624
	s_add_i32 s33, s33, s42
	v_mov_b32_e32 v33, 0
	v_lshl_add_u64 v[2:3], s[2:3], 0, v[32:33]
	v_cmp_gt_u32_e32 vcc, s33, v0
	s_and_saveexec_b64 s[0:1], vcc
	s_cbranch_execz .LBB49_190
; %bb.189:
	v_mul_i32_i24_e32 v1, 0xffffff98, v0
	v_add_u32_e32 v1, v30, v1
	ds_read_b64 v[34:35], v1
	s_waitcnt lgkmcnt(0)
	flat_store_dwordx2 v[2:3], v[34:35]
.LBB49_190:
	s_or_b64 exec, exec, s[0:1]
	v_or_b32_e32 v1, 0x100, v0
	v_cmp_gt_u32_e32 vcc, s33, v1
	s_and_saveexec_b64 s[0:1], vcc
	s_cbranch_execz .LBB49_192
; %bb.191:
	s_waitcnt lgkmcnt(0)
	flat_store_dwordx2 v[2:3], v[26:27] offset:2048
.LBB49_192:
	s_or_b64 exec, exec, s[0:1]
	v_or_b32_e32 v1, 0x200, v0
	v_cmp_gt_u32_e32 vcc, s33, v1
	s_and_saveexec_b64 s[0:1], vcc
	s_cbranch_execz .LBB49_194
; %bb.193:
	s_waitcnt lgkmcnt(0)
	v_add_co_u32_e32 v26, vcc, 0x1000, v2
	s_nop 1
	v_addc_co_u32_e32 v27, vcc, 0, v3, vcc
	flat_store_dwordx2 v[26:27], v[28:29]
.LBB49_194:
	s_or_b64 exec, exec, s[0:1]
	v_or_b32_e32 v1, 0x300, v0
	v_cmp_gt_u32_e32 vcc, s33, v1
	s_and_saveexec_b64 s[0:1], vcc
	s_cbranch_execz .LBB49_196
; %bb.195:
	s_waitcnt lgkmcnt(0)
	v_add_co_u32_e32 v26, vcc, 0x1000, v2
	s_nop 1
	v_addc_co_u32_e32 v27, vcc, 0, v3, vcc
	flat_store_dwordx2 v[26:27], v[22:23] offset:2048
.LBB49_196:
	s_or_b64 exec, exec, s[0:1]
	v_or_b32_e32 v1, 0x400, v0
	v_cmp_gt_u32_e32 vcc, s33, v1
	s_and_saveexec_b64 s[0:1], vcc
	s_cbranch_execz .LBB49_198
; %bb.197:
	s_waitcnt lgkmcnt(0)
	v_add_co_u32_e32 v22, vcc, 0x2000, v2
	s_nop 1
	v_addc_co_u32_e32 v23, vcc, 0, v3, vcc
	flat_store_dwordx2 v[22:23], v[24:25]
.LBB49_198:
	s_or_b64 exec, exec, s[0:1]
	v_or_b32_e32 v1, 0x500, v0
	v_cmp_gt_u32_e32 vcc, s33, v1
	s_and_saveexec_b64 s[0:1], vcc
	s_cbranch_execz .LBB49_200
; %bb.199:
	s_waitcnt lgkmcnt(0)
	v_add_co_u32_e32 v22, vcc, 0x2000, v2
	s_nop 1
	v_addc_co_u32_e32 v23, vcc, 0, v3, vcc
	flat_store_dwordx2 v[22:23], v[18:19] offset:2048
.LBB49_200:
	;; [unrolled: 24-line block ×5, first 2 shown]
	s_or_b64 exec, exec, s[0:1]
	v_or_b32_e32 v1, 0xc00, v0
	v_cmp_gt_u32_e32 vcc, s33, v1
	s_and_saveexec_b64 s[0:1], vcc
	s_cbranch_execz .LBB49_214
; %bb.213:
	v_add_co_u32_e32 v2, vcc, 0x6000, v2
	s_nop 1
	v_addc_co_u32_e32 v3, vcc, 0, v3, vcc
	s_waitcnt lgkmcnt(0)
	flat_store_dwordx2 v[2:3], v[8:9]
.LBB49_214:
	s_or_b64 exec, exec, s[0:1]
	v_or_b32_e32 v2, 0xd00, v0
	v_mov_b32_e32 v1, v33
	v_cmp_gt_u32_e64 s[0:1], s33, v2
	s_branch .LBB49_217
.LBB49_215:
	s_mov_b64 s[0:1], 0
                                        ; implicit-def: $vgpr4_vgpr5
	s_cbranch_execz .LBB49_217
; %bb.216:
	v_mov_b32_e32 v1, 0
	s_movk_i32 s4, 0xff98
	v_mad_i32_i24 v2, v0, s4, v30
	v_mov_b32_e32 v33, v1
	s_waitcnt lgkmcnt(0)
	s_barrier
	ds_write_b128 v30, v[48:51]
	ds_write_b128 v30, v[52:55] offset:16
	ds_write_b128 v30, v[56:59] offset:32
	;; [unrolled: 1-line block ×6, first 2 shown]
	s_waitcnt lgkmcnt(0)
	s_barrier
	ds_read2st64_b64 v[6:9], v2 offset1:4
	ds_read2st64_b64 v[10:13], v2 offset0:8 offset1:12
	ds_read2st64_b64 v[14:17], v2 offset0:16 offset1:20
	;; [unrolled: 1-line block ×6, first 2 shown]
	v_lshl_add_u64 v[30:31], s[2:3], 0, v[32:33]
	s_movk_i32 s4, 0x1000
	s_waitcnt lgkmcnt(0)
	flat_store_dwordx2 v[30:31], v[6:7]
	flat_store_dwordx2 v[30:31], v[8:9] offset:2048
	v_add_co_u32_e32 v6, vcc, s4, v30
	s_movk_i32 s4, 0x2000
	s_nop 0
	v_addc_co_u32_e32 v7, vcc, 0, v31, vcc
	flat_store_dwordx2 v[6:7], v[10:11]
	flat_store_dwordx2 v[6:7], v[12:13] offset:2048
	v_add_co_u32_e32 v6, vcc, s4, v30
	s_movk_i32 s4, 0x3000
	s_nop 0
	v_addc_co_u32_e32 v7, vcc, 0, v31, vcc
	;; [unrolled: 6-line block ×3, first 2 shown]
	flat_store_dwordx2 v[6:7], v[18:19]
	flat_store_dwordx2 v[6:7], v[20:21] offset:2048
	v_add_co_u32_e32 v6, vcc, s4, v30
	s_or_b64 s[0:1], s[0:1], exec
	s_nop 0
	v_addc_co_u32_e32 v7, vcc, 0, v31, vcc
	flat_store_dwordx2 v[6:7], v[22:23]
	flat_store_dwordx2 v[6:7], v[24:25] offset:2048
	v_add_co_u32_e32 v6, vcc, 0x5000, v30
	s_nop 1
	v_addc_co_u32_e32 v7, vcc, 0, v31, vcc
	flat_store_dwordx2 v[6:7], v[26:27]
	flat_store_dwordx2 v[6:7], v[28:29] offset:2048
	v_add_co_u32_e32 v6, vcc, 0x6000, v30
	s_nop 1
	v_addc_co_u32_e32 v7, vcc, 0, v31, vcc
	flat_store_dwordx2 v[6:7], v[2:3]
.LBB49_217:
	s_and_saveexec_b64 s[4:5], s[0:1]
	s_cbranch_execnz .LBB49_219
; %bb.218:
	s_endpgm
.LBB49_219:
	v_lshl_add_u64 v[0:1], v[0:1], 3, s[2:3]
	v_add_co_u32_e32 v0, vcc, 0x6000, v0
	s_nop 1
	v_addc_co_u32_e32 v1, vcc, 0, v1, vcc
	s_waitcnt lgkmcnt(0)
	flat_store_dwordx2 v[0:1], v[4:5] offset:2048
	s_endpgm
.LBB49_220:
	v_lshl_add_u64 v[30:31], s[34:35], 0, v[26:27]
	flat_load_dwordx2 v[30:31], v[30:31]
	s_or_b64 exec, exec, s[52:53]
                                        ; implicit-def: $vgpr32_vgpr33
	s_and_saveexec_b64 s[30:31], s[4:5]
	s_cbranch_execz .LBB49_37
.LBB49_221:
	v_mov_b32_e32 v27, 0
	v_lshl_add_u64 v[32:33], s[34:35], 0, v[26:27]
	flat_load_dwordx2 v[32:33], v[32:33] offset:2048
	s_or_b64 exec, exec, s[30:31]
                                        ; implicit-def: $vgpr34_vgpr35
	s_and_saveexec_b64 s[4:5], s[6:7]
	s_cbranch_execz .LBB49_38
.LBB49_222:
	v_mov_b32_e32 v3, 0
	v_lshl_add_u64 v[2:3], s[34:35], 0, v[2:3]
	flat_load_dwordx2 v[34:35], v[2:3]
	s_or_b64 exec, exec, s[4:5]
                                        ; implicit-def: $vgpr2_vgpr3
	s_and_saveexec_b64 s[4:5], s[8:9]
	s_cbranch_execz .LBB49_39
.LBB49_223:
	v_mov_b32_e32 v5, 0
	v_lshl_add_u64 v[2:3], s[34:35], 0, v[4:5]
	flat_load_dwordx2 v[2:3], v[2:3]
	s_or_b64 exec, exec, s[4:5]
                                        ; implicit-def: $vgpr4_vgpr5
	s_and_saveexec_b64 s[4:5], s[10:11]
	s_cbranch_execz .LBB49_40
.LBB49_224:
	v_mov_b32_e32 v7, 0
	v_lshl_add_u64 v[4:5], s[34:35], 0, v[6:7]
	flat_load_dwordx2 v[4:5], v[4:5]
	s_or_b64 exec, exec, s[4:5]
                                        ; implicit-def: $vgpr6_vgpr7
	s_and_saveexec_b64 s[4:5], s[12:13]
	s_cbranch_execz .LBB49_41
.LBB49_225:
	v_mov_b32_e32 v9, 0
	v_lshl_add_u64 v[6:7], s[34:35], 0, v[8:9]
	flat_load_dwordx2 v[6:7], v[6:7]
	s_or_b64 exec, exec, s[4:5]
                                        ; implicit-def: $vgpr8_vgpr9
	s_and_saveexec_b64 s[4:5], s[14:15]
	s_cbranch_execz .LBB49_42
.LBB49_226:
	v_mov_b32_e32 v11, 0
	v_lshl_add_u64 v[8:9], s[34:35], 0, v[10:11]
	flat_load_dwordx2 v[8:9], v[8:9]
	s_or_b64 exec, exec, s[4:5]
                                        ; implicit-def: $vgpr10_vgpr11
	s_and_saveexec_b64 s[4:5], s[16:17]
	s_cbranch_execz .LBB49_43
.LBB49_227:
	v_mov_b32_e32 v13, 0
	v_lshl_add_u64 v[10:11], s[34:35], 0, v[12:13]
	flat_load_dwordx2 v[10:11], v[10:11]
	s_or_b64 exec, exec, s[4:5]
                                        ; implicit-def: $vgpr12_vgpr13
	s_and_saveexec_b64 s[4:5], s[18:19]
	s_cbranch_execz .LBB49_44
.LBB49_228:
	v_mov_b32_e32 v15, 0
	v_lshl_add_u64 v[12:13], s[34:35], 0, v[14:15]
	flat_load_dwordx2 v[12:13], v[12:13]
	s_or_b64 exec, exec, s[4:5]
                                        ; implicit-def: $vgpr14_vgpr15
	s_and_saveexec_b64 s[4:5], s[20:21]
	s_cbranch_execz .LBB49_45
.LBB49_229:
	v_mov_b32_e32 v17, 0
	v_lshl_add_u64 v[14:15], s[34:35], 0, v[16:17]
	flat_load_dwordx2 v[14:15], v[14:15]
	s_or_b64 exec, exec, s[4:5]
                                        ; implicit-def: $vgpr16_vgpr17
	s_and_saveexec_b64 s[4:5], s[22:23]
	s_cbranch_execz .LBB49_46
.LBB49_230:
	v_mov_b32_e32 v19, 0
	v_lshl_add_u64 v[16:17], s[34:35], 0, v[18:19]
	flat_load_dwordx2 v[16:17], v[16:17]
	s_or_b64 exec, exec, s[4:5]
                                        ; implicit-def: $vgpr18_vgpr19
	s_and_saveexec_b64 s[4:5], s[24:25]
	s_cbranch_execz .LBB49_47
.LBB49_231:
	v_mov_b32_e32 v21, 0
	v_lshl_add_u64 v[18:19], s[34:35], 0, v[20:21]
	flat_load_dwordx2 v[18:19], v[18:19]
	s_or_b64 exec, exec, s[4:5]
                                        ; implicit-def: $vgpr20_vgpr21
	s_and_saveexec_b64 s[4:5], s[26:27]
	s_cbranch_execz .LBB49_48
.LBB49_232:
	v_mov_b32_e32 v23, 0
	v_lshl_add_u64 v[20:21], s[34:35], 0, v[22:23]
	flat_load_dwordx2 v[20:21], v[20:21]
	s_or_b64 exec, exec, s[4:5]
                                        ; implicit-def: $vgpr22_vgpr23
	s_and_saveexec_b64 s[4:5], s[28:29]
	s_cbranch_execnz .LBB49_49
	s_branch .LBB49_50
.LBB49_233:
                                        ; implicit-def: $sgpr52_sgpr53
	s_branch .LBB49_32
.LBB49_234:
                                        ; implicit-def: $sgpr4_sgpr5
	s_branch .LBB49_81
	.section	.rodata,"a",@progbits
	.p2align	6, 0x0
	.amdhsa_kernel _ZN7rocprim17ROCPRIM_400000_NS6detail17trampoline_kernelINS0_14default_configENS1_27scan_by_key_config_selectorIxxEEZZNS1_16scan_by_key_implILNS1_25lookback_scan_determinismE0ELb0ES3_N6thrust23THRUST_200600_302600_NS6detail15normal_iteratorINS9_10device_ptrIxEEEESE_SE_xNS9_10multipliesIxEENS9_8equal_toIxEExEE10hipError_tPvRmT2_T3_T4_T5_mT6_T7_P12ihipStream_tbENKUlT_T0_E_clISt17integral_constantIbLb0EESZ_EEDaSU_SV_EUlSU_E_NS1_11comp_targetILNS1_3genE5ELNS1_11target_archE942ELNS1_3gpuE9ELNS1_3repE0EEENS1_30default_config_static_selectorELNS0_4arch9wavefront6targetE1EEEvT1_
		.amdhsa_group_segment_fixed_size 32768
		.amdhsa_private_segment_fixed_size 0
		.amdhsa_kernarg_size 136
		.amdhsa_user_sgpr_count 2
		.amdhsa_user_sgpr_dispatch_ptr 0
		.amdhsa_user_sgpr_queue_ptr 0
		.amdhsa_user_sgpr_kernarg_segment_ptr 1
		.amdhsa_user_sgpr_dispatch_id 0
		.amdhsa_user_sgpr_kernarg_preload_length 0
		.amdhsa_user_sgpr_kernarg_preload_offset 0
		.amdhsa_user_sgpr_private_segment_size 0
		.amdhsa_uses_dynamic_stack 0
		.amdhsa_enable_private_segment 0
		.amdhsa_system_sgpr_workgroup_id_x 1
		.amdhsa_system_sgpr_workgroup_id_y 0
		.amdhsa_system_sgpr_workgroup_id_z 0
		.amdhsa_system_sgpr_workgroup_info 0
		.amdhsa_system_vgpr_workitem_id 0
		.amdhsa_next_free_vgpr 92
		.amdhsa_next_free_sgpr 66
		.amdhsa_accum_offset 92
		.amdhsa_reserve_vcc 1
		.amdhsa_float_round_mode_32 0
		.amdhsa_float_round_mode_16_64 0
		.amdhsa_float_denorm_mode_32 3
		.amdhsa_float_denorm_mode_16_64 3
		.amdhsa_dx10_clamp 1
		.amdhsa_ieee_mode 1
		.amdhsa_fp16_overflow 0
		.amdhsa_tg_split 0
		.amdhsa_exception_fp_ieee_invalid_op 0
		.amdhsa_exception_fp_denorm_src 0
		.amdhsa_exception_fp_ieee_div_zero 0
		.amdhsa_exception_fp_ieee_overflow 0
		.amdhsa_exception_fp_ieee_underflow 0
		.amdhsa_exception_fp_ieee_inexact 0
		.amdhsa_exception_int_div_zero 0
	.end_amdhsa_kernel
	.section	.text._ZN7rocprim17ROCPRIM_400000_NS6detail17trampoline_kernelINS0_14default_configENS1_27scan_by_key_config_selectorIxxEEZZNS1_16scan_by_key_implILNS1_25lookback_scan_determinismE0ELb0ES3_N6thrust23THRUST_200600_302600_NS6detail15normal_iteratorINS9_10device_ptrIxEEEESE_SE_xNS9_10multipliesIxEENS9_8equal_toIxEExEE10hipError_tPvRmT2_T3_T4_T5_mT6_T7_P12ihipStream_tbENKUlT_T0_E_clISt17integral_constantIbLb0EESZ_EEDaSU_SV_EUlSU_E_NS1_11comp_targetILNS1_3genE5ELNS1_11target_archE942ELNS1_3gpuE9ELNS1_3repE0EEENS1_30default_config_static_selectorELNS0_4arch9wavefront6targetE1EEEvT1_,"axG",@progbits,_ZN7rocprim17ROCPRIM_400000_NS6detail17trampoline_kernelINS0_14default_configENS1_27scan_by_key_config_selectorIxxEEZZNS1_16scan_by_key_implILNS1_25lookback_scan_determinismE0ELb0ES3_N6thrust23THRUST_200600_302600_NS6detail15normal_iteratorINS9_10device_ptrIxEEEESE_SE_xNS9_10multipliesIxEENS9_8equal_toIxEExEE10hipError_tPvRmT2_T3_T4_T5_mT6_T7_P12ihipStream_tbENKUlT_T0_E_clISt17integral_constantIbLb0EESZ_EEDaSU_SV_EUlSU_E_NS1_11comp_targetILNS1_3genE5ELNS1_11target_archE942ELNS1_3gpuE9ELNS1_3repE0EEENS1_30default_config_static_selectorELNS0_4arch9wavefront6targetE1EEEvT1_,comdat
.Lfunc_end49:
	.size	_ZN7rocprim17ROCPRIM_400000_NS6detail17trampoline_kernelINS0_14default_configENS1_27scan_by_key_config_selectorIxxEEZZNS1_16scan_by_key_implILNS1_25lookback_scan_determinismE0ELb0ES3_N6thrust23THRUST_200600_302600_NS6detail15normal_iteratorINS9_10device_ptrIxEEEESE_SE_xNS9_10multipliesIxEENS9_8equal_toIxEExEE10hipError_tPvRmT2_T3_T4_T5_mT6_T7_P12ihipStream_tbENKUlT_T0_E_clISt17integral_constantIbLb0EESZ_EEDaSU_SV_EUlSU_E_NS1_11comp_targetILNS1_3genE5ELNS1_11target_archE942ELNS1_3gpuE9ELNS1_3repE0EEENS1_30default_config_static_selectorELNS0_4arch9wavefront6targetE1EEEvT1_, .Lfunc_end49-_ZN7rocprim17ROCPRIM_400000_NS6detail17trampoline_kernelINS0_14default_configENS1_27scan_by_key_config_selectorIxxEEZZNS1_16scan_by_key_implILNS1_25lookback_scan_determinismE0ELb0ES3_N6thrust23THRUST_200600_302600_NS6detail15normal_iteratorINS9_10device_ptrIxEEEESE_SE_xNS9_10multipliesIxEENS9_8equal_toIxEExEE10hipError_tPvRmT2_T3_T4_T5_mT6_T7_P12ihipStream_tbENKUlT_T0_E_clISt17integral_constantIbLb0EESZ_EEDaSU_SV_EUlSU_E_NS1_11comp_targetILNS1_3genE5ELNS1_11target_archE942ELNS1_3gpuE9ELNS1_3repE0EEENS1_30default_config_static_selectorELNS0_4arch9wavefront6targetE1EEEvT1_
                                        ; -- End function
	.section	.AMDGPU.csdata,"",@progbits
; Kernel info:
; codeLenInByte = 14716
; NumSgprs: 72
; NumVgprs: 92
; NumAgprs: 0
; TotalNumVgprs: 92
; ScratchSize: 0
; MemoryBound: 0
; FloatMode: 240
; IeeeMode: 1
; LDSByteSize: 32768 bytes/workgroup (compile time only)
; SGPRBlocks: 8
; VGPRBlocks: 11
; NumSGPRsForWavesPerEU: 72
; NumVGPRsForWavesPerEU: 92
; AccumOffset: 92
; Occupancy: 2
; WaveLimiterHint : 1
; COMPUTE_PGM_RSRC2:SCRATCH_EN: 0
; COMPUTE_PGM_RSRC2:USER_SGPR: 2
; COMPUTE_PGM_RSRC2:TRAP_HANDLER: 0
; COMPUTE_PGM_RSRC2:TGID_X_EN: 1
; COMPUTE_PGM_RSRC2:TGID_Y_EN: 0
; COMPUTE_PGM_RSRC2:TGID_Z_EN: 0
; COMPUTE_PGM_RSRC2:TIDIG_COMP_CNT: 0
; COMPUTE_PGM_RSRC3_GFX90A:ACCUM_OFFSET: 22
; COMPUTE_PGM_RSRC3_GFX90A:TG_SPLIT: 0
	.section	.text._ZN7rocprim17ROCPRIM_400000_NS6detail17trampoline_kernelINS0_14default_configENS1_27scan_by_key_config_selectorIxxEEZZNS1_16scan_by_key_implILNS1_25lookback_scan_determinismE0ELb0ES3_N6thrust23THRUST_200600_302600_NS6detail15normal_iteratorINS9_10device_ptrIxEEEESE_SE_xNS9_10multipliesIxEENS9_8equal_toIxEExEE10hipError_tPvRmT2_T3_T4_T5_mT6_T7_P12ihipStream_tbENKUlT_T0_E_clISt17integral_constantIbLb0EESZ_EEDaSU_SV_EUlSU_E_NS1_11comp_targetILNS1_3genE4ELNS1_11target_archE910ELNS1_3gpuE8ELNS1_3repE0EEENS1_30default_config_static_selectorELNS0_4arch9wavefront6targetE1EEEvT1_,"axG",@progbits,_ZN7rocprim17ROCPRIM_400000_NS6detail17trampoline_kernelINS0_14default_configENS1_27scan_by_key_config_selectorIxxEEZZNS1_16scan_by_key_implILNS1_25lookback_scan_determinismE0ELb0ES3_N6thrust23THRUST_200600_302600_NS6detail15normal_iteratorINS9_10device_ptrIxEEEESE_SE_xNS9_10multipliesIxEENS9_8equal_toIxEExEE10hipError_tPvRmT2_T3_T4_T5_mT6_T7_P12ihipStream_tbENKUlT_T0_E_clISt17integral_constantIbLb0EESZ_EEDaSU_SV_EUlSU_E_NS1_11comp_targetILNS1_3genE4ELNS1_11target_archE910ELNS1_3gpuE8ELNS1_3repE0EEENS1_30default_config_static_selectorELNS0_4arch9wavefront6targetE1EEEvT1_,comdat
	.protected	_ZN7rocprim17ROCPRIM_400000_NS6detail17trampoline_kernelINS0_14default_configENS1_27scan_by_key_config_selectorIxxEEZZNS1_16scan_by_key_implILNS1_25lookback_scan_determinismE0ELb0ES3_N6thrust23THRUST_200600_302600_NS6detail15normal_iteratorINS9_10device_ptrIxEEEESE_SE_xNS9_10multipliesIxEENS9_8equal_toIxEExEE10hipError_tPvRmT2_T3_T4_T5_mT6_T7_P12ihipStream_tbENKUlT_T0_E_clISt17integral_constantIbLb0EESZ_EEDaSU_SV_EUlSU_E_NS1_11comp_targetILNS1_3genE4ELNS1_11target_archE910ELNS1_3gpuE8ELNS1_3repE0EEENS1_30default_config_static_selectorELNS0_4arch9wavefront6targetE1EEEvT1_ ; -- Begin function _ZN7rocprim17ROCPRIM_400000_NS6detail17trampoline_kernelINS0_14default_configENS1_27scan_by_key_config_selectorIxxEEZZNS1_16scan_by_key_implILNS1_25lookback_scan_determinismE0ELb0ES3_N6thrust23THRUST_200600_302600_NS6detail15normal_iteratorINS9_10device_ptrIxEEEESE_SE_xNS9_10multipliesIxEENS9_8equal_toIxEExEE10hipError_tPvRmT2_T3_T4_T5_mT6_T7_P12ihipStream_tbENKUlT_T0_E_clISt17integral_constantIbLb0EESZ_EEDaSU_SV_EUlSU_E_NS1_11comp_targetILNS1_3genE4ELNS1_11target_archE910ELNS1_3gpuE8ELNS1_3repE0EEENS1_30default_config_static_selectorELNS0_4arch9wavefront6targetE1EEEvT1_
	.globl	_ZN7rocprim17ROCPRIM_400000_NS6detail17trampoline_kernelINS0_14default_configENS1_27scan_by_key_config_selectorIxxEEZZNS1_16scan_by_key_implILNS1_25lookback_scan_determinismE0ELb0ES3_N6thrust23THRUST_200600_302600_NS6detail15normal_iteratorINS9_10device_ptrIxEEEESE_SE_xNS9_10multipliesIxEENS9_8equal_toIxEExEE10hipError_tPvRmT2_T3_T4_T5_mT6_T7_P12ihipStream_tbENKUlT_T0_E_clISt17integral_constantIbLb0EESZ_EEDaSU_SV_EUlSU_E_NS1_11comp_targetILNS1_3genE4ELNS1_11target_archE910ELNS1_3gpuE8ELNS1_3repE0EEENS1_30default_config_static_selectorELNS0_4arch9wavefront6targetE1EEEvT1_
	.p2align	8
	.type	_ZN7rocprim17ROCPRIM_400000_NS6detail17trampoline_kernelINS0_14default_configENS1_27scan_by_key_config_selectorIxxEEZZNS1_16scan_by_key_implILNS1_25lookback_scan_determinismE0ELb0ES3_N6thrust23THRUST_200600_302600_NS6detail15normal_iteratorINS9_10device_ptrIxEEEESE_SE_xNS9_10multipliesIxEENS9_8equal_toIxEExEE10hipError_tPvRmT2_T3_T4_T5_mT6_T7_P12ihipStream_tbENKUlT_T0_E_clISt17integral_constantIbLb0EESZ_EEDaSU_SV_EUlSU_E_NS1_11comp_targetILNS1_3genE4ELNS1_11target_archE910ELNS1_3gpuE8ELNS1_3repE0EEENS1_30default_config_static_selectorELNS0_4arch9wavefront6targetE1EEEvT1_,@function
_ZN7rocprim17ROCPRIM_400000_NS6detail17trampoline_kernelINS0_14default_configENS1_27scan_by_key_config_selectorIxxEEZZNS1_16scan_by_key_implILNS1_25lookback_scan_determinismE0ELb0ES3_N6thrust23THRUST_200600_302600_NS6detail15normal_iteratorINS9_10device_ptrIxEEEESE_SE_xNS9_10multipliesIxEENS9_8equal_toIxEExEE10hipError_tPvRmT2_T3_T4_T5_mT6_T7_P12ihipStream_tbENKUlT_T0_E_clISt17integral_constantIbLb0EESZ_EEDaSU_SV_EUlSU_E_NS1_11comp_targetILNS1_3genE4ELNS1_11target_archE910ELNS1_3gpuE8ELNS1_3repE0EEENS1_30default_config_static_selectorELNS0_4arch9wavefront6targetE1EEEvT1_: ; @_ZN7rocprim17ROCPRIM_400000_NS6detail17trampoline_kernelINS0_14default_configENS1_27scan_by_key_config_selectorIxxEEZZNS1_16scan_by_key_implILNS1_25lookback_scan_determinismE0ELb0ES3_N6thrust23THRUST_200600_302600_NS6detail15normal_iteratorINS9_10device_ptrIxEEEESE_SE_xNS9_10multipliesIxEENS9_8equal_toIxEExEE10hipError_tPvRmT2_T3_T4_T5_mT6_T7_P12ihipStream_tbENKUlT_T0_E_clISt17integral_constantIbLb0EESZ_EEDaSU_SV_EUlSU_E_NS1_11comp_targetILNS1_3genE4ELNS1_11target_archE910ELNS1_3gpuE8ELNS1_3repE0EEENS1_30default_config_static_selectorELNS0_4arch9wavefront6targetE1EEEvT1_
; %bb.0:
	.section	.rodata,"a",@progbits
	.p2align	6, 0x0
	.amdhsa_kernel _ZN7rocprim17ROCPRIM_400000_NS6detail17trampoline_kernelINS0_14default_configENS1_27scan_by_key_config_selectorIxxEEZZNS1_16scan_by_key_implILNS1_25lookback_scan_determinismE0ELb0ES3_N6thrust23THRUST_200600_302600_NS6detail15normal_iteratorINS9_10device_ptrIxEEEESE_SE_xNS9_10multipliesIxEENS9_8equal_toIxEExEE10hipError_tPvRmT2_T3_T4_T5_mT6_T7_P12ihipStream_tbENKUlT_T0_E_clISt17integral_constantIbLb0EESZ_EEDaSU_SV_EUlSU_E_NS1_11comp_targetILNS1_3genE4ELNS1_11target_archE910ELNS1_3gpuE8ELNS1_3repE0EEENS1_30default_config_static_selectorELNS0_4arch9wavefront6targetE1EEEvT1_
		.amdhsa_group_segment_fixed_size 0
		.amdhsa_private_segment_fixed_size 0
		.amdhsa_kernarg_size 136
		.amdhsa_user_sgpr_count 2
		.amdhsa_user_sgpr_dispatch_ptr 0
		.amdhsa_user_sgpr_queue_ptr 0
		.amdhsa_user_sgpr_kernarg_segment_ptr 1
		.amdhsa_user_sgpr_dispatch_id 0
		.amdhsa_user_sgpr_kernarg_preload_length 0
		.amdhsa_user_sgpr_kernarg_preload_offset 0
		.amdhsa_user_sgpr_private_segment_size 0
		.amdhsa_uses_dynamic_stack 0
		.amdhsa_enable_private_segment 0
		.amdhsa_system_sgpr_workgroup_id_x 1
		.amdhsa_system_sgpr_workgroup_id_y 0
		.amdhsa_system_sgpr_workgroup_id_z 0
		.amdhsa_system_sgpr_workgroup_info 0
		.amdhsa_system_vgpr_workitem_id 0
		.amdhsa_next_free_vgpr 1
		.amdhsa_next_free_sgpr 0
		.amdhsa_accum_offset 4
		.amdhsa_reserve_vcc 0
		.amdhsa_float_round_mode_32 0
		.amdhsa_float_round_mode_16_64 0
		.amdhsa_float_denorm_mode_32 3
		.amdhsa_float_denorm_mode_16_64 3
		.amdhsa_dx10_clamp 1
		.amdhsa_ieee_mode 1
		.amdhsa_fp16_overflow 0
		.amdhsa_tg_split 0
		.amdhsa_exception_fp_ieee_invalid_op 0
		.amdhsa_exception_fp_denorm_src 0
		.amdhsa_exception_fp_ieee_div_zero 0
		.amdhsa_exception_fp_ieee_overflow 0
		.amdhsa_exception_fp_ieee_underflow 0
		.amdhsa_exception_fp_ieee_inexact 0
		.amdhsa_exception_int_div_zero 0
	.end_amdhsa_kernel
	.section	.text._ZN7rocprim17ROCPRIM_400000_NS6detail17trampoline_kernelINS0_14default_configENS1_27scan_by_key_config_selectorIxxEEZZNS1_16scan_by_key_implILNS1_25lookback_scan_determinismE0ELb0ES3_N6thrust23THRUST_200600_302600_NS6detail15normal_iteratorINS9_10device_ptrIxEEEESE_SE_xNS9_10multipliesIxEENS9_8equal_toIxEExEE10hipError_tPvRmT2_T3_T4_T5_mT6_T7_P12ihipStream_tbENKUlT_T0_E_clISt17integral_constantIbLb0EESZ_EEDaSU_SV_EUlSU_E_NS1_11comp_targetILNS1_3genE4ELNS1_11target_archE910ELNS1_3gpuE8ELNS1_3repE0EEENS1_30default_config_static_selectorELNS0_4arch9wavefront6targetE1EEEvT1_,"axG",@progbits,_ZN7rocprim17ROCPRIM_400000_NS6detail17trampoline_kernelINS0_14default_configENS1_27scan_by_key_config_selectorIxxEEZZNS1_16scan_by_key_implILNS1_25lookback_scan_determinismE0ELb0ES3_N6thrust23THRUST_200600_302600_NS6detail15normal_iteratorINS9_10device_ptrIxEEEESE_SE_xNS9_10multipliesIxEENS9_8equal_toIxEExEE10hipError_tPvRmT2_T3_T4_T5_mT6_T7_P12ihipStream_tbENKUlT_T0_E_clISt17integral_constantIbLb0EESZ_EEDaSU_SV_EUlSU_E_NS1_11comp_targetILNS1_3genE4ELNS1_11target_archE910ELNS1_3gpuE8ELNS1_3repE0EEENS1_30default_config_static_selectorELNS0_4arch9wavefront6targetE1EEEvT1_,comdat
.Lfunc_end50:
	.size	_ZN7rocprim17ROCPRIM_400000_NS6detail17trampoline_kernelINS0_14default_configENS1_27scan_by_key_config_selectorIxxEEZZNS1_16scan_by_key_implILNS1_25lookback_scan_determinismE0ELb0ES3_N6thrust23THRUST_200600_302600_NS6detail15normal_iteratorINS9_10device_ptrIxEEEESE_SE_xNS9_10multipliesIxEENS9_8equal_toIxEExEE10hipError_tPvRmT2_T3_T4_T5_mT6_T7_P12ihipStream_tbENKUlT_T0_E_clISt17integral_constantIbLb0EESZ_EEDaSU_SV_EUlSU_E_NS1_11comp_targetILNS1_3genE4ELNS1_11target_archE910ELNS1_3gpuE8ELNS1_3repE0EEENS1_30default_config_static_selectorELNS0_4arch9wavefront6targetE1EEEvT1_, .Lfunc_end50-_ZN7rocprim17ROCPRIM_400000_NS6detail17trampoline_kernelINS0_14default_configENS1_27scan_by_key_config_selectorIxxEEZZNS1_16scan_by_key_implILNS1_25lookback_scan_determinismE0ELb0ES3_N6thrust23THRUST_200600_302600_NS6detail15normal_iteratorINS9_10device_ptrIxEEEESE_SE_xNS9_10multipliesIxEENS9_8equal_toIxEExEE10hipError_tPvRmT2_T3_T4_T5_mT6_T7_P12ihipStream_tbENKUlT_T0_E_clISt17integral_constantIbLb0EESZ_EEDaSU_SV_EUlSU_E_NS1_11comp_targetILNS1_3genE4ELNS1_11target_archE910ELNS1_3gpuE8ELNS1_3repE0EEENS1_30default_config_static_selectorELNS0_4arch9wavefront6targetE1EEEvT1_
                                        ; -- End function
	.section	.AMDGPU.csdata,"",@progbits
; Kernel info:
; codeLenInByte = 0
; NumSgprs: 6
; NumVgprs: 0
; NumAgprs: 0
; TotalNumVgprs: 0
; ScratchSize: 0
; MemoryBound: 0
; FloatMode: 240
; IeeeMode: 1
; LDSByteSize: 0 bytes/workgroup (compile time only)
; SGPRBlocks: 0
; VGPRBlocks: 0
; NumSGPRsForWavesPerEU: 6
; NumVGPRsForWavesPerEU: 1
; AccumOffset: 4
; Occupancy: 8
; WaveLimiterHint : 0
; COMPUTE_PGM_RSRC2:SCRATCH_EN: 0
; COMPUTE_PGM_RSRC2:USER_SGPR: 2
; COMPUTE_PGM_RSRC2:TRAP_HANDLER: 0
; COMPUTE_PGM_RSRC2:TGID_X_EN: 1
; COMPUTE_PGM_RSRC2:TGID_Y_EN: 0
; COMPUTE_PGM_RSRC2:TGID_Z_EN: 0
; COMPUTE_PGM_RSRC2:TIDIG_COMP_CNT: 0
; COMPUTE_PGM_RSRC3_GFX90A:ACCUM_OFFSET: 0
; COMPUTE_PGM_RSRC3_GFX90A:TG_SPLIT: 0
	.section	.text._ZN7rocprim17ROCPRIM_400000_NS6detail17trampoline_kernelINS0_14default_configENS1_27scan_by_key_config_selectorIxxEEZZNS1_16scan_by_key_implILNS1_25lookback_scan_determinismE0ELb0ES3_N6thrust23THRUST_200600_302600_NS6detail15normal_iteratorINS9_10device_ptrIxEEEESE_SE_xNS9_10multipliesIxEENS9_8equal_toIxEExEE10hipError_tPvRmT2_T3_T4_T5_mT6_T7_P12ihipStream_tbENKUlT_T0_E_clISt17integral_constantIbLb0EESZ_EEDaSU_SV_EUlSU_E_NS1_11comp_targetILNS1_3genE3ELNS1_11target_archE908ELNS1_3gpuE7ELNS1_3repE0EEENS1_30default_config_static_selectorELNS0_4arch9wavefront6targetE1EEEvT1_,"axG",@progbits,_ZN7rocprim17ROCPRIM_400000_NS6detail17trampoline_kernelINS0_14default_configENS1_27scan_by_key_config_selectorIxxEEZZNS1_16scan_by_key_implILNS1_25lookback_scan_determinismE0ELb0ES3_N6thrust23THRUST_200600_302600_NS6detail15normal_iteratorINS9_10device_ptrIxEEEESE_SE_xNS9_10multipliesIxEENS9_8equal_toIxEExEE10hipError_tPvRmT2_T3_T4_T5_mT6_T7_P12ihipStream_tbENKUlT_T0_E_clISt17integral_constantIbLb0EESZ_EEDaSU_SV_EUlSU_E_NS1_11comp_targetILNS1_3genE3ELNS1_11target_archE908ELNS1_3gpuE7ELNS1_3repE0EEENS1_30default_config_static_selectorELNS0_4arch9wavefront6targetE1EEEvT1_,comdat
	.protected	_ZN7rocprim17ROCPRIM_400000_NS6detail17trampoline_kernelINS0_14default_configENS1_27scan_by_key_config_selectorIxxEEZZNS1_16scan_by_key_implILNS1_25lookback_scan_determinismE0ELb0ES3_N6thrust23THRUST_200600_302600_NS6detail15normal_iteratorINS9_10device_ptrIxEEEESE_SE_xNS9_10multipliesIxEENS9_8equal_toIxEExEE10hipError_tPvRmT2_T3_T4_T5_mT6_T7_P12ihipStream_tbENKUlT_T0_E_clISt17integral_constantIbLb0EESZ_EEDaSU_SV_EUlSU_E_NS1_11comp_targetILNS1_3genE3ELNS1_11target_archE908ELNS1_3gpuE7ELNS1_3repE0EEENS1_30default_config_static_selectorELNS0_4arch9wavefront6targetE1EEEvT1_ ; -- Begin function _ZN7rocprim17ROCPRIM_400000_NS6detail17trampoline_kernelINS0_14default_configENS1_27scan_by_key_config_selectorIxxEEZZNS1_16scan_by_key_implILNS1_25lookback_scan_determinismE0ELb0ES3_N6thrust23THRUST_200600_302600_NS6detail15normal_iteratorINS9_10device_ptrIxEEEESE_SE_xNS9_10multipliesIxEENS9_8equal_toIxEExEE10hipError_tPvRmT2_T3_T4_T5_mT6_T7_P12ihipStream_tbENKUlT_T0_E_clISt17integral_constantIbLb0EESZ_EEDaSU_SV_EUlSU_E_NS1_11comp_targetILNS1_3genE3ELNS1_11target_archE908ELNS1_3gpuE7ELNS1_3repE0EEENS1_30default_config_static_selectorELNS0_4arch9wavefront6targetE1EEEvT1_
	.globl	_ZN7rocprim17ROCPRIM_400000_NS6detail17trampoline_kernelINS0_14default_configENS1_27scan_by_key_config_selectorIxxEEZZNS1_16scan_by_key_implILNS1_25lookback_scan_determinismE0ELb0ES3_N6thrust23THRUST_200600_302600_NS6detail15normal_iteratorINS9_10device_ptrIxEEEESE_SE_xNS9_10multipliesIxEENS9_8equal_toIxEExEE10hipError_tPvRmT2_T3_T4_T5_mT6_T7_P12ihipStream_tbENKUlT_T0_E_clISt17integral_constantIbLb0EESZ_EEDaSU_SV_EUlSU_E_NS1_11comp_targetILNS1_3genE3ELNS1_11target_archE908ELNS1_3gpuE7ELNS1_3repE0EEENS1_30default_config_static_selectorELNS0_4arch9wavefront6targetE1EEEvT1_
	.p2align	8
	.type	_ZN7rocprim17ROCPRIM_400000_NS6detail17trampoline_kernelINS0_14default_configENS1_27scan_by_key_config_selectorIxxEEZZNS1_16scan_by_key_implILNS1_25lookback_scan_determinismE0ELb0ES3_N6thrust23THRUST_200600_302600_NS6detail15normal_iteratorINS9_10device_ptrIxEEEESE_SE_xNS9_10multipliesIxEENS9_8equal_toIxEExEE10hipError_tPvRmT2_T3_T4_T5_mT6_T7_P12ihipStream_tbENKUlT_T0_E_clISt17integral_constantIbLb0EESZ_EEDaSU_SV_EUlSU_E_NS1_11comp_targetILNS1_3genE3ELNS1_11target_archE908ELNS1_3gpuE7ELNS1_3repE0EEENS1_30default_config_static_selectorELNS0_4arch9wavefront6targetE1EEEvT1_,@function
_ZN7rocprim17ROCPRIM_400000_NS6detail17trampoline_kernelINS0_14default_configENS1_27scan_by_key_config_selectorIxxEEZZNS1_16scan_by_key_implILNS1_25lookback_scan_determinismE0ELb0ES3_N6thrust23THRUST_200600_302600_NS6detail15normal_iteratorINS9_10device_ptrIxEEEESE_SE_xNS9_10multipliesIxEENS9_8equal_toIxEExEE10hipError_tPvRmT2_T3_T4_T5_mT6_T7_P12ihipStream_tbENKUlT_T0_E_clISt17integral_constantIbLb0EESZ_EEDaSU_SV_EUlSU_E_NS1_11comp_targetILNS1_3genE3ELNS1_11target_archE908ELNS1_3gpuE7ELNS1_3repE0EEENS1_30default_config_static_selectorELNS0_4arch9wavefront6targetE1EEEvT1_: ; @_ZN7rocprim17ROCPRIM_400000_NS6detail17trampoline_kernelINS0_14default_configENS1_27scan_by_key_config_selectorIxxEEZZNS1_16scan_by_key_implILNS1_25lookback_scan_determinismE0ELb0ES3_N6thrust23THRUST_200600_302600_NS6detail15normal_iteratorINS9_10device_ptrIxEEEESE_SE_xNS9_10multipliesIxEENS9_8equal_toIxEExEE10hipError_tPvRmT2_T3_T4_T5_mT6_T7_P12ihipStream_tbENKUlT_T0_E_clISt17integral_constantIbLb0EESZ_EEDaSU_SV_EUlSU_E_NS1_11comp_targetILNS1_3genE3ELNS1_11target_archE908ELNS1_3gpuE7ELNS1_3repE0EEENS1_30default_config_static_selectorELNS0_4arch9wavefront6targetE1EEEvT1_
; %bb.0:
	.section	.rodata,"a",@progbits
	.p2align	6, 0x0
	.amdhsa_kernel _ZN7rocprim17ROCPRIM_400000_NS6detail17trampoline_kernelINS0_14default_configENS1_27scan_by_key_config_selectorIxxEEZZNS1_16scan_by_key_implILNS1_25lookback_scan_determinismE0ELb0ES3_N6thrust23THRUST_200600_302600_NS6detail15normal_iteratorINS9_10device_ptrIxEEEESE_SE_xNS9_10multipliesIxEENS9_8equal_toIxEExEE10hipError_tPvRmT2_T3_T4_T5_mT6_T7_P12ihipStream_tbENKUlT_T0_E_clISt17integral_constantIbLb0EESZ_EEDaSU_SV_EUlSU_E_NS1_11comp_targetILNS1_3genE3ELNS1_11target_archE908ELNS1_3gpuE7ELNS1_3repE0EEENS1_30default_config_static_selectorELNS0_4arch9wavefront6targetE1EEEvT1_
		.amdhsa_group_segment_fixed_size 0
		.amdhsa_private_segment_fixed_size 0
		.amdhsa_kernarg_size 136
		.amdhsa_user_sgpr_count 2
		.amdhsa_user_sgpr_dispatch_ptr 0
		.amdhsa_user_sgpr_queue_ptr 0
		.amdhsa_user_sgpr_kernarg_segment_ptr 1
		.amdhsa_user_sgpr_dispatch_id 0
		.amdhsa_user_sgpr_kernarg_preload_length 0
		.amdhsa_user_sgpr_kernarg_preload_offset 0
		.amdhsa_user_sgpr_private_segment_size 0
		.amdhsa_uses_dynamic_stack 0
		.amdhsa_enable_private_segment 0
		.amdhsa_system_sgpr_workgroup_id_x 1
		.amdhsa_system_sgpr_workgroup_id_y 0
		.amdhsa_system_sgpr_workgroup_id_z 0
		.amdhsa_system_sgpr_workgroup_info 0
		.amdhsa_system_vgpr_workitem_id 0
		.amdhsa_next_free_vgpr 1
		.amdhsa_next_free_sgpr 0
		.amdhsa_accum_offset 4
		.amdhsa_reserve_vcc 0
		.amdhsa_float_round_mode_32 0
		.amdhsa_float_round_mode_16_64 0
		.amdhsa_float_denorm_mode_32 3
		.amdhsa_float_denorm_mode_16_64 3
		.amdhsa_dx10_clamp 1
		.amdhsa_ieee_mode 1
		.amdhsa_fp16_overflow 0
		.amdhsa_tg_split 0
		.amdhsa_exception_fp_ieee_invalid_op 0
		.amdhsa_exception_fp_denorm_src 0
		.amdhsa_exception_fp_ieee_div_zero 0
		.amdhsa_exception_fp_ieee_overflow 0
		.amdhsa_exception_fp_ieee_underflow 0
		.amdhsa_exception_fp_ieee_inexact 0
		.amdhsa_exception_int_div_zero 0
	.end_amdhsa_kernel
	.section	.text._ZN7rocprim17ROCPRIM_400000_NS6detail17trampoline_kernelINS0_14default_configENS1_27scan_by_key_config_selectorIxxEEZZNS1_16scan_by_key_implILNS1_25lookback_scan_determinismE0ELb0ES3_N6thrust23THRUST_200600_302600_NS6detail15normal_iteratorINS9_10device_ptrIxEEEESE_SE_xNS9_10multipliesIxEENS9_8equal_toIxEExEE10hipError_tPvRmT2_T3_T4_T5_mT6_T7_P12ihipStream_tbENKUlT_T0_E_clISt17integral_constantIbLb0EESZ_EEDaSU_SV_EUlSU_E_NS1_11comp_targetILNS1_3genE3ELNS1_11target_archE908ELNS1_3gpuE7ELNS1_3repE0EEENS1_30default_config_static_selectorELNS0_4arch9wavefront6targetE1EEEvT1_,"axG",@progbits,_ZN7rocprim17ROCPRIM_400000_NS6detail17trampoline_kernelINS0_14default_configENS1_27scan_by_key_config_selectorIxxEEZZNS1_16scan_by_key_implILNS1_25lookback_scan_determinismE0ELb0ES3_N6thrust23THRUST_200600_302600_NS6detail15normal_iteratorINS9_10device_ptrIxEEEESE_SE_xNS9_10multipliesIxEENS9_8equal_toIxEExEE10hipError_tPvRmT2_T3_T4_T5_mT6_T7_P12ihipStream_tbENKUlT_T0_E_clISt17integral_constantIbLb0EESZ_EEDaSU_SV_EUlSU_E_NS1_11comp_targetILNS1_3genE3ELNS1_11target_archE908ELNS1_3gpuE7ELNS1_3repE0EEENS1_30default_config_static_selectorELNS0_4arch9wavefront6targetE1EEEvT1_,comdat
.Lfunc_end51:
	.size	_ZN7rocprim17ROCPRIM_400000_NS6detail17trampoline_kernelINS0_14default_configENS1_27scan_by_key_config_selectorIxxEEZZNS1_16scan_by_key_implILNS1_25lookback_scan_determinismE0ELb0ES3_N6thrust23THRUST_200600_302600_NS6detail15normal_iteratorINS9_10device_ptrIxEEEESE_SE_xNS9_10multipliesIxEENS9_8equal_toIxEExEE10hipError_tPvRmT2_T3_T4_T5_mT6_T7_P12ihipStream_tbENKUlT_T0_E_clISt17integral_constantIbLb0EESZ_EEDaSU_SV_EUlSU_E_NS1_11comp_targetILNS1_3genE3ELNS1_11target_archE908ELNS1_3gpuE7ELNS1_3repE0EEENS1_30default_config_static_selectorELNS0_4arch9wavefront6targetE1EEEvT1_, .Lfunc_end51-_ZN7rocprim17ROCPRIM_400000_NS6detail17trampoline_kernelINS0_14default_configENS1_27scan_by_key_config_selectorIxxEEZZNS1_16scan_by_key_implILNS1_25lookback_scan_determinismE0ELb0ES3_N6thrust23THRUST_200600_302600_NS6detail15normal_iteratorINS9_10device_ptrIxEEEESE_SE_xNS9_10multipliesIxEENS9_8equal_toIxEExEE10hipError_tPvRmT2_T3_T4_T5_mT6_T7_P12ihipStream_tbENKUlT_T0_E_clISt17integral_constantIbLb0EESZ_EEDaSU_SV_EUlSU_E_NS1_11comp_targetILNS1_3genE3ELNS1_11target_archE908ELNS1_3gpuE7ELNS1_3repE0EEENS1_30default_config_static_selectorELNS0_4arch9wavefront6targetE1EEEvT1_
                                        ; -- End function
	.section	.AMDGPU.csdata,"",@progbits
; Kernel info:
; codeLenInByte = 0
; NumSgprs: 6
; NumVgprs: 0
; NumAgprs: 0
; TotalNumVgprs: 0
; ScratchSize: 0
; MemoryBound: 0
; FloatMode: 240
; IeeeMode: 1
; LDSByteSize: 0 bytes/workgroup (compile time only)
; SGPRBlocks: 0
; VGPRBlocks: 0
; NumSGPRsForWavesPerEU: 6
; NumVGPRsForWavesPerEU: 1
; AccumOffset: 4
; Occupancy: 8
; WaveLimiterHint : 0
; COMPUTE_PGM_RSRC2:SCRATCH_EN: 0
; COMPUTE_PGM_RSRC2:USER_SGPR: 2
; COMPUTE_PGM_RSRC2:TRAP_HANDLER: 0
; COMPUTE_PGM_RSRC2:TGID_X_EN: 1
; COMPUTE_PGM_RSRC2:TGID_Y_EN: 0
; COMPUTE_PGM_RSRC2:TGID_Z_EN: 0
; COMPUTE_PGM_RSRC2:TIDIG_COMP_CNT: 0
; COMPUTE_PGM_RSRC3_GFX90A:ACCUM_OFFSET: 0
; COMPUTE_PGM_RSRC3_GFX90A:TG_SPLIT: 0
	.section	.text._ZN7rocprim17ROCPRIM_400000_NS6detail17trampoline_kernelINS0_14default_configENS1_27scan_by_key_config_selectorIxxEEZZNS1_16scan_by_key_implILNS1_25lookback_scan_determinismE0ELb0ES3_N6thrust23THRUST_200600_302600_NS6detail15normal_iteratorINS9_10device_ptrIxEEEESE_SE_xNS9_10multipliesIxEENS9_8equal_toIxEExEE10hipError_tPvRmT2_T3_T4_T5_mT6_T7_P12ihipStream_tbENKUlT_T0_E_clISt17integral_constantIbLb0EESZ_EEDaSU_SV_EUlSU_E_NS1_11comp_targetILNS1_3genE2ELNS1_11target_archE906ELNS1_3gpuE6ELNS1_3repE0EEENS1_30default_config_static_selectorELNS0_4arch9wavefront6targetE1EEEvT1_,"axG",@progbits,_ZN7rocprim17ROCPRIM_400000_NS6detail17trampoline_kernelINS0_14default_configENS1_27scan_by_key_config_selectorIxxEEZZNS1_16scan_by_key_implILNS1_25lookback_scan_determinismE0ELb0ES3_N6thrust23THRUST_200600_302600_NS6detail15normal_iteratorINS9_10device_ptrIxEEEESE_SE_xNS9_10multipliesIxEENS9_8equal_toIxEExEE10hipError_tPvRmT2_T3_T4_T5_mT6_T7_P12ihipStream_tbENKUlT_T0_E_clISt17integral_constantIbLb0EESZ_EEDaSU_SV_EUlSU_E_NS1_11comp_targetILNS1_3genE2ELNS1_11target_archE906ELNS1_3gpuE6ELNS1_3repE0EEENS1_30default_config_static_selectorELNS0_4arch9wavefront6targetE1EEEvT1_,comdat
	.protected	_ZN7rocprim17ROCPRIM_400000_NS6detail17trampoline_kernelINS0_14default_configENS1_27scan_by_key_config_selectorIxxEEZZNS1_16scan_by_key_implILNS1_25lookback_scan_determinismE0ELb0ES3_N6thrust23THRUST_200600_302600_NS6detail15normal_iteratorINS9_10device_ptrIxEEEESE_SE_xNS9_10multipliesIxEENS9_8equal_toIxEExEE10hipError_tPvRmT2_T3_T4_T5_mT6_T7_P12ihipStream_tbENKUlT_T0_E_clISt17integral_constantIbLb0EESZ_EEDaSU_SV_EUlSU_E_NS1_11comp_targetILNS1_3genE2ELNS1_11target_archE906ELNS1_3gpuE6ELNS1_3repE0EEENS1_30default_config_static_selectorELNS0_4arch9wavefront6targetE1EEEvT1_ ; -- Begin function _ZN7rocprim17ROCPRIM_400000_NS6detail17trampoline_kernelINS0_14default_configENS1_27scan_by_key_config_selectorIxxEEZZNS1_16scan_by_key_implILNS1_25lookback_scan_determinismE0ELb0ES3_N6thrust23THRUST_200600_302600_NS6detail15normal_iteratorINS9_10device_ptrIxEEEESE_SE_xNS9_10multipliesIxEENS9_8equal_toIxEExEE10hipError_tPvRmT2_T3_T4_T5_mT6_T7_P12ihipStream_tbENKUlT_T0_E_clISt17integral_constantIbLb0EESZ_EEDaSU_SV_EUlSU_E_NS1_11comp_targetILNS1_3genE2ELNS1_11target_archE906ELNS1_3gpuE6ELNS1_3repE0EEENS1_30default_config_static_selectorELNS0_4arch9wavefront6targetE1EEEvT1_
	.globl	_ZN7rocprim17ROCPRIM_400000_NS6detail17trampoline_kernelINS0_14default_configENS1_27scan_by_key_config_selectorIxxEEZZNS1_16scan_by_key_implILNS1_25lookback_scan_determinismE0ELb0ES3_N6thrust23THRUST_200600_302600_NS6detail15normal_iteratorINS9_10device_ptrIxEEEESE_SE_xNS9_10multipliesIxEENS9_8equal_toIxEExEE10hipError_tPvRmT2_T3_T4_T5_mT6_T7_P12ihipStream_tbENKUlT_T0_E_clISt17integral_constantIbLb0EESZ_EEDaSU_SV_EUlSU_E_NS1_11comp_targetILNS1_3genE2ELNS1_11target_archE906ELNS1_3gpuE6ELNS1_3repE0EEENS1_30default_config_static_selectorELNS0_4arch9wavefront6targetE1EEEvT1_
	.p2align	8
	.type	_ZN7rocprim17ROCPRIM_400000_NS6detail17trampoline_kernelINS0_14default_configENS1_27scan_by_key_config_selectorIxxEEZZNS1_16scan_by_key_implILNS1_25lookback_scan_determinismE0ELb0ES3_N6thrust23THRUST_200600_302600_NS6detail15normal_iteratorINS9_10device_ptrIxEEEESE_SE_xNS9_10multipliesIxEENS9_8equal_toIxEExEE10hipError_tPvRmT2_T3_T4_T5_mT6_T7_P12ihipStream_tbENKUlT_T0_E_clISt17integral_constantIbLb0EESZ_EEDaSU_SV_EUlSU_E_NS1_11comp_targetILNS1_3genE2ELNS1_11target_archE906ELNS1_3gpuE6ELNS1_3repE0EEENS1_30default_config_static_selectorELNS0_4arch9wavefront6targetE1EEEvT1_,@function
_ZN7rocprim17ROCPRIM_400000_NS6detail17trampoline_kernelINS0_14default_configENS1_27scan_by_key_config_selectorIxxEEZZNS1_16scan_by_key_implILNS1_25lookback_scan_determinismE0ELb0ES3_N6thrust23THRUST_200600_302600_NS6detail15normal_iteratorINS9_10device_ptrIxEEEESE_SE_xNS9_10multipliesIxEENS9_8equal_toIxEExEE10hipError_tPvRmT2_T3_T4_T5_mT6_T7_P12ihipStream_tbENKUlT_T0_E_clISt17integral_constantIbLb0EESZ_EEDaSU_SV_EUlSU_E_NS1_11comp_targetILNS1_3genE2ELNS1_11target_archE906ELNS1_3gpuE6ELNS1_3repE0EEENS1_30default_config_static_selectorELNS0_4arch9wavefront6targetE1EEEvT1_: ; @_ZN7rocprim17ROCPRIM_400000_NS6detail17trampoline_kernelINS0_14default_configENS1_27scan_by_key_config_selectorIxxEEZZNS1_16scan_by_key_implILNS1_25lookback_scan_determinismE0ELb0ES3_N6thrust23THRUST_200600_302600_NS6detail15normal_iteratorINS9_10device_ptrIxEEEESE_SE_xNS9_10multipliesIxEENS9_8equal_toIxEExEE10hipError_tPvRmT2_T3_T4_T5_mT6_T7_P12ihipStream_tbENKUlT_T0_E_clISt17integral_constantIbLb0EESZ_EEDaSU_SV_EUlSU_E_NS1_11comp_targetILNS1_3genE2ELNS1_11target_archE906ELNS1_3gpuE6ELNS1_3repE0EEENS1_30default_config_static_selectorELNS0_4arch9wavefront6targetE1EEEvT1_
; %bb.0:
	.section	.rodata,"a",@progbits
	.p2align	6, 0x0
	.amdhsa_kernel _ZN7rocprim17ROCPRIM_400000_NS6detail17trampoline_kernelINS0_14default_configENS1_27scan_by_key_config_selectorIxxEEZZNS1_16scan_by_key_implILNS1_25lookback_scan_determinismE0ELb0ES3_N6thrust23THRUST_200600_302600_NS6detail15normal_iteratorINS9_10device_ptrIxEEEESE_SE_xNS9_10multipliesIxEENS9_8equal_toIxEExEE10hipError_tPvRmT2_T3_T4_T5_mT6_T7_P12ihipStream_tbENKUlT_T0_E_clISt17integral_constantIbLb0EESZ_EEDaSU_SV_EUlSU_E_NS1_11comp_targetILNS1_3genE2ELNS1_11target_archE906ELNS1_3gpuE6ELNS1_3repE0EEENS1_30default_config_static_selectorELNS0_4arch9wavefront6targetE1EEEvT1_
		.amdhsa_group_segment_fixed_size 0
		.amdhsa_private_segment_fixed_size 0
		.amdhsa_kernarg_size 136
		.amdhsa_user_sgpr_count 2
		.amdhsa_user_sgpr_dispatch_ptr 0
		.amdhsa_user_sgpr_queue_ptr 0
		.amdhsa_user_sgpr_kernarg_segment_ptr 1
		.amdhsa_user_sgpr_dispatch_id 0
		.amdhsa_user_sgpr_kernarg_preload_length 0
		.amdhsa_user_sgpr_kernarg_preload_offset 0
		.amdhsa_user_sgpr_private_segment_size 0
		.amdhsa_uses_dynamic_stack 0
		.amdhsa_enable_private_segment 0
		.amdhsa_system_sgpr_workgroup_id_x 1
		.amdhsa_system_sgpr_workgroup_id_y 0
		.amdhsa_system_sgpr_workgroup_id_z 0
		.amdhsa_system_sgpr_workgroup_info 0
		.amdhsa_system_vgpr_workitem_id 0
		.amdhsa_next_free_vgpr 1
		.amdhsa_next_free_sgpr 0
		.amdhsa_accum_offset 4
		.amdhsa_reserve_vcc 0
		.amdhsa_float_round_mode_32 0
		.amdhsa_float_round_mode_16_64 0
		.amdhsa_float_denorm_mode_32 3
		.amdhsa_float_denorm_mode_16_64 3
		.amdhsa_dx10_clamp 1
		.amdhsa_ieee_mode 1
		.amdhsa_fp16_overflow 0
		.amdhsa_tg_split 0
		.amdhsa_exception_fp_ieee_invalid_op 0
		.amdhsa_exception_fp_denorm_src 0
		.amdhsa_exception_fp_ieee_div_zero 0
		.amdhsa_exception_fp_ieee_overflow 0
		.amdhsa_exception_fp_ieee_underflow 0
		.amdhsa_exception_fp_ieee_inexact 0
		.amdhsa_exception_int_div_zero 0
	.end_amdhsa_kernel
	.section	.text._ZN7rocprim17ROCPRIM_400000_NS6detail17trampoline_kernelINS0_14default_configENS1_27scan_by_key_config_selectorIxxEEZZNS1_16scan_by_key_implILNS1_25lookback_scan_determinismE0ELb0ES3_N6thrust23THRUST_200600_302600_NS6detail15normal_iteratorINS9_10device_ptrIxEEEESE_SE_xNS9_10multipliesIxEENS9_8equal_toIxEExEE10hipError_tPvRmT2_T3_T4_T5_mT6_T7_P12ihipStream_tbENKUlT_T0_E_clISt17integral_constantIbLb0EESZ_EEDaSU_SV_EUlSU_E_NS1_11comp_targetILNS1_3genE2ELNS1_11target_archE906ELNS1_3gpuE6ELNS1_3repE0EEENS1_30default_config_static_selectorELNS0_4arch9wavefront6targetE1EEEvT1_,"axG",@progbits,_ZN7rocprim17ROCPRIM_400000_NS6detail17trampoline_kernelINS0_14default_configENS1_27scan_by_key_config_selectorIxxEEZZNS1_16scan_by_key_implILNS1_25lookback_scan_determinismE0ELb0ES3_N6thrust23THRUST_200600_302600_NS6detail15normal_iteratorINS9_10device_ptrIxEEEESE_SE_xNS9_10multipliesIxEENS9_8equal_toIxEExEE10hipError_tPvRmT2_T3_T4_T5_mT6_T7_P12ihipStream_tbENKUlT_T0_E_clISt17integral_constantIbLb0EESZ_EEDaSU_SV_EUlSU_E_NS1_11comp_targetILNS1_3genE2ELNS1_11target_archE906ELNS1_3gpuE6ELNS1_3repE0EEENS1_30default_config_static_selectorELNS0_4arch9wavefront6targetE1EEEvT1_,comdat
.Lfunc_end52:
	.size	_ZN7rocprim17ROCPRIM_400000_NS6detail17trampoline_kernelINS0_14default_configENS1_27scan_by_key_config_selectorIxxEEZZNS1_16scan_by_key_implILNS1_25lookback_scan_determinismE0ELb0ES3_N6thrust23THRUST_200600_302600_NS6detail15normal_iteratorINS9_10device_ptrIxEEEESE_SE_xNS9_10multipliesIxEENS9_8equal_toIxEExEE10hipError_tPvRmT2_T3_T4_T5_mT6_T7_P12ihipStream_tbENKUlT_T0_E_clISt17integral_constantIbLb0EESZ_EEDaSU_SV_EUlSU_E_NS1_11comp_targetILNS1_3genE2ELNS1_11target_archE906ELNS1_3gpuE6ELNS1_3repE0EEENS1_30default_config_static_selectorELNS0_4arch9wavefront6targetE1EEEvT1_, .Lfunc_end52-_ZN7rocprim17ROCPRIM_400000_NS6detail17trampoline_kernelINS0_14default_configENS1_27scan_by_key_config_selectorIxxEEZZNS1_16scan_by_key_implILNS1_25lookback_scan_determinismE0ELb0ES3_N6thrust23THRUST_200600_302600_NS6detail15normal_iteratorINS9_10device_ptrIxEEEESE_SE_xNS9_10multipliesIxEENS9_8equal_toIxEExEE10hipError_tPvRmT2_T3_T4_T5_mT6_T7_P12ihipStream_tbENKUlT_T0_E_clISt17integral_constantIbLb0EESZ_EEDaSU_SV_EUlSU_E_NS1_11comp_targetILNS1_3genE2ELNS1_11target_archE906ELNS1_3gpuE6ELNS1_3repE0EEENS1_30default_config_static_selectorELNS0_4arch9wavefront6targetE1EEEvT1_
                                        ; -- End function
	.section	.AMDGPU.csdata,"",@progbits
; Kernel info:
; codeLenInByte = 0
; NumSgprs: 6
; NumVgprs: 0
; NumAgprs: 0
; TotalNumVgprs: 0
; ScratchSize: 0
; MemoryBound: 0
; FloatMode: 240
; IeeeMode: 1
; LDSByteSize: 0 bytes/workgroup (compile time only)
; SGPRBlocks: 0
; VGPRBlocks: 0
; NumSGPRsForWavesPerEU: 6
; NumVGPRsForWavesPerEU: 1
; AccumOffset: 4
; Occupancy: 8
; WaveLimiterHint : 0
; COMPUTE_PGM_RSRC2:SCRATCH_EN: 0
; COMPUTE_PGM_RSRC2:USER_SGPR: 2
; COMPUTE_PGM_RSRC2:TRAP_HANDLER: 0
; COMPUTE_PGM_RSRC2:TGID_X_EN: 1
; COMPUTE_PGM_RSRC2:TGID_Y_EN: 0
; COMPUTE_PGM_RSRC2:TGID_Z_EN: 0
; COMPUTE_PGM_RSRC2:TIDIG_COMP_CNT: 0
; COMPUTE_PGM_RSRC3_GFX90A:ACCUM_OFFSET: 0
; COMPUTE_PGM_RSRC3_GFX90A:TG_SPLIT: 0
	.section	.text._ZN7rocprim17ROCPRIM_400000_NS6detail17trampoline_kernelINS0_14default_configENS1_27scan_by_key_config_selectorIxxEEZZNS1_16scan_by_key_implILNS1_25lookback_scan_determinismE0ELb0ES3_N6thrust23THRUST_200600_302600_NS6detail15normal_iteratorINS9_10device_ptrIxEEEESE_SE_xNS9_10multipliesIxEENS9_8equal_toIxEExEE10hipError_tPvRmT2_T3_T4_T5_mT6_T7_P12ihipStream_tbENKUlT_T0_E_clISt17integral_constantIbLb0EESZ_EEDaSU_SV_EUlSU_E_NS1_11comp_targetILNS1_3genE10ELNS1_11target_archE1200ELNS1_3gpuE4ELNS1_3repE0EEENS1_30default_config_static_selectorELNS0_4arch9wavefront6targetE1EEEvT1_,"axG",@progbits,_ZN7rocprim17ROCPRIM_400000_NS6detail17trampoline_kernelINS0_14default_configENS1_27scan_by_key_config_selectorIxxEEZZNS1_16scan_by_key_implILNS1_25lookback_scan_determinismE0ELb0ES3_N6thrust23THRUST_200600_302600_NS6detail15normal_iteratorINS9_10device_ptrIxEEEESE_SE_xNS9_10multipliesIxEENS9_8equal_toIxEExEE10hipError_tPvRmT2_T3_T4_T5_mT6_T7_P12ihipStream_tbENKUlT_T0_E_clISt17integral_constantIbLb0EESZ_EEDaSU_SV_EUlSU_E_NS1_11comp_targetILNS1_3genE10ELNS1_11target_archE1200ELNS1_3gpuE4ELNS1_3repE0EEENS1_30default_config_static_selectorELNS0_4arch9wavefront6targetE1EEEvT1_,comdat
	.protected	_ZN7rocprim17ROCPRIM_400000_NS6detail17trampoline_kernelINS0_14default_configENS1_27scan_by_key_config_selectorIxxEEZZNS1_16scan_by_key_implILNS1_25lookback_scan_determinismE0ELb0ES3_N6thrust23THRUST_200600_302600_NS6detail15normal_iteratorINS9_10device_ptrIxEEEESE_SE_xNS9_10multipliesIxEENS9_8equal_toIxEExEE10hipError_tPvRmT2_T3_T4_T5_mT6_T7_P12ihipStream_tbENKUlT_T0_E_clISt17integral_constantIbLb0EESZ_EEDaSU_SV_EUlSU_E_NS1_11comp_targetILNS1_3genE10ELNS1_11target_archE1200ELNS1_3gpuE4ELNS1_3repE0EEENS1_30default_config_static_selectorELNS0_4arch9wavefront6targetE1EEEvT1_ ; -- Begin function _ZN7rocprim17ROCPRIM_400000_NS6detail17trampoline_kernelINS0_14default_configENS1_27scan_by_key_config_selectorIxxEEZZNS1_16scan_by_key_implILNS1_25lookback_scan_determinismE0ELb0ES3_N6thrust23THRUST_200600_302600_NS6detail15normal_iteratorINS9_10device_ptrIxEEEESE_SE_xNS9_10multipliesIxEENS9_8equal_toIxEExEE10hipError_tPvRmT2_T3_T4_T5_mT6_T7_P12ihipStream_tbENKUlT_T0_E_clISt17integral_constantIbLb0EESZ_EEDaSU_SV_EUlSU_E_NS1_11comp_targetILNS1_3genE10ELNS1_11target_archE1200ELNS1_3gpuE4ELNS1_3repE0EEENS1_30default_config_static_selectorELNS0_4arch9wavefront6targetE1EEEvT1_
	.globl	_ZN7rocprim17ROCPRIM_400000_NS6detail17trampoline_kernelINS0_14default_configENS1_27scan_by_key_config_selectorIxxEEZZNS1_16scan_by_key_implILNS1_25lookback_scan_determinismE0ELb0ES3_N6thrust23THRUST_200600_302600_NS6detail15normal_iteratorINS9_10device_ptrIxEEEESE_SE_xNS9_10multipliesIxEENS9_8equal_toIxEExEE10hipError_tPvRmT2_T3_T4_T5_mT6_T7_P12ihipStream_tbENKUlT_T0_E_clISt17integral_constantIbLb0EESZ_EEDaSU_SV_EUlSU_E_NS1_11comp_targetILNS1_3genE10ELNS1_11target_archE1200ELNS1_3gpuE4ELNS1_3repE0EEENS1_30default_config_static_selectorELNS0_4arch9wavefront6targetE1EEEvT1_
	.p2align	8
	.type	_ZN7rocprim17ROCPRIM_400000_NS6detail17trampoline_kernelINS0_14default_configENS1_27scan_by_key_config_selectorIxxEEZZNS1_16scan_by_key_implILNS1_25lookback_scan_determinismE0ELb0ES3_N6thrust23THRUST_200600_302600_NS6detail15normal_iteratorINS9_10device_ptrIxEEEESE_SE_xNS9_10multipliesIxEENS9_8equal_toIxEExEE10hipError_tPvRmT2_T3_T4_T5_mT6_T7_P12ihipStream_tbENKUlT_T0_E_clISt17integral_constantIbLb0EESZ_EEDaSU_SV_EUlSU_E_NS1_11comp_targetILNS1_3genE10ELNS1_11target_archE1200ELNS1_3gpuE4ELNS1_3repE0EEENS1_30default_config_static_selectorELNS0_4arch9wavefront6targetE1EEEvT1_,@function
_ZN7rocprim17ROCPRIM_400000_NS6detail17trampoline_kernelINS0_14default_configENS1_27scan_by_key_config_selectorIxxEEZZNS1_16scan_by_key_implILNS1_25lookback_scan_determinismE0ELb0ES3_N6thrust23THRUST_200600_302600_NS6detail15normal_iteratorINS9_10device_ptrIxEEEESE_SE_xNS9_10multipliesIxEENS9_8equal_toIxEExEE10hipError_tPvRmT2_T3_T4_T5_mT6_T7_P12ihipStream_tbENKUlT_T0_E_clISt17integral_constantIbLb0EESZ_EEDaSU_SV_EUlSU_E_NS1_11comp_targetILNS1_3genE10ELNS1_11target_archE1200ELNS1_3gpuE4ELNS1_3repE0EEENS1_30default_config_static_selectorELNS0_4arch9wavefront6targetE1EEEvT1_: ; @_ZN7rocprim17ROCPRIM_400000_NS6detail17trampoline_kernelINS0_14default_configENS1_27scan_by_key_config_selectorIxxEEZZNS1_16scan_by_key_implILNS1_25lookback_scan_determinismE0ELb0ES3_N6thrust23THRUST_200600_302600_NS6detail15normal_iteratorINS9_10device_ptrIxEEEESE_SE_xNS9_10multipliesIxEENS9_8equal_toIxEExEE10hipError_tPvRmT2_T3_T4_T5_mT6_T7_P12ihipStream_tbENKUlT_T0_E_clISt17integral_constantIbLb0EESZ_EEDaSU_SV_EUlSU_E_NS1_11comp_targetILNS1_3genE10ELNS1_11target_archE1200ELNS1_3gpuE4ELNS1_3repE0EEENS1_30default_config_static_selectorELNS0_4arch9wavefront6targetE1EEEvT1_
; %bb.0:
	.section	.rodata,"a",@progbits
	.p2align	6, 0x0
	.amdhsa_kernel _ZN7rocprim17ROCPRIM_400000_NS6detail17trampoline_kernelINS0_14default_configENS1_27scan_by_key_config_selectorIxxEEZZNS1_16scan_by_key_implILNS1_25lookback_scan_determinismE0ELb0ES3_N6thrust23THRUST_200600_302600_NS6detail15normal_iteratorINS9_10device_ptrIxEEEESE_SE_xNS9_10multipliesIxEENS9_8equal_toIxEExEE10hipError_tPvRmT2_T3_T4_T5_mT6_T7_P12ihipStream_tbENKUlT_T0_E_clISt17integral_constantIbLb0EESZ_EEDaSU_SV_EUlSU_E_NS1_11comp_targetILNS1_3genE10ELNS1_11target_archE1200ELNS1_3gpuE4ELNS1_3repE0EEENS1_30default_config_static_selectorELNS0_4arch9wavefront6targetE1EEEvT1_
		.amdhsa_group_segment_fixed_size 0
		.amdhsa_private_segment_fixed_size 0
		.amdhsa_kernarg_size 136
		.amdhsa_user_sgpr_count 2
		.amdhsa_user_sgpr_dispatch_ptr 0
		.amdhsa_user_sgpr_queue_ptr 0
		.amdhsa_user_sgpr_kernarg_segment_ptr 1
		.amdhsa_user_sgpr_dispatch_id 0
		.amdhsa_user_sgpr_kernarg_preload_length 0
		.amdhsa_user_sgpr_kernarg_preload_offset 0
		.amdhsa_user_sgpr_private_segment_size 0
		.amdhsa_uses_dynamic_stack 0
		.amdhsa_enable_private_segment 0
		.amdhsa_system_sgpr_workgroup_id_x 1
		.amdhsa_system_sgpr_workgroup_id_y 0
		.amdhsa_system_sgpr_workgroup_id_z 0
		.amdhsa_system_sgpr_workgroup_info 0
		.amdhsa_system_vgpr_workitem_id 0
		.amdhsa_next_free_vgpr 1
		.amdhsa_next_free_sgpr 0
		.amdhsa_accum_offset 4
		.amdhsa_reserve_vcc 0
		.amdhsa_float_round_mode_32 0
		.amdhsa_float_round_mode_16_64 0
		.amdhsa_float_denorm_mode_32 3
		.amdhsa_float_denorm_mode_16_64 3
		.amdhsa_dx10_clamp 1
		.amdhsa_ieee_mode 1
		.amdhsa_fp16_overflow 0
		.amdhsa_tg_split 0
		.amdhsa_exception_fp_ieee_invalid_op 0
		.amdhsa_exception_fp_denorm_src 0
		.amdhsa_exception_fp_ieee_div_zero 0
		.amdhsa_exception_fp_ieee_overflow 0
		.amdhsa_exception_fp_ieee_underflow 0
		.amdhsa_exception_fp_ieee_inexact 0
		.amdhsa_exception_int_div_zero 0
	.end_amdhsa_kernel
	.section	.text._ZN7rocprim17ROCPRIM_400000_NS6detail17trampoline_kernelINS0_14default_configENS1_27scan_by_key_config_selectorIxxEEZZNS1_16scan_by_key_implILNS1_25lookback_scan_determinismE0ELb0ES3_N6thrust23THRUST_200600_302600_NS6detail15normal_iteratorINS9_10device_ptrIxEEEESE_SE_xNS9_10multipliesIxEENS9_8equal_toIxEExEE10hipError_tPvRmT2_T3_T4_T5_mT6_T7_P12ihipStream_tbENKUlT_T0_E_clISt17integral_constantIbLb0EESZ_EEDaSU_SV_EUlSU_E_NS1_11comp_targetILNS1_3genE10ELNS1_11target_archE1200ELNS1_3gpuE4ELNS1_3repE0EEENS1_30default_config_static_selectorELNS0_4arch9wavefront6targetE1EEEvT1_,"axG",@progbits,_ZN7rocprim17ROCPRIM_400000_NS6detail17trampoline_kernelINS0_14default_configENS1_27scan_by_key_config_selectorIxxEEZZNS1_16scan_by_key_implILNS1_25lookback_scan_determinismE0ELb0ES3_N6thrust23THRUST_200600_302600_NS6detail15normal_iteratorINS9_10device_ptrIxEEEESE_SE_xNS9_10multipliesIxEENS9_8equal_toIxEExEE10hipError_tPvRmT2_T3_T4_T5_mT6_T7_P12ihipStream_tbENKUlT_T0_E_clISt17integral_constantIbLb0EESZ_EEDaSU_SV_EUlSU_E_NS1_11comp_targetILNS1_3genE10ELNS1_11target_archE1200ELNS1_3gpuE4ELNS1_3repE0EEENS1_30default_config_static_selectorELNS0_4arch9wavefront6targetE1EEEvT1_,comdat
.Lfunc_end53:
	.size	_ZN7rocprim17ROCPRIM_400000_NS6detail17trampoline_kernelINS0_14default_configENS1_27scan_by_key_config_selectorIxxEEZZNS1_16scan_by_key_implILNS1_25lookback_scan_determinismE0ELb0ES3_N6thrust23THRUST_200600_302600_NS6detail15normal_iteratorINS9_10device_ptrIxEEEESE_SE_xNS9_10multipliesIxEENS9_8equal_toIxEExEE10hipError_tPvRmT2_T3_T4_T5_mT6_T7_P12ihipStream_tbENKUlT_T0_E_clISt17integral_constantIbLb0EESZ_EEDaSU_SV_EUlSU_E_NS1_11comp_targetILNS1_3genE10ELNS1_11target_archE1200ELNS1_3gpuE4ELNS1_3repE0EEENS1_30default_config_static_selectorELNS0_4arch9wavefront6targetE1EEEvT1_, .Lfunc_end53-_ZN7rocprim17ROCPRIM_400000_NS6detail17trampoline_kernelINS0_14default_configENS1_27scan_by_key_config_selectorIxxEEZZNS1_16scan_by_key_implILNS1_25lookback_scan_determinismE0ELb0ES3_N6thrust23THRUST_200600_302600_NS6detail15normal_iteratorINS9_10device_ptrIxEEEESE_SE_xNS9_10multipliesIxEENS9_8equal_toIxEExEE10hipError_tPvRmT2_T3_T4_T5_mT6_T7_P12ihipStream_tbENKUlT_T0_E_clISt17integral_constantIbLb0EESZ_EEDaSU_SV_EUlSU_E_NS1_11comp_targetILNS1_3genE10ELNS1_11target_archE1200ELNS1_3gpuE4ELNS1_3repE0EEENS1_30default_config_static_selectorELNS0_4arch9wavefront6targetE1EEEvT1_
                                        ; -- End function
	.section	.AMDGPU.csdata,"",@progbits
; Kernel info:
; codeLenInByte = 0
; NumSgprs: 6
; NumVgprs: 0
; NumAgprs: 0
; TotalNumVgprs: 0
; ScratchSize: 0
; MemoryBound: 0
; FloatMode: 240
; IeeeMode: 1
; LDSByteSize: 0 bytes/workgroup (compile time only)
; SGPRBlocks: 0
; VGPRBlocks: 0
; NumSGPRsForWavesPerEU: 6
; NumVGPRsForWavesPerEU: 1
; AccumOffset: 4
; Occupancy: 8
; WaveLimiterHint : 0
; COMPUTE_PGM_RSRC2:SCRATCH_EN: 0
; COMPUTE_PGM_RSRC2:USER_SGPR: 2
; COMPUTE_PGM_RSRC2:TRAP_HANDLER: 0
; COMPUTE_PGM_RSRC2:TGID_X_EN: 1
; COMPUTE_PGM_RSRC2:TGID_Y_EN: 0
; COMPUTE_PGM_RSRC2:TGID_Z_EN: 0
; COMPUTE_PGM_RSRC2:TIDIG_COMP_CNT: 0
; COMPUTE_PGM_RSRC3_GFX90A:ACCUM_OFFSET: 0
; COMPUTE_PGM_RSRC3_GFX90A:TG_SPLIT: 0
	.section	.text._ZN7rocprim17ROCPRIM_400000_NS6detail17trampoline_kernelINS0_14default_configENS1_27scan_by_key_config_selectorIxxEEZZNS1_16scan_by_key_implILNS1_25lookback_scan_determinismE0ELb0ES3_N6thrust23THRUST_200600_302600_NS6detail15normal_iteratorINS9_10device_ptrIxEEEESE_SE_xNS9_10multipliesIxEENS9_8equal_toIxEExEE10hipError_tPvRmT2_T3_T4_T5_mT6_T7_P12ihipStream_tbENKUlT_T0_E_clISt17integral_constantIbLb0EESZ_EEDaSU_SV_EUlSU_E_NS1_11comp_targetILNS1_3genE9ELNS1_11target_archE1100ELNS1_3gpuE3ELNS1_3repE0EEENS1_30default_config_static_selectorELNS0_4arch9wavefront6targetE1EEEvT1_,"axG",@progbits,_ZN7rocprim17ROCPRIM_400000_NS6detail17trampoline_kernelINS0_14default_configENS1_27scan_by_key_config_selectorIxxEEZZNS1_16scan_by_key_implILNS1_25lookback_scan_determinismE0ELb0ES3_N6thrust23THRUST_200600_302600_NS6detail15normal_iteratorINS9_10device_ptrIxEEEESE_SE_xNS9_10multipliesIxEENS9_8equal_toIxEExEE10hipError_tPvRmT2_T3_T4_T5_mT6_T7_P12ihipStream_tbENKUlT_T0_E_clISt17integral_constantIbLb0EESZ_EEDaSU_SV_EUlSU_E_NS1_11comp_targetILNS1_3genE9ELNS1_11target_archE1100ELNS1_3gpuE3ELNS1_3repE0EEENS1_30default_config_static_selectorELNS0_4arch9wavefront6targetE1EEEvT1_,comdat
	.protected	_ZN7rocprim17ROCPRIM_400000_NS6detail17trampoline_kernelINS0_14default_configENS1_27scan_by_key_config_selectorIxxEEZZNS1_16scan_by_key_implILNS1_25lookback_scan_determinismE0ELb0ES3_N6thrust23THRUST_200600_302600_NS6detail15normal_iteratorINS9_10device_ptrIxEEEESE_SE_xNS9_10multipliesIxEENS9_8equal_toIxEExEE10hipError_tPvRmT2_T3_T4_T5_mT6_T7_P12ihipStream_tbENKUlT_T0_E_clISt17integral_constantIbLb0EESZ_EEDaSU_SV_EUlSU_E_NS1_11comp_targetILNS1_3genE9ELNS1_11target_archE1100ELNS1_3gpuE3ELNS1_3repE0EEENS1_30default_config_static_selectorELNS0_4arch9wavefront6targetE1EEEvT1_ ; -- Begin function _ZN7rocprim17ROCPRIM_400000_NS6detail17trampoline_kernelINS0_14default_configENS1_27scan_by_key_config_selectorIxxEEZZNS1_16scan_by_key_implILNS1_25lookback_scan_determinismE0ELb0ES3_N6thrust23THRUST_200600_302600_NS6detail15normal_iteratorINS9_10device_ptrIxEEEESE_SE_xNS9_10multipliesIxEENS9_8equal_toIxEExEE10hipError_tPvRmT2_T3_T4_T5_mT6_T7_P12ihipStream_tbENKUlT_T0_E_clISt17integral_constantIbLb0EESZ_EEDaSU_SV_EUlSU_E_NS1_11comp_targetILNS1_3genE9ELNS1_11target_archE1100ELNS1_3gpuE3ELNS1_3repE0EEENS1_30default_config_static_selectorELNS0_4arch9wavefront6targetE1EEEvT1_
	.globl	_ZN7rocprim17ROCPRIM_400000_NS6detail17trampoline_kernelINS0_14default_configENS1_27scan_by_key_config_selectorIxxEEZZNS1_16scan_by_key_implILNS1_25lookback_scan_determinismE0ELb0ES3_N6thrust23THRUST_200600_302600_NS6detail15normal_iteratorINS9_10device_ptrIxEEEESE_SE_xNS9_10multipliesIxEENS9_8equal_toIxEExEE10hipError_tPvRmT2_T3_T4_T5_mT6_T7_P12ihipStream_tbENKUlT_T0_E_clISt17integral_constantIbLb0EESZ_EEDaSU_SV_EUlSU_E_NS1_11comp_targetILNS1_3genE9ELNS1_11target_archE1100ELNS1_3gpuE3ELNS1_3repE0EEENS1_30default_config_static_selectorELNS0_4arch9wavefront6targetE1EEEvT1_
	.p2align	8
	.type	_ZN7rocprim17ROCPRIM_400000_NS6detail17trampoline_kernelINS0_14default_configENS1_27scan_by_key_config_selectorIxxEEZZNS1_16scan_by_key_implILNS1_25lookback_scan_determinismE0ELb0ES3_N6thrust23THRUST_200600_302600_NS6detail15normal_iteratorINS9_10device_ptrIxEEEESE_SE_xNS9_10multipliesIxEENS9_8equal_toIxEExEE10hipError_tPvRmT2_T3_T4_T5_mT6_T7_P12ihipStream_tbENKUlT_T0_E_clISt17integral_constantIbLb0EESZ_EEDaSU_SV_EUlSU_E_NS1_11comp_targetILNS1_3genE9ELNS1_11target_archE1100ELNS1_3gpuE3ELNS1_3repE0EEENS1_30default_config_static_selectorELNS0_4arch9wavefront6targetE1EEEvT1_,@function
_ZN7rocprim17ROCPRIM_400000_NS6detail17trampoline_kernelINS0_14default_configENS1_27scan_by_key_config_selectorIxxEEZZNS1_16scan_by_key_implILNS1_25lookback_scan_determinismE0ELb0ES3_N6thrust23THRUST_200600_302600_NS6detail15normal_iteratorINS9_10device_ptrIxEEEESE_SE_xNS9_10multipliesIxEENS9_8equal_toIxEExEE10hipError_tPvRmT2_T3_T4_T5_mT6_T7_P12ihipStream_tbENKUlT_T0_E_clISt17integral_constantIbLb0EESZ_EEDaSU_SV_EUlSU_E_NS1_11comp_targetILNS1_3genE9ELNS1_11target_archE1100ELNS1_3gpuE3ELNS1_3repE0EEENS1_30default_config_static_selectorELNS0_4arch9wavefront6targetE1EEEvT1_: ; @_ZN7rocprim17ROCPRIM_400000_NS6detail17trampoline_kernelINS0_14default_configENS1_27scan_by_key_config_selectorIxxEEZZNS1_16scan_by_key_implILNS1_25lookback_scan_determinismE0ELb0ES3_N6thrust23THRUST_200600_302600_NS6detail15normal_iteratorINS9_10device_ptrIxEEEESE_SE_xNS9_10multipliesIxEENS9_8equal_toIxEExEE10hipError_tPvRmT2_T3_T4_T5_mT6_T7_P12ihipStream_tbENKUlT_T0_E_clISt17integral_constantIbLb0EESZ_EEDaSU_SV_EUlSU_E_NS1_11comp_targetILNS1_3genE9ELNS1_11target_archE1100ELNS1_3gpuE3ELNS1_3repE0EEENS1_30default_config_static_selectorELNS0_4arch9wavefront6targetE1EEEvT1_
; %bb.0:
	.section	.rodata,"a",@progbits
	.p2align	6, 0x0
	.amdhsa_kernel _ZN7rocprim17ROCPRIM_400000_NS6detail17trampoline_kernelINS0_14default_configENS1_27scan_by_key_config_selectorIxxEEZZNS1_16scan_by_key_implILNS1_25lookback_scan_determinismE0ELb0ES3_N6thrust23THRUST_200600_302600_NS6detail15normal_iteratorINS9_10device_ptrIxEEEESE_SE_xNS9_10multipliesIxEENS9_8equal_toIxEExEE10hipError_tPvRmT2_T3_T4_T5_mT6_T7_P12ihipStream_tbENKUlT_T0_E_clISt17integral_constantIbLb0EESZ_EEDaSU_SV_EUlSU_E_NS1_11comp_targetILNS1_3genE9ELNS1_11target_archE1100ELNS1_3gpuE3ELNS1_3repE0EEENS1_30default_config_static_selectorELNS0_4arch9wavefront6targetE1EEEvT1_
		.amdhsa_group_segment_fixed_size 0
		.amdhsa_private_segment_fixed_size 0
		.amdhsa_kernarg_size 136
		.amdhsa_user_sgpr_count 2
		.amdhsa_user_sgpr_dispatch_ptr 0
		.amdhsa_user_sgpr_queue_ptr 0
		.amdhsa_user_sgpr_kernarg_segment_ptr 1
		.amdhsa_user_sgpr_dispatch_id 0
		.amdhsa_user_sgpr_kernarg_preload_length 0
		.amdhsa_user_sgpr_kernarg_preload_offset 0
		.amdhsa_user_sgpr_private_segment_size 0
		.amdhsa_uses_dynamic_stack 0
		.amdhsa_enable_private_segment 0
		.amdhsa_system_sgpr_workgroup_id_x 1
		.amdhsa_system_sgpr_workgroup_id_y 0
		.amdhsa_system_sgpr_workgroup_id_z 0
		.amdhsa_system_sgpr_workgroup_info 0
		.amdhsa_system_vgpr_workitem_id 0
		.amdhsa_next_free_vgpr 1
		.amdhsa_next_free_sgpr 0
		.amdhsa_accum_offset 4
		.amdhsa_reserve_vcc 0
		.amdhsa_float_round_mode_32 0
		.amdhsa_float_round_mode_16_64 0
		.amdhsa_float_denorm_mode_32 3
		.amdhsa_float_denorm_mode_16_64 3
		.amdhsa_dx10_clamp 1
		.amdhsa_ieee_mode 1
		.amdhsa_fp16_overflow 0
		.amdhsa_tg_split 0
		.amdhsa_exception_fp_ieee_invalid_op 0
		.amdhsa_exception_fp_denorm_src 0
		.amdhsa_exception_fp_ieee_div_zero 0
		.amdhsa_exception_fp_ieee_overflow 0
		.amdhsa_exception_fp_ieee_underflow 0
		.amdhsa_exception_fp_ieee_inexact 0
		.amdhsa_exception_int_div_zero 0
	.end_amdhsa_kernel
	.section	.text._ZN7rocprim17ROCPRIM_400000_NS6detail17trampoline_kernelINS0_14default_configENS1_27scan_by_key_config_selectorIxxEEZZNS1_16scan_by_key_implILNS1_25lookback_scan_determinismE0ELb0ES3_N6thrust23THRUST_200600_302600_NS6detail15normal_iteratorINS9_10device_ptrIxEEEESE_SE_xNS9_10multipliesIxEENS9_8equal_toIxEExEE10hipError_tPvRmT2_T3_T4_T5_mT6_T7_P12ihipStream_tbENKUlT_T0_E_clISt17integral_constantIbLb0EESZ_EEDaSU_SV_EUlSU_E_NS1_11comp_targetILNS1_3genE9ELNS1_11target_archE1100ELNS1_3gpuE3ELNS1_3repE0EEENS1_30default_config_static_selectorELNS0_4arch9wavefront6targetE1EEEvT1_,"axG",@progbits,_ZN7rocprim17ROCPRIM_400000_NS6detail17trampoline_kernelINS0_14default_configENS1_27scan_by_key_config_selectorIxxEEZZNS1_16scan_by_key_implILNS1_25lookback_scan_determinismE0ELb0ES3_N6thrust23THRUST_200600_302600_NS6detail15normal_iteratorINS9_10device_ptrIxEEEESE_SE_xNS9_10multipliesIxEENS9_8equal_toIxEExEE10hipError_tPvRmT2_T3_T4_T5_mT6_T7_P12ihipStream_tbENKUlT_T0_E_clISt17integral_constantIbLb0EESZ_EEDaSU_SV_EUlSU_E_NS1_11comp_targetILNS1_3genE9ELNS1_11target_archE1100ELNS1_3gpuE3ELNS1_3repE0EEENS1_30default_config_static_selectorELNS0_4arch9wavefront6targetE1EEEvT1_,comdat
.Lfunc_end54:
	.size	_ZN7rocprim17ROCPRIM_400000_NS6detail17trampoline_kernelINS0_14default_configENS1_27scan_by_key_config_selectorIxxEEZZNS1_16scan_by_key_implILNS1_25lookback_scan_determinismE0ELb0ES3_N6thrust23THRUST_200600_302600_NS6detail15normal_iteratorINS9_10device_ptrIxEEEESE_SE_xNS9_10multipliesIxEENS9_8equal_toIxEExEE10hipError_tPvRmT2_T3_T4_T5_mT6_T7_P12ihipStream_tbENKUlT_T0_E_clISt17integral_constantIbLb0EESZ_EEDaSU_SV_EUlSU_E_NS1_11comp_targetILNS1_3genE9ELNS1_11target_archE1100ELNS1_3gpuE3ELNS1_3repE0EEENS1_30default_config_static_selectorELNS0_4arch9wavefront6targetE1EEEvT1_, .Lfunc_end54-_ZN7rocprim17ROCPRIM_400000_NS6detail17trampoline_kernelINS0_14default_configENS1_27scan_by_key_config_selectorIxxEEZZNS1_16scan_by_key_implILNS1_25lookback_scan_determinismE0ELb0ES3_N6thrust23THRUST_200600_302600_NS6detail15normal_iteratorINS9_10device_ptrIxEEEESE_SE_xNS9_10multipliesIxEENS9_8equal_toIxEExEE10hipError_tPvRmT2_T3_T4_T5_mT6_T7_P12ihipStream_tbENKUlT_T0_E_clISt17integral_constantIbLb0EESZ_EEDaSU_SV_EUlSU_E_NS1_11comp_targetILNS1_3genE9ELNS1_11target_archE1100ELNS1_3gpuE3ELNS1_3repE0EEENS1_30default_config_static_selectorELNS0_4arch9wavefront6targetE1EEEvT1_
                                        ; -- End function
	.section	.AMDGPU.csdata,"",@progbits
; Kernel info:
; codeLenInByte = 0
; NumSgprs: 6
; NumVgprs: 0
; NumAgprs: 0
; TotalNumVgprs: 0
; ScratchSize: 0
; MemoryBound: 0
; FloatMode: 240
; IeeeMode: 1
; LDSByteSize: 0 bytes/workgroup (compile time only)
; SGPRBlocks: 0
; VGPRBlocks: 0
; NumSGPRsForWavesPerEU: 6
; NumVGPRsForWavesPerEU: 1
; AccumOffset: 4
; Occupancy: 8
; WaveLimiterHint : 0
; COMPUTE_PGM_RSRC2:SCRATCH_EN: 0
; COMPUTE_PGM_RSRC2:USER_SGPR: 2
; COMPUTE_PGM_RSRC2:TRAP_HANDLER: 0
; COMPUTE_PGM_RSRC2:TGID_X_EN: 1
; COMPUTE_PGM_RSRC2:TGID_Y_EN: 0
; COMPUTE_PGM_RSRC2:TGID_Z_EN: 0
; COMPUTE_PGM_RSRC2:TIDIG_COMP_CNT: 0
; COMPUTE_PGM_RSRC3_GFX90A:ACCUM_OFFSET: 0
; COMPUTE_PGM_RSRC3_GFX90A:TG_SPLIT: 0
	.section	.text._ZN7rocprim17ROCPRIM_400000_NS6detail17trampoline_kernelINS0_14default_configENS1_27scan_by_key_config_selectorIxxEEZZNS1_16scan_by_key_implILNS1_25lookback_scan_determinismE0ELb0ES3_N6thrust23THRUST_200600_302600_NS6detail15normal_iteratorINS9_10device_ptrIxEEEESE_SE_xNS9_10multipliesIxEENS9_8equal_toIxEExEE10hipError_tPvRmT2_T3_T4_T5_mT6_T7_P12ihipStream_tbENKUlT_T0_E_clISt17integral_constantIbLb0EESZ_EEDaSU_SV_EUlSU_E_NS1_11comp_targetILNS1_3genE8ELNS1_11target_archE1030ELNS1_3gpuE2ELNS1_3repE0EEENS1_30default_config_static_selectorELNS0_4arch9wavefront6targetE1EEEvT1_,"axG",@progbits,_ZN7rocprim17ROCPRIM_400000_NS6detail17trampoline_kernelINS0_14default_configENS1_27scan_by_key_config_selectorIxxEEZZNS1_16scan_by_key_implILNS1_25lookback_scan_determinismE0ELb0ES3_N6thrust23THRUST_200600_302600_NS6detail15normal_iteratorINS9_10device_ptrIxEEEESE_SE_xNS9_10multipliesIxEENS9_8equal_toIxEExEE10hipError_tPvRmT2_T3_T4_T5_mT6_T7_P12ihipStream_tbENKUlT_T0_E_clISt17integral_constantIbLb0EESZ_EEDaSU_SV_EUlSU_E_NS1_11comp_targetILNS1_3genE8ELNS1_11target_archE1030ELNS1_3gpuE2ELNS1_3repE0EEENS1_30default_config_static_selectorELNS0_4arch9wavefront6targetE1EEEvT1_,comdat
	.protected	_ZN7rocprim17ROCPRIM_400000_NS6detail17trampoline_kernelINS0_14default_configENS1_27scan_by_key_config_selectorIxxEEZZNS1_16scan_by_key_implILNS1_25lookback_scan_determinismE0ELb0ES3_N6thrust23THRUST_200600_302600_NS6detail15normal_iteratorINS9_10device_ptrIxEEEESE_SE_xNS9_10multipliesIxEENS9_8equal_toIxEExEE10hipError_tPvRmT2_T3_T4_T5_mT6_T7_P12ihipStream_tbENKUlT_T0_E_clISt17integral_constantIbLb0EESZ_EEDaSU_SV_EUlSU_E_NS1_11comp_targetILNS1_3genE8ELNS1_11target_archE1030ELNS1_3gpuE2ELNS1_3repE0EEENS1_30default_config_static_selectorELNS0_4arch9wavefront6targetE1EEEvT1_ ; -- Begin function _ZN7rocprim17ROCPRIM_400000_NS6detail17trampoline_kernelINS0_14default_configENS1_27scan_by_key_config_selectorIxxEEZZNS1_16scan_by_key_implILNS1_25lookback_scan_determinismE0ELb0ES3_N6thrust23THRUST_200600_302600_NS6detail15normal_iteratorINS9_10device_ptrIxEEEESE_SE_xNS9_10multipliesIxEENS9_8equal_toIxEExEE10hipError_tPvRmT2_T3_T4_T5_mT6_T7_P12ihipStream_tbENKUlT_T0_E_clISt17integral_constantIbLb0EESZ_EEDaSU_SV_EUlSU_E_NS1_11comp_targetILNS1_3genE8ELNS1_11target_archE1030ELNS1_3gpuE2ELNS1_3repE0EEENS1_30default_config_static_selectorELNS0_4arch9wavefront6targetE1EEEvT1_
	.globl	_ZN7rocprim17ROCPRIM_400000_NS6detail17trampoline_kernelINS0_14default_configENS1_27scan_by_key_config_selectorIxxEEZZNS1_16scan_by_key_implILNS1_25lookback_scan_determinismE0ELb0ES3_N6thrust23THRUST_200600_302600_NS6detail15normal_iteratorINS9_10device_ptrIxEEEESE_SE_xNS9_10multipliesIxEENS9_8equal_toIxEExEE10hipError_tPvRmT2_T3_T4_T5_mT6_T7_P12ihipStream_tbENKUlT_T0_E_clISt17integral_constantIbLb0EESZ_EEDaSU_SV_EUlSU_E_NS1_11comp_targetILNS1_3genE8ELNS1_11target_archE1030ELNS1_3gpuE2ELNS1_3repE0EEENS1_30default_config_static_selectorELNS0_4arch9wavefront6targetE1EEEvT1_
	.p2align	8
	.type	_ZN7rocprim17ROCPRIM_400000_NS6detail17trampoline_kernelINS0_14default_configENS1_27scan_by_key_config_selectorIxxEEZZNS1_16scan_by_key_implILNS1_25lookback_scan_determinismE0ELb0ES3_N6thrust23THRUST_200600_302600_NS6detail15normal_iteratorINS9_10device_ptrIxEEEESE_SE_xNS9_10multipliesIxEENS9_8equal_toIxEExEE10hipError_tPvRmT2_T3_T4_T5_mT6_T7_P12ihipStream_tbENKUlT_T0_E_clISt17integral_constantIbLb0EESZ_EEDaSU_SV_EUlSU_E_NS1_11comp_targetILNS1_3genE8ELNS1_11target_archE1030ELNS1_3gpuE2ELNS1_3repE0EEENS1_30default_config_static_selectorELNS0_4arch9wavefront6targetE1EEEvT1_,@function
_ZN7rocprim17ROCPRIM_400000_NS6detail17trampoline_kernelINS0_14default_configENS1_27scan_by_key_config_selectorIxxEEZZNS1_16scan_by_key_implILNS1_25lookback_scan_determinismE0ELb0ES3_N6thrust23THRUST_200600_302600_NS6detail15normal_iteratorINS9_10device_ptrIxEEEESE_SE_xNS9_10multipliesIxEENS9_8equal_toIxEExEE10hipError_tPvRmT2_T3_T4_T5_mT6_T7_P12ihipStream_tbENKUlT_T0_E_clISt17integral_constantIbLb0EESZ_EEDaSU_SV_EUlSU_E_NS1_11comp_targetILNS1_3genE8ELNS1_11target_archE1030ELNS1_3gpuE2ELNS1_3repE0EEENS1_30default_config_static_selectorELNS0_4arch9wavefront6targetE1EEEvT1_: ; @_ZN7rocprim17ROCPRIM_400000_NS6detail17trampoline_kernelINS0_14default_configENS1_27scan_by_key_config_selectorIxxEEZZNS1_16scan_by_key_implILNS1_25lookback_scan_determinismE0ELb0ES3_N6thrust23THRUST_200600_302600_NS6detail15normal_iteratorINS9_10device_ptrIxEEEESE_SE_xNS9_10multipliesIxEENS9_8equal_toIxEExEE10hipError_tPvRmT2_T3_T4_T5_mT6_T7_P12ihipStream_tbENKUlT_T0_E_clISt17integral_constantIbLb0EESZ_EEDaSU_SV_EUlSU_E_NS1_11comp_targetILNS1_3genE8ELNS1_11target_archE1030ELNS1_3gpuE2ELNS1_3repE0EEENS1_30default_config_static_selectorELNS0_4arch9wavefront6targetE1EEEvT1_
; %bb.0:
	.section	.rodata,"a",@progbits
	.p2align	6, 0x0
	.amdhsa_kernel _ZN7rocprim17ROCPRIM_400000_NS6detail17trampoline_kernelINS0_14default_configENS1_27scan_by_key_config_selectorIxxEEZZNS1_16scan_by_key_implILNS1_25lookback_scan_determinismE0ELb0ES3_N6thrust23THRUST_200600_302600_NS6detail15normal_iteratorINS9_10device_ptrIxEEEESE_SE_xNS9_10multipliesIxEENS9_8equal_toIxEExEE10hipError_tPvRmT2_T3_T4_T5_mT6_T7_P12ihipStream_tbENKUlT_T0_E_clISt17integral_constantIbLb0EESZ_EEDaSU_SV_EUlSU_E_NS1_11comp_targetILNS1_3genE8ELNS1_11target_archE1030ELNS1_3gpuE2ELNS1_3repE0EEENS1_30default_config_static_selectorELNS0_4arch9wavefront6targetE1EEEvT1_
		.amdhsa_group_segment_fixed_size 0
		.amdhsa_private_segment_fixed_size 0
		.amdhsa_kernarg_size 136
		.amdhsa_user_sgpr_count 2
		.amdhsa_user_sgpr_dispatch_ptr 0
		.amdhsa_user_sgpr_queue_ptr 0
		.amdhsa_user_sgpr_kernarg_segment_ptr 1
		.amdhsa_user_sgpr_dispatch_id 0
		.amdhsa_user_sgpr_kernarg_preload_length 0
		.amdhsa_user_sgpr_kernarg_preload_offset 0
		.amdhsa_user_sgpr_private_segment_size 0
		.amdhsa_uses_dynamic_stack 0
		.amdhsa_enable_private_segment 0
		.amdhsa_system_sgpr_workgroup_id_x 1
		.amdhsa_system_sgpr_workgroup_id_y 0
		.amdhsa_system_sgpr_workgroup_id_z 0
		.amdhsa_system_sgpr_workgroup_info 0
		.amdhsa_system_vgpr_workitem_id 0
		.amdhsa_next_free_vgpr 1
		.amdhsa_next_free_sgpr 0
		.amdhsa_accum_offset 4
		.amdhsa_reserve_vcc 0
		.amdhsa_float_round_mode_32 0
		.amdhsa_float_round_mode_16_64 0
		.amdhsa_float_denorm_mode_32 3
		.amdhsa_float_denorm_mode_16_64 3
		.amdhsa_dx10_clamp 1
		.amdhsa_ieee_mode 1
		.amdhsa_fp16_overflow 0
		.amdhsa_tg_split 0
		.amdhsa_exception_fp_ieee_invalid_op 0
		.amdhsa_exception_fp_denorm_src 0
		.amdhsa_exception_fp_ieee_div_zero 0
		.amdhsa_exception_fp_ieee_overflow 0
		.amdhsa_exception_fp_ieee_underflow 0
		.amdhsa_exception_fp_ieee_inexact 0
		.amdhsa_exception_int_div_zero 0
	.end_amdhsa_kernel
	.section	.text._ZN7rocprim17ROCPRIM_400000_NS6detail17trampoline_kernelINS0_14default_configENS1_27scan_by_key_config_selectorIxxEEZZNS1_16scan_by_key_implILNS1_25lookback_scan_determinismE0ELb0ES3_N6thrust23THRUST_200600_302600_NS6detail15normal_iteratorINS9_10device_ptrIxEEEESE_SE_xNS9_10multipliesIxEENS9_8equal_toIxEExEE10hipError_tPvRmT2_T3_T4_T5_mT6_T7_P12ihipStream_tbENKUlT_T0_E_clISt17integral_constantIbLb0EESZ_EEDaSU_SV_EUlSU_E_NS1_11comp_targetILNS1_3genE8ELNS1_11target_archE1030ELNS1_3gpuE2ELNS1_3repE0EEENS1_30default_config_static_selectorELNS0_4arch9wavefront6targetE1EEEvT1_,"axG",@progbits,_ZN7rocprim17ROCPRIM_400000_NS6detail17trampoline_kernelINS0_14default_configENS1_27scan_by_key_config_selectorIxxEEZZNS1_16scan_by_key_implILNS1_25lookback_scan_determinismE0ELb0ES3_N6thrust23THRUST_200600_302600_NS6detail15normal_iteratorINS9_10device_ptrIxEEEESE_SE_xNS9_10multipliesIxEENS9_8equal_toIxEExEE10hipError_tPvRmT2_T3_T4_T5_mT6_T7_P12ihipStream_tbENKUlT_T0_E_clISt17integral_constantIbLb0EESZ_EEDaSU_SV_EUlSU_E_NS1_11comp_targetILNS1_3genE8ELNS1_11target_archE1030ELNS1_3gpuE2ELNS1_3repE0EEENS1_30default_config_static_selectorELNS0_4arch9wavefront6targetE1EEEvT1_,comdat
.Lfunc_end55:
	.size	_ZN7rocprim17ROCPRIM_400000_NS6detail17trampoline_kernelINS0_14default_configENS1_27scan_by_key_config_selectorIxxEEZZNS1_16scan_by_key_implILNS1_25lookback_scan_determinismE0ELb0ES3_N6thrust23THRUST_200600_302600_NS6detail15normal_iteratorINS9_10device_ptrIxEEEESE_SE_xNS9_10multipliesIxEENS9_8equal_toIxEExEE10hipError_tPvRmT2_T3_T4_T5_mT6_T7_P12ihipStream_tbENKUlT_T0_E_clISt17integral_constantIbLb0EESZ_EEDaSU_SV_EUlSU_E_NS1_11comp_targetILNS1_3genE8ELNS1_11target_archE1030ELNS1_3gpuE2ELNS1_3repE0EEENS1_30default_config_static_selectorELNS0_4arch9wavefront6targetE1EEEvT1_, .Lfunc_end55-_ZN7rocprim17ROCPRIM_400000_NS6detail17trampoline_kernelINS0_14default_configENS1_27scan_by_key_config_selectorIxxEEZZNS1_16scan_by_key_implILNS1_25lookback_scan_determinismE0ELb0ES3_N6thrust23THRUST_200600_302600_NS6detail15normal_iteratorINS9_10device_ptrIxEEEESE_SE_xNS9_10multipliesIxEENS9_8equal_toIxEExEE10hipError_tPvRmT2_T3_T4_T5_mT6_T7_P12ihipStream_tbENKUlT_T0_E_clISt17integral_constantIbLb0EESZ_EEDaSU_SV_EUlSU_E_NS1_11comp_targetILNS1_3genE8ELNS1_11target_archE1030ELNS1_3gpuE2ELNS1_3repE0EEENS1_30default_config_static_selectorELNS0_4arch9wavefront6targetE1EEEvT1_
                                        ; -- End function
	.section	.AMDGPU.csdata,"",@progbits
; Kernel info:
; codeLenInByte = 0
; NumSgprs: 6
; NumVgprs: 0
; NumAgprs: 0
; TotalNumVgprs: 0
; ScratchSize: 0
; MemoryBound: 0
; FloatMode: 240
; IeeeMode: 1
; LDSByteSize: 0 bytes/workgroup (compile time only)
; SGPRBlocks: 0
; VGPRBlocks: 0
; NumSGPRsForWavesPerEU: 6
; NumVGPRsForWavesPerEU: 1
; AccumOffset: 4
; Occupancy: 8
; WaveLimiterHint : 0
; COMPUTE_PGM_RSRC2:SCRATCH_EN: 0
; COMPUTE_PGM_RSRC2:USER_SGPR: 2
; COMPUTE_PGM_RSRC2:TRAP_HANDLER: 0
; COMPUTE_PGM_RSRC2:TGID_X_EN: 1
; COMPUTE_PGM_RSRC2:TGID_Y_EN: 0
; COMPUTE_PGM_RSRC2:TGID_Z_EN: 0
; COMPUTE_PGM_RSRC2:TIDIG_COMP_CNT: 0
; COMPUTE_PGM_RSRC3_GFX90A:ACCUM_OFFSET: 0
; COMPUTE_PGM_RSRC3_GFX90A:TG_SPLIT: 0
	.section	.text._ZN7rocprim17ROCPRIM_400000_NS6detail17trampoline_kernelINS0_14default_configENS1_27scan_by_key_config_selectorIxxEEZZNS1_16scan_by_key_implILNS1_25lookback_scan_determinismE0ELb0ES3_N6thrust23THRUST_200600_302600_NS6detail15normal_iteratorINS9_10device_ptrIxEEEESE_SE_xNS9_10multipliesIxEENS9_8equal_toIxEExEE10hipError_tPvRmT2_T3_T4_T5_mT6_T7_P12ihipStream_tbENKUlT_T0_E_clISt17integral_constantIbLb1EESZ_EEDaSU_SV_EUlSU_E_NS1_11comp_targetILNS1_3genE0ELNS1_11target_archE4294967295ELNS1_3gpuE0ELNS1_3repE0EEENS1_30default_config_static_selectorELNS0_4arch9wavefront6targetE1EEEvT1_,"axG",@progbits,_ZN7rocprim17ROCPRIM_400000_NS6detail17trampoline_kernelINS0_14default_configENS1_27scan_by_key_config_selectorIxxEEZZNS1_16scan_by_key_implILNS1_25lookback_scan_determinismE0ELb0ES3_N6thrust23THRUST_200600_302600_NS6detail15normal_iteratorINS9_10device_ptrIxEEEESE_SE_xNS9_10multipliesIxEENS9_8equal_toIxEExEE10hipError_tPvRmT2_T3_T4_T5_mT6_T7_P12ihipStream_tbENKUlT_T0_E_clISt17integral_constantIbLb1EESZ_EEDaSU_SV_EUlSU_E_NS1_11comp_targetILNS1_3genE0ELNS1_11target_archE4294967295ELNS1_3gpuE0ELNS1_3repE0EEENS1_30default_config_static_selectorELNS0_4arch9wavefront6targetE1EEEvT1_,comdat
	.protected	_ZN7rocprim17ROCPRIM_400000_NS6detail17trampoline_kernelINS0_14default_configENS1_27scan_by_key_config_selectorIxxEEZZNS1_16scan_by_key_implILNS1_25lookback_scan_determinismE0ELb0ES3_N6thrust23THRUST_200600_302600_NS6detail15normal_iteratorINS9_10device_ptrIxEEEESE_SE_xNS9_10multipliesIxEENS9_8equal_toIxEExEE10hipError_tPvRmT2_T3_T4_T5_mT6_T7_P12ihipStream_tbENKUlT_T0_E_clISt17integral_constantIbLb1EESZ_EEDaSU_SV_EUlSU_E_NS1_11comp_targetILNS1_3genE0ELNS1_11target_archE4294967295ELNS1_3gpuE0ELNS1_3repE0EEENS1_30default_config_static_selectorELNS0_4arch9wavefront6targetE1EEEvT1_ ; -- Begin function _ZN7rocprim17ROCPRIM_400000_NS6detail17trampoline_kernelINS0_14default_configENS1_27scan_by_key_config_selectorIxxEEZZNS1_16scan_by_key_implILNS1_25lookback_scan_determinismE0ELb0ES3_N6thrust23THRUST_200600_302600_NS6detail15normal_iteratorINS9_10device_ptrIxEEEESE_SE_xNS9_10multipliesIxEENS9_8equal_toIxEExEE10hipError_tPvRmT2_T3_T4_T5_mT6_T7_P12ihipStream_tbENKUlT_T0_E_clISt17integral_constantIbLb1EESZ_EEDaSU_SV_EUlSU_E_NS1_11comp_targetILNS1_3genE0ELNS1_11target_archE4294967295ELNS1_3gpuE0ELNS1_3repE0EEENS1_30default_config_static_selectorELNS0_4arch9wavefront6targetE1EEEvT1_
	.globl	_ZN7rocprim17ROCPRIM_400000_NS6detail17trampoline_kernelINS0_14default_configENS1_27scan_by_key_config_selectorIxxEEZZNS1_16scan_by_key_implILNS1_25lookback_scan_determinismE0ELb0ES3_N6thrust23THRUST_200600_302600_NS6detail15normal_iteratorINS9_10device_ptrIxEEEESE_SE_xNS9_10multipliesIxEENS9_8equal_toIxEExEE10hipError_tPvRmT2_T3_T4_T5_mT6_T7_P12ihipStream_tbENKUlT_T0_E_clISt17integral_constantIbLb1EESZ_EEDaSU_SV_EUlSU_E_NS1_11comp_targetILNS1_3genE0ELNS1_11target_archE4294967295ELNS1_3gpuE0ELNS1_3repE0EEENS1_30default_config_static_selectorELNS0_4arch9wavefront6targetE1EEEvT1_
	.p2align	8
	.type	_ZN7rocprim17ROCPRIM_400000_NS6detail17trampoline_kernelINS0_14default_configENS1_27scan_by_key_config_selectorIxxEEZZNS1_16scan_by_key_implILNS1_25lookback_scan_determinismE0ELb0ES3_N6thrust23THRUST_200600_302600_NS6detail15normal_iteratorINS9_10device_ptrIxEEEESE_SE_xNS9_10multipliesIxEENS9_8equal_toIxEExEE10hipError_tPvRmT2_T3_T4_T5_mT6_T7_P12ihipStream_tbENKUlT_T0_E_clISt17integral_constantIbLb1EESZ_EEDaSU_SV_EUlSU_E_NS1_11comp_targetILNS1_3genE0ELNS1_11target_archE4294967295ELNS1_3gpuE0ELNS1_3repE0EEENS1_30default_config_static_selectorELNS0_4arch9wavefront6targetE1EEEvT1_,@function
_ZN7rocprim17ROCPRIM_400000_NS6detail17trampoline_kernelINS0_14default_configENS1_27scan_by_key_config_selectorIxxEEZZNS1_16scan_by_key_implILNS1_25lookback_scan_determinismE0ELb0ES3_N6thrust23THRUST_200600_302600_NS6detail15normal_iteratorINS9_10device_ptrIxEEEESE_SE_xNS9_10multipliesIxEENS9_8equal_toIxEExEE10hipError_tPvRmT2_T3_T4_T5_mT6_T7_P12ihipStream_tbENKUlT_T0_E_clISt17integral_constantIbLb1EESZ_EEDaSU_SV_EUlSU_E_NS1_11comp_targetILNS1_3genE0ELNS1_11target_archE4294967295ELNS1_3gpuE0ELNS1_3repE0EEENS1_30default_config_static_selectorELNS0_4arch9wavefront6targetE1EEEvT1_: ; @_ZN7rocprim17ROCPRIM_400000_NS6detail17trampoline_kernelINS0_14default_configENS1_27scan_by_key_config_selectorIxxEEZZNS1_16scan_by_key_implILNS1_25lookback_scan_determinismE0ELb0ES3_N6thrust23THRUST_200600_302600_NS6detail15normal_iteratorINS9_10device_ptrIxEEEESE_SE_xNS9_10multipliesIxEENS9_8equal_toIxEExEE10hipError_tPvRmT2_T3_T4_T5_mT6_T7_P12ihipStream_tbENKUlT_T0_E_clISt17integral_constantIbLb1EESZ_EEDaSU_SV_EUlSU_E_NS1_11comp_targetILNS1_3genE0ELNS1_11target_archE4294967295ELNS1_3gpuE0ELNS1_3repE0EEENS1_30default_config_static_selectorELNS0_4arch9wavefront6targetE1EEEvT1_
; %bb.0:
	.section	.rodata,"a",@progbits
	.p2align	6, 0x0
	.amdhsa_kernel _ZN7rocprim17ROCPRIM_400000_NS6detail17trampoline_kernelINS0_14default_configENS1_27scan_by_key_config_selectorIxxEEZZNS1_16scan_by_key_implILNS1_25lookback_scan_determinismE0ELb0ES3_N6thrust23THRUST_200600_302600_NS6detail15normal_iteratorINS9_10device_ptrIxEEEESE_SE_xNS9_10multipliesIxEENS9_8equal_toIxEExEE10hipError_tPvRmT2_T3_T4_T5_mT6_T7_P12ihipStream_tbENKUlT_T0_E_clISt17integral_constantIbLb1EESZ_EEDaSU_SV_EUlSU_E_NS1_11comp_targetILNS1_3genE0ELNS1_11target_archE4294967295ELNS1_3gpuE0ELNS1_3repE0EEENS1_30default_config_static_selectorELNS0_4arch9wavefront6targetE1EEEvT1_
		.amdhsa_group_segment_fixed_size 0
		.amdhsa_private_segment_fixed_size 0
		.amdhsa_kernarg_size 136
		.amdhsa_user_sgpr_count 2
		.amdhsa_user_sgpr_dispatch_ptr 0
		.amdhsa_user_sgpr_queue_ptr 0
		.amdhsa_user_sgpr_kernarg_segment_ptr 1
		.amdhsa_user_sgpr_dispatch_id 0
		.amdhsa_user_sgpr_kernarg_preload_length 0
		.amdhsa_user_sgpr_kernarg_preload_offset 0
		.amdhsa_user_sgpr_private_segment_size 0
		.amdhsa_uses_dynamic_stack 0
		.amdhsa_enable_private_segment 0
		.amdhsa_system_sgpr_workgroup_id_x 1
		.amdhsa_system_sgpr_workgroup_id_y 0
		.amdhsa_system_sgpr_workgroup_id_z 0
		.amdhsa_system_sgpr_workgroup_info 0
		.amdhsa_system_vgpr_workitem_id 0
		.amdhsa_next_free_vgpr 1
		.amdhsa_next_free_sgpr 0
		.amdhsa_accum_offset 4
		.amdhsa_reserve_vcc 0
		.amdhsa_float_round_mode_32 0
		.amdhsa_float_round_mode_16_64 0
		.amdhsa_float_denorm_mode_32 3
		.amdhsa_float_denorm_mode_16_64 3
		.amdhsa_dx10_clamp 1
		.amdhsa_ieee_mode 1
		.amdhsa_fp16_overflow 0
		.amdhsa_tg_split 0
		.amdhsa_exception_fp_ieee_invalid_op 0
		.amdhsa_exception_fp_denorm_src 0
		.amdhsa_exception_fp_ieee_div_zero 0
		.amdhsa_exception_fp_ieee_overflow 0
		.amdhsa_exception_fp_ieee_underflow 0
		.amdhsa_exception_fp_ieee_inexact 0
		.amdhsa_exception_int_div_zero 0
	.end_amdhsa_kernel
	.section	.text._ZN7rocprim17ROCPRIM_400000_NS6detail17trampoline_kernelINS0_14default_configENS1_27scan_by_key_config_selectorIxxEEZZNS1_16scan_by_key_implILNS1_25lookback_scan_determinismE0ELb0ES3_N6thrust23THRUST_200600_302600_NS6detail15normal_iteratorINS9_10device_ptrIxEEEESE_SE_xNS9_10multipliesIxEENS9_8equal_toIxEExEE10hipError_tPvRmT2_T3_T4_T5_mT6_T7_P12ihipStream_tbENKUlT_T0_E_clISt17integral_constantIbLb1EESZ_EEDaSU_SV_EUlSU_E_NS1_11comp_targetILNS1_3genE0ELNS1_11target_archE4294967295ELNS1_3gpuE0ELNS1_3repE0EEENS1_30default_config_static_selectorELNS0_4arch9wavefront6targetE1EEEvT1_,"axG",@progbits,_ZN7rocprim17ROCPRIM_400000_NS6detail17trampoline_kernelINS0_14default_configENS1_27scan_by_key_config_selectorIxxEEZZNS1_16scan_by_key_implILNS1_25lookback_scan_determinismE0ELb0ES3_N6thrust23THRUST_200600_302600_NS6detail15normal_iteratorINS9_10device_ptrIxEEEESE_SE_xNS9_10multipliesIxEENS9_8equal_toIxEExEE10hipError_tPvRmT2_T3_T4_T5_mT6_T7_P12ihipStream_tbENKUlT_T0_E_clISt17integral_constantIbLb1EESZ_EEDaSU_SV_EUlSU_E_NS1_11comp_targetILNS1_3genE0ELNS1_11target_archE4294967295ELNS1_3gpuE0ELNS1_3repE0EEENS1_30default_config_static_selectorELNS0_4arch9wavefront6targetE1EEEvT1_,comdat
.Lfunc_end56:
	.size	_ZN7rocprim17ROCPRIM_400000_NS6detail17trampoline_kernelINS0_14default_configENS1_27scan_by_key_config_selectorIxxEEZZNS1_16scan_by_key_implILNS1_25lookback_scan_determinismE0ELb0ES3_N6thrust23THRUST_200600_302600_NS6detail15normal_iteratorINS9_10device_ptrIxEEEESE_SE_xNS9_10multipliesIxEENS9_8equal_toIxEExEE10hipError_tPvRmT2_T3_T4_T5_mT6_T7_P12ihipStream_tbENKUlT_T0_E_clISt17integral_constantIbLb1EESZ_EEDaSU_SV_EUlSU_E_NS1_11comp_targetILNS1_3genE0ELNS1_11target_archE4294967295ELNS1_3gpuE0ELNS1_3repE0EEENS1_30default_config_static_selectorELNS0_4arch9wavefront6targetE1EEEvT1_, .Lfunc_end56-_ZN7rocprim17ROCPRIM_400000_NS6detail17trampoline_kernelINS0_14default_configENS1_27scan_by_key_config_selectorIxxEEZZNS1_16scan_by_key_implILNS1_25lookback_scan_determinismE0ELb0ES3_N6thrust23THRUST_200600_302600_NS6detail15normal_iteratorINS9_10device_ptrIxEEEESE_SE_xNS9_10multipliesIxEENS9_8equal_toIxEExEE10hipError_tPvRmT2_T3_T4_T5_mT6_T7_P12ihipStream_tbENKUlT_T0_E_clISt17integral_constantIbLb1EESZ_EEDaSU_SV_EUlSU_E_NS1_11comp_targetILNS1_3genE0ELNS1_11target_archE4294967295ELNS1_3gpuE0ELNS1_3repE0EEENS1_30default_config_static_selectorELNS0_4arch9wavefront6targetE1EEEvT1_
                                        ; -- End function
	.section	.AMDGPU.csdata,"",@progbits
; Kernel info:
; codeLenInByte = 0
; NumSgprs: 6
; NumVgprs: 0
; NumAgprs: 0
; TotalNumVgprs: 0
; ScratchSize: 0
; MemoryBound: 0
; FloatMode: 240
; IeeeMode: 1
; LDSByteSize: 0 bytes/workgroup (compile time only)
; SGPRBlocks: 0
; VGPRBlocks: 0
; NumSGPRsForWavesPerEU: 6
; NumVGPRsForWavesPerEU: 1
; AccumOffset: 4
; Occupancy: 8
; WaveLimiterHint : 0
; COMPUTE_PGM_RSRC2:SCRATCH_EN: 0
; COMPUTE_PGM_RSRC2:USER_SGPR: 2
; COMPUTE_PGM_RSRC2:TRAP_HANDLER: 0
; COMPUTE_PGM_RSRC2:TGID_X_EN: 1
; COMPUTE_PGM_RSRC2:TGID_Y_EN: 0
; COMPUTE_PGM_RSRC2:TGID_Z_EN: 0
; COMPUTE_PGM_RSRC2:TIDIG_COMP_CNT: 0
; COMPUTE_PGM_RSRC3_GFX90A:ACCUM_OFFSET: 0
; COMPUTE_PGM_RSRC3_GFX90A:TG_SPLIT: 0
	.section	.text._ZN7rocprim17ROCPRIM_400000_NS6detail17trampoline_kernelINS0_14default_configENS1_27scan_by_key_config_selectorIxxEEZZNS1_16scan_by_key_implILNS1_25lookback_scan_determinismE0ELb0ES3_N6thrust23THRUST_200600_302600_NS6detail15normal_iteratorINS9_10device_ptrIxEEEESE_SE_xNS9_10multipliesIxEENS9_8equal_toIxEExEE10hipError_tPvRmT2_T3_T4_T5_mT6_T7_P12ihipStream_tbENKUlT_T0_E_clISt17integral_constantIbLb1EESZ_EEDaSU_SV_EUlSU_E_NS1_11comp_targetILNS1_3genE10ELNS1_11target_archE1201ELNS1_3gpuE5ELNS1_3repE0EEENS1_30default_config_static_selectorELNS0_4arch9wavefront6targetE1EEEvT1_,"axG",@progbits,_ZN7rocprim17ROCPRIM_400000_NS6detail17trampoline_kernelINS0_14default_configENS1_27scan_by_key_config_selectorIxxEEZZNS1_16scan_by_key_implILNS1_25lookback_scan_determinismE0ELb0ES3_N6thrust23THRUST_200600_302600_NS6detail15normal_iteratorINS9_10device_ptrIxEEEESE_SE_xNS9_10multipliesIxEENS9_8equal_toIxEExEE10hipError_tPvRmT2_T3_T4_T5_mT6_T7_P12ihipStream_tbENKUlT_T0_E_clISt17integral_constantIbLb1EESZ_EEDaSU_SV_EUlSU_E_NS1_11comp_targetILNS1_3genE10ELNS1_11target_archE1201ELNS1_3gpuE5ELNS1_3repE0EEENS1_30default_config_static_selectorELNS0_4arch9wavefront6targetE1EEEvT1_,comdat
	.protected	_ZN7rocprim17ROCPRIM_400000_NS6detail17trampoline_kernelINS0_14default_configENS1_27scan_by_key_config_selectorIxxEEZZNS1_16scan_by_key_implILNS1_25lookback_scan_determinismE0ELb0ES3_N6thrust23THRUST_200600_302600_NS6detail15normal_iteratorINS9_10device_ptrIxEEEESE_SE_xNS9_10multipliesIxEENS9_8equal_toIxEExEE10hipError_tPvRmT2_T3_T4_T5_mT6_T7_P12ihipStream_tbENKUlT_T0_E_clISt17integral_constantIbLb1EESZ_EEDaSU_SV_EUlSU_E_NS1_11comp_targetILNS1_3genE10ELNS1_11target_archE1201ELNS1_3gpuE5ELNS1_3repE0EEENS1_30default_config_static_selectorELNS0_4arch9wavefront6targetE1EEEvT1_ ; -- Begin function _ZN7rocprim17ROCPRIM_400000_NS6detail17trampoline_kernelINS0_14default_configENS1_27scan_by_key_config_selectorIxxEEZZNS1_16scan_by_key_implILNS1_25lookback_scan_determinismE0ELb0ES3_N6thrust23THRUST_200600_302600_NS6detail15normal_iteratorINS9_10device_ptrIxEEEESE_SE_xNS9_10multipliesIxEENS9_8equal_toIxEExEE10hipError_tPvRmT2_T3_T4_T5_mT6_T7_P12ihipStream_tbENKUlT_T0_E_clISt17integral_constantIbLb1EESZ_EEDaSU_SV_EUlSU_E_NS1_11comp_targetILNS1_3genE10ELNS1_11target_archE1201ELNS1_3gpuE5ELNS1_3repE0EEENS1_30default_config_static_selectorELNS0_4arch9wavefront6targetE1EEEvT1_
	.globl	_ZN7rocprim17ROCPRIM_400000_NS6detail17trampoline_kernelINS0_14default_configENS1_27scan_by_key_config_selectorIxxEEZZNS1_16scan_by_key_implILNS1_25lookback_scan_determinismE0ELb0ES3_N6thrust23THRUST_200600_302600_NS6detail15normal_iteratorINS9_10device_ptrIxEEEESE_SE_xNS9_10multipliesIxEENS9_8equal_toIxEExEE10hipError_tPvRmT2_T3_T4_T5_mT6_T7_P12ihipStream_tbENKUlT_T0_E_clISt17integral_constantIbLb1EESZ_EEDaSU_SV_EUlSU_E_NS1_11comp_targetILNS1_3genE10ELNS1_11target_archE1201ELNS1_3gpuE5ELNS1_3repE0EEENS1_30default_config_static_selectorELNS0_4arch9wavefront6targetE1EEEvT1_
	.p2align	8
	.type	_ZN7rocprim17ROCPRIM_400000_NS6detail17trampoline_kernelINS0_14default_configENS1_27scan_by_key_config_selectorIxxEEZZNS1_16scan_by_key_implILNS1_25lookback_scan_determinismE0ELb0ES3_N6thrust23THRUST_200600_302600_NS6detail15normal_iteratorINS9_10device_ptrIxEEEESE_SE_xNS9_10multipliesIxEENS9_8equal_toIxEExEE10hipError_tPvRmT2_T3_T4_T5_mT6_T7_P12ihipStream_tbENKUlT_T0_E_clISt17integral_constantIbLb1EESZ_EEDaSU_SV_EUlSU_E_NS1_11comp_targetILNS1_3genE10ELNS1_11target_archE1201ELNS1_3gpuE5ELNS1_3repE0EEENS1_30default_config_static_selectorELNS0_4arch9wavefront6targetE1EEEvT1_,@function
_ZN7rocprim17ROCPRIM_400000_NS6detail17trampoline_kernelINS0_14default_configENS1_27scan_by_key_config_selectorIxxEEZZNS1_16scan_by_key_implILNS1_25lookback_scan_determinismE0ELb0ES3_N6thrust23THRUST_200600_302600_NS6detail15normal_iteratorINS9_10device_ptrIxEEEESE_SE_xNS9_10multipliesIxEENS9_8equal_toIxEExEE10hipError_tPvRmT2_T3_T4_T5_mT6_T7_P12ihipStream_tbENKUlT_T0_E_clISt17integral_constantIbLb1EESZ_EEDaSU_SV_EUlSU_E_NS1_11comp_targetILNS1_3genE10ELNS1_11target_archE1201ELNS1_3gpuE5ELNS1_3repE0EEENS1_30default_config_static_selectorELNS0_4arch9wavefront6targetE1EEEvT1_: ; @_ZN7rocprim17ROCPRIM_400000_NS6detail17trampoline_kernelINS0_14default_configENS1_27scan_by_key_config_selectorIxxEEZZNS1_16scan_by_key_implILNS1_25lookback_scan_determinismE0ELb0ES3_N6thrust23THRUST_200600_302600_NS6detail15normal_iteratorINS9_10device_ptrIxEEEESE_SE_xNS9_10multipliesIxEENS9_8equal_toIxEExEE10hipError_tPvRmT2_T3_T4_T5_mT6_T7_P12ihipStream_tbENKUlT_T0_E_clISt17integral_constantIbLb1EESZ_EEDaSU_SV_EUlSU_E_NS1_11comp_targetILNS1_3genE10ELNS1_11target_archE1201ELNS1_3gpuE5ELNS1_3repE0EEENS1_30default_config_static_selectorELNS0_4arch9wavefront6targetE1EEEvT1_
; %bb.0:
	.section	.rodata,"a",@progbits
	.p2align	6, 0x0
	.amdhsa_kernel _ZN7rocprim17ROCPRIM_400000_NS6detail17trampoline_kernelINS0_14default_configENS1_27scan_by_key_config_selectorIxxEEZZNS1_16scan_by_key_implILNS1_25lookback_scan_determinismE0ELb0ES3_N6thrust23THRUST_200600_302600_NS6detail15normal_iteratorINS9_10device_ptrIxEEEESE_SE_xNS9_10multipliesIxEENS9_8equal_toIxEExEE10hipError_tPvRmT2_T3_T4_T5_mT6_T7_P12ihipStream_tbENKUlT_T0_E_clISt17integral_constantIbLb1EESZ_EEDaSU_SV_EUlSU_E_NS1_11comp_targetILNS1_3genE10ELNS1_11target_archE1201ELNS1_3gpuE5ELNS1_3repE0EEENS1_30default_config_static_selectorELNS0_4arch9wavefront6targetE1EEEvT1_
		.amdhsa_group_segment_fixed_size 0
		.amdhsa_private_segment_fixed_size 0
		.amdhsa_kernarg_size 136
		.amdhsa_user_sgpr_count 2
		.amdhsa_user_sgpr_dispatch_ptr 0
		.amdhsa_user_sgpr_queue_ptr 0
		.amdhsa_user_sgpr_kernarg_segment_ptr 1
		.amdhsa_user_sgpr_dispatch_id 0
		.amdhsa_user_sgpr_kernarg_preload_length 0
		.amdhsa_user_sgpr_kernarg_preload_offset 0
		.amdhsa_user_sgpr_private_segment_size 0
		.amdhsa_uses_dynamic_stack 0
		.amdhsa_enable_private_segment 0
		.amdhsa_system_sgpr_workgroup_id_x 1
		.amdhsa_system_sgpr_workgroup_id_y 0
		.amdhsa_system_sgpr_workgroup_id_z 0
		.amdhsa_system_sgpr_workgroup_info 0
		.amdhsa_system_vgpr_workitem_id 0
		.amdhsa_next_free_vgpr 1
		.amdhsa_next_free_sgpr 0
		.amdhsa_accum_offset 4
		.amdhsa_reserve_vcc 0
		.amdhsa_float_round_mode_32 0
		.amdhsa_float_round_mode_16_64 0
		.amdhsa_float_denorm_mode_32 3
		.amdhsa_float_denorm_mode_16_64 3
		.amdhsa_dx10_clamp 1
		.amdhsa_ieee_mode 1
		.amdhsa_fp16_overflow 0
		.amdhsa_tg_split 0
		.amdhsa_exception_fp_ieee_invalid_op 0
		.amdhsa_exception_fp_denorm_src 0
		.amdhsa_exception_fp_ieee_div_zero 0
		.amdhsa_exception_fp_ieee_overflow 0
		.amdhsa_exception_fp_ieee_underflow 0
		.amdhsa_exception_fp_ieee_inexact 0
		.amdhsa_exception_int_div_zero 0
	.end_amdhsa_kernel
	.section	.text._ZN7rocprim17ROCPRIM_400000_NS6detail17trampoline_kernelINS0_14default_configENS1_27scan_by_key_config_selectorIxxEEZZNS1_16scan_by_key_implILNS1_25lookback_scan_determinismE0ELb0ES3_N6thrust23THRUST_200600_302600_NS6detail15normal_iteratorINS9_10device_ptrIxEEEESE_SE_xNS9_10multipliesIxEENS9_8equal_toIxEExEE10hipError_tPvRmT2_T3_T4_T5_mT6_T7_P12ihipStream_tbENKUlT_T0_E_clISt17integral_constantIbLb1EESZ_EEDaSU_SV_EUlSU_E_NS1_11comp_targetILNS1_3genE10ELNS1_11target_archE1201ELNS1_3gpuE5ELNS1_3repE0EEENS1_30default_config_static_selectorELNS0_4arch9wavefront6targetE1EEEvT1_,"axG",@progbits,_ZN7rocprim17ROCPRIM_400000_NS6detail17trampoline_kernelINS0_14default_configENS1_27scan_by_key_config_selectorIxxEEZZNS1_16scan_by_key_implILNS1_25lookback_scan_determinismE0ELb0ES3_N6thrust23THRUST_200600_302600_NS6detail15normal_iteratorINS9_10device_ptrIxEEEESE_SE_xNS9_10multipliesIxEENS9_8equal_toIxEExEE10hipError_tPvRmT2_T3_T4_T5_mT6_T7_P12ihipStream_tbENKUlT_T0_E_clISt17integral_constantIbLb1EESZ_EEDaSU_SV_EUlSU_E_NS1_11comp_targetILNS1_3genE10ELNS1_11target_archE1201ELNS1_3gpuE5ELNS1_3repE0EEENS1_30default_config_static_selectorELNS0_4arch9wavefront6targetE1EEEvT1_,comdat
.Lfunc_end57:
	.size	_ZN7rocprim17ROCPRIM_400000_NS6detail17trampoline_kernelINS0_14default_configENS1_27scan_by_key_config_selectorIxxEEZZNS1_16scan_by_key_implILNS1_25lookback_scan_determinismE0ELb0ES3_N6thrust23THRUST_200600_302600_NS6detail15normal_iteratorINS9_10device_ptrIxEEEESE_SE_xNS9_10multipliesIxEENS9_8equal_toIxEExEE10hipError_tPvRmT2_T3_T4_T5_mT6_T7_P12ihipStream_tbENKUlT_T0_E_clISt17integral_constantIbLb1EESZ_EEDaSU_SV_EUlSU_E_NS1_11comp_targetILNS1_3genE10ELNS1_11target_archE1201ELNS1_3gpuE5ELNS1_3repE0EEENS1_30default_config_static_selectorELNS0_4arch9wavefront6targetE1EEEvT1_, .Lfunc_end57-_ZN7rocprim17ROCPRIM_400000_NS6detail17trampoline_kernelINS0_14default_configENS1_27scan_by_key_config_selectorIxxEEZZNS1_16scan_by_key_implILNS1_25lookback_scan_determinismE0ELb0ES3_N6thrust23THRUST_200600_302600_NS6detail15normal_iteratorINS9_10device_ptrIxEEEESE_SE_xNS9_10multipliesIxEENS9_8equal_toIxEExEE10hipError_tPvRmT2_T3_T4_T5_mT6_T7_P12ihipStream_tbENKUlT_T0_E_clISt17integral_constantIbLb1EESZ_EEDaSU_SV_EUlSU_E_NS1_11comp_targetILNS1_3genE10ELNS1_11target_archE1201ELNS1_3gpuE5ELNS1_3repE0EEENS1_30default_config_static_selectorELNS0_4arch9wavefront6targetE1EEEvT1_
                                        ; -- End function
	.section	.AMDGPU.csdata,"",@progbits
; Kernel info:
; codeLenInByte = 0
; NumSgprs: 6
; NumVgprs: 0
; NumAgprs: 0
; TotalNumVgprs: 0
; ScratchSize: 0
; MemoryBound: 0
; FloatMode: 240
; IeeeMode: 1
; LDSByteSize: 0 bytes/workgroup (compile time only)
; SGPRBlocks: 0
; VGPRBlocks: 0
; NumSGPRsForWavesPerEU: 6
; NumVGPRsForWavesPerEU: 1
; AccumOffset: 4
; Occupancy: 8
; WaveLimiterHint : 0
; COMPUTE_PGM_RSRC2:SCRATCH_EN: 0
; COMPUTE_PGM_RSRC2:USER_SGPR: 2
; COMPUTE_PGM_RSRC2:TRAP_HANDLER: 0
; COMPUTE_PGM_RSRC2:TGID_X_EN: 1
; COMPUTE_PGM_RSRC2:TGID_Y_EN: 0
; COMPUTE_PGM_RSRC2:TGID_Z_EN: 0
; COMPUTE_PGM_RSRC2:TIDIG_COMP_CNT: 0
; COMPUTE_PGM_RSRC3_GFX90A:ACCUM_OFFSET: 0
; COMPUTE_PGM_RSRC3_GFX90A:TG_SPLIT: 0
	.section	.text._ZN7rocprim17ROCPRIM_400000_NS6detail17trampoline_kernelINS0_14default_configENS1_27scan_by_key_config_selectorIxxEEZZNS1_16scan_by_key_implILNS1_25lookback_scan_determinismE0ELb0ES3_N6thrust23THRUST_200600_302600_NS6detail15normal_iteratorINS9_10device_ptrIxEEEESE_SE_xNS9_10multipliesIxEENS9_8equal_toIxEExEE10hipError_tPvRmT2_T3_T4_T5_mT6_T7_P12ihipStream_tbENKUlT_T0_E_clISt17integral_constantIbLb1EESZ_EEDaSU_SV_EUlSU_E_NS1_11comp_targetILNS1_3genE5ELNS1_11target_archE942ELNS1_3gpuE9ELNS1_3repE0EEENS1_30default_config_static_selectorELNS0_4arch9wavefront6targetE1EEEvT1_,"axG",@progbits,_ZN7rocprim17ROCPRIM_400000_NS6detail17trampoline_kernelINS0_14default_configENS1_27scan_by_key_config_selectorIxxEEZZNS1_16scan_by_key_implILNS1_25lookback_scan_determinismE0ELb0ES3_N6thrust23THRUST_200600_302600_NS6detail15normal_iteratorINS9_10device_ptrIxEEEESE_SE_xNS9_10multipliesIxEENS9_8equal_toIxEExEE10hipError_tPvRmT2_T3_T4_T5_mT6_T7_P12ihipStream_tbENKUlT_T0_E_clISt17integral_constantIbLb1EESZ_EEDaSU_SV_EUlSU_E_NS1_11comp_targetILNS1_3genE5ELNS1_11target_archE942ELNS1_3gpuE9ELNS1_3repE0EEENS1_30default_config_static_selectorELNS0_4arch9wavefront6targetE1EEEvT1_,comdat
	.protected	_ZN7rocprim17ROCPRIM_400000_NS6detail17trampoline_kernelINS0_14default_configENS1_27scan_by_key_config_selectorIxxEEZZNS1_16scan_by_key_implILNS1_25lookback_scan_determinismE0ELb0ES3_N6thrust23THRUST_200600_302600_NS6detail15normal_iteratorINS9_10device_ptrIxEEEESE_SE_xNS9_10multipliesIxEENS9_8equal_toIxEExEE10hipError_tPvRmT2_T3_T4_T5_mT6_T7_P12ihipStream_tbENKUlT_T0_E_clISt17integral_constantIbLb1EESZ_EEDaSU_SV_EUlSU_E_NS1_11comp_targetILNS1_3genE5ELNS1_11target_archE942ELNS1_3gpuE9ELNS1_3repE0EEENS1_30default_config_static_selectorELNS0_4arch9wavefront6targetE1EEEvT1_ ; -- Begin function _ZN7rocprim17ROCPRIM_400000_NS6detail17trampoline_kernelINS0_14default_configENS1_27scan_by_key_config_selectorIxxEEZZNS1_16scan_by_key_implILNS1_25lookback_scan_determinismE0ELb0ES3_N6thrust23THRUST_200600_302600_NS6detail15normal_iteratorINS9_10device_ptrIxEEEESE_SE_xNS9_10multipliesIxEENS9_8equal_toIxEExEE10hipError_tPvRmT2_T3_T4_T5_mT6_T7_P12ihipStream_tbENKUlT_T0_E_clISt17integral_constantIbLb1EESZ_EEDaSU_SV_EUlSU_E_NS1_11comp_targetILNS1_3genE5ELNS1_11target_archE942ELNS1_3gpuE9ELNS1_3repE0EEENS1_30default_config_static_selectorELNS0_4arch9wavefront6targetE1EEEvT1_
	.globl	_ZN7rocprim17ROCPRIM_400000_NS6detail17trampoline_kernelINS0_14default_configENS1_27scan_by_key_config_selectorIxxEEZZNS1_16scan_by_key_implILNS1_25lookback_scan_determinismE0ELb0ES3_N6thrust23THRUST_200600_302600_NS6detail15normal_iteratorINS9_10device_ptrIxEEEESE_SE_xNS9_10multipliesIxEENS9_8equal_toIxEExEE10hipError_tPvRmT2_T3_T4_T5_mT6_T7_P12ihipStream_tbENKUlT_T0_E_clISt17integral_constantIbLb1EESZ_EEDaSU_SV_EUlSU_E_NS1_11comp_targetILNS1_3genE5ELNS1_11target_archE942ELNS1_3gpuE9ELNS1_3repE0EEENS1_30default_config_static_selectorELNS0_4arch9wavefront6targetE1EEEvT1_
	.p2align	8
	.type	_ZN7rocprim17ROCPRIM_400000_NS6detail17trampoline_kernelINS0_14default_configENS1_27scan_by_key_config_selectorIxxEEZZNS1_16scan_by_key_implILNS1_25lookback_scan_determinismE0ELb0ES3_N6thrust23THRUST_200600_302600_NS6detail15normal_iteratorINS9_10device_ptrIxEEEESE_SE_xNS9_10multipliesIxEENS9_8equal_toIxEExEE10hipError_tPvRmT2_T3_T4_T5_mT6_T7_P12ihipStream_tbENKUlT_T0_E_clISt17integral_constantIbLb1EESZ_EEDaSU_SV_EUlSU_E_NS1_11comp_targetILNS1_3genE5ELNS1_11target_archE942ELNS1_3gpuE9ELNS1_3repE0EEENS1_30default_config_static_selectorELNS0_4arch9wavefront6targetE1EEEvT1_,@function
_ZN7rocprim17ROCPRIM_400000_NS6detail17trampoline_kernelINS0_14default_configENS1_27scan_by_key_config_selectorIxxEEZZNS1_16scan_by_key_implILNS1_25lookback_scan_determinismE0ELb0ES3_N6thrust23THRUST_200600_302600_NS6detail15normal_iteratorINS9_10device_ptrIxEEEESE_SE_xNS9_10multipliesIxEENS9_8equal_toIxEExEE10hipError_tPvRmT2_T3_T4_T5_mT6_T7_P12ihipStream_tbENKUlT_T0_E_clISt17integral_constantIbLb1EESZ_EEDaSU_SV_EUlSU_E_NS1_11comp_targetILNS1_3genE5ELNS1_11target_archE942ELNS1_3gpuE9ELNS1_3repE0EEENS1_30default_config_static_selectorELNS0_4arch9wavefront6targetE1EEEvT1_: ; @_ZN7rocprim17ROCPRIM_400000_NS6detail17trampoline_kernelINS0_14default_configENS1_27scan_by_key_config_selectorIxxEEZZNS1_16scan_by_key_implILNS1_25lookback_scan_determinismE0ELb0ES3_N6thrust23THRUST_200600_302600_NS6detail15normal_iteratorINS9_10device_ptrIxEEEESE_SE_xNS9_10multipliesIxEENS9_8equal_toIxEExEE10hipError_tPvRmT2_T3_T4_T5_mT6_T7_P12ihipStream_tbENKUlT_T0_E_clISt17integral_constantIbLb1EESZ_EEDaSU_SV_EUlSU_E_NS1_11comp_targetILNS1_3genE5ELNS1_11target_archE942ELNS1_3gpuE9ELNS1_3repE0EEENS1_30default_config_static_selectorELNS0_4arch9wavefront6targetE1EEEvT1_
; %bb.0:
	s_load_dwordx8 s[40:47], s[0:1], 0x30
	s_load_dwordx2 s[64:65], s[0:1], 0x50
	v_cmp_ne_u32_e64 s[4:5], 0, v0
	v_cmp_eq_u32_e64 s[36:37], 0, v0
	s_and_saveexec_b64 s[2:3], s[36:37]
	s_cbranch_execz .LBB58_4
; %bb.1:
	s_mov_b64 s[8:9], exec
	v_mbcnt_lo_u32_b32 v1, s8, 0
	v_mbcnt_hi_u32_b32 v1, s9, v1
	v_cmp_eq_u32_e32 vcc, 0, v1
                                        ; implicit-def: $vgpr2
	s_and_saveexec_b64 s[6:7], vcc
	s_cbranch_execz .LBB58_3
; %bb.2:
	s_load_dwordx2 s[10:11], s[0:1], 0x80
	s_bcnt1_i32_b64 s8, s[8:9]
	v_mov_b32_e32 v2, 0
	v_mov_b32_e32 v3, s8
	s_waitcnt lgkmcnt(0)
	global_atomic_add v2, v2, v3, s[10:11] sc0
.LBB58_3:
	s_or_b64 exec, exec, s[6:7]
	s_waitcnt vmcnt(0)
	v_readfirstlane_b32 s6, v2
	v_mov_b32_e32 v2, 0
	s_nop 0
	v_add_u32_e32 v1, s6, v1
	ds_write_b32 v2, v1
.LBB58_4:
	s_or_b64 exec, exec, s[2:3]
	s_load_dwordx8 s[48:55], s[0:1], 0x0
	s_load_dword s2, s[0:1], 0x58
	s_load_dwordx8 s[56:63], s[0:1], 0x60
	v_mov_b32_e32 v1, 0
	s_waitcnt lgkmcnt(0)
	s_barrier
	ds_read_b32 v1, v1
	s_lshl_b64 s[38:39], s[50:51], 3
	s_add_u32 s3, s48, s38
	s_addc_u32 s6, s49, s39
	s_add_u32 s7, s52, s38
	s_mul_i32 s0, s65, s2
	s_mul_hi_u32 s1, s64, s2
	s_addc_u32 s8, s53, s39
	s_add_i32 s9, s1, s0
	s_waitcnt lgkmcnt(0)
	v_readfirstlane_b32 s47, v1
	s_cmp_lg_u64 s[60:61], 0
	s_mov_b32 s1, 0
	s_mul_i32 s0, s47, 0xe00
	s_cselect_b64 s[60:61], -1, 0
	s_lshl_b64 s[48:49], s[0:1], 3
	s_add_u32 s52, s3, s48
	s_addc_u32 s53, s6, s49
	s_add_u32 s50, s7, s48
	s_mul_i32 s2, s64, s2
	s_addc_u32 s51, s8, s49
	s_add_u32 s66, s2, s47
	s_addc_u32 s67, s9, 0
	s_add_u32 s0, s56, -1
	s_addc_u32 s1, s57, -1
	v_mov_b64_e32 v[2:3], s[0:1]
	v_cmp_ge_u64_e64 s[2:3], s[66:67], v[2:3]
	s_mov_b64 s[10:11], 0
	s_mov_b64 s[6:7], -1
	s_and_b64 vcc, exec, s[2:3]
	s_mul_i32 s33, s0, 0xfffff200
	s_barrier
	s_barrier
	s_cbranch_vccz .LBB58_81
; %bb.5:
	v_mov_b64_e32 v[2:3], s[52:53]
	flat_load_dwordx2 v[4:5], v[2:3]
	s_add_i32 s69, s33, s46
	v_cmp_gt_u32_e64 s[6:7], s69, v0
	s_waitcnt vmcnt(0) lgkmcnt(0)
	v_mov_b64_e32 v[6:7], v[4:5]
	s_and_saveexec_b64 s[0:1], s[6:7]
	s_cbranch_execz .LBB58_7
; %bb.6:
	v_lshlrev_b32_e32 v2, 3, v0
	v_mov_b32_e32 v3, 0
	v_lshl_add_u64 v[2:3], s[52:53], 0, v[2:3]
	flat_load_dwordx2 v[6:7], v[2:3]
.LBB58_7:
	s_or_b64 exec, exec, s[0:1]
	v_or_b32_e32 v1, 0x100, v0
	v_cmp_gt_u32_e64 s[8:9], s69, v1
	v_mov_b64_e32 v[8:9], v[4:5]
	s_and_saveexec_b64 s[0:1], s[8:9]
	s_cbranch_execz .LBB58_9
; %bb.8:
	v_lshlrev_b32_e32 v2, 3, v0
	v_mov_b32_e32 v3, 0
	v_lshl_add_u64 v[2:3], s[52:53], 0, v[2:3]
	flat_load_dwordx2 v[8:9], v[2:3] offset:2048
.LBB58_9:
	s_or_b64 exec, exec, s[0:1]
	v_or_b32_e32 v1, 0x200, v0
	v_cmp_gt_u32_e64 s[10:11], s69, v1
	v_mov_b64_e32 v[10:11], v[4:5]
	s_and_saveexec_b64 s[0:1], s[10:11]
	s_cbranch_execz .LBB58_11
; %bb.10:
	v_lshlrev_b32_e32 v2, 3, v1
	v_mov_b32_e32 v3, 0
	v_lshl_add_u64 v[2:3], s[52:53], 0, v[2:3]
	flat_load_dwordx2 v[10:11], v[2:3]
.LBB58_11:
	s_or_b64 exec, exec, s[0:1]
	v_or_b32_e32 v32, 0x300, v0
	v_cmp_gt_u32_e64 s[12:13], s69, v32
	v_mov_b64_e32 v[12:13], v[4:5]
	s_and_saveexec_b64 s[0:1], s[12:13]
	s_cbranch_execz .LBB58_13
; %bb.12:
	v_lshlrev_b32_e32 v2, 3, v32
	v_mov_b32_e32 v3, 0
	v_lshl_add_u64 v[2:3], s[52:53], 0, v[2:3]
	flat_load_dwordx2 v[12:13], v[2:3]
.LBB58_13:
	;; [unrolled: 12-line block ×11, first 2 shown]
	s_or_b64 exec, exec, s[0:1]
	v_or_b32_e32 v43, 0xd00, v0
	v_cmp_gt_u32_e64 s[34:35], s69, v43
	s_and_saveexec_b64 s[0:1], s[34:35]
	s_cbranch_execz .LBB58_33
; %bb.32:
	v_lshlrev_b32_e32 v2, 3, v43
	v_mov_b32_e32 v3, 0
	v_lshl_add_u64 v[2:3], s[52:53], 0, v[2:3]
	flat_load_dwordx2 v[4:5], v[2:3]
.LBB58_33:
	s_or_b64 exec, exec, s[0:1]
	v_lshlrev_b32_e32 v2, 3, v0
	s_movk_i32 s0, 0x68
	v_mad_u32_u24 v36, v0, s0, v2
	s_waitcnt vmcnt(0) lgkmcnt(0)
	ds_write2st64_b64 v2, v[6:7], v[8:9] offset1:4
	ds_write2st64_b64 v2, v[10:11], v[12:13] offset0:8 offset1:12
	ds_write2st64_b64 v2, v[14:15], v[16:17] offset0:16 offset1:20
	;; [unrolled: 1-line block ×6, first 2 shown]
	s_waitcnt lgkmcnt(0)
	s_barrier
	ds_read_b128 v[74:77], v36
	ds_read_b128 v[70:73], v36 offset:16
	ds_read_b128 v[66:69], v36 offset:32
	;; [unrolled: 1-line block ×6, first 2 shown]
	s_cmp_eq_u64 s[66:67], 0
	s_mov_b64 s[0:1], s[52:53]
	s_cbranch_scc1 .LBB58_37
; %bb.34:
	s_andn2_b64 vcc, exec, s[60:61]
	s_cbranch_vccnz .LBB58_241
; %bb.35:
	s_lshl_b64 s[0:1], s[66:67], 3
	s_add_u32 s0, s62, s0
	s_addc_u32 s1, s63, s1
	s_add_u32 s0, s0, -8
	s_addc_u32 s1, s1, -1
	s_cbranch_execnz .LBB58_37
.LBB58_36:
	s_add_u32 s0, s52, -8
	s_addc_u32 s1, s53, -1
.LBB58_37:
	v_mov_b64_e32 v[4:5], s[0:1]
	flat_load_dwordx2 v[4:5], v[4:5]
	s_movk_i32 s0, 0xff98
	v_mad_i32_i24 v3, v0, s0, v36
	s_waitcnt lgkmcnt(0)
	ds_write_b64 v3, v[60:61] offset:28672
	s_waitcnt lgkmcnt(0)
	s_barrier
	s_and_saveexec_b64 s[0:1], s[4:5]
	s_cbranch_execz .LBB58_39
; %bb.38:
	v_mul_i32_i24_e32 v3, 0xffffff98, v0
	v_add_u32_e32 v3, v36, v3
	s_waitcnt vmcnt(0)
	ds_read_b64 v[4:5], v3 offset:28664
.LBB58_39:
	s_or_b64 exec, exec, s[0:1]
	v_mov_b32_e32 v3, 0
	s_waitcnt lgkmcnt(0)
	s_barrier
	s_waitcnt lgkmcnt(0)
                                        ; implicit-def: $vgpr6_vgpr7
	s_and_saveexec_b64 s[0:1], s[6:7]
	s_cbranch_execnz .LBB58_228
; %bb.40:
	s_or_b64 exec, exec, s[0:1]
                                        ; implicit-def: $vgpr8_vgpr9
	s_and_saveexec_b64 s[0:1], s[8:9]
	s_cbranch_execnz .LBB58_229
.LBB58_41:
	s_or_b64 exec, exec, s[0:1]
                                        ; implicit-def: $vgpr10_vgpr11
	s_and_saveexec_b64 s[0:1], s[10:11]
	s_cbranch_execnz .LBB58_230
.LBB58_42:
	s_or_b64 exec, exec, s[0:1]
                                        ; implicit-def: $vgpr12_vgpr13
	s_and_saveexec_b64 s[0:1], s[12:13]
	s_cbranch_execnz .LBB58_231
.LBB58_43:
	s_or_b64 exec, exec, s[0:1]
                                        ; implicit-def: $vgpr14_vgpr15
	s_and_saveexec_b64 s[0:1], s[14:15]
	s_cbranch_execnz .LBB58_232
.LBB58_44:
	s_or_b64 exec, exec, s[0:1]
                                        ; implicit-def: $vgpr16_vgpr17
	s_and_saveexec_b64 s[0:1], s[16:17]
	s_cbranch_execnz .LBB58_233
.LBB58_45:
	s_or_b64 exec, exec, s[0:1]
                                        ; implicit-def: $vgpr18_vgpr19
	s_and_saveexec_b64 s[0:1], s[18:19]
	s_cbranch_execnz .LBB58_234
.LBB58_46:
	s_or_b64 exec, exec, s[0:1]
                                        ; implicit-def: $vgpr20_vgpr21
	s_and_saveexec_b64 s[0:1], s[20:21]
	s_cbranch_execnz .LBB58_235
.LBB58_47:
	s_or_b64 exec, exec, s[0:1]
                                        ; implicit-def: $vgpr22_vgpr23
	s_and_saveexec_b64 s[0:1], s[22:23]
	s_cbranch_execnz .LBB58_236
.LBB58_48:
	s_or_b64 exec, exec, s[0:1]
                                        ; implicit-def: $vgpr24_vgpr25
	s_and_saveexec_b64 s[0:1], s[24:25]
	s_cbranch_execnz .LBB58_237
.LBB58_49:
	s_or_b64 exec, exec, s[0:1]
                                        ; implicit-def: $vgpr26_vgpr27
	s_and_saveexec_b64 s[0:1], s[26:27]
	s_cbranch_execnz .LBB58_238
.LBB58_50:
	s_or_b64 exec, exec, s[0:1]
                                        ; implicit-def: $vgpr28_vgpr29
	s_and_saveexec_b64 s[0:1], s[28:29]
	s_cbranch_execnz .LBB58_239
.LBB58_51:
	s_or_b64 exec, exec, s[0:1]
                                        ; implicit-def: $vgpr30_vgpr31
	s_and_saveexec_b64 s[0:1], s[30:31]
	s_cbranch_execnz .LBB58_240
.LBB58_52:
	s_or_b64 exec, exec, s[0:1]
                                        ; implicit-def: $vgpr32_vgpr33
	s_and_saveexec_b64 s[0:1], s[34:35]
	s_cbranch_execz .LBB58_54
.LBB58_53:
	v_lshlrev_b32_e32 v32, 3, v43
	v_mov_b32_e32 v33, 0
	v_lshl_add_u64 v[32:33], s[50:51], 0, v[32:33]
	flat_load_dwordx2 v[32:33], v[32:33]
.LBB58_54:
	s_or_b64 exec, exec, s[0:1]
	v_mul_u32_u24_e32 v37, 14, v0
	v_mov_b64_e32 v[78:79], 0
	s_waitcnt vmcnt(0) lgkmcnt(0)
	ds_write2st64_b64 v2, v[6:7], v[8:9] offset1:4
	ds_write2st64_b64 v2, v[10:11], v[12:13] offset0:8 offset1:12
	ds_write2st64_b64 v2, v[14:15], v[16:17] offset0:16 offset1:20
	;; [unrolled: 1-line block ×6, first 2 shown]
	v_cmp_gt_u32_e32 vcc, s69, v37
	s_mov_b64 s[10:11], 0
	s_mov_b64 s[6:7], 0
	s_mov_b32 s68, 0
	v_mov_b32_e32 v80, 0
	v_mov_b32_e32 v91, 0
	v_mov_b64_e32 v[46:47], v[78:79]
	v_mov_b32_e32 v90, 0
	v_mov_b64_e32 v[34:35], v[78:79]
	;; [unrolled: 2-line block ×12, first 2 shown]
	s_waitcnt lgkmcnt(0)
	s_barrier
	s_waitcnt lgkmcnt(0)
                                        ; implicit-def: $sgpr0_sgpr1
                                        ; implicit-def: $vgpr52_vgpr53
	s_and_saveexec_b64 s[8:9], vcc
	s_cbranch_execz .LBB58_80
; %bb.55:
	ds_read_b64 v[2:3], v36
	v_cmp_ne_u64_e32 vcc, v[4:5], v[74:75]
	v_or_b32_e32 v4, 1, v37
	v_mov_b64_e32 v[78:79], 0
	v_cndmask_b32_e64 v1, 0, 1, vcc
	v_cmp_gt_u32_e32 vcc, s69, v4
	s_mov_b64 s[12:13], 0
	s_mov_b64 s[0:1], 0
	v_mov_b32_e32 v80, 0
	v_mov_b32_e32 v91, 0
	v_mov_b64_e32 v[46:47], v[78:79]
	v_mov_b32_e32 v90, 0
	v_mov_b64_e32 v[34:35], v[78:79]
	;; [unrolled: 2-line block ×11, first 2 shown]
                                        ; implicit-def: $sgpr14_sgpr15
                                        ; implicit-def: $vgpr52_vgpr53
	s_and_saveexec_b64 s[10:11], vcc
	s_cbranch_execz .LBB58_79
; %bb.56:
	ds_read2_b64 v[14:17], v36 offset0:1 offset1:2
	v_cmp_ne_u64_e32 vcc, v[74:75], v[76:77]
	v_add_u32_e32 v4, 2, v37
	v_mov_b64_e32 v[78:79], 0
	v_cndmask_b32_e64 v82, 0, 1, vcc
	v_cmp_gt_u32_e32 vcc, s69, v4
	s_mov_b64 s[16:17], 0
	v_mov_b32_e32 v80, 0
	v_mov_b32_e32 v91, 0
	v_mov_b64_e32 v[46:47], v[78:79]
	v_mov_b32_e32 v90, 0
	v_mov_b64_e32 v[34:35], v[78:79]
	;; [unrolled: 2-line block ×10, first 2 shown]
                                        ; implicit-def: $sgpr14_sgpr15
                                        ; implicit-def: $vgpr52_vgpr53
	s_and_saveexec_b64 s[12:13], vcc
	s_cbranch_execz .LBB58_78
; %bb.57:
	v_cmp_ne_u64_e32 vcc, v[76:77], v[70:71]
	v_add_u32_e32 v4, 3, v37
	v_mov_b64_e32 v[78:79], 0
	s_waitcnt lgkmcnt(0)
	v_mov_b32_e32 v6, v16
	v_mov_b32_e32 v7, v17
	v_cndmask_b32_e64 v81, 0, 1, vcc
	v_cmp_gt_u32_e32 vcc, s69, v4
	v_mov_b32_e32 v80, 0
	v_mov_b32_e32 v91, 0
	v_mov_b64_e32 v[46:47], v[78:79]
	v_mov_b32_e32 v90, 0
	v_mov_b64_e32 v[34:35], v[78:79]
	;; [unrolled: 2-line block ×9, first 2 shown]
                                        ; implicit-def: $sgpr18_sgpr19
                                        ; implicit-def: $vgpr52_vgpr53
	s_and_saveexec_b64 s[14:15], vcc
	s_cbranch_execz .LBB58_77
; %bb.58:
	ds_read2_b64 v[22:25], v36 offset0:3 offset1:4
	v_cmp_ne_u64_e32 vcc, v[70:71], v[72:73]
	v_add_u32_e32 v4, 4, v37
	v_mov_b64_e32 v[78:79], 0
	v_cndmask_b32_e64 v83, 0, 1, vcc
	v_cmp_gt_u32_e32 vcc, s69, v4
	s_mov_b64 s[20:21], 0
	v_mov_b32_e32 v80, 0
	v_mov_b32_e32 v91, 0
	v_mov_b64_e32 v[46:47], v[78:79]
	v_mov_b32_e32 v90, 0
	v_mov_b64_e32 v[34:35], v[78:79]
	;; [unrolled: 2-line block ×8, first 2 shown]
                                        ; implicit-def: $sgpr18_sgpr19
                                        ; implicit-def: $vgpr52_vgpr53
	s_and_saveexec_b64 s[16:17], vcc
	s_cbranch_execz .LBB58_76
; %bb.59:
	v_cmp_ne_u64_e32 vcc, v[72:73], v[66:67]
	v_add_u32_e32 v4, 5, v37
	v_mov_b64_e32 v[78:79], 0
	s_waitcnt lgkmcnt(0)
	v_mov_b32_e32 v10, v24
	v_mov_b32_e32 v11, v25
	v_cndmask_b32_e64 v84, 0, 1, vcc
	v_cmp_gt_u32_e32 vcc, s69, v4
	v_mov_b32_e32 v80, 0
	v_mov_b32_e32 v91, 0
	v_mov_b64_e32 v[46:47], v[78:79]
	v_mov_b32_e32 v90, 0
	v_mov_b64_e32 v[34:35], v[78:79]
	;; [unrolled: 2-line block ×7, first 2 shown]
                                        ; implicit-def: $sgpr22_sgpr23
                                        ; implicit-def: $vgpr52_vgpr53
	s_and_saveexec_b64 s[18:19], vcc
	s_cbranch_execz .LBB58_75
; %bb.60:
	ds_read2_b64 v[30:33], v36 offset0:5 offset1:6
	v_cmp_ne_u64_e32 vcc, v[66:67], v[68:69]
	v_add_u32_e32 v4, 6, v37
	v_mov_b64_e32 v[78:79], 0
	v_cndmask_b32_e64 v85, 0, 1, vcc
	v_cmp_gt_u32_e32 vcc, s69, v4
	s_mov_b64 s[24:25], 0
	v_mov_b32_e32 v80, 0
	v_mov_b32_e32 v91, 0
	v_mov_b64_e32 v[46:47], v[78:79]
	v_mov_b32_e32 v90, 0
	v_mov_b64_e32 v[34:35], v[78:79]
	v_mov_b32_e32 v89, 0
	v_mov_b64_e32 v[42:43], v[78:79]
	v_mov_b32_e32 v88, 0
	v_mov_b64_e32 v[26:27], v[78:79]
	v_mov_b32_e32 v87, 0
	v_mov_b64_e32 v[38:39], v[78:79]
	v_mov_b32_e32 v86, 0
	v_mov_b64_e32 v[18:19], v[78:79]
                                        ; implicit-def: $sgpr22_sgpr23
                                        ; implicit-def: $vgpr52_vgpr53
	s_and_saveexec_b64 s[20:21], vcc
	s_cbranch_execz .LBB58_74
; %bb.61:
	v_cmp_ne_u64_e32 vcc, v[68:69], v[62:63]
	v_add_u32_e32 v4, 7, v37
	v_mov_b64_e32 v[78:79], 0
	s_waitcnt lgkmcnt(0)
	v_mov_b32_e32 v18, v32
	v_mov_b32_e32 v19, v33
	v_cndmask_b32_e64 v86, 0, 1, vcc
	v_cmp_gt_u32_e32 vcc, s69, v4
	v_mov_b32_e32 v80, 0
	v_mov_b32_e32 v91, 0
	v_mov_b64_e32 v[46:47], v[78:79]
	v_mov_b32_e32 v90, 0
	v_mov_b64_e32 v[34:35], v[78:79]
	;; [unrolled: 2-line block ×5, first 2 shown]
                                        ; implicit-def: $sgpr26_sgpr27
                                        ; implicit-def: $vgpr52_vgpr53
	s_and_saveexec_b64 s[22:23], vcc
	s_cbranch_execz .LBB58_73
; %bb.62:
	ds_read2_b64 v[38:41], v36 offset0:7 offset1:8
	v_cmp_ne_u64_e32 vcc, v[62:63], v[64:65]
	v_add_u32_e32 v4, 8, v37
	v_mov_b64_e32 v[78:79], 0
	v_cndmask_b32_e64 v87, 0, 1, vcc
	v_cmp_gt_u32_e32 vcc, s69, v4
	s_mov_b64 s[28:29], 0
	v_mov_b32_e32 v80, 0
	v_mov_b32_e32 v91, 0
	v_mov_b64_e32 v[46:47], v[78:79]
	v_mov_b32_e32 v90, 0
	v_mov_b64_e32 v[34:35], v[78:79]
	;; [unrolled: 2-line block ×4, first 2 shown]
                                        ; implicit-def: $sgpr26_sgpr27
                                        ; implicit-def: $vgpr52_vgpr53
	s_and_saveexec_b64 s[24:25], vcc
	s_cbranch_execz .LBB58_72
; %bb.63:
	v_cmp_ne_u64_e32 vcc, v[64:65], v[48:49]
	v_add_u32_e32 v4, 9, v37
	v_mov_b64_e32 v[78:79], 0
	s_waitcnt lgkmcnt(0)
	v_mov_b32_e32 v26, v40
	v_mov_b32_e32 v27, v41
	v_cndmask_b32_e64 v88, 0, 1, vcc
	v_cmp_gt_u32_e32 vcc, s69, v4
	v_mov_b32_e32 v80, 0
	v_mov_b32_e32 v91, 0
	v_mov_b64_e32 v[46:47], v[78:79]
	v_mov_b32_e32 v90, 0
	v_mov_b64_e32 v[34:35], v[78:79]
	;; [unrolled: 2-line block ×3, first 2 shown]
                                        ; implicit-def: $sgpr30_sgpr31
                                        ; implicit-def: $vgpr52_vgpr53
	s_and_saveexec_b64 s[26:27], vcc
	s_cbranch_execz .LBB58_71
; %bb.64:
	ds_read2_b64 v[42:45], v36 offset0:9 offset1:10
	v_cmp_ne_u64_e32 vcc, v[48:49], v[50:51]
	v_add_u32_e32 v4, 10, v37
	v_mov_b64_e32 v[78:79], 0
	v_cndmask_b32_e64 v89, 0, 1, vcc
	v_cmp_gt_u32_e32 vcc, s69, v4
	s_mov_b64 s[34:35], 0
	v_mov_b32_e32 v80, 0
	v_mov_b32_e32 v91, 0
	v_mov_b64_e32 v[46:47], v[78:79]
	v_mov_b32_e32 v90, 0
	v_mov_b64_e32 v[34:35], v[78:79]
                                        ; implicit-def: $sgpr30_sgpr31
                                        ; implicit-def: $vgpr52_vgpr53
	s_and_saveexec_b64 s[28:29], vcc
	s_cbranch_execz .LBB58_70
; %bb.65:
	v_cmp_ne_u64_e32 vcc, v[50:51], v[54:55]
	v_add_u32_e32 v4, 11, v37
	v_mov_b64_e32 v[78:79], 0
	s_waitcnt lgkmcnt(0)
	v_mov_b32_e32 v34, v44
	v_mov_b32_e32 v35, v45
	v_cndmask_b32_e64 v90, 0, 1, vcc
	v_cmp_gt_u32_e32 vcc, s69, v4
	v_mov_b32_e32 v80, 0
	v_mov_b32_e32 v91, 0
	v_mov_b64_e32 v[46:47], v[78:79]
                                        ; implicit-def: $sgpr56_sgpr57
                                        ; implicit-def: $vgpr52_vgpr53
	s_and_saveexec_b64 s[30:31], vcc
	s_cbranch_execz .LBB58_69
; %bb.66:
	ds_read2_b64 v[46:49], v36 offset0:11 offset1:12
	v_cmp_ne_u64_e32 vcc, v[54:55], v[56:57]
	v_add_u32_e32 v4, 12, v37
	v_mov_b32_e32 v80, 0
	v_cndmask_b32_e64 v91, 0, 1, vcc
	v_cmp_gt_u32_e32 vcc, s69, v4
	v_mov_b64_e32 v[78:79], 0
                                        ; implicit-def: $sgpr34_sgpr35
                                        ; implicit-def: $vgpr52_vgpr53
	s_and_saveexec_b64 s[56:57], vcc
	s_xor_b64 s[56:57], exec, s[56:57]
	s_cbranch_execz .LBB58_68
; %bb.67:
	ds_read_b64 v[52:53], v36 offset:104
	v_cmp_ne_u64_e64 s[0:1], v[56:57], v[58:59]
	v_add_u32_e32 v4, 13, v37
	v_cmp_ne_u64_e32 vcc, v[58:59], v[60:61]
	v_cndmask_b32_e64 v80, 0, 1, s[0:1]
	v_cmp_gt_u32_e64 s[0:1], s69, v4
	s_and_b64 s[34:35], vcc, exec
	s_and_b64 s[0:1], s[0:1], exec
	s_waitcnt lgkmcnt(1)
	v_mov_b64_e32 v[50:51], v[48:49]
	v_mov_b64_e32 v[78:79], v[48:49]
.LBB58_68:
	s_or_b64 exec, exec, s[56:57]
	s_and_b64 s[56:57], s[34:35], exec
	s_and_b64 s[34:35], s[0:1], exec
.LBB58_69:
	s_or_b64 exec, exec, s[30:31]
	s_and_b64 s[30:31], s[56:57], exec
	s_and_b64 s[0:1], s[34:35], exec
	s_waitcnt lgkmcnt(0)
	v_mov_b64_e32 v[36:37], v[46:47]
	v_mov_b64_e32 v[28:29], v[42:43]
	;; [unrolled: 1-line block ×6, first 2 shown]
.LBB58_70:
	s_or_b64 exec, exec, s[28:29]
	s_and_b64 s[30:31], s[30:31], exec
	s_and_b64 s[28:29], s[0:1], exec
.LBB58_71:
	s_or_b64 exec, exec, s[26:27]
	s_and_b64 s[26:27], s[30:31], exec
	s_and_b64 s[0:1], s[28:29], exec
.LBB58_72:
	s_or_b64 exec, exec, s[24:25]
	s_and_b64 s[26:27], s[26:27], exec
	s_and_b64 s[24:25], s[0:1], exec
.LBB58_73:
	s_or_b64 exec, exec, s[22:23]
	s_and_b64 s[22:23], s[26:27], exec
	s_and_b64 s[0:1], s[24:25], exec
.LBB58_74:
	s_or_b64 exec, exec, s[20:21]
	s_and_b64 s[22:23], s[22:23], exec
	s_and_b64 s[20:21], s[0:1], exec
.LBB58_75:
	s_or_b64 exec, exec, s[18:19]
	s_and_b64 s[18:19], s[22:23], exec
	s_and_b64 s[0:1], s[20:21], exec
.LBB58_76:
	s_or_b64 exec, exec, s[16:17]
	s_and_b64 s[18:19], s[18:19], exec
	s_and_b64 s[16:17], s[0:1], exec
.LBB58_77:
	s_or_b64 exec, exec, s[14:15]
	s_and_b64 s[14:15], s[18:19], exec
	s_and_b64 s[0:1], s[16:17], exec
.LBB58_78:
	s_or_b64 exec, exec, s[12:13]
	s_and_b64 s[14:15], s[14:15], exec
	s_and_b64 s[12:13], s[0:1], exec
.LBB58_79:
	s_or_b64 exec, exec, s[10:11]
	s_and_b64 s[0:1], s[14:15], exec
	s_and_b64 s[10:11], s[12:13], exec
.LBB58_80:
	s_or_b64 exec, exec, s[8:9]
	s_mov_b64 s[8:9], 0
	s_and_b64 vcc, exec, s[6:7]
	s_waitcnt lgkmcnt(0)
	v_lshlrev_b32_e32 v32, 3, v0
	s_cbranch_vccnz .LBB58_82
	s_branch .LBB58_90
.LBB58_81:
                                        ; implicit-def: $sgpr0_sgpr1
                                        ; implicit-def: $vgpr52_vgpr53
                                        ; implicit-def: $vgpr80
                                        ; implicit-def: $vgpr91
                                        ; implicit-def: $vgpr36_vgpr37
                                        ; implicit-def: $vgpr90
                                        ; implicit-def: $vgpr89
                                        ; implicit-def: $vgpr28_vgpr29
                                        ; implicit-def: $vgpr88
                                        ; implicit-def: $vgpr87
                                        ; implicit-def: $vgpr20_vgpr21
                                        ; implicit-def: $vgpr86
                                        ; implicit-def: $vgpr85
                                        ; implicit-def: $vgpr12_vgpr13
                                        ; implicit-def: $vgpr84
                                        ; implicit-def: $vgpr83
                                        ; implicit-def: $vgpr8_vgpr9
                                        ; implicit-def: $vgpr81
                                        ; implicit-def: $vgpr82
                                        ; implicit-def: $vgpr4_vgpr5
                                        ; implicit-def: $vgpr1
                                        ; implicit-def: $sgpr68
                                        ; implicit-def: $sgpr8_sgpr9
                                        ; implicit-def: $vgpr78_vgpr79
                                        ; implicit-def: $vgpr46_vgpr47
                                        ; implicit-def: $vgpr42_vgpr43
                                        ; implicit-def: $vgpr38_vgpr39
                                        ; implicit-def: $vgpr30_vgpr31
                                        ; implicit-def: $vgpr22_vgpr23
                                        ; implicit-def: $vgpr14_vgpr15
	s_and_b64 vcc, exec, s[6:7]
	v_lshlrev_b32_e32 v32, 3, v0
	s_cbranch_vccz .LBB58_90
.LBB58_82:
	v_mov_b32_e32 v33, 0
	v_lshl_add_u64 v[2:3], s[52:53], 0, v[32:33]
	v_add_co_u32_e32 v4, vcc, 0x1000, v2
	s_movk_i32 s0, 0x68
	s_nop 0
	v_addc_co_u32_e32 v5, vcc, 0, v3, vcc
	flat_load_dwordx2 v[6:7], v[2:3]
	flat_load_dwordx2 v[8:9], v[2:3] offset:2048
	flat_load_dwordx2 v[10:11], v[4:5]
	flat_load_dwordx2 v[12:13], v[4:5] offset:2048
	v_add_co_u32_e32 v4, vcc, 0x2000, v2
	v_mad_u32_u24 v1, v0, s0, v32
	s_nop 0
	v_addc_co_u32_e32 v5, vcc, 0, v3, vcc
	v_add_co_u32_e32 v14, vcc, 0x3000, v2
	s_cmp_eq_u64 s[66:67], 0
	s_nop 0
	v_addc_co_u32_e32 v15, vcc, 0, v3, vcc
	flat_load_dwordx2 v[16:17], v[4:5]
	flat_load_dwordx2 v[18:19], v[4:5] offset:2048
	flat_load_dwordx2 v[20:21], v[14:15]
	flat_load_dwordx2 v[22:23], v[14:15] offset:2048
	v_add_co_u32_e32 v4, vcc, 0x4000, v2
	s_nop 1
	v_addc_co_u32_e32 v5, vcc, 0, v3, vcc
	v_add_co_u32_e32 v14, vcc, 0x5000, v2
	s_nop 1
	v_addc_co_u32_e32 v15, vcc, 0, v3, vcc
	v_add_co_u32_e32 v2, vcc, 0x6000, v2
	flat_load_dwordx2 v[24:25], v[4:5]
	flat_load_dwordx2 v[26:27], v[4:5] offset:2048
	flat_load_dwordx2 v[28:29], v[14:15]
	flat_load_dwordx2 v[30:31], v[14:15] offset:2048
	v_addc_co_u32_e32 v3, vcc, 0, v3, vcc
	flat_load_dwordx2 v[4:5], v[2:3]
	flat_load_dwordx2 v[14:15], v[2:3] offset:2048
	s_waitcnt vmcnt(0) lgkmcnt(0)
	ds_write2st64_b64 v32, v[6:7], v[8:9] offset1:4
	ds_write2st64_b64 v32, v[10:11], v[12:13] offset0:8 offset1:12
	ds_write2st64_b64 v32, v[16:17], v[18:19] offset0:16 offset1:20
	;; [unrolled: 1-line block ×6, first 2 shown]
	s_waitcnt lgkmcnt(0)
	s_barrier
	ds_read_b128 v[14:17], v1
	ds_read_b128 v[2:5], v1 offset:16
	ds_read_b128 v[6:9], v1 offset:32
	;; [unrolled: 1-line block ×6, first 2 shown]
	s_cbranch_scc1 .LBB58_87
; %bb.83:
	s_andn2_b64 vcc, exec, s[60:61]
	s_cbranch_vccnz .LBB58_242
; %bb.84:
	s_lshl_b64 s[0:1], s[66:67], 3
	s_add_u32 s0, s62, s0
	s_addc_u32 s1, s63, s1
	s_add_u32 s0, s0, -8
	s_addc_u32 s1, s1, -1
	s_cbranch_execnz .LBB58_86
.LBB58_85:
	s_add_u32 s0, s52, -8
	s_addc_u32 s1, s53, -1
.LBB58_86:
	s_mov_b64 s[52:53], s[0:1]
.LBB58_87:
	v_mov_b64_e32 v[30:31], s[52:53]
	flat_load_dwordx2 v[30:31], v[30:31]
	s_movk_i32 s0, 0xff98
	v_mad_i32_i24 v33, v0, s0, v1
	s_waitcnt lgkmcnt(0)
	ds_write_b64 v33, v[28:29] offset:28672
	s_waitcnt lgkmcnt(0)
	s_barrier
	s_and_saveexec_b64 s[0:1], s[4:5]
	s_cbranch_execz .LBB58_89
; %bb.88:
	s_waitcnt vmcnt(0)
	v_mul_i32_i24_e32 v30, 0xffffff98, v0
	v_add_u32_e32 v30, v1, v30
	ds_read_b64 v[30:31], v30 offset:28664
.LBB58_89:
	s_or_b64 exec, exec, s[0:1]
	v_mov_b32_e32 v33, 0
	v_lshl_add_u64 v[34:35], s[50:51], 0, v[32:33]
	s_movk_i32 s0, 0x1000
	v_add_co_u32_e32 v36, vcc, s0, v34
	s_movk_i32 s0, 0x2000
	s_nop 0
	v_addc_co_u32_e32 v37, vcc, 0, v35, vcc
	s_waitcnt lgkmcnt(0)
	s_barrier
	flat_load_dwordx2 v[38:39], v[34:35]
	flat_load_dwordx2 v[40:41], v[34:35] offset:2048
	flat_load_dwordx2 v[42:43], v[36:37]
	flat_load_dwordx2 v[44:45], v[36:37] offset:2048
	v_add_co_u32_e32 v36, vcc, s0, v34
	s_movk_i32 s0, 0x3000
	s_nop 0
	v_addc_co_u32_e32 v37, vcc, 0, v35, vcc
	v_add_co_u32_e32 v46, vcc, s0, v34
	s_movk_i32 s0, 0x4000
	s_nop 0
	v_addc_co_u32_e32 v47, vcc, 0, v35, vcc
	flat_load_dwordx2 v[48:49], v[36:37]
	flat_load_dwordx2 v[50:51], v[36:37] offset:2048
	flat_load_dwordx2 v[52:53], v[46:47]
	flat_load_dwordx2 v[54:55], v[46:47] offset:2048
	v_add_co_u32_e32 v36, vcc, s0, v34
	s_movk_i32 s0, 0x5000
	s_nop 0
	v_addc_co_u32_e32 v37, vcc, 0, v35, vcc
	v_add_co_u32_e32 v46, vcc, s0, v34
	s_movk_i32 s0, 0x6000
	s_nop 0
	v_addc_co_u32_e32 v47, vcc, 0, v35, vcc
	v_add_co_u32_e32 v34, vcc, s0, v34
	flat_load_dwordx2 v[56:57], v[36:37]
	flat_load_dwordx2 v[58:59], v[36:37] offset:2048
	flat_load_dwordx2 v[60:61], v[46:47]
	flat_load_dwordx2 v[62:63], v[46:47] offset:2048
	v_addc_co_u32_e32 v35, vcc, 0, v35, vcc
	flat_load_dwordx2 v[36:37], v[34:35]
	flat_load_dwordx2 v[46:47], v[34:35] offset:2048
	v_cmp_ne_u64_e32 vcc, v[24:25], v[26:27]
	v_cmp_ne_u64_e64 s[0:1], v[26:27], v[28:29]
	s_mov_b64 s[10:11], -1
	v_cndmask_b32_e64 v80, 0, 1, vcc
	v_cmp_ne_u64_e32 vcc, v[22:23], v[24:25]
                                        ; implicit-def: $sgpr68
                                        ; implicit-def: $sgpr8_sgpr9
                                        ; implicit-def: $vgpr78_vgpr79
	s_waitcnt vmcnt(0) lgkmcnt(0)
	ds_write2st64_b64 v32, v[38:39], v[40:41] offset1:4
	ds_write2st64_b64 v32, v[42:43], v[44:45] offset0:8 offset1:12
	ds_write2st64_b64 v32, v[48:49], v[50:51] offset0:16 offset1:20
	ds_write2st64_b64 v32, v[52:53], v[54:55] offset0:24 offset1:28
	ds_write2st64_b64 v32, v[56:57], v[58:59] offset0:32 offset1:36
	ds_write2st64_b64 v32, v[60:61], v[62:63] offset0:40 offset1:44
	ds_write2st64_b64 v32, v[36:37], v[46:47] offset0:48 offset1:52
	v_cndmask_b32_e64 v91, 0, 1, vcc
	v_cmp_ne_u64_e32 vcc, v[20:21], v[22:23]
	s_waitcnt lgkmcnt(0)
	s_barrier
	v_cndmask_b32_e64 v90, 0, 1, vcc
	v_cmp_ne_u64_e32 vcc, v[18:19], v[20:21]
	s_waitcnt lgkmcnt(0)
                                        ; implicit-def: $vgpr46_vgpr47
                                        ; implicit-def: $vgpr42_vgpr43
                                        ; implicit-def: $vgpr38_vgpr39
                                        ; implicit-def: $vgpr22_vgpr23
	s_nop 0
	v_cndmask_b32_e64 v89, 0, 1, vcc
	v_cmp_ne_u64_e32 vcc, v[12:13], v[18:19]
	s_nop 1
	v_cndmask_b32_e64 v88, 0, 1, vcc
	v_cmp_ne_u64_e32 vcc, v[10:11], v[12:13]
	;; [unrolled: 3-line block ×7, first 2 shown]
	ds_read_b128 v[2:5], v1
	ds_read_b128 v[6:9], v1 offset:16
	ds_read_b128 v[10:13], v1 offset:32
	;; [unrolled: 1-line block ×6, first 2 shown]
	v_cndmask_b32_e64 v81, 0, 1, vcc
	v_cmp_ne_u64_e32 vcc, v[14:15], v[16:17]
	s_nop 1
	v_cndmask_b32_e64 v82, 0, 1, vcc
	v_cmp_ne_u64_e32 vcc, v[30:31], v[14:15]
                                        ; implicit-def: $vgpr30_vgpr31
                                        ; implicit-def: $vgpr14_vgpr15
	s_nop 1
	v_cndmask_b32_e64 v1, 0, 1, vcc
.LBB58_90:
	v_mov_b64_e32 v[16:17], s[8:9]
	v_mov_b32_e32 v33, s68
	s_and_saveexec_b64 s[6:7], s[10:11]
	s_cbranch_execz .LBB58_92
; %bb.91:
	v_cndmask_b32_e64 v33, 0, 1, s[0:1]
	s_waitcnt lgkmcnt(6)
	v_mov_b64_e32 v[14:15], v[4:5]
	s_waitcnt lgkmcnt(5)
	v_mov_b64_e32 v[22:23], v[8:9]
	;; [unrolled: 2-line block ×7, first 2 shown]
	v_mov_b64_e32 v[16:17], v[52:53]
.LBB58_92:
	s_or_b64 exec, exec, s[6:7]
	s_waitcnt lgkmcnt(6)
	v_or_b32_e32 v4, v33, v80
	s_cmp_lg_u32 s47, 0
	s_waitcnt lgkmcnt(1)
	v_or_b32_e32 v37, v4, v91
	v_mbcnt_lo_u32_b32 v36, -1, 0
	s_waitcnt lgkmcnt(0)
	s_barrier
	s_cbranch_scc0 .LBB58_165
; %bb.93:
	v_mov_b32_e32 v8, 0
	v_cmp_eq_u16_sdwa s[30:31], v82, v8 src0_sel:BYTE_0 src1_sel:DWORD
	v_cmp_eq_u16_sdwa s[28:29], v81, v8 src0_sel:BYTE_0 src1_sel:DWORD
	v_cmp_eq_u16_sdwa s[26:27], v83, v8 src0_sel:BYTE_0 src1_sel:DWORD
	v_cndmask_b32_e64 v4, 1, v2, s[30:31]
	v_cndmask_b32_e64 v5, 0, v3, s[30:31]
	v_mul_lo_u32 v9, v5, v14
	v_mul_lo_u32 v13, v4, v15
	v_mad_u64_u32 v[4:5], s[0:1], v4, v14, 0
	v_add3_u32 v5, v5, v13, v9
	v_cndmask_b32_e64 v5, 0, v5, s[28:29]
	v_cndmask_b32_e64 v4, 1, v4, s[28:29]
	v_mul_lo_u32 v9, v5, v6
	v_mul_lo_u32 v13, v4, v7
	v_mad_u64_u32 v[4:5], s[0:1], v4, v6, 0
	v_add3_u32 v5, v5, v13, v9
	v_cndmask_b32_e64 v5, 0, v5, s[26:27]
	v_cndmask_b32_e64 v4, 1, v4, s[26:27]
	v_mul_lo_u32 v9, v5, v22
	v_mul_lo_u32 v13, v4, v23
	v_mad_u64_u32 v[4:5], s[0:1], v4, v22, 0
	v_add3_u32 v5, v5, v13, v9
	v_cmp_eq_u16_sdwa s[24:25], v84, v8 src0_sel:BYTE_0 src1_sel:DWORD
	v_cmp_eq_u16_sdwa s[22:23], v85, v8 src0_sel:BYTE_0 src1_sel:DWORD
	v_cmp_eq_u16_sdwa s[20:21], v86, v8 src0_sel:BYTE_0 src1_sel:DWORD
	v_cndmask_b32_e64 v5, 0, v5, s[24:25]
	v_cndmask_b32_e64 v4, 1, v4, s[24:25]
	v_mul_lo_u32 v9, v5, v10
	v_mul_lo_u32 v13, v4, v11
	v_mad_u64_u32 v[4:5], s[0:1], v4, v10, 0
	v_add3_u32 v5, v5, v13, v9
	v_cndmask_b32_e64 v5, 0, v5, s[22:23]
	v_cndmask_b32_e64 v4, 1, v4, s[22:23]
	v_mul_lo_u32 v9, v5, v30
	v_mul_lo_u32 v13, v4, v31
	v_mad_u64_u32 v[4:5], s[0:1], v4, v30, 0
	v_add3_u32 v5, v5, v13, v9
	v_cndmask_b32_e64 v5, 0, v5, s[20:21]
	v_cndmask_b32_e64 v4, 1, v4, s[20:21]
	v_mul_lo_u32 v9, v5, v18
	v_mul_lo_u32 v13, v4, v19
	v_mad_u64_u32 v[4:5], s[0:1], v4, v18, 0
	v_add3_u32 v5, v5, v13, v9
	;; [unrolled: 21-line block ×3, first 2 shown]
	v_cmp_eq_u16_sdwa s[12:13], v90, v8 src0_sel:BYTE_0 src1_sel:DWORD
	v_cmp_eq_u16_sdwa s[10:11], v91, v8 src0_sel:BYTE_0 src1_sel:DWORD
	;; [unrolled: 1-line block ×3, first 2 shown]
	v_cndmask_b32_e64 v5, 0, v5, s[12:13]
	v_cndmask_b32_e64 v4, 1, v4, s[12:13]
	v_mul_lo_u32 v9, v5, v34
	v_mul_lo_u32 v13, v4, v35
	v_mad_u64_u32 v[4:5], s[0:1], v4, v34, 0
	v_add3_u32 v5, v5, v13, v9
	v_cndmask_b32_e64 v5, 0, v5, s[10:11]
	v_cndmask_b32_e64 v4, 1, v4, s[10:11]
	v_mul_lo_u32 v9, v5, v46
	v_mul_lo_u32 v13, v4, v47
	v_mad_u64_u32 v[4:5], s[0:1], v4, v46, 0
	v_add3_u32 v5, v5, v13, v9
	v_cndmask_b32_e64 v5, 0, v5, s[8:9]
	v_cndmask_b32_e64 v4, 1, v4, s[8:9]
	v_mul_lo_u32 v9, v5, v78
	v_mul_lo_u32 v13, v4, v79
	v_mad_u64_u32 v[4:5], s[0:1], v4, v78, 0
	v_cmp_eq_u16_sdwa s[6:7], v33, v8 src0_sel:BYTE_0 src1_sel:DWORD
	v_add3_u32 v5, v5, v13, v9
	v_and_b32_e32 v12, 0xff, v1
	v_cndmask_b32_e64 v4, 1, v4, s[6:7]
	v_mul_lo_u32 v13, v4, v17
	v_mad_u64_u32 v[8:9], s[0:1], v4, v16, 0
	v_or_b32_e32 v4, v37, v90
	v_or_b32_e32 v4, v4, v89
	;; [unrolled: 1-line block ×10, first 2 shown]
	v_cndmask_b32_e64 v5, 0, v5, s[6:7]
	v_and_b32_e32 v4, 1, v4
	v_mul_lo_u32 v5, v5, v16
	v_cmp_eq_u32_e32 vcc, 1, v4
	v_mbcnt_hi_u32_b32 v28, -1, v36
	v_add3_u32 v9, v9, v13, v5
	v_cndmask_b32_e64 v20, v12, 1, vcc
	v_and_b32_e32 v12, 15, v28
	v_mov_b32_dpp v21, v8 row_shr:1 row_mask:0xf bank_mask:0xf
	v_mov_b32_dpp v24, v9 row_shr:1 row_mask:0xf bank_mask:0xf
	;; [unrolled: 1-line block ×3, first 2 shown]
	v_cmp_ne_u32_e32 vcc, 0, v12
	v_mov_b32_e32 v5, v9
	v_mov_b32_e32 v4, v8
	s_and_saveexec_b64 s[0:1], vcc
; %bb.94:
	v_cmp_eq_u32_e32 vcc, 0, v20
	v_and_or_b32 v20, v13, 1, v20
	s_nop 0
	v_cndmask_b32_e32 v4, 1, v21, vcc
	v_cndmask_b32_e32 v21, 0, v24, vcc
	v_mul_lo_u32 v9, v4, v9
	v_mad_u64_u32 v[4:5], s[34:35], v4, v8, 0
	v_mul_lo_u32 v8, v21, v8
	v_add3_u32 v5, v5, v9, v8
	v_mov_b64_e32 v[8:9], v[4:5]
; %bb.95:
	s_or_b64 exec, exec, s[0:1]
	v_mov_b32_dpp v21, v4 row_shr:2 row_mask:0xf bank_mask:0xf
	v_mov_b32_dpp v24, v5 row_shr:2 row_mask:0xf bank_mask:0xf
	v_mov_b32_dpp v13, v20 row_shr:2 row_mask:0xf bank_mask:0xf
	v_cmp_lt_u32_e32 vcc, 1, v12
	s_and_saveexec_b64 s[0:1], vcc
; %bb.96:
	v_cmp_eq_u32_e32 vcc, 0, v20
	s_nop 1
	v_cndmask_b32_e32 v4, 1, v21, vcc
	v_cndmask_b32_e32 v21, 0, v24, vcc
	v_mul_lo_u32 v9, v4, v9
	v_mad_u64_u32 v[4:5], s[34:35], v4, v8, 0
	v_mul_lo_u32 v8, v21, v8
	v_add3_u32 v5, v5, v9, v8
	v_or_b32_e32 v8, v13, v20
	v_and_b32_e32 v20, 1, v8
	v_mov_b64_e32 v[8:9], v[4:5]
; %bb.97:
	s_or_b64 exec, exec, s[0:1]
	v_mov_b32_dpp v21, v4 row_shr:4 row_mask:0xf bank_mask:0xf
	v_mov_b32_dpp v24, v5 row_shr:4 row_mask:0xf bank_mask:0xf
	v_mov_b32_dpp v13, v20 row_shr:4 row_mask:0xf bank_mask:0xf
	v_cmp_lt_u32_e32 vcc, 3, v12
	s_and_saveexec_b64 s[0:1], vcc
; %bb.98:
	v_cmp_eq_u32_e32 vcc, 0, v20
	s_nop 1
	v_cndmask_b32_e32 v4, 1, v21, vcc
	v_cndmask_b32_e32 v21, 0, v24, vcc
	v_mul_lo_u32 v9, v4, v9
	v_mad_u64_u32 v[4:5], s[34:35], v4, v8, 0
	v_mul_lo_u32 v8, v21, v8
	v_add3_u32 v5, v5, v9, v8
	v_or_b32_e32 v8, v13, v20
	v_and_b32_e32 v20, 1, v8
	;; [unrolled: 19-line block ×3, first 2 shown]
	v_mov_b64_e32 v[8:9], v[4:5]
; %bb.101:
	s_or_b64 exec, exec, s[0:1]
	v_and_b32_e32 v24, 16, v28
	v_mov_b32_dpp v13, v4 row_bcast:15 row_mask:0xf bank_mask:0xf
	v_mov_b32_dpp v21, v5 row_bcast:15 row_mask:0xf bank_mask:0xf
	;; [unrolled: 1-line block ×3, first 2 shown]
	v_cmp_ne_u32_e32 vcc, 0, v24
	s_and_saveexec_b64 s[0:1], vcc
; %bb.102:
	v_cmp_eq_u32_e32 vcc, 0, v20
	s_nop 1
	v_cndmask_b32_e32 v4, 1, v13, vcc
	v_cndmask_b32_e32 v13, 0, v21, vcc
	v_mul_lo_u32 v9, v4, v9
	v_mad_u64_u32 v[4:5], s[34:35], v4, v8, 0
	v_mul_lo_u32 v8, v13, v8
	v_add3_u32 v5, v5, v9, v8
	v_or_b32_e32 v8, v12, v20
	v_and_b32_e32 v20, 1, v8
	v_mov_b64_e32 v[8:9], v[4:5]
; %bb.103:
	s_or_b64 exec, exec, s[0:1]
	v_mov_b32_dpp v12, v4 row_bcast:31 row_mask:0xf bank_mask:0xf
	v_mov_b32_dpp v13, v5 row_bcast:31 row_mask:0xf bank_mask:0xf
	;; [unrolled: 1-line block ×3, first 2 shown]
	v_cmp_lt_u32_e32 vcc, 31, v28
	v_mov_b32_e32 v4, v20
	s_and_saveexec_b64 s[0:1], vcc
; %bb.104:
	v_cmp_eq_u32_e32 vcc, 0, v20
	v_or_b32_e32 v5, v5, v20
	v_and_b32_e32 v20, 1, v5
	v_cndmask_b32_e32 v4, 1, v12, vcc
	v_cndmask_b32_e32 v21, 0, v13, vcc
	v_mul_lo_u32 v9, v4, v9
	v_mad_u64_u32 v[12:13], s[34:35], v4, v8, 0
	v_mul_lo_u32 v4, v21, v8
	v_add3_u32 v13, v13, v9, v4
	v_and_b32_e32 v4, 1, v5
	v_mov_b64_e32 v[8:9], v[12:13]
; %bb.105:
	s_or_b64 exec, exec, s[0:1]
	v_or_b32_e32 v5, 63, v0
	v_lshrrev_b32_e32 v21, 6, v0
	v_cmp_eq_u32_e32 vcc, v5, v0
	s_and_saveexec_b64 s[0:1], vcc
	s_cbranch_execz .LBB58_107
; %bb.106:
	v_lshlrev_b32_e32 v5, 4, v21
	ds_write_b64 v5, v[8:9]
	ds_write_b8 v5, v4 offset:8
.LBB58_107:
	s_or_b64 exec, exec, s[0:1]
	v_cmp_gt_u32_e32 vcc, 4, v0
	s_waitcnt lgkmcnt(0)
	s_barrier
	s_and_saveexec_b64 s[34:35], vcc
	s_cbranch_execz .LBB58_113
; %bb.108:
	v_lshlrev_b32_e32 v24, 4, v0
	ds_read_b64 v[4:5], v24
	ds_read_b32 v25, v24 offset:8
	v_and_b32_e32 v29, 3, v28
	v_cmp_ne_u32_e32 vcc, 0, v29
	s_waitcnt lgkmcnt(1)
	v_mov_b32_dpp v45, v4 row_shr:1 row_mask:0xf bank_mask:0xf
	v_mov_b32_dpp v48, v5 row_shr:1 row_mask:0xf bank_mask:0xf
	s_waitcnt lgkmcnt(0)
	v_mov_b32_dpp v44, v25 row_shr:1 row_mask:0xf bank_mask:0xf
	v_mov_b32_e32 v41, v25
	v_mov_b32_e32 v40, v25
	;; [unrolled: 1-line block ×4, first 2 shown]
	s_and_saveexec_b64 s[0:1], vcc
	s_cbranch_execz .LBB58_110
; %bb.109:
	v_mov_b32_e32 v12, 0
	v_cmp_eq_u16_sdwa vcc, v25, v12 src0_sel:BYTE_0 src1_sel:DWORD
	s_nop 1
	v_cndmask_b32_e32 v12, 1, v45, vcc
	v_cndmask_b32_e32 v40, 0, v48, vcc
	v_mul_lo_u32 v5, v12, v5
	v_mad_u64_u32 v[12:13], s[50:51], v12, v4, 0
	v_mul_lo_u32 v4, v40, v4
	v_add3_u32 v13, v13, v5, v4
	v_or_b32_e32 v4, v44, v25
	v_and_b32_e32 v40, 1, v4
	s_movk_i32 s50, 0xff00
	v_and_b32_e32 v41, 1, v4
	v_and_or_b32 v25, v25, s50, v40
	v_mov_b64_e32 v[4:5], v[12:13]
.LBB58_110:
	s_or_b64 exec, exec, s[0:1]
	v_mov_b32_dpp v44, v12 row_shr:2 row_mask:0xf bank_mask:0xf
	v_mov_b32_dpp v13, v13 row_shr:2 row_mask:0xf bank_mask:0xf
	;; [unrolled: 1-line block ×3, first 2 shown]
	v_cmp_lt_u32_e32 vcc, 1, v29
	s_and_saveexec_b64 s[50:51], vcc
	s_cbranch_execz .LBB58_112
; %bb.111:
	v_mov_b32_e32 v25, 0
	v_cmp_eq_u16_sdwa vcc, v40, v25 src0_sel:BYTE_0 src1_sel:DWORD
	s_nop 1
	v_cndmask_b32_e32 v25, 1, v44, vcc
	v_cndmask_b32_e32 v13, 0, v13, vcc
	v_mul_lo_u32 v5, v25, v5
	v_mad_u64_u32 v[44:45], s[0:1], v25, v4, 0
	v_mul_lo_u32 v4, v13, v4
	v_add3_u32 v45, v45, v5, v4
	v_and_b32_e32 v4, 1, v40
	v_cmp_eq_u32_e32 vcc, 1, v4
	v_and_b32_e32 v4, 1, v12
	v_cmp_eq_u32_e64 s[0:1], 1, v4
	s_or_b64 s[0:1], vcc, s[0:1]
	v_mov_b64_e32 v[4:5], v[44:45]
	v_cndmask_b32_e64 v41, 0, 1, s[0:1]
.LBB58_112:
	s_or_b64 exec, exec, s[50:51]
	ds_write_b64 v24, v[4:5]
	ds_write_b8 v24, v41 offset:8
.LBB58_113:
	s_or_b64 exec, exec, s[34:35]
	v_cmp_gt_u32_e32 vcc, 64, v0
	v_cmp_lt_u32_e64 s[0:1], 63, v0
	v_mov_b32_e32 v40, 0
	v_mov_b64_e32 v[4:5], 0
	s_waitcnt lgkmcnt(0)
	s_barrier
	s_and_saveexec_b64 s[34:35], s[0:1]
	s_cbranch_execz .LBB58_115
; %bb.114:
	v_lshl_add_u32 v12, v21, 4, -16
	ds_read_b64 v[4:5], v12
	ds_read_u8 v40, v12 offset:8
	v_cmp_eq_u32_e64 s[0:1], 0, v20
	s_waitcnt lgkmcnt(1)
	s_nop 0
	v_cndmask_b32_e64 v12, 1, v4, s[0:1]
	v_cndmask_b32_e64 v13, 0, v5, s[0:1]
	v_mul_lo_u32 v13, v13, v8
	v_mul_lo_u32 v21, v12, v9
	v_mad_u64_u32 v[8:9], s[0:1], v12, v8, 0
	v_and_b32_e32 v12, 1, v20
	v_cmp_eq_u32_e64 s[0:1], 1, v12
	v_add3_u32 v9, v9, v21, v13
	s_waitcnt lgkmcnt(0)
	v_cndmask_b32_e64 v20, v40, 1, s[0:1]
.LBB58_115:
	s_or_b64 exec, exec, s[34:35]
	v_add_u32_e32 v12, -1, v28
	v_and_b32_e32 v13, 64, v28
	v_cmp_lt_i32_e64 s[0:1], v12, v13
	v_cmp_eq_u32_e64 s[34:35], 0, v28
	s_nop 0
	v_cndmask_b32_e64 v12, v12, v28, s[0:1]
	v_lshlrev_b32_e32 v12, 2, v12
	ds_bpermute_b32 v41, v12, v8
	ds_bpermute_b32 v45, v12, v9
	;; [unrolled: 1-line block ×3, first 2 shown]
	s_and_saveexec_b64 s[50:51], vcc
	s_cbranch_execz .LBB58_162
; %bb.116:
	v_mov_b32_e32 v13, 0
	ds_read2_b64 v[48:51], v13 offset0:6 offset1:7
	s_and_saveexec_b64 s[0:1], s[34:35]
	s_cbranch_execz .LBB58_118
; %bb.117:
	s_add_i32 s52, s47, 64
	s_mov_b32 s53, 0
	s_lshl_b64 s[56:57], s[52:53], 4
	s_add_u32 s56, s40, s56
	s_addc_u32 s57, s41, s57
	v_mov_b32_e32 v8, s52
	v_mov_b32_e32 v9, 1
	s_waitcnt lgkmcnt(0)
	global_store_dword v13, v48, s[56:57] sc1
	global_store_dword v13, v49, s[56:57] offset:4 sc1
	global_store_dword v13, v50, s[56:57] offset:8 sc1
	;; [unrolled: 1-line block ×3, first 2 shown]
	s_waitcnt vmcnt(0)
	global_store_byte v8, v9, s[44:45] sc1
.LBB58_118:
	s_or_b64 exec, exec, s[0:1]
	v_xad_u32 v8, v28, -1, s47
	v_add_u32_e32 v12, 64, v8
	s_waitcnt lgkmcnt(0)
	global_load_ubyte v51, v12, s[44:45] sc1
	s_waitcnt vmcnt(0)
	v_cmp_eq_u16_e32 vcc, 0, v51
	s_and_saveexec_b64 s[0:1], vcc
	s_cbranch_execz .LBB58_124
; %bb.119:
	v_lshl_add_u64 v[20:21], s[44:45], 0, v[12:13]
	s_mov_b32 s56, 1
	s_mov_b64 s[52:53], 0
.LBB58_120:                             ; =>This Loop Header: Depth=1
                                        ;     Child Loop BB58_121 Depth 2
	s_max_u32 s57, s56, 1
.LBB58_121:                             ;   Parent Loop BB58_120 Depth=1
                                        ; =>  This Inner Loop Header: Depth=2
	s_add_i32 s57, s57, -1
	s_cmp_eq_u32 s57, 0
	s_sleep 1
	s_cbranch_scc0 .LBB58_121
; %bb.122:                              ;   in Loop: Header=BB58_120 Depth=1
	global_load_ubyte v51, v[20:21], off sc1
	s_cmp_lt_u32 s56, 32
	s_cselect_b64 s[60:61], -1, 0
	s_cmp_lg_u64 s[60:61], 0
	s_addc_u32 s56, s56, 0
	s_waitcnt vmcnt(0)
	v_cmp_ne_u16_e32 vcc, 0, v51
	s_or_b64 s[52:53], vcc, s[52:53]
	s_andn2_b64 exec, exec, s[52:53]
	s_cbranch_execnz .LBB58_120
; %bb.123:
	s_or_b64 exec, exec, s[52:53]
.LBB58_124:
	s_or_b64 exec, exec, s[0:1]
	v_mov_b32_e32 v9, s43
	v_mov_b32_e32 v20, s41
	v_cmp_eq_u16_e32 vcc, 1, v51
	s_waitcnt vmcnt(0)
	s_nop 0
	v_cndmask_b32_e32 v21, v9, v20, vcc
	v_mov_b32_e32 v9, s42
	v_mov_b32_e32 v20, s40
	v_cndmask_b32_e32 v20, v9, v20, vcc
	v_lshl_add_u64 v[12:13], v[12:13], 4, v[20:21]
	global_load_dword v20, v[12:13], off sc1
	global_load_dword v21, v[12:13], off offset:4 sc1
	global_load_dword v29, v[12:13], off offset:8 sc1
	;; [unrolled: 1-line block ×3, first 2 shown]
	v_cmp_eq_u16_e32 vcc, 2, v51
	v_lshlrev_b64 v[12:13], v28, -1
	v_and_b32_e32 v52, 63, v28
	s_waitcnt vmcnt(0)
	v_and_b32_e32 v9, vcc_hi, v13
	v_and_b32_e32 v24, vcc_lo, v12
	v_cmp_ne_u32_e32 vcc, 63, v52
	v_or_b32_e32 v9, 0x80000000, v9
	v_ffbl_b32_e32 v9, v9
	v_addc_co_u32_e32 v25, vcc, 0, v28, vcc
	v_lshlrev_b32_e32 v53, 2, v25
	v_add_u32_e32 v9, 32, v9
	v_ffbl_b32_e32 v24, v24
	v_min_u32_e32 v9, v24, v9
	v_cmp_lt_u32_e32 vcc, v52, v9
	ds_bpermute_b32 v55, v53, v20
	ds_bpermute_b32 v56, v53, v21
	v_and_b32_e32 v62, 0xff, v29
	ds_bpermute_b32 v54, v53, v62
	v_mov_b64_e32 v[24:25], v[20:21]
	s_and_saveexec_b64 s[0:1], vcc
	s_cbranch_execz .LBB58_126
; %bb.125:
	v_mov_b32_e32 v24, 0
	v_cmp_eq_u16_sdwa vcc, v29, v24 src0_sel:BYTE_0 src1_sel:DWORD
	s_waitcnt lgkmcnt(2)
	s_nop 0
	v_cndmask_b32_e32 v24, 1, v55, vcc
	s_waitcnt lgkmcnt(1)
	v_cndmask_b32_e32 v55, 0, v56, vcc
	v_mul_lo_u32 v21, v24, v21
	v_mad_u64_u32 v[24:25], s[52:53], v24, v20, 0
	v_mul_lo_u32 v20, v55, v20
	v_add3_u32 v25, v25, v21, v20
	s_waitcnt lgkmcnt(0)
	v_or_b32_e32 v20, v54, v29
	v_and_b32_e32 v29, 1, v20
	v_and_b32_e32 v62, 1, v20
	v_mov_b32_e32 v21, v25
	v_mov_b32_e32 v20, v24
.LBB58_126:
	s_or_b64 exec, exec, s[0:1]
	v_cmp_gt_u32_e32 vcc, 62, v52
	s_waitcnt lgkmcnt(2)
	v_add_u32_e32 v55, 2, v52
	s_waitcnt lgkmcnt(0)
	v_cndmask_b32_e64 v54, 0, 1, vcc
	v_lshlrev_b32_e32 v54, 1, v54
	v_add_lshl_u32 v54, v54, v28, 2
	ds_bpermute_b32 v57, v54, v20
	ds_bpermute_b32 v58, v54, v21
	ds_bpermute_b32 v56, v54, v62
	v_cmp_le_u32_e32 vcc, v55, v9
	s_and_saveexec_b64 s[52:53], vcc
	s_cbranch_execz .LBB58_128
; %bb.127:
	v_mov_b32_e32 v20, 0
	v_cmp_eq_u16_sdwa vcc, v29, v20 src0_sel:BYTE_0 src1_sel:DWORD
	s_waitcnt lgkmcnt(2)
	s_nop 0
	v_cndmask_b32_e32 v20, 1, v57, vcc
	s_waitcnt lgkmcnt(1)
	v_cndmask_b32_e32 v57, 0, v58, vcc
	v_mul_lo_u32 v25, v20, v25
	v_mad_u64_u32 v[20:21], s[0:1], v20, v24, 0
	v_mul_lo_u32 v24, v57, v24
	v_add3_u32 v21, v21, v25, v24
	v_and_b32_e32 v24, 1, v29
	v_cmp_eq_u32_e32 vcc, 1, v24
	s_waitcnt lgkmcnt(0)
	v_and_b32_e32 v24, 1, v56
	v_cmp_eq_u32_e64 s[0:1], 1, v24
	s_or_b64 s[0:1], vcc, s[0:1]
	v_mov_b64_e32 v[24:25], v[20:21]
	v_cndmask_b32_e64 v29, 0, 1, s[0:1]
	v_cndmask_b32_e64 v62, 0, 1, s[0:1]
.LBB58_128:
	s_or_b64 exec, exec, s[52:53]
	v_cmp_gt_u32_e32 vcc, 60, v52
	s_waitcnt lgkmcnt(2)
	v_add_u32_e32 v57, 4, v52
	s_waitcnt lgkmcnt(0)
	v_cndmask_b32_e64 v56, 0, 1, vcc
	v_lshlrev_b32_e32 v56, 2, v56
	v_add_lshl_u32 v56, v56, v28, 2
	ds_bpermute_b32 v59, v56, v20
	ds_bpermute_b32 v60, v56, v21
	ds_bpermute_b32 v58, v56, v62
	v_cmp_le_u32_e32 vcc, v57, v9
	s_and_saveexec_b64 s[52:53], vcc
	s_cbranch_execz .LBB58_130
; %bb.129:
	v_mov_b32_e32 v20, 0
	v_cmp_eq_u16_sdwa vcc, v29, v20 src0_sel:BYTE_0 src1_sel:DWORD
	s_waitcnt lgkmcnt(2)
	s_nop 0
	v_cndmask_b32_e32 v20, 1, v59, vcc
	s_waitcnt lgkmcnt(1)
	v_cndmask_b32_e32 v59, 0, v60, vcc
	v_mul_lo_u32 v25, v20, v25
	v_mad_u64_u32 v[20:21], s[0:1], v20, v24, 0
	v_mul_lo_u32 v24, v59, v24
	v_add3_u32 v21, v21, v25, v24
	v_and_b32_e32 v24, 1, v29
	v_cmp_eq_u32_e32 vcc, 1, v24
	s_waitcnt lgkmcnt(0)
	v_and_b32_e32 v24, 1, v58
	v_cmp_eq_u32_e64 s[0:1], 1, v24
	s_or_b64 s[0:1], vcc, s[0:1]
	v_mov_b64_e32 v[24:25], v[20:21]
	v_cndmask_b32_e64 v29, 0, 1, s[0:1]
	v_cndmask_b32_e64 v62, 0, 1, s[0:1]
.LBB58_130:
	;; [unrolled: 36-line block ×4, first 2 shown]
	s_or_b64 exec, exec, s[52:53]
	v_cmp_gt_u32_e32 vcc, 32, v52
	s_waitcnt lgkmcnt(2)
	v_add_u32_e32 v64, 32, v52
	s_waitcnt lgkmcnt(0)
	v_cndmask_b32_e64 v63, 0, 1, vcc
	v_lshlrev_b32_e32 v63, 5, v63
	v_add_lshl_u32 v63, v63, v28, 2
	ds_bpermute_b32 v28, v63, v20
	ds_bpermute_b32 v21, v63, v21
	;; [unrolled: 1-line block ×3, first 2 shown]
	v_cmp_le_u32_e32 vcc, v64, v9
	s_and_saveexec_b64 s[52:53], vcc
	s_cbranch_execz .LBB58_136
; %bb.135:
	v_mov_b32_e32 v9, 0
	v_cmp_eq_u16_sdwa vcc, v29, v9 src0_sel:BYTE_0 src1_sel:DWORD
	s_waitcnt lgkmcnt(2)
	s_nop 0
	v_cndmask_b32_e32 v9, 1, v28, vcc
	s_waitcnt lgkmcnt(1)
	v_cndmask_b32_e32 v21, 0, v21, vcc
	v_mul_lo_u32 v25, v9, v25
	v_mad_u64_u32 v[66:67], s[0:1], v9, v24, 0
	v_mul_lo_u32 v9, v21, v24
	v_add3_u32 v67, v67, v25, v9
	v_and_b32_e32 v9, 1, v29
	v_cmp_eq_u32_e32 vcc, 1, v9
	s_waitcnt lgkmcnt(0)
	v_and_b32_e32 v9, 1, v20
	v_cmp_eq_u32_e64 s[0:1], 1, v9
	s_or_b64 s[0:1], vcc, s[0:1]
	v_mov_b64_e32 v[24:25], v[66:67]
	v_cndmask_b32_e64 v29, 0, 1, s[0:1]
.LBB58_136:
	s_or_b64 exec, exec, s[52:53]
	v_mov_b32_e32 v9, 0
	v_mov_b32_e32 v65, 2
	s_branch .LBB58_138
.LBB58_137:                             ;   in Loop: Header=BB58_138 Depth=1
	s_or_b64 exec, exec, s[56:57]
	v_cmp_eq_u16_sdwa vcc, v62, v9 src0_sel:BYTE_0 src1_sel:DWORD
	v_subrev_u32_e32 v8, 64, v8
	s_waitcnt lgkmcnt(0)
	v_cndmask_b32_e32 v24, 1, v28, vcc
	v_cndmask_b32_e32 v25, 0, v29, vcc
	v_mul_lo_u32 v28, v25, v20
	v_mul_lo_u32 v29, v24, v21
	v_mad_u64_u32 v[24:25], s[0:1], v24, v20, 0
	v_add3_u32 v25, v25, v29, v28
	v_and_b32_e32 v28, 1, v62
	v_cmp_eq_u32_e32 vcc, 1, v28
	s_or_b64 s[0:1], vcc, s[52:53]
	v_cndmask_b32_e64 v29, 0, 1, s[0:1]
.LBB58_138:                             ; =>This Loop Header: Depth=1
                                        ;     Child Loop BB58_141 Depth 2
                                        ;       Child Loop BB58_142 Depth 3
	v_cmp_ne_u16_sdwa s[0:1], v51, v65 src0_sel:BYTE_0 src1_sel:DWORD
	v_mov_b32_e32 v62, v29
	s_waitcnt lgkmcnt(0)
	v_cndmask_b32_e64 v20, 0, 1, s[0:1]
	;;#ASMSTART
	;;#ASMEND
	s_nop 0
	v_cmp_ne_u32_e32 vcc, 0, v20
	s_cmp_lg_u64 vcc, exec
	v_mov_b64_e32 v[20:21], v[24:25]
	s_cbranch_scc1 .LBB58_157
; %bb.139:                              ;   in Loop: Header=BB58_138 Depth=1
	global_load_ubyte v51, v8, s[44:45] sc1
	s_waitcnt vmcnt(0)
	v_cmp_eq_u16_e32 vcc, 0, v51
	s_and_saveexec_b64 s[0:1], vcc
	s_cbranch_execz .LBB58_145
; %bb.140:                              ;   in Loop: Header=BB58_138 Depth=1
	v_lshl_add_u64 v[24:25], s[44:45], 0, v[8:9]
	s_mov_b32 s56, 1
	s_mov_b64 s[52:53], 0
.LBB58_141:                             ;   Parent Loop BB58_138 Depth=1
                                        ; =>  This Loop Header: Depth=2
                                        ;       Child Loop BB58_142 Depth 3
	s_max_u32 s57, s56, 1
.LBB58_142:                             ;   Parent Loop BB58_138 Depth=1
                                        ;     Parent Loop BB58_141 Depth=2
                                        ; =>    This Inner Loop Header: Depth=3
	s_add_i32 s57, s57, -1
	s_cmp_eq_u32 s57, 0
	s_sleep 1
	s_cbranch_scc0 .LBB58_142
; %bb.143:                              ;   in Loop: Header=BB58_141 Depth=2
	global_load_ubyte v51, v[24:25], off sc1
	s_cmp_lt_u32 s56, 32
	s_cselect_b64 s[60:61], -1, 0
	s_cmp_lg_u64 s[60:61], 0
	s_addc_u32 s56, s56, 0
	s_waitcnt vmcnt(0)
	v_cmp_ne_u16_e32 vcc, 0, v51
	s_or_b64 s[52:53], vcc, s[52:53]
	s_andn2_b64 exec, exec, s[52:53]
	s_cbranch_execnz .LBB58_141
; %bb.144:                              ;   in Loop: Header=BB58_138 Depth=1
	s_or_b64 exec, exec, s[52:53]
.LBB58_145:                             ;   in Loop: Header=BB58_138 Depth=1
	s_or_b64 exec, exec, s[0:1]
	v_mov_b32_e32 v24, s43
	v_mov_b32_e32 v25, s41
	v_cmp_eq_u16_e32 vcc, 1, v51
	v_mov_b32_e32 v28, s40
	s_waitcnt vmcnt(0)
	v_cndmask_b32_e32 v25, v24, v25, vcc
	v_mov_b32_e32 v24, s42
	v_cndmask_b32_e32 v24, v24, v28, vcc
	v_lshl_add_u64 v[28:29], v[8:9], 4, v[24:25]
	global_load_dword v24, v[28:29], off sc1
	global_load_dword v25, v[28:29], off offset:4 sc1
	global_load_dword v66, v[28:29], off offset:8 sc1
	s_nop 0
	global_load_dword v28, v[28:29], off offset:12 sc1
	v_cmp_eq_u16_e32 vcc, 2, v51
	s_waitcnt vmcnt(3)
	ds_bpermute_b32 v70, v53, v24
	s_waitcnt vmcnt(0)
	v_and_b32_e32 v28, vcc_hi, v13
	v_and_b32_e32 v68, 0xff, v66
	v_or_b32_e32 v28, 0x80000000, v28
	ds_bpermute_b32 v71, v53, v25
	ds_bpermute_b32 v69, v53, v68
	v_and_b32_e32 v29, vcc_lo, v12
	v_ffbl_b32_e32 v28, v28
	v_add_u32_e32 v28, 32, v28
	v_ffbl_b32_e32 v29, v29
	v_min_u32_e32 v67, v29, v28
	v_cmp_lt_u32_e32 vcc, v52, v67
	v_mov_b64_e32 v[28:29], v[24:25]
	s_and_saveexec_b64 s[0:1], vcc
	s_cbranch_execz .LBB58_147
; %bb.146:                              ;   in Loop: Header=BB58_138 Depth=1
	v_cmp_eq_u16_sdwa vcc, v66, v9 src0_sel:BYTE_0 src1_sel:DWORD
	s_waitcnt lgkmcnt(2)
	s_nop 0
	v_cndmask_b32_e32 v28, 1, v70, vcc
	s_waitcnt lgkmcnt(1)
	v_cndmask_b32_e32 v68, 0, v71, vcc
	v_mul_lo_u32 v25, v28, v25
	v_mad_u64_u32 v[28:29], s[52:53], v28, v24, 0
	v_mul_lo_u32 v24, v68, v24
	v_add3_u32 v29, v29, v25, v24
	s_waitcnt lgkmcnt(0)
	v_or_b32_e32 v24, v69, v66
	v_and_b32_e32 v66, 1, v24
	v_and_b32_e32 v68, 1, v24
	v_mov_b32_e32 v25, v29
	v_mov_b32_e32 v24, v28
.LBB58_147:                             ;   in Loop: Header=BB58_138 Depth=1
	s_or_b64 exec, exec, s[0:1]
	s_waitcnt lgkmcnt(2)
	ds_bpermute_b32 v70, v54, v24
	s_waitcnt lgkmcnt(2)
	ds_bpermute_b32 v71, v54, v25
	;; [unrolled: 2-line block ×3, first 2 shown]
	v_and_b32_e32 v72, 1, v66
	v_cmp_le_u32_e32 vcc, v55, v67
	v_cmp_eq_u32_e64 s[52:53], 1, v72
	s_and_saveexec_b64 s[0:1], vcc
	s_cbranch_execz .LBB58_149
; %bb.148:                              ;   in Loop: Header=BB58_138 Depth=1
	v_cmp_eq_u16_sdwa vcc, v66, v9 src0_sel:BYTE_0 src1_sel:DWORD
	s_waitcnt lgkmcnt(2)
	s_nop 0
	v_cndmask_b32_e32 v24, 1, v70, vcc
	s_waitcnt lgkmcnt(1)
	v_cndmask_b32_e32 v66, 0, v71, vcc
	v_mul_lo_u32 v29, v24, v29
	v_mad_u64_u32 v[24:25], s[56:57], v24, v28, 0
	v_mul_lo_u32 v28, v66, v28
	v_add3_u32 v25, v25, v29, v28
	s_waitcnt lgkmcnt(0)
	v_and_b32_e32 v28, 1, v69
	v_cmp_eq_u32_e32 vcc, 1, v28
	s_or_b64 s[56:57], s[52:53], vcc
	v_cndmask_b32_e64 v66, 0, 1, s[56:57]
	v_cndmask_b32_e64 v68, 0, 1, s[56:57]
	s_andn2_b64 s[52:53], s[52:53], exec
	s_and_b64 s[56:57], s[56:57], exec
	s_or_b64 s[52:53], s[52:53], s[56:57]
	v_mov_b64_e32 v[28:29], v[24:25]
.LBB58_149:                             ;   in Loop: Header=BB58_138 Depth=1
	s_or_b64 exec, exec, s[0:1]
	s_waitcnt lgkmcnt(2)
	ds_bpermute_b32 v70, v56, v24
	s_waitcnt lgkmcnt(2)
	ds_bpermute_b32 v71, v56, v25
	s_waitcnt lgkmcnt(2)
	ds_bpermute_b32 v69, v56, v68
	v_cmp_le_u32_e32 vcc, v57, v67
	s_and_saveexec_b64 s[56:57], vcc
	s_cbranch_execz .LBB58_151
; %bb.150:                              ;   in Loop: Header=BB58_138 Depth=1
	v_cmp_eq_u16_sdwa vcc, v66, v9 src0_sel:BYTE_0 src1_sel:DWORD
	s_andn2_b64 s[52:53], s[52:53], exec
	s_waitcnt lgkmcnt(2)
	v_cndmask_b32_e32 v24, 1, v70, vcc
	s_waitcnt lgkmcnt(1)
	v_cndmask_b32_e32 v68, 0, v71, vcc
	v_mul_lo_u32 v29, v24, v29
	v_mad_u64_u32 v[24:25], s[0:1], v24, v28, 0
	v_mul_lo_u32 v28, v68, v28
	v_add3_u32 v25, v25, v29, v28
	v_and_b32_e32 v28, 1, v66
	v_cmp_eq_u32_e32 vcc, 1, v28
	s_waitcnt lgkmcnt(0)
	v_and_b32_e32 v28, 1, v69
	v_cmp_eq_u32_e64 s[0:1], 1, v28
	s_or_b64 s[0:1], vcc, s[0:1]
	v_mov_b64_e32 v[28:29], v[24:25]
	v_cndmask_b32_e64 v66, 0, 1, s[0:1]
	v_cndmask_b32_e64 v68, 0, 1, s[0:1]
	s_and_b64 s[0:1], s[0:1], exec
	s_or_b64 s[52:53], s[52:53], s[0:1]
.LBB58_151:                             ;   in Loop: Header=BB58_138 Depth=1
	s_or_b64 exec, exec, s[56:57]
	s_waitcnt lgkmcnt(2)
	ds_bpermute_b32 v70, v58, v24
	s_waitcnt lgkmcnt(2)
	ds_bpermute_b32 v71, v58, v25
	s_waitcnt lgkmcnt(2)
	ds_bpermute_b32 v69, v58, v68
	v_cmp_le_u32_e32 vcc, v59, v67
	s_and_saveexec_b64 s[56:57], vcc
	s_cbranch_execz .LBB58_153
; %bb.152:                              ;   in Loop: Header=BB58_138 Depth=1
	v_cmp_eq_u16_sdwa vcc, v66, v9 src0_sel:BYTE_0 src1_sel:DWORD
	s_andn2_b64 s[52:53], s[52:53], exec
	s_waitcnt lgkmcnt(2)
	v_cndmask_b32_e32 v24, 1, v70, vcc
	s_waitcnt lgkmcnt(1)
	v_cndmask_b32_e32 v68, 0, v71, vcc
	v_mul_lo_u32 v29, v24, v29
	v_mad_u64_u32 v[24:25], s[0:1], v24, v28, 0
	v_mul_lo_u32 v28, v68, v28
	v_add3_u32 v25, v25, v29, v28
	v_and_b32_e32 v28, 1, v66
	v_cmp_eq_u32_e32 vcc, 1, v28
	s_waitcnt lgkmcnt(0)
	v_and_b32_e32 v28, 1, v69
	v_cmp_eq_u32_e64 s[0:1], 1, v28
	s_or_b64 s[0:1], vcc, s[0:1]
	v_mov_b64_e32 v[28:29], v[24:25]
	v_cndmask_b32_e64 v66, 0, 1, s[0:1]
	v_cndmask_b32_e64 v68, 0, 1, s[0:1]
	s_and_b64 s[0:1], s[0:1], exec
	s_or_b64 s[52:53], s[52:53], s[0:1]
.LBB58_153:                             ;   in Loop: Header=BB58_138 Depth=1
	;; [unrolled: 33-line block ×3, first 2 shown]
	s_or_b64 exec, exec, s[56:57]
	s_waitcnt lgkmcnt(0)
	ds_bpermute_b32 v69, v63, v24
	ds_bpermute_b32 v25, v63, v25
	;; [unrolled: 1-line block ×3, first 2 shown]
	v_cmp_le_u32_e32 vcc, v64, v67
	s_and_saveexec_b64 s[56:57], vcc
	s_cbranch_execz .LBB58_137
; %bb.156:                              ;   in Loop: Header=BB58_138 Depth=1
	v_cmp_eq_u16_sdwa vcc, v66, v9 src0_sel:BYTE_0 src1_sel:DWORD
	s_waitcnt lgkmcnt(0)
	v_and_b32_e32 v24, 1, v24
	s_andn2_b64 s[52:53], s[52:53], exec
	v_cndmask_b32_e32 v67, 1, v69, vcc
	v_cndmask_b32_e32 v25, 0, v25, vcc
	v_mul_lo_u32 v29, v67, v29
	v_mad_u64_u32 v[68:69], s[0:1], v67, v28, 0
	v_mul_lo_u32 v25, v25, v28
	v_add3_u32 v69, v69, v29, v25
	v_and_b32_e32 v25, 1, v66
	v_cmp_eq_u32_e32 vcc, 1, v25
	v_cmp_eq_u32_e64 s[0:1], 1, v24
	s_or_b64 s[0:1], vcc, s[0:1]
	s_and_b64 s[0:1], s[0:1], exec
	s_or_b64 s[52:53], s[52:53], s[0:1]
	v_mov_b64_e32 v[28:29], v[68:69]
	s_branch .LBB58_137
.LBB58_157:                             ;   in Loop: Header=BB58_138 Depth=1
                                        ; implicit-def: $vgpr29
                                        ; implicit-def: $vgpr24_vgpr25
                                        ; implicit-def: $vgpr51
	s_cbranch_execz .LBB58_138
; %bb.158:
	s_and_saveexec_b64 s[0:1], s[34:35]
	s_cbranch_execz .LBB58_160
; %bb.159:
	v_mov_b32_e32 v12, 0
	v_cmp_eq_u32_sdwa vcc, v50, v12 src0_sel:BYTE_0 src1_sel:DWORD
	s_mov_b32 s41, 0
	s_add_i32 s40, s47, 64
	v_cndmask_b32_e32 v8, 1, v20, vcc
	v_cndmask_b32_e32 v9, 0, v21, vcc
	v_mul_lo_u32 v13, v9, v48
	v_mul_lo_u32 v24, v8, v49
	v_mad_u64_u32 v[8:9], s[52:53], v8, v48, 0
	s_lshl_b64 s[52:53], s[40:41], 4
	v_add3_u32 v9, v9, v24, v13
	v_and_b32_e32 v13, 1, v50
	s_add_u32 s52, s42, s52
	v_and_b32_e32 v24, 1, v62
	v_cmp_eq_u32_e32 vcc, 1, v13
	s_addc_u32 s53, s43, s53
	s_nop 0
	v_cndmask_b32_e64 v13, v24, 1, vcc
	global_store_dword v12, v8, s[52:53] sc1
	global_store_dword v12, v9, s[52:53] offset:4 sc1
	global_store_dword v12, v13, s[52:53] offset:8 sc1
	global_store_dword v12, v12, s[52:53] offset:12 sc1
	v_mov_b32_e32 v8, s40
	v_mov_b32_e32 v9, 2
	s_waitcnt vmcnt(0)
	global_store_byte v8, v9, s[44:45] sc1
.LBB58_160:
	s_or_b64 exec, exec, s[0:1]
	s_and_b64 exec, exec, s[36:37]
	s_cbranch_execz .LBB58_162
; %bb.161:
	v_mov_b32_e32 v8, 0
	ds_write_b64 v8, v[20:21] offset:48
	ds_write_b8 v8, v62 offset:56
.LBB58_162:
	s_or_b64 exec, exec, s[50:51]
	v_mov_b32_e32 v20, 0
	s_waitcnt lgkmcnt(0)
	s_barrier
	ds_read_b64 v[8:9], v20 offset:48
	v_mov_b32_e32 v21, v1
	v_mov_b64_e32 v[12:13], v[2:3]
	s_and_saveexec_b64 s[40:41], s[4:5]
	s_cbranch_execz .LBB58_164
; %bb.163:
	v_cndmask_b32_e64 v12, v44, v40, s[34:35]
	v_and_b32_e32 v13, 1, v1
	v_and_b32_e32 v12, 1, v12
	v_cmp_eq_u32_e32 vcc, 1, v13
	v_cmp_eq_u32_e64 s[0:1], 1, v12
	v_cndmask_b32_e64 v5, v45, v5, s[34:35]
	v_cndmask_b32_e64 v4, v41, v4, s[34:35]
	s_or_b64 s[0:1], vcc, s[0:1]
	v_cmp_eq_u16_sdwa vcc, v1, v20 src0_sel:BYTE_0 src1_sel:DWORD
	v_cndmask_b32_e64 v21, 0, 1, s[0:1]
	s_nop 0
	v_cndmask_b32_e32 v4, 1, v4, vcc
	v_cndmask_b32_e32 v5, 0, v5, vcc
	v_mul_lo_u32 v5, v5, v2
	v_mul_lo_u32 v24, v4, v3
	v_mad_u64_u32 v[12:13], s[0:1], v4, v2, 0
	v_add3_u32 v13, v13, v24, v5
.LBB58_164:
	s_or_b64 exec, exec, s[40:41]
	v_cmp_eq_u16_sdwa vcc, v21, v20 src0_sel:BYTE_0 src1_sel:DWORD
	s_waitcnt lgkmcnt(0)
	s_nop 0
	v_cndmask_b32_e32 v4, 1, v8, vcc
	v_cndmask_b32_e32 v5, 0, v9, vcc
	v_mul_lo_u32 v5, v5, v12
	v_mul_lo_u32 v8, v4, v13
	v_mad_u64_u32 v[48:49], s[0:1], v4, v12, 0
	v_add3_u32 v49, v49, v8, v5
	v_cndmask_b32_e64 v4, 0, v49, s[30:31]
	v_cndmask_b32_e64 v5, 1, v48, s[30:31]
	v_mul_lo_u32 v4, v4, v14
	v_mul_lo_u32 v8, v5, v15
	v_mad_u64_u32 v[50:51], s[0:1], v5, v14, 0
	v_add3_u32 v51, v51, v8, v4
	v_cndmask_b32_e64 v4, 0, v51, s[28:29]
	v_cndmask_b32_e64 v5, 1, v50, s[28:29]
	;; [unrolled: 6-line block ×13, first 2 shown]
	v_mul_lo_u32 v4, v4, v16
	v_mul_lo_u32 v8, v5, v17
	v_mad_u64_u32 v[74:75], s[0:1], v5, v16, 0
	v_add3_u32 v75, v75, v8, v4
	s_branch .LBB58_195
.LBB58_165:
                                        ; implicit-def: $vgpr74_vgpr75
                                        ; implicit-def: $vgpr70_vgpr71
                                        ; implicit-def: $vgpr66_vgpr67
                                        ; implicit-def: $vgpr62_vgpr63
                                        ; implicit-def: $vgpr58_vgpr59
                                        ; implicit-def: $vgpr54_vgpr55
                                        ; implicit-def: $vgpr50_vgpr51
	s_cbranch_execz .LBB58_195
; %bb.166:
	s_cmp_lg_u64 s[64:65], 0
	s_cselect_b32 s7, s59, 0
	s_cselect_b32 s6, s58, 0
	s_cmp_lg_u64 s[6:7], 0
	s_cselect_b64 s[0:1], -1, 0
	s_and_b64 s[8:9], s[36:37], s[0:1]
	s_and_saveexec_b64 s[0:1], s[8:9]
	s_cbranch_execz .LBB58_168
; %bb.167:
	v_mov_b32_e32 v8, 0
	global_load_dwordx2 v[4:5], v8, s[6:7]
	global_load_ubyte v9, v8, s[6:7] offset:8
	v_cmp_eq_u16_sdwa vcc, v1, v8 src0_sel:BYTE_0 src1_sel:DWORD
	s_waitcnt vmcnt(0)
	v_or_b32_e32 v1, v1, v9
	v_cndmask_b32_e32 v4, 1, v4, vcc
	v_cndmask_b32_e32 v5, 0, v5, vcc
	v_mul_lo_u32 v5, v5, v2
	v_mul_lo_u32 v8, v4, v3
	v_mad_u64_u32 v[2:3], s[6:7], v4, v2, 0
	v_add3_u32 v3, v3, v8, v5
	v_and_b32_e32 v1, 1, v1
.LBB58_168:
	s_or_b64 exec, exec, s[0:1]
	v_mov_b32_e32 v5, 0
	v_cmp_eq_u16_sdwa s[28:29], v82, v5 src0_sel:BYTE_0 src1_sel:DWORD
	v_cmp_eq_u16_sdwa s[26:27], v81, v5 src0_sel:BYTE_0 src1_sel:DWORD
	v_cmp_eq_u16_sdwa s[24:25], v83, v5 src0_sel:BYTE_0 src1_sel:DWORD
	v_cndmask_b32_e64 v8, 1, v2, s[28:29]
	v_cndmask_b32_e64 v9, 0, v3, s[28:29]
	v_mul_lo_u32 v9, v9, v14
	v_mul_lo_u32 v12, v8, v15
	v_mad_u64_u32 v[50:51], s[0:1], v8, v14, 0
	v_add3_u32 v51, v51, v12, v9
	v_cndmask_b32_e64 v8, 0, v51, s[26:27]
	v_cndmask_b32_e64 v9, 1, v50, s[26:27]
	v_mul_lo_u32 v8, v8, v6
	v_mul_lo_u32 v12, v9, v7
	v_mad_u64_u32 v[52:53], s[0:1], v9, v6, 0
	v_add3_u32 v53, v53, v12, v8
	v_cndmask_b32_e64 v8, 0, v53, s[24:25]
	v_cndmask_b32_e64 v9, 1, v52, s[24:25]
	v_mul_lo_u32 v8, v8, v22
	v_mul_lo_u32 v12, v9, v23
	v_mad_u64_u32 v[54:55], s[0:1], v9, v22, 0
	v_add3_u32 v55, v55, v12, v8
	v_cmp_eq_u16_sdwa s[22:23], v84, v5 src0_sel:BYTE_0 src1_sel:DWORD
	v_cmp_eq_u16_sdwa s[20:21], v85, v5 src0_sel:BYTE_0 src1_sel:DWORD
	v_cmp_eq_u16_sdwa s[18:19], v86, v5 src0_sel:BYTE_0 src1_sel:DWORD
	v_cndmask_b32_e64 v8, 0, v55, s[22:23]
	v_cndmask_b32_e64 v9, 1, v54, s[22:23]
	v_mul_lo_u32 v8, v8, v10
	v_mul_lo_u32 v12, v9, v11
	v_mad_u64_u32 v[56:57], s[0:1], v9, v10, 0
	v_add3_u32 v57, v57, v12, v8
	v_cndmask_b32_e64 v8, 0, v57, s[20:21]
	v_cndmask_b32_e64 v9, 1, v56, s[20:21]
	v_mul_lo_u32 v8, v8, v30
	v_mul_lo_u32 v12, v9, v31
	v_mad_u64_u32 v[58:59], s[0:1], v9, v30, 0
	v_add3_u32 v59, v59, v12, v8
	v_cndmask_b32_e64 v8, 0, v59, s[18:19]
	v_cndmask_b32_e64 v9, 1, v58, s[18:19]
	v_mul_lo_u32 v8, v8, v18
	v_mul_lo_u32 v12, v9, v19
	v_mad_u64_u32 v[60:61], s[0:1], v9, v18, 0
	v_add3_u32 v61, v61, v12, v8
	;; [unrolled: 21-line block ×4, first 2 shown]
	v_cmp_eq_u16_sdwa vcc, v33, v5 src0_sel:BYTE_0 src1_sel:DWORD
	v_and_b32_e32 v4, 0xff, v1
	v_mbcnt_hi_u32_b32 v20, -1, v36
	v_cndmask_b32_e32 v5, 0, v73, vcc
	v_cndmask_b32_e32 v8, 1, v72, vcc
	v_mul_lo_u32 v5, v5, v16
	v_mul_lo_u32 v9, v8, v17
	v_mad_u64_u32 v[74:75], s[0:1], v8, v16, 0
	v_add3_u32 v75, v75, v9, v5
	v_or_b32_e32 v5, v37, v90
	v_or_b32_e32 v5, v5, v89
	v_or_b32_e32 v5, v5, v88
	v_or_b32_e32 v5, v5, v87
	v_or_b32_e32 v5, v5, v86
	v_or_b32_e32 v5, v5, v85
	v_or_b32_e32 v5, v5, v84
	v_or_b32_e32 v5, v5, v83
	v_or_b32_e32 v5, v5, v81
	v_or_b32_e32 v5, v5, v82
	v_and_b32_e32 v5, 1, v5
	v_cmp_eq_u32_e64 s[0:1], 1, v5
	v_and_b32_e32 v12, 15, v20
	v_mov_b32_dpp v24, v74 row_shr:1 row_mask:0xf bank_mask:0xf
	v_cndmask_b32_e64 v21, v4, 1, s[0:1]
	v_mov_b32_dpp v25, v75 row_shr:1 row_mask:0xf bank_mask:0xf
	v_cmp_ne_u32_e64 s[0:1], 0, v12
	v_mov_b32_dpp v13, v21 row_shr:1 row_mask:0xf bank_mask:0xf
	v_mov_b64_e32 v[4:5], v[74:75]
	v_mov_b32_e32 v9, v75
	v_mov_b32_e32 v8, v74
	s_and_saveexec_b64 s[30:31], s[0:1]
; %bb.169:
	v_cmp_eq_u32_e64 s[0:1], 0, v21
	v_and_or_b32 v21, v13, 1, v21
	s_nop 0
	v_cndmask_b32_e64 v4, 1, v24, s[0:1]
	v_cndmask_b32_e64 v8, 0, v25, s[0:1]
	v_mul_lo_u32 v9, v75, v4
	v_mad_u64_u32 v[4:5], s[0:1], v74, v4, 0
	v_mul_lo_u32 v8, v74, v8
	v_add3_u32 v5, v5, v8, v9
	v_mov_b32_e32 v9, v5
	v_mov_b32_e32 v8, v4
; %bb.170:
	s_or_b64 exec, exec, s[30:31]
	s_nop 0
	v_mov_b32_dpp v24, v8 row_shr:2 row_mask:0xf bank_mask:0xf
	v_mov_b32_dpp v25, v9 row_shr:2 row_mask:0xf bank_mask:0xf
	v_mov_b32_dpp v13, v21 row_shr:2 row_mask:0xf bank_mask:0xf
	v_cmp_lt_u32_e64 s[0:1], 1, v12
	s_and_saveexec_b64 s[30:31], s[0:1]
; %bb.171:
	v_cmp_eq_u32_e64 s[0:1], 0, v21
	s_nop 1
	v_cndmask_b32_e64 v8, 1, v24, s[0:1]
	v_cndmask_b32_e64 v24, 0, v25, s[0:1]
	v_mul_lo_u32 v5, v8, v5
	v_mad_u64_u32 v[8:9], s[0:1], v8, v4, 0
	v_mul_lo_u32 v4, v24, v4
	v_add3_u32 v9, v9, v5, v4
	v_or_b32_e32 v4, v13, v21
	v_and_b32_e32 v21, 1, v4
	v_mov_b64_e32 v[4:5], v[8:9]
; %bb.172:
	s_or_b64 exec, exec, s[30:31]
	v_mov_b32_dpp v24, v8 row_shr:4 row_mask:0xf bank_mask:0xf
	v_mov_b32_dpp v25, v9 row_shr:4 row_mask:0xf bank_mask:0xf
	v_mov_b32_dpp v13, v21 row_shr:4 row_mask:0xf bank_mask:0xf
	v_cmp_lt_u32_e64 s[0:1], 3, v12
	s_and_saveexec_b64 s[30:31], s[0:1]
; %bb.173:
	v_cmp_eq_u32_e64 s[0:1], 0, v21
	s_nop 1
	v_cndmask_b32_e64 v8, 1, v24, s[0:1]
	v_cndmask_b32_e64 v24, 0, v25, s[0:1]
	v_mul_lo_u32 v5, v8, v5
	v_mad_u64_u32 v[8:9], s[0:1], v8, v4, 0
	v_mul_lo_u32 v4, v24, v4
	v_add3_u32 v9, v9, v5, v4
	v_or_b32_e32 v4, v13, v21
	v_and_b32_e32 v21, 1, v4
	v_mov_b64_e32 v[4:5], v[8:9]
; %bb.174:
	s_or_b64 exec, exec, s[30:31]
	;; [unrolled: 19-line block ×3, first 2 shown]
	v_and_b32_e32 v25, 16, v20
	v_mov_b32_dpp v13, v8 row_bcast:15 row_mask:0xf bank_mask:0xf
	v_mov_b32_dpp v24, v9 row_bcast:15 row_mask:0xf bank_mask:0xf
	;; [unrolled: 1-line block ×3, first 2 shown]
	v_cmp_ne_u32_e64 s[0:1], 0, v25
	s_and_saveexec_b64 s[30:31], s[0:1]
; %bb.177:
	v_cmp_eq_u32_e64 s[0:1], 0, v21
	s_nop 1
	v_cndmask_b32_e64 v8, 1, v13, s[0:1]
	v_cndmask_b32_e64 v13, 0, v24, s[0:1]
	v_mul_lo_u32 v5, v8, v5
	v_mad_u64_u32 v[8:9], s[0:1], v8, v4, 0
	v_mul_lo_u32 v4, v13, v4
	v_add3_u32 v9, v9, v5, v4
	v_or_b32_e32 v4, v12, v21
	v_and_b32_e32 v21, 1, v4
	v_mov_b64_e32 v[4:5], v[8:9]
; %bb.178:
	s_or_b64 exec, exec, s[30:31]
	v_mov_b32_dpp v12, v8 row_bcast:31 row_mask:0xf bank_mask:0xf
	v_mov_b32_dpp v13, v9 row_bcast:31 row_mask:0xf bank_mask:0xf
	;; [unrolled: 1-line block ×3, first 2 shown]
	v_cmp_lt_u32_e64 s[0:1], 31, v20
	v_mov_b32_e32 v8, v21
	s_and_saveexec_b64 s[30:31], s[0:1]
; %bb.179:
	v_cmp_eq_u32_e64 s[0:1], 0, v21
	s_nop 1
	v_cndmask_b32_e64 v8, 1, v12, s[0:1]
	v_cndmask_b32_e64 v24, 0, v13, s[0:1]
	v_mul_lo_u32 v5, v8, v5
	v_mad_u64_u32 v[12:13], s[0:1], v8, v4, 0
	v_mul_lo_u32 v4, v24, v4
	v_add3_u32 v13, v13, v5, v4
	v_or_b32_e32 v4, v9, v21
	v_and_b32_e32 v8, 1, v4
	v_and_b32_e32 v21, 1, v4
	v_mov_b64_e32 v[4:5], v[12:13]
; %bb.180:
	s_or_b64 exec, exec, s[30:31]
	v_or_b32_e32 v9, 63, v0
	v_lshrrev_b32_e32 v24, 6, v0
	v_cmp_eq_u32_e64 s[0:1], v9, v0
	s_and_saveexec_b64 s[30:31], s[0:1]
	s_cbranch_execz .LBB58_182
; %bb.181:
	v_lshlrev_b32_e32 v9, 4, v24
	ds_write_b64 v9, v[4:5]
	ds_write_b8 v9, v8 offset:8
.LBB58_182:
	s_or_b64 exec, exec, s[30:31]
	v_cmp_gt_u32_e64 s[0:1], 4, v0
	s_waitcnt lgkmcnt(0)
	s_barrier
	s_and_saveexec_b64 s[34:35], s[0:1]
	s_cbranch_execz .LBB58_188
; %bb.183:
	v_lshlrev_b32_e32 v25, 4, v0
	ds_read_b64 v[8:9], v25
	ds_read_b32 v28, v25 offset:8
	v_and_b32_e32 v29, 3, v20
	v_cmp_ne_u32_e64 s[0:1], 0, v29
	s_waitcnt lgkmcnt(1)
	v_mov_b32_dpp v40, v8 row_shr:1 row_mask:0xf bank_mask:0xf
	v_mov_b32_dpp v41, v9 row_shr:1 row_mask:0xf bank_mask:0xf
	s_waitcnt lgkmcnt(0)
	v_mov_b32_dpp v37, v28 row_shr:1 row_mask:0xf bank_mask:0xf
	v_mov_b32_e32 v36, v28
	v_mov_b32_e32 v33, v28
	;; [unrolled: 1-line block ×4, first 2 shown]
	s_and_saveexec_b64 s[30:31], s[0:1]
	s_cbranch_execz .LBB58_185
; %bb.184:
	v_mov_b32_e32 v12, 0
	v_cmp_eq_u16_sdwa s[0:1], v28, v12 src0_sel:BYTE_0 src1_sel:DWORD
	s_nop 1
	v_cndmask_b32_e64 v12, 1, v40, s[0:1]
	v_cndmask_b32_e64 v33, 0, v41, s[0:1]
	v_mul_lo_u32 v9, v12, v9
	v_mad_u64_u32 v[12:13], s[0:1], v12, v8, 0
	v_mul_lo_u32 v8, v33, v8
	v_add3_u32 v13, v13, v9, v8
	v_or_b32_e32 v8, v37, v28
	v_and_b32_e32 v33, 1, v8
	s_movk_i32 s0, 0xff00
	v_and_b32_e32 v36, 1, v8
	v_and_or_b32 v28, v28, s0, v33
	v_mov_b64_e32 v[8:9], v[12:13]
.LBB58_185:
	s_or_b64 exec, exec, s[30:31]
	v_mov_b32_dpp v37, v12 row_shr:2 row_mask:0xf bank_mask:0xf
	v_mov_b32_dpp v13, v13 row_shr:2 row_mask:0xf bank_mask:0xf
	;; [unrolled: 1-line block ×3, first 2 shown]
	v_cmp_lt_u32_e64 s[0:1], 1, v29
	s_and_saveexec_b64 s[40:41], s[0:1]
	s_cbranch_execz .LBB58_187
; %bb.186:
	v_mov_b32_e32 v28, 0
	v_cmp_eq_u16_sdwa s[0:1], v33, v28 src0_sel:BYTE_0 src1_sel:DWORD
	s_nop 1
	v_cndmask_b32_e64 v28, 1, v37, s[0:1]
	v_cndmask_b32_e64 v13, 0, v13, s[0:1]
	v_mul_lo_u32 v9, v28, v9
	v_mad_u64_u32 v[28:29], s[0:1], v28, v8, 0
	v_mul_lo_u32 v8, v13, v8
	v_add3_u32 v29, v29, v9, v8
	v_and_b32_e32 v8, 1, v33
	v_cmp_eq_u32_e64 s[0:1], 1, v8
	v_and_b32_e32 v8, 1, v12
	v_cmp_eq_u32_e64 s[30:31], 1, v8
	s_or_b64 s[0:1], s[0:1], s[30:31]
	v_cndmask_b32_e64 v36, 0, 1, s[0:1]
	v_mov_b64_e32 v[8:9], v[28:29]
.LBB58_187:
	s_or_b64 exec, exec, s[40:41]
	ds_write_b64 v25, v[8:9]
	ds_write_b8 v25, v36 offset:8
.LBB58_188:
	s_or_b64 exec, exec, s[34:35]
	v_cmp_lt_u32_e64 s[0:1], 63, v0
	v_mov_b64_e32 v[8:9], 0
	s_waitcnt lgkmcnt(0)
	s_barrier
	s_and_saveexec_b64 s[30:31], s[0:1]
	s_cbranch_execz .LBB58_190
; %bb.189:
	v_lshl_add_u32 v8, v24, 4, -16
	ds_read_b64 v[8:9], v8
	v_cmp_eq_u32_e64 s[0:1], 0, v21
	s_waitcnt lgkmcnt(0)
	s_nop 0
	v_cndmask_b32_e64 v12, 1, v8, s[0:1]
	v_cndmask_b32_e64 v13, 0, v9, s[0:1]
	v_mul_lo_u32 v13, v13, v4
	v_mul_lo_u32 v21, v12, v5
	v_mad_u64_u32 v[4:5], s[0:1], v12, v4, 0
	v_add3_u32 v5, v5, v21, v13
.LBB58_190:
	s_or_b64 exec, exec, s[30:31]
	v_add_u32_e32 v12, -1, v20
	v_and_b32_e32 v13, 64, v20
	v_cmp_lt_i32_e64 s[0:1], v12, v13
	s_nop 1
	v_cndmask_b32_e64 v12, v12, v20, s[0:1]
	v_lshlrev_b32_e32 v12, 2, v12
	ds_bpermute_b32 v4, v12, v4
	ds_bpermute_b32 v5, v12, v5
	s_and_saveexec_b64 s[30:31], s[4:5]
	s_cbranch_execz .LBB58_192
; %bb.191:
	v_cmp_eq_u32_e64 s[0:1], 0, v20
	;;#ASMSTART
	;;#ASMEND
	s_waitcnt lgkmcnt(1)
	s_nop 0
	v_cndmask_b32_e64 v4, v4, v8, s[0:1]
	v_mov_b32_e32 v8, 0
	s_waitcnt lgkmcnt(0)
	v_cndmask_b32_e64 v5, v5, v9, s[0:1]
	v_cmp_eq_u16_sdwa s[0:1], v1, v8 src0_sel:BYTE_0 src1_sel:DWORD
	s_nop 1
	v_cndmask_b32_e64 v1, 1, v4, s[0:1]
	v_cndmask_b32_e64 v4, 0, v5, s[0:1]
	v_mul_lo_u32 v4, v4, v2
	v_mul_lo_u32 v5, v1, v3
	v_mad_u64_u32 v[2:3], s[0:1], v1, v2, 0
	v_add3_u32 v3, v3, v5, v4
	v_cndmask_b32_e64 v1, 0, v3, s[28:29]
	v_cndmask_b32_e64 v4, 1, v2, s[28:29]
	v_mul_lo_u32 v1, v1, v14
	v_mul_lo_u32 v5, v4, v15
	v_mad_u64_u32 v[50:51], s[0:1], v4, v14, 0
	v_add3_u32 v51, v51, v5, v1
	;; [unrolled: 6-line block ×13, first 2 shown]
	v_cndmask_b32_e32 v1, 0, v73, vcc
	v_cndmask_b32_e32 v4, 1, v72, vcc
	v_mul_lo_u32 v1, v1, v16
	v_mul_lo_u32 v5, v4, v17
	v_mad_u64_u32 v[74:75], s[0:1], v4, v16, 0
	v_add3_u32 v75, v75, v5, v1
.LBB58_192:
	s_or_b64 exec, exec, s[30:31]
	s_and_saveexec_b64 s[0:1], s[36:37]
	s_cbranch_execz .LBB58_194
; %bb.193:
	v_mov_b32_e32 v1, 0
	s_waitcnt lgkmcnt(0)
	ds_read_b64 v[4:5], v1 offset:48
	ds_read_u8 v6, v1 offset:56
	s_waitcnt lgkmcnt(1)
	global_store_dword v1, v4, s[42:43] offset:1024 sc1
	global_store_dword v1, v5, s[42:43] offset:1028 sc1
	s_waitcnt lgkmcnt(0)
	global_store_dword v1, v6, s[42:43] offset:1032 sc1
	global_store_dword v1, v1, s[42:43] offset:1036 sc1
	v_mov_b32_e32 v4, 2
	s_waitcnt vmcnt(0)
	global_store_byte v1, v4, s[44:45] offset:64 sc1
.LBB58_194:
	s_or_b64 exec, exec, s[0:1]
	v_mov_b64_e32 v[48:49], v[2:3]
.LBB58_195:
	s_add_u32 s0, s54, s38
	s_addc_u32 s1, s55, s39
	s_add_u32 s0, s0, s48
	v_mul_u32_u24_e32 v1, 14, v0
	s_addc_u32 s1, s1, s49
	s_and_b64 vcc, exec, s[2:3]
	v_lshlrev_b32_e32 v30, 3, v1
	s_cbranch_vccz .LBB58_223
; %bb.196:
	s_movk_i32 s2, 0xff98
	v_mad_i32_i24 v1, v0, s2, v30
	s_waitcnt lgkmcnt(0)
	s_barrier
	ds_write_b128 v30, v[48:51]
	ds_write_b128 v30, v[52:55] offset:16
	ds_write_b128 v30, v[56:59] offset:32
	;; [unrolled: 1-line block ×6, first 2 shown]
	s_waitcnt lgkmcnt(0)
	s_barrier
	ds_read2st64_b64 v[26:29], v1 offset0:4 offset1:8
	ds_read2st64_b64 v[22:25], v1 offset0:12 offset1:16
	;; [unrolled: 1-line block ×6, first 2 shown]
	ds_read_b64 v[4:5], v1 offset:26624
	s_add_i32 s33, s33, s46
	v_mov_b32_e32 v33, 0
	v_lshl_add_u64 v[2:3], s[0:1], 0, v[32:33]
	v_cmp_gt_u32_e32 vcc, s33, v0
	s_and_saveexec_b64 s[2:3], vcc
	s_cbranch_execz .LBB58_198
; %bb.197:
	v_mul_i32_i24_e32 v1, 0xffffff98, v0
	v_add_u32_e32 v1, v30, v1
	ds_read_b64 v[34:35], v1
	s_waitcnt lgkmcnt(0)
	flat_store_dwordx2 v[2:3], v[34:35]
.LBB58_198:
	s_or_b64 exec, exec, s[2:3]
	v_or_b32_e32 v1, 0x100, v0
	v_cmp_gt_u32_e32 vcc, s33, v1
	s_and_saveexec_b64 s[2:3], vcc
	s_cbranch_execz .LBB58_200
; %bb.199:
	s_waitcnt lgkmcnt(0)
	flat_store_dwordx2 v[2:3], v[26:27] offset:2048
.LBB58_200:
	s_or_b64 exec, exec, s[2:3]
	v_or_b32_e32 v1, 0x200, v0
	v_cmp_gt_u32_e32 vcc, s33, v1
	s_and_saveexec_b64 s[2:3], vcc
	s_cbranch_execz .LBB58_202
; %bb.201:
	s_waitcnt lgkmcnt(0)
	v_add_co_u32_e32 v26, vcc, 0x1000, v2
	s_nop 1
	v_addc_co_u32_e32 v27, vcc, 0, v3, vcc
	flat_store_dwordx2 v[26:27], v[28:29]
.LBB58_202:
	s_or_b64 exec, exec, s[2:3]
	v_or_b32_e32 v1, 0x300, v0
	v_cmp_gt_u32_e32 vcc, s33, v1
	s_and_saveexec_b64 s[2:3], vcc
	s_cbranch_execz .LBB58_204
; %bb.203:
	s_waitcnt lgkmcnt(0)
	v_add_co_u32_e32 v26, vcc, 0x1000, v2
	s_nop 1
	v_addc_co_u32_e32 v27, vcc, 0, v3, vcc
	flat_store_dwordx2 v[26:27], v[22:23] offset:2048
.LBB58_204:
	s_or_b64 exec, exec, s[2:3]
	v_or_b32_e32 v1, 0x400, v0
	v_cmp_gt_u32_e32 vcc, s33, v1
	s_and_saveexec_b64 s[2:3], vcc
	s_cbranch_execz .LBB58_206
; %bb.205:
	s_waitcnt lgkmcnt(0)
	v_add_co_u32_e32 v22, vcc, 0x2000, v2
	s_nop 1
	v_addc_co_u32_e32 v23, vcc, 0, v3, vcc
	flat_store_dwordx2 v[22:23], v[24:25]
.LBB58_206:
	s_or_b64 exec, exec, s[2:3]
	v_or_b32_e32 v1, 0x500, v0
	v_cmp_gt_u32_e32 vcc, s33, v1
	s_and_saveexec_b64 s[2:3], vcc
	s_cbranch_execz .LBB58_208
; %bb.207:
	s_waitcnt lgkmcnt(0)
	v_add_co_u32_e32 v22, vcc, 0x2000, v2
	s_nop 1
	v_addc_co_u32_e32 v23, vcc, 0, v3, vcc
	flat_store_dwordx2 v[22:23], v[18:19] offset:2048
.LBB58_208:
	;; [unrolled: 24-line block ×5, first 2 shown]
	s_or_b64 exec, exec, s[2:3]
	v_or_b32_e32 v1, 0xc00, v0
	v_cmp_gt_u32_e32 vcc, s33, v1
	s_and_saveexec_b64 s[2:3], vcc
	s_cbranch_execz .LBB58_222
; %bb.221:
	v_add_co_u32_e32 v2, vcc, 0x6000, v2
	s_nop 1
	v_addc_co_u32_e32 v3, vcc, 0, v3, vcc
	s_waitcnt lgkmcnt(0)
	flat_store_dwordx2 v[2:3], v[8:9]
.LBB58_222:
	s_or_b64 exec, exec, s[2:3]
	v_or_b32_e32 v2, 0xd00, v0
	v_mov_b32_e32 v1, v33
	v_cmp_gt_u32_e64 s[2:3], s33, v2
	s_branch .LBB58_225
.LBB58_223:
	s_mov_b64 s[2:3], 0
                                        ; implicit-def: $vgpr4_vgpr5
	s_cbranch_execz .LBB58_225
; %bb.224:
	v_mov_b32_e32 v1, 0
	s_movk_i32 s4, 0xff98
	v_mad_i32_i24 v2, v0, s4, v30
	v_mov_b32_e32 v33, v1
	s_waitcnt lgkmcnt(0)
	s_barrier
	ds_write_b128 v30, v[48:51]
	ds_write_b128 v30, v[52:55] offset:16
	ds_write_b128 v30, v[56:59] offset:32
	;; [unrolled: 1-line block ×6, first 2 shown]
	s_waitcnt lgkmcnt(0)
	s_barrier
	ds_read2st64_b64 v[6:9], v2 offset1:4
	ds_read2st64_b64 v[10:13], v2 offset0:8 offset1:12
	ds_read2st64_b64 v[14:17], v2 offset0:16 offset1:20
	;; [unrolled: 1-line block ×6, first 2 shown]
	v_lshl_add_u64 v[30:31], s[0:1], 0, v[32:33]
	s_movk_i32 s4, 0x1000
	s_waitcnt lgkmcnt(0)
	flat_store_dwordx2 v[30:31], v[6:7]
	flat_store_dwordx2 v[30:31], v[8:9] offset:2048
	v_add_co_u32_e32 v6, vcc, s4, v30
	s_movk_i32 s4, 0x2000
	s_nop 0
	v_addc_co_u32_e32 v7, vcc, 0, v31, vcc
	flat_store_dwordx2 v[6:7], v[10:11]
	flat_store_dwordx2 v[6:7], v[12:13] offset:2048
	v_add_co_u32_e32 v6, vcc, s4, v30
	s_movk_i32 s4, 0x3000
	s_nop 0
	v_addc_co_u32_e32 v7, vcc, 0, v31, vcc
	;; [unrolled: 6-line block ×3, first 2 shown]
	flat_store_dwordx2 v[6:7], v[18:19]
	flat_store_dwordx2 v[6:7], v[20:21] offset:2048
	v_add_co_u32_e32 v6, vcc, s4, v30
	s_or_b64 s[2:3], s[2:3], exec
	s_nop 0
	v_addc_co_u32_e32 v7, vcc, 0, v31, vcc
	flat_store_dwordx2 v[6:7], v[22:23]
	flat_store_dwordx2 v[6:7], v[24:25] offset:2048
	v_add_co_u32_e32 v6, vcc, 0x5000, v30
	s_nop 1
	v_addc_co_u32_e32 v7, vcc, 0, v31, vcc
	flat_store_dwordx2 v[6:7], v[26:27]
	flat_store_dwordx2 v[6:7], v[28:29] offset:2048
	v_add_co_u32_e32 v6, vcc, 0x6000, v30
	s_nop 1
	v_addc_co_u32_e32 v7, vcc, 0, v31, vcc
	flat_store_dwordx2 v[6:7], v[2:3]
.LBB58_225:
	s_and_saveexec_b64 s[4:5], s[2:3]
	s_cbranch_execnz .LBB58_227
; %bb.226:
	s_endpgm
.LBB58_227:
	v_lshl_add_u64 v[0:1], v[0:1], 3, s[0:1]
	v_add_co_u32_e32 v0, vcc, 0x6000, v0
	s_nop 1
	v_addc_co_u32_e32 v1, vcc, 0, v1, vcc
	s_waitcnt lgkmcnt(0)
	flat_store_dwordx2 v[0:1], v[4:5] offset:2048
	s_endpgm
.LBB58_228:
	v_lshl_add_u64 v[6:7], s[50:51], 0, v[2:3]
	flat_load_dwordx2 v[6:7], v[6:7]
	s_or_b64 exec, exec, s[0:1]
                                        ; implicit-def: $vgpr8_vgpr9
	s_and_saveexec_b64 s[0:1], s[8:9]
	s_cbranch_execz .LBB58_41
.LBB58_229:
	v_mov_b32_e32 v3, 0
	v_lshl_add_u64 v[8:9], s[50:51], 0, v[2:3]
	flat_load_dwordx2 v[8:9], v[8:9] offset:2048
	s_or_b64 exec, exec, s[0:1]
                                        ; implicit-def: $vgpr10_vgpr11
	s_and_saveexec_b64 s[0:1], s[10:11]
	s_cbranch_execz .LBB58_42
.LBB58_230:
	v_lshlrev_b32_e32 v10, 3, v1
	v_mov_b32_e32 v11, 0
	v_lshl_add_u64 v[10:11], s[50:51], 0, v[10:11]
	flat_load_dwordx2 v[10:11], v[10:11]
	s_or_b64 exec, exec, s[0:1]
                                        ; implicit-def: $vgpr12_vgpr13
	s_and_saveexec_b64 s[0:1], s[12:13]
	s_cbranch_execz .LBB58_43
.LBB58_231:
	v_lshlrev_b32_e32 v12, 3, v32
	v_mov_b32_e32 v13, 0
	v_lshl_add_u64 v[12:13], s[50:51], 0, v[12:13]
	flat_load_dwordx2 v[12:13], v[12:13]
	s_or_b64 exec, exec, s[0:1]
                                        ; implicit-def: $vgpr14_vgpr15
	s_and_saveexec_b64 s[0:1], s[14:15]
	s_cbranch_execz .LBB58_44
.LBB58_232:
	v_lshlrev_b32_e32 v14, 3, v33
	v_mov_b32_e32 v15, 0
	v_lshl_add_u64 v[14:15], s[50:51], 0, v[14:15]
	flat_load_dwordx2 v[14:15], v[14:15]
	s_or_b64 exec, exec, s[0:1]
                                        ; implicit-def: $vgpr16_vgpr17
	s_and_saveexec_b64 s[0:1], s[16:17]
	s_cbranch_execz .LBB58_45
.LBB58_233:
	v_lshlrev_b32_e32 v16, 3, v34
	v_mov_b32_e32 v17, 0
	v_lshl_add_u64 v[16:17], s[50:51], 0, v[16:17]
	flat_load_dwordx2 v[16:17], v[16:17]
	s_or_b64 exec, exec, s[0:1]
                                        ; implicit-def: $vgpr18_vgpr19
	s_and_saveexec_b64 s[0:1], s[18:19]
	s_cbranch_execz .LBB58_46
.LBB58_234:
	v_lshlrev_b32_e32 v18, 3, v35
	v_mov_b32_e32 v19, 0
	v_lshl_add_u64 v[18:19], s[50:51], 0, v[18:19]
	flat_load_dwordx2 v[18:19], v[18:19]
	s_or_b64 exec, exec, s[0:1]
                                        ; implicit-def: $vgpr20_vgpr21
	s_and_saveexec_b64 s[0:1], s[20:21]
	s_cbranch_execz .LBB58_47
.LBB58_235:
	v_lshlrev_b32_e32 v20, 3, v37
	v_mov_b32_e32 v21, 0
	v_lshl_add_u64 v[20:21], s[50:51], 0, v[20:21]
	flat_load_dwordx2 v[20:21], v[20:21]
	s_or_b64 exec, exec, s[0:1]
                                        ; implicit-def: $vgpr22_vgpr23
	s_and_saveexec_b64 s[0:1], s[22:23]
	s_cbranch_execz .LBB58_48
.LBB58_236:
	v_lshlrev_b32_e32 v22, 3, v38
	v_mov_b32_e32 v23, 0
	v_lshl_add_u64 v[22:23], s[50:51], 0, v[22:23]
	flat_load_dwordx2 v[22:23], v[22:23]
	s_or_b64 exec, exec, s[0:1]
                                        ; implicit-def: $vgpr24_vgpr25
	s_and_saveexec_b64 s[0:1], s[24:25]
	s_cbranch_execz .LBB58_49
.LBB58_237:
	v_lshlrev_b32_e32 v24, 3, v39
	v_mov_b32_e32 v25, 0
	v_lshl_add_u64 v[24:25], s[50:51], 0, v[24:25]
	flat_load_dwordx2 v[24:25], v[24:25]
	s_or_b64 exec, exec, s[0:1]
                                        ; implicit-def: $vgpr26_vgpr27
	s_and_saveexec_b64 s[0:1], s[26:27]
	s_cbranch_execz .LBB58_50
.LBB58_238:
	v_lshlrev_b32_e32 v26, 3, v40
	v_mov_b32_e32 v27, 0
	v_lshl_add_u64 v[26:27], s[50:51], 0, v[26:27]
	flat_load_dwordx2 v[26:27], v[26:27]
	s_or_b64 exec, exec, s[0:1]
                                        ; implicit-def: $vgpr28_vgpr29
	s_and_saveexec_b64 s[0:1], s[28:29]
	s_cbranch_execz .LBB58_51
.LBB58_239:
	v_lshlrev_b32_e32 v28, 3, v41
	v_mov_b32_e32 v29, 0
	v_lshl_add_u64 v[28:29], s[50:51], 0, v[28:29]
	flat_load_dwordx2 v[28:29], v[28:29]
	s_or_b64 exec, exec, s[0:1]
                                        ; implicit-def: $vgpr30_vgpr31
	s_and_saveexec_b64 s[0:1], s[30:31]
	s_cbranch_execz .LBB58_52
.LBB58_240:
	v_lshlrev_b32_e32 v30, 3, v42
	v_mov_b32_e32 v31, 0
	v_lshl_add_u64 v[30:31], s[50:51], 0, v[30:31]
	flat_load_dwordx2 v[30:31], v[30:31]
	s_or_b64 exec, exec, s[0:1]
                                        ; implicit-def: $vgpr32_vgpr33
	s_and_saveexec_b64 s[0:1], s[34:35]
	s_cbranch_execnz .LBB58_53
	s_branch .LBB58_54
.LBB58_241:
                                        ; implicit-def: $sgpr0_sgpr1
	s_branch .LBB58_36
.LBB58_242:
                                        ; implicit-def: $sgpr0_sgpr1
	s_branch .LBB58_85
	.section	.rodata,"a",@progbits
	.p2align	6, 0x0
	.amdhsa_kernel _ZN7rocprim17ROCPRIM_400000_NS6detail17trampoline_kernelINS0_14default_configENS1_27scan_by_key_config_selectorIxxEEZZNS1_16scan_by_key_implILNS1_25lookback_scan_determinismE0ELb0ES3_N6thrust23THRUST_200600_302600_NS6detail15normal_iteratorINS9_10device_ptrIxEEEESE_SE_xNS9_10multipliesIxEENS9_8equal_toIxEExEE10hipError_tPvRmT2_T3_T4_T5_mT6_T7_P12ihipStream_tbENKUlT_T0_E_clISt17integral_constantIbLb1EESZ_EEDaSU_SV_EUlSU_E_NS1_11comp_targetILNS1_3genE5ELNS1_11target_archE942ELNS1_3gpuE9ELNS1_3repE0EEENS1_30default_config_static_selectorELNS0_4arch9wavefront6targetE1EEEvT1_
		.amdhsa_group_segment_fixed_size 32768
		.amdhsa_private_segment_fixed_size 0
		.amdhsa_kernarg_size 136
		.amdhsa_user_sgpr_count 2
		.amdhsa_user_sgpr_dispatch_ptr 0
		.amdhsa_user_sgpr_queue_ptr 0
		.amdhsa_user_sgpr_kernarg_segment_ptr 1
		.amdhsa_user_sgpr_dispatch_id 0
		.amdhsa_user_sgpr_kernarg_preload_length 0
		.amdhsa_user_sgpr_kernarg_preload_offset 0
		.amdhsa_user_sgpr_private_segment_size 0
		.amdhsa_uses_dynamic_stack 0
		.amdhsa_enable_private_segment 0
		.amdhsa_system_sgpr_workgroup_id_x 1
		.amdhsa_system_sgpr_workgroup_id_y 0
		.amdhsa_system_sgpr_workgroup_id_z 0
		.amdhsa_system_sgpr_workgroup_info 0
		.amdhsa_system_vgpr_workitem_id 0
		.amdhsa_next_free_vgpr 92
		.amdhsa_next_free_sgpr 70
		.amdhsa_accum_offset 92
		.amdhsa_reserve_vcc 1
		.amdhsa_float_round_mode_32 0
		.amdhsa_float_round_mode_16_64 0
		.amdhsa_float_denorm_mode_32 3
		.amdhsa_float_denorm_mode_16_64 3
		.amdhsa_dx10_clamp 1
		.amdhsa_ieee_mode 1
		.amdhsa_fp16_overflow 0
		.amdhsa_tg_split 0
		.amdhsa_exception_fp_ieee_invalid_op 0
		.amdhsa_exception_fp_denorm_src 0
		.amdhsa_exception_fp_ieee_div_zero 0
		.amdhsa_exception_fp_ieee_overflow 0
		.amdhsa_exception_fp_ieee_underflow 0
		.amdhsa_exception_fp_ieee_inexact 0
		.amdhsa_exception_int_div_zero 0
	.end_amdhsa_kernel
	.section	.text._ZN7rocprim17ROCPRIM_400000_NS6detail17trampoline_kernelINS0_14default_configENS1_27scan_by_key_config_selectorIxxEEZZNS1_16scan_by_key_implILNS1_25lookback_scan_determinismE0ELb0ES3_N6thrust23THRUST_200600_302600_NS6detail15normal_iteratorINS9_10device_ptrIxEEEESE_SE_xNS9_10multipliesIxEENS9_8equal_toIxEExEE10hipError_tPvRmT2_T3_T4_T5_mT6_T7_P12ihipStream_tbENKUlT_T0_E_clISt17integral_constantIbLb1EESZ_EEDaSU_SV_EUlSU_E_NS1_11comp_targetILNS1_3genE5ELNS1_11target_archE942ELNS1_3gpuE9ELNS1_3repE0EEENS1_30default_config_static_selectorELNS0_4arch9wavefront6targetE1EEEvT1_,"axG",@progbits,_ZN7rocprim17ROCPRIM_400000_NS6detail17trampoline_kernelINS0_14default_configENS1_27scan_by_key_config_selectorIxxEEZZNS1_16scan_by_key_implILNS1_25lookback_scan_determinismE0ELb0ES3_N6thrust23THRUST_200600_302600_NS6detail15normal_iteratorINS9_10device_ptrIxEEEESE_SE_xNS9_10multipliesIxEENS9_8equal_toIxEExEE10hipError_tPvRmT2_T3_T4_T5_mT6_T7_P12ihipStream_tbENKUlT_T0_E_clISt17integral_constantIbLb1EESZ_EEDaSU_SV_EUlSU_E_NS1_11comp_targetILNS1_3genE5ELNS1_11target_archE942ELNS1_3gpuE9ELNS1_3repE0EEENS1_30default_config_static_selectorELNS0_4arch9wavefront6targetE1EEEvT1_,comdat
.Lfunc_end58:
	.size	_ZN7rocprim17ROCPRIM_400000_NS6detail17trampoline_kernelINS0_14default_configENS1_27scan_by_key_config_selectorIxxEEZZNS1_16scan_by_key_implILNS1_25lookback_scan_determinismE0ELb0ES3_N6thrust23THRUST_200600_302600_NS6detail15normal_iteratorINS9_10device_ptrIxEEEESE_SE_xNS9_10multipliesIxEENS9_8equal_toIxEExEE10hipError_tPvRmT2_T3_T4_T5_mT6_T7_P12ihipStream_tbENKUlT_T0_E_clISt17integral_constantIbLb1EESZ_EEDaSU_SV_EUlSU_E_NS1_11comp_targetILNS1_3genE5ELNS1_11target_archE942ELNS1_3gpuE9ELNS1_3repE0EEENS1_30default_config_static_selectorELNS0_4arch9wavefront6targetE1EEEvT1_, .Lfunc_end58-_ZN7rocprim17ROCPRIM_400000_NS6detail17trampoline_kernelINS0_14default_configENS1_27scan_by_key_config_selectorIxxEEZZNS1_16scan_by_key_implILNS1_25lookback_scan_determinismE0ELb0ES3_N6thrust23THRUST_200600_302600_NS6detail15normal_iteratorINS9_10device_ptrIxEEEESE_SE_xNS9_10multipliesIxEENS9_8equal_toIxEExEE10hipError_tPvRmT2_T3_T4_T5_mT6_T7_P12ihipStream_tbENKUlT_T0_E_clISt17integral_constantIbLb1EESZ_EEDaSU_SV_EUlSU_E_NS1_11comp_targetILNS1_3genE5ELNS1_11target_archE942ELNS1_3gpuE9ELNS1_3repE0EEENS1_30default_config_static_selectorELNS0_4arch9wavefront6targetE1EEEvT1_
                                        ; -- End function
	.section	.AMDGPU.csdata,"",@progbits
; Kernel info:
; codeLenInByte = 14944
; NumSgprs: 76
; NumVgprs: 92
; NumAgprs: 0
; TotalNumVgprs: 92
; ScratchSize: 0
; MemoryBound: 0
; FloatMode: 240
; IeeeMode: 1
; LDSByteSize: 32768 bytes/workgroup (compile time only)
; SGPRBlocks: 9
; VGPRBlocks: 11
; NumSGPRsForWavesPerEU: 76
; NumVGPRsForWavesPerEU: 92
; AccumOffset: 92
; Occupancy: 2
; WaveLimiterHint : 1
; COMPUTE_PGM_RSRC2:SCRATCH_EN: 0
; COMPUTE_PGM_RSRC2:USER_SGPR: 2
; COMPUTE_PGM_RSRC2:TRAP_HANDLER: 0
; COMPUTE_PGM_RSRC2:TGID_X_EN: 1
; COMPUTE_PGM_RSRC2:TGID_Y_EN: 0
; COMPUTE_PGM_RSRC2:TGID_Z_EN: 0
; COMPUTE_PGM_RSRC2:TIDIG_COMP_CNT: 0
; COMPUTE_PGM_RSRC3_GFX90A:ACCUM_OFFSET: 22
; COMPUTE_PGM_RSRC3_GFX90A:TG_SPLIT: 0
	.section	.text._ZN7rocprim17ROCPRIM_400000_NS6detail17trampoline_kernelINS0_14default_configENS1_27scan_by_key_config_selectorIxxEEZZNS1_16scan_by_key_implILNS1_25lookback_scan_determinismE0ELb0ES3_N6thrust23THRUST_200600_302600_NS6detail15normal_iteratorINS9_10device_ptrIxEEEESE_SE_xNS9_10multipliesIxEENS9_8equal_toIxEExEE10hipError_tPvRmT2_T3_T4_T5_mT6_T7_P12ihipStream_tbENKUlT_T0_E_clISt17integral_constantIbLb1EESZ_EEDaSU_SV_EUlSU_E_NS1_11comp_targetILNS1_3genE4ELNS1_11target_archE910ELNS1_3gpuE8ELNS1_3repE0EEENS1_30default_config_static_selectorELNS0_4arch9wavefront6targetE1EEEvT1_,"axG",@progbits,_ZN7rocprim17ROCPRIM_400000_NS6detail17trampoline_kernelINS0_14default_configENS1_27scan_by_key_config_selectorIxxEEZZNS1_16scan_by_key_implILNS1_25lookback_scan_determinismE0ELb0ES3_N6thrust23THRUST_200600_302600_NS6detail15normal_iteratorINS9_10device_ptrIxEEEESE_SE_xNS9_10multipliesIxEENS9_8equal_toIxEExEE10hipError_tPvRmT2_T3_T4_T5_mT6_T7_P12ihipStream_tbENKUlT_T0_E_clISt17integral_constantIbLb1EESZ_EEDaSU_SV_EUlSU_E_NS1_11comp_targetILNS1_3genE4ELNS1_11target_archE910ELNS1_3gpuE8ELNS1_3repE0EEENS1_30default_config_static_selectorELNS0_4arch9wavefront6targetE1EEEvT1_,comdat
	.protected	_ZN7rocprim17ROCPRIM_400000_NS6detail17trampoline_kernelINS0_14default_configENS1_27scan_by_key_config_selectorIxxEEZZNS1_16scan_by_key_implILNS1_25lookback_scan_determinismE0ELb0ES3_N6thrust23THRUST_200600_302600_NS6detail15normal_iteratorINS9_10device_ptrIxEEEESE_SE_xNS9_10multipliesIxEENS9_8equal_toIxEExEE10hipError_tPvRmT2_T3_T4_T5_mT6_T7_P12ihipStream_tbENKUlT_T0_E_clISt17integral_constantIbLb1EESZ_EEDaSU_SV_EUlSU_E_NS1_11comp_targetILNS1_3genE4ELNS1_11target_archE910ELNS1_3gpuE8ELNS1_3repE0EEENS1_30default_config_static_selectorELNS0_4arch9wavefront6targetE1EEEvT1_ ; -- Begin function _ZN7rocprim17ROCPRIM_400000_NS6detail17trampoline_kernelINS0_14default_configENS1_27scan_by_key_config_selectorIxxEEZZNS1_16scan_by_key_implILNS1_25lookback_scan_determinismE0ELb0ES3_N6thrust23THRUST_200600_302600_NS6detail15normal_iteratorINS9_10device_ptrIxEEEESE_SE_xNS9_10multipliesIxEENS9_8equal_toIxEExEE10hipError_tPvRmT2_T3_T4_T5_mT6_T7_P12ihipStream_tbENKUlT_T0_E_clISt17integral_constantIbLb1EESZ_EEDaSU_SV_EUlSU_E_NS1_11comp_targetILNS1_3genE4ELNS1_11target_archE910ELNS1_3gpuE8ELNS1_3repE0EEENS1_30default_config_static_selectorELNS0_4arch9wavefront6targetE1EEEvT1_
	.globl	_ZN7rocprim17ROCPRIM_400000_NS6detail17trampoline_kernelINS0_14default_configENS1_27scan_by_key_config_selectorIxxEEZZNS1_16scan_by_key_implILNS1_25lookback_scan_determinismE0ELb0ES3_N6thrust23THRUST_200600_302600_NS6detail15normal_iteratorINS9_10device_ptrIxEEEESE_SE_xNS9_10multipliesIxEENS9_8equal_toIxEExEE10hipError_tPvRmT2_T3_T4_T5_mT6_T7_P12ihipStream_tbENKUlT_T0_E_clISt17integral_constantIbLb1EESZ_EEDaSU_SV_EUlSU_E_NS1_11comp_targetILNS1_3genE4ELNS1_11target_archE910ELNS1_3gpuE8ELNS1_3repE0EEENS1_30default_config_static_selectorELNS0_4arch9wavefront6targetE1EEEvT1_
	.p2align	8
	.type	_ZN7rocprim17ROCPRIM_400000_NS6detail17trampoline_kernelINS0_14default_configENS1_27scan_by_key_config_selectorIxxEEZZNS1_16scan_by_key_implILNS1_25lookback_scan_determinismE0ELb0ES3_N6thrust23THRUST_200600_302600_NS6detail15normal_iteratorINS9_10device_ptrIxEEEESE_SE_xNS9_10multipliesIxEENS9_8equal_toIxEExEE10hipError_tPvRmT2_T3_T4_T5_mT6_T7_P12ihipStream_tbENKUlT_T0_E_clISt17integral_constantIbLb1EESZ_EEDaSU_SV_EUlSU_E_NS1_11comp_targetILNS1_3genE4ELNS1_11target_archE910ELNS1_3gpuE8ELNS1_3repE0EEENS1_30default_config_static_selectorELNS0_4arch9wavefront6targetE1EEEvT1_,@function
_ZN7rocprim17ROCPRIM_400000_NS6detail17trampoline_kernelINS0_14default_configENS1_27scan_by_key_config_selectorIxxEEZZNS1_16scan_by_key_implILNS1_25lookback_scan_determinismE0ELb0ES3_N6thrust23THRUST_200600_302600_NS6detail15normal_iteratorINS9_10device_ptrIxEEEESE_SE_xNS9_10multipliesIxEENS9_8equal_toIxEExEE10hipError_tPvRmT2_T3_T4_T5_mT6_T7_P12ihipStream_tbENKUlT_T0_E_clISt17integral_constantIbLb1EESZ_EEDaSU_SV_EUlSU_E_NS1_11comp_targetILNS1_3genE4ELNS1_11target_archE910ELNS1_3gpuE8ELNS1_3repE0EEENS1_30default_config_static_selectorELNS0_4arch9wavefront6targetE1EEEvT1_: ; @_ZN7rocprim17ROCPRIM_400000_NS6detail17trampoline_kernelINS0_14default_configENS1_27scan_by_key_config_selectorIxxEEZZNS1_16scan_by_key_implILNS1_25lookback_scan_determinismE0ELb0ES3_N6thrust23THRUST_200600_302600_NS6detail15normal_iteratorINS9_10device_ptrIxEEEESE_SE_xNS9_10multipliesIxEENS9_8equal_toIxEExEE10hipError_tPvRmT2_T3_T4_T5_mT6_T7_P12ihipStream_tbENKUlT_T0_E_clISt17integral_constantIbLb1EESZ_EEDaSU_SV_EUlSU_E_NS1_11comp_targetILNS1_3genE4ELNS1_11target_archE910ELNS1_3gpuE8ELNS1_3repE0EEENS1_30default_config_static_selectorELNS0_4arch9wavefront6targetE1EEEvT1_
; %bb.0:
	.section	.rodata,"a",@progbits
	.p2align	6, 0x0
	.amdhsa_kernel _ZN7rocprim17ROCPRIM_400000_NS6detail17trampoline_kernelINS0_14default_configENS1_27scan_by_key_config_selectorIxxEEZZNS1_16scan_by_key_implILNS1_25lookback_scan_determinismE0ELb0ES3_N6thrust23THRUST_200600_302600_NS6detail15normal_iteratorINS9_10device_ptrIxEEEESE_SE_xNS9_10multipliesIxEENS9_8equal_toIxEExEE10hipError_tPvRmT2_T3_T4_T5_mT6_T7_P12ihipStream_tbENKUlT_T0_E_clISt17integral_constantIbLb1EESZ_EEDaSU_SV_EUlSU_E_NS1_11comp_targetILNS1_3genE4ELNS1_11target_archE910ELNS1_3gpuE8ELNS1_3repE0EEENS1_30default_config_static_selectorELNS0_4arch9wavefront6targetE1EEEvT1_
		.amdhsa_group_segment_fixed_size 0
		.amdhsa_private_segment_fixed_size 0
		.amdhsa_kernarg_size 136
		.amdhsa_user_sgpr_count 2
		.amdhsa_user_sgpr_dispatch_ptr 0
		.amdhsa_user_sgpr_queue_ptr 0
		.amdhsa_user_sgpr_kernarg_segment_ptr 1
		.amdhsa_user_sgpr_dispatch_id 0
		.amdhsa_user_sgpr_kernarg_preload_length 0
		.amdhsa_user_sgpr_kernarg_preload_offset 0
		.amdhsa_user_sgpr_private_segment_size 0
		.amdhsa_uses_dynamic_stack 0
		.amdhsa_enable_private_segment 0
		.amdhsa_system_sgpr_workgroup_id_x 1
		.amdhsa_system_sgpr_workgroup_id_y 0
		.amdhsa_system_sgpr_workgroup_id_z 0
		.amdhsa_system_sgpr_workgroup_info 0
		.amdhsa_system_vgpr_workitem_id 0
		.amdhsa_next_free_vgpr 1
		.amdhsa_next_free_sgpr 0
		.amdhsa_accum_offset 4
		.amdhsa_reserve_vcc 0
		.amdhsa_float_round_mode_32 0
		.amdhsa_float_round_mode_16_64 0
		.amdhsa_float_denorm_mode_32 3
		.amdhsa_float_denorm_mode_16_64 3
		.amdhsa_dx10_clamp 1
		.amdhsa_ieee_mode 1
		.amdhsa_fp16_overflow 0
		.amdhsa_tg_split 0
		.amdhsa_exception_fp_ieee_invalid_op 0
		.amdhsa_exception_fp_denorm_src 0
		.amdhsa_exception_fp_ieee_div_zero 0
		.amdhsa_exception_fp_ieee_overflow 0
		.amdhsa_exception_fp_ieee_underflow 0
		.amdhsa_exception_fp_ieee_inexact 0
		.amdhsa_exception_int_div_zero 0
	.end_amdhsa_kernel
	.section	.text._ZN7rocprim17ROCPRIM_400000_NS6detail17trampoline_kernelINS0_14default_configENS1_27scan_by_key_config_selectorIxxEEZZNS1_16scan_by_key_implILNS1_25lookback_scan_determinismE0ELb0ES3_N6thrust23THRUST_200600_302600_NS6detail15normal_iteratorINS9_10device_ptrIxEEEESE_SE_xNS9_10multipliesIxEENS9_8equal_toIxEExEE10hipError_tPvRmT2_T3_T4_T5_mT6_T7_P12ihipStream_tbENKUlT_T0_E_clISt17integral_constantIbLb1EESZ_EEDaSU_SV_EUlSU_E_NS1_11comp_targetILNS1_3genE4ELNS1_11target_archE910ELNS1_3gpuE8ELNS1_3repE0EEENS1_30default_config_static_selectorELNS0_4arch9wavefront6targetE1EEEvT1_,"axG",@progbits,_ZN7rocprim17ROCPRIM_400000_NS6detail17trampoline_kernelINS0_14default_configENS1_27scan_by_key_config_selectorIxxEEZZNS1_16scan_by_key_implILNS1_25lookback_scan_determinismE0ELb0ES3_N6thrust23THRUST_200600_302600_NS6detail15normal_iteratorINS9_10device_ptrIxEEEESE_SE_xNS9_10multipliesIxEENS9_8equal_toIxEExEE10hipError_tPvRmT2_T3_T4_T5_mT6_T7_P12ihipStream_tbENKUlT_T0_E_clISt17integral_constantIbLb1EESZ_EEDaSU_SV_EUlSU_E_NS1_11comp_targetILNS1_3genE4ELNS1_11target_archE910ELNS1_3gpuE8ELNS1_3repE0EEENS1_30default_config_static_selectorELNS0_4arch9wavefront6targetE1EEEvT1_,comdat
.Lfunc_end59:
	.size	_ZN7rocprim17ROCPRIM_400000_NS6detail17trampoline_kernelINS0_14default_configENS1_27scan_by_key_config_selectorIxxEEZZNS1_16scan_by_key_implILNS1_25lookback_scan_determinismE0ELb0ES3_N6thrust23THRUST_200600_302600_NS6detail15normal_iteratorINS9_10device_ptrIxEEEESE_SE_xNS9_10multipliesIxEENS9_8equal_toIxEExEE10hipError_tPvRmT2_T3_T4_T5_mT6_T7_P12ihipStream_tbENKUlT_T0_E_clISt17integral_constantIbLb1EESZ_EEDaSU_SV_EUlSU_E_NS1_11comp_targetILNS1_3genE4ELNS1_11target_archE910ELNS1_3gpuE8ELNS1_3repE0EEENS1_30default_config_static_selectorELNS0_4arch9wavefront6targetE1EEEvT1_, .Lfunc_end59-_ZN7rocprim17ROCPRIM_400000_NS6detail17trampoline_kernelINS0_14default_configENS1_27scan_by_key_config_selectorIxxEEZZNS1_16scan_by_key_implILNS1_25lookback_scan_determinismE0ELb0ES3_N6thrust23THRUST_200600_302600_NS6detail15normal_iteratorINS9_10device_ptrIxEEEESE_SE_xNS9_10multipliesIxEENS9_8equal_toIxEExEE10hipError_tPvRmT2_T3_T4_T5_mT6_T7_P12ihipStream_tbENKUlT_T0_E_clISt17integral_constantIbLb1EESZ_EEDaSU_SV_EUlSU_E_NS1_11comp_targetILNS1_3genE4ELNS1_11target_archE910ELNS1_3gpuE8ELNS1_3repE0EEENS1_30default_config_static_selectorELNS0_4arch9wavefront6targetE1EEEvT1_
                                        ; -- End function
	.section	.AMDGPU.csdata,"",@progbits
; Kernel info:
; codeLenInByte = 0
; NumSgprs: 6
; NumVgprs: 0
; NumAgprs: 0
; TotalNumVgprs: 0
; ScratchSize: 0
; MemoryBound: 0
; FloatMode: 240
; IeeeMode: 1
; LDSByteSize: 0 bytes/workgroup (compile time only)
; SGPRBlocks: 0
; VGPRBlocks: 0
; NumSGPRsForWavesPerEU: 6
; NumVGPRsForWavesPerEU: 1
; AccumOffset: 4
; Occupancy: 8
; WaveLimiterHint : 0
; COMPUTE_PGM_RSRC2:SCRATCH_EN: 0
; COMPUTE_PGM_RSRC2:USER_SGPR: 2
; COMPUTE_PGM_RSRC2:TRAP_HANDLER: 0
; COMPUTE_PGM_RSRC2:TGID_X_EN: 1
; COMPUTE_PGM_RSRC2:TGID_Y_EN: 0
; COMPUTE_PGM_RSRC2:TGID_Z_EN: 0
; COMPUTE_PGM_RSRC2:TIDIG_COMP_CNT: 0
; COMPUTE_PGM_RSRC3_GFX90A:ACCUM_OFFSET: 0
; COMPUTE_PGM_RSRC3_GFX90A:TG_SPLIT: 0
	.section	.text._ZN7rocprim17ROCPRIM_400000_NS6detail17trampoline_kernelINS0_14default_configENS1_27scan_by_key_config_selectorIxxEEZZNS1_16scan_by_key_implILNS1_25lookback_scan_determinismE0ELb0ES3_N6thrust23THRUST_200600_302600_NS6detail15normal_iteratorINS9_10device_ptrIxEEEESE_SE_xNS9_10multipliesIxEENS9_8equal_toIxEExEE10hipError_tPvRmT2_T3_T4_T5_mT6_T7_P12ihipStream_tbENKUlT_T0_E_clISt17integral_constantIbLb1EESZ_EEDaSU_SV_EUlSU_E_NS1_11comp_targetILNS1_3genE3ELNS1_11target_archE908ELNS1_3gpuE7ELNS1_3repE0EEENS1_30default_config_static_selectorELNS0_4arch9wavefront6targetE1EEEvT1_,"axG",@progbits,_ZN7rocprim17ROCPRIM_400000_NS6detail17trampoline_kernelINS0_14default_configENS1_27scan_by_key_config_selectorIxxEEZZNS1_16scan_by_key_implILNS1_25lookback_scan_determinismE0ELb0ES3_N6thrust23THRUST_200600_302600_NS6detail15normal_iteratorINS9_10device_ptrIxEEEESE_SE_xNS9_10multipliesIxEENS9_8equal_toIxEExEE10hipError_tPvRmT2_T3_T4_T5_mT6_T7_P12ihipStream_tbENKUlT_T0_E_clISt17integral_constantIbLb1EESZ_EEDaSU_SV_EUlSU_E_NS1_11comp_targetILNS1_3genE3ELNS1_11target_archE908ELNS1_3gpuE7ELNS1_3repE0EEENS1_30default_config_static_selectorELNS0_4arch9wavefront6targetE1EEEvT1_,comdat
	.protected	_ZN7rocprim17ROCPRIM_400000_NS6detail17trampoline_kernelINS0_14default_configENS1_27scan_by_key_config_selectorIxxEEZZNS1_16scan_by_key_implILNS1_25lookback_scan_determinismE0ELb0ES3_N6thrust23THRUST_200600_302600_NS6detail15normal_iteratorINS9_10device_ptrIxEEEESE_SE_xNS9_10multipliesIxEENS9_8equal_toIxEExEE10hipError_tPvRmT2_T3_T4_T5_mT6_T7_P12ihipStream_tbENKUlT_T0_E_clISt17integral_constantIbLb1EESZ_EEDaSU_SV_EUlSU_E_NS1_11comp_targetILNS1_3genE3ELNS1_11target_archE908ELNS1_3gpuE7ELNS1_3repE0EEENS1_30default_config_static_selectorELNS0_4arch9wavefront6targetE1EEEvT1_ ; -- Begin function _ZN7rocprim17ROCPRIM_400000_NS6detail17trampoline_kernelINS0_14default_configENS1_27scan_by_key_config_selectorIxxEEZZNS1_16scan_by_key_implILNS1_25lookback_scan_determinismE0ELb0ES3_N6thrust23THRUST_200600_302600_NS6detail15normal_iteratorINS9_10device_ptrIxEEEESE_SE_xNS9_10multipliesIxEENS9_8equal_toIxEExEE10hipError_tPvRmT2_T3_T4_T5_mT6_T7_P12ihipStream_tbENKUlT_T0_E_clISt17integral_constantIbLb1EESZ_EEDaSU_SV_EUlSU_E_NS1_11comp_targetILNS1_3genE3ELNS1_11target_archE908ELNS1_3gpuE7ELNS1_3repE0EEENS1_30default_config_static_selectorELNS0_4arch9wavefront6targetE1EEEvT1_
	.globl	_ZN7rocprim17ROCPRIM_400000_NS6detail17trampoline_kernelINS0_14default_configENS1_27scan_by_key_config_selectorIxxEEZZNS1_16scan_by_key_implILNS1_25lookback_scan_determinismE0ELb0ES3_N6thrust23THRUST_200600_302600_NS6detail15normal_iteratorINS9_10device_ptrIxEEEESE_SE_xNS9_10multipliesIxEENS9_8equal_toIxEExEE10hipError_tPvRmT2_T3_T4_T5_mT6_T7_P12ihipStream_tbENKUlT_T0_E_clISt17integral_constantIbLb1EESZ_EEDaSU_SV_EUlSU_E_NS1_11comp_targetILNS1_3genE3ELNS1_11target_archE908ELNS1_3gpuE7ELNS1_3repE0EEENS1_30default_config_static_selectorELNS0_4arch9wavefront6targetE1EEEvT1_
	.p2align	8
	.type	_ZN7rocprim17ROCPRIM_400000_NS6detail17trampoline_kernelINS0_14default_configENS1_27scan_by_key_config_selectorIxxEEZZNS1_16scan_by_key_implILNS1_25lookback_scan_determinismE0ELb0ES3_N6thrust23THRUST_200600_302600_NS6detail15normal_iteratorINS9_10device_ptrIxEEEESE_SE_xNS9_10multipliesIxEENS9_8equal_toIxEExEE10hipError_tPvRmT2_T3_T4_T5_mT6_T7_P12ihipStream_tbENKUlT_T0_E_clISt17integral_constantIbLb1EESZ_EEDaSU_SV_EUlSU_E_NS1_11comp_targetILNS1_3genE3ELNS1_11target_archE908ELNS1_3gpuE7ELNS1_3repE0EEENS1_30default_config_static_selectorELNS0_4arch9wavefront6targetE1EEEvT1_,@function
_ZN7rocprim17ROCPRIM_400000_NS6detail17trampoline_kernelINS0_14default_configENS1_27scan_by_key_config_selectorIxxEEZZNS1_16scan_by_key_implILNS1_25lookback_scan_determinismE0ELb0ES3_N6thrust23THRUST_200600_302600_NS6detail15normal_iteratorINS9_10device_ptrIxEEEESE_SE_xNS9_10multipliesIxEENS9_8equal_toIxEExEE10hipError_tPvRmT2_T3_T4_T5_mT6_T7_P12ihipStream_tbENKUlT_T0_E_clISt17integral_constantIbLb1EESZ_EEDaSU_SV_EUlSU_E_NS1_11comp_targetILNS1_3genE3ELNS1_11target_archE908ELNS1_3gpuE7ELNS1_3repE0EEENS1_30default_config_static_selectorELNS0_4arch9wavefront6targetE1EEEvT1_: ; @_ZN7rocprim17ROCPRIM_400000_NS6detail17trampoline_kernelINS0_14default_configENS1_27scan_by_key_config_selectorIxxEEZZNS1_16scan_by_key_implILNS1_25lookback_scan_determinismE0ELb0ES3_N6thrust23THRUST_200600_302600_NS6detail15normal_iteratorINS9_10device_ptrIxEEEESE_SE_xNS9_10multipliesIxEENS9_8equal_toIxEExEE10hipError_tPvRmT2_T3_T4_T5_mT6_T7_P12ihipStream_tbENKUlT_T0_E_clISt17integral_constantIbLb1EESZ_EEDaSU_SV_EUlSU_E_NS1_11comp_targetILNS1_3genE3ELNS1_11target_archE908ELNS1_3gpuE7ELNS1_3repE0EEENS1_30default_config_static_selectorELNS0_4arch9wavefront6targetE1EEEvT1_
; %bb.0:
	.section	.rodata,"a",@progbits
	.p2align	6, 0x0
	.amdhsa_kernel _ZN7rocprim17ROCPRIM_400000_NS6detail17trampoline_kernelINS0_14default_configENS1_27scan_by_key_config_selectorIxxEEZZNS1_16scan_by_key_implILNS1_25lookback_scan_determinismE0ELb0ES3_N6thrust23THRUST_200600_302600_NS6detail15normal_iteratorINS9_10device_ptrIxEEEESE_SE_xNS9_10multipliesIxEENS9_8equal_toIxEExEE10hipError_tPvRmT2_T3_T4_T5_mT6_T7_P12ihipStream_tbENKUlT_T0_E_clISt17integral_constantIbLb1EESZ_EEDaSU_SV_EUlSU_E_NS1_11comp_targetILNS1_3genE3ELNS1_11target_archE908ELNS1_3gpuE7ELNS1_3repE0EEENS1_30default_config_static_selectorELNS0_4arch9wavefront6targetE1EEEvT1_
		.amdhsa_group_segment_fixed_size 0
		.amdhsa_private_segment_fixed_size 0
		.amdhsa_kernarg_size 136
		.amdhsa_user_sgpr_count 2
		.amdhsa_user_sgpr_dispatch_ptr 0
		.amdhsa_user_sgpr_queue_ptr 0
		.amdhsa_user_sgpr_kernarg_segment_ptr 1
		.amdhsa_user_sgpr_dispatch_id 0
		.amdhsa_user_sgpr_kernarg_preload_length 0
		.amdhsa_user_sgpr_kernarg_preload_offset 0
		.amdhsa_user_sgpr_private_segment_size 0
		.amdhsa_uses_dynamic_stack 0
		.amdhsa_enable_private_segment 0
		.amdhsa_system_sgpr_workgroup_id_x 1
		.amdhsa_system_sgpr_workgroup_id_y 0
		.amdhsa_system_sgpr_workgroup_id_z 0
		.amdhsa_system_sgpr_workgroup_info 0
		.amdhsa_system_vgpr_workitem_id 0
		.amdhsa_next_free_vgpr 1
		.amdhsa_next_free_sgpr 0
		.amdhsa_accum_offset 4
		.amdhsa_reserve_vcc 0
		.amdhsa_float_round_mode_32 0
		.amdhsa_float_round_mode_16_64 0
		.amdhsa_float_denorm_mode_32 3
		.amdhsa_float_denorm_mode_16_64 3
		.amdhsa_dx10_clamp 1
		.amdhsa_ieee_mode 1
		.amdhsa_fp16_overflow 0
		.amdhsa_tg_split 0
		.amdhsa_exception_fp_ieee_invalid_op 0
		.amdhsa_exception_fp_denorm_src 0
		.amdhsa_exception_fp_ieee_div_zero 0
		.amdhsa_exception_fp_ieee_overflow 0
		.amdhsa_exception_fp_ieee_underflow 0
		.amdhsa_exception_fp_ieee_inexact 0
		.amdhsa_exception_int_div_zero 0
	.end_amdhsa_kernel
	.section	.text._ZN7rocprim17ROCPRIM_400000_NS6detail17trampoline_kernelINS0_14default_configENS1_27scan_by_key_config_selectorIxxEEZZNS1_16scan_by_key_implILNS1_25lookback_scan_determinismE0ELb0ES3_N6thrust23THRUST_200600_302600_NS6detail15normal_iteratorINS9_10device_ptrIxEEEESE_SE_xNS9_10multipliesIxEENS9_8equal_toIxEExEE10hipError_tPvRmT2_T3_T4_T5_mT6_T7_P12ihipStream_tbENKUlT_T0_E_clISt17integral_constantIbLb1EESZ_EEDaSU_SV_EUlSU_E_NS1_11comp_targetILNS1_3genE3ELNS1_11target_archE908ELNS1_3gpuE7ELNS1_3repE0EEENS1_30default_config_static_selectorELNS0_4arch9wavefront6targetE1EEEvT1_,"axG",@progbits,_ZN7rocprim17ROCPRIM_400000_NS6detail17trampoline_kernelINS0_14default_configENS1_27scan_by_key_config_selectorIxxEEZZNS1_16scan_by_key_implILNS1_25lookback_scan_determinismE0ELb0ES3_N6thrust23THRUST_200600_302600_NS6detail15normal_iteratorINS9_10device_ptrIxEEEESE_SE_xNS9_10multipliesIxEENS9_8equal_toIxEExEE10hipError_tPvRmT2_T3_T4_T5_mT6_T7_P12ihipStream_tbENKUlT_T0_E_clISt17integral_constantIbLb1EESZ_EEDaSU_SV_EUlSU_E_NS1_11comp_targetILNS1_3genE3ELNS1_11target_archE908ELNS1_3gpuE7ELNS1_3repE0EEENS1_30default_config_static_selectorELNS0_4arch9wavefront6targetE1EEEvT1_,comdat
.Lfunc_end60:
	.size	_ZN7rocprim17ROCPRIM_400000_NS6detail17trampoline_kernelINS0_14default_configENS1_27scan_by_key_config_selectorIxxEEZZNS1_16scan_by_key_implILNS1_25lookback_scan_determinismE0ELb0ES3_N6thrust23THRUST_200600_302600_NS6detail15normal_iteratorINS9_10device_ptrIxEEEESE_SE_xNS9_10multipliesIxEENS9_8equal_toIxEExEE10hipError_tPvRmT2_T3_T4_T5_mT6_T7_P12ihipStream_tbENKUlT_T0_E_clISt17integral_constantIbLb1EESZ_EEDaSU_SV_EUlSU_E_NS1_11comp_targetILNS1_3genE3ELNS1_11target_archE908ELNS1_3gpuE7ELNS1_3repE0EEENS1_30default_config_static_selectorELNS0_4arch9wavefront6targetE1EEEvT1_, .Lfunc_end60-_ZN7rocprim17ROCPRIM_400000_NS6detail17trampoline_kernelINS0_14default_configENS1_27scan_by_key_config_selectorIxxEEZZNS1_16scan_by_key_implILNS1_25lookback_scan_determinismE0ELb0ES3_N6thrust23THRUST_200600_302600_NS6detail15normal_iteratorINS9_10device_ptrIxEEEESE_SE_xNS9_10multipliesIxEENS9_8equal_toIxEExEE10hipError_tPvRmT2_T3_T4_T5_mT6_T7_P12ihipStream_tbENKUlT_T0_E_clISt17integral_constantIbLb1EESZ_EEDaSU_SV_EUlSU_E_NS1_11comp_targetILNS1_3genE3ELNS1_11target_archE908ELNS1_3gpuE7ELNS1_3repE0EEENS1_30default_config_static_selectorELNS0_4arch9wavefront6targetE1EEEvT1_
                                        ; -- End function
	.section	.AMDGPU.csdata,"",@progbits
; Kernel info:
; codeLenInByte = 0
; NumSgprs: 6
; NumVgprs: 0
; NumAgprs: 0
; TotalNumVgprs: 0
; ScratchSize: 0
; MemoryBound: 0
; FloatMode: 240
; IeeeMode: 1
; LDSByteSize: 0 bytes/workgroup (compile time only)
; SGPRBlocks: 0
; VGPRBlocks: 0
; NumSGPRsForWavesPerEU: 6
; NumVGPRsForWavesPerEU: 1
; AccumOffset: 4
; Occupancy: 8
; WaveLimiterHint : 0
; COMPUTE_PGM_RSRC2:SCRATCH_EN: 0
; COMPUTE_PGM_RSRC2:USER_SGPR: 2
; COMPUTE_PGM_RSRC2:TRAP_HANDLER: 0
; COMPUTE_PGM_RSRC2:TGID_X_EN: 1
; COMPUTE_PGM_RSRC2:TGID_Y_EN: 0
; COMPUTE_PGM_RSRC2:TGID_Z_EN: 0
; COMPUTE_PGM_RSRC2:TIDIG_COMP_CNT: 0
; COMPUTE_PGM_RSRC3_GFX90A:ACCUM_OFFSET: 0
; COMPUTE_PGM_RSRC3_GFX90A:TG_SPLIT: 0
	.section	.text._ZN7rocprim17ROCPRIM_400000_NS6detail17trampoline_kernelINS0_14default_configENS1_27scan_by_key_config_selectorIxxEEZZNS1_16scan_by_key_implILNS1_25lookback_scan_determinismE0ELb0ES3_N6thrust23THRUST_200600_302600_NS6detail15normal_iteratorINS9_10device_ptrIxEEEESE_SE_xNS9_10multipliesIxEENS9_8equal_toIxEExEE10hipError_tPvRmT2_T3_T4_T5_mT6_T7_P12ihipStream_tbENKUlT_T0_E_clISt17integral_constantIbLb1EESZ_EEDaSU_SV_EUlSU_E_NS1_11comp_targetILNS1_3genE2ELNS1_11target_archE906ELNS1_3gpuE6ELNS1_3repE0EEENS1_30default_config_static_selectorELNS0_4arch9wavefront6targetE1EEEvT1_,"axG",@progbits,_ZN7rocprim17ROCPRIM_400000_NS6detail17trampoline_kernelINS0_14default_configENS1_27scan_by_key_config_selectorIxxEEZZNS1_16scan_by_key_implILNS1_25lookback_scan_determinismE0ELb0ES3_N6thrust23THRUST_200600_302600_NS6detail15normal_iteratorINS9_10device_ptrIxEEEESE_SE_xNS9_10multipliesIxEENS9_8equal_toIxEExEE10hipError_tPvRmT2_T3_T4_T5_mT6_T7_P12ihipStream_tbENKUlT_T0_E_clISt17integral_constantIbLb1EESZ_EEDaSU_SV_EUlSU_E_NS1_11comp_targetILNS1_3genE2ELNS1_11target_archE906ELNS1_3gpuE6ELNS1_3repE0EEENS1_30default_config_static_selectorELNS0_4arch9wavefront6targetE1EEEvT1_,comdat
	.protected	_ZN7rocprim17ROCPRIM_400000_NS6detail17trampoline_kernelINS0_14default_configENS1_27scan_by_key_config_selectorIxxEEZZNS1_16scan_by_key_implILNS1_25lookback_scan_determinismE0ELb0ES3_N6thrust23THRUST_200600_302600_NS6detail15normal_iteratorINS9_10device_ptrIxEEEESE_SE_xNS9_10multipliesIxEENS9_8equal_toIxEExEE10hipError_tPvRmT2_T3_T4_T5_mT6_T7_P12ihipStream_tbENKUlT_T0_E_clISt17integral_constantIbLb1EESZ_EEDaSU_SV_EUlSU_E_NS1_11comp_targetILNS1_3genE2ELNS1_11target_archE906ELNS1_3gpuE6ELNS1_3repE0EEENS1_30default_config_static_selectorELNS0_4arch9wavefront6targetE1EEEvT1_ ; -- Begin function _ZN7rocprim17ROCPRIM_400000_NS6detail17trampoline_kernelINS0_14default_configENS1_27scan_by_key_config_selectorIxxEEZZNS1_16scan_by_key_implILNS1_25lookback_scan_determinismE0ELb0ES3_N6thrust23THRUST_200600_302600_NS6detail15normal_iteratorINS9_10device_ptrIxEEEESE_SE_xNS9_10multipliesIxEENS9_8equal_toIxEExEE10hipError_tPvRmT2_T3_T4_T5_mT6_T7_P12ihipStream_tbENKUlT_T0_E_clISt17integral_constantIbLb1EESZ_EEDaSU_SV_EUlSU_E_NS1_11comp_targetILNS1_3genE2ELNS1_11target_archE906ELNS1_3gpuE6ELNS1_3repE0EEENS1_30default_config_static_selectorELNS0_4arch9wavefront6targetE1EEEvT1_
	.globl	_ZN7rocprim17ROCPRIM_400000_NS6detail17trampoline_kernelINS0_14default_configENS1_27scan_by_key_config_selectorIxxEEZZNS1_16scan_by_key_implILNS1_25lookback_scan_determinismE0ELb0ES3_N6thrust23THRUST_200600_302600_NS6detail15normal_iteratorINS9_10device_ptrIxEEEESE_SE_xNS9_10multipliesIxEENS9_8equal_toIxEExEE10hipError_tPvRmT2_T3_T4_T5_mT6_T7_P12ihipStream_tbENKUlT_T0_E_clISt17integral_constantIbLb1EESZ_EEDaSU_SV_EUlSU_E_NS1_11comp_targetILNS1_3genE2ELNS1_11target_archE906ELNS1_3gpuE6ELNS1_3repE0EEENS1_30default_config_static_selectorELNS0_4arch9wavefront6targetE1EEEvT1_
	.p2align	8
	.type	_ZN7rocprim17ROCPRIM_400000_NS6detail17trampoline_kernelINS0_14default_configENS1_27scan_by_key_config_selectorIxxEEZZNS1_16scan_by_key_implILNS1_25lookback_scan_determinismE0ELb0ES3_N6thrust23THRUST_200600_302600_NS6detail15normal_iteratorINS9_10device_ptrIxEEEESE_SE_xNS9_10multipliesIxEENS9_8equal_toIxEExEE10hipError_tPvRmT2_T3_T4_T5_mT6_T7_P12ihipStream_tbENKUlT_T0_E_clISt17integral_constantIbLb1EESZ_EEDaSU_SV_EUlSU_E_NS1_11comp_targetILNS1_3genE2ELNS1_11target_archE906ELNS1_3gpuE6ELNS1_3repE0EEENS1_30default_config_static_selectorELNS0_4arch9wavefront6targetE1EEEvT1_,@function
_ZN7rocprim17ROCPRIM_400000_NS6detail17trampoline_kernelINS0_14default_configENS1_27scan_by_key_config_selectorIxxEEZZNS1_16scan_by_key_implILNS1_25lookback_scan_determinismE0ELb0ES3_N6thrust23THRUST_200600_302600_NS6detail15normal_iteratorINS9_10device_ptrIxEEEESE_SE_xNS9_10multipliesIxEENS9_8equal_toIxEExEE10hipError_tPvRmT2_T3_T4_T5_mT6_T7_P12ihipStream_tbENKUlT_T0_E_clISt17integral_constantIbLb1EESZ_EEDaSU_SV_EUlSU_E_NS1_11comp_targetILNS1_3genE2ELNS1_11target_archE906ELNS1_3gpuE6ELNS1_3repE0EEENS1_30default_config_static_selectorELNS0_4arch9wavefront6targetE1EEEvT1_: ; @_ZN7rocprim17ROCPRIM_400000_NS6detail17trampoline_kernelINS0_14default_configENS1_27scan_by_key_config_selectorIxxEEZZNS1_16scan_by_key_implILNS1_25lookback_scan_determinismE0ELb0ES3_N6thrust23THRUST_200600_302600_NS6detail15normal_iteratorINS9_10device_ptrIxEEEESE_SE_xNS9_10multipliesIxEENS9_8equal_toIxEExEE10hipError_tPvRmT2_T3_T4_T5_mT6_T7_P12ihipStream_tbENKUlT_T0_E_clISt17integral_constantIbLb1EESZ_EEDaSU_SV_EUlSU_E_NS1_11comp_targetILNS1_3genE2ELNS1_11target_archE906ELNS1_3gpuE6ELNS1_3repE0EEENS1_30default_config_static_selectorELNS0_4arch9wavefront6targetE1EEEvT1_
; %bb.0:
	.section	.rodata,"a",@progbits
	.p2align	6, 0x0
	.amdhsa_kernel _ZN7rocprim17ROCPRIM_400000_NS6detail17trampoline_kernelINS0_14default_configENS1_27scan_by_key_config_selectorIxxEEZZNS1_16scan_by_key_implILNS1_25lookback_scan_determinismE0ELb0ES3_N6thrust23THRUST_200600_302600_NS6detail15normal_iteratorINS9_10device_ptrIxEEEESE_SE_xNS9_10multipliesIxEENS9_8equal_toIxEExEE10hipError_tPvRmT2_T3_T4_T5_mT6_T7_P12ihipStream_tbENKUlT_T0_E_clISt17integral_constantIbLb1EESZ_EEDaSU_SV_EUlSU_E_NS1_11comp_targetILNS1_3genE2ELNS1_11target_archE906ELNS1_3gpuE6ELNS1_3repE0EEENS1_30default_config_static_selectorELNS0_4arch9wavefront6targetE1EEEvT1_
		.amdhsa_group_segment_fixed_size 0
		.amdhsa_private_segment_fixed_size 0
		.amdhsa_kernarg_size 136
		.amdhsa_user_sgpr_count 2
		.amdhsa_user_sgpr_dispatch_ptr 0
		.amdhsa_user_sgpr_queue_ptr 0
		.amdhsa_user_sgpr_kernarg_segment_ptr 1
		.amdhsa_user_sgpr_dispatch_id 0
		.amdhsa_user_sgpr_kernarg_preload_length 0
		.amdhsa_user_sgpr_kernarg_preload_offset 0
		.amdhsa_user_sgpr_private_segment_size 0
		.amdhsa_uses_dynamic_stack 0
		.amdhsa_enable_private_segment 0
		.amdhsa_system_sgpr_workgroup_id_x 1
		.amdhsa_system_sgpr_workgroup_id_y 0
		.amdhsa_system_sgpr_workgroup_id_z 0
		.amdhsa_system_sgpr_workgroup_info 0
		.amdhsa_system_vgpr_workitem_id 0
		.amdhsa_next_free_vgpr 1
		.amdhsa_next_free_sgpr 0
		.amdhsa_accum_offset 4
		.amdhsa_reserve_vcc 0
		.amdhsa_float_round_mode_32 0
		.amdhsa_float_round_mode_16_64 0
		.amdhsa_float_denorm_mode_32 3
		.amdhsa_float_denorm_mode_16_64 3
		.amdhsa_dx10_clamp 1
		.amdhsa_ieee_mode 1
		.amdhsa_fp16_overflow 0
		.amdhsa_tg_split 0
		.amdhsa_exception_fp_ieee_invalid_op 0
		.amdhsa_exception_fp_denorm_src 0
		.amdhsa_exception_fp_ieee_div_zero 0
		.amdhsa_exception_fp_ieee_overflow 0
		.amdhsa_exception_fp_ieee_underflow 0
		.amdhsa_exception_fp_ieee_inexact 0
		.amdhsa_exception_int_div_zero 0
	.end_amdhsa_kernel
	.section	.text._ZN7rocprim17ROCPRIM_400000_NS6detail17trampoline_kernelINS0_14default_configENS1_27scan_by_key_config_selectorIxxEEZZNS1_16scan_by_key_implILNS1_25lookback_scan_determinismE0ELb0ES3_N6thrust23THRUST_200600_302600_NS6detail15normal_iteratorINS9_10device_ptrIxEEEESE_SE_xNS9_10multipliesIxEENS9_8equal_toIxEExEE10hipError_tPvRmT2_T3_T4_T5_mT6_T7_P12ihipStream_tbENKUlT_T0_E_clISt17integral_constantIbLb1EESZ_EEDaSU_SV_EUlSU_E_NS1_11comp_targetILNS1_3genE2ELNS1_11target_archE906ELNS1_3gpuE6ELNS1_3repE0EEENS1_30default_config_static_selectorELNS0_4arch9wavefront6targetE1EEEvT1_,"axG",@progbits,_ZN7rocprim17ROCPRIM_400000_NS6detail17trampoline_kernelINS0_14default_configENS1_27scan_by_key_config_selectorIxxEEZZNS1_16scan_by_key_implILNS1_25lookback_scan_determinismE0ELb0ES3_N6thrust23THRUST_200600_302600_NS6detail15normal_iteratorINS9_10device_ptrIxEEEESE_SE_xNS9_10multipliesIxEENS9_8equal_toIxEExEE10hipError_tPvRmT2_T3_T4_T5_mT6_T7_P12ihipStream_tbENKUlT_T0_E_clISt17integral_constantIbLb1EESZ_EEDaSU_SV_EUlSU_E_NS1_11comp_targetILNS1_3genE2ELNS1_11target_archE906ELNS1_3gpuE6ELNS1_3repE0EEENS1_30default_config_static_selectorELNS0_4arch9wavefront6targetE1EEEvT1_,comdat
.Lfunc_end61:
	.size	_ZN7rocprim17ROCPRIM_400000_NS6detail17trampoline_kernelINS0_14default_configENS1_27scan_by_key_config_selectorIxxEEZZNS1_16scan_by_key_implILNS1_25lookback_scan_determinismE0ELb0ES3_N6thrust23THRUST_200600_302600_NS6detail15normal_iteratorINS9_10device_ptrIxEEEESE_SE_xNS9_10multipliesIxEENS9_8equal_toIxEExEE10hipError_tPvRmT2_T3_T4_T5_mT6_T7_P12ihipStream_tbENKUlT_T0_E_clISt17integral_constantIbLb1EESZ_EEDaSU_SV_EUlSU_E_NS1_11comp_targetILNS1_3genE2ELNS1_11target_archE906ELNS1_3gpuE6ELNS1_3repE0EEENS1_30default_config_static_selectorELNS0_4arch9wavefront6targetE1EEEvT1_, .Lfunc_end61-_ZN7rocprim17ROCPRIM_400000_NS6detail17trampoline_kernelINS0_14default_configENS1_27scan_by_key_config_selectorIxxEEZZNS1_16scan_by_key_implILNS1_25lookback_scan_determinismE0ELb0ES3_N6thrust23THRUST_200600_302600_NS6detail15normal_iteratorINS9_10device_ptrIxEEEESE_SE_xNS9_10multipliesIxEENS9_8equal_toIxEExEE10hipError_tPvRmT2_T3_T4_T5_mT6_T7_P12ihipStream_tbENKUlT_T0_E_clISt17integral_constantIbLb1EESZ_EEDaSU_SV_EUlSU_E_NS1_11comp_targetILNS1_3genE2ELNS1_11target_archE906ELNS1_3gpuE6ELNS1_3repE0EEENS1_30default_config_static_selectorELNS0_4arch9wavefront6targetE1EEEvT1_
                                        ; -- End function
	.section	.AMDGPU.csdata,"",@progbits
; Kernel info:
; codeLenInByte = 0
; NumSgprs: 6
; NumVgprs: 0
; NumAgprs: 0
; TotalNumVgprs: 0
; ScratchSize: 0
; MemoryBound: 0
; FloatMode: 240
; IeeeMode: 1
; LDSByteSize: 0 bytes/workgroup (compile time only)
; SGPRBlocks: 0
; VGPRBlocks: 0
; NumSGPRsForWavesPerEU: 6
; NumVGPRsForWavesPerEU: 1
; AccumOffset: 4
; Occupancy: 8
; WaveLimiterHint : 0
; COMPUTE_PGM_RSRC2:SCRATCH_EN: 0
; COMPUTE_PGM_RSRC2:USER_SGPR: 2
; COMPUTE_PGM_RSRC2:TRAP_HANDLER: 0
; COMPUTE_PGM_RSRC2:TGID_X_EN: 1
; COMPUTE_PGM_RSRC2:TGID_Y_EN: 0
; COMPUTE_PGM_RSRC2:TGID_Z_EN: 0
; COMPUTE_PGM_RSRC2:TIDIG_COMP_CNT: 0
; COMPUTE_PGM_RSRC3_GFX90A:ACCUM_OFFSET: 0
; COMPUTE_PGM_RSRC3_GFX90A:TG_SPLIT: 0
	.section	.text._ZN7rocprim17ROCPRIM_400000_NS6detail17trampoline_kernelINS0_14default_configENS1_27scan_by_key_config_selectorIxxEEZZNS1_16scan_by_key_implILNS1_25lookback_scan_determinismE0ELb0ES3_N6thrust23THRUST_200600_302600_NS6detail15normal_iteratorINS9_10device_ptrIxEEEESE_SE_xNS9_10multipliesIxEENS9_8equal_toIxEExEE10hipError_tPvRmT2_T3_T4_T5_mT6_T7_P12ihipStream_tbENKUlT_T0_E_clISt17integral_constantIbLb1EESZ_EEDaSU_SV_EUlSU_E_NS1_11comp_targetILNS1_3genE10ELNS1_11target_archE1200ELNS1_3gpuE4ELNS1_3repE0EEENS1_30default_config_static_selectorELNS0_4arch9wavefront6targetE1EEEvT1_,"axG",@progbits,_ZN7rocprim17ROCPRIM_400000_NS6detail17trampoline_kernelINS0_14default_configENS1_27scan_by_key_config_selectorIxxEEZZNS1_16scan_by_key_implILNS1_25lookback_scan_determinismE0ELb0ES3_N6thrust23THRUST_200600_302600_NS6detail15normal_iteratorINS9_10device_ptrIxEEEESE_SE_xNS9_10multipliesIxEENS9_8equal_toIxEExEE10hipError_tPvRmT2_T3_T4_T5_mT6_T7_P12ihipStream_tbENKUlT_T0_E_clISt17integral_constantIbLb1EESZ_EEDaSU_SV_EUlSU_E_NS1_11comp_targetILNS1_3genE10ELNS1_11target_archE1200ELNS1_3gpuE4ELNS1_3repE0EEENS1_30default_config_static_selectorELNS0_4arch9wavefront6targetE1EEEvT1_,comdat
	.protected	_ZN7rocprim17ROCPRIM_400000_NS6detail17trampoline_kernelINS0_14default_configENS1_27scan_by_key_config_selectorIxxEEZZNS1_16scan_by_key_implILNS1_25lookback_scan_determinismE0ELb0ES3_N6thrust23THRUST_200600_302600_NS6detail15normal_iteratorINS9_10device_ptrIxEEEESE_SE_xNS9_10multipliesIxEENS9_8equal_toIxEExEE10hipError_tPvRmT2_T3_T4_T5_mT6_T7_P12ihipStream_tbENKUlT_T0_E_clISt17integral_constantIbLb1EESZ_EEDaSU_SV_EUlSU_E_NS1_11comp_targetILNS1_3genE10ELNS1_11target_archE1200ELNS1_3gpuE4ELNS1_3repE0EEENS1_30default_config_static_selectorELNS0_4arch9wavefront6targetE1EEEvT1_ ; -- Begin function _ZN7rocprim17ROCPRIM_400000_NS6detail17trampoline_kernelINS0_14default_configENS1_27scan_by_key_config_selectorIxxEEZZNS1_16scan_by_key_implILNS1_25lookback_scan_determinismE0ELb0ES3_N6thrust23THRUST_200600_302600_NS6detail15normal_iteratorINS9_10device_ptrIxEEEESE_SE_xNS9_10multipliesIxEENS9_8equal_toIxEExEE10hipError_tPvRmT2_T3_T4_T5_mT6_T7_P12ihipStream_tbENKUlT_T0_E_clISt17integral_constantIbLb1EESZ_EEDaSU_SV_EUlSU_E_NS1_11comp_targetILNS1_3genE10ELNS1_11target_archE1200ELNS1_3gpuE4ELNS1_3repE0EEENS1_30default_config_static_selectorELNS0_4arch9wavefront6targetE1EEEvT1_
	.globl	_ZN7rocprim17ROCPRIM_400000_NS6detail17trampoline_kernelINS0_14default_configENS1_27scan_by_key_config_selectorIxxEEZZNS1_16scan_by_key_implILNS1_25lookback_scan_determinismE0ELb0ES3_N6thrust23THRUST_200600_302600_NS6detail15normal_iteratorINS9_10device_ptrIxEEEESE_SE_xNS9_10multipliesIxEENS9_8equal_toIxEExEE10hipError_tPvRmT2_T3_T4_T5_mT6_T7_P12ihipStream_tbENKUlT_T0_E_clISt17integral_constantIbLb1EESZ_EEDaSU_SV_EUlSU_E_NS1_11comp_targetILNS1_3genE10ELNS1_11target_archE1200ELNS1_3gpuE4ELNS1_3repE0EEENS1_30default_config_static_selectorELNS0_4arch9wavefront6targetE1EEEvT1_
	.p2align	8
	.type	_ZN7rocprim17ROCPRIM_400000_NS6detail17trampoline_kernelINS0_14default_configENS1_27scan_by_key_config_selectorIxxEEZZNS1_16scan_by_key_implILNS1_25lookback_scan_determinismE0ELb0ES3_N6thrust23THRUST_200600_302600_NS6detail15normal_iteratorINS9_10device_ptrIxEEEESE_SE_xNS9_10multipliesIxEENS9_8equal_toIxEExEE10hipError_tPvRmT2_T3_T4_T5_mT6_T7_P12ihipStream_tbENKUlT_T0_E_clISt17integral_constantIbLb1EESZ_EEDaSU_SV_EUlSU_E_NS1_11comp_targetILNS1_3genE10ELNS1_11target_archE1200ELNS1_3gpuE4ELNS1_3repE0EEENS1_30default_config_static_selectorELNS0_4arch9wavefront6targetE1EEEvT1_,@function
_ZN7rocprim17ROCPRIM_400000_NS6detail17trampoline_kernelINS0_14default_configENS1_27scan_by_key_config_selectorIxxEEZZNS1_16scan_by_key_implILNS1_25lookback_scan_determinismE0ELb0ES3_N6thrust23THRUST_200600_302600_NS6detail15normal_iteratorINS9_10device_ptrIxEEEESE_SE_xNS9_10multipliesIxEENS9_8equal_toIxEExEE10hipError_tPvRmT2_T3_T4_T5_mT6_T7_P12ihipStream_tbENKUlT_T0_E_clISt17integral_constantIbLb1EESZ_EEDaSU_SV_EUlSU_E_NS1_11comp_targetILNS1_3genE10ELNS1_11target_archE1200ELNS1_3gpuE4ELNS1_3repE0EEENS1_30default_config_static_selectorELNS0_4arch9wavefront6targetE1EEEvT1_: ; @_ZN7rocprim17ROCPRIM_400000_NS6detail17trampoline_kernelINS0_14default_configENS1_27scan_by_key_config_selectorIxxEEZZNS1_16scan_by_key_implILNS1_25lookback_scan_determinismE0ELb0ES3_N6thrust23THRUST_200600_302600_NS6detail15normal_iteratorINS9_10device_ptrIxEEEESE_SE_xNS9_10multipliesIxEENS9_8equal_toIxEExEE10hipError_tPvRmT2_T3_T4_T5_mT6_T7_P12ihipStream_tbENKUlT_T0_E_clISt17integral_constantIbLb1EESZ_EEDaSU_SV_EUlSU_E_NS1_11comp_targetILNS1_3genE10ELNS1_11target_archE1200ELNS1_3gpuE4ELNS1_3repE0EEENS1_30default_config_static_selectorELNS0_4arch9wavefront6targetE1EEEvT1_
; %bb.0:
	.section	.rodata,"a",@progbits
	.p2align	6, 0x0
	.amdhsa_kernel _ZN7rocprim17ROCPRIM_400000_NS6detail17trampoline_kernelINS0_14default_configENS1_27scan_by_key_config_selectorIxxEEZZNS1_16scan_by_key_implILNS1_25lookback_scan_determinismE0ELb0ES3_N6thrust23THRUST_200600_302600_NS6detail15normal_iteratorINS9_10device_ptrIxEEEESE_SE_xNS9_10multipliesIxEENS9_8equal_toIxEExEE10hipError_tPvRmT2_T3_T4_T5_mT6_T7_P12ihipStream_tbENKUlT_T0_E_clISt17integral_constantIbLb1EESZ_EEDaSU_SV_EUlSU_E_NS1_11comp_targetILNS1_3genE10ELNS1_11target_archE1200ELNS1_3gpuE4ELNS1_3repE0EEENS1_30default_config_static_selectorELNS0_4arch9wavefront6targetE1EEEvT1_
		.amdhsa_group_segment_fixed_size 0
		.amdhsa_private_segment_fixed_size 0
		.amdhsa_kernarg_size 136
		.amdhsa_user_sgpr_count 2
		.amdhsa_user_sgpr_dispatch_ptr 0
		.amdhsa_user_sgpr_queue_ptr 0
		.amdhsa_user_sgpr_kernarg_segment_ptr 1
		.amdhsa_user_sgpr_dispatch_id 0
		.amdhsa_user_sgpr_kernarg_preload_length 0
		.amdhsa_user_sgpr_kernarg_preload_offset 0
		.amdhsa_user_sgpr_private_segment_size 0
		.amdhsa_uses_dynamic_stack 0
		.amdhsa_enable_private_segment 0
		.amdhsa_system_sgpr_workgroup_id_x 1
		.amdhsa_system_sgpr_workgroup_id_y 0
		.amdhsa_system_sgpr_workgroup_id_z 0
		.amdhsa_system_sgpr_workgroup_info 0
		.amdhsa_system_vgpr_workitem_id 0
		.amdhsa_next_free_vgpr 1
		.amdhsa_next_free_sgpr 0
		.amdhsa_accum_offset 4
		.amdhsa_reserve_vcc 0
		.amdhsa_float_round_mode_32 0
		.amdhsa_float_round_mode_16_64 0
		.amdhsa_float_denorm_mode_32 3
		.amdhsa_float_denorm_mode_16_64 3
		.amdhsa_dx10_clamp 1
		.amdhsa_ieee_mode 1
		.amdhsa_fp16_overflow 0
		.amdhsa_tg_split 0
		.amdhsa_exception_fp_ieee_invalid_op 0
		.amdhsa_exception_fp_denorm_src 0
		.amdhsa_exception_fp_ieee_div_zero 0
		.amdhsa_exception_fp_ieee_overflow 0
		.amdhsa_exception_fp_ieee_underflow 0
		.amdhsa_exception_fp_ieee_inexact 0
		.amdhsa_exception_int_div_zero 0
	.end_amdhsa_kernel
	.section	.text._ZN7rocprim17ROCPRIM_400000_NS6detail17trampoline_kernelINS0_14default_configENS1_27scan_by_key_config_selectorIxxEEZZNS1_16scan_by_key_implILNS1_25lookback_scan_determinismE0ELb0ES3_N6thrust23THRUST_200600_302600_NS6detail15normal_iteratorINS9_10device_ptrIxEEEESE_SE_xNS9_10multipliesIxEENS9_8equal_toIxEExEE10hipError_tPvRmT2_T3_T4_T5_mT6_T7_P12ihipStream_tbENKUlT_T0_E_clISt17integral_constantIbLb1EESZ_EEDaSU_SV_EUlSU_E_NS1_11comp_targetILNS1_3genE10ELNS1_11target_archE1200ELNS1_3gpuE4ELNS1_3repE0EEENS1_30default_config_static_selectorELNS0_4arch9wavefront6targetE1EEEvT1_,"axG",@progbits,_ZN7rocprim17ROCPRIM_400000_NS6detail17trampoline_kernelINS0_14default_configENS1_27scan_by_key_config_selectorIxxEEZZNS1_16scan_by_key_implILNS1_25lookback_scan_determinismE0ELb0ES3_N6thrust23THRUST_200600_302600_NS6detail15normal_iteratorINS9_10device_ptrIxEEEESE_SE_xNS9_10multipliesIxEENS9_8equal_toIxEExEE10hipError_tPvRmT2_T3_T4_T5_mT6_T7_P12ihipStream_tbENKUlT_T0_E_clISt17integral_constantIbLb1EESZ_EEDaSU_SV_EUlSU_E_NS1_11comp_targetILNS1_3genE10ELNS1_11target_archE1200ELNS1_3gpuE4ELNS1_3repE0EEENS1_30default_config_static_selectorELNS0_4arch9wavefront6targetE1EEEvT1_,comdat
.Lfunc_end62:
	.size	_ZN7rocprim17ROCPRIM_400000_NS6detail17trampoline_kernelINS0_14default_configENS1_27scan_by_key_config_selectorIxxEEZZNS1_16scan_by_key_implILNS1_25lookback_scan_determinismE0ELb0ES3_N6thrust23THRUST_200600_302600_NS6detail15normal_iteratorINS9_10device_ptrIxEEEESE_SE_xNS9_10multipliesIxEENS9_8equal_toIxEExEE10hipError_tPvRmT2_T3_T4_T5_mT6_T7_P12ihipStream_tbENKUlT_T0_E_clISt17integral_constantIbLb1EESZ_EEDaSU_SV_EUlSU_E_NS1_11comp_targetILNS1_3genE10ELNS1_11target_archE1200ELNS1_3gpuE4ELNS1_3repE0EEENS1_30default_config_static_selectorELNS0_4arch9wavefront6targetE1EEEvT1_, .Lfunc_end62-_ZN7rocprim17ROCPRIM_400000_NS6detail17trampoline_kernelINS0_14default_configENS1_27scan_by_key_config_selectorIxxEEZZNS1_16scan_by_key_implILNS1_25lookback_scan_determinismE0ELb0ES3_N6thrust23THRUST_200600_302600_NS6detail15normal_iteratorINS9_10device_ptrIxEEEESE_SE_xNS9_10multipliesIxEENS9_8equal_toIxEExEE10hipError_tPvRmT2_T3_T4_T5_mT6_T7_P12ihipStream_tbENKUlT_T0_E_clISt17integral_constantIbLb1EESZ_EEDaSU_SV_EUlSU_E_NS1_11comp_targetILNS1_3genE10ELNS1_11target_archE1200ELNS1_3gpuE4ELNS1_3repE0EEENS1_30default_config_static_selectorELNS0_4arch9wavefront6targetE1EEEvT1_
                                        ; -- End function
	.section	.AMDGPU.csdata,"",@progbits
; Kernel info:
; codeLenInByte = 0
; NumSgprs: 6
; NumVgprs: 0
; NumAgprs: 0
; TotalNumVgprs: 0
; ScratchSize: 0
; MemoryBound: 0
; FloatMode: 240
; IeeeMode: 1
; LDSByteSize: 0 bytes/workgroup (compile time only)
; SGPRBlocks: 0
; VGPRBlocks: 0
; NumSGPRsForWavesPerEU: 6
; NumVGPRsForWavesPerEU: 1
; AccumOffset: 4
; Occupancy: 8
; WaveLimiterHint : 0
; COMPUTE_PGM_RSRC2:SCRATCH_EN: 0
; COMPUTE_PGM_RSRC2:USER_SGPR: 2
; COMPUTE_PGM_RSRC2:TRAP_HANDLER: 0
; COMPUTE_PGM_RSRC2:TGID_X_EN: 1
; COMPUTE_PGM_RSRC2:TGID_Y_EN: 0
; COMPUTE_PGM_RSRC2:TGID_Z_EN: 0
; COMPUTE_PGM_RSRC2:TIDIG_COMP_CNT: 0
; COMPUTE_PGM_RSRC3_GFX90A:ACCUM_OFFSET: 0
; COMPUTE_PGM_RSRC3_GFX90A:TG_SPLIT: 0
	.section	.text._ZN7rocprim17ROCPRIM_400000_NS6detail17trampoline_kernelINS0_14default_configENS1_27scan_by_key_config_selectorIxxEEZZNS1_16scan_by_key_implILNS1_25lookback_scan_determinismE0ELb0ES3_N6thrust23THRUST_200600_302600_NS6detail15normal_iteratorINS9_10device_ptrIxEEEESE_SE_xNS9_10multipliesIxEENS9_8equal_toIxEExEE10hipError_tPvRmT2_T3_T4_T5_mT6_T7_P12ihipStream_tbENKUlT_T0_E_clISt17integral_constantIbLb1EESZ_EEDaSU_SV_EUlSU_E_NS1_11comp_targetILNS1_3genE9ELNS1_11target_archE1100ELNS1_3gpuE3ELNS1_3repE0EEENS1_30default_config_static_selectorELNS0_4arch9wavefront6targetE1EEEvT1_,"axG",@progbits,_ZN7rocprim17ROCPRIM_400000_NS6detail17trampoline_kernelINS0_14default_configENS1_27scan_by_key_config_selectorIxxEEZZNS1_16scan_by_key_implILNS1_25lookback_scan_determinismE0ELb0ES3_N6thrust23THRUST_200600_302600_NS6detail15normal_iteratorINS9_10device_ptrIxEEEESE_SE_xNS9_10multipliesIxEENS9_8equal_toIxEExEE10hipError_tPvRmT2_T3_T4_T5_mT6_T7_P12ihipStream_tbENKUlT_T0_E_clISt17integral_constantIbLb1EESZ_EEDaSU_SV_EUlSU_E_NS1_11comp_targetILNS1_3genE9ELNS1_11target_archE1100ELNS1_3gpuE3ELNS1_3repE0EEENS1_30default_config_static_selectorELNS0_4arch9wavefront6targetE1EEEvT1_,comdat
	.protected	_ZN7rocprim17ROCPRIM_400000_NS6detail17trampoline_kernelINS0_14default_configENS1_27scan_by_key_config_selectorIxxEEZZNS1_16scan_by_key_implILNS1_25lookback_scan_determinismE0ELb0ES3_N6thrust23THRUST_200600_302600_NS6detail15normal_iteratorINS9_10device_ptrIxEEEESE_SE_xNS9_10multipliesIxEENS9_8equal_toIxEExEE10hipError_tPvRmT2_T3_T4_T5_mT6_T7_P12ihipStream_tbENKUlT_T0_E_clISt17integral_constantIbLb1EESZ_EEDaSU_SV_EUlSU_E_NS1_11comp_targetILNS1_3genE9ELNS1_11target_archE1100ELNS1_3gpuE3ELNS1_3repE0EEENS1_30default_config_static_selectorELNS0_4arch9wavefront6targetE1EEEvT1_ ; -- Begin function _ZN7rocprim17ROCPRIM_400000_NS6detail17trampoline_kernelINS0_14default_configENS1_27scan_by_key_config_selectorIxxEEZZNS1_16scan_by_key_implILNS1_25lookback_scan_determinismE0ELb0ES3_N6thrust23THRUST_200600_302600_NS6detail15normal_iteratorINS9_10device_ptrIxEEEESE_SE_xNS9_10multipliesIxEENS9_8equal_toIxEExEE10hipError_tPvRmT2_T3_T4_T5_mT6_T7_P12ihipStream_tbENKUlT_T0_E_clISt17integral_constantIbLb1EESZ_EEDaSU_SV_EUlSU_E_NS1_11comp_targetILNS1_3genE9ELNS1_11target_archE1100ELNS1_3gpuE3ELNS1_3repE0EEENS1_30default_config_static_selectorELNS0_4arch9wavefront6targetE1EEEvT1_
	.globl	_ZN7rocprim17ROCPRIM_400000_NS6detail17trampoline_kernelINS0_14default_configENS1_27scan_by_key_config_selectorIxxEEZZNS1_16scan_by_key_implILNS1_25lookback_scan_determinismE0ELb0ES3_N6thrust23THRUST_200600_302600_NS6detail15normal_iteratorINS9_10device_ptrIxEEEESE_SE_xNS9_10multipliesIxEENS9_8equal_toIxEExEE10hipError_tPvRmT2_T3_T4_T5_mT6_T7_P12ihipStream_tbENKUlT_T0_E_clISt17integral_constantIbLb1EESZ_EEDaSU_SV_EUlSU_E_NS1_11comp_targetILNS1_3genE9ELNS1_11target_archE1100ELNS1_3gpuE3ELNS1_3repE0EEENS1_30default_config_static_selectorELNS0_4arch9wavefront6targetE1EEEvT1_
	.p2align	8
	.type	_ZN7rocprim17ROCPRIM_400000_NS6detail17trampoline_kernelINS0_14default_configENS1_27scan_by_key_config_selectorIxxEEZZNS1_16scan_by_key_implILNS1_25lookback_scan_determinismE0ELb0ES3_N6thrust23THRUST_200600_302600_NS6detail15normal_iteratorINS9_10device_ptrIxEEEESE_SE_xNS9_10multipliesIxEENS9_8equal_toIxEExEE10hipError_tPvRmT2_T3_T4_T5_mT6_T7_P12ihipStream_tbENKUlT_T0_E_clISt17integral_constantIbLb1EESZ_EEDaSU_SV_EUlSU_E_NS1_11comp_targetILNS1_3genE9ELNS1_11target_archE1100ELNS1_3gpuE3ELNS1_3repE0EEENS1_30default_config_static_selectorELNS0_4arch9wavefront6targetE1EEEvT1_,@function
_ZN7rocprim17ROCPRIM_400000_NS6detail17trampoline_kernelINS0_14default_configENS1_27scan_by_key_config_selectorIxxEEZZNS1_16scan_by_key_implILNS1_25lookback_scan_determinismE0ELb0ES3_N6thrust23THRUST_200600_302600_NS6detail15normal_iteratorINS9_10device_ptrIxEEEESE_SE_xNS9_10multipliesIxEENS9_8equal_toIxEExEE10hipError_tPvRmT2_T3_T4_T5_mT6_T7_P12ihipStream_tbENKUlT_T0_E_clISt17integral_constantIbLb1EESZ_EEDaSU_SV_EUlSU_E_NS1_11comp_targetILNS1_3genE9ELNS1_11target_archE1100ELNS1_3gpuE3ELNS1_3repE0EEENS1_30default_config_static_selectorELNS0_4arch9wavefront6targetE1EEEvT1_: ; @_ZN7rocprim17ROCPRIM_400000_NS6detail17trampoline_kernelINS0_14default_configENS1_27scan_by_key_config_selectorIxxEEZZNS1_16scan_by_key_implILNS1_25lookback_scan_determinismE0ELb0ES3_N6thrust23THRUST_200600_302600_NS6detail15normal_iteratorINS9_10device_ptrIxEEEESE_SE_xNS9_10multipliesIxEENS9_8equal_toIxEExEE10hipError_tPvRmT2_T3_T4_T5_mT6_T7_P12ihipStream_tbENKUlT_T0_E_clISt17integral_constantIbLb1EESZ_EEDaSU_SV_EUlSU_E_NS1_11comp_targetILNS1_3genE9ELNS1_11target_archE1100ELNS1_3gpuE3ELNS1_3repE0EEENS1_30default_config_static_selectorELNS0_4arch9wavefront6targetE1EEEvT1_
; %bb.0:
	.section	.rodata,"a",@progbits
	.p2align	6, 0x0
	.amdhsa_kernel _ZN7rocprim17ROCPRIM_400000_NS6detail17trampoline_kernelINS0_14default_configENS1_27scan_by_key_config_selectorIxxEEZZNS1_16scan_by_key_implILNS1_25lookback_scan_determinismE0ELb0ES3_N6thrust23THRUST_200600_302600_NS6detail15normal_iteratorINS9_10device_ptrIxEEEESE_SE_xNS9_10multipliesIxEENS9_8equal_toIxEExEE10hipError_tPvRmT2_T3_T4_T5_mT6_T7_P12ihipStream_tbENKUlT_T0_E_clISt17integral_constantIbLb1EESZ_EEDaSU_SV_EUlSU_E_NS1_11comp_targetILNS1_3genE9ELNS1_11target_archE1100ELNS1_3gpuE3ELNS1_3repE0EEENS1_30default_config_static_selectorELNS0_4arch9wavefront6targetE1EEEvT1_
		.amdhsa_group_segment_fixed_size 0
		.amdhsa_private_segment_fixed_size 0
		.amdhsa_kernarg_size 136
		.amdhsa_user_sgpr_count 2
		.amdhsa_user_sgpr_dispatch_ptr 0
		.amdhsa_user_sgpr_queue_ptr 0
		.amdhsa_user_sgpr_kernarg_segment_ptr 1
		.amdhsa_user_sgpr_dispatch_id 0
		.amdhsa_user_sgpr_kernarg_preload_length 0
		.amdhsa_user_sgpr_kernarg_preload_offset 0
		.amdhsa_user_sgpr_private_segment_size 0
		.amdhsa_uses_dynamic_stack 0
		.amdhsa_enable_private_segment 0
		.amdhsa_system_sgpr_workgroup_id_x 1
		.amdhsa_system_sgpr_workgroup_id_y 0
		.amdhsa_system_sgpr_workgroup_id_z 0
		.amdhsa_system_sgpr_workgroup_info 0
		.amdhsa_system_vgpr_workitem_id 0
		.amdhsa_next_free_vgpr 1
		.amdhsa_next_free_sgpr 0
		.amdhsa_accum_offset 4
		.amdhsa_reserve_vcc 0
		.amdhsa_float_round_mode_32 0
		.amdhsa_float_round_mode_16_64 0
		.amdhsa_float_denorm_mode_32 3
		.amdhsa_float_denorm_mode_16_64 3
		.amdhsa_dx10_clamp 1
		.amdhsa_ieee_mode 1
		.amdhsa_fp16_overflow 0
		.amdhsa_tg_split 0
		.amdhsa_exception_fp_ieee_invalid_op 0
		.amdhsa_exception_fp_denorm_src 0
		.amdhsa_exception_fp_ieee_div_zero 0
		.amdhsa_exception_fp_ieee_overflow 0
		.amdhsa_exception_fp_ieee_underflow 0
		.amdhsa_exception_fp_ieee_inexact 0
		.amdhsa_exception_int_div_zero 0
	.end_amdhsa_kernel
	.section	.text._ZN7rocprim17ROCPRIM_400000_NS6detail17trampoline_kernelINS0_14default_configENS1_27scan_by_key_config_selectorIxxEEZZNS1_16scan_by_key_implILNS1_25lookback_scan_determinismE0ELb0ES3_N6thrust23THRUST_200600_302600_NS6detail15normal_iteratorINS9_10device_ptrIxEEEESE_SE_xNS9_10multipliesIxEENS9_8equal_toIxEExEE10hipError_tPvRmT2_T3_T4_T5_mT6_T7_P12ihipStream_tbENKUlT_T0_E_clISt17integral_constantIbLb1EESZ_EEDaSU_SV_EUlSU_E_NS1_11comp_targetILNS1_3genE9ELNS1_11target_archE1100ELNS1_3gpuE3ELNS1_3repE0EEENS1_30default_config_static_selectorELNS0_4arch9wavefront6targetE1EEEvT1_,"axG",@progbits,_ZN7rocprim17ROCPRIM_400000_NS6detail17trampoline_kernelINS0_14default_configENS1_27scan_by_key_config_selectorIxxEEZZNS1_16scan_by_key_implILNS1_25lookback_scan_determinismE0ELb0ES3_N6thrust23THRUST_200600_302600_NS6detail15normal_iteratorINS9_10device_ptrIxEEEESE_SE_xNS9_10multipliesIxEENS9_8equal_toIxEExEE10hipError_tPvRmT2_T3_T4_T5_mT6_T7_P12ihipStream_tbENKUlT_T0_E_clISt17integral_constantIbLb1EESZ_EEDaSU_SV_EUlSU_E_NS1_11comp_targetILNS1_3genE9ELNS1_11target_archE1100ELNS1_3gpuE3ELNS1_3repE0EEENS1_30default_config_static_selectorELNS0_4arch9wavefront6targetE1EEEvT1_,comdat
.Lfunc_end63:
	.size	_ZN7rocprim17ROCPRIM_400000_NS6detail17trampoline_kernelINS0_14default_configENS1_27scan_by_key_config_selectorIxxEEZZNS1_16scan_by_key_implILNS1_25lookback_scan_determinismE0ELb0ES3_N6thrust23THRUST_200600_302600_NS6detail15normal_iteratorINS9_10device_ptrIxEEEESE_SE_xNS9_10multipliesIxEENS9_8equal_toIxEExEE10hipError_tPvRmT2_T3_T4_T5_mT6_T7_P12ihipStream_tbENKUlT_T0_E_clISt17integral_constantIbLb1EESZ_EEDaSU_SV_EUlSU_E_NS1_11comp_targetILNS1_3genE9ELNS1_11target_archE1100ELNS1_3gpuE3ELNS1_3repE0EEENS1_30default_config_static_selectorELNS0_4arch9wavefront6targetE1EEEvT1_, .Lfunc_end63-_ZN7rocprim17ROCPRIM_400000_NS6detail17trampoline_kernelINS0_14default_configENS1_27scan_by_key_config_selectorIxxEEZZNS1_16scan_by_key_implILNS1_25lookback_scan_determinismE0ELb0ES3_N6thrust23THRUST_200600_302600_NS6detail15normal_iteratorINS9_10device_ptrIxEEEESE_SE_xNS9_10multipliesIxEENS9_8equal_toIxEExEE10hipError_tPvRmT2_T3_T4_T5_mT6_T7_P12ihipStream_tbENKUlT_T0_E_clISt17integral_constantIbLb1EESZ_EEDaSU_SV_EUlSU_E_NS1_11comp_targetILNS1_3genE9ELNS1_11target_archE1100ELNS1_3gpuE3ELNS1_3repE0EEENS1_30default_config_static_selectorELNS0_4arch9wavefront6targetE1EEEvT1_
                                        ; -- End function
	.section	.AMDGPU.csdata,"",@progbits
; Kernel info:
; codeLenInByte = 0
; NumSgprs: 6
; NumVgprs: 0
; NumAgprs: 0
; TotalNumVgprs: 0
; ScratchSize: 0
; MemoryBound: 0
; FloatMode: 240
; IeeeMode: 1
; LDSByteSize: 0 bytes/workgroup (compile time only)
; SGPRBlocks: 0
; VGPRBlocks: 0
; NumSGPRsForWavesPerEU: 6
; NumVGPRsForWavesPerEU: 1
; AccumOffset: 4
; Occupancy: 8
; WaveLimiterHint : 0
; COMPUTE_PGM_RSRC2:SCRATCH_EN: 0
; COMPUTE_PGM_RSRC2:USER_SGPR: 2
; COMPUTE_PGM_RSRC2:TRAP_HANDLER: 0
; COMPUTE_PGM_RSRC2:TGID_X_EN: 1
; COMPUTE_PGM_RSRC2:TGID_Y_EN: 0
; COMPUTE_PGM_RSRC2:TGID_Z_EN: 0
; COMPUTE_PGM_RSRC2:TIDIG_COMP_CNT: 0
; COMPUTE_PGM_RSRC3_GFX90A:ACCUM_OFFSET: 0
; COMPUTE_PGM_RSRC3_GFX90A:TG_SPLIT: 0
	.section	.text._ZN7rocprim17ROCPRIM_400000_NS6detail17trampoline_kernelINS0_14default_configENS1_27scan_by_key_config_selectorIxxEEZZNS1_16scan_by_key_implILNS1_25lookback_scan_determinismE0ELb0ES3_N6thrust23THRUST_200600_302600_NS6detail15normal_iteratorINS9_10device_ptrIxEEEESE_SE_xNS9_10multipliesIxEENS9_8equal_toIxEExEE10hipError_tPvRmT2_T3_T4_T5_mT6_T7_P12ihipStream_tbENKUlT_T0_E_clISt17integral_constantIbLb1EESZ_EEDaSU_SV_EUlSU_E_NS1_11comp_targetILNS1_3genE8ELNS1_11target_archE1030ELNS1_3gpuE2ELNS1_3repE0EEENS1_30default_config_static_selectorELNS0_4arch9wavefront6targetE1EEEvT1_,"axG",@progbits,_ZN7rocprim17ROCPRIM_400000_NS6detail17trampoline_kernelINS0_14default_configENS1_27scan_by_key_config_selectorIxxEEZZNS1_16scan_by_key_implILNS1_25lookback_scan_determinismE0ELb0ES3_N6thrust23THRUST_200600_302600_NS6detail15normal_iteratorINS9_10device_ptrIxEEEESE_SE_xNS9_10multipliesIxEENS9_8equal_toIxEExEE10hipError_tPvRmT2_T3_T4_T5_mT6_T7_P12ihipStream_tbENKUlT_T0_E_clISt17integral_constantIbLb1EESZ_EEDaSU_SV_EUlSU_E_NS1_11comp_targetILNS1_3genE8ELNS1_11target_archE1030ELNS1_3gpuE2ELNS1_3repE0EEENS1_30default_config_static_selectorELNS0_4arch9wavefront6targetE1EEEvT1_,comdat
	.protected	_ZN7rocprim17ROCPRIM_400000_NS6detail17trampoline_kernelINS0_14default_configENS1_27scan_by_key_config_selectorIxxEEZZNS1_16scan_by_key_implILNS1_25lookback_scan_determinismE0ELb0ES3_N6thrust23THRUST_200600_302600_NS6detail15normal_iteratorINS9_10device_ptrIxEEEESE_SE_xNS9_10multipliesIxEENS9_8equal_toIxEExEE10hipError_tPvRmT2_T3_T4_T5_mT6_T7_P12ihipStream_tbENKUlT_T0_E_clISt17integral_constantIbLb1EESZ_EEDaSU_SV_EUlSU_E_NS1_11comp_targetILNS1_3genE8ELNS1_11target_archE1030ELNS1_3gpuE2ELNS1_3repE0EEENS1_30default_config_static_selectorELNS0_4arch9wavefront6targetE1EEEvT1_ ; -- Begin function _ZN7rocprim17ROCPRIM_400000_NS6detail17trampoline_kernelINS0_14default_configENS1_27scan_by_key_config_selectorIxxEEZZNS1_16scan_by_key_implILNS1_25lookback_scan_determinismE0ELb0ES3_N6thrust23THRUST_200600_302600_NS6detail15normal_iteratorINS9_10device_ptrIxEEEESE_SE_xNS9_10multipliesIxEENS9_8equal_toIxEExEE10hipError_tPvRmT2_T3_T4_T5_mT6_T7_P12ihipStream_tbENKUlT_T0_E_clISt17integral_constantIbLb1EESZ_EEDaSU_SV_EUlSU_E_NS1_11comp_targetILNS1_3genE8ELNS1_11target_archE1030ELNS1_3gpuE2ELNS1_3repE0EEENS1_30default_config_static_selectorELNS0_4arch9wavefront6targetE1EEEvT1_
	.globl	_ZN7rocprim17ROCPRIM_400000_NS6detail17trampoline_kernelINS0_14default_configENS1_27scan_by_key_config_selectorIxxEEZZNS1_16scan_by_key_implILNS1_25lookback_scan_determinismE0ELb0ES3_N6thrust23THRUST_200600_302600_NS6detail15normal_iteratorINS9_10device_ptrIxEEEESE_SE_xNS9_10multipliesIxEENS9_8equal_toIxEExEE10hipError_tPvRmT2_T3_T4_T5_mT6_T7_P12ihipStream_tbENKUlT_T0_E_clISt17integral_constantIbLb1EESZ_EEDaSU_SV_EUlSU_E_NS1_11comp_targetILNS1_3genE8ELNS1_11target_archE1030ELNS1_3gpuE2ELNS1_3repE0EEENS1_30default_config_static_selectorELNS0_4arch9wavefront6targetE1EEEvT1_
	.p2align	8
	.type	_ZN7rocprim17ROCPRIM_400000_NS6detail17trampoline_kernelINS0_14default_configENS1_27scan_by_key_config_selectorIxxEEZZNS1_16scan_by_key_implILNS1_25lookback_scan_determinismE0ELb0ES3_N6thrust23THRUST_200600_302600_NS6detail15normal_iteratorINS9_10device_ptrIxEEEESE_SE_xNS9_10multipliesIxEENS9_8equal_toIxEExEE10hipError_tPvRmT2_T3_T4_T5_mT6_T7_P12ihipStream_tbENKUlT_T0_E_clISt17integral_constantIbLb1EESZ_EEDaSU_SV_EUlSU_E_NS1_11comp_targetILNS1_3genE8ELNS1_11target_archE1030ELNS1_3gpuE2ELNS1_3repE0EEENS1_30default_config_static_selectorELNS0_4arch9wavefront6targetE1EEEvT1_,@function
_ZN7rocprim17ROCPRIM_400000_NS6detail17trampoline_kernelINS0_14default_configENS1_27scan_by_key_config_selectorIxxEEZZNS1_16scan_by_key_implILNS1_25lookback_scan_determinismE0ELb0ES3_N6thrust23THRUST_200600_302600_NS6detail15normal_iteratorINS9_10device_ptrIxEEEESE_SE_xNS9_10multipliesIxEENS9_8equal_toIxEExEE10hipError_tPvRmT2_T3_T4_T5_mT6_T7_P12ihipStream_tbENKUlT_T0_E_clISt17integral_constantIbLb1EESZ_EEDaSU_SV_EUlSU_E_NS1_11comp_targetILNS1_3genE8ELNS1_11target_archE1030ELNS1_3gpuE2ELNS1_3repE0EEENS1_30default_config_static_selectorELNS0_4arch9wavefront6targetE1EEEvT1_: ; @_ZN7rocprim17ROCPRIM_400000_NS6detail17trampoline_kernelINS0_14default_configENS1_27scan_by_key_config_selectorIxxEEZZNS1_16scan_by_key_implILNS1_25lookback_scan_determinismE0ELb0ES3_N6thrust23THRUST_200600_302600_NS6detail15normal_iteratorINS9_10device_ptrIxEEEESE_SE_xNS9_10multipliesIxEENS9_8equal_toIxEExEE10hipError_tPvRmT2_T3_T4_T5_mT6_T7_P12ihipStream_tbENKUlT_T0_E_clISt17integral_constantIbLb1EESZ_EEDaSU_SV_EUlSU_E_NS1_11comp_targetILNS1_3genE8ELNS1_11target_archE1030ELNS1_3gpuE2ELNS1_3repE0EEENS1_30default_config_static_selectorELNS0_4arch9wavefront6targetE1EEEvT1_
; %bb.0:
	.section	.rodata,"a",@progbits
	.p2align	6, 0x0
	.amdhsa_kernel _ZN7rocprim17ROCPRIM_400000_NS6detail17trampoline_kernelINS0_14default_configENS1_27scan_by_key_config_selectorIxxEEZZNS1_16scan_by_key_implILNS1_25lookback_scan_determinismE0ELb0ES3_N6thrust23THRUST_200600_302600_NS6detail15normal_iteratorINS9_10device_ptrIxEEEESE_SE_xNS9_10multipliesIxEENS9_8equal_toIxEExEE10hipError_tPvRmT2_T3_T4_T5_mT6_T7_P12ihipStream_tbENKUlT_T0_E_clISt17integral_constantIbLb1EESZ_EEDaSU_SV_EUlSU_E_NS1_11comp_targetILNS1_3genE8ELNS1_11target_archE1030ELNS1_3gpuE2ELNS1_3repE0EEENS1_30default_config_static_selectorELNS0_4arch9wavefront6targetE1EEEvT1_
		.amdhsa_group_segment_fixed_size 0
		.amdhsa_private_segment_fixed_size 0
		.amdhsa_kernarg_size 136
		.amdhsa_user_sgpr_count 2
		.amdhsa_user_sgpr_dispatch_ptr 0
		.amdhsa_user_sgpr_queue_ptr 0
		.amdhsa_user_sgpr_kernarg_segment_ptr 1
		.amdhsa_user_sgpr_dispatch_id 0
		.amdhsa_user_sgpr_kernarg_preload_length 0
		.amdhsa_user_sgpr_kernarg_preload_offset 0
		.amdhsa_user_sgpr_private_segment_size 0
		.amdhsa_uses_dynamic_stack 0
		.amdhsa_enable_private_segment 0
		.amdhsa_system_sgpr_workgroup_id_x 1
		.amdhsa_system_sgpr_workgroup_id_y 0
		.amdhsa_system_sgpr_workgroup_id_z 0
		.amdhsa_system_sgpr_workgroup_info 0
		.amdhsa_system_vgpr_workitem_id 0
		.amdhsa_next_free_vgpr 1
		.amdhsa_next_free_sgpr 0
		.amdhsa_accum_offset 4
		.amdhsa_reserve_vcc 0
		.amdhsa_float_round_mode_32 0
		.amdhsa_float_round_mode_16_64 0
		.amdhsa_float_denorm_mode_32 3
		.amdhsa_float_denorm_mode_16_64 3
		.amdhsa_dx10_clamp 1
		.amdhsa_ieee_mode 1
		.amdhsa_fp16_overflow 0
		.amdhsa_tg_split 0
		.amdhsa_exception_fp_ieee_invalid_op 0
		.amdhsa_exception_fp_denorm_src 0
		.amdhsa_exception_fp_ieee_div_zero 0
		.amdhsa_exception_fp_ieee_overflow 0
		.amdhsa_exception_fp_ieee_underflow 0
		.amdhsa_exception_fp_ieee_inexact 0
		.amdhsa_exception_int_div_zero 0
	.end_amdhsa_kernel
	.section	.text._ZN7rocprim17ROCPRIM_400000_NS6detail17trampoline_kernelINS0_14default_configENS1_27scan_by_key_config_selectorIxxEEZZNS1_16scan_by_key_implILNS1_25lookback_scan_determinismE0ELb0ES3_N6thrust23THRUST_200600_302600_NS6detail15normal_iteratorINS9_10device_ptrIxEEEESE_SE_xNS9_10multipliesIxEENS9_8equal_toIxEExEE10hipError_tPvRmT2_T3_T4_T5_mT6_T7_P12ihipStream_tbENKUlT_T0_E_clISt17integral_constantIbLb1EESZ_EEDaSU_SV_EUlSU_E_NS1_11comp_targetILNS1_3genE8ELNS1_11target_archE1030ELNS1_3gpuE2ELNS1_3repE0EEENS1_30default_config_static_selectorELNS0_4arch9wavefront6targetE1EEEvT1_,"axG",@progbits,_ZN7rocprim17ROCPRIM_400000_NS6detail17trampoline_kernelINS0_14default_configENS1_27scan_by_key_config_selectorIxxEEZZNS1_16scan_by_key_implILNS1_25lookback_scan_determinismE0ELb0ES3_N6thrust23THRUST_200600_302600_NS6detail15normal_iteratorINS9_10device_ptrIxEEEESE_SE_xNS9_10multipliesIxEENS9_8equal_toIxEExEE10hipError_tPvRmT2_T3_T4_T5_mT6_T7_P12ihipStream_tbENKUlT_T0_E_clISt17integral_constantIbLb1EESZ_EEDaSU_SV_EUlSU_E_NS1_11comp_targetILNS1_3genE8ELNS1_11target_archE1030ELNS1_3gpuE2ELNS1_3repE0EEENS1_30default_config_static_selectorELNS0_4arch9wavefront6targetE1EEEvT1_,comdat
.Lfunc_end64:
	.size	_ZN7rocprim17ROCPRIM_400000_NS6detail17trampoline_kernelINS0_14default_configENS1_27scan_by_key_config_selectorIxxEEZZNS1_16scan_by_key_implILNS1_25lookback_scan_determinismE0ELb0ES3_N6thrust23THRUST_200600_302600_NS6detail15normal_iteratorINS9_10device_ptrIxEEEESE_SE_xNS9_10multipliesIxEENS9_8equal_toIxEExEE10hipError_tPvRmT2_T3_T4_T5_mT6_T7_P12ihipStream_tbENKUlT_T0_E_clISt17integral_constantIbLb1EESZ_EEDaSU_SV_EUlSU_E_NS1_11comp_targetILNS1_3genE8ELNS1_11target_archE1030ELNS1_3gpuE2ELNS1_3repE0EEENS1_30default_config_static_selectorELNS0_4arch9wavefront6targetE1EEEvT1_, .Lfunc_end64-_ZN7rocprim17ROCPRIM_400000_NS6detail17trampoline_kernelINS0_14default_configENS1_27scan_by_key_config_selectorIxxEEZZNS1_16scan_by_key_implILNS1_25lookback_scan_determinismE0ELb0ES3_N6thrust23THRUST_200600_302600_NS6detail15normal_iteratorINS9_10device_ptrIxEEEESE_SE_xNS9_10multipliesIxEENS9_8equal_toIxEExEE10hipError_tPvRmT2_T3_T4_T5_mT6_T7_P12ihipStream_tbENKUlT_T0_E_clISt17integral_constantIbLb1EESZ_EEDaSU_SV_EUlSU_E_NS1_11comp_targetILNS1_3genE8ELNS1_11target_archE1030ELNS1_3gpuE2ELNS1_3repE0EEENS1_30default_config_static_selectorELNS0_4arch9wavefront6targetE1EEEvT1_
                                        ; -- End function
	.section	.AMDGPU.csdata,"",@progbits
; Kernel info:
; codeLenInByte = 0
; NumSgprs: 6
; NumVgprs: 0
; NumAgprs: 0
; TotalNumVgprs: 0
; ScratchSize: 0
; MemoryBound: 0
; FloatMode: 240
; IeeeMode: 1
; LDSByteSize: 0 bytes/workgroup (compile time only)
; SGPRBlocks: 0
; VGPRBlocks: 0
; NumSGPRsForWavesPerEU: 6
; NumVGPRsForWavesPerEU: 1
; AccumOffset: 4
; Occupancy: 8
; WaveLimiterHint : 0
; COMPUTE_PGM_RSRC2:SCRATCH_EN: 0
; COMPUTE_PGM_RSRC2:USER_SGPR: 2
; COMPUTE_PGM_RSRC2:TRAP_HANDLER: 0
; COMPUTE_PGM_RSRC2:TGID_X_EN: 1
; COMPUTE_PGM_RSRC2:TGID_Y_EN: 0
; COMPUTE_PGM_RSRC2:TGID_Z_EN: 0
; COMPUTE_PGM_RSRC2:TIDIG_COMP_CNT: 0
; COMPUTE_PGM_RSRC3_GFX90A:ACCUM_OFFSET: 0
; COMPUTE_PGM_RSRC3_GFX90A:TG_SPLIT: 0
	.section	.text._ZN7rocprim17ROCPRIM_400000_NS6detail17trampoline_kernelINS0_14default_configENS1_27scan_by_key_config_selectorIxxEEZZNS1_16scan_by_key_implILNS1_25lookback_scan_determinismE0ELb0ES3_N6thrust23THRUST_200600_302600_NS6detail15normal_iteratorINS9_10device_ptrIxEEEESE_SE_xNS9_10multipliesIxEENS9_8equal_toIxEExEE10hipError_tPvRmT2_T3_T4_T5_mT6_T7_P12ihipStream_tbENKUlT_T0_E_clISt17integral_constantIbLb1EESY_IbLb0EEEEDaSU_SV_EUlSU_E_NS1_11comp_targetILNS1_3genE0ELNS1_11target_archE4294967295ELNS1_3gpuE0ELNS1_3repE0EEENS1_30default_config_static_selectorELNS0_4arch9wavefront6targetE1EEEvT1_,"axG",@progbits,_ZN7rocprim17ROCPRIM_400000_NS6detail17trampoline_kernelINS0_14default_configENS1_27scan_by_key_config_selectorIxxEEZZNS1_16scan_by_key_implILNS1_25lookback_scan_determinismE0ELb0ES3_N6thrust23THRUST_200600_302600_NS6detail15normal_iteratorINS9_10device_ptrIxEEEESE_SE_xNS9_10multipliesIxEENS9_8equal_toIxEExEE10hipError_tPvRmT2_T3_T4_T5_mT6_T7_P12ihipStream_tbENKUlT_T0_E_clISt17integral_constantIbLb1EESY_IbLb0EEEEDaSU_SV_EUlSU_E_NS1_11comp_targetILNS1_3genE0ELNS1_11target_archE4294967295ELNS1_3gpuE0ELNS1_3repE0EEENS1_30default_config_static_selectorELNS0_4arch9wavefront6targetE1EEEvT1_,comdat
	.protected	_ZN7rocprim17ROCPRIM_400000_NS6detail17trampoline_kernelINS0_14default_configENS1_27scan_by_key_config_selectorIxxEEZZNS1_16scan_by_key_implILNS1_25lookback_scan_determinismE0ELb0ES3_N6thrust23THRUST_200600_302600_NS6detail15normal_iteratorINS9_10device_ptrIxEEEESE_SE_xNS9_10multipliesIxEENS9_8equal_toIxEExEE10hipError_tPvRmT2_T3_T4_T5_mT6_T7_P12ihipStream_tbENKUlT_T0_E_clISt17integral_constantIbLb1EESY_IbLb0EEEEDaSU_SV_EUlSU_E_NS1_11comp_targetILNS1_3genE0ELNS1_11target_archE4294967295ELNS1_3gpuE0ELNS1_3repE0EEENS1_30default_config_static_selectorELNS0_4arch9wavefront6targetE1EEEvT1_ ; -- Begin function _ZN7rocprim17ROCPRIM_400000_NS6detail17trampoline_kernelINS0_14default_configENS1_27scan_by_key_config_selectorIxxEEZZNS1_16scan_by_key_implILNS1_25lookback_scan_determinismE0ELb0ES3_N6thrust23THRUST_200600_302600_NS6detail15normal_iteratorINS9_10device_ptrIxEEEESE_SE_xNS9_10multipliesIxEENS9_8equal_toIxEExEE10hipError_tPvRmT2_T3_T4_T5_mT6_T7_P12ihipStream_tbENKUlT_T0_E_clISt17integral_constantIbLb1EESY_IbLb0EEEEDaSU_SV_EUlSU_E_NS1_11comp_targetILNS1_3genE0ELNS1_11target_archE4294967295ELNS1_3gpuE0ELNS1_3repE0EEENS1_30default_config_static_selectorELNS0_4arch9wavefront6targetE1EEEvT1_
	.globl	_ZN7rocprim17ROCPRIM_400000_NS6detail17trampoline_kernelINS0_14default_configENS1_27scan_by_key_config_selectorIxxEEZZNS1_16scan_by_key_implILNS1_25lookback_scan_determinismE0ELb0ES3_N6thrust23THRUST_200600_302600_NS6detail15normal_iteratorINS9_10device_ptrIxEEEESE_SE_xNS9_10multipliesIxEENS9_8equal_toIxEExEE10hipError_tPvRmT2_T3_T4_T5_mT6_T7_P12ihipStream_tbENKUlT_T0_E_clISt17integral_constantIbLb1EESY_IbLb0EEEEDaSU_SV_EUlSU_E_NS1_11comp_targetILNS1_3genE0ELNS1_11target_archE4294967295ELNS1_3gpuE0ELNS1_3repE0EEENS1_30default_config_static_selectorELNS0_4arch9wavefront6targetE1EEEvT1_
	.p2align	8
	.type	_ZN7rocprim17ROCPRIM_400000_NS6detail17trampoline_kernelINS0_14default_configENS1_27scan_by_key_config_selectorIxxEEZZNS1_16scan_by_key_implILNS1_25lookback_scan_determinismE0ELb0ES3_N6thrust23THRUST_200600_302600_NS6detail15normal_iteratorINS9_10device_ptrIxEEEESE_SE_xNS9_10multipliesIxEENS9_8equal_toIxEExEE10hipError_tPvRmT2_T3_T4_T5_mT6_T7_P12ihipStream_tbENKUlT_T0_E_clISt17integral_constantIbLb1EESY_IbLb0EEEEDaSU_SV_EUlSU_E_NS1_11comp_targetILNS1_3genE0ELNS1_11target_archE4294967295ELNS1_3gpuE0ELNS1_3repE0EEENS1_30default_config_static_selectorELNS0_4arch9wavefront6targetE1EEEvT1_,@function
_ZN7rocprim17ROCPRIM_400000_NS6detail17trampoline_kernelINS0_14default_configENS1_27scan_by_key_config_selectorIxxEEZZNS1_16scan_by_key_implILNS1_25lookback_scan_determinismE0ELb0ES3_N6thrust23THRUST_200600_302600_NS6detail15normal_iteratorINS9_10device_ptrIxEEEESE_SE_xNS9_10multipliesIxEENS9_8equal_toIxEExEE10hipError_tPvRmT2_T3_T4_T5_mT6_T7_P12ihipStream_tbENKUlT_T0_E_clISt17integral_constantIbLb1EESY_IbLb0EEEEDaSU_SV_EUlSU_E_NS1_11comp_targetILNS1_3genE0ELNS1_11target_archE4294967295ELNS1_3gpuE0ELNS1_3repE0EEENS1_30default_config_static_selectorELNS0_4arch9wavefront6targetE1EEEvT1_: ; @_ZN7rocprim17ROCPRIM_400000_NS6detail17trampoline_kernelINS0_14default_configENS1_27scan_by_key_config_selectorIxxEEZZNS1_16scan_by_key_implILNS1_25lookback_scan_determinismE0ELb0ES3_N6thrust23THRUST_200600_302600_NS6detail15normal_iteratorINS9_10device_ptrIxEEEESE_SE_xNS9_10multipliesIxEENS9_8equal_toIxEExEE10hipError_tPvRmT2_T3_T4_T5_mT6_T7_P12ihipStream_tbENKUlT_T0_E_clISt17integral_constantIbLb1EESY_IbLb0EEEEDaSU_SV_EUlSU_E_NS1_11comp_targetILNS1_3genE0ELNS1_11target_archE4294967295ELNS1_3gpuE0ELNS1_3repE0EEENS1_30default_config_static_selectorELNS0_4arch9wavefront6targetE1EEEvT1_
; %bb.0:
	.section	.rodata,"a",@progbits
	.p2align	6, 0x0
	.amdhsa_kernel _ZN7rocprim17ROCPRIM_400000_NS6detail17trampoline_kernelINS0_14default_configENS1_27scan_by_key_config_selectorIxxEEZZNS1_16scan_by_key_implILNS1_25lookback_scan_determinismE0ELb0ES3_N6thrust23THRUST_200600_302600_NS6detail15normal_iteratorINS9_10device_ptrIxEEEESE_SE_xNS9_10multipliesIxEENS9_8equal_toIxEExEE10hipError_tPvRmT2_T3_T4_T5_mT6_T7_P12ihipStream_tbENKUlT_T0_E_clISt17integral_constantIbLb1EESY_IbLb0EEEEDaSU_SV_EUlSU_E_NS1_11comp_targetILNS1_3genE0ELNS1_11target_archE4294967295ELNS1_3gpuE0ELNS1_3repE0EEENS1_30default_config_static_selectorELNS0_4arch9wavefront6targetE1EEEvT1_
		.amdhsa_group_segment_fixed_size 0
		.amdhsa_private_segment_fixed_size 0
		.amdhsa_kernarg_size 136
		.amdhsa_user_sgpr_count 2
		.amdhsa_user_sgpr_dispatch_ptr 0
		.amdhsa_user_sgpr_queue_ptr 0
		.amdhsa_user_sgpr_kernarg_segment_ptr 1
		.amdhsa_user_sgpr_dispatch_id 0
		.amdhsa_user_sgpr_kernarg_preload_length 0
		.amdhsa_user_sgpr_kernarg_preload_offset 0
		.amdhsa_user_sgpr_private_segment_size 0
		.amdhsa_uses_dynamic_stack 0
		.amdhsa_enable_private_segment 0
		.amdhsa_system_sgpr_workgroup_id_x 1
		.amdhsa_system_sgpr_workgroup_id_y 0
		.amdhsa_system_sgpr_workgroup_id_z 0
		.amdhsa_system_sgpr_workgroup_info 0
		.amdhsa_system_vgpr_workitem_id 0
		.amdhsa_next_free_vgpr 1
		.amdhsa_next_free_sgpr 0
		.amdhsa_accum_offset 4
		.amdhsa_reserve_vcc 0
		.amdhsa_float_round_mode_32 0
		.amdhsa_float_round_mode_16_64 0
		.amdhsa_float_denorm_mode_32 3
		.amdhsa_float_denorm_mode_16_64 3
		.amdhsa_dx10_clamp 1
		.amdhsa_ieee_mode 1
		.amdhsa_fp16_overflow 0
		.amdhsa_tg_split 0
		.amdhsa_exception_fp_ieee_invalid_op 0
		.amdhsa_exception_fp_denorm_src 0
		.amdhsa_exception_fp_ieee_div_zero 0
		.amdhsa_exception_fp_ieee_overflow 0
		.amdhsa_exception_fp_ieee_underflow 0
		.amdhsa_exception_fp_ieee_inexact 0
		.amdhsa_exception_int_div_zero 0
	.end_amdhsa_kernel
	.section	.text._ZN7rocprim17ROCPRIM_400000_NS6detail17trampoline_kernelINS0_14default_configENS1_27scan_by_key_config_selectorIxxEEZZNS1_16scan_by_key_implILNS1_25lookback_scan_determinismE0ELb0ES3_N6thrust23THRUST_200600_302600_NS6detail15normal_iteratorINS9_10device_ptrIxEEEESE_SE_xNS9_10multipliesIxEENS9_8equal_toIxEExEE10hipError_tPvRmT2_T3_T4_T5_mT6_T7_P12ihipStream_tbENKUlT_T0_E_clISt17integral_constantIbLb1EESY_IbLb0EEEEDaSU_SV_EUlSU_E_NS1_11comp_targetILNS1_3genE0ELNS1_11target_archE4294967295ELNS1_3gpuE0ELNS1_3repE0EEENS1_30default_config_static_selectorELNS0_4arch9wavefront6targetE1EEEvT1_,"axG",@progbits,_ZN7rocprim17ROCPRIM_400000_NS6detail17trampoline_kernelINS0_14default_configENS1_27scan_by_key_config_selectorIxxEEZZNS1_16scan_by_key_implILNS1_25lookback_scan_determinismE0ELb0ES3_N6thrust23THRUST_200600_302600_NS6detail15normal_iteratorINS9_10device_ptrIxEEEESE_SE_xNS9_10multipliesIxEENS9_8equal_toIxEExEE10hipError_tPvRmT2_T3_T4_T5_mT6_T7_P12ihipStream_tbENKUlT_T0_E_clISt17integral_constantIbLb1EESY_IbLb0EEEEDaSU_SV_EUlSU_E_NS1_11comp_targetILNS1_3genE0ELNS1_11target_archE4294967295ELNS1_3gpuE0ELNS1_3repE0EEENS1_30default_config_static_selectorELNS0_4arch9wavefront6targetE1EEEvT1_,comdat
.Lfunc_end65:
	.size	_ZN7rocprim17ROCPRIM_400000_NS6detail17trampoline_kernelINS0_14default_configENS1_27scan_by_key_config_selectorIxxEEZZNS1_16scan_by_key_implILNS1_25lookback_scan_determinismE0ELb0ES3_N6thrust23THRUST_200600_302600_NS6detail15normal_iteratorINS9_10device_ptrIxEEEESE_SE_xNS9_10multipliesIxEENS9_8equal_toIxEExEE10hipError_tPvRmT2_T3_T4_T5_mT6_T7_P12ihipStream_tbENKUlT_T0_E_clISt17integral_constantIbLb1EESY_IbLb0EEEEDaSU_SV_EUlSU_E_NS1_11comp_targetILNS1_3genE0ELNS1_11target_archE4294967295ELNS1_3gpuE0ELNS1_3repE0EEENS1_30default_config_static_selectorELNS0_4arch9wavefront6targetE1EEEvT1_, .Lfunc_end65-_ZN7rocprim17ROCPRIM_400000_NS6detail17trampoline_kernelINS0_14default_configENS1_27scan_by_key_config_selectorIxxEEZZNS1_16scan_by_key_implILNS1_25lookback_scan_determinismE0ELb0ES3_N6thrust23THRUST_200600_302600_NS6detail15normal_iteratorINS9_10device_ptrIxEEEESE_SE_xNS9_10multipliesIxEENS9_8equal_toIxEExEE10hipError_tPvRmT2_T3_T4_T5_mT6_T7_P12ihipStream_tbENKUlT_T0_E_clISt17integral_constantIbLb1EESY_IbLb0EEEEDaSU_SV_EUlSU_E_NS1_11comp_targetILNS1_3genE0ELNS1_11target_archE4294967295ELNS1_3gpuE0ELNS1_3repE0EEENS1_30default_config_static_selectorELNS0_4arch9wavefront6targetE1EEEvT1_
                                        ; -- End function
	.section	.AMDGPU.csdata,"",@progbits
; Kernel info:
; codeLenInByte = 0
; NumSgprs: 6
; NumVgprs: 0
; NumAgprs: 0
; TotalNumVgprs: 0
; ScratchSize: 0
; MemoryBound: 0
; FloatMode: 240
; IeeeMode: 1
; LDSByteSize: 0 bytes/workgroup (compile time only)
; SGPRBlocks: 0
; VGPRBlocks: 0
; NumSGPRsForWavesPerEU: 6
; NumVGPRsForWavesPerEU: 1
; AccumOffset: 4
; Occupancy: 8
; WaveLimiterHint : 0
; COMPUTE_PGM_RSRC2:SCRATCH_EN: 0
; COMPUTE_PGM_RSRC2:USER_SGPR: 2
; COMPUTE_PGM_RSRC2:TRAP_HANDLER: 0
; COMPUTE_PGM_RSRC2:TGID_X_EN: 1
; COMPUTE_PGM_RSRC2:TGID_Y_EN: 0
; COMPUTE_PGM_RSRC2:TGID_Z_EN: 0
; COMPUTE_PGM_RSRC2:TIDIG_COMP_CNT: 0
; COMPUTE_PGM_RSRC3_GFX90A:ACCUM_OFFSET: 0
; COMPUTE_PGM_RSRC3_GFX90A:TG_SPLIT: 0
	.section	.text._ZN7rocprim17ROCPRIM_400000_NS6detail17trampoline_kernelINS0_14default_configENS1_27scan_by_key_config_selectorIxxEEZZNS1_16scan_by_key_implILNS1_25lookback_scan_determinismE0ELb0ES3_N6thrust23THRUST_200600_302600_NS6detail15normal_iteratorINS9_10device_ptrIxEEEESE_SE_xNS9_10multipliesIxEENS9_8equal_toIxEExEE10hipError_tPvRmT2_T3_T4_T5_mT6_T7_P12ihipStream_tbENKUlT_T0_E_clISt17integral_constantIbLb1EESY_IbLb0EEEEDaSU_SV_EUlSU_E_NS1_11comp_targetILNS1_3genE10ELNS1_11target_archE1201ELNS1_3gpuE5ELNS1_3repE0EEENS1_30default_config_static_selectorELNS0_4arch9wavefront6targetE1EEEvT1_,"axG",@progbits,_ZN7rocprim17ROCPRIM_400000_NS6detail17trampoline_kernelINS0_14default_configENS1_27scan_by_key_config_selectorIxxEEZZNS1_16scan_by_key_implILNS1_25lookback_scan_determinismE0ELb0ES3_N6thrust23THRUST_200600_302600_NS6detail15normal_iteratorINS9_10device_ptrIxEEEESE_SE_xNS9_10multipliesIxEENS9_8equal_toIxEExEE10hipError_tPvRmT2_T3_T4_T5_mT6_T7_P12ihipStream_tbENKUlT_T0_E_clISt17integral_constantIbLb1EESY_IbLb0EEEEDaSU_SV_EUlSU_E_NS1_11comp_targetILNS1_3genE10ELNS1_11target_archE1201ELNS1_3gpuE5ELNS1_3repE0EEENS1_30default_config_static_selectorELNS0_4arch9wavefront6targetE1EEEvT1_,comdat
	.protected	_ZN7rocprim17ROCPRIM_400000_NS6detail17trampoline_kernelINS0_14default_configENS1_27scan_by_key_config_selectorIxxEEZZNS1_16scan_by_key_implILNS1_25lookback_scan_determinismE0ELb0ES3_N6thrust23THRUST_200600_302600_NS6detail15normal_iteratorINS9_10device_ptrIxEEEESE_SE_xNS9_10multipliesIxEENS9_8equal_toIxEExEE10hipError_tPvRmT2_T3_T4_T5_mT6_T7_P12ihipStream_tbENKUlT_T0_E_clISt17integral_constantIbLb1EESY_IbLb0EEEEDaSU_SV_EUlSU_E_NS1_11comp_targetILNS1_3genE10ELNS1_11target_archE1201ELNS1_3gpuE5ELNS1_3repE0EEENS1_30default_config_static_selectorELNS0_4arch9wavefront6targetE1EEEvT1_ ; -- Begin function _ZN7rocprim17ROCPRIM_400000_NS6detail17trampoline_kernelINS0_14default_configENS1_27scan_by_key_config_selectorIxxEEZZNS1_16scan_by_key_implILNS1_25lookback_scan_determinismE0ELb0ES3_N6thrust23THRUST_200600_302600_NS6detail15normal_iteratorINS9_10device_ptrIxEEEESE_SE_xNS9_10multipliesIxEENS9_8equal_toIxEExEE10hipError_tPvRmT2_T3_T4_T5_mT6_T7_P12ihipStream_tbENKUlT_T0_E_clISt17integral_constantIbLb1EESY_IbLb0EEEEDaSU_SV_EUlSU_E_NS1_11comp_targetILNS1_3genE10ELNS1_11target_archE1201ELNS1_3gpuE5ELNS1_3repE0EEENS1_30default_config_static_selectorELNS0_4arch9wavefront6targetE1EEEvT1_
	.globl	_ZN7rocprim17ROCPRIM_400000_NS6detail17trampoline_kernelINS0_14default_configENS1_27scan_by_key_config_selectorIxxEEZZNS1_16scan_by_key_implILNS1_25lookback_scan_determinismE0ELb0ES3_N6thrust23THRUST_200600_302600_NS6detail15normal_iteratorINS9_10device_ptrIxEEEESE_SE_xNS9_10multipliesIxEENS9_8equal_toIxEExEE10hipError_tPvRmT2_T3_T4_T5_mT6_T7_P12ihipStream_tbENKUlT_T0_E_clISt17integral_constantIbLb1EESY_IbLb0EEEEDaSU_SV_EUlSU_E_NS1_11comp_targetILNS1_3genE10ELNS1_11target_archE1201ELNS1_3gpuE5ELNS1_3repE0EEENS1_30default_config_static_selectorELNS0_4arch9wavefront6targetE1EEEvT1_
	.p2align	8
	.type	_ZN7rocprim17ROCPRIM_400000_NS6detail17trampoline_kernelINS0_14default_configENS1_27scan_by_key_config_selectorIxxEEZZNS1_16scan_by_key_implILNS1_25lookback_scan_determinismE0ELb0ES3_N6thrust23THRUST_200600_302600_NS6detail15normal_iteratorINS9_10device_ptrIxEEEESE_SE_xNS9_10multipliesIxEENS9_8equal_toIxEExEE10hipError_tPvRmT2_T3_T4_T5_mT6_T7_P12ihipStream_tbENKUlT_T0_E_clISt17integral_constantIbLb1EESY_IbLb0EEEEDaSU_SV_EUlSU_E_NS1_11comp_targetILNS1_3genE10ELNS1_11target_archE1201ELNS1_3gpuE5ELNS1_3repE0EEENS1_30default_config_static_selectorELNS0_4arch9wavefront6targetE1EEEvT1_,@function
_ZN7rocprim17ROCPRIM_400000_NS6detail17trampoline_kernelINS0_14default_configENS1_27scan_by_key_config_selectorIxxEEZZNS1_16scan_by_key_implILNS1_25lookback_scan_determinismE0ELb0ES3_N6thrust23THRUST_200600_302600_NS6detail15normal_iteratorINS9_10device_ptrIxEEEESE_SE_xNS9_10multipliesIxEENS9_8equal_toIxEExEE10hipError_tPvRmT2_T3_T4_T5_mT6_T7_P12ihipStream_tbENKUlT_T0_E_clISt17integral_constantIbLb1EESY_IbLb0EEEEDaSU_SV_EUlSU_E_NS1_11comp_targetILNS1_3genE10ELNS1_11target_archE1201ELNS1_3gpuE5ELNS1_3repE0EEENS1_30default_config_static_selectorELNS0_4arch9wavefront6targetE1EEEvT1_: ; @_ZN7rocprim17ROCPRIM_400000_NS6detail17trampoline_kernelINS0_14default_configENS1_27scan_by_key_config_selectorIxxEEZZNS1_16scan_by_key_implILNS1_25lookback_scan_determinismE0ELb0ES3_N6thrust23THRUST_200600_302600_NS6detail15normal_iteratorINS9_10device_ptrIxEEEESE_SE_xNS9_10multipliesIxEENS9_8equal_toIxEExEE10hipError_tPvRmT2_T3_T4_T5_mT6_T7_P12ihipStream_tbENKUlT_T0_E_clISt17integral_constantIbLb1EESY_IbLb0EEEEDaSU_SV_EUlSU_E_NS1_11comp_targetILNS1_3genE10ELNS1_11target_archE1201ELNS1_3gpuE5ELNS1_3repE0EEENS1_30default_config_static_selectorELNS0_4arch9wavefront6targetE1EEEvT1_
; %bb.0:
	.section	.rodata,"a",@progbits
	.p2align	6, 0x0
	.amdhsa_kernel _ZN7rocprim17ROCPRIM_400000_NS6detail17trampoline_kernelINS0_14default_configENS1_27scan_by_key_config_selectorIxxEEZZNS1_16scan_by_key_implILNS1_25lookback_scan_determinismE0ELb0ES3_N6thrust23THRUST_200600_302600_NS6detail15normal_iteratorINS9_10device_ptrIxEEEESE_SE_xNS9_10multipliesIxEENS9_8equal_toIxEExEE10hipError_tPvRmT2_T3_T4_T5_mT6_T7_P12ihipStream_tbENKUlT_T0_E_clISt17integral_constantIbLb1EESY_IbLb0EEEEDaSU_SV_EUlSU_E_NS1_11comp_targetILNS1_3genE10ELNS1_11target_archE1201ELNS1_3gpuE5ELNS1_3repE0EEENS1_30default_config_static_selectorELNS0_4arch9wavefront6targetE1EEEvT1_
		.amdhsa_group_segment_fixed_size 0
		.amdhsa_private_segment_fixed_size 0
		.amdhsa_kernarg_size 136
		.amdhsa_user_sgpr_count 2
		.amdhsa_user_sgpr_dispatch_ptr 0
		.amdhsa_user_sgpr_queue_ptr 0
		.amdhsa_user_sgpr_kernarg_segment_ptr 1
		.amdhsa_user_sgpr_dispatch_id 0
		.amdhsa_user_sgpr_kernarg_preload_length 0
		.amdhsa_user_sgpr_kernarg_preload_offset 0
		.amdhsa_user_sgpr_private_segment_size 0
		.amdhsa_uses_dynamic_stack 0
		.amdhsa_enable_private_segment 0
		.amdhsa_system_sgpr_workgroup_id_x 1
		.amdhsa_system_sgpr_workgroup_id_y 0
		.amdhsa_system_sgpr_workgroup_id_z 0
		.amdhsa_system_sgpr_workgroup_info 0
		.amdhsa_system_vgpr_workitem_id 0
		.amdhsa_next_free_vgpr 1
		.amdhsa_next_free_sgpr 0
		.amdhsa_accum_offset 4
		.amdhsa_reserve_vcc 0
		.amdhsa_float_round_mode_32 0
		.amdhsa_float_round_mode_16_64 0
		.amdhsa_float_denorm_mode_32 3
		.amdhsa_float_denorm_mode_16_64 3
		.amdhsa_dx10_clamp 1
		.amdhsa_ieee_mode 1
		.amdhsa_fp16_overflow 0
		.amdhsa_tg_split 0
		.amdhsa_exception_fp_ieee_invalid_op 0
		.amdhsa_exception_fp_denorm_src 0
		.amdhsa_exception_fp_ieee_div_zero 0
		.amdhsa_exception_fp_ieee_overflow 0
		.amdhsa_exception_fp_ieee_underflow 0
		.amdhsa_exception_fp_ieee_inexact 0
		.amdhsa_exception_int_div_zero 0
	.end_amdhsa_kernel
	.section	.text._ZN7rocprim17ROCPRIM_400000_NS6detail17trampoline_kernelINS0_14default_configENS1_27scan_by_key_config_selectorIxxEEZZNS1_16scan_by_key_implILNS1_25lookback_scan_determinismE0ELb0ES3_N6thrust23THRUST_200600_302600_NS6detail15normal_iteratorINS9_10device_ptrIxEEEESE_SE_xNS9_10multipliesIxEENS9_8equal_toIxEExEE10hipError_tPvRmT2_T3_T4_T5_mT6_T7_P12ihipStream_tbENKUlT_T0_E_clISt17integral_constantIbLb1EESY_IbLb0EEEEDaSU_SV_EUlSU_E_NS1_11comp_targetILNS1_3genE10ELNS1_11target_archE1201ELNS1_3gpuE5ELNS1_3repE0EEENS1_30default_config_static_selectorELNS0_4arch9wavefront6targetE1EEEvT1_,"axG",@progbits,_ZN7rocprim17ROCPRIM_400000_NS6detail17trampoline_kernelINS0_14default_configENS1_27scan_by_key_config_selectorIxxEEZZNS1_16scan_by_key_implILNS1_25lookback_scan_determinismE0ELb0ES3_N6thrust23THRUST_200600_302600_NS6detail15normal_iteratorINS9_10device_ptrIxEEEESE_SE_xNS9_10multipliesIxEENS9_8equal_toIxEExEE10hipError_tPvRmT2_T3_T4_T5_mT6_T7_P12ihipStream_tbENKUlT_T0_E_clISt17integral_constantIbLb1EESY_IbLb0EEEEDaSU_SV_EUlSU_E_NS1_11comp_targetILNS1_3genE10ELNS1_11target_archE1201ELNS1_3gpuE5ELNS1_3repE0EEENS1_30default_config_static_selectorELNS0_4arch9wavefront6targetE1EEEvT1_,comdat
.Lfunc_end66:
	.size	_ZN7rocprim17ROCPRIM_400000_NS6detail17trampoline_kernelINS0_14default_configENS1_27scan_by_key_config_selectorIxxEEZZNS1_16scan_by_key_implILNS1_25lookback_scan_determinismE0ELb0ES3_N6thrust23THRUST_200600_302600_NS6detail15normal_iteratorINS9_10device_ptrIxEEEESE_SE_xNS9_10multipliesIxEENS9_8equal_toIxEExEE10hipError_tPvRmT2_T3_T4_T5_mT6_T7_P12ihipStream_tbENKUlT_T0_E_clISt17integral_constantIbLb1EESY_IbLb0EEEEDaSU_SV_EUlSU_E_NS1_11comp_targetILNS1_3genE10ELNS1_11target_archE1201ELNS1_3gpuE5ELNS1_3repE0EEENS1_30default_config_static_selectorELNS0_4arch9wavefront6targetE1EEEvT1_, .Lfunc_end66-_ZN7rocprim17ROCPRIM_400000_NS6detail17trampoline_kernelINS0_14default_configENS1_27scan_by_key_config_selectorIxxEEZZNS1_16scan_by_key_implILNS1_25lookback_scan_determinismE0ELb0ES3_N6thrust23THRUST_200600_302600_NS6detail15normal_iteratorINS9_10device_ptrIxEEEESE_SE_xNS9_10multipliesIxEENS9_8equal_toIxEExEE10hipError_tPvRmT2_T3_T4_T5_mT6_T7_P12ihipStream_tbENKUlT_T0_E_clISt17integral_constantIbLb1EESY_IbLb0EEEEDaSU_SV_EUlSU_E_NS1_11comp_targetILNS1_3genE10ELNS1_11target_archE1201ELNS1_3gpuE5ELNS1_3repE0EEENS1_30default_config_static_selectorELNS0_4arch9wavefront6targetE1EEEvT1_
                                        ; -- End function
	.section	.AMDGPU.csdata,"",@progbits
; Kernel info:
; codeLenInByte = 0
; NumSgprs: 6
; NumVgprs: 0
; NumAgprs: 0
; TotalNumVgprs: 0
; ScratchSize: 0
; MemoryBound: 0
; FloatMode: 240
; IeeeMode: 1
; LDSByteSize: 0 bytes/workgroup (compile time only)
; SGPRBlocks: 0
; VGPRBlocks: 0
; NumSGPRsForWavesPerEU: 6
; NumVGPRsForWavesPerEU: 1
; AccumOffset: 4
; Occupancy: 8
; WaveLimiterHint : 0
; COMPUTE_PGM_RSRC2:SCRATCH_EN: 0
; COMPUTE_PGM_RSRC2:USER_SGPR: 2
; COMPUTE_PGM_RSRC2:TRAP_HANDLER: 0
; COMPUTE_PGM_RSRC2:TGID_X_EN: 1
; COMPUTE_PGM_RSRC2:TGID_Y_EN: 0
; COMPUTE_PGM_RSRC2:TGID_Z_EN: 0
; COMPUTE_PGM_RSRC2:TIDIG_COMP_CNT: 0
; COMPUTE_PGM_RSRC3_GFX90A:ACCUM_OFFSET: 0
; COMPUTE_PGM_RSRC3_GFX90A:TG_SPLIT: 0
	.section	.text._ZN7rocprim17ROCPRIM_400000_NS6detail17trampoline_kernelINS0_14default_configENS1_27scan_by_key_config_selectorIxxEEZZNS1_16scan_by_key_implILNS1_25lookback_scan_determinismE0ELb0ES3_N6thrust23THRUST_200600_302600_NS6detail15normal_iteratorINS9_10device_ptrIxEEEESE_SE_xNS9_10multipliesIxEENS9_8equal_toIxEExEE10hipError_tPvRmT2_T3_T4_T5_mT6_T7_P12ihipStream_tbENKUlT_T0_E_clISt17integral_constantIbLb1EESY_IbLb0EEEEDaSU_SV_EUlSU_E_NS1_11comp_targetILNS1_3genE5ELNS1_11target_archE942ELNS1_3gpuE9ELNS1_3repE0EEENS1_30default_config_static_selectorELNS0_4arch9wavefront6targetE1EEEvT1_,"axG",@progbits,_ZN7rocprim17ROCPRIM_400000_NS6detail17trampoline_kernelINS0_14default_configENS1_27scan_by_key_config_selectorIxxEEZZNS1_16scan_by_key_implILNS1_25lookback_scan_determinismE0ELb0ES3_N6thrust23THRUST_200600_302600_NS6detail15normal_iteratorINS9_10device_ptrIxEEEESE_SE_xNS9_10multipliesIxEENS9_8equal_toIxEExEE10hipError_tPvRmT2_T3_T4_T5_mT6_T7_P12ihipStream_tbENKUlT_T0_E_clISt17integral_constantIbLb1EESY_IbLb0EEEEDaSU_SV_EUlSU_E_NS1_11comp_targetILNS1_3genE5ELNS1_11target_archE942ELNS1_3gpuE9ELNS1_3repE0EEENS1_30default_config_static_selectorELNS0_4arch9wavefront6targetE1EEEvT1_,comdat
	.protected	_ZN7rocprim17ROCPRIM_400000_NS6detail17trampoline_kernelINS0_14default_configENS1_27scan_by_key_config_selectorIxxEEZZNS1_16scan_by_key_implILNS1_25lookback_scan_determinismE0ELb0ES3_N6thrust23THRUST_200600_302600_NS6detail15normal_iteratorINS9_10device_ptrIxEEEESE_SE_xNS9_10multipliesIxEENS9_8equal_toIxEExEE10hipError_tPvRmT2_T3_T4_T5_mT6_T7_P12ihipStream_tbENKUlT_T0_E_clISt17integral_constantIbLb1EESY_IbLb0EEEEDaSU_SV_EUlSU_E_NS1_11comp_targetILNS1_3genE5ELNS1_11target_archE942ELNS1_3gpuE9ELNS1_3repE0EEENS1_30default_config_static_selectorELNS0_4arch9wavefront6targetE1EEEvT1_ ; -- Begin function _ZN7rocprim17ROCPRIM_400000_NS6detail17trampoline_kernelINS0_14default_configENS1_27scan_by_key_config_selectorIxxEEZZNS1_16scan_by_key_implILNS1_25lookback_scan_determinismE0ELb0ES3_N6thrust23THRUST_200600_302600_NS6detail15normal_iteratorINS9_10device_ptrIxEEEESE_SE_xNS9_10multipliesIxEENS9_8equal_toIxEExEE10hipError_tPvRmT2_T3_T4_T5_mT6_T7_P12ihipStream_tbENKUlT_T0_E_clISt17integral_constantIbLb1EESY_IbLb0EEEEDaSU_SV_EUlSU_E_NS1_11comp_targetILNS1_3genE5ELNS1_11target_archE942ELNS1_3gpuE9ELNS1_3repE0EEENS1_30default_config_static_selectorELNS0_4arch9wavefront6targetE1EEEvT1_
	.globl	_ZN7rocprim17ROCPRIM_400000_NS6detail17trampoline_kernelINS0_14default_configENS1_27scan_by_key_config_selectorIxxEEZZNS1_16scan_by_key_implILNS1_25lookback_scan_determinismE0ELb0ES3_N6thrust23THRUST_200600_302600_NS6detail15normal_iteratorINS9_10device_ptrIxEEEESE_SE_xNS9_10multipliesIxEENS9_8equal_toIxEExEE10hipError_tPvRmT2_T3_T4_T5_mT6_T7_P12ihipStream_tbENKUlT_T0_E_clISt17integral_constantIbLb1EESY_IbLb0EEEEDaSU_SV_EUlSU_E_NS1_11comp_targetILNS1_3genE5ELNS1_11target_archE942ELNS1_3gpuE9ELNS1_3repE0EEENS1_30default_config_static_selectorELNS0_4arch9wavefront6targetE1EEEvT1_
	.p2align	8
	.type	_ZN7rocprim17ROCPRIM_400000_NS6detail17trampoline_kernelINS0_14default_configENS1_27scan_by_key_config_selectorIxxEEZZNS1_16scan_by_key_implILNS1_25lookback_scan_determinismE0ELb0ES3_N6thrust23THRUST_200600_302600_NS6detail15normal_iteratorINS9_10device_ptrIxEEEESE_SE_xNS9_10multipliesIxEENS9_8equal_toIxEExEE10hipError_tPvRmT2_T3_T4_T5_mT6_T7_P12ihipStream_tbENKUlT_T0_E_clISt17integral_constantIbLb1EESY_IbLb0EEEEDaSU_SV_EUlSU_E_NS1_11comp_targetILNS1_3genE5ELNS1_11target_archE942ELNS1_3gpuE9ELNS1_3repE0EEENS1_30default_config_static_selectorELNS0_4arch9wavefront6targetE1EEEvT1_,@function
_ZN7rocprim17ROCPRIM_400000_NS6detail17trampoline_kernelINS0_14default_configENS1_27scan_by_key_config_selectorIxxEEZZNS1_16scan_by_key_implILNS1_25lookback_scan_determinismE0ELb0ES3_N6thrust23THRUST_200600_302600_NS6detail15normal_iteratorINS9_10device_ptrIxEEEESE_SE_xNS9_10multipliesIxEENS9_8equal_toIxEExEE10hipError_tPvRmT2_T3_T4_T5_mT6_T7_P12ihipStream_tbENKUlT_T0_E_clISt17integral_constantIbLb1EESY_IbLb0EEEEDaSU_SV_EUlSU_E_NS1_11comp_targetILNS1_3genE5ELNS1_11target_archE942ELNS1_3gpuE9ELNS1_3repE0EEENS1_30default_config_static_selectorELNS0_4arch9wavefront6targetE1EEEvT1_: ; @_ZN7rocprim17ROCPRIM_400000_NS6detail17trampoline_kernelINS0_14default_configENS1_27scan_by_key_config_selectorIxxEEZZNS1_16scan_by_key_implILNS1_25lookback_scan_determinismE0ELb0ES3_N6thrust23THRUST_200600_302600_NS6detail15normal_iteratorINS9_10device_ptrIxEEEESE_SE_xNS9_10multipliesIxEENS9_8equal_toIxEExEE10hipError_tPvRmT2_T3_T4_T5_mT6_T7_P12ihipStream_tbENKUlT_T0_E_clISt17integral_constantIbLb1EESY_IbLb0EEEEDaSU_SV_EUlSU_E_NS1_11comp_targetILNS1_3genE5ELNS1_11target_archE942ELNS1_3gpuE9ELNS1_3repE0EEENS1_30default_config_static_selectorELNS0_4arch9wavefront6targetE1EEEvT1_
; %bb.0:
	s_load_dwordx8 s[44:51], s[0:1], 0x0
	s_load_dwordx8 s[36:43], s[0:1], 0x30
	s_load_dwordx2 s[60:61], s[0:1], 0x50
	s_load_dword s3, s[0:1], 0x58
	s_load_dwordx8 s[52:59], s[0:1], 0x60
	s_waitcnt lgkmcnt(0)
	s_lshl_b64 s[46:47], s[46:47], 3
	s_add_u32 s4, s44, s46
	s_addc_u32 s5, s45, s47
	s_add_u32 s6, s48, s46
	s_mul_i32 s0, s61, s3
	s_mul_hi_u32 s1, s60, s3
	s_addc_u32 s7, s49, s47
	s_add_i32 s8, s1, s0
	s_cmp_lg_u64 s[56:57], 0
	s_mul_i32 s0, s2, 0xe00
	s_mov_b32 s1, 0
	s_cselect_b64 s[56:57], -1, 0
	s_lshl_b64 s[44:45], s[0:1], 3
	s_add_u32 s48, s4, s44
	s_addc_u32 s49, s5, s45
	s_add_u32 s34, s6, s44
	s_mul_i32 s3, s60, s3
	s_addc_u32 s35, s7, s45
	s_add_u32 s62, s3, s2
	s_addc_u32 s63, s8, 0
	s_add_u32 s4, s52, -1
	s_addc_u32 s5, s53, -1
	v_mov_b64_e32 v[2:3], s[4:5]
	v_cmp_ge_u64_e64 s[0:1], s[62:63], v[2:3]
	s_mov_b64 s[10:11], 0
	s_mov_b64 s[6:7], -1
	s_and_b64 vcc, exec, s[0:1]
	s_mul_i32 s33, s4, 0xfffff200
	s_barrier
	s_cbranch_vccz .LBB67_77
; %bb.1:
	v_mov_b64_e32 v[2:3], s[48:49]
	flat_load_dwordx2 v[4:5], v[2:3]
	s_add_i32 s43, s33, s42
	v_cmp_gt_u32_e64 s[30:31], s43, v0
	s_waitcnt vmcnt(0) lgkmcnt(0)
	v_mov_b64_e32 v[6:7], v[4:5]
	s_and_saveexec_b64 s[4:5], s[30:31]
	s_cbranch_execz .LBB67_3
; %bb.2:
	v_lshlrev_b32_e32 v2, 3, v0
	v_mov_b32_e32 v3, 0
	v_lshl_add_u64 v[2:3], s[48:49], 0, v[2:3]
	flat_load_dwordx2 v[6:7], v[2:3]
.LBB67_3:
	s_or_b64 exec, exec, s[4:5]
	v_or_b32_e32 v1, 0x100, v0
	v_cmp_gt_u32_e64 s[4:5], s43, v1
	v_mov_b64_e32 v[8:9], v[4:5]
	s_and_saveexec_b64 s[6:7], s[4:5]
	s_cbranch_execz .LBB67_5
; %bb.4:
	v_lshlrev_b32_e32 v2, 3, v0
	v_mov_b32_e32 v3, 0
	v_lshl_add_u64 v[2:3], s[48:49], 0, v[2:3]
	flat_load_dwordx2 v[8:9], v[2:3] offset:2048
.LBB67_5:
	s_or_b64 exec, exec, s[6:7]
	v_or_b32_e32 v1, 0x200, v0
	v_cmp_gt_u32_e64 s[6:7], s43, v1
	v_mov_b64_e32 v[10:11], v[4:5]
	s_and_saveexec_b64 s[8:9], s[6:7]
	s_cbranch_execz .LBB67_7
; %bb.6:
	v_lshlrev_b32_e32 v2, 3, v1
	v_mov_b32_e32 v3, 0
	v_lshl_add_u64 v[2:3], s[48:49], 0, v[2:3]
	flat_load_dwordx2 v[10:11], v[2:3]
.LBB67_7:
	s_or_b64 exec, exec, s[8:9]
	v_or_b32_e32 v32, 0x300, v0
	v_cmp_gt_u32_e64 s[8:9], s43, v32
	v_mov_b64_e32 v[12:13], v[4:5]
	s_and_saveexec_b64 s[10:11], s[8:9]
	s_cbranch_execz .LBB67_9
; %bb.8:
	v_lshlrev_b32_e32 v2, 3, v32
	v_mov_b32_e32 v3, 0
	v_lshl_add_u64 v[2:3], s[48:49], 0, v[2:3]
	flat_load_dwordx2 v[12:13], v[2:3]
.LBB67_9:
	s_or_b64 exec, exec, s[10:11]
	v_or_b32_e32 v33, 0x400, v0
	v_cmp_gt_u32_e64 s[10:11], s43, v33
	v_mov_b64_e32 v[14:15], v[4:5]
	s_and_saveexec_b64 s[12:13], s[10:11]
	s_cbranch_execz .LBB67_11
; %bb.10:
	v_lshlrev_b32_e32 v2, 3, v33
	v_mov_b32_e32 v3, 0
	v_lshl_add_u64 v[2:3], s[48:49], 0, v[2:3]
	flat_load_dwordx2 v[14:15], v[2:3]
.LBB67_11:
	s_or_b64 exec, exec, s[12:13]
	v_or_b32_e32 v34, 0x500, v0
	v_cmp_gt_u32_e64 s[12:13], s43, v34
	v_mov_b64_e32 v[16:17], v[4:5]
	s_and_saveexec_b64 s[14:15], s[12:13]
	s_cbranch_execz .LBB67_13
; %bb.12:
	v_lshlrev_b32_e32 v2, 3, v34
	v_mov_b32_e32 v3, 0
	v_lshl_add_u64 v[2:3], s[48:49], 0, v[2:3]
	flat_load_dwordx2 v[16:17], v[2:3]
.LBB67_13:
	s_or_b64 exec, exec, s[14:15]
	v_or_b32_e32 v35, 0x600, v0
	v_cmp_gt_u32_e64 s[14:15], s43, v35
	v_mov_b64_e32 v[18:19], v[4:5]
	s_and_saveexec_b64 s[16:17], s[14:15]
	s_cbranch_execz .LBB67_15
; %bb.14:
	v_lshlrev_b32_e32 v2, 3, v35
	v_mov_b32_e32 v3, 0
	v_lshl_add_u64 v[2:3], s[48:49], 0, v[2:3]
	flat_load_dwordx2 v[18:19], v[2:3]
.LBB67_15:
	s_or_b64 exec, exec, s[16:17]
	v_or_b32_e32 v37, 0x700, v0
	v_cmp_gt_u32_e64 s[16:17], s43, v37
	v_mov_b64_e32 v[20:21], v[4:5]
	s_and_saveexec_b64 s[18:19], s[16:17]
	s_cbranch_execz .LBB67_17
; %bb.16:
	v_lshlrev_b32_e32 v2, 3, v37
	v_mov_b32_e32 v3, 0
	v_lshl_add_u64 v[2:3], s[48:49], 0, v[2:3]
	flat_load_dwordx2 v[20:21], v[2:3]
.LBB67_17:
	s_or_b64 exec, exec, s[18:19]
	v_or_b32_e32 v38, 0x800, v0
	v_cmp_gt_u32_e64 s[18:19], s43, v38
	v_mov_b64_e32 v[22:23], v[4:5]
	s_and_saveexec_b64 s[20:21], s[18:19]
	s_cbranch_execz .LBB67_19
; %bb.18:
	v_lshlrev_b32_e32 v2, 3, v38
	v_mov_b32_e32 v3, 0
	v_lshl_add_u64 v[2:3], s[48:49], 0, v[2:3]
	flat_load_dwordx2 v[22:23], v[2:3]
.LBB67_19:
	s_or_b64 exec, exec, s[20:21]
	v_or_b32_e32 v39, 0x900, v0
	v_cmp_gt_u32_e64 s[20:21], s43, v39
	v_mov_b64_e32 v[24:25], v[4:5]
	s_and_saveexec_b64 s[22:23], s[20:21]
	s_cbranch_execz .LBB67_21
; %bb.20:
	v_lshlrev_b32_e32 v2, 3, v39
	v_mov_b32_e32 v3, 0
	v_lshl_add_u64 v[2:3], s[48:49], 0, v[2:3]
	flat_load_dwordx2 v[24:25], v[2:3]
.LBB67_21:
	s_or_b64 exec, exec, s[22:23]
	v_or_b32_e32 v40, 0xa00, v0
	v_cmp_gt_u32_e64 s[22:23], s43, v40
	v_mov_b64_e32 v[26:27], v[4:5]
	s_and_saveexec_b64 s[24:25], s[22:23]
	s_cbranch_execz .LBB67_23
; %bb.22:
	v_lshlrev_b32_e32 v2, 3, v40
	v_mov_b32_e32 v3, 0
	v_lshl_add_u64 v[2:3], s[48:49], 0, v[2:3]
	flat_load_dwordx2 v[26:27], v[2:3]
.LBB67_23:
	s_or_b64 exec, exec, s[24:25]
	v_or_b32_e32 v41, 0xb00, v0
	v_cmp_gt_u32_e64 s[24:25], s43, v41
	v_mov_b64_e32 v[28:29], v[4:5]
	s_and_saveexec_b64 s[26:27], s[24:25]
	s_cbranch_execz .LBB67_25
; %bb.24:
	v_lshlrev_b32_e32 v2, 3, v41
	v_mov_b32_e32 v3, 0
	v_lshl_add_u64 v[2:3], s[48:49], 0, v[2:3]
	flat_load_dwordx2 v[28:29], v[2:3]
.LBB67_25:
	s_or_b64 exec, exec, s[26:27]
	v_or_b32_e32 v42, 0xc00, v0
	v_cmp_gt_u32_e64 s[26:27], s43, v42
	v_mov_b64_e32 v[30:31], v[4:5]
	s_and_saveexec_b64 s[28:29], s[26:27]
	s_cbranch_execz .LBB67_27
; %bb.26:
	v_lshlrev_b32_e32 v2, 3, v42
	v_mov_b32_e32 v3, 0
	v_lshl_add_u64 v[2:3], s[48:49], 0, v[2:3]
	flat_load_dwordx2 v[30:31], v[2:3]
.LBB67_27:
	s_or_b64 exec, exec, s[28:29]
	v_or_b32_e32 v43, 0xd00, v0
	v_cmp_gt_u32_e64 s[28:29], s43, v43
	s_and_saveexec_b64 s[52:53], s[28:29]
	s_cbranch_execz .LBB67_29
; %bb.28:
	v_lshlrev_b32_e32 v2, 3, v43
	v_mov_b32_e32 v3, 0
	v_lshl_add_u64 v[2:3], s[48:49], 0, v[2:3]
	flat_load_dwordx2 v[4:5], v[2:3]
.LBB67_29:
	s_or_b64 exec, exec, s[52:53]
	v_lshlrev_b32_e32 v2, 3, v0
	s_movk_i32 s3, 0x68
	v_mad_u32_u24 v36, v0, s3, v2
	s_waitcnt vmcnt(0) lgkmcnt(0)
	ds_write2st64_b64 v2, v[6:7], v[8:9] offset1:4
	ds_write2st64_b64 v2, v[10:11], v[12:13] offset0:8 offset1:12
	ds_write2st64_b64 v2, v[14:15], v[16:17] offset0:16 offset1:20
	;; [unrolled: 1-line block ×6, first 2 shown]
	s_waitcnt lgkmcnt(0)
	s_barrier
	ds_read_b128 v[74:77], v36
	ds_read_b128 v[70:73], v36 offset:16
	ds_read_b128 v[66:69], v36 offset:32
	;; [unrolled: 1-line block ×6, first 2 shown]
	s_cmp_eq_u64 s[62:63], 0
	s_mov_b64 s[52:53], s[48:49]
	s_cbranch_scc1 .LBB67_33
; %bb.30:
	s_andn2_b64 vcc, exec, s[56:57]
	s_cbranch_vccnz .LBB67_237
; %bb.31:
	s_lshl_b64 s[52:53], s[62:63], 3
	s_add_u32 s3, s58, s52
	s_addc_u32 s53, s59, s53
	s_add_u32 s52, s3, -8
	s_addc_u32 s53, s53, -1
	s_cbranch_execnz .LBB67_33
.LBB67_32:
	s_add_u32 s52, s48, -8
	s_addc_u32 s53, s49, -1
.LBB67_33:
	v_mov_b64_e32 v[4:5], s[52:53]
	flat_load_dwordx2 v[4:5], v[4:5]
	s_movk_i32 s3, 0xff98
	v_mad_i32_i24 v3, v0, s3, v36
	v_cmp_ne_u32_e32 vcc, 0, v0
	s_waitcnt lgkmcnt(0)
	ds_write_b64 v3, v[60:61] offset:28672
	s_waitcnt lgkmcnt(0)
	s_barrier
	s_and_saveexec_b64 s[52:53], vcc
	s_cbranch_execz .LBB67_35
; %bb.34:
	v_mul_i32_i24_e32 v3, 0xffffff98, v0
	v_add_u32_e32 v3, v36, v3
	s_waitcnt vmcnt(0)
	ds_read_b64 v[4:5], v3 offset:28664
.LBB67_35:
	s_or_b64 exec, exec, s[52:53]
	v_mov_b32_e32 v3, 0
	s_waitcnt lgkmcnt(0)
	s_barrier
	s_waitcnt lgkmcnt(0)
                                        ; implicit-def: $vgpr6_vgpr7
	s_and_saveexec_b64 s[52:53], s[30:31]
	s_cbranch_execnz .LBB67_224
; %bb.36:
	s_or_b64 exec, exec, s[52:53]
                                        ; implicit-def: $vgpr8_vgpr9
	s_and_saveexec_b64 s[30:31], s[4:5]
	s_cbranch_execnz .LBB67_225
.LBB67_37:
	s_or_b64 exec, exec, s[30:31]
                                        ; implicit-def: $vgpr10_vgpr11
	s_and_saveexec_b64 s[4:5], s[6:7]
	s_cbranch_execnz .LBB67_226
.LBB67_38:
	s_or_b64 exec, exec, s[4:5]
                                        ; implicit-def: $vgpr12_vgpr13
	s_and_saveexec_b64 s[4:5], s[8:9]
	s_cbranch_execnz .LBB67_227
.LBB67_39:
	s_or_b64 exec, exec, s[4:5]
                                        ; implicit-def: $vgpr14_vgpr15
	s_and_saveexec_b64 s[4:5], s[10:11]
	s_cbranch_execnz .LBB67_228
.LBB67_40:
	s_or_b64 exec, exec, s[4:5]
                                        ; implicit-def: $vgpr16_vgpr17
	s_and_saveexec_b64 s[4:5], s[12:13]
	s_cbranch_execnz .LBB67_229
.LBB67_41:
	s_or_b64 exec, exec, s[4:5]
                                        ; implicit-def: $vgpr18_vgpr19
	s_and_saveexec_b64 s[4:5], s[14:15]
	s_cbranch_execnz .LBB67_230
.LBB67_42:
	s_or_b64 exec, exec, s[4:5]
                                        ; implicit-def: $vgpr20_vgpr21
	s_and_saveexec_b64 s[4:5], s[16:17]
	s_cbranch_execnz .LBB67_231
.LBB67_43:
	s_or_b64 exec, exec, s[4:5]
                                        ; implicit-def: $vgpr22_vgpr23
	s_and_saveexec_b64 s[4:5], s[18:19]
	s_cbranch_execnz .LBB67_232
.LBB67_44:
	s_or_b64 exec, exec, s[4:5]
                                        ; implicit-def: $vgpr24_vgpr25
	s_and_saveexec_b64 s[4:5], s[20:21]
	s_cbranch_execnz .LBB67_233
.LBB67_45:
	s_or_b64 exec, exec, s[4:5]
                                        ; implicit-def: $vgpr26_vgpr27
	s_and_saveexec_b64 s[4:5], s[22:23]
	s_cbranch_execnz .LBB67_234
.LBB67_46:
	s_or_b64 exec, exec, s[4:5]
                                        ; implicit-def: $vgpr28_vgpr29
	s_and_saveexec_b64 s[4:5], s[24:25]
	s_cbranch_execnz .LBB67_235
.LBB67_47:
	s_or_b64 exec, exec, s[4:5]
                                        ; implicit-def: $vgpr30_vgpr31
	s_and_saveexec_b64 s[4:5], s[26:27]
	s_cbranch_execnz .LBB67_236
.LBB67_48:
	s_or_b64 exec, exec, s[4:5]
                                        ; implicit-def: $vgpr32_vgpr33
	s_and_saveexec_b64 s[4:5], s[28:29]
	s_cbranch_execz .LBB67_50
.LBB67_49:
	v_lshlrev_b32_e32 v32, 3, v43
	v_mov_b32_e32 v33, 0
	v_lshl_add_u64 v[32:33], s[34:35], 0, v[32:33]
	flat_load_dwordx2 v[32:33], v[32:33]
.LBB67_50:
	s_or_b64 exec, exec, s[4:5]
	v_mul_u32_u24_e32 v37, 14, v0
	v_mov_b64_e32 v[78:79], 0
	s_waitcnt vmcnt(0) lgkmcnt(0)
	ds_write2st64_b64 v2, v[6:7], v[8:9] offset1:4
	ds_write2st64_b64 v2, v[10:11], v[12:13] offset0:8 offset1:12
	ds_write2st64_b64 v2, v[14:15], v[16:17] offset0:16 offset1:20
	;; [unrolled: 1-line block ×6, first 2 shown]
	v_cmp_gt_u32_e32 vcc, s43, v37
	s_mov_b64 s[10:11], 0
	s_mov_b64 s[6:7], 0
	s_mov_b32 s3, 0
	v_mov_b32_e32 v80, 0
	v_mov_b32_e32 v91, 0
	v_mov_b64_e32 v[46:47], v[78:79]
	v_mov_b32_e32 v90, 0
	v_mov_b64_e32 v[34:35], v[78:79]
	;; [unrolled: 2-line block ×12, first 2 shown]
	s_waitcnt lgkmcnt(0)
	s_barrier
	s_waitcnt lgkmcnt(0)
                                        ; implicit-def: $sgpr4_sgpr5
                                        ; implicit-def: $vgpr52_vgpr53
	s_and_saveexec_b64 s[8:9], vcc
	s_cbranch_execz .LBB67_76
; %bb.51:
	ds_read_b64 v[2:3], v36
	v_cmp_ne_u64_e32 vcc, v[4:5], v[74:75]
	v_or_b32_e32 v4, 1, v37
	v_mov_b64_e32 v[78:79], 0
	v_cndmask_b32_e64 v1, 0, 1, vcc
	v_cmp_gt_u32_e32 vcc, s43, v4
	s_mov_b64 s[12:13], 0
	s_mov_b64 s[4:5], 0
	v_mov_b32_e32 v80, 0
	v_mov_b32_e32 v91, 0
	v_mov_b64_e32 v[46:47], v[78:79]
	v_mov_b32_e32 v90, 0
	v_mov_b64_e32 v[34:35], v[78:79]
	;; [unrolled: 2-line block ×11, first 2 shown]
                                        ; implicit-def: $sgpr14_sgpr15
                                        ; implicit-def: $vgpr52_vgpr53
	s_and_saveexec_b64 s[10:11], vcc
	s_cbranch_execz .LBB67_75
; %bb.52:
	ds_read2_b64 v[14:17], v36 offset0:1 offset1:2
	v_cmp_ne_u64_e32 vcc, v[74:75], v[76:77]
	v_add_u32_e32 v4, 2, v37
	v_mov_b64_e32 v[78:79], 0
	v_cndmask_b32_e64 v82, 0, 1, vcc
	v_cmp_gt_u32_e32 vcc, s43, v4
	s_mov_b64 s[16:17], 0
	v_mov_b32_e32 v80, 0
	v_mov_b32_e32 v91, 0
	v_mov_b64_e32 v[46:47], v[78:79]
	v_mov_b32_e32 v90, 0
	v_mov_b64_e32 v[34:35], v[78:79]
	;; [unrolled: 2-line block ×10, first 2 shown]
                                        ; implicit-def: $sgpr14_sgpr15
                                        ; implicit-def: $vgpr52_vgpr53
	s_and_saveexec_b64 s[12:13], vcc
	s_cbranch_execz .LBB67_74
; %bb.53:
	v_cmp_ne_u64_e32 vcc, v[76:77], v[70:71]
	v_add_u32_e32 v4, 3, v37
	v_mov_b64_e32 v[78:79], 0
	s_waitcnt lgkmcnt(0)
	v_mov_b32_e32 v6, v16
	v_mov_b32_e32 v7, v17
	v_cndmask_b32_e64 v81, 0, 1, vcc
	v_cmp_gt_u32_e32 vcc, s43, v4
	v_mov_b32_e32 v80, 0
	v_mov_b32_e32 v91, 0
	v_mov_b64_e32 v[46:47], v[78:79]
	v_mov_b32_e32 v90, 0
	v_mov_b64_e32 v[34:35], v[78:79]
	;; [unrolled: 2-line block ×9, first 2 shown]
                                        ; implicit-def: $sgpr18_sgpr19
                                        ; implicit-def: $vgpr52_vgpr53
	s_and_saveexec_b64 s[14:15], vcc
	s_cbranch_execz .LBB67_73
; %bb.54:
	ds_read2_b64 v[22:25], v36 offset0:3 offset1:4
	v_cmp_ne_u64_e32 vcc, v[70:71], v[72:73]
	v_add_u32_e32 v4, 4, v37
	v_mov_b64_e32 v[78:79], 0
	v_cndmask_b32_e64 v83, 0, 1, vcc
	v_cmp_gt_u32_e32 vcc, s43, v4
	s_mov_b64 s[20:21], 0
	v_mov_b32_e32 v80, 0
	v_mov_b32_e32 v91, 0
	v_mov_b64_e32 v[46:47], v[78:79]
	v_mov_b32_e32 v90, 0
	v_mov_b64_e32 v[34:35], v[78:79]
	;; [unrolled: 2-line block ×8, first 2 shown]
                                        ; implicit-def: $sgpr18_sgpr19
                                        ; implicit-def: $vgpr52_vgpr53
	s_and_saveexec_b64 s[16:17], vcc
	s_cbranch_execz .LBB67_72
; %bb.55:
	v_cmp_ne_u64_e32 vcc, v[72:73], v[66:67]
	v_add_u32_e32 v4, 5, v37
	v_mov_b64_e32 v[78:79], 0
	s_waitcnt lgkmcnt(0)
	v_mov_b32_e32 v10, v24
	v_mov_b32_e32 v11, v25
	v_cndmask_b32_e64 v84, 0, 1, vcc
	v_cmp_gt_u32_e32 vcc, s43, v4
	v_mov_b32_e32 v80, 0
	v_mov_b32_e32 v91, 0
	v_mov_b64_e32 v[46:47], v[78:79]
	v_mov_b32_e32 v90, 0
	v_mov_b64_e32 v[34:35], v[78:79]
	;; [unrolled: 2-line block ×7, first 2 shown]
                                        ; implicit-def: $sgpr22_sgpr23
                                        ; implicit-def: $vgpr52_vgpr53
	s_and_saveexec_b64 s[18:19], vcc
	s_cbranch_execz .LBB67_71
; %bb.56:
	ds_read2_b64 v[30:33], v36 offset0:5 offset1:6
	v_cmp_ne_u64_e32 vcc, v[66:67], v[68:69]
	v_add_u32_e32 v4, 6, v37
	v_mov_b64_e32 v[78:79], 0
	v_cndmask_b32_e64 v85, 0, 1, vcc
	v_cmp_gt_u32_e32 vcc, s43, v4
	s_mov_b64 s[24:25], 0
	v_mov_b32_e32 v80, 0
	v_mov_b32_e32 v91, 0
	v_mov_b64_e32 v[46:47], v[78:79]
	v_mov_b32_e32 v90, 0
	v_mov_b64_e32 v[34:35], v[78:79]
	;; [unrolled: 2-line block ×6, first 2 shown]
                                        ; implicit-def: $sgpr22_sgpr23
                                        ; implicit-def: $vgpr52_vgpr53
	s_and_saveexec_b64 s[20:21], vcc
	s_cbranch_execz .LBB67_70
; %bb.57:
	v_cmp_ne_u64_e32 vcc, v[68:69], v[62:63]
	v_add_u32_e32 v4, 7, v37
	v_mov_b64_e32 v[78:79], 0
	s_waitcnt lgkmcnt(0)
	v_mov_b32_e32 v18, v32
	v_mov_b32_e32 v19, v33
	v_cndmask_b32_e64 v86, 0, 1, vcc
	v_cmp_gt_u32_e32 vcc, s43, v4
	v_mov_b32_e32 v80, 0
	v_mov_b32_e32 v91, 0
	v_mov_b64_e32 v[46:47], v[78:79]
	v_mov_b32_e32 v90, 0
	v_mov_b64_e32 v[34:35], v[78:79]
	;; [unrolled: 2-line block ×5, first 2 shown]
                                        ; implicit-def: $sgpr26_sgpr27
                                        ; implicit-def: $vgpr52_vgpr53
	s_and_saveexec_b64 s[22:23], vcc
	s_cbranch_execz .LBB67_69
; %bb.58:
	ds_read2_b64 v[38:41], v36 offset0:7 offset1:8
	v_cmp_ne_u64_e32 vcc, v[62:63], v[64:65]
	v_add_u32_e32 v4, 8, v37
	v_mov_b64_e32 v[78:79], 0
	v_cndmask_b32_e64 v87, 0, 1, vcc
	v_cmp_gt_u32_e32 vcc, s43, v4
	s_mov_b64 s[28:29], 0
	v_mov_b32_e32 v80, 0
	v_mov_b32_e32 v91, 0
	v_mov_b64_e32 v[46:47], v[78:79]
	v_mov_b32_e32 v90, 0
	v_mov_b64_e32 v[34:35], v[78:79]
	;; [unrolled: 2-line block ×4, first 2 shown]
                                        ; implicit-def: $sgpr26_sgpr27
                                        ; implicit-def: $vgpr52_vgpr53
	s_and_saveexec_b64 s[24:25], vcc
	s_cbranch_execz .LBB67_68
; %bb.59:
	v_cmp_ne_u64_e32 vcc, v[64:65], v[48:49]
	v_add_u32_e32 v4, 9, v37
	v_mov_b64_e32 v[78:79], 0
	s_waitcnt lgkmcnt(0)
	v_mov_b32_e32 v26, v40
	v_mov_b32_e32 v27, v41
	v_cndmask_b32_e64 v88, 0, 1, vcc
	v_cmp_gt_u32_e32 vcc, s43, v4
	v_mov_b32_e32 v80, 0
	v_mov_b32_e32 v91, 0
	v_mov_b64_e32 v[46:47], v[78:79]
	v_mov_b32_e32 v90, 0
	v_mov_b64_e32 v[34:35], v[78:79]
	;; [unrolled: 2-line block ×3, first 2 shown]
                                        ; implicit-def: $sgpr30_sgpr31
                                        ; implicit-def: $vgpr52_vgpr53
	s_and_saveexec_b64 s[26:27], vcc
	s_cbranch_execz .LBB67_67
; %bb.60:
	ds_read2_b64 v[42:45], v36 offset0:9 offset1:10
	v_cmp_ne_u64_e32 vcc, v[48:49], v[50:51]
	v_add_u32_e32 v4, 10, v37
	v_mov_b64_e32 v[78:79], 0
	v_cndmask_b32_e64 v89, 0, 1, vcc
	v_cmp_gt_u32_e32 vcc, s43, v4
	s_mov_b64 s[52:53], 0
	v_mov_b32_e32 v80, 0
	v_mov_b32_e32 v91, 0
	v_mov_b64_e32 v[46:47], v[78:79]
	v_mov_b32_e32 v90, 0
	v_mov_b64_e32 v[34:35], v[78:79]
                                        ; implicit-def: $sgpr30_sgpr31
                                        ; implicit-def: $vgpr52_vgpr53
	s_and_saveexec_b64 s[28:29], vcc
	s_cbranch_execz .LBB67_66
; %bb.61:
	v_cmp_ne_u64_e32 vcc, v[50:51], v[54:55]
	v_add_u32_e32 v4, 11, v37
	v_mov_b64_e32 v[78:79], 0
	s_waitcnt lgkmcnt(0)
	v_mov_b32_e32 v34, v44
	v_mov_b32_e32 v35, v45
	v_cndmask_b32_e64 v90, 0, 1, vcc
	v_cmp_gt_u32_e32 vcc, s43, v4
	v_mov_b32_e32 v80, 0
	v_mov_b32_e32 v91, 0
	v_mov_b64_e32 v[46:47], v[78:79]
                                        ; implicit-def: $sgpr64_sgpr65
                                        ; implicit-def: $vgpr52_vgpr53
	s_and_saveexec_b64 s[30:31], vcc
	s_cbranch_execz .LBB67_65
; %bb.62:
	ds_read2_b64 v[46:49], v36 offset0:11 offset1:12
	v_cmp_ne_u64_e32 vcc, v[54:55], v[56:57]
	v_add_u32_e32 v4, 12, v37
	v_mov_b32_e32 v80, 0
	v_cndmask_b32_e64 v91, 0, 1, vcc
	v_cmp_gt_u32_e32 vcc, s43, v4
	v_mov_b64_e32 v[78:79], 0
                                        ; implicit-def: $sgpr52_sgpr53
                                        ; implicit-def: $vgpr52_vgpr53
	s_and_saveexec_b64 s[64:65], vcc
	s_xor_b64 s[64:65], exec, s[64:65]
	s_cbranch_execz .LBB67_64
; %bb.63:
	ds_read_b64 v[52:53], v36 offset:104
	v_cmp_ne_u64_e64 s[4:5], v[56:57], v[58:59]
	v_add_u32_e32 v4, 13, v37
	v_cmp_ne_u64_e32 vcc, v[58:59], v[60:61]
	v_cndmask_b32_e64 v80, 0, 1, s[4:5]
	v_cmp_gt_u32_e64 s[4:5], s43, v4
	s_and_b64 s[52:53], vcc, exec
	s_and_b64 s[4:5], s[4:5], exec
	s_waitcnt lgkmcnt(1)
	v_mov_b64_e32 v[50:51], v[48:49]
	v_mov_b64_e32 v[78:79], v[48:49]
.LBB67_64:
	s_or_b64 exec, exec, s[64:65]
	s_and_b64 s[64:65], s[52:53], exec
	s_and_b64 s[52:53], s[4:5], exec
.LBB67_65:
	s_or_b64 exec, exec, s[30:31]
	s_and_b64 s[30:31], s[64:65], exec
	s_and_b64 s[4:5], s[52:53], exec
	s_waitcnt lgkmcnt(0)
	v_mov_b64_e32 v[36:37], v[46:47]
	v_mov_b64_e32 v[28:29], v[42:43]
	v_mov_b64_e32 v[20:21], v[38:39]
	v_mov_b64_e32 v[12:13], v[30:31]
	v_mov_b64_e32 v[8:9], v[22:23]
	v_mov_b64_e32 v[4:5], v[14:15]
.LBB67_66:
	s_or_b64 exec, exec, s[28:29]
	s_and_b64 s[30:31], s[30:31], exec
	s_and_b64 s[28:29], s[4:5], exec
.LBB67_67:
	s_or_b64 exec, exec, s[26:27]
	s_and_b64 s[26:27], s[30:31], exec
	s_and_b64 s[4:5], s[28:29], exec
.LBB67_68:
	s_or_b64 exec, exec, s[24:25]
	s_and_b64 s[26:27], s[26:27], exec
	s_and_b64 s[24:25], s[4:5], exec
.LBB67_69:
	s_or_b64 exec, exec, s[22:23]
	s_and_b64 s[22:23], s[26:27], exec
	s_and_b64 s[4:5], s[24:25], exec
.LBB67_70:
	s_or_b64 exec, exec, s[20:21]
	s_and_b64 s[22:23], s[22:23], exec
	s_and_b64 s[20:21], s[4:5], exec
.LBB67_71:
	s_or_b64 exec, exec, s[18:19]
	s_and_b64 s[18:19], s[22:23], exec
	s_and_b64 s[4:5], s[20:21], exec
.LBB67_72:
	s_or_b64 exec, exec, s[16:17]
	s_and_b64 s[18:19], s[18:19], exec
	s_and_b64 s[16:17], s[4:5], exec
.LBB67_73:
	s_or_b64 exec, exec, s[14:15]
	s_and_b64 s[14:15], s[18:19], exec
	s_and_b64 s[4:5], s[16:17], exec
.LBB67_74:
	s_or_b64 exec, exec, s[12:13]
	s_and_b64 s[14:15], s[14:15], exec
	s_and_b64 s[12:13], s[4:5], exec
.LBB67_75:
	s_or_b64 exec, exec, s[10:11]
	s_and_b64 s[4:5], s[14:15], exec
	s_and_b64 s[10:11], s[12:13], exec
.LBB67_76:
	s_or_b64 exec, exec, s[8:9]
	s_mov_b64 s[8:9], 0
	s_and_b64 vcc, exec, s[6:7]
	s_waitcnt lgkmcnt(0)
	v_lshlrev_b32_e32 v32, 3, v0
	s_cbranch_vccnz .LBB67_78
	s_branch .LBB67_86
.LBB67_77:
                                        ; implicit-def: $sgpr4_sgpr5
                                        ; implicit-def: $vgpr52_vgpr53
                                        ; implicit-def: $vgpr80
                                        ; implicit-def: $vgpr91
                                        ; implicit-def: $vgpr36_vgpr37
                                        ; implicit-def: $vgpr90
                                        ; implicit-def: $vgpr89
                                        ; implicit-def: $vgpr28_vgpr29
                                        ; implicit-def: $vgpr88
                                        ; implicit-def: $vgpr87
                                        ; implicit-def: $vgpr20_vgpr21
                                        ; implicit-def: $vgpr86
                                        ; implicit-def: $vgpr85
                                        ; implicit-def: $vgpr12_vgpr13
                                        ; implicit-def: $vgpr84
                                        ; implicit-def: $vgpr83
                                        ; implicit-def: $vgpr8_vgpr9
                                        ; implicit-def: $vgpr81
                                        ; implicit-def: $vgpr82
                                        ; implicit-def: $vgpr4_vgpr5
                                        ; implicit-def: $vgpr1
                                        ; implicit-def: $sgpr3
                                        ; implicit-def: $sgpr8_sgpr9
                                        ; implicit-def: $vgpr78_vgpr79
                                        ; implicit-def: $vgpr46_vgpr47
                                        ; implicit-def: $vgpr42_vgpr43
                                        ; implicit-def: $vgpr38_vgpr39
                                        ; implicit-def: $vgpr30_vgpr31
                                        ; implicit-def: $vgpr22_vgpr23
                                        ; implicit-def: $vgpr14_vgpr15
	s_and_b64 vcc, exec, s[6:7]
	v_lshlrev_b32_e32 v32, 3, v0
	s_cbranch_vccz .LBB67_86
.LBB67_78:
	v_mov_b32_e32 v33, 0
	v_lshl_add_u64 v[2:3], s[48:49], 0, v[32:33]
	v_add_co_u32_e32 v4, vcc, 0x1000, v2
	s_movk_i32 s3, 0x68
	s_nop 0
	v_addc_co_u32_e32 v5, vcc, 0, v3, vcc
	flat_load_dwordx2 v[6:7], v[2:3]
	flat_load_dwordx2 v[8:9], v[2:3] offset:2048
	flat_load_dwordx2 v[10:11], v[4:5]
	flat_load_dwordx2 v[12:13], v[4:5] offset:2048
	v_add_co_u32_e32 v4, vcc, 0x2000, v2
	v_mad_u32_u24 v1, v0, s3, v32
	s_nop 0
	v_addc_co_u32_e32 v5, vcc, 0, v3, vcc
	v_add_co_u32_e32 v14, vcc, 0x3000, v2
	s_cmp_eq_u64 s[62:63], 0
	s_nop 0
	v_addc_co_u32_e32 v15, vcc, 0, v3, vcc
	flat_load_dwordx2 v[16:17], v[4:5]
	flat_load_dwordx2 v[18:19], v[4:5] offset:2048
	flat_load_dwordx2 v[20:21], v[14:15]
	flat_load_dwordx2 v[22:23], v[14:15] offset:2048
	v_add_co_u32_e32 v4, vcc, 0x4000, v2
	s_nop 1
	v_addc_co_u32_e32 v5, vcc, 0, v3, vcc
	v_add_co_u32_e32 v14, vcc, 0x5000, v2
	s_nop 1
	v_addc_co_u32_e32 v15, vcc, 0, v3, vcc
	v_add_co_u32_e32 v2, vcc, 0x6000, v2
	flat_load_dwordx2 v[24:25], v[4:5]
	flat_load_dwordx2 v[26:27], v[4:5] offset:2048
	flat_load_dwordx2 v[28:29], v[14:15]
	flat_load_dwordx2 v[30:31], v[14:15] offset:2048
	v_addc_co_u32_e32 v3, vcc, 0, v3, vcc
	flat_load_dwordx2 v[4:5], v[2:3]
	flat_load_dwordx2 v[14:15], v[2:3] offset:2048
	s_waitcnt vmcnt(0) lgkmcnt(0)
	ds_write2st64_b64 v32, v[6:7], v[8:9] offset1:4
	ds_write2st64_b64 v32, v[10:11], v[12:13] offset0:8 offset1:12
	ds_write2st64_b64 v32, v[16:17], v[18:19] offset0:16 offset1:20
	;; [unrolled: 1-line block ×6, first 2 shown]
	s_waitcnt lgkmcnt(0)
	s_barrier
	ds_read_b128 v[14:17], v1
	ds_read_b128 v[2:5], v1 offset:16
	ds_read_b128 v[6:9], v1 offset:32
	;; [unrolled: 1-line block ×6, first 2 shown]
	s_cbranch_scc1 .LBB67_83
; %bb.79:
	s_andn2_b64 vcc, exec, s[56:57]
	s_cbranch_vccnz .LBB67_238
; %bb.80:
	s_lshl_b64 s[4:5], s[62:63], 3
	s_add_u32 s3, s58, s4
	s_addc_u32 s5, s59, s5
	s_add_u32 s4, s3, -8
	s_addc_u32 s5, s5, -1
	s_cbranch_execnz .LBB67_82
.LBB67_81:
	s_add_u32 s4, s48, -8
	s_addc_u32 s5, s49, -1
.LBB67_82:
	s_mov_b64 s[48:49], s[4:5]
.LBB67_83:
	v_mov_b64_e32 v[30:31], s[48:49]
	flat_load_dwordx2 v[30:31], v[30:31]
	s_movk_i32 s3, 0xff98
	v_mad_i32_i24 v33, v0, s3, v1
	v_cmp_ne_u32_e32 vcc, 0, v0
	s_waitcnt lgkmcnt(0)
	ds_write_b64 v33, v[28:29] offset:28672
	s_waitcnt lgkmcnt(0)
	s_barrier
	s_and_saveexec_b64 s[4:5], vcc
	s_cbranch_execz .LBB67_85
; %bb.84:
	s_waitcnt vmcnt(0)
	v_mul_i32_i24_e32 v30, 0xffffff98, v0
	v_add_u32_e32 v30, v1, v30
	ds_read_b64 v[30:31], v30 offset:28664
.LBB67_85:
	s_or_b64 exec, exec, s[4:5]
	v_mov_b32_e32 v33, 0
	v_lshl_add_u64 v[34:35], s[34:35], 0, v[32:33]
	s_movk_i32 s3, 0x1000
	v_add_co_u32_e32 v36, vcc, s3, v34
	s_movk_i32 s3, 0x2000
	s_nop 0
	v_addc_co_u32_e32 v37, vcc, 0, v35, vcc
	s_waitcnt lgkmcnt(0)
	s_barrier
	flat_load_dwordx2 v[38:39], v[34:35]
	flat_load_dwordx2 v[40:41], v[34:35] offset:2048
	flat_load_dwordx2 v[42:43], v[36:37]
	flat_load_dwordx2 v[44:45], v[36:37] offset:2048
	v_add_co_u32_e32 v36, vcc, s3, v34
	s_movk_i32 s3, 0x3000
	s_nop 0
	v_addc_co_u32_e32 v37, vcc, 0, v35, vcc
	v_add_co_u32_e32 v46, vcc, s3, v34
	s_movk_i32 s3, 0x4000
	s_nop 0
	v_addc_co_u32_e32 v47, vcc, 0, v35, vcc
	flat_load_dwordx2 v[48:49], v[36:37]
	flat_load_dwordx2 v[50:51], v[36:37] offset:2048
	flat_load_dwordx2 v[52:53], v[46:47]
	flat_load_dwordx2 v[54:55], v[46:47] offset:2048
	v_add_co_u32_e32 v36, vcc, s3, v34
	s_movk_i32 s3, 0x5000
	s_nop 0
	v_addc_co_u32_e32 v37, vcc, 0, v35, vcc
	v_add_co_u32_e32 v46, vcc, s3, v34
	s_movk_i32 s3, 0x6000
	s_nop 0
	v_addc_co_u32_e32 v47, vcc, 0, v35, vcc
	v_add_co_u32_e32 v34, vcc, s3, v34
	flat_load_dwordx2 v[56:57], v[36:37]
	flat_load_dwordx2 v[58:59], v[36:37] offset:2048
	flat_load_dwordx2 v[60:61], v[46:47]
	flat_load_dwordx2 v[62:63], v[46:47] offset:2048
	v_addc_co_u32_e32 v35, vcc, 0, v35, vcc
	flat_load_dwordx2 v[36:37], v[34:35]
	flat_load_dwordx2 v[46:47], v[34:35] offset:2048
	v_cmp_ne_u64_e32 vcc, v[24:25], v[26:27]
	v_cmp_ne_u64_e64 s[4:5], v[26:27], v[28:29]
	s_mov_b64 s[10:11], -1
	v_cndmask_b32_e64 v80, 0, 1, vcc
	v_cmp_ne_u64_e32 vcc, v[22:23], v[24:25]
                                        ; implicit-def: $sgpr3
                                        ; implicit-def: $sgpr8_sgpr9
                                        ; implicit-def: $vgpr78_vgpr79
	s_waitcnt vmcnt(0) lgkmcnt(0)
	ds_write2st64_b64 v32, v[38:39], v[40:41] offset1:4
	ds_write2st64_b64 v32, v[42:43], v[44:45] offset0:8 offset1:12
	ds_write2st64_b64 v32, v[48:49], v[50:51] offset0:16 offset1:20
	;; [unrolled: 1-line block ×6, first 2 shown]
	v_cndmask_b32_e64 v91, 0, 1, vcc
	v_cmp_ne_u64_e32 vcc, v[20:21], v[22:23]
	s_waitcnt lgkmcnt(0)
	s_barrier
	v_cndmask_b32_e64 v90, 0, 1, vcc
	v_cmp_ne_u64_e32 vcc, v[18:19], v[20:21]
	s_waitcnt lgkmcnt(0)
                                        ; implicit-def: $vgpr46_vgpr47
                                        ; implicit-def: $vgpr42_vgpr43
                                        ; implicit-def: $vgpr38_vgpr39
                                        ; implicit-def: $vgpr22_vgpr23
	s_nop 0
	v_cndmask_b32_e64 v89, 0, 1, vcc
	v_cmp_ne_u64_e32 vcc, v[12:13], v[18:19]
	s_nop 1
	v_cndmask_b32_e64 v88, 0, 1, vcc
	v_cmp_ne_u64_e32 vcc, v[10:11], v[12:13]
	;; [unrolled: 3-line block ×7, first 2 shown]
	ds_read_b128 v[2:5], v1
	ds_read_b128 v[6:9], v1 offset:16
	ds_read_b128 v[10:13], v1 offset:32
	;; [unrolled: 1-line block ×6, first 2 shown]
	v_cndmask_b32_e64 v81, 0, 1, vcc
	v_cmp_ne_u64_e32 vcc, v[14:15], v[16:17]
	s_nop 1
	v_cndmask_b32_e64 v82, 0, 1, vcc
	v_cmp_ne_u64_e32 vcc, v[30:31], v[14:15]
                                        ; implicit-def: $vgpr30_vgpr31
                                        ; implicit-def: $vgpr14_vgpr15
	s_nop 1
	v_cndmask_b32_e64 v1, 0, 1, vcc
.LBB67_86:
	v_mov_b64_e32 v[16:17], s[8:9]
	v_mov_b32_e32 v33, s3
	s_and_saveexec_b64 s[6:7], s[10:11]
	s_cbranch_execz .LBB67_88
; %bb.87:
	v_cndmask_b32_e64 v33, 0, 1, s[4:5]
	s_waitcnt lgkmcnt(6)
	v_mov_b64_e32 v[14:15], v[4:5]
	s_waitcnt lgkmcnt(5)
	v_mov_b64_e32 v[22:23], v[8:9]
	;; [unrolled: 2-line block ×7, first 2 shown]
	v_mov_b64_e32 v[16:17], v[52:53]
.LBB67_88:
	s_or_b64 exec, exec, s[6:7]
	s_waitcnt lgkmcnt(6)
	v_or_b32_e32 v4, v33, v80
	s_cmp_lg_u32 s2, 0
	s_waitcnt lgkmcnt(1)
	v_or_b32_e32 v37, v4, v91
	v_mbcnt_lo_u32_b32 v36, -1, 0
	s_waitcnt lgkmcnt(0)
	s_barrier
	s_cbranch_scc0 .LBB67_161
; %bb.89:
	v_mov_b32_e32 v8, 0
	v_cmp_eq_u16_sdwa s[26:27], v82, v8 src0_sel:BYTE_0 src1_sel:DWORD
	v_cmp_eq_u16_sdwa s[24:25], v81, v8 src0_sel:BYTE_0 src1_sel:DWORD
	v_cmp_eq_u16_sdwa s[22:23], v83, v8 src0_sel:BYTE_0 src1_sel:DWORD
	v_cndmask_b32_e64 v4, 1, v2, s[26:27]
	v_cndmask_b32_e64 v5, 0, v3, s[26:27]
	v_mul_lo_u32 v9, v5, v14
	v_mul_lo_u32 v13, v4, v15
	v_mad_u64_u32 v[4:5], s[4:5], v4, v14, 0
	v_add3_u32 v5, v5, v13, v9
	v_cndmask_b32_e64 v5, 0, v5, s[24:25]
	v_cndmask_b32_e64 v4, 1, v4, s[24:25]
	v_mul_lo_u32 v9, v5, v6
	v_mul_lo_u32 v13, v4, v7
	v_mad_u64_u32 v[4:5], s[4:5], v4, v6, 0
	v_add3_u32 v5, v5, v13, v9
	v_cndmask_b32_e64 v5, 0, v5, s[22:23]
	v_cndmask_b32_e64 v4, 1, v4, s[22:23]
	v_mul_lo_u32 v9, v5, v22
	v_mul_lo_u32 v13, v4, v23
	v_mad_u64_u32 v[4:5], s[4:5], v4, v22, 0
	v_add3_u32 v5, v5, v13, v9
	v_cmp_eq_u16_sdwa s[20:21], v84, v8 src0_sel:BYTE_0 src1_sel:DWORD
	v_cmp_eq_u16_sdwa s[18:19], v85, v8 src0_sel:BYTE_0 src1_sel:DWORD
	v_cmp_eq_u16_sdwa s[16:17], v86, v8 src0_sel:BYTE_0 src1_sel:DWORD
	v_cndmask_b32_e64 v5, 0, v5, s[20:21]
	v_cndmask_b32_e64 v4, 1, v4, s[20:21]
	v_mul_lo_u32 v9, v5, v10
	v_mul_lo_u32 v13, v4, v11
	v_mad_u64_u32 v[4:5], s[4:5], v4, v10, 0
	v_add3_u32 v5, v5, v13, v9
	v_cndmask_b32_e64 v5, 0, v5, s[18:19]
	v_cndmask_b32_e64 v4, 1, v4, s[18:19]
	v_mul_lo_u32 v9, v5, v30
	v_mul_lo_u32 v13, v4, v31
	v_mad_u64_u32 v[4:5], s[4:5], v4, v30, 0
	v_add3_u32 v5, v5, v13, v9
	v_cndmask_b32_e64 v5, 0, v5, s[16:17]
	v_cndmask_b32_e64 v4, 1, v4, s[16:17]
	v_mul_lo_u32 v9, v5, v18
	v_mul_lo_u32 v13, v4, v19
	v_mad_u64_u32 v[4:5], s[4:5], v4, v18, 0
	v_add3_u32 v5, v5, v13, v9
	;; [unrolled: 21-line block ×3, first 2 shown]
	v_cmp_eq_u16_sdwa s[8:9], v90, v8 src0_sel:BYTE_0 src1_sel:DWORD
	v_cmp_eq_u16_sdwa s[6:7], v91, v8 src0_sel:BYTE_0 src1_sel:DWORD
	;; [unrolled: 1-line block ×3, first 2 shown]
	v_cndmask_b32_e64 v5, 0, v5, s[8:9]
	v_cndmask_b32_e64 v4, 1, v4, s[8:9]
	v_mul_lo_u32 v9, v5, v34
	v_mul_lo_u32 v13, v4, v35
	v_mad_u64_u32 v[4:5], s[4:5], v4, v34, 0
	v_add3_u32 v5, v5, v13, v9
	v_cndmask_b32_e64 v5, 0, v5, s[6:7]
	v_cndmask_b32_e64 v4, 1, v4, s[6:7]
	v_mul_lo_u32 v9, v5, v46
	v_mul_lo_u32 v13, v4, v47
	v_mad_u64_u32 v[4:5], s[4:5], v4, v46, 0
	v_add3_u32 v5, v5, v13, v9
	v_cmp_eq_u16_sdwa s[4:5], v80, v8 src0_sel:BYTE_0 src1_sel:DWORD
	v_and_b32_e32 v12, 0xff, v1
	v_mbcnt_hi_u32_b32 v28, -1, v36
	v_cndmask_b32_e64 v5, 0, v5, s[4:5]
	v_cndmask_b32_e64 v4, 1, v4, s[4:5]
	v_mul_lo_u32 v9, v5, v78
	v_mul_lo_u32 v13, v4, v79
	v_mad_u64_u32 v[4:5], s[28:29], v4, v78, 0
	v_cndmask_b32_e64 v4, 1, v4, s[30:31]
	v_add3_u32 v5, v5, v13, v9
	v_mul_lo_u32 v13, v4, v17
	v_mad_u64_u32 v[8:9], s[28:29], v4, v16, 0
	v_or_b32_e32 v4, v37, v90
	v_or_b32_e32 v4, v4, v89
	;; [unrolled: 1-line block ×10, first 2 shown]
	v_cndmask_b32_e64 v5, 0, v5, s[30:31]
	v_and_b32_e32 v4, 1, v4
	v_mul_lo_u32 v5, v5, v16
	v_cmp_eq_u32_e32 vcc, 1, v4
	v_add3_u32 v9, v9, v13, v5
	v_mov_b32_dpp v21, v8 row_shr:1 row_mask:0xf bank_mask:0xf
	v_cndmask_b32_e64 v20, v12, 1, vcc
	v_and_b32_e32 v12, 15, v28
	v_mov_b32_dpp v24, v9 row_shr:1 row_mask:0xf bank_mask:0xf
	v_mov_b32_dpp v13, v20 row_shr:1 row_mask:0xf bank_mask:0xf
	v_cmp_ne_u32_e32 vcc, 0, v12
	v_mov_b32_e32 v5, v9
	v_mov_b32_e32 v4, v8
	s_and_saveexec_b64 s[28:29], vcc
; %bb.90:
	v_cmp_eq_u32_e32 vcc, 0, v20
	v_and_or_b32 v20, v13, 1, v20
	s_nop 0
	v_cndmask_b32_e32 v4, 1, v21, vcc
	v_cndmask_b32_e32 v21, 0, v24, vcc
	v_mul_lo_u32 v9, v4, v9
	v_mad_u64_u32 v[4:5], s[34:35], v4, v8, 0
	v_mul_lo_u32 v8, v21, v8
	v_add3_u32 v5, v5, v9, v8
	v_mov_b64_e32 v[8:9], v[4:5]
; %bb.91:
	s_or_b64 exec, exec, s[28:29]
	v_mov_b32_dpp v21, v4 row_shr:2 row_mask:0xf bank_mask:0xf
	v_mov_b32_dpp v24, v5 row_shr:2 row_mask:0xf bank_mask:0xf
	v_mov_b32_dpp v13, v20 row_shr:2 row_mask:0xf bank_mask:0xf
	v_cmp_lt_u32_e32 vcc, 1, v12
	s_and_saveexec_b64 s[28:29], vcc
; %bb.92:
	v_cmp_eq_u32_e32 vcc, 0, v20
	s_nop 1
	v_cndmask_b32_e32 v4, 1, v21, vcc
	v_cndmask_b32_e32 v21, 0, v24, vcc
	v_mul_lo_u32 v9, v4, v9
	v_mad_u64_u32 v[4:5], s[34:35], v4, v8, 0
	v_mul_lo_u32 v8, v21, v8
	v_add3_u32 v5, v5, v9, v8
	v_or_b32_e32 v8, v13, v20
	v_and_b32_e32 v20, 1, v8
	v_mov_b64_e32 v[8:9], v[4:5]
; %bb.93:
	s_or_b64 exec, exec, s[28:29]
	v_mov_b32_dpp v21, v4 row_shr:4 row_mask:0xf bank_mask:0xf
	v_mov_b32_dpp v24, v5 row_shr:4 row_mask:0xf bank_mask:0xf
	v_mov_b32_dpp v13, v20 row_shr:4 row_mask:0xf bank_mask:0xf
	v_cmp_lt_u32_e32 vcc, 3, v12
	s_and_saveexec_b64 s[28:29], vcc
; %bb.94:
	v_cmp_eq_u32_e32 vcc, 0, v20
	s_nop 1
	v_cndmask_b32_e32 v4, 1, v21, vcc
	v_cndmask_b32_e32 v21, 0, v24, vcc
	v_mul_lo_u32 v9, v4, v9
	v_mad_u64_u32 v[4:5], s[34:35], v4, v8, 0
	v_mul_lo_u32 v8, v21, v8
	v_add3_u32 v5, v5, v9, v8
	v_or_b32_e32 v8, v13, v20
	v_and_b32_e32 v20, 1, v8
	;; [unrolled: 19-line block ×3, first 2 shown]
	v_mov_b64_e32 v[8:9], v[4:5]
; %bb.97:
	s_or_b64 exec, exec, s[28:29]
	v_and_b32_e32 v24, 16, v28
	v_mov_b32_dpp v13, v4 row_bcast:15 row_mask:0xf bank_mask:0xf
	v_mov_b32_dpp v21, v5 row_bcast:15 row_mask:0xf bank_mask:0xf
	;; [unrolled: 1-line block ×3, first 2 shown]
	v_cmp_ne_u32_e32 vcc, 0, v24
	s_and_saveexec_b64 s[28:29], vcc
; %bb.98:
	v_cmp_eq_u32_e32 vcc, 0, v20
	s_nop 1
	v_cndmask_b32_e32 v4, 1, v13, vcc
	v_cndmask_b32_e32 v13, 0, v21, vcc
	v_mul_lo_u32 v9, v4, v9
	v_mad_u64_u32 v[4:5], s[34:35], v4, v8, 0
	v_mul_lo_u32 v8, v13, v8
	v_add3_u32 v5, v5, v9, v8
	v_or_b32_e32 v8, v12, v20
	v_and_b32_e32 v20, 1, v8
	v_mov_b64_e32 v[8:9], v[4:5]
; %bb.99:
	s_or_b64 exec, exec, s[28:29]
	v_mov_b32_dpp v12, v4 row_bcast:31 row_mask:0xf bank_mask:0xf
	v_mov_b32_dpp v13, v5 row_bcast:31 row_mask:0xf bank_mask:0xf
	;; [unrolled: 1-line block ×3, first 2 shown]
	v_cmp_lt_u32_e32 vcc, 31, v28
	v_mov_b32_e32 v4, v20
	s_and_saveexec_b64 s[28:29], vcc
; %bb.100:
	v_cmp_eq_u32_e32 vcc, 0, v20
	v_or_b32_e32 v5, v5, v20
	v_and_b32_e32 v20, 1, v5
	v_cndmask_b32_e32 v4, 1, v12, vcc
	v_cndmask_b32_e32 v21, 0, v13, vcc
	v_mul_lo_u32 v9, v4, v9
	v_mad_u64_u32 v[12:13], s[34:35], v4, v8, 0
	v_mul_lo_u32 v4, v21, v8
	v_add3_u32 v13, v13, v9, v4
	v_and_b32_e32 v4, 1, v5
	v_mov_b64_e32 v[8:9], v[12:13]
; %bb.101:
	s_or_b64 exec, exec, s[28:29]
	v_or_b32_e32 v5, 63, v0
	v_lshrrev_b32_e32 v21, 6, v0
	v_cmp_eq_u32_e32 vcc, v5, v0
	s_and_saveexec_b64 s[28:29], vcc
	s_cbranch_execz .LBB67_103
; %bb.102:
	v_lshlrev_b32_e32 v5, 4, v21
	ds_write_b64 v5, v[8:9]
	ds_write_b8 v5, v4 offset:8
.LBB67_103:
	s_or_b64 exec, exec, s[28:29]
	v_cmp_gt_u32_e32 vcc, 4, v0
	s_waitcnt lgkmcnt(0)
	s_barrier
	s_and_saveexec_b64 s[34:35], vcc
	s_cbranch_execz .LBB67_109
; %bb.104:
	v_lshlrev_b32_e32 v24, 4, v0
	ds_read_b64 v[4:5], v24
	ds_read_b32 v25, v24 offset:8
	v_and_b32_e32 v29, 3, v28
	v_cmp_ne_u32_e32 vcc, 0, v29
	s_waitcnt lgkmcnt(1)
	v_mov_b32_dpp v45, v4 row_shr:1 row_mask:0xf bank_mask:0xf
	v_mov_b32_dpp v48, v5 row_shr:1 row_mask:0xf bank_mask:0xf
	s_waitcnt lgkmcnt(0)
	v_mov_b32_dpp v44, v25 row_shr:1 row_mask:0xf bank_mask:0xf
	v_mov_b32_e32 v41, v25
	v_mov_b32_e32 v40, v25
	;; [unrolled: 1-line block ×4, first 2 shown]
	s_and_saveexec_b64 s[28:29], vcc
	s_cbranch_execz .LBB67_106
; %bb.105:
	v_mov_b32_e32 v12, 0
	v_cmp_eq_u16_sdwa vcc, v25, v12 src0_sel:BYTE_0 src1_sel:DWORD
	s_movk_i32 s3, 0xff00
	s_nop 0
	v_cndmask_b32_e32 v12, 1, v45, vcc
	v_cndmask_b32_e32 v40, 0, v48, vcc
	v_mul_lo_u32 v5, v12, v5
	v_mad_u64_u32 v[12:13], s[48:49], v12, v4, 0
	v_mul_lo_u32 v4, v40, v4
	v_add3_u32 v13, v13, v5, v4
	v_or_b32_e32 v4, v44, v25
	v_and_b32_e32 v40, 1, v4
	v_and_b32_e32 v41, 1, v4
	v_and_or_b32 v25, v25, s3, v40
	v_mov_b64_e32 v[4:5], v[12:13]
.LBB67_106:
	s_or_b64 exec, exec, s[28:29]
	v_mov_b32_dpp v44, v12 row_shr:2 row_mask:0xf bank_mask:0xf
	v_mov_b32_dpp v13, v13 row_shr:2 row_mask:0xf bank_mask:0xf
	;; [unrolled: 1-line block ×3, first 2 shown]
	v_cmp_lt_u32_e32 vcc, 1, v29
	s_and_saveexec_b64 s[48:49], vcc
	s_cbranch_execz .LBB67_108
; %bb.107:
	v_mov_b32_e32 v25, 0
	v_cmp_eq_u16_sdwa vcc, v40, v25 src0_sel:BYTE_0 src1_sel:DWORD
	s_nop 1
	v_cndmask_b32_e32 v25, 1, v44, vcc
	v_cndmask_b32_e32 v13, 0, v13, vcc
	v_mul_lo_u32 v5, v25, v5
	v_mad_u64_u32 v[44:45], s[28:29], v25, v4, 0
	v_mul_lo_u32 v4, v13, v4
	v_add3_u32 v45, v45, v5, v4
	v_and_b32_e32 v4, 1, v40
	v_cmp_eq_u32_e32 vcc, 1, v4
	v_and_b32_e32 v4, 1, v12
	v_cmp_eq_u32_e64 s[28:29], 1, v4
	s_or_b64 s[28:29], vcc, s[28:29]
	v_mov_b64_e32 v[4:5], v[44:45]
	v_cndmask_b32_e64 v41, 0, 1, s[28:29]
.LBB67_108:
	s_or_b64 exec, exec, s[48:49]
	ds_write_b64 v24, v[4:5]
	ds_write_b8 v24, v41 offset:8
.LBB67_109:
	s_or_b64 exec, exec, s[34:35]
	v_cmp_gt_u32_e32 vcc, 64, v0
	v_cmp_lt_u32_e64 s[28:29], 63, v0
	v_mov_b32_e32 v40, 0
	v_mov_b64_e32 v[4:5], 0
	s_waitcnt lgkmcnt(0)
	s_barrier
	s_and_saveexec_b64 s[34:35], s[28:29]
	s_cbranch_execz .LBB67_111
; %bb.110:
	v_lshl_add_u32 v12, v21, 4, -16
	ds_read_b64 v[4:5], v12
	ds_read_u8 v40, v12 offset:8
	v_cmp_eq_u32_e64 s[28:29], 0, v20
	s_waitcnt lgkmcnt(1)
	s_nop 0
	v_cndmask_b32_e64 v12, 1, v4, s[28:29]
	v_cndmask_b32_e64 v13, 0, v5, s[28:29]
	v_mul_lo_u32 v13, v13, v8
	v_mul_lo_u32 v21, v12, v9
	v_mad_u64_u32 v[8:9], s[28:29], v12, v8, 0
	v_and_b32_e32 v12, 1, v20
	v_cmp_eq_u32_e64 s[28:29], 1, v12
	v_add3_u32 v9, v9, v21, v13
	s_waitcnt lgkmcnt(0)
	v_cndmask_b32_e64 v20, v40, 1, s[28:29]
.LBB67_111:
	s_or_b64 exec, exec, s[34:35]
	v_add_u32_e32 v12, -1, v28
	v_and_b32_e32 v13, 64, v28
	v_cmp_lt_i32_e64 s[28:29], v12, v13
	s_nop 1
	v_cndmask_b32_e64 v12, v12, v28, s[28:29]
	v_lshlrev_b32_e32 v12, 2, v12
	ds_bpermute_b32 v41, v12, v8
	ds_bpermute_b32 v45, v12, v9
	;; [unrolled: 1-line block ×3, first 2 shown]
	v_cmp_eq_u32_e64 s[28:29], 0, v28
	s_and_saveexec_b64 s[48:49], vcc
	s_cbranch_execz .LBB67_158
; %bb.112:
	v_mov_b32_e32 v13, 0
	ds_read2_b64 v[48:51], v13 offset0:6 offset1:7
	s_and_saveexec_b64 s[34:35], s[28:29]
	s_cbranch_execz .LBB67_114
; %bb.113:
	s_add_i32 s52, s2, 64
	s_mov_b32 s53, 0
	s_lshl_b64 s[56:57], s[52:53], 4
	s_add_u32 s56, s36, s56
	s_addc_u32 s57, s37, s57
	v_mov_b32_e32 v8, s52
	v_mov_b32_e32 v9, 1
	s_waitcnt lgkmcnt(0)
	global_store_dword v13, v48, s[56:57] sc1
	global_store_dword v13, v49, s[56:57] offset:4 sc1
	global_store_dword v13, v50, s[56:57] offset:8 sc1
	global_store_dword v13, v51, s[56:57] offset:12 sc1
	s_waitcnt vmcnt(0)
	global_store_byte v8, v9, s[40:41] sc1
.LBB67_114:
	s_or_b64 exec, exec, s[34:35]
	v_xad_u32 v8, v28, -1, s2
	v_add_u32_e32 v12, 64, v8
	s_waitcnt lgkmcnt(0)
	global_load_ubyte v51, v12, s[40:41] sc1
	s_waitcnt vmcnt(0)
	v_cmp_eq_u16_e32 vcc, 0, v51
	s_and_saveexec_b64 s[34:35], vcc
	s_cbranch_execz .LBB67_120
; %bb.115:
	v_lshl_add_u64 v[20:21], s[40:41], 0, v[12:13]
	s_mov_b32 s3, 1
	s_mov_b64 s[52:53], 0
.LBB67_116:                             ; =>This Loop Header: Depth=1
                                        ;     Child Loop BB67_117 Depth 2
	s_max_u32 s43, s3, 1
.LBB67_117:                             ;   Parent Loop BB67_116 Depth=1
                                        ; =>  This Inner Loop Header: Depth=2
	s_add_i32 s43, s43, -1
	s_cmp_eq_u32 s43, 0
	s_sleep 1
	s_cbranch_scc0 .LBB67_117
; %bb.118:                              ;   in Loop: Header=BB67_116 Depth=1
	global_load_ubyte v51, v[20:21], off sc1
	s_cmp_lt_u32 s3, 32
	s_cselect_b64 s[56:57], -1, 0
	s_cmp_lg_u64 s[56:57], 0
	s_addc_u32 s3, s3, 0
	s_waitcnt vmcnt(0)
	v_cmp_ne_u16_e32 vcc, 0, v51
	s_or_b64 s[52:53], vcc, s[52:53]
	s_andn2_b64 exec, exec, s[52:53]
	s_cbranch_execnz .LBB67_116
; %bb.119:
	s_or_b64 exec, exec, s[52:53]
.LBB67_120:
	s_or_b64 exec, exec, s[34:35]
	v_mov_b32_e32 v9, s39
	v_mov_b32_e32 v20, s37
	v_cmp_eq_u16_e32 vcc, 1, v51
	s_waitcnt vmcnt(0)
	s_nop 0
	v_cndmask_b32_e32 v21, v9, v20, vcc
	v_mov_b32_e32 v9, s38
	v_mov_b32_e32 v20, s36
	v_cndmask_b32_e32 v20, v9, v20, vcc
	v_lshl_add_u64 v[12:13], v[12:13], 4, v[20:21]
	global_load_dword v20, v[12:13], off sc1
	global_load_dword v21, v[12:13], off offset:4 sc1
	global_load_dword v29, v[12:13], off offset:8 sc1
	;; [unrolled: 1-line block ×3, first 2 shown]
	v_cmp_eq_u16_e32 vcc, 2, v51
	v_lshlrev_b64 v[12:13], v28, -1
	v_and_b32_e32 v52, 63, v28
	s_waitcnt vmcnt(0)
	v_and_b32_e32 v9, vcc_hi, v13
	v_and_b32_e32 v24, vcc_lo, v12
	v_cmp_ne_u32_e32 vcc, 63, v52
	v_or_b32_e32 v9, 0x80000000, v9
	v_ffbl_b32_e32 v9, v9
	v_addc_co_u32_e32 v25, vcc, 0, v28, vcc
	v_lshlrev_b32_e32 v53, 2, v25
	v_add_u32_e32 v9, 32, v9
	v_ffbl_b32_e32 v24, v24
	v_min_u32_e32 v9, v24, v9
	v_cmp_lt_u32_e32 vcc, v52, v9
	ds_bpermute_b32 v55, v53, v20
	ds_bpermute_b32 v56, v53, v21
	v_and_b32_e32 v62, 0xff, v29
	ds_bpermute_b32 v54, v53, v62
	v_mov_b64_e32 v[24:25], v[20:21]
	s_and_saveexec_b64 s[34:35], vcc
	s_cbranch_execz .LBB67_122
; %bb.121:
	v_mov_b32_e32 v24, 0
	v_cmp_eq_u16_sdwa vcc, v29, v24 src0_sel:BYTE_0 src1_sel:DWORD
	s_waitcnt lgkmcnt(2)
	s_nop 0
	v_cndmask_b32_e32 v24, 1, v55, vcc
	s_waitcnt lgkmcnt(1)
	v_cndmask_b32_e32 v55, 0, v56, vcc
	v_mul_lo_u32 v21, v24, v21
	v_mad_u64_u32 v[24:25], s[52:53], v24, v20, 0
	v_mul_lo_u32 v20, v55, v20
	v_add3_u32 v25, v25, v21, v20
	s_waitcnt lgkmcnt(0)
	v_or_b32_e32 v20, v54, v29
	v_and_b32_e32 v29, 1, v20
	v_and_b32_e32 v62, 1, v20
	v_mov_b32_e32 v21, v25
	v_mov_b32_e32 v20, v24
.LBB67_122:
	s_or_b64 exec, exec, s[34:35]
	v_cmp_gt_u32_e32 vcc, 62, v52
	s_waitcnt lgkmcnt(2)
	v_add_u32_e32 v55, 2, v52
	s_waitcnt lgkmcnt(0)
	v_cndmask_b32_e64 v54, 0, 1, vcc
	v_lshlrev_b32_e32 v54, 1, v54
	v_add_lshl_u32 v54, v54, v28, 2
	ds_bpermute_b32 v57, v54, v20
	ds_bpermute_b32 v58, v54, v21
	ds_bpermute_b32 v56, v54, v62
	v_cmp_le_u32_e32 vcc, v55, v9
	s_and_saveexec_b64 s[52:53], vcc
	s_cbranch_execz .LBB67_124
; %bb.123:
	v_mov_b32_e32 v20, 0
	v_cmp_eq_u16_sdwa vcc, v29, v20 src0_sel:BYTE_0 src1_sel:DWORD
	s_waitcnt lgkmcnt(2)
	s_nop 0
	v_cndmask_b32_e32 v20, 1, v57, vcc
	s_waitcnt lgkmcnt(1)
	v_cndmask_b32_e32 v57, 0, v58, vcc
	v_mul_lo_u32 v25, v20, v25
	v_mad_u64_u32 v[20:21], s[34:35], v20, v24, 0
	v_mul_lo_u32 v24, v57, v24
	v_add3_u32 v21, v21, v25, v24
	v_and_b32_e32 v24, 1, v29
	v_cmp_eq_u32_e32 vcc, 1, v24
	s_waitcnt lgkmcnt(0)
	v_and_b32_e32 v24, 1, v56
	v_cmp_eq_u32_e64 s[34:35], 1, v24
	s_or_b64 s[34:35], vcc, s[34:35]
	v_mov_b64_e32 v[24:25], v[20:21]
	v_cndmask_b32_e64 v29, 0, 1, s[34:35]
	v_cndmask_b32_e64 v62, 0, 1, s[34:35]
.LBB67_124:
	s_or_b64 exec, exec, s[52:53]
	v_cmp_gt_u32_e32 vcc, 60, v52
	s_waitcnt lgkmcnt(2)
	v_add_u32_e32 v57, 4, v52
	s_waitcnt lgkmcnt(0)
	v_cndmask_b32_e64 v56, 0, 1, vcc
	v_lshlrev_b32_e32 v56, 2, v56
	v_add_lshl_u32 v56, v56, v28, 2
	ds_bpermute_b32 v59, v56, v20
	ds_bpermute_b32 v60, v56, v21
	ds_bpermute_b32 v58, v56, v62
	v_cmp_le_u32_e32 vcc, v57, v9
	s_and_saveexec_b64 s[52:53], vcc
	s_cbranch_execz .LBB67_126
; %bb.125:
	v_mov_b32_e32 v20, 0
	v_cmp_eq_u16_sdwa vcc, v29, v20 src0_sel:BYTE_0 src1_sel:DWORD
	s_waitcnt lgkmcnt(2)
	s_nop 0
	v_cndmask_b32_e32 v20, 1, v59, vcc
	s_waitcnt lgkmcnt(1)
	v_cndmask_b32_e32 v59, 0, v60, vcc
	v_mul_lo_u32 v25, v20, v25
	v_mad_u64_u32 v[20:21], s[34:35], v20, v24, 0
	v_mul_lo_u32 v24, v59, v24
	v_add3_u32 v21, v21, v25, v24
	v_and_b32_e32 v24, 1, v29
	v_cmp_eq_u32_e32 vcc, 1, v24
	s_waitcnt lgkmcnt(0)
	v_and_b32_e32 v24, 1, v58
	v_cmp_eq_u32_e64 s[34:35], 1, v24
	s_or_b64 s[34:35], vcc, s[34:35]
	v_mov_b64_e32 v[24:25], v[20:21]
	v_cndmask_b32_e64 v29, 0, 1, s[34:35]
	v_cndmask_b32_e64 v62, 0, 1, s[34:35]
.LBB67_126:
	;; [unrolled: 36-line block ×4, first 2 shown]
	s_or_b64 exec, exec, s[52:53]
	v_cmp_gt_u32_e32 vcc, 32, v52
	s_waitcnt lgkmcnt(2)
	v_add_u32_e32 v64, 32, v52
	s_waitcnt lgkmcnt(0)
	v_cndmask_b32_e64 v63, 0, 1, vcc
	v_lshlrev_b32_e32 v63, 5, v63
	v_add_lshl_u32 v63, v63, v28, 2
	ds_bpermute_b32 v28, v63, v20
	ds_bpermute_b32 v21, v63, v21
	;; [unrolled: 1-line block ×3, first 2 shown]
	v_cmp_le_u32_e32 vcc, v64, v9
	s_and_saveexec_b64 s[52:53], vcc
	s_cbranch_execz .LBB67_132
; %bb.131:
	v_mov_b32_e32 v9, 0
	v_cmp_eq_u16_sdwa vcc, v29, v9 src0_sel:BYTE_0 src1_sel:DWORD
	s_waitcnt lgkmcnt(2)
	s_nop 0
	v_cndmask_b32_e32 v9, 1, v28, vcc
	s_waitcnt lgkmcnt(1)
	v_cndmask_b32_e32 v21, 0, v21, vcc
	v_mul_lo_u32 v25, v9, v25
	v_mad_u64_u32 v[66:67], s[34:35], v9, v24, 0
	v_mul_lo_u32 v9, v21, v24
	v_add3_u32 v67, v67, v25, v9
	v_and_b32_e32 v9, 1, v29
	v_cmp_eq_u32_e32 vcc, 1, v9
	s_waitcnt lgkmcnt(0)
	v_and_b32_e32 v9, 1, v20
	v_cmp_eq_u32_e64 s[34:35], 1, v9
	s_or_b64 s[34:35], vcc, s[34:35]
	v_mov_b64_e32 v[24:25], v[66:67]
	v_cndmask_b32_e64 v29, 0, 1, s[34:35]
.LBB67_132:
	s_or_b64 exec, exec, s[52:53]
	v_mov_b32_e32 v9, 0
	v_mov_b32_e32 v65, 2
	s_branch .LBB67_134
.LBB67_133:                             ;   in Loop: Header=BB67_134 Depth=1
	s_or_b64 exec, exec, s[56:57]
	v_cmp_eq_u16_sdwa vcc, v62, v9 src0_sel:BYTE_0 src1_sel:DWORD
	v_subrev_u32_e32 v8, 64, v8
	s_waitcnt lgkmcnt(0)
	v_cndmask_b32_e32 v24, 1, v28, vcc
	v_cndmask_b32_e32 v25, 0, v29, vcc
	v_mul_lo_u32 v28, v25, v20
	v_mul_lo_u32 v29, v24, v21
	v_mad_u64_u32 v[24:25], s[34:35], v24, v20, 0
	v_add3_u32 v25, v25, v29, v28
	v_and_b32_e32 v28, 1, v62
	v_cmp_eq_u32_e32 vcc, 1, v28
	s_or_b64 s[34:35], vcc, s[52:53]
	v_cndmask_b32_e64 v29, 0, 1, s[34:35]
.LBB67_134:                             ; =>This Loop Header: Depth=1
                                        ;     Child Loop BB67_137 Depth 2
                                        ;       Child Loop BB67_138 Depth 3
	v_cmp_ne_u16_sdwa s[34:35], v51, v65 src0_sel:BYTE_0 src1_sel:DWORD
	v_mov_b32_e32 v62, v29
	s_waitcnt lgkmcnt(0)
	v_cndmask_b32_e64 v20, 0, 1, s[34:35]
	;;#ASMSTART
	;;#ASMEND
	s_nop 0
	v_cmp_ne_u32_e32 vcc, 0, v20
	s_cmp_lg_u64 vcc, exec
	v_mov_b64_e32 v[20:21], v[24:25]
	s_cbranch_scc1 .LBB67_153
; %bb.135:                              ;   in Loop: Header=BB67_134 Depth=1
	global_load_ubyte v51, v8, s[40:41] sc1
	s_waitcnt vmcnt(0)
	v_cmp_eq_u16_e32 vcc, 0, v51
	s_and_saveexec_b64 s[34:35], vcc
	s_cbranch_execz .LBB67_141
; %bb.136:                              ;   in Loop: Header=BB67_134 Depth=1
	v_lshl_add_u64 v[24:25], s[40:41], 0, v[8:9]
	s_mov_b32 s3, 1
	s_mov_b64 s[52:53], 0
.LBB67_137:                             ;   Parent Loop BB67_134 Depth=1
                                        ; =>  This Loop Header: Depth=2
                                        ;       Child Loop BB67_138 Depth 3
	s_max_u32 s43, s3, 1
.LBB67_138:                             ;   Parent Loop BB67_134 Depth=1
                                        ;     Parent Loop BB67_137 Depth=2
                                        ; =>    This Inner Loop Header: Depth=3
	s_add_i32 s43, s43, -1
	s_cmp_eq_u32 s43, 0
	s_sleep 1
	s_cbranch_scc0 .LBB67_138
; %bb.139:                              ;   in Loop: Header=BB67_137 Depth=2
	global_load_ubyte v51, v[24:25], off sc1
	s_cmp_lt_u32 s3, 32
	s_cselect_b64 s[56:57], -1, 0
	s_cmp_lg_u64 s[56:57], 0
	s_addc_u32 s3, s3, 0
	s_waitcnt vmcnt(0)
	v_cmp_ne_u16_e32 vcc, 0, v51
	s_or_b64 s[52:53], vcc, s[52:53]
	s_andn2_b64 exec, exec, s[52:53]
	s_cbranch_execnz .LBB67_137
; %bb.140:                              ;   in Loop: Header=BB67_134 Depth=1
	s_or_b64 exec, exec, s[52:53]
.LBB67_141:                             ;   in Loop: Header=BB67_134 Depth=1
	s_or_b64 exec, exec, s[34:35]
	v_mov_b32_e32 v24, s39
	v_mov_b32_e32 v25, s37
	v_cmp_eq_u16_e32 vcc, 1, v51
	v_mov_b32_e32 v28, s36
	s_waitcnt vmcnt(0)
	v_cndmask_b32_e32 v25, v24, v25, vcc
	v_mov_b32_e32 v24, s38
	v_cndmask_b32_e32 v24, v24, v28, vcc
	v_lshl_add_u64 v[28:29], v[8:9], 4, v[24:25]
	global_load_dword v24, v[28:29], off sc1
	global_load_dword v25, v[28:29], off offset:4 sc1
	global_load_dword v66, v[28:29], off offset:8 sc1
	s_nop 0
	global_load_dword v28, v[28:29], off offset:12 sc1
	v_cmp_eq_u16_e32 vcc, 2, v51
	s_waitcnt vmcnt(3)
	ds_bpermute_b32 v70, v53, v24
	s_waitcnt vmcnt(0)
	v_and_b32_e32 v28, vcc_hi, v13
	v_and_b32_e32 v68, 0xff, v66
	v_or_b32_e32 v28, 0x80000000, v28
	ds_bpermute_b32 v71, v53, v25
	ds_bpermute_b32 v69, v53, v68
	v_and_b32_e32 v29, vcc_lo, v12
	v_ffbl_b32_e32 v28, v28
	v_add_u32_e32 v28, 32, v28
	v_ffbl_b32_e32 v29, v29
	v_min_u32_e32 v67, v29, v28
	v_cmp_lt_u32_e32 vcc, v52, v67
	v_mov_b64_e32 v[28:29], v[24:25]
	s_and_saveexec_b64 s[34:35], vcc
	s_cbranch_execz .LBB67_143
; %bb.142:                              ;   in Loop: Header=BB67_134 Depth=1
	v_cmp_eq_u16_sdwa vcc, v66, v9 src0_sel:BYTE_0 src1_sel:DWORD
	s_waitcnt lgkmcnt(2)
	s_nop 0
	v_cndmask_b32_e32 v28, 1, v70, vcc
	s_waitcnt lgkmcnt(1)
	v_cndmask_b32_e32 v68, 0, v71, vcc
	v_mul_lo_u32 v25, v28, v25
	v_mad_u64_u32 v[28:29], s[52:53], v28, v24, 0
	v_mul_lo_u32 v24, v68, v24
	v_add3_u32 v29, v29, v25, v24
	s_waitcnt lgkmcnt(0)
	v_or_b32_e32 v24, v69, v66
	v_and_b32_e32 v66, 1, v24
	v_and_b32_e32 v68, 1, v24
	v_mov_b32_e32 v25, v29
	v_mov_b32_e32 v24, v28
.LBB67_143:                             ;   in Loop: Header=BB67_134 Depth=1
	s_or_b64 exec, exec, s[34:35]
	s_waitcnt lgkmcnt(2)
	ds_bpermute_b32 v70, v54, v24
	s_waitcnt lgkmcnt(2)
	ds_bpermute_b32 v71, v54, v25
	s_waitcnt lgkmcnt(2)
	ds_bpermute_b32 v69, v54, v68
	v_and_b32_e32 v72, 1, v66
	v_cmp_le_u32_e32 vcc, v55, v67
	v_cmp_eq_u32_e64 s[52:53], 1, v72
	s_and_saveexec_b64 s[34:35], vcc
	s_cbranch_execz .LBB67_145
; %bb.144:                              ;   in Loop: Header=BB67_134 Depth=1
	v_cmp_eq_u16_sdwa vcc, v66, v9 src0_sel:BYTE_0 src1_sel:DWORD
	s_waitcnt lgkmcnt(2)
	s_nop 0
	v_cndmask_b32_e32 v24, 1, v70, vcc
	s_waitcnt lgkmcnt(1)
	v_cndmask_b32_e32 v66, 0, v71, vcc
	v_mul_lo_u32 v29, v24, v29
	v_mad_u64_u32 v[24:25], s[56:57], v24, v28, 0
	v_mul_lo_u32 v28, v66, v28
	v_add3_u32 v25, v25, v29, v28
	s_waitcnt lgkmcnt(0)
	v_and_b32_e32 v28, 1, v69
	v_cmp_eq_u32_e32 vcc, 1, v28
	s_or_b64 s[56:57], s[52:53], vcc
	v_cndmask_b32_e64 v66, 0, 1, s[56:57]
	v_cndmask_b32_e64 v68, 0, 1, s[56:57]
	s_andn2_b64 s[52:53], s[52:53], exec
	s_and_b64 s[56:57], s[56:57], exec
	s_or_b64 s[52:53], s[52:53], s[56:57]
	v_mov_b64_e32 v[28:29], v[24:25]
.LBB67_145:                             ;   in Loop: Header=BB67_134 Depth=1
	s_or_b64 exec, exec, s[34:35]
	s_waitcnt lgkmcnt(2)
	ds_bpermute_b32 v70, v56, v24
	s_waitcnt lgkmcnt(2)
	ds_bpermute_b32 v71, v56, v25
	s_waitcnt lgkmcnt(2)
	ds_bpermute_b32 v69, v56, v68
	v_cmp_le_u32_e32 vcc, v57, v67
	s_and_saveexec_b64 s[56:57], vcc
	s_cbranch_execz .LBB67_147
; %bb.146:                              ;   in Loop: Header=BB67_134 Depth=1
	v_cmp_eq_u16_sdwa vcc, v66, v9 src0_sel:BYTE_0 src1_sel:DWORD
	s_andn2_b64 s[52:53], s[52:53], exec
	s_waitcnt lgkmcnt(2)
	v_cndmask_b32_e32 v24, 1, v70, vcc
	s_waitcnt lgkmcnt(1)
	v_cndmask_b32_e32 v68, 0, v71, vcc
	v_mul_lo_u32 v29, v24, v29
	v_mad_u64_u32 v[24:25], s[34:35], v24, v28, 0
	v_mul_lo_u32 v28, v68, v28
	v_add3_u32 v25, v25, v29, v28
	v_and_b32_e32 v28, 1, v66
	v_cmp_eq_u32_e32 vcc, 1, v28
	s_waitcnt lgkmcnt(0)
	v_and_b32_e32 v28, 1, v69
	v_cmp_eq_u32_e64 s[34:35], 1, v28
	s_or_b64 s[34:35], vcc, s[34:35]
	v_mov_b64_e32 v[28:29], v[24:25]
	v_cndmask_b32_e64 v66, 0, 1, s[34:35]
	v_cndmask_b32_e64 v68, 0, 1, s[34:35]
	s_and_b64 s[34:35], s[34:35], exec
	s_or_b64 s[52:53], s[52:53], s[34:35]
.LBB67_147:                             ;   in Loop: Header=BB67_134 Depth=1
	s_or_b64 exec, exec, s[56:57]
	s_waitcnt lgkmcnt(2)
	ds_bpermute_b32 v70, v58, v24
	s_waitcnt lgkmcnt(2)
	ds_bpermute_b32 v71, v58, v25
	s_waitcnt lgkmcnt(2)
	ds_bpermute_b32 v69, v58, v68
	v_cmp_le_u32_e32 vcc, v59, v67
	s_and_saveexec_b64 s[56:57], vcc
	s_cbranch_execz .LBB67_149
; %bb.148:                              ;   in Loop: Header=BB67_134 Depth=1
	v_cmp_eq_u16_sdwa vcc, v66, v9 src0_sel:BYTE_0 src1_sel:DWORD
	s_andn2_b64 s[52:53], s[52:53], exec
	s_waitcnt lgkmcnt(2)
	v_cndmask_b32_e32 v24, 1, v70, vcc
	s_waitcnt lgkmcnt(1)
	v_cndmask_b32_e32 v68, 0, v71, vcc
	v_mul_lo_u32 v29, v24, v29
	v_mad_u64_u32 v[24:25], s[34:35], v24, v28, 0
	v_mul_lo_u32 v28, v68, v28
	v_add3_u32 v25, v25, v29, v28
	v_and_b32_e32 v28, 1, v66
	v_cmp_eq_u32_e32 vcc, 1, v28
	s_waitcnt lgkmcnt(0)
	v_and_b32_e32 v28, 1, v69
	v_cmp_eq_u32_e64 s[34:35], 1, v28
	s_or_b64 s[34:35], vcc, s[34:35]
	v_mov_b64_e32 v[28:29], v[24:25]
	v_cndmask_b32_e64 v66, 0, 1, s[34:35]
	v_cndmask_b32_e64 v68, 0, 1, s[34:35]
	s_and_b64 s[34:35], s[34:35], exec
	s_or_b64 s[52:53], s[52:53], s[34:35]
.LBB67_149:                             ;   in Loop: Header=BB67_134 Depth=1
	;; [unrolled: 33-line block ×3, first 2 shown]
	s_or_b64 exec, exec, s[56:57]
	s_waitcnt lgkmcnt(0)
	ds_bpermute_b32 v69, v63, v24
	ds_bpermute_b32 v25, v63, v25
	;; [unrolled: 1-line block ×3, first 2 shown]
	v_cmp_le_u32_e32 vcc, v64, v67
	s_and_saveexec_b64 s[56:57], vcc
	s_cbranch_execz .LBB67_133
; %bb.152:                              ;   in Loop: Header=BB67_134 Depth=1
	v_cmp_eq_u16_sdwa vcc, v66, v9 src0_sel:BYTE_0 src1_sel:DWORD
	s_waitcnt lgkmcnt(0)
	v_and_b32_e32 v24, 1, v24
	s_andn2_b64 s[52:53], s[52:53], exec
	v_cndmask_b32_e32 v67, 1, v69, vcc
	v_cndmask_b32_e32 v25, 0, v25, vcc
	v_mul_lo_u32 v29, v67, v29
	v_mad_u64_u32 v[68:69], s[34:35], v67, v28, 0
	v_mul_lo_u32 v25, v25, v28
	v_add3_u32 v69, v69, v29, v25
	v_and_b32_e32 v25, 1, v66
	v_cmp_eq_u32_e32 vcc, 1, v25
	v_cmp_eq_u32_e64 s[34:35], 1, v24
	s_or_b64 s[34:35], vcc, s[34:35]
	s_and_b64 s[34:35], s[34:35], exec
	s_or_b64 s[52:53], s[52:53], s[34:35]
	v_mov_b64_e32 v[28:29], v[68:69]
	s_branch .LBB67_133
.LBB67_153:                             ;   in Loop: Header=BB67_134 Depth=1
                                        ; implicit-def: $vgpr29
                                        ; implicit-def: $vgpr24_vgpr25
                                        ; implicit-def: $vgpr51
	s_cbranch_execz .LBB67_134
; %bb.154:
	s_and_saveexec_b64 s[34:35], s[28:29]
	s_cbranch_execz .LBB67_156
; %bb.155:
	v_mov_b32_e32 v12, 0
	v_cmp_eq_u32_sdwa vcc, v50, v12 src0_sel:BYTE_0 src1_sel:DWORD
	s_mov_b32 s3, 0
	s_add_i32 s2, s2, 64
	v_cndmask_b32_e32 v8, 1, v20, vcc
	v_cndmask_b32_e32 v9, 0, v21, vcc
	v_mul_lo_u32 v13, v9, v48
	v_mul_lo_u32 v24, v8, v49
	v_mad_u64_u32 v[8:9], s[36:37], v8, v48, 0
	s_lshl_b64 s[36:37], s[2:3], 4
	v_add3_u32 v9, v9, v24, v13
	v_and_b32_e32 v13, 1, v50
	s_add_u32 s36, s38, s36
	v_and_b32_e32 v24, 1, v62
	v_cmp_eq_u32_e32 vcc, 1, v13
	s_addc_u32 s37, s39, s37
	s_nop 0
	v_cndmask_b32_e64 v13, v24, 1, vcc
	global_store_dword v12, v8, s[36:37] sc1
	global_store_dword v12, v9, s[36:37] offset:4 sc1
	global_store_dword v12, v13, s[36:37] offset:8 sc1
	;; [unrolled: 1-line block ×3, first 2 shown]
	v_mov_b32_e32 v8, s2
	v_mov_b32_e32 v9, 2
	s_waitcnt vmcnt(0)
	global_store_byte v8, v9, s[40:41] sc1
.LBB67_156:
	s_or_b64 exec, exec, s[34:35]
	v_cmp_eq_u32_e32 vcc, 0, v0
	s_and_b64 exec, exec, vcc
	s_cbranch_execz .LBB67_158
; %bb.157:
	v_mov_b32_e32 v8, 0
	ds_write_b64 v8, v[20:21] offset:48
	ds_write_b8 v8, v62 offset:56
.LBB67_158:
	s_or_b64 exec, exec, s[48:49]
	v_mov_b32_e32 v20, 0
	s_waitcnt lgkmcnt(0)
	s_barrier
	ds_read_b64 v[8:9], v20 offset:48
	v_cmp_ne_u32_e32 vcc, 0, v0
	v_mov_b32_e32 v21, v1
	v_mov_b64_e32 v[12:13], v[2:3]
	s_and_saveexec_b64 s[34:35], vcc
	s_cbranch_execz .LBB67_160
; %bb.159:
	v_cndmask_b32_e64 v12, v44, v40, s[28:29]
	v_and_b32_e32 v13, 1, v1
	v_and_b32_e32 v12, 1, v12
	v_cmp_eq_u32_e32 vcc, 1, v13
	v_cmp_eq_u32_e64 s[2:3], 1, v12
	v_cndmask_b32_e64 v5, v45, v5, s[28:29]
	v_cndmask_b32_e64 v4, v41, v4, s[28:29]
	s_or_b64 s[2:3], vcc, s[2:3]
	v_cmp_eq_u16_sdwa vcc, v1, v20 src0_sel:BYTE_0 src1_sel:DWORD
	v_cndmask_b32_e64 v21, 0, 1, s[2:3]
	s_nop 0
	v_cndmask_b32_e32 v4, 1, v4, vcc
	v_cndmask_b32_e32 v5, 0, v5, vcc
	v_mul_lo_u32 v5, v5, v2
	v_mul_lo_u32 v24, v4, v3
	v_mad_u64_u32 v[12:13], s[2:3], v4, v2, 0
	v_add3_u32 v13, v13, v24, v5
.LBB67_160:
	s_or_b64 exec, exec, s[34:35]
	v_cmp_eq_u16_sdwa vcc, v21, v20 src0_sel:BYTE_0 src1_sel:DWORD
	s_waitcnt lgkmcnt(0)
	s_nop 0
	v_cndmask_b32_e32 v4, 1, v8, vcc
	v_cndmask_b32_e32 v5, 0, v9, vcc
	v_mul_lo_u32 v5, v5, v12
	v_mul_lo_u32 v8, v4, v13
	v_mad_u64_u32 v[48:49], s[2:3], v4, v12, 0
	v_add3_u32 v49, v49, v8, v5
	v_cndmask_b32_e64 v4, 0, v49, s[26:27]
	v_cndmask_b32_e64 v5, 1, v48, s[26:27]
	v_mul_lo_u32 v4, v4, v14
	v_mul_lo_u32 v8, v5, v15
	v_mad_u64_u32 v[50:51], s[2:3], v5, v14, 0
	v_add3_u32 v51, v51, v8, v4
	v_cndmask_b32_e64 v4, 0, v51, s[24:25]
	v_cndmask_b32_e64 v5, 1, v50, s[24:25]
	;; [unrolled: 6-line block ×13, first 2 shown]
	v_mul_lo_u32 v4, v4, v16
	v_mul_lo_u32 v8, v5, v17
	v_mad_u64_u32 v[74:75], s[2:3], v5, v16, 0
	v_add3_u32 v75, v75, v8, v4
	s_branch .LBB67_191
.LBB67_161:
                                        ; implicit-def: $vgpr74_vgpr75
                                        ; implicit-def: $vgpr70_vgpr71
                                        ; implicit-def: $vgpr66_vgpr67
                                        ; implicit-def: $vgpr62_vgpr63
                                        ; implicit-def: $vgpr58_vgpr59
                                        ; implicit-def: $vgpr54_vgpr55
                                        ; implicit-def: $vgpr50_vgpr51
	s_cbranch_execz .LBB67_191
; %bb.162:
	s_cmp_lg_u64 s[60:61], 0
	s_cselect_b32 s3, s55, 0
	s_cselect_b32 s2, s54, 0
	s_cmp_lg_u64 s[2:3], 0
	s_cselect_b64 s[4:5], -1, 0
	v_cmp_eq_u32_e32 vcc, 0, v0
	v_cmp_ne_u32_e64 s[8:9], 0, v0
	s_and_b64 s[6:7], vcc, s[4:5]
	s_and_saveexec_b64 s[4:5], s[6:7]
	s_cbranch_execz .LBB67_164
; %bb.163:
	v_mov_b32_e32 v8, 0
	global_load_dwordx2 v[4:5], v8, s[2:3]
	global_load_ubyte v9, v8, s[2:3] offset:8
	v_cmp_eq_u16_sdwa s[2:3], v1, v8 src0_sel:BYTE_0 src1_sel:DWORD
	s_waitcnt vmcnt(0)
	v_or_b32_e32 v1, v1, v9
	v_cndmask_b32_e64 v4, 1, v4, s[2:3]
	v_cndmask_b32_e64 v5, 0, v5, s[2:3]
	v_mul_lo_u32 v5, v5, v2
	v_mul_lo_u32 v8, v4, v3
	v_mad_u64_u32 v[2:3], s[2:3], v4, v2, 0
	v_add3_u32 v3, v3, v8, v5
	v_and_b32_e32 v1, 1, v1
.LBB67_164:
	s_or_b64 exec, exec, s[4:5]
	v_mov_b32_e32 v5, 0
	v_cmp_eq_u16_sdwa s[28:29], v82, v5 src0_sel:BYTE_0 src1_sel:DWORD
	v_cmp_eq_u16_sdwa s[26:27], v81, v5 src0_sel:BYTE_0 src1_sel:DWORD
	v_cmp_eq_u16_sdwa s[24:25], v83, v5 src0_sel:BYTE_0 src1_sel:DWORD
	v_cndmask_b32_e64 v8, 1, v2, s[28:29]
	v_cndmask_b32_e64 v9, 0, v3, s[28:29]
	v_mul_lo_u32 v9, v9, v14
	v_mul_lo_u32 v12, v8, v15
	v_mad_u64_u32 v[50:51], s[2:3], v8, v14, 0
	v_add3_u32 v51, v51, v12, v9
	v_cndmask_b32_e64 v8, 0, v51, s[26:27]
	v_cndmask_b32_e64 v9, 1, v50, s[26:27]
	v_mul_lo_u32 v8, v8, v6
	v_mul_lo_u32 v12, v9, v7
	v_mad_u64_u32 v[52:53], s[2:3], v9, v6, 0
	v_add3_u32 v53, v53, v12, v8
	v_cndmask_b32_e64 v8, 0, v53, s[24:25]
	v_cndmask_b32_e64 v9, 1, v52, s[24:25]
	v_mul_lo_u32 v8, v8, v22
	v_mul_lo_u32 v12, v9, v23
	v_mad_u64_u32 v[54:55], s[2:3], v9, v22, 0
	v_add3_u32 v55, v55, v12, v8
	v_cmp_eq_u16_sdwa s[22:23], v84, v5 src0_sel:BYTE_0 src1_sel:DWORD
	v_cmp_eq_u16_sdwa s[20:21], v85, v5 src0_sel:BYTE_0 src1_sel:DWORD
	v_cmp_eq_u16_sdwa s[18:19], v86, v5 src0_sel:BYTE_0 src1_sel:DWORD
	v_cndmask_b32_e64 v8, 0, v55, s[22:23]
	v_cndmask_b32_e64 v9, 1, v54, s[22:23]
	v_mul_lo_u32 v8, v8, v10
	v_mul_lo_u32 v12, v9, v11
	v_mad_u64_u32 v[56:57], s[2:3], v9, v10, 0
	v_add3_u32 v57, v57, v12, v8
	v_cndmask_b32_e64 v8, 0, v57, s[20:21]
	v_cndmask_b32_e64 v9, 1, v56, s[20:21]
	v_mul_lo_u32 v8, v8, v30
	v_mul_lo_u32 v12, v9, v31
	v_mad_u64_u32 v[58:59], s[2:3], v9, v30, 0
	v_add3_u32 v59, v59, v12, v8
	v_cndmask_b32_e64 v8, 0, v59, s[18:19]
	v_cndmask_b32_e64 v9, 1, v58, s[18:19]
	v_mul_lo_u32 v8, v8, v18
	v_mul_lo_u32 v12, v9, v19
	v_mad_u64_u32 v[60:61], s[2:3], v9, v18, 0
	v_add3_u32 v61, v61, v12, v8
	;; [unrolled: 21-line block ×4, first 2 shown]
	v_cmp_eq_u16_sdwa s[2:3], v33, v5 src0_sel:BYTE_0 src1_sel:DWORD
	v_and_b32_e32 v4, 0xff, v1
	v_mbcnt_hi_u32_b32 v20, -1, v36
	v_cndmask_b32_e64 v5, 0, v73, s[2:3]
	v_cndmask_b32_e64 v8, 1, v72, s[2:3]
	v_mul_lo_u32 v5, v5, v16
	v_mul_lo_u32 v9, v8, v17
	v_mad_u64_u32 v[74:75], s[30:31], v8, v16, 0
	v_add3_u32 v75, v75, v9, v5
	v_or_b32_e32 v5, v37, v90
	v_or_b32_e32 v5, v5, v89
	;; [unrolled: 1-line block ×10, first 2 shown]
	v_and_b32_e32 v5, 1, v5
	v_cmp_eq_u32_e64 s[30:31], 1, v5
	v_and_b32_e32 v12, 15, v20
	v_mov_b32_dpp v24, v74 row_shr:1 row_mask:0xf bank_mask:0xf
	v_cndmask_b32_e64 v21, v4, 1, s[30:31]
	v_mov_b32_dpp v25, v75 row_shr:1 row_mask:0xf bank_mask:0xf
	v_cmp_ne_u32_e64 s[30:31], 0, v12
	v_mov_b32_dpp v13, v21 row_shr:1 row_mask:0xf bank_mask:0xf
	v_mov_b64_e32 v[4:5], v[74:75]
	v_mov_b32_e32 v9, v75
	v_mov_b32_e32 v8, v74
	s_and_saveexec_b64 s[34:35], s[30:31]
; %bb.165:
	v_cmp_eq_u32_e64 s[30:31], 0, v21
	v_and_or_b32 v21, v13, 1, v21
	s_nop 0
	v_cndmask_b32_e64 v4, 1, v24, s[30:31]
	v_cndmask_b32_e64 v8, 0, v25, s[30:31]
	v_mul_lo_u32 v9, v75, v4
	v_mad_u64_u32 v[4:5], s[30:31], v74, v4, 0
	v_mul_lo_u32 v8, v74, v8
	v_add3_u32 v5, v5, v8, v9
	v_mov_b32_e32 v9, v5
	v_mov_b32_e32 v8, v4
; %bb.166:
	s_or_b64 exec, exec, s[34:35]
	s_nop 0
	v_mov_b32_dpp v24, v8 row_shr:2 row_mask:0xf bank_mask:0xf
	v_mov_b32_dpp v25, v9 row_shr:2 row_mask:0xf bank_mask:0xf
	v_mov_b32_dpp v13, v21 row_shr:2 row_mask:0xf bank_mask:0xf
	v_cmp_lt_u32_e64 s[30:31], 1, v12
	s_and_saveexec_b64 s[34:35], s[30:31]
; %bb.167:
	v_cmp_eq_u32_e64 s[30:31], 0, v21
	s_nop 1
	v_cndmask_b32_e64 v8, 1, v24, s[30:31]
	v_cndmask_b32_e64 v24, 0, v25, s[30:31]
	v_mul_lo_u32 v5, v8, v5
	v_mad_u64_u32 v[8:9], s[30:31], v8, v4, 0
	v_mul_lo_u32 v4, v24, v4
	v_add3_u32 v9, v9, v5, v4
	v_or_b32_e32 v4, v13, v21
	v_and_b32_e32 v21, 1, v4
	v_mov_b64_e32 v[4:5], v[8:9]
; %bb.168:
	s_or_b64 exec, exec, s[34:35]
	v_mov_b32_dpp v24, v8 row_shr:4 row_mask:0xf bank_mask:0xf
	v_mov_b32_dpp v25, v9 row_shr:4 row_mask:0xf bank_mask:0xf
	v_mov_b32_dpp v13, v21 row_shr:4 row_mask:0xf bank_mask:0xf
	v_cmp_lt_u32_e64 s[30:31], 3, v12
	s_and_saveexec_b64 s[34:35], s[30:31]
; %bb.169:
	v_cmp_eq_u32_e64 s[30:31], 0, v21
	s_nop 1
	v_cndmask_b32_e64 v8, 1, v24, s[30:31]
	v_cndmask_b32_e64 v24, 0, v25, s[30:31]
	v_mul_lo_u32 v5, v8, v5
	v_mad_u64_u32 v[8:9], s[30:31], v8, v4, 0
	v_mul_lo_u32 v4, v24, v4
	v_add3_u32 v9, v9, v5, v4
	v_or_b32_e32 v4, v13, v21
	v_and_b32_e32 v21, 1, v4
	v_mov_b64_e32 v[4:5], v[8:9]
; %bb.170:
	s_or_b64 exec, exec, s[34:35]
	;; [unrolled: 19-line block ×3, first 2 shown]
	v_and_b32_e32 v25, 16, v20
	v_mov_b32_dpp v13, v8 row_bcast:15 row_mask:0xf bank_mask:0xf
	v_mov_b32_dpp v24, v9 row_bcast:15 row_mask:0xf bank_mask:0xf
	;; [unrolled: 1-line block ×3, first 2 shown]
	v_cmp_ne_u32_e64 s[30:31], 0, v25
	s_and_saveexec_b64 s[34:35], s[30:31]
; %bb.173:
	v_cmp_eq_u32_e64 s[30:31], 0, v21
	s_nop 1
	v_cndmask_b32_e64 v8, 1, v13, s[30:31]
	v_cndmask_b32_e64 v13, 0, v24, s[30:31]
	v_mul_lo_u32 v5, v8, v5
	v_mad_u64_u32 v[8:9], s[30:31], v8, v4, 0
	v_mul_lo_u32 v4, v13, v4
	v_add3_u32 v9, v9, v5, v4
	v_or_b32_e32 v4, v12, v21
	v_and_b32_e32 v21, 1, v4
	v_mov_b64_e32 v[4:5], v[8:9]
; %bb.174:
	s_or_b64 exec, exec, s[34:35]
	v_mov_b32_dpp v12, v8 row_bcast:31 row_mask:0xf bank_mask:0xf
	v_mov_b32_dpp v13, v9 row_bcast:31 row_mask:0xf bank_mask:0xf
	;; [unrolled: 1-line block ×3, first 2 shown]
	v_cmp_lt_u32_e64 s[30:31], 31, v20
	v_mov_b32_e32 v8, v21
	s_and_saveexec_b64 s[34:35], s[30:31]
; %bb.175:
	v_cmp_eq_u32_e64 s[30:31], 0, v21
	s_nop 1
	v_cndmask_b32_e64 v8, 1, v12, s[30:31]
	v_cndmask_b32_e64 v24, 0, v13, s[30:31]
	v_mul_lo_u32 v5, v8, v5
	v_mad_u64_u32 v[12:13], s[30:31], v8, v4, 0
	v_mul_lo_u32 v4, v24, v4
	v_add3_u32 v13, v13, v5, v4
	v_or_b32_e32 v4, v9, v21
	v_and_b32_e32 v8, 1, v4
	v_and_b32_e32 v21, 1, v4
	v_mov_b64_e32 v[4:5], v[12:13]
; %bb.176:
	s_or_b64 exec, exec, s[34:35]
	v_or_b32_e32 v9, 63, v0
	v_lshrrev_b32_e32 v24, 6, v0
	v_cmp_eq_u32_e64 s[30:31], v9, v0
	s_and_saveexec_b64 s[34:35], s[30:31]
	s_cbranch_execz .LBB67_178
; %bb.177:
	v_lshlrev_b32_e32 v9, 4, v24
	ds_write_b64 v9, v[4:5]
	ds_write_b8 v9, v8 offset:8
.LBB67_178:
	s_or_b64 exec, exec, s[34:35]
	v_cmp_gt_u32_e64 s[30:31], 4, v0
	s_waitcnt lgkmcnt(0)
	s_barrier
	s_and_saveexec_b64 s[36:37], s[30:31]
	s_cbranch_execz .LBB67_184
; %bb.179:
	v_lshlrev_b32_e32 v25, 4, v0
	ds_read_b64 v[8:9], v25
	ds_read_b32 v28, v25 offset:8
	v_and_b32_e32 v29, 3, v20
	v_cmp_ne_u32_e64 s[30:31], 0, v29
	s_waitcnt lgkmcnt(1)
	v_mov_b32_dpp v40, v8 row_shr:1 row_mask:0xf bank_mask:0xf
	v_mov_b32_dpp v41, v9 row_shr:1 row_mask:0xf bank_mask:0xf
	s_waitcnt lgkmcnt(0)
	v_mov_b32_dpp v37, v28 row_shr:1 row_mask:0xf bank_mask:0xf
	v_mov_b32_e32 v36, v28
	v_mov_b32_e32 v33, v28
	;; [unrolled: 1-line block ×4, first 2 shown]
	s_and_saveexec_b64 s[34:35], s[30:31]
	s_cbranch_execz .LBB67_181
; %bb.180:
	v_mov_b32_e32 v12, 0
	v_cmp_eq_u16_sdwa s[30:31], v28, v12 src0_sel:BYTE_0 src1_sel:DWORD
	s_nop 1
	v_cndmask_b32_e64 v12, 1, v40, s[30:31]
	v_cndmask_b32_e64 v33, 0, v41, s[30:31]
	v_mul_lo_u32 v9, v12, v9
	v_mad_u64_u32 v[12:13], s[30:31], v12, v8, 0
	v_mul_lo_u32 v8, v33, v8
	v_add3_u32 v13, v13, v9, v8
	v_or_b32_e32 v8, v37, v28
	v_and_b32_e32 v33, 1, v8
	s_movk_i32 s30, 0xff00
	v_and_b32_e32 v36, 1, v8
	v_and_or_b32 v28, v28, s30, v33
	v_mov_b64_e32 v[8:9], v[12:13]
.LBB67_181:
	s_or_b64 exec, exec, s[34:35]
	v_mov_b32_dpp v37, v12 row_shr:2 row_mask:0xf bank_mask:0xf
	v_mov_b32_dpp v13, v13 row_shr:2 row_mask:0xf bank_mask:0xf
	;; [unrolled: 1-line block ×3, first 2 shown]
	v_cmp_lt_u32_e64 s[30:31], 1, v29
	s_and_saveexec_b64 s[48:49], s[30:31]
	s_cbranch_execz .LBB67_183
; %bb.182:
	v_mov_b32_e32 v28, 0
	v_cmp_eq_u16_sdwa s[30:31], v33, v28 src0_sel:BYTE_0 src1_sel:DWORD
	s_nop 1
	v_cndmask_b32_e64 v28, 1, v37, s[30:31]
	v_cndmask_b32_e64 v13, 0, v13, s[30:31]
	v_mul_lo_u32 v9, v28, v9
	v_mad_u64_u32 v[28:29], s[30:31], v28, v8, 0
	v_mul_lo_u32 v8, v13, v8
	v_add3_u32 v29, v29, v9, v8
	v_and_b32_e32 v8, 1, v33
	v_cmp_eq_u32_e64 s[30:31], 1, v8
	v_and_b32_e32 v8, 1, v12
	v_cmp_eq_u32_e64 s[34:35], 1, v8
	s_or_b64 s[30:31], s[30:31], s[34:35]
	v_cndmask_b32_e64 v36, 0, 1, s[30:31]
	v_mov_b64_e32 v[8:9], v[28:29]
.LBB67_183:
	s_or_b64 exec, exec, s[48:49]
	ds_write_b64 v25, v[8:9]
	ds_write_b8 v25, v36 offset:8
.LBB67_184:
	s_or_b64 exec, exec, s[36:37]
	v_cmp_lt_u32_e64 s[30:31], 63, v0
	v_mov_b64_e32 v[8:9], 0
	s_waitcnt lgkmcnt(0)
	s_barrier
	s_and_saveexec_b64 s[34:35], s[30:31]
	s_cbranch_execz .LBB67_186
; %bb.185:
	v_lshl_add_u32 v8, v24, 4, -16
	ds_read_b64 v[8:9], v8
	v_cmp_eq_u32_e64 s[30:31], 0, v21
	s_waitcnt lgkmcnt(0)
	s_nop 0
	v_cndmask_b32_e64 v12, 1, v8, s[30:31]
	v_cndmask_b32_e64 v13, 0, v9, s[30:31]
	v_mul_lo_u32 v13, v13, v4
	v_mul_lo_u32 v21, v12, v5
	v_mad_u64_u32 v[4:5], s[30:31], v12, v4, 0
	v_add3_u32 v5, v5, v21, v13
.LBB67_186:
	s_or_b64 exec, exec, s[34:35]
	v_add_u32_e32 v12, -1, v20
	v_and_b32_e32 v13, 64, v20
	v_cmp_lt_i32_e64 s[30:31], v12, v13
	s_nop 1
	v_cndmask_b32_e64 v12, v12, v20, s[30:31]
	v_lshlrev_b32_e32 v12, 2, v12
	ds_bpermute_b32 v4, v12, v4
	ds_bpermute_b32 v5, v12, v5
	s_and_saveexec_b64 s[30:31], s[8:9]
	s_cbranch_execz .LBB67_188
; %bb.187:
	v_cmp_eq_u32_e64 s[8:9], 0, v20
	;;#ASMSTART
	;;#ASMEND
	s_waitcnt lgkmcnt(1)
	s_nop 0
	v_cndmask_b32_e64 v4, v4, v8, s[8:9]
	v_mov_b32_e32 v8, 0
	s_waitcnt lgkmcnt(0)
	v_cndmask_b32_e64 v5, v5, v9, s[8:9]
	v_cmp_eq_u16_sdwa s[8:9], v1, v8 src0_sel:BYTE_0 src1_sel:DWORD
	s_nop 1
	v_cndmask_b32_e64 v1, 1, v4, s[8:9]
	v_cndmask_b32_e64 v4, 0, v5, s[8:9]
	v_mul_lo_u32 v4, v4, v2
	v_mul_lo_u32 v5, v1, v3
	v_mad_u64_u32 v[2:3], s[8:9], v1, v2, 0
	v_add3_u32 v3, v3, v5, v4
	v_cndmask_b32_e64 v1, 0, v3, s[28:29]
	v_cndmask_b32_e64 v4, 1, v2, s[28:29]
	v_mul_lo_u32 v1, v1, v14
	v_mul_lo_u32 v5, v4, v15
	v_mad_u64_u32 v[50:51], s[8:9], v4, v14, 0
	v_add3_u32 v51, v51, v5, v1
	v_cndmask_b32_e64 v1, 0, v51, s[26:27]
	v_cndmask_b32_e64 v4, 1, v50, s[26:27]
	v_mul_lo_u32 v1, v1, v6
	v_mul_lo_u32 v5, v4, v7
	v_mad_u64_u32 v[52:53], s[8:9], v4, v6, 0
	v_add3_u32 v53, v53, v5, v1
	v_cndmask_b32_e64 v1, 0, v53, s[24:25]
	v_cndmask_b32_e64 v4, 1, v52, s[24:25]
	v_mul_lo_u32 v1, v1, v22
	v_mul_lo_u32 v5, v4, v23
	v_mad_u64_u32 v[54:55], s[8:9], v4, v22, 0
	v_add3_u32 v55, v55, v5, v1
	v_cndmask_b32_e64 v1, 0, v55, s[22:23]
	v_cndmask_b32_e64 v4, 1, v54, s[22:23]
	v_mul_lo_u32 v1, v1, v10
	v_mul_lo_u32 v5, v4, v11
	v_mad_u64_u32 v[56:57], s[8:9], v4, v10, 0
	v_add3_u32 v57, v57, v5, v1
	v_cndmask_b32_e64 v1, 0, v57, s[20:21]
	v_cndmask_b32_e64 v4, 1, v56, s[20:21]
	v_mul_lo_u32 v1, v1, v30
	v_mul_lo_u32 v5, v4, v31
	v_mad_u64_u32 v[58:59], s[8:9], v4, v30, 0
	v_add3_u32 v59, v59, v5, v1
	v_cndmask_b32_e64 v1, 0, v59, s[18:19]
	v_cndmask_b32_e64 v4, 1, v58, s[18:19]
	v_mul_lo_u32 v1, v1, v18
	v_mul_lo_u32 v5, v4, v19
	v_mad_u64_u32 v[60:61], s[8:9], v4, v18, 0
	v_add3_u32 v61, v61, v5, v1
	v_cndmask_b32_e64 v1, 0, v61, s[16:17]
	v_cndmask_b32_e64 v4, 1, v60, s[16:17]
	v_mul_lo_u32 v1, v1, v38
	v_mul_lo_u32 v5, v4, v39
	v_mad_u64_u32 v[62:63], s[8:9], v4, v38, 0
	v_add3_u32 v63, v63, v5, v1
	v_cndmask_b32_e64 v1, 0, v63, s[14:15]
	v_cndmask_b32_e64 v4, 1, v62, s[14:15]
	v_mul_lo_u32 v1, v1, v26
	v_mul_lo_u32 v5, v4, v27
	v_mad_u64_u32 v[64:65], s[8:9], v4, v26, 0
	v_add3_u32 v65, v65, v5, v1
	v_cndmask_b32_e64 v1, 0, v65, s[12:13]
	v_cndmask_b32_e64 v4, 1, v64, s[12:13]
	v_mul_lo_u32 v1, v1, v42
	v_mul_lo_u32 v5, v4, v43
	v_mad_u64_u32 v[66:67], s[8:9], v4, v42, 0
	v_add3_u32 v67, v67, v5, v1
	v_cndmask_b32_e64 v1, 0, v67, s[10:11]
	v_cndmask_b32_e64 v4, 1, v66, s[10:11]
	v_mul_lo_u32 v1, v1, v34
	v_mul_lo_u32 v5, v4, v35
	v_mad_u64_u32 v[68:69], s[8:9], v4, v34, 0
	v_add3_u32 v69, v69, v5, v1
	v_cndmask_b32_e64 v1, 0, v69, s[6:7]
	v_cndmask_b32_e64 v4, 1, v68, s[6:7]
	v_mul_lo_u32 v1, v1, v46
	v_mul_lo_u32 v5, v4, v47
	v_mad_u64_u32 v[70:71], s[6:7], v4, v46, 0
	v_add3_u32 v71, v71, v5, v1
	v_cndmask_b32_e64 v1, 0, v71, s[4:5]
	v_cndmask_b32_e64 v4, 1, v70, s[4:5]
	v_mul_lo_u32 v1, v1, v78
	v_mul_lo_u32 v5, v4, v79
	v_mad_u64_u32 v[72:73], s[4:5], v4, v78, 0
	v_add3_u32 v73, v73, v5, v1
	v_cndmask_b32_e64 v1, 0, v73, s[2:3]
	v_cndmask_b32_e64 v4, 1, v72, s[2:3]
	v_mul_lo_u32 v1, v1, v16
	v_mul_lo_u32 v5, v4, v17
	v_mad_u64_u32 v[74:75], s[2:3], v4, v16, 0
	v_add3_u32 v75, v75, v5, v1
.LBB67_188:
	s_or_b64 exec, exec, s[30:31]
	s_and_saveexec_b64 s[2:3], vcc
	s_cbranch_execz .LBB67_190
; %bb.189:
	v_mov_b32_e32 v1, 0
	s_waitcnt lgkmcnt(0)
	ds_read_b64 v[4:5], v1 offset:48
	ds_read_u8 v6, v1 offset:56
	s_waitcnt lgkmcnt(1)
	global_store_dword v1, v4, s[38:39] offset:1024 sc1
	global_store_dword v1, v5, s[38:39] offset:1028 sc1
	s_waitcnt lgkmcnt(0)
	global_store_dword v1, v6, s[38:39] offset:1032 sc1
	global_store_dword v1, v1, s[38:39] offset:1036 sc1
	v_mov_b32_e32 v4, 2
	s_waitcnt vmcnt(0)
	global_store_byte v1, v4, s[40:41] offset:64 sc1
.LBB67_190:
	s_or_b64 exec, exec, s[2:3]
	v_mov_b64_e32 v[48:49], v[2:3]
.LBB67_191:
	s_add_u32 s2, s50, s46
	s_addc_u32 s3, s51, s47
	s_add_u32 s2, s2, s44
	v_mul_u32_u24_e32 v1, 14, v0
	s_addc_u32 s3, s3, s45
	s_and_b64 vcc, exec, s[0:1]
	v_lshlrev_b32_e32 v30, 3, v1
	s_cbranch_vccz .LBB67_219
; %bb.192:
	s_movk_i32 s0, 0xff98
	v_mad_i32_i24 v1, v0, s0, v30
	s_waitcnt lgkmcnt(0)
	s_barrier
	ds_write_b128 v30, v[48:51]
	ds_write_b128 v30, v[52:55] offset:16
	ds_write_b128 v30, v[56:59] offset:32
	ds_write_b128 v30, v[60:63] offset:48
	ds_write_b128 v30, v[64:67] offset:64
	ds_write_b128 v30, v[68:71] offset:80
	ds_write_b128 v30, v[72:75] offset:96
	s_waitcnt lgkmcnt(0)
	s_barrier
	ds_read2st64_b64 v[26:29], v1 offset0:4 offset1:8
	ds_read2st64_b64 v[22:25], v1 offset0:12 offset1:16
	;; [unrolled: 1-line block ×6, first 2 shown]
	ds_read_b64 v[4:5], v1 offset:26624
	s_add_i32 s33, s33, s42
	v_mov_b32_e32 v33, 0
	v_lshl_add_u64 v[2:3], s[2:3], 0, v[32:33]
	v_cmp_gt_u32_e32 vcc, s33, v0
	s_and_saveexec_b64 s[0:1], vcc
	s_cbranch_execz .LBB67_194
; %bb.193:
	v_mul_i32_i24_e32 v1, 0xffffff98, v0
	v_add_u32_e32 v1, v30, v1
	ds_read_b64 v[34:35], v1
	s_waitcnt lgkmcnt(0)
	flat_store_dwordx2 v[2:3], v[34:35]
.LBB67_194:
	s_or_b64 exec, exec, s[0:1]
	v_or_b32_e32 v1, 0x100, v0
	v_cmp_gt_u32_e32 vcc, s33, v1
	s_and_saveexec_b64 s[0:1], vcc
	s_cbranch_execz .LBB67_196
; %bb.195:
	s_waitcnt lgkmcnt(0)
	flat_store_dwordx2 v[2:3], v[26:27] offset:2048
.LBB67_196:
	s_or_b64 exec, exec, s[0:1]
	v_or_b32_e32 v1, 0x200, v0
	v_cmp_gt_u32_e32 vcc, s33, v1
	s_and_saveexec_b64 s[0:1], vcc
	s_cbranch_execz .LBB67_198
; %bb.197:
	s_waitcnt lgkmcnt(0)
	v_add_co_u32_e32 v26, vcc, 0x1000, v2
	s_nop 1
	v_addc_co_u32_e32 v27, vcc, 0, v3, vcc
	flat_store_dwordx2 v[26:27], v[28:29]
.LBB67_198:
	s_or_b64 exec, exec, s[0:1]
	v_or_b32_e32 v1, 0x300, v0
	v_cmp_gt_u32_e32 vcc, s33, v1
	s_and_saveexec_b64 s[0:1], vcc
	s_cbranch_execz .LBB67_200
; %bb.199:
	s_waitcnt lgkmcnt(0)
	v_add_co_u32_e32 v26, vcc, 0x1000, v2
	s_nop 1
	v_addc_co_u32_e32 v27, vcc, 0, v3, vcc
	flat_store_dwordx2 v[26:27], v[22:23] offset:2048
.LBB67_200:
	s_or_b64 exec, exec, s[0:1]
	v_or_b32_e32 v1, 0x400, v0
	v_cmp_gt_u32_e32 vcc, s33, v1
	s_and_saveexec_b64 s[0:1], vcc
	s_cbranch_execz .LBB67_202
; %bb.201:
	s_waitcnt lgkmcnt(0)
	v_add_co_u32_e32 v22, vcc, 0x2000, v2
	s_nop 1
	v_addc_co_u32_e32 v23, vcc, 0, v3, vcc
	flat_store_dwordx2 v[22:23], v[24:25]
.LBB67_202:
	s_or_b64 exec, exec, s[0:1]
	v_or_b32_e32 v1, 0x500, v0
	v_cmp_gt_u32_e32 vcc, s33, v1
	s_and_saveexec_b64 s[0:1], vcc
	s_cbranch_execz .LBB67_204
; %bb.203:
	s_waitcnt lgkmcnt(0)
	v_add_co_u32_e32 v22, vcc, 0x2000, v2
	s_nop 1
	v_addc_co_u32_e32 v23, vcc, 0, v3, vcc
	flat_store_dwordx2 v[22:23], v[18:19] offset:2048
.LBB67_204:
	;; [unrolled: 24-line block ×5, first 2 shown]
	s_or_b64 exec, exec, s[0:1]
	v_or_b32_e32 v1, 0xc00, v0
	v_cmp_gt_u32_e32 vcc, s33, v1
	s_and_saveexec_b64 s[0:1], vcc
	s_cbranch_execz .LBB67_218
; %bb.217:
	v_add_co_u32_e32 v2, vcc, 0x6000, v2
	s_nop 1
	v_addc_co_u32_e32 v3, vcc, 0, v3, vcc
	s_waitcnt lgkmcnt(0)
	flat_store_dwordx2 v[2:3], v[8:9]
.LBB67_218:
	s_or_b64 exec, exec, s[0:1]
	v_or_b32_e32 v2, 0xd00, v0
	v_mov_b32_e32 v1, v33
	v_cmp_gt_u32_e64 s[0:1], s33, v2
	s_branch .LBB67_221
.LBB67_219:
	s_mov_b64 s[0:1], 0
                                        ; implicit-def: $vgpr4_vgpr5
	s_cbranch_execz .LBB67_221
; %bb.220:
	v_mov_b32_e32 v1, 0
	s_movk_i32 s4, 0xff98
	v_mad_i32_i24 v2, v0, s4, v30
	v_mov_b32_e32 v33, v1
	s_waitcnt lgkmcnt(0)
	s_barrier
	ds_write_b128 v30, v[48:51]
	ds_write_b128 v30, v[52:55] offset:16
	ds_write_b128 v30, v[56:59] offset:32
	;; [unrolled: 1-line block ×6, first 2 shown]
	s_waitcnt lgkmcnt(0)
	s_barrier
	ds_read2st64_b64 v[6:9], v2 offset1:4
	ds_read2st64_b64 v[10:13], v2 offset0:8 offset1:12
	ds_read2st64_b64 v[14:17], v2 offset0:16 offset1:20
	;; [unrolled: 1-line block ×6, first 2 shown]
	v_lshl_add_u64 v[30:31], s[2:3], 0, v[32:33]
	s_movk_i32 s4, 0x1000
	s_waitcnt lgkmcnt(0)
	flat_store_dwordx2 v[30:31], v[6:7]
	flat_store_dwordx2 v[30:31], v[8:9] offset:2048
	v_add_co_u32_e32 v6, vcc, s4, v30
	s_movk_i32 s4, 0x2000
	s_nop 0
	v_addc_co_u32_e32 v7, vcc, 0, v31, vcc
	flat_store_dwordx2 v[6:7], v[10:11]
	flat_store_dwordx2 v[6:7], v[12:13] offset:2048
	v_add_co_u32_e32 v6, vcc, s4, v30
	s_movk_i32 s4, 0x3000
	s_nop 0
	v_addc_co_u32_e32 v7, vcc, 0, v31, vcc
	;; [unrolled: 6-line block ×3, first 2 shown]
	flat_store_dwordx2 v[6:7], v[18:19]
	flat_store_dwordx2 v[6:7], v[20:21] offset:2048
	v_add_co_u32_e32 v6, vcc, s4, v30
	s_or_b64 s[0:1], s[0:1], exec
	s_nop 0
	v_addc_co_u32_e32 v7, vcc, 0, v31, vcc
	flat_store_dwordx2 v[6:7], v[22:23]
	flat_store_dwordx2 v[6:7], v[24:25] offset:2048
	v_add_co_u32_e32 v6, vcc, 0x5000, v30
	s_nop 1
	v_addc_co_u32_e32 v7, vcc, 0, v31, vcc
	flat_store_dwordx2 v[6:7], v[26:27]
	flat_store_dwordx2 v[6:7], v[28:29] offset:2048
	v_add_co_u32_e32 v6, vcc, 0x6000, v30
	s_nop 1
	v_addc_co_u32_e32 v7, vcc, 0, v31, vcc
	flat_store_dwordx2 v[6:7], v[2:3]
.LBB67_221:
	s_and_saveexec_b64 s[4:5], s[0:1]
	s_cbranch_execnz .LBB67_223
; %bb.222:
	s_endpgm
.LBB67_223:
	v_lshl_add_u64 v[0:1], v[0:1], 3, s[2:3]
	v_add_co_u32_e32 v0, vcc, 0x6000, v0
	s_nop 1
	v_addc_co_u32_e32 v1, vcc, 0, v1, vcc
	s_waitcnt lgkmcnt(0)
	flat_store_dwordx2 v[0:1], v[4:5] offset:2048
	s_endpgm
.LBB67_224:
	v_lshl_add_u64 v[6:7], s[34:35], 0, v[2:3]
	flat_load_dwordx2 v[6:7], v[6:7]
	s_or_b64 exec, exec, s[52:53]
                                        ; implicit-def: $vgpr8_vgpr9
	s_and_saveexec_b64 s[30:31], s[4:5]
	s_cbranch_execz .LBB67_37
.LBB67_225:
	v_mov_b32_e32 v3, 0
	v_lshl_add_u64 v[8:9], s[34:35], 0, v[2:3]
	flat_load_dwordx2 v[8:9], v[8:9] offset:2048
	s_or_b64 exec, exec, s[30:31]
                                        ; implicit-def: $vgpr10_vgpr11
	s_and_saveexec_b64 s[4:5], s[6:7]
	s_cbranch_execz .LBB67_38
.LBB67_226:
	v_lshlrev_b32_e32 v10, 3, v1
	v_mov_b32_e32 v11, 0
	v_lshl_add_u64 v[10:11], s[34:35], 0, v[10:11]
	flat_load_dwordx2 v[10:11], v[10:11]
	s_or_b64 exec, exec, s[4:5]
                                        ; implicit-def: $vgpr12_vgpr13
	s_and_saveexec_b64 s[4:5], s[8:9]
	s_cbranch_execz .LBB67_39
.LBB67_227:
	v_lshlrev_b32_e32 v12, 3, v32
	v_mov_b32_e32 v13, 0
	v_lshl_add_u64 v[12:13], s[34:35], 0, v[12:13]
	flat_load_dwordx2 v[12:13], v[12:13]
	s_or_b64 exec, exec, s[4:5]
                                        ; implicit-def: $vgpr14_vgpr15
	s_and_saveexec_b64 s[4:5], s[10:11]
	s_cbranch_execz .LBB67_40
.LBB67_228:
	v_lshlrev_b32_e32 v14, 3, v33
	v_mov_b32_e32 v15, 0
	v_lshl_add_u64 v[14:15], s[34:35], 0, v[14:15]
	flat_load_dwordx2 v[14:15], v[14:15]
	s_or_b64 exec, exec, s[4:5]
                                        ; implicit-def: $vgpr16_vgpr17
	s_and_saveexec_b64 s[4:5], s[12:13]
	s_cbranch_execz .LBB67_41
.LBB67_229:
	v_lshlrev_b32_e32 v16, 3, v34
	v_mov_b32_e32 v17, 0
	v_lshl_add_u64 v[16:17], s[34:35], 0, v[16:17]
	flat_load_dwordx2 v[16:17], v[16:17]
	s_or_b64 exec, exec, s[4:5]
                                        ; implicit-def: $vgpr18_vgpr19
	s_and_saveexec_b64 s[4:5], s[14:15]
	s_cbranch_execz .LBB67_42
.LBB67_230:
	v_lshlrev_b32_e32 v18, 3, v35
	v_mov_b32_e32 v19, 0
	v_lshl_add_u64 v[18:19], s[34:35], 0, v[18:19]
	flat_load_dwordx2 v[18:19], v[18:19]
	s_or_b64 exec, exec, s[4:5]
                                        ; implicit-def: $vgpr20_vgpr21
	s_and_saveexec_b64 s[4:5], s[16:17]
	s_cbranch_execz .LBB67_43
.LBB67_231:
	v_lshlrev_b32_e32 v20, 3, v37
	v_mov_b32_e32 v21, 0
	v_lshl_add_u64 v[20:21], s[34:35], 0, v[20:21]
	flat_load_dwordx2 v[20:21], v[20:21]
	s_or_b64 exec, exec, s[4:5]
                                        ; implicit-def: $vgpr22_vgpr23
	s_and_saveexec_b64 s[4:5], s[18:19]
	s_cbranch_execz .LBB67_44
.LBB67_232:
	v_lshlrev_b32_e32 v22, 3, v38
	v_mov_b32_e32 v23, 0
	v_lshl_add_u64 v[22:23], s[34:35], 0, v[22:23]
	flat_load_dwordx2 v[22:23], v[22:23]
	s_or_b64 exec, exec, s[4:5]
                                        ; implicit-def: $vgpr24_vgpr25
	s_and_saveexec_b64 s[4:5], s[20:21]
	s_cbranch_execz .LBB67_45
.LBB67_233:
	v_lshlrev_b32_e32 v24, 3, v39
	v_mov_b32_e32 v25, 0
	v_lshl_add_u64 v[24:25], s[34:35], 0, v[24:25]
	flat_load_dwordx2 v[24:25], v[24:25]
	s_or_b64 exec, exec, s[4:5]
                                        ; implicit-def: $vgpr26_vgpr27
	s_and_saveexec_b64 s[4:5], s[22:23]
	s_cbranch_execz .LBB67_46
.LBB67_234:
	v_lshlrev_b32_e32 v26, 3, v40
	v_mov_b32_e32 v27, 0
	v_lshl_add_u64 v[26:27], s[34:35], 0, v[26:27]
	flat_load_dwordx2 v[26:27], v[26:27]
	s_or_b64 exec, exec, s[4:5]
                                        ; implicit-def: $vgpr28_vgpr29
	s_and_saveexec_b64 s[4:5], s[24:25]
	s_cbranch_execz .LBB67_47
.LBB67_235:
	v_lshlrev_b32_e32 v28, 3, v41
	v_mov_b32_e32 v29, 0
	v_lshl_add_u64 v[28:29], s[34:35], 0, v[28:29]
	flat_load_dwordx2 v[28:29], v[28:29]
	s_or_b64 exec, exec, s[4:5]
                                        ; implicit-def: $vgpr30_vgpr31
	s_and_saveexec_b64 s[4:5], s[26:27]
	s_cbranch_execz .LBB67_48
.LBB67_236:
	v_lshlrev_b32_e32 v30, 3, v42
	v_mov_b32_e32 v31, 0
	v_lshl_add_u64 v[30:31], s[34:35], 0, v[30:31]
	flat_load_dwordx2 v[30:31], v[30:31]
	s_or_b64 exec, exec, s[4:5]
                                        ; implicit-def: $vgpr32_vgpr33
	s_and_saveexec_b64 s[4:5], s[28:29]
	s_cbranch_execnz .LBB67_49
	s_branch .LBB67_50
.LBB67_237:
                                        ; implicit-def: $sgpr52_sgpr53
	s_branch .LBB67_32
.LBB67_238:
                                        ; implicit-def: $sgpr4_sgpr5
	s_branch .LBB67_81
	.section	.rodata,"a",@progbits
	.p2align	6, 0x0
	.amdhsa_kernel _ZN7rocprim17ROCPRIM_400000_NS6detail17trampoline_kernelINS0_14default_configENS1_27scan_by_key_config_selectorIxxEEZZNS1_16scan_by_key_implILNS1_25lookback_scan_determinismE0ELb0ES3_N6thrust23THRUST_200600_302600_NS6detail15normal_iteratorINS9_10device_ptrIxEEEESE_SE_xNS9_10multipliesIxEENS9_8equal_toIxEExEE10hipError_tPvRmT2_T3_T4_T5_mT6_T7_P12ihipStream_tbENKUlT_T0_E_clISt17integral_constantIbLb1EESY_IbLb0EEEEDaSU_SV_EUlSU_E_NS1_11comp_targetILNS1_3genE5ELNS1_11target_archE942ELNS1_3gpuE9ELNS1_3repE0EEENS1_30default_config_static_selectorELNS0_4arch9wavefront6targetE1EEEvT1_
		.amdhsa_group_segment_fixed_size 32768
		.amdhsa_private_segment_fixed_size 0
		.amdhsa_kernarg_size 136
		.amdhsa_user_sgpr_count 2
		.amdhsa_user_sgpr_dispatch_ptr 0
		.amdhsa_user_sgpr_queue_ptr 0
		.amdhsa_user_sgpr_kernarg_segment_ptr 1
		.amdhsa_user_sgpr_dispatch_id 0
		.amdhsa_user_sgpr_kernarg_preload_length 0
		.amdhsa_user_sgpr_kernarg_preload_offset 0
		.amdhsa_user_sgpr_private_segment_size 0
		.amdhsa_uses_dynamic_stack 0
		.amdhsa_enable_private_segment 0
		.amdhsa_system_sgpr_workgroup_id_x 1
		.amdhsa_system_sgpr_workgroup_id_y 0
		.amdhsa_system_sgpr_workgroup_id_z 0
		.amdhsa_system_sgpr_workgroup_info 0
		.amdhsa_system_vgpr_workitem_id 0
		.amdhsa_next_free_vgpr 92
		.amdhsa_next_free_sgpr 66
		.amdhsa_accum_offset 92
		.amdhsa_reserve_vcc 1
		.amdhsa_float_round_mode_32 0
		.amdhsa_float_round_mode_16_64 0
		.amdhsa_float_denorm_mode_32 3
		.amdhsa_float_denorm_mode_16_64 3
		.amdhsa_dx10_clamp 1
		.amdhsa_ieee_mode 1
		.amdhsa_fp16_overflow 0
		.amdhsa_tg_split 0
		.amdhsa_exception_fp_ieee_invalid_op 0
		.amdhsa_exception_fp_denorm_src 0
		.amdhsa_exception_fp_ieee_div_zero 0
		.amdhsa_exception_fp_ieee_overflow 0
		.amdhsa_exception_fp_ieee_underflow 0
		.amdhsa_exception_fp_ieee_inexact 0
		.amdhsa_exception_int_div_zero 0
	.end_amdhsa_kernel
	.section	.text._ZN7rocprim17ROCPRIM_400000_NS6detail17trampoline_kernelINS0_14default_configENS1_27scan_by_key_config_selectorIxxEEZZNS1_16scan_by_key_implILNS1_25lookback_scan_determinismE0ELb0ES3_N6thrust23THRUST_200600_302600_NS6detail15normal_iteratorINS9_10device_ptrIxEEEESE_SE_xNS9_10multipliesIxEENS9_8equal_toIxEExEE10hipError_tPvRmT2_T3_T4_T5_mT6_T7_P12ihipStream_tbENKUlT_T0_E_clISt17integral_constantIbLb1EESY_IbLb0EEEEDaSU_SV_EUlSU_E_NS1_11comp_targetILNS1_3genE5ELNS1_11target_archE942ELNS1_3gpuE9ELNS1_3repE0EEENS1_30default_config_static_selectorELNS0_4arch9wavefront6targetE1EEEvT1_,"axG",@progbits,_ZN7rocprim17ROCPRIM_400000_NS6detail17trampoline_kernelINS0_14default_configENS1_27scan_by_key_config_selectorIxxEEZZNS1_16scan_by_key_implILNS1_25lookback_scan_determinismE0ELb0ES3_N6thrust23THRUST_200600_302600_NS6detail15normal_iteratorINS9_10device_ptrIxEEEESE_SE_xNS9_10multipliesIxEENS9_8equal_toIxEExEE10hipError_tPvRmT2_T3_T4_T5_mT6_T7_P12ihipStream_tbENKUlT_T0_E_clISt17integral_constantIbLb1EESY_IbLb0EEEEDaSU_SV_EUlSU_E_NS1_11comp_targetILNS1_3genE5ELNS1_11target_archE942ELNS1_3gpuE9ELNS1_3repE0EEENS1_30default_config_static_selectorELNS0_4arch9wavefront6targetE1EEEvT1_,comdat
.Lfunc_end67:
	.size	_ZN7rocprim17ROCPRIM_400000_NS6detail17trampoline_kernelINS0_14default_configENS1_27scan_by_key_config_selectorIxxEEZZNS1_16scan_by_key_implILNS1_25lookback_scan_determinismE0ELb0ES3_N6thrust23THRUST_200600_302600_NS6detail15normal_iteratorINS9_10device_ptrIxEEEESE_SE_xNS9_10multipliesIxEENS9_8equal_toIxEExEE10hipError_tPvRmT2_T3_T4_T5_mT6_T7_P12ihipStream_tbENKUlT_T0_E_clISt17integral_constantIbLb1EESY_IbLb0EEEEDaSU_SV_EUlSU_E_NS1_11comp_targetILNS1_3genE5ELNS1_11target_archE942ELNS1_3gpuE9ELNS1_3repE0EEENS1_30default_config_static_selectorELNS0_4arch9wavefront6targetE1EEEvT1_, .Lfunc_end67-_ZN7rocprim17ROCPRIM_400000_NS6detail17trampoline_kernelINS0_14default_configENS1_27scan_by_key_config_selectorIxxEEZZNS1_16scan_by_key_implILNS1_25lookback_scan_determinismE0ELb0ES3_N6thrust23THRUST_200600_302600_NS6detail15normal_iteratorINS9_10device_ptrIxEEEESE_SE_xNS9_10multipliesIxEENS9_8equal_toIxEExEE10hipError_tPvRmT2_T3_T4_T5_mT6_T7_P12ihipStream_tbENKUlT_T0_E_clISt17integral_constantIbLb1EESY_IbLb0EEEEDaSU_SV_EUlSU_E_NS1_11comp_targetILNS1_3genE5ELNS1_11target_archE942ELNS1_3gpuE9ELNS1_3repE0EEENS1_30default_config_static_selectorELNS0_4arch9wavefront6targetE1EEEvT1_
                                        ; -- End function
	.section	.AMDGPU.csdata,"",@progbits
; Kernel info:
; codeLenInByte = 14844
; NumSgprs: 72
; NumVgprs: 92
; NumAgprs: 0
; TotalNumVgprs: 92
; ScratchSize: 0
; MemoryBound: 0
; FloatMode: 240
; IeeeMode: 1
; LDSByteSize: 32768 bytes/workgroup (compile time only)
; SGPRBlocks: 8
; VGPRBlocks: 11
; NumSGPRsForWavesPerEU: 72
; NumVGPRsForWavesPerEU: 92
; AccumOffset: 92
; Occupancy: 2
; WaveLimiterHint : 1
; COMPUTE_PGM_RSRC2:SCRATCH_EN: 0
; COMPUTE_PGM_RSRC2:USER_SGPR: 2
; COMPUTE_PGM_RSRC2:TRAP_HANDLER: 0
; COMPUTE_PGM_RSRC2:TGID_X_EN: 1
; COMPUTE_PGM_RSRC2:TGID_Y_EN: 0
; COMPUTE_PGM_RSRC2:TGID_Z_EN: 0
; COMPUTE_PGM_RSRC2:TIDIG_COMP_CNT: 0
; COMPUTE_PGM_RSRC3_GFX90A:ACCUM_OFFSET: 22
; COMPUTE_PGM_RSRC3_GFX90A:TG_SPLIT: 0
	.section	.text._ZN7rocprim17ROCPRIM_400000_NS6detail17trampoline_kernelINS0_14default_configENS1_27scan_by_key_config_selectorIxxEEZZNS1_16scan_by_key_implILNS1_25lookback_scan_determinismE0ELb0ES3_N6thrust23THRUST_200600_302600_NS6detail15normal_iteratorINS9_10device_ptrIxEEEESE_SE_xNS9_10multipliesIxEENS9_8equal_toIxEExEE10hipError_tPvRmT2_T3_T4_T5_mT6_T7_P12ihipStream_tbENKUlT_T0_E_clISt17integral_constantIbLb1EESY_IbLb0EEEEDaSU_SV_EUlSU_E_NS1_11comp_targetILNS1_3genE4ELNS1_11target_archE910ELNS1_3gpuE8ELNS1_3repE0EEENS1_30default_config_static_selectorELNS0_4arch9wavefront6targetE1EEEvT1_,"axG",@progbits,_ZN7rocprim17ROCPRIM_400000_NS6detail17trampoline_kernelINS0_14default_configENS1_27scan_by_key_config_selectorIxxEEZZNS1_16scan_by_key_implILNS1_25lookback_scan_determinismE0ELb0ES3_N6thrust23THRUST_200600_302600_NS6detail15normal_iteratorINS9_10device_ptrIxEEEESE_SE_xNS9_10multipliesIxEENS9_8equal_toIxEExEE10hipError_tPvRmT2_T3_T4_T5_mT6_T7_P12ihipStream_tbENKUlT_T0_E_clISt17integral_constantIbLb1EESY_IbLb0EEEEDaSU_SV_EUlSU_E_NS1_11comp_targetILNS1_3genE4ELNS1_11target_archE910ELNS1_3gpuE8ELNS1_3repE0EEENS1_30default_config_static_selectorELNS0_4arch9wavefront6targetE1EEEvT1_,comdat
	.protected	_ZN7rocprim17ROCPRIM_400000_NS6detail17trampoline_kernelINS0_14default_configENS1_27scan_by_key_config_selectorIxxEEZZNS1_16scan_by_key_implILNS1_25lookback_scan_determinismE0ELb0ES3_N6thrust23THRUST_200600_302600_NS6detail15normal_iteratorINS9_10device_ptrIxEEEESE_SE_xNS9_10multipliesIxEENS9_8equal_toIxEExEE10hipError_tPvRmT2_T3_T4_T5_mT6_T7_P12ihipStream_tbENKUlT_T0_E_clISt17integral_constantIbLb1EESY_IbLb0EEEEDaSU_SV_EUlSU_E_NS1_11comp_targetILNS1_3genE4ELNS1_11target_archE910ELNS1_3gpuE8ELNS1_3repE0EEENS1_30default_config_static_selectorELNS0_4arch9wavefront6targetE1EEEvT1_ ; -- Begin function _ZN7rocprim17ROCPRIM_400000_NS6detail17trampoline_kernelINS0_14default_configENS1_27scan_by_key_config_selectorIxxEEZZNS1_16scan_by_key_implILNS1_25lookback_scan_determinismE0ELb0ES3_N6thrust23THRUST_200600_302600_NS6detail15normal_iteratorINS9_10device_ptrIxEEEESE_SE_xNS9_10multipliesIxEENS9_8equal_toIxEExEE10hipError_tPvRmT2_T3_T4_T5_mT6_T7_P12ihipStream_tbENKUlT_T0_E_clISt17integral_constantIbLb1EESY_IbLb0EEEEDaSU_SV_EUlSU_E_NS1_11comp_targetILNS1_3genE4ELNS1_11target_archE910ELNS1_3gpuE8ELNS1_3repE0EEENS1_30default_config_static_selectorELNS0_4arch9wavefront6targetE1EEEvT1_
	.globl	_ZN7rocprim17ROCPRIM_400000_NS6detail17trampoline_kernelINS0_14default_configENS1_27scan_by_key_config_selectorIxxEEZZNS1_16scan_by_key_implILNS1_25lookback_scan_determinismE0ELb0ES3_N6thrust23THRUST_200600_302600_NS6detail15normal_iteratorINS9_10device_ptrIxEEEESE_SE_xNS9_10multipliesIxEENS9_8equal_toIxEExEE10hipError_tPvRmT2_T3_T4_T5_mT6_T7_P12ihipStream_tbENKUlT_T0_E_clISt17integral_constantIbLb1EESY_IbLb0EEEEDaSU_SV_EUlSU_E_NS1_11comp_targetILNS1_3genE4ELNS1_11target_archE910ELNS1_3gpuE8ELNS1_3repE0EEENS1_30default_config_static_selectorELNS0_4arch9wavefront6targetE1EEEvT1_
	.p2align	8
	.type	_ZN7rocprim17ROCPRIM_400000_NS6detail17trampoline_kernelINS0_14default_configENS1_27scan_by_key_config_selectorIxxEEZZNS1_16scan_by_key_implILNS1_25lookback_scan_determinismE0ELb0ES3_N6thrust23THRUST_200600_302600_NS6detail15normal_iteratorINS9_10device_ptrIxEEEESE_SE_xNS9_10multipliesIxEENS9_8equal_toIxEExEE10hipError_tPvRmT2_T3_T4_T5_mT6_T7_P12ihipStream_tbENKUlT_T0_E_clISt17integral_constantIbLb1EESY_IbLb0EEEEDaSU_SV_EUlSU_E_NS1_11comp_targetILNS1_3genE4ELNS1_11target_archE910ELNS1_3gpuE8ELNS1_3repE0EEENS1_30default_config_static_selectorELNS0_4arch9wavefront6targetE1EEEvT1_,@function
_ZN7rocprim17ROCPRIM_400000_NS6detail17trampoline_kernelINS0_14default_configENS1_27scan_by_key_config_selectorIxxEEZZNS1_16scan_by_key_implILNS1_25lookback_scan_determinismE0ELb0ES3_N6thrust23THRUST_200600_302600_NS6detail15normal_iteratorINS9_10device_ptrIxEEEESE_SE_xNS9_10multipliesIxEENS9_8equal_toIxEExEE10hipError_tPvRmT2_T3_T4_T5_mT6_T7_P12ihipStream_tbENKUlT_T0_E_clISt17integral_constantIbLb1EESY_IbLb0EEEEDaSU_SV_EUlSU_E_NS1_11comp_targetILNS1_3genE4ELNS1_11target_archE910ELNS1_3gpuE8ELNS1_3repE0EEENS1_30default_config_static_selectorELNS0_4arch9wavefront6targetE1EEEvT1_: ; @_ZN7rocprim17ROCPRIM_400000_NS6detail17trampoline_kernelINS0_14default_configENS1_27scan_by_key_config_selectorIxxEEZZNS1_16scan_by_key_implILNS1_25lookback_scan_determinismE0ELb0ES3_N6thrust23THRUST_200600_302600_NS6detail15normal_iteratorINS9_10device_ptrIxEEEESE_SE_xNS9_10multipliesIxEENS9_8equal_toIxEExEE10hipError_tPvRmT2_T3_T4_T5_mT6_T7_P12ihipStream_tbENKUlT_T0_E_clISt17integral_constantIbLb1EESY_IbLb0EEEEDaSU_SV_EUlSU_E_NS1_11comp_targetILNS1_3genE4ELNS1_11target_archE910ELNS1_3gpuE8ELNS1_3repE0EEENS1_30default_config_static_selectorELNS0_4arch9wavefront6targetE1EEEvT1_
; %bb.0:
	.section	.rodata,"a",@progbits
	.p2align	6, 0x0
	.amdhsa_kernel _ZN7rocprim17ROCPRIM_400000_NS6detail17trampoline_kernelINS0_14default_configENS1_27scan_by_key_config_selectorIxxEEZZNS1_16scan_by_key_implILNS1_25lookback_scan_determinismE0ELb0ES3_N6thrust23THRUST_200600_302600_NS6detail15normal_iteratorINS9_10device_ptrIxEEEESE_SE_xNS9_10multipliesIxEENS9_8equal_toIxEExEE10hipError_tPvRmT2_T3_T4_T5_mT6_T7_P12ihipStream_tbENKUlT_T0_E_clISt17integral_constantIbLb1EESY_IbLb0EEEEDaSU_SV_EUlSU_E_NS1_11comp_targetILNS1_3genE4ELNS1_11target_archE910ELNS1_3gpuE8ELNS1_3repE0EEENS1_30default_config_static_selectorELNS0_4arch9wavefront6targetE1EEEvT1_
		.amdhsa_group_segment_fixed_size 0
		.amdhsa_private_segment_fixed_size 0
		.amdhsa_kernarg_size 136
		.amdhsa_user_sgpr_count 2
		.amdhsa_user_sgpr_dispatch_ptr 0
		.amdhsa_user_sgpr_queue_ptr 0
		.amdhsa_user_sgpr_kernarg_segment_ptr 1
		.amdhsa_user_sgpr_dispatch_id 0
		.amdhsa_user_sgpr_kernarg_preload_length 0
		.amdhsa_user_sgpr_kernarg_preload_offset 0
		.amdhsa_user_sgpr_private_segment_size 0
		.amdhsa_uses_dynamic_stack 0
		.amdhsa_enable_private_segment 0
		.amdhsa_system_sgpr_workgroup_id_x 1
		.amdhsa_system_sgpr_workgroup_id_y 0
		.amdhsa_system_sgpr_workgroup_id_z 0
		.amdhsa_system_sgpr_workgroup_info 0
		.amdhsa_system_vgpr_workitem_id 0
		.amdhsa_next_free_vgpr 1
		.amdhsa_next_free_sgpr 0
		.amdhsa_accum_offset 4
		.amdhsa_reserve_vcc 0
		.amdhsa_float_round_mode_32 0
		.amdhsa_float_round_mode_16_64 0
		.amdhsa_float_denorm_mode_32 3
		.amdhsa_float_denorm_mode_16_64 3
		.amdhsa_dx10_clamp 1
		.amdhsa_ieee_mode 1
		.amdhsa_fp16_overflow 0
		.amdhsa_tg_split 0
		.amdhsa_exception_fp_ieee_invalid_op 0
		.amdhsa_exception_fp_denorm_src 0
		.amdhsa_exception_fp_ieee_div_zero 0
		.amdhsa_exception_fp_ieee_overflow 0
		.amdhsa_exception_fp_ieee_underflow 0
		.amdhsa_exception_fp_ieee_inexact 0
		.amdhsa_exception_int_div_zero 0
	.end_amdhsa_kernel
	.section	.text._ZN7rocprim17ROCPRIM_400000_NS6detail17trampoline_kernelINS0_14default_configENS1_27scan_by_key_config_selectorIxxEEZZNS1_16scan_by_key_implILNS1_25lookback_scan_determinismE0ELb0ES3_N6thrust23THRUST_200600_302600_NS6detail15normal_iteratorINS9_10device_ptrIxEEEESE_SE_xNS9_10multipliesIxEENS9_8equal_toIxEExEE10hipError_tPvRmT2_T3_T4_T5_mT6_T7_P12ihipStream_tbENKUlT_T0_E_clISt17integral_constantIbLb1EESY_IbLb0EEEEDaSU_SV_EUlSU_E_NS1_11comp_targetILNS1_3genE4ELNS1_11target_archE910ELNS1_3gpuE8ELNS1_3repE0EEENS1_30default_config_static_selectorELNS0_4arch9wavefront6targetE1EEEvT1_,"axG",@progbits,_ZN7rocprim17ROCPRIM_400000_NS6detail17trampoline_kernelINS0_14default_configENS1_27scan_by_key_config_selectorIxxEEZZNS1_16scan_by_key_implILNS1_25lookback_scan_determinismE0ELb0ES3_N6thrust23THRUST_200600_302600_NS6detail15normal_iteratorINS9_10device_ptrIxEEEESE_SE_xNS9_10multipliesIxEENS9_8equal_toIxEExEE10hipError_tPvRmT2_T3_T4_T5_mT6_T7_P12ihipStream_tbENKUlT_T0_E_clISt17integral_constantIbLb1EESY_IbLb0EEEEDaSU_SV_EUlSU_E_NS1_11comp_targetILNS1_3genE4ELNS1_11target_archE910ELNS1_3gpuE8ELNS1_3repE0EEENS1_30default_config_static_selectorELNS0_4arch9wavefront6targetE1EEEvT1_,comdat
.Lfunc_end68:
	.size	_ZN7rocprim17ROCPRIM_400000_NS6detail17trampoline_kernelINS0_14default_configENS1_27scan_by_key_config_selectorIxxEEZZNS1_16scan_by_key_implILNS1_25lookback_scan_determinismE0ELb0ES3_N6thrust23THRUST_200600_302600_NS6detail15normal_iteratorINS9_10device_ptrIxEEEESE_SE_xNS9_10multipliesIxEENS9_8equal_toIxEExEE10hipError_tPvRmT2_T3_T4_T5_mT6_T7_P12ihipStream_tbENKUlT_T0_E_clISt17integral_constantIbLb1EESY_IbLb0EEEEDaSU_SV_EUlSU_E_NS1_11comp_targetILNS1_3genE4ELNS1_11target_archE910ELNS1_3gpuE8ELNS1_3repE0EEENS1_30default_config_static_selectorELNS0_4arch9wavefront6targetE1EEEvT1_, .Lfunc_end68-_ZN7rocprim17ROCPRIM_400000_NS6detail17trampoline_kernelINS0_14default_configENS1_27scan_by_key_config_selectorIxxEEZZNS1_16scan_by_key_implILNS1_25lookback_scan_determinismE0ELb0ES3_N6thrust23THRUST_200600_302600_NS6detail15normal_iteratorINS9_10device_ptrIxEEEESE_SE_xNS9_10multipliesIxEENS9_8equal_toIxEExEE10hipError_tPvRmT2_T3_T4_T5_mT6_T7_P12ihipStream_tbENKUlT_T0_E_clISt17integral_constantIbLb1EESY_IbLb0EEEEDaSU_SV_EUlSU_E_NS1_11comp_targetILNS1_3genE4ELNS1_11target_archE910ELNS1_3gpuE8ELNS1_3repE0EEENS1_30default_config_static_selectorELNS0_4arch9wavefront6targetE1EEEvT1_
                                        ; -- End function
	.section	.AMDGPU.csdata,"",@progbits
; Kernel info:
; codeLenInByte = 0
; NumSgprs: 6
; NumVgprs: 0
; NumAgprs: 0
; TotalNumVgprs: 0
; ScratchSize: 0
; MemoryBound: 0
; FloatMode: 240
; IeeeMode: 1
; LDSByteSize: 0 bytes/workgroup (compile time only)
; SGPRBlocks: 0
; VGPRBlocks: 0
; NumSGPRsForWavesPerEU: 6
; NumVGPRsForWavesPerEU: 1
; AccumOffset: 4
; Occupancy: 8
; WaveLimiterHint : 0
; COMPUTE_PGM_RSRC2:SCRATCH_EN: 0
; COMPUTE_PGM_RSRC2:USER_SGPR: 2
; COMPUTE_PGM_RSRC2:TRAP_HANDLER: 0
; COMPUTE_PGM_RSRC2:TGID_X_EN: 1
; COMPUTE_PGM_RSRC2:TGID_Y_EN: 0
; COMPUTE_PGM_RSRC2:TGID_Z_EN: 0
; COMPUTE_PGM_RSRC2:TIDIG_COMP_CNT: 0
; COMPUTE_PGM_RSRC3_GFX90A:ACCUM_OFFSET: 0
; COMPUTE_PGM_RSRC3_GFX90A:TG_SPLIT: 0
	.section	.text._ZN7rocprim17ROCPRIM_400000_NS6detail17trampoline_kernelINS0_14default_configENS1_27scan_by_key_config_selectorIxxEEZZNS1_16scan_by_key_implILNS1_25lookback_scan_determinismE0ELb0ES3_N6thrust23THRUST_200600_302600_NS6detail15normal_iteratorINS9_10device_ptrIxEEEESE_SE_xNS9_10multipliesIxEENS9_8equal_toIxEExEE10hipError_tPvRmT2_T3_T4_T5_mT6_T7_P12ihipStream_tbENKUlT_T0_E_clISt17integral_constantIbLb1EESY_IbLb0EEEEDaSU_SV_EUlSU_E_NS1_11comp_targetILNS1_3genE3ELNS1_11target_archE908ELNS1_3gpuE7ELNS1_3repE0EEENS1_30default_config_static_selectorELNS0_4arch9wavefront6targetE1EEEvT1_,"axG",@progbits,_ZN7rocprim17ROCPRIM_400000_NS6detail17trampoline_kernelINS0_14default_configENS1_27scan_by_key_config_selectorIxxEEZZNS1_16scan_by_key_implILNS1_25lookback_scan_determinismE0ELb0ES3_N6thrust23THRUST_200600_302600_NS6detail15normal_iteratorINS9_10device_ptrIxEEEESE_SE_xNS9_10multipliesIxEENS9_8equal_toIxEExEE10hipError_tPvRmT2_T3_T4_T5_mT6_T7_P12ihipStream_tbENKUlT_T0_E_clISt17integral_constantIbLb1EESY_IbLb0EEEEDaSU_SV_EUlSU_E_NS1_11comp_targetILNS1_3genE3ELNS1_11target_archE908ELNS1_3gpuE7ELNS1_3repE0EEENS1_30default_config_static_selectorELNS0_4arch9wavefront6targetE1EEEvT1_,comdat
	.protected	_ZN7rocprim17ROCPRIM_400000_NS6detail17trampoline_kernelINS0_14default_configENS1_27scan_by_key_config_selectorIxxEEZZNS1_16scan_by_key_implILNS1_25lookback_scan_determinismE0ELb0ES3_N6thrust23THRUST_200600_302600_NS6detail15normal_iteratorINS9_10device_ptrIxEEEESE_SE_xNS9_10multipliesIxEENS9_8equal_toIxEExEE10hipError_tPvRmT2_T3_T4_T5_mT6_T7_P12ihipStream_tbENKUlT_T0_E_clISt17integral_constantIbLb1EESY_IbLb0EEEEDaSU_SV_EUlSU_E_NS1_11comp_targetILNS1_3genE3ELNS1_11target_archE908ELNS1_3gpuE7ELNS1_3repE0EEENS1_30default_config_static_selectorELNS0_4arch9wavefront6targetE1EEEvT1_ ; -- Begin function _ZN7rocprim17ROCPRIM_400000_NS6detail17trampoline_kernelINS0_14default_configENS1_27scan_by_key_config_selectorIxxEEZZNS1_16scan_by_key_implILNS1_25lookback_scan_determinismE0ELb0ES3_N6thrust23THRUST_200600_302600_NS6detail15normal_iteratorINS9_10device_ptrIxEEEESE_SE_xNS9_10multipliesIxEENS9_8equal_toIxEExEE10hipError_tPvRmT2_T3_T4_T5_mT6_T7_P12ihipStream_tbENKUlT_T0_E_clISt17integral_constantIbLb1EESY_IbLb0EEEEDaSU_SV_EUlSU_E_NS1_11comp_targetILNS1_3genE3ELNS1_11target_archE908ELNS1_3gpuE7ELNS1_3repE0EEENS1_30default_config_static_selectorELNS0_4arch9wavefront6targetE1EEEvT1_
	.globl	_ZN7rocprim17ROCPRIM_400000_NS6detail17trampoline_kernelINS0_14default_configENS1_27scan_by_key_config_selectorIxxEEZZNS1_16scan_by_key_implILNS1_25lookback_scan_determinismE0ELb0ES3_N6thrust23THRUST_200600_302600_NS6detail15normal_iteratorINS9_10device_ptrIxEEEESE_SE_xNS9_10multipliesIxEENS9_8equal_toIxEExEE10hipError_tPvRmT2_T3_T4_T5_mT6_T7_P12ihipStream_tbENKUlT_T0_E_clISt17integral_constantIbLb1EESY_IbLb0EEEEDaSU_SV_EUlSU_E_NS1_11comp_targetILNS1_3genE3ELNS1_11target_archE908ELNS1_3gpuE7ELNS1_3repE0EEENS1_30default_config_static_selectorELNS0_4arch9wavefront6targetE1EEEvT1_
	.p2align	8
	.type	_ZN7rocprim17ROCPRIM_400000_NS6detail17trampoline_kernelINS0_14default_configENS1_27scan_by_key_config_selectorIxxEEZZNS1_16scan_by_key_implILNS1_25lookback_scan_determinismE0ELb0ES3_N6thrust23THRUST_200600_302600_NS6detail15normal_iteratorINS9_10device_ptrIxEEEESE_SE_xNS9_10multipliesIxEENS9_8equal_toIxEExEE10hipError_tPvRmT2_T3_T4_T5_mT6_T7_P12ihipStream_tbENKUlT_T0_E_clISt17integral_constantIbLb1EESY_IbLb0EEEEDaSU_SV_EUlSU_E_NS1_11comp_targetILNS1_3genE3ELNS1_11target_archE908ELNS1_3gpuE7ELNS1_3repE0EEENS1_30default_config_static_selectorELNS0_4arch9wavefront6targetE1EEEvT1_,@function
_ZN7rocprim17ROCPRIM_400000_NS6detail17trampoline_kernelINS0_14default_configENS1_27scan_by_key_config_selectorIxxEEZZNS1_16scan_by_key_implILNS1_25lookback_scan_determinismE0ELb0ES3_N6thrust23THRUST_200600_302600_NS6detail15normal_iteratorINS9_10device_ptrIxEEEESE_SE_xNS9_10multipliesIxEENS9_8equal_toIxEExEE10hipError_tPvRmT2_T3_T4_T5_mT6_T7_P12ihipStream_tbENKUlT_T0_E_clISt17integral_constantIbLb1EESY_IbLb0EEEEDaSU_SV_EUlSU_E_NS1_11comp_targetILNS1_3genE3ELNS1_11target_archE908ELNS1_3gpuE7ELNS1_3repE0EEENS1_30default_config_static_selectorELNS0_4arch9wavefront6targetE1EEEvT1_: ; @_ZN7rocprim17ROCPRIM_400000_NS6detail17trampoline_kernelINS0_14default_configENS1_27scan_by_key_config_selectorIxxEEZZNS1_16scan_by_key_implILNS1_25lookback_scan_determinismE0ELb0ES3_N6thrust23THRUST_200600_302600_NS6detail15normal_iteratorINS9_10device_ptrIxEEEESE_SE_xNS9_10multipliesIxEENS9_8equal_toIxEExEE10hipError_tPvRmT2_T3_T4_T5_mT6_T7_P12ihipStream_tbENKUlT_T0_E_clISt17integral_constantIbLb1EESY_IbLb0EEEEDaSU_SV_EUlSU_E_NS1_11comp_targetILNS1_3genE3ELNS1_11target_archE908ELNS1_3gpuE7ELNS1_3repE0EEENS1_30default_config_static_selectorELNS0_4arch9wavefront6targetE1EEEvT1_
; %bb.0:
	.section	.rodata,"a",@progbits
	.p2align	6, 0x0
	.amdhsa_kernel _ZN7rocprim17ROCPRIM_400000_NS6detail17trampoline_kernelINS0_14default_configENS1_27scan_by_key_config_selectorIxxEEZZNS1_16scan_by_key_implILNS1_25lookback_scan_determinismE0ELb0ES3_N6thrust23THRUST_200600_302600_NS6detail15normal_iteratorINS9_10device_ptrIxEEEESE_SE_xNS9_10multipliesIxEENS9_8equal_toIxEExEE10hipError_tPvRmT2_T3_T4_T5_mT6_T7_P12ihipStream_tbENKUlT_T0_E_clISt17integral_constantIbLb1EESY_IbLb0EEEEDaSU_SV_EUlSU_E_NS1_11comp_targetILNS1_3genE3ELNS1_11target_archE908ELNS1_3gpuE7ELNS1_3repE0EEENS1_30default_config_static_selectorELNS0_4arch9wavefront6targetE1EEEvT1_
		.amdhsa_group_segment_fixed_size 0
		.amdhsa_private_segment_fixed_size 0
		.amdhsa_kernarg_size 136
		.amdhsa_user_sgpr_count 2
		.amdhsa_user_sgpr_dispatch_ptr 0
		.amdhsa_user_sgpr_queue_ptr 0
		.amdhsa_user_sgpr_kernarg_segment_ptr 1
		.amdhsa_user_sgpr_dispatch_id 0
		.amdhsa_user_sgpr_kernarg_preload_length 0
		.amdhsa_user_sgpr_kernarg_preload_offset 0
		.amdhsa_user_sgpr_private_segment_size 0
		.amdhsa_uses_dynamic_stack 0
		.amdhsa_enable_private_segment 0
		.amdhsa_system_sgpr_workgroup_id_x 1
		.amdhsa_system_sgpr_workgroup_id_y 0
		.amdhsa_system_sgpr_workgroup_id_z 0
		.amdhsa_system_sgpr_workgroup_info 0
		.amdhsa_system_vgpr_workitem_id 0
		.amdhsa_next_free_vgpr 1
		.amdhsa_next_free_sgpr 0
		.amdhsa_accum_offset 4
		.amdhsa_reserve_vcc 0
		.amdhsa_float_round_mode_32 0
		.amdhsa_float_round_mode_16_64 0
		.amdhsa_float_denorm_mode_32 3
		.amdhsa_float_denorm_mode_16_64 3
		.amdhsa_dx10_clamp 1
		.amdhsa_ieee_mode 1
		.amdhsa_fp16_overflow 0
		.amdhsa_tg_split 0
		.amdhsa_exception_fp_ieee_invalid_op 0
		.amdhsa_exception_fp_denorm_src 0
		.amdhsa_exception_fp_ieee_div_zero 0
		.amdhsa_exception_fp_ieee_overflow 0
		.amdhsa_exception_fp_ieee_underflow 0
		.amdhsa_exception_fp_ieee_inexact 0
		.amdhsa_exception_int_div_zero 0
	.end_amdhsa_kernel
	.section	.text._ZN7rocprim17ROCPRIM_400000_NS6detail17trampoline_kernelINS0_14default_configENS1_27scan_by_key_config_selectorIxxEEZZNS1_16scan_by_key_implILNS1_25lookback_scan_determinismE0ELb0ES3_N6thrust23THRUST_200600_302600_NS6detail15normal_iteratorINS9_10device_ptrIxEEEESE_SE_xNS9_10multipliesIxEENS9_8equal_toIxEExEE10hipError_tPvRmT2_T3_T4_T5_mT6_T7_P12ihipStream_tbENKUlT_T0_E_clISt17integral_constantIbLb1EESY_IbLb0EEEEDaSU_SV_EUlSU_E_NS1_11comp_targetILNS1_3genE3ELNS1_11target_archE908ELNS1_3gpuE7ELNS1_3repE0EEENS1_30default_config_static_selectorELNS0_4arch9wavefront6targetE1EEEvT1_,"axG",@progbits,_ZN7rocprim17ROCPRIM_400000_NS6detail17trampoline_kernelINS0_14default_configENS1_27scan_by_key_config_selectorIxxEEZZNS1_16scan_by_key_implILNS1_25lookback_scan_determinismE0ELb0ES3_N6thrust23THRUST_200600_302600_NS6detail15normal_iteratorINS9_10device_ptrIxEEEESE_SE_xNS9_10multipliesIxEENS9_8equal_toIxEExEE10hipError_tPvRmT2_T3_T4_T5_mT6_T7_P12ihipStream_tbENKUlT_T0_E_clISt17integral_constantIbLb1EESY_IbLb0EEEEDaSU_SV_EUlSU_E_NS1_11comp_targetILNS1_3genE3ELNS1_11target_archE908ELNS1_3gpuE7ELNS1_3repE0EEENS1_30default_config_static_selectorELNS0_4arch9wavefront6targetE1EEEvT1_,comdat
.Lfunc_end69:
	.size	_ZN7rocprim17ROCPRIM_400000_NS6detail17trampoline_kernelINS0_14default_configENS1_27scan_by_key_config_selectorIxxEEZZNS1_16scan_by_key_implILNS1_25lookback_scan_determinismE0ELb0ES3_N6thrust23THRUST_200600_302600_NS6detail15normal_iteratorINS9_10device_ptrIxEEEESE_SE_xNS9_10multipliesIxEENS9_8equal_toIxEExEE10hipError_tPvRmT2_T3_T4_T5_mT6_T7_P12ihipStream_tbENKUlT_T0_E_clISt17integral_constantIbLb1EESY_IbLb0EEEEDaSU_SV_EUlSU_E_NS1_11comp_targetILNS1_3genE3ELNS1_11target_archE908ELNS1_3gpuE7ELNS1_3repE0EEENS1_30default_config_static_selectorELNS0_4arch9wavefront6targetE1EEEvT1_, .Lfunc_end69-_ZN7rocprim17ROCPRIM_400000_NS6detail17trampoline_kernelINS0_14default_configENS1_27scan_by_key_config_selectorIxxEEZZNS1_16scan_by_key_implILNS1_25lookback_scan_determinismE0ELb0ES3_N6thrust23THRUST_200600_302600_NS6detail15normal_iteratorINS9_10device_ptrIxEEEESE_SE_xNS9_10multipliesIxEENS9_8equal_toIxEExEE10hipError_tPvRmT2_T3_T4_T5_mT6_T7_P12ihipStream_tbENKUlT_T0_E_clISt17integral_constantIbLb1EESY_IbLb0EEEEDaSU_SV_EUlSU_E_NS1_11comp_targetILNS1_3genE3ELNS1_11target_archE908ELNS1_3gpuE7ELNS1_3repE0EEENS1_30default_config_static_selectorELNS0_4arch9wavefront6targetE1EEEvT1_
                                        ; -- End function
	.section	.AMDGPU.csdata,"",@progbits
; Kernel info:
; codeLenInByte = 0
; NumSgprs: 6
; NumVgprs: 0
; NumAgprs: 0
; TotalNumVgprs: 0
; ScratchSize: 0
; MemoryBound: 0
; FloatMode: 240
; IeeeMode: 1
; LDSByteSize: 0 bytes/workgroup (compile time only)
; SGPRBlocks: 0
; VGPRBlocks: 0
; NumSGPRsForWavesPerEU: 6
; NumVGPRsForWavesPerEU: 1
; AccumOffset: 4
; Occupancy: 8
; WaveLimiterHint : 0
; COMPUTE_PGM_RSRC2:SCRATCH_EN: 0
; COMPUTE_PGM_RSRC2:USER_SGPR: 2
; COMPUTE_PGM_RSRC2:TRAP_HANDLER: 0
; COMPUTE_PGM_RSRC2:TGID_X_EN: 1
; COMPUTE_PGM_RSRC2:TGID_Y_EN: 0
; COMPUTE_PGM_RSRC2:TGID_Z_EN: 0
; COMPUTE_PGM_RSRC2:TIDIG_COMP_CNT: 0
; COMPUTE_PGM_RSRC3_GFX90A:ACCUM_OFFSET: 0
; COMPUTE_PGM_RSRC3_GFX90A:TG_SPLIT: 0
	.section	.text._ZN7rocprim17ROCPRIM_400000_NS6detail17trampoline_kernelINS0_14default_configENS1_27scan_by_key_config_selectorIxxEEZZNS1_16scan_by_key_implILNS1_25lookback_scan_determinismE0ELb0ES3_N6thrust23THRUST_200600_302600_NS6detail15normal_iteratorINS9_10device_ptrIxEEEESE_SE_xNS9_10multipliesIxEENS9_8equal_toIxEExEE10hipError_tPvRmT2_T3_T4_T5_mT6_T7_P12ihipStream_tbENKUlT_T0_E_clISt17integral_constantIbLb1EESY_IbLb0EEEEDaSU_SV_EUlSU_E_NS1_11comp_targetILNS1_3genE2ELNS1_11target_archE906ELNS1_3gpuE6ELNS1_3repE0EEENS1_30default_config_static_selectorELNS0_4arch9wavefront6targetE1EEEvT1_,"axG",@progbits,_ZN7rocprim17ROCPRIM_400000_NS6detail17trampoline_kernelINS0_14default_configENS1_27scan_by_key_config_selectorIxxEEZZNS1_16scan_by_key_implILNS1_25lookback_scan_determinismE0ELb0ES3_N6thrust23THRUST_200600_302600_NS6detail15normal_iteratorINS9_10device_ptrIxEEEESE_SE_xNS9_10multipliesIxEENS9_8equal_toIxEExEE10hipError_tPvRmT2_T3_T4_T5_mT6_T7_P12ihipStream_tbENKUlT_T0_E_clISt17integral_constantIbLb1EESY_IbLb0EEEEDaSU_SV_EUlSU_E_NS1_11comp_targetILNS1_3genE2ELNS1_11target_archE906ELNS1_3gpuE6ELNS1_3repE0EEENS1_30default_config_static_selectorELNS0_4arch9wavefront6targetE1EEEvT1_,comdat
	.protected	_ZN7rocprim17ROCPRIM_400000_NS6detail17trampoline_kernelINS0_14default_configENS1_27scan_by_key_config_selectorIxxEEZZNS1_16scan_by_key_implILNS1_25lookback_scan_determinismE0ELb0ES3_N6thrust23THRUST_200600_302600_NS6detail15normal_iteratorINS9_10device_ptrIxEEEESE_SE_xNS9_10multipliesIxEENS9_8equal_toIxEExEE10hipError_tPvRmT2_T3_T4_T5_mT6_T7_P12ihipStream_tbENKUlT_T0_E_clISt17integral_constantIbLb1EESY_IbLb0EEEEDaSU_SV_EUlSU_E_NS1_11comp_targetILNS1_3genE2ELNS1_11target_archE906ELNS1_3gpuE6ELNS1_3repE0EEENS1_30default_config_static_selectorELNS0_4arch9wavefront6targetE1EEEvT1_ ; -- Begin function _ZN7rocprim17ROCPRIM_400000_NS6detail17trampoline_kernelINS0_14default_configENS1_27scan_by_key_config_selectorIxxEEZZNS1_16scan_by_key_implILNS1_25lookback_scan_determinismE0ELb0ES3_N6thrust23THRUST_200600_302600_NS6detail15normal_iteratorINS9_10device_ptrIxEEEESE_SE_xNS9_10multipliesIxEENS9_8equal_toIxEExEE10hipError_tPvRmT2_T3_T4_T5_mT6_T7_P12ihipStream_tbENKUlT_T0_E_clISt17integral_constantIbLb1EESY_IbLb0EEEEDaSU_SV_EUlSU_E_NS1_11comp_targetILNS1_3genE2ELNS1_11target_archE906ELNS1_3gpuE6ELNS1_3repE0EEENS1_30default_config_static_selectorELNS0_4arch9wavefront6targetE1EEEvT1_
	.globl	_ZN7rocprim17ROCPRIM_400000_NS6detail17trampoline_kernelINS0_14default_configENS1_27scan_by_key_config_selectorIxxEEZZNS1_16scan_by_key_implILNS1_25lookback_scan_determinismE0ELb0ES3_N6thrust23THRUST_200600_302600_NS6detail15normal_iteratorINS9_10device_ptrIxEEEESE_SE_xNS9_10multipliesIxEENS9_8equal_toIxEExEE10hipError_tPvRmT2_T3_T4_T5_mT6_T7_P12ihipStream_tbENKUlT_T0_E_clISt17integral_constantIbLb1EESY_IbLb0EEEEDaSU_SV_EUlSU_E_NS1_11comp_targetILNS1_3genE2ELNS1_11target_archE906ELNS1_3gpuE6ELNS1_3repE0EEENS1_30default_config_static_selectorELNS0_4arch9wavefront6targetE1EEEvT1_
	.p2align	8
	.type	_ZN7rocprim17ROCPRIM_400000_NS6detail17trampoline_kernelINS0_14default_configENS1_27scan_by_key_config_selectorIxxEEZZNS1_16scan_by_key_implILNS1_25lookback_scan_determinismE0ELb0ES3_N6thrust23THRUST_200600_302600_NS6detail15normal_iteratorINS9_10device_ptrIxEEEESE_SE_xNS9_10multipliesIxEENS9_8equal_toIxEExEE10hipError_tPvRmT2_T3_T4_T5_mT6_T7_P12ihipStream_tbENKUlT_T0_E_clISt17integral_constantIbLb1EESY_IbLb0EEEEDaSU_SV_EUlSU_E_NS1_11comp_targetILNS1_3genE2ELNS1_11target_archE906ELNS1_3gpuE6ELNS1_3repE0EEENS1_30default_config_static_selectorELNS0_4arch9wavefront6targetE1EEEvT1_,@function
_ZN7rocprim17ROCPRIM_400000_NS6detail17trampoline_kernelINS0_14default_configENS1_27scan_by_key_config_selectorIxxEEZZNS1_16scan_by_key_implILNS1_25lookback_scan_determinismE0ELb0ES3_N6thrust23THRUST_200600_302600_NS6detail15normal_iteratorINS9_10device_ptrIxEEEESE_SE_xNS9_10multipliesIxEENS9_8equal_toIxEExEE10hipError_tPvRmT2_T3_T4_T5_mT6_T7_P12ihipStream_tbENKUlT_T0_E_clISt17integral_constantIbLb1EESY_IbLb0EEEEDaSU_SV_EUlSU_E_NS1_11comp_targetILNS1_3genE2ELNS1_11target_archE906ELNS1_3gpuE6ELNS1_3repE0EEENS1_30default_config_static_selectorELNS0_4arch9wavefront6targetE1EEEvT1_: ; @_ZN7rocprim17ROCPRIM_400000_NS6detail17trampoline_kernelINS0_14default_configENS1_27scan_by_key_config_selectorIxxEEZZNS1_16scan_by_key_implILNS1_25lookback_scan_determinismE0ELb0ES3_N6thrust23THRUST_200600_302600_NS6detail15normal_iteratorINS9_10device_ptrIxEEEESE_SE_xNS9_10multipliesIxEENS9_8equal_toIxEExEE10hipError_tPvRmT2_T3_T4_T5_mT6_T7_P12ihipStream_tbENKUlT_T0_E_clISt17integral_constantIbLb1EESY_IbLb0EEEEDaSU_SV_EUlSU_E_NS1_11comp_targetILNS1_3genE2ELNS1_11target_archE906ELNS1_3gpuE6ELNS1_3repE0EEENS1_30default_config_static_selectorELNS0_4arch9wavefront6targetE1EEEvT1_
; %bb.0:
	.section	.rodata,"a",@progbits
	.p2align	6, 0x0
	.amdhsa_kernel _ZN7rocprim17ROCPRIM_400000_NS6detail17trampoline_kernelINS0_14default_configENS1_27scan_by_key_config_selectorIxxEEZZNS1_16scan_by_key_implILNS1_25lookback_scan_determinismE0ELb0ES3_N6thrust23THRUST_200600_302600_NS6detail15normal_iteratorINS9_10device_ptrIxEEEESE_SE_xNS9_10multipliesIxEENS9_8equal_toIxEExEE10hipError_tPvRmT2_T3_T4_T5_mT6_T7_P12ihipStream_tbENKUlT_T0_E_clISt17integral_constantIbLb1EESY_IbLb0EEEEDaSU_SV_EUlSU_E_NS1_11comp_targetILNS1_3genE2ELNS1_11target_archE906ELNS1_3gpuE6ELNS1_3repE0EEENS1_30default_config_static_selectorELNS0_4arch9wavefront6targetE1EEEvT1_
		.amdhsa_group_segment_fixed_size 0
		.amdhsa_private_segment_fixed_size 0
		.amdhsa_kernarg_size 136
		.amdhsa_user_sgpr_count 2
		.amdhsa_user_sgpr_dispatch_ptr 0
		.amdhsa_user_sgpr_queue_ptr 0
		.amdhsa_user_sgpr_kernarg_segment_ptr 1
		.amdhsa_user_sgpr_dispatch_id 0
		.amdhsa_user_sgpr_kernarg_preload_length 0
		.amdhsa_user_sgpr_kernarg_preload_offset 0
		.amdhsa_user_sgpr_private_segment_size 0
		.amdhsa_uses_dynamic_stack 0
		.amdhsa_enable_private_segment 0
		.amdhsa_system_sgpr_workgroup_id_x 1
		.amdhsa_system_sgpr_workgroup_id_y 0
		.amdhsa_system_sgpr_workgroup_id_z 0
		.amdhsa_system_sgpr_workgroup_info 0
		.amdhsa_system_vgpr_workitem_id 0
		.amdhsa_next_free_vgpr 1
		.amdhsa_next_free_sgpr 0
		.amdhsa_accum_offset 4
		.amdhsa_reserve_vcc 0
		.amdhsa_float_round_mode_32 0
		.amdhsa_float_round_mode_16_64 0
		.amdhsa_float_denorm_mode_32 3
		.amdhsa_float_denorm_mode_16_64 3
		.amdhsa_dx10_clamp 1
		.amdhsa_ieee_mode 1
		.amdhsa_fp16_overflow 0
		.amdhsa_tg_split 0
		.amdhsa_exception_fp_ieee_invalid_op 0
		.amdhsa_exception_fp_denorm_src 0
		.amdhsa_exception_fp_ieee_div_zero 0
		.amdhsa_exception_fp_ieee_overflow 0
		.amdhsa_exception_fp_ieee_underflow 0
		.amdhsa_exception_fp_ieee_inexact 0
		.amdhsa_exception_int_div_zero 0
	.end_amdhsa_kernel
	.section	.text._ZN7rocprim17ROCPRIM_400000_NS6detail17trampoline_kernelINS0_14default_configENS1_27scan_by_key_config_selectorIxxEEZZNS1_16scan_by_key_implILNS1_25lookback_scan_determinismE0ELb0ES3_N6thrust23THRUST_200600_302600_NS6detail15normal_iteratorINS9_10device_ptrIxEEEESE_SE_xNS9_10multipliesIxEENS9_8equal_toIxEExEE10hipError_tPvRmT2_T3_T4_T5_mT6_T7_P12ihipStream_tbENKUlT_T0_E_clISt17integral_constantIbLb1EESY_IbLb0EEEEDaSU_SV_EUlSU_E_NS1_11comp_targetILNS1_3genE2ELNS1_11target_archE906ELNS1_3gpuE6ELNS1_3repE0EEENS1_30default_config_static_selectorELNS0_4arch9wavefront6targetE1EEEvT1_,"axG",@progbits,_ZN7rocprim17ROCPRIM_400000_NS6detail17trampoline_kernelINS0_14default_configENS1_27scan_by_key_config_selectorIxxEEZZNS1_16scan_by_key_implILNS1_25lookback_scan_determinismE0ELb0ES3_N6thrust23THRUST_200600_302600_NS6detail15normal_iteratorINS9_10device_ptrIxEEEESE_SE_xNS9_10multipliesIxEENS9_8equal_toIxEExEE10hipError_tPvRmT2_T3_T4_T5_mT6_T7_P12ihipStream_tbENKUlT_T0_E_clISt17integral_constantIbLb1EESY_IbLb0EEEEDaSU_SV_EUlSU_E_NS1_11comp_targetILNS1_3genE2ELNS1_11target_archE906ELNS1_3gpuE6ELNS1_3repE0EEENS1_30default_config_static_selectorELNS0_4arch9wavefront6targetE1EEEvT1_,comdat
.Lfunc_end70:
	.size	_ZN7rocprim17ROCPRIM_400000_NS6detail17trampoline_kernelINS0_14default_configENS1_27scan_by_key_config_selectorIxxEEZZNS1_16scan_by_key_implILNS1_25lookback_scan_determinismE0ELb0ES3_N6thrust23THRUST_200600_302600_NS6detail15normal_iteratorINS9_10device_ptrIxEEEESE_SE_xNS9_10multipliesIxEENS9_8equal_toIxEExEE10hipError_tPvRmT2_T3_T4_T5_mT6_T7_P12ihipStream_tbENKUlT_T0_E_clISt17integral_constantIbLb1EESY_IbLb0EEEEDaSU_SV_EUlSU_E_NS1_11comp_targetILNS1_3genE2ELNS1_11target_archE906ELNS1_3gpuE6ELNS1_3repE0EEENS1_30default_config_static_selectorELNS0_4arch9wavefront6targetE1EEEvT1_, .Lfunc_end70-_ZN7rocprim17ROCPRIM_400000_NS6detail17trampoline_kernelINS0_14default_configENS1_27scan_by_key_config_selectorIxxEEZZNS1_16scan_by_key_implILNS1_25lookback_scan_determinismE0ELb0ES3_N6thrust23THRUST_200600_302600_NS6detail15normal_iteratorINS9_10device_ptrIxEEEESE_SE_xNS9_10multipliesIxEENS9_8equal_toIxEExEE10hipError_tPvRmT2_T3_T4_T5_mT6_T7_P12ihipStream_tbENKUlT_T0_E_clISt17integral_constantIbLb1EESY_IbLb0EEEEDaSU_SV_EUlSU_E_NS1_11comp_targetILNS1_3genE2ELNS1_11target_archE906ELNS1_3gpuE6ELNS1_3repE0EEENS1_30default_config_static_selectorELNS0_4arch9wavefront6targetE1EEEvT1_
                                        ; -- End function
	.section	.AMDGPU.csdata,"",@progbits
; Kernel info:
; codeLenInByte = 0
; NumSgprs: 6
; NumVgprs: 0
; NumAgprs: 0
; TotalNumVgprs: 0
; ScratchSize: 0
; MemoryBound: 0
; FloatMode: 240
; IeeeMode: 1
; LDSByteSize: 0 bytes/workgroup (compile time only)
; SGPRBlocks: 0
; VGPRBlocks: 0
; NumSGPRsForWavesPerEU: 6
; NumVGPRsForWavesPerEU: 1
; AccumOffset: 4
; Occupancy: 8
; WaveLimiterHint : 0
; COMPUTE_PGM_RSRC2:SCRATCH_EN: 0
; COMPUTE_PGM_RSRC2:USER_SGPR: 2
; COMPUTE_PGM_RSRC2:TRAP_HANDLER: 0
; COMPUTE_PGM_RSRC2:TGID_X_EN: 1
; COMPUTE_PGM_RSRC2:TGID_Y_EN: 0
; COMPUTE_PGM_RSRC2:TGID_Z_EN: 0
; COMPUTE_PGM_RSRC2:TIDIG_COMP_CNT: 0
; COMPUTE_PGM_RSRC3_GFX90A:ACCUM_OFFSET: 0
; COMPUTE_PGM_RSRC3_GFX90A:TG_SPLIT: 0
	.section	.text._ZN7rocprim17ROCPRIM_400000_NS6detail17trampoline_kernelINS0_14default_configENS1_27scan_by_key_config_selectorIxxEEZZNS1_16scan_by_key_implILNS1_25lookback_scan_determinismE0ELb0ES3_N6thrust23THRUST_200600_302600_NS6detail15normal_iteratorINS9_10device_ptrIxEEEESE_SE_xNS9_10multipliesIxEENS9_8equal_toIxEExEE10hipError_tPvRmT2_T3_T4_T5_mT6_T7_P12ihipStream_tbENKUlT_T0_E_clISt17integral_constantIbLb1EESY_IbLb0EEEEDaSU_SV_EUlSU_E_NS1_11comp_targetILNS1_3genE10ELNS1_11target_archE1200ELNS1_3gpuE4ELNS1_3repE0EEENS1_30default_config_static_selectorELNS0_4arch9wavefront6targetE1EEEvT1_,"axG",@progbits,_ZN7rocprim17ROCPRIM_400000_NS6detail17trampoline_kernelINS0_14default_configENS1_27scan_by_key_config_selectorIxxEEZZNS1_16scan_by_key_implILNS1_25lookback_scan_determinismE0ELb0ES3_N6thrust23THRUST_200600_302600_NS6detail15normal_iteratorINS9_10device_ptrIxEEEESE_SE_xNS9_10multipliesIxEENS9_8equal_toIxEExEE10hipError_tPvRmT2_T3_T4_T5_mT6_T7_P12ihipStream_tbENKUlT_T0_E_clISt17integral_constantIbLb1EESY_IbLb0EEEEDaSU_SV_EUlSU_E_NS1_11comp_targetILNS1_3genE10ELNS1_11target_archE1200ELNS1_3gpuE4ELNS1_3repE0EEENS1_30default_config_static_selectorELNS0_4arch9wavefront6targetE1EEEvT1_,comdat
	.protected	_ZN7rocprim17ROCPRIM_400000_NS6detail17trampoline_kernelINS0_14default_configENS1_27scan_by_key_config_selectorIxxEEZZNS1_16scan_by_key_implILNS1_25lookback_scan_determinismE0ELb0ES3_N6thrust23THRUST_200600_302600_NS6detail15normal_iteratorINS9_10device_ptrIxEEEESE_SE_xNS9_10multipliesIxEENS9_8equal_toIxEExEE10hipError_tPvRmT2_T3_T4_T5_mT6_T7_P12ihipStream_tbENKUlT_T0_E_clISt17integral_constantIbLb1EESY_IbLb0EEEEDaSU_SV_EUlSU_E_NS1_11comp_targetILNS1_3genE10ELNS1_11target_archE1200ELNS1_3gpuE4ELNS1_3repE0EEENS1_30default_config_static_selectorELNS0_4arch9wavefront6targetE1EEEvT1_ ; -- Begin function _ZN7rocprim17ROCPRIM_400000_NS6detail17trampoline_kernelINS0_14default_configENS1_27scan_by_key_config_selectorIxxEEZZNS1_16scan_by_key_implILNS1_25lookback_scan_determinismE0ELb0ES3_N6thrust23THRUST_200600_302600_NS6detail15normal_iteratorINS9_10device_ptrIxEEEESE_SE_xNS9_10multipliesIxEENS9_8equal_toIxEExEE10hipError_tPvRmT2_T3_T4_T5_mT6_T7_P12ihipStream_tbENKUlT_T0_E_clISt17integral_constantIbLb1EESY_IbLb0EEEEDaSU_SV_EUlSU_E_NS1_11comp_targetILNS1_3genE10ELNS1_11target_archE1200ELNS1_3gpuE4ELNS1_3repE0EEENS1_30default_config_static_selectorELNS0_4arch9wavefront6targetE1EEEvT1_
	.globl	_ZN7rocprim17ROCPRIM_400000_NS6detail17trampoline_kernelINS0_14default_configENS1_27scan_by_key_config_selectorIxxEEZZNS1_16scan_by_key_implILNS1_25lookback_scan_determinismE0ELb0ES3_N6thrust23THRUST_200600_302600_NS6detail15normal_iteratorINS9_10device_ptrIxEEEESE_SE_xNS9_10multipliesIxEENS9_8equal_toIxEExEE10hipError_tPvRmT2_T3_T4_T5_mT6_T7_P12ihipStream_tbENKUlT_T0_E_clISt17integral_constantIbLb1EESY_IbLb0EEEEDaSU_SV_EUlSU_E_NS1_11comp_targetILNS1_3genE10ELNS1_11target_archE1200ELNS1_3gpuE4ELNS1_3repE0EEENS1_30default_config_static_selectorELNS0_4arch9wavefront6targetE1EEEvT1_
	.p2align	8
	.type	_ZN7rocprim17ROCPRIM_400000_NS6detail17trampoline_kernelINS0_14default_configENS1_27scan_by_key_config_selectorIxxEEZZNS1_16scan_by_key_implILNS1_25lookback_scan_determinismE0ELb0ES3_N6thrust23THRUST_200600_302600_NS6detail15normal_iteratorINS9_10device_ptrIxEEEESE_SE_xNS9_10multipliesIxEENS9_8equal_toIxEExEE10hipError_tPvRmT2_T3_T4_T5_mT6_T7_P12ihipStream_tbENKUlT_T0_E_clISt17integral_constantIbLb1EESY_IbLb0EEEEDaSU_SV_EUlSU_E_NS1_11comp_targetILNS1_3genE10ELNS1_11target_archE1200ELNS1_3gpuE4ELNS1_3repE0EEENS1_30default_config_static_selectorELNS0_4arch9wavefront6targetE1EEEvT1_,@function
_ZN7rocprim17ROCPRIM_400000_NS6detail17trampoline_kernelINS0_14default_configENS1_27scan_by_key_config_selectorIxxEEZZNS1_16scan_by_key_implILNS1_25lookback_scan_determinismE0ELb0ES3_N6thrust23THRUST_200600_302600_NS6detail15normal_iteratorINS9_10device_ptrIxEEEESE_SE_xNS9_10multipliesIxEENS9_8equal_toIxEExEE10hipError_tPvRmT2_T3_T4_T5_mT6_T7_P12ihipStream_tbENKUlT_T0_E_clISt17integral_constantIbLb1EESY_IbLb0EEEEDaSU_SV_EUlSU_E_NS1_11comp_targetILNS1_3genE10ELNS1_11target_archE1200ELNS1_3gpuE4ELNS1_3repE0EEENS1_30default_config_static_selectorELNS0_4arch9wavefront6targetE1EEEvT1_: ; @_ZN7rocprim17ROCPRIM_400000_NS6detail17trampoline_kernelINS0_14default_configENS1_27scan_by_key_config_selectorIxxEEZZNS1_16scan_by_key_implILNS1_25lookback_scan_determinismE0ELb0ES3_N6thrust23THRUST_200600_302600_NS6detail15normal_iteratorINS9_10device_ptrIxEEEESE_SE_xNS9_10multipliesIxEENS9_8equal_toIxEExEE10hipError_tPvRmT2_T3_T4_T5_mT6_T7_P12ihipStream_tbENKUlT_T0_E_clISt17integral_constantIbLb1EESY_IbLb0EEEEDaSU_SV_EUlSU_E_NS1_11comp_targetILNS1_3genE10ELNS1_11target_archE1200ELNS1_3gpuE4ELNS1_3repE0EEENS1_30default_config_static_selectorELNS0_4arch9wavefront6targetE1EEEvT1_
; %bb.0:
	.section	.rodata,"a",@progbits
	.p2align	6, 0x0
	.amdhsa_kernel _ZN7rocprim17ROCPRIM_400000_NS6detail17trampoline_kernelINS0_14default_configENS1_27scan_by_key_config_selectorIxxEEZZNS1_16scan_by_key_implILNS1_25lookback_scan_determinismE0ELb0ES3_N6thrust23THRUST_200600_302600_NS6detail15normal_iteratorINS9_10device_ptrIxEEEESE_SE_xNS9_10multipliesIxEENS9_8equal_toIxEExEE10hipError_tPvRmT2_T3_T4_T5_mT6_T7_P12ihipStream_tbENKUlT_T0_E_clISt17integral_constantIbLb1EESY_IbLb0EEEEDaSU_SV_EUlSU_E_NS1_11comp_targetILNS1_3genE10ELNS1_11target_archE1200ELNS1_3gpuE4ELNS1_3repE0EEENS1_30default_config_static_selectorELNS0_4arch9wavefront6targetE1EEEvT1_
		.amdhsa_group_segment_fixed_size 0
		.amdhsa_private_segment_fixed_size 0
		.amdhsa_kernarg_size 136
		.amdhsa_user_sgpr_count 2
		.amdhsa_user_sgpr_dispatch_ptr 0
		.amdhsa_user_sgpr_queue_ptr 0
		.amdhsa_user_sgpr_kernarg_segment_ptr 1
		.amdhsa_user_sgpr_dispatch_id 0
		.amdhsa_user_sgpr_kernarg_preload_length 0
		.amdhsa_user_sgpr_kernarg_preload_offset 0
		.amdhsa_user_sgpr_private_segment_size 0
		.amdhsa_uses_dynamic_stack 0
		.amdhsa_enable_private_segment 0
		.amdhsa_system_sgpr_workgroup_id_x 1
		.amdhsa_system_sgpr_workgroup_id_y 0
		.amdhsa_system_sgpr_workgroup_id_z 0
		.amdhsa_system_sgpr_workgroup_info 0
		.amdhsa_system_vgpr_workitem_id 0
		.amdhsa_next_free_vgpr 1
		.amdhsa_next_free_sgpr 0
		.amdhsa_accum_offset 4
		.amdhsa_reserve_vcc 0
		.amdhsa_float_round_mode_32 0
		.amdhsa_float_round_mode_16_64 0
		.amdhsa_float_denorm_mode_32 3
		.amdhsa_float_denorm_mode_16_64 3
		.amdhsa_dx10_clamp 1
		.amdhsa_ieee_mode 1
		.amdhsa_fp16_overflow 0
		.amdhsa_tg_split 0
		.amdhsa_exception_fp_ieee_invalid_op 0
		.amdhsa_exception_fp_denorm_src 0
		.amdhsa_exception_fp_ieee_div_zero 0
		.amdhsa_exception_fp_ieee_overflow 0
		.amdhsa_exception_fp_ieee_underflow 0
		.amdhsa_exception_fp_ieee_inexact 0
		.amdhsa_exception_int_div_zero 0
	.end_amdhsa_kernel
	.section	.text._ZN7rocprim17ROCPRIM_400000_NS6detail17trampoline_kernelINS0_14default_configENS1_27scan_by_key_config_selectorIxxEEZZNS1_16scan_by_key_implILNS1_25lookback_scan_determinismE0ELb0ES3_N6thrust23THRUST_200600_302600_NS6detail15normal_iteratorINS9_10device_ptrIxEEEESE_SE_xNS9_10multipliesIxEENS9_8equal_toIxEExEE10hipError_tPvRmT2_T3_T4_T5_mT6_T7_P12ihipStream_tbENKUlT_T0_E_clISt17integral_constantIbLb1EESY_IbLb0EEEEDaSU_SV_EUlSU_E_NS1_11comp_targetILNS1_3genE10ELNS1_11target_archE1200ELNS1_3gpuE4ELNS1_3repE0EEENS1_30default_config_static_selectorELNS0_4arch9wavefront6targetE1EEEvT1_,"axG",@progbits,_ZN7rocprim17ROCPRIM_400000_NS6detail17trampoline_kernelINS0_14default_configENS1_27scan_by_key_config_selectorIxxEEZZNS1_16scan_by_key_implILNS1_25lookback_scan_determinismE0ELb0ES3_N6thrust23THRUST_200600_302600_NS6detail15normal_iteratorINS9_10device_ptrIxEEEESE_SE_xNS9_10multipliesIxEENS9_8equal_toIxEExEE10hipError_tPvRmT2_T3_T4_T5_mT6_T7_P12ihipStream_tbENKUlT_T0_E_clISt17integral_constantIbLb1EESY_IbLb0EEEEDaSU_SV_EUlSU_E_NS1_11comp_targetILNS1_3genE10ELNS1_11target_archE1200ELNS1_3gpuE4ELNS1_3repE0EEENS1_30default_config_static_selectorELNS0_4arch9wavefront6targetE1EEEvT1_,comdat
.Lfunc_end71:
	.size	_ZN7rocprim17ROCPRIM_400000_NS6detail17trampoline_kernelINS0_14default_configENS1_27scan_by_key_config_selectorIxxEEZZNS1_16scan_by_key_implILNS1_25lookback_scan_determinismE0ELb0ES3_N6thrust23THRUST_200600_302600_NS6detail15normal_iteratorINS9_10device_ptrIxEEEESE_SE_xNS9_10multipliesIxEENS9_8equal_toIxEExEE10hipError_tPvRmT2_T3_T4_T5_mT6_T7_P12ihipStream_tbENKUlT_T0_E_clISt17integral_constantIbLb1EESY_IbLb0EEEEDaSU_SV_EUlSU_E_NS1_11comp_targetILNS1_3genE10ELNS1_11target_archE1200ELNS1_3gpuE4ELNS1_3repE0EEENS1_30default_config_static_selectorELNS0_4arch9wavefront6targetE1EEEvT1_, .Lfunc_end71-_ZN7rocprim17ROCPRIM_400000_NS6detail17trampoline_kernelINS0_14default_configENS1_27scan_by_key_config_selectorIxxEEZZNS1_16scan_by_key_implILNS1_25lookback_scan_determinismE0ELb0ES3_N6thrust23THRUST_200600_302600_NS6detail15normal_iteratorINS9_10device_ptrIxEEEESE_SE_xNS9_10multipliesIxEENS9_8equal_toIxEExEE10hipError_tPvRmT2_T3_T4_T5_mT6_T7_P12ihipStream_tbENKUlT_T0_E_clISt17integral_constantIbLb1EESY_IbLb0EEEEDaSU_SV_EUlSU_E_NS1_11comp_targetILNS1_3genE10ELNS1_11target_archE1200ELNS1_3gpuE4ELNS1_3repE0EEENS1_30default_config_static_selectorELNS0_4arch9wavefront6targetE1EEEvT1_
                                        ; -- End function
	.section	.AMDGPU.csdata,"",@progbits
; Kernel info:
; codeLenInByte = 0
; NumSgprs: 6
; NumVgprs: 0
; NumAgprs: 0
; TotalNumVgprs: 0
; ScratchSize: 0
; MemoryBound: 0
; FloatMode: 240
; IeeeMode: 1
; LDSByteSize: 0 bytes/workgroup (compile time only)
; SGPRBlocks: 0
; VGPRBlocks: 0
; NumSGPRsForWavesPerEU: 6
; NumVGPRsForWavesPerEU: 1
; AccumOffset: 4
; Occupancy: 8
; WaveLimiterHint : 0
; COMPUTE_PGM_RSRC2:SCRATCH_EN: 0
; COMPUTE_PGM_RSRC2:USER_SGPR: 2
; COMPUTE_PGM_RSRC2:TRAP_HANDLER: 0
; COMPUTE_PGM_RSRC2:TGID_X_EN: 1
; COMPUTE_PGM_RSRC2:TGID_Y_EN: 0
; COMPUTE_PGM_RSRC2:TGID_Z_EN: 0
; COMPUTE_PGM_RSRC2:TIDIG_COMP_CNT: 0
; COMPUTE_PGM_RSRC3_GFX90A:ACCUM_OFFSET: 0
; COMPUTE_PGM_RSRC3_GFX90A:TG_SPLIT: 0
	.section	.text._ZN7rocprim17ROCPRIM_400000_NS6detail17trampoline_kernelINS0_14default_configENS1_27scan_by_key_config_selectorIxxEEZZNS1_16scan_by_key_implILNS1_25lookback_scan_determinismE0ELb0ES3_N6thrust23THRUST_200600_302600_NS6detail15normal_iteratorINS9_10device_ptrIxEEEESE_SE_xNS9_10multipliesIxEENS9_8equal_toIxEExEE10hipError_tPvRmT2_T3_T4_T5_mT6_T7_P12ihipStream_tbENKUlT_T0_E_clISt17integral_constantIbLb1EESY_IbLb0EEEEDaSU_SV_EUlSU_E_NS1_11comp_targetILNS1_3genE9ELNS1_11target_archE1100ELNS1_3gpuE3ELNS1_3repE0EEENS1_30default_config_static_selectorELNS0_4arch9wavefront6targetE1EEEvT1_,"axG",@progbits,_ZN7rocprim17ROCPRIM_400000_NS6detail17trampoline_kernelINS0_14default_configENS1_27scan_by_key_config_selectorIxxEEZZNS1_16scan_by_key_implILNS1_25lookback_scan_determinismE0ELb0ES3_N6thrust23THRUST_200600_302600_NS6detail15normal_iteratorINS9_10device_ptrIxEEEESE_SE_xNS9_10multipliesIxEENS9_8equal_toIxEExEE10hipError_tPvRmT2_T3_T4_T5_mT6_T7_P12ihipStream_tbENKUlT_T0_E_clISt17integral_constantIbLb1EESY_IbLb0EEEEDaSU_SV_EUlSU_E_NS1_11comp_targetILNS1_3genE9ELNS1_11target_archE1100ELNS1_3gpuE3ELNS1_3repE0EEENS1_30default_config_static_selectorELNS0_4arch9wavefront6targetE1EEEvT1_,comdat
	.protected	_ZN7rocprim17ROCPRIM_400000_NS6detail17trampoline_kernelINS0_14default_configENS1_27scan_by_key_config_selectorIxxEEZZNS1_16scan_by_key_implILNS1_25lookback_scan_determinismE0ELb0ES3_N6thrust23THRUST_200600_302600_NS6detail15normal_iteratorINS9_10device_ptrIxEEEESE_SE_xNS9_10multipliesIxEENS9_8equal_toIxEExEE10hipError_tPvRmT2_T3_T4_T5_mT6_T7_P12ihipStream_tbENKUlT_T0_E_clISt17integral_constantIbLb1EESY_IbLb0EEEEDaSU_SV_EUlSU_E_NS1_11comp_targetILNS1_3genE9ELNS1_11target_archE1100ELNS1_3gpuE3ELNS1_3repE0EEENS1_30default_config_static_selectorELNS0_4arch9wavefront6targetE1EEEvT1_ ; -- Begin function _ZN7rocprim17ROCPRIM_400000_NS6detail17trampoline_kernelINS0_14default_configENS1_27scan_by_key_config_selectorIxxEEZZNS1_16scan_by_key_implILNS1_25lookback_scan_determinismE0ELb0ES3_N6thrust23THRUST_200600_302600_NS6detail15normal_iteratorINS9_10device_ptrIxEEEESE_SE_xNS9_10multipliesIxEENS9_8equal_toIxEExEE10hipError_tPvRmT2_T3_T4_T5_mT6_T7_P12ihipStream_tbENKUlT_T0_E_clISt17integral_constantIbLb1EESY_IbLb0EEEEDaSU_SV_EUlSU_E_NS1_11comp_targetILNS1_3genE9ELNS1_11target_archE1100ELNS1_3gpuE3ELNS1_3repE0EEENS1_30default_config_static_selectorELNS0_4arch9wavefront6targetE1EEEvT1_
	.globl	_ZN7rocprim17ROCPRIM_400000_NS6detail17trampoline_kernelINS0_14default_configENS1_27scan_by_key_config_selectorIxxEEZZNS1_16scan_by_key_implILNS1_25lookback_scan_determinismE0ELb0ES3_N6thrust23THRUST_200600_302600_NS6detail15normal_iteratorINS9_10device_ptrIxEEEESE_SE_xNS9_10multipliesIxEENS9_8equal_toIxEExEE10hipError_tPvRmT2_T3_T4_T5_mT6_T7_P12ihipStream_tbENKUlT_T0_E_clISt17integral_constantIbLb1EESY_IbLb0EEEEDaSU_SV_EUlSU_E_NS1_11comp_targetILNS1_3genE9ELNS1_11target_archE1100ELNS1_3gpuE3ELNS1_3repE0EEENS1_30default_config_static_selectorELNS0_4arch9wavefront6targetE1EEEvT1_
	.p2align	8
	.type	_ZN7rocprim17ROCPRIM_400000_NS6detail17trampoline_kernelINS0_14default_configENS1_27scan_by_key_config_selectorIxxEEZZNS1_16scan_by_key_implILNS1_25lookback_scan_determinismE0ELb0ES3_N6thrust23THRUST_200600_302600_NS6detail15normal_iteratorINS9_10device_ptrIxEEEESE_SE_xNS9_10multipliesIxEENS9_8equal_toIxEExEE10hipError_tPvRmT2_T3_T4_T5_mT6_T7_P12ihipStream_tbENKUlT_T0_E_clISt17integral_constantIbLb1EESY_IbLb0EEEEDaSU_SV_EUlSU_E_NS1_11comp_targetILNS1_3genE9ELNS1_11target_archE1100ELNS1_3gpuE3ELNS1_3repE0EEENS1_30default_config_static_selectorELNS0_4arch9wavefront6targetE1EEEvT1_,@function
_ZN7rocprim17ROCPRIM_400000_NS6detail17trampoline_kernelINS0_14default_configENS1_27scan_by_key_config_selectorIxxEEZZNS1_16scan_by_key_implILNS1_25lookback_scan_determinismE0ELb0ES3_N6thrust23THRUST_200600_302600_NS6detail15normal_iteratorINS9_10device_ptrIxEEEESE_SE_xNS9_10multipliesIxEENS9_8equal_toIxEExEE10hipError_tPvRmT2_T3_T4_T5_mT6_T7_P12ihipStream_tbENKUlT_T0_E_clISt17integral_constantIbLb1EESY_IbLb0EEEEDaSU_SV_EUlSU_E_NS1_11comp_targetILNS1_3genE9ELNS1_11target_archE1100ELNS1_3gpuE3ELNS1_3repE0EEENS1_30default_config_static_selectorELNS0_4arch9wavefront6targetE1EEEvT1_: ; @_ZN7rocprim17ROCPRIM_400000_NS6detail17trampoline_kernelINS0_14default_configENS1_27scan_by_key_config_selectorIxxEEZZNS1_16scan_by_key_implILNS1_25lookback_scan_determinismE0ELb0ES3_N6thrust23THRUST_200600_302600_NS6detail15normal_iteratorINS9_10device_ptrIxEEEESE_SE_xNS9_10multipliesIxEENS9_8equal_toIxEExEE10hipError_tPvRmT2_T3_T4_T5_mT6_T7_P12ihipStream_tbENKUlT_T0_E_clISt17integral_constantIbLb1EESY_IbLb0EEEEDaSU_SV_EUlSU_E_NS1_11comp_targetILNS1_3genE9ELNS1_11target_archE1100ELNS1_3gpuE3ELNS1_3repE0EEENS1_30default_config_static_selectorELNS0_4arch9wavefront6targetE1EEEvT1_
; %bb.0:
	.section	.rodata,"a",@progbits
	.p2align	6, 0x0
	.amdhsa_kernel _ZN7rocprim17ROCPRIM_400000_NS6detail17trampoline_kernelINS0_14default_configENS1_27scan_by_key_config_selectorIxxEEZZNS1_16scan_by_key_implILNS1_25lookback_scan_determinismE0ELb0ES3_N6thrust23THRUST_200600_302600_NS6detail15normal_iteratorINS9_10device_ptrIxEEEESE_SE_xNS9_10multipliesIxEENS9_8equal_toIxEExEE10hipError_tPvRmT2_T3_T4_T5_mT6_T7_P12ihipStream_tbENKUlT_T0_E_clISt17integral_constantIbLb1EESY_IbLb0EEEEDaSU_SV_EUlSU_E_NS1_11comp_targetILNS1_3genE9ELNS1_11target_archE1100ELNS1_3gpuE3ELNS1_3repE0EEENS1_30default_config_static_selectorELNS0_4arch9wavefront6targetE1EEEvT1_
		.amdhsa_group_segment_fixed_size 0
		.amdhsa_private_segment_fixed_size 0
		.amdhsa_kernarg_size 136
		.amdhsa_user_sgpr_count 2
		.amdhsa_user_sgpr_dispatch_ptr 0
		.amdhsa_user_sgpr_queue_ptr 0
		.amdhsa_user_sgpr_kernarg_segment_ptr 1
		.amdhsa_user_sgpr_dispatch_id 0
		.amdhsa_user_sgpr_kernarg_preload_length 0
		.amdhsa_user_sgpr_kernarg_preload_offset 0
		.amdhsa_user_sgpr_private_segment_size 0
		.amdhsa_uses_dynamic_stack 0
		.amdhsa_enable_private_segment 0
		.amdhsa_system_sgpr_workgroup_id_x 1
		.amdhsa_system_sgpr_workgroup_id_y 0
		.amdhsa_system_sgpr_workgroup_id_z 0
		.amdhsa_system_sgpr_workgroup_info 0
		.amdhsa_system_vgpr_workitem_id 0
		.amdhsa_next_free_vgpr 1
		.amdhsa_next_free_sgpr 0
		.amdhsa_accum_offset 4
		.amdhsa_reserve_vcc 0
		.amdhsa_float_round_mode_32 0
		.amdhsa_float_round_mode_16_64 0
		.amdhsa_float_denorm_mode_32 3
		.amdhsa_float_denorm_mode_16_64 3
		.amdhsa_dx10_clamp 1
		.amdhsa_ieee_mode 1
		.amdhsa_fp16_overflow 0
		.amdhsa_tg_split 0
		.amdhsa_exception_fp_ieee_invalid_op 0
		.amdhsa_exception_fp_denorm_src 0
		.amdhsa_exception_fp_ieee_div_zero 0
		.amdhsa_exception_fp_ieee_overflow 0
		.amdhsa_exception_fp_ieee_underflow 0
		.amdhsa_exception_fp_ieee_inexact 0
		.amdhsa_exception_int_div_zero 0
	.end_amdhsa_kernel
	.section	.text._ZN7rocprim17ROCPRIM_400000_NS6detail17trampoline_kernelINS0_14default_configENS1_27scan_by_key_config_selectorIxxEEZZNS1_16scan_by_key_implILNS1_25lookback_scan_determinismE0ELb0ES3_N6thrust23THRUST_200600_302600_NS6detail15normal_iteratorINS9_10device_ptrIxEEEESE_SE_xNS9_10multipliesIxEENS9_8equal_toIxEExEE10hipError_tPvRmT2_T3_T4_T5_mT6_T7_P12ihipStream_tbENKUlT_T0_E_clISt17integral_constantIbLb1EESY_IbLb0EEEEDaSU_SV_EUlSU_E_NS1_11comp_targetILNS1_3genE9ELNS1_11target_archE1100ELNS1_3gpuE3ELNS1_3repE0EEENS1_30default_config_static_selectorELNS0_4arch9wavefront6targetE1EEEvT1_,"axG",@progbits,_ZN7rocprim17ROCPRIM_400000_NS6detail17trampoline_kernelINS0_14default_configENS1_27scan_by_key_config_selectorIxxEEZZNS1_16scan_by_key_implILNS1_25lookback_scan_determinismE0ELb0ES3_N6thrust23THRUST_200600_302600_NS6detail15normal_iteratorINS9_10device_ptrIxEEEESE_SE_xNS9_10multipliesIxEENS9_8equal_toIxEExEE10hipError_tPvRmT2_T3_T4_T5_mT6_T7_P12ihipStream_tbENKUlT_T0_E_clISt17integral_constantIbLb1EESY_IbLb0EEEEDaSU_SV_EUlSU_E_NS1_11comp_targetILNS1_3genE9ELNS1_11target_archE1100ELNS1_3gpuE3ELNS1_3repE0EEENS1_30default_config_static_selectorELNS0_4arch9wavefront6targetE1EEEvT1_,comdat
.Lfunc_end72:
	.size	_ZN7rocprim17ROCPRIM_400000_NS6detail17trampoline_kernelINS0_14default_configENS1_27scan_by_key_config_selectorIxxEEZZNS1_16scan_by_key_implILNS1_25lookback_scan_determinismE0ELb0ES3_N6thrust23THRUST_200600_302600_NS6detail15normal_iteratorINS9_10device_ptrIxEEEESE_SE_xNS9_10multipliesIxEENS9_8equal_toIxEExEE10hipError_tPvRmT2_T3_T4_T5_mT6_T7_P12ihipStream_tbENKUlT_T0_E_clISt17integral_constantIbLb1EESY_IbLb0EEEEDaSU_SV_EUlSU_E_NS1_11comp_targetILNS1_3genE9ELNS1_11target_archE1100ELNS1_3gpuE3ELNS1_3repE0EEENS1_30default_config_static_selectorELNS0_4arch9wavefront6targetE1EEEvT1_, .Lfunc_end72-_ZN7rocprim17ROCPRIM_400000_NS6detail17trampoline_kernelINS0_14default_configENS1_27scan_by_key_config_selectorIxxEEZZNS1_16scan_by_key_implILNS1_25lookback_scan_determinismE0ELb0ES3_N6thrust23THRUST_200600_302600_NS6detail15normal_iteratorINS9_10device_ptrIxEEEESE_SE_xNS9_10multipliesIxEENS9_8equal_toIxEExEE10hipError_tPvRmT2_T3_T4_T5_mT6_T7_P12ihipStream_tbENKUlT_T0_E_clISt17integral_constantIbLb1EESY_IbLb0EEEEDaSU_SV_EUlSU_E_NS1_11comp_targetILNS1_3genE9ELNS1_11target_archE1100ELNS1_3gpuE3ELNS1_3repE0EEENS1_30default_config_static_selectorELNS0_4arch9wavefront6targetE1EEEvT1_
                                        ; -- End function
	.section	.AMDGPU.csdata,"",@progbits
; Kernel info:
; codeLenInByte = 0
; NumSgprs: 6
; NumVgprs: 0
; NumAgprs: 0
; TotalNumVgprs: 0
; ScratchSize: 0
; MemoryBound: 0
; FloatMode: 240
; IeeeMode: 1
; LDSByteSize: 0 bytes/workgroup (compile time only)
; SGPRBlocks: 0
; VGPRBlocks: 0
; NumSGPRsForWavesPerEU: 6
; NumVGPRsForWavesPerEU: 1
; AccumOffset: 4
; Occupancy: 8
; WaveLimiterHint : 0
; COMPUTE_PGM_RSRC2:SCRATCH_EN: 0
; COMPUTE_PGM_RSRC2:USER_SGPR: 2
; COMPUTE_PGM_RSRC2:TRAP_HANDLER: 0
; COMPUTE_PGM_RSRC2:TGID_X_EN: 1
; COMPUTE_PGM_RSRC2:TGID_Y_EN: 0
; COMPUTE_PGM_RSRC2:TGID_Z_EN: 0
; COMPUTE_PGM_RSRC2:TIDIG_COMP_CNT: 0
; COMPUTE_PGM_RSRC3_GFX90A:ACCUM_OFFSET: 0
; COMPUTE_PGM_RSRC3_GFX90A:TG_SPLIT: 0
	.section	.text._ZN7rocprim17ROCPRIM_400000_NS6detail17trampoline_kernelINS0_14default_configENS1_27scan_by_key_config_selectorIxxEEZZNS1_16scan_by_key_implILNS1_25lookback_scan_determinismE0ELb0ES3_N6thrust23THRUST_200600_302600_NS6detail15normal_iteratorINS9_10device_ptrIxEEEESE_SE_xNS9_10multipliesIxEENS9_8equal_toIxEExEE10hipError_tPvRmT2_T3_T4_T5_mT6_T7_P12ihipStream_tbENKUlT_T0_E_clISt17integral_constantIbLb1EESY_IbLb0EEEEDaSU_SV_EUlSU_E_NS1_11comp_targetILNS1_3genE8ELNS1_11target_archE1030ELNS1_3gpuE2ELNS1_3repE0EEENS1_30default_config_static_selectorELNS0_4arch9wavefront6targetE1EEEvT1_,"axG",@progbits,_ZN7rocprim17ROCPRIM_400000_NS6detail17trampoline_kernelINS0_14default_configENS1_27scan_by_key_config_selectorIxxEEZZNS1_16scan_by_key_implILNS1_25lookback_scan_determinismE0ELb0ES3_N6thrust23THRUST_200600_302600_NS6detail15normal_iteratorINS9_10device_ptrIxEEEESE_SE_xNS9_10multipliesIxEENS9_8equal_toIxEExEE10hipError_tPvRmT2_T3_T4_T5_mT6_T7_P12ihipStream_tbENKUlT_T0_E_clISt17integral_constantIbLb1EESY_IbLb0EEEEDaSU_SV_EUlSU_E_NS1_11comp_targetILNS1_3genE8ELNS1_11target_archE1030ELNS1_3gpuE2ELNS1_3repE0EEENS1_30default_config_static_selectorELNS0_4arch9wavefront6targetE1EEEvT1_,comdat
	.protected	_ZN7rocprim17ROCPRIM_400000_NS6detail17trampoline_kernelINS0_14default_configENS1_27scan_by_key_config_selectorIxxEEZZNS1_16scan_by_key_implILNS1_25lookback_scan_determinismE0ELb0ES3_N6thrust23THRUST_200600_302600_NS6detail15normal_iteratorINS9_10device_ptrIxEEEESE_SE_xNS9_10multipliesIxEENS9_8equal_toIxEExEE10hipError_tPvRmT2_T3_T4_T5_mT6_T7_P12ihipStream_tbENKUlT_T0_E_clISt17integral_constantIbLb1EESY_IbLb0EEEEDaSU_SV_EUlSU_E_NS1_11comp_targetILNS1_3genE8ELNS1_11target_archE1030ELNS1_3gpuE2ELNS1_3repE0EEENS1_30default_config_static_selectorELNS0_4arch9wavefront6targetE1EEEvT1_ ; -- Begin function _ZN7rocprim17ROCPRIM_400000_NS6detail17trampoline_kernelINS0_14default_configENS1_27scan_by_key_config_selectorIxxEEZZNS1_16scan_by_key_implILNS1_25lookback_scan_determinismE0ELb0ES3_N6thrust23THRUST_200600_302600_NS6detail15normal_iteratorINS9_10device_ptrIxEEEESE_SE_xNS9_10multipliesIxEENS9_8equal_toIxEExEE10hipError_tPvRmT2_T3_T4_T5_mT6_T7_P12ihipStream_tbENKUlT_T0_E_clISt17integral_constantIbLb1EESY_IbLb0EEEEDaSU_SV_EUlSU_E_NS1_11comp_targetILNS1_3genE8ELNS1_11target_archE1030ELNS1_3gpuE2ELNS1_3repE0EEENS1_30default_config_static_selectorELNS0_4arch9wavefront6targetE1EEEvT1_
	.globl	_ZN7rocprim17ROCPRIM_400000_NS6detail17trampoline_kernelINS0_14default_configENS1_27scan_by_key_config_selectorIxxEEZZNS1_16scan_by_key_implILNS1_25lookback_scan_determinismE0ELb0ES3_N6thrust23THRUST_200600_302600_NS6detail15normal_iteratorINS9_10device_ptrIxEEEESE_SE_xNS9_10multipliesIxEENS9_8equal_toIxEExEE10hipError_tPvRmT2_T3_T4_T5_mT6_T7_P12ihipStream_tbENKUlT_T0_E_clISt17integral_constantIbLb1EESY_IbLb0EEEEDaSU_SV_EUlSU_E_NS1_11comp_targetILNS1_3genE8ELNS1_11target_archE1030ELNS1_3gpuE2ELNS1_3repE0EEENS1_30default_config_static_selectorELNS0_4arch9wavefront6targetE1EEEvT1_
	.p2align	8
	.type	_ZN7rocprim17ROCPRIM_400000_NS6detail17trampoline_kernelINS0_14default_configENS1_27scan_by_key_config_selectorIxxEEZZNS1_16scan_by_key_implILNS1_25lookback_scan_determinismE0ELb0ES3_N6thrust23THRUST_200600_302600_NS6detail15normal_iteratorINS9_10device_ptrIxEEEESE_SE_xNS9_10multipliesIxEENS9_8equal_toIxEExEE10hipError_tPvRmT2_T3_T4_T5_mT6_T7_P12ihipStream_tbENKUlT_T0_E_clISt17integral_constantIbLb1EESY_IbLb0EEEEDaSU_SV_EUlSU_E_NS1_11comp_targetILNS1_3genE8ELNS1_11target_archE1030ELNS1_3gpuE2ELNS1_3repE0EEENS1_30default_config_static_selectorELNS0_4arch9wavefront6targetE1EEEvT1_,@function
_ZN7rocprim17ROCPRIM_400000_NS6detail17trampoline_kernelINS0_14default_configENS1_27scan_by_key_config_selectorIxxEEZZNS1_16scan_by_key_implILNS1_25lookback_scan_determinismE0ELb0ES3_N6thrust23THRUST_200600_302600_NS6detail15normal_iteratorINS9_10device_ptrIxEEEESE_SE_xNS9_10multipliesIxEENS9_8equal_toIxEExEE10hipError_tPvRmT2_T3_T4_T5_mT6_T7_P12ihipStream_tbENKUlT_T0_E_clISt17integral_constantIbLb1EESY_IbLb0EEEEDaSU_SV_EUlSU_E_NS1_11comp_targetILNS1_3genE8ELNS1_11target_archE1030ELNS1_3gpuE2ELNS1_3repE0EEENS1_30default_config_static_selectorELNS0_4arch9wavefront6targetE1EEEvT1_: ; @_ZN7rocprim17ROCPRIM_400000_NS6detail17trampoline_kernelINS0_14default_configENS1_27scan_by_key_config_selectorIxxEEZZNS1_16scan_by_key_implILNS1_25lookback_scan_determinismE0ELb0ES3_N6thrust23THRUST_200600_302600_NS6detail15normal_iteratorINS9_10device_ptrIxEEEESE_SE_xNS9_10multipliesIxEENS9_8equal_toIxEExEE10hipError_tPvRmT2_T3_T4_T5_mT6_T7_P12ihipStream_tbENKUlT_T0_E_clISt17integral_constantIbLb1EESY_IbLb0EEEEDaSU_SV_EUlSU_E_NS1_11comp_targetILNS1_3genE8ELNS1_11target_archE1030ELNS1_3gpuE2ELNS1_3repE0EEENS1_30default_config_static_selectorELNS0_4arch9wavefront6targetE1EEEvT1_
; %bb.0:
	.section	.rodata,"a",@progbits
	.p2align	6, 0x0
	.amdhsa_kernel _ZN7rocprim17ROCPRIM_400000_NS6detail17trampoline_kernelINS0_14default_configENS1_27scan_by_key_config_selectorIxxEEZZNS1_16scan_by_key_implILNS1_25lookback_scan_determinismE0ELb0ES3_N6thrust23THRUST_200600_302600_NS6detail15normal_iteratorINS9_10device_ptrIxEEEESE_SE_xNS9_10multipliesIxEENS9_8equal_toIxEExEE10hipError_tPvRmT2_T3_T4_T5_mT6_T7_P12ihipStream_tbENKUlT_T0_E_clISt17integral_constantIbLb1EESY_IbLb0EEEEDaSU_SV_EUlSU_E_NS1_11comp_targetILNS1_3genE8ELNS1_11target_archE1030ELNS1_3gpuE2ELNS1_3repE0EEENS1_30default_config_static_selectorELNS0_4arch9wavefront6targetE1EEEvT1_
		.amdhsa_group_segment_fixed_size 0
		.amdhsa_private_segment_fixed_size 0
		.amdhsa_kernarg_size 136
		.amdhsa_user_sgpr_count 2
		.amdhsa_user_sgpr_dispatch_ptr 0
		.amdhsa_user_sgpr_queue_ptr 0
		.amdhsa_user_sgpr_kernarg_segment_ptr 1
		.amdhsa_user_sgpr_dispatch_id 0
		.amdhsa_user_sgpr_kernarg_preload_length 0
		.amdhsa_user_sgpr_kernarg_preload_offset 0
		.amdhsa_user_sgpr_private_segment_size 0
		.amdhsa_uses_dynamic_stack 0
		.amdhsa_enable_private_segment 0
		.amdhsa_system_sgpr_workgroup_id_x 1
		.amdhsa_system_sgpr_workgroup_id_y 0
		.amdhsa_system_sgpr_workgroup_id_z 0
		.amdhsa_system_sgpr_workgroup_info 0
		.amdhsa_system_vgpr_workitem_id 0
		.amdhsa_next_free_vgpr 1
		.amdhsa_next_free_sgpr 0
		.amdhsa_accum_offset 4
		.amdhsa_reserve_vcc 0
		.amdhsa_float_round_mode_32 0
		.amdhsa_float_round_mode_16_64 0
		.amdhsa_float_denorm_mode_32 3
		.amdhsa_float_denorm_mode_16_64 3
		.amdhsa_dx10_clamp 1
		.amdhsa_ieee_mode 1
		.amdhsa_fp16_overflow 0
		.amdhsa_tg_split 0
		.amdhsa_exception_fp_ieee_invalid_op 0
		.amdhsa_exception_fp_denorm_src 0
		.amdhsa_exception_fp_ieee_div_zero 0
		.amdhsa_exception_fp_ieee_overflow 0
		.amdhsa_exception_fp_ieee_underflow 0
		.amdhsa_exception_fp_ieee_inexact 0
		.amdhsa_exception_int_div_zero 0
	.end_amdhsa_kernel
	.section	.text._ZN7rocprim17ROCPRIM_400000_NS6detail17trampoline_kernelINS0_14default_configENS1_27scan_by_key_config_selectorIxxEEZZNS1_16scan_by_key_implILNS1_25lookback_scan_determinismE0ELb0ES3_N6thrust23THRUST_200600_302600_NS6detail15normal_iteratorINS9_10device_ptrIxEEEESE_SE_xNS9_10multipliesIxEENS9_8equal_toIxEExEE10hipError_tPvRmT2_T3_T4_T5_mT6_T7_P12ihipStream_tbENKUlT_T0_E_clISt17integral_constantIbLb1EESY_IbLb0EEEEDaSU_SV_EUlSU_E_NS1_11comp_targetILNS1_3genE8ELNS1_11target_archE1030ELNS1_3gpuE2ELNS1_3repE0EEENS1_30default_config_static_selectorELNS0_4arch9wavefront6targetE1EEEvT1_,"axG",@progbits,_ZN7rocprim17ROCPRIM_400000_NS6detail17trampoline_kernelINS0_14default_configENS1_27scan_by_key_config_selectorIxxEEZZNS1_16scan_by_key_implILNS1_25lookback_scan_determinismE0ELb0ES3_N6thrust23THRUST_200600_302600_NS6detail15normal_iteratorINS9_10device_ptrIxEEEESE_SE_xNS9_10multipliesIxEENS9_8equal_toIxEExEE10hipError_tPvRmT2_T3_T4_T5_mT6_T7_P12ihipStream_tbENKUlT_T0_E_clISt17integral_constantIbLb1EESY_IbLb0EEEEDaSU_SV_EUlSU_E_NS1_11comp_targetILNS1_3genE8ELNS1_11target_archE1030ELNS1_3gpuE2ELNS1_3repE0EEENS1_30default_config_static_selectorELNS0_4arch9wavefront6targetE1EEEvT1_,comdat
.Lfunc_end73:
	.size	_ZN7rocprim17ROCPRIM_400000_NS6detail17trampoline_kernelINS0_14default_configENS1_27scan_by_key_config_selectorIxxEEZZNS1_16scan_by_key_implILNS1_25lookback_scan_determinismE0ELb0ES3_N6thrust23THRUST_200600_302600_NS6detail15normal_iteratorINS9_10device_ptrIxEEEESE_SE_xNS9_10multipliesIxEENS9_8equal_toIxEExEE10hipError_tPvRmT2_T3_T4_T5_mT6_T7_P12ihipStream_tbENKUlT_T0_E_clISt17integral_constantIbLb1EESY_IbLb0EEEEDaSU_SV_EUlSU_E_NS1_11comp_targetILNS1_3genE8ELNS1_11target_archE1030ELNS1_3gpuE2ELNS1_3repE0EEENS1_30default_config_static_selectorELNS0_4arch9wavefront6targetE1EEEvT1_, .Lfunc_end73-_ZN7rocprim17ROCPRIM_400000_NS6detail17trampoline_kernelINS0_14default_configENS1_27scan_by_key_config_selectorIxxEEZZNS1_16scan_by_key_implILNS1_25lookback_scan_determinismE0ELb0ES3_N6thrust23THRUST_200600_302600_NS6detail15normal_iteratorINS9_10device_ptrIxEEEESE_SE_xNS9_10multipliesIxEENS9_8equal_toIxEExEE10hipError_tPvRmT2_T3_T4_T5_mT6_T7_P12ihipStream_tbENKUlT_T0_E_clISt17integral_constantIbLb1EESY_IbLb0EEEEDaSU_SV_EUlSU_E_NS1_11comp_targetILNS1_3genE8ELNS1_11target_archE1030ELNS1_3gpuE2ELNS1_3repE0EEENS1_30default_config_static_selectorELNS0_4arch9wavefront6targetE1EEEvT1_
                                        ; -- End function
	.section	.AMDGPU.csdata,"",@progbits
; Kernel info:
; codeLenInByte = 0
; NumSgprs: 6
; NumVgprs: 0
; NumAgprs: 0
; TotalNumVgprs: 0
; ScratchSize: 0
; MemoryBound: 0
; FloatMode: 240
; IeeeMode: 1
; LDSByteSize: 0 bytes/workgroup (compile time only)
; SGPRBlocks: 0
; VGPRBlocks: 0
; NumSGPRsForWavesPerEU: 6
; NumVGPRsForWavesPerEU: 1
; AccumOffset: 4
; Occupancy: 8
; WaveLimiterHint : 0
; COMPUTE_PGM_RSRC2:SCRATCH_EN: 0
; COMPUTE_PGM_RSRC2:USER_SGPR: 2
; COMPUTE_PGM_RSRC2:TRAP_HANDLER: 0
; COMPUTE_PGM_RSRC2:TGID_X_EN: 1
; COMPUTE_PGM_RSRC2:TGID_Y_EN: 0
; COMPUTE_PGM_RSRC2:TGID_Z_EN: 0
; COMPUTE_PGM_RSRC2:TIDIG_COMP_CNT: 0
; COMPUTE_PGM_RSRC3_GFX90A:ACCUM_OFFSET: 0
; COMPUTE_PGM_RSRC3_GFX90A:TG_SPLIT: 0
	.section	.text._ZN7rocprim17ROCPRIM_400000_NS6detail17trampoline_kernelINS0_14default_configENS1_27scan_by_key_config_selectorIxxEEZZNS1_16scan_by_key_implILNS1_25lookback_scan_determinismE0ELb0ES3_N6thrust23THRUST_200600_302600_NS6detail15normal_iteratorINS9_10device_ptrIxEEEESE_SE_xNS9_10multipliesIxEENS9_8equal_toIxEExEE10hipError_tPvRmT2_T3_T4_T5_mT6_T7_P12ihipStream_tbENKUlT_T0_E_clISt17integral_constantIbLb0EESY_IbLb1EEEEDaSU_SV_EUlSU_E_NS1_11comp_targetILNS1_3genE0ELNS1_11target_archE4294967295ELNS1_3gpuE0ELNS1_3repE0EEENS1_30default_config_static_selectorELNS0_4arch9wavefront6targetE1EEEvT1_,"axG",@progbits,_ZN7rocprim17ROCPRIM_400000_NS6detail17trampoline_kernelINS0_14default_configENS1_27scan_by_key_config_selectorIxxEEZZNS1_16scan_by_key_implILNS1_25lookback_scan_determinismE0ELb0ES3_N6thrust23THRUST_200600_302600_NS6detail15normal_iteratorINS9_10device_ptrIxEEEESE_SE_xNS9_10multipliesIxEENS9_8equal_toIxEExEE10hipError_tPvRmT2_T3_T4_T5_mT6_T7_P12ihipStream_tbENKUlT_T0_E_clISt17integral_constantIbLb0EESY_IbLb1EEEEDaSU_SV_EUlSU_E_NS1_11comp_targetILNS1_3genE0ELNS1_11target_archE4294967295ELNS1_3gpuE0ELNS1_3repE0EEENS1_30default_config_static_selectorELNS0_4arch9wavefront6targetE1EEEvT1_,comdat
	.protected	_ZN7rocprim17ROCPRIM_400000_NS6detail17trampoline_kernelINS0_14default_configENS1_27scan_by_key_config_selectorIxxEEZZNS1_16scan_by_key_implILNS1_25lookback_scan_determinismE0ELb0ES3_N6thrust23THRUST_200600_302600_NS6detail15normal_iteratorINS9_10device_ptrIxEEEESE_SE_xNS9_10multipliesIxEENS9_8equal_toIxEExEE10hipError_tPvRmT2_T3_T4_T5_mT6_T7_P12ihipStream_tbENKUlT_T0_E_clISt17integral_constantIbLb0EESY_IbLb1EEEEDaSU_SV_EUlSU_E_NS1_11comp_targetILNS1_3genE0ELNS1_11target_archE4294967295ELNS1_3gpuE0ELNS1_3repE0EEENS1_30default_config_static_selectorELNS0_4arch9wavefront6targetE1EEEvT1_ ; -- Begin function _ZN7rocprim17ROCPRIM_400000_NS6detail17trampoline_kernelINS0_14default_configENS1_27scan_by_key_config_selectorIxxEEZZNS1_16scan_by_key_implILNS1_25lookback_scan_determinismE0ELb0ES3_N6thrust23THRUST_200600_302600_NS6detail15normal_iteratorINS9_10device_ptrIxEEEESE_SE_xNS9_10multipliesIxEENS9_8equal_toIxEExEE10hipError_tPvRmT2_T3_T4_T5_mT6_T7_P12ihipStream_tbENKUlT_T0_E_clISt17integral_constantIbLb0EESY_IbLb1EEEEDaSU_SV_EUlSU_E_NS1_11comp_targetILNS1_3genE0ELNS1_11target_archE4294967295ELNS1_3gpuE0ELNS1_3repE0EEENS1_30default_config_static_selectorELNS0_4arch9wavefront6targetE1EEEvT1_
	.globl	_ZN7rocprim17ROCPRIM_400000_NS6detail17trampoline_kernelINS0_14default_configENS1_27scan_by_key_config_selectorIxxEEZZNS1_16scan_by_key_implILNS1_25lookback_scan_determinismE0ELb0ES3_N6thrust23THRUST_200600_302600_NS6detail15normal_iteratorINS9_10device_ptrIxEEEESE_SE_xNS9_10multipliesIxEENS9_8equal_toIxEExEE10hipError_tPvRmT2_T3_T4_T5_mT6_T7_P12ihipStream_tbENKUlT_T0_E_clISt17integral_constantIbLb0EESY_IbLb1EEEEDaSU_SV_EUlSU_E_NS1_11comp_targetILNS1_3genE0ELNS1_11target_archE4294967295ELNS1_3gpuE0ELNS1_3repE0EEENS1_30default_config_static_selectorELNS0_4arch9wavefront6targetE1EEEvT1_
	.p2align	8
	.type	_ZN7rocprim17ROCPRIM_400000_NS6detail17trampoline_kernelINS0_14default_configENS1_27scan_by_key_config_selectorIxxEEZZNS1_16scan_by_key_implILNS1_25lookback_scan_determinismE0ELb0ES3_N6thrust23THRUST_200600_302600_NS6detail15normal_iteratorINS9_10device_ptrIxEEEESE_SE_xNS9_10multipliesIxEENS9_8equal_toIxEExEE10hipError_tPvRmT2_T3_T4_T5_mT6_T7_P12ihipStream_tbENKUlT_T0_E_clISt17integral_constantIbLb0EESY_IbLb1EEEEDaSU_SV_EUlSU_E_NS1_11comp_targetILNS1_3genE0ELNS1_11target_archE4294967295ELNS1_3gpuE0ELNS1_3repE0EEENS1_30default_config_static_selectorELNS0_4arch9wavefront6targetE1EEEvT1_,@function
_ZN7rocprim17ROCPRIM_400000_NS6detail17trampoline_kernelINS0_14default_configENS1_27scan_by_key_config_selectorIxxEEZZNS1_16scan_by_key_implILNS1_25lookback_scan_determinismE0ELb0ES3_N6thrust23THRUST_200600_302600_NS6detail15normal_iteratorINS9_10device_ptrIxEEEESE_SE_xNS9_10multipliesIxEENS9_8equal_toIxEExEE10hipError_tPvRmT2_T3_T4_T5_mT6_T7_P12ihipStream_tbENKUlT_T0_E_clISt17integral_constantIbLb0EESY_IbLb1EEEEDaSU_SV_EUlSU_E_NS1_11comp_targetILNS1_3genE0ELNS1_11target_archE4294967295ELNS1_3gpuE0ELNS1_3repE0EEENS1_30default_config_static_selectorELNS0_4arch9wavefront6targetE1EEEvT1_: ; @_ZN7rocprim17ROCPRIM_400000_NS6detail17trampoline_kernelINS0_14default_configENS1_27scan_by_key_config_selectorIxxEEZZNS1_16scan_by_key_implILNS1_25lookback_scan_determinismE0ELb0ES3_N6thrust23THRUST_200600_302600_NS6detail15normal_iteratorINS9_10device_ptrIxEEEESE_SE_xNS9_10multipliesIxEENS9_8equal_toIxEExEE10hipError_tPvRmT2_T3_T4_T5_mT6_T7_P12ihipStream_tbENKUlT_T0_E_clISt17integral_constantIbLb0EESY_IbLb1EEEEDaSU_SV_EUlSU_E_NS1_11comp_targetILNS1_3genE0ELNS1_11target_archE4294967295ELNS1_3gpuE0ELNS1_3repE0EEENS1_30default_config_static_selectorELNS0_4arch9wavefront6targetE1EEEvT1_
; %bb.0:
	.section	.rodata,"a",@progbits
	.p2align	6, 0x0
	.amdhsa_kernel _ZN7rocprim17ROCPRIM_400000_NS6detail17trampoline_kernelINS0_14default_configENS1_27scan_by_key_config_selectorIxxEEZZNS1_16scan_by_key_implILNS1_25lookback_scan_determinismE0ELb0ES3_N6thrust23THRUST_200600_302600_NS6detail15normal_iteratorINS9_10device_ptrIxEEEESE_SE_xNS9_10multipliesIxEENS9_8equal_toIxEExEE10hipError_tPvRmT2_T3_T4_T5_mT6_T7_P12ihipStream_tbENKUlT_T0_E_clISt17integral_constantIbLb0EESY_IbLb1EEEEDaSU_SV_EUlSU_E_NS1_11comp_targetILNS1_3genE0ELNS1_11target_archE4294967295ELNS1_3gpuE0ELNS1_3repE0EEENS1_30default_config_static_selectorELNS0_4arch9wavefront6targetE1EEEvT1_
		.amdhsa_group_segment_fixed_size 0
		.amdhsa_private_segment_fixed_size 0
		.amdhsa_kernarg_size 136
		.amdhsa_user_sgpr_count 2
		.amdhsa_user_sgpr_dispatch_ptr 0
		.amdhsa_user_sgpr_queue_ptr 0
		.amdhsa_user_sgpr_kernarg_segment_ptr 1
		.amdhsa_user_sgpr_dispatch_id 0
		.amdhsa_user_sgpr_kernarg_preload_length 0
		.amdhsa_user_sgpr_kernarg_preload_offset 0
		.amdhsa_user_sgpr_private_segment_size 0
		.amdhsa_uses_dynamic_stack 0
		.amdhsa_enable_private_segment 0
		.amdhsa_system_sgpr_workgroup_id_x 1
		.amdhsa_system_sgpr_workgroup_id_y 0
		.amdhsa_system_sgpr_workgroup_id_z 0
		.amdhsa_system_sgpr_workgroup_info 0
		.amdhsa_system_vgpr_workitem_id 0
		.amdhsa_next_free_vgpr 1
		.amdhsa_next_free_sgpr 0
		.amdhsa_accum_offset 4
		.amdhsa_reserve_vcc 0
		.amdhsa_float_round_mode_32 0
		.amdhsa_float_round_mode_16_64 0
		.amdhsa_float_denorm_mode_32 3
		.amdhsa_float_denorm_mode_16_64 3
		.amdhsa_dx10_clamp 1
		.amdhsa_ieee_mode 1
		.amdhsa_fp16_overflow 0
		.amdhsa_tg_split 0
		.amdhsa_exception_fp_ieee_invalid_op 0
		.amdhsa_exception_fp_denorm_src 0
		.amdhsa_exception_fp_ieee_div_zero 0
		.amdhsa_exception_fp_ieee_overflow 0
		.amdhsa_exception_fp_ieee_underflow 0
		.amdhsa_exception_fp_ieee_inexact 0
		.amdhsa_exception_int_div_zero 0
	.end_amdhsa_kernel
	.section	.text._ZN7rocprim17ROCPRIM_400000_NS6detail17trampoline_kernelINS0_14default_configENS1_27scan_by_key_config_selectorIxxEEZZNS1_16scan_by_key_implILNS1_25lookback_scan_determinismE0ELb0ES3_N6thrust23THRUST_200600_302600_NS6detail15normal_iteratorINS9_10device_ptrIxEEEESE_SE_xNS9_10multipliesIxEENS9_8equal_toIxEExEE10hipError_tPvRmT2_T3_T4_T5_mT6_T7_P12ihipStream_tbENKUlT_T0_E_clISt17integral_constantIbLb0EESY_IbLb1EEEEDaSU_SV_EUlSU_E_NS1_11comp_targetILNS1_3genE0ELNS1_11target_archE4294967295ELNS1_3gpuE0ELNS1_3repE0EEENS1_30default_config_static_selectorELNS0_4arch9wavefront6targetE1EEEvT1_,"axG",@progbits,_ZN7rocprim17ROCPRIM_400000_NS6detail17trampoline_kernelINS0_14default_configENS1_27scan_by_key_config_selectorIxxEEZZNS1_16scan_by_key_implILNS1_25lookback_scan_determinismE0ELb0ES3_N6thrust23THRUST_200600_302600_NS6detail15normal_iteratorINS9_10device_ptrIxEEEESE_SE_xNS9_10multipliesIxEENS9_8equal_toIxEExEE10hipError_tPvRmT2_T3_T4_T5_mT6_T7_P12ihipStream_tbENKUlT_T0_E_clISt17integral_constantIbLb0EESY_IbLb1EEEEDaSU_SV_EUlSU_E_NS1_11comp_targetILNS1_3genE0ELNS1_11target_archE4294967295ELNS1_3gpuE0ELNS1_3repE0EEENS1_30default_config_static_selectorELNS0_4arch9wavefront6targetE1EEEvT1_,comdat
.Lfunc_end74:
	.size	_ZN7rocprim17ROCPRIM_400000_NS6detail17trampoline_kernelINS0_14default_configENS1_27scan_by_key_config_selectorIxxEEZZNS1_16scan_by_key_implILNS1_25lookback_scan_determinismE0ELb0ES3_N6thrust23THRUST_200600_302600_NS6detail15normal_iteratorINS9_10device_ptrIxEEEESE_SE_xNS9_10multipliesIxEENS9_8equal_toIxEExEE10hipError_tPvRmT2_T3_T4_T5_mT6_T7_P12ihipStream_tbENKUlT_T0_E_clISt17integral_constantIbLb0EESY_IbLb1EEEEDaSU_SV_EUlSU_E_NS1_11comp_targetILNS1_3genE0ELNS1_11target_archE4294967295ELNS1_3gpuE0ELNS1_3repE0EEENS1_30default_config_static_selectorELNS0_4arch9wavefront6targetE1EEEvT1_, .Lfunc_end74-_ZN7rocprim17ROCPRIM_400000_NS6detail17trampoline_kernelINS0_14default_configENS1_27scan_by_key_config_selectorIxxEEZZNS1_16scan_by_key_implILNS1_25lookback_scan_determinismE0ELb0ES3_N6thrust23THRUST_200600_302600_NS6detail15normal_iteratorINS9_10device_ptrIxEEEESE_SE_xNS9_10multipliesIxEENS9_8equal_toIxEExEE10hipError_tPvRmT2_T3_T4_T5_mT6_T7_P12ihipStream_tbENKUlT_T0_E_clISt17integral_constantIbLb0EESY_IbLb1EEEEDaSU_SV_EUlSU_E_NS1_11comp_targetILNS1_3genE0ELNS1_11target_archE4294967295ELNS1_3gpuE0ELNS1_3repE0EEENS1_30default_config_static_selectorELNS0_4arch9wavefront6targetE1EEEvT1_
                                        ; -- End function
	.section	.AMDGPU.csdata,"",@progbits
; Kernel info:
; codeLenInByte = 0
; NumSgprs: 6
; NumVgprs: 0
; NumAgprs: 0
; TotalNumVgprs: 0
; ScratchSize: 0
; MemoryBound: 0
; FloatMode: 240
; IeeeMode: 1
; LDSByteSize: 0 bytes/workgroup (compile time only)
; SGPRBlocks: 0
; VGPRBlocks: 0
; NumSGPRsForWavesPerEU: 6
; NumVGPRsForWavesPerEU: 1
; AccumOffset: 4
; Occupancy: 8
; WaveLimiterHint : 0
; COMPUTE_PGM_RSRC2:SCRATCH_EN: 0
; COMPUTE_PGM_RSRC2:USER_SGPR: 2
; COMPUTE_PGM_RSRC2:TRAP_HANDLER: 0
; COMPUTE_PGM_RSRC2:TGID_X_EN: 1
; COMPUTE_PGM_RSRC2:TGID_Y_EN: 0
; COMPUTE_PGM_RSRC2:TGID_Z_EN: 0
; COMPUTE_PGM_RSRC2:TIDIG_COMP_CNT: 0
; COMPUTE_PGM_RSRC3_GFX90A:ACCUM_OFFSET: 0
; COMPUTE_PGM_RSRC3_GFX90A:TG_SPLIT: 0
	.section	.text._ZN7rocprim17ROCPRIM_400000_NS6detail17trampoline_kernelINS0_14default_configENS1_27scan_by_key_config_selectorIxxEEZZNS1_16scan_by_key_implILNS1_25lookback_scan_determinismE0ELb0ES3_N6thrust23THRUST_200600_302600_NS6detail15normal_iteratorINS9_10device_ptrIxEEEESE_SE_xNS9_10multipliesIxEENS9_8equal_toIxEExEE10hipError_tPvRmT2_T3_T4_T5_mT6_T7_P12ihipStream_tbENKUlT_T0_E_clISt17integral_constantIbLb0EESY_IbLb1EEEEDaSU_SV_EUlSU_E_NS1_11comp_targetILNS1_3genE10ELNS1_11target_archE1201ELNS1_3gpuE5ELNS1_3repE0EEENS1_30default_config_static_selectorELNS0_4arch9wavefront6targetE1EEEvT1_,"axG",@progbits,_ZN7rocprim17ROCPRIM_400000_NS6detail17trampoline_kernelINS0_14default_configENS1_27scan_by_key_config_selectorIxxEEZZNS1_16scan_by_key_implILNS1_25lookback_scan_determinismE0ELb0ES3_N6thrust23THRUST_200600_302600_NS6detail15normal_iteratorINS9_10device_ptrIxEEEESE_SE_xNS9_10multipliesIxEENS9_8equal_toIxEExEE10hipError_tPvRmT2_T3_T4_T5_mT6_T7_P12ihipStream_tbENKUlT_T0_E_clISt17integral_constantIbLb0EESY_IbLb1EEEEDaSU_SV_EUlSU_E_NS1_11comp_targetILNS1_3genE10ELNS1_11target_archE1201ELNS1_3gpuE5ELNS1_3repE0EEENS1_30default_config_static_selectorELNS0_4arch9wavefront6targetE1EEEvT1_,comdat
	.protected	_ZN7rocprim17ROCPRIM_400000_NS6detail17trampoline_kernelINS0_14default_configENS1_27scan_by_key_config_selectorIxxEEZZNS1_16scan_by_key_implILNS1_25lookback_scan_determinismE0ELb0ES3_N6thrust23THRUST_200600_302600_NS6detail15normal_iteratorINS9_10device_ptrIxEEEESE_SE_xNS9_10multipliesIxEENS9_8equal_toIxEExEE10hipError_tPvRmT2_T3_T4_T5_mT6_T7_P12ihipStream_tbENKUlT_T0_E_clISt17integral_constantIbLb0EESY_IbLb1EEEEDaSU_SV_EUlSU_E_NS1_11comp_targetILNS1_3genE10ELNS1_11target_archE1201ELNS1_3gpuE5ELNS1_3repE0EEENS1_30default_config_static_selectorELNS0_4arch9wavefront6targetE1EEEvT1_ ; -- Begin function _ZN7rocprim17ROCPRIM_400000_NS6detail17trampoline_kernelINS0_14default_configENS1_27scan_by_key_config_selectorIxxEEZZNS1_16scan_by_key_implILNS1_25lookback_scan_determinismE0ELb0ES3_N6thrust23THRUST_200600_302600_NS6detail15normal_iteratorINS9_10device_ptrIxEEEESE_SE_xNS9_10multipliesIxEENS9_8equal_toIxEExEE10hipError_tPvRmT2_T3_T4_T5_mT6_T7_P12ihipStream_tbENKUlT_T0_E_clISt17integral_constantIbLb0EESY_IbLb1EEEEDaSU_SV_EUlSU_E_NS1_11comp_targetILNS1_3genE10ELNS1_11target_archE1201ELNS1_3gpuE5ELNS1_3repE0EEENS1_30default_config_static_selectorELNS0_4arch9wavefront6targetE1EEEvT1_
	.globl	_ZN7rocprim17ROCPRIM_400000_NS6detail17trampoline_kernelINS0_14default_configENS1_27scan_by_key_config_selectorIxxEEZZNS1_16scan_by_key_implILNS1_25lookback_scan_determinismE0ELb0ES3_N6thrust23THRUST_200600_302600_NS6detail15normal_iteratorINS9_10device_ptrIxEEEESE_SE_xNS9_10multipliesIxEENS9_8equal_toIxEExEE10hipError_tPvRmT2_T3_T4_T5_mT6_T7_P12ihipStream_tbENKUlT_T0_E_clISt17integral_constantIbLb0EESY_IbLb1EEEEDaSU_SV_EUlSU_E_NS1_11comp_targetILNS1_3genE10ELNS1_11target_archE1201ELNS1_3gpuE5ELNS1_3repE0EEENS1_30default_config_static_selectorELNS0_4arch9wavefront6targetE1EEEvT1_
	.p2align	8
	.type	_ZN7rocprim17ROCPRIM_400000_NS6detail17trampoline_kernelINS0_14default_configENS1_27scan_by_key_config_selectorIxxEEZZNS1_16scan_by_key_implILNS1_25lookback_scan_determinismE0ELb0ES3_N6thrust23THRUST_200600_302600_NS6detail15normal_iteratorINS9_10device_ptrIxEEEESE_SE_xNS9_10multipliesIxEENS9_8equal_toIxEExEE10hipError_tPvRmT2_T3_T4_T5_mT6_T7_P12ihipStream_tbENKUlT_T0_E_clISt17integral_constantIbLb0EESY_IbLb1EEEEDaSU_SV_EUlSU_E_NS1_11comp_targetILNS1_3genE10ELNS1_11target_archE1201ELNS1_3gpuE5ELNS1_3repE0EEENS1_30default_config_static_selectorELNS0_4arch9wavefront6targetE1EEEvT1_,@function
_ZN7rocprim17ROCPRIM_400000_NS6detail17trampoline_kernelINS0_14default_configENS1_27scan_by_key_config_selectorIxxEEZZNS1_16scan_by_key_implILNS1_25lookback_scan_determinismE0ELb0ES3_N6thrust23THRUST_200600_302600_NS6detail15normal_iteratorINS9_10device_ptrIxEEEESE_SE_xNS9_10multipliesIxEENS9_8equal_toIxEExEE10hipError_tPvRmT2_T3_T4_T5_mT6_T7_P12ihipStream_tbENKUlT_T0_E_clISt17integral_constantIbLb0EESY_IbLb1EEEEDaSU_SV_EUlSU_E_NS1_11comp_targetILNS1_3genE10ELNS1_11target_archE1201ELNS1_3gpuE5ELNS1_3repE0EEENS1_30default_config_static_selectorELNS0_4arch9wavefront6targetE1EEEvT1_: ; @_ZN7rocprim17ROCPRIM_400000_NS6detail17trampoline_kernelINS0_14default_configENS1_27scan_by_key_config_selectorIxxEEZZNS1_16scan_by_key_implILNS1_25lookback_scan_determinismE0ELb0ES3_N6thrust23THRUST_200600_302600_NS6detail15normal_iteratorINS9_10device_ptrIxEEEESE_SE_xNS9_10multipliesIxEENS9_8equal_toIxEExEE10hipError_tPvRmT2_T3_T4_T5_mT6_T7_P12ihipStream_tbENKUlT_T0_E_clISt17integral_constantIbLb0EESY_IbLb1EEEEDaSU_SV_EUlSU_E_NS1_11comp_targetILNS1_3genE10ELNS1_11target_archE1201ELNS1_3gpuE5ELNS1_3repE0EEENS1_30default_config_static_selectorELNS0_4arch9wavefront6targetE1EEEvT1_
; %bb.0:
	.section	.rodata,"a",@progbits
	.p2align	6, 0x0
	.amdhsa_kernel _ZN7rocprim17ROCPRIM_400000_NS6detail17trampoline_kernelINS0_14default_configENS1_27scan_by_key_config_selectorIxxEEZZNS1_16scan_by_key_implILNS1_25lookback_scan_determinismE0ELb0ES3_N6thrust23THRUST_200600_302600_NS6detail15normal_iteratorINS9_10device_ptrIxEEEESE_SE_xNS9_10multipliesIxEENS9_8equal_toIxEExEE10hipError_tPvRmT2_T3_T4_T5_mT6_T7_P12ihipStream_tbENKUlT_T0_E_clISt17integral_constantIbLb0EESY_IbLb1EEEEDaSU_SV_EUlSU_E_NS1_11comp_targetILNS1_3genE10ELNS1_11target_archE1201ELNS1_3gpuE5ELNS1_3repE0EEENS1_30default_config_static_selectorELNS0_4arch9wavefront6targetE1EEEvT1_
		.amdhsa_group_segment_fixed_size 0
		.amdhsa_private_segment_fixed_size 0
		.amdhsa_kernarg_size 136
		.amdhsa_user_sgpr_count 2
		.amdhsa_user_sgpr_dispatch_ptr 0
		.amdhsa_user_sgpr_queue_ptr 0
		.amdhsa_user_sgpr_kernarg_segment_ptr 1
		.amdhsa_user_sgpr_dispatch_id 0
		.amdhsa_user_sgpr_kernarg_preload_length 0
		.amdhsa_user_sgpr_kernarg_preload_offset 0
		.amdhsa_user_sgpr_private_segment_size 0
		.amdhsa_uses_dynamic_stack 0
		.amdhsa_enable_private_segment 0
		.amdhsa_system_sgpr_workgroup_id_x 1
		.amdhsa_system_sgpr_workgroup_id_y 0
		.amdhsa_system_sgpr_workgroup_id_z 0
		.amdhsa_system_sgpr_workgroup_info 0
		.amdhsa_system_vgpr_workitem_id 0
		.amdhsa_next_free_vgpr 1
		.amdhsa_next_free_sgpr 0
		.amdhsa_accum_offset 4
		.amdhsa_reserve_vcc 0
		.amdhsa_float_round_mode_32 0
		.amdhsa_float_round_mode_16_64 0
		.amdhsa_float_denorm_mode_32 3
		.amdhsa_float_denorm_mode_16_64 3
		.amdhsa_dx10_clamp 1
		.amdhsa_ieee_mode 1
		.amdhsa_fp16_overflow 0
		.amdhsa_tg_split 0
		.amdhsa_exception_fp_ieee_invalid_op 0
		.amdhsa_exception_fp_denorm_src 0
		.amdhsa_exception_fp_ieee_div_zero 0
		.amdhsa_exception_fp_ieee_overflow 0
		.amdhsa_exception_fp_ieee_underflow 0
		.amdhsa_exception_fp_ieee_inexact 0
		.amdhsa_exception_int_div_zero 0
	.end_amdhsa_kernel
	.section	.text._ZN7rocprim17ROCPRIM_400000_NS6detail17trampoline_kernelINS0_14default_configENS1_27scan_by_key_config_selectorIxxEEZZNS1_16scan_by_key_implILNS1_25lookback_scan_determinismE0ELb0ES3_N6thrust23THRUST_200600_302600_NS6detail15normal_iteratorINS9_10device_ptrIxEEEESE_SE_xNS9_10multipliesIxEENS9_8equal_toIxEExEE10hipError_tPvRmT2_T3_T4_T5_mT6_T7_P12ihipStream_tbENKUlT_T0_E_clISt17integral_constantIbLb0EESY_IbLb1EEEEDaSU_SV_EUlSU_E_NS1_11comp_targetILNS1_3genE10ELNS1_11target_archE1201ELNS1_3gpuE5ELNS1_3repE0EEENS1_30default_config_static_selectorELNS0_4arch9wavefront6targetE1EEEvT1_,"axG",@progbits,_ZN7rocprim17ROCPRIM_400000_NS6detail17trampoline_kernelINS0_14default_configENS1_27scan_by_key_config_selectorIxxEEZZNS1_16scan_by_key_implILNS1_25lookback_scan_determinismE0ELb0ES3_N6thrust23THRUST_200600_302600_NS6detail15normal_iteratorINS9_10device_ptrIxEEEESE_SE_xNS9_10multipliesIxEENS9_8equal_toIxEExEE10hipError_tPvRmT2_T3_T4_T5_mT6_T7_P12ihipStream_tbENKUlT_T0_E_clISt17integral_constantIbLb0EESY_IbLb1EEEEDaSU_SV_EUlSU_E_NS1_11comp_targetILNS1_3genE10ELNS1_11target_archE1201ELNS1_3gpuE5ELNS1_3repE0EEENS1_30default_config_static_selectorELNS0_4arch9wavefront6targetE1EEEvT1_,comdat
.Lfunc_end75:
	.size	_ZN7rocprim17ROCPRIM_400000_NS6detail17trampoline_kernelINS0_14default_configENS1_27scan_by_key_config_selectorIxxEEZZNS1_16scan_by_key_implILNS1_25lookback_scan_determinismE0ELb0ES3_N6thrust23THRUST_200600_302600_NS6detail15normal_iteratorINS9_10device_ptrIxEEEESE_SE_xNS9_10multipliesIxEENS9_8equal_toIxEExEE10hipError_tPvRmT2_T3_T4_T5_mT6_T7_P12ihipStream_tbENKUlT_T0_E_clISt17integral_constantIbLb0EESY_IbLb1EEEEDaSU_SV_EUlSU_E_NS1_11comp_targetILNS1_3genE10ELNS1_11target_archE1201ELNS1_3gpuE5ELNS1_3repE0EEENS1_30default_config_static_selectorELNS0_4arch9wavefront6targetE1EEEvT1_, .Lfunc_end75-_ZN7rocprim17ROCPRIM_400000_NS6detail17trampoline_kernelINS0_14default_configENS1_27scan_by_key_config_selectorIxxEEZZNS1_16scan_by_key_implILNS1_25lookback_scan_determinismE0ELb0ES3_N6thrust23THRUST_200600_302600_NS6detail15normal_iteratorINS9_10device_ptrIxEEEESE_SE_xNS9_10multipliesIxEENS9_8equal_toIxEExEE10hipError_tPvRmT2_T3_T4_T5_mT6_T7_P12ihipStream_tbENKUlT_T0_E_clISt17integral_constantIbLb0EESY_IbLb1EEEEDaSU_SV_EUlSU_E_NS1_11comp_targetILNS1_3genE10ELNS1_11target_archE1201ELNS1_3gpuE5ELNS1_3repE0EEENS1_30default_config_static_selectorELNS0_4arch9wavefront6targetE1EEEvT1_
                                        ; -- End function
	.section	.AMDGPU.csdata,"",@progbits
; Kernel info:
; codeLenInByte = 0
; NumSgprs: 6
; NumVgprs: 0
; NumAgprs: 0
; TotalNumVgprs: 0
; ScratchSize: 0
; MemoryBound: 0
; FloatMode: 240
; IeeeMode: 1
; LDSByteSize: 0 bytes/workgroup (compile time only)
; SGPRBlocks: 0
; VGPRBlocks: 0
; NumSGPRsForWavesPerEU: 6
; NumVGPRsForWavesPerEU: 1
; AccumOffset: 4
; Occupancy: 8
; WaveLimiterHint : 0
; COMPUTE_PGM_RSRC2:SCRATCH_EN: 0
; COMPUTE_PGM_RSRC2:USER_SGPR: 2
; COMPUTE_PGM_RSRC2:TRAP_HANDLER: 0
; COMPUTE_PGM_RSRC2:TGID_X_EN: 1
; COMPUTE_PGM_RSRC2:TGID_Y_EN: 0
; COMPUTE_PGM_RSRC2:TGID_Z_EN: 0
; COMPUTE_PGM_RSRC2:TIDIG_COMP_CNT: 0
; COMPUTE_PGM_RSRC3_GFX90A:ACCUM_OFFSET: 0
; COMPUTE_PGM_RSRC3_GFX90A:TG_SPLIT: 0
	.section	.text._ZN7rocprim17ROCPRIM_400000_NS6detail17trampoline_kernelINS0_14default_configENS1_27scan_by_key_config_selectorIxxEEZZNS1_16scan_by_key_implILNS1_25lookback_scan_determinismE0ELb0ES3_N6thrust23THRUST_200600_302600_NS6detail15normal_iteratorINS9_10device_ptrIxEEEESE_SE_xNS9_10multipliesIxEENS9_8equal_toIxEExEE10hipError_tPvRmT2_T3_T4_T5_mT6_T7_P12ihipStream_tbENKUlT_T0_E_clISt17integral_constantIbLb0EESY_IbLb1EEEEDaSU_SV_EUlSU_E_NS1_11comp_targetILNS1_3genE5ELNS1_11target_archE942ELNS1_3gpuE9ELNS1_3repE0EEENS1_30default_config_static_selectorELNS0_4arch9wavefront6targetE1EEEvT1_,"axG",@progbits,_ZN7rocprim17ROCPRIM_400000_NS6detail17trampoline_kernelINS0_14default_configENS1_27scan_by_key_config_selectorIxxEEZZNS1_16scan_by_key_implILNS1_25lookback_scan_determinismE0ELb0ES3_N6thrust23THRUST_200600_302600_NS6detail15normal_iteratorINS9_10device_ptrIxEEEESE_SE_xNS9_10multipliesIxEENS9_8equal_toIxEExEE10hipError_tPvRmT2_T3_T4_T5_mT6_T7_P12ihipStream_tbENKUlT_T0_E_clISt17integral_constantIbLb0EESY_IbLb1EEEEDaSU_SV_EUlSU_E_NS1_11comp_targetILNS1_3genE5ELNS1_11target_archE942ELNS1_3gpuE9ELNS1_3repE0EEENS1_30default_config_static_selectorELNS0_4arch9wavefront6targetE1EEEvT1_,comdat
	.protected	_ZN7rocprim17ROCPRIM_400000_NS6detail17trampoline_kernelINS0_14default_configENS1_27scan_by_key_config_selectorIxxEEZZNS1_16scan_by_key_implILNS1_25lookback_scan_determinismE0ELb0ES3_N6thrust23THRUST_200600_302600_NS6detail15normal_iteratorINS9_10device_ptrIxEEEESE_SE_xNS9_10multipliesIxEENS9_8equal_toIxEExEE10hipError_tPvRmT2_T3_T4_T5_mT6_T7_P12ihipStream_tbENKUlT_T0_E_clISt17integral_constantIbLb0EESY_IbLb1EEEEDaSU_SV_EUlSU_E_NS1_11comp_targetILNS1_3genE5ELNS1_11target_archE942ELNS1_3gpuE9ELNS1_3repE0EEENS1_30default_config_static_selectorELNS0_4arch9wavefront6targetE1EEEvT1_ ; -- Begin function _ZN7rocprim17ROCPRIM_400000_NS6detail17trampoline_kernelINS0_14default_configENS1_27scan_by_key_config_selectorIxxEEZZNS1_16scan_by_key_implILNS1_25lookback_scan_determinismE0ELb0ES3_N6thrust23THRUST_200600_302600_NS6detail15normal_iteratorINS9_10device_ptrIxEEEESE_SE_xNS9_10multipliesIxEENS9_8equal_toIxEExEE10hipError_tPvRmT2_T3_T4_T5_mT6_T7_P12ihipStream_tbENKUlT_T0_E_clISt17integral_constantIbLb0EESY_IbLb1EEEEDaSU_SV_EUlSU_E_NS1_11comp_targetILNS1_3genE5ELNS1_11target_archE942ELNS1_3gpuE9ELNS1_3repE0EEENS1_30default_config_static_selectorELNS0_4arch9wavefront6targetE1EEEvT1_
	.globl	_ZN7rocprim17ROCPRIM_400000_NS6detail17trampoline_kernelINS0_14default_configENS1_27scan_by_key_config_selectorIxxEEZZNS1_16scan_by_key_implILNS1_25lookback_scan_determinismE0ELb0ES3_N6thrust23THRUST_200600_302600_NS6detail15normal_iteratorINS9_10device_ptrIxEEEESE_SE_xNS9_10multipliesIxEENS9_8equal_toIxEExEE10hipError_tPvRmT2_T3_T4_T5_mT6_T7_P12ihipStream_tbENKUlT_T0_E_clISt17integral_constantIbLb0EESY_IbLb1EEEEDaSU_SV_EUlSU_E_NS1_11comp_targetILNS1_3genE5ELNS1_11target_archE942ELNS1_3gpuE9ELNS1_3repE0EEENS1_30default_config_static_selectorELNS0_4arch9wavefront6targetE1EEEvT1_
	.p2align	8
	.type	_ZN7rocprim17ROCPRIM_400000_NS6detail17trampoline_kernelINS0_14default_configENS1_27scan_by_key_config_selectorIxxEEZZNS1_16scan_by_key_implILNS1_25lookback_scan_determinismE0ELb0ES3_N6thrust23THRUST_200600_302600_NS6detail15normal_iteratorINS9_10device_ptrIxEEEESE_SE_xNS9_10multipliesIxEENS9_8equal_toIxEExEE10hipError_tPvRmT2_T3_T4_T5_mT6_T7_P12ihipStream_tbENKUlT_T0_E_clISt17integral_constantIbLb0EESY_IbLb1EEEEDaSU_SV_EUlSU_E_NS1_11comp_targetILNS1_3genE5ELNS1_11target_archE942ELNS1_3gpuE9ELNS1_3repE0EEENS1_30default_config_static_selectorELNS0_4arch9wavefront6targetE1EEEvT1_,@function
_ZN7rocprim17ROCPRIM_400000_NS6detail17trampoline_kernelINS0_14default_configENS1_27scan_by_key_config_selectorIxxEEZZNS1_16scan_by_key_implILNS1_25lookback_scan_determinismE0ELb0ES3_N6thrust23THRUST_200600_302600_NS6detail15normal_iteratorINS9_10device_ptrIxEEEESE_SE_xNS9_10multipliesIxEENS9_8equal_toIxEExEE10hipError_tPvRmT2_T3_T4_T5_mT6_T7_P12ihipStream_tbENKUlT_T0_E_clISt17integral_constantIbLb0EESY_IbLb1EEEEDaSU_SV_EUlSU_E_NS1_11comp_targetILNS1_3genE5ELNS1_11target_archE942ELNS1_3gpuE9ELNS1_3repE0EEENS1_30default_config_static_selectorELNS0_4arch9wavefront6targetE1EEEvT1_: ; @_ZN7rocprim17ROCPRIM_400000_NS6detail17trampoline_kernelINS0_14default_configENS1_27scan_by_key_config_selectorIxxEEZZNS1_16scan_by_key_implILNS1_25lookback_scan_determinismE0ELb0ES3_N6thrust23THRUST_200600_302600_NS6detail15normal_iteratorINS9_10device_ptrIxEEEESE_SE_xNS9_10multipliesIxEENS9_8equal_toIxEExEE10hipError_tPvRmT2_T3_T4_T5_mT6_T7_P12ihipStream_tbENKUlT_T0_E_clISt17integral_constantIbLb0EESY_IbLb1EEEEDaSU_SV_EUlSU_E_NS1_11comp_targetILNS1_3genE5ELNS1_11target_archE942ELNS1_3gpuE9ELNS1_3repE0EEENS1_30default_config_static_selectorELNS0_4arch9wavefront6targetE1EEEvT1_
; %bb.0:
	s_load_dwordx8 s[40:47], s[0:1], 0x30
	s_load_dwordx2 s[64:65], s[0:1], 0x50
	v_cmp_ne_u32_e64 s[4:5], 0, v0
	v_cmp_eq_u32_e64 s[36:37], 0, v0
	s_and_saveexec_b64 s[2:3], s[36:37]
	s_cbranch_execz .LBB76_4
; %bb.1:
	s_mov_b64 s[8:9], exec
	v_mbcnt_lo_u32_b32 v1, s8, 0
	v_mbcnt_hi_u32_b32 v1, s9, v1
	v_cmp_eq_u32_e32 vcc, 0, v1
                                        ; implicit-def: $vgpr2
	s_and_saveexec_b64 s[6:7], vcc
	s_cbranch_execz .LBB76_3
; %bb.2:
	s_load_dwordx2 s[10:11], s[0:1], 0x80
	s_bcnt1_i32_b64 s8, s[8:9]
	v_mov_b32_e32 v2, 0
	v_mov_b32_e32 v3, s8
	s_waitcnt lgkmcnt(0)
	global_atomic_add v2, v2, v3, s[10:11] sc0
.LBB76_3:
	s_or_b64 exec, exec, s[6:7]
	s_waitcnt vmcnt(0)
	v_readfirstlane_b32 s6, v2
	v_mov_b32_e32 v2, 0
	s_nop 0
	v_add_u32_e32 v1, s6, v1
	ds_write_b32 v2, v1
.LBB76_4:
	s_or_b64 exec, exec, s[2:3]
	s_load_dwordx8 s[48:55], s[0:1], 0x0
	s_load_dword s2, s[0:1], 0x58
	s_load_dwordx8 s[56:63], s[0:1], 0x60
	v_mov_b32_e32 v1, 0
	s_waitcnt lgkmcnt(0)
	s_barrier
	ds_read_b32 v1, v1
	s_lshl_b64 s[38:39], s[50:51], 3
	s_add_u32 s3, s48, s38
	s_addc_u32 s6, s49, s39
	s_add_u32 s7, s52, s38
	s_mul_i32 s0, s65, s2
	s_mul_hi_u32 s1, s64, s2
	s_addc_u32 s8, s53, s39
	s_add_i32 s9, s1, s0
	s_waitcnt lgkmcnt(0)
	v_readfirstlane_b32 s47, v1
	s_cmp_lg_u64 s[60:61], 0
	s_mov_b32 s1, 0
	s_mul_i32 s0, s47, 0xe00
	s_cselect_b64 s[60:61], -1, 0
	s_lshl_b64 s[48:49], s[0:1], 3
	s_add_u32 s52, s3, s48
	s_addc_u32 s53, s6, s49
	s_add_u32 s50, s7, s48
	s_mul_i32 s2, s64, s2
	s_addc_u32 s51, s8, s49
	s_add_u32 s66, s2, s47
	s_addc_u32 s67, s9, 0
	s_add_u32 s0, s56, -1
	s_addc_u32 s1, s57, -1
	v_mov_b64_e32 v[2:3], s[0:1]
	v_cmp_ge_u64_e64 s[2:3], s[66:67], v[2:3]
	s_mov_b64 s[10:11], 0
	s_mov_b64 s[6:7], -1
	s_and_b64 vcc, exec, s[2:3]
	s_mul_i32 s33, s0, 0xfffff200
	s_barrier
	s_barrier
	s_cbranch_vccz .LBB76_81
; %bb.5:
	v_mov_b64_e32 v[2:3], s[52:53]
	flat_load_dwordx2 v[28:29], v[2:3]
	s_add_i32 s69, s33, s46
	v_cmp_gt_u32_e64 s[6:7], s69, v0
	s_waitcnt vmcnt(0) lgkmcnt(0)
	v_mov_b64_e32 v[30:31], v[28:29]
	s_and_saveexec_b64 s[0:1], s[6:7]
	s_cbranch_execz .LBB76_7
; %bb.6:
	v_lshlrev_b32_e32 v2, 3, v0
	v_mov_b32_e32 v3, 0
	v_lshl_add_u64 v[2:3], s[52:53], 0, v[2:3]
	flat_load_dwordx2 v[30:31], v[2:3]
.LBB76_7:
	s_or_b64 exec, exec, s[0:1]
	v_or_b32_e32 v1, 0x100, v0
	v_cmp_gt_u32_e64 s[8:9], s69, v1
	v_mov_b64_e32 v[32:33], v[28:29]
	s_and_saveexec_b64 s[0:1], s[8:9]
	s_cbranch_execz .LBB76_9
; %bb.8:
	v_lshlrev_b32_e32 v2, 3, v0
	v_mov_b32_e32 v3, 0
	v_lshl_add_u64 v[2:3], s[52:53], 0, v[2:3]
	flat_load_dwordx2 v[32:33], v[2:3] offset:2048
.LBB76_9:
	s_or_b64 exec, exec, s[0:1]
	v_or_b32_e32 v1, 0x200, v0
	v_cmp_gt_u32_e64 s[10:11], s69, v1
	v_lshlrev_b32_e32 v2, 3, v1
	v_mov_b64_e32 v[34:35], v[28:29]
	s_and_saveexec_b64 s[0:1], s[10:11]
	s_cbranch_execz .LBB76_11
; %bb.10:
	v_mov_b32_e32 v3, 0
	v_lshl_add_u64 v[4:5], s[52:53], 0, v[2:3]
	flat_load_dwordx2 v[34:35], v[4:5]
.LBB76_11:
	s_or_b64 exec, exec, s[0:1]
	v_or_b32_e32 v1, 0x300, v0
	v_cmp_gt_u32_e64 s[12:13], s69, v1
	v_lshlrev_b32_e32 v4, 3, v1
	v_mov_b64_e32 v[36:37], v[28:29]
	s_and_saveexec_b64 s[0:1], s[12:13]
	s_cbranch_execz .LBB76_13
; %bb.12:
	v_mov_b32_e32 v5, 0
	v_lshl_add_u64 v[6:7], s[52:53], 0, v[4:5]
	flat_load_dwordx2 v[36:37], v[6:7]
.LBB76_13:
	;; [unrolled: 12-line block ×11, first 2 shown]
	s_or_b64 exec, exec, s[0:1]
	v_or_b32_e32 v1, 0xd00, v0
	v_cmp_gt_u32_e64 s[34:35], s69, v1
	v_lshlrev_b32_e32 v24, 3, v1
	s_and_saveexec_b64 s[0:1], s[34:35]
	s_cbranch_execz .LBB76_33
; %bb.32:
	v_mov_b32_e32 v25, 0
	v_lshl_add_u64 v[26:27], s[52:53], 0, v[24:25]
	flat_load_dwordx2 v[28:29], v[26:27]
.LBB76_33:
	s_or_b64 exec, exec, s[0:1]
	v_lshlrev_b32_e32 v26, 3, v0
	s_movk_i32 s0, 0x68
	s_waitcnt vmcnt(0) lgkmcnt(0)
	ds_write2st64_b64 v26, v[30:31], v[32:33] offset1:4
	ds_write2st64_b64 v26, v[34:35], v[36:37] offset0:8 offset1:12
	ds_write2st64_b64 v26, v[38:39], v[40:41] offset0:16 offset1:20
	;; [unrolled: 1-line block ×6, first 2 shown]
	v_mad_u32_u24 v36, v0, s0, v26
	s_waitcnt lgkmcnt(0)
	s_barrier
	ds_read_b128 v[74:77], v36
	ds_read_b128 v[70:73], v36 offset:16
	ds_read_b128 v[66:69], v36 offset:32
	;; [unrolled: 1-line block ×6, first 2 shown]
	s_cmp_eq_u64 s[66:67], 0
	s_mov_b64 s[0:1], s[52:53]
	s_cbranch_scc1 .LBB76_37
; %bb.34:
	s_andn2_b64 vcc, exec, s[60:61]
	s_cbranch_vccnz .LBB76_237
; %bb.35:
	s_lshl_b64 s[0:1], s[66:67], 3
	s_add_u32 s0, s62, s0
	s_addc_u32 s1, s63, s1
	s_add_u32 s0, s0, -8
	s_addc_u32 s1, s1, -1
	s_cbranch_execnz .LBB76_37
.LBB76_36:
	s_add_u32 s0, s52, -8
	s_addc_u32 s1, s53, -1
.LBB76_37:
	v_mov_b64_e32 v[28:29], s[0:1]
	flat_load_dwordx2 v[28:29], v[28:29]
	s_movk_i32 s0, 0xff98
	v_mad_i32_i24 v1, v0, s0, v36
	s_waitcnt lgkmcnt(0)
	ds_write_b64 v1, v[60:61] offset:28672
	s_waitcnt lgkmcnt(0)
	s_barrier
	s_and_saveexec_b64 s[0:1], s[4:5]
	s_cbranch_execz .LBB76_39
; %bb.38:
	v_mul_i32_i24_e32 v1, 0xffffff98, v0
	v_add_u32_e32 v1, v36, v1
	s_waitcnt vmcnt(0)
	ds_read_b64 v[28:29], v1 offset:28664
.LBB76_39:
	s_or_b64 exec, exec, s[0:1]
	v_mov_b32_e32 v27, 0
	s_waitcnt lgkmcnt(0)
	s_barrier
	s_waitcnt lgkmcnt(0)
                                        ; implicit-def: $vgpr30_vgpr31
	s_and_saveexec_b64 s[0:1], s[6:7]
	s_cbranch_execnz .LBB76_224
; %bb.40:
	s_or_b64 exec, exec, s[0:1]
                                        ; implicit-def: $vgpr32_vgpr33
	s_and_saveexec_b64 s[0:1], s[8:9]
	s_cbranch_execnz .LBB76_225
.LBB76_41:
	s_or_b64 exec, exec, s[0:1]
                                        ; implicit-def: $vgpr34_vgpr35
	s_and_saveexec_b64 s[0:1], s[10:11]
	s_cbranch_execnz .LBB76_226
.LBB76_42:
	s_or_b64 exec, exec, s[0:1]
                                        ; implicit-def: $vgpr2_vgpr3
	s_and_saveexec_b64 s[0:1], s[12:13]
	s_cbranch_execnz .LBB76_227
.LBB76_43:
	s_or_b64 exec, exec, s[0:1]
                                        ; implicit-def: $vgpr4_vgpr5
	s_and_saveexec_b64 s[0:1], s[14:15]
	s_cbranch_execnz .LBB76_228
.LBB76_44:
	s_or_b64 exec, exec, s[0:1]
                                        ; implicit-def: $vgpr6_vgpr7
	s_and_saveexec_b64 s[0:1], s[16:17]
	s_cbranch_execnz .LBB76_229
.LBB76_45:
	s_or_b64 exec, exec, s[0:1]
                                        ; implicit-def: $vgpr8_vgpr9
	s_and_saveexec_b64 s[0:1], s[18:19]
	s_cbranch_execnz .LBB76_230
.LBB76_46:
	s_or_b64 exec, exec, s[0:1]
                                        ; implicit-def: $vgpr10_vgpr11
	s_and_saveexec_b64 s[0:1], s[20:21]
	s_cbranch_execnz .LBB76_231
.LBB76_47:
	s_or_b64 exec, exec, s[0:1]
                                        ; implicit-def: $vgpr12_vgpr13
	s_and_saveexec_b64 s[0:1], s[22:23]
	s_cbranch_execnz .LBB76_232
.LBB76_48:
	s_or_b64 exec, exec, s[0:1]
                                        ; implicit-def: $vgpr14_vgpr15
	s_and_saveexec_b64 s[0:1], s[24:25]
	s_cbranch_execnz .LBB76_233
.LBB76_49:
	s_or_b64 exec, exec, s[0:1]
                                        ; implicit-def: $vgpr16_vgpr17
	s_and_saveexec_b64 s[0:1], s[26:27]
	s_cbranch_execnz .LBB76_234
.LBB76_50:
	s_or_b64 exec, exec, s[0:1]
                                        ; implicit-def: $vgpr18_vgpr19
	s_and_saveexec_b64 s[0:1], s[28:29]
	s_cbranch_execnz .LBB76_235
.LBB76_51:
	s_or_b64 exec, exec, s[0:1]
                                        ; implicit-def: $vgpr20_vgpr21
	s_and_saveexec_b64 s[0:1], s[30:31]
	s_cbranch_execnz .LBB76_236
.LBB76_52:
	s_or_b64 exec, exec, s[0:1]
                                        ; implicit-def: $vgpr22_vgpr23
	s_and_saveexec_b64 s[0:1], s[34:35]
	s_cbranch_execz .LBB76_54
.LBB76_53:
	v_mov_b32_e32 v25, 0
	v_lshl_add_u64 v[22:23], s[50:51], 0, v[24:25]
	flat_load_dwordx2 v[22:23], v[22:23]
.LBB76_54:
	s_or_b64 exec, exec, s[0:1]
	v_mul_u32_u24_e32 v37, 14, v0
	v_mov_b64_e32 v[78:79], 0
	s_waitcnt vmcnt(0) lgkmcnt(0)
	ds_write2st64_b64 v26, v[30:31], v[32:33] offset1:4
	ds_write2st64_b64 v26, v[34:35], v[2:3] offset0:8 offset1:12
	ds_write2st64_b64 v26, v[4:5], v[6:7] offset0:16 offset1:20
	;; [unrolled: 1-line block ×6, first 2 shown]
	v_cmp_gt_u32_e32 vcc, s69, v37
	s_mov_b64 s[10:11], 0
	s_mov_b64 s[6:7], 0
	s_mov_b32 s68, 0
	v_mov_b32_e32 v80, 0
	v_mov_b32_e32 v91, 0
	v_mov_b64_e32 v[46:47], v[78:79]
	v_mov_b32_e32 v90, 0
	v_mov_b64_e32 v[34:35], v[78:79]
	;; [unrolled: 2-line block ×12, first 2 shown]
	s_waitcnt lgkmcnt(0)
	s_barrier
	s_waitcnt lgkmcnt(0)
                                        ; implicit-def: $sgpr0_sgpr1
                                        ; implicit-def: $vgpr52_vgpr53
	s_and_saveexec_b64 s[8:9], vcc
	s_cbranch_execz .LBB76_80
; %bb.55:
	ds_read_b64 v[2:3], v36
	v_cmp_ne_u64_e32 vcc, v[28:29], v[74:75]
	v_or_b32_e32 v4, 1, v37
	v_mov_b64_e32 v[78:79], 0
	v_cndmask_b32_e64 v1, 0, 1, vcc
	v_cmp_gt_u32_e32 vcc, s69, v4
	s_mov_b64 s[12:13], 0
	s_mov_b64 s[0:1], 0
	v_mov_b32_e32 v80, 0
	v_mov_b32_e32 v91, 0
	v_mov_b64_e32 v[46:47], v[78:79]
	v_mov_b32_e32 v90, 0
	v_mov_b64_e32 v[34:35], v[78:79]
	;; [unrolled: 2-line block ×11, first 2 shown]
                                        ; implicit-def: $sgpr14_sgpr15
                                        ; implicit-def: $vgpr52_vgpr53
	s_and_saveexec_b64 s[10:11], vcc
	s_cbranch_execz .LBB76_79
; %bb.56:
	ds_read2_b64 v[14:17], v36 offset0:1 offset1:2
	v_cmp_ne_u64_e32 vcc, v[74:75], v[76:77]
	v_add_u32_e32 v4, 2, v37
	v_mov_b64_e32 v[78:79], 0
	v_cndmask_b32_e64 v82, 0, 1, vcc
	v_cmp_gt_u32_e32 vcc, s69, v4
	s_mov_b64 s[16:17], 0
	v_mov_b32_e32 v80, 0
	v_mov_b32_e32 v91, 0
	v_mov_b64_e32 v[46:47], v[78:79]
	v_mov_b32_e32 v90, 0
	v_mov_b64_e32 v[34:35], v[78:79]
	v_mov_b32_e32 v89, 0
	v_mov_b64_e32 v[42:43], v[78:79]
	v_mov_b32_e32 v88, 0
	v_mov_b64_e32 v[26:27], v[78:79]
	v_mov_b32_e32 v87, 0
	v_mov_b64_e32 v[38:39], v[78:79]
	v_mov_b32_e32 v86, 0
	v_mov_b64_e32 v[18:19], v[78:79]
	v_mov_b32_e32 v85, 0
	v_mov_b64_e32 v[30:31], v[78:79]
	v_mov_b32_e32 v84, 0
	v_mov_b64_e32 v[10:11], v[78:79]
	v_mov_b32_e32 v83, 0
	v_mov_b64_e32 v[22:23], v[78:79]
	v_mov_b32_e32 v81, 0
	v_mov_b64_e32 v[6:7], v[78:79]
                                        ; implicit-def: $sgpr14_sgpr15
                                        ; implicit-def: $vgpr52_vgpr53
	s_and_saveexec_b64 s[12:13], vcc
	s_cbranch_execz .LBB76_78
; %bb.57:
	v_cmp_ne_u64_e32 vcc, v[76:77], v[70:71]
	v_add_u32_e32 v4, 3, v37
	v_mov_b64_e32 v[78:79], 0
	s_waitcnt lgkmcnt(0)
	v_mov_b32_e32 v6, v16
	v_mov_b32_e32 v7, v17
	v_cndmask_b32_e64 v81, 0, 1, vcc
	v_cmp_gt_u32_e32 vcc, s69, v4
	v_mov_b32_e32 v80, 0
	v_mov_b32_e32 v91, 0
	v_mov_b64_e32 v[46:47], v[78:79]
	v_mov_b32_e32 v90, 0
	v_mov_b64_e32 v[34:35], v[78:79]
	;; [unrolled: 2-line block ×9, first 2 shown]
                                        ; implicit-def: $sgpr18_sgpr19
                                        ; implicit-def: $vgpr52_vgpr53
	s_and_saveexec_b64 s[14:15], vcc
	s_cbranch_execz .LBB76_77
; %bb.58:
	ds_read2_b64 v[22:25], v36 offset0:3 offset1:4
	v_cmp_ne_u64_e32 vcc, v[70:71], v[72:73]
	v_add_u32_e32 v4, 4, v37
	v_mov_b64_e32 v[78:79], 0
	v_cndmask_b32_e64 v83, 0, 1, vcc
	v_cmp_gt_u32_e32 vcc, s69, v4
	s_mov_b64 s[20:21], 0
	v_mov_b32_e32 v80, 0
	v_mov_b32_e32 v91, 0
	v_mov_b64_e32 v[46:47], v[78:79]
	v_mov_b32_e32 v90, 0
	v_mov_b64_e32 v[34:35], v[78:79]
	;; [unrolled: 2-line block ×8, first 2 shown]
                                        ; implicit-def: $sgpr18_sgpr19
                                        ; implicit-def: $vgpr52_vgpr53
	s_and_saveexec_b64 s[16:17], vcc
	s_cbranch_execz .LBB76_76
; %bb.59:
	v_cmp_ne_u64_e32 vcc, v[72:73], v[66:67]
	v_add_u32_e32 v4, 5, v37
	v_mov_b64_e32 v[78:79], 0
	s_waitcnt lgkmcnt(0)
	v_mov_b32_e32 v10, v24
	v_mov_b32_e32 v11, v25
	v_cndmask_b32_e64 v84, 0, 1, vcc
	v_cmp_gt_u32_e32 vcc, s69, v4
	v_mov_b32_e32 v80, 0
	v_mov_b32_e32 v91, 0
	v_mov_b64_e32 v[46:47], v[78:79]
	v_mov_b32_e32 v90, 0
	v_mov_b64_e32 v[34:35], v[78:79]
	;; [unrolled: 2-line block ×7, first 2 shown]
                                        ; implicit-def: $sgpr22_sgpr23
                                        ; implicit-def: $vgpr52_vgpr53
	s_and_saveexec_b64 s[18:19], vcc
	s_cbranch_execz .LBB76_75
; %bb.60:
	ds_read2_b64 v[30:33], v36 offset0:5 offset1:6
	v_cmp_ne_u64_e32 vcc, v[66:67], v[68:69]
	v_add_u32_e32 v4, 6, v37
	v_mov_b64_e32 v[78:79], 0
	v_cndmask_b32_e64 v85, 0, 1, vcc
	v_cmp_gt_u32_e32 vcc, s69, v4
	s_mov_b64 s[24:25], 0
	v_mov_b32_e32 v80, 0
	v_mov_b32_e32 v91, 0
	v_mov_b64_e32 v[46:47], v[78:79]
	v_mov_b32_e32 v90, 0
	v_mov_b64_e32 v[34:35], v[78:79]
	;; [unrolled: 2-line block ×6, first 2 shown]
                                        ; implicit-def: $sgpr22_sgpr23
                                        ; implicit-def: $vgpr52_vgpr53
	s_and_saveexec_b64 s[20:21], vcc
	s_cbranch_execz .LBB76_74
; %bb.61:
	v_cmp_ne_u64_e32 vcc, v[68:69], v[62:63]
	v_add_u32_e32 v4, 7, v37
	v_mov_b64_e32 v[78:79], 0
	s_waitcnt lgkmcnt(0)
	v_mov_b32_e32 v18, v32
	v_mov_b32_e32 v19, v33
	v_cndmask_b32_e64 v86, 0, 1, vcc
	v_cmp_gt_u32_e32 vcc, s69, v4
	v_mov_b32_e32 v80, 0
	v_mov_b32_e32 v91, 0
	v_mov_b64_e32 v[46:47], v[78:79]
	v_mov_b32_e32 v90, 0
	v_mov_b64_e32 v[34:35], v[78:79]
	;; [unrolled: 2-line block ×5, first 2 shown]
                                        ; implicit-def: $sgpr26_sgpr27
                                        ; implicit-def: $vgpr52_vgpr53
	s_and_saveexec_b64 s[22:23], vcc
	s_cbranch_execz .LBB76_73
; %bb.62:
	ds_read2_b64 v[38:41], v36 offset0:7 offset1:8
	v_cmp_ne_u64_e32 vcc, v[62:63], v[64:65]
	v_add_u32_e32 v4, 8, v37
	v_mov_b64_e32 v[78:79], 0
	v_cndmask_b32_e64 v87, 0, 1, vcc
	v_cmp_gt_u32_e32 vcc, s69, v4
	s_mov_b64 s[28:29], 0
	v_mov_b32_e32 v80, 0
	v_mov_b32_e32 v91, 0
	v_mov_b64_e32 v[46:47], v[78:79]
	v_mov_b32_e32 v90, 0
	v_mov_b64_e32 v[34:35], v[78:79]
	v_mov_b32_e32 v89, 0
	v_mov_b64_e32 v[42:43], v[78:79]
	v_mov_b32_e32 v88, 0
	v_mov_b64_e32 v[26:27], v[78:79]
                                        ; implicit-def: $sgpr26_sgpr27
                                        ; implicit-def: $vgpr52_vgpr53
	s_and_saveexec_b64 s[24:25], vcc
	s_cbranch_execz .LBB76_72
; %bb.63:
	v_cmp_ne_u64_e32 vcc, v[64:65], v[48:49]
	v_add_u32_e32 v4, 9, v37
	v_mov_b64_e32 v[78:79], 0
	s_waitcnt lgkmcnt(0)
	v_mov_b32_e32 v26, v40
	v_mov_b32_e32 v27, v41
	v_cndmask_b32_e64 v88, 0, 1, vcc
	v_cmp_gt_u32_e32 vcc, s69, v4
	v_mov_b32_e32 v80, 0
	v_mov_b32_e32 v91, 0
	v_mov_b64_e32 v[46:47], v[78:79]
	v_mov_b32_e32 v90, 0
	v_mov_b64_e32 v[34:35], v[78:79]
	;; [unrolled: 2-line block ×3, first 2 shown]
                                        ; implicit-def: $sgpr30_sgpr31
                                        ; implicit-def: $vgpr52_vgpr53
	s_and_saveexec_b64 s[26:27], vcc
	s_cbranch_execz .LBB76_71
; %bb.64:
	ds_read2_b64 v[42:45], v36 offset0:9 offset1:10
	v_cmp_ne_u64_e32 vcc, v[48:49], v[50:51]
	v_add_u32_e32 v4, 10, v37
	v_mov_b64_e32 v[78:79], 0
	v_cndmask_b32_e64 v89, 0, 1, vcc
	v_cmp_gt_u32_e32 vcc, s69, v4
	s_mov_b64 s[34:35], 0
	v_mov_b32_e32 v80, 0
	v_mov_b32_e32 v91, 0
	v_mov_b64_e32 v[46:47], v[78:79]
	v_mov_b32_e32 v90, 0
	v_mov_b64_e32 v[34:35], v[78:79]
                                        ; implicit-def: $sgpr30_sgpr31
                                        ; implicit-def: $vgpr52_vgpr53
	s_and_saveexec_b64 s[28:29], vcc
	s_cbranch_execz .LBB76_70
; %bb.65:
	v_cmp_ne_u64_e32 vcc, v[50:51], v[54:55]
	v_add_u32_e32 v4, 11, v37
	v_mov_b64_e32 v[78:79], 0
	s_waitcnt lgkmcnt(0)
	v_mov_b32_e32 v34, v44
	v_mov_b32_e32 v35, v45
	v_cndmask_b32_e64 v90, 0, 1, vcc
	v_cmp_gt_u32_e32 vcc, s69, v4
	v_mov_b32_e32 v80, 0
	v_mov_b32_e32 v91, 0
	v_mov_b64_e32 v[46:47], v[78:79]
                                        ; implicit-def: $sgpr56_sgpr57
                                        ; implicit-def: $vgpr52_vgpr53
	s_and_saveexec_b64 s[30:31], vcc
	s_cbranch_execz .LBB76_69
; %bb.66:
	ds_read2_b64 v[46:49], v36 offset0:11 offset1:12
	v_cmp_ne_u64_e32 vcc, v[54:55], v[56:57]
	v_add_u32_e32 v4, 12, v37
	v_mov_b32_e32 v80, 0
	v_cndmask_b32_e64 v91, 0, 1, vcc
	v_cmp_gt_u32_e32 vcc, s69, v4
	v_mov_b64_e32 v[78:79], 0
                                        ; implicit-def: $sgpr34_sgpr35
                                        ; implicit-def: $vgpr52_vgpr53
	s_and_saveexec_b64 s[56:57], vcc
	s_xor_b64 s[56:57], exec, s[56:57]
	s_cbranch_execz .LBB76_68
; %bb.67:
	ds_read_b64 v[52:53], v36 offset:104
	v_cmp_ne_u64_e64 s[0:1], v[56:57], v[58:59]
	v_add_u32_e32 v4, 13, v37
	v_cmp_ne_u64_e32 vcc, v[58:59], v[60:61]
	v_cndmask_b32_e64 v80, 0, 1, s[0:1]
	v_cmp_gt_u32_e64 s[0:1], s69, v4
	s_and_b64 s[34:35], vcc, exec
	s_and_b64 s[0:1], s[0:1], exec
	s_waitcnt lgkmcnt(1)
	v_mov_b64_e32 v[50:51], v[48:49]
	v_mov_b64_e32 v[78:79], v[48:49]
.LBB76_68:
	s_or_b64 exec, exec, s[56:57]
	s_and_b64 s[56:57], s[34:35], exec
	s_and_b64 s[34:35], s[0:1], exec
.LBB76_69:
	s_or_b64 exec, exec, s[30:31]
	s_and_b64 s[30:31], s[56:57], exec
	s_and_b64 s[0:1], s[34:35], exec
	s_waitcnt lgkmcnt(0)
	v_mov_b64_e32 v[36:37], v[46:47]
	v_mov_b64_e32 v[28:29], v[42:43]
	v_mov_b64_e32 v[20:21], v[38:39]
	v_mov_b64_e32 v[12:13], v[30:31]
	v_mov_b64_e32 v[8:9], v[22:23]
	v_mov_b64_e32 v[4:5], v[14:15]
.LBB76_70:
	s_or_b64 exec, exec, s[28:29]
	s_and_b64 s[30:31], s[30:31], exec
	s_and_b64 s[28:29], s[0:1], exec
.LBB76_71:
	s_or_b64 exec, exec, s[26:27]
	s_and_b64 s[26:27], s[30:31], exec
	s_and_b64 s[0:1], s[28:29], exec
.LBB76_72:
	s_or_b64 exec, exec, s[24:25]
	s_and_b64 s[26:27], s[26:27], exec
	s_and_b64 s[24:25], s[0:1], exec
.LBB76_73:
	s_or_b64 exec, exec, s[22:23]
	s_and_b64 s[22:23], s[26:27], exec
	s_and_b64 s[0:1], s[24:25], exec
.LBB76_74:
	s_or_b64 exec, exec, s[20:21]
	s_and_b64 s[22:23], s[22:23], exec
	s_and_b64 s[20:21], s[0:1], exec
.LBB76_75:
	s_or_b64 exec, exec, s[18:19]
	s_and_b64 s[18:19], s[22:23], exec
	s_and_b64 s[0:1], s[20:21], exec
.LBB76_76:
	s_or_b64 exec, exec, s[16:17]
	s_and_b64 s[18:19], s[18:19], exec
	s_and_b64 s[16:17], s[0:1], exec
.LBB76_77:
	s_or_b64 exec, exec, s[14:15]
	s_and_b64 s[14:15], s[18:19], exec
	s_and_b64 s[0:1], s[16:17], exec
.LBB76_78:
	s_or_b64 exec, exec, s[12:13]
	s_and_b64 s[14:15], s[14:15], exec
	s_and_b64 s[12:13], s[0:1], exec
.LBB76_79:
	s_or_b64 exec, exec, s[10:11]
	s_and_b64 s[0:1], s[14:15], exec
	s_and_b64 s[10:11], s[12:13], exec
.LBB76_80:
	s_or_b64 exec, exec, s[8:9]
	s_mov_b64 s[8:9], 0
	s_and_b64 vcc, exec, s[6:7]
	s_waitcnt lgkmcnt(0)
	v_lshlrev_b32_e32 v32, 3, v0
	s_cbranch_vccnz .LBB76_82
	s_branch .LBB76_90
.LBB76_81:
                                        ; implicit-def: $sgpr0_sgpr1
                                        ; implicit-def: $vgpr52_vgpr53
                                        ; implicit-def: $vgpr80
                                        ; implicit-def: $vgpr91
                                        ; implicit-def: $vgpr36_vgpr37
                                        ; implicit-def: $vgpr90
                                        ; implicit-def: $vgpr89
                                        ; implicit-def: $vgpr28_vgpr29
                                        ; implicit-def: $vgpr88
                                        ; implicit-def: $vgpr87
                                        ; implicit-def: $vgpr20_vgpr21
                                        ; implicit-def: $vgpr86
                                        ; implicit-def: $vgpr85
                                        ; implicit-def: $vgpr12_vgpr13
                                        ; implicit-def: $vgpr84
                                        ; implicit-def: $vgpr83
                                        ; implicit-def: $vgpr8_vgpr9
                                        ; implicit-def: $vgpr81
                                        ; implicit-def: $vgpr82
                                        ; implicit-def: $vgpr4_vgpr5
                                        ; implicit-def: $vgpr1
                                        ; implicit-def: $sgpr68
                                        ; implicit-def: $sgpr8_sgpr9
                                        ; implicit-def: $vgpr78_vgpr79
                                        ; implicit-def: $vgpr46_vgpr47
                                        ; implicit-def: $vgpr42_vgpr43
                                        ; implicit-def: $vgpr38_vgpr39
                                        ; implicit-def: $vgpr30_vgpr31
                                        ; implicit-def: $vgpr22_vgpr23
                                        ; implicit-def: $vgpr14_vgpr15
	s_and_b64 vcc, exec, s[6:7]
	v_lshlrev_b32_e32 v32, 3, v0
	s_cbranch_vccz .LBB76_90
.LBB76_82:
	v_mov_b32_e32 v33, 0
	v_lshl_add_u64 v[2:3], s[52:53], 0, v[32:33]
	v_add_co_u32_e32 v4, vcc, 0x1000, v2
	s_movk_i32 s0, 0x68
	s_nop 0
	v_addc_co_u32_e32 v5, vcc, 0, v3, vcc
	flat_load_dwordx2 v[6:7], v[2:3]
	flat_load_dwordx2 v[8:9], v[2:3] offset:2048
	flat_load_dwordx2 v[10:11], v[4:5]
	flat_load_dwordx2 v[12:13], v[4:5] offset:2048
	v_add_co_u32_e32 v4, vcc, 0x2000, v2
	v_mad_u32_u24 v1, v0, s0, v32
	s_nop 0
	v_addc_co_u32_e32 v5, vcc, 0, v3, vcc
	v_add_co_u32_e32 v14, vcc, 0x3000, v2
	s_cmp_eq_u64 s[66:67], 0
	s_nop 0
	v_addc_co_u32_e32 v15, vcc, 0, v3, vcc
	flat_load_dwordx2 v[16:17], v[4:5]
	flat_load_dwordx2 v[18:19], v[4:5] offset:2048
	flat_load_dwordx2 v[20:21], v[14:15]
	flat_load_dwordx2 v[22:23], v[14:15] offset:2048
	v_add_co_u32_e32 v4, vcc, 0x4000, v2
	s_nop 1
	v_addc_co_u32_e32 v5, vcc, 0, v3, vcc
	v_add_co_u32_e32 v14, vcc, 0x5000, v2
	s_nop 1
	v_addc_co_u32_e32 v15, vcc, 0, v3, vcc
	v_add_co_u32_e32 v2, vcc, 0x6000, v2
	flat_load_dwordx2 v[24:25], v[4:5]
	flat_load_dwordx2 v[26:27], v[4:5] offset:2048
	flat_load_dwordx2 v[28:29], v[14:15]
	flat_load_dwordx2 v[30:31], v[14:15] offset:2048
	v_addc_co_u32_e32 v3, vcc, 0, v3, vcc
	flat_load_dwordx2 v[4:5], v[2:3]
	flat_load_dwordx2 v[14:15], v[2:3] offset:2048
	s_waitcnt vmcnt(0) lgkmcnt(0)
	ds_write2st64_b64 v32, v[6:7], v[8:9] offset1:4
	ds_write2st64_b64 v32, v[10:11], v[12:13] offset0:8 offset1:12
	ds_write2st64_b64 v32, v[16:17], v[18:19] offset0:16 offset1:20
	;; [unrolled: 1-line block ×6, first 2 shown]
	s_waitcnt lgkmcnt(0)
	s_barrier
	ds_read_b128 v[14:17], v1
	ds_read_b128 v[2:5], v1 offset:16
	ds_read_b128 v[6:9], v1 offset:32
	;; [unrolled: 1-line block ×6, first 2 shown]
	s_cbranch_scc1 .LBB76_87
; %bb.83:
	s_andn2_b64 vcc, exec, s[60:61]
	s_cbranch_vccnz .LBB76_238
; %bb.84:
	s_lshl_b64 s[0:1], s[66:67], 3
	s_add_u32 s0, s62, s0
	s_addc_u32 s1, s63, s1
	s_add_u32 s0, s0, -8
	s_addc_u32 s1, s1, -1
	s_cbranch_execnz .LBB76_86
.LBB76_85:
	s_add_u32 s0, s52, -8
	s_addc_u32 s1, s53, -1
.LBB76_86:
	s_mov_b64 s[52:53], s[0:1]
.LBB76_87:
	v_mov_b64_e32 v[30:31], s[52:53]
	flat_load_dwordx2 v[30:31], v[30:31]
	s_movk_i32 s0, 0xff98
	v_mad_i32_i24 v33, v0, s0, v1
	s_waitcnt lgkmcnt(0)
	ds_write_b64 v33, v[28:29] offset:28672
	s_waitcnt lgkmcnt(0)
	s_barrier
	s_and_saveexec_b64 s[0:1], s[4:5]
	s_cbranch_execz .LBB76_89
; %bb.88:
	s_waitcnt vmcnt(0)
	v_mul_i32_i24_e32 v30, 0xffffff98, v0
	v_add_u32_e32 v30, v1, v30
	ds_read_b64 v[30:31], v30 offset:28664
.LBB76_89:
	s_or_b64 exec, exec, s[0:1]
	v_mov_b32_e32 v33, 0
	v_lshl_add_u64 v[34:35], s[50:51], 0, v[32:33]
	s_movk_i32 s0, 0x1000
	v_add_co_u32_e32 v36, vcc, s0, v34
	s_movk_i32 s0, 0x2000
	s_nop 0
	v_addc_co_u32_e32 v37, vcc, 0, v35, vcc
	s_waitcnt lgkmcnt(0)
	s_barrier
	flat_load_dwordx2 v[38:39], v[34:35]
	flat_load_dwordx2 v[40:41], v[34:35] offset:2048
	flat_load_dwordx2 v[42:43], v[36:37]
	flat_load_dwordx2 v[44:45], v[36:37] offset:2048
	v_add_co_u32_e32 v36, vcc, s0, v34
	s_movk_i32 s0, 0x3000
	s_nop 0
	v_addc_co_u32_e32 v37, vcc, 0, v35, vcc
	v_add_co_u32_e32 v46, vcc, s0, v34
	s_movk_i32 s0, 0x4000
	s_nop 0
	v_addc_co_u32_e32 v47, vcc, 0, v35, vcc
	flat_load_dwordx2 v[48:49], v[36:37]
	flat_load_dwordx2 v[50:51], v[36:37] offset:2048
	flat_load_dwordx2 v[52:53], v[46:47]
	flat_load_dwordx2 v[54:55], v[46:47] offset:2048
	v_add_co_u32_e32 v36, vcc, s0, v34
	s_movk_i32 s0, 0x5000
	s_nop 0
	v_addc_co_u32_e32 v37, vcc, 0, v35, vcc
	v_add_co_u32_e32 v46, vcc, s0, v34
	s_movk_i32 s0, 0x6000
	s_nop 0
	v_addc_co_u32_e32 v47, vcc, 0, v35, vcc
	v_add_co_u32_e32 v34, vcc, s0, v34
	flat_load_dwordx2 v[56:57], v[36:37]
	flat_load_dwordx2 v[58:59], v[36:37] offset:2048
	flat_load_dwordx2 v[60:61], v[46:47]
	flat_load_dwordx2 v[62:63], v[46:47] offset:2048
	v_addc_co_u32_e32 v35, vcc, 0, v35, vcc
	flat_load_dwordx2 v[36:37], v[34:35]
	flat_load_dwordx2 v[46:47], v[34:35] offset:2048
	v_cmp_ne_u64_e32 vcc, v[24:25], v[26:27]
	v_cmp_ne_u64_e64 s[0:1], v[26:27], v[28:29]
	s_mov_b64 s[10:11], -1
	v_cndmask_b32_e64 v80, 0, 1, vcc
	v_cmp_ne_u64_e32 vcc, v[22:23], v[24:25]
                                        ; implicit-def: $sgpr68
                                        ; implicit-def: $sgpr8_sgpr9
                                        ; implicit-def: $vgpr78_vgpr79
	s_waitcnt vmcnt(0) lgkmcnt(0)
	ds_write2st64_b64 v32, v[38:39], v[40:41] offset1:4
	ds_write2st64_b64 v32, v[42:43], v[44:45] offset0:8 offset1:12
	ds_write2st64_b64 v32, v[48:49], v[50:51] offset0:16 offset1:20
	;; [unrolled: 1-line block ×6, first 2 shown]
	v_cndmask_b32_e64 v91, 0, 1, vcc
	v_cmp_ne_u64_e32 vcc, v[20:21], v[22:23]
	s_waitcnt lgkmcnt(0)
	s_barrier
	v_cndmask_b32_e64 v90, 0, 1, vcc
	v_cmp_ne_u64_e32 vcc, v[18:19], v[20:21]
	s_waitcnt lgkmcnt(0)
                                        ; implicit-def: $vgpr46_vgpr47
                                        ; implicit-def: $vgpr42_vgpr43
                                        ; implicit-def: $vgpr38_vgpr39
                                        ; implicit-def: $vgpr22_vgpr23
	s_nop 0
	v_cndmask_b32_e64 v89, 0, 1, vcc
	v_cmp_ne_u64_e32 vcc, v[12:13], v[18:19]
	s_nop 1
	v_cndmask_b32_e64 v88, 0, 1, vcc
	v_cmp_ne_u64_e32 vcc, v[10:11], v[12:13]
	;; [unrolled: 3-line block ×7, first 2 shown]
	ds_read_b128 v[2:5], v1
	ds_read_b128 v[6:9], v1 offset:16
	ds_read_b128 v[10:13], v1 offset:32
	;; [unrolled: 1-line block ×6, first 2 shown]
	v_cndmask_b32_e64 v81, 0, 1, vcc
	v_cmp_ne_u64_e32 vcc, v[14:15], v[16:17]
	s_nop 1
	v_cndmask_b32_e64 v82, 0, 1, vcc
	v_cmp_ne_u64_e32 vcc, v[30:31], v[14:15]
                                        ; implicit-def: $vgpr30_vgpr31
                                        ; implicit-def: $vgpr14_vgpr15
	s_nop 1
	v_cndmask_b32_e64 v1, 0, 1, vcc
.LBB76_90:
	v_mov_b64_e32 v[16:17], s[8:9]
	v_mov_b32_e32 v33, s68
	s_and_saveexec_b64 s[6:7], s[10:11]
	s_cbranch_execz .LBB76_92
; %bb.91:
	v_cndmask_b32_e64 v33, 0, 1, s[0:1]
	s_waitcnt lgkmcnt(6)
	v_mov_b64_e32 v[14:15], v[4:5]
	s_waitcnt lgkmcnt(5)
	v_mov_b64_e32 v[22:23], v[8:9]
	;; [unrolled: 2-line block ×7, first 2 shown]
	v_mov_b64_e32 v[16:17], v[52:53]
.LBB76_92:
	s_or_b64 exec, exec, s[6:7]
	s_waitcnt lgkmcnt(6)
	v_or_b32_e32 v4, v33, v80
	s_cmp_lg_u32 s47, 0
	s_waitcnt lgkmcnt(1)
	v_or_b32_e32 v37, v4, v91
	v_mbcnt_lo_u32_b32 v36, -1, 0
	s_waitcnt lgkmcnt(0)
	s_barrier
	s_cbranch_scc0 .LBB76_161
; %bb.93:
	v_mov_b32_e32 v8, 0
	v_cmp_eq_u16_sdwa s[30:31], v82, v8 src0_sel:BYTE_0 src1_sel:DWORD
	v_cmp_eq_u16_sdwa s[28:29], v81, v8 src0_sel:BYTE_0 src1_sel:DWORD
	v_cmp_eq_u16_sdwa s[26:27], v83, v8 src0_sel:BYTE_0 src1_sel:DWORD
	v_cndmask_b32_e64 v4, 1, v2, s[30:31]
	v_cndmask_b32_e64 v5, 0, v3, s[30:31]
	v_mul_lo_u32 v9, v5, v14
	v_mul_lo_u32 v13, v4, v15
	v_mad_u64_u32 v[4:5], s[0:1], v4, v14, 0
	v_add3_u32 v5, v5, v13, v9
	v_cndmask_b32_e64 v5, 0, v5, s[28:29]
	v_cndmask_b32_e64 v4, 1, v4, s[28:29]
	v_mul_lo_u32 v9, v5, v6
	v_mul_lo_u32 v13, v4, v7
	v_mad_u64_u32 v[4:5], s[0:1], v4, v6, 0
	v_add3_u32 v5, v5, v13, v9
	v_cndmask_b32_e64 v5, 0, v5, s[26:27]
	v_cndmask_b32_e64 v4, 1, v4, s[26:27]
	v_mul_lo_u32 v9, v5, v22
	v_mul_lo_u32 v13, v4, v23
	v_mad_u64_u32 v[4:5], s[0:1], v4, v22, 0
	v_add3_u32 v5, v5, v13, v9
	v_cmp_eq_u16_sdwa s[24:25], v84, v8 src0_sel:BYTE_0 src1_sel:DWORD
	v_cmp_eq_u16_sdwa s[22:23], v85, v8 src0_sel:BYTE_0 src1_sel:DWORD
	v_cmp_eq_u16_sdwa s[20:21], v86, v8 src0_sel:BYTE_0 src1_sel:DWORD
	v_cndmask_b32_e64 v5, 0, v5, s[24:25]
	v_cndmask_b32_e64 v4, 1, v4, s[24:25]
	v_mul_lo_u32 v9, v5, v10
	v_mul_lo_u32 v13, v4, v11
	v_mad_u64_u32 v[4:5], s[0:1], v4, v10, 0
	v_add3_u32 v5, v5, v13, v9
	v_cndmask_b32_e64 v5, 0, v5, s[22:23]
	v_cndmask_b32_e64 v4, 1, v4, s[22:23]
	v_mul_lo_u32 v9, v5, v30
	v_mul_lo_u32 v13, v4, v31
	v_mad_u64_u32 v[4:5], s[0:1], v4, v30, 0
	v_add3_u32 v5, v5, v13, v9
	v_cndmask_b32_e64 v5, 0, v5, s[20:21]
	v_cndmask_b32_e64 v4, 1, v4, s[20:21]
	v_mul_lo_u32 v9, v5, v18
	v_mul_lo_u32 v13, v4, v19
	v_mad_u64_u32 v[4:5], s[0:1], v4, v18, 0
	v_add3_u32 v5, v5, v13, v9
	;; [unrolled: 21-line block ×3, first 2 shown]
	v_cmp_eq_u16_sdwa s[12:13], v90, v8 src0_sel:BYTE_0 src1_sel:DWORD
	v_cmp_eq_u16_sdwa s[10:11], v91, v8 src0_sel:BYTE_0 src1_sel:DWORD
	;; [unrolled: 1-line block ×3, first 2 shown]
	v_cndmask_b32_e64 v5, 0, v5, s[12:13]
	v_cndmask_b32_e64 v4, 1, v4, s[12:13]
	v_mul_lo_u32 v9, v5, v34
	v_mul_lo_u32 v13, v4, v35
	v_mad_u64_u32 v[4:5], s[0:1], v4, v34, 0
	v_add3_u32 v5, v5, v13, v9
	v_cndmask_b32_e64 v5, 0, v5, s[10:11]
	v_cndmask_b32_e64 v4, 1, v4, s[10:11]
	v_mul_lo_u32 v9, v5, v46
	v_mul_lo_u32 v13, v4, v47
	v_mad_u64_u32 v[4:5], s[0:1], v4, v46, 0
	v_add3_u32 v5, v5, v13, v9
	v_cndmask_b32_e64 v5, 0, v5, s[8:9]
	v_cndmask_b32_e64 v4, 1, v4, s[8:9]
	v_mul_lo_u32 v9, v5, v78
	v_mul_lo_u32 v13, v4, v79
	v_mad_u64_u32 v[4:5], s[0:1], v4, v78, 0
	v_cmp_eq_u16_sdwa s[6:7], v33, v8 src0_sel:BYTE_0 src1_sel:DWORD
	v_add3_u32 v5, v5, v13, v9
	v_and_b32_e32 v12, 0xff, v1
	v_cndmask_b32_e64 v4, 1, v4, s[6:7]
	v_mul_lo_u32 v13, v4, v17
	v_mad_u64_u32 v[8:9], s[0:1], v4, v16, 0
	v_or_b32_e32 v4, v37, v90
	v_or_b32_e32 v4, v4, v89
	;; [unrolled: 1-line block ×10, first 2 shown]
	v_cndmask_b32_e64 v5, 0, v5, s[6:7]
	v_and_b32_e32 v4, 1, v4
	v_mul_lo_u32 v5, v5, v16
	v_cmp_eq_u32_e32 vcc, 1, v4
	v_mbcnt_hi_u32_b32 v28, -1, v36
	v_add3_u32 v9, v9, v13, v5
	v_cndmask_b32_e64 v20, v12, 1, vcc
	v_and_b32_e32 v12, 15, v28
	v_mov_b32_dpp v21, v8 row_shr:1 row_mask:0xf bank_mask:0xf
	v_mov_b32_dpp v24, v9 row_shr:1 row_mask:0xf bank_mask:0xf
	;; [unrolled: 1-line block ×3, first 2 shown]
	v_cmp_ne_u32_e32 vcc, 0, v12
	v_mov_b32_e32 v5, v9
	v_mov_b32_e32 v4, v8
	s_and_saveexec_b64 s[0:1], vcc
; %bb.94:
	v_cmp_eq_u32_e32 vcc, 0, v20
	v_and_or_b32 v20, v13, 1, v20
	s_nop 0
	v_cndmask_b32_e32 v4, 1, v21, vcc
	v_cndmask_b32_e32 v21, 0, v24, vcc
	v_mul_lo_u32 v9, v4, v9
	v_mad_u64_u32 v[4:5], s[34:35], v4, v8, 0
	v_mul_lo_u32 v8, v21, v8
	v_add3_u32 v5, v5, v9, v8
	v_mov_b64_e32 v[8:9], v[4:5]
; %bb.95:
	s_or_b64 exec, exec, s[0:1]
	v_mov_b32_dpp v21, v4 row_shr:2 row_mask:0xf bank_mask:0xf
	v_mov_b32_dpp v24, v5 row_shr:2 row_mask:0xf bank_mask:0xf
	v_mov_b32_dpp v13, v20 row_shr:2 row_mask:0xf bank_mask:0xf
	v_cmp_lt_u32_e32 vcc, 1, v12
	s_and_saveexec_b64 s[0:1], vcc
; %bb.96:
	v_cmp_eq_u32_e32 vcc, 0, v20
	s_nop 1
	v_cndmask_b32_e32 v4, 1, v21, vcc
	v_cndmask_b32_e32 v21, 0, v24, vcc
	v_mul_lo_u32 v9, v4, v9
	v_mad_u64_u32 v[4:5], s[34:35], v4, v8, 0
	v_mul_lo_u32 v8, v21, v8
	v_add3_u32 v5, v5, v9, v8
	v_or_b32_e32 v8, v13, v20
	v_and_b32_e32 v20, 1, v8
	v_mov_b64_e32 v[8:9], v[4:5]
; %bb.97:
	s_or_b64 exec, exec, s[0:1]
	v_mov_b32_dpp v21, v4 row_shr:4 row_mask:0xf bank_mask:0xf
	v_mov_b32_dpp v24, v5 row_shr:4 row_mask:0xf bank_mask:0xf
	v_mov_b32_dpp v13, v20 row_shr:4 row_mask:0xf bank_mask:0xf
	v_cmp_lt_u32_e32 vcc, 3, v12
	s_and_saveexec_b64 s[0:1], vcc
; %bb.98:
	v_cmp_eq_u32_e32 vcc, 0, v20
	s_nop 1
	v_cndmask_b32_e32 v4, 1, v21, vcc
	v_cndmask_b32_e32 v21, 0, v24, vcc
	v_mul_lo_u32 v9, v4, v9
	v_mad_u64_u32 v[4:5], s[34:35], v4, v8, 0
	v_mul_lo_u32 v8, v21, v8
	v_add3_u32 v5, v5, v9, v8
	v_or_b32_e32 v8, v13, v20
	v_and_b32_e32 v20, 1, v8
	;; [unrolled: 19-line block ×3, first 2 shown]
	v_mov_b64_e32 v[8:9], v[4:5]
; %bb.101:
	s_or_b64 exec, exec, s[0:1]
	v_and_b32_e32 v24, 16, v28
	v_mov_b32_dpp v13, v4 row_bcast:15 row_mask:0xf bank_mask:0xf
	v_mov_b32_dpp v21, v5 row_bcast:15 row_mask:0xf bank_mask:0xf
	;; [unrolled: 1-line block ×3, first 2 shown]
	v_cmp_ne_u32_e32 vcc, 0, v24
	s_and_saveexec_b64 s[0:1], vcc
; %bb.102:
	v_cmp_eq_u32_e32 vcc, 0, v20
	s_nop 1
	v_cndmask_b32_e32 v4, 1, v13, vcc
	v_cndmask_b32_e32 v13, 0, v21, vcc
	v_mul_lo_u32 v9, v4, v9
	v_mad_u64_u32 v[4:5], s[34:35], v4, v8, 0
	v_mul_lo_u32 v8, v13, v8
	v_add3_u32 v5, v5, v9, v8
	v_or_b32_e32 v8, v12, v20
	v_and_b32_e32 v20, 1, v8
	v_mov_b64_e32 v[8:9], v[4:5]
; %bb.103:
	s_or_b64 exec, exec, s[0:1]
	v_mov_b32_dpp v12, v4 row_bcast:31 row_mask:0xf bank_mask:0xf
	v_mov_b32_dpp v13, v5 row_bcast:31 row_mask:0xf bank_mask:0xf
	;; [unrolled: 1-line block ×3, first 2 shown]
	v_cmp_lt_u32_e32 vcc, 31, v28
	v_mov_b32_e32 v4, v20
	s_and_saveexec_b64 s[0:1], vcc
; %bb.104:
	v_cmp_eq_u32_e32 vcc, 0, v20
	v_or_b32_e32 v5, v5, v20
	v_and_b32_e32 v20, 1, v5
	v_cndmask_b32_e32 v4, 1, v12, vcc
	v_cndmask_b32_e32 v21, 0, v13, vcc
	v_mul_lo_u32 v9, v4, v9
	v_mad_u64_u32 v[12:13], s[34:35], v4, v8, 0
	v_mul_lo_u32 v4, v21, v8
	v_add3_u32 v13, v13, v9, v4
	v_and_b32_e32 v4, 1, v5
	v_mov_b64_e32 v[8:9], v[12:13]
; %bb.105:
	s_or_b64 exec, exec, s[0:1]
	v_or_b32_e32 v5, 63, v0
	v_lshrrev_b32_e32 v21, 6, v0
	v_cmp_eq_u32_e32 vcc, v5, v0
	s_and_saveexec_b64 s[0:1], vcc
	s_cbranch_execz .LBB76_107
; %bb.106:
	v_lshlrev_b32_e32 v5, 4, v21
	ds_write_b64 v5, v[8:9]
	ds_write_b8 v5, v4 offset:8
.LBB76_107:
	s_or_b64 exec, exec, s[0:1]
	v_cmp_gt_u32_e32 vcc, 4, v0
	s_waitcnt lgkmcnt(0)
	s_barrier
	s_and_saveexec_b64 s[34:35], vcc
	s_cbranch_execz .LBB76_113
; %bb.108:
	v_lshlrev_b32_e32 v24, 4, v0
	ds_read_b64 v[4:5], v24
	ds_read_b32 v25, v24 offset:8
	v_and_b32_e32 v29, 3, v28
	v_cmp_ne_u32_e32 vcc, 0, v29
	s_waitcnt lgkmcnt(1)
	v_mov_b32_dpp v45, v4 row_shr:1 row_mask:0xf bank_mask:0xf
	v_mov_b32_dpp v48, v5 row_shr:1 row_mask:0xf bank_mask:0xf
	s_waitcnt lgkmcnt(0)
	v_mov_b32_dpp v44, v25 row_shr:1 row_mask:0xf bank_mask:0xf
	v_mov_b32_e32 v41, v25
	v_mov_b32_e32 v40, v25
	;; [unrolled: 1-line block ×4, first 2 shown]
	s_and_saveexec_b64 s[0:1], vcc
	s_cbranch_execz .LBB76_110
; %bb.109:
	v_mov_b32_e32 v12, 0
	v_cmp_eq_u16_sdwa vcc, v25, v12 src0_sel:BYTE_0 src1_sel:DWORD
	s_nop 1
	v_cndmask_b32_e32 v12, 1, v45, vcc
	v_cndmask_b32_e32 v40, 0, v48, vcc
	v_mul_lo_u32 v5, v12, v5
	v_mad_u64_u32 v[12:13], s[50:51], v12, v4, 0
	v_mul_lo_u32 v4, v40, v4
	v_add3_u32 v13, v13, v5, v4
	v_or_b32_e32 v4, v44, v25
	v_and_b32_e32 v40, 1, v4
	s_movk_i32 s50, 0xff00
	v_and_b32_e32 v41, 1, v4
	v_and_or_b32 v25, v25, s50, v40
	v_mov_b64_e32 v[4:5], v[12:13]
.LBB76_110:
	s_or_b64 exec, exec, s[0:1]
	v_mov_b32_dpp v44, v12 row_shr:2 row_mask:0xf bank_mask:0xf
	v_mov_b32_dpp v13, v13 row_shr:2 row_mask:0xf bank_mask:0xf
	v_mov_b32_dpp v12, v25 row_shr:2 row_mask:0xf bank_mask:0xf
	v_cmp_lt_u32_e32 vcc, 1, v29
	s_and_saveexec_b64 s[50:51], vcc
	s_cbranch_execz .LBB76_112
; %bb.111:
	v_mov_b32_e32 v25, 0
	v_cmp_eq_u16_sdwa vcc, v40, v25 src0_sel:BYTE_0 src1_sel:DWORD
	s_nop 1
	v_cndmask_b32_e32 v25, 1, v44, vcc
	v_cndmask_b32_e32 v13, 0, v13, vcc
	v_mul_lo_u32 v5, v25, v5
	v_mad_u64_u32 v[44:45], s[0:1], v25, v4, 0
	v_mul_lo_u32 v4, v13, v4
	v_add3_u32 v45, v45, v5, v4
	v_and_b32_e32 v4, 1, v40
	v_cmp_eq_u32_e32 vcc, 1, v4
	v_and_b32_e32 v4, 1, v12
	v_cmp_eq_u32_e64 s[0:1], 1, v4
	s_or_b64 s[0:1], vcc, s[0:1]
	v_mov_b64_e32 v[4:5], v[44:45]
	v_cndmask_b32_e64 v41, 0, 1, s[0:1]
.LBB76_112:
	s_or_b64 exec, exec, s[50:51]
	ds_write_b64 v24, v[4:5]
	ds_write_b8 v24, v41 offset:8
.LBB76_113:
	s_or_b64 exec, exec, s[34:35]
	v_cmp_gt_u32_e32 vcc, 64, v0
	v_cmp_lt_u32_e64 s[0:1], 63, v0
	v_mov_b32_e32 v40, 0
	v_mov_b64_e32 v[4:5], 0
	s_waitcnt lgkmcnt(0)
	s_barrier
	s_and_saveexec_b64 s[34:35], s[0:1]
	s_cbranch_execz .LBB76_115
; %bb.114:
	v_lshl_add_u32 v12, v21, 4, -16
	ds_read_b64 v[4:5], v12
	ds_read_u8 v40, v12 offset:8
	v_cmp_eq_u32_e64 s[0:1], 0, v20
	s_waitcnt lgkmcnt(1)
	s_nop 0
	v_cndmask_b32_e64 v12, 1, v4, s[0:1]
	v_cndmask_b32_e64 v13, 0, v5, s[0:1]
	v_mul_lo_u32 v13, v13, v8
	v_mul_lo_u32 v21, v12, v9
	v_mad_u64_u32 v[8:9], s[0:1], v12, v8, 0
	v_and_b32_e32 v12, 1, v20
	v_cmp_eq_u32_e64 s[0:1], 1, v12
	v_add3_u32 v9, v9, v21, v13
	s_waitcnt lgkmcnt(0)
	v_cndmask_b32_e64 v20, v40, 1, s[0:1]
.LBB76_115:
	s_or_b64 exec, exec, s[34:35]
	v_add_u32_e32 v12, -1, v28
	v_and_b32_e32 v13, 64, v28
	v_cmp_lt_i32_e64 s[0:1], v12, v13
	v_cmp_eq_u32_e64 s[34:35], 0, v28
	s_nop 0
	v_cndmask_b32_e64 v12, v12, v28, s[0:1]
	v_lshlrev_b32_e32 v12, 2, v12
	ds_bpermute_b32 v41, v12, v8
	ds_bpermute_b32 v45, v12, v9
	;; [unrolled: 1-line block ×3, first 2 shown]
	s_and_saveexec_b64 s[50:51], vcc
	s_cbranch_execz .LBB76_158
; %bb.116:
	v_mov_b32_e32 v13, 0
	ds_read2_b64 v[48:51], v13 offset0:6 offset1:7
	s_and_saveexec_b64 s[0:1], s[34:35]
	s_cbranch_execz .LBB76_118
; %bb.117:
	s_add_i32 s52, s47, 64
	s_mov_b32 s53, 0
	s_lshl_b64 s[56:57], s[52:53], 4
	s_add_u32 s56, s40, s56
	s_addc_u32 s57, s41, s57
	v_mov_b32_e32 v8, s52
	v_mov_b32_e32 v9, 1
	s_waitcnt lgkmcnt(0)
	global_store_dword v13, v48, s[56:57] sc1
	global_store_dword v13, v49, s[56:57] offset:4 sc1
	global_store_dword v13, v50, s[56:57] offset:8 sc1
	;; [unrolled: 1-line block ×3, first 2 shown]
	s_waitcnt vmcnt(0)
	global_store_byte v8, v9, s[44:45] sc1
.LBB76_118:
	s_or_b64 exec, exec, s[0:1]
	v_xad_u32 v8, v28, -1, s47
	v_add_u32_e32 v12, 64, v8
	s_waitcnt lgkmcnt(0)
	global_load_ubyte v51, v12, s[44:45] sc1
	s_waitcnt vmcnt(0)
	v_cmp_eq_u16_e32 vcc, 0, v51
	s_and_saveexec_b64 s[0:1], vcc
	s_cbranch_execz .LBB76_122
; %bb.119:
	v_lshl_add_u64 v[20:21], s[44:45], 0, v[12:13]
	s_mov_b64 s[52:53], 0
.LBB76_120:                             ; =>This Inner Loop Header: Depth=1
	global_load_ubyte v51, v[20:21], off sc1
	s_waitcnt vmcnt(0)
	v_cmp_ne_u16_e32 vcc, 0, v51
	s_or_b64 s[52:53], vcc, s[52:53]
	s_andn2_b64 exec, exec, s[52:53]
	s_cbranch_execnz .LBB76_120
; %bb.121:
	s_or_b64 exec, exec, s[52:53]
.LBB76_122:
	s_or_b64 exec, exec, s[0:1]
	v_mov_b32_e32 v9, s43
	v_mov_b32_e32 v20, s41
	v_cmp_eq_u16_e32 vcc, 1, v51
	s_waitcnt vmcnt(0)
	s_nop 0
	v_cndmask_b32_e32 v21, v9, v20, vcc
	v_mov_b32_e32 v9, s42
	v_mov_b32_e32 v20, s40
	v_cndmask_b32_e32 v20, v9, v20, vcc
	v_lshl_add_u64 v[12:13], v[12:13], 4, v[20:21]
	global_load_dword v20, v[12:13], off sc1
	global_load_dword v21, v[12:13], off offset:4 sc1
	global_load_dword v29, v[12:13], off offset:8 sc1
	global_load_dword v9, v[12:13], off offset:12 sc1
	v_cmp_eq_u16_e32 vcc, 2, v51
	v_lshlrev_b64 v[12:13], v28, -1
	v_and_b32_e32 v52, 63, v28
	s_waitcnt vmcnt(0)
	v_and_b32_e32 v9, vcc_hi, v13
	v_and_b32_e32 v24, vcc_lo, v12
	v_cmp_ne_u32_e32 vcc, 63, v52
	v_or_b32_e32 v9, 0x80000000, v9
	v_ffbl_b32_e32 v9, v9
	v_addc_co_u32_e32 v25, vcc, 0, v28, vcc
	v_lshlrev_b32_e32 v53, 2, v25
	v_add_u32_e32 v9, 32, v9
	v_ffbl_b32_e32 v24, v24
	v_min_u32_e32 v9, v24, v9
	v_cmp_lt_u32_e32 vcc, v52, v9
	ds_bpermute_b32 v55, v53, v20
	ds_bpermute_b32 v56, v53, v21
	v_and_b32_e32 v62, 0xff, v29
	ds_bpermute_b32 v54, v53, v62
	v_mov_b64_e32 v[24:25], v[20:21]
	s_and_saveexec_b64 s[0:1], vcc
	s_cbranch_execz .LBB76_124
; %bb.123:
	v_mov_b32_e32 v24, 0
	v_cmp_eq_u16_sdwa vcc, v29, v24 src0_sel:BYTE_0 src1_sel:DWORD
	s_waitcnt lgkmcnt(2)
	s_nop 0
	v_cndmask_b32_e32 v24, 1, v55, vcc
	s_waitcnt lgkmcnt(1)
	v_cndmask_b32_e32 v55, 0, v56, vcc
	v_mul_lo_u32 v21, v24, v21
	v_mad_u64_u32 v[24:25], s[52:53], v24, v20, 0
	v_mul_lo_u32 v20, v55, v20
	v_add3_u32 v25, v25, v21, v20
	s_waitcnt lgkmcnt(0)
	v_or_b32_e32 v20, v54, v29
	v_and_b32_e32 v29, 1, v20
	v_and_b32_e32 v62, 1, v20
	v_mov_b32_e32 v21, v25
	v_mov_b32_e32 v20, v24
.LBB76_124:
	s_or_b64 exec, exec, s[0:1]
	v_cmp_gt_u32_e32 vcc, 62, v52
	s_waitcnt lgkmcnt(2)
	v_add_u32_e32 v55, 2, v52
	s_waitcnt lgkmcnt(0)
	v_cndmask_b32_e64 v54, 0, 1, vcc
	v_lshlrev_b32_e32 v54, 1, v54
	v_add_lshl_u32 v54, v54, v28, 2
	ds_bpermute_b32 v57, v54, v20
	ds_bpermute_b32 v58, v54, v21
	ds_bpermute_b32 v56, v54, v62
	v_cmp_le_u32_e32 vcc, v55, v9
	s_and_saveexec_b64 s[52:53], vcc
	s_cbranch_execz .LBB76_126
; %bb.125:
	v_mov_b32_e32 v20, 0
	v_cmp_eq_u16_sdwa vcc, v29, v20 src0_sel:BYTE_0 src1_sel:DWORD
	s_waitcnt lgkmcnt(2)
	s_nop 0
	v_cndmask_b32_e32 v20, 1, v57, vcc
	s_waitcnt lgkmcnt(1)
	v_cndmask_b32_e32 v57, 0, v58, vcc
	v_mul_lo_u32 v25, v20, v25
	v_mad_u64_u32 v[20:21], s[0:1], v20, v24, 0
	v_mul_lo_u32 v24, v57, v24
	v_add3_u32 v21, v21, v25, v24
	v_and_b32_e32 v24, 1, v29
	v_cmp_eq_u32_e32 vcc, 1, v24
	s_waitcnt lgkmcnt(0)
	v_and_b32_e32 v24, 1, v56
	v_cmp_eq_u32_e64 s[0:1], 1, v24
	s_or_b64 s[0:1], vcc, s[0:1]
	v_mov_b64_e32 v[24:25], v[20:21]
	v_cndmask_b32_e64 v29, 0, 1, s[0:1]
	v_cndmask_b32_e64 v62, 0, 1, s[0:1]
.LBB76_126:
	s_or_b64 exec, exec, s[52:53]
	v_cmp_gt_u32_e32 vcc, 60, v52
	s_waitcnt lgkmcnt(2)
	v_add_u32_e32 v57, 4, v52
	s_waitcnt lgkmcnt(0)
	v_cndmask_b32_e64 v56, 0, 1, vcc
	v_lshlrev_b32_e32 v56, 2, v56
	v_add_lshl_u32 v56, v56, v28, 2
	ds_bpermute_b32 v59, v56, v20
	ds_bpermute_b32 v60, v56, v21
	ds_bpermute_b32 v58, v56, v62
	v_cmp_le_u32_e32 vcc, v57, v9
	s_and_saveexec_b64 s[52:53], vcc
	s_cbranch_execz .LBB76_128
; %bb.127:
	v_mov_b32_e32 v20, 0
	v_cmp_eq_u16_sdwa vcc, v29, v20 src0_sel:BYTE_0 src1_sel:DWORD
	s_waitcnt lgkmcnt(2)
	s_nop 0
	v_cndmask_b32_e32 v20, 1, v59, vcc
	s_waitcnt lgkmcnt(1)
	v_cndmask_b32_e32 v59, 0, v60, vcc
	v_mul_lo_u32 v25, v20, v25
	v_mad_u64_u32 v[20:21], s[0:1], v20, v24, 0
	v_mul_lo_u32 v24, v59, v24
	v_add3_u32 v21, v21, v25, v24
	v_and_b32_e32 v24, 1, v29
	v_cmp_eq_u32_e32 vcc, 1, v24
	s_waitcnt lgkmcnt(0)
	v_and_b32_e32 v24, 1, v58
	v_cmp_eq_u32_e64 s[0:1], 1, v24
	s_or_b64 s[0:1], vcc, s[0:1]
	v_mov_b64_e32 v[24:25], v[20:21]
	v_cndmask_b32_e64 v29, 0, 1, s[0:1]
	v_cndmask_b32_e64 v62, 0, 1, s[0:1]
.LBB76_128:
	;; [unrolled: 36-line block ×4, first 2 shown]
	s_or_b64 exec, exec, s[52:53]
	v_cmp_gt_u32_e32 vcc, 32, v52
	s_waitcnt lgkmcnt(2)
	v_add_u32_e32 v64, 32, v52
	s_waitcnt lgkmcnt(0)
	v_cndmask_b32_e64 v63, 0, 1, vcc
	v_lshlrev_b32_e32 v63, 5, v63
	v_add_lshl_u32 v63, v63, v28, 2
	ds_bpermute_b32 v28, v63, v20
	ds_bpermute_b32 v21, v63, v21
	;; [unrolled: 1-line block ×3, first 2 shown]
	v_cmp_le_u32_e32 vcc, v64, v9
	s_and_saveexec_b64 s[52:53], vcc
	s_cbranch_execz .LBB76_134
; %bb.133:
	v_mov_b32_e32 v9, 0
	v_cmp_eq_u16_sdwa vcc, v29, v9 src0_sel:BYTE_0 src1_sel:DWORD
	s_waitcnt lgkmcnt(2)
	s_nop 0
	v_cndmask_b32_e32 v9, 1, v28, vcc
	s_waitcnt lgkmcnt(1)
	v_cndmask_b32_e32 v21, 0, v21, vcc
	v_mul_lo_u32 v25, v9, v25
	v_mad_u64_u32 v[66:67], s[0:1], v9, v24, 0
	v_mul_lo_u32 v9, v21, v24
	v_add3_u32 v67, v67, v25, v9
	v_and_b32_e32 v9, 1, v29
	v_cmp_eq_u32_e32 vcc, 1, v9
	s_waitcnt lgkmcnt(0)
	v_and_b32_e32 v9, 1, v20
	v_cmp_eq_u32_e64 s[0:1], 1, v9
	s_or_b64 s[0:1], vcc, s[0:1]
	v_mov_b64_e32 v[24:25], v[66:67]
	v_cndmask_b32_e64 v29, 0, 1, s[0:1]
.LBB76_134:
	s_or_b64 exec, exec, s[52:53]
	v_mov_b32_e32 v9, 0
	v_mov_b32_e32 v65, 2
	s_branch .LBB76_136
.LBB76_135:                             ;   in Loop: Header=BB76_136 Depth=1
	s_or_b64 exec, exec, s[56:57]
	v_cmp_eq_u16_sdwa vcc, v62, v9 src0_sel:BYTE_0 src1_sel:DWORD
	v_subrev_u32_e32 v8, 64, v8
	s_waitcnt lgkmcnt(0)
	v_cndmask_b32_e32 v24, 1, v28, vcc
	v_cndmask_b32_e32 v25, 0, v29, vcc
	v_mul_lo_u32 v28, v25, v20
	v_mul_lo_u32 v29, v24, v21
	v_mad_u64_u32 v[24:25], s[0:1], v24, v20, 0
	v_add3_u32 v25, v25, v29, v28
	v_and_b32_e32 v28, 1, v62
	v_cmp_eq_u32_e32 vcc, 1, v28
	s_or_b64 s[0:1], vcc, s[52:53]
	v_cndmask_b32_e64 v29, 0, 1, s[0:1]
.LBB76_136:                             ; =>This Loop Header: Depth=1
                                        ;     Child Loop BB76_139 Depth 2
	v_cmp_ne_u16_sdwa s[0:1], v51, v65 src0_sel:BYTE_0 src1_sel:DWORD
	v_mov_b32_e32 v62, v29
	s_waitcnt lgkmcnt(0)
	v_cndmask_b32_e64 v20, 0, 1, s[0:1]
	;;#ASMSTART
	;;#ASMEND
	s_nop 0
	v_cmp_ne_u32_e32 vcc, 0, v20
	s_cmp_lg_u64 vcc, exec
	v_mov_b64_e32 v[20:21], v[24:25]
	s_cbranch_scc1 .LBB76_153
; %bb.137:                              ;   in Loop: Header=BB76_136 Depth=1
	global_load_ubyte v51, v8, s[44:45] sc1
	s_waitcnt vmcnt(0)
	v_cmp_eq_u16_e32 vcc, 0, v51
	s_and_saveexec_b64 s[0:1], vcc
	s_cbranch_execz .LBB76_141
; %bb.138:                              ;   in Loop: Header=BB76_136 Depth=1
	v_lshl_add_u64 v[24:25], s[44:45], 0, v[8:9]
	s_mov_b64 s[52:53], 0
.LBB76_139:                             ;   Parent Loop BB76_136 Depth=1
                                        ; =>  This Inner Loop Header: Depth=2
	global_load_ubyte v51, v[24:25], off sc1
	s_waitcnt vmcnt(0)
	v_cmp_ne_u16_e32 vcc, 0, v51
	s_or_b64 s[52:53], vcc, s[52:53]
	s_andn2_b64 exec, exec, s[52:53]
	s_cbranch_execnz .LBB76_139
; %bb.140:                              ;   in Loop: Header=BB76_136 Depth=1
	s_or_b64 exec, exec, s[52:53]
.LBB76_141:                             ;   in Loop: Header=BB76_136 Depth=1
	s_or_b64 exec, exec, s[0:1]
	v_mov_b32_e32 v24, s43
	v_mov_b32_e32 v25, s41
	v_cmp_eq_u16_e32 vcc, 1, v51
	v_mov_b32_e32 v28, s40
	s_waitcnt vmcnt(0)
	v_cndmask_b32_e32 v25, v24, v25, vcc
	v_mov_b32_e32 v24, s42
	v_cndmask_b32_e32 v24, v24, v28, vcc
	v_lshl_add_u64 v[28:29], v[8:9], 4, v[24:25]
	global_load_dword v24, v[28:29], off sc1
	global_load_dword v25, v[28:29], off offset:4 sc1
	global_load_dword v66, v[28:29], off offset:8 sc1
	s_nop 0
	global_load_dword v28, v[28:29], off offset:12 sc1
	v_cmp_eq_u16_e32 vcc, 2, v51
	s_waitcnt vmcnt(3)
	ds_bpermute_b32 v70, v53, v24
	s_waitcnt vmcnt(0)
	v_and_b32_e32 v28, vcc_hi, v13
	v_and_b32_e32 v68, 0xff, v66
	v_or_b32_e32 v28, 0x80000000, v28
	ds_bpermute_b32 v71, v53, v25
	ds_bpermute_b32 v69, v53, v68
	v_and_b32_e32 v29, vcc_lo, v12
	v_ffbl_b32_e32 v28, v28
	v_add_u32_e32 v28, 32, v28
	v_ffbl_b32_e32 v29, v29
	v_min_u32_e32 v67, v29, v28
	v_cmp_lt_u32_e32 vcc, v52, v67
	v_mov_b64_e32 v[28:29], v[24:25]
	s_and_saveexec_b64 s[0:1], vcc
	s_cbranch_execz .LBB76_143
; %bb.142:                              ;   in Loop: Header=BB76_136 Depth=1
	v_cmp_eq_u16_sdwa vcc, v66, v9 src0_sel:BYTE_0 src1_sel:DWORD
	s_waitcnt lgkmcnt(2)
	s_nop 0
	v_cndmask_b32_e32 v28, 1, v70, vcc
	s_waitcnt lgkmcnt(1)
	v_cndmask_b32_e32 v68, 0, v71, vcc
	v_mul_lo_u32 v25, v28, v25
	v_mad_u64_u32 v[28:29], s[52:53], v28, v24, 0
	v_mul_lo_u32 v24, v68, v24
	v_add3_u32 v29, v29, v25, v24
	s_waitcnt lgkmcnt(0)
	v_or_b32_e32 v24, v69, v66
	v_and_b32_e32 v66, 1, v24
	v_and_b32_e32 v68, 1, v24
	v_mov_b32_e32 v25, v29
	v_mov_b32_e32 v24, v28
.LBB76_143:                             ;   in Loop: Header=BB76_136 Depth=1
	s_or_b64 exec, exec, s[0:1]
	s_waitcnt lgkmcnt(2)
	ds_bpermute_b32 v70, v54, v24
	s_waitcnt lgkmcnt(2)
	ds_bpermute_b32 v71, v54, v25
	;; [unrolled: 2-line block ×3, first 2 shown]
	v_and_b32_e32 v72, 1, v66
	v_cmp_le_u32_e32 vcc, v55, v67
	v_cmp_eq_u32_e64 s[52:53], 1, v72
	s_and_saveexec_b64 s[0:1], vcc
	s_cbranch_execz .LBB76_145
; %bb.144:                              ;   in Loop: Header=BB76_136 Depth=1
	v_cmp_eq_u16_sdwa vcc, v66, v9 src0_sel:BYTE_0 src1_sel:DWORD
	s_waitcnt lgkmcnt(2)
	s_nop 0
	v_cndmask_b32_e32 v24, 1, v70, vcc
	s_waitcnt lgkmcnt(1)
	v_cndmask_b32_e32 v66, 0, v71, vcc
	v_mul_lo_u32 v29, v24, v29
	v_mad_u64_u32 v[24:25], s[56:57], v24, v28, 0
	v_mul_lo_u32 v28, v66, v28
	v_add3_u32 v25, v25, v29, v28
	s_waitcnt lgkmcnt(0)
	v_and_b32_e32 v28, 1, v69
	v_cmp_eq_u32_e32 vcc, 1, v28
	s_or_b64 s[56:57], s[52:53], vcc
	v_cndmask_b32_e64 v66, 0, 1, s[56:57]
	v_cndmask_b32_e64 v68, 0, 1, s[56:57]
	s_andn2_b64 s[52:53], s[52:53], exec
	s_and_b64 s[56:57], s[56:57], exec
	s_or_b64 s[52:53], s[52:53], s[56:57]
	v_mov_b64_e32 v[28:29], v[24:25]
.LBB76_145:                             ;   in Loop: Header=BB76_136 Depth=1
	s_or_b64 exec, exec, s[0:1]
	s_waitcnt lgkmcnt(2)
	ds_bpermute_b32 v70, v56, v24
	s_waitcnt lgkmcnt(2)
	ds_bpermute_b32 v71, v56, v25
	s_waitcnt lgkmcnt(2)
	ds_bpermute_b32 v69, v56, v68
	v_cmp_le_u32_e32 vcc, v57, v67
	s_and_saveexec_b64 s[56:57], vcc
	s_cbranch_execz .LBB76_147
; %bb.146:                              ;   in Loop: Header=BB76_136 Depth=1
	v_cmp_eq_u16_sdwa vcc, v66, v9 src0_sel:BYTE_0 src1_sel:DWORD
	s_andn2_b64 s[52:53], s[52:53], exec
	s_waitcnt lgkmcnt(2)
	v_cndmask_b32_e32 v24, 1, v70, vcc
	s_waitcnt lgkmcnt(1)
	v_cndmask_b32_e32 v68, 0, v71, vcc
	v_mul_lo_u32 v29, v24, v29
	v_mad_u64_u32 v[24:25], s[0:1], v24, v28, 0
	v_mul_lo_u32 v28, v68, v28
	v_add3_u32 v25, v25, v29, v28
	v_and_b32_e32 v28, 1, v66
	v_cmp_eq_u32_e32 vcc, 1, v28
	s_waitcnt lgkmcnt(0)
	v_and_b32_e32 v28, 1, v69
	v_cmp_eq_u32_e64 s[0:1], 1, v28
	s_or_b64 s[0:1], vcc, s[0:1]
	v_mov_b64_e32 v[28:29], v[24:25]
	v_cndmask_b32_e64 v66, 0, 1, s[0:1]
	v_cndmask_b32_e64 v68, 0, 1, s[0:1]
	s_and_b64 s[0:1], s[0:1], exec
	s_or_b64 s[52:53], s[52:53], s[0:1]
.LBB76_147:                             ;   in Loop: Header=BB76_136 Depth=1
	s_or_b64 exec, exec, s[56:57]
	s_waitcnt lgkmcnt(2)
	ds_bpermute_b32 v70, v58, v24
	s_waitcnt lgkmcnt(2)
	ds_bpermute_b32 v71, v58, v25
	s_waitcnt lgkmcnt(2)
	ds_bpermute_b32 v69, v58, v68
	v_cmp_le_u32_e32 vcc, v59, v67
	s_and_saveexec_b64 s[56:57], vcc
	s_cbranch_execz .LBB76_149
; %bb.148:                              ;   in Loop: Header=BB76_136 Depth=1
	v_cmp_eq_u16_sdwa vcc, v66, v9 src0_sel:BYTE_0 src1_sel:DWORD
	s_andn2_b64 s[52:53], s[52:53], exec
	s_waitcnt lgkmcnt(2)
	v_cndmask_b32_e32 v24, 1, v70, vcc
	s_waitcnt lgkmcnt(1)
	v_cndmask_b32_e32 v68, 0, v71, vcc
	v_mul_lo_u32 v29, v24, v29
	v_mad_u64_u32 v[24:25], s[0:1], v24, v28, 0
	v_mul_lo_u32 v28, v68, v28
	v_add3_u32 v25, v25, v29, v28
	v_and_b32_e32 v28, 1, v66
	v_cmp_eq_u32_e32 vcc, 1, v28
	s_waitcnt lgkmcnt(0)
	v_and_b32_e32 v28, 1, v69
	v_cmp_eq_u32_e64 s[0:1], 1, v28
	s_or_b64 s[0:1], vcc, s[0:1]
	v_mov_b64_e32 v[28:29], v[24:25]
	v_cndmask_b32_e64 v66, 0, 1, s[0:1]
	v_cndmask_b32_e64 v68, 0, 1, s[0:1]
	s_and_b64 s[0:1], s[0:1], exec
	s_or_b64 s[52:53], s[52:53], s[0:1]
.LBB76_149:                             ;   in Loop: Header=BB76_136 Depth=1
	;; [unrolled: 33-line block ×3, first 2 shown]
	s_or_b64 exec, exec, s[56:57]
	s_waitcnt lgkmcnt(0)
	ds_bpermute_b32 v69, v63, v24
	ds_bpermute_b32 v25, v63, v25
	;; [unrolled: 1-line block ×3, first 2 shown]
	v_cmp_le_u32_e32 vcc, v64, v67
	s_and_saveexec_b64 s[56:57], vcc
	s_cbranch_execz .LBB76_135
; %bb.152:                              ;   in Loop: Header=BB76_136 Depth=1
	v_cmp_eq_u16_sdwa vcc, v66, v9 src0_sel:BYTE_0 src1_sel:DWORD
	s_waitcnt lgkmcnt(0)
	v_and_b32_e32 v24, 1, v24
	s_andn2_b64 s[52:53], s[52:53], exec
	v_cndmask_b32_e32 v67, 1, v69, vcc
	v_cndmask_b32_e32 v25, 0, v25, vcc
	v_mul_lo_u32 v29, v67, v29
	v_mad_u64_u32 v[68:69], s[0:1], v67, v28, 0
	v_mul_lo_u32 v25, v25, v28
	v_add3_u32 v69, v69, v29, v25
	v_and_b32_e32 v25, 1, v66
	v_cmp_eq_u32_e32 vcc, 1, v25
	v_cmp_eq_u32_e64 s[0:1], 1, v24
	s_or_b64 s[0:1], vcc, s[0:1]
	s_and_b64 s[0:1], s[0:1], exec
	s_or_b64 s[52:53], s[52:53], s[0:1]
	v_mov_b64_e32 v[28:29], v[68:69]
	s_branch .LBB76_135
.LBB76_153:                             ;   in Loop: Header=BB76_136 Depth=1
                                        ; implicit-def: $vgpr29
                                        ; implicit-def: $vgpr24_vgpr25
                                        ; implicit-def: $vgpr51
	s_cbranch_execz .LBB76_136
; %bb.154:
	s_and_saveexec_b64 s[0:1], s[34:35]
	s_cbranch_execz .LBB76_156
; %bb.155:
	v_mov_b32_e32 v12, 0
	v_cmp_eq_u32_sdwa vcc, v50, v12 src0_sel:BYTE_0 src1_sel:DWORD
	s_mov_b32 s41, 0
	s_add_i32 s40, s47, 64
	v_cndmask_b32_e32 v8, 1, v20, vcc
	v_cndmask_b32_e32 v9, 0, v21, vcc
	v_mul_lo_u32 v13, v9, v48
	v_mul_lo_u32 v24, v8, v49
	v_mad_u64_u32 v[8:9], s[52:53], v8, v48, 0
	s_lshl_b64 s[52:53], s[40:41], 4
	v_add3_u32 v9, v9, v24, v13
	v_and_b32_e32 v13, 1, v50
	s_add_u32 s52, s42, s52
	v_and_b32_e32 v24, 1, v62
	v_cmp_eq_u32_e32 vcc, 1, v13
	s_addc_u32 s53, s43, s53
	s_nop 0
	v_cndmask_b32_e64 v13, v24, 1, vcc
	global_store_dword v12, v8, s[52:53] sc1
	global_store_dword v12, v9, s[52:53] offset:4 sc1
	global_store_dword v12, v13, s[52:53] offset:8 sc1
	;; [unrolled: 1-line block ×3, first 2 shown]
	v_mov_b32_e32 v8, s40
	v_mov_b32_e32 v9, 2
	s_waitcnt vmcnt(0)
	global_store_byte v8, v9, s[44:45] sc1
.LBB76_156:
	s_or_b64 exec, exec, s[0:1]
	s_and_b64 exec, exec, s[36:37]
	s_cbranch_execz .LBB76_158
; %bb.157:
	v_mov_b32_e32 v8, 0
	ds_write_b64 v8, v[20:21] offset:48
	ds_write_b8 v8, v62 offset:56
.LBB76_158:
	s_or_b64 exec, exec, s[50:51]
	v_mov_b32_e32 v20, 0
	s_waitcnt lgkmcnt(0)
	s_barrier
	ds_read_b64 v[8:9], v20 offset:48
	v_mov_b32_e32 v21, v1
	v_mov_b64_e32 v[12:13], v[2:3]
	s_and_saveexec_b64 s[40:41], s[4:5]
	s_cbranch_execz .LBB76_160
; %bb.159:
	v_cndmask_b32_e64 v12, v44, v40, s[34:35]
	v_and_b32_e32 v13, 1, v1
	v_and_b32_e32 v12, 1, v12
	v_cmp_eq_u32_e32 vcc, 1, v13
	v_cmp_eq_u32_e64 s[0:1], 1, v12
	v_cndmask_b32_e64 v5, v45, v5, s[34:35]
	v_cndmask_b32_e64 v4, v41, v4, s[34:35]
	s_or_b64 s[0:1], vcc, s[0:1]
	v_cmp_eq_u16_sdwa vcc, v1, v20 src0_sel:BYTE_0 src1_sel:DWORD
	v_cndmask_b32_e64 v21, 0, 1, s[0:1]
	s_nop 0
	v_cndmask_b32_e32 v4, 1, v4, vcc
	v_cndmask_b32_e32 v5, 0, v5, vcc
	v_mul_lo_u32 v5, v5, v2
	v_mul_lo_u32 v24, v4, v3
	v_mad_u64_u32 v[12:13], s[0:1], v4, v2, 0
	v_add3_u32 v13, v13, v24, v5
.LBB76_160:
	s_or_b64 exec, exec, s[40:41]
	v_cmp_eq_u16_sdwa vcc, v21, v20 src0_sel:BYTE_0 src1_sel:DWORD
	s_waitcnt lgkmcnt(0)
	s_nop 0
	v_cndmask_b32_e32 v4, 1, v8, vcc
	v_cndmask_b32_e32 v5, 0, v9, vcc
	v_mul_lo_u32 v5, v5, v12
	v_mul_lo_u32 v8, v4, v13
	v_mad_u64_u32 v[48:49], s[0:1], v4, v12, 0
	v_add3_u32 v49, v49, v8, v5
	v_cndmask_b32_e64 v4, 0, v49, s[30:31]
	v_cndmask_b32_e64 v5, 1, v48, s[30:31]
	v_mul_lo_u32 v4, v4, v14
	v_mul_lo_u32 v8, v5, v15
	v_mad_u64_u32 v[50:51], s[0:1], v5, v14, 0
	v_add3_u32 v51, v51, v8, v4
	v_cndmask_b32_e64 v4, 0, v51, s[28:29]
	v_cndmask_b32_e64 v5, 1, v50, s[28:29]
	;; [unrolled: 6-line block ×13, first 2 shown]
	v_mul_lo_u32 v4, v4, v16
	v_mul_lo_u32 v8, v5, v17
	v_mad_u64_u32 v[74:75], s[0:1], v5, v16, 0
	v_add3_u32 v75, v75, v8, v4
	s_branch .LBB76_191
.LBB76_161:
                                        ; implicit-def: $vgpr74_vgpr75
                                        ; implicit-def: $vgpr70_vgpr71
                                        ; implicit-def: $vgpr66_vgpr67
                                        ; implicit-def: $vgpr62_vgpr63
                                        ; implicit-def: $vgpr58_vgpr59
                                        ; implicit-def: $vgpr54_vgpr55
                                        ; implicit-def: $vgpr50_vgpr51
	s_cbranch_execz .LBB76_191
; %bb.162:
	s_cmp_lg_u64 s[64:65], 0
	s_cselect_b32 s7, s59, 0
	s_cselect_b32 s6, s58, 0
	s_cmp_lg_u64 s[6:7], 0
	s_cselect_b64 s[0:1], -1, 0
	s_and_b64 s[8:9], s[36:37], s[0:1]
	s_and_saveexec_b64 s[0:1], s[8:9]
	s_cbranch_execz .LBB76_164
; %bb.163:
	v_mov_b32_e32 v8, 0
	global_load_dwordx2 v[4:5], v8, s[6:7]
	global_load_ubyte v9, v8, s[6:7] offset:8
	v_cmp_eq_u16_sdwa vcc, v1, v8 src0_sel:BYTE_0 src1_sel:DWORD
	s_waitcnt vmcnt(0)
	v_or_b32_e32 v1, v1, v9
	v_cndmask_b32_e32 v4, 1, v4, vcc
	v_cndmask_b32_e32 v5, 0, v5, vcc
	v_mul_lo_u32 v5, v5, v2
	v_mul_lo_u32 v8, v4, v3
	v_mad_u64_u32 v[2:3], s[6:7], v4, v2, 0
	v_add3_u32 v3, v3, v8, v5
	v_and_b32_e32 v1, 1, v1
.LBB76_164:
	s_or_b64 exec, exec, s[0:1]
	v_mov_b32_e32 v5, 0
	v_cmp_eq_u16_sdwa s[28:29], v82, v5 src0_sel:BYTE_0 src1_sel:DWORD
	v_cmp_eq_u16_sdwa s[26:27], v81, v5 src0_sel:BYTE_0 src1_sel:DWORD
	v_cmp_eq_u16_sdwa s[24:25], v83, v5 src0_sel:BYTE_0 src1_sel:DWORD
	v_cndmask_b32_e64 v8, 1, v2, s[28:29]
	v_cndmask_b32_e64 v9, 0, v3, s[28:29]
	v_mul_lo_u32 v9, v9, v14
	v_mul_lo_u32 v12, v8, v15
	v_mad_u64_u32 v[50:51], s[0:1], v8, v14, 0
	v_add3_u32 v51, v51, v12, v9
	v_cndmask_b32_e64 v8, 0, v51, s[26:27]
	v_cndmask_b32_e64 v9, 1, v50, s[26:27]
	v_mul_lo_u32 v8, v8, v6
	v_mul_lo_u32 v12, v9, v7
	v_mad_u64_u32 v[52:53], s[0:1], v9, v6, 0
	v_add3_u32 v53, v53, v12, v8
	v_cndmask_b32_e64 v8, 0, v53, s[24:25]
	v_cndmask_b32_e64 v9, 1, v52, s[24:25]
	v_mul_lo_u32 v8, v8, v22
	v_mul_lo_u32 v12, v9, v23
	v_mad_u64_u32 v[54:55], s[0:1], v9, v22, 0
	v_add3_u32 v55, v55, v12, v8
	v_cmp_eq_u16_sdwa s[22:23], v84, v5 src0_sel:BYTE_0 src1_sel:DWORD
	v_cmp_eq_u16_sdwa s[20:21], v85, v5 src0_sel:BYTE_0 src1_sel:DWORD
	v_cmp_eq_u16_sdwa s[18:19], v86, v5 src0_sel:BYTE_0 src1_sel:DWORD
	v_cndmask_b32_e64 v8, 0, v55, s[22:23]
	v_cndmask_b32_e64 v9, 1, v54, s[22:23]
	v_mul_lo_u32 v8, v8, v10
	v_mul_lo_u32 v12, v9, v11
	v_mad_u64_u32 v[56:57], s[0:1], v9, v10, 0
	v_add3_u32 v57, v57, v12, v8
	v_cndmask_b32_e64 v8, 0, v57, s[20:21]
	v_cndmask_b32_e64 v9, 1, v56, s[20:21]
	v_mul_lo_u32 v8, v8, v30
	v_mul_lo_u32 v12, v9, v31
	v_mad_u64_u32 v[58:59], s[0:1], v9, v30, 0
	v_add3_u32 v59, v59, v12, v8
	v_cndmask_b32_e64 v8, 0, v59, s[18:19]
	v_cndmask_b32_e64 v9, 1, v58, s[18:19]
	v_mul_lo_u32 v8, v8, v18
	v_mul_lo_u32 v12, v9, v19
	v_mad_u64_u32 v[60:61], s[0:1], v9, v18, 0
	v_add3_u32 v61, v61, v12, v8
	;; [unrolled: 21-line block ×4, first 2 shown]
	v_cmp_eq_u16_sdwa vcc, v33, v5 src0_sel:BYTE_0 src1_sel:DWORD
	v_and_b32_e32 v4, 0xff, v1
	v_mbcnt_hi_u32_b32 v20, -1, v36
	v_cndmask_b32_e32 v5, 0, v73, vcc
	v_cndmask_b32_e32 v8, 1, v72, vcc
	v_mul_lo_u32 v5, v5, v16
	v_mul_lo_u32 v9, v8, v17
	v_mad_u64_u32 v[74:75], s[0:1], v8, v16, 0
	v_add3_u32 v75, v75, v9, v5
	v_or_b32_e32 v5, v37, v90
	v_or_b32_e32 v5, v5, v89
	;; [unrolled: 1-line block ×10, first 2 shown]
	v_and_b32_e32 v5, 1, v5
	v_cmp_eq_u32_e64 s[0:1], 1, v5
	v_and_b32_e32 v12, 15, v20
	v_mov_b32_dpp v24, v74 row_shr:1 row_mask:0xf bank_mask:0xf
	v_cndmask_b32_e64 v21, v4, 1, s[0:1]
	v_mov_b32_dpp v25, v75 row_shr:1 row_mask:0xf bank_mask:0xf
	v_cmp_ne_u32_e64 s[0:1], 0, v12
	v_mov_b32_dpp v13, v21 row_shr:1 row_mask:0xf bank_mask:0xf
	v_mov_b64_e32 v[4:5], v[74:75]
	v_mov_b32_e32 v9, v75
	v_mov_b32_e32 v8, v74
	s_and_saveexec_b64 s[30:31], s[0:1]
; %bb.165:
	v_cmp_eq_u32_e64 s[0:1], 0, v21
	v_and_or_b32 v21, v13, 1, v21
	s_nop 0
	v_cndmask_b32_e64 v4, 1, v24, s[0:1]
	v_cndmask_b32_e64 v8, 0, v25, s[0:1]
	v_mul_lo_u32 v9, v75, v4
	v_mad_u64_u32 v[4:5], s[0:1], v74, v4, 0
	v_mul_lo_u32 v8, v74, v8
	v_add3_u32 v5, v5, v8, v9
	v_mov_b32_e32 v9, v5
	v_mov_b32_e32 v8, v4
; %bb.166:
	s_or_b64 exec, exec, s[30:31]
	s_nop 0
	v_mov_b32_dpp v24, v8 row_shr:2 row_mask:0xf bank_mask:0xf
	v_mov_b32_dpp v25, v9 row_shr:2 row_mask:0xf bank_mask:0xf
	v_mov_b32_dpp v13, v21 row_shr:2 row_mask:0xf bank_mask:0xf
	v_cmp_lt_u32_e64 s[0:1], 1, v12
	s_and_saveexec_b64 s[30:31], s[0:1]
; %bb.167:
	v_cmp_eq_u32_e64 s[0:1], 0, v21
	s_nop 1
	v_cndmask_b32_e64 v8, 1, v24, s[0:1]
	v_cndmask_b32_e64 v24, 0, v25, s[0:1]
	v_mul_lo_u32 v5, v8, v5
	v_mad_u64_u32 v[8:9], s[0:1], v8, v4, 0
	v_mul_lo_u32 v4, v24, v4
	v_add3_u32 v9, v9, v5, v4
	v_or_b32_e32 v4, v13, v21
	v_and_b32_e32 v21, 1, v4
	v_mov_b64_e32 v[4:5], v[8:9]
; %bb.168:
	s_or_b64 exec, exec, s[30:31]
	v_mov_b32_dpp v24, v8 row_shr:4 row_mask:0xf bank_mask:0xf
	v_mov_b32_dpp v25, v9 row_shr:4 row_mask:0xf bank_mask:0xf
	v_mov_b32_dpp v13, v21 row_shr:4 row_mask:0xf bank_mask:0xf
	v_cmp_lt_u32_e64 s[0:1], 3, v12
	s_and_saveexec_b64 s[30:31], s[0:1]
; %bb.169:
	v_cmp_eq_u32_e64 s[0:1], 0, v21
	s_nop 1
	v_cndmask_b32_e64 v8, 1, v24, s[0:1]
	v_cndmask_b32_e64 v24, 0, v25, s[0:1]
	v_mul_lo_u32 v5, v8, v5
	v_mad_u64_u32 v[8:9], s[0:1], v8, v4, 0
	v_mul_lo_u32 v4, v24, v4
	v_add3_u32 v9, v9, v5, v4
	v_or_b32_e32 v4, v13, v21
	v_and_b32_e32 v21, 1, v4
	v_mov_b64_e32 v[4:5], v[8:9]
; %bb.170:
	s_or_b64 exec, exec, s[30:31]
	;; [unrolled: 19-line block ×3, first 2 shown]
	v_and_b32_e32 v25, 16, v20
	v_mov_b32_dpp v13, v8 row_bcast:15 row_mask:0xf bank_mask:0xf
	v_mov_b32_dpp v24, v9 row_bcast:15 row_mask:0xf bank_mask:0xf
	;; [unrolled: 1-line block ×3, first 2 shown]
	v_cmp_ne_u32_e64 s[0:1], 0, v25
	s_and_saveexec_b64 s[30:31], s[0:1]
; %bb.173:
	v_cmp_eq_u32_e64 s[0:1], 0, v21
	s_nop 1
	v_cndmask_b32_e64 v8, 1, v13, s[0:1]
	v_cndmask_b32_e64 v13, 0, v24, s[0:1]
	v_mul_lo_u32 v5, v8, v5
	v_mad_u64_u32 v[8:9], s[0:1], v8, v4, 0
	v_mul_lo_u32 v4, v13, v4
	v_add3_u32 v9, v9, v5, v4
	v_or_b32_e32 v4, v12, v21
	v_and_b32_e32 v21, 1, v4
	v_mov_b64_e32 v[4:5], v[8:9]
; %bb.174:
	s_or_b64 exec, exec, s[30:31]
	v_mov_b32_dpp v12, v8 row_bcast:31 row_mask:0xf bank_mask:0xf
	v_mov_b32_dpp v13, v9 row_bcast:31 row_mask:0xf bank_mask:0xf
	v_mov_b32_dpp v9, v21 row_bcast:31 row_mask:0xf bank_mask:0xf
	v_cmp_lt_u32_e64 s[0:1], 31, v20
	v_mov_b32_e32 v8, v21
	s_and_saveexec_b64 s[30:31], s[0:1]
; %bb.175:
	v_cmp_eq_u32_e64 s[0:1], 0, v21
	s_nop 1
	v_cndmask_b32_e64 v8, 1, v12, s[0:1]
	v_cndmask_b32_e64 v24, 0, v13, s[0:1]
	v_mul_lo_u32 v5, v8, v5
	v_mad_u64_u32 v[12:13], s[0:1], v8, v4, 0
	v_mul_lo_u32 v4, v24, v4
	v_add3_u32 v13, v13, v5, v4
	v_or_b32_e32 v4, v9, v21
	v_and_b32_e32 v8, 1, v4
	v_and_b32_e32 v21, 1, v4
	v_mov_b64_e32 v[4:5], v[12:13]
; %bb.176:
	s_or_b64 exec, exec, s[30:31]
	v_or_b32_e32 v9, 63, v0
	v_lshrrev_b32_e32 v24, 6, v0
	v_cmp_eq_u32_e64 s[0:1], v9, v0
	s_and_saveexec_b64 s[30:31], s[0:1]
	s_cbranch_execz .LBB76_178
; %bb.177:
	v_lshlrev_b32_e32 v9, 4, v24
	ds_write_b64 v9, v[4:5]
	ds_write_b8 v9, v8 offset:8
.LBB76_178:
	s_or_b64 exec, exec, s[30:31]
	v_cmp_gt_u32_e64 s[0:1], 4, v0
	s_waitcnt lgkmcnt(0)
	s_barrier
	s_and_saveexec_b64 s[34:35], s[0:1]
	s_cbranch_execz .LBB76_184
; %bb.179:
	v_lshlrev_b32_e32 v25, 4, v0
	ds_read_b64 v[8:9], v25
	ds_read_b32 v28, v25 offset:8
	v_and_b32_e32 v29, 3, v20
	v_cmp_ne_u32_e64 s[0:1], 0, v29
	s_waitcnt lgkmcnt(1)
	v_mov_b32_dpp v40, v8 row_shr:1 row_mask:0xf bank_mask:0xf
	v_mov_b32_dpp v41, v9 row_shr:1 row_mask:0xf bank_mask:0xf
	s_waitcnt lgkmcnt(0)
	v_mov_b32_dpp v37, v28 row_shr:1 row_mask:0xf bank_mask:0xf
	v_mov_b32_e32 v36, v28
	v_mov_b32_e32 v33, v28
	;; [unrolled: 1-line block ×4, first 2 shown]
	s_and_saveexec_b64 s[30:31], s[0:1]
	s_cbranch_execz .LBB76_181
; %bb.180:
	v_mov_b32_e32 v12, 0
	v_cmp_eq_u16_sdwa s[0:1], v28, v12 src0_sel:BYTE_0 src1_sel:DWORD
	s_nop 1
	v_cndmask_b32_e64 v12, 1, v40, s[0:1]
	v_cndmask_b32_e64 v33, 0, v41, s[0:1]
	v_mul_lo_u32 v9, v12, v9
	v_mad_u64_u32 v[12:13], s[0:1], v12, v8, 0
	v_mul_lo_u32 v8, v33, v8
	v_add3_u32 v13, v13, v9, v8
	v_or_b32_e32 v8, v37, v28
	v_and_b32_e32 v33, 1, v8
	s_movk_i32 s0, 0xff00
	v_and_b32_e32 v36, 1, v8
	v_and_or_b32 v28, v28, s0, v33
	v_mov_b64_e32 v[8:9], v[12:13]
.LBB76_181:
	s_or_b64 exec, exec, s[30:31]
	v_mov_b32_dpp v37, v12 row_shr:2 row_mask:0xf bank_mask:0xf
	v_mov_b32_dpp v13, v13 row_shr:2 row_mask:0xf bank_mask:0xf
	;; [unrolled: 1-line block ×3, first 2 shown]
	v_cmp_lt_u32_e64 s[0:1], 1, v29
	s_and_saveexec_b64 s[40:41], s[0:1]
	s_cbranch_execz .LBB76_183
; %bb.182:
	v_mov_b32_e32 v28, 0
	v_cmp_eq_u16_sdwa s[0:1], v33, v28 src0_sel:BYTE_0 src1_sel:DWORD
	s_nop 1
	v_cndmask_b32_e64 v28, 1, v37, s[0:1]
	v_cndmask_b32_e64 v13, 0, v13, s[0:1]
	v_mul_lo_u32 v9, v28, v9
	v_mad_u64_u32 v[28:29], s[0:1], v28, v8, 0
	v_mul_lo_u32 v8, v13, v8
	v_add3_u32 v29, v29, v9, v8
	v_and_b32_e32 v8, 1, v33
	v_cmp_eq_u32_e64 s[0:1], 1, v8
	v_and_b32_e32 v8, 1, v12
	v_cmp_eq_u32_e64 s[30:31], 1, v8
	s_or_b64 s[0:1], s[0:1], s[30:31]
	v_cndmask_b32_e64 v36, 0, 1, s[0:1]
	v_mov_b64_e32 v[8:9], v[28:29]
.LBB76_183:
	s_or_b64 exec, exec, s[40:41]
	ds_write_b64 v25, v[8:9]
	ds_write_b8 v25, v36 offset:8
.LBB76_184:
	s_or_b64 exec, exec, s[34:35]
	v_cmp_lt_u32_e64 s[0:1], 63, v0
	v_mov_b64_e32 v[8:9], 0
	s_waitcnt lgkmcnt(0)
	s_barrier
	s_and_saveexec_b64 s[30:31], s[0:1]
	s_cbranch_execz .LBB76_186
; %bb.185:
	v_lshl_add_u32 v8, v24, 4, -16
	ds_read_b64 v[8:9], v8
	v_cmp_eq_u32_e64 s[0:1], 0, v21
	s_waitcnt lgkmcnt(0)
	s_nop 0
	v_cndmask_b32_e64 v12, 1, v8, s[0:1]
	v_cndmask_b32_e64 v13, 0, v9, s[0:1]
	v_mul_lo_u32 v13, v13, v4
	v_mul_lo_u32 v21, v12, v5
	v_mad_u64_u32 v[4:5], s[0:1], v12, v4, 0
	v_add3_u32 v5, v5, v21, v13
.LBB76_186:
	s_or_b64 exec, exec, s[30:31]
	v_add_u32_e32 v12, -1, v20
	v_and_b32_e32 v13, 64, v20
	v_cmp_lt_i32_e64 s[0:1], v12, v13
	s_nop 1
	v_cndmask_b32_e64 v12, v12, v20, s[0:1]
	v_lshlrev_b32_e32 v12, 2, v12
	ds_bpermute_b32 v4, v12, v4
	ds_bpermute_b32 v5, v12, v5
	s_and_saveexec_b64 s[30:31], s[4:5]
	s_cbranch_execz .LBB76_188
; %bb.187:
	v_cmp_eq_u32_e64 s[0:1], 0, v20
	;;#ASMSTART
	;;#ASMEND
	s_waitcnt lgkmcnt(1)
	s_nop 0
	v_cndmask_b32_e64 v4, v4, v8, s[0:1]
	v_mov_b32_e32 v8, 0
	s_waitcnt lgkmcnt(0)
	v_cndmask_b32_e64 v5, v5, v9, s[0:1]
	v_cmp_eq_u16_sdwa s[0:1], v1, v8 src0_sel:BYTE_0 src1_sel:DWORD
	s_nop 1
	v_cndmask_b32_e64 v1, 1, v4, s[0:1]
	v_cndmask_b32_e64 v4, 0, v5, s[0:1]
	v_mul_lo_u32 v4, v4, v2
	v_mul_lo_u32 v5, v1, v3
	v_mad_u64_u32 v[2:3], s[0:1], v1, v2, 0
	v_add3_u32 v3, v3, v5, v4
	v_cndmask_b32_e64 v1, 0, v3, s[28:29]
	v_cndmask_b32_e64 v4, 1, v2, s[28:29]
	v_mul_lo_u32 v1, v1, v14
	v_mul_lo_u32 v5, v4, v15
	v_mad_u64_u32 v[50:51], s[0:1], v4, v14, 0
	v_add3_u32 v51, v51, v5, v1
	;; [unrolled: 6-line block ×13, first 2 shown]
	v_cndmask_b32_e32 v1, 0, v73, vcc
	v_cndmask_b32_e32 v4, 1, v72, vcc
	v_mul_lo_u32 v1, v1, v16
	v_mul_lo_u32 v5, v4, v17
	v_mad_u64_u32 v[74:75], s[0:1], v4, v16, 0
	v_add3_u32 v75, v75, v5, v1
.LBB76_188:
	s_or_b64 exec, exec, s[30:31]
	s_and_saveexec_b64 s[0:1], s[36:37]
	s_cbranch_execz .LBB76_190
; %bb.189:
	v_mov_b32_e32 v1, 0
	s_waitcnt lgkmcnt(0)
	ds_read_b64 v[4:5], v1 offset:48
	ds_read_u8 v6, v1 offset:56
	s_waitcnt lgkmcnt(1)
	global_store_dword v1, v4, s[42:43] offset:1024 sc1
	global_store_dword v1, v5, s[42:43] offset:1028 sc1
	s_waitcnt lgkmcnt(0)
	global_store_dword v1, v6, s[42:43] offset:1032 sc1
	global_store_dword v1, v1, s[42:43] offset:1036 sc1
	v_mov_b32_e32 v4, 2
	s_waitcnt vmcnt(0)
	global_store_byte v1, v4, s[44:45] offset:64 sc1
.LBB76_190:
	s_or_b64 exec, exec, s[0:1]
	v_mov_b64_e32 v[48:49], v[2:3]
.LBB76_191:
	s_add_u32 s0, s54, s38
	s_addc_u32 s1, s55, s39
	s_add_u32 s0, s0, s48
	v_mul_u32_u24_e32 v1, 14, v0
	s_addc_u32 s1, s1, s49
	s_and_b64 vcc, exec, s[2:3]
	v_lshlrev_b32_e32 v30, 3, v1
	s_cbranch_vccz .LBB76_219
; %bb.192:
	s_movk_i32 s2, 0xff98
	v_mad_i32_i24 v1, v0, s2, v30
	s_waitcnt lgkmcnt(0)
	s_barrier
	ds_write_b128 v30, v[48:51]
	ds_write_b128 v30, v[52:55] offset:16
	ds_write_b128 v30, v[56:59] offset:32
	;; [unrolled: 1-line block ×6, first 2 shown]
	s_waitcnt lgkmcnt(0)
	s_barrier
	ds_read2st64_b64 v[26:29], v1 offset0:4 offset1:8
	ds_read2st64_b64 v[22:25], v1 offset0:12 offset1:16
	;; [unrolled: 1-line block ×6, first 2 shown]
	ds_read_b64 v[4:5], v1 offset:26624
	s_add_i32 s33, s33, s46
	v_mov_b32_e32 v33, 0
	v_lshl_add_u64 v[2:3], s[0:1], 0, v[32:33]
	v_cmp_gt_u32_e32 vcc, s33, v0
	s_and_saveexec_b64 s[2:3], vcc
	s_cbranch_execz .LBB76_194
; %bb.193:
	v_mul_i32_i24_e32 v1, 0xffffff98, v0
	v_add_u32_e32 v1, v30, v1
	ds_read_b64 v[34:35], v1
	s_waitcnt lgkmcnt(0)
	flat_store_dwordx2 v[2:3], v[34:35]
.LBB76_194:
	s_or_b64 exec, exec, s[2:3]
	v_or_b32_e32 v1, 0x100, v0
	v_cmp_gt_u32_e32 vcc, s33, v1
	s_and_saveexec_b64 s[2:3], vcc
	s_cbranch_execz .LBB76_196
; %bb.195:
	s_waitcnt lgkmcnt(0)
	flat_store_dwordx2 v[2:3], v[26:27] offset:2048
.LBB76_196:
	s_or_b64 exec, exec, s[2:3]
	v_or_b32_e32 v1, 0x200, v0
	v_cmp_gt_u32_e32 vcc, s33, v1
	s_and_saveexec_b64 s[2:3], vcc
	s_cbranch_execz .LBB76_198
; %bb.197:
	s_waitcnt lgkmcnt(0)
	v_add_co_u32_e32 v26, vcc, 0x1000, v2
	s_nop 1
	v_addc_co_u32_e32 v27, vcc, 0, v3, vcc
	flat_store_dwordx2 v[26:27], v[28:29]
.LBB76_198:
	s_or_b64 exec, exec, s[2:3]
	v_or_b32_e32 v1, 0x300, v0
	v_cmp_gt_u32_e32 vcc, s33, v1
	s_and_saveexec_b64 s[2:3], vcc
	s_cbranch_execz .LBB76_200
; %bb.199:
	s_waitcnt lgkmcnt(0)
	v_add_co_u32_e32 v26, vcc, 0x1000, v2
	s_nop 1
	v_addc_co_u32_e32 v27, vcc, 0, v3, vcc
	flat_store_dwordx2 v[26:27], v[22:23] offset:2048
.LBB76_200:
	s_or_b64 exec, exec, s[2:3]
	v_or_b32_e32 v1, 0x400, v0
	v_cmp_gt_u32_e32 vcc, s33, v1
	s_and_saveexec_b64 s[2:3], vcc
	s_cbranch_execz .LBB76_202
; %bb.201:
	s_waitcnt lgkmcnt(0)
	v_add_co_u32_e32 v22, vcc, 0x2000, v2
	s_nop 1
	v_addc_co_u32_e32 v23, vcc, 0, v3, vcc
	flat_store_dwordx2 v[22:23], v[24:25]
.LBB76_202:
	s_or_b64 exec, exec, s[2:3]
	v_or_b32_e32 v1, 0x500, v0
	v_cmp_gt_u32_e32 vcc, s33, v1
	s_and_saveexec_b64 s[2:3], vcc
	s_cbranch_execz .LBB76_204
; %bb.203:
	s_waitcnt lgkmcnt(0)
	v_add_co_u32_e32 v22, vcc, 0x2000, v2
	s_nop 1
	v_addc_co_u32_e32 v23, vcc, 0, v3, vcc
	flat_store_dwordx2 v[22:23], v[18:19] offset:2048
.LBB76_204:
	;; [unrolled: 24-line block ×5, first 2 shown]
	s_or_b64 exec, exec, s[2:3]
	v_or_b32_e32 v1, 0xc00, v0
	v_cmp_gt_u32_e32 vcc, s33, v1
	s_and_saveexec_b64 s[2:3], vcc
	s_cbranch_execz .LBB76_218
; %bb.217:
	v_add_co_u32_e32 v2, vcc, 0x6000, v2
	s_nop 1
	v_addc_co_u32_e32 v3, vcc, 0, v3, vcc
	s_waitcnt lgkmcnt(0)
	flat_store_dwordx2 v[2:3], v[8:9]
.LBB76_218:
	s_or_b64 exec, exec, s[2:3]
	v_or_b32_e32 v2, 0xd00, v0
	v_mov_b32_e32 v1, v33
	v_cmp_gt_u32_e64 s[2:3], s33, v2
	s_branch .LBB76_221
.LBB76_219:
	s_mov_b64 s[2:3], 0
                                        ; implicit-def: $vgpr4_vgpr5
	s_cbranch_execz .LBB76_221
; %bb.220:
	v_mov_b32_e32 v1, 0
	s_movk_i32 s4, 0xff98
	v_mad_i32_i24 v2, v0, s4, v30
	v_mov_b32_e32 v33, v1
	s_waitcnt lgkmcnt(0)
	s_barrier
	ds_write_b128 v30, v[48:51]
	ds_write_b128 v30, v[52:55] offset:16
	ds_write_b128 v30, v[56:59] offset:32
	;; [unrolled: 1-line block ×6, first 2 shown]
	s_waitcnt lgkmcnt(0)
	s_barrier
	ds_read2st64_b64 v[6:9], v2 offset1:4
	ds_read2st64_b64 v[10:13], v2 offset0:8 offset1:12
	ds_read2st64_b64 v[14:17], v2 offset0:16 offset1:20
	;; [unrolled: 1-line block ×6, first 2 shown]
	v_lshl_add_u64 v[30:31], s[0:1], 0, v[32:33]
	s_movk_i32 s4, 0x1000
	s_waitcnt lgkmcnt(0)
	flat_store_dwordx2 v[30:31], v[6:7]
	flat_store_dwordx2 v[30:31], v[8:9] offset:2048
	v_add_co_u32_e32 v6, vcc, s4, v30
	s_movk_i32 s4, 0x2000
	s_nop 0
	v_addc_co_u32_e32 v7, vcc, 0, v31, vcc
	flat_store_dwordx2 v[6:7], v[10:11]
	flat_store_dwordx2 v[6:7], v[12:13] offset:2048
	v_add_co_u32_e32 v6, vcc, s4, v30
	s_movk_i32 s4, 0x3000
	s_nop 0
	v_addc_co_u32_e32 v7, vcc, 0, v31, vcc
	;; [unrolled: 6-line block ×3, first 2 shown]
	flat_store_dwordx2 v[6:7], v[18:19]
	flat_store_dwordx2 v[6:7], v[20:21] offset:2048
	v_add_co_u32_e32 v6, vcc, s4, v30
	s_or_b64 s[2:3], s[2:3], exec
	s_nop 0
	v_addc_co_u32_e32 v7, vcc, 0, v31, vcc
	flat_store_dwordx2 v[6:7], v[22:23]
	flat_store_dwordx2 v[6:7], v[24:25] offset:2048
	v_add_co_u32_e32 v6, vcc, 0x5000, v30
	s_nop 1
	v_addc_co_u32_e32 v7, vcc, 0, v31, vcc
	flat_store_dwordx2 v[6:7], v[26:27]
	flat_store_dwordx2 v[6:7], v[28:29] offset:2048
	v_add_co_u32_e32 v6, vcc, 0x6000, v30
	s_nop 1
	v_addc_co_u32_e32 v7, vcc, 0, v31, vcc
	flat_store_dwordx2 v[6:7], v[2:3]
.LBB76_221:
	s_and_saveexec_b64 s[4:5], s[2:3]
	s_cbranch_execnz .LBB76_223
; %bb.222:
	s_endpgm
.LBB76_223:
	v_lshl_add_u64 v[0:1], v[0:1], 3, s[0:1]
	v_add_co_u32_e32 v0, vcc, 0x6000, v0
	s_nop 1
	v_addc_co_u32_e32 v1, vcc, 0, v1, vcc
	s_waitcnt lgkmcnt(0)
	flat_store_dwordx2 v[0:1], v[4:5] offset:2048
	s_endpgm
.LBB76_224:
	v_lshl_add_u64 v[30:31], s[50:51], 0, v[26:27]
	flat_load_dwordx2 v[30:31], v[30:31]
	s_or_b64 exec, exec, s[0:1]
                                        ; implicit-def: $vgpr32_vgpr33
	s_and_saveexec_b64 s[0:1], s[8:9]
	s_cbranch_execz .LBB76_41
.LBB76_225:
	v_mov_b32_e32 v27, 0
	v_lshl_add_u64 v[32:33], s[50:51], 0, v[26:27]
	flat_load_dwordx2 v[32:33], v[32:33] offset:2048
	s_or_b64 exec, exec, s[0:1]
                                        ; implicit-def: $vgpr34_vgpr35
	s_and_saveexec_b64 s[0:1], s[10:11]
	s_cbranch_execz .LBB76_42
.LBB76_226:
	v_mov_b32_e32 v3, 0
	v_lshl_add_u64 v[2:3], s[50:51], 0, v[2:3]
	flat_load_dwordx2 v[34:35], v[2:3]
	s_or_b64 exec, exec, s[0:1]
                                        ; implicit-def: $vgpr2_vgpr3
	s_and_saveexec_b64 s[0:1], s[12:13]
	s_cbranch_execz .LBB76_43
.LBB76_227:
	v_mov_b32_e32 v5, 0
	v_lshl_add_u64 v[2:3], s[50:51], 0, v[4:5]
	flat_load_dwordx2 v[2:3], v[2:3]
	s_or_b64 exec, exec, s[0:1]
                                        ; implicit-def: $vgpr4_vgpr5
	s_and_saveexec_b64 s[0:1], s[14:15]
	s_cbranch_execz .LBB76_44
.LBB76_228:
	v_mov_b32_e32 v7, 0
	v_lshl_add_u64 v[4:5], s[50:51], 0, v[6:7]
	flat_load_dwordx2 v[4:5], v[4:5]
	s_or_b64 exec, exec, s[0:1]
                                        ; implicit-def: $vgpr6_vgpr7
	s_and_saveexec_b64 s[0:1], s[16:17]
	s_cbranch_execz .LBB76_45
.LBB76_229:
	v_mov_b32_e32 v9, 0
	v_lshl_add_u64 v[6:7], s[50:51], 0, v[8:9]
	flat_load_dwordx2 v[6:7], v[6:7]
	s_or_b64 exec, exec, s[0:1]
                                        ; implicit-def: $vgpr8_vgpr9
	s_and_saveexec_b64 s[0:1], s[18:19]
	s_cbranch_execz .LBB76_46
.LBB76_230:
	v_mov_b32_e32 v11, 0
	v_lshl_add_u64 v[8:9], s[50:51], 0, v[10:11]
	flat_load_dwordx2 v[8:9], v[8:9]
	s_or_b64 exec, exec, s[0:1]
                                        ; implicit-def: $vgpr10_vgpr11
	s_and_saveexec_b64 s[0:1], s[20:21]
	s_cbranch_execz .LBB76_47
.LBB76_231:
	v_mov_b32_e32 v13, 0
	v_lshl_add_u64 v[10:11], s[50:51], 0, v[12:13]
	flat_load_dwordx2 v[10:11], v[10:11]
	s_or_b64 exec, exec, s[0:1]
                                        ; implicit-def: $vgpr12_vgpr13
	s_and_saveexec_b64 s[0:1], s[22:23]
	s_cbranch_execz .LBB76_48
.LBB76_232:
	v_mov_b32_e32 v15, 0
	v_lshl_add_u64 v[12:13], s[50:51], 0, v[14:15]
	flat_load_dwordx2 v[12:13], v[12:13]
	s_or_b64 exec, exec, s[0:1]
                                        ; implicit-def: $vgpr14_vgpr15
	s_and_saveexec_b64 s[0:1], s[24:25]
	s_cbranch_execz .LBB76_49
.LBB76_233:
	v_mov_b32_e32 v17, 0
	v_lshl_add_u64 v[14:15], s[50:51], 0, v[16:17]
	flat_load_dwordx2 v[14:15], v[14:15]
	s_or_b64 exec, exec, s[0:1]
                                        ; implicit-def: $vgpr16_vgpr17
	s_and_saveexec_b64 s[0:1], s[26:27]
	s_cbranch_execz .LBB76_50
.LBB76_234:
	v_mov_b32_e32 v19, 0
	v_lshl_add_u64 v[16:17], s[50:51], 0, v[18:19]
	flat_load_dwordx2 v[16:17], v[16:17]
	s_or_b64 exec, exec, s[0:1]
                                        ; implicit-def: $vgpr18_vgpr19
	s_and_saveexec_b64 s[0:1], s[28:29]
	s_cbranch_execz .LBB76_51
.LBB76_235:
	v_mov_b32_e32 v21, 0
	v_lshl_add_u64 v[18:19], s[50:51], 0, v[20:21]
	flat_load_dwordx2 v[18:19], v[18:19]
	s_or_b64 exec, exec, s[0:1]
                                        ; implicit-def: $vgpr20_vgpr21
	s_and_saveexec_b64 s[0:1], s[30:31]
	s_cbranch_execz .LBB76_52
.LBB76_236:
	v_mov_b32_e32 v23, 0
	v_lshl_add_u64 v[20:21], s[50:51], 0, v[22:23]
	flat_load_dwordx2 v[20:21], v[20:21]
	s_or_b64 exec, exec, s[0:1]
                                        ; implicit-def: $vgpr22_vgpr23
	s_and_saveexec_b64 s[0:1], s[34:35]
	s_cbranch_execnz .LBB76_53
	s_branch .LBB76_54
.LBB76_237:
                                        ; implicit-def: $sgpr0_sgpr1
	s_branch .LBB76_36
.LBB76_238:
                                        ; implicit-def: $sgpr0_sgpr1
	s_branch .LBB76_85
	.section	.rodata,"a",@progbits
	.p2align	6, 0x0
	.amdhsa_kernel _ZN7rocprim17ROCPRIM_400000_NS6detail17trampoline_kernelINS0_14default_configENS1_27scan_by_key_config_selectorIxxEEZZNS1_16scan_by_key_implILNS1_25lookback_scan_determinismE0ELb0ES3_N6thrust23THRUST_200600_302600_NS6detail15normal_iteratorINS9_10device_ptrIxEEEESE_SE_xNS9_10multipliesIxEENS9_8equal_toIxEExEE10hipError_tPvRmT2_T3_T4_T5_mT6_T7_P12ihipStream_tbENKUlT_T0_E_clISt17integral_constantIbLb0EESY_IbLb1EEEEDaSU_SV_EUlSU_E_NS1_11comp_targetILNS1_3genE5ELNS1_11target_archE942ELNS1_3gpuE9ELNS1_3repE0EEENS1_30default_config_static_selectorELNS0_4arch9wavefront6targetE1EEEvT1_
		.amdhsa_group_segment_fixed_size 32768
		.amdhsa_private_segment_fixed_size 0
		.amdhsa_kernarg_size 136
		.amdhsa_user_sgpr_count 2
		.amdhsa_user_sgpr_dispatch_ptr 0
		.amdhsa_user_sgpr_queue_ptr 0
		.amdhsa_user_sgpr_kernarg_segment_ptr 1
		.amdhsa_user_sgpr_dispatch_id 0
		.amdhsa_user_sgpr_kernarg_preload_length 0
		.amdhsa_user_sgpr_kernarg_preload_offset 0
		.amdhsa_user_sgpr_private_segment_size 0
		.amdhsa_uses_dynamic_stack 0
		.amdhsa_enable_private_segment 0
		.amdhsa_system_sgpr_workgroup_id_x 1
		.amdhsa_system_sgpr_workgroup_id_y 0
		.amdhsa_system_sgpr_workgroup_id_z 0
		.amdhsa_system_sgpr_workgroup_info 0
		.amdhsa_system_vgpr_workitem_id 0
		.amdhsa_next_free_vgpr 92
		.amdhsa_next_free_sgpr 70
		.amdhsa_accum_offset 92
		.amdhsa_reserve_vcc 1
		.amdhsa_float_round_mode_32 0
		.amdhsa_float_round_mode_16_64 0
		.amdhsa_float_denorm_mode_32 3
		.amdhsa_float_denorm_mode_16_64 3
		.amdhsa_dx10_clamp 1
		.amdhsa_ieee_mode 1
		.amdhsa_fp16_overflow 0
		.amdhsa_tg_split 0
		.amdhsa_exception_fp_ieee_invalid_op 0
		.amdhsa_exception_fp_denorm_src 0
		.amdhsa_exception_fp_ieee_div_zero 0
		.amdhsa_exception_fp_ieee_overflow 0
		.amdhsa_exception_fp_ieee_underflow 0
		.amdhsa_exception_fp_ieee_inexact 0
		.amdhsa_exception_int_div_zero 0
	.end_amdhsa_kernel
	.section	.text._ZN7rocprim17ROCPRIM_400000_NS6detail17trampoline_kernelINS0_14default_configENS1_27scan_by_key_config_selectorIxxEEZZNS1_16scan_by_key_implILNS1_25lookback_scan_determinismE0ELb0ES3_N6thrust23THRUST_200600_302600_NS6detail15normal_iteratorINS9_10device_ptrIxEEEESE_SE_xNS9_10multipliesIxEENS9_8equal_toIxEExEE10hipError_tPvRmT2_T3_T4_T5_mT6_T7_P12ihipStream_tbENKUlT_T0_E_clISt17integral_constantIbLb0EESY_IbLb1EEEEDaSU_SV_EUlSU_E_NS1_11comp_targetILNS1_3genE5ELNS1_11target_archE942ELNS1_3gpuE9ELNS1_3repE0EEENS1_30default_config_static_selectorELNS0_4arch9wavefront6targetE1EEEvT1_,"axG",@progbits,_ZN7rocprim17ROCPRIM_400000_NS6detail17trampoline_kernelINS0_14default_configENS1_27scan_by_key_config_selectorIxxEEZZNS1_16scan_by_key_implILNS1_25lookback_scan_determinismE0ELb0ES3_N6thrust23THRUST_200600_302600_NS6detail15normal_iteratorINS9_10device_ptrIxEEEESE_SE_xNS9_10multipliesIxEENS9_8equal_toIxEExEE10hipError_tPvRmT2_T3_T4_T5_mT6_T7_P12ihipStream_tbENKUlT_T0_E_clISt17integral_constantIbLb0EESY_IbLb1EEEEDaSU_SV_EUlSU_E_NS1_11comp_targetILNS1_3genE5ELNS1_11target_archE942ELNS1_3gpuE9ELNS1_3repE0EEENS1_30default_config_static_selectorELNS0_4arch9wavefront6targetE1EEEvT1_,comdat
.Lfunc_end76:
	.size	_ZN7rocprim17ROCPRIM_400000_NS6detail17trampoline_kernelINS0_14default_configENS1_27scan_by_key_config_selectorIxxEEZZNS1_16scan_by_key_implILNS1_25lookback_scan_determinismE0ELb0ES3_N6thrust23THRUST_200600_302600_NS6detail15normal_iteratorINS9_10device_ptrIxEEEESE_SE_xNS9_10multipliesIxEENS9_8equal_toIxEExEE10hipError_tPvRmT2_T3_T4_T5_mT6_T7_P12ihipStream_tbENKUlT_T0_E_clISt17integral_constantIbLb0EESY_IbLb1EEEEDaSU_SV_EUlSU_E_NS1_11comp_targetILNS1_3genE5ELNS1_11target_archE942ELNS1_3gpuE9ELNS1_3repE0EEENS1_30default_config_static_selectorELNS0_4arch9wavefront6targetE1EEEvT1_, .Lfunc_end76-_ZN7rocprim17ROCPRIM_400000_NS6detail17trampoline_kernelINS0_14default_configENS1_27scan_by_key_config_selectorIxxEEZZNS1_16scan_by_key_implILNS1_25lookback_scan_determinismE0ELb0ES3_N6thrust23THRUST_200600_302600_NS6detail15normal_iteratorINS9_10device_ptrIxEEEESE_SE_xNS9_10multipliesIxEENS9_8equal_toIxEExEE10hipError_tPvRmT2_T3_T4_T5_mT6_T7_P12ihipStream_tbENKUlT_T0_E_clISt17integral_constantIbLb0EESY_IbLb1EEEEDaSU_SV_EUlSU_E_NS1_11comp_targetILNS1_3genE5ELNS1_11target_archE942ELNS1_3gpuE9ELNS1_3repE0EEENS1_30default_config_static_selectorELNS0_4arch9wavefront6targetE1EEEvT1_
                                        ; -- End function
	.section	.AMDGPU.csdata,"",@progbits
; Kernel info:
; codeLenInByte = 14816
; NumSgprs: 76
; NumVgprs: 92
; NumAgprs: 0
; TotalNumVgprs: 92
; ScratchSize: 0
; MemoryBound: 0
; FloatMode: 240
; IeeeMode: 1
; LDSByteSize: 32768 bytes/workgroup (compile time only)
; SGPRBlocks: 9
; VGPRBlocks: 11
; NumSGPRsForWavesPerEU: 76
; NumVGPRsForWavesPerEU: 92
; AccumOffset: 92
; Occupancy: 2
; WaveLimiterHint : 1
; COMPUTE_PGM_RSRC2:SCRATCH_EN: 0
; COMPUTE_PGM_RSRC2:USER_SGPR: 2
; COMPUTE_PGM_RSRC2:TRAP_HANDLER: 0
; COMPUTE_PGM_RSRC2:TGID_X_EN: 1
; COMPUTE_PGM_RSRC2:TGID_Y_EN: 0
; COMPUTE_PGM_RSRC2:TGID_Z_EN: 0
; COMPUTE_PGM_RSRC2:TIDIG_COMP_CNT: 0
; COMPUTE_PGM_RSRC3_GFX90A:ACCUM_OFFSET: 22
; COMPUTE_PGM_RSRC3_GFX90A:TG_SPLIT: 0
	.section	.text._ZN7rocprim17ROCPRIM_400000_NS6detail17trampoline_kernelINS0_14default_configENS1_27scan_by_key_config_selectorIxxEEZZNS1_16scan_by_key_implILNS1_25lookback_scan_determinismE0ELb0ES3_N6thrust23THRUST_200600_302600_NS6detail15normal_iteratorINS9_10device_ptrIxEEEESE_SE_xNS9_10multipliesIxEENS9_8equal_toIxEExEE10hipError_tPvRmT2_T3_T4_T5_mT6_T7_P12ihipStream_tbENKUlT_T0_E_clISt17integral_constantIbLb0EESY_IbLb1EEEEDaSU_SV_EUlSU_E_NS1_11comp_targetILNS1_3genE4ELNS1_11target_archE910ELNS1_3gpuE8ELNS1_3repE0EEENS1_30default_config_static_selectorELNS0_4arch9wavefront6targetE1EEEvT1_,"axG",@progbits,_ZN7rocprim17ROCPRIM_400000_NS6detail17trampoline_kernelINS0_14default_configENS1_27scan_by_key_config_selectorIxxEEZZNS1_16scan_by_key_implILNS1_25lookback_scan_determinismE0ELb0ES3_N6thrust23THRUST_200600_302600_NS6detail15normal_iteratorINS9_10device_ptrIxEEEESE_SE_xNS9_10multipliesIxEENS9_8equal_toIxEExEE10hipError_tPvRmT2_T3_T4_T5_mT6_T7_P12ihipStream_tbENKUlT_T0_E_clISt17integral_constantIbLb0EESY_IbLb1EEEEDaSU_SV_EUlSU_E_NS1_11comp_targetILNS1_3genE4ELNS1_11target_archE910ELNS1_3gpuE8ELNS1_3repE0EEENS1_30default_config_static_selectorELNS0_4arch9wavefront6targetE1EEEvT1_,comdat
	.protected	_ZN7rocprim17ROCPRIM_400000_NS6detail17trampoline_kernelINS0_14default_configENS1_27scan_by_key_config_selectorIxxEEZZNS1_16scan_by_key_implILNS1_25lookback_scan_determinismE0ELb0ES3_N6thrust23THRUST_200600_302600_NS6detail15normal_iteratorINS9_10device_ptrIxEEEESE_SE_xNS9_10multipliesIxEENS9_8equal_toIxEExEE10hipError_tPvRmT2_T3_T4_T5_mT6_T7_P12ihipStream_tbENKUlT_T0_E_clISt17integral_constantIbLb0EESY_IbLb1EEEEDaSU_SV_EUlSU_E_NS1_11comp_targetILNS1_3genE4ELNS1_11target_archE910ELNS1_3gpuE8ELNS1_3repE0EEENS1_30default_config_static_selectorELNS0_4arch9wavefront6targetE1EEEvT1_ ; -- Begin function _ZN7rocprim17ROCPRIM_400000_NS6detail17trampoline_kernelINS0_14default_configENS1_27scan_by_key_config_selectorIxxEEZZNS1_16scan_by_key_implILNS1_25lookback_scan_determinismE0ELb0ES3_N6thrust23THRUST_200600_302600_NS6detail15normal_iteratorINS9_10device_ptrIxEEEESE_SE_xNS9_10multipliesIxEENS9_8equal_toIxEExEE10hipError_tPvRmT2_T3_T4_T5_mT6_T7_P12ihipStream_tbENKUlT_T0_E_clISt17integral_constantIbLb0EESY_IbLb1EEEEDaSU_SV_EUlSU_E_NS1_11comp_targetILNS1_3genE4ELNS1_11target_archE910ELNS1_3gpuE8ELNS1_3repE0EEENS1_30default_config_static_selectorELNS0_4arch9wavefront6targetE1EEEvT1_
	.globl	_ZN7rocprim17ROCPRIM_400000_NS6detail17trampoline_kernelINS0_14default_configENS1_27scan_by_key_config_selectorIxxEEZZNS1_16scan_by_key_implILNS1_25lookback_scan_determinismE0ELb0ES3_N6thrust23THRUST_200600_302600_NS6detail15normal_iteratorINS9_10device_ptrIxEEEESE_SE_xNS9_10multipliesIxEENS9_8equal_toIxEExEE10hipError_tPvRmT2_T3_T4_T5_mT6_T7_P12ihipStream_tbENKUlT_T0_E_clISt17integral_constantIbLb0EESY_IbLb1EEEEDaSU_SV_EUlSU_E_NS1_11comp_targetILNS1_3genE4ELNS1_11target_archE910ELNS1_3gpuE8ELNS1_3repE0EEENS1_30default_config_static_selectorELNS0_4arch9wavefront6targetE1EEEvT1_
	.p2align	8
	.type	_ZN7rocprim17ROCPRIM_400000_NS6detail17trampoline_kernelINS0_14default_configENS1_27scan_by_key_config_selectorIxxEEZZNS1_16scan_by_key_implILNS1_25lookback_scan_determinismE0ELb0ES3_N6thrust23THRUST_200600_302600_NS6detail15normal_iteratorINS9_10device_ptrIxEEEESE_SE_xNS9_10multipliesIxEENS9_8equal_toIxEExEE10hipError_tPvRmT2_T3_T4_T5_mT6_T7_P12ihipStream_tbENKUlT_T0_E_clISt17integral_constantIbLb0EESY_IbLb1EEEEDaSU_SV_EUlSU_E_NS1_11comp_targetILNS1_3genE4ELNS1_11target_archE910ELNS1_3gpuE8ELNS1_3repE0EEENS1_30default_config_static_selectorELNS0_4arch9wavefront6targetE1EEEvT1_,@function
_ZN7rocprim17ROCPRIM_400000_NS6detail17trampoline_kernelINS0_14default_configENS1_27scan_by_key_config_selectorIxxEEZZNS1_16scan_by_key_implILNS1_25lookback_scan_determinismE0ELb0ES3_N6thrust23THRUST_200600_302600_NS6detail15normal_iteratorINS9_10device_ptrIxEEEESE_SE_xNS9_10multipliesIxEENS9_8equal_toIxEExEE10hipError_tPvRmT2_T3_T4_T5_mT6_T7_P12ihipStream_tbENKUlT_T0_E_clISt17integral_constantIbLb0EESY_IbLb1EEEEDaSU_SV_EUlSU_E_NS1_11comp_targetILNS1_3genE4ELNS1_11target_archE910ELNS1_3gpuE8ELNS1_3repE0EEENS1_30default_config_static_selectorELNS0_4arch9wavefront6targetE1EEEvT1_: ; @_ZN7rocprim17ROCPRIM_400000_NS6detail17trampoline_kernelINS0_14default_configENS1_27scan_by_key_config_selectorIxxEEZZNS1_16scan_by_key_implILNS1_25lookback_scan_determinismE0ELb0ES3_N6thrust23THRUST_200600_302600_NS6detail15normal_iteratorINS9_10device_ptrIxEEEESE_SE_xNS9_10multipliesIxEENS9_8equal_toIxEExEE10hipError_tPvRmT2_T3_T4_T5_mT6_T7_P12ihipStream_tbENKUlT_T0_E_clISt17integral_constantIbLb0EESY_IbLb1EEEEDaSU_SV_EUlSU_E_NS1_11comp_targetILNS1_3genE4ELNS1_11target_archE910ELNS1_3gpuE8ELNS1_3repE0EEENS1_30default_config_static_selectorELNS0_4arch9wavefront6targetE1EEEvT1_
; %bb.0:
	.section	.rodata,"a",@progbits
	.p2align	6, 0x0
	.amdhsa_kernel _ZN7rocprim17ROCPRIM_400000_NS6detail17trampoline_kernelINS0_14default_configENS1_27scan_by_key_config_selectorIxxEEZZNS1_16scan_by_key_implILNS1_25lookback_scan_determinismE0ELb0ES3_N6thrust23THRUST_200600_302600_NS6detail15normal_iteratorINS9_10device_ptrIxEEEESE_SE_xNS9_10multipliesIxEENS9_8equal_toIxEExEE10hipError_tPvRmT2_T3_T4_T5_mT6_T7_P12ihipStream_tbENKUlT_T0_E_clISt17integral_constantIbLb0EESY_IbLb1EEEEDaSU_SV_EUlSU_E_NS1_11comp_targetILNS1_3genE4ELNS1_11target_archE910ELNS1_3gpuE8ELNS1_3repE0EEENS1_30default_config_static_selectorELNS0_4arch9wavefront6targetE1EEEvT1_
		.amdhsa_group_segment_fixed_size 0
		.amdhsa_private_segment_fixed_size 0
		.amdhsa_kernarg_size 136
		.amdhsa_user_sgpr_count 2
		.amdhsa_user_sgpr_dispatch_ptr 0
		.amdhsa_user_sgpr_queue_ptr 0
		.amdhsa_user_sgpr_kernarg_segment_ptr 1
		.amdhsa_user_sgpr_dispatch_id 0
		.amdhsa_user_sgpr_kernarg_preload_length 0
		.amdhsa_user_sgpr_kernarg_preload_offset 0
		.amdhsa_user_sgpr_private_segment_size 0
		.amdhsa_uses_dynamic_stack 0
		.amdhsa_enable_private_segment 0
		.amdhsa_system_sgpr_workgroup_id_x 1
		.amdhsa_system_sgpr_workgroup_id_y 0
		.amdhsa_system_sgpr_workgroup_id_z 0
		.amdhsa_system_sgpr_workgroup_info 0
		.amdhsa_system_vgpr_workitem_id 0
		.amdhsa_next_free_vgpr 1
		.amdhsa_next_free_sgpr 0
		.amdhsa_accum_offset 4
		.amdhsa_reserve_vcc 0
		.amdhsa_float_round_mode_32 0
		.amdhsa_float_round_mode_16_64 0
		.amdhsa_float_denorm_mode_32 3
		.amdhsa_float_denorm_mode_16_64 3
		.amdhsa_dx10_clamp 1
		.amdhsa_ieee_mode 1
		.amdhsa_fp16_overflow 0
		.amdhsa_tg_split 0
		.amdhsa_exception_fp_ieee_invalid_op 0
		.amdhsa_exception_fp_denorm_src 0
		.amdhsa_exception_fp_ieee_div_zero 0
		.amdhsa_exception_fp_ieee_overflow 0
		.amdhsa_exception_fp_ieee_underflow 0
		.amdhsa_exception_fp_ieee_inexact 0
		.amdhsa_exception_int_div_zero 0
	.end_amdhsa_kernel
	.section	.text._ZN7rocprim17ROCPRIM_400000_NS6detail17trampoline_kernelINS0_14default_configENS1_27scan_by_key_config_selectorIxxEEZZNS1_16scan_by_key_implILNS1_25lookback_scan_determinismE0ELb0ES3_N6thrust23THRUST_200600_302600_NS6detail15normal_iteratorINS9_10device_ptrIxEEEESE_SE_xNS9_10multipliesIxEENS9_8equal_toIxEExEE10hipError_tPvRmT2_T3_T4_T5_mT6_T7_P12ihipStream_tbENKUlT_T0_E_clISt17integral_constantIbLb0EESY_IbLb1EEEEDaSU_SV_EUlSU_E_NS1_11comp_targetILNS1_3genE4ELNS1_11target_archE910ELNS1_3gpuE8ELNS1_3repE0EEENS1_30default_config_static_selectorELNS0_4arch9wavefront6targetE1EEEvT1_,"axG",@progbits,_ZN7rocprim17ROCPRIM_400000_NS6detail17trampoline_kernelINS0_14default_configENS1_27scan_by_key_config_selectorIxxEEZZNS1_16scan_by_key_implILNS1_25lookback_scan_determinismE0ELb0ES3_N6thrust23THRUST_200600_302600_NS6detail15normal_iteratorINS9_10device_ptrIxEEEESE_SE_xNS9_10multipliesIxEENS9_8equal_toIxEExEE10hipError_tPvRmT2_T3_T4_T5_mT6_T7_P12ihipStream_tbENKUlT_T0_E_clISt17integral_constantIbLb0EESY_IbLb1EEEEDaSU_SV_EUlSU_E_NS1_11comp_targetILNS1_3genE4ELNS1_11target_archE910ELNS1_3gpuE8ELNS1_3repE0EEENS1_30default_config_static_selectorELNS0_4arch9wavefront6targetE1EEEvT1_,comdat
.Lfunc_end77:
	.size	_ZN7rocprim17ROCPRIM_400000_NS6detail17trampoline_kernelINS0_14default_configENS1_27scan_by_key_config_selectorIxxEEZZNS1_16scan_by_key_implILNS1_25lookback_scan_determinismE0ELb0ES3_N6thrust23THRUST_200600_302600_NS6detail15normal_iteratorINS9_10device_ptrIxEEEESE_SE_xNS9_10multipliesIxEENS9_8equal_toIxEExEE10hipError_tPvRmT2_T3_T4_T5_mT6_T7_P12ihipStream_tbENKUlT_T0_E_clISt17integral_constantIbLb0EESY_IbLb1EEEEDaSU_SV_EUlSU_E_NS1_11comp_targetILNS1_3genE4ELNS1_11target_archE910ELNS1_3gpuE8ELNS1_3repE0EEENS1_30default_config_static_selectorELNS0_4arch9wavefront6targetE1EEEvT1_, .Lfunc_end77-_ZN7rocprim17ROCPRIM_400000_NS6detail17trampoline_kernelINS0_14default_configENS1_27scan_by_key_config_selectorIxxEEZZNS1_16scan_by_key_implILNS1_25lookback_scan_determinismE0ELb0ES3_N6thrust23THRUST_200600_302600_NS6detail15normal_iteratorINS9_10device_ptrIxEEEESE_SE_xNS9_10multipliesIxEENS9_8equal_toIxEExEE10hipError_tPvRmT2_T3_T4_T5_mT6_T7_P12ihipStream_tbENKUlT_T0_E_clISt17integral_constantIbLb0EESY_IbLb1EEEEDaSU_SV_EUlSU_E_NS1_11comp_targetILNS1_3genE4ELNS1_11target_archE910ELNS1_3gpuE8ELNS1_3repE0EEENS1_30default_config_static_selectorELNS0_4arch9wavefront6targetE1EEEvT1_
                                        ; -- End function
	.section	.AMDGPU.csdata,"",@progbits
; Kernel info:
; codeLenInByte = 0
; NumSgprs: 6
; NumVgprs: 0
; NumAgprs: 0
; TotalNumVgprs: 0
; ScratchSize: 0
; MemoryBound: 0
; FloatMode: 240
; IeeeMode: 1
; LDSByteSize: 0 bytes/workgroup (compile time only)
; SGPRBlocks: 0
; VGPRBlocks: 0
; NumSGPRsForWavesPerEU: 6
; NumVGPRsForWavesPerEU: 1
; AccumOffset: 4
; Occupancy: 8
; WaveLimiterHint : 0
; COMPUTE_PGM_RSRC2:SCRATCH_EN: 0
; COMPUTE_PGM_RSRC2:USER_SGPR: 2
; COMPUTE_PGM_RSRC2:TRAP_HANDLER: 0
; COMPUTE_PGM_RSRC2:TGID_X_EN: 1
; COMPUTE_PGM_RSRC2:TGID_Y_EN: 0
; COMPUTE_PGM_RSRC2:TGID_Z_EN: 0
; COMPUTE_PGM_RSRC2:TIDIG_COMP_CNT: 0
; COMPUTE_PGM_RSRC3_GFX90A:ACCUM_OFFSET: 0
; COMPUTE_PGM_RSRC3_GFX90A:TG_SPLIT: 0
	.section	.text._ZN7rocprim17ROCPRIM_400000_NS6detail17trampoline_kernelINS0_14default_configENS1_27scan_by_key_config_selectorIxxEEZZNS1_16scan_by_key_implILNS1_25lookback_scan_determinismE0ELb0ES3_N6thrust23THRUST_200600_302600_NS6detail15normal_iteratorINS9_10device_ptrIxEEEESE_SE_xNS9_10multipliesIxEENS9_8equal_toIxEExEE10hipError_tPvRmT2_T3_T4_T5_mT6_T7_P12ihipStream_tbENKUlT_T0_E_clISt17integral_constantIbLb0EESY_IbLb1EEEEDaSU_SV_EUlSU_E_NS1_11comp_targetILNS1_3genE3ELNS1_11target_archE908ELNS1_3gpuE7ELNS1_3repE0EEENS1_30default_config_static_selectorELNS0_4arch9wavefront6targetE1EEEvT1_,"axG",@progbits,_ZN7rocprim17ROCPRIM_400000_NS6detail17trampoline_kernelINS0_14default_configENS1_27scan_by_key_config_selectorIxxEEZZNS1_16scan_by_key_implILNS1_25lookback_scan_determinismE0ELb0ES3_N6thrust23THRUST_200600_302600_NS6detail15normal_iteratorINS9_10device_ptrIxEEEESE_SE_xNS9_10multipliesIxEENS9_8equal_toIxEExEE10hipError_tPvRmT2_T3_T4_T5_mT6_T7_P12ihipStream_tbENKUlT_T0_E_clISt17integral_constantIbLb0EESY_IbLb1EEEEDaSU_SV_EUlSU_E_NS1_11comp_targetILNS1_3genE3ELNS1_11target_archE908ELNS1_3gpuE7ELNS1_3repE0EEENS1_30default_config_static_selectorELNS0_4arch9wavefront6targetE1EEEvT1_,comdat
	.protected	_ZN7rocprim17ROCPRIM_400000_NS6detail17trampoline_kernelINS0_14default_configENS1_27scan_by_key_config_selectorIxxEEZZNS1_16scan_by_key_implILNS1_25lookback_scan_determinismE0ELb0ES3_N6thrust23THRUST_200600_302600_NS6detail15normal_iteratorINS9_10device_ptrIxEEEESE_SE_xNS9_10multipliesIxEENS9_8equal_toIxEExEE10hipError_tPvRmT2_T3_T4_T5_mT6_T7_P12ihipStream_tbENKUlT_T0_E_clISt17integral_constantIbLb0EESY_IbLb1EEEEDaSU_SV_EUlSU_E_NS1_11comp_targetILNS1_3genE3ELNS1_11target_archE908ELNS1_3gpuE7ELNS1_3repE0EEENS1_30default_config_static_selectorELNS0_4arch9wavefront6targetE1EEEvT1_ ; -- Begin function _ZN7rocprim17ROCPRIM_400000_NS6detail17trampoline_kernelINS0_14default_configENS1_27scan_by_key_config_selectorIxxEEZZNS1_16scan_by_key_implILNS1_25lookback_scan_determinismE0ELb0ES3_N6thrust23THRUST_200600_302600_NS6detail15normal_iteratorINS9_10device_ptrIxEEEESE_SE_xNS9_10multipliesIxEENS9_8equal_toIxEExEE10hipError_tPvRmT2_T3_T4_T5_mT6_T7_P12ihipStream_tbENKUlT_T0_E_clISt17integral_constantIbLb0EESY_IbLb1EEEEDaSU_SV_EUlSU_E_NS1_11comp_targetILNS1_3genE3ELNS1_11target_archE908ELNS1_3gpuE7ELNS1_3repE0EEENS1_30default_config_static_selectorELNS0_4arch9wavefront6targetE1EEEvT1_
	.globl	_ZN7rocprim17ROCPRIM_400000_NS6detail17trampoline_kernelINS0_14default_configENS1_27scan_by_key_config_selectorIxxEEZZNS1_16scan_by_key_implILNS1_25lookback_scan_determinismE0ELb0ES3_N6thrust23THRUST_200600_302600_NS6detail15normal_iteratorINS9_10device_ptrIxEEEESE_SE_xNS9_10multipliesIxEENS9_8equal_toIxEExEE10hipError_tPvRmT2_T3_T4_T5_mT6_T7_P12ihipStream_tbENKUlT_T0_E_clISt17integral_constantIbLb0EESY_IbLb1EEEEDaSU_SV_EUlSU_E_NS1_11comp_targetILNS1_3genE3ELNS1_11target_archE908ELNS1_3gpuE7ELNS1_3repE0EEENS1_30default_config_static_selectorELNS0_4arch9wavefront6targetE1EEEvT1_
	.p2align	8
	.type	_ZN7rocprim17ROCPRIM_400000_NS6detail17trampoline_kernelINS0_14default_configENS1_27scan_by_key_config_selectorIxxEEZZNS1_16scan_by_key_implILNS1_25lookback_scan_determinismE0ELb0ES3_N6thrust23THRUST_200600_302600_NS6detail15normal_iteratorINS9_10device_ptrIxEEEESE_SE_xNS9_10multipliesIxEENS9_8equal_toIxEExEE10hipError_tPvRmT2_T3_T4_T5_mT6_T7_P12ihipStream_tbENKUlT_T0_E_clISt17integral_constantIbLb0EESY_IbLb1EEEEDaSU_SV_EUlSU_E_NS1_11comp_targetILNS1_3genE3ELNS1_11target_archE908ELNS1_3gpuE7ELNS1_3repE0EEENS1_30default_config_static_selectorELNS0_4arch9wavefront6targetE1EEEvT1_,@function
_ZN7rocprim17ROCPRIM_400000_NS6detail17trampoline_kernelINS0_14default_configENS1_27scan_by_key_config_selectorIxxEEZZNS1_16scan_by_key_implILNS1_25lookback_scan_determinismE0ELb0ES3_N6thrust23THRUST_200600_302600_NS6detail15normal_iteratorINS9_10device_ptrIxEEEESE_SE_xNS9_10multipliesIxEENS9_8equal_toIxEExEE10hipError_tPvRmT2_T3_T4_T5_mT6_T7_P12ihipStream_tbENKUlT_T0_E_clISt17integral_constantIbLb0EESY_IbLb1EEEEDaSU_SV_EUlSU_E_NS1_11comp_targetILNS1_3genE3ELNS1_11target_archE908ELNS1_3gpuE7ELNS1_3repE0EEENS1_30default_config_static_selectorELNS0_4arch9wavefront6targetE1EEEvT1_: ; @_ZN7rocprim17ROCPRIM_400000_NS6detail17trampoline_kernelINS0_14default_configENS1_27scan_by_key_config_selectorIxxEEZZNS1_16scan_by_key_implILNS1_25lookback_scan_determinismE0ELb0ES3_N6thrust23THRUST_200600_302600_NS6detail15normal_iteratorINS9_10device_ptrIxEEEESE_SE_xNS9_10multipliesIxEENS9_8equal_toIxEExEE10hipError_tPvRmT2_T3_T4_T5_mT6_T7_P12ihipStream_tbENKUlT_T0_E_clISt17integral_constantIbLb0EESY_IbLb1EEEEDaSU_SV_EUlSU_E_NS1_11comp_targetILNS1_3genE3ELNS1_11target_archE908ELNS1_3gpuE7ELNS1_3repE0EEENS1_30default_config_static_selectorELNS0_4arch9wavefront6targetE1EEEvT1_
; %bb.0:
	.section	.rodata,"a",@progbits
	.p2align	6, 0x0
	.amdhsa_kernel _ZN7rocprim17ROCPRIM_400000_NS6detail17trampoline_kernelINS0_14default_configENS1_27scan_by_key_config_selectorIxxEEZZNS1_16scan_by_key_implILNS1_25lookback_scan_determinismE0ELb0ES3_N6thrust23THRUST_200600_302600_NS6detail15normal_iteratorINS9_10device_ptrIxEEEESE_SE_xNS9_10multipliesIxEENS9_8equal_toIxEExEE10hipError_tPvRmT2_T3_T4_T5_mT6_T7_P12ihipStream_tbENKUlT_T0_E_clISt17integral_constantIbLb0EESY_IbLb1EEEEDaSU_SV_EUlSU_E_NS1_11comp_targetILNS1_3genE3ELNS1_11target_archE908ELNS1_3gpuE7ELNS1_3repE0EEENS1_30default_config_static_selectorELNS0_4arch9wavefront6targetE1EEEvT1_
		.amdhsa_group_segment_fixed_size 0
		.amdhsa_private_segment_fixed_size 0
		.amdhsa_kernarg_size 136
		.amdhsa_user_sgpr_count 2
		.amdhsa_user_sgpr_dispatch_ptr 0
		.amdhsa_user_sgpr_queue_ptr 0
		.amdhsa_user_sgpr_kernarg_segment_ptr 1
		.amdhsa_user_sgpr_dispatch_id 0
		.amdhsa_user_sgpr_kernarg_preload_length 0
		.amdhsa_user_sgpr_kernarg_preload_offset 0
		.amdhsa_user_sgpr_private_segment_size 0
		.amdhsa_uses_dynamic_stack 0
		.amdhsa_enable_private_segment 0
		.amdhsa_system_sgpr_workgroup_id_x 1
		.amdhsa_system_sgpr_workgroup_id_y 0
		.amdhsa_system_sgpr_workgroup_id_z 0
		.amdhsa_system_sgpr_workgroup_info 0
		.amdhsa_system_vgpr_workitem_id 0
		.amdhsa_next_free_vgpr 1
		.amdhsa_next_free_sgpr 0
		.amdhsa_accum_offset 4
		.amdhsa_reserve_vcc 0
		.amdhsa_float_round_mode_32 0
		.amdhsa_float_round_mode_16_64 0
		.amdhsa_float_denorm_mode_32 3
		.amdhsa_float_denorm_mode_16_64 3
		.amdhsa_dx10_clamp 1
		.amdhsa_ieee_mode 1
		.amdhsa_fp16_overflow 0
		.amdhsa_tg_split 0
		.amdhsa_exception_fp_ieee_invalid_op 0
		.amdhsa_exception_fp_denorm_src 0
		.amdhsa_exception_fp_ieee_div_zero 0
		.amdhsa_exception_fp_ieee_overflow 0
		.amdhsa_exception_fp_ieee_underflow 0
		.amdhsa_exception_fp_ieee_inexact 0
		.amdhsa_exception_int_div_zero 0
	.end_amdhsa_kernel
	.section	.text._ZN7rocprim17ROCPRIM_400000_NS6detail17trampoline_kernelINS0_14default_configENS1_27scan_by_key_config_selectorIxxEEZZNS1_16scan_by_key_implILNS1_25lookback_scan_determinismE0ELb0ES3_N6thrust23THRUST_200600_302600_NS6detail15normal_iteratorINS9_10device_ptrIxEEEESE_SE_xNS9_10multipliesIxEENS9_8equal_toIxEExEE10hipError_tPvRmT2_T3_T4_T5_mT6_T7_P12ihipStream_tbENKUlT_T0_E_clISt17integral_constantIbLb0EESY_IbLb1EEEEDaSU_SV_EUlSU_E_NS1_11comp_targetILNS1_3genE3ELNS1_11target_archE908ELNS1_3gpuE7ELNS1_3repE0EEENS1_30default_config_static_selectorELNS0_4arch9wavefront6targetE1EEEvT1_,"axG",@progbits,_ZN7rocprim17ROCPRIM_400000_NS6detail17trampoline_kernelINS0_14default_configENS1_27scan_by_key_config_selectorIxxEEZZNS1_16scan_by_key_implILNS1_25lookback_scan_determinismE0ELb0ES3_N6thrust23THRUST_200600_302600_NS6detail15normal_iteratorINS9_10device_ptrIxEEEESE_SE_xNS9_10multipliesIxEENS9_8equal_toIxEExEE10hipError_tPvRmT2_T3_T4_T5_mT6_T7_P12ihipStream_tbENKUlT_T0_E_clISt17integral_constantIbLb0EESY_IbLb1EEEEDaSU_SV_EUlSU_E_NS1_11comp_targetILNS1_3genE3ELNS1_11target_archE908ELNS1_3gpuE7ELNS1_3repE0EEENS1_30default_config_static_selectorELNS0_4arch9wavefront6targetE1EEEvT1_,comdat
.Lfunc_end78:
	.size	_ZN7rocprim17ROCPRIM_400000_NS6detail17trampoline_kernelINS0_14default_configENS1_27scan_by_key_config_selectorIxxEEZZNS1_16scan_by_key_implILNS1_25lookback_scan_determinismE0ELb0ES3_N6thrust23THRUST_200600_302600_NS6detail15normal_iteratorINS9_10device_ptrIxEEEESE_SE_xNS9_10multipliesIxEENS9_8equal_toIxEExEE10hipError_tPvRmT2_T3_T4_T5_mT6_T7_P12ihipStream_tbENKUlT_T0_E_clISt17integral_constantIbLb0EESY_IbLb1EEEEDaSU_SV_EUlSU_E_NS1_11comp_targetILNS1_3genE3ELNS1_11target_archE908ELNS1_3gpuE7ELNS1_3repE0EEENS1_30default_config_static_selectorELNS0_4arch9wavefront6targetE1EEEvT1_, .Lfunc_end78-_ZN7rocprim17ROCPRIM_400000_NS6detail17trampoline_kernelINS0_14default_configENS1_27scan_by_key_config_selectorIxxEEZZNS1_16scan_by_key_implILNS1_25lookback_scan_determinismE0ELb0ES3_N6thrust23THRUST_200600_302600_NS6detail15normal_iteratorINS9_10device_ptrIxEEEESE_SE_xNS9_10multipliesIxEENS9_8equal_toIxEExEE10hipError_tPvRmT2_T3_T4_T5_mT6_T7_P12ihipStream_tbENKUlT_T0_E_clISt17integral_constantIbLb0EESY_IbLb1EEEEDaSU_SV_EUlSU_E_NS1_11comp_targetILNS1_3genE3ELNS1_11target_archE908ELNS1_3gpuE7ELNS1_3repE0EEENS1_30default_config_static_selectorELNS0_4arch9wavefront6targetE1EEEvT1_
                                        ; -- End function
	.section	.AMDGPU.csdata,"",@progbits
; Kernel info:
; codeLenInByte = 0
; NumSgprs: 6
; NumVgprs: 0
; NumAgprs: 0
; TotalNumVgprs: 0
; ScratchSize: 0
; MemoryBound: 0
; FloatMode: 240
; IeeeMode: 1
; LDSByteSize: 0 bytes/workgroup (compile time only)
; SGPRBlocks: 0
; VGPRBlocks: 0
; NumSGPRsForWavesPerEU: 6
; NumVGPRsForWavesPerEU: 1
; AccumOffset: 4
; Occupancy: 8
; WaveLimiterHint : 0
; COMPUTE_PGM_RSRC2:SCRATCH_EN: 0
; COMPUTE_PGM_RSRC2:USER_SGPR: 2
; COMPUTE_PGM_RSRC2:TRAP_HANDLER: 0
; COMPUTE_PGM_RSRC2:TGID_X_EN: 1
; COMPUTE_PGM_RSRC2:TGID_Y_EN: 0
; COMPUTE_PGM_RSRC2:TGID_Z_EN: 0
; COMPUTE_PGM_RSRC2:TIDIG_COMP_CNT: 0
; COMPUTE_PGM_RSRC3_GFX90A:ACCUM_OFFSET: 0
; COMPUTE_PGM_RSRC3_GFX90A:TG_SPLIT: 0
	.section	.text._ZN7rocprim17ROCPRIM_400000_NS6detail17trampoline_kernelINS0_14default_configENS1_27scan_by_key_config_selectorIxxEEZZNS1_16scan_by_key_implILNS1_25lookback_scan_determinismE0ELb0ES3_N6thrust23THRUST_200600_302600_NS6detail15normal_iteratorINS9_10device_ptrIxEEEESE_SE_xNS9_10multipliesIxEENS9_8equal_toIxEExEE10hipError_tPvRmT2_T3_T4_T5_mT6_T7_P12ihipStream_tbENKUlT_T0_E_clISt17integral_constantIbLb0EESY_IbLb1EEEEDaSU_SV_EUlSU_E_NS1_11comp_targetILNS1_3genE2ELNS1_11target_archE906ELNS1_3gpuE6ELNS1_3repE0EEENS1_30default_config_static_selectorELNS0_4arch9wavefront6targetE1EEEvT1_,"axG",@progbits,_ZN7rocprim17ROCPRIM_400000_NS6detail17trampoline_kernelINS0_14default_configENS1_27scan_by_key_config_selectorIxxEEZZNS1_16scan_by_key_implILNS1_25lookback_scan_determinismE0ELb0ES3_N6thrust23THRUST_200600_302600_NS6detail15normal_iteratorINS9_10device_ptrIxEEEESE_SE_xNS9_10multipliesIxEENS9_8equal_toIxEExEE10hipError_tPvRmT2_T3_T4_T5_mT6_T7_P12ihipStream_tbENKUlT_T0_E_clISt17integral_constantIbLb0EESY_IbLb1EEEEDaSU_SV_EUlSU_E_NS1_11comp_targetILNS1_3genE2ELNS1_11target_archE906ELNS1_3gpuE6ELNS1_3repE0EEENS1_30default_config_static_selectorELNS0_4arch9wavefront6targetE1EEEvT1_,comdat
	.protected	_ZN7rocprim17ROCPRIM_400000_NS6detail17trampoline_kernelINS0_14default_configENS1_27scan_by_key_config_selectorIxxEEZZNS1_16scan_by_key_implILNS1_25lookback_scan_determinismE0ELb0ES3_N6thrust23THRUST_200600_302600_NS6detail15normal_iteratorINS9_10device_ptrIxEEEESE_SE_xNS9_10multipliesIxEENS9_8equal_toIxEExEE10hipError_tPvRmT2_T3_T4_T5_mT6_T7_P12ihipStream_tbENKUlT_T0_E_clISt17integral_constantIbLb0EESY_IbLb1EEEEDaSU_SV_EUlSU_E_NS1_11comp_targetILNS1_3genE2ELNS1_11target_archE906ELNS1_3gpuE6ELNS1_3repE0EEENS1_30default_config_static_selectorELNS0_4arch9wavefront6targetE1EEEvT1_ ; -- Begin function _ZN7rocprim17ROCPRIM_400000_NS6detail17trampoline_kernelINS0_14default_configENS1_27scan_by_key_config_selectorIxxEEZZNS1_16scan_by_key_implILNS1_25lookback_scan_determinismE0ELb0ES3_N6thrust23THRUST_200600_302600_NS6detail15normal_iteratorINS9_10device_ptrIxEEEESE_SE_xNS9_10multipliesIxEENS9_8equal_toIxEExEE10hipError_tPvRmT2_T3_T4_T5_mT6_T7_P12ihipStream_tbENKUlT_T0_E_clISt17integral_constantIbLb0EESY_IbLb1EEEEDaSU_SV_EUlSU_E_NS1_11comp_targetILNS1_3genE2ELNS1_11target_archE906ELNS1_3gpuE6ELNS1_3repE0EEENS1_30default_config_static_selectorELNS0_4arch9wavefront6targetE1EEEvT1_
	.globl	_ZN7rocprim17ROCPRIM_400000_NS6detail17trampoline_kernelINS0_14default_configENS1_27scan_by_key_config_selectorIxxEEZZNS1_16scan_by_key_implILNS1_25lookback_scan_determinismE0ELb0ES3_N6thrust23THRUST_200600_302600_NS6detail15normal_iteratorINS9_10device_ptrIxEEEESE_SE_xNS9_10multipliesIxEENS9_8equal_toIxEExEE10hipError_tPvRmT2_T3_T4_T5_mT6_T7_P12ihipStream_tbENKUlT_T0_E_clISt17integral_constantIbLb0EESY_IbLb1EEEEDaSU_SV_EUlSU_E_NS1_11comp_targetILNS1_3genE2ELNS1_11target_archE906ELNS1_3gpuE6ELNS1_3repE0EEENS1_30default_config_static_selectorELNS0_4arch9wavefront6targetE1EEEvT1_
	.p2align	8
	.type	_ZN7rocprim17ROCPRIM_400000_NS6detail17trampoline_kernelINS0_14default_configENS1_27scan_by_key_config_selectorIxxEEZZNS1_16scan_by_key_implILNS1_25lookback_scan_determinismE0ELb0ES3_N6thrust23THRUST_200600_302600_NS6detail15normal_iteratorINS9_10device_ptrIxEEEESE_SE_xNS9_10multipliesIxEENS9_8equal_toIxEExEE10hipError_tPvRmT2_T3_T4_T5_mT6_T7_P12ihipStream_tbENKUlT_T0_E_clISt17integral_constantIbLb0EESY_IbLb1EEEEDaSU_SV_EUlSU_E_NS1_11comp_targetILNS1_3genE2ELNS1_11target_archE906ELNS1_3gpuE6ELNS1_3repE0EEENS1_30default_config_static_selectorELNS0_4arch9wavefront6targetE1EEEvT1_,@function
_ZN7rocprim17ROCPRIM_400000_NS6detail17trampoline_kernelINS0_14default_configENS1_27scan_by_key_config_selectorIxxEEZZNS1_16scan_by_key_implILNS1_25lookback_scan_determinismE0ELb0ES3_N6thrust23THRUST_200600_302600_NS6detail15normal_iteratorINS9_10device_ptrIxEEEESE_SE_xNS9_10multipliesIxEENS9_8equal_toIxEExEE10hipError_tPvRmT2_T3_T4_T5_mT6_T7_P12ihipStream_tbENKUlT_T0_E_clISt17integral_constantIbLb0EESY_IbLb1EEEEDaSU_SV_EUlSU_E_NS1_11comp_targetILNS1_3genE2ELNS1_11target_archE906ELNS1_3gpuE6ELNS1_3repE0EEENS1_30default_config_static_selectorELNS0_4arch9wavefront6targetE1EEEvT1_: ; @_ZN7rocprim17ROCPRIM_400000_NS6detail17trampoline_kernelINS0_14default_configENS1_27scan_by_key_config_selectorIxxEEZZNS1_16scan_by_key_implILNS1_25lookback_scan_determinismE0ELb0ES3_N6thrust23THRUST_200600_302600_NS6detail15normal_iteratorINS9_10device_ptrIxEEEESE_SE_xNS9_10multipliesIxEENS9_8equal_toIxEExEE10hipError_tPvRmT2_T3_T4_T5_mT6_T7_P12ihipStream_tbENKUlT_T0_E_clISt17integral_constantIbLb0EESY_IbLb1EEEEDaSU_SV_EUlSU_E_NS1_11comp_targetILNS1_3genE2ELNS1_11target_archE906ELNS1_3gpuE6ELNS1_3repE0EEENS1_30default_config_static_selectorELNS0_4arch9wavefront6targetE1EEEvT1_
; %bb.0:
	.section	.rodata,"a",@progbits
	.p2align	6, 0x0
	.amdhsa_kernel _ZN7rocprim17ROCPRIM_400000_NS6detail17trampoline_kernelINS0_14default_configENS1_27scan_by_key_config_selectorIxxEEZZNS1_16scan_by_key_implILNS1_25lookback_scan_determinismE0ELb0ES3_N6thrust23THRUST_200600_302600_NS6detail15normal_iteratorINS9_10device_ptrIxEEEESE_SE_xNS9_10multipliesIxEENS9_8equal_toIxEExEE10hipError_tPvRmT2_T3_T4_T5_mT6_T7_P12ihipStream_tbENKUlT_T0_E_clISt17integral_constantIbLb0EESY_IbLb1EEEEDaSU_SV_EUlSU_E_NS1_11comp_targetILNS1_3genE2ELNS1_11target_archE906ELNS1_3gpuE6ELNS1_3repE0EEENS1_30default_config_static_selectorELNS0_4arch9wavefront6targetE1EEEvT1_
		.amdhsa_group_segment_fixed_size 0
		.amdhsa_private_segment_fixed_size 0
		.amdhsa_kernarg_size 136
		.amdhsa_user_sgpr_count 2
		.amdhsa_user_sgpr_dispatch_ptr 0
		.amdhsa_user_sgpr_queue_ptr 0
		.amdhsa_user_sgpr_kernarg_segment_ptr 1
		.amdhsa_user_sgpr_dispatch_id 0
		.amdhsa_user_sgpr_kernarg_preload_length 0
		.amdhsa_user_sgpr_kernarg_preload_offset 0
		.amdhsa_user_sgpr_private_segment_size 0
		.amdhsa_uses_dynamic_stack 0
		.amdhsa_enable_private_segment 0
		.amdhsa_system_sgpr_workgroup_id_x 1
		.amdhsa_system_sgpr_workgroup_id_y 0
		.amdhsa_system_sgpr_workgroup_id_z 0
		.amdhsa_system_sgpr_workgroup_info 0
		.amdhsa_system_vgpr_workitem_id 0
		.amdhsa_next_free_vgpr 1
		.amdhsa_next_free_sgpr 0
		.amdhsa_accum_offset 4
		.amdhsa_reserve_vcc 0
		.amdhsa_float_round_mode_32 0
		.amdhsa_float_round_mode_16_64 0
		.amdhsa_float_denorm_mode_32 3
		.amdhsa_float_denorm_mode_16_64 3
		.amdhsa_dx10_clamp 1
		.amdhsa_ieee_mode 1
		.amdhsa_fp16_overflow 0
		.amdhsa_tg_split 0
		.amdhsa_exception_fp_ieee_invalid_op 0
		.amdhsa_exception_fp_denorm_src 0
		.amdhsa_exception_fp_ieee_div_zero 0
		.amdhsa_exception_fp_ieee_overflow 0
		.amdhsa_exception_fp_ieee_underflow 0
		.amdhsa_exception_fp_ieee_inexact 0
		.amdhsa_exception_int_div_zero 0
	.end_amdhsa_kernel
	.section	.text._ZN7rocprim17ROCPRIM_400000_NS6detail17trampoline_kernelINS0_14default_configENS1_27scan_by_key_config_selectorIxxEEZZNS1_16scan_by_key_implILNS1_25lookback_scan_determinismE0ELb0ES3_N6thrust23THRUST_200600_302600_NS6detail15normal_iteratorINS9_10device_ptrIxEEEESE_SE_xNS9_10multipliesIxEENS9_8equal_toIxEExEE10hipError_tPvRmT2_T3_T4_T5_mT6_T7_P12ihipStream_tbENKUlT_T0_E_clISt17integral_constantIbLb0EESY_IbLb1EEEEDaSU_SV_EUlSU_E_NS1_11comp_targetILNS1_3genE2ELNS1_11target_archE906ELNS1_3gpuE6ELNS1_3repE0EEENS1_30default_config_static_selectorELNS0_4arch9wavefront6targetE1EEEvT1_,"axG",@progbits,_ZN7rocprim17ROCPRIM_400000_NS6detail17trampoline_kernelINS0_14default_configENS1_27scan_by_key_config_selectorIxxEEZZNS1_16scan_by_key_implILNS1_25lookback_scan_determinismE0ELb0ES3_N6thrust23THRUST_200600_302600_NS6detail15normal_iteratorINS9_10device_ptrIxEEEESE_SE_xNS9_10multipliesIxEENS9_8equal_toIxEExEE10hipError_tPvRmT2_T3_T4_T5_mT6_T7_P12ihipStream_tbENKUlT_T0_E_clISt17integral_constantIbLb0EESY_IbLb1EEEEDaSU_SV_EUlSU_E_NS1_11comp_targetILNS1_3genE2ELNS1_11target_archE906ELNS1_3gpuE6ELNS1_3repE0EEENS1_30default_config_static_selectorELNS0_4arch9wavefront6targetE1EEEvT1_,comdat
.Lfunc_end79:
	.size	_ZN7rocprim17ROCPRIM_400000_NS6detail17trampoline_kernelINS0_14default_configENS1_27scan_by_key_config_selectorIxxEEZZNS1_16scan_by_key_implILNS1_25lookback_scan_determinismE0ELb0ES3_N6thrust23THRUST_200600_302600_NS6detail15normal_iteratorINS9_10device_ptrIxEEEESE_SE_xNS9_10multipliesIxEENS9_8equal_toIxEExEE10hipError_tPvRmT2_T3_T4_T5_mT6_T7_P12ihipStream_tbENKUlT_T0_E_clISt17integral_constantIbLb0EESY_IbLb1EEEEDaSU_SV_EUlSU_E_NS1_11comp_targetILNS1_3genE2ELNS1_11target_archE906ELNS1_3gpuE6ELNS1_3repE0EEENS1_30default_config_static_selectorELNS0_4arch9wavefront6targetE1EEEvT1_, .Lfunc_end79-_ZN7rocprim17ROCPRIM_400000_NS6detail17trampoline_kernelINS0_14default_configENS1_27scan_by_key_config_selectorIxxEEZZNS1_16scan_by_key_implILNS1_25lookback_scan_determinismE0ELb0ES3_N6thrust23THRUST_200600_302600_NS6detail15normal_iteratorINS9_10device_ptrIxEEEESE_SE_xNS9_10multipliesIxEENS9_8equal_toIxEExEE10hipError_tPvRmT2_T3_T4_T5_mT6_T7_P12ihipStream_tbENKUlT_T0_E_clISt17integral_constantIbLb0EESY_IbLb1EEEEDaSU_SV_EUlSU_E_NS1_11comp_targetILNS1_3genE2ELNS1_11target_archE906ELNS1_3gpuE6ELNS1_3repE0EEENS1_30default_config_static_selectorELNS0_4arch9wavefront6targetE1EEEvT1_
                                        ; -- End function
	.section	.AMDGPU.csdata,"",@progbits
; Kernel info:
; codeLenInByte = 0
; NumSgprs: 6
; NumVgprs: 0
; NumAgprs: 0
; TotalNumVgprs: 0
; ScratchSize: 0
; MemoryBound: 0
; FloatMode: 240
; IeeeMode: 1
; LDSByteSize: 0 bytes/workgroup (compile time only)
; SGPRBlocks: 0
; VGPRBlocks: 0
; NumSGPRsForWavesPerEU: 6
; NumVGPRsForWavesPerEU: 1
; AccumOffset: 4
; Occupancy: 8
; WaveLimiterHint : 0
; COMPUTE_PGM_RSRC2:SCRATCH_EN: 0
; COMPUTE_PGM_RSRC2:USER_SGPR: 2
; COMPUTE_PGM_RSRC2:TRAP_HANDLER: 0
; COMPUTE_PGM_RSRC2:TGID_X_EN: 1
; COMPUTE_PGM_RSRC2:TGID_Y_EN: 0
; COMPUTE_PGM_RSRC2:TGID_Z_EN: 0
; COMPUTE_PGM_RSRC2:TIDIG_COMP_CNT: 0
; COMPUTE_PGM_RSRC3_GFX90A:ACCUM_OFFSET: 0
; COMPUTE_PGM_RSRC3_GFX90A:TG_SPLIT: 0
	.section	.text._ZN7rocprim17ROCPRIM_400000_NS6detail17trampoline_kernelINS0_14default_configENS1_27scan_by_key_config_selectorIxxEEZZNS1_16scan_by_key_implILNS1_25lookback_scan_determinismE0ELb0ES3_N6thrust23THRUST_200600_302600_NS6detail15normal_iteratorINS9_10device_ptrIxEEEESE_SE_xNS9_10multipliesIxEENS9_8equal_toIxEExEE10hipError_tPvRmT2_T3_T4_T5_mT6_T7_P12ihipStream_tbENKUlT_T0_E_clISt17integral_constantIbLb0EESY_IbLb1EEEEDaSU_SV_EUlSU_E_NS1_11comp_targetILNS1_3genE10ELNS1_11target_archE1200ELNS1_3gpuE4ELNS1_3repE0EEENS1_30default_config_static_selectorELNS0_4arch9wavefront6targetE1EEEvT1_,"axG",@progbits,_ZN7rocprim17ROCPRIM_400000_NS6detail17trampoline_kernelINS0_14default_configENS1_27scan_by_key_config_selectorIxxEEZZNS1_16scan_by_key_implILNS1_25lookback_scan_determinismE0ELb0ES3_N6thrust23THRUST_200600_302600_NS6detail15normal_iteratorINS9_10device_ptrIxEEEESE_SE_xNS9_10multipliesIxEENS9_8equal_toIxEExEE10hipError_tPvRmT2_T3_T4_T5_mT6_T7_P12ihipStream_tbENKUlT_T0_E_clISt17integral_constantIbLb0EESY_IbLb1EEEEDaSU_SV_EUlSU_E_NS1_11comp_targetILNS1_3genE10ELNS1_11target_archE1200ELNS1_3gpuE4ELNS1_3repE0EEENS1_30default_config_static_selectorELNS0_4arch9wavefront6targetE1EEEvT1_,comdat
	.protected	_ZN7rocprim17ROCPRIM_400000_NS6detail17trampoline_kernelINS0_14default_configENS1_27scan_by_key_config_selectorIxxEEZZNS1_16scan_by_key_implILNS1_25lookback_scan_determinismE0ELb0ES3_N6thrust23THRUST_200600_302600_NS6detail15normal_iteratorINS9_10device_ptrIxEEEESE_SE_xNS9_10multipliesIxEENS9_8equal_toIxEExEE10hipError_tPvRmT2_T3_T4_T5_mT6_T7_P12ihipStream_tbENKUlT_T0_E_clISt17integral_constantIbLb0EESY_IbLb1EEEEDaSU_SV_EUlSU_E_NS1_11comp_targetILNS1_3genE10ELNS1_11target_archE1200ELNS1_3gpuE4ELNS1_3repE0EEENS1_30default_config_static_selectorELNS0_4arch9wavefront6targetE1EEEvT1_ ; -- Begin function _ZN7rocprim17ROCPRIM_400000_NS6detail17trampoline_kernelINS0_14default_configENS1_27scan_by_key_config_selectorIxxEEZZNS1_16scan_by_key_implILNS1_25lookback_scan_determinismE0ELb0ES3_N6thrust23THRUST_200600_302600_NS6detail15normal_iteratorINS9_10device_ptrIxEEEESE_SE_xNS9_10multipliesIxEENS9_8equal_toIxEExEE10hipError_tPvRmT2_T3_T4_T5_mT6_T7_P12ihipStream_tbENKUlT_T0_E_clISt17integral_constantIbLb0EESY_IbLb1EEEEDaSU_SV_EUlSU_E_NS1_11comp_targetILNS1_3genE10ELNS1_11target_archE1200ELNS1_3gpuE4ELNS1_3repE0EEENS1_30default_config_static_selectorELNS0_4arch9wavefront6targetE1EEEvT1_
	.globl	_ZN7rocprim17ROCPRIM_400000_NS6detail17trampoline_kernelINS0_14default_configENS1_27scan_by_key_config_selectorIxxEEZZNS1_16scan_by_key_implILNS1_25lookback_scan_determinismE0ELb0ES3_N6thrust23THRUST_200600_302600_NS6detail15normal_iteratorINS9_10device_ptrIxEEEESE_SE_xNS9_10multipliesIxEENS9_8equal_toIxEExEE10hipError_tPvRmT2_T3_T4_T5_mT6_T7_P12ihipStream_tbENKUlT_T0_E_clISt17integral_constantIbLb0EESY_IbLb1EEEEDaSU_SV_EUlSU_E_NS1_11comp_targetILNS1_3genE10ELNS1_11target_archE1200ELNS1_3gpuE4ELNS1_3repE0EEENS1_30default_config_static_selectorELNS0_4arch9wavefront6targetE1EEEvT1_
	.p2align	8
	.type	_ZN7rocprim17ROCPRIM_400000_NS6detail17trampoline_kernelINS0_14default_configENS1_27scan_by_key_config_selectorIxxEEZZNS1_16scan_by_key_implILNS1_25lookback_scan_determinismE0ELb0ES3_N6thrust23THRUST_200600_302600_NS6detail15normal_iteratorINS9_10device_ptrIxEEEESE_SE_xNS9_10multipliesIxEENS9_8equal_toIxEExEE10hipError_tPvRmT2_T3_T4_T5_mT6_T7_P12ihipStream_tbENKUlT_T0_E_clISt17integral_constantIbLb0EESY_IbLb1EEEEDaSU_SV_EUlSU_E_NS1_11comp_targetILNS1_3genE10ELNS1_11target_archE1200ELNS1_3gpuE4ELNS1_3repE0EEENS1_30default_config_static_selectorELNS0_4arch9wavefront6targetE1EEEvT1_,@function
_ZN7rocprim17ROCPRIM_400000_NS6detail17trampoline_kernelINS0_14default_configENS1_27scan_by_key_config_selectorIxxEEZZNS1_16scan_by_key_implILNS1_25lookback_scan_determinismE0ELb0ES3_N6thrust23THRUST_200600_302600_NS6detail15normal_iteratorINS9_10device_ptrIxEEEESE_SE_xNS9_10multipliesIxEENS9_8equal_toIxEExEE10hipError_tPvRmT2_T3_T4_T5_mT6_T7_P12ihipStream_tbENKUlT_T0_E_clISt17integral_constantIbLb0EESY_IbLb1EEEEDaSU_SV_EUlSU_E_NS1_11comp_targetILNS1_3genE10ELNS1_11target_archE1200ELNS1_3gpuE4ELNS1_3repE0EEENS1_30default_config_static_selectorELNS0_4arch9wavefront6targetE1EEEvT1_: ; @_ZN7rocprim17ROCPRIM_400000_NS6detail17trampoline_kernelINS0_14default_configENS1_27scan_by_key_config_selectorIxxEEZZNS1_16scan_by_key_implILNS1_25lookback_scan_determinismE0ELb0ES3_N6thrust23THRUST_200600_302600_NS6detail15normal_iteratorINS9_10device_ptrIxEEEESE_SE_xNS9_10multipliesIxEENS9_8equal_toIxEExEE10hipError_tPvRmT2_T3_T4_T5_mT6_T7_P12ihipStream_tbENKUlT_T0_E_clISt17integral_constantIbLb0EESY_IbLb1EEEEDaSU_SV_EUlSU_E_NS1_11comp_targetILNS1_3genE10ELNS1_11target_archE1200ELNS1_3gpuE4ELNS1_3repE0EEENS1_30default_config_static_selectorELNS0_4arch9wavefront6targetE1EEEvT1_
; %bb.0:
	.section	.rodata,"a",@progbits
	.p2align	6, 0x0
	.amdhsa_kernel _ZN7rocprim17ROCPRIM_400000_NS6detail17trampoline_kernelINS0_14default_configENS1_27scan_by_key_config_selectorIxxEEZZNS1_16scan_by_key_implILNS1_25lookback_scan_determinismE0ELb0ES3_N6thrust23THRUST_200600_302600_NS6detail15normal_iteratorINS9_10device_ptrIxEEEESE_SE_xNS9_10multipliesIxEENS9_8equal_toIxEExEE10hipError_tPvRmT2_T3_T4_T5_mT6_T7_P12ihipStream_tbENKUlT_T0_E_clISt17integral_constantIbLb0EESY_IbLb1EEEEDaSU_SV_EUlSU_E_NS1_11comp_targetILNS1_3genE10ELNS1_11target_archE1200ELNS1_3gpuE4ELNS1_3repE0EEENS1_30default_config_static_selectorELNS0_4arch9wavefront6targetE1EEEvT1_
		.amdhsa_group_segment_fixed_size 0
		.amdhsa_private_segment_fixed_size 0
		.amdhsa_kernarg_size 136
		.amdhsa_user_sgpr_count 2
		.amdhsa_user_sgpr_dispatch_ptr 0
		.amdhsa_user_sgpr_queue_ptr 0
		.amdhsa_user_sgpr_kernarg_segment_ptr 1
		.amdhsa_user_sgpr_dispatch_id 0
		.amdhsa_user_sgpr_kernarg_preload_length 0
		.amdhsa_user_sgpr_kernarg_preload_offset 0
		.amdhsa_user_sgpr_private_segment_size 0
		.amdhsa_uses_dynamic_stack 0
		.amdhsa_enable_private_segment 0
		.amdhsa_system_sgpr_workgroup_id_x 1
		.amdhsa_system_sgpr_workgroup_id_y 0
		.amdhsa_system_sgpr_workgroup_id_z 0
		.amdhsa_system_sgpr_workgroup_info 0
		.amdhsa_system_vgpr_workitem_id 0
		.amdhsa_next_free_vgpr 1
		.amdhsa_next_free_sgpr 0
		.amdhsa_accum_offset 4
		.amdhsa_reserve_vcc 0
		.amdhsa_float_round_mode_32 0
		.amdhsa_float_round_mode_16_64 0
		.amdhsa_float_denorm_mode_32 3
		.amdhsa_float_denorm_mode_16_64 3
		.amdhsa_dx10_clamp 1
		.amdhsa_ieee_mode 1
		.amdhsa_fp16_overflow 0
		.amdhsa_tg_split 0
		.amdhsa_exception_fp_ieee_invalid_op 0
		.amdhsa_exception_fp_denorm_src 0
		.amdhsa_exception_fp_ieee_div_zero 0
		.amdhsa_exception_fp_ieee_overflow 0
		.amdhsa_exception_fp_ieee_underflow 0
		.amdhsa_exception_fp_ieee_inexact 0
		.amdhsa_exception_int_div_zero 0
	.end_amdhsa_kernel
	.section	.text._ZN7rocprim17ROCPRIM_400000_NS6detail17trampoline_kernelINS0_14default_configENS1_27scan_by_key_config_selectorIxxEEZZNS1_16scan_by_key_implILNS1_25lookback_scan_determinismE0ELb0ES3_N6thrust23THRUST_200600_302600_NS6detail15normal_iteratorINS9_10device_ptrIxEEEESE_SE_xNS9_10multipliesIxEENS9_8equal_toIxEExEE10hipError_tPvRmT2_T3_T4_T5_mT6_T7_P12ihipStream_tbENKUlT_T0_E_clISt17integral_constantIbLb0EESY_IbLb1EEEEDaSU_SV_EUlSU_E_NS1_11comp_targetILNS1_3genE10ELNS1_11target_archE1200ELNS1_3gpuE4ELNS1_3repE0EEENS1_30default_config_static_selectorELNS0_4arch9wavefront6targetE1EEEvT1_,"axG",@progbits,_ZN7rocprim17ROCPRIM_400000_NS6detail17trampoline_kernelINS0_14default_configENS1_27scan_by_key_config_selectorIxxEEZZNS1_16scan_by_key_implILNS1_25lookback_scan_determinismE0ELb0ES3_N6thrust23THRUST_200600_302600_NS6detail15normal_iteratorINS9_10device_ptrIxEEEESE_SE_xNS9_10multipliesIxEENS9_8equal_toIxEExEE10hipError_tPvRmT2_T3_T4_T5_mT6_T7_P12ihipStream_tbENKUlT_T0_E_clISt17integral_constantIbLb0EESY_IbLb1EEEEDaSU_SV_EUlSU_E_NS1_11comp_targetILNS1_3genE10ELNS1_11target_archE1200ELNS1_3gpuE4ELNS1_3repE0EEENS1_30default_config_static_selectorELNS0_4arch9wavefront6targetE1EEEvT1_,comdat
.Lfunc_end80:
	.size	_ZN7rocprim17ROCPRIM_400000_NS6detail17trampoline_kernelINS0_14default_configENS1_27scan_by_key_config_selectorIxxEEZZNS1_16scan_by_key_implILNS1_25lookback_scan_determinismE0ELb0ES3_N6thrust23THRUST_200600_302600_NS6detail15normal_iteratorINS9_10device_ptrIxEEEESE_SE_xNS9_10multipliesIxEENS9_8equal_toIxEExEE10hipError_tPvRmT2_T3_T4_T5_mT6_T7_P12ihipStream_tbENKUlT_T0_E_clISt17integral_constantIbLb0EESY_IbLb1EEEEDaSU_SV_EUlSU_E_NS1_11comp_targetILNS1_3genE10ELNS1_11target_archE1200ELNS1_3gpuE4ELNS1_3repE0EEENS1_30default_config_static_selectorELNS0_4arch9wavefront6targetE1EEEvT1_, .Lfunc_end80-_ZN7rocprim17ROCPRIM_400000_NS6detail17trampoline_kernelINS0_14default_configENS1_27scan_by_key_config_selectorIxxEEZZNS1_16scan_by_key_implILNS1_25lookback_scan_determinismE0ELb0ES3_N6thrust23THRUST_200600_302600_NS6detail15normal_iteratorINS9_10device_ptrIxEEEESE_SE_xNS9_10multipliesIxEENS9_8equal_toIxEExEE10hipError_tPvRmT2_T3_T4_T5_mT6_T7_P12ihipStream_tbENKUlT_T0_E_clISt17integral_constantIbLb0EESY_IbLb1EEEEDaSU_SV_EUlSU_E_NS1_11comp_targetILNS1_3genE10ELNS1_11target_archE1200ELNS1_3gpuE4ELNS1_3repE0EEENS1_30default_config_static_selectorELNS0_4arch9wavefront6targetE1EEEvT1_
                                        ; -- End function
	.section	.AMDGPU.csdata,"",@progbits
; Kernel info:
; codeLenInByte = 0
; NumSgprs: 6
; NumVgprs: 0
; NumAgprs: 0
; TotalNumVgprs: 0
; ScratchSize: 0
; MemoryBound: 0
; FloatMode: 240
; IeeeMode: 1
; LDSByteSize: 0 bytes/workgroup (compile time only)
; SGPRBlocks: 0
; VGPRBlocks: 0
; NumSGPRsForWavesPerEU: 6
; NumVGPRsForWavesPerEU: 1
; AccumOffset: 4
; Occupancy: 8
; WaveLimiterHint : 0
; COMPUTE_PGM_RSRC2:SCRATCH_EN: 0
; COMPUTE_PGM_RSRC2:USER_SGPR: 2
; COMPUTE_PGM_RSRC2:TRAP_HANDLER: 0
; COMPUTE_PGM_RSRC2:TGID_X_EN: 1
; COMPUTE_PGM_RSRC2:TGID_Y_EN: 0
; COMPUTE_PGM_RSRC2:TGID_Z_EN: 0
; COMPUTE_PGM_RSRC2:TIDIG_COMP_CNT: 0
; COMPUTE_PGM_RSRC3_GFX90A:ACCUM_OFFSET: 0
; COMPUTE_PGM_RSRC3_GFX90A:TG_SPLIT: 0
	.section	.text._ZN7rocprim17ROCPRIM_400000_NS6detail17trampoline_kernelINS0_14default_configENS1_27scan_by_key_config_selectorIxxEEZZNS1_16scan_by_key_implILNS1_25lookback_scan_determinismE0ELb0ES3_N6thrust23THRUST_200600_302600_NS6detail15normal_iteratorINS9_10device_ptrIxEEEESE_SE_xNS9_10multipliesIxEENS9_8equal_toIxEExEE10hipError_tPvRmT2_T3_T4_T5_mT6_T7_P12ihipStream_tbENKUlT_T0_E_clISt17integral_constantIbLb0EESY_IbLb1EEEEDaSU_SV_EUlSU_E_NS1_11comp_targetILNS1_3genE9ELNS1_11target_archE1100ELNS1_3gpuE3ELNS1_3repE0EEENS1_30default_config_static_selectorELNS0_4arch9wavefront6targetE1EEEvT1_,"axG",@progbits,_ZN7rocprim17ROCPRIM_400000_NS6detail17trampoline_kernelINS0_14default_configENS1_27scan_by_key_config_selectorIxxEEZZNS1_16scan_by_key_implILNS1_25lookback_scan_determinismE0ELb0ES3_N6thrust23THRUST_200600_302600_NS6detail15normal_iteratorINS9_10device_ptrIxEEEESE_SE_xNS9_10multipliesIxEENS9_8equal_toIxEExEE10hipError_tPvRmT2_T3_T4_T5_mT6_T7_P12ihipStream_tbENKUlT_T0_E_clISt17integral_constantIbLb0EESY_IbLb1EEEEDaSU_SV_EUlSU_E_NS1_11comp_targetILNS1_3genE9ELNS1_11target_archE1100ELNS1_3gpuE3ELNS1_3repE0EEENS1_30default_config_static_selectorELNS0_4arch9wavefront6targetE1EEEvT1_,comdat
	.protected	_ZN7rocprim17ROCPRIM_400000_NS6detail17trampoline_kernelINS0_14default_configENS1_27scan_by_key_config_selectorIxxEEZZNS1_16scan_by_key_implILNS1_25lookback_scan_determinismE0ELb0ES3_N6thrust23THRUST_200600_302600_NS6detail15normal_iteratorINS9_10device_ptrIxEEEESE_SE_xNS9_10multipliesIxEENS9_8equal_toIxEExEE10hipError_tPvRmT2_T3_T4_T5_mT6_T7_P12ihipStream_tbENKUlT_T0_E_clISt17integral_constantIbLb0EESY_IbLb1EEEEDaSU_SV_EUlSU_E_NS1_11comp_targetILNS1_3genE9ELNS1_11target_archE1100ELNS1_3gpuE3ELNS1_3repE0EEENS1_30default_config_static_selectorELNS0_4arch9wavefront6targetE1EEEvT1_ ; -- Begin function _ZN7rocprim17ROCPRIM_400000_NS6detail17trampoline_kernelINS0_14default_configENS1_27scan_by_key_config_selectorIxxEEZZNS1_16scan_by_key_implILNS1_25lookback_scan_determinismE0ELb0ES3_N6thrust23THRUST_200600_302600_NS6detail15normal_iteratorINS9_10device_ptrIxEEEESE_SE_xNS9_10multipliesIxEENS9_8equal_toIxEExEE10hipError_tPvRmT2_T3_T4_T5_mT6_T7_P12ihipStream_tbENKUlT_T0_E_clISt17integral_constantIbLb0EESY_IbLb1EEEEDaSU_SV_EUlSU_E_NS1_11comp_targetILNS1_3genE9ELNS1_11target_archE1100ELNS1_3gpuE3ELNS1_3repE0EEENS1_30default_config_static_selectorELNS0_4arch9wavefront6targetE1EEEvT1_
	.globl	_ZN7rocprim17ROCPRIM_400000_NS6detail17trampoline_kernelINS0_14default_configENS1_27scan_by_key_config_selectorIxxEEZZNS1_16scan_by_key_implILNS1_25lookback_scan_determinismE0ELb0ES3_N6thrust23THRUST_200600_302600_NS6detail15normal_iteratorINS9_10device_ptrIxEEEESE_SE_xNS9_10multipliesIxEENS9_8equal_toIxEExEE10hipError_tPvRmT2_T3_T4_T5_mT6_T7_P12ihipStream_tbENKUlT_T0_E_clISt17integral_constantIbLb0EESY_IbLb1EEEEDaSU_SV_EUlSU_E_NS1_11comp_targetILNS1_3genE9ELNS1_11target_archE1100ELNS1_3gpuE3ELNS1_3repE0EEENS1_30default_config_static_selectorELNS0_4arch9wavefront6targetE1EEEvT1_
	.p2align	8
	.type	_ZN7rocprim17ROCPRIM_400000_NS6detail17trampoline_kernelINS0_14default_configENS1_27scan_by_key_config_selectorIxxEEZZNS1_16scan_by_key_implILNS1_25lookback_scan_determinismE0ELb0ES3_N6thrust23THRUST_200600_302600_NS6detail15normal_iteratorINS9_10device_ptrIxEEEESE_SE_xNS9_10multipliesIxEENS9_8equal_toIxEExEE10hipError_tPvRmT2_T3_T4_T5_mT6_T7_P12ihipStream_tbENKUlT_T0_E_clISt17integral_constantIbLb0EESY_IbLb1EEEEDaSU_SV_EUlSU_E_NS1_11comp_targetILNS1_3genE9ELNS1_11target_archE1100ELNS1_3gpuE3ELNS1_3repE0EEENS1_30default_config_static_selectorELNS0_4arch9wavefront6targetE1EEEvT1_,@function
_ZN7rocprim17ROCPRIM_400000_NS6detail17trampoline_kernelINS0_14default_configENS1_27scan_by_key_config_selectorIxxEEZZNS1_16scan_by_key_implILNS1_25lookback_scan_determinismE0ELb0ES3_N6thrust23THRUST_200600_302600_NS6detail15normal_iteratorINS9_10device_ptrIxEEEESE_SE_xNS9_10multipliesIxEENS9_8equal_toIxEExEE10hipError_tPvRmT2_T3_T4_T5_mT6_T7_P12ihipStream_tbENKUlT_T0_E_clISt17integral_constantIbLb0EESY_IbLb1EEEEDaSU_SV_EUlSU_E_NS1_11comp_targetILNS1_3genE9ELNS1_11target_archE1100ELNS1_3gpuE3ELNS1_3repE0EEENS1_30default_config_static_selectorELNS0_4arch9wavefront6targetE1EEEvT1_: ; @_ZN7rocprim17ROCPRIM_400000_NS6detail17trampoline_kernelINS0_14default_configENS1_27scan_by_key_config_selectorIxxEEZZNS1_16scan_by_key_implILNS1_25lookback_scan_determinismE0ELb0ES3_N6thrust23THRUST_200600_302600_NS6detail15normal_iteratorINS9_10device_ptrIxEEEESE_SE_xNS9_10multipliesIxEENS9_8equal_toIxEExEE10hipError_tPvRmT2_T3_T4_T5_mT6_T7_P12ihipStream_tbENKUlT_T0_E_clISt17integral_constantIbLb0EESY_IbLb1EEEEDaSU_SV_EUlSU_E_NS1_11comp_targetILNS1_3genE9ELNS1_11target_archE1100ELNS1_3gpuE3ELNS1_3repE0EEENS1_30default_config_static_selectorELNS0_4arch9wavefront6targetE1EEEvT1_
; %bb.0:
	.section	.rodata,"a",@progbits
	.p2align	6, 0x0
	.amdhsa_kernel _ZN7rocprim17ROCPRIM_400000_NS6detail17trampoline_kernelINS0_14default_configENS1_27scan_by_key_config_selectorIxxEEZZNS1_16scan_by_key_implILNS1_25lookback_scan_determinismE0ELb0ES3_N6thrust23THRUST_200600_302600_NS6detail15normal_iteratorINS9_10device_ptrIxEEEESE_SE_xNS9_10multipliesIxEENS9_8equal_toIxEExEE10hipError_tPvRmT2_T3_T4_T5_mT6_T7_P12ihipStream_tbENKUlT_T0_E_clISt17integral_constantIbLb0EESY_IbLb1EEEEDaSU_SV_EUlSU_E_NS1_11comp_targetILNS1_3genE9ELNS1_11target_archE1100ELNS1_3gpuE3ELNS1_3repE0EEENS1_30default_config_static_selectorELNS0_4arch9wavefront6targetE1EEEvT1_
		.amdhsa_group_segment_fixed_size 0
		.amdhsa_private_segment_fixed_size 0
		.amdhsa_kernarg_size 136
		.amdhsa_user_sgpr_count 2
		.amdhsa_user_sgpr_dispatch_ptr 0
		.amdhsa_user_sgpr_queue_ptr 0
		.amdhsa_user_sgpr_kernarg_segment_ptr 1
		.amdhsa_user_sgpr_dispatch_id 0
		.amdhsa_user_sgpr_kernarg_preload_length 0
		.amdhsa_user_sgpr_kernarg_preload_offset 0
		.amdhsa_user_sgpr_private_segment_size 0
		.amdhsa_uses_dynamic_stack 0
		.amdhsa_enable_private_segment 0
		.amdhsa_system_sgpr_workgroup_id_x 1
		.amdhsa_system_sgpr_workgroup_id_y 0
		.amdhsa_system_sgpr_workgroup_id_z 0
		.amdhsa_system_sgpr_workgroup_info 0
		.amdhsa_system_vgpr_workitem_id 0
		.amdhsa_next_free_vgpr 1
		.amdhsa_next_free_sgpr 0
		.amdhsa_accum_offset 4
		.amdhsa_reserve_vcc 0
		.amdhsa_float_round_mode_32 0
		.amdhsa_float_round_mode_16_64 0
		.amdhsa_float_denorm_mode_32 3
		.amdhsa_float_denorm_mode_16_64 3
		.amdhsa_dx10_clamp 1
		.amdhsa_ieee_mode 1
		.amdhsa_fp16_overflow 0
		.amdhsa_tg_split 0
		.amdhsa_exception_fp_ieee_invalid_op 0
		.amdhsa_exception_fp_denorm_src 0
		.amdhsa_exception_fp_ieee_div_zero 0
		.amdhsa_exception_fp_ieee_overflow 0
		.amdhsa_exception_fp_ieee_underflow 0
		.amdhsa_exception_fp_ieee_inexact 0
		.amdhsa_exception_int_div_zero 0
	.end_amdhsa_kernel
	.section	.text._ZN7rocprim17ROCPRIM_400000_NS6detail17trampoline_kernelINS0_14default_configENS1_27scan_by_key_config_selectorIxxEEZZNS1_16scan_by_key_implILNS1_25lookback_scan_determinismE0ELb0ES3_N6thrust23THRUST_200600_302600_NS6detail15normal_iteratorINS9_10device_ptrIxEEEESE_SE_xNS9_10multipliesIxEENS9_8equal_toIxEExEE10hipError_tPvRmT2_T3_T4_T5_mT6_T7_P12ihipStream_tbENKUlT_T0_E_clISt17integral_constantIbLb0EESY_IbLb1EEEEDaSU_SV_EUlSU_E_NS1_11comp_targetILNS1_3genE9ELNS1_11target_archE1100ELNS1_3gpuE3ELNS1_3repE0EEENS1_30default_config_static_selectorELNS0_4arch9wavefront6targetE1EEEvT1_,"axG",@progbits,_ZN7rocprim17ROCPRIM_400000_NS6detail17trampoline_kernelINS0_14default_configENS1_27scan_by_key_config_selectorIxxEEZZNS1_16scan_by_key_implILNS1_25lookback_scan_determinismE0ELb0ES3_N6thrust23THRUST_200600_302600_NS6detail15normal_iteratorINS9_10device_ptrIxEEEESE_SE_xNS9_10multipliesIxEENS9_8equal_toIxEExEE10hipError_tPvRmT2_T3_T4_T5_mT6_T7_P12ihipStream_tbENKUlT_T0_E_clISt17integral_constantIbLb0EESY_IbLb1EEEEDaSU_SV_EUlSU_E_NS1_11comp_targetILNS1_3genE9ELNS1_11target_archE1100ELNS1_3gpuE3ELNS1_3repE0EEENS1_30default_config_static_selectorELNS0_4arch9wavefront6targetE1EEEvT1_,comdat
.Lfunc_end81:
	.size	_ZN7rocprim17ROCPRIM_400000_NS6detail17trampoline_kernelINS0_14default_configENS1_27scan_by_key_config_selectorIxxEEZZNS1_16scan_by_key_implILNS1_25lookback_scan_determinismE0ELb0ES3_N6thrust23THRUST_200600_302600_NS6detail15normal_iteratorINS9_10device_ptrIxEEEESE_SE_xNS9_10multipliesIxEENS9_8equal_toIxEExEE10hipError_tPvRmT2_T3_T4_T5_mT6_T7_P12ihipStream_tbENKUlT_T0_E_clISt17integral_constantIbLb0EESY_IbLb1EEEEDaSU_SV_EUlSU_E_NS1_11comp_targetILNS1_3genE9ELNS1_11target_archE1100ELNS1_3gpuE3ELNS1_3repE0EEENS1_30default_config_static_selectorELNS0_4arch9wavefront6targetE1EEEvT1_, .Lfunc_end81-_ZN7rocprim17ROCPRIM_400000_NS6detail17trampoline_kernelINS0_14default_configENS1_27scan_by_key_config_selectorIxxEEZZNS1_16scan_by_key_implILNS1_25lookback_scan_determinismE0ELb0ES3_N6thrust23THRUST_200600_302600_NS6detail15normal_iteratorINS9_10device_ptrIxEEEESE_SE_xNS9_10multipliesIxEENS9_8equal_toIxEExEE10hipError_tPvRmT2_T3_T4_T5_mT6_T7_P12ihipStream_tbENKUlT_T0_E_clISt17integral_constantIbLb0EESY_IbLb1EEEEDaSU_SV_EUlSU_E_NS1_11comp_targetILNS1_3genE9ELNS1_11target_archE1100ELNS1_3gpuE3ELNS1_3repE0EEENS1_30default_config_static_selectorELNS0_4arch9wavefront6targetE1EEEvT1_
                                        ; -- End function
	.section	.AMDGPU.csdata,"",@progbits
; Kernel info:
; codeLenInByte = 0
; NumSgprs: 6
; NumVgprs: 0
; NumAgprs: 0
; TotalNumVgprs: 0
; ScratchSize: 0
; MemoryBound: 0
; FloatMode: 240
; IeeeMode: 1
; LDSByteSize: 0 bytes/workgroup (compile time only)
; SGPRBlocks: 0
; VGPRBlocks: 0
; NumSGPRsForWavesPerEU: 6
; NumVGPRsForWavesPerEU: 1
; AccumOffset: 4
; Occupancy: 8
; WaveLimiterHint : 0
; COMPUTE_PGM_RSRC2:SCRATCH_EN: 0
; COMPUTE_PGM_RSRC2:USER_SGPR: 2
; COMPUTE_PGM_RSRC2:TRAP_HANDLER: 0
; COMPUTE_PGM_RSRC2:TGID_X_EN: 1
; COMPUTE_PGM_RSRC2:TGID_Y_EN: 0
; COMPUTE_PGM_RSRC2:TGID_Z_EN: 0
; COMPUTE_PGM_RSRC2:TIDIG_COMP_CNT: 0
; COMPUTE_PGM_RSRC3_GFX90A:ACCUM_OFFSET: 0
; COMPUTE_PGM_RSRC3_GFX90A:TG_SPLIT: 0
	.section	.text._ZN7rocprim17ROCPRIM_400000_NS6detail17trampoline_kernelINS0_14default_configENS1_27scan_by_key_config_selectorIxxEEZZNS1_16scan_by_key_implILNS1_25lookback_scan_determinismE0ELb0ES3_N6thrust23THRUST_200600_302600_NS6detail15normal_iteratorINS9_10device_ptrIxEEEESE_SE_xNS9_10multipliesIxEENS9_8equal_toIxEExEE10hipError_tPvRmT2_T3_T4_T5_mT6_T7_P12ihipStream_tbENKUlT_T0_E_clISt17integral_constantIbLb0EESY_IbLb1EEEEDaSU_SV_EUlSU_E_NS1_11comp_targetILNS1_3genE8ELNS1_11target_archE1030ELNS1_3gpuE2ELNS1_3repE0EEENS1_30default_config_static_selectorELNS0_4arch9wavefront6targetE1EEEvT1_,"axG",@progbits,_ZN7rocprim17ROCPRIM_400000_NS6detail17trampoline_kernelINS0_14default_configENS1_27scan_by_key_config_selectorIxxEEZZNS1_16scan_by_key_implILNS1_25lookback_scan_determinismE0ELb0ES3_N6thrust23THRUST_200600_302600_NS6detail15normal_iteratorINS9_10device_ptrIxEEEESE_SE_xNS9_10multipliesIxEENS9_8equal_toIxEExEE10hipError_tPvRmT2_T3_T4_T5_mT6_T7_P12ihipStream_tbENKUlT_T0_E_clISt17integral_constantIbLb0EESY_IbLb1EEEEDaSU_SV_EUlSU_E_NS1_11comp_targetILNS1_3genE8ELNS1_11target_archE1030ELNS1_3gpuE2ELNS1_3repE0EEENS1_30default_config_static_selectorELNS0_4arch9wavefront6targetE1EEEvT1_,comdat
	.protected	_ZN7rocprim17ROCPRIM_400000_NS6detail17trampoline_kernelINS0_14default_configENS1_27scan_by_key_config_selectorIxxEEZZNS1_16scan_by_key_implILNS1_25lookback_scan_determinismE0ELb0ES3_N6thrust23THRUST_200600_302600_NS6detail15normal_iteratorINS9_10device_ptrIxEEEESE_SE_xNS9_10multipliesIxEENS9_8equal_toIxEExEE10hipError_tPvRmT2_T3_T4_T5_mT6_T7_P12ihipStream_tbENKUlT_T0_E_clISt17integral_constantIbLb0EESY_IbLb1EEEEDaSU_SV_EUlSU_E_NS1_11comp_targetILNS1_3genE8ELNS1_11target_archE1030ELNS1_3gpuE2ELNS1_3repE0EEENS1_30default_config_static_selectorELNS0_4arch9wavefront6targetE1EEEvT1_ ; -- Begin function _ZN7rocprim17ROCPRIM_400000_NS6detail17trampoline_kernelINS0_14default_configENS1_27scan_by_key_config_selectorIxxEEZZNS1_16scan_by_key_implILNS1_25lookback_scan_determinismE0ELb0ES3_N6thrust23THRUST_200600_302600_NS6detail15normal_iteratorINS9_10device_ptrIxEEEESE_SE_xNS9_10multipliesIxEENS9_8equal_toIxEExEE10hipError_tPvRmT2_T3_T4_T5_mT6_T7_P12ihipStream_tbENKUlT_T0_E_clISt17integral_constantIbLb0EESY_IbLb1EEEEDaSU_SV_EUlSU_E_NS1_11comp_targetILNS1_3genE8ELNS1_11target_archE1030ELNS1_3gpuE2ELNS1_3repE0EEENS1_30default_config_static_selectorELNS0_4arch9wavefront6targetE1EEEvT1_
	.globl	_ZN7rocprim17ROCPRIM_400000_NS6detail17trampoline_kernelINS0_14default_configENS1_27scan_by_key_config_selectorIxxEEZZNS1_16scan_by_key_implILNS1_25lookback_scan_determinismE0ELb0ES3_N6thrust23THRUST_200600_302600_NS6detail15normal_iteratorINS9_10device_ptrIxEEEESE_SE_xNS9_10multipliesIxEENS9_8equal_toIxEExEE10hipError_tPvRmT2_T3_T4_T5_mT6_T7_P12ihipStream_tbENKUlT_T0_E_clISt17integral_constantIbLb0EESY_IbLb1EEEEDaSU_SV_EUlSU_E_NS1_11comp_targetILNS1_3genE8ELNS1_11target_archE1030ELNS1_3gpuE2ELNS1_3repE0EEENS1_30default_config_static_selectorELNS0_4arch9wavefront6targetE1EEEvT1_
	.p2align	8
	.type	_ZN7rocprim17ROCPRIM_400000_NS6detail17trampoline_kernelINS0_14default_configENS1_27scan_by_key_config_selectorIxxEEZZNS1_16scan_by_key_implILNS1_25lookback_scan_determinismE0ELb0ES3_N6thrust23THRUST_200600_302600_NS6detail15normal_iteratorINS9_10device_ptrIxEEEESE_SE_xNS9_10multipliesIxEENS9_8equal_toIxEExEE10hipError_tPvRmT2_T3_T4_T5_mT6_T7_P12ihipStream_tbENKUlT_T0_E_clISt17integral_constantIbLb0EESY_IbLb1EEEEDaSU_SV_EUlSU_E_NS1_11comp_targetILNS1_3genE8ELNS1_11target_archE1030ELNS1_3gpuE2ELNS1_3repE0EEENS1_30default_config_static_selectorELNS0_4arch9wavefront6targetE1EEEvT1_,@function
_ZN7rocprim17ROCPRIM_400000_NS6detail17trampoline_kernelINS0_14default_configENS1_27scan_by_key_config_selectorIxxEEZZNS1_16scan_by_key_implILNS1_25lookback_scan_determinismE0ELb0ES3_N6thrust23THRUST_200600_302600_NS6detail15normal_iteratorINS9_10device_ptrIxEEEESE_SE_xNS9_10multipliesIxEENS9_8equal_toIxEExEE10hipError_tPvRmT2_T3_T4_T5_mT6_T7_P12ihipStream_tbENKUlT_T0_E_clISt17integral_constantIbLb0EESY_IbLb1EEEEDaSU_SV_EUlSU_E_NS1_11comp_targetILNS1_3genE8ELNS1_11target_archE1030ELNS1_3gpuE2ELNS1_3repE0EEENS1_30default_config_static_selectorELNS0_4arch9wavefront6targetE1EEEvT1_: ; @_ZN7rocprim17ROCPRIM_400000_NS6detail17trampoline_kernelINS0_14default_configENS1_27scan_by_key_config_selectorIxxEEZZNS1_16scan_by_key_implILNS1_25lookback_scan_determinismE0ELb0ES3_N6thrust23THRUST_200600_302600_NS6detail15normal_iteratorINS9_10device_ptrIxEEEESE_SE_xNS9_10multipliesIxEENS9_8equal_toIxEExEE10hipError_tPvRmT2_T3_T4_T5_mT6_T7_P12ihipStream_tbENKUlT_T0_E_clISt17integral_constantIbLb0EESY_IbLb1EEEEDaSU_SV_EUlSU_E_NS1_11comp_targetILNS1_3genE8ELNS1_11target_archE1030ELNS1_3gpuE2ELNS1_3repE0EEENS1_30default_config_static_selectorELNS0_4arch9wavefront6targetE1EEEvT1_
; %bb.0:
	.section	.rodata,"a",@progbits
	.p2align	6, 0x0
	.amdhsa_kernel _ZN7rocprim17ROCPRIM_400000_NS6detail17trampoline_kernelINS0_14default_configENS1_27scan_by_key_config_selectorIxxEEZZNS1_16scan_by_key_implILNS1_25lookback_scan_determinismE0ELb0ES3_N6thrust23THRUST_200600_302600_NS6detail15normal_iteratorINS9_10device_ptrIxEEEESE_SE_xNS9_10multipliesIxEENS9_8equal_toIxEExEE10hipError_tPvRmT2_T3_T4_T5_mT6_T7_P12ihipStream_tbENKUlT_T0_E_clISt17integral_constantIbLb0EESY_IbLb1EEEEDaSU_SV_EUlSU_E_NS1_11comp_targetILNS1_3genE8ELNS1_11target_archE1030ELNS1_3gpuE2ELNS1_3repE0EEENS1_30default_config_static_selectorELNS0_4arch9wavefront6targetE1EEEvT1_
		.amdhsa_group_segment_fixed_size 0
		.amdhsa_private_segment_fixed_size 0
		.amdhsa_kernarg_size 136
		.amdhsa_user_sgpr_count 2
		.amdhsa_user_sgpr_dispatch_ptr 0
		.amdhsa_user_sgpr_queue_ptr 0
		.amdhsa_user_sgpr_kernarg_segment_ptr 1
		.amdhsa_user_sgpr_dispatch_id 0
		.amdhsa_user_sgpr_kernarg_preload_length 0
		.amdhsa_user_sgpr_kernarg_preload_offset 0
		.amdhsa_user_sgpr_private_segment_size 0
		.amdhsa_uses_dynamic_stack 0
		.amdhsa_enable_private_segment 0
		.amdhsa_system_sgpr_workgroup_id_x 1
		.amdhsa_system_sgpr_workgroup_id_y 0
		.amdhsa_system_sgpr_workgroup_id_z 0
		.amdhsa_system_sgpr_workgroup_info 0
		.amdhsa_system_vgpr_workitem_id 0
		.amdhsa_next_free_vgpr 1
		.amdhsa_next_free_sgpr 0
		.amdhsa_accum_offset 4
		.amdhsa_reserve_vcc 0
		.amdhsa_float_round_mode_32 0
		.amdhsa_float_round_mode_16_64 0
		.amdhsa_float_denorm_mode_32 3
		.amdhsa_float_denorm_mode_16_64 3
		.amdhsa_dx10_clamp 1
		.amdhsa_ieee_mode 1
		.amdhsa_fp16_overflow 0
		.amdhsa_tg_split 0
		.amdhsa_exception_fp_ieee_invalid_op 0
		.amdhsa_exception_fp_denorm_src 0
		.amdhsa_exception_fp_ieee_div_zero 0
		.amdhsa_exception_fp_ieee_overflow 0
		.amdhsa_exception_fp_ieee_underflow 0
		.amdhsa_exception_fp_ieee_inexact 0
		.amdhsa_exception_int_div_zero 0
	.end_amdhsa_kernel
	.section	.text._ZN7rocprim17ROCPRIM_400000_NS6detail17trampoline_kernelINS0_14default_configENS1_27scan_by_key_config_selectorIxxEEZZNS1_16scan_by_key_implILNS1_25lookback_scan_determinismE0ELb0ES3_N6thrust23THRUST_200600_302600_NS6detail15normal_iteratorINS9_10device_ptrIxEEEESE_SE_xNS9_10multipliesIxEENS9_8equal_toIxEExEE10hipError_tPvRmT2_T3_T4_T5_mT6_T7_P12ihipStream_tbENKUlT_T0_E_clISt17integral_constantIbLb0EESY_IbLb1EEEEDaSU_SV_EUlSU_E_NS1_11comp_targetILNS1_3genE8ELNS1_11target_archE1030ELNS1_3gpuE2ELNS1_3repE0EEENS1_30default_config_static_selectorELNS0_4arch9wavefront6targetE1EEEvT1_,"axG",@progbits,_ZN7rocprim17ROCPRIM_400000_NS6detail17trampoline_kernelINS0_14default_configENS1_27scan_by_key_config_selectorIxxEEZZNS1_16scan_by_key_implILNS1_25lookback_scan_determinismE0ELb0ES3_N6thrust23THRUST_200600_302600_NS6detail15normal_iteratorINS9_10device_ptrIxEEEESE_SE_xNS9_10multipliesIxEENS9_8equal_toIxEExEE10hipError_tPvRmT2_T3_T4_T5_mT6_T7_P12ihipStream_tbENKUlT_T0_E_clISt17integral_constantIbLb0EESY_IbLb1EEEEDaSU_SV_EUlSU_E_NS1_11comp_targetILNS1_3genE8ELNS1_11target_archE1030ELNS1_3gpuE2ELNS1_3repE0EEENS1_30default_config_static_selectorELNS0_4arch9wavefront6targetE1EEEvT1_,comdat
.Lfunc_end82:
	.size	_ZN7rocprim17ROCPRIM_400000_NS6detail17trampoline_kernelINS0_14default_configENS1_27scan_by_key_config_selectorIxxEEZZNS1_16scan_by_key_implILNS1_25lookback_scan_determinismE0ELb0ES3_N6thrust23THRUST_200600_302600_NS6detail15normal_iteratorINS9_10device_ptrIxEEEESE_SE_xNS9_10multipliesIxEENS9_8equal_toIxEExEE10hipError_tPvRmT2_T3_T4_T5_mT6_T7_P12ihipStream_tbENKUlT_T0_E_clISt17integral_constantIbLb0EESY_IbLb1EEEEDaSU_SV_EUlSU_E_NS1_11comp_targetILNS1_3genE8ELNS1_11target_archE1030ELNS1_3gpuE2ELNS1_3repE0EEENS1_30default_config_static_selectorELNS0_4arch9wavefront6targetE1EEEvT1_, .Lfunc_end82-_ZN7rocprim17ROCPRIM_400000_NS6detail17trampoline_kernelINS0_14default_configENS1_27scan_by_key_config_selectorIxxEEZZNS1_16scan_by_key_implILNS1_25lookback_scan_determinismE0ELb0ES3_N6thrust23THRUST_200600_302600_NS6detail15normal_iteratorINS9_10device_ptrIxEEEESE_SE_xNS9_10multipliesIxEENS9_8equal_toIxEExEE10hipError_tPvRmT2_T3_T4_T5_mT6_T7_P12ihipStream_tbENKUlT_T0_E_clISt17integral_constantIbLb0EESY_IbLb1EEEEDaSU_SV_EUlSU_E_NS1_11comp_targetILNS1_3genE8ELNS1_11target_archE1030ELNS1_3gpuE2ELNS1_3repE0EEENS1_30default_config_static_selectorELNS0_4arch9wavefront6targetE1EEEvT1_
                                        ; -- End function
	.section	.AMDGPU.csdata,"",@progbits
; Kernel info:
; codeLenInByte = 0
; NumSgprs: 6
; NumVgprs: 0
; NumAgprs: 0
; TotalNumVgprs: 0
; ScratchSize: 0
; MemoryBound: 0
; FloatMode: 240
; IeeeMode: 1
; LDSByteSize: 0 bytes/workgroup (compile time only)
; SGPRBlocks: 0
; VGPRBlocks: 0
; NumSGPRsForWavesPerEU: 6
; NumVGPRsForWavesPerEU: 1
; AccumOffset: 4
; Occupancy: 8
; WaveLimiterHint : 0
; COMPUTE_PGM_RSRC2:SCRATCH_EN: 0
; COMPUTE_PGM_RSRC2:USER_SGPR: 2
; COMPUTE_PGM_RSRC2:TRAP_HANDLER: 0
; COMPUTE_PGM_RSRC2:TGID_X_EN: 1
; COMPUTE_PGM_RSRC2:TGID_Y_EN: 0
; COMPUTE_PGM_RSRC2:TGID_Z_EN: 0
; COMPUTE_PGM_RSRC2:TIDIG_COMP_CNT: 0
; COMPUTE_PGM_RSRC3_GFX90A:ACCUM_OFFSET: 0
; COMPUTE_PGM_RSRC3_GFX90A:TG_SPLIT: 0
	.section	.text._ZN7rocprim17ROCPRIM_400000_NS6detail17trampoline_kernelINS0_14default_configENS1_27scan_by_key_config_selectorIxxEEZZNS1_16scan_by_key_implILNS1_25lookback_scan_determinismE0ELb0ES3_N6thrust23THRUST_200600_302600_NS6detail15normal_iteratorINS9_10device_ptrIxEEEESE_SE_xNS9_4plusIvEENS9_8equal_toIxEExEE10hipError_tPvRmT2_T3_T4_T5_mT6_T7_P12ihipStream_tbENKUlT_T0_E_clISt17integral_constantIbLb0EESZ_EEDaSU_SV_EUlSU_E_NS1_11comp_targetILNS1_3genE0ELNS1_11target_archE4294967295ELNS1_3gpuE0ELNS1_3repE0EEENS1_30default_config_static_selectorELNS0_4arch9wavefront6targetE1EEEvT1_,"axG",@progbits,_ZN7rocprim17ROCPRIM_400000_NS6detail17trampoline_kernelINS0_14default_configENS1_27scan_by_key_config_selectorIxxEEZZNS1_16scan_by_key_implILNS1_25lookback_scan_determinismE0ELb0ES3_N6thrust23THRUST_200600_302600_NS6detail15normal_iteratorINS9_10device_ptrIxEEEESE_SE_xNS9_4plusIvEENS9_8equal_toIxEExEE10hipError_tPvRmT2_T3_T4_T5_mT6_T7_P12ihipStream_tbENKUlT_T0_E_clISt17integral_constantIbLb0EESZ_EEDaSU_SV_EUlSU_E_NS1_11comp_targetILNS1_3genE0ELNS1_11target_archE4294967295ELNS1_3gpuE0ELNS1_3repE0EEENS1_30default_config_static_selectorELNS0_4arch9wavefront6targetE1EEEvT1_,comdat
	.protected	_ZN7rocprim17ROCPRIM_400000_NS6detail17trampoline_kernelINS0_14default_configENS1_27scan_by_key_config_selectorIxxEEZZNS1_16scan_by_key_implILNS1_25lookback_scan_determinismE0ELb0ES3_N6thrust23THRUST_200600_302600_NS6detail15normal_iteratorINS9_10device_ptrIxEEEESE_SE_xNS9_4plusIvEENS9_8equal_toIxEExEE10hipError_tPvRmT2_T3_T4_T5_mT6_T7_P12ihipStream_tbENKUlT_T0_E_clISt17integral_constantIbLb0EESZ_EEDaSU_SV_EUlSU_E_NS1_11comp_targetILNS1_3genE0ELNS1_11target_archE4294967295ELNS1_3gpuE0ELNS1_3repE0EEENS1_30default_config_static_selectorELNS0_4arch9wavefront6targetE1EEEvT1_ ; -- Begin function _ZN7rocprim17ROCPRIM_400000_NS6detail17trampoline_kernelINS0_14default_configENS1_27scan_by_key_config_selectorIxxEEZZNS1_16scan_by_key_implILNS1_25lookback_scan_determinismE0ELb0ES3_N6thrust23THRUST_200600_302600_NS6detail15normal_iteratorINS9_10device_ptrIxEEEESE_SE_xNS9_4plusIvEENS9_8equal_toIxEExEE10hipError_tPvRmT2_T3_T4_T5_mT6_T7_P12ihipStream_tbENKUlT_T0_E_clISt17integral_constantIbLb0EESZ_EEDaSU_SV_EUlSU_E_NS1_11comp_targetILNS1_3genE0ELNS1_11target_archE4294967295ELNS1_3gpuE0ELNS1_3repE0EEENS1_30default_config_static_selectorELNS0_4arch9wavefront6targetE1EEEvT1_
	.globl	_ZN7rocprim17ROCPRIM_400000_NS6detail17trampoline_kernelINS0_14default_configENS1_27scan_by_key_config_selectorIxxEEZZNS1_16scan_by_key_implILNS1_25lookback_scan_determinismE0ELb0ES3_N6thrust23THRUST_200600_302600_NS6detail15normal_iteratorINS9_10device_ptrIxEEEESE_SE_xNS9_4plusIvEENS9_8equal_toIxEExEE10hipError_tPvRmT2_T3_T4_T5_mT6_T7_P12ihipStream_tbENKUlT_T0_E_clISt17integral_constantIbLb0EESZ_EEDaSU_SV_EUlSU_E_NS1_11comp_targetILNS1_3genE0ELNS1_11target_archE4294967295ELNS1_3gpuE0ELNS1_3repE0EEENS1_30default_config_static_selectorELNS0_4arch9wavefront6targetE1EEEvT1_
	.p2align	8
	.type	_ZN7rocprim17ROCPRIM_400000_NS6detail17trampoline_kernelINS0_14default_configENS1_27scan_by_key_config_selectorIxxEEZZNS1_16scan_by_key_implILNS1_25lookback_scan_determinismE0ELb0ES3_N6thrust23THRUST_200600_302600_NS6detail15normal_iteratorINS9_10device_ptrIxEEEESE_SE_xNS9_4plusIvEENS9_8equal_toIxEExEE10hipError_tPvRmT2_T3_T4_T5_mT6_T7_P12ihipStream_tbENKUlT_T0_E_clISt17integral_constantIbLb0EESZ_EEDaSU_SV_EUlSU_E_NS1_11comp_targetILNS1_3genE0ELNS1_11target_archE4294967295ELNS1_3gpuE0ELNS1_3repE0EEENS1_30default_config_static_selectorELNS0_4arch9wavefront6targetE1EEEvT1_,@function
_ZN7rocprim17ROCPRIM_400000_NS6detail17trampoline_kernelINS0_14default_configENS1_27scan_by_key_config_selectorIxxEEZZNS1_16scan_by_key_implILNS1_25lookback_scan_determinismE0ELb0ES3_N6thrust23THRUST_200600_302600_NS6detail15normal_iteratorINS9_10device_ptrIxEEEESE_SE_xNS9_4plusIvEENS9_8equal_toIxEExEE10hipError_tPvRmT2_T3_T4_T5_mT6_T7_P12ihipStream_tbENKUlT_T0_E_clISt17integral_constantIbLb0EESZ_EEDaSU_SV_EUlSU_E_NS1_11comp_targetILNS1_3genE0ELNS1_11target_archE4294967295ELNS1_3gpuE0ELNS1_3repE0EEENS1_30default_config_static_selectorELNS0_4arch9wavefront6targetE1EEEvT1_: ; @_ZN7rocprim17ROCPRIM_400000_NS6detail17trampoline_kernelINS0_14default_configENS1_27scan_by_key_config_selectorIxxEEZZNS1_16scan_by_key_implILNS1_25lookback_scan_determinismE0ELb0ES3_N6thrust23THRUST_200600_302600_NS6detail15normal_iteratorINS9_10device_ptrIxEEEESE_SE_xNS9_4plusIvEENS9_8equal_toIxEExEE10hipError_tPvRmT2_T3_T4_T5_mT6_T7_P12ihipStream_tbENKUlT_T0_E_clISt17integral_constantIbLb0EESZ_EEDaSU_SV_EUlSU_E_NS1_11comp_targetILNS1_3genE0ELNS1_11target_archE4294967295ELNS1_3gpuE0ELNS1_3repE0EEENS1_30default_config_static_selectorELNS0_4arch9wavefront6targetE1EEEvT1_
; %bb.0:
	.section	.rodata,"a",@progbits
	.p2align	6, 0x0
	.amdhsa_kernel _ZN7rocprim17ROCPRIM_400000_NS6detail17trampoline_kernelINS0_14default_configENS1_27scan_by_key_config_selectorIxxEEZZNS1_16scan_by_key_implILNS1_25lookback_scan_determinismE0ELb0ES3_N6thrust23THRUST_200600_302600_NS6detail15normal_iteratorINS9_10device_ptrIxEEEESE_SE_xNS9_4plusIvEENS9_8equal_toIxEExEE10hipError_tPvRmT2_T3_T4_T5_mT6_T7_P12ihipStream_tbENKUlT_T0_E_clISt17integral_constantIbLb0EESZ_EEDaSU_SV_EUlSU_E_NS1_11comp_targetILNS1_3genE0ELNS1_11target_archE4294967295ELNS1_3gpuE0ELNS1_3repE0EEENS1_30default_config_static_selectorELNS0_4arch9wavefront6targetE1EEEvT1_
		.amdhsa_group_segment_fixed_size 0
		.amdhsa_private_segment_fixed_size 0
		.amdhsa_kernarg_size 136
		.amdhsa_user_sgpr_count 2
		.amdhsa_user_sgpr_dispatch_ptr 0
		.amdhsa_user_sgpr_queue_ptr 0
		.amdhsa_user_sgpr_kernarg_segment_ptr 1
		.amdhsa_user_sgpr_dispatch_id 0
		.amdhsa_user_sgpr_kernarg_preload_length 0
		.amdhsa_user_sgpr_kernarg_preload_offset 0
		.amdhsa_user_sgpr_private_segment_size 0
		.amdhsa_uses_dynamic_stack 0
		.amdhsa_enable_private_segment 0
		.amdhsa_system_sgpr_workgroup_id_x 1
		.amdhsa_system_sgpr_workgroup_id_y 0
		.amdhsa_system_sgpr_workgroup_id_z 0
		.amdhsa_system_sgpr_workgroup_info 0
		.amdhsa_system_vgpr_workitem_id 0
		.amdhsa_next_free_vgpr 1
		.amdhsa_next_free_sgpr 0
		.amdhsa_accum_offset 4
		.amdhsa_reserve_vcc 0
		.amdhsa_float_round_mode_32 0
		.amdhsa_float_round_mode_16_64 0
		.amdhsa_float_denorm_mode_32 3
		.amdhsa_float_denorm_mode_16_64 3
		.amdhsa_dx10_clamp 1
		.amdhsa_ieee_mode 1
		.amdhsa_fp16_overflow 0
		.amdhsa_tg_split 0
		.amdhsa_exception_fp_ieee_invalid_op 0
		.amdhsa_exception_fp_denorm_src 0
		.amdhsa_exception_fp_ieee_div_zero 0
		.amdhsa_exception_fp_ieee_overflow 0
		.amdhsa_exception_fp_ieee_underflow 0
		.amdhsa_exception_fp_ieee_inexact 0
		.amdhsa_exception_int_div_zero 0
	.end_amdhsa_kernel
	.section	.text._ZN7rocprim17ROCPRIM_400000_NS6detail17trampoline_kernelINS0_14default_configENS1_27scan_by_key_config_selectorIxxEEZZNS1_16scan_by_key_implILNS1_25lookback_scan_determinismE0ELb0ES3_N6thrust23THRUST_200600_302600_NS6detail15normal_iteratorINS9_10device_ptrIxEEEESE_SE_xNS9_4plusIvEENS9_8equal_toIxEExEE10hipError_tPvRmT2_T3_T4_T5_mT6_T7_P12ihipStream_tbENKUlT_T0_E_clISt17integral_constantIbLb0EESZ_EEDaSU_SV_EUlSU_E_NS1_11comp_targetILNS1_3genE0ELNS1_11target_archE4294967295ELNS1_3gpuE0ELNS1_3repE0EEENS1_30default_config_static_selectorELNS0_4arch9wavefront6targetE1EEEvT1_,"axG",@progbits,_ZN7rocprim17ROCPRIM_400000_NS6detail17trampoline_kernelINS0_14default_configENS1_27scan_by_key_config_selectorIxxEEZZNS1_16scan_by_key_implILNS1_25lookback_scan_determinismE0ELb0ES3_N6thrust23THRUST_200600_302600_NS6detail15normal_iteratorINS9_10device_ptrIxEEEESE_SE_xNS9_4plusIvEENS9_8equal_toIxEExEE10hipError_tPvRmT2_T3_T4_T5_mT6_T7_P12ihipStream_tbENKUlT_T0_E_clISt17integral_constantIbLb0EESZ_EEDaSU_SV_EUlSU_E_NS1_11comp_targetILNS1_3genE0ELNS1_11target_archE4294967295ELNS1_3gpuE0ELNS1_3repE0EEENS1_30default_config_static_selectorELNS0_4arch9wavefront6targetE1EEEvT1_,comdat
.Lfunc_end83:
	.size	_ZN7rocprim17ROCPRIM_400000_NS6detail17trampoline_kernelINS0_14default_configENS1_27scan_by_key_config_selectorIxxEEZZNS1_16scan_by_key_implILNS1_25lookback_scan_determinismE0ELb0ES3_N6thrust23THRUST_200600_302600_NS6detail15normal_iteratorINS9_10device_ptrIxEEEESE_SE_xNS9_4plusIvEENS9_8equal_toIxEExEE10hipError_tPvRmT2_T3_T4_T5_mT6_T7_P12ihipStream_tbENKUlT_T0_E_clISt17integral_constantIbLb0EESZ_EEDaSU_SV_EUlSU_E_NS1_11comp_targetILNS1_3genE0ELNS1_11target_archE4294967295ELNS1_3gpuE0ELNS1_3repE0EEENS1_30default_config_static_selectorELNS0_4arch9wavefront6targetE1EEEvT1_, .Lfunc_end83-_ZN7rocprim17ROCPRIM_400000_NS6detail17trampoline_kernelINS0_14default_configENS1_27scan_by_key_config_selectorIxxEEZZNS1_16scan_by_key_implILNS1_25lookback_scan_determinismE0ELb0ES3_N6thrust23THRUST_200600_302600_NS6detail15normal_iteratorINS9_10device_ptrIxEEEESE_SE_xNS9_4plusIvEENS9_8equal_toIxEExEE10hipError_tPvRmT2_T3_T4_T5_mT6_T7_P12ihipStream_tbENKUlT_T0_E_clISt17integral_constantIbLb0EESZ_EEDaSU_SV_EUlSU_E_NS1_11comp_targetILNS1_3genE0ELNS1_11target_archE4294967295ELNS1_3gpuE0ELNS1_3repE0EEENS1_30default_config_static_selectorELNS0_4arch9wavefront6targetE1EEEvT1_
                                        ; -- End function
	.section	.AMDGPU.csdata,"",@progbits
; Kernel info:
; codeLenInByte = 0
; NumSgprs: 6
; NumVgprs: 0
; NumAgprs: 0
; TotalNumVgprs: 0
; ScratchSize: 0
; MemoryBound: 0
; FloatMode: 240
; IeeeMode: 1
; LDSByteSize: 0 bytes/workgroup (compile time only)
; SGPRBlocks: 0
; VGPRBlocks: 0
; NumSGPRsForWavesPerEU: 6
; NumVGPRsForWavesPerEU: 1
; AccumOffset: 4
; Occupancy: 8
; WaveLimiterHint : 0
; COMPUTE_PGM_RSRC2:SCRATCH_EN: 0
; COMPUTE_PGM_RSRC2:USER_SGPR: 2
; COMPUTE_PGM_RSRC2:TRAP_HANDLER: 0
; COMPUTE_PGM_RSRC2:TGID_X_EN: 1
; COMPUTE_PGM_RSRC2:TGID_Y_EN: 0
; COMPUTE_PGM_RSRC2:TGID_Z_EN: 0
; COMPUTE_PGM_RSRC2:TIDIG_COMP_CNT: 0
; COMPUTE_PGM_RSRC3_GFX90A:ACCUM_OFFSET: 0
; COMPUTE_PGM_RSRC3_GFX90A:TG_SPLIT: 0
	.section	.text._ZN7rocprim17ROCPRIM_400000_NS6detail17trampoline_kernelINS0_14default_configENS1_27scan_by_key_config_selectorIxxEEZZNS1_16scan_by_key_implILNS1_25lookback_scan_determinismE0ELb0ES3_N6thrust23THRUST_200600_302600_NS6detail15normal_iteratorINS9_10device_ptrIxEEEESE_SE_xNS9_4plusIvEENS9_8equal_toIxEExEE10hipError_tPvRmT2_T3_T4_T5_mT6_T7_P12ihipStream_tbENKUlT_T0_E_clISt17integral_constantIbLb0EESZ_EEDaSU_SV_EUlSU_E_NS1_11comp_targetILNS1_3genE10ELNS1_11target_archE1201ELNS1_3gpuE5ELNS1_3repE0EEENS1_30default_config_static_selectorELNS0_4arch9wavefront6targetE1EEEvT1_,"axG",@progbits,_ZN7rocprim17ROCPRIM_400000_NS6detail17trampoline_kernelINS0_14default_configENS1_27scan_by_key_config_selectorIxxEEZZNS1_16scan_by_key_implILNS1_25lookback_scan_determinismE0ELb0ES3_N6thrust23THRUST_200600_302600_NS6detail15normal_iteratorINS9_10device_ptrIxEEEESE_SE_xNS9_4plusIvEENS9_8equal_toIxEExEE10hipError_tPvRmT2_T3_T4_T5_mT6_T7_P12ihipStream_tbENKUlT_T0_E_clISt17integral_constantIbLb0EESZ_EEDaSU_SV_EUlSU_E_NS1_11comp_targetILNS1_3genE10ELNS1_11target_archE1201ELNS1_3gpuE5ELNS1_3repE0EEENS1_30default_config_static_selectorELNS0_4arch9wavefront6targetE1EEEvT1_,comdat
	.protected	_ZN7rocprim17ROCPRIM_400000_NS6detail17trampoline_kernelINS0_14default_configENS1_27scan_by_key_config_selectorIxxEEZZNS1_16scan_by_key_implILNS1_25lookback_scan_determinismE0ELb0ES3_N6thrust23THRUST_200600_302600_NS6detail15normal_iteratorINS9_10device_ptrIxEEEESE_SE_xNS9_4plusIvEENS9_8equal_toIxEExEE10hipError_tPvRmT2_T3_T4_T5_mT6_T7_P12ihipStream_tbENKUlT_T0_E_clISt17integral_constantIbLb0EESZ_EEDaSU_SV_EUlSU_E_NS1_11comp_targetILNS1_3genE10ELNS1_11target_archE1201ELNS1_3gpuE5ELNS1_3repE0EEENS1_30default_config_static_selectorELNS0_4arch9wavefront6targetE1EEEvT1_ ; -- Begin function _ZN7rocprim17ROCPRIM_400000_NS6detail17trampoline_kernelINS0_14default_configENS1_27scan_by_key_config_selectorIxxEEZZNS1_16scan_by_key_implILNS1_25lookback_scan_determinismE0ELb0ES3_N6thrust23THRUST_200600_302600_NS6detail15normal_iteratorINS9_10device_ptrIxEEEESE_SE_xNS9_4plusIvEENS9_8equal_toIxEExEE10hipError_tPvRmT2_T3_T4_T5_mT6_T7_P12ihipStream_tbENKUlT_T0_E_clISt17integral_constantIbLb0EESZ_EEDaSU_SV_EUlSU_E_NS1_11comp_targetILNS1_3genE10ELNS1_11target_archE1201ELNS1_3gpuE5ELNS1_3repE0EEENS1_30default_config_static_selectorELNS0_4arch9wavefront6targetE1EEEvT1_
	.globl	_ZN7rocprim17ROCPRIM_400000_NS6detail17trampoline_kernelINS0_14default_configENS1_27scan_by_key_config_selectorIxxEEZZNS1_16scan_by_key_implILNS1_25lookback_scan_determinismE0ELb0ES3_N6thrust23THRUST_200600_302600_NS6detail15normal_iteratorINS9_10device_ptrIxEEEESE_SE_xNS9_4plusIvEENS9_8equal_toIxEExEE10hipError_tPvRmT2_T3_T4_T5_mT6_T7_P12ihipStream_tbENKUlT_T0_E_clISt17integral_constantIbLb0EESZ_EEDaSU_SV_EUlSU_E_NS1_11comp_targetILNS1_3genE10ELNS1_11target_archE1201ELNS1_3gpuE5ELNS1_3repE0EEENS1_30default_config_static_selectorELNS0_4arch9wavefront6targetE1EEEvT1_
	.p2align	8
	.type	_ZN7rocprim17ROCPRIM_400000_NS6detail17trampoline_kernelINS0_14default_configENS1_27scan_by_key_config_selectorIxxEEZZNS1_16scan_by_key_implILNS1_25lookback_scan_determinismE0ELb0ES3_N6thrust23THRUST_200600_302600_NS6detail15normal_iteratorINS9_10device_ptrIxEEEESE_SE_xNS9_4plusIvEENS9_8equal_toIxEExEE10hipError_tPvRmT2_T3_T4_T5_mT6_T7_P12ihipStream_tbENKUlT_T0_E_clISt17integral_constantIbLb0EESZ_EEDaSU_SV_EUlSU_E_NS1_11comp_targetILNS1_3genE10ELNS1_11target_archE1201ELNS1_3gpuE5ELNS1_3repE0EEENS1_30default_config_static_selectorELNS0_4arch9wavefront6targetE1EEEvT1_,@function
_ZN7rocprim17ROCPRIM_400000_NS6detail17trampoline_kernelINS0_14default_configENS1_27scan_by_key_config_selectorIxxEEZZNS1_16scan_by_key_implILNS1_25lookback_scan_determinismE0ELb0ES3_N6thrust23THRUST_200600_302600_NS6detail15normal_iteratorINS9_10device_ptrIxEEEESE_SE_xNS9_4plusIvEENS9_8equal_toIxEExEE10hipError_tPvRmT2_T3_T4_T5_mT6_T7_P12ihipStream_tbENKUlT_T0_E_clISt17integral_constantIbLb0EESZ_EEDaSU_SV_EUlSU_E_NS1_11comp_targetILNS1_3genE10ELNS1_11target_archE1201ELNS1_3gpuE5ELNS1_3repE0EEENS1_30default_config_static_selectorELNS0_4arch9wavefront6targetE1EEEvT1_: ; @_ZN7rocprim17ROCPRIM_400000_NS6detail17trampoline_kernelINS0_14default_configENS1_27scan_by_key_config_selectorIxxEEZZNS1_16scan_by_key_implILNS1_25lookback_scan_determinismE0ELb0ES3_N6thrust23THRUST_200600_302600_NS6detail15normal_iteratorINS9_10device_ptrIxEEEESE_SE_xNS9_4plusIvEENS9_8equal_toIxEExEE10hipError_tPvRmT2_T3_T4_T5_mT6_T7_P12ihipStream_tbENKUlT_T0_E_clISt17integral_constantIbLb0EESZ_EEDaSU_SV_EUlSU_E_NS1_11comp_targetILNS1_3genE10ELNS1_11target_archE1201ELNS1_3gpuE5ELNS1_3repE0EEENS1_30default_config_static_selectorELNS0_4arch9wavefront6targetE1EEEvT1_
; %bb.0:
	.section	.rodata,"a",@progbits
	.p2align	6, 0x0
	.amdhsa_kernel _ZN7rocprim17ROCPRIM_400000_NS6detail17trampoline_kernelINS0_14default_configENS1_27scan_by_key_config_selectorIxxEEZZNS1_16scan_by_key_implILNS1_25lookback_scan_determinismE0ELb0ES3_N6thrust23THRUST_200600_302600_NS6detail15normal_iteratorINS9_10device_ptrIxEEEESE_SE_xNS9_4plusIvEENS9_8equal_toIxEExEE10hipError_tPvRmT2_T3_T4_T5_mT6_T7_P12ihipStream_tbENKUlT_T0_E_clISt17integral_constantIbLb0EESZ_EEDaSU_SV_EUlSU_E_NS1_11comp_targetILNS1_3genE10ELNS1_11target_archE1201ELNS1_3gpuE5ELNS1_3repE0EEENS1_30default_config_static_selectorELNS0_4arch9wavefront6targetE1EEEvT1_
		.amdhsa_group_segment_fixed_size 0
		.amdhsa_private_segment_fixed_size 0
		.amdhsa_kernarg_size 136
		.amdhsa_user_sgpr_count 2
		.amdhsa_user_sgpr_dispatch_ptr 0
		.amdhsa_user_sgpr_queue_ptr 0
		.amdhsa_user_sgpr_kernarg_segment_ptr 1
		.amdhsa_user_sgpr_dispatch_id 0
		.amdhsa_user_sgpr_kernarg_preload_length 0
		.amdhsa_user_sgpr_kernarg_preload_offset 0
		.amdhsa_user_sgpr_private_segment_size 0
		.amdhsa_uses_dynamic_stack 0
		.amdhsa_enable_private_segment 0
		.amdhsa_system_sgpr_workgroup_id_x 1
		.amdhsa_system_sgpr_workgroup_id_y 0
		.amdhsa_system_sgpr_workgroup_id_z 0
		.amdhsa_system_sgpr_workgroup_info 0
		.amdhsa_system_vgpr_workitem_id 0
		.amdhsa_next_free_vgpr 1
		.amdhsa_next_free_sgpr 0
		.amdhsa_accum_offset 4
		.amdhsa_reserve_vcc 0
		.amdhsa_float_round_mode_32 0
		.amdhsa_float_round_mode_16_64 0
		.amdhsa_float_denorm_mode_32 3
		.amdhsa_float_denorm_mode_16_64 3
		.amdhsa_dx10_clamp 1
		.amdhsa_ieee_mode 1
		.amdhsa_fp16_overflow 0
		.amdhsa_tg_split 0
		.amdhsa_exception_fp_ieee_invalid_op 0
		.amdhsa_exception_fp_denorm_src 0
		.amdhsa_exception_fp_ieee_div_zero 0
		.amdhsa_exception_fp_ieee_overflow 0
		.amdhsa_exception_fp_ieee_underflow 0
		.amdhsa_exception_fp_ieee_inexact 0
		.amdhsa_exception_int_div_zero 0
	.end_amdhsa_kernel
	.section	.text._ZN7rocprim17ROCPRIM_400000_NS6detail17trampoline_kernelINS0_14default_configENS1_27scan_by_key_config_selectorIxxEEZZNS1_16scan_by_key_implILNS1_25lookback_scan_determinismE0ELb0ES3_N6thrust23THRUST_200600_302600_NS6detail15normal_iteratorINS9_10device_ptrIxEEEESE_SE_xNS9_4plusIvEENS9_8equal_toIxEExEE10hipError_tPvRmT2_T3_T4_T5_mT6_T7_P12ihipStream_tbENKUlT_T0_E_clISt17integral_constantIbLb0EESZ_EEDaSU_SV_EUlSU_E_NS1_11comp_targetILNS1_3genE10ELNS1_11target_archE1201ELNS1_3gpuE5ELNS1_3repE0EEENS1_30default_config_static_selectorELNS0_4arch9wavefront6targetE1EEEvT1_,"axG",@progbits,_ZN7rocprim17ROCPRIM_400000_NS6detail17trampoline_kernelINS0_14default_configENS1_27scan_by_key_config_selectorIxxEEZZNS1_16scan_by_key_implILNS1_25lookback_scan_determinismE0ELb0ES3_N6thrust23THRUST_200600_302600_NS6detail15normal_iteratorINS9_10device_ptrIxEEEESE_SE_xNS9_4plusIvEENS9_8equal_toIxEExEE10hipError_tPvRmT2_T3_T4_T5_mT6_T7_P12ihipStream_tbENKUlT_T0_E_clISt17integral_constantIbLb0EESZ_EEDaSU_SV_EUlSU_E_NS1_11comp_targetILNS1_3genE10ELNS1_11target_archE1201ELNS1_3gpuE5ELNS1_3repE0EEENS1_30default_config_static_selectorELNS0_4arch9wavefront6targetE1EEEvT1_,comdat
.Lfunc_end84:
	.size	_ZN7rocprim17ROCPRIM_400000_NS6detail17trampoline_kernelINS0_14default_configENS1_27scan_by_key_config_selectorIxxEEZZNS1_16scan_by_key_implILNS1_25lookback_scan_determinismE0ELb0ES3_N6thrust23THRUST_200600_302600_NS6detail15normal_iteratorINS9_10device_ptrIxEEEESE_SE_xNS9_4plusIvEENS9_8equal_toIxEExEE10hipError_tPvRmT2_T3_T4_T5_mT6_T7_P12ihipStream_tbENKUlT_T0_E_clISt17integral_constantIbLb0EESZ_EEDaSU_SV_EUlSU_E_NS1_11comp_targetILNS1_3genE10ELNS1_11target_archE1201ELNS1_3gpuE5ELNS1_3repE0EEENS1_30default_config_static_selectorELNS0_4arch9wavefront6targetE1EEEvT1_, .Lfunc_end84-_ZN7rocprim17ROCPRIM_400000_NS6detail17trampoline_kernelINS0_14default_configENS1_27scan_by_key_config_selectorIxxEEZZNS1_16scan_by_key_implILNS1_25lookback_scan_determinismE0ELb0ES3_N6thrust23THRUST_200600_302600_NS6detail15normal_iteratorINS9_10device_ptrIxEEEESE_SE_xNS9_4plusIvEENS9_8equal_toIxEExEE10hipError_tPvRmT2_T3_T4_T5_mT6_T7_P12ihipStream_tbENKUlT_T0_E_clISt17integral_constantIbLb0EESZ_EEDaSU_SV_EUlSU_E_NS1_11comp_targetILNS1_3genE10ELNS1_11target_archE1201ELNS1_3gpuE5ELNS1_3repE0EEENS1_30default_config_static_selectorELNS0_4arch9wavefront6targetE1EEEvT1_
                                        ; -- End function
	.section	.AMDGPU.csdata,"",@progbits
; Kernel info:
; codeLenInByte = 0
; NumSgprs: 6
; NumVgprs: 0
; NumAgprs: 0
; TotalNumVgprs: 0
; ScratchSize: 0
; MemoryBound: 0
; FloatMode: 240
; IeeeMode: 1
; LDSByteSize: 0 bytes/workgroup (compile time only)
; SGPRBlocks: 0
; VGPRBlocks: 0
; NumSGPRsForWavesPerEU: 6
; NumVGPRsForWavesPerEU: 1
; AccumOffset: 4
; Occupancy: 8
; WaveLimiterHint : 0
; COMPUTE_PGM_RSRC2:SCRATCH_EN: 0
; COMPUTE_PGM_RSRC2:USER_SGPR: 2
; COMPUTE_PGM_RSRC2:TRAP_HANDLER: 0
; COMPUTE_PGM_RSRC2:TGID_X_EN: 1
; COMPUTE_PGM_RSRC2:TGID_Y_EN: 0
; COMPUTE_PGM_RSRC2:TGID_Z_EN: 0
; COMPUTE_PGM_RSRC2:TIDIG_COMP_CNT: 0
; COMPUTE_PGM_RSRC3_GFX90A:ACCUM_OFFSET: 0
; COMPUTE_PGM_RSRC3_GFX90A:TG_SPLIT: 0
	.section	.text._ZN7rocprim17ROCPRIM_400000_NS6detail17trampoline_kernelINS0_14default_configENS1_27scan_by_key_config_selectorIxxEEZZNS1_16scan_by_key_implILNS1_25lookback_scan_determinismE0ELb0ES3_N6thrust23THRUST_200600_302600_NS6detail15normal_iteratorINS9_10device_ptrIxEEEESE_SE_xNS9_4plusIvEENS9_8equal_toIxEExEE10hipError_tPvRmT2_T3_T4_T5_mT6_T7_P12ihipStream_tbENKUlT_T0_E_clISt17integral_constantIbLb0EESZ_EEDaSU_SV_EUlSU_E_NS1_11comp_targetILNS1_3genE5ELNS1_11target_archE942ELNS1_3gpuE9ELNS1_3repE0EEENS1_30default_config_static_selectorELNS0_4arch9wavefront6targetE1EEEvT1_,"axG",@progbits,_ZN7rocprim17ROCPRIM_400000_NS6detail17trampoline_kernelINS0_14default_configENS1_27scan_by_key_config_selectorIxxEEZZNS1_16scan_by_key_implILNS1_25lookback_scan_determinismE0ELb0ES3_N6thrust23THRUST_200600_302600_NS6detail15normal_iteratorINS9_10device_ptrIxEEEESE_SE_xNS9_4plusIvEENS9_8equal_toIxEExEE10hipError_tPvRmT2_T3_T4_T5_mT6_T7_P12ihipStream_tbENKUlT_T0_E_clISt17integral_constantIbLb0EESZ_EEDaSU_SV_EUlSU_E_NS1_11comp_targetILNS1_3genE5ELNS1_11target_archE942ELNS1_3gpuE9ELNS1_3repE0EEENS1_30default_config_static_selectorELNS0_4arch9wavefront6targetE1EEEvT1_,comdat
	.protected	_ZN7rocprim17ROCPRIM_400000_NS6detail17trampoline_kernelINS0_14default_configENS1_27scan_by_key_config_selectorIxxEEZZNS1_16scan_by_key_implILNS1_25lookback_scan_determinismE0ELb0ES3_N6thrust23THRUST_200600_302600_NS6detail15normal_iteratorINS9_10device_ptrIxEEEESE_SE_xNS9_4plusIvEENS9_8equal_toIxEExEE10hipError_tPvRmT2_T3_T4_T5_mT6_T7_P12ihipStream_tbENKUlT_T0_E_clISt17integral_constantIbLb0EESZ_EEDaSU_SV_EUlSU_E_NS1_11comp_targetILNS1_3genE5ELNS1_11target_archE942ELNS1_3gpuE9ELNS1_3repE0EEENS1_30default_config_static_selectorELNS0_4arch9wavefront6targetE1EEEvT1_ ; -- Begin function _ZN7rocprim17ROCPRIM_400000_NS6detail17trampoline_kernelINS0_14default_configENS1_27scan_by_key_config_selectorIxxEEZZNS1_16scan_by_key_implILNS1_25lookback_scan_determinismE0ELb0ES3_N6thrust23THRUST_200600_302600_NS6detail15normal_iteratorINS9_10device_ptrIxEEEESE_SE_xNS9_4plusIvEENS9_8equal_toIxEExEE10hipError_tPvRmT2_T3_T4_T5_mT6_T7_P12ihipStream_tbENKUlT_T0_E_clISt17integral_constantIbLb0EESZ_EEDaSU_SV_EUlSU_E_NS1_11comp_targetILNS1_3genE5ELNS1_11target_archE942ELNS1_3gpuE9ELNS1_3repE0EEENS1_30default_config_static_selectorELNS0_4arch9wavefront6targetE1EEEvT1_
	.globl	_ZN7rocprim17ROCPRIM_400000_NS6detail17trampoline_kernelINS0_14default_configENS1_27scan_by_key_config_selectorIxxEEZZNS1_16scan_by_key_implILNS1_25lookback_scan_determinismE0ELb0ES3_N6thrust23THRUST_200600_302600_NS6detail15normal_iteratorINS9_10device_ptrIxEEEESE_SE_xNS9_4plusIvEENS9_8equal_toIxEExEE10hipError_tPvRmT2_T3_T4_T5_mT6_T7_P12ihipStream_tbENKUlT_T0_E_clISt17integral_constantIbLb0EESZ_EEDaSU_SV_EUlSU_E_NS1_11comp_targetILNS1_3genE5ELNS1_11target_archE942ELNS1_3gpuE9ELNS1_3repE0EEENS1_30default_config_static_selectorELNS0_4arch9wavefront6targetE1EEEvT1_
	.p2align	8
	.type	_ZN7rocprim17ROCPRIM_400000_NS6detail17trampoline_kernelINS0_14default_configENS1_27scan_by_key_config_selectorIxxEEZZNS1_16scan_by_key_implILNS1_25lookback_scan_determinismE0ELb0ES3_N6thrust23THRUST_200600_302600_NS6detail15normal_iteratorINS9_10device_ptrIxEEEESE_SE_xNS9_4plusIvEENS9_8equal_toIxEExEE10hipError_tPvRmT2_T3_T4_T5_mT6_T7_P12ihipStream_tbENKUlT_T0_E_clISt17integral_constantIbLb0EESZ_EEDaSU_SV_EUlSU_E_NS1_11comp_targetILNS1_3genE5ELNS1_11target_archE942ELNS1_3gpuE9ELNS1_3repE0EEENS1_30default_config_static_selectorELNS0_4arch9wavefront6targetE1EEEvT1_,@function
_ZN7rocprim17ROCPRIM_400000_NS6detail17trampoline_kernelINS0_14default_configENS1_27scan_by_key_config_selectorIxxEEZZNS1_16scan_by_key_implILNS1_25lookback_scan_determinismE0ELb0ES3_N6thrust23THRUST_200600_302600_NS6detail15normal_iteratorINS9_10device_ptrIxEEEESE_SE_xNS9_4plusIvEENS9_8equal_toIxEExEE10hipError_tPvRmT2_T3_T4_T5_mT6_T7_P12ihipStream_tbENKUlT_T0_E_clISt17integral_constantIbLb0EESZ_EEDaSU_SV_EUlSU_E_NS1_11comp_targetILNS1_3genE5ELNS1_11target_archE942ELNS1_3gpuE9ELNS1_3repE0EEENS1_30default_config_static_selectorELNS0_4arch9wavefront6targetE1EEEvT1_: ; @_ZN7rocprim17ROCPRIM_400000_NS6detail17trampoline_kernelINS0_14default_configENS1_27scan_by_key_config_selectorIxxEEZZNS1_16scan_by_key_implILNS1_25lookback_scan_determinismE0ELb0ES3_N6thrust23THRUST_200600_302600_NS6detail15normal_iteratorINS9_10device_ptrIxEEEESE_SE_xNS9_4plusIvEENS9_8equal_toIxEExEE10hipError_tPvRmT2_T3_T4_T5_mT6_T7_P12ihipStream_tbENKUlT_T0_E_clISt17integral_constantIbLb0EESZ_EEDaSU_SV_EUlSU_E_NS1_11comp_targetILNS1_3genE5ELNS1_11target_archE942ELNS1_3gpuE9ELNS1_3repE0EEENS1_30default_config_static_selectorELNS0_4arch9wavefront6targetE1EEEvT1_
; %bb.0:
	s_load_dwordx8 s[44:51], s[0:1], 0x0
	s_load_dwordx8 s[36:43], s[0:1], 0x30
	s_load_dwordx2 s[60:61], s[0:1], 0x50
	s_load_dword s3, s[0:1], 0x58
	s_load_dwordx8 s[52:59], s[0:1], 0x60
	s_waitcnt lgkmcnt(0)
	s_lshl_b64 s[46:47], s[46:47], 3
	s_add_u32 s4, s44, s46
	s_addc_u32 s5, s45, s47
	s_add_u32 s6, s48, s46
	s_mul_i32 s0, s61, s3
	s_mul_hi_u32 s1, s60, s3
	s_addc_u32 s7, s49, s47
	s_add_i32 s8, s1, s0
	s_cmp_lg_u64 s[56:57], 0
	s_mul_i32 s0, s2, 0xe00
	s_mov_b32 s1, 0
	s_cselect_b64 s[56:57], -1, 0
	s_lshl_b64 s[44:45], s[0:1], 3
	s_add_u32 s48, s4, s44
	s_addc_u32 s49, s5, s45
	s_add_u32 s34, s6, s44
	s_mul_i32 s3, s60, s3
	s_addc_u32 s35, s7, s45
	s_add_u32 s62, s3, s2
	s_addc_u32 s63, s8, 0
	s_add_u32 s4, s52, -1
	s_addc_u32 s5, s53, -1
	v_mov_b64_e32 v[2:3], s[4:5]
	v_cmp_ge_u64_e64 s[0:1], s[62:63], v[2:3]
	s_mov_b64 s[10:11], 0
	s_mov_b64 s[6:7], -1
	s_and_b64 vcc, exec, s[0:1]
	s_mul_i32 s33, s4, 0xfffff200
	s_barrier
	s_cbranch_vccz .LBB85_77
; %bb.1:
	v_mov_b64_e32 v[2:3], s[48:49]
	flat_load_dwordx2 v[28:29], v[2:3]
	s_add_i32 s43, s33, s42
	v_cmp_gt_u32_e64 s[30:31], s43, v0
	s_waitcnt vmcnt(0) lgkmcnt(0)
	v_mov_b64_e32 v[30:31], v[28:29]
	s_and_saveexec_b64 s[4:5], s[30:31]
	s_cbranch_execz .LBB85_3
; %bb.2:
	v_lshlrev_b32_e32 v2, 3, v0
	v_mov_b32_e32 v3, 0
	v_lshl_add_u64 v[2:3], s[48:49], 0, v[2:3]
	flat_load_dwordx2 v[30:31], v[2:3]
.LBB85_3:
	s_or_b64 exec, exec, s[4:5]
	v_or_b32_e32 v1, 0x100, v0
	v_cmp_gt_u32_e64 s[4:5], s43, v1
	v_mov_b64_e32 v[32:33], v[28:29]
	s_and_saveexec_b64 s[6:7], s[4:5]
	s_cbranch_execz .LBB85_5
; %bb.4:
	v_lshlrev_b32_e32 v2, 3, v0
	v_mov_b32_e32 v3, 0
	v_lshl_add_u64 v[2:3], s[48:49], 0, v[2:3]
	flat_load_dwordx2 v[32:33], v[2:3] offset:2048
.LBB85_5:
	s_or_b64 exec, exec, s[6:7]
	v_or_b32_e32 v1, 0x200, v0
	v_cmp_gt_u32_e64 s[6:7], s43, v1
	v_lshlrev_b32_e32 v2, 3, v1
	v_mov_b64_e32 v[34:35], v[28:29]
	s_and_saveexec_b64 s[8:9], s[6:7]
	s_cbranch_execz .LBB85_7
; %bb.6:
	v_mov_b32_e32 v3, 0
	v_lshl_add_u64 v[4:5], s[48:49], 0, v[2:3]
	flat_load_dwordx2 v[34:35], v[4:5]
.LBB85_7:
	s_or_b64 exec, exec, s[8:9]
	v_or_b32_e32 v1, 0x300, v0
	v_cmp_gt_u32_e64 s[8:9], s43, v1
	v_lshlrev_b32_e32 v4, 3, v1
	v_mov_b64_e32 v[36:37], v[28:29]
	s_and_saveexec_b64 s[10:11], s[8:9]
	s_cbranch_execz .LBB85_9
; %bb.8:
	v_mov_b32_e32 v5, 0
	v_lshl_add_u64 v[6:7], s[48:49], 0, v[4:5]
	flat_load_dwordx2 v[36:37], v[6:7]
.LBB85_9:
	s_or_b64 exec, exec, s[10:11]
	v_or_b32_e32 v1, 0x400, v0
	v_cmp_gt_u32_e64 s[10:11], s43, v1
	v_lshlrev_b32_e32 v6, 3, v1
	v_mov_b64_e32 v[38:39], v[28:29]
	s_and_saveexec_b64 s[12:13], s[10:11]
	s_cbranch_execz .LBB85_11
; %bb.10:
	v_mov_b32_e32 v7, 0
	v_lshl_add_u64 v[8:9], s[48:49], 0, v[6:7]
	flat_load_dwordx2 v[38:39], v[8:9]
.LBB85_11:
	s_or_b64 exec, exec, s[12:13]
	v_or_b32_e32 v1, 0x500, v0
	v_cmp_gt_u32_e64 s[12:13], s43, v1
	v_lshlrev_b32_e32 v8, 3, v1
	v_mov_b64_e32 v[40:41], v[28:29]
	s_and_saveexec_b64 s[14:15], s[12:13]
	s_cbranch_execz .LBB85_13
; %bb.12:
	v_mov_b32_e32 v9, 0
	v_lshl_add_u64 v[10:11], s[48:49], 0, v[8:9]
	flat_load_dwordx2 v[40:41], v[10:11]
.LBB85_13:
	s_or_b64 exec, exec, s[14:15]
	v_or_b32_e32 v1, 0x600, v0
	v_cmp_gt_u32_e64 s[14:15], s43, v1
	v_lshlrev_b32_e32 v10, 3, v1
	v_mov_b64_e32 v[42:43], v[28:29]
	s_and_saveexec_b64 s[16:17], s[14:15]
	s_cbranch_execz .LBB85_15
; %bb.14:
	v_mov_b32_e32 v11, 0
	v_lshl_add_u64 v[12:13], s[48:49], 0, v[10:11]
	flat_load_dwordx2 v[42:43], v[12:13]
.LBB85_15:
	s_or_b64 exec, exec, s[16:17]
	v_or_b32_e32 v1, 0x700, v0
	v_cmp_gt_u32_e64 s[16:17], s43, v1
	v_lshlrev_b32_e32 v12, 3, v1
	v_mov_b64_e32 v[44:45], v[28:29]
	s_and_saveexec_b64 s[18:19], s[16:17]
	s_cbranch_execz .LBB85_17
; %bb.16:
	v_mov_b32_e32 v13, 0
	v_lshl_add_u64 v[14:15], s[48:49], 0, v[12:13]
	flat_load_dwordx2 v[44:45], v[14:15]
.LBB85_17:
	s_or_b64 exec, exec, s[18:19]
	v_or_b32_e32 v1, 0x800, v0
	v_cmp_gt_u32_e64 s[18:19], s43, v1
	v_lshlrev_b32_e32 v14, 3, v1
	v_mov_b64_e32 v[46:47], v[28:29]
	s_and_saveexec_b64 s[20:21], s[18:19]
	s_cbranch_execz .LBB85_19
; %bb.18:
	v_mov_b32_e32 v15, 0
	v_lshl_add_u64 v[16:17], s[48:49], 0, v[14:15]
	flat_load_dwordx2 v[46:47], v[16:17]
.LBB85_19:
	s_or_b64 exec, exec, s[20:21]
	v_or_b32_e32 v1, 0x900, v0
	v_cmp_gt_u32_e64 s[20:21], s43, v1
	v_lshlrev_b32_e32 v16, 3, v1
	v_mov_b64_e32 v[48:49], v[28:29]
	s_and_saveexec_b64 s[22:23], s[20:21]
	s_cbranch_execz .LBB85_21
; %bb.20:
	v_mov_b32_e32 v17, 0
	v_lshl_add_u64 v[18:19], s[48:49], 0, v[16:17]
	flat_load_dwordx2 v[48:49], v[18:19]
.LBB85_21:
	s_or_b64 exec, exec, s[22:23]
	v_or_b32_e32 v1, 0xa00, v0
	v_cmp_gt_u32_e64 s[22:23], s43, v1
	v_lshlrev_b32_e32 v18, 3, v1
	v_mov_b64_e32 v[50:51], v[28:29]
	s_and_saveexec_b64 s[24:25], s[22:23]
	s_cbranch_execz .LBB85_23
; %bb.22:
	v_mov_b32_e32 v19, 0
	v_lshl_add_u64 v[20:21], s[48:49], 0, v[18:19]
	flat_load_dwordx2 v[50:51], v[20:21]
.LBB85_23:
	s_or_b64 exec, exec, s[24:25]
	v_or_b32_e32 v1, 0xb00, v0
	v_cmp_gt_u32_e64 s[24:25], s43, v1
	v_lshlrev_b32_e32 v20, 3, v1
	v_mov_b64_e32 v[52:53], v[28:29]
	s_and_saveexec_b64 s[26:27], s[24:25]
	s_cbranch_execz .LBB85_25
; %bb.24:
	v_mov_b32_e32 v21, 0
	v_lshl_add_u64 v[22:23], s[48:49], 0, v[20:21]
	flat_load_dwordx2 v[52:53], v[22:23]
.LBB85_25:
	s_or_b64 exec, exec, s[26:27]
	v_or_b32_e32 v1, 0xc00, v0
	v_cmp_gt_u32_e64 s[26:27], s43, v1
	v_lshlrev_b32_e32 v22, 3, v1
	v_mov_b64_e32 v[54:55], v[28:29]
	s_and_saveexec_b64 s[28:29], s[26:27]
	s_cbranch_execz .LBB85_27
; %bb.26:
	v_mov_b32_e32 v23, 0
	v_lshl_add_u64 v[24:25], s[48:49], 0, v[22:23]
	flat_load_dwordx2 v[54:55], v[24:25]
.LBB85_27:
	s_or_b64 exec, exec, s[28:29]
	v_or_b32_e32 v1, 0xd00, v0
	v_cmp_gt_u32_e64 s[28:29], s43, v1
	v_lshlrev_b32_e32 v24, 3, v1
	s_and_saveexec_b64 s[52:53], s[28:29]
	s_cbranch_execz .LBB85_29
; %bb.28:
	v_mov_b32_e32 v25, 0
	v_lshl_add_u64 v[26:27], s[48:49], 0, v[24:25]
	flat_load_dwordx2 v[28:29], v[26:27]
.LBB85_29:
	s_or_b64 exec, exec, s[52:53]
	v_lshlrev_b32_e32 v26, 3, v0
	s_movk_i32 s3, 0x68
	s_waitcnt vmcnt(0) lgkmcnt(0)
	ds_write2st64_b64 v26, v[30:31], v[32:33] offset1:4
	ds_write2st64_b64 v26, v[34:35], v[36:37] offset0:8 offset1:12
	ds_write2st64_b64 v26, v[38:39], v[40:41] offset0:16 offset1:20
	;; [unrolled: 1-line block ×6, first 2 shown]
	v_mad_u32_u24 v36, v0, s3, v26
	s_waitcnt lgkmcnt(0)
	s_barrier
	ds_read_b128 v[74:77], v36
	ds_read_b128 v[70:73], v36 offset:16
	ds_read_b128 v[66:69], v36 offset:32
	;; [unrolled: 1-line block ×6, first 2 shown]
	s_cmp_eq_u64 s[62:63], 0
	s_mov_b64 s[52:53], s[48:49]
	s_cbranch_scc1 .LBB85_33
; %bb.30:
	s_andn2_b64 vcc, exec, s[56:57]
	s_cbranch_vccnz .LBB85_231
; %bb.31:
	s_lshl_b64 s[52:53], s[62:63], 3
	s_add_u32 s3, s58, s52
	s_addc_u32 s53, s59, s53
	s_add_u32 s52, s3, -8
	s_addc_u32 s53, s53, -1
	s_cbranch_execnz .LBB85_33
.LBB85_32:
	s_add_u32 s52, s48, -8
	s_addc_u32 s53, s49, -1
.LBB85_33:
	v_mov_b64_e32 v[28:29], s[52:53]
	flat_load_dwordx2 v[28:29], v[28:29]
	s_movk_i32 s3, 0xff98
	v_mad_i32_i24 v1, v0, s3, v36
	v_cmp_ne_u32_e32 vcc, 0, v0
	s_waitcnt lgkmcnt(0)
	ds_write_b64 v1, v[60:61] offset:28672
	s_waitcnt lgkmcnt(0)
	s_barrier
	s_and_saveexec_b64 s[52:53], vcc
	s_cbranch_execz .LBB85_35
; %bb.34:
	v_mul_i32_i24_e32 v1, 0xffffff98, v0
	v_add_u32_e32 v1, v36, v1
	s_waitcnt vmcnt(0)
	ds_read_b64 v[28:29], v1 offset:28664
.LBB85_35:
	s_or_b64 exec, exec, s[52:53]
	v_mov_b32_e32 v27, 0
	s_waitcnt lgkmcnt(0)
	s_barrier
	s_waitcnt lgkmcnt(0)
                                        ; implicit-def: $vgpr30_vgpr31
	s_and_saveexec_b64 s[52:53], s[30:31]
	s_cbranch_execnz .LBB85_218
; %bb.36:
	s_or_b64 exec, exec, s[52:53]
                                        ; implicit-def: $vgpr32_vgpr33
	s_and_saveexec_b64 s[30:31], s[4:5]
	s_cbranch_execnz .LBB85_219
.LBB85_37:
	s_or_b64 exec, exec, s[30:31]
                                        ; implicit-def: $vgpr34_vgpr35
	s_and_saveexec_b64 s[4:5], s[6:7]
	s_cbranch_execnz .LBB85_220
.LBB85_38:
	s_or_b64 exec, exec, s[4:5]
                                        ; implicit-def: $vgpr2_vgpr3
	s_and_saveexec_b64 s[4:5], s[8:9]
	s_cbranch_execnz .LBB85_221
.LBB85_39:
	s_or_b64 exec, exec, s[4:5]
                                        ; implicit-def: $vgpr4_vgpr5
	s_and_saveexec_b64 s[4:5], s[10:11]
	s_cbranch_execnz .LBB85_222
.LBB85_40:
	s_or_b64 exec, exec, s[4:5]
                                        ; implicit-def: $vgpr6_vgpr7
	s_and_saveexec_b64 s[4:5], s[12:13]
	s_cbranch_execnz .LBB85_223
.LBB85_41:
	s_or_b64 exec, exec, s[4:5]
                                        ; implicit-def: $vgpr8_vgpr9
	s_and_saveexec_b64 s[4:5], s[14:15]
	s_cbranch_execnz .LBB85_224
.LBB85_42:
	s_or_b64 exec, exec, s[4:5]
                                        ; implicit-def: $vgpr10_vgpr11
	s_and_saveexec_b64 s[4:5], s[16:17]
	s_cbranch_execnz .LBB85_225
.LBB85_43:
	s_or_b64 exec, exec, s[4:5]
                                        ; implicit-def: $vgpr12_vgpr13
	s_and_saveexec_b64 s[4:5], s[18:19]
	s_cbranch_execnz .LBB85_226
.LBB85_44:
	s_or_b64 exec, exec, s[4:5]
                                        ; implicit-def: $vgpr14_vgpr15
	s_and_saveexec_b64 s[4:5], s[20:21]
	s_cbranch_execnz .LBB85_227
.LBB85_45:
	s_or_b64 exec, exec, s[4:5]
                                        ; implicit-def: $vgpr16_vgpr17
	s_and_saveexec_b64 s[4:5], s[22:23]
	s_cbranch_execnz .LBB85_228
.LBB85_46:
	s_or_b64 exec, exec, s[4:5]
                                        ; implicit-def: $vgpr18_vgpr19
	s_and_saveexec_b64 s[4:5], s[24:25]
	s_cbranch_execnz .LBB85_229
.LBB85_47:
	s_or_b64 exec, exec, s[4:5]
                                        ; implicit-def: $vgpr20_vgpr21
	s_and_saveexec_b64 s[4:5], s[26:27]
	s_cbranch_execnz .LBB85_230
.LBB85_48:
	s_or_b64 exec, exec, s[4:5]
                                        ; implicit-def: $vgpr22_vgpr23
	s_and_saveexec_b64 s[4:5], s[28:29]
	s_cbranch_execz .LBB85_50
.LBB85_49:
	v_mov_b32_e32 v25, 0
	v_lshl_add_u64 v[22:23], s[34:35], 0, v[24:25]
	flat_load_dwordx2 v[22:23], v[22:23]
.LBB85_50:
	s_or_b64 exec, exec, s[4:5]
	v_mul_u32_u24_e32 v37, 14, v0
	v_mov_b64_e32 v[78:79], 0
	s_waitcnt vmcnt(0) lgkmcnt(0)
	ds_write2st64_b64 v26, v[30:31], v[32:33] offset1:4
	ds_write2st64_b64 v26, v[34:35], v[2:3] offset0:8 offset1:12
	ds_write2st64_b64 v26, v[4:5], v[6:7] offset0:16 offset1:20
	;; [unrolled: 1-line block ×6, first 2 shown]
	v_cmp_gt_u32_e32 vcc, s43, v37
	s_mov_b64 s[10:11], 0
	s_mov_b64 s[6:7], 0
	s_mov_b32 s3, 0
	v_mov_b32_e32 v80, 0
	v_mov_b32_e32 v91, 0
	v_mov_b64_e32 v[46:47], v[78:79]
	v_mov_b32_e32 v90, 0
	v_mov_b64_e32 v[34:35], v[78:79]
	;; [unrolled: 2-line block ×12, first 2 shown]
	s_waitcnt lgkmcnt(0)
	s_barrier
	s_waitcnt lgkmcnt(0)
                                        ; implicit-def: $sgpr4_sgpr5
                                        ; implicit-def: $vgpr52_vgpr53
	s_and_saveexec_b64 s[8:9], vcc
	s_cbranch_execz .LBB85_76
; %bb.51:
	ds_read_b64 v[2:3], v36
	v_cmp_ne_u64_e32 vcc, v[28:29], v[74:75]
	v_or_b32_e32 v4, 1, v37
	v_mov_b64_e32 v[78:79], 0
	v_cndmask_b32_e64 v1, 0, 1, vcc
	v_cmp_gt_u32_e32 vcc, s43, v4
	s_mov_b64 s[12:13], 0
	s_mov_b64 s[4:5], 0
	v_mov_b32_e32 v80, 0
	v_mov_b32_e32 v91, 0
	v_mov_b64_e32 v[46:47], v[78:79]
	v_mov_b32_e32 v90, 0
	v_mov_b64_e32 v[34:35], v[78:79]
	;; [unrolled: 2-line block ×11, first 2 shown]
                                        ; implicit-def: $sgpr14_sgpr15
                                        ; implicit-def: $vgpr52_vgpr53
	s_and_saveexec_b64 s[10:11], vcc
	s_cbranch_execz .LBB85_75
; %bb.52:
	ds_read2_b64 v[14:17], v36 offset0:1 offset1:2
	v_cmp_ne_u64_e32 vcc, v[74:75], v[76:77]
	v_add_u32_e32 v4, 2, v37
	v_mov_b64_e32 v[78:79], 0
	v_cndmask_b32_e64 v82, 0, 1, vcc
	v_cmp_gt_u32_e32 vcc, s43, v4
	s_mov_b64 s[16:17], 0
	v_mov_b32_e32 v80, 0
	v_mov_b32_e32 v91, 0
	v_mov_b64_e32 v[46:47], v[78:79]
	v_mov_b32_e32 v90, 0
	v_mov_b64_e32 v[34:35], v[78:79]
	;; [unrolled: 2-line block ×10, first 2 shown]
                                        ; implicit-def: $sgpr14_sgpr15
                                        ; implicit-def: $vgpr52_vgpr53
	s_and_saveexec_b64 s[12:13], vcc
	s_cbranch_execz .LBB85_74
; %bb.53:
	v_cmp_ne_u64_e32 vcc, v[76:77], v[70:71]
	v_add_u32_e32 v4, 3, v37
	v_mov_b64_e32 v[78:79], 0
	s_waitcnt lgkmcnt(0)
	v_mov_b32_e32 v6, v16
	v_mov_b32_e32 v7, v17
	v_cndmask_b32_e64 v81, 0, 1, vcc
	v_cmp_gt_u32_e32 vcc, s43, v4
	v_mov_b32_e32 v80, 0
	v_mov_b32_e32 v91, 0
	v_mov_b64_e32 v[46:47], v[78:79]
	v_mov_b32_e32 v90, 0
	v_mov_b64_e32 v[34:35], v[78:79]
	;; [unrolled: 2-line block ×9, first 2 shown]
                                        ; implicit-def: $sgpr18_sgpr19
                                        ; implicit-def: $vgpr52_vgpr53
	s_and_saveexec_b64 s[14:15], vcc
	s_cbranch_execz .LBB85_73
; %bb.54:
	ds_read2_b64 v[22:25], v36 offset0:3 offset1:4
	v_cmp_ne_u64_e32 vcc, v[70:71], v[72:73]
	v_add_u32_e32 v4, 4, v37
	v_mov_b64_e32 v[78:79], 0
	v_cndmask_b32_e64 v83, 0, 1, vcc
	v_cmp_gt_u32_e32 vcc, s43, v4
	s_mov_b64 s[20:21], 0
	v_mov_b32_e32 v80, 0
	v_mov_b32_e32 v91, 0
	v_mov_b64_e32 v[46:47], v[78:79]
	v_mov_b32_e32 v90, 0
	v_mov_b64_e32 v[34:35], v[78:79]
	;; [unrolled: 2-line block ×8, first 2 shown]
                                        ; implicit-def: $sgpr18_sgpr19
                                        ; implicit-def: $vgpr52_vgpr53
	s_and_saveexec_b64 s[16:17], vcc
	s_cbranch_execz .LBB85_72
; %bb.55:
	v_cmp_ne_u64_e32 vcc, v[72:73], v[66:67]
	v_add_u32_e32 v4, 5, v37
	v_mov_b64_e32 v[78:79], 0
	s_waitcnt lgkmcnt(0)
	v_mov_b32_e32 v10, v24
	v_mov_b32_e32 v11, v25
	v_cndmask_b32_e64 v84, 0, 1, vcc
	v_cmp_gt_u32_e32 vcc, s43, v4
	v_mov_b32_e32 v80, 0
	v_mov_b32_e32 v91, 0
	v_mov_b64_e32 v[46:47], v[78:79]
	v_mov_b32_e32 v90, 0
	v_mov_b64_e32 v[34:35], v[78:79]
	;; [unrolled: 2-line block ×7, first 2 shown]
                                        ; implicit-def: $sgpr22_sgpr23
                                        ; implicit-def: $vgpr52_vgpr53
	s_and_saveexec_b64 s[18:19], vcc
	s_cbranch_execz .LBB85_71
; %bb.56:
	ds_read2_b64 v[30:33], v36 offset0:5 offset1:6
	v_cmp_ne_u64_e32 vcc, v[66:67], v[68:69]
	v_add_u32_e32 v4, 6, v37
	v_mov_b64_e32 v[78:79], 0
	v_cndmask_b32_e64 v85, 0, 1, vcc
	v_cmp_gt_u32_e32 vcc, s43, v4
	s_mov_b64 s[24:25], 0
	v_mov_b32_e32 v80, 0
	v_mov_b32_e32 v91, 0
	v_mov_b64_e32 v[46:47], v[78:79]
	v_mov_b32_e32 v90, 0
	v_mov_b64_e32 v[34:35], v[78:79]
	;; [unrolled: 2-line block ×6, first 2 shown]
                                        ; implicit-def: $sgpr22_sgpr23
                                        ; implicit-def: $vgpr52_vgpr53
	s_and_saveexec_b64 s[20:21], vcc
	s_cbranch_execz .LBB85_70
; %bb.57:
	v_cmp_ne_u64_e32 vcc, v[68:69], v[62:63]
	v_add_u32_e32 v4, 7, v37
	v_mov_b64_e32 v[78:79], 0
	s_waitcnt lgkmcnt(0)
	v_mov_b32_e32 v18, v32
	v_mov_b32_e32 v19, v33
	v_cndmask_b32_e64 v86, 0, 1, vcc
	v_cmp_gt_u32_e32 vcc, s43, v4
	v_mov_b32_e32 v80, 0
	v_mov_b32_e32 v91, 0
	v_mov_b64_e32 v[46:47], v[78:79]
	v_mov_b32_e32 v90, 0
	v_mov_b64_e32 v[34:35], v[78:79]
	;; [unrolled: 2-line block ×5, first 2 shown]
                                        ; implicit-def: $sgpr26_sgpr27
                                        ; implicit-def: $vgpr52_vgpr53
	s_and_saveexec_b64 s[22:23], vcc
	s_cbranch_execz .LBB85_69
; %bb.58:
	ds_read2_b64 v[38:41], v36 offset0:7 offset1:8
	v_cmp_ne_u64_e32 vcc, v[62:63], v[64:65]
	v_add_u32_e32 v4, 8, v37
	v_mov_b64_e32 v[78:79], 0
	v_cndmask_b32_e64 v87, 0, 1, vcc
	v_cmp_gt_u32_e32 vcc, s43, v4
	s_mov_b64 s[28:29], 0
	v_mov_b32_e32 v80, 0
	v_mov_b32_e32 v91, 0
	v_mov_b64_e32 v[46:47], v[78:79]
	v_mov_b32_e32 v90, 0
	v_mov_b64_e32 v[34:35], v[78:79]
	;; [unrolled: 2-line block ×4, first 2 shown]
                                        ; implicit-def: $sgpr26_sgpr27
                                        ; implicit-def: $vgpr52_vgpr53
	s_and_saveexec_b64 s[24:25], vcc
	s_cbranch_execz .LBB85_68
; %bb.59:
	v_cmp_ne_u64_e32 vcc, v[64:65], v[48:49]
	v_add_u32_e32 v4, 9, v37
	v_mov_b64_e32 v[78:79], 0
	s_waitcnt lgkmcnt(0)
	v_mov_b32_e32 v26, v40
	v_mov_b32_e32 v27, v41
	v_cndmask_b32_e64 v88, 0, 1, vcc
	v_cmp_gt_u32_e32 vcc, s43, v4
	v_mov_b32_e32 v80, 0
	v_mov_b32_e32 v91, 0
	v_mov_b64_e32 v[46:47], v[78:79]
	v_mov_b32_e32 v90, 0
	v_mov_b64_e32 v[34:35], v[78:79]
	;; [unrolled: 2-line block ×3, first 2 shown]
                                        ; implicit-def: $sgpr30_sgpr31
                                        ; implicit-def: $vgpr52_vgpr53
	s_and_saveexec_b64 s[26:27], vcc
	s_cbranch_execz .LBB85_67
; %bb.60:
	ds_read2_b64 v[42:45], v36 offset0:9 offset1:10
	v_cmp_ne_u64_e32 vcc, v[48:49], v[50:51]
	v_add_u32_e32 v4, 10, v37
	v_mov_b64_e32 v[78:79], 0
	v_cndmask_b32_e64 v89, 0, 1, vcc
	v_cmp_gt_u32_e32 vcc, s43, v4
	s_mov_b64 s[52:53], 0
	v_mov_b32_e32 v80, 0
	v_mov_b32_e32 v91, 0
	v_mov_b64_e32 v[46:47], v[78:79]
	v_mov_b32_e32 v90, 0
	v_mov_b64_e32 v[34:35], v[78:79]
                                        ; implicit-def: $sgpr30_sgpr31
                                        ; implicit-def: $vgpr52_vgpr53
	s_and_saveexec_b64 s[28:29], vcc
	s_cbranch_execz .LBB85_66
; %bb.61:
	v_cmp_ne_u64_e32 vcc, v[50:51], v[54:55]
	v_add_u32_e32 v4, 11, v37
	v_mov_b64_e32 v[78:79], 0
	s_waitcnt lgkmcnt(0)
	v_mov_b32_e32 v34, v44
	v_mov_b32_e32 v35, v45
	v_cndmask_b32_e64 v90, 0, 1, vcc
	v_cmp_gt_u32_e32 vcc, s43, v4
	v_mov_b32_e32 v80, 0
	v_mov_b32_e32 v91, 0
	v_mov_b64_e32 v[46:47], v[78:79]
                                        ; implicit-def: $sgpr64_sgpr65
                                        ; implicit-def: $vgpr52_vgpr53
	s_and_saveexec_b64 s[30:31], vcc
	s_cbranch_execz .LBB85_65
; %bb.62:
	ds_read2_b64 v[46:49], v36 offset0:11 offset1:12
	v_cmp_ne_u64_e32 vcc, v[54:55], v[56:57]
	v_add_u32_e32 v4, 12, v37
	v_mov_b32_e32 v80, 0
	v_cndmask_b32_e64 v91, 0, 1, vcc
	v_cmp_gt_u32_e32 vcc, s43, v4
	v_mov_b64_e32 v[78:79], 0
                                        ; implicit-def: $sgpr52_sgpr53
                                        ; implicit-def: $vgpr52_vgpr53
	s_and_saveexec_b64 s[64:65], vcc
	s_xor_b64 s[64:65], exec, s[64:65]
	s_cbranch_execz .LBB85_64
; %bb.63:
	ds_read_b64 v[52:53], v36 offset:104
	v_cmp_ne_u64_e64 s[4:5], v[56:57], v[58:59]
	v_add_u32_e32 v4, 13, v37
	v_cmp_ne_u64_e32 vcc, v[58:59], v[60:61]
	v_cndmask_b32_e64 v80, 0, 1, s[4:5]
	v_cmp_gt_u32_e64 s[4:5], s43, v4
	s_and_b64 s[52:53], vcc, exec
	s_and_b64 s[4:5], s[4:5], exec
	s_waitcnt lgkmcnt(1)
	v_mov_b64_e32 v[50:51], v[48:49]
	v_mov_b64_e32 v[78:79], v[48:49]
.LBB85_64:
	s_or_b64 exec, exec, s[64:65]
	s_and_b64 s[64:65], s[52:53], exec
	s_and_b64 s[52:53], s[4:5], exec
.LBB85_65:
	s_or_b64 exec, exec, s[30:31]
	s_and_b64 s[30:31], s[64:65], exec
	s_and_b64 s[4:5], s[52:53], exec
	s_waitcnt lgkmcnt(0)
	v_mov_b64_e32 v[36:37], v[46:47]
	v_mov_b64_e32 v[28:29], v[42:43]
	v_mov_b64_e32 v[20:21], v[38:39]
	v_mov_b64_e32 v[12:13], v[30:31]
	v_mov_b64_e32 v[8:9], v[22:23]
	v_mov_b64_e32 v[4:5], v[14:15]
.LBB85_66:
	s_or_b64 exec, exec, s[28:29]
	s_and_b64 s[30:31], s[30:31], exec
	s_and_b64 s[28:29], s[4:5], exec
.LBB85_67:
	s_or_b64 exec, exec, s[26:27]
	s_and_b64 s[26:27], s[30:31], exec
	s_and_b64 s[4:5], s[28:29], exec
.LBB85_68:
	s_or_b64 exec, exec, s[24:25]
	s_and_b64 s[26:27], s[26:27], exec
	s_and_b64 s[24:25], s[4:5], exec
.LBB85_69:
	s_or_b64 exec, exec, s[22:23]
	s_and_b64 s[22:23], s[26:27], exec
	s_and_b64 s[4:5], s[24:25], exec
.LBB85_70:
	s_or_b64 exec, exec, s[20:21]
	s_and_b64 s[22:23], s[22:23], exec
	s_and_b64 s[20:21], s[4:5], exec
.LBB85_71:
	s_or_b64 exec, exec, s[18:19]
	s_and_b64 s[18:19], s[22:23], exec
	s_and_b64 s[4:5], s[20:21], exec
.LBB85_72:
	s_or_b64 exec, exec, s[16:17]
	s_and_b64 s[18:19], s[18:19], exec
	s_and_b64 s[16:17], s[4:5], exec
.LBB85_73:
	s_or_b64 exec, exec, s[14:15]
	s_and_b64 s[14:15], s[18:19], exec
	s_and_b64 s[4:5], s[16:17], exec
.LBB85_74:
	s_or_b64 exec, exec, s[12:13]
	s_and_b64 s[14:15], s[14:15], exec
	s_and_b64 s[12:13], s[4:5], exec
.LBB85_75:
	s_or_b64 exec, exec, s[10:11]
	s_and_b64 s[4:5], s[14:15], exec
	s_and_b64 s[10:11], s[12:13], exec
.LBB85_76:
	s_or_b64 exec, exec, s[8:9]
	s_mov_b64 s[8:9], 0
	s_and_b64 vcc, exec, s[6:7]
	s_waitcnt lgkmcnt(0)
	v_lshlrev_b32_e32 v32, 3, v0
	s_cbranch_vccnz .LBB85_78
	s_branch .LBB85_86
.LBB85_77:
                                        ; implicit-def: $sgpr4_sgpr5
                                        ; implicit-def: $vgpr52_vgpr53
                                        ; implicit-def: $vgpr80
                                        ; implicit-def: $vgpr91
                                        ; implicit-def: $vgpr36_vgpr37
                                        ; implicit-def: $vgpr90
                                        ; implicit-def: $vgpr89
                                        ; implicit-def: $vgpr28_vgpr29
                                        ; implicit-def: $vgpr88
                                        ; implicit-def: $vgpr87
                                        ; implicit-def: $vgpr20_vgpr21
                                        ; implicit-def: $vgpr86
                                        ; implicit-def: $vgpr85
                                        ; implicit-def: $vgpr12_vgpr13
                                        ; implicit-def: $vgpr84
                                        ; implicit-def: $vgpr83
                                        ; implicit-def: $vgpr8_vgpr9
                                        ; implicit-def: $vgpr81
                                        ; implicit-def: $vgpr82
                                        ; implicit-def: $vgpr4_vgpr5
                                        ; implicit-def: $vgpr1
                                        ; implicit-def: $sgpr3
                                        ; implicit-def: $sgpr8_sgpr9
                                        ; implicit-def: $vgpr78_vgpr79
                                        ; implicit-def: $vgpr46_vgpr47
                                        ; implicit-def: $vgpr42_vgpr43
                                        ; implicit-def: $vgpr38_vgpr39
                                        ; implicit-def: $vgpr30_vgpr31
                                        ; implicit-def: $vgpr22_vgpr23
                                        ; implicit-def: $vgpr14_vgpr15
	s_and_b64 vcc, exec, s[6:7]
	v_lshlrev_b32_e32 v32, 3, v0
	s_cbranch_vccz .LBB85_86
.LBB85_78:
	v_mov_b32_e32 v33, 0
	v_lshl_add_u64 v[2:3], s[48:49], 0, v[32:33]
	v_add_co_u32_e32 v4, vcc, 0x1000, v2
	s_movk_i32 s3, 0x68
	s_nop 0
	v_addc_co_u32_e32 v5, vcc, 0, v3, vcc
	flat_load_dwordx2 v[6:7], v[2:3]
	flat_load_dwordx2 v[8:9], v[2:3] offset:2048
	flat_load_dwordx2 v[10:11], v[4:5]
	flat_load_dwordx2 v[12:13], v[4:5] offset:2048
	v_add_co_u32_e32 v4, vcc, 0x2000, v2
	v_mad_u32_u24 v1, v0, s3, v32
	s_nop 0
	v_addc_co_u32_e32 v5, vcc, 0, v3, vcc
	v_add_co_u32_e32 v14, vcc, 0x3000, v2
	s_cmp_eq_u64 s[62:63], 0
	s_nop 0
	v_addc_co_u32_e32 v15, vcc, 0, v3, vcc
	flat_load_dwordx2 v[16:17], v[4:5]
	flat_load_dwordx2 v[18:19], v[4:5] offset:2048
	flat_load_dwordx2 v[20:21], v[14:15]
	flat_load_dwordx2 v[22:23], v[14:15] offset:2048
	v_add_co_u32_e32 v4, vcc, 0x4000, v2
	s_nop 1
	v_addc_co_u32_e32 v5, vcc, 0, v3, vcc
	v_add_co_u32_e32 v14, vcc, 0x5000, v2
	s_nop 1
	v_addc_co_u32_e32 v15, vcc, 0, v3, vcc
	v_add_co_u32_e32 v2, vcc, 0x6000, v2
	flat_load_dwordx2 v[24:25], v[4:5]
	flat_load_dwordx2 v[26:27], v[4:5] offset:2048
	flat_load_dwordx2 v[28:29], v[14:15]
	flat_load_dwordx2 v[30:31], v[14:15] offset:2048
	v_addc_co_u32_e32 v3, vcc, 0, v3, vcc
	flat_load_dwordx2 v[4:5], v[2:3]
	flat_load_dwordx2 v[14:15], v[2:3] offset:2048
	s_waitcnt vmcnt(0) lgkmcnt(0)
	ds_write2st64_b64 v32, v[6:7], v[8:9] offset1:4
	ds_write2st64_b64 v32, v[10:11], v[12:13] offset0:8 offset1:12
	ds_write2st64_b64 v32, v[16:17], v[18:19] offset0:16 offset1:20
	ds_write2st64_b64 v32, v[20:21], v[22:23] offset0:24 offset1:28
	ds_write2st64_b64 v32, v[24:25], v[26:27] offset0:32 offset1:36
	ds_write2st64_b64 v32, v[28:29], v[30:31] offset0:40 offset1:44
	ds_write2st64_b64 v32, v[4:5], v[14:15] offset0:48 offset1:52
	s_waitcnt lgkmcnt(0)
	s_barrier
	ds_read_b128 v[14:17], v1
	ds_read_b128 v[2:5], v1 offset:16
	ds_read_b128 v[6:9], v1 offset:32
	;; [unrolled: 1-line block ×6, first 2 shown]
	s_cbranch_scc1 .LBB85_83
; %bb.79:
	s_andn2_b64 vcc, exec, s[56:57]
	s_cbranch_vccnz .LBB85_232
; %bb.80:
	s_lshl_b64 s[4:5], s[62:63], 3
	s_add_u32 s3, s58, s4
	s_addc_u32 s5, s59, s5
	s_add_u32 s4, s3, -8
	s_addc_u32 s5, s5, -1
	s_cbranch_execnz .LBB85_82
.LBB85_81:
	s_add_u32 s4, s48, -8
	s_addc_u32 s5, s49, -1
.LBB85_82:
	s_mov_b64 s[48:49], s[4:5]
.LBB85_83:
	v_mov_b64_e32 v[30:31], s[48:49]
	flat_load_dwordx2 v[30:31], v[30:31]
	s_movk_i32 s3, 0xff98
	v_mad_i32_i24 v33, v0, s3, v1
	v_cmp_ne_u32_e32 vcc, 0, v0
	s_waitcnt lgkmcnt(0)
	ds_write_b64 v33, v[28:29] offset:28672
	s_waitcnt lgkmcnt(0)
	s_barrier
	s_and_saveexec_b64 s[4:5], vcc
	s_cbranch_execz .LBB85_85
; %bb.84:
	s_waitcnt vmcnt(0)
	v_mul_i32_i24_e32 v30, 0xffffff98, v0
	v_add_u32_e32 v30, v1, v30
	ds_read_b64 v[30:31], v30 offset:28664
.LBB85_85:
	s_or_b64 exec, exec, s[4:5]
	v_mov_b32_e32 v33, 0
	v_lshl_add_u64 v[34:35], s[34:35], 0, v[32:33]
	s_movk_i32 s3, 0x1000
	v_add_co_u32_e32 v36, vcc, s3, v34
	s_movk_i32 s3, 0x2000
	s_nop 0
	v_addc_co_u32_e32 v37, vcc, 0, v35, vcc
	s_waitcnt lgkmcnt(0)
	s_barrier
	flat_load_dwordx2 v[38:39], v[34:35]
	flat_load_dwordx2 v[40:41], v[34:35] offset:2048
	flat_load_dwordx2 v[42:43], v[36:37]
	flat_load_dwordx2 v[44:45], v[36:37] offset:2048
	v_add_co_u32_e32 v36, vcc, s3, v34
	s_movk_i32 s3, 0x3000
	s_nop 0
	v_addc_co_u32_e32 v37, vcc, 0, v35, vcc
	v_add_co_u32_e32 v46, vcc, s3, v34
	s_movk_i32 s3, 0x4000
	s_nop 0
	v_addc_co_u32_e32 v47, vcc, 0, v35, vcc
	flat_load_dwordx2 v[48:49], v[36:37]
	flat_load_dwordx2 v[50:51], v[36:37] offset:2048
	flat_load_dwordx2 v[52:53], v[46:47]
	flat_load_dwordx2 v[54:55], v[46:47] offset:2048
	v_add_co_u32_e32 v36, vcc, s3, v34
	s_movk_i32 s3, 0x5000
	s_nop 0
	v_addc_co_u32_e32 v37, vcc, 0, v35, vcc
	v_add_co_u32_e32 v46, vcc, s3, v34
	s_movk_i32 s3, 0x6000
	s_nop 0
	v_addc_co_u32_e32 v47, vcc, 0, v35, vcc
	v_add_co_u32_e32 v34, vcc, s3, v34
	flat_load_dwordx2 v[56:57], v[36:37]
	flat_load_dwordx2 v[58:59], v[36:37] offset:2048
	flat_load_dwordx2 v[60:61], v[46:47]
	flat_load_dwordx2 v[62:63], v[46:47] offset:2048
	v_addc_co_u32_e32 v35, vcc, 0, v35, vcc
	flat_load_dwordx2 v[36:37], v[34:35]
	flat_load_dwordx2 v[46:47], v[34:35] offset:2048
	v_cmp_ne_u64_e32 vcc, v[24:25], v[26:27]
	v_cmp_ne_u64_e64 s[4:5], v[26:27], v[28:29]
	s_mov_b64 s[10:11], -1
	v_cndmask_b32_e64 v80, 0, 1, vcc
	v_cmp_ne_u64_e32 vcc, v[22:23], v[24:25]
                                        ; implicit-def: $sgpr3
                                        ; implicit-def: $sgpr8_sgpr9
                                        ; implicit-def: $vgpr78_vgpr79
	s_waitcnt vmcnt(0) lgkmcnt(0)
	ds_write2st64_b64 v32, v[38:39], v[40:41] offset1:4
	ds_write2st64_b64 v32, v[42:43], v[44:45] offset0:8 offset1:12
	ds_write2st64_b64 v32, v[48:49], v[50:51] offset0:16 offset1:20
	;; [unrolled: 1-line block ×6, first 2 shown]
	v_cndmask_b32_e64 v91, 0, 1, vcc
	v_cmp_ne_u64_e32 vcc, v[20:21], v[22:23]
	s_waitcnt lgkmcnt(0)
	s_barrier
	v_cndmask_b32_e64 v90, 0, 1, vcc
	v_cmp_ne_u64_e32 vcc, v[18:19], v[20:21]
	s_waitcnt lgkmcnt(0)
                                        ; implicit-def: $vgpr46_vgpr47
                                        ; implicit-def: $vgpr42_vgpr43
                                        ; implicit-def: $vgpr38_vgpr39
                                        ; implicit-def: $vgpr22_vgpr23
	s_nop 0
	v_cndmask_b32_e64 v89, 0, 1, vcc
	v_cmp_ne_u64_e32 vcc, v[12:13], v[18:19]
	s_nop 1
	v_cndmask_b32_e64 v88, 0, 1, vcc
	v_cmp_ne_u64_e32 vcc, v[10:11], v[12:13]
	;; [unrolled: 3-line block ×7, first 2 shown]
	ds_read_b128 v[2:5], v1
	ds_read_b128 v[6:9], v1 offset:16
	ds_read_b128 v[10:13], v1 offset:32
	;; [unrolled: 1-line block ×6, first 2 shown]
	v_cndmask_b32_e64 v81, 0, 1, vcc
	v_cmp_ne_u64_e32 vcc, v[14:15], v[16:17]
	s_nop 1
	v_cndmask_b32_e64 v82, 0, 1, vcc
	v_cmp_ne_u64_e32 vcc, v[30:31], v[14:15]
                                        ; implicit-def: $vgpr30_vgpr31
                                        ; implicit-def: $vgpr14_vgpr15
	s_nop 1
	v_cndmask_b32_e64 v1, 0, 1, vcc
.LBB85_86:
	v_mov_b64_e32 v[16:17], s[8:9]
	v_mov_b32_e32 v33, s3
	s_and_saveexec_b64 s[6:7], s[10:11]
	s_cbranch_execz .LBB85_88
; %bb.87:
	v_cndmask_b32_e64 v33, 0, 1, s[4:5]
	s_waitcnt lgkmcnt(6)
	v_mov_b64_e32 v[14:15], v[4:5]
	s_waitcnt lgkmcnt(5)
	v_mov_b64_e32 v[22:23], v[8:9]
	;; [unrolled: 2-line block ×7, first 2 shown]
	v_mov_b64_e32 v[16:17], v[52:53]
.LBB85_88:
	s_or_b64 exec, exec, s[6:7]
	s_waitcnt lgkmcnt(6)
	v_or_b32_e32 v4, v33, v80
	s_cmp_lg_u32 s2, 0
	s_waitcnt lgkmcnt(2)
	v_or_b32_e32 v29, v4, v91
	v_mbcnt_lo_u32_b32 v28, -1, 0
	s_waitcnt lgkmcnt(0)
	s_barrier
	s_cbranch_scc0 .LBB85_155
; %bb.89:
	v_mov_b32_e32 v8, 0
	v_cmp_eq_u16_sdwa s[30:31], v82, v8 src0_sel:BYTE_0 src1_sel:DWORD
	v_cmp_eq_u16_sdwa s[4:5], v81, v8 src0_sel:BYTE_0 src1_sel:DWORD
	v_cmp_eq_u16_sdwa s[6:7], v83, v8 src0_sel:BYTE_0 src1_sel:DWORD
	v_cndmask_b32_e64 v5, 0, v3, s[30:31]
	v_cndmask_b32_e64 v4, 0, v2, s[30:31]
	v_lshl_add_u64 v[4:5], v[4:5], 0, v[14:15]
	v_cndmask_b32_e64 v5, 0, v5, s[4:5]
	v_cndmask_b32_e64 v4, 0, v4, s[4:5]
	v_lshl_add_u64 v[4:5], v[4:5], 0, v[6:7]
	v_cndmask_b32_e64 v5, 0, v5, s[6:7]
	v_cndmask_b32_e64 v4, 0, v4, s[6:7]
	v_lshl_add_u64 v[4:5], v[4:5], 0, v[22:23]
	v_cmp_eq_u16_sdwa s[8:9], v84, v8 src0_sel:BYTE_0 src1_sel:DWORD
	v_cmp_eq_u16_sdwa s[10:11], v85, v8 src0_sel:BYTE_0 src1_sel:DWORD
	v_cmp_eq_u16_sdwa s[12:13], v86, v8 src0_sel:BYTE_0 src1_sel:DWORD
	v_cndmask_b32_e64 v5, 0, v5, s[8:9]
	v_cndmask_b32_e64 v4, 0, v4, s[8:9]
	v_lshl_add_u64 v[4:5], v[4:5], 0, v[10:11]
	v_cndmask_b32_e64 v5, 0, v5, s[10:11]
	v_cndmask_b32_e64 v4, 0, v4, s[10:11]
	v_lshl_add_u64 v[4:5], v[4:5], 0, v[30:31]
	v_cndmask_b32_e64 v5, 0, v5, s[12:13]
	v_cndmask_b32_e64 v4, 0, v4, s[12:13]
	v_lshl_add_u64 v[4:5], v[4:5], 0, v[18:19]
	;; [unrolled: 12-line block ×4, first 2 shown]
	v_cmp_eq_u16_sdwa s[26:27], v33, v8 src0_sel:BYTE_0 src1_sel:DWORD
	v_and_b32_e32 v12, 0xff, v1
	v_mbcnt_hi_u32_b32 v44, -1, v28
	v_cndmask_b32_e64 v5, 0, v5, s[26:27]
	v_cndmask_b32_e64 v4, 0, v4, s[26:27]
	v_lshl_add_u64 v[8:9], v[4:5], 0, v[16:17]
	v_or_b32_e32 v4, v29, v90
	v_or_b32_e32 v4, v4, v89
	;; [unrolled: 1-line block ×10, first 2 shown]
	v_and_b32_e32 v4, 1, v4
	v_cmp_eq_u32_e32 vcc, 1, v4
	v_and_b32_e32 v4, 15, v44
	v_mov_b32_dpp v13, v8 row_shr:1 row_mask:0xf bank_mask:0xf
	v_cndmask_b32_e64 v12, v12, 1, vcc
	v_mov_b32_dpp v20, v9 row_shr:1 row_mask:0xf bank_mask:0xf
	v_cmp_ne_u32_e32 vcc, 0, v4
	v_mov_b32_dpp v5, v12 row_shr:1 row_mask:0xf bank_mask:0xf
	s_and_saveexec_b64 s[28:29], vcc
; %bb.90:
	v_cmp_eq_u32_e32 vcc, 0, v12
	v_and_or_b32 v12, v5, 1, v12
	s_nop 0
	v_cndmask_b32_e32 v21, 0, v20, vcc
	v_cndmask_b32_e32 v20, 0, v13, vcc
	v_lshl_add_u64 v[8:9], v[20:21], 0, v[8:9]
; %bb.91:
	s_or_b64 exec, exec, s[28:29]
	s_nop 0
	v_mov_b32_dpp v13, v8 row_shr:2 row_mask:0xf bank_mask:0xf
	v_mov_b32_dpp v20, v9 row_shr:2 row_mask:0xf bank_mask:0xf
	v_mov_b32_dpp v5, v12 row_shr:2 row_mask:0xf bank_mask:0xf
	v_cmp_lt_u32_e32 vcc, 1, v4
	s_and_saveexec_b64 s[28:29], vcc
; %bb.92:
	v_cmp_eq_u32_e32 vcc, 0, v12
	v_or_b32_e32 v5, v5, v12
	v_and_b32_e32 v12, 1, v5
	v_cndmask_b32_e32 v21, 0, v20, vcc
	v_cndmask_b32_e32 v20, 0, v13, vcc
	v_lshl_add_u64 v[8:9], v[20:21], 0, v[8:9]
; %bb.93:
	s_or_b64 exec, exec, s[28:29]
	s_nop 0
	v_mov_b32_dpp v13, v8 row_shr:4 row_mask:0xf bank_mask:0xf
	v_mov_b32_dpp v20, v9 row_shr:4 row_mask:0xf bank_mask:0xf
	v_mov_b32_dpp v5, v12 row_shr:4 row_mask:0xf bank_mask:0xf
	v_cmp_lt_u32_e32 vcc, 3, v4
	s_and_saveexec_b64 s[28:29], vcc
; %bb.94:
	v_cmp_eq_u32_e32 vcc, 0, v12
	v_or_b32_e32 v5, v5, v12
	v_and_b32_e32 v12, 1, v5
	;; [unrolled: 15-line block ×3, first 2 shown]
	v_cndmask_b32_e32 v21, 0, v20, vcc
	v_cndmask_b32_e32 v20, 0, v13, vcc
	v_lshl_add_u64 v[8:9], v[20:21], 0, v[8:9]
; %bb.97:
	s_or_b64 exec, exec, s[28:29]
	v_and_b32_e32 v20, 16, v44
	v_mov_b32_dpp v5, v8 row_bcast:15 row_mask:0xf bank_mask:0xf
	v_mov_b32_dpp v13, v9 row_bcast:15 row_mask:0xf bank_mask:0xf
	;; [unrolled: 1-line block ×3, first 2 shown]
	v_cmp_ne_u32_e32 vcc, 0, v20
	s_and_saveexec_b64 s[28:29], vcc
; %bb.98:
	v_cmp_eq_u32_e32 vcc, 0, v12
	v_or_b32_e32 v4, v4, v12
	v_and_b32_e32 v12, 1, v4
	v_cndmask_b32_e32 v21, 0, v13, vcc
	v_cndmask_b32_e32 v20, 0, v5, vcc
	v_lshl_add_u64 v[8:9], v[20:21], 0, v[8:9]
; %bb.99:
	s_or_b64 exec, exec, s[28:29]
	s_nop 0
	v_mov_b32_dpp v13, v8 row_bcast:31 row_mask:0xf bank_mask:0xf
	v_mov_b32_dpp v20, v9 row_bcast:31 row_mask:0xf bank_mask:0xf
	;; [unrolled: 1-line block ×3, first 2 shown]
	v_cmp_lt_u32_e32 vcc, 31, v44
	v_mov_b32_e32 v4, v12
	s_and_saveexec_b64 s[28:29], vcc
; %bb.100:
	v_cmp_eq_u32_e32 vcc, 0, v12
	v_or_b32_e32 v5, v5, v12
	v_and_b32_e32 v4, 1, v5
	v_cndmask_b32_e32 v21, 0, v20, vcc
	v_cndmask_b32_e32 v20, 0, v13, vcc
	v_lshl_add_u64 v[8:9], v[20:21], 0, v[8:9]
	v_and_b32_e32 v12, 1, v5
; %bb.101:
	s_or_b64 exec, exec, s[28:29]
	v_or_b32_e32 v5, 63, v0
	v_lshrrev_b32_e32 v13, 6, v0
	v_cmp_eq_u32_e32 vcc, v5, v0
	s_and_saveexec_b64 s[28:29], vcc
	s_cbranch_execz .LBB85_103
; %bb.102:
	v_lshlrev_b32_e32 v5, 4, v13
	ds_write_b64 v5, v[8:9]
	ds_write_b8 v5, v4 offset:8
.LBB85_103:
	s_or_b64 exec, exec, s[28:29]
	v_cmp_gt_u32_e32 vcc, 4, v0
	s_waitcnt lgkmcnt(0)
	s_barrier
	s_and_saveexec_b64 s[34:35], vcc
	s_cbranch_execz .LBB85_109
; %bb.104:
	v_lshlrev_b32_e32 v20, 4, v0
	ds_read_b64 v[4:5], v20
	ds_read_b32 v21, v20 offset:8
	v_and_b32_e32 v24, 3, v44
	v_cmp_ne_u32_e32 vcc, 0, v24
	s_waitcnt lgkmcnt(1)
	v_mov_b32_dpp v40, v4 row_shr:1 row_mask:0xf bank_mask:0xf
	v_mov_b32_dpp v41, v5 row_shr:1 row_mask:0xf bank_mask:0xf
	s_waitcnt lgkmcnt(0)
	v_mov_b32_dpp v37, v21 row_shr:1 row_mask:0xf bank_mask:0xf
	v_mov_b32_e32 v25, v21
	v_mov_b32_e32 v36, v21
	s_and_saveexec_b64 s[28:29], vcc
; %bb.105:
	v_mov_b32_e32 v25, 0
	v_cmp_eq_u16_sdwa vcc, v21, v25 src0_sel:BYTE_0 src1_sel:DWORD
	v_or_b32_e32 v36, v37, v21
	v_and_b32_e32 v25, 1, v36
	v_cndmask_b32_e32 v41, 0, v41, vcc
	v_cndmask_b32_e32 v40, 0, v40, vcc
	v_and_b32_e32 v36, 1, v36
	s_movk_i32 s3, 0xff00
	v_lshl_add_u64 v[4:5], v[40:41], 0, v[4:5]
	v_and_or_b32 v21, v21, s3, v36
; %bb.106:
	s_or_b64 exec, exec, s[28:29]
	v_mov_b32_dpp v37, v4 row_shr:2 row_mask:0xf bank_mask:0xf
	v_mov_b32_dpp v40, v5 row_shr:2 row_mask:0xf bank_mask:0xf
	;; [unrolled: 1-line block ×3, first 2 shown]
	v_cmp_lt_u32_e32 vcc, 1, v24
	s_and_saveexec_b64 s[48:49], vcc
; %bb.107:
	v_mov_b32_e32 v24, 0
	v_cmp_eq_u16_sdwa vcc, v36, v24 src0_sel:BYTE_0 src1_sel:DWORD
	v_and_b32_e32 v21, 1, v21
	v_cmp_eq_u32_e64 s[28:29], 1, v21
	v_cndmask_b32_e32 v25, 0, v40, vcc
	v_cndmask_b32_e32 v24, 0, v37, vcc
	v_lshl_add_u64 v[4:5], v[24:25], 0, v[4:5]
	v_and_b32_e32 v24, 1, v36
	v_cmp_eq_u32_e32 vcc, 1, v24
	s_or_b64 s[28:29], vcc, s[28:29]
	v_cndmask_b32_e64 v25, 0, 1, s[28:29]
; %bb.108:
	s_or_b64 exec, exec, s[48:49]
	ds_write_b64 v20, v[4:5]
	ds_write_b8 v20, v25 offset:8
.LBB85_109:
	s_or_b64 exec, exec, s[34:35]
	v_cmp_gt_u32_e32 vcc, 64, v0
	v_cmp_lt_u32_e64 s[28:29], 63, v0
	v_mov_b32_e32 v36, 0
	v_mov_b64_e32 v[4:5], 0
	s_waitcnt lgkmcnt(0)
	s_barrier
	s_and_saveexec_b64 s[34:35], s[28:29]
	s_cbranch_execz .LBB85_111
; %bb.110:
	v_lshl_add_u32 v13, v13, 4, -16
	ds_read_b64 v[4:5], v13
	ds_read_u8 v36, v13 offset:8
	v_and_b32_e32 v20, 1, v12
	v_cmp_eq_u32_e64 s[28:29], 0, v12
	s_waitcnt lgkmcnt(1)
	s_nop 0
	v_cndmask_b32_e64 v13, 0, v5, s[28:29]
	v_cndmask_b32_e64 v12, 0, v4, s[28:29]
	v_cmp_eq_u32_e64 s[28:29], 1, v20
	v_lshl_add_u64 v[8:9], v[12:13], 0, v[8:9]
	s_waitcnt lgkmcnt(0)
	v_cndmask_b32_e64 v12, v36, 1, s[28:29]
.LBB85_111:
	s_or_b64 exec, exec, s[34:35]
	v_add_u32_e32 v13, -1, v44
	v_and_b32_e32 v20, 64, v44
	v_cmp_lt_i32_e64 s[28:29], v13, v20
	s_nop 1
	v_cndmask_b32_e64 v13, v13, v44, s[28:29]
	v_lshlrev_b32_e32 v13, 2, v13
	ds_bpermute_b32 v37, v13, v8
	ds_bpermute_b32 v40, v13, v9
	ds_bpermute_b32 v41, v13, v12
	v_cmp_eq_u32_e64 s[28:29], 0, v44
	s_and_saveexec_b64 s[48:49], vcc
	s_cbranch_execz .LBB85_154
; %bb.112:
	v_mov_b32_e32 v13, 0
	ds_read2_b64 v[48:51], v13 offset0:6 offset1:7
	s_and_saveexec_b64 s[34:35], s[28:29]
	s_cbranch_execz .LBB85_114
; %bb.113:
	s_add_i32 s52, s2, 64
	s_mov_b32 s53, 0
	s_lshl_b64 s[56:57], s[52:53], 4
	s_add_u32 s56, s36, s56
	s_addc_u32 s57, s37, s57
	v_mov_b32_e32 v8, s52
	v_mov_b32_e32 v9, 1
	s_waitcnt lgkmcnt(0)
	global_store_dword v13, v48, s[56:57] sc1
	global_store_dword v13, v49, s[56:57] offset:4 sc1
	global_store_dword v13, v50, s[56:57] offset:8 sc1
	;; [unrolled: 1-line block ×3, first 2 shown]
	s_waitcnt vmcnt(0)
	global_store_byte v8, v9, s[40:41] sc1
.LBB85_114:
	s_or_b64 exec, exec, s[34:35]
	v_xad_u32 v8, v44, -1, s2
	v_add_u32_e32 v12, 64, v8
	global_load_ubyte v45, v12, s[40:41] sc1
	s_waitcnt vmcnt(0)
	v_cmp_eq_u16_e32 vcc, 0, v45
	s_and_saveexec_b64 s[34:35], vcc
	s_cbranch_execz .LBB85_118
; %bb.115:
	v_lshl_add_u64 v[20:21], s[40:41], 0, v[12:13]
	s_mov_b64 s[52:53], 0
.LBB85_116:                             ; =>This Inner Loop Header: Depth=1
	global_load_ubyte v45, v[20:21], off sc1
	s_waitcnt vmcnt(0)
	v_cmp_ne_u16_e32 vcc, 0, v45
	s_or_b64 s[52:53], vcc, s[52:53]
	s_andn2_b64 exec, exec, s[52:53]
	s_cbranch_execnz .LBB85_116
; %bb.117:
	s_or_b64 exec, exec, s[52:53]
.LBB85_118:
	s_or_b64 exec, exec, s[34:35]
	v_mov_b32_e32 v9, s39
	v_mov_b32_e32 v20, s37
	v_cmp_eq_u16_e32 vcc, 1, v45
	s_waitcnt vmcnt(0) lgkmcnt(0)
	s_nop 0
	v_cndmask_b32_e32 v21, v9, v20, vcc
	v_mov_b32_e32 v9, s38
	v_mov_b32_e32 v20, s36
	v_cndmask_b32_e32 v20, v9, v20, vcc
	v_lshl_add_u64 v[12:13], v[12:13], 4, v[20:21]
	global_load_dword v24, v[12:13], off sc1
	global_load_dword v25, v[12:13], off offset:4 sc1
	global_load_dword v64, v[12:13], off offset:8 sc1
	global_load_dword v9, v[12:13], off offset:12 sc1
	v_cmp_eq_u16_e32 vcc, 2, v45
	v_lshlrev_b64 v[12:13], v44, -1
	v_and_b32_e32 v51, 63, v44
	s_waitcnt vmcnt(0)
	v_and_b32_e32 v9, vcc_hi, v13
	v_and_b32_e32 v55, vcc_lo, v12
	v_cmp_ne_u32_e32 vcc, 63, v51
	v_or_b32_e32 v9, 0x80000000, v9
	v_ffbl_b32_e32 v9, v9
	v_addc_co_u32_e32 v20, vcc, 0, v44, vcc
	v_lshlrev_b32_e32 v52, 2, v20
	v_add_u32_e32 v9, 32, v9
	v_ffbl_b32_e32 v55, v55
	v_min_u32_e32 v9, v55, v9
	v_cmp_lt_u32_e32 vcc, v51, v9
	ds_bpermute_b32 v53, v52, v24
	ds_bpermute_b32 v54, v52, v25
	v_and_b32_e32 v20, 0xff, v64
	ds_bpermute_b32 v21, v52, v20
	s_and_saveexec_b64 s[34:35], vcc
	s_cbranch_execz .LBB85_120
; %bb.119:
	v_mov_b32_e32 v20, 0
	v_cmp_eq_u16_sdwa vcc, v64, v20 src0_sel:BYTE_0 src1_sel:DWORD
	s_waitcnt lgkmcnt(0)
	v_or_b32_e32 v20, v21, v64
	v_and_b32_e32 v64, 1, v20
	v_cndmask_b32_e32 v55, 0, v54, vcc
	v_cndmask_b32_e32 v54, 0, v53, vcc
	v_lshl_add_u64 v[24:25], v[54:55], 0, v[24:25]
	v_and_b32_e32 v20, 1, v20
.LBB85_120:
	s_or_b64 exec, exec, s[34:35]
	v_cmp_gt_u32_e32 vcc, 62, v51
	s_waitcnt lgkmcnt(1)
	v_add_u32_e32 v54, 2, v51
	s_waitcnt lgkmcnt(0)
	v_cndmask_b32_e64 v21, 0, 1, vcc
	v_lshlrev_b32_e32 v21, 1, v21
	v_add_lshl_u32 v53, v21, v44, 2
	ds_bpermute_b32 v55, v53, v24
	ds_bpermute_b32 v56, v53, v25
	ds_bpermute_b32 v21, v53, v20
	v_cmp_le_u32_e32 vcc, v54, v9
	s_and_saveexec_b64 s[52:53], vcc
	s_cbranch_execz .LBB85_122
; %bb.121:
	v_mov_b32_e32 v20, 0
	v_cmp_eq_u16_sdwa vcc, v64, v20 src0_sel:BYTE_0 src1_sel:DWORD
	v_and_b32_e32 v20, 1, v64
	s_waitcnt lgkmcnt(1)
	v_cndmask_b32_e32 v57, 0, v56, vcc
	v_cndmask_b32_e32 v56, 0, v55, vcc
	v_cmp_eq_u32_e32 vcc, 1, v20
	s_waitcnt lgkmcnt(0)
	v_and_b32_e32 v20, 1, v21
	v_cmp_eq_u32_e64 s[34:35], 1, v20
	s_or_b64 s[34:35], vcc, s[34:35]
	v_lshl_add_u64 v[24:25], v[56:57], 0, v[24:25]
	v_cndmask_b32_e64 v64, 0, 1, s[34:35]
	v_cndmask_b32_e64 v20, 0, 1, s[34:35]
.LBB85_122:
	s_or_b64 exec, exec, s[52:53]
	v_cmp_gt_u32_e32 vcc, 60, v51
	s_waitcnt lgkmcnt(1)
	v_add_u32_e32 v56, 4, v51
	s_waitcnt lgkmcnt(0)
	v_cndmask_b32_e64 v21, 0, 1, vcc
	v_lshlrev_b32_e32 v21, 2, v21
	v_add_lshl_u32 v55, v21, v44, 2
	ds_bpermute_b32 v57, v55, v24
	ds_bpermute_b32 v58, v55, v25
	ds_bpermute_b32 v21, v55, v20
	v_cmp_le_u32_e32 vcc, v56, v9
	s_and_saveexec_b64 s[52:53], vcc
	s_cbranch_execz .LBB85_124
; %bb.123:
	v_mov_b32_e32 v20, 0
	v_cmp_eq_u16_sdwa vcc, v64, v20 src0_sel:BYTE_0 src1_sel:DWORD
	v_and_b32_e32 v20, 1, v64
	s_waitcnt lgkmcnt(1)
	v_cndmask_b32_e32 v59, 0, v58, vcc
	v_cndmask_b32_e32 v58, 0, v57, vcc
	v_cmp_eq_u32_e32 vcc, 1, v20
	s_waitcnt lgkmcnt(0)
	v_and_b32_e32 v20, 1, v21
	v_cmp_eq_u32_e64 s[34:35], 1, v20
	s_or_b64 s[34:35], vcc, s[34:35]
	v_lshl_add_u64 v[24:25], v[58:59], 0, v[24:25]
	v_cndmask_b32_e64 v64, 0, 1, s[34:35]
	v_cndmask_b32_e64 v20, 0, 1, s[34:35]
.LBB85_124:
	;; [unrolled: 30-line block ×4, first 2 shown]
	s_or_b64 exec, exec, s[52:53]
	v_cmp_gt_u32_e32 vcc, 32, v51
	s_waitcnt lgkmcnt(1)
	v_add_u32_e32 v62, 32, v51
	s_waitcnt lgkmcnt(0)
	v_cndmask_b32_e64 v21, 0, 1, vcc
	v_lshlrev_b32_e32 v21, 5, v21
	v_add_lshl_u32 v61, v21, v44, 2
	ds_bpermute_b32 v21, v61, v24
	ds_bpermute_b32 v44, v61, v25
	ds_bpermute_b32 v20, v61, v20
	v_cmp_le_u32_e32 vcc, v62, v9
	s_and_saveexec_b64 s[52:53], vcc
	s_cbranch_execz .LBB85_130
; %bb.129:
	v_mov_b32_e32 v9, 0
	v_cmp_eq_u16_sdwa vcc, v64, v9 src0_sel:BYTE_0 src1_sel:DWORD
	v_and_b32_e32 v9, 1, v64
	s_waitcnt lgkmcnt(1)
	v_cndmask_b32_e32 v67, 0, v44, vcc
	v_cndmask_b32_e32 v66, 0, v21, vcc
	v_cmp_eq_u32_e32 vcc, 1, v9
	s_waitcnt lgkmcnt(0)
	v_and_b32_e32 v9, 1, v20
	v_cmp_eq_u32_e64 s[34:35], 1, v9
	s_or_b64 s[34:35], vcc, s[34:35]
	v_lshl_add_u64 v[24:25], v[66:67], 0, v[24:25]
	v_cndmask_b32_e64 v64, 0, 1, s[34:35]
.LBB85_130:
	s_or_b64 exec, exec, s[52:53]
	v_mov_b32_e32 v9, 0
	v_mov_b32_e32 v63, 2
	s_branch .LBB85_132
.LBB85_131:                             ;   in Loop: Header=BB85_132 Depth=1
	s_or_b64 exec, exec, s[56:57]
	v_cmp_eq_u16_sdwa vcc, v44, v9 src0_sel:BYTE_0 src1_sel:DWORD
	v_and_b32_e32 v64, 1, v44
	v_subrev_u32_e32 v8, 64, v8
	v_cndmask_b32_e32 v25, 0, v25, vcc
	v_cndmask_b32_e32 v24, 0, v24, vcc
	v_cmp_eq_u32_e32 vcc, 1, v64
	s_or_b64 s[34:35], vcc, s[52:53]
	v_lshl_add_u64 v[24:25], v[24:25], 0, v[20:21]
	v_cndmask_b32_e64 v64, 0, 1, s[34:35]
.LBB85_132:                             ; =>This Loop Header: Depth=1
                                        ;     Child Loop BB85_135 Depth 2
	v_cmp_ne_u16_sdwa s[34:35], v45, v63 src0_sel:BYTE_0 src1_sel:DWORD
	s_waitcnt lgkmcnt(1)
	v_mov_b32_e32 v44, v64
	s_waitcnt lgkmcnt(0)
	v_cndmask_b32_e64 v20, 0, 1, s[34:35]
	;;#ASMSTART
	;;#ASMEND
	s_nop 0
	v_cmp_ne_u32_e32 vcc, 0, v20
	s_cmp_lg_u64 vcc, exec
	v_mov_b64_e32 v[20:21], v[24:25]
	s_cbranch_scc1 .LBB85_149
; %bb.133:                              ;   in Loop: Header=BB85_132 Depth=1
	global_load_ubyte v45, v8, s[40:41] sc1
	s_waitcnt vmcnt(0)
	v_cmp_eq_u16_e32 vcc, 0, v45
	s_and_saveexec_b64 s[34:35], vcc
	s_cbranch_execz .LBB85_137
; %bb.134:                              ;   in Loop: Header=BB85_132 Depth=1
	v_lshl_add_u64 v[24:25], s[40:41], 0, v[8:9]
	s_mov_b64 s[52:53], 0
.LBB85_135:                             ;   Parent Loop BB85_132 Depth=1
                                        ; =>  This Inner Loop Header: Depth=2
	global_load_ubyte v45, v[24:25], off sc1
	s_waitcnt vmcnt(0)
	v_cmp_ne_u16_e32 vcc, 0, v45
	s_or_b64 s[52:53], vcc, s[52:53]
	s_andn2_b64 exec, exec, s[52:53]
	s_cbranch_execnz .LBB85_135
; %bb.136:                              ;   in Loop: Header=BB85_132 Depth=1
	s_or_b64 exec, exec, s[52:53]
.LBB85_137:                             ;   in Loop: Header=BB85_132 Depth=1
	s_or_b64 exec, exec, s[34:35]
	v_mov_b32_e32 v24, s39
	v_mov_b32_e32 v25, s37
	v_cmp_eq_u16_e32 vcc, 1, v45
	v_mov_b32_e32 v64, s36
	s_waitcnt vmcnt(0)
	v_cndmask_b32_e32 v25, v24, v25, vcc
	v_mov_b32_e32 v24, s38
	v_cndmask_b32_e32 v24, v24, v64, vcc
	v_lshl_add_u64 v[66:67], v[8:9], 4, v[24:25]
	global_load_dword v24, v[66:67], off sc1
	global_load_dword v25, v[66:67], off offset:4 sc1
	global_load_dword v64, v[66:67], off offset:8 sc1
	;; [unrolled: 1-line block ×3, first 2 shown]
	v_cmp_eq_u16_e32 vcc, 2, v45
	s_waitcnt vmcnt(3)
	ds_bpermute_b32 v68, v52, v24
	s_waitcnt vmcnt(0)
	v_and_b32_e32 v65, vcc_hi, v13
	v_and_b32_e32 v66, 0xff, v64
	v_or_b32_e32 v65, 0x80000000, v65
	ds_bpermute_b32 v69, v52, v25
	ds_bpermute_b32 v67, v52, v66
	v_and_b32_e32 v70, vcc_lo, v12
	v_ffbl_b32_e32 v65, v65
	v_add_u32_e32 v65, 32, v65
	v_ffbl_b32_e32 v70, v70
	v_min_u32_e32 v65, v70, v65
	v_cmp_lt_u32_e32 vcc, v51, v65
	s_and_saveexec_b64 s[34:35], vcc
	s_cbranch_execz .LBB85_139
; %bb.138:                              ;   in Loop: Header=BB85_132 Depth=1
	v_cmp_eq_u16_sdwa vcc, v64, v9 src0_sel:BYTE_0 src1_sel:DWORD
	s_waitcnt lgkmcnt(0)
	v_or_b32_e32 v66, v67, v64
	v_and_b32_e32 v64, 1, v66
	v_cndmask_b32_e32 v69, 0, v69, vcc
	v_cndmask_b32_e32 v68, 0, v68, vcc
	v_lshl_add_u64 v[24:25], v[68:69], 0, v[24:25]
	v_and_b32_e32 v66, 1, v66
.LBB85_139:                             ;   in Loop: Header=BB85_132 Depth=1
	s_or_b64 exec, exec, s[34:35]
	s_waitcnt lgkmcnt(2)
	ds_bpermute_b32 v68, v53, v24
	s_waitcnt lgkmcnt(2)
	ds_bpermute_b32 v69, v53, v25
	;; [unrolled: 2-line block ×3, first 2 shown]
	v_and_b32_e32 v70, 1, v64
	v_cmp_le_u32_e32 vcc, v54, v65
	v_cmp_eq_u32_e64 s[52:53], 1, v70
	s_and_saveexec_b64 s[34:35], vcc
	s_cbranch_execz .LBB85_141
; %bb.140:                              ;   in Loop: Header=BB85_132 Depth=1
	v_cmp_eq_u16_sdwa vcc, v64, v9 src0_sel:BYTE_0 src1_sel:DWORD
	s_waitcnt lgkmcnt(0)
	v_and_b32_e32 v64, 1, v67
	v_cndmask_b32_e32 v69, 0, v69, vcc
	v_cndmask_b32_e32 v68, 0, v68, vcc
	v_cmp_eq_u32_e32 vcc, 1, v64
	s_or_b64 s[56:57], s[52:53], vcc
	v_cndmask_b32_e64 v64, 0, 1, s[56:57]
	v_cndmask_b32_e64 v66, 0, 1, s[56:57]
	s_andn2_b64 s[52:53], s[52:53], exec
	s_and_b64 s[56:57], s[56:57], exec
	v_lshl_add_u64 v[24:25], v[68:69], 0, v[24:25]
	s_or_b64 s[52:53], s[52:53], s[56:57]
.LBB85_141:                             ;   in Loop: Header=BB85_132 Depth=1
	s_or_b64 exec, exec, s[34:35]
	s_waitcnt lgkmcnt(2)
	ds_bpermute_b32 v68, v55, v24
	s_waitcnt lgkmcnt(2)
	ds_bpermute_b32 v69, v55, v25
	s_waitcnt lgkmcnt(2)
	ds_bpermute_b32 v67, v55, v66
	v_cmp_le_u32_e32 vcc, v56, v65
	s_and_saveexec_b64 s[56:57], vcc
	s_cbranch_execz .LBB85_143
; %bb.142:                              ;   in Loop: Header=BB85_132 Depth=1
	v_cmp_eq_u16_sdwa vcc, v64, v9 src0_sel:BYTE_0 src1_sel:DWORD
	v_and_b32_e32 v64, 1, v64
	s_andn2_b64 s[52:53], s[52:53], exec
	s_waitcnt lgkmcnt(1)
	v_cndmask_b32_e32 v69, 0, v69, vcc
	v_cndmask_b32_e32 v68, 0, v68, vcc
	v_cmp_eq_u32_e32 vcc, 1, v64
	s_waitcnt lgkmcnt(0)
	v_and_b32_e32 v64, 1, v67
	v_cmp_eq_u32_e64 s[34:35], 1, v64
	s_or_b64 s[34:35], vcc, s[34:35]
	v_lshl_add_u64 v[24:25], v[68:69], 0, v[24:25]
	v_cndmask_b32_e64 v64, 0, 1, s[34:35]
	v_cndmask_b32_e64 v66, 0, 1, s[34:35]
	s_and_b64 s[34:35], s[34:35], exec
	s_or_b64 s[52:53], s[52:53], s[34:35]
.LBB85_143:                             ;   in Loop: Header=BB85_132 Depth=1
	s_or_b64 exec, exec, s[56:57]
	s_waitcnt lgkmcnt(2)
	ds_bpermute_b32 v68, v57, v24
	s_waitcnt lgkmcnt(2)
	ds_bpermute_b32 v69, v57, v25
	s_waitcnt lgkmcnt(2)
	ds_bpermute_b32 v67, v57, v66
	v_cmp_le_u32_e32 vcc, v58, v65
	s_and_saveexec_b64 s[56:57], vcc
	s_cbranch_execz .LBB85_145
; %bb.144:                              ;   in Loop: Header=BB85_132 Depth=1
	v_cmp_eq_u16_sdwa vcc, v64, v9 src0_sel:BYTE_0 src1_sel:DWORD
	v_and_b32_e32 v64, 1, v64
	s_andn2_b64 s[52:53], s[52:53], exec
	s_waitcnt lgkmcnt(1)
	v_cndmask_b32_e32 v69, 0, v69, vcc
	v_cndmask_b32_e32 v68, 0, v68, vcc
	v_cmp_eq_u32_e32 vcc, 1, v64
	s_waitcnt lgkmcnt(0)
	v_and_b32_e32 v64, 1, v67
	v_cmp_eq_u32_e64 s[34:35], 1, v64
	s_or_b64 s[34:35], vcc, s[34:35]
	v_lshl_add_u64 v[24:25], v[68:69], 0, v[24:25]
	v_cndmask_b32_e64 v64, 0, 1, s[34:35]
	v_cndmask_b32_e64 v66, 0, 1, s[34:35]
	s_and_b64 s[34:35], s[34:35], exec
	s_or_b64 s[52:53], s[52:53], s[34:35]
.LBB85_145:                             ;   in Loop: Header=BB85_132 Depth=1
	;; [unrolled: 28-line block ×3, first 2 shown]
	s_or_b64 exec, exec, s[56:57]
	s_waitcnt lgkmcnt(0)
	ds_bpermute_b32 v67, v61, v24
	ds_bpermute_b32 v68, v61, v25
	;; [unrolled: 1-line block ×3, first 2 shown]
	v_cmp_le_u32_e32 vcc, v62, v65
	s_and_saveexec_b64 s[56:57], vcc
	s_cbranch_execz .LBB85_131
; %bb.148:                              ;   in Loop: Header=BB85_132 Depth=1
	v_cmp_eq_u16_sdwa vcc, v64, v9 src0_sel:BYTE_0 src1_sel:DWORD
	v_and_b32_e32 v64, 1, v64
	s_andn2_b64 s[52:53], s[52:53], exec
	s_waitcnt lgkmcnt(1)
	v_cndmask_b32_e32 v69, 0, v68, vcc
	v_cndmask_b32_e32 v68, 0, v67, vcc
	v_cmp_eq_u32_e32 vcc, 1, v64
	s_waitcnt lgkmcnt(0)
	v_and_b32_e32 v64, 1, v66
	v_cmp_eq_u32_e64 s[34:35], 1, v64
	s_or_b64 s[34:35], vcc, s[34:35]
	s_and_b64 s[34:35], s[34:35], exec
	v_lshl_add_u64 v[24:25], v[68:69], 0, v[24:25]
	s_or_b64 s[52:53], s[52:53], s[34:35]
	s_branch .LBB85_131
.LBB85_149:                             ;   in Loop: Header=BB85_132 Depth=1
                                        ; implicit-def: $vgpr64
                                        ; implicit-def: $vgpr24_vgpr25
                                        ; implicit-def: $vgpr45
	s_cbranch_execz .LBB85_132
; %bb.150:
	s_and_saveexec_b64 s[34:35], s[28:29]
	s_cbranch_execz .LBB85_152
; %bb.151:
	s_mov_b32 s3, 0
	v_mov_b32_e32 v12, 0
	s_add_i32 s2, s2, 64
	v_cmp_eq_u32_sdwa vcc, v50, v12 src0_sel:BYTE_0 src1_sel:DWORD
	s_lshl_b64 s[36:37], s[2:3], 4
	v_and_b32_e32 v13, 1, v50
	v_cndmask_b32_e32 v9, 0, v21, vcc
	v_cndmask_b32_e32 v8, 0, v20, vcc
	s_add_u32 s36, s38, s36
	v_lshl_add_u64 v[8:9], v[8:9], 0, v[48:49]
	v_and_b32_e32 v24, 1, v44
	v_cmp_eq_u32_e32 vcc, 1, v13
	s_addc_u32 s37, s39, s37
	s_nop 0
	v_cndmask_b32_e64 v13, v24, 1, vcc
	global_store_dword v12, v8, s[36:37] sc1
	global_store_dword v12, v9, s[36:37] offset:4 sc1
	global_store_dword v12, v13, s[36:37] offset:8 sc1
	;; [unrolled: 1-line block ×3, first 2 shown]
	v_mov_b32_e32 v8, s2
	v_mov_b32_e32 v9, 2
	s_waitcnt vmcnt(0) lgkmcnt(0)
	global_store_byte v8, v9, s[40:41] sc1
.LBB85_152:
	s_or_b64 exec, exec, s[34:35]
	v_cmp_eq_u32_e32 vcc, 0, v0
	s_and_b64 exec, exec, vcc
	s_cbranch_execz .LBB85_154
; %bb.153:
	v_mov_b32_e32 v8, 0
	ds_write_b64 v8, v[20:21] offset:48
	ds_write_b8 v8, v44 offset:56
.LBB85_154:
	s_or_b64 exec, exec, s[48:49]
	s_waitcnt lgkmcnt(0)
	v_cndmask_b32_e64 v8, v41, v36, s[28:29]
	v_mov_b32_e32 v13, 0
	v_cndmask_b32_e64 v9, v40, v5, s[28:29]
	v_cndmask_b32_e64 v12, v37, v4, s[28:29]
	v_cmp_eq_u16_sdwa vcc, v1, v13 src0_sel:BYTE_0 src1_sel:DWORD
	v_and_b32_e32 v20, 1, v1
	v_and_b32_e32 v8, 1, v8
	s_barrier
	ds_read_b64 v[4:5], v13 offset:48
	v_cndmask_b32_e32 v12, 0, v12, vcc
	v_cndmask_b32_e32 v9, 0, v9, vcc
	v_cmp_eq_u32_e32 vcc, 1, v20
	v_cmp_eq_u32_e64 s[2:3], 1, v8
	s_or_b64 s[2:3], vcc, s[2:3]
	v_cmp_eq_u32_e32 vcc, 0, v0
	v_cndmask_b32_e64 v8, 0, 1, s[2:3]
	s_nop 0
	v_cndmask_b32_e32 v20, v8, v1, vcc
	v_cndmask_b32_e64 v9, v9, 0, vcc
	v_cndmask_b32_e64 v8, v12, 0, vcc
	v_cmp_eq_u16_sdwa vcc, v20, v13 src0_sel:BYTE_0 src1_sel:DWORD
	v_lshl_add_u64 v[8:9], v[8:9], 0, v[2:3]
	s_waitcnt lgkmcnt(0)
	v_cndmask_b32_e32 v5, 0, v5, vcc
	v_cndmask_b32_e32 v4, 0, v4, vcc
	v_lshl_add_u64 v[48:49], v[8:9], 0, v[4:5]
	v_cndmask_b32_e64 v5, 0, v49, s[30:31]
	v_cndmask_b32_e64 v4, 0, v48, s[30:31]
	v_lshl_add_u64 v[50:51], v[4:5], 0, v[14:15]
	v_cndmask_b32_e64 v5, 0, v51, s[4:5]
	v_cndmask_b32_e64 v4, 0, v50, s[4:5]
	;; [unrolled: 3-line block ×13, first 2 shown]
	v_lshl_add_u64 v[74:75], v[4:5], 0, v[16:17]
	s_branch .LBB85_185
.LBB85_155:
                                        ; implicit-def: $vgpr74_vgpr75
                                        ; implicit-def: $vgpr70_vgpr71
                                        ; implicit-def: $vgpr66_vgpr67
                                        ; implicit-def: $vgpr62_vgpr63
                                        ; implicit-def: $vgpr58_vgpr59
                                        ; implicit-def: $vgpr54_vgpr55
                                        ; implicit-def: $vgpr50_vgpr51
	s_cbranch_execz .LBB85_185
; %bb.156:
	s_cmp_lg_u64 s[60:61], 0
	s_cselect_b32 s5, s55, 0
	s_cselect_b32 s4, s54, 0
	s_cmp_lg_u64 s[4:5], 0
	s_cselect_b64 s[6:7], -1, 0
	v_cmp_eq_u32_e32 vcc, 0, v0
	v_cmp_ne_u32_e64 s[2:3], 0, v0
	s_and_b64 s[8:9], vcc, s[6:7]
	s_and_saveexec_b64 s[6:7], s[8:9]
	s_cbranch_execz .LBB85_158
; %bb.157:
	v_mov_b32_e32 v8, 0
	global_load_dwordx2 v[4:5], v8, s[4:5]
	global_load_ubyte v9, v8, s[4:5] offset:8
	v_cmp_eq_u16_sdwa s[4:5], v1, v8 src0_sel:BYTE_0 src1_sel:DWORD
	s_waitcnt vmcnt(0)
	v_or_b32_e32 v1, v1, v9
	v_cndmask_b32_e64 v5, 0, v5, s[4:5]
	v_cndmask_b32_e64 v4, 0, v4, s[4:5]
	v_lshl_add_u64 v[2:3], v[4:5], 0, v[2:3]
	v_and_b32_e32 v1, 1, v1
.LBB85_158:
	s_or_b64 exec, exec, s[6:7]
	v_mov_b32_e32 v9, 0
	v_cmp_eq_u16_sdwa s[4:5], v82, v9 src0_sel:BYTE_0 src1_sel:DWORD
	v_cmp_eq_u16_sdwa s[6:7], v81, v9 src0_sel:BYTE_0 src1_sel:DWORD
	v_cmp_eq_u16_sdwa s[8:9], v83, v9 src0_sel:BYTE_0 src1_sel:DWORD
	v_cndmask_b32_e64 v5, 0, v3, s[4:5]
	v_cndmask_b32_e64 v4, 0, v2, s[4:5]
	v_lshl_add_u64 v[50:51], v[4:5], 0, v[14:15]
	v_cndmask_b32_e64 v5, 0, v51, s[6:7]
	v_cndmask_b32_e64 v4, 0, v50, s[6:7]
	v_lshl_add_u64 v[52:53], v[4:5], 0, v[6:7]
	v_cndmask_b32_e64 v5, 0, v53, s[8:9]
	v_cndmask_b32_e64 v4, 0, v52, s[8:9]
	v_lshl_add_u64 v[54:55], v[4:5], 0, v[22:23]
	v_cmp_eq_u16_sdwa s[10:11], v84, v9 src0_sel:BYTE_0 src1_sel:DWORD
	v_cmp_eq_u16_sdwa s[12:13], v85, v9 src0_sel:BYTE_0 src1_sel:DWORD
	v_cmp_eq_u16_sdwa s[14:15], v86, v9 src0_sel:BYTE_0 src1_sel:DWORD
	v_cndmask_b32_e64 v5, 0, v55, s[10:11]
	v_cndmask_b32_e64 v4, 0, v54, s[10:11]
	v_lshl_add_u64 v[56:57], v[4:5], 0, v[10:11]
	v_cndmask_b32_e64 v5, 0, v57, s[12:13]
	v_cndmask_b32_e64 v4, 0, v56, s[12:13]
	v_lshl_add_u64 v[58:59], v[4:5], 0, v[30:31]
	v_cndmask_b32_e64 v5, 0, v59, s[14:15]
	v_cndmask_b32_e64 v4, 0, v58, s[14:15]
	v_lshl_add_u64 v[60:61], v[4:5], 0, v[18:19]
	;; [unrolled: 12-line block ×4, first 2 shown]
	v_cmp_eq_u16_sdwa s[28:29], v33, v9 src0_sel:BYTE_0 src1_sel:DWORD
	v_and_b32_e32 v8, 0xff, v1
	v_mbcnt_hi_u32_b32 v12, -1, v28
	v_cndmask_b32_e64 v5, 0, v73, s[28:29]
	v_cndmask_b32_e64 v4, 0, v72, s[28:29]
	v_lshl_add_u64 v[74:75], v[4:5], 0, v[16:17]
	v_or_b32_e32 v4, v29, v90
	v_or_b32_e32 v4, v4, v89
	;; [unrolled: 1-line block ×10, first 2 shown]
	v_and_b32_e32 v4, 1, v4
	v_cmp_eq_u32_e64 s[30:31], 1, v4
	v_and_b32_e32 v20, 15, v12
	v_mov_b32_dpp v24, v74 row_shr:1 row_mask:0xf bank_mask:0xf
	v_cndmask_b32_e64 v13, v8, 1, s[30:31]
	v_mov_b32_dpp v25, v75 row_shr:1 row_mask:0xf bank_mask:0xf
	v_cmp_ne_u32_e64 s[30:31], 0, v20
	v_mov_b32_dpp v21, v13 row_shr:1 row_mask:0xf bank_mask:0xf
	v_mov_b64_e32 v[4:5], v[74:75]
	v_mov_b32_e32 v9, v75
	v_mov_b32_e32 v8, v74
	s_and_saveexec_b64 s[34:35], s[30:31]
; %bb.159:
	v_cmp_eq_u32_e64 s[30:31], 0, v13
	v_and_or_b32 v13, v21, 1, v13
	s_nop 0
	v_cndmask_b32_e64 v5, 0, v25, s[30:31]
	v_cndmask_b32_e64 v4, 0, v24, s[30:31]
	v_lshl_add_u64 v[4:5], v[74:75], 0, v[4:5]
	v_mov_b32_e32 v9, v5
	v_mov_b32_e32 v8, v4
; %bb.160:
	s_or_b64 exec, exec, s[34:35]
	s_nop 0
	v_mov_b32_dpp v24, v8 row_shr:2 row_mask:0xf bank_mask:0xf
	v_mov_b32_dpp v25, v9 row_shr:2 row_mask:0xf bank_mask:0xf
	v_mov_b32_dpp v21, v13 row_shr:2 row_mask:0xf bank_mask:0xf
	v_cmp_lt_u32_e64 s[30:31], 1, v20
	s_and_saveexec_b64 s[34:35], s[30:31]
; %bb.161:
	v_cmp_eq_u32_e64 s[30:31], 0, v13
	s_nop 1
	v_cndmask_b32_e64 v9, 0, v25, s[30:31]
	v_cndmask_b32_e64 v8, 0, v24, s[30:31]
	v_lshl_add_u64 v[8:9], v[8:9], 0, v[4:5]
	v_or_b32_e32 v4, v21, v13
	v_and_b32_e32 v13, 1, v4
	v_mov_b64_e32 v[4:5], v[8:9]
; %bb.162:
	s_or_b64 exec, exec, s[34:35]
	v_mov_b32_dpp v24, v8 row_shr:4 row_mask:0xf bank_mask:0xf
	v_mov_b32_dpp v25, v9 row_shr:4 row_mask:0xf bank_mask:0xf
	v_mov_b32_dpp v21, v13 row_shr:4 row_mask:0xf bank_mask:0xf
	v_cmp_lt_u32_e64 s[30:31], 3, v20
	s_and_saveexec_b64 s[34:35], s[30:31]
; %bb.163:
	v_cmp_eq_u32_e64 s[30:31], 0, v13
	s_nop 1
	v_cndmask_b32_e64 v9, 0, v25, s[30:31]
	v_cndmask_b32_e64 v8, 0, v24, s[30:31]
	v_lshl_add_u64 v[8:9], v[8:9], 0, v[4:5]
	v_or_b32_e32 v4, v21, v13
	v_and_b32_e32 v13, 1, v4
	v_mov_b64_e32 v[4:5], v[8:9]
; %bb.164:
	s_or_b64 exec, exec, s[34:35]
	;; [unrolled: 16-line block ×3, first 2 shown]
	v_and_b32_e32 v25, 16, v12
	v_mov_b32_dpp v21, v8 row_bcast:15 row_mask:0xf bank_mask:0xf
	v_mov_b32_dpp v24, v9 row_bcast:15 row_mask:0xf bank_mask:0xf
	;; [unrolled: 1-line block ×3, first 2 shown]
	v_cmp_ne_u32_e64 s[30:31], 0, v25
	s_and_saveexec_b64 s[34:35], s[30:31]
; %bb.167:
	v_cmp_eq_u32_e64 s[30:31], 0, v13
	s_nop 1
	v_cndmask_b32_e64 v9, 0, v24, s[30:31]
	v_cndmask_b32_e64 v8, 0, v21, s[30:31]
	v_lshl_add_u64 v[4:5], v[8:9], 0, v[4:5]
	v_or_b32_e32 v8, v20, v13
	v_and_b32_e32 v13, 1, v8
	v_mov_b32_e32 v9, v5
	v_mov_b32_e32 v8, v4
; %bb.168:
	s_or_b64 exec, exec, s[34:35]
	s_nop 0
	v_mov_b32_dpp v20, v8 row_bcast:31 row_mask:0xf bank_mask:0xf
	v_mov_b32_dpp v21, v9 row_bcast:31 row_mask:0xf bank_mask:0xf
	;; [unrolled: 1-line block ×3, first 2 shown]
	v_cmp_lt_u32_e64 s[30:31], 31, v12
	v_mov_b32_e32 v8, v13
	s_and_saveexec_b64 s[34:35], s[30:31]
; %bb.169:
	v_cmp_eq_u32_e64 s[30:31], 0, v13
	v_or_b32_e32 v9, v9, v13
	v_and_b32_e32 v8, 1, v9
	v_cndmask_b32_e64 v21, 0, v21, s[30:31]
	v_cndmask_b32_e64 v20, 0, v20, s[30:31]
	v_lshl_add_u64 v[4:5], v[20:21], 0, v[4:5]
	v_and_b32_e32 v13, 1, v9
; %bb.170:
	s_or_b64 exec, exec, s[34:35]
	v_or_b32_e32 v9, 63, v0
	v_lshrrev_b32_e32 v20, 6, v0
	v_cmp_eq_u32_e64 s[30:31], v9, v0
	s_and_saveexec_b64 s[34:35], s[30:31]
	s_cbranch_execz .LBB85_172
; %bb.171:
	v_lshlrev_b32_e32 v9, 4, v20
	ds_write_b64 v9, v[4:5]
	ds_write_b8 v9, v8 offset:8
.LBB85_172:
	s_or_b64 exec, exec, s[34:35]
	v_cmp_gt_u32_e64 s[30:31], 4, v0
	s_waitcnt lgkmcnt(0)
	s_barrier
	s_and_saveexec_b64 s[36:37], s[30:31]
	s_cbranch_execz .LBB85_178
; %bb.173:
	v_lshlrev_b32_e32 v21, 4, v0
	ds_read_b64 v[8:9], v21
	ds_read_b32 v24, v21 offset:8
	v_and_b32_e32 v25, 3, v12
	v_cmp_ne_u32_e64 s[30:31], 0, v25
	s_waitcnt lgkmcnt(1)
	v_mov_b32_dpp v36, v8 row_shr:1 row_mask:0xf bank_mask:0xf
	v_mov_b32_dpp v37, v9 row_shr:1 row_mask:0xf bank_mask:0xf
	s_waitcnt lgkmcnt(0)
	v_mov_b32_dpp v33, v24 row_shr:1 row_mask:0xf bank_mask:0xf
	v_mov_b32_e32 v28, v24
	v_mov_b32_e32 v29, v24
	s_and_saveexec_b64 s[34:35], s[30:31]
; %bb.174:
	v_mov_b32_e32 v28, 0
	v_cmp_eq_u16_sdwa s[30:31], v24, v28 src0_sel:BYTE_0 src1_sel:DWORD
	s_nop 1
	v_cndmask_b32_e64 v29, 0, v37, s[30:31]
	v_cndmask_b32_e64 v28, 0, v36, s[30:31]
	v_lshl_add_u64 v[8:9], v[28:29], 0, v[8:9]
	v_or_b32_e32 v29, v33, v24
	v_and_b32_e32 v28, 1, v29
	v_and_b32_e32 v29, 1, v29
	s_movk_i32 s30, 0xff00
	v_and_or_b32 v24, v24, s30, v29
; %bb.175:
	s_or_b64 exec, exec, s[34:35]
	v_mov_b32_dpp v33, v8 row_shr:2 row_mask:0xf bank_mask:0xf
	v_mov_b32_dpp v36, v9 row_shr:2 row_mask:0xf bank_mask:0xf
	;; [unrolled: 1-line block ×3, first 2 shown]
	v_cmp_lt_u32_e64 s[30:31], 1, v25
	s_and_saveexec_b64 s[48:49], s[30:31]
; %bb.176:
	v_mov_b32_e32 v25, 0
	v_cmp_eq_u16_sdwa s[30:31], v29, v25 src0_sel:BYTE_0 src1_sel:DWORD
	v_and_b32_e32 v25, 1, v29
	v_and_b32_e32 v24, 1, v24
	v_cndmask_b32_e64 v37, 0, v36, s[30:31]
	v_cndmask_b32_e64 v36, 0, v33, s[30:31]
	v_cmp_eq_u32_e64 s[30:31], 1, v25
	v_cmp_eq_u32_e64 s[34:35], 1, v24
	s_or_b64 s[30:31], s[30:31], s[34:35]
	v_lshl_add_u64 v[8:9], v[36:37], 0, v[8:9]
	v_cndmask_b32_e64 v28, 0, 1, s[30:31]
; %bb.177:
	s_or_b64 exec, exec, s[48:49]
	ds_write_b64 v21, v[8:9]
	ds_write_b8 v21, v28 offset:8
.LBB85_178:
	s_or_b64 exec, exec, s[36:37]
	v_cmp_lt_u32_e64 s[30:31], 63, v0
	v_mov_b64_e32 v[8:9], 0
	s_waitcnt lgkmcnt(0)
	s_barrier
	s_and_saveexec_b64 s[34:35], s[30:31]
	s_cbranch_execz .LBB85_180
; %bb.179:
	v_lshl_add_u32 v8, v20, 4, -16
	ds_read_b64 v[8:9], v8
	v_cmp_eq_u32_e64 s[30:31], 0, v13
	s_waitcnt lgkmcnt(0)
	s_nop 0
	v_cndmask_b32_e64 v21, 0, v9, s[30:31]
	v_cndmask_b32_e64 v20, 0, v8, s[30:31]
	v_lshl_add_u64 v[4:5], v[20:21], 0, v[4:5]
.LBB85_180:
	s_or_b64 exec, exec, s[34:35]
	v_add_u32_e32 v13, -1, v12
	v_and_b32_e32 v20, 64, v12
	v_cmp_lt_i32_e64 s[30:31], v13, v20
	s_nop 1
	v_cndmask_b32_e64 v13, v13, v12, s[30:31]
	v_lshlrev_b32_e32 v13, 2, v13
	ds_bpermute_b32 v4, v13, v4
	ds_bpermute_b32 v5, v13, v5
	s_and_saveexec_b64 s[30:31], s[2:3]
	s_cbranch_execz .LBB85_182
; %bb.181:
	v_cmp_eq_u32_e64 s[2:3], 0, v12
	;;#ASMSTART
	;;#ASMEND
	s_waitcnt lgkmcnt(1)
	s_nop 0
	v_cndmask_b32_e64 v4, v4, v8, s[2:3]
	v_mov_b32_e32 v8, 0
	s_waitcnt lgkmcnt(0)
	v_cndmask_b32_e64 v5, v5, v9, s[2:3]
	v_cmp_eq_u16_sdwa s[2:3], v1, v8 src0_sel:BYTE_0 src1_sel:DWORD
	s_nop 1
	v_cndmask_b32_e64 v5, 0, v5, s[2:3]
	v_cndmask_b32_e64 v4, 0, v4, s[2:3]
	v_lshl_add_u64 v[2:3], v[4:5], 0, v[2:3]
	v_cndmask_b32_e64 v5, 0, v3, s[4:5]
	v_cndmask_b32_e64 v4, 0, v2, s[4:5]
	v_lshl_add_u64 v[50:51], v[4:5], 0, v[14:15]
	;; [unrolled: 3-line block ×14, first 2 shown]
.LBB85_182:
	s_or_b64 exec, exec, s[30:31]
	s_and_saveexec_b64 s[2:3], vcc
	s_cbranch_execz .LBB85_184
; %bb.183:
	v_mov_b32_e32 v1, 0
	s_waitcnt lgkmcnt(0)
	ds_read_b64 v[4:5], v1 offset:48
	ds_read_u8 v6, v1 offset:56
	s_waitcnt lgkmcnt(1)
	global_store_dword v1, v4, s[38:39] offset:1024 sc1
	global_store_dword v1, v5, s[38:39] offset:1028 sc1
	s_waitcnt lgkmcnt(0)
	global_store_dword v1, v6, s[38:39] offset:1032 sc1
	global_store_dword v1, v1, s[38:39] offset:1036 sc1
	v_mov_b32_e32 v4, 2
	s_waitcnt vmcnt(0)
	global_store_byte v1, v4, s[40:41] offset:64 sc1
.LBB85_184:
	s_or_b64 exec, exec, s[2:3]
	v_mov_b64_e32 v[48:49], v[2:3]
.LBB85_185:
	s_add_u32 s2, s50, s46
	s_addc_u32 s3, s51, s47
	s_add_u32 s2, s2, s44
	v_mul_u32_u24_e32 v1, 14, v0
	s_addc_u32 s3, s3, s45
	s_and_b64 vcc, exec, s[0:1]
	v_lshlrev_b32_e32 v30, 3, v1
	s_cbranch_vccz .LBB85_213
; %bb.186:
	s_movk_i32 s0, 0xff98
	v_mad_i32_i24 v1, v0, s0, v30
	s_waitcnt lgkmcnt(0)
	s_barrier
	ds_write_b128 v30, v[48:51]
	ds_write_b128 v30, v[52:55] offset:16
	ds_write_b128 v30, v[56:59] offset:32
	;; [unrolled: 1-line block ×6, first 2 shown]
	s_waitcnt lgkmcnt(0)
	s_barrier
	ds_read2st64_b64 v[26:29], v1 offset0:4 offset1:8
	ds_read2st64_b64 v[22:25], v1 offset0:12 offset1:16
	;; [unrolled: 1-line block ×6, first 2 shown]
	ds_read_b64 v[4:5], v1 offset:26624
	s_add_i32 s33, s33, s42
	v_mov_b32_e32 v33, 0
	v_lshl_add_u64 v[2:3], s[2:3], 0, v[32:33]
	v_cmp_gt_u32_e32 vcc, s33, v0
	s_and_saveexec_b64 s[0:1], vcc
	s_cbranch_execz .LBB85_188
; %bb.187:
	v_mul_i32_i24_e32 v1, 0xffffff98, v0
	v_add_u32_e32 v1, v30, v1
	ds_read_b64 v[34:35], v1
	s_waitcnt lgkmcnt(0)
	flat_store_dwordx2 v[2:3], v[34:35]
.LBB85_188:
	s_or_b64 exec, exec, s[0:1]
	v_or_b32_e32 v1, 0x100, v0
	v_cmp_gt_u32_e32 vcc, s33, v1
	s_and_saveexec_b64 s[0:1], vcc
	s_cbranch_execz .LBB85_190
; %bb.189:
	s_waitcnt lgkmcnt(0)
	flat_store_dwordx2 v[2:3], v[26:27] offset:2048
.LBB85_190:
	s_or_b64 exec, exec, s[0:1]
	v_or_b32_e32 v1, 0x200, v0
	v_cmp_gt_u32_e32 vcc, s33, v1
	s_and_saveexec_b64 s[0:1], vcc
	s_cbranch_execz .LBB85_192
; %bb.191:
	s_waitcnt lgkmcnt(0)
	v_add_co_u32_e32 v26, vcc, 0x1000, v2
	s_nop 1
	v_addc_co_u32_e32 v27, vcc, 0, v3, vcc
	flat_store_dwordx2 v[26:27], v[28:29]
.LBB85_192:
	s_or_b64 exec, exec, s[0:1]
	v_or_b32_e32 v1, 0x300, v0
	v_cmp_gt_u32_e32 vcc, s33, v1
	s_and_saveexec_b64 s[0:1], vcc
	s_cbranch_execz .LBB85_194
; %bb.193:
	s_waitcnt lgkmcnt(0)
	v_add_co_u32_e32 v26, vcc, 0x1000, v2
	s_nop 1
	v_addc_co_u32_e32 v27, vcc, 0, v3, vcc
	flat_store_dwordx2 v[26:27], v[22:23] offset:2048
.LBB85_194:
	s_or_b64 exec, exec, s[0:1]
	v_or_b32_e32 v1, 0x400, v0
	v_cmp_gt_u32_e32 vcc, s33, v1
	s_and_saveexec_b64 s[0:1], vcc
	s_cbranch_execz .LBB85_196
; %bb.195:
	s_waitcnt lgkmcnt(0)
	v_add_co_u32_e32 v22, vcc, 0x2000, v2
	s_nop 1
	v_addc_co_u32_e32 v23, vcc, 0, v3, vcc
	flat_store_dwordx2 v[22:23], v[24:25]
.LBB85_196:
	s_or_b64 exec, exec, s[0:1]
	v_or_b32_e32 v1, 0x500, v0
	v_cmp_gt_u32_e32 vcc, s33, v1
	s_and_saveexec_b64 s[0:1], vcc
	s_cbranch_execz .LBB85_198
; %bb.197:
	s_waitcnt lgkmcnt(0)
	v_add_co_u32_e32 v22, vcc, 0x2000, v2
	s_nop 1
	v_addc_co_u32_e32 v23, vcc, 0, v3, vcc
	flat_store_dwordx2 v[22:23], v[18:19] offset:2048
.LBB85_198:
	;; [unrolled: 24-line block ×5, first 2 shown]
	s_or_b64 exec, exec, s[0:1]
	v_or_b32_e32 v1, 0xc00, v0
	v_cmp_gt_u32_e32 vcc, s33, v1
	s_and_saveexec_b64 s[0:1], vcc
	s_cbranch_execz .LBB85_212
; %bb.211:
	v_add_co_u32_e32 v2, vcc, 0x6000, v2
	s_nop 1
	v_addc_co_u32_e32 v3, vcc, 0, v3, vcc
	s_waitcnt lgkmcnt(0)
	flat_store_dwordx2 v[2:3], v[8:9]
.LBB85_212:
	s_or_b64 exec, exec, s[0:1]
	v_or_b32_e32 v2, 0xd00, v0
	v_mov_b32_e32 v1, v33
	v_cmp_gt_u32_e64 s[0:1], s33, v2
	s_branch .LBB85_215
.LBB85_213:
	s_mov_b64 s[0:1], 0
                                        ; implicit-def: $vgpr4_vgpr5
	s_cbranch_execz .LBB85_215
; %bb.214:
	v_mov_b32_e32 v1, 0
	s_movk_i32 s4, 0xff98
	v_mad_i32_i24 v2, v0, s4, v30
	v_mov_b32_e32 v33, v1
	s_waitcnt lgkmcnt(0)
	s_barrier
	ds_write_b128 v30, v[48:51]
	ds_write_b128 v30, v[52:55] offset:16
	ds_write_b128 v30, v[56:59] offset:32
	;; [unrolled: 1-line block ×6, first 2 shown]
	s_waitcnt lgkmcnt(0)
	s_barrier
	ds_read2st64_b64 v[6:9], v2 offset1:4
	ds_read2st64_b64 v[10:13], v2 offset0:8 offset1:12
	ds_read2st64_b64 v[14:17], v2 offset0:16 offset1:20
	;; [unrolled: 1-line block ×6, first 2 shown]
	v_lshl_add_u64 v[30:31], s[2:3], 0, v[32:33]
	s_movk_i32 s4, 0x1000
	s_waitcnt lgkmcnt(0)
	flat_store_dwordx2 v[30:31], v[6:7]
	flat_store_dwordx2 v[30:31], v[8:9] offset:2048
	v_add_co_u32_e32 v6, vcc, s4, v30
	s_movk_i32 s4, 0x2000
	s_nop 0
	v_addc_co_u32_e32 v7, vcc, 0, v31, vcc
	flat_store_dwordx2 v[6:7], v[10:11]
	flat_store_dwordx2 v[6:7], v[12:13] offset:2048
	v_add_co_u32_e32 v6, vcc, s4, v30
	s_movk_i32 s4, 0x3000
	s_nop 0
	v_addc_co_u32_e32 v7, vcc, 0, v31, vcc
	;; [unrolled: 6-line block ×3, first 2 shown]
	flat_store_dwordx2 v[6:7], v[18:19]
	flat_store_dwordx2 v[6:7], v[20:21] offset:2048
	v_add_co_u32_e32 v6, vcc, s4, v30
	s_or_b64 s[0:1], s[0:1], exec
	s_nop 0
	v_addc_co_u32_e32 v7, vcc, 0, v31, vcc
	flat_store_dwordx2 v[6:7], v[22:23]
	flat_store_dwordx2 v[6:7], v[24:25] offset:2048
	v_add_co_u32_e32 v6, vcc, 0x5000, v30
	s_nop 1
	v_addc_co_u32_e32 v7, vcc, 0, v31, vcc
	flat_store_dwordx2 v[6:7], v[26:27]
	flat_store_dwordx2 v[6:7], v[28:29] offset:2048
	v_add_co_u32_e32 v6, vcc, 0x6000, v30
	s_nop 1
	v_addc_co_u32_e32 v7, vcc, 0, v31, vcc
	flat_store_dwordx2 v[6:7], v[2:3]
.LBB85_215:
	s_and_saveexec_b64 s[4:5], s[0:1]
	s_cbranch_execnz .LBB85_217
; %bb.216:
	s_endpgm
.LBB85_217:
	v_lshl_add_u64 v[0:1], v[0:1], 3, s[2:3]
	v_add_co_u32_e32 v0, vcc, 0x6000, v0
	s_nop 1
	v_addc_co_u32_e32 v1, vcc, 0, v1, vcc
	s_waitcnt lgkmcnt(0)
	flat_store_dwordx2 v[0:1], v[4:5] offset:2048
	s_endpgm
.LBB85_218:
	v_lshl_add_u64 v[30:31], s[34:35], 0, v[26:27]
	flat_load_dwordx2 v[30:31], v[30:31]
	s_or_b64 exec, exec, s[52:53]
                                        ; implicit-def: $vgpr32_vgpr33
	s_and_saveexec_b64 s[30:31], s[4:5]
	s_cbranch_execz .LBB85_37
.LBB85_219:
	v_mov_b32_e32 v27, 0
	v_lshl_add_u64 v[32:33], s[34:35], 0, v[26:27]
	flat_load_dwordx2 v[32:33], v[32:33] offset:2048
	s_or_b64 exec, exec, s[30:31]
                                        ; implicit-def: $vgpr34_vgpr35
	s_and_saveexec_b64 s[4:5], s[6:7]
	s_cbranch_execz .LBB85_38
.LBB85_220:
	v_mov_b32_e32 v3, 0
	v_lshl_add_u64 v[2:3], s[34:35], 0, v[2:3]
	flat_load_dwordx2 v[34:35], v[2:3]
	s_or_b64 exec, exec, s[4:5]
                                        ; implicit-def: $vgpr2_vgpr3
	s_and_saveexec_b64 s[4:5], s[8:9]
	s_cbranch_execz .LBB85_39
.LBB85_221:
	v_mov_b32_e32 v5, 0
	v_lshl_add_u64 v[2:3], s[34:35], 0, v[4:5]
	flat_load_dwordx2 v[2:3], v[2:3]
	s_or_b64 exec, exec, s[4:5]
                                        ; implicit-def: $vgpr4_vgpr5
	s_and_saveexec_b64 s[4:5], s[10:11]
	s_cbranch_execz .LBB85_40
.LBB85_222:
	v_mov_b32_e32 v7, 0
	v_lshl_add_u64 v[4:5], s[34:35], 0, v[6:7]
	flat_load_dwordx2 v[4:5], v[4:5]
	s_or_b64 exec, exec, s[4:5]
                                        ; implicit-def: $vgpr6_vgpr7
	s_and_saveexec_b64 s[4:5], s[12:13]
	s_cbranch_execz .LBB85_41
.LBB85_223:
	v_mov_b32_e32 v9, 0
	v_lshl_add_u64 v[6:7], s[34:35], 0, v[8:9]
	flat_load_dwordx2 v[6:7], v[6:7]
	s_or_b64 exec, exec, s[4:5]
                                        ; implicit-def: $vgpr8_vgpr9
	s_and_saveexec_b64 s[4:5], s[14:15]
	s_cbranch_execz .LBB85_42
.LBB85_224:
	v_mov_b32_e32 v11, 0
	v_lshl_add_u64 v[8:9], s[34:35], 0, v[10:11]
	flat_load_dwordx2 v[8:9], v[8:9]
	s_or_b64 exec, exec, s[4:5]
                                        ; implicit-def: $vgpr10_vgpr11
	s_and_saveexec_b64 s[4:5], s[16:17]
	s_cbranch_execz .LBB85_43
.LBB85_225:
	v_mov_b32_e32 v13, 0
	v_lshl_add_u64 v[10:11], s[34:35], 0, v[12:13]
	flat_load_dwordx2 v[10:11], v[10:11]
	s_or_b64 exec, exec, s[4:5]
                                        ; implicit-def: $vgpr12_vgpr13
	s_and_saveexec_b64 s[4:5], s[18:19]
	s_cbranch_execz .LBB85_44
.LBB85_226:
	v_mov_b32_e32 v15, 0
	v_lshl_add_u64 v[12:13], s[34:35], 0, v[14:15]
	flat_load_dwordx2 v[12:13], v[12:13]
	s_or_b64 exec, exec, s[4:5]
                                        ; implicit-def: $vgpr14_vgpr15
	s_and_saveexec_b64 s[4:5], s[20:21]
	s_cbranch_execz .LBB85_45
.LBB85_227:
	v_mov_b32_e32 v17, 0
	v_lshl_add_u64 v[14:15], s[34:35], 0, v[16:17]
	flat_load_dwordx2 v[14:15], v[14:15]
	s_or_b64 exec, exec, s[4:5]
                                        ; implicit-def: $vgpr16_vgpr17
	s_and_saveexec_b64 s[4:5], s[22:23]
	s_cbranch_execz .LBB85_46
.LBB85_228:
	v_mov_b32_e32 v19, 0
	v_lshl_add_u64 v[16:17], s[34:35], 0, v[18:19]
	flat_load_dwordx2 v[16:17], v[16:17]
	s_or_b64 exec, exec, s[4:5]
                                        ; implicit-def: $vgpr18_vgpr19
	s_and_saveexec_b64 s[4:5], s[24:25]
	s_cbranch_execz .LBB85_47
.LBB85_229:
	v_mov_b32_e32 v21, 0
	v_lshl_add_u64 v[18:19], s[34:35], 0, v[20:21]
	flat_load_dwordx2 v[18:19], v[18:19]
	s_or_b64 exec, exec, s[4:5]
                                        ; implicit-def: $vgpr20_vgpr21
	s_and_saveexec_b64 s[4:5], s[26:27]
	s_cbranch_execz .LBB85_48
.LBB85_230:
	v_mov_b32_e32 v23, 0
	v_lshl_add_u64 v[20:21], s[34:35], 0, v[22:23]
	flat_load_dwordx2 v[20:21], v[20:21]
	s_or_b64 exec, exec, s[4:5]
                                        ; implicit-def: $vgpr22_vgpr23
	s_and_saveexec_b64 s[4:5], s[28:29]
	s_cbranch_execnz .LBB85_49
	s_branch .LBB85_50
.LBB85_231:
                                        ; implicit-def: $sgpr52_sgpr53
	s_branch .LBB85_32
.LBB85_232:
                                        ; implicit-def: $sgpr4_sgpr5
	s_branch .LBB85_81
	.section	.rodata,"a",@progbits
	.p2align	6, 0x0
	.amdhsa_kernel _ZN7rocprim17ROCPRIM_400000_NS6detail17trampoline_kernelINS0_14default_configENS1_27scan_by_key_config_selectorIxxEEZZNS1_16scan_by_key_implILNS1_25lookback_scan_determinismE0ELb0ES3_N6thrust23THRUST_200600_302600_NS6detail15normal_iteratorINS9_10device_ptrIxEEEESE_SE_xNS9_4plusIvEENS9_8equal_toIxEExEE10hipError_tPvRmT2_T3_T4_T5_mT6_T7_P12ihipStream_tbENKUlT_T0_E_clISt17integral_constantIbLb0EESZ_EEDaSU_SV_EUlSU_E_NS1_11comp_targetILNS1_3genE5ELNS1_11target_archE942ELNS1_3gpuE9ELNS1_3repE0EEENS1_30default_config_static_selectorELNS0_4arch9wavefront6targetE1EEEvT1_
		.amdhsa_group_segment_fixed_size 32768
		.amdhsa_private_segment_fixed_size 0
		.amdhsa_kernarg_size 136
		.amdhsa_user_sgpr_count 2
		.amdhsa_user_sgpr_dispatch_ptr 0
		.amdhsa_user_sgpr_queue_ptr 0
		.amdhsa_user_sgpr_kernarg_segment_ptr 1
		.amdhsa_user_sgpr_dispatch_id 0
		.amdhsa_user_sgpr_kernarg_preload_length 0
		.amdhsa_user_sgpr_kernarg_preload_offset 0
		.amdhsa_user_sgpr_private_segment_size 0
		.amdhsa_uses_dynamic_stack 0
		.amdhsa_enable_private_segment 0
		.amdhsa_system_sgpr_workgroup_id_x 1
		.amdhsa_system_sgpr_workgroup_id_y 0
		.amdhsa_system_sgpr_workgroup_id_z 0
		.amdhsa_system_sgpr_workgroup_info 0
		.amdhsa_system_vgpr_workitem_id 0
		.amdhsa_next_free_vgpr 92
		.amdhsa_next_free_sgpr 66
		.amdhsa_accum_offset 92
		.amdhsa_reserve_vcc 1
		.amdhsa_float_round_mode_32 0
		.amdhsa_float_round_mode_16_64 0
		.amdhsa_float_denorm_mode_32 3
		.amdhsa_float_denorm_mode_16_64 3
		.amdhsa_dx10_clamp 1
		.amdhsa_ieee_mode 1
		.amdhsa_fp16_overflow 0
		.amdhsa_tg_split 0
		.amdhsa_exception_fp_ieee_invalid_op 0
		.amdhsa_exception_fp_denorm_src 0
		.amdhsa_exception_fp_ieee_div_zero 0
		.amdhsa_exception_fp_ieee_overflow 0
		.amdhsa_exception_fp_ieee_underflow 0
		.amdhsa_exception_fp_ieee_inexact 0
		.amdhsa_exception_int_div_zero 0
	.end_amdhsa_kernel
	.section	.text._ZN7rocprim17ROCPRIM_400000_NS6detail17trampoline_kernelINS0_14default_configENS1_27scan_by_key_config_selectorIxxEEZZNS1_16scan_by_key_implILNS1_25lookback_scan_determinismE0ELb0ES3_N6thrust23THRUST_200600_302600_NS6detail15normal_iteratorINS9_10device_ptrIxEEEESE_SE_xNS9_4plusIvEENS9_8equal_toIxEExEE10hipError_tPvRmT2_T3_T4_T5_mT6_T7_P12ihipStream_tbENKUlT_T0_E_clISt17integral_constantIbLb0EESZ_EEDaSU_SV_EUlSU_E_NS1_11comp_targetILNS1_3genE5ELNS1_11target_archE942ELNS1_3gpuE9ELNS1_3repE0EEENS1_30default_config_static_selectorELNS0_4arch9wavefront6targetE1EEEvT1_,"axG",@progbits,_ZN7rocprim17ROCPRIM_400000_NS6detail17trampoline_kernelINS0_14default_configENS1_27scan_by_key_config_selectorIxxEEZZNS1_16scan_by_key_implILNS1_25lookback_scan_determinismE0ELb0ES3_N6thrust23THRUST_200600_302600_NS6detail15normal_iteratorINS9_10device_ptrIxEEEESE_SE_xNS9_4plusIvEENS9_8equal_toIxEExEE10hipError_tPvRmT2_T3_T4_T5_mT6_T7_P12ihipStream_tbENKUlT_T0_E_clISt17integral_constantIbLb0EESZ_EEDaSU_SV_EUlSU_E_NS1_11comp_targetILNS1_3genE5ELNS1_11target_archE942ELNS1_3gpuE9ELNS1_3repE0EEENS1_30default_config_static_selectorELNS0_4arch9wavefront6targetE1EEEvT1_,comdat
.Lfunc_end85:
	.size	_ZN7rocprim17ROCPRIM_400000_NS6detail17trampoline_kernelINS0_14default_configENS1_27scan_by_key_config_selectorIxxEEZZNS1_16scan_by_key_implILNS1_25lookback_scan_determinismE0ELb0ES3_N6thrust23THRUST_200600_302600_NS6detail15normal_iteratorINS9_10device_ptrIxEEEESE_SE_xNS9_4plusIvEENS9_8equal_toIxEExEE10hipError_tPvRmT2_T3_T4_T5_mT6_T7_P12ihipStream_tbENKUlT_T0_E_clISt17integral_constantIbLb0EESZ_EEDaSU_SV_EUlSU_E_NS1_11comp_targetILNS1_3genE5ELNS1_11target_archE942ELNS1_3gpuE9ELNS1_3repE0EEENS1_30default_config_static_selectorELNS0_4arch9wavefront6targetE1EEEvT1_, .Lfunc_end85-_ZN7rocprim17ROCPRIM_400000_NS6detail17trampoline_kernelINS0_14default_configENS1_27scan_by_key_config_selectorIxxEEZZNS1_16scan_by_key_implILNS1_25lookback_scan_determinismE0ELb0ES3_N6thrust23THRUST_200600_302600_NS6detail15normal_iteratorINS9_10device_ptrIxEEEESE_SE_xNS9_4plusIvEENS9_8equal_toIxEExEE10hipError_tPvRmT2_T3_T4_T5_mT6_T7_P12ihipStream_tbENKUlT_T0_E_clISt17integral_constantIbLb0EESZ_EEDaSU_SV_EUlSU_E_NS1_11comp_targetILNS1_3genE5ELNS1_11target_archE942ELNS1_3gpuE9ELNS1_3repE0EEENS1_30default_config_static_selectorELNS0_4arch9wavefront6targetE1EEEvT1_
                                        ; -- End function
	.section	.AMDGPU.csdata,"",@progbits
; Kernel info:
; codeLenInByte = 12352
; NumSgprs: 72
; NumVgprs: 92
; NumAgprs: 0
; TotalNumVgprs: 92
; ScratchSize: 0
; MemoryBound: 0
; FloatMode: 240
; IeeeMode: 1
; LDSByteSize: 32768 bytes/workgroup (compile time only)
; SGPRBlocks: 8
; VGPRBlocks: 11
; NumSGPRsForWavesPerEU: 72
; NumVGPRsForWavesPerEU: 92
; AccumOffset: 92
; Occupancy: 2
; WaveLimiterHint : 1
; COMPUTE_PGM_RSRC2:SCRATCH_EN: 0
; COMPUTE_PGM_RSRC2:USER_SGPR: 2
; COMPUTE_PGM_RSRC2:TRAP_HANDLER: 0
; COMPUTE_PGM_RSRC2:TGID_X_EN: 1
; COMPUTE_PGM_RSRC2:TGID_Y_EN: 0
; COMPUTE_PGM_RSRC2:TGID_Z_EN: 0
; COMPUTE_PGM_RSRC2:TIDIG_COMP_CNT: 0
; COMPUTE_PGM_RSRC3_GFX90A:ACCUM_OFFSET: 22
; COMPUTE_PGM_RSRC3_GFX90A:TG_SPLIT: 0
	.section	.text._ZN7rocprim17ROCPRIM_400000_NS6detail17trampoline_kernelINS0_14default_configENS1_27scan_by_key_config_selectorIxxEEZZNS1_16scan_by_key_implILNS1_25lookback_scan_determinismE0ELb0ES3_N6thrust23THRUST_200600_302600_NS6detail15normal_iteratorINS9_10device_ptrIxEEEESE_SE_xNS9_4plusIvEENS9_8equal_toIxEExEE10hipError_tPvRmT2_T3_T4_T5_mT6_T7_P12ihipStream_tbENKUlT_T0_E_clISt17integral_constantIbLb0EESZ_EEDaSU_SV_EUlSU_E_NS1_11comp_targetILNS1_3genE4ELNS1_11target_archE910ELNS1_3gpuE8ELNS1_3repE0EEENS1_30default_config_static_selectorELNS0_4arch9wavefront6targetE1EEEvT1_,"axG",@progbits,_ZN7rocprim17ROCPRIM_400000_NS6detail17trampoline_kernelINS0_14default_configENS1_27scan_by_key_config_selectorIxxEEZZNS1_16scan_by_key_implILNS1_25lookback_scan_determinismE0ELb0ES3_N6thrust23THRUST_200600_302600_NS6detail15normal_iteratorINS9_10device_ptrIxEEEESE_SE_xNS9_4plusIvEENS9_8equal_toIxEExEE10hipError_tPvRmT2_T3_T4_T5_mT6_T7_P12ihipStream_tbENKUlT_T0_E_clISt17integral_constantIbLb0EESZ_EEDaSU_SV_EUlSU_E_NS1_11comp_targetILNS1_3genE4ELNS1_11target_archE910ELNS1_3gpuE8ELNS1_3repE0EEENS1_30default_config_static_selectorELNS0_4arch9wavefront6targetE1EEEvT1_,comdat
	.protected	_ZN7rocprim17ROCPRIM_400000_NS6detail17trampoline_kernelINS0_14default_configENS1_27scan_by_key_config_selectorIxxEEZZNS1_16scan_by_key_implILNS1_25lookback_scan_determinismE0ELb0ES3_N6thrust23THRUST_200600_302600_NS6detail15normal_iteratorINS9_10device_ptrIxEEEESE_SE_xNS9_4plusIvEENS9_8equal_toIxEExEE10hipError_tPvRmT2_T3_T4_T5_mT6_T7_P12ihipStream_tbENKUlT_T0_E_clISt17integral_constantIbLb0EESZ_EEDaSU_SV_EUlSU_E_NS1_11comp_targetILNS1_3genE4ELNS1_11target_archE910ELNS1_3gpuE8ELNS1_3repE0EEENS1_30default_config_static_selectorELNS0_4arch9wavefront6targetE1EEEvT1_ ; -- Begin function _ZN7rocprim17ROCPRIM_400000_NS6detail17trampoline_kernelINS0_14default_configENS1_27scan_by_key_config_selectorIxxEEZZNS1_16scan_by_key_implILNS1_25lookback_scan_determinismE0ELb0ES3_N6thrust23THRUST_200600_302600_NS6detail15normal_iteratorINS9_10device_ptrIxEEEESE_SE_xNS9_4plusIvEENS9_8equal_toIxEExEE10hipError_tPvRmT2_T3_T4_T5_mT6_T7_P12ihipStream_tbENKUlT_T0_E_clISt17integral_constantIbLb0EESZ_EEDaSU_SV_EUlSU_E_NS1_11comp_targetILNS1_3genE4ELNS1_11target_archE910ELNS1_3gpuE8ELNS1_3repE0EEENS1_30default_config_static_selectorELNS0_4arch9wavefront6targetE1EEEvT1_
	.globl	_ZN7rocprim17ROCPRIM_400000_NS6detail17trampoline_kernelINS0_14default_configENS1_27scan_by_key_config_selectorIxxEEZZNS1_16scan_by_key_implILNS1_25lookback_scan_determinismE0ELb0ES3_N6thrust23THRUST_200600_302600_NS6detail15normal_iteratorINS9_10device_ptrIxEEEESE_SE_xNS9_4plusIvEENS9_8equal_toIxEExEE10hipError_tPvRmT2_T3_T4_T5_mT6_T7_P12ihipStream_tbENKUlT_T0_E_clISt17integral_constantIbLb0EESZ_EEDaSU_SV_EUlSU_E_NS1_11comp_targetILNS1_3genE4ELNS1_11target_archE910ELNS1_3gpuE8ELNS1_3repE0EEENS1_30default_config_static_selectorELNS0_4arch9wavefront6targetE1EEEvT1_
	.p2align	8
	.type	_ZN7rocprim17ROCPRIM_400000_NS6detail17trampoline_kernelINS0_14default_configENS1_27scan_by_key_config_selectorIxxEEZZNS1_16scan_by_key_implILNS1_25lookback_scan_determinismE0ELb0ES3_N6thrust23THRUST_200600_302600_NS6detail15normal_iteratorINS9_10device_ptrIxEEEESE_SE_xNS9_4plusIvEENS9_8equal_toIxEExEE10hipError_tPvRmT2_T3_T4_T5_mT6_T7_P12ihipStream_tbENKUlT_T0_E_clISt17integral_constantIbLb0EESZ_EEDaSU_SV_EUlSU_E_NS1_11comp_targetILNS1_3genE4ELNS1_11target_archE910ELNS1_3gpuE8ELNS1_3repE0EEENS1_30default_config_static_selectorELNS0_4arch9wavefront6targetE1EEEvT1_,@function
_ZN7rocprim17ROCPRIM_400000_NS6detail17trampoline_kernelINS0_14default_configENS1_27scan_by_key_config_selectorIxxEEZZNS1_16scan_by_key_implILNS1_25lookback_scan_determinismE0ELb0ES3_N6thrust23THRUST_200600_302600_NS6detail15normal_iteratorINS9_10device_ptrIxEEEESE_SE_xNS9_4plusIvEENS9_8equal_toIxEExEE10hipError_tPvRmT2_T3_T4_T5_mT6_T7_P12ihipStream_tbENKUlT_T0_E_clISt17integral_constantIbLb0EESZ_EEDaSU_SV_EUlSU_E_NS1_11comp_targetILNS1_3genE4ELNS1_11target_archE910ELNS1_3gpuE8ELNS1_3repE0EEENS1_30default_config_static_selectorELNS0_4arch9wavefront6targetE1EEEvT1_: ; @_ZN7rocprim17ROCPRIM_400000_NS6detail17trampoline_kernelINS0_14default_configENS1_27scan_by_key_config_selectorIxxEEZZNS1_16scan_by_key_implILNS1_25lookback_scan_determinismE0ELb0ES3_N6thrust23THRUST_200600_302600_NS6detail15normal_iteratorINS9_10device_ptrIxEEEESE_SE_xNS9_4plusIvEENS9_8equal_toIxEExEE10hipError_tPvRmT2_T3_T4_T5_mT6_T7_P12ihipStream_tbENKUlT_T0_E_clISt17integral_constantIbLb0EESZ_EEDaSU_SV_EUlSU_E_NS1_11comp_targetILNS1_3genE4ELNS1_11target_archE910ELNS1_3gpuE8ELNS1_3repE0EEENS1_30default_config_static_selectorELNS0_4arch9wavefront6targetE1EEEvT1_
; %bb.0:
	.section	.rodata,"a",@progbits
	.p2align	6, 0x0
	.amdhsa_kernel _ZN7rocprim17ROCPRIM_400000_NS6detail17trampoline_kernelINS0_14default_configENS1_27scan_by_key_config_selectorIxxEEZZNS1_16scan_by_key_implILNS1_25lookback_scan_determinismE0ELb0ES3_N6thrust23THRUST_200600_302600_NS6detail15normal_iteratorINS9_10device_ptrIxEEEESE_SE_xNS9_4plusIvEENS9_8equal_toIxEExEE10hipError_tPvRmT2_T3_T4_T5_mT6_T7_P12ihipStream_tbENKUlT_T0_E_clISt17integral_constantIbLb0EESZ_EEDaSU_SV_EUlSU_E_NS1_11comp_targetILNS1_3genE4ELNS1_11target_archE910ELNS1_3gpuE8ELNS1_3repE0EEENS1_30default_config_static_selectorELNS0_4arch9wavefront6targetE1EEEvT1_
		.amdhsa_group_segment_fixed_size 0
		.amdhsa_private_segment_fixed_size 0
		.amdhsa_kernarg_size 136
		.amdhsa_user_sgpr_count 2
		.amdhsa_user_sgpr_dispatch_ptr 0
		.amdhsa_user_sgpr_queue_ptr 0
		.amdhsa_user_sgpr_kernarg_segment_ptr 1
		.amdhsa_user_sgpr_dispatch_id 0
		.amdhsa_user_sgpr_kernarg_preload_length 0
		.amdhsa_user_sgpr_kernarg_preload_offset 0
		.amdhsa_user_sgpr_private_segment_size 0
		.amdhsa_uses_dynamic_stack 0
		.amdhsa_enable_private_segment 0
		.amdhsa_system_sgpr_workgroup_id_x 1
		.amdhsa_system_sgpr_workgroup_id_y 0
		.amdhsa_system_sgpr_workgroup_id_z 0
		.amdhsa_system_sgpr_workgroup_info 0
		.amdhsa_system_vgpr_workitem_id 0
		.amdhsa_next_free_vgpr 1
		.amdhsa_next_free_sgpr 0
		.amdhsa_accum_offset 4
		.amdhsa_reserve_vcc 0
		.amdhsa_float_round_mode_32 0
		.amdhsa_float_round_mode_16_64 0
		.amdhsa_float_denorm_mode_32 3
		.amdhsa_float_denorm_mode_16_64 3
		.amdhsa_dx10_clamp 1
		.amdhsa_ieee_mode 1
		.amdhsa_fp16_overflow 0
		.amdhsa_tg_split 0
		.amdhsa_exception_fp_ieee_invalid_op 0
		.amdhsa_exception_fp_denorm_src 0
		.amdhsa_exception_fp_ieee_div_zero 0
		.amdhsa_exception_fp_ieee_overflow 0
		.amdhsa_exception_fp_ieee_underflow 0
		.amdhsa_exception_fp_ieee_inexact 0
		.amdhsa_exception_int_div_zero 0
	.end_amdhsa_kernel
	.section	.text._ZN7rocprim17ROCPRIM_400000_NS6detail17trampoline_kernelINS0_14default_configENS1_27scan_by_key_config_selectorIxxEEZZNS1_16scan_by_key_implILNS1_25lookback_scan_determinismE0ELb0ES3_N6thrust23THRUST_200600_302600_NS6detail15normal_iteratorINS9_10device_ptrIxEEEESE_SE_xNS9_4plusIvEENS9_8equal_toIxEExEE10hipError_tPvRmT2_T3_T4_T5_mT6_T7_P12ihipStream_tbENKUlT_T0_E_clISt17integral_constantIbLb0EESZ_EEDaSU_SV_EUlSU_E_NS1_11comp_targetILNS1_3genE4ELNS1_11target_archE910ELNS1_3gpuE8ELNS1_3repE0EEENS1_30default_config_static_selectorELNS0_4arch9wavefront6targetE1EEEvT1_,"axG",@progbits,_ZN7rocprim17ROCPRIM_400000_NS6detail17trampoline_kernelINS0_14default_configENS1_27scan_by_key_config_selectorIxxEEZZNS1_16scan_by_key_implILNS1_25lookback_scan_determinismE0ELb0ES3_N6thrust23THRUST_200600_302600_NS6detail15normal_iteratorINS9_10device_ptrIxEEEESE_SE_xNS9_4plusIvEENS9_8equal_toIxEExEE10hipError_tPvRmT2_T3_T4_T5_mT6_T7_P12ihipStream_tbENKUlT_T0_E_clISt17integral_constantIbLb0EESZ_EEDaSU_SV_EUlSU_E_NS1_11comp_targetILNS1_3genE4ELNS1_11target_archE910ELNS1_3gpuE8ELNS1_3repE0EEENS1_30default_config_static_selectorELNS0_4arch9wavefront6targetE1EEEvT1_,comdat
.Lfunc_end86:
	.size	_ZN7rocprim17ROCPRIM_400000_NS6detail17trampoline_kernelINS0_14default_configENS1_27scan_by_key_config_selectorIxxEEZZNS1_16scan_by_key_implILNS1_25lookback_scan_determinismE0ELb0ES3_N6thrust23THRUST_200600_302600_NS6detail15normal_iteratorINS9_10device_ptrIxEEEESE_SE_xNS9_4plusIvEENS9_8equal_toIxEExEE10hipError_tPvRmT2_T3_T4_T5_mT6_T7_P12ihipStream_tbENKUlT_T0_E_clISt17integral_constantIbLb0EESZ_EEDaSU_SV_EUlSU_E_NS1_11comp_targetILNS1_3genE4ELNS1_11target_archE910ELNS1_3gpuE8ELNS1_3repE0EEENS1_30default_config_static_selectorELNS0_4arch9wavefront6targetE1EEEvT1_, .Lfunc_end86-_ZN7rocprim17ROCPRIM_400000_NS6detail17trampoline_kernelINS0_14default_configENS1_27scan_by_key_config_selectorIxxEEZZNS1_16scan_by_key_implILNS1_25lookback_scan_determinismE0ELb0ES3_N6thrust23THRUST_200600_302600_NS6detail15normal_iteratorINS9_10device_ptrIxEEEESE_SE_xNS9_4plusIvEENS9_8equal_toIxEExEE10hipError_tPvRmT2_T3_T4_T5_mT6_T7_P12ihipStream_tbENKUlT_T0_E_clISt17integral_constantIbLb0EESZ_EEDaSU_SV_EUlSU_E_NS1_11comp_targetILNS1_3genE4ELNS1_11target_archE910ELNS1_3gpuE8ELNS1_3repE0EEENS1_30default_config_static_selectorELNS0_4arch9wavefront6targetE1EEEvT1_
                                        ; -- End function
	.section	.AMDGPU.csdata,"",@progbits
; Kernel info:
; codeLenInByte = 0
; NumSgprs: 6
; NumVgprs: 0
; NumAgprs: 0
; TotalNumVgprs: 0
; ScratchSize: 0
; MemoryBound: 0
; FloatMode: 240
; IeeeMode: 1
; LDSByteSize: 0 bytes/workgroup (compile time only)
; SGPRBlocks: 0
; VGPRBlocks: 0
; NumSGPRsForWavesPerEU: 6
; NumVGPRsForWavesPerEU: 1
; AccumOffset: 4
; Occupancy: 8
; WaveLimiterHint : 0
; COMPUTE_PGM_RSRC2:SCRATCH_EN: 0
; COMPUTE_PGM_RSRC2:USER_SGPR: 2
; COMPUTE_PGM_RSRC2:TRAP_HANDLER: 0
; COMPUTE_PGM_RSRC2:TGID_X_EN: 1
; COMPUTE_PGM_RSRC2:TGID_Y_EN: 0
; COMPUTE_PGM_RSRC2:TGID_Z_EN: 0
; COMPUTE_PGM_RSRC2:TIDIG_COMP_CNT: 0
; COMPUTE_PGM_RSRC3_GFX90A:ACCUM_OFFSET: 0
; COMPUTE_PGM_RSRC3_GFX90A:TG_SPLIT: 0
	.section	.text._ZN7rocprim17ROCPRIM_400000_NS6detail17trampoline_kernelINS0_14default_configENS1_27scan_by_key_config_selectorIxxEEZZNS1_16scan_by_key_implILNS1_25lookback_scan_determinismE0ELb0ES3_N6thrust23THRUST_200600_302600_NS6detail15normal_iteratorINS9_10device_ptrIxEEEESE_SE_xNS9_4plusIvEENS9_8equal_toIxEExEE10hipError_tPvRmT2_T3_T4_T5_mT6_T7_P12ihipStream_tbENKUlT_T0_E_clISt17integral_constantIbLb0EESZ_EEDaSU_SV_EUlSU_E_NS1_11comp_targetILNS1_3genE3ELNS1_11target_archE908ELNS1_3gpuE7ELNS1_3repE0EEENS1_30default_config_static_selectorELNS0_4arch9wavefront6targetE1EEEvT1_,"axG",@progbits,_ZN7rocprim17ROCPRIM_400000_NS6detail17trampoline_kernelINS0_14default_configENS1_27scan_by_key_config_selectorIxxEEZZNS1_16scan_by_key_implILNS1_25lookback_scan_determinismE0ELb0ES3_N6thrust23THRUST_200600_302600_NS6detail15normal_iteratorINS9_10device_ptrIxEEEESE_SE_xNS9_4plusIvEENS9_8equal_toIxEExEE10hipError_tPvRmT2_T3_T4_T5_mT6_T7_P12ihipStream_tbENKUlT_T0_E_clISt17integral_constantIbLb0EESZ_EEDaSU_SV_EUlSU_E_NS1_11comp_targetILNS1_3genE3ELNS1_11target_archE908ELNS1_3gpuE7ELNS1_3repE0EEENS1_30default_config_static_selectorELNS0_4arch9wavefront6targetE1EEEvT1_,comdat
	.protected	_ZN7rocprim17ROCPRIM_400000_NS6detail17trampoline_kernelINS0_14default_configENS1_27scan_by_key_config_selectorIxxEEZZNS1_16scan_by_key_implILNS1_25lookback_scan_determinismE0ELb0ES3_N6thrust23THRUST_200600_302600_NS6detail15normal_iteratorINS9_10device_ptrIxEEEESE_SE_xNS9_4plusIvEENS9_8equal_toIxEExEE10hipError_tPvRmT2_T3_T4_T5_mT6_T7_P12ihipStream_tbENKUlT_T0_E_clISt17integral_constantIbLb0EESZ_EEDaSU_SV_EUlSU_E_NS1_11comp_targetILNS1_3genE3ELNS1_11target_archE908ELNS1_3gpuE7ELNS1_3repE0EEENS1_30default_config_static_selectorELNS0_4arch9wavefront6targetE1EEEvT1_ ; -- Begin function _ZN7rocprim17ROCPRIM_400000_NS6detail17trampoline_kernelINS0_14default_configENS1_27scan_by_key_config_selectorIxxEEZZNS1_16scan_by_key_implILNS1_25lookback_scan_determinismE0ELb0ES3_N6thrust23THRUST_200600_302600_NS6detail15normal_iteratorINS9_10device_ptrIxEEEESE_SE_xNS9_4plusIvEENS9_8equal_toIxEExEE10hipError_tPvRmT2_T3_T4_T5_mT6_T7_P12ihipStream_tbENKUlT_T0_E_clISt17integral_constantIbLb0EESZ_EEDaSU_SV_EUlSU_E_NS1_11comp_targetILNS1_3genE3ELNS1_11target_archE908ELNS1_3gpuE7ELNS1_3repE0EEENS1_30default_config_static_selectorELNS0_4arch9wavefront6targetE1EEEvT1_
	.globl	_ZN7rocprim17ROCPRIM_400000_NS6detail17trampoline_kernelINS0_14default_configENS1_27scan_by_key_config_selectorIxxEEZZNS1_16scan_by_key_implILNS1_25lookback_scan_determinismE0ELb0ES3_N6thrust23THRUST_200600_302600_NS6detail15normal_iteratorINS9_10device_ptrIxEEEESE_SE_xNS9_4plusIvEENS9_8equal_toIxEExEE10hipError_tPvRmT2_T3_T4_T5_mT6_T7_P12ihipStream_tbENKUlT_T0_E_clISt17integral_constantIbLb0EESZ_EEDaSU_SV_EUlSU_E_NS1_11comp_targetILNS1_3genE3ELNS1_11target_archE908ELNS1_3gpuE7ELNS1_3repE0EEENS1_30default_config_static_selectorELNS0_4arch9wavefront6targetE1EEEvT1_
	.p2align	8
	.type	_ZN7rocprim17ROCPRIM_400000_NS6detail17trampoline_kernelINS0_14default_configENS1_27scan_by_key_config_selectorIxxEEZZNS1_16scan_by_key_implILNS1_25lookback_scan_determinismE0ELb0ES3_N6thrust23THRUST_200600_302600_NS6detail15normal_iteratorINS9_10device_ptrIxEEEESE_SE_xNS9_4plusIvEENS9_8equal_toIxEExEE10hipError_tPvRmT2_T3_T4_T5_mT6_T7_P12ihipStream_tbENKUlT_T0_E_clISt17integral_constantIbLb0EESZ_EEDaSU_SV_EUlSU_E_NS1_11comp_targetILNS1_3genE3ELNS1_11target_archE908ELNS1_3gpuE7ELNS1_3repE0EEENS1_30default_config_static_selectorELNS0_4arch9wavefront6targetE1EEEvT1_,@function
_ZN7rocprim17ROCPRIM_400000_NS6detail17trampoline_kernelINS0_14default_configENS1_27scan_by_key_config_selectorIxxEEZZNS1_16scan_by_key_implILNS1_25lookback_scan_determinismE0ELb0ES3_N6thrust23THRUST_200600_302600_NS6detail15normal_iteratorINS9_10device_ptrIxEEEESE_SE_xNS9_4plusIvEENS9_8equal_toIxEExEE10hipError_tPvRmT2_T3_T4_T5_mT6_T7_P12ihipStream_tbENKUlT_T0_E_clISt17integral_constantIbLb0EESZ_EEDaSU_SV_EUlSU_E_NS1_11comp_targetILNS1_3genE3ELNS1_11target_archE908ELNS1_3gpuE7ELNS1_3repE0EEENS1_30default_config_static_selectorELNS0_4arch9wavefront6targetE1EEEvT1_: ; @_ZN7rocprim17ROCPRIM_400000_NS6detail17trampoline_kernelINS0_14default_configENS1_27scan_by_key_config_selectorIxxEEZZNS1_16scan_by_key_implILNS1_25lookback_scan_determinismE0ELb0ES3_N6thrust23THRUST_200600_302600_NS6detail15normal_iteratorINS9_10device_ptrIxEEEESE_SE_xNS9_4plusIvEENS9_8equal_toIxEExEE10hipError_tPvRmT2_T3_T4_T5_mT6_T7_P12ihipStream_tbENKUlT_T0_E_clISt17integral_constantIbLb0EESZ_EEDaSU_SV_EUlSU_E_NS1_11comp_targetILNS1_3genE3ELNS1_11target_archE908ELNS1_3gpuE7ELNS1_3repE0EEENS1_30default_config_static_selectorELNS0_4arch9wavefront6targetE1EEEvT1_
; %bb.0:
	.section	.rodata,"a",@progbits
	.p2align	6, 0x0
	.amdhsa_kernel _ZN7rocprim17ROCPRIM_400000_NS6detail17trampoline_kernelINS0_14default_configENS1_27scan_by_key_config_selectorIxxEEZZNS1_16scan_by_key_implILNS1_25lookback_scan_determinismE0ELb0ES3_N6thrust23THRUST_200600_302600_NS6detail15normal_iteratorINS9_10device_ptrIxEEEESE_SE_xNS9_4plusIvEENS9_8equal_toIxEExEE10hipError_tPvRmT2_T3_T4_T5_mT6_T7_P12ihipStream_tbENKUlT_T0_E_clISt17integral_constantIbLb0EESZ_EEDaSU_SV_EUlSU_E_NS1_11comp_targetILNS1_3genE3ELNS1_11target_archE908ELNS1_3gpuE7ELNS1_3repE0EEENS1_30default_config_static_selectorELNS0_4arch9wavefront6targetE1EEEvT1_
		.amdhsa_group_segment_fixed_size 0
		.amdhsa_private_segment_fixed_size 0
		.amdhsa_kernarg_size 136
		.amdhsa_user_sgpr_count 2
		.amdhsa_user_sgpr_dispatch_ptr 0
		.amdhsa_user_sgpr_queue_ptr 0
		.amdhsa_user_sgpr_kernarg_segment_ptr 1
		.amdhsa_user_sgpr_dispatch_id 0
		.amdhsa_user_sgpr_kernarg_preload_length 0
		.amdhsa_user_sgpr_kernarg_preload_offset 0
		.amdhsa_user_sgpr_private_segment_size 0
		.amdhsa_uses_dynamic_stack 0
		.amdhsa_enable_private_segment 0
		.amdhsa_system_sgpr_workgroup_id_x 1
		.amdhsa_system_sgpr_workgroup_id_y 0
		.amdhsa_system_sgpr_workgroup_id_z 0
		.amdhsa_system_sgpr_workgroup_info 0
		.amdhsa_system_vgpr_workitem_id 0
		.amdhsa_next_free_vgpr 1
		.amdhsa_next_free_sgpr 0
		.amdhsa_accum_offset 4
		.amdhsa_reserve_vcc 0
		.amdhsa_float_round_mode_32 0
		.amdhsa_float_round_mode_16_64 0
		.amdhsa_float_denorm_mode_32 3
		.amdhsa_float_denorm_mode_16_64 3
		.amdhsa_dx10_clamp 1
		.amdhsa_ieee_mode 1
		.amdhsa_fp16_overflow 0
		.amdhsa_tg_split 0
		.amdhsa_exception_fp_ieee_invalid_op 0
		.amdhsa_exception_fp_denorm_src 0
		.amdhsa_exception_fp_ieee_div_zero 0
		.amdhsa_exception_fp_ieee_overflow 0
		.amdhsa_exception_fp_ieee_underflow 0
		.amdhsa_exception_fp_ieee_inexact 0
		.amdhsa_exception_int_div_zero 0
	.end_amdhsa_kernel
	.section	.text._ZN7rocprim17ROCPRIM_400000_NS6detail17trampoline_kernelINS0_14default_configENS1_27scan_by_key_config_selectorIxxEEZZNS1_16scan_by_key_implILNS1_25lookback_scan_determinismE0ELb0ES3_N6thrust23THRUST_200600_302600_NS6detail15normal_iteratorINS9_10device_ptrIxEEEESE_SE_xNS9_4plusIvEENS9_8equal_toIxEExEE10hipError_tPvRmT2_T3_T4_T5_mT6_T7_P12ihipStream_tbENKUlT_T0_E_clISt17integral_constantIbLb0EESZ_EEDaSU_SV_EUlSU_E_NS1_11comp_targetILNS1_3genE3ELNS1_11target_archE908ELNS1_3gpuE7ELNS1_3repE0EEENS1_30default_config_static_selectorELNS0_4arch9wavefront6targetE1EEEvT1_,"axG",@progbits,_ZN7rocprim17ROCPRIM_400000_NS6detail17trampoline_kernelINS0_14default_configENS1_27scan_by_key_config_selectorIxxEEZZNS1_16scan_by_key_implILNS1_25lookback_scan_determinismE0ELb0ES3_N6thrust23THRUST_200600_302600_NS6detail15normal_iteratorINS9_10device_ptrIxEEEESE_SE_xNS9_4plusIvEENS9_8equal_toIxEExEE10hipError_tPvRmT2_T3_T4_T5_mT6_T7_P12ihipStream_tbENKUlT_T0_E_clISt17integral_constantIbLb0EESZ_EEDaSU_SV_EUlSU_E_NS1_11comp_targetILNS1_3genE3ELNS1_11target_archE908ELNS1_3gpuE7ELNS1_3repE0EEENS1_30default_config_static_selectorELNS0_4arch9wavefront6targetE1EEEvT1_,comdat
.Lfunc_end87:
	.size	_ZN7rocprim17ROCPRIM_400000_NS6detail17trampoline_kernelINS0_14default_configENS1_27scan_by_key_config_selectorIxxEEZZNS1_16scan_by_key_implILNS1_25lookback_scan_determinismE0ELb0ES3_N6thrust23THRUST_200600_302600_NS6detail15normal_iteratorINS9_10device_ptrIxEEEESE_SE_xNS9_4plusIvEENS9_8equal_toIxEExEE10hipError_tPvRmT2_T3_T4_T5_mT6_T7_P12ihipStream_tbENKUlT_T0_E_clISt17integral_constantIbLb0EESZ_EEDaSU_SV_EUlSU_E_NS1_11comp_targetILNS1_3genE3ELNS1_11target_archE908ELNS1_3gpuE7ELNS1_3repE0EEENS1_30default_config_static_selectorELNS0_4arch9wavefront6targetE1EEEvT1_, .Lfunc_end87-_ZN7rocprim17ROCPRIM_400000_NS6detail17trampoline_kernelINS0_14default_configENS1_27scan_by_key_config_selectorIxxEEZZNS1_16scan_by_key_implILNS1_25lookback_scan_determinismE0ELb0ES3_N6thrust23THRUST_200600_302600_NS6detail15normal_iteratorINS9_10device_ptrIxEEEESE_SE_xNS9_4plusIvEENS9_8equal_toIxEExEE10hipError_tPvRmT2_T3_T4_T5_mT6_T7_P12ihipStream_tbENKUlT_T0_E_clISt17integral_constantIbLb0EESZ_EEDaSU_SV_EUlSU_E_NS1_11comp_targetILNS1_3genE3ELNS1_11target_archE908ELNS1_3gpuE7ELNS1_3repE0EEENS1_30default_config_static_selectorELNS0_4arch9wavefront6targetE1EEEvT1_
                                        ; -- End function
	.section	.AMDGPU.csdata,"",@progbits
; Kernel info:
; codeLenInByte = 0
; NumSgprs: 6
; NumVgprs: 0
; NumAgprs: 0
; TotalNumVgprs: 0
; ScratchSize: 0
; MemoryBound: 0
; FloatMode: 240
; IeeeMode: 1
; LDSByteSize: 0 bytes/workgroup (compile time only)
; SGPRBlocks: 0
; VGPRBlocks: 0
; NumSGPRsForWavesPerEU: 6
; NumVGPRsForWavesPerEU: 1
; AccumOffset: 4
; Occupancy: 8
; WaveLimiterHint : 0
; COMPUTE_PGM_RSRC2:SCRATCH_EN: 0
; COMPUTE_PGM_RSRC2:USER_SGPR: 2
; COMPUTE_PGM_RSRC2:TRAP_HANDLER: 0
; COMPUTE_PGM_RSRC2:TGID_X_EN: 1
; COMPUTE_PGM_RSRC2:TGID_Y_EN: 0
; COMPUTE_PGM_RSRC2:TGID_Z_EN: 0
; COMPUTE_PGM_RSRC2:TIDIG_COMP_CNT: 0
; COMPUTE_PGM_RSRC3_GFX90A:ACCUM_OFFSET: 0
; COMPUTE_PGM_RSRC3_GFX90A:TG_SPLIT: 0
	.section	.text._ZN7rocprim17ROCPRIM_400000_NS6detail17trampoline_kernelINS0_14default_configENS1_27scan_by_key_config_selectorIxxEEZZNS1_16scan_by_key_implILNS1_25lookback_scan_determinismE0ELb0ES3_N6thrust23THRUST_200600_302600_NS6detail15normal_iteratorINS9_10device_ptrIxEEEESE_SE_xNS9_4plusIvEENS9_8equal_toIxEExEE10hipError_tPvRmT2_T3_T4_T5_mT6_T7_P12ihipStream_tbENKUlT_T0_E_clISt17integral_constantIbLb0EESZ_EEDaSU_SV_EUlSU_E_NS1_11comp_targetILNS1_3genE2ELNS1_11target_archE906ELNS1_3gpuE6ELNS1_3repE0EEENS1_30default_config_static_selectorELNS0_4arch9wavefront6targetE1EEEvT1_,"axG",@progbits,_ZN7rocprim17ROCPRIM_400000_NS6detail17trampoline_kernelINS0_14default_configENS1_27scan_by_key_config_selectorIxxEEZZNS1_16scan_by_key_implILNS1_25lookback_scan_determinismE0ELb0ES3_N6thrust23THRUST_200600_302600_NS6detail15normal_iteratorINS9_10device_ptrIxEEEESE_SE_xNS9_4plusIvEENS9_8equal_toIxEExEE10hipError_tPvRmT2_T3_T4_T5_mT6_T7_P12ihipStream_tbENKUlT_T0_E_clISt17integral_constantIbLb0EESZ_EEDaSU_SV_EUlSU_E_NS1_11comp_targetILNS1_3genE2ELNS1_11target_archE906ELNS1_3gpuE6ELNS1_3repE0EEENS1_30default_config_static_selectorELNS0_4arch9wavefront6targetE1EEEvT1_,comdat
	.protected	_ZN7rocprim17ROCPRIM_400000_NS6detail17trampoline_kernelINS0_14default_configENS1_27scan_by_key_config_selectorIxxEEZZNS1_16scan_by_key_implILNS1_25lookback_scan_determinismE0ELb0ES3_N6thrust23THRUST_200600_302600_NS6detail15normal_iteratorINS9_10device_ptrIxEEEESE_SE_xNS9_4plusIvEENS9_8equal_toIxEExEE10hipError_tPvRmT2_T3_T4_T5_mT6_T7_P12ihipStream_tbENKUlT_T0_E_clISt17integral_constantIbLb0EESZ_EEDaSU_SV_EUlSU_E_NS1_11comp_targetILNS1_3genE2ELNS1_11target_archE906ELNS1_3gpuE6ELNS1_3repE0EEENS1_30default_config_static_selectorELNS0_4arch9wavefront6targetE1EEEvT1_ ; -- Begin function _ZN7rocprim17ROCPRIM_400000_NS6detail17trampoline_kernelINS0_14default_configENS1_27scan_by_key_config_selectorIxxEEZZNS1_16scan_by_key_implILNS1_25lookback_scan_determinismE0ELb0ES3_N6thrust23THRUST_200600_302600_NS6detail15normal_iteratorINS9_10device_ptrIxEEEESE_SE_xNS9_4plusIvEENS9_8equal_toIxEExEE10hipError_tPvRmT2_T3_T4_T5_mT6_T7_P12ihipStream_tbENKUlT_T0_E_clISt17integral_constantIbLb0EESZ_EEDaSU_SV_EUlSU_E_NS1_11comp_targetILNS1_3genE2ELNS1_11target_archE906ELNS1_3gpuE6ELNS1_3repE0EEENS1_30default_config_static_selectorELNS0_4arch9wavefront6targetE1EEEvT1_
	.globl	_ZN7rocprim17ROCPRIM_400000_NS6detail17trampoline_kernelINS0_14default_configENS1_27scan_by_key_config_selectorIxxEEZZNS1_16scan_by_key_implILNS1_25lookback_scan_determinismE0ELb0ES3_N6thrust23THRUST_200600_302600_NS6detail15normal_iteratorINS9_10device_ptrIxEEEESE_SE_xNS9_4plusIvEENS9_8equal_toIxEExEE10hipError_tPvRmT2_T3_T4_T5_mT6_T7_P12ihipStream_tbENKUlT_T0_E_clISt17integral_constantIbLb0EESZ_EEDaSU_SV_EUlSU_E_NS1_11comp_targetILNS1_3genE2ELNS1_11target_archE906ELNS1_3gpuE6ELNS1_3repE0EEENS1_30default_config_static_selectorELNS0_4arch9wavefront6targetE1EEEvT1_
	.p2align	8
	.type	_ZN7rocprim17ROCPRIM_400000_NS6detail17trampoline_kernelINS0_14default_configENS1_27scan_by_key_config_selectorIxxEEZZNS1_16scan_by_key_implILNS1_25lookback_scan_determinismE0ELb0ES3_N6thrust23THRUST_200600_302600_NS6detail15normal_iteratorINS9_10device_ptrIxEEEESE_SE_xNS9_4plusIvEENS9_8equal_toIxEExEE10hipError_tPvRmT2_T3_T4_T5_mT6_T7_P12ihipStream_tbENKUlT_T0_E_clISt17integral_constantIbLb0EESZ_EEDaSU_SV_EUlSU_E_NS1_11comp_targetILNS1_3genE2ELNS1_11target_archE906ELNS1_3gpuE6ELNS1_3repE0EEENS1_30default_config_static_selectorELNS0_4arch9wavefront6targetE1EEEvT1_,@function
_ZN7rocprim17ROCPRIM_400000_NS6detail17trampoline_kernelINS0_14default_configENS1_27scan_by_key_config_selectorIxxEEZZNS1_16scan_by_key_implILNS1_25lookback_scan_determinismE0ELb0ES3_N6thrust23THRUST_200600_302600_NS6detail15normal_iteratorINS9_10device_ptrIxEEEESE_SE_xNS9_4plusIvEENS9_8equal_toIxEExEE10hipError_tPvRmT2_T3_T4_T5_mT6_T7_P12ihipStream_tbENKUlT_T0_E_clISt17integral_constantIbLb0EESZ_EEDaSU_SV_EUlSU_E_NS1_11comp_targetILNS1_3genE2ELNS1_11target_archE906ELNS1_3gpuE6ELNS1_3repE0EEENS1_30default_config_static_selectorELNS0_4arch9wavefront6targetE1EEEvT1_: ; @_ZN7rocprim17ROCPRIM_400000_NS6detail17trampoline_kernelINS0_14default_configENS1_27scan_by_key_config_selectorIxxEEZZNS1_16scan_by_key_implILNS1_25lookback_scan_determinismE0ELb0ES3_N6thrust23THRUST_200600_302600_NS6detail15normal_iteratorINS9_10device_ptrIxEEEESE_SE_xNS9_4plusIvEENS9_8equal_toIxEExEE10hipError_tPvRmT2_T3_T4_T5_mT6_T7_P12ihipStream_tbENKUlT_T0_E_clISt17integral_constantIbLb0EESZ_EEDaSU_SV_EUlSU_E_NS1_11comp_targetILNS1_3genE2ELNS1_11target_archE906ELNS1_3gpuE6ELNS1_3repE0EEENS1_30default_config_static_selectorELNS0_4arch9wavefront6targetE1EEEvT1_
; %bb.0:
	.section	.rodata,"a",@progbits
	.p2align	6, 0x0
	.amdhsa_kernel _ZN7rocprim17ROCPRIM_400000_NS6detail17trampoline_kernelINS0_14default_configENS1_27scan_by_key_config_selectorIxxEEZZNS1_16scan_by_key_implILNS1_25lookback_scan_determinismE0ELb0ES3_N6thrust23THRUST_200600_302600_NS6detail15normal_iteratorINS9_10device_ptrIxEEEESE_SE_xNS9_4plusIvEENS9_8equal_toIxEExEE10hipError_tPvRmT2_T3_T4_T5_mT6_T7_P12ihipStream_tbENKUlT_T0_E_clISt17integral_constantIbLb0EESZ_EEDaSU_SV_EUlSU_E_NS1_11comp_targetILNS1_3genE2ELNS1_11target_archE906ELNS1_3gpuE6ELNS1_3repE0EEENS1_30default_config_static_selectorELNS0_4arch9wavefront6targetE1EEEvT1_
		.amdhsa_group_segment_fixed_size 0
		.amdhsa_private_segment_fixed_size 0
		.amdhsa_kernarg_size 136
		.amdhsa_user_sgpr_count 2
		.amdhsa_user_sgpr_dispatch_ptr 0
		.amdhsa_user_sgpr_queue_ptr 0
		.amdhsa_user_sgpr_kernarg_segment_ptr 1
		.amdhsa_user_sgpr_dispatch_id 0
		.amdhsa_user_sgpr_kernarg_preload_length 0
		.amdhsa_user_sgpr_kernarg_preload_offset 0
		.amdhsa_user_sgpr_private_segment_size 0
		.amdhsa_uses_dynamic_stack 0
		.amdhsa_enable_private_segment 0
		.amdhsa_system_sgpr_workgroup_id_x 1
		.amdhsa_system_sgpr_workgroup_id_y 0
		.amdhsa_system_sgpr_workgroup_id_z 0
		.amdhsa_system_sgpr_workgroup_info 0
		.amdhsa_system_vgpr_workitem_id 0
		.amdhsa_next_free_vgpr 1
		.amdhsa_next_free_sgpr 0
		.amdhsa_accum_offset 4
		.amdhsa_reserve_vcc 0
		.amdhsa_float_round_mode_32 0
		.amdhsa_float_round_mode_16_64 0
		.amdhsa_float_denorm_mode_32 3
		.amdhsa_float_denorm_mode_16_64 3
		.amdhsa_dx10_clamp 1
		.amdhsa_ieee_mode 1
		.amdhsa_fp16_overflow 0
		.amdhsa_tg_split 0
		.amdhsa_exception_fp_ieee_invalid_op 0
		.amdhsa_exception_fp_denorm_src 0
		.amdhsa_exception_fp_ieee_div_zero 0
		.amdhsa_exception_fp_ieee_overflow 0
		.amdhsa_exception_fp_ieee_underflow 0
		.amdhsa_exception_fp_ieee_inexact 0
		.amdhsa_exception_int_div_zero 0
	.end_amdhsa_kernel
	.section	.text._ZN7rocprim17ROCPRIM_400000_NS6detail17trampoline_kernelINS0_14default_configENS1_27scan_by_key_config_selectorIxxEEZZNS1_16scan_by_key_implILNS1_25lookback_scan_determinismE0ELb0ES3_N6thrust23THRUST_200600_302600_NS6detail15normal_iteratorINS9_10device_ptrIxEEEESE_SE_xNS9_4plusIvEENS9_8equal_toIxEExEE10hipError_tPvRmT2_T3_T4_T5_mT6_T7_P12ihipStream_tbENKUlT_T0_E_clISt17integral_constantIbLb0EESZ_EEDaSU_SV_EUlSU_E_NS1_11comp_targetILNS1_3genE2ELNS1_11target_archE906ELNS1_3gpuE6ELNS1_3repE0EEENS1_30default_config_static_selectorELNS0_4arch9wavefront6targetE1EEEvT1_,"axG",@progbits,_ZN7rocprim17ROCPRIM_400000_NS6detail17trampoline_kernelINS0_14default_configENS1_27scan_by_key_config_selectorIxxEEZZNS1_16scan_by_key_implILNS1_25lookback_scan_determinismE0ELb0ES3_N6thrust23THRUST_200600_302600_NS6detail15normal_iteratorINS9_10device_ptrIxEEEESE_SE_xNS9_4plusIvEENS9_8equal_toIxEExEE10hipError_tPvRmT2_T3_T4_T5_mT6_T7_P12ihipStream_tbENKUlT_T0_E_clISt17integral_constantIbLb0EESZ_EEDaSU_SV_EUlSU_E_NS1_11comp_targetILNS1_3genE2ELNS1_11target_archE906ELNS1_3gpuE6ELNS1_3repE0EEENS1_30default_config_static_selectorELNS0_4arch9wavefront6targetE1EEEvT1_,comdat
.Lfunc_end88:
	.size	_ZN7rocprim17ROCPRIM_400000_NS6detail17trampoline_kernelINS0_14default_configENS1_27scan_by_key_config_selectorIxxEEZZNS1_16scan_by_key_implILNS1_25lookback_scan_determinismE0ELb0ES3_N6thrust23THRUST_200600_302600_NS6detail15normal_iteratorINS9_10device_ptrIxEEEESE_SE_xNS9_4plusIvEENS9_8equal_toIxEExEE10hipError_tPvRmT2_T3_T4_T5_mT6_T7_P12ihipStream_tbENKUlT_T0_E_clISt17integral_constantIbLb0EESZ_EEDaSU_SV_EUlSU_E_NS1_11comp_targetILNS1_3genE2ELNS1_11target_archE906ELNS1_3gpuE6ELNS1_3repE0EEENS1_30default_config_static_selectorELNS0_4arch9wavefront6targetE1EEEvT1_, .Lfunc_end88-_ZN7rocprim17ROCPRIM_400000_NS6detail17trampoline_kernelINS0_14default_configENS1_27scan_by_key_config_selectorIxxEEZZNS1_16scan_by_key_implILNS1_25lookback_scan_determinismE0ELb0ES3_N6thrust23THRUST_200600_302600_NS6detail15normal_iteratorINS9_10device_ptrIxEEEESE_SE_xNS9_4plusIvEENS9_8equal_toIxEExEE10hipError_tPvRmT2_T3_T4_T5_mT6_T7_P12ihipStream_tbENKUlT_T0_E_clISt17integral_constantIbLb0EESZ_EEDaSU_SV_EUlSU_E_NS1_11comp_targetILNS1_3genE2ELNS1_11target_archE906ELNS1_3gpuE6ELNS1_3repE0EEENS1_30default_config_static_selectorELNS0_4arch9wavefront6targetE1EEEvT1_
                                        ; -- End function
	.section	.AMDGPU.csdata,"",@progbits
; Kernel info:
; codeLenInByte = 0
; NumSgprs: 6
; NumVgprs: 0
; NumAgprs: 0
; TotalNumVgprs: 0
; ScratchSize: 0
; MemoryBound: 0
; FloatMode: 240
; IeeeMode: 1
; LDSByteSize: 0 bytes/workgroup (compile time only)
; SGPRBlocks: 0
; VGPRBlocks: 0
; NumSGPRsForWavesPerEU: 6
; NumVGPRsForWavesPerEU: 1
; AccumOffset: 4
; Occupancy: 8
; WaveLimiterHint : 0
; COMPUTE_PGM_RSRC2:SCRATCH_EN: 0
; COMPUTE_PGM_RSRC2:USER_SGPR: 2
; COMPUTE_PGM_RSRC2:TRAP_HANDLER: 0
; COMPUTE_PGM_RSRC2:TGID_X_EN: 1
; COMPUTE_PGM_RSRC2:TGID_Y_EN: 0
; COMPUTE_PGM_RSRC2:TGID_Z_EN: 0
; COMPUTE_PGM_RSRC2:TIDIG_COMP_CNT: 0
; COMPUTE_PGM_RSRC3_GFX90A:ACCUM_OFFSET: 0
; COMPUTE_PGM_RSRC3_GFX90A:TG_SPLIT: 0
	.section	.text._ZN7rocprim17ROCPRIM_400000_NS6detail17trampoline_kernelINS0_14default_configENS1_27scan_by_key_config_selectorIxxEEZZNS1_16scan_by_key_implILNS1_25lookback_scan_determinismE0ELb0ES3_N6thrust23THRUST_200600_302600_NS6detail15normal_iteratorINS9_10device_ptrIxEEEESE_SE_xNS9_4plusIvEENS9_8equal_toIxEExEE10hipError_tPvRmT2_T3_T4_T5_mT6_T7_P12ihipStream_tbENKUlT_T0_E_clISt17integral_constantIbLb0EESZ_EEDaSU_SV_EUlSU_E_NS1_11comp_targetILNS1_3genE10ELNS1_11target_archE1200ELNS1_3gpuE4ELNS1_3repE0EEENS1_30default_config_static_selectorELNS0_4arch9wavefront6targetE1EEEvT1_,"axG",@progbits,_ZN7rocprim17ROCPRIM_400000_NS6detail17trampoline_kernelINS0_14default_configENS1_27scan_by_key_config_selectorIxxEEZZNS1_16scan_by_key_implILNS1_25lookback_scan_determinismE0ELb0ES3_N6thrust23THRUST_200600_302600_NS6detail15normal_iteratorINS9_10device_ptrIxEEEESE_SE_xNS9_4plusIvEENS9_8equal_toIxEExEE10hipError_tPvRmT2_T3_T4_T5_mT6_T7_P12ihipStream_tbENKUlT_T0_E_clISt17integral_constantIbLb0EESZ_EEDaSU_SV_EUlSU_E_NS1_11comp_targetILNS1_3genE10ELNS1_11target_archE1200ELNS1_3gpuE4ELNS1_3repE0EEENS1_30default_config_static_selectorELNS0_4arch9wavefront6targetE1EEEvT1_,comdat
	.protected	_ZN7rocprim17ROCPRIM_400000_NS6detail17trampoline_kernelINS0_14default_configENS1_27scan_by_key_config_selectorIxxEEZZNS1_16scan_by_key_implILNS1_25lookback_scan_determinismE0ELb0ES3_N6thrust23THRUST_200600_302600_NS6detail15normal_iteratorINS9_10device_ptrIxEEEESE_SE_xNS9_4plusIvEENS9_8equal_toIxEExEE10hipError_tPvRmT2_T3_T4_T5_mT6_T7_P12ihipStream_tbENKUlT_T0_E_clISt17integral_constantIbLb0EESZ_EEDaSU_SV_EUlSU_E_NS1_11comp_targetILNS1_3genE10ELNS1_11target_archE1200ELNS1_3gpuE4ELNS1_3repE0EEENS1_30default_config_static_selectorELNS0_4arch9wavefront6targetE1EEEvT1_ ; -- Begin function _ZN7rocprim17ROCPRIM_400000_NS6detail17trampoline_kernelINS0_14default_configENS1_27scan_by_key_config_selectorIxxEEZZNS1_16scan_by_key_implILNS1_25lookback_scan_determinismE0ELb0ES3_N6thrust23THRUST_200600_302600_NS6detail15normal_iteratorINS9_10device_ptrIxEEEESE_SE_xNS9_4plusIvEENS9_8equal_toIxEExEE10hipError_tPvRmT2_T3_T4_T5_mT6_T7_P12ihipStream_tbENKUlT_T0_E_clISt17integral_constantIbLb0EESZ_EEDaSU_SV_EUlSU_E_NS1_11comp_targetILNS1_3genE10ELNS1_11target_archE1200ELNS1_3gpuE4ELNS1_3repE0EEENS1_30default_config_static_selectorELNS0_4arch9wavefront6targetE1EEEvT1_
	.globl	_ZN7rocprim17ROCPRIM_400000_NS6detail17trampoline_kernelINS0_14default_configENS1_27scan_by_key_config_selectorIxxEEZZNS1_16scan_by_key_implILNS1_25lookback_scan_determinismE0ELb0ES3_N6thrust23THRUST_200600_302600_NS6detail15normal_iteratorINS9_10device_ptrIxEEEESE_SE_xNS9_4plusIvEENS9_8equal_toIxEExEE10hipError_tPvRmT2_T3_T4_T5_mT6_T7_P12ihipStream_tbENKUlT_T0_E_clISt17integral_constantIbLb0EESZ_EEDaSU_SV_EUlSU_E_NS1_11comp_targetILNS1_3genE10ELNS1_11target_archE1200ELNS1_3gpuE4ELNS1_3repE0EEENS1_30default_config_static_selectorELNS0_4arch9wavefront6targetE1EEEvT1_
	.p2align	8
	.type	_ZN7rocprim17ROCPRIM_400000_NS6detail17trampoline_kernelINS0_14default_configENS1_27scan_by_key_config_selectorIxxEEZZNS1_16scan_by_key_implILNS1_25lookback_scan_determinismE0ELb0ES3_N6thrust23THRUST_200600_302600_NS6detail15normal_iteratorINS9_10device_ptrIxEEEESE_SE_xNS9_4plusIvEENS9_8equal_toIxEExEE10hipError_tPvRmT2_T3_T4_T5_mT6_T7_P12ihipStream_tbENKUlT_T0_E_clISt17integral_constantIbLb0EESZ_EEDaSU_SV_EUlSU_E_NS1_11comp_targetILNS1_3genE10ELNS1_11target_archE1200ELNS1_3gpuE4ELNS1_3repE0EEENS1_30default_config_static_selectorELNS0_4arch9wavefront6targetE1EEEvT1_,@function
_ZN7rocprim17ROCPRIM_400000_NS6detail17trampoline_kernelINS0_14default_configENS1_27scan_by_key_config_selectorIxxEEZZNS1_16scan_by_key_implILNS1_25lookback_scan_determinismE0ELb0ES3_N6thrust23THRUST_200600_302600_NS6detail15normal_iteratorINS9_10device_ptrIxEEEESE_SE_xNS9_4plusIvEENS9_8equal_toIxEExEE10hipError_tPvRmT2_T3_T4_T5_mT6_T7_P12ihipStream_tbENKUlT_T0_E_clISt17integral_constantIbLb0EESZ_EEDaSU_SV_EUlSU_E_NS1_11comp_targetILNS1_3genE10ELNS1_11target_archE1200ELNS1_3gpuE4ELNS1_3repE0EEENS1_30default_config_static_selectorELNS0_4arch9wavefront6targetE1EEEvT1_: ; @_ZN7rocprim17ROCPRIM_400000_NS6detail17trampoline_kernelINS0_14default_configENS1_27scan_by_key_config_selectorIxxEEZZNS1_16scan_by_key_implILNS1_25lookback_scan_determinismE0ELb0ES3_N6thrust23THRUST_200600_302600_NS6detail15normal_iteratorINS9_10device_ptrIxEEEESE_SE_xNS9_4plusIvEENS9_8equal_toIxEExEE10hipError_tPvRmT2_T3_T4_T5_mT6_T7_P12ihipStream_tbENKUlT_T0_E_clISt17integral_constantIbLb0EESZ_EEDaSU_SV_EUlSU_E_NS1_11comp_targetILNS1_3genE10ELNS1_11target_archE1200ELNS1_3gpuE4ELNS1_3repE0EEENS1_30default_config_static_selectorELNS0_4arch9wavefront6targetE1EEEvT1_
; %bb.0:
	.section	.rodata,"a",@progbits
	.p2align	6, 0x0
	.amdhsa_kernel _ZN7rocprim17ROCPRIM_400000_NS6detail17trampoline_kernelINS0_14default_configENS1_27scan_by_key_config_selectorIxxEEZZNS1_16scan_by_key_implILNS1_25lookback_scan_determinismE0ELb0ES3_N6thrust23THRUST_200600_302600_NS6detail15normal_iteratorINS9_10device_ptrIxEEEESE_SE_xNS9_4plusIvEENS9_8equal_toIxEExEE10hipError_tPvRmT2_T3_T4_T5_mT6_T7_P12ihipStream_tbENKUlT_T0_E_clISt17integral_constantIbLb0EESZ_EEDaSU_SV_EUlSU_E_NS1_11comp_targetILNS1_3genE10ELNS1_11target_archE1200ELNS1_3gpuE4ELNS1_3repE0EEENS1_30default_config_static_selectorELNS0_4arch9wavefront6targetE1EEEvT1_
		.amdhsa_group_segment_fixed_size 0
		.amdhsa_private_segment_fixed_size 0
		.amdhsa_kernarg_size 136
		.amdhsa_user_sgpr_count 2
		.amdhsa_user_sgpr_dispatch_ptr 0
		.amdhsa_user_sgpr_queue_ptr 0
		.amdhsa_user_sgpr_kernarg_segment_ptr 1
		.amdhsa_user_sgpr_dispatch_id 0
		.amdhsa_user_sgpr_kernarg_preload_length 0
		.amdhsa_user_sgpr_kernarg_preload_offset 0
		.amdhsa_user_sgpr_private_segment_size 0
		.amdhsa_uses_dynamic_stack 0
		.amdhsa_enable_private_segment 0
		.amdhsa_system_sgpr_workgroup_id_x 1
		.amdhsa_system_sgpr_workgroup_id_y 0
		.amdhsa_system_sgpr_workgroup_id_z 0
		.amdhsa_system_sgpr_workgroup_info 0
		.amdhsa_system_vgpr_workitem_id 0
		.amdhsa_next_free_vgpr 1
		.amdhsa_next_free_sgpr 0
		.amdhsa_accum_offset 4
		.amdhsa_reserve_vcc 0
		.amdhsa_float_round_mode_32 0
		.amdhsa_float_round_mode_16_64 0
		.amdhsa_float_denorm_mode_32 3
		.amdhsa_float_denorm_mode_16_64 3
		.amdhsa_dx10_clamp 1
		.amdhsa_ieee_mode 1
		.amdhsa_fp16_overflow 0
		.amdhsa_tg_split 0
		.amdhsa_exception_fp_ieee_invalid_op 0
		.amdhsa_exception_fp_denorm_src 0
		.amdhsa_exception_fp_ieee_div_zero 0
		.amdhsa_exception_fp_ieee_overflow 0
		.amdhsa_exception_fp_ieee_underflow 0
		.amdhsa_exception_fp_ieee_inexact 0
		.amdhsa_exception_int_div_zero 0
	.end_amdhsa_kernel
	.section	.text._ZN7rocprim17ROCPRIM_400000_NS6detail17trampoline_kernelINS0_14default_configENS1_27scan_by_key_config_selectorIxxEEZZNS1_16scan_by_key_implILNS1_25lookback_scan_determinismE0ELb0ES3_N6thrust23THRUST_200600_302600_NS6detail15normal_iteratorINS9_10device_ptrIxEEEESE_SE_xNS9_4plusIvEENS9_8equal_toIxEExEE10hipError_tPvRmT2_T3_T4_T5_mT6_T7_P12ihipStream_tbENKUlT_T0_E_clISt17integral_constantIbLb0EESZ_EEDaSU_SV_EUlSU_E_NS1_11comp_targetILNS1_3genE10ELNS1_11target_archE1200ELNS1_3gpuE4ELNS1_3repE0EEENS1_30default_config_static_selectorELNS0_4arch9wavefront6targetE1EEEvT1_,"axG",@progbits,_ZN7rocprim17ROCPRIM_400000_NS6detail17trampoline_kernelINS0_14default_configENS1_27scan_by_key_config_selectorIxxEEZZNS1_16scan_by_key_implILNS1_25lookback_scan_determinismE0ELb0ES3_N6thrust23THRUST_200600_302600_NS6detail15normal_iteratorINS9_10device_ptrIxEEEESE_SE_xNS9_4plusIvEENS9_8equal_toIxEExEE10hipError_tPvRmT2_T3_T4_T5_mT6_T7_P12ihipStream_tbENKUlT_T0_E_clISt17integral_constantIbLb0EESZ_EEDaSU_SV_EUlSU_E_NS1_11comp_targetILNS1_3genE10ELNS1_11target_archE1200ELNS1_3gpuE4ELNS1_3repE0EEENS1_30default_config_static_selectorELNS0_4arch9wavefront6targetE1EEEvT1_,comdat
.Lfunc_end89:
	.size	_ZN7rocprim17ROCPRIM_400000_NS6detail17trampoline_kernelINS0_14default_configENS1_27scan_by_key_config_selectorIxxEEZZNS1_16scan_by_key_implILNS1_25lookback_scan_determinismE0ELb0ES3_N6thrust23THRUST_200600_302600_NS6detail15normal_iteratorINS9_10device_ptrIxEEEESE_SE_xNS9_4plusIvEENS9_8equal_toIxEExEE10hipError_tPvRmT2_T3_T4_T5_mT6_T7_P12ihipStream_tbENKUlT_T0_E_clISt17integral_constantIbLb0EESZ_EEDaSU_SV_EUlSU_E_NS1_11comp_targetILNS1_3genE10ELNS1_11target_archE1200ELNS1_3gpuE4ELNS1_3repE0EEENS1_30default_config_static_selectorELNS0_4arch9wavefront6targetE1EEEvT1_, .Lfunc_end89-_ZN7rocprim17ROCPRIM_400000_NS6detail17trampoline_kernelINS0_14default_configENS1_27scan_by_key_config_selectorIxxEEZZNS1_16scan_by_key_implILNS1_25lookback_scan_determinismE0ELb0ES3_N6thrust23THRUST_200600_302600_NS6detail15normal_iteratorINS9_10device_ptrIxEEEESE_SE_xNS9_4plusIvEENS9_8equal_toIxEExEE10hipError_tPvRmT2_T3_T4_T5_mT6_T7_P12ihipStream_tbENKUlT_T0_E_clISt17integral_constantIbLb0EESZ_EEDaSU_SV_EUlSU_E_NS1_11comp_targetILNS1_3genE10ELNS1_11target_archE1200ELNS1_3gpuE4ELNS1_3repE0EEENS1_30default_config_static_selectorELNS0_4arch9wavefront6targetE1EEEvT1_
                                        ; -- End function
	.section	.AMDGPU.csdata,"",@progbits
; Kernel info:
; codeLenInByte = 0
; NumSgprs: 6
; NumVgprs: 0
; NumAgprs: 0
; TotalNumVgprs: 0
; ScratchSize: 0
; MemoryBound: 0
; FloatMode: 240
; IeeeMode: 1
; LDSByteSize: 0 bytes/workgroup (compile time only)
; SGPRBlocks: 0
; VGPRBlocks: 0
; NumSGPRsForWavesPerEU: 6
; NumVGPRsForWavesPerEU: 1
; AccumOffset: 4
; Occupancy: 8
; WaveLimiterHint : 0
; COMPUTE_PGM_RSRC2:SCRATCH_EN: 0
; COMPUTE_PGM_RSRC2:USER_SGPR: 2
; COMPUTE_PGM_RSRC2:TRAP_HANDLER: 0
; COMPUTE_PGM_RSRC2:TGID_X_EN: 1
; COMPUTE_PGM_RSRC2:TGID_Y_EN: 0
; COMPUTE_PGM_RSRC2:TGID_Z_EN: 0
; COMPUTE_PGM_RSRC2:TIDIG_COMP_CNT: 0
; COMPUTE_PGM_RSRC3_GFX90A:ACCUM_OFFSET: 0
; COMPUTE_PGM_RSRC3_GFX90A:TG_SPLIT: 0
	.section	.text._ZN7rocprim17ROCPRIM_400000_NS6detail17trampoline_kernelINS0_14default_configENS1_27scan_by_key_config_selectorIxxEEZZNS1_16scan_by_key_implILNS1_25lookback_scan_determinismE0ELb0ES3_N6thrust23THRUST_200600_302600_NS6detail15normal_iteratorINS9_10device_ptrIxEEEESE_SE_xNS9_4plusIvEENS9_8equal_toIxEExEE10hipError_tPvRmT2_T3_T4_T5_mT6_T7_P12ihipStream_tbENKUlT_T0_E_clISt17integral_constantIbLb0EESZ_EEDaSU_SV_EUlSU_E_NS1_11comp_targetILNS1_3genE9ELNS1_11target_archE1100ELNS1_3gpuE3ELNS1_3repE0EEENS1_30default_config_static_selectorELNS0_4arch9wavefront6targetE1EEEvT1_,"axG",@progbits,_ZN7rocprim17ROCPRIM_400000_NS6detail17trampoline_kernelINS0_14default_configENS1_27scan_by_key_config_selectorIxxEEZZNS1_16scan_by_key_implILNS1_25lookback_scan_determinismE0ELb0ES3_N6thrust23THRUST_200600_302600_NS6detail15normal_iteratorINS9_10device_ptrIxEEEESE_SE_xNS9_4plusIvEENS9_8equal_toIxEExEE10hipError_tPvRmT2_T3_T4_T5_mT6_T7_P12ihipStream_tbENKUlT_T0_E_clISt17integral_constantIbLb0EESZ_EEDaSU_SV_EUlSU_E_NS1_11comp_targetILNS1_3genE9ELNS1_11target_archE1100ELNS1_3gpuE3ELNS1_3repE0EEENS1_30default_config_static_selectorELNS0_4arch9wavefront6targetE1EEEvT1_,comdat
	.protected	_ZN7rocprim17ROCPRIM_400000_NS6detail17trampoline_kernelINS0_14default_configENS1_27scan_by_key_config_selectorIxxEEZZNS1_16scan_by_key_implILNS1_25lookback_scan_determinismE0ELb0ES3_N6thrust23THRUST_200600_302600_NS6detail15normal_iteratorINS9_10device_ptrIxEEEESE_SE_xNS9_4plusIvEENS9_8equal_toIxEExEE10hipError_tPvRmT2_T3_T4_T5_mT6_T7_P12ihipStream_tbENKUlT_T0_E_clISt17integral_constantIbLb0EESZ_EEDaSU_SV_EUlSU_E_NS1_11comp_targetILNS1_3genE9ELNS1_11target_archE1100ELNS1_3gpuE3ELNS1_3repE0EEENS1_30default_config_static_selectorELNS0_4arch9wavefront6targetE1EEEvT1_ ; -- Begin function _ZN7rocprim17ROCPRIM_400000_NS6detail17trampoline_kernelINS0_14default_configENS1_27scan_by_key_config_selectorIxxEEZZNS1_16scan_by_key_implILNS1_25lookback_scan_determinismE0ELb0ES3_N6thrust23THRUST_200600_302600_NS6detail15normal_iteratorINS9_10device_ptrIxEEEESE_SE_xNS9_4plusIvEENS9_8equal_toIxEExEE10hipError_tPvRmT2_T3_T4_T5_mT6_T7_P12ihipStream_tbENKUlT_T0_E_clISt17integral_constantIbLb0EESZ_EEDaSU_SV_EUlSU_E_NS1_11comp_targetILNS1_3genE9ELNS1_11target_archE1100ELNS1_3gpuE3ELNS1_3repE0EEENS1_30default_config_static_selectorELNS0_4arch9wavefront6targetE1EEEvT1_
	.globl	_ZN7rocprim17ROCPRIM_400000_NS6detail17trampoline_kernelINS0_14default_configENS1_27scan_by_key_config_selectorIxxEEZZNS1_16scan_by_key_implILNS1_25lookback_scan_determinismE0ELb0ES3_N6thrust23THRUST_200600_302600_NS6detail15normal_iteratorINS9_10device_ptrIxEEEESE_SE_xNS9_4plusIvEENS9_8equal_toIxEExEE10hipError_tPvRmT2_T3_T4_T5_mT6_T7_P12ihipStream_tbENKUlT_T0_E_clISt17integral_constantIbLb0EESZ_EEDaSU_SV_EUlSU_E_NS1_11comp_targetILNS1_3genE9ELNS1_11target_archE1100ELNS1_3gpuE3ELNS1_3repE0EEENS1_30default_config_static_selectorELNS0_4arch9wavefront6targetE1EEEvT1_
	.p2align	8
	.type	_ZN7rocprim17ROCPRIM_400000_NS6detail17trampoline_kernelINS0_14default_configENS1_27scan_by_key_config_selectorIxxEEZZNS1_16scan_by_key_implILNS1_25lookback_scan_determinismE0ELb0ES3_N6thrust23THRUST_200600_302600_NS6detail15normal_iteratorINS9_10device_ptrIxEEEESE_SE_xNS9_4plusIvEENS9_8equal_toIxEExEE10hipError_tPvRmT2_T3_T4_T5_mT6_T7_P12ihipStream_tbENKUlT_T0_E_clISt17integral_constantIbLb0EESZ_EEDaSU_SV_EUlSU_E_NS1_11comp_targetILNS1_3genE9ELNS1_11target_archE1100ELNS1_3gpuE3ELNS1_3repE0EEENS1_30default_config_static_selectorELNS0_4arch9wavefront6targetE1EEEvT1_,@function
_ZN7rocprim17ROCPRIM_400000_NS6detail17trampoline_kernelINS0_14default_configENS1_27scan_by_key_config_selectorIxxEEZZNS1_16scan_by_key_implILNS1_25lookback_scan_determinismE0ELb0ES3_N6thrust23THRUST_200600_302600_NS6detail15normal_iteratorINS9_10device_ptrIxEEEESE_SE_xNS9_4plusIvEENS9_8equal_toIxEExEE10hipError_tPvRmT2_T3_T4_T5_mT6_T7_P12ihipStream_tbENKUlT_T0_E_clISt17integral_constantIbLb0EESZ_EEDaSU_SV_EUlSU_E_NS1_11comp_targetILNS1_3genE9ELNS1_11target_archE1100ELNS1_3gpuE3ELNS1_3repE0EEENS1_30default_config_static_selectorELNS0_4arch9wavefront6targetE1EEEvT1_: ; @_ZN7rocprim17ROCPRIM_400000_NS6detail17trampoline_kernelINS0_14default_configENS1_27scan_by_key_config_selectorIxxEEZZNS1_16scan_by_key_implILNS1_25lookback_scan_determinismE0ELb0ES3_N6thrust23THRUST_200600_302600_NS6detail15normal_iteratorINS9_10device_ptrIxEEEESE_SE_xNS9_4plusIvEENS9_8equal_toIxEExEE10hipError_tPvRmT2_T3_T4_T5_mT6_T7_P12ihipStream_tbENKUlT_T0_E_clISt17integral_constantIbLb0EESZ_EEDaSU_SV_EUlSU_E_NS1_11comp_targetILNS1_3genE9ELNS1_11target_archE1100ELNS1_3gpuE3ELNS1_3repE0EEENS1_30default_config_static_selectorELNS0_4arch9wavefront6targetE1EEEvT1_
; %bb.0:
	.section	.rodata,"a",@progbits
	.p2align	6, 0x0
	.amdhsa_kernel _ZN7rocprim17ROCPRIM_400000_NS6detail17trampoline_kernelINS0_14default_configENS1_27scan_by_key_config_selectorIxxEEZZNS1_16scan_by_key_implILNS1_25lookback_scan_determinismE0ELb0ES3_N6thrust23THRUST_200600_302600_NS6detail15normal_iteratorINS9_10device_ptrIxEEEESE_SE_xNS9_4plusIvEENS9_8equal_toIxEExEE10hipError_tPvRmT2_T3_T4_T5_mT6_T7_P12ihipStream_tbENKUlT_T0_E_clISt17integral_constantIbLb0EESZ_EEDaSU_SV_EUlSU_E_NS1_11comp_targetILNS1_3genE9ELNS1_11target_archE1100ELNS1_3gpuE3ELNS1_3repE0EEENS1_30default_config_static_selectorELNS0_4arch9wavefront6targetE1EEEvT1_
		.amdhsa_group_segment_fixed_size 0
		.amdhsa_private_segment_fixed_size 0
		.amdhsa_kernarg_size 136
		.amdhsa_user_sgpr_count 2
		.amdhsa_user_sgpr_dispatch_ptr 0
		.amdhsa_user_sgpr_queue_ptr 0
		.amdhsa_user_sgpr_kernarg_segment_ptr 1
		.amdhsa_user_sgpr_dispatch_id 0
		.amdhsa_user_sgpr_kernarg_preload_length 0
		.amdhsa_user_sgpr_kernarg_preload_offset 0
		.amdhsa_user_sgpr_private_segment_size 0
		.amdhsa_uses_dynamic_stack 0
		.amdhsa_enable_private_segment 0
		.amdhsa_system_sgpr_workgroup_id_x 1
		.amdhsa_system_sgpr_workgroup_id_y 0
		.amdhsa_system_sgpr_workgroup_id_z 0
		.amdhsa_system_sgpr_workgroup_info 0
		.amdhsa_system_vgpr_workitem_id 0
		.amdhsa_next_free_vgpr 1
		.amdhsa_next_free_sgpr 0
		.amdhsa_accum_offset 4
		.amdhsa_reserve_vcc 0
		.amdhsa_float_round_mode_32 0
		.amdhsa_float_round_mode_16_64 0
		.amdhsa_float_denorm_mode_32 3
		.amdhsa_float_denorm_mode_16_64 3
		.amdhsa_dx10_clamp 1
		.amdhsa_ieee_mode 1
		.amdhsa_fp16_overflow 0
		.amdhsa_tg_split 0
		.amdhsa_exception_fp_ieee_invalid_op 0
		.amdhsa_exception_fp_denorm_src 0
		.amdhsa_exception_fp_ieee_div_zero 0
		.amdhsa_exception_fp_ieee_overflow 0
		.amdhsa_exception_fp_ieee_underflow 0
		.amdhsa_exception_fp_ieee_inexact 0
		.amdhsa_exception_int_div_zero 0
	.end_amdhsa_kernel
	.section	.text._ZN7rocprim17ROCPRIM_400000_NS6detail17trampoline_kernelINS0_14default_configENS1_27scan_by_key_config_selectorIxxEEZZNS1_16scan_by_key_implILNS1_25lookback_scan_determinismE0ELb0ES3_N6thrust23THRUST_200600_302600_NS6detail15normal_iteratorINS9_10device_ptrIxEEEESE_SE_xNS9_4plusIvEENS9_8equal_toIxEExEE10hipError_tPvRmT2_T3_T4_T5_mT6_T7_P12ihipStream_tbENKUlT_T0_E_clISt17integral_constantIbLb0EESZ_EEDaSU_SV_EUlSU_E_NS1_11comp_targetILNS1_3genE9ELNS1_11target_archE1100ELNS1_3gpuE3ELNS1_3repE0EEENS1_30default_config_static_selectorELNS0_4arch9wavefront6targetE1EEEvT1_,"axG",@progbits,_ZN7rocprim17ROCPRIM_400000_NS6detail17trampoline_kernelINS0_14default_configENS1_27scan_by_key_config_selectorIxxEEZZNS1_16scan_by_key_implILNS1_25lookback_scan_determinismE0ELb0ES3_N6thrust23THRUST_200600_302600_NS6detail15normal_iteratorINS9_10device_ptrIxEEEESE_SE_xNS9_4plusIvEENS9_8equal_toIxEExEE10hipError_tPvRmT2_T3_T4_T5_mT6_T7_P12ihipStream_tbENKUlT_T0_E_clISt17integral_constantIbLb0EESZ_EEDaSU_SV_EUlSU_E_NS1_11comp_targetILNS1_3genE9ELNS1_11target_archE1100ELNS1_3gpuE3ELNS1_3repE0EEENS1_30default_config_static_selectorELNS0_4arch9wavefront6targetE1EEEvT1_,comdat
.Lfunc_end90:
	.size	_ZN7rocprim17ROCPRIM_400000_NS6detail17trampoline_kernelINS0_14default_configENS1_27scan_by_key_config_selectorIxxEEZZNS1_16scan_by_key_implILNS1_25lookback_scan_determinismE0ELb0ES3_N6thrust23THRUST_200600_302600_NS6detail15normal_iteratorINS9_10device_ptrIxEEEESE_SE_xNS9_4plusIvEENS9_8equal_toIxEExEE10hipError_tPvRmT2_T3_T4_T5_mT6_T7_P12ihipStream_tbENKUlT_T0_E_clISt17integral_constantIbLb0EESZ_EEDaSU_SV_EUlSU_E_NS1_11comp_targetILNS1_3genE9ELNS1_11target_archE1100ELNS1_3gpuE3ELNS1_3repE0EEENS1_30default_config_static_selectorELNS0_4arch9wavefront6targetE1EEEvT1_, .Lfunc_end90-_ZN7rocprim17ROCPRIM_400000_NS6detail17trampoline_kernelINS0_14default_configENS1_27scan_by_key_config_selectorIxxEEZZNS1_16scan_by_key_implILNS1_25lookback_scan_determinismE0ELb0ES3_N6thrust23THRUST_200600_302600_NS6detail15normal_iteratorINS9_10device_ptrIxEEEESE_SE_xNS9_4plusIvEENS9_8equal_toIxEExEE10hipError_tPvRmT2_T3_T4_T5_mT6_T7_P12ihipStream_tbENKUlT_T0_E_clISt17integral_constantIbLb0EESZ_EEDaSU_SV_EUlSU_E_NS1_11comp_targetILNS1_3genE9ELNS1_11target_archE1100ELNS1_3gpuE3ELNS1_3repE0EEENS1_30default_config_static_selectorELNS0_4arch9wavefront6targetE1EEEvT1_
                                        ; -- End function
	.section	.AMDGPU.csdata,"",@progbits
; Kernel info:
; codeLenInByte = 0
; NumSgprs: 6
; NumVgprs: 0
; NumAgprs: 0
; TotalNumVgprs: 0
; ScratchSize: 0
; MemoryBound: 0
; FloatMode: 240
; IeeeMode: 1
; LDSByteSize: 0 bytes/workgroup (compile time only)
; SGPRBlocks: 0
; VGPRBlocks: 0
; NumSGPRsForWavesPerEU: 6
; NumVGPRsForWavesPerEU: 1
; AccumOffset: 4
; Occupancy: 8
; WaveLimiterHint : 0
; COMPUTE_PGM_RSRC2:SCRATCH_EN: 0
; COMPUTE_PGM_RSRC2:USER_SGPR: 2
; COMPUTE_PGM_RSRC2:TRAP_HANDLER: 0
; COMPUTE_PGM_RSRC2:TGID_X_EN: 1
; COMPUTE_PGM_RSRC2:TGID_Y_EN: 0
; COMPUTE_PGM_RSRC2:TGID_Z_EN: 0
; COMPUTE_PGM_RSRC2:TIDIG_COMP_CNT: 0
; COMPUTE_PGM_RSRC3_GFX90A:ACCUM_OFFSET: 0
; COMPUTE_PGM_RSRC3_GFX90A:TG_SPLIT: 0
	.section	.text._ZN7rocprim17ROCPRIM_400000_NS6detail17trampoline_kernelINS0_14default_configENS1_27scan_by_key_config_selectorIxxEEZZNS1_16scan_by_key_implILNS1_25lookback_scan_determinismE0ELb0ES3_N6thrust23THRUST_200600_302600_NS6detail15normal_iteratorINS9_10device_ptrIxEEEESE_SE_xNS9_4plusIvEENS9_8equal_toIxEExEE10hipError_tPvRmT2_T3_T4_T5_mT6_T7_P12ihipStream_tbENKUlT_T0_E_clISt17integral_constantIbLb0EESZ_EEDaSU_SV_EUlSU_E_NS1_11comp_targetILNS1_3genE8ELNS1_11target_archE1030ELNS1_3gpuE2ELNS1_3repE0EEENS1_30default_config_static_selectorELNS0_4arch9wavefront6targetE1EEEvT1_,"axG",@progbits,_ZN7rocprim17ROCPRIM_400000_NS6detail17trampoline_kernelINS0_14default_configENS1_27scan_by_key_config_selectorIxxEEZZNS1_16scan_by_key_implILNS1_25lookback_scan_determinismE0ELb0ES3_N6thrust23THRUST_200600_302600_NS6detail15normal_iteratorINS9_10device_ptrIxEEEESE_SE_xNS9_4plusIvEENS9_8equal_toIxEExEE10hipError_tPvRmT2_T3_T4_T5_mT6_T7_P12ihipStream_tbENKUlT_T0_E_clISt17integral_constantIbLb0EESZ_EEDaSU_SV_EUlSU_E_NS1_11comp_targetILNS1_3genE8ELNS1_11target_archE1030ELNS1_3gpuE2ELNS1_3repE0EEENS1_30default_config_static_selectorELNS0_4arch9wavefront6targetE1EEEvT1_,comdat
	.protected	_ZN7rocprim17ROCPRIM_400000_NS6detail17trampoline_kernelINS0_14default_configENS1_27scan_by_key_config_selectorIxxEEZZNS1_16scan_by_key_implILNS1_25lookback_scan_determinismE0ELb0ES3_N6thrust23THRUST_200600_302600_NS6detail15normal_iteratorINS9_10device_ptrIxEEEESE_SE_xNS9_4plusIvEENS9_8equal_toIxEExEE10hipError_tPvRmT2_T3_T4_T5_mT6_T7_P12ihipStream_tbENKUlT_T0_E_clISt17integral_constantIbLb0EESZ_EEDaSU_SV_EUlSU_E_NS1_11comp_targetILNS1_3genE8ELNS1_11target_archE1030ELNS1_3gpuE2ELNS1_3repE0EEENS1_30default_config_static_selectorELNS0_4arch9wavefront6targetE1EEEvT1_ ; -- Begin function _ZN7rocprim17ROCPRIM_400000_NS6detail17trampoline_kernelINS0_14default_configENS1_27scan_by_key_config_selectorIxxEEZZNS1_16scan_by_key_implILNS1_25lookback_scan_determinismE0ELb0ES3_N6thrust23THRUST_200600_302600_NS6detail15normal_iteratorINS9_10device_ptrIxEEEESE_SE_xNS9_4plusIvEENS9_8equal_toIxEExEE10hipError_tPvRmT2_T3_T4_T5_mT6_T7_P12ihipStream_tbENKUlT_T0_E_clISt17integral_constantIbLb0EESZ_EEDaSU_SV_EUlSU_E_NS1_11comp_targetILNS1_3genE8ELNS1_11target_archE1030ELNS1_3gpuE2ELNS1_3repE0EEENS1_30default_config_static_selectorELNS0_4arch9wavefront6targetE1EEEvT1_
	.globl	_ZN7rocprim17ROCPRIM_400000_NS6detail17trampoline_kernelINS0_14default_configENS1_27scan_by_key_config_selectorIxxEEZZNS1_16scan_by_key_implILNS1_25lookback_scan_determinismE0ELb0ES3_N6thrust23THRUST_200600_302600_NS6detail15normal_iteratorINS9_10device_ptrIxEEEESE_SE_xNS9_4plusIvEENS9_8equal_toIxEExEE10hipError_tPvRmT2_T3_T4_T5_mT6_T7_P12ihipStream_tbENKUlT_T0_E_clISt17integral_constantIbLb0EESZ_EEDaSU_SV_EUlSU_E_NS1_11comp_targetILNS1_3genE8ELNS1_11target_archE1030ELNS1_3gpuE2ELNS1_3repE0EEENS1_30default_config_static_selectorELNS0_4arch9wavefront6targetE1EEEvT1_
	.p2align	8
	.type	_ZN7rocprim17ROCPRIM_400000_NS6detail17trampoline_kernelINS0_14default_configENS1_27scan_by_key_config_selectorIxxEEZZNS1_16scan_by_key_implILNS1_25lookback_scan_determinismE0ELb0ES3_N6thrust23THRUST_200600_302600_NS6detail15normal_iteratorINS9_10device_ptrIxEEEESE_SE_xNS9_4plusIvEENS9_8equal_toIxEExEE10hipError_tPvRmT2_T3_T4_T5_mT6_T7_P12ihipStream_tbENKUlT_T0_E_clISt17integral_constantIbLb0EESZ_EEDaSU_SV_EUlSU_E_NS1_11comp_targetILNS1_3genE8ELNS1_11target_archE1030ELNS1_3gpuE2ELNS1_3repE0EEENS1_30default_config_static_selectorELNS0_4arch9wavefront6targetE1EEEvT1_,@function
_ZN7rocprim17ROCPRIM_400000_NS6detail17trampoline_kernelINS0_14default_configENS1_27scan_by_key_config_selectorIxxEEZZNS1_16scan_by_key_implILNS1_25lookback_scan_determinismE0ELb0ES3_N6thrust23THRUST_200600_302600_NS6detail15normal_iteratorINS9_10device_ptrIxEEEESE_SE_xNS9_4plusIvEENS9_8equal_toIxEExEE10hipError_tPvRmT2_T3_T4_T5_mT6_T7_P12ihipStream_tbENKUlT_T0_E_clISt17integral_constantIbLb0EESZ_EEDaSU_SV_EUlSU_E_NS1_11comp_targetILNS1_3genE8ELNS1_11target_archE1030ELNS1_3gpuE2ELNS1_3repE0EEENS1_30default_config_static_selectorELNS0_4arch9wavefront6targetE1EEEvT1_: ; @_ZN7rocprim17ROCPRIM_400000_NS6detail17trampoline_kernelINS0_14default_configENS1_27scan_by_key_config_selectorIxxEEZZNS1_16scan_by_key_implILNS1_25lookback_scan_determinismE0ELb0ES3_N6thrust23THRUST_200600_302600_NS6detail15normal_iteratorINS9_10device_ptrIxEEEESE_SE_xNS9_4plusIvEENS9_8equal_toIxEExEE10hipError_tPvRmT2_T3_T4_T5_mT6_T7_P12ihipStream_tbENKUlT_T0_E_clISt17integral_constantIbLb0EESZ_EEDaSU_SV_EUlSU_E_NS1_11comp_targetILNS1_3genE8ELNS1_11target_archE1030ELNS1_3gpuE2ELNS1_3repE0EEENS1_30default_config_static_selectorELNS0_4arch9wavefront6targetE1EEEvT1_
; %bb.0:
	.section	.rodata,"a",@progbits
	.p2align	6, 0x0
	.amdhsa_kernel _ZN7rocprim17ROCPRIM_400000_NS6detail17trampoline_kernelINS0_14default_configENS1_27scan_by_key_config_selectorIxxEEZZNS1_16scan_by_key_implILNS1_25lookback_scan_determinismE0ELb0ES3_N6thrust23THRUST_200600_302600_NS6detail15normal_iteratorINS9_10device_ptrIxEEEESE_SE_xNS9_4plusIvEENS9_8equal_toIxEExEE10hipError_tPvRmT2_T3_T4_T5_mT6_T7_P12ihipStream_tbENKUlT_T0_E_clISt17integral_constantIbLb0EESZ_EEDaSU_SV_EUlSU_E_NS1_11comp_targetILNS1_3genE8ELNS1_11target_archE1030ELNS1_3gpuE2ELNS1_3repE0EEENS1_30default_config_static_selectorELNS0_4arch9wavefront6targetE1EEEvT1_
		.amdhsa_group_segment_fixed_size 0
		.amdhsa_private_segment_fixed_size 0
		.amdhsa_kernarg_size 136
		.amdhsa_user_sgpr_count 2
		.amdhsa_user_sgpr_dispatch_ptr 0
		.amdhsa_user_sgpr_queue_ptr 0
		.amdhsa_user_sgpr_kernarg_segment_ptr 1
		.amdhsa_user_sgpr_dispatch_id 0
		.amdhsa_user_sgpr_kernarg_preload_length 0
		.amdhsa_user_sgpr_kernarg_preload_offset 0
		.amdhsa_user_sgpr_private_segment_size 0
		.amdhsa_uses_dynamic_stack 0
		.amdhsa_enable_private_segment 0
		.amdhsa_system_sgpr_workgroup_id_x 1
		.amdhsa_system_sgpr_workgroup_id_y 0
		.amdhsa_system_sgpr_workgroup_id_z 0
		.amdhsa_system_sgpr_workgroup_info 0
		.amdhsa_system_vgpr_workitem_id 0
		.amdhsa_next_free_vgpr 1
		.amdhsa_next_free_sgpr 0
		.amdhsa_accum_offset 4
		.amdhsa_reserve_vcc 0
		.amdhsa_float_round_mode_32 0
		.amdhsa_float_round_mode_16_64 0
		.amdhsa_float_denorm_mode_32 3
		.amdhsa_float_denorm_mode_16_64 3
		.amdhsa_dx10_clamp 1
		.amdhsa_ieee_mode 1
		.amdhsa_fp16_overflow 0
		.amdhsa_tg_split 0
		.amdhsa_exception_fp_ieee_invalid_op 0
		.amdhsa_exception_fp_denorm_src 0
		.amdhsa_exception_fp_ieee_div_zero 0
		.amdhsa_exception_fp_ieee_overflow 0
		.amdhsa_exception_fp_ieee_underflow 0
		.amdhsa_exception_fp_ieee_inexact 0
		.amdhsa_exception_int_div_zero 0
	.end_amdhsa_kernel
	.section	.text._ZN7rocprim17ROCPRIM_400000_NS6detail17trampoline_kernelINS0_14default_configENS1_27scan_by_key_config_selectorIxxEEZZNS1_16scan_by_key_implILNS1_25lookback_scan_determinismE0ELb0ES3_N6thrust23THRUST_200600_302600_NS6detail15normal_iteratorINS9_10device_ptrIxEEEESE_SE_xNS9_4plusIvEENS9_8equal_toIxEExEE10hipError_tPvRmT2_T3_T4_T5_mT6_T7_P12ihipStream_tbENKUlT_T0_E_clISt17integral_constantIbLb0EESZ_EEDaSU_SV_EUlSU_E_NS1_11comp_targetILNS1_3genE8ELNS1_11target_archE1030ELNS1_3gpuE2ELNS1_3repE0EEENS1_30default_config_static_selectorELNS0_4arch9wavefront6targetE1EEEvT1_,"axG",@progbits,_ZN7rocprim17ROCPRIM_400000_NS6detail17trampoline_kernelINS0_14default_configENS1_27scan_by_key_config_selectorIxxEEZZNS1_16scan_by_key_implILNS1_25lookback_scan_determinismE0ELb0ES3_N6thrust23THRUST_200600_302600_NS6detail15normal_iteratorINS9_10device_ptrIxEEEESE_SE_xNS9_4plusIvEENS9_8equal_toIxEExEE10hipError_tPvRmT2_T3_T4_T5_mT6_T7_P12ihipStream_tbENKUlT_T0_E_clISt17integral_constantIbLb0EESZ_EEDaSU_SV_EUlSU_E_NS1_11comp_targetILNS1_3genE8ELNS1_11target_archE1030ELNS1_3gpuE2ELNS1_3repE0EEENS1_30default_config_static_selectorELNS0_4arch9wavefront6targetE1EEEvT1_,comdat
.Lfunc_end91:
	.size	_ZN7rocprim17ROCPRIM_400000_NS6detail17trampoline_kernelINS0_14default_configENS1_27scan_by_key_config_selectorIxxEEZZNS1_16scan_by_key_implILNS1_25lookback_scan_determinismE0ELb0ES3_N6thrust23THRUST_200600_302600_NS6detail15normal_iteratorINS9_10device_ptrIxEEEESE_SE_xNS9_4plusIvEENS9_8equal_toIxEExEE10hipError_tPvRmT2_T3_T4_T5_mT6_T7_P12ihipStream_tbENKUlT_T0_E_clISt17integral_constantIbLb0EESZ_EEDaSU_SV_EUlSU_E_NS1_11comp_targetILNS1_3genE8ELNS1_11target_archE1030ELNS1_3gpuE2ELNS1_3repE0EEENS1_30default_config_static_selectorELNS0_4arch9wavefront6targetE1EEEvT1_, .Lfunc_end91-_ZN7rocprim17ROCPRIM_400000_NS6detail17trampoline_kernelINS0_14default_configENS1_27scan_by_key_config_selectorIxxEEZZNS1_16scan_by_key_implILNS1_25lookback_scan_determinismE0ELb0ES3_N6thrust23THRUST_200600_302600_NS6detail15normal_iteratorINS9_10device_ptrIxEEEESE_SE_xNS9_4plusIvEENS9_8equal_toIxEExEE10hipError_tPvRmT2_T3_T4_T5_mT6_T7_P12ihipStream_tbENKUlT_T0_E_clISt17integral_constantIbLb0EESZ_EEDaSU_SV_EUlSU_E_NS1_11comp_targetILNS1_3genE8ELNS1_11target_archE1030ELNS1_3gpuE2ELNS1_3repE0EEENS1_30default_config_static_selectorELNS0_4arch9wavefront6targetE1EEEvT1_
                                        ; -- End function
	.section	.AMDGPU.csdata,"",@progbits
; Kernel info:
; codeLenInByte = 0
; NumSgprs: 6
; NumVgprs: 0
; NumAgprs: 0
; TotalNumVgprs: 0
; ScratchSize: 0
; MemoryBound: 0
; FloatMode: 240
; IeeeMode: 1
; LDSByteSize: 0 bytes/workgroup (compile time only)
; SGPRBlocks: 0
; VGPRBlocks: 0
; NumSGPRsForWavesPerEU: 6
; NumVGPRsForWavesPerEU: 1
; AccumOffset: 4
; Occupancy: 8
; WaveLimiterHint : 0
; COMPUTE_PGM_RSRC2:SCRATCH_EN: 0
; COMPUTE_PGM_RSRC2:USER_SGPR: 2
; COMPUTE_PGM_RSRC2:TRAP_HANDLER: 0
; COMPUTE_PGM_RSRC2:TGID_X_EN: 1
; COMPUTE_PGM_RSRC2:TGID_Y_EN: 0
; COMPUTE_PGM_RSRC2:TGID_Z_EN: 0
; COMPUTE_PGM_RSRC2:TIDIG_COMP_CNT: 0
; COMPUTE_PGM_RSRC3_GFX90A:ACCUM_OFFSET: 0
; COMPUTE_PGM_RSRC3_GFX90A:TG_SPLIT: 0
	.section	.text._ZN7rocprim17ROCPRIM_400000_NS6detail17trampoline_kernelINS0_14default_configENS1_27scan_by_key_config_selectorIxxEEZZNS1_16scan_by_key_implILNS1_25lookback_scan_determinismE0ELb0ES3_N6thrust23THRUST_200600_302600_NS6detail15normal_iteratorINS9_10device_ptrIxEEEESE_SE_xNS9_4plusIvEENS9_8equal_toIxEExEE10hipError_tPvRmT2_T3_T4_T5_mT6_T7_P12ihipStream_tbENKUlT_T0_E_clISt17integral_constantIbLb1EESZ_EEDaSU_SV_EUlSU_E_NS1_11comp_targetILNS1_3genE0ELNS1_11target_archE4294967295ELNS1_3gpuE0ELNS1_3repE0EEENS1_30default_config_static_selectorELNS0_4arch9wavefront6targetE1EEEvT1_,"axG",@progbits,_ZN7rocprim17ROCPRIM_400000_NS6detail17trampoline_kernelINS0_14default_configENS1_27scan_by_key_config_selectorIxxEEZZNS1_16scan_by_key_implILNS1_25lookback_scan_determinismE0ELb0ES3_N6thrust23THRUST_200600_302600_NS6detail15normal_iteratorINS9_10device_ptrIxEEEESE_SE_xNS9_4plusIvEENS9_8equal_toIxEExEE10hipError_tPvRmT2_T3_T4_T5_mT6_T7_P12ihipStream_tbENKUlT_T0_E_clISt17integral_constantIbLb1EESZ_EEDaSU_SV_EUlSU_E_NS1_11comp_targetILNS1_3genE0ELNS1_11target_archE4294967295ELNS1_3gpuE0ELNS1_3repE0EEENS1_30default_config_static_selectorELNS0_4arch9wavefront6targetE1EEEvT1_,comdat
	.protected	_ZN7rocprim17ROCPRIM_400000_NS6detail17trampoline_kernelINS0_14default_configENS1_27scan_by_key_config_selectorIxxEEZZNS1_16scan_by_key_implILNS1_25lookback_scan_determinismE0ELb0ES3_N6thrust23THRUST_200600_302600_NS6detail15normal_iteratorINS9_10device_ptrIxEEEESE_SE_xNS9_4plusIvEENS9_8equal_toIxEExEE10hipError_tPvRmT2_T3_T4_T5_mT6_T7_P12ihipStream_tbENKUlT_T0_E_clISt17integral_constantIbLb1EESZ_EEDaSU_SV_EUlSU_E_NS1_11comp_targetILNS1_3genE0ELNS1_11target_archE4294967295ELNS1_3gpuE0ELNS1_3repE0EEENS1_30default_config_static_selectorELNS0_4arch9wavefront6targetE1EEEvT1_ ; -- Begin function _ZN7rocprim17ROCPRIM_400000_NS6detail17trampoline_kernelINS0_14default_configENS1_27scan_by_key_config_selectorIxxEEZZNS1_16scan_by_key_implILNS1_25lookback_scan_determinismE0ELb0ES3_N6thrust23THRUST_200600_302600_NS6detail15normal_iteratorINS9_10device_ptrIxEEEESE_SE_xNS9_4plusIvEENS9_8equal_toIxEExEE10hipError_tPvRmT2_T3_T4_T5_mT6_T7_P12ihipStream_tbENKUlT_T0_E_clISt17integral_constantIbLb1EESZ_EEDaSU_SV_EUlSU_E_NS1_11comp_targetILNS1_3genE0ELNS1_11target_archE4294967295ELNS1_3gpuE0ELNS1_3repE0EEENS1_30default_config_static_selectorELNS0_4arch9wavefront6targetE1EEEvT1_
	.globl	_ZN7rocprim17ROCPRIM_400000_NS6detail17trampoline_kernelINS0_14default_configENS1_27scan_by_key_config_selectorIxxEEZZNS1_16scan_by_key_implILNS1_25lookback_scan_determinismE0ELb0ES3_N6thrust23THRUST_200600_302600_NS6detail15normal_iteratorINS9_10device_ptrIxEEEESE_SE_xNS9_4plusIvEENS9_8equal_toIxEExEE10hipError_tPvRmT2_T3_T4_T5_mT6_T7_P12ihipStream_tbENKUlT_T0_E_clISt17integral_constantIbLb1EESZ_EEDaSU_SV_EUlSU_E_NS1_11comp_targetILNS1_3genE0ELNS1_11target_archE4294967295ELNS1_3gpuE0ELNS1_3repE0EEENS1_30default_config_static_selectorELNS0_4arch9wavefront6targetE1EEEvT1_
	.p2align	8
	.type	_ZN7rocprim17ROCPRIM_400000_NS6detail17trampoline_kernelINS0_14default_configENS1_27scan_by_key_config_selectorIxxEEZZNS1_16scan_by_key_implILNS1_25lookback_scan_determinismE0ELb0ES3_N6thrust23THRUST_200600_302600_NS6detail15normal_iteratorINS9_10device_ptrIxEEEESE_SE_xNS9_4plusIvEENS9_8equal_toIxEExEE10hipError_tPvRmT2_T3_T4_T5_mT6_T7_P12ihipStream_tbENKUlT_T0_E_clISt17integral_constantIbLb1EESZ_EEDaSU_SV_EUlSU_E_NS1_11comp_targetILNS1_3genE0ELNS1_11target_archE4294967295ELNS1_3gpuE0ELNS1_3repE0EEENS1_30default_config_static_selectorELNS0_4arch9wavefront6targetE1EEEvT1_,@function
_ZN7rocprim17ROCPRIM_400000_NS6detail17trampoline_kernelINS0_14default_configENS1_27scan_by_key_config_selectorIxxEEZZNS1_16scan_by_key_implILNS1_25lookback_scan_determinismE0ELb0ES3_N6thrust23THRUST_200600_302600_NS6detail15normal_iteratorINS9_10device_ptrIxEEEESE_SE_xNS9_4plusIvEENS9_8equal_toIxEExEE10hipError_tPvRmT2_T3_T4_T5_mT6_T7_P12ihipStream_tbENKUlT_T0_E_clISt17integral_constantIbLb1EESZ_EEDaSU_SV_EUlSU_E_NS1_11comp_targetILNS1_3genE0ELNS1_11target_archE4294967295ELNS1_3gpuE0ELNS1_3repE0EEENS1_30default_config_static_selectorELNS0_4arch9wavefront6targetE1EEEvT1_: ; @_ZN7rocprim17ROCPRIM_400000_NS6detail17trampoline_kernelINS0_14default_configENS1_27scan_by_key_config_selectorIxxEEZZNS1_16scan_by_key_implILNS1_25lookback_scan_determinismE0ELb0ES3_N6thrust23THRUST_200600_302600_NS6detail15normal_iteratorINS9_10device_ptrIxEEEESE_SE_xNS9_4plusIvEENS9_8equal_toIxEExEE10hipError_tPvRmT2_T3_T4_T5_mT6_T7_P12ihipStream_tbENKUlT_T0_E_clISt17integral_constantIbLb1EESZ_EEDaSU_SV_EUlSU_E_NS1_11comp_targetILNS1_3genE0ELNS1_11target_archE4294967295ELNS1_3gpuE0ELNS1_3repE0EEENS1_30default_config_static_selectorELNS0_4arch9wavefront6targetE1EEEvT1_
; %bb.0:
	.section	.rodata,"a",@progbits
	.p2align	6, 0x0
	.amdhsa_kernel _ZN7rocprim17ROCPRIM_400000_NS6detail17trampoline_kernelINS0_14default_configENS1_27scan_by_key_config_selectorIxxEEZZNS1_16scan_by_key_implILNS1_25lookback_scan_determinismE0ELb0ES3_N6thrust23THRUST_200600_302600_NS6detail15normal_iteratorINS9_10device_ptrIxEEEESE_SE_xNS9_4plusIvEENS9_8equal_toIxEExEE10hipError_tPvRmT2_T3_T4_T5_mT6_T7_P12ihipStream_tbENKUlT_T0_E_clISt17integral_constantIbLb1EESZ_EEDaSU_SV_EUlSU_E_NS1_11comp_targetILNS1_3genE0ELNS1_11target_archE4294967295ELNS1_3gpuE0ELNS1_3repE0EEENS1_30default_config_static_selectorELNS0_4arch9wavefront6targetE1EEEvT1_
		.amdhsa_group_segment_fixed_size 0
		.amdhsa_private_segment_fixed_size 0
		.amdhsa_kernarg_size 136
		.amdhsa_user_sgpr_count 2
		.amdhsa_user_sgpr_dispatch_ptr 0
		.amdhsa_user_sgpr_queue_ptr 0
		.amdhsa_user_sgpr_kernarg_segment_ptr 1
		.amdhsa_user_sgpr_dispatch_id 0
		.amdhsa_user_sgpr_kernarg_preload_length 0
		.amdhsa_user_sgpr_kernarg_preload_offset 0
		.amdhsa_user_sgpr_private_segment_size 0
		.amdhsa_uses_dynamic_stack 0
		.amdhsa_enable_private_segment 0
		.amdhsa_system_sgpr_workgroup_id_x 1
		.amdhsa_system_sgpr_workgroup_id_y 0
		.amdhsa_system_sgpr_workgroup_id_z 0
		.amdhsa_system_sgpr_workgroup_info 0
		.amdhsa_system_vgpr_workitem_id 0
		.amdhsa_next_free_vgpr 1
		.amdhsa_next_free_sgpr 0
		.amdhsa_accum_offset 4
		.amdhsa_reserve_vcc 0
		.amdhsa_float_round_mode_32 0
		.amdhsa_float_round_mode_16_64 0
		.amdhsa_float_denorm_mode_32 3
		.amdhsa_float_denorm_mode_16_64 3
		.amdhsa_dx10_clamp 1
		.amdhsa_ieee_mode 1
		.amdhsa_fp16_overflow 0
		.amdhsa_tg_split 0
		.amdhsa_exception_fp_ieee_invalid_op 0
		.amdhsa_exception_fp_denorm_src 0
		.amdhsa_exception_fp_ieee_div_zero 0
		.amdhsa_exception_fp_ieee_overflow 0
		.amdhsa_exception_fp_ieee_underflow 0
		.amdhsa_exception_fp_ieee_inexact 0
		.amdhsa_exception_int_div_zero 0
	.end_amdhsa_kernel
	.section	.text._ZN7rocprim17ROCPRIM_400000_NS6detail17trampoline_kernelINS0_14default_configENS1_27scan_by_key_config_selectorIxxEEZZNS1_16scan_by_key_implILNS1_25lookback_scan_determinismE0ELb0ES3_N6thrust23THRUST_200600_302600_NS6detail15normal_iteratorINS9_10device_ptrIxEEEESE_SE_xNS9_4plusIvEENS9_8equal_toIxEExEE10hipError_tPvRmT2_T3_T4_T5_mT6_T7_P12ihipStream_tbENKUlT_T0_E_clISt17integral_constantIbLb1EESZ_EEDaSU_SV_EUlSU_E_NS1_11comp_targetILNS1_3genE0ELNS1_11target_archE4294967295ELNS1_3gpuE0ELNS1_3repE0EEENS1_30default_config_static_selectorELNS0_4arch9wavefront6targetE1EEEvT1_,"axG",@progbits,_ZN7rocprim17ROCPRIM_400000_NS6detail17trampoline_kernelINS0_14default_configENS1_27scan_by_key_config_selectorIxxEEZZNS1_16scan_by_key_implILNS1_25lookback_scan_determinismE0ELb0ES3_N6thrust23THRUST_200600_302600_NS6detail15normal_iteratorINS9_10device_ptrIxEEEESE_SE_xNS9_4plusIvEENS9_8equal_toIxEExEE10hipError_tPvRmT2_T3_T4_T5_mT6_T7_P12ihipStream_tbENKUlT_T0_E_clISt17integral_constantIbLb1EESZ_EEDaSU_SV_EUlSU_E_NS1_11comp_targetILNS1_3genE0ELNS1_11target_archE4294967295ELNS1_3gpuE0ELNS1_3repE0EEENS1_30default_config_static_selectorELNS0_4arch9wavefront6targetE1EEEvT1_,comdat
.Lfunc_end92:
	.size	_ZN7rocprim17ROCPRIM_400000_NS6detail17trampoline_kernelINS0_14default_configENS1_27scan_by_key_config_selectorIxxEEZZNS1_16scan_by_key_implILNS1_25lookback_scan_determinismE0ELb0ES3_N6thrust23THRUST_200600_302600_NS6detail15normal_iteratorINS9_10device_ptrIxEEEESE_SE_xNS9_4plusIvEENS9_8equal_toIxEExEE10hipError_tPvRmT2_T3_T4_T5_mT6_T7_P12ihipStream_tbENKUlT_T0_E_clISt17integral_constantIbLb1EESZ_EEDaSU_SV_EUlSU_E_NS1_11comp_targetILNS1_3genE0ELNS1_11target_archE4294967295ELNS1_3gpuE0ELNS1_3repE0EEENS1_30default_config_static_selectorELNS0_4arch9wavefront6targetE1EEEvT1_, .Lfunc_end92-_ZN7rocprim17ROCPRIM_400000_NS6detail17trampoline_kernelINS0_14default_configENS1_27scan_by_key_config_selectorIxxEEZZNS1_16scan_by_key_implILNS1_25lookback_scan_determinismE0ELb0ES3_N6thrust23THRUST_200600_302600_NS6detail15normal_iteratorINS9_10device_ptrIxEEEESE_SE_xNS9_4plusIvEENS9_8equal_toIxEExEE10hipError_tPvRmT2_T3_T4_T5_mT6_T7_P12ihipStream_tbENKUlT_T0_E_clISt17integral_constantIbLb1EESZ_EEDaSU_SV_EUlSU_E_NS1_11comp_targetILNS1_3genE0ELNS1_11target_archE4294967295ELNS1_3gpuE0ELNS1_3repE0EEENS1_30default_config_static_selectorELNS0_4arch9wavefront6targetE1EEEvT1_
                                        ; -- End function
	.section	.AMDGPU.csdata,"",@progbits
; Kernel info:
; codeLenInByte = 0
; NumSgprs: 6
; NumVgprs: 0
; NumAgprs: 0
; TotalNumVgprs: 0
; ScratchSize: 0
; MemoryBound: 0
; FloatMode: 240
; IeeeMode: 1
; LDSByteSize: 0 bytes/workgroup (compile time only)
; SGPRBlocks: 0
; VGPRBlocks: 0
; NumSGPRsForWavesPerEU: 6
; NumVGPRsForWavesPerEU: 1
; AccumOffset: 4
; Occupancy: 8
; WaveLimiterHint : 0
; COMPUTE_PGM_RSRC2:SCRATCH_EN: 0
; COMPUTE_PGM_RSRC2:USER_SGPR: 2
; COMPUTE_PGM_RSRC2:TRAP_HANDLER: 0
; COMPUTE_PGM_RSRC2:TGID_X_EN: 1
; COMPUTE_PGM_RSRC2:TGID_Y_EN: 0
; COMPUTE_PGM_RSRC2:TGID_Z_EN: 0
; COMPUTE_PGM_RSRC2:TIDIG_COMP_CNT: 0
; COMPUTE_PGM_RSRC3_GFX90A:ACCUM_OFFSET: 0
; COMPUTE_PGM_RSRC3_GFX90A:TG_SPLIT: 0
	.section	.text._ZN7rocprim17ROCPRIM_400000_NS6detail17trampoline_kernelINS0_14default_configENS1_27scan_by_key_config_selectorIxxEEZZNS1_16scan_by_key_implILNS1_25lookback_scan_determinismE0ELb0ES3_N6thrust23THRUST_200600_302600_NS6detail15normal_iteratorINS9_10device_ptrIxEEEESE_SE_xNS9_4plusIvEENS9_8equal_toIxEExEE10hipError_tPvRmT2_T3_T4_T5_mT6_T7_P12ihipStream_tbENKUlT_T0_E_clISt17integral_constantIbLb1EESZ_EEDaSU_SV_EUlSU_E_NS1_11comp_targetILNS1_3genE10ELNS1_11target_archE1201ELNS1_3gpuE5ELNS1_3repE0EEENS1_30default_config_static_selectorELNS0_4arch9wavefront6targetE1EEEvT1_,"axG",@progbits,_ZN7rocprim17ROCPRIM_400000_NS6detail17trampoline_kernelINS0_14default_configENS1_27scan_by_key_config_selectorIxxEEZZNS1_16scan_by_key_implILNS1_25lookback_scan_determinismE0ELb0ES3_N6thrust23THRUST_200600_302600_NS6detail15normal_iteratorINS9_10device_ptrIxEEEESE_SE_xNS9_4plusIvEENS9_8equal_toIxEExEE10hipError_tPvRmT2_T3_T4_T5_mT6_T7_P12ihipStream_tbENKUlT_T0_E_clISt17integral_constantIbLb1EESZ_EEDaSU_SV_EUlSU_E_NS1_11comp_targetILNS1_3genE10ELNS1_11target_archE1201ELNS1_3gpuE5ELNS1_3repE0EEENS1_30default_config_static_selectorELNS0_4arch9wavefront6targetE1EEEvT1_,comdat
	.protected	_ZN7rocprim17ROCPRIM_400000_NS6detail17trampoline_kernelINS0_14default_configENS1_27scan_by_key_config_selectorIxxEEZZNS1_16scan_by_key_implILNS1_25lookback_scan_determinismE0ELb0ES3_N6thrust23THRUST_200600_302600_NS6detail15normal_iteratorINS9_10device_ptrIxEEEESE_SE_xNS9_4plusIvEENS9_8equal_toIxEExEE10hipError_tPvRmT2_T3_T4_T5_mT6_T7_P12ihipStream_tbENKUlT_T0_E_clISt17integral_constantIbLb1EESZ_EEDaSU_SV_EUlSU_E_NS1_11comp_targetILNS1_3genE10ELNS1_11target_archE1201ELNS1_3gpuE5ELNS1_3repE0EEENS1_30default_config_static_selectorELNS0_4arch9wavefront6targetE1EEEvT1_ ; -- Begin function _ZN7rocprim17ROCPRIM_400000_NS6detail17trampoline_kernelINS0_14default_configENS1_27scan_by_key_config_selectorIxxEEZZNS1_16scan_by_key_implILNS1_25lookback_scan_determinismE0ELb0ES3_N6thrust23THRUST_200600_302600_NS6detail15normal_iteratorINS9_10device_ptrIxEEEESE_SE_xNS9_4plusIvEENS9_8equal_toIxEExEE10hipError_tPvRmT2_T3_T4_T5_mT6_T7_P12ihipStream_tbENKUlT_T0_E_clISt17integral_constantIbLb1EESZ_EEDaSU_SV_EUlSU_E_NS1_11comp_targetILNS1_3genE10ELNS1_11target_archE1201ELNS1_3gpuE5ELNS1_3repE0EEENS1_30default_config_static_selectorELNS0_4arch9wavefront6targetE1EEEvT1_
	.globl	_ZN7rocprim17ROCPRIM_400000_NS6detail17trampoline_kernelINS0_14default_configENS1_27scan_by_key_config_selectorIxxEEZZNS1_16scan_by_key_implILNS1_25lookback_scan_determinismE0ELb0ES3_N6thrust23THRUST_200600_302600_NS6detail15normal_iteratorINS9_10device_ptrIxEEEESE_SE_xNS9_4plusIvEENS9_8equal_toIxEExEE10hipError_tPvRmT2_T3_T4_T5_mT6_T7_P12ihipStream_tbENKUlT_T0_E_clISt17integral_constantIbLb1EESZ_EEDaSU_SV_EUlSU_E_NS1_11comp_targetILNS1_3genE10ELNS1_11target_archE1201ELNS1_3gpuE5ELNS1_3repE0EEENS1_30default_config_static_selectorELNS0_4arch9wavefront6targetE1EEEvT1_
	.p2align	8
	.type	_ZN7rocprim17ROCPRIM_400000_NS6detail17trampoline_kernelINS0_14default_configENS1_27scan_by_key_config_selectorIxxEEZZNS1_16scan_by_key_implILNS1_25lookback_scan_determinismE0ELb0ES3_N6thrust23THRUST_200600_302600_NS6detail15normal_iteratorINS9_10device_ptrIxEEEESE_SE_xNS9_4plusIvEENS9_8equal_toIxEExEE10hipError_tPvRmT2_T3_T4_T5_mT6_T7_P12ihipStream_tbENKUlT_T0_E_clISt17integral_constantIbLb1EESZ_EEDaSU_SV_EUlSU_E_NS1_11comp_targetILNS1_3genE10ELNS1_11target_archE1201ELNS1_3gpuE5ELNS1_3repE0EEENS1_30default_config_static_selectorELNS0_4arch9wavefront6targetE1EEEvT1_,@function
_ZN7rocprim17ROCPRIM_400000_NS6detail17trampoline_kernelINS0_14default_configENS1_27scan_by_key_config_selectorIxxEEZZNS1_16scan_by_key_implILNS1_25lookback_scan_determinismE0ELb0ES3_N6thrust23THRUST_200600_302600_NS6detail15normal_iteratorINS9_10device_ptrIxEEEESE_SE_xNS9_4plusIvEENS9_8equal_toIxEExEE10hipError_tPvRmT2_T3_T4_T5_mT6_T7_P12ihipStream_tbENKUlT_T0_E_clISt17integral_constantIbLb1EESZ_EEDaSU_SV_EUlSU_E_NS1_11comp_targetILNS1_3genE10ELNS1_11target_archE1201ELNS1_3gpuE5ELNS1_3repE0EEENS1_30default_config_static_selectorELNS0_4arch9wavefront6targetE1EEEvT1_: ; @_ZN7rocprim17ROCPRIM_400000_NS6detail17trampoline_kernelINS0_14default_configENS1_27scan_by_key_config_selectorIxxEEZZNS1_16scan_by_key_implILNS1_25lookback_scan_determinismE0ELb0ES3_N6thrust23THRUST_200600_302600_NS6detail15normal_iteratorINS9_10device_ptrIxEEEESE_SE_xNS9_4plusIvEENS9_8equal_toIxEExEE10hipError_tPvRmT2_T3_T4_T5_mT6_T7_P12ihipStream_tbENKUlT_T0_E_clISt17integral_constantIbLb1EESZ_EEDaSU_SV_EUlSU_E_NS1_11comp_targetILNS1_3genE10ELNS1_11target_archE1201ELNS1_3gpuE5ELNS1_3repE0EEENS1_30default_config_static_selectorELNS0_4arch9wavefront6targetE1EEEvT1_
; %bb.0:
	.section	.rodata,"a",@progbits
	.p2align	6, 0x0
	.amdhsa_kernel _ZN7rocprim17ROCPRIM_400000_NS6detail17trampoline_kernelINS0_14default_configENS1_27scan_by_key_config_selectorIxxEEZZNS1_16scan_by_key_implILNS1_25lookback_scan_determinismE0ELb0ES3_N6thrust23THRUST_200600_302600_NS6detail15normal_iteratorINS9_10device_ptrIxEEEESE_SE_xNS9_4plusIvEENS9_8equal_toIxEExEE10hipError_tPvRmT2_T3_T4_T5_mT6_T7_P12ihipStream_tbENKUlT_T0_E_clISt17integral_constantIbLb1EESZ_EEDaSU_SV_EUlSU_E_NS1_11comp_targetILNS1_3genE10ELNS1_11target_archE1201ELNS1_3gpuE5ELNS1_3repE0EEENS1_30default_config_static_selectorELNS0_4arch9wavefront6targetE1EEEvT1_
		.amdhsa_group_segment_fixed_size 0
		.amdhsa_private_segment_fixed_size 0
		.amdhsa_kernarg_size 136
		.amdhsa_user_sgpr_count 2
		.amdhsa_user_sgpr_dispatch_ptr 0
		.amdhsa_user_sgpr_queue_ptr 0
		.amdhsa_user_sgpr_kernarg_segment_ptr 1
		.amdhsa_user_sgpr_dispatch_id 0
		.amdhsa_user_sgpr_kernarg_preload_length 0
		.amdhsa_user_sgpr_kernarg_preload_offset 0
		.amdhsa_user_sgpr_private_segment_size 0
		.amdhsa_uses_dynamic_stack 0
		.amdhsa_enable_private_segment 0
		.amdhsa_system_sgpr_workgroup_id_x 1
		.amdhsa_system_sgpr_workgroup_id_y 0
		.amdhsa_system_sgpr_workgroup_id_z 0
		.amdhsa_system_sgpr_workgroup_info 0
		.amdhsa_system_vgpr_workitem_id 0
		.amdhsa_next_free_vgpr 1
		.amdhsa_next_free_sgpr 0
		.amdhsa_accum_offset 4
		.amdhsa_reserve_vcc 0
		.amdhsa_float_round_mode_32 0
		.amdhsa_float_round_mode_16_64 0
		.amdhsa_float_denorm_mode_32 3
		.amdhsa_float_denorm_mode_16_64 3
		.amdhsa_dx10_clamp 1
		.amdhsa_ieee_mode 1
		.amdhsa_fp16_overflow 0
		.amdhsa_tg_split 0
		.amdhsa_exception_fp_ieee_invalid_op 0
		.amdhsa_exception_fp_denorm_src 0
		.amdhsa_exception_fp_ieee_div_zero 0
		.amdhsa_exception_fp_ieee_overflow 0
		.amdhsa_exception_fp_ieee_underflow 0
		.amdhsa_exception_fp_ieee_inexact 0
		.amdhsa_exception_int_div_zero 0
	.end_amdhsa_kernel
	.section	.text._ZN7rocprim17ROCPRIM_400000_NS6detail17trampoline_kernelINS0_14default_configENS1_27scan_by_key_config_selectorIxxEEZZNS1_16scan_by_key_implILNS1_25lookback_scan_determinismE0ELb0ES3_N6thrust23THRUST_200600_302600_NS6detail15normal_iteratorINS9_10device_ptrIxEEEESE_SE_xNS9_4plusIvEENS9_8equal_toIxEExEE10hipError_tPvRmT2_T3_T4_T5_mT6_T7_P12ihipStream_tbENKUlT_T0_E_clISt17integral_constantIbLb1EESZ_EEDaSU_SV_EUlSU_E_NS1_11comp_targetILNS1_3genE10ELNS1_11target_archE1201ELNS1_3gpuE5ELNS1_3repE0EEENS1_30default_config_static_selectorELNS0_4arch9wavefront6targetE1EEEvT1_,"axG",@progbits,_ZN7rocprim17ROCPRIM_400000_NS6detail17trampoline_kernelINS0_14default_configENS1_27scan_by_key_config_selectorIxxEEZZNS1_16scan_by_key_implILNS1_25lookback_scan_determinismE0ELb0ES3_N6thrust23THRUST_200600_302600_NS6detail15normal_iteratorINS9_10device_ptrIxEEEESE_SE_xNS9_4plusIvEENS9_8equal_toIxEExEE10hipError_tPvRmT2_T3_T4_T5_mT6_T7_P12ihipStream_tbENKUlT_T0_E_clISt17integral_constantIbLb1EESZ_EEDaSU_SV_EUlSU_E_NS1_11comp_targetILNS1_3genE10ELNS1_11target_archE1201ELNS1_3gpuE5ELNS1_3repE0EEENS1_30default_config_static_selectorELNS0_4arch9wavefront6targetE1EEEvT1_,comdat
.Lfunc_end93:
	.size	_ZN7rocprim17ROCPRIM_400000_NS6detail17trampoline_kernelINS0_14default_configENS1_27scan_by_key_config_selectorIxxEEZZNS1_16scan_by_key_implILNS1_25lookback_scan_determinismE0ELb0ES3_N6thrust23THRUST_200600_302600_NS6detail15normal_iteratorINS9_10device_ptrIxEEEESE_SE_xNS9_4plusIvEENS9_8equal_toIxEExEE10hipError_tPvRmT2_T3_T4_T5_mT6_T7_P12ihipStream_tbENKUlT_T0_E_clISt17integral_constantIbLb1EESZ_EEDaSU_SV_EUlSU_E_NS1_11comp_targetILNS1_3genE10ELNS1_11target_archE1201ELNS1_3gpuE5ELNS1_3repE0EEENS1_30default_config_static_selectorELNS0_4arch9wavefront6targetE1EEEvT1_, .Lfunc_end93-_ZN7rocprim17ROCPRIM_400000_NS6detail17trampoline_kernelINS0_14default_configENS1_27scan_by_key_config_selectorIxxEEZZNS1_16scan_by_key_implILNS1_25lookback_scan_determinismE0ELb0ES3_N6thrust23THRUST_200600_302600_NS6detail15normal_iteratorINS9_10device_ptrIxEEEESE_SE_xNS9_4plusIvEENS9_8equal_toIxEExEE10hipError_tPvRmT2_T3_T4_T5_mT6_T7_P12ihipStream_tbENKUlT_T0_E_clISt17integral_constantIbLb1EESZ_EEDaSU_SV_EUlSU_E_NS1_11comp_targetILNS1_3genE10ELNS1_11target_archE1201ELNS1_3gpuE5ELNS1_3repE0EEENS1_30default_config_static_selectorELNS0_4arch9wavefront6targetE1EEEvT1_
                                        ; -- End function
	.section	.AMDGPU.csdata,"",@progbits
; Kernel info:
; codeLenInByte = 0
; NumSgprs: 6
; NumVgprs: 0
; NumAgprs: 0
; TotalNumVgprs: 0
; ScratchSize: 0
; MemoryBound: 0
; FloatMode: 240
; IeeeMode: 1
; LDSByteSize: 0 bytes/workgroup (compile time only)
; SGPRBlocks: 0
; VGPRBlocks: 0
; NumSGPRsForWavesPerEU: 6
; NumVGPRsForWavesPerEU: 1
; AccumOffset: 4
; Occupancy: 8
; WaveLimiterHint : 0
; COMPUTE_PGM_RSRC2:SCRATCH_EN: 0
; COMPUTE_PGM_RSRC2:USER_SGPR: 2
; COMPUTE_PGM_RSRC2:TRAP_HANDLER: 0
; COMPUTE_PGM_RSRC2:TGID_X_EN: 1
; COMPUTE_PGM_RSRC2:TGID_Y_EN: 0
; COMPUTE_PGM_RSRC2:TGID_Z_EN: 0
; COMPUTE_PGM_RSRC2:TIDIG_COMP_CNT: 0
; COMPUTE_PGM_RSRC3_GFX90A:ACCUM_OFFSET: 0
; COMPUTE_PGM_RSRC3_GFX90A:TG_SPLIT: 0
	.section	.text._ZN7rocprim17ROCPRIM_400000_NS6detail17trampoline_kernelINS0_14default_configENS1_27scan_by_key_config_selectorIxxEEZZNS1_16scan_by_key_implILNS1_25lookback_scan_determinismE0ELb0ES3_N6thrust23THRUST_200600_302600_NS6detail15normal_iteratorINS9_10device_ptrIxEEEESE_SE_xNS9_4plusIvEENS9_8equal_toIxEExEE10hipError_tPvRmT2_T3_T4_T5_mT6_T7_P12ihipStream_tbENKUlT_T0_E_clISt17integral_constantIbLb1EESZ_EEDaSU_SV_EUlSU_E_NS1_11comp_targetILNS1_3genE5ELNS1_11target_archE942ELNS1_3gpuE9ELNS1_3repE0EEENS1_30default_config_static_selectorELNS0_4arch9wavefront6targetE1EEEvT1_,"axG",@progbits,_ZN7rocprim17ROCPRIM_400000_NS6detail17trampoline_kernelINS0_14default_configENS1_27scan_by_key_config_selectorIxxEEZZNS1_16scan_by_key_implILNS1_25lookback_scan_determinismE0ELb0ES3_N6thrust23THRUST_200600_302600_NS6detail15normal_iteratorINS9_10device_ptrIxEEEESE_SE_xNS9_4plusIvEENS9_8equal_toIxEExEE10hipError_tPvRmT2_T3_T4_T5_mT6_T7_P12ihipStream_tbENKUlT_T0_E_clISt17integral_constantIbLb1EESZ_EEDaSU_SV_EUlSU_E_NS1_11comp_targetILNS1_3genE5ELNS1_11target_archE942ELNS1_3gpuE9ELNS1_3repE0EEENS1_30default_config_static_selectorELNS0_4arch9wavefront6targetE1EEEvT1_,comdat
	.protected	_ZN7rocprim17ROCPRIM_400000_NS6detail17trampoline_kernelINS0_14default_configENS1_27scan_by_key_config_selectorIxxEEZZNS1_16scan_by_key_implILNS1_25lookback_scan_determinismE0ELb0ES3_N6thrust23THRUST_200600_302600_NS6detail15normal_iteratorINS9_10device_ptrIxEEEESE_SE_xNS9_4plusIvEENS9_8equal_toIxEExEE10hipError_tPvRmT2_T3_T4_T5_mT6_T7_P12ihipStream_tbENKUlT_T0_E_clISt17integral_constantIbLb1EESZ_EEDaSU_SV_EUlSU_E_NS1_11comp_targetILNS1_3genE5ELNS1_11target_archE942ELNS1_3gpuE9ELNS1_3repE0EEENS1_30default_config_static_selectorELNS0_4arch9wavefront6targetE1EEEvT1_ ; -- Begin function _ZN7rocprim17ROCPRIM_400000_NS6detail17trampoline_kernelINS0_14default_configENS1_27scan_by_key_config_selectorIxxEEZZNS1_16scan_by_key_implILNS1_25lookback_scan_determinismE0ELb0ES3_N6thrust23THRUST_200600_302600_NS6detail15normal_iteratorINS9_10device_ptrIxEEEESE_SE_xNS9_4plusIvEENS9_8equal_toIxEExEE10hipError_tPvRmT2_T3_T4_T5_mT6_T7_P12ihipStream_tbENKUlT_T0_E_clISt17integral_constantIbLb1EESZ_EEDaSU_SV_EUlSU_E_NS1_11comp_targetILNS1_3genE5ELNS1_11target_archE942ELNS1_3gpuE9ELNS1_3repE0EEENS1_30default_config_static_selectorELNS0_4arch9wavefront6targetE1EEEvT1_
	.globl	_ZN7rocprim17ROCPRIM_400000_NS6detail17trampoline_kernelINS0_14default_configENS1_27scan_by_key_config_selectorIxxEEZZNS1_16scan_by_key_implILNS1_25lookback_scan_determinismE0ELb0ES3_N6thrust23THRUST_200600_302600_NS6detail15normal_iteratorINS9_10device_ptrIxEEEESE_SE_xNS9_4plusIvEENS9_8equal_toIxEExEE10hipError_tPvRmT2_T3_T4_T5_mT6_T7_P12ihipStream_tbENKUlT_T0_E_clISt17integral_constantIbLb1EESZ_EEDaSU_SV_EUlSU_E_NS1_11comp_targetILNS1_3genE5ELNS1_11target_archE942ELNS1_3gpuE9ELNS1_3repE0EEENS1_30default_config_static_selectorELNS0_4arch9wavefront6targetE1EEEvT1_
	.p2align	8
	.type	_ZN7rocprim17ROCPRIM_400000_NS6detail17trampoline_kernelINS0_14default_configENS1_27scan_by_key_config_selectorIxxEEZZNS1_16scan_by_key_implILNS1_25lookback_scan_determinismE0ELb0ES3_N6thrust23THRUST_200600_302600_NS6detail15normal_iteratorINS9_10device_ptrIxEEEESE_SE_xNS9_4plusIvEENS9_8equal_toIxEExEE10hipError_tPvRmT2_T3_T4_T5_mT6_T7_P12ihipStream_tbENKUlT_T0_E_clISt17integral_constantIbLb1EESZ_EEDaSU_SV_EUlSU_E_NS1_11comp_targetILNS1_3genE5ELNS1_11target_archE942ELNS1_3gpuE9ELNS1_3repE0EEENS1_30default_config_static_selectorELNS0_4arch9wavefront6targetE1EEEvT1_,@function
_ZN7rocprim17ROCPRIM_400000_NS6detail17trampoline_kernelINS0_14default_configENS1_27scan_by_key_config_selectorIxxEEZZNS1_16scan_by_key_implILNS1_25lookback_scan_determinismE0ELb0ES3_N6thrust23THRUST_200600_302600_NS6detail15normal_iteratorINS9_10device_ptrIxEEEESE_SE_xNS9_4plusIvEENS9_8equal_toIxEExEE10hipError_tPvRmT2_T3_T4_T5_mT6_T7_P12ihipStream_tbENKUlT_T0_E_clISt17integral_constantIbLb1EESZ_EEDaSU_SV_EUlSU_E_NS1_11comp_targetILNS1_3genE5ELNS1_11target_archE942ELNS1_3gpuE9ELNS1_3repE0EEENS1_30default_config_static_selectorELNS0_4arch9wavefront6targetE1EEEvT1_: ; @_ZN7rocprim17ROCPRIM_400000_NS6detail17trampoline_kernelINS0_14default_configENS1_27scan_by_key_config_selectorIxxEEZZNS1_16scan_by_key_implILNS1_25lookback_scan_determinismE0ELb0ES3_N6thrust23THRUST_200600_302600_NS6detail15normal_iteratorINS9_10device_ptrIxEEEESE_SE_xNS9_4plusIvEENS9_8equal_toIxEExEE10hipError_tPvRmT2_T3_T4_T5_mT6_T7_P12ihipStream_tbENKUlT_T0_E_clISt17integral_constantIbLb1EESZ_EEDaSU_SV_EUlSU_E_NS1_11comp_targetILNS1_3genE5ELNS1_11target_archE942ELNS1_3gpuE9ELNS1_3repE0EEENS1_30default_config_static_selectorELNS0_4arch9wavefront6targetE1EEEvT1_
; %bb.0:
	s_load_dwordx8 s[40:47], s[0:1], 0x30
	s_load_dwordx2 s[64:65], s[0:1], 0x50
	v_cmp_ne_u32_e64 s[4:5], 0, v0
	v_cmp_eq_u32_e64 s[36:37], 0, v0
	s_and_saveexec_b64 s[2:3], s[36:37]
	s_cbranch_execz .LBB94_4
; %bb.1:
	s_mov_b64 s[8:9], exec
	v_mbcnt_lo_u32_b32 v1, s8, 0
	v_mbcnt_hi_u32_b32 v1, s9, v1
	v_cmp_eq_u32_e32 vcc, 0, v1
                                        ; implicit-def: $vgpr2
	s_and_saveexec_b64 s[6:7], vcc
	s_cbranch_execz .LBB94_3
; %bb.2:
	s_load_dwordx2 s[10:11], s[0:1], 0x80
	s_bcnt1_i32_b64 s8, s[8:9]
	v_mov_b32_e32 v2, 0
	v_mov_b32_e32 v3, s8
	s_waitcnt lgkmcnt(0)
	global_atomic_add v2, v2, v3, s[10:11] sc0
.LBB94_3:
	s_or_b64 exec, exec, s[6:7]
	s_waitcnt vmcnt(0)
	v_readfirstlane_b32 s6, v2
	v_mov_b32_e32 v2, 0
	s_nop 0
	v_add_u32_e32 v1, s6, v1
	ds_write_b32 v2, v1
.LBB94_4:
	s_or_b64 exec, exec, s[2:3]
	s_load_dwordx8 s[48:55], s[0:1], 0x0
	s_load_dword s2, s[0:1], 0x58
	s_load_dwordx8 s[56:63], s[0:1], 0x60
	v_mov_b32_e32 v1, 0
	s_waitcnt lgkmcnt(0)
	s_barrier
	ds_read_b32 v1, v1
	s_lshl_b64 s[38:39], s[50:51], 3
	s_add_u32 s3, s48, s38
	s_addc_u32 s6, s49, s39
	s_add_u32 s7, s52, s38
	s_mul_i32 s0, s65, s2
	s_mul_hi_u32 s1, s64, s2
	s_addc_u32 s8, s53, s39
	s_add_i32 s9, s1, s0
	s_waitcnt lgkmcnt(0)
	v_readfirstlane_b32 s47, v1
	s_cmp_lg_u64 s[60:61], 0
	s_mov_b32 s1, 0
	s_mul_i32 s0, s47, 0xe00
	s_cselect_b64 s[60:61], -1, 0
	s_lshl_b64 s[48:49], s[0:1], 3
	s_add_u32 s52, s3, s48
	s_addc_u32 s53, s6, s49
	s_add_u32 s50, s7, s48
	s_mul_i32 s2, s64, s2
	s_addc_u32 s51, s8, s49
	s_add_u32 s66, s2, s47
	s_addc_u32 s67, s9, 0
	s_add_u32 s0, s56, -1
	s_addc_u32 s1, s57, -1
	v_mov_b64_e32 v[2:3], s[0:1]
	v_cmp_ge_u64_e64 s[2:3], s[66:67], v[2:3]
	s_mov_b64 s[10:11], 0
	s_mov_b64 s[6:7], -1
	s_and_b64 vcc, exec, s[2:3]
	s_mul_i32 s33, s0, 0xfffff200
	s_barrier
	s_barrier
	s_cbranch_vccz .LBB94_81
; %bb.5:
	v_mov_b64_e32 v[2:3], s[52:53]
	flat_load_dwordx2 v[4:5], v[2:3]
	s_add_i32 s69, s33, s46
	v_cmp_gt_u32_e64 s[6:7], s69, v0
	s_waitcnt vmcnt(0) lgkmcnt(0)
	v_mov_b64_e32 v[6:7], v[4:5]
	s_and_saveexec_b64 s[0:1], s[6:7]
	s_cbranch_execz .LBB94_7
; %bb.6:
	v_lshlrev_b32_e32 v2, 3, v0
	v_mov_b32_e32 v3, 0
	v_lshl_add_u64 v[2:3], s[52:53], 0, v[2:3]
	flat_load_dwordx2 v[6:7], v[2:3]
.LBB94_7:
	s_or_b64 exec, exec, s[0:1]
	v_or_b32_e32 v1, 0x100, v0
	v_cmp_gt_u32_e64 s[8:9], s69, v1
	v_mov_b64_e32 v[8:9], v[4:5]
	s_and_saveexec_b64 s[0:1], s[8:9]
	s_cbranch_execz .LBB94_9
; %bb.8:
	v_lshlrev_b32_e32 v2, 3, v0
	v_mov_b32_e32 v3, 0
	v_lshl_add_u64 v[2:3], s[52:53], 0, v[2:3]
	flat_load_dwordx2 v[8:9], v[2:3] offset:2048
.LBB94_9:
	s_or_b64 exec, exec, s[0:1]
	v_or_b32_e32 v1, 0x200, v0
	v_cmp_gt_u32_e64 s[10:11], s69, v1
	v_mov_b64_e32 v[10:11], v[4:5]
	s_and_saveexec_b64 s[0:1], s[10:11]
	s_cbranch_execz .LBB94_11
; %bb.10:
	v_lshlrev_b32_e32 v2, 3, v1
	v_mov_b32_e32 v3, 0
	v_lshl_add_u64 v[2:3], s[52:53], 0, v[2:3]
	flat_load_dwordx2 v[10:11], v[2:3]
.LBB94_11:
	s_or_b64 exec, exec, s[0:1]
	v_or_b32_e32 v32, 0x300, v0
	v_cmp_gt_u32_e64 s[12:13], s69, v32
	v_mov_b64_e32 v[12:13], v[4:5]
	s_and_saveexec_b64 s[0:1], s[12:13]
	s_cbranch_execz .LBB94_13
; %bb.12:
	v_lshlrev_b32_e32 v2, 3, v32
	v_mov_b32_e32 v3, 0
	v_lshl_add_u64 v[2:3], s[52:53], 0, v[2:3]
	flat_load_dwordx2 v[12:13], v[2:3]
.LBB94_13:
	;; [unrolled: 12-line block ×11, first 2 shown]
	s_or_b64 exec, exec, s[0:1]
	v_or_b32_e32 v43, 0xd00, v0
	v_cmp_gt_u32_e64 s[34:35], s69, v43
	s_and_saveexec_b64 s[0:1], s[34:35]
	s_cbranch_execz .LBB94_33
; %bb.32:
	v_lshlrev_b32_e32 v2, 3, v43
	v_mov_b32_e32 v3, 0
	v_lshl_add_u64 v[2:3], s[52:53], 0, v[2:3]
	flat_load_dwordx2 v[4:5], v[2:3]
.LBB94_33:
	s_or_b64 exec, exec, s[0:1]
	v_lshlrev_b32_e32 v2, 3, v0
	s_movk_i32 s0, 0x68
	v_mad_u32_u24 v36, v0, s0, v2
	s_waitcnt vmcnt(0) lgkmcnt(0)
	ds_write2st64_b64 v2, v[6:7], v[8:9] offset1:4
	ds_write2st64_b64 v2, v[10:11], v[12:13] offset0:8 offset1:12
	ds_write2st64_b64 v2, v[14:15], v[16:17] offset0:16 offset1:20
	;; [unrolled: 1-line block ×6, first 2 shown]
	s_waitcnt lgkmcnt(0)
	s_barrier
	ds_read_b128 v[74:77], v36
	ds_read_b128 v[70:73], v36 offset:16
	ds_read_b128 v[66:69], v36 offset:32
	;; [unrolled: 1-line block ×6, first 2 shown]
	s_cmp_eq_u64 s[66:67], 0
	s_mov_b64 s[0:1], s[52:53]
	s_cbranch_scc1 .LBB94_37
; %bb.34:
	s_andn2_b64 vcc, exec, s[60:61]
	s_cbranch_vccnz .LBB94_239
; %bb.35:
	s_lshl_b64 s[0:1], s[66:67], 3
	s_add_u32 s0, s62, s0
	s_addc_u32 s1, s63, s1
	s_add_u32 s0, s0, -8
	s_addc_u32 s1, s1, -1
	s_cbranch_execnz .LBB94_37
.LBB94_36:
	s_add_u32 s0, s52, -8
	s_addc_u32 s1, s53, -1
.LBB94_37:
	v_mov_b64_e32 v[4:5], s[0:1]
	flat_load_dwordx2 v[4:5], v[4:5]
	s_movk_i32 s0, 0xff98
	v_mad_i32_i24 v3, v0, s0, v36
	s_waitcnt lgkmcnt(0)
	ds_write_b64 v3, v[60:61] offset:28672
	s_waitcnt lgkmcnt(0)
	s_barrier
	s_and_saveexec_b64 s[0:1], s[4:5]
	s_cbranch_execz .LBB94_39
; %bb.38:
	v_mul_i32_i24_e32 v3, 0xffffff98, v0
	v_add_u32_e32 v3, v36, v3
	s_waitcnt vmcnt(0)
	ds_read_b64 v[4:5], v3 offset:28664
.LBB94_39:
	s_or_b64 exec, exec, s[0:1]
	v_mov_b32_e32 v3, 0
	s_waitcnt lgkmcnt(0)
	s_barrier
	s_waitcnt lgkmcnt(0)
                                        ; implicit-def: $vgpr6_vgpr7
	s_and_saveexec_b64 s[0:1], s[6:7]
	s_cbranch_execnz .LBB94_226
; %bb.40:
	s_or_b64 exec, exec, s[0:1]
                                        ; implicit-def: $vgpr8_vgpr9
	s_and_saveexec_b64 s[0:1], s[8:9]
	s_cbranch_execnz .LBB94_227
.LBB94_41:
	s_or_b64 exec, exec, s[0:1]
                                        ; implicit-def: $vgpr10_vgpr11
	s_and_saveexec_b64 s[0:1], s[10:11]
	s_cbranch_execnz .LBB94_228
.LBB94_42:
	s_or_b64 exec, exec, s[0:1]
                                        ; implicit-def: $vgpr12_vgpr13
	s_and_saveexec_b64 s[0:1], s[12:13]
	s_cbranch_execnz .LBB94_229
.LBB94_43:
	s_or_b64 exec, exec, s[0:1]
                                        ; implicit-def: $vgpr14_vgpr15
	s_and_saveexec_b64 s[0:1], s[14:15]
	s_cbranch_execnz .LBB94_230
.LBB94_44:
	s_or_b64 exec, exec, s[0:1]
                                        ; implicit-def: $vgpr16_vgpr17
	s_and_saveexec_b64 s[0:1], s[16:17]
	s_cbranch_execnz .LBB94_231
.LBB94_45:
	s_or_b64 exec, exec, s[0:1]
                                        ; implicit-def: $vgpr18_vgpr19
	s_and_saveexec_b64 s[0:1], s[18:19]
	s_cbranch_execnz .LBB94_232
.LBB94_46:
	s_or_b64 exec, exec, s[0:1]
                                        ; implicit-def: $vgpr20_vgpr21
	s_and_saveexec_b64 s[0:1], s[20:21]
	s_cbranch_execnz .LBB94_233
.LBB94_47:
	s_or_b64 exec, exec, s[0:1]
                                        ; implicit-def: $vgpr22_vgpr23
	s_and_saveexec_b64 s[0:1], s[22:23]
	s_cbranch_execnz .LBB94_234
.LBB94_48:
	s_or_b64 exec, exec, s[0:1]
                                        ; implicit-def: $vgpr24_vgpr25
	s_and_saveexec_b64 s[0:1], s[24:25]
	s_cbranch_execnz .LBB94_235
.LBB94_49:
	s_or_b64 exec, exec, s[0:1]
                                        ; implicit-def: $vgpr26_vgpr27
	s_and_saveexec_b64 s[0:1], s[26:27]
	s_cbranch_execnz .LBB94_236
.LBB94_50:
	s_or_b64 exec, exec, s[0:1]
                                        ; implicit-def: $vgpr28_vgpr29
	s_and_saveexec_b64 s[0:1], s[28:29]
	s_cbranch_execnz .LBB94_237
.LBB94_51:
	s_or_b64 exec, exec, s[0:1]
                                        ; implicit-def: $vgpr30_vgpr31
	s_and_saveexec_b64 s[0:1], s[30:31]
	s_cbranch_execnz .LBB94_238
.LBB94_52:
	s_or_b64 exec, exec, s[0:1]
                                        ; implicit-def: $vgpr32_vgpr33
	s_and_saveexec_b64 s[0:1], s[34:35]
	s_cbranch_execz .LBB94_54
.LBB94_53:
	v_lshlrev_b32_e32 v32, 3, v43
	v_mov_b32_e32 v33, 0
	v_lshl_add_u64 v[32:33], s[50:51], 0, v[32:33]
	flat_load_dwordx2 v[32:33], v[32:33]
.LBB94_54:
	s_or_b64 exec, exec, s[0:1]
	v_mul_u32_u24_e32 v37, 14, v0
	v_mov_b64_e32 v[78:79], 0
	s_waitcnt vmcnt(0) lgkmcnt(0)
	ds_write2st64_b64 v2, v[6:7], v[8:9] offset1:4
	ds_write2st64_b64 v2, v[10:11], v[12:13] offset0:8 offset1:12
	ds_write2st64_b64 v2, v[14:15], v[16:17] offset0:16 offset1:20
	;; [unrolled: 1-line block ×6, first 2 shown]
	v_cmp_gt_u32_e32 vcc, s69, v37
	s_mov_b64 s[10:11], 0
	s_mov_b64 s[6:7], 0
	s_mov_b32 s68, 0
	v_mov_b32_e32 v80, 0
	v_mov_b32_e32 v91, 0
	v_mov_b64_e32 v[46:47], v[78:79]
	v_mov_b32_e32 v90, 0
	v_mov_b64_e32 v[34:35], v[78:79]
	;; [unrolled: 2-line block ×12, first 2 shown]
	s_waitcnt lgkmcnt(0)
	s_barrier
	s_waitcnt lgkmcnt(0)
                                        ; implicit-def: $sgpr0_sgpr1
                                        ; implicit-def: $vgpr52_vgpr53
	s_and_saveexec_b64 s[8:9], vcc
	s_cbranch_execz .LBB94_80
; %bb.55:
	ds_read_b64 v[2:3], v36
	v_cmp_ne_u64_e32 vcc, v[4:5], v[74:75]
	v_or_b32_e32 v4, 1, v37
	v_mov_b64_e32 v[78:79], 0
	v_cndmask_b32_e64 v1, 0, 1, vcc
	v_cmp_gt_u32_e32 vcc, s69, v4
	s_mov_b64 s[12:13], 0
	s_mov_b64 s[0:1], 0
	v_mov_b32_e32 v80, 0
	v_mov_b32_e32 v91, 0
	v_mov_b64_e32 v[46:47], v[78:79]
	v_mov_b32_e32 v90, 0
	v_mov_b64_e32 v[34:35], v[78:79]
	;; [unrolled: 2-line block ×11, first 2 shown]
                                        ; implicit-def: $sgpr14_sgpr15
                                        ; implicit-def: $vgpr52_vgpr53
	s_and_saveexec_b64 s[10:11], vcc
	s_cbranch_execz .LBB94_79
; %bb.56:
	ds_read2_b64 v[14:17], v36 offset0:1 offset1:2
	v_cmp_ne_u64_e32 vcc, v[74:75], v[76:77]
	v_add_u32_e32 v4, 2, v37
	v_mov_b64_e32 v[78:79], 0
	v_cndmask_b32_e64 v82, 0, 1, vcc
	v_cmp_gt_u32_e32 vcc, s69, v4
	s_mov_b64 s[16:17], 0
	v_mov_b32_e32 v80, 0
	v_mov_b32_e32 v91, 0
	v_mov_b64_e32 v[46:47], v[78:79]
	v_mov_b32_e32 v90, 0
	v_mov_b64_e32 v[34:35], v[78:79]
	;; [unrolled: 2-line block ×10, first 2 shown]
                                        ; implicit-def: $sgpr14_sgpr15
                                        ; implicit-def: $vgpr52_vgpr53
	s_and_saveexec_b64 s[12:13], vcc
	s_cbranch_execz .LBB94_78
; %bb.57:
	v_cmp_ne_u64_e32 vcc, v[76:77], v[70:71]
	v_add_u32_e32 v4, 3, v37
	v_mov_b64_e32 v[78:79], 0
	s_waitcnt lgkmcnt(0)
	v_mov_b32_e32 v6, v16
	v_mov_b32_e32 v7, v17
	v_cndmask_b32_e64 v81, 0, 1, vcc
	v_cmp_gt_u32_e32 vcc, s69, v4
	v_mov_b32_e32 v80, 0
	v_mov_b32_e32 v91, 0
	v_mov_b64_e32 v[46:47], v[78:79]
	v_mov_b32_e32 v90, 0
	v_mov_b64_e32 v[34:35], v[78:79]
	;; [unrolled: 2-line block ×9, first 2 shown]
                                        ; implicit-def: $sgpr18_sgpr19
                                        ; implicit-def: $vgpr52_vgpr53
	s_and_saveexec_b64 s[14:15], vcc
	s_cbranch_execz .LBB94_77
; %bb.58:
	ds_read2_b64 v[22:25], v36 offset0:3 offset1:4
	v_cmp_ne_u64_e32 vcc, v[70:71], v[72:73]
	v_add_u32_e32 v4, 4, v37
	v_mov_b64_e32 v[78:79], 0
	v_cndmask_b32_e64 v83, 0, 1, vcc
	v_cmp_gt_u32_e32 vcc, s69, v4
	s_mov_b64 s[20:21], 0
	v_mov_b32_e32 v80, 0
	v_mov_b32_e32 v91, 0
	v_mov_b64_e32 v[46:47], v[78:79]
	v_mov_b32_e32 v90, 0
	v_mov_b64_e32 v[34:35], v[78:79]
	v_mov_b32_e32 v89, 0
	v_mov_b64_e32 v[42:43], v[78:79]
	v_mov_b32_e32 v88, 0
	v_mov_b64_e32 v[26:27], v[78:79]
	v_mov_b32_e32 v87, 0
	v_mov_b64_e32 v[38:39], v[78:79]
	v_mov_b32_e32 v86, 0
	v_mov_b64_e32 v[18:19], v[78:79]
	v_mov_b32_e32 v85, 0
	v_mov_b64_e32 v[30:31], v[78:79]
	v_mov_b32_e32 v84, 0
	v_mov_b64_e32 v[10:11], v[78:79]
                                        ; implicit-def: $sgpr18_sgpr19
                                        ; implicit-def: $vgpr52_vgpr53
	s_and_saveexec_b64 s[16:17], vcc
	s_cbranch_execz .LBB94_76
; %bb.59:
	v_cmp_ne_u64_e32 vcc, v[72:73], v[66:67]
	v_add_u32_e32 v4, 5, v37
	v_mov_b64_e32 v[78:79], 0
	s_waitcnt lgkmcnt(0)
	v_mov_b32_e32 v10, v24
	v_mov_b32_e32 v11, v25
	v_cndmask_b32_e64 v84, 0, 1, vcc
	v_cmp_gt_u32_e32 vcc, s69, v4
	v_mov_b32_e32 v80, 0
	v_mov_b32_e32 v91, 0
	v_mov_b64_e32 v[46:47], v[78:79]
	v_mov_b32_e32 v90, 0
	v_mov_b64_e32 v[34:35], v[78:79]
	;; [unrolled: 2-line block ×7, first 2 shown]
                                        ; implicit-def: $sgpr22_sgpr23
                                        ; implicit-def: $vgpr52_vgpr53
	s_and_saveexec_b64 s[18:19], vcc
	s_cbranch_execz .LBB94_75
; %bb.60:
	ds_read2_b64 v[30:33], v36 offset0:5 offset1:6
	v_cmp_ne_u64_e32 vcc, v[66:67], v[68:69]
	v_add_u32_e32 v4, 6, v37
	v_mov_b64_e32 v[78:79], 0
	v_cndmask_b32_e64 v85, 0, 1, vcc
	v_cmp_gt_u32_e32 vcc, s69, v4
	s_mov_b64 s[24:25], 0
	v_mov_b32_e32 v80, 0
	v_mov_b32_e32 v91, 0
	v_mov_b64_e32 v[46:47], v[78:79]
	v_mov_b32_e32 v90, 0
	v_mov_b64_e32 v[34:35], v[78:79]
	;; [unrolled: 2-line block ×6, first 2 shown]
                                        ; implicit-def: $sgpr22_sgpr23
                                        ; implicit-def: $vgpr52_vgpr53
	s_and_saveexec_b64 s[20:21], vcc
	s_cbranch_execz .LBB94_74
; %bb.61:
	v_cmp_ne_u64_e32 vcc, v[68:69], v[62:63]
	v_add_u32_e32 v4, 7, v37
	v_mov_b64_e32 v[78:79], 0
	s_waitcnt lgkmcnt(0)
	v_mov_b32_e32 v18, v32
	v_mov_b32_e32 v19, v33
	v_cndmask_b32_e64 v86, 0, 1, vcc
	v_cmp_gt_u32_e32 vcc, s69, v4
	v_mov_b32_e32 v80, 0
	v_mov_b32_e32 v91, 0
	v_mov_b64_e32 v[46:47], v[78:79]
	v_mov_b32_e32 v90, 0
	v_mov_b64_e32 v[34:35], v[78:79]
	;; [unrolled: 2-line block ×5, first 2 shown]
                                        ; implicit-def: $sgpr26_sgpr27
                                        ; implicit-def: $vgpr52_vgpr53
	s_and_saveexec_b64 s[22:23], vcc
	s_cbranch_execz .LBB94_73
; %bb.62:
	ds_read2_b64 v[38:41], v36 offset0:7 offset1:8
	v_cmp_ne_u64_e32 vcc, v[62:63], v[64:65]
	v_add_u32_e32 v4, 8, v37
	v_mov_b64_e32 v[78:79], 0
	v_cndmask_b32_e64 v87, 0, 1, vcc
	v_cmp_gt_u32_e32 vcc, s69, v4
	s_mov_b64 s[28:29], 0
	v_mov_b32_e32 v80, 0
	v_mov_b32_e32 v91, 0
	v_mov_b64_e32 v[46:47], v[78:79]
	v_mov_b32_e32 v90, 0
	v_mov_b64_e32 v[34:35], v[78:79]
	;; [unrolled: 2-line block ×4, first 2 shown]
                                        ; implicit-def: $sgpr26_sgpr27
                                        ; implicit-def: $vgpr52_vgpr53
	s_and_saveexec_b64 s[24:25], vcc
	s_cbranch_execz .LBB94_72
; %bb.63:
	v_cmp_ne_u64_e32 vcc, v[64:65], v[48:49]
	v_add_u32_e32 v4, 9, v37
	v_mov_b64_e32 v[78:79], 0
	s_waitcnt lgkmcnt(0)
	v_mov_b32_e32 v26, v40
	v_mov_b32_e32 v27, v41
	v_cndmask_b32_e64 v88, 0, 1, vcc
	v_cmp_gt_u32_e32 vcc, s69, v4
	v_mov_b32_e32 v80, 0
	v_mov_b32_e32 v91, 0
	v_mov_b64_e32 v[46:47], v[78:79]
	v_mov_b32_e32 v90, 0
	v_mov_b64_e32 v[34:35], v[78:79]
	;; [unrolled: 2-line block ×3, first 2 shown]
                                        ; implicit-def: $sgpr30_sgpr31
                                        ; implicit-def: $vgpr52_vgpr53
	s_and_saveexec_b64 s[26:27], vcc
	s_cbranch_execz .LBB94_71
; %bb.64:
	ds_read2_b64 v[42:45], v36 offset0:9 offset1:10
	v_cmp_ne_u64_e32 vcc, v[48:49], v[50:51]
	v_add_u32_e32 v4, 10, v37
	v_mov_b64_e32 v[78:79], 0
	v_cndmask_b32_e64 v89, 0, 1, vcc
	v_cmp_gt_u32_e32 vcc, s69, v4
	s_mov_b64 s[34:35], 0
	v_mov_b32_e32 v80, 0
	v_mov_b32_e32 v91, 0
	v_mov_b64_e32 v[46:47], v[78:79]
	v_mov_b32_e32 v90, 0
	v_mov_b64_e32 v[34:35], v[78:79]
                                        ; implicit-def: $sgpr30_sgpr31
                                        ; implicit-def: $vgpr52_vgpr53
	s_and_saveexec_b64 s[28:29], vcc
	s_cbranch_execz .LBB94_70
; %bb.65:
	v_cmp_ne_u64_e32 vcc, v[50:51], v[54:55]
	v_add_u32_e32 v4, 11, v37
	v_mov_b64_e32 v[78:79], 0
	s_waitcnt lgkmcnt(0)
	v_mov_b32_e32 v34, v44
	v_mov_b32_e32 v35, v45
	v_cndmask_b32_e64 v90, 0, 1, vcc
	v_cmp_gt_u32_e32 vcc, s69, v4
	v_mov_b32_e32 v80, 0
	v_mov_b32_e32 v91, 0
	v_mov_b64_e32 v[46:47], v[78:79]
                                        ; implicit-def: $sgpr56_sgpr57
                                        ; implicit-def: $vgpr52_vgpr53
	s_and_saveexec_b64 s[30:31], vcc
	s_cbranch_execz .LBB94_69
; %bb.66:
	ds_read2_b64 v[46:49], v36 offset0:11 offset1:12
	v_cmp_ne_u64_e32 vcc, v[54:55], v[56:57]
	v_add_u32_e32 v4, 12, v37
	v_mov_b32_e32 v80, 0
	v_cndmask_b32_e64 v91, 0, 1, vcc
	v_cmp_gt_u32_e32 vcc, s69, v4
	v_mov_b64_e32 v[78:79], 0
                                        ; implicit-def: $sgpr34_sgpr35
                                        ; implicit-def: $vgpr52_vgpr53
	s_and_saveexec_b64 s[56:57], vcc
	s_xor_b64 s[56:57], exec, s[56:57]
	s_cbranch_execz .LBB94_68
; %bb.67:
	ds_read_b64 v[52:53], v36 offset:104
	v_cmp_ne_u64_e64 s[0:1], v[56:57], v[58:59]
	v_add_u32_e32 v4, 13, v37
	v_cmp_ne_u64_e32 vcc, v[58:59], v[60:61]
	v_cndmask_b32_e64 v80, 0, 1, s[0:1]
	v_cmp_gt_u32_e64 s[0:1], s69, v4
	s_and_b64 s[34:35], vcc, exec
	s_and_b64 s[0:1], s[0:1], exec
	s_waitcnt lgkmcnt(1)
	v_mov_b64_e32 v[50:51], v[48:49]
	v_mov_b64_e32 v[78:79], v[48:49]
.LBB94_68:
	s_or_b64 exec, exec, s[56:57]
	s_and_b64 s[56:57], s[34:35], exec
	s_and_b64 s[34:35], s[0:1], exec
.LBB94_69:
	s_or_b64 exec, exec, s[30:31]
	s_and_b64 s[30:31], s[56:57], exec
	s_and_b64 s[0:1], s[34:35], exec
	s_waitcnt lgkmcnt(0)
	v_mov_b64_e32 v[36:37], v[46:47]
	v_mov_b64_e32 v[28:29], v[42:43]
	v_mov_b64_e32 v[20:21], v[38:39]
	v_mov_b64_e32 v[12:13], v[30:31]
	v_mov_b64_e32 v[8:9], v[22:23]
	v_mov_b64_e32 v[4:5], v[14:15]
.LBB94_70:
	s_or_b64 exec, exec, s[28:29]
	s_and_b64 s[30:31], s[30:31], exec
	s_and_b64 s[28:29], s[0:1], exec
.LBB94_71:
	s_or_b64 exec, exec, s[26:27]
	s_and_b64 s[26:27], s[30:31], exec
	s_and_b64 s[0:1], s[28:29], exec
.LBB94_72:
	s_or_b64 exec, exec, s[24:25]
	s_and_b64 s[26:27], s[26:27], exec
	s_and_b64 s[24:25], s[0:1], exec
.LBB94_73:
	s_or_b64 exec, exec, s[22:23]
	s_and_b64 s[22:23], s[26:27], exec
	s_and_b64 s[0:1], s[24:25], exec
.LBB94_74:
	s_or_b64 exec, exec, s[20:21]
	s_and_b64 s[22:23], s[22:23], exec
	s_and_b64 s[20:21], s[0:1], exec
.LBB94_75:
	s_or_b64 exec, exec, s[18:19]
	s_and_b64 s[18:19], s[22:23], exec
	s_and_b64 s[0:1], s[20:21], exec
.LBB94_76:
	s_or_b64 exec, exec, s[16:17]
	s_and_b64 s[18:19], s[18:19], exec
	s_and_b64 s[16:17], s[0:1], exec
.LBB94_77:
	s_or_b64 exec, exec, s[14:15]
	s_and_b64 s[14:15], s[18:19], exec
	s_and_b64 s[0:1], s[16:17], exec
.LBB94_78:
	s_or_b64 exec, exec, s[12:13]
	s_and_b64 s[14:15], s[14:15], exec
	s_and_b64 s[12:13], s[0:1], exec
.LBB94_79:
	s_or_b64 exec, exec, s[10:11]
	s_and_b64 s[0:1], s[14:15], exec
	s_and_b64 s[10:11], s[12:13], exec
.LBB94_80:
	s_or_b64 exec, exec, s[8:9]
	s_mov_b64 s[8:9], 0
	s_and_b64 vcc, exec, s[6:7]
	s_waitcnt lgkmcnt(0)
	v_lshlrev_b32_e32 v32, 3, v0
	s_cbranch_vccnz .LBB94_82
	s_branch .LBB94_90
.LBB94_81:
                                        ; implicit-def: $sgpr0_sgpr1
                                        ; implicit-def: $vgpr52_vgpr53
                                        ; implicit-def: $vgpr80
                                        ; implicit-def: $vgpr91
                                        ; implicit-def: $vgpr36_vgpr37
                                        ; implicit-def: $vgpr90
                                        ; implicit-def: $vgpr89
                                        ; implicit-def: $vgpr28_vgpr29
                                        ; implicit-def: $vgpr88
                                        ; implicit-def: $vgpr87
                                        ; implicit-def: $vgpr20_vgpr21
                                        ; implicit-def: $vgpr86
                                        ; implicit-def: $vgpr85
                                        ; implicit-def: $vgpr12_vgpr13
                                        ; implicit-def: $vgpr84
                                        ; implicit-def: $vgpr83
                                        ; implicit-def: $vgpr8_vgpr9
                                        ; implicit-def: $vgpr81
                                        ; implicit-def: $vgpr82
                                        ; implicit-def: $vgpr4_vgpr5
                                        ; implicit-def: $vgpr1
                                        ; implicit-def: $sgpr68
                                        ; implicit-def: $sgpr8_sgpr9
                                        ; implicit-def: $vgpr78_vgpr79
                                        ; implicit-def: $vgpr46_vgpr47
                                        ; implicit-def: $vgpr42_vgpr43
                                        ; implicit-def: $vgpr38_vgpr39
                                        ; implicit-def: $vgpr30_vgpr31
                                        ; implicit-def: $vgpr22_vgpr23
                                        ; implicit-def: $vgpr14_vgpr15
	s_and_b64 vcc, exec, s[6:7]
	v_lshlrev_b32_e32 v32, 3, v0
	s_cbranch_vccz .LBB94_90
.LBB94_82:
	v_mov_b32_e32 v33, 0
	v_lshl_add_u64 v[2:3], s[52:53], 0, v[32:33]
	v_add_co_u32_e32 v4, vcc, 0x1000, v2
	s_movk_i32 s0, 0x68
	s_nop 0
	v_addc_co_u32_e32 v5, vcc, 0, v3, vcc
	flat_load_dwordx2 v[6:7], v[2:3]
	flat_load_dwordx2 v[8:9], v[2:3] offset:2048
	flat_load_dwordx2 v[10:11], v[4:5]
	flat_load_dwordx2 v[12:13], v[4:5] offset:2048
	v_add_co_u32_e32 v4, vcc, 0x2000, v2
	v_mad_u32_u24 v1, v0, s0, v32
	s_nop 0
	v_addc_co_u32_e32 v5, vcc, 0, v3, vcc
	v_add_co_u32_e32 v14, vcc, 0x3000, v2
	s_cmp_eq_u64 s[66:67], 0
	s_nop 0
	v_addc_co_u32_e32 v15, vcc, 0, v3, vcc
	flat_load_dwordx2 v[16:17], v[4:5]
	flat_load_dwordx2 v[18:19], v[4:5] offset:2048
	flat_load_dwordx2 v[20:21], v[14:15]
	flat_load_dwordx2 v[22:23], v[14:15] offset:2048
	v_add_co_u32_e32 v4, vcc, 0x4000, v2
	s_nop 1
	v_addc_co_u32_e32 v5, vcc, 0, v3, vcc
	v_add_co_u32_e32 v14, vcc, 0x5000, v2
	s_nop 1
	v_addc_co_u32_e32 v15, vcc, 0, v3, vcc
	v_add_co_u32_e32 v2, vcc, 0x6000, v2
	flat_load_dwordx2 v[24:25], v[4:5]
	flat_load_dwordx2 v[26:27], v[4:5] offset:2048
	flat_load_dwordx2 v[28:29], v[14:15]
	flat_load_dwordx2 v[30:31], v[14:15] offset:2048
	v_addc_co_u32_e32 v3, vcc, 0, v3, vcc
	flat_load_dwordx2 v[4:5], v[2:3]
	flat_load_dwordx2 v[14:15], v[2:3] offset:2048
	s_waitcnt vmcnt(0) lgkmcnt(0)
	ds_write2st64_b64 v32, v[6:7], v[8:9] offset1:4
	ds_write2st64_b64 v32, v[10:11], v[12:13] offset0:8 offset1:12
	ds_write2st64_b64 v32, v[16:17], v[18:19] offset0:16 offset1:20
	;; [unrolled: 1-line block ×6, first 2 shown]
	s_waitcnt lgkmcnt(0)
	s_barrier
	ds_read_b128 v[14:17], v1
	ds_read_b128 v[2:5], v1 offset:16
	ds_read_b128 v[6:9], v1 offset:32
	;; [unrolled: 1-line block ×6, first 2 shown]
	s_cbranch_scc1 .LBB94_87
; %bb.83:
	s_andn2_b64 vcc, exec, s[60:61]
	s_cbranch_vccnz .LBB94_240
; %bb.84:
	s_lshl_b64 s[0:1], s[66:67], 3
	s_add_u32 s0, s62, s0
	s_addc_u32 s1, s63, s1
	s_add_u32 s0, s0, -8
	s_addc_u32 s1, s1, -1
	s_cbranch_execnz .LBB94_86
.LBB94_85:
	s_add_u32 s0, s52, -8
	s_addc_u32 s1, s53, -1
.LBB94_86:
	s_mov_b64 s[52:53], s[0:1]
.LBB94_87:
	v_mov_b64_e32 v[30:31], s[52:53]
	flat_load_dwordx2 v[30:31], v[30:31]
	s_movk_i32 s0, 0xff98
	v_mad_i32_i24 v33, v0, s0, v1
	s_waitcnt lgkmcnt(0)
	ds_write_b64 v33, v[28:29] offset:28672
	s_waitcnt lgkmcnt(0)
	s_barrier
	s_and_saveexec_b64 s[0:1], s[4:5]
	s_cbranch_execz .LBB94_89
; %bb.88:
	s_waitcnt vmcnt(0)
	v_mul_i32_i24_e32 v30, 0xffffff98, v0
	v_add_u32_e32 v30, v1, v30
	ds_read_b64 v[30:31], v30 offset:28664
.LBB94_89:
	s_or_b64 exec, exec, s[0:1]
	v_mov_b32_e32 v33, 0
	v_lshl_add_u64 v[34:35], s[50:51], 0, v[32:33]
	s_movk_i32 s0, 0x1000
	v_add_co_u32_e32 v36, vcc, s0, v34
	s_movk_i32 s0, 0x2000
	s_nop 0
	v_addc_co_u32_e32 v37, vcc, 0, v35, vcc
	s_waitcnt lgkmcnt(0)
	s_barrier
	flat_load_dwordx2 v[38:39], v[34:35]
	flat_load_dwordx2 v[40:41], v[34:35] offset:2048
	flat_load_dwordx2 v[42:43], v[36:37]
	flat_load_dwordx2 v[44:45], v[36:37] offset:2048
	v_add_co_u32_e32 v36, vcc, s0, v34
	s_movk_i32 s0, 0x3000
	s_nop 0
	v_addc_co_u32_e32 v37, vcc, 0, v35, vcc
	v_add_co_u32_e32 v46, vcc, s0, v34
	s_movk_i32 s0, 0x4000
	s_nop 0
	v_addc_co_u32_e32 v47, vcc, 0, v35, vcc
	flat_load_dwordx2 v[48:49], v[36:37]
	flat_load_dwordx2 v[50:51], v[36:37] offset:2048
	flat_load_dwordx2 v[52:53], v[46:47]
	flat_load_dwordx2 v[54:55], v[46:47] offset:2048
	v_add_co_u32_e32 v36, vcc, s0, v34
	s_movk_i32 s0, 0x5000
	s_nop 0
	v_addc_co_u32_e32 v37, vcc, 0, v35, vcc
	v_add_co_u32_e32 v46, vcc, s0, v34
	s_movk_i32 s0, 0x6000
	s_nop 0
	v_addc_co_u32_e32 v47, vcc, 0, v35, vcc
	v_add_co_u32_e32 v34, vcc, s0, v34
	flat_load_dwordx2 v[56:57], v[36:37]
	flat_load_dwordx2 v[58:59], v[36:37] offset:2048
	flat_load_dwordx2 v[60:61], v[46:47]
	flat_load_dwordx2 v[62:63], v[46:47] offset:2048
	v_addc_co_u32_e32 v35, vcc, 0, v35, vcc
	flat_load_dwordx2 v[36:37], v[34:35]
	flat_load_dwordx2 v[46:47], v[34:35] offset:2048
	v_cmp_ne_u64_e32 vcc, v[24:25], v[26:27]
	v_cmp_ne_u64_e64 s[0:1], v[26:27], v[28:29]
	s_mov_b64 s[10:11], -1
	v_cndmask_b32_e64 v80, 0, 1, vcc
	v_cmp_ne_u64_e32 vcc, v[22:23], v[24:25]
                                        ; implicit-def: $sgpr68
                                        ; implicit-def: $sgpr8_sgpr9
                                        ; implicit-def: $vgpr78_vgpr79
	s_waitcnt vmcnt(0) lgkmcnt(0)
	ds_write2st64_b64 v32, v[38:39], v[40:41] offset1:4
	ds_write2st64_b64 v32, v[42:43], v[44:45] offset0:8 offset1:12
	ds_write2st64_b64 v32, v[48:49], v[50:51] offset0:16 offset1:20
	;; [unrolled: 1-line block ×6, first 2 shown]
	v_cndmask_b32_e64 v91, 0, 1, vcc
	v_cmp_ne_u64_e32 vcc, v[20:21], v[22:23]
	s_waitcnt lgkmcnt(0)
	s_barrier
	v_cndmask_b32_e64 v90, 0, 1, vcc
	v_cmp_ne_u64_e32 vcc, v[18:19], v[20:21]
	s_waitcnt lgkmcnt(0)
                                        ; implicit-def: $vgpr46_vgpr47
                                        ; implicit-def: $vgpr42_vgpr43
                                        ; implicit-def: $vgpr38_vgpr39
                                        ; implicit-def: $vgpr22_vgpr23
	s_nop 0
	v_cndmask_b32_e64 v89, 0, 1, vcc
	v_cmp_ne_u64_e32 vcc, v[12:13], v[18:19]
	s_nop 1
	v_cndmask_b32_e64 v88, 0, 1, vcc
	v_cmp_ne_u64_e32 vcc, v[10:11], v[12:13]
	;; [unrolled: 3-line block ×7, first 2 shown]
	ds_read_b128 v[2:5], v1
	ds_read_b128 v[6:9], v1 offset:16
	ds_read_b128 v[10:13], v1 offset:32
	;; [unrolled: 1-line block ×6, first 2 shown]
	v_cndmask_b32_e64 v81, 0, 1, vcc
	v_cmp_ne_u64_e32 vcc, v[14:15], v[16:17]
	s_nop 1
	v_cndmask_b32_e64 v82, 0, 1, vcc
	v_cmp_ne_u64_e32 vcc, v[30:31], v[14:15]
                                        ; implicit-def: $vgpr30_vgpr31
                                        ; implicit-def: $vgpr14_vgpr15
	s_nop 1
	v_cndmask_b32_e64 v1, 0, 1, vcc
.LBB94_90:
	v_mov_b64_e32 v[16:17], s[8:9]
	v_mov_b32_e32 v33, s68
	s_and_saveexec_b64 s[6:7], s[10:11]
	s_cbranch_execz .LBB94_92
; %bb.91:
	v_cndmask_b32_e64 v33, 0, 1, s[0:1]
	s_waitcnt lgkmcnt(6)
	v_mov_b64_e32 v[14:15], v[4:5]
	s_waitcnt lgkmcnt(5)
	v_mov_b64_e32 v[22:23], v[8:9]
	;; [unrolled: 2-line block ×7, first 2 shown]
	v_mov_b64_e32 v[16:17], v[52:53]
.LBB94_92:
	s_or_b64 exec, exec, s[6:7]
	s_waitcnt lgkmcnt(6)
	v_or_b32_e32 v4, v33, v80
	s_cmp_lg_u32 s47, 0
	s_waitcnt lgkmcnt(2)
	v_or_b32_e32 v29, v4, v91
	v_mbcnt_lo_u32_b32 v28, -1, 0
	s_waitcnt lgkmcnt(0)
	s_barrier
	s_cbranch_scc0 .LBB94_163
; %bb.93:
	v_mov_b32_e32 v8, 0
	v_cmp_eq_u16_sdwa s[6:7], v82, v8 src0_sel:BYTE_0 src1_sel:DWORD
	v_cmp_eq_u16_sdwa s[8:9], v81, v8 src0_sel:BYTE_0 src1_sel:DWORD
	v_cmp_eq_u16_sdwa s[10:11], v83, v8 src0_sel:BYTE_0 src1_sel:DWORD
	v_cndmask_b32_e64 v5, 0, v3, s[6:7]
	v_cndmask_b32_e64 v4, 0, v2, s[6:7]
	v_lshl_add_u64 v[4:5], v[4:5], 0, v[14:15]
	v_cndmask_b32_e64 v5, 0, v5, s[8:9]
	v_cndmask_b32_e64 v4, 0, v4, s[8:9]
	v_lshl_add_u64 v[4:5], v[4:5], 0, v[6:7]
	v_cndmask_b32_e64 v5, 0, v5, s[10:11]
	v_cndmask_b32_e64 v4, 0, v4, s[10:11]
	v_lshl_add_u64 v[4:5], v[4:5], 0, v[22:23]
	v_cmp_eq_u16_sdwa s[12:13], v84, v8 src0_sel:BYTE_0 src1_sel:DWORD
	v_cmp_eq_u16_sdwa s[14:15], v85, v8 src0_sel:BYTE_0 src1_sel:DWORD
	v_cmp_eq_u16_sdwa s[16:17], v86, v8 src0_sel:BYTE_0 src1_sel:DWORD
	v_cndmask_b32_e64 v5, 0, v5, s[12:13]
	v_cndmask_b32_e64 v4, 0, v4, s[12:13]
	v_lshl_add_u64 v[4:5], v[4:5], 0, v[10:11]
	v_cndmask_b32_e64 v5, 0, v5, s[14:15]
	v_cndmask_b32_e64 v4, 0, v4, s[14:15]
	v_lshl_add_u64 v[4:5], v[4:5], 0, v[30:31]
	v_cndmask_b32_e64 v5, 0, v5, s[16:17]
	v_cndmask_b32_e64 v4, 0, v4, s[16:17]
	v_lshl_add_u64 v[4:5], v[4:5], 0, v[18:19]
	v_cmp_eq_u16_sdwa s[18:19], v87, v8 src0_sel:BYTE_0 src1_sel:DWORD
	v_cmp_eq_u16_sdwa s[20:21], v88, v8 src0_sel:BYTE_0 src1_sel:DWORD
	v_cmp_eq_u16_sdwa s[22:23], v89, v8 src0_sel:BYTE_0 src1_sel:DWORD
	v_cndmask_b32_e64 v5, 0, v5, s[18:19]
	v_cndmask_b32_e64 v4, 0, v4, s[18:19]
	v_lshl_add_u64 v[4:5], v[4:5], 0, v[38:39]
	v_cndmask_b32_e64 v5, 0, v5, s[20:21]
	v_cndmask_b32_e64 v4, 0, v4, s[20:21]
	v_lshl_add_u64 v[4:5], v[4:5], 0, v[26:27]
	v_cndmask_b32_e64 v5, 0, v5, s[22:23]
	v_cndmask_b32_e64 v4, 0, v4, s[22:23]
	v_lshl_add_u64 v[4:5], v[4:5], 0, v[42:43]
	v_cmp_eq_u16_sdwa s[24:25], v90, v8 src0_sel:BYTE_0 src1_sel:DWORD
	v_cmp_eq_u16_sdwa s[26:27], v91, v8 src0_sel:BYTE_0 src1_sel:DWORD
	v_cmp_eq_u16_sdwa s[28:29], v80, v8 src0_sel:BYTE_0 src1_sel:DWORD
	v_cndmask_b32_e64 v5, 0, v5, s[24:25]
	v_cndmask_b32_e64 v4, 0, v4, s[24:25]
	v_lshl_add_u64 v[4:5], v[4:5], 0, v[34:35]
	v_cndmask_b32_e64 v5, 0, v5, s[26:27]
	v_cndmask_b32_e64 v4, 0, v4, s[26:27]
	v_lshl_add_u64 v[4:5], v[4:5], 0, v[46:47]
	v_cndmask_b32_e64 v5, 0, v5, s[28:29]
	v_cndmask_b32_e64 v4, 0, v4, s[28:29]
	v_lshl_add_u64 v[4:5], v[4:5], 0, v[78:79]
	v_cmp_eq_u16_sdwa s[30:31], v33, v8 src0_sel:BYTE_0 src1_sel:DWORD
	v_and_b32_e32 v12, 0xff, v1
	v_mbcnt_hi_u32_b32 v44, -1, v28
	v_cndmask_b32_e64 v5, 0, v5, s[30:31]
	v_cndmask_b32_e64 v4, 0, v4, s[30:31]
	v_lshl_add_u64 v[8:9], v[4:5], 0, v[16:17]
	v_or_b32_e32 v4, v29, v90
	v_or_b32_e32 v4, v4, v89
	;; [unrolled: 1-line block ×10, first 2 shown]
	v_and_b32_e32 v4, 1, v4
	v_cmp_eq_u32_e32 vcc, 1, v4
	v_and_b32_e32 v4, 15, v44
	v_mov_b32_dpp v13, v8 row_shr:1 row_mask:0xf bank_mask:0xf
	v_cndmask_b32_e64 v12, v12, 1, vcc
	v_mov_b32_dpp v20, v9 row_shr:1 row_mask:0xf bank_mask:0xf
	v_cmp_ne_u32_e32 vcc, 0, v4
	v_mov_b32_dpp v5, v12 row_shr:1 row_mask:0xf bank_mask:0xf
	s_and_saveexec_b64 s[0:1], vcc
; %bb.94:
	v_cmp_eq_u32_e32 vcc, 0, v12
	v_and_or_b32 v12, v5, 1, v12
	s_nop 0
	v_cndmask_b32_e32 v21, 0, v20, vcc
	v_cndmask_b32_e32 v20, 0, v13, vcc
	v_lshl_add_u64 v[8:9], v[20:21], 0, v[8:9]
; %bb.95:
	s_or_b64 exec, exec, s[0:1]
	s_nop 0
	v_mov_b32_dpp v13, v8 row_shr:2 row_mask:0xf bank_mask:0xf
	v_mov_b32_dpp v20, v9 row_shr:2 row_mask:0xf bank_mask:0xf
	v_mov_b32_dpp v5, v12 row_shr:2 row_mask:0xf bank_mask:0xf
	v_cmp_lt_u32_e32 vcc, 1, v4
	s_and_saveexec_b64 s[0:1], vcc
; %bb.96:
	v_cmp_eq_u32_e32 vcc, 0, v12
	v_or_b32_e32 v5, v5, v12
	v_and_b32_e32 v12, 1, v5
	v_cndmask_b32_e32 v21, 0, v20, vcc
	v_cndmask_b32_e32 v20, 0, v13, vcc
	v_lshl_add_u64 v[8:9], v[20:21], 0, v[8:9]
; %bb.97:
	s_or_b64 exec, exec, s[0:1]
	s_nop 0
	v_mov_b32_dpp v13, v8 row_shr:4 row_mask:0xf bank_mask:0xf
	v_mov_b32_dpp v20, v9 row_shr:4 row_mask:0xf bank_mask:0xf
	v_mov_b32_dpp v5, v12 row_shr:4 row_mask:0xf bank_mask:0xf
	v_cmp_lt_u32_e32 vcc, 3, v4
	s_and_saveexec_b64 s[0:1], vcc
; %bb.98:
	v_cmp_eq_u32_e32 vcc, 0, v12
	v_or_b32_e32 v5, v5, v12
	v_and_b32_e32 v12, 1, v5
	;; [unrolled: 15-line block ×3, first 2 shown]
	v_cndmask_b32_e32 v21, 0, v20, vcc
	v_cndmask_b32_e32 v20, 0, v13, vcc
	v_lshl_add_u64 v[8:9], v[20:21], 0, v[8:9]
; %bb.101:
	s_or_b64 exec, exec, s[0:1]
	v_and_b32_e32 v20, 16, v44
	v_mov_b32_dpp v5, v8 row_bcast:15 row_mask:0xf bank_mask:0xf
	v_mov_b32_dpp v13, v9 row_bcast:15 row_mask:0xf bank_mask:0xf
	;; [unrolled: 1-line block ×3, first 2 shown]
	v_cmp_ne_u32_e32 vcc, 0, v20
	s_and_saveexec_b64 s[0:1], vcc
; %bb.102:
	v_cmp_eq_u32_e32 vcc, 0, v12
	v_or_b32_e32 v4, v4, v12
	v_and_b32_e32 v12, 1, v4
	v_cndmask_b32_e32 v21, 0, v13, vcc
	v_cndmask_b32_e32 v20, 0, v5, vcc
	v_lshl_add_u64 v[8:9], v[20:21], 0, v[8:9]
; %bb.103:
	s_or_b64 exec, exec, s[0:1]
	s_nop 0
	v_mov_b32_dpp v13, v8 row_bcast:31 row_mask:0xf bank_mask:0xf
	v_mov_b32_dpp v20, v9 row_bcast:31 row_mask:0xf bank_mask:0xf
	;; [unrolled: 1-line block ×3, first 2 shown]
	v_cmp_lt_u32_e32 vcc, 31, v44
	v_mov_b32_e32 v4, v12
	s_and_saveexec_b64 s[0:1], vcc
; %bb.104:
	v_cmp_eq_u32_e32 vcc, 0, v12
	v_or_b32_e32 v5, v5, v12
	v_and_b32_e32 v4, 1, v5
	v_cndmask_b32_e32 v21, 0, v20, vcc
	v_cndmask_b32_e32 v20, 0, v13, vcc
	v_lshl_add_u64 v[8:9], v[20:21], 0, v[8:9]
	v_and_b32_e32 v12, 1, v5
; %bb.105:
	s_or_b64 exec, exec, s[0:1]
	v_or_b32_e32 v5, 63, v0
	v_lshrrev_b32_e32 v13, 6, v0
	v_cmp_eq_u32_e32 vcc, v5, v0
	s_and_saveexec_b64 s[0:1], vcc
	s_cbranch_execz .LBB94_107
; %bb.106:
	v_lshlrev_b32_e32 v5, 4, v13
	ds_write_b64 v5, v[8:9]
	ds_write_b8 v5, v4 offset:8
.LBB94_107:
	s_or_b64 exec, exec, s[0:1]
	v_cmp_gt_u32_e32 vcc, 4, v0
	s_waitcnt lgkmcnt(0)
	s_barrier
	s_and_saveexec_b64 s[34:35], vcc
	s_cbranch_execz .LBB94_113
; %bb.108:
	v_lshlrev_b32_e32 v20, 4, v0
	ds_read_b64 v[4:5], v20
	ds_read_b32 v21, v20 offset:8
	v_and_b32_e32 v24, 3, v44
	v_cmp_ne_u32_e32 vcc, 0, v24
	s_waitcnt lgkmcnt(1)
	v_mov_b32_dpp v40, v4 row_shr:1 row_mask:0xf bank_mask:0xf
	v_mov_b32_dpp v41, v5 row_shr:1 row_mask:0xf bank_mask:0xf
	s_waitcnt lgkmcnt(0)
	v_mov_b32_dpp v37, v21 row_shr:1 row_mask:0xf bank_mask:0xf
	v_mov_b32_e32 v25, v21
	v_mov_b32_e32 v36, v21
	s_and_saveexec_b64 s[0:1], vcc
; %bb.109:
	v_mov_b32_e32 v25, 0
	v_cmp_eq_u16_sdwa vcc, v21, v25 src0_sel:BYTE_0 src1_sel:DWORD
	v_or_b32_e32 v36, v37, v21
	v_and_b32_e32 v25, 1, v36
	v_cndmask_b32_e32 v41, 0, v41, vcc
	v_cndmask_b32_e32 v40, 0, v40, vcc
	v_and_b32_e32 v36, 1, v36
	s_movk_i32 s50, 0xff00
	v_lshl_add_u64 v[4:5], v[40:41], 0, v[4:5]
	v_and_or_b32 v21, v21, s50, v36
; %bb.110:
	s_or_b64 exec, exec, s[0:1]
	v_mov_b32_dpp v37, v4 row_shr:2 row_mask:0xf bank_mask:0xf
	v_mov_b32_dpp v40, v5 row_shr:2 row_mask:0xf bank_mask:0xf
	;; [unrolled: 1-line block ×3, first 2 shown]
	v_cmp_lt_u32_e32 vcc, 1, v24
	s_and_saveexec_b64 s[50:51], vcc
; %bb.111:
	v_mov_b32_e32 v24, 0
	v_cmp_eq_u16_sdwa vcc, v36, v24 src0_sel:BYTE_0 src1_sel:DWORD
	v_and_b32_e32 v21, 1, v21
	v_cmp_eq_u32_e64 s[0:1], 1, v21
	v_cndmask_b32_e32 v25, 0, v40, vcc
	v_cndmask_b32_e32 v24, 0, v37, vcc
	v_lshl_add_u64 v[4:5], v[24:25], 0, v[4:5]
	v_and_b32_e32 v24, 1, v36
	v_cmp_eq_u32_e32 vcc, 1, v24
	s_or_b64 s[0:1], vcc, s[0:1]
	v_cndmask_b32_e64 v25, 0, 1, s[0:1]
; %bb.112:
	s_or_b64 exec, exec, s[50:51]
	ds_write_b64 v20, v[4:5]
	ds_write_b8 v20, v25 offset:8
.LBB94_113:
	s_or_b64 exec, exec, s[34:35]
	v_cmp_gt_u32_e32 vcc, 64, v0
	v_cmp_lt_u32_e64 s[0:1], 63, v0
	v_mov_b32_e32 v36, 0
	v_mov_b64_e32 v[4:5], 0
	s_waitcnt lgkmcnt(0)
	s_barrier
	s_and_saveexec_b64 s[34:35], s[0:1]
	s_cbranch_execz .LBB94_115
; %bb.114:
	v_lshl_add_u32 v13, v13, 4, -16
	ds_read_b64 v[4:5], v13
	ds_read_u8 v36, v13 offset:8
	v_and_b32_e32 v20, 1, v12
	v_cmp_eq_u32_e64 s[0:1], 0, v12
	s_waitcnt lgkmcnt(1)
	s_nop 0
	v_cndmask_b32_e64 v13, 0, v5, s[0:1]
	v_cndmask_b32_e64 v12, 0, v4, s[0:1]
	v_cmp_eq_u32_e64 s[0:1], 1, v20
	v_lshl_add_u64 v[8:9], v[12:13], 0, v[8:9]
	s_waitcnt lgkmcnt(0)
	v_cndmask_b32_e64 v12, v36, 1, s[0:1]
.LBB94_115:
	s_or_b64 exec, exec, s[34:35]
	v_add_u32_e32 v13, -1, v44
	v_and_b32_e32 v20, 64, v44
	v_cmp_lt_i32_e64 s[0:1], v13, v20
	v_cmp_eq_u32_e64 s[34:35], 0, v44
	s_nop 0
	v_cndmask_b32_e64 v13, v13, v44, s[0:1]
	v_lshlrev_b32_e32 v13, 2, v13
	ds_bpermute_b32 v37, v13, v8
	ds_bpermute_b32 v40, v13, v9
	;; [unrolled: 1-line block ×3, first 2 shown]
	s_and_saveexec_b64 s[50:51], vcc
	s_cbranch_execz .LBB94_162
; %bb.116:
	v_mov_b32_e32 v13, 0
	ds_read2_b64 v[48:51], v13 offset0:6 offset1:7
	s_and_saveexec_b64 s[0:1], s[34:35]
	s_cbranch_execz .LBB94_118
; %bb.117:
	s_add_i32 s52, s47, 64
	s_mov_b32 s53, 0
	s_lshl_b64 s[56:57], s[52:53], 4
	s_add_u32 s56, s40, s56
	s_addc_u32 s57, s41, s57
	v_mov_b32_e32 v8, s52
	v_mov_b32_e32 v9, 1
	s_waitcnt lgkmcnt(0)
	global_store_dword v13, v48, s[56:57] sc1
	global_store_dword v13, v49, s[56:57] offset:4 sc1
	global_store_dword v13, v50, s[56:57] offset:8 sc1
	;; [unrolled: 1-line block ×3, first 2 shown]
	s_waitcnt vmcnt(0)
	global_store_byte v8, v9, s[44:45] sc1
.LBB94_118:
	s_or_b64 exec, exec, s[0:1]
	v_xad_u32 v8, v44, -1, s47
	v_add_u32_e32 v12, 64, v8
	global_load_ubyte v45, v12, s[44:45] sc1
	s_waitcnt vmcnt(0)
	v_cmp_eq_u16_e32 vcc, 0, v45
	s_and_saveexec_b64 s[0:1], vcc
	s_cbranch_execz .LBB94_124
; %bb.119:
	v_lshl_add_u64 v[20:21], s[44:45], 0, v[12:13]
	s_mov_b32 s56, 1
	s_mov_b64 s[52:53], 0
.LBB94_120:                             ; =>This Loop Header: Depth=1
                                        ;     Child Loop BB94_121 Depth 2
	s_max_u32 s57, s56, 1
.LBB94_121:                             ;   Parent Loop BB94_120 Depth=1
                                        ; =>  This Inner Loop Header: Depth=2
	s_add_i32 s57, s57, -1
	s_cmp_eq_u32 s57, 0
	s_sleep 1
	s_cbranch_scc0 .LBB94_121
; %bb.122:                              ;   in Loop: Header=BB94_120 Depth=1
	global_load_ubyte v45, v[20:21], off sc1
	s_cmp_lt_u32 s56, 32
	s_cselect_b64 s[60:61], -1, 0
	s_cmp_lg_u64 s[60:61], 0
	s_addc_u32 s56, s56, 0
	s_waitcnt vmcnt(0)
	v_cmp_ne_u16_e32 vcc, 0, v45
	s_or_b64 s[52:53], vcc, s[52:53]
	s_andn2_b64 exec, exec, s[52:53]
	s_cbranch_execnz .LBB94_120
; %bb.123:
	s_or_b64 exec, exec, s[52:53]
.LBB94_124:
	s_or_b64 exec, exec, s[0:1]
	v_mov_b32_e32 v9, s43
	v_mov_b32_e32 v20, s41
	v_cmp_eq_u16_e32 vcc, 1, v45
	s_waitcnt vmcnt(0) lgkmcnt(0)
	s_nop 0
	v_cndmask_b32_e32 v21, v9, v20, vcc
	v_mov_b32_e32 v9, s42
	v_mov_b32_e32 v20, s40
	v_cndmask_b32_e32 v20, v9, v20, vcc
	v_lshl_add_u64 v[12:13], v[12:13], 4, v[20:21]
	global_load_dword v24, v[12:13], off sc1
	global_load_dword v25, v[12:13], off offset:4 sc1
	global_load_dword v64, v[12:13], off offset:8 sc1
	;; [unrolled: 1-line block ×3, first 2 shown]
	v_cmp_eq_u16_e32 vcc, 2, v45
	v_lshlrev_b64 v[12:13], v44, -1
	v_and_b32_e32 v51, 63, v44
	s_waitcnt vmcnt(0)
	v_and_b32_e32 v9, vcc_hi, v13
	v_and_b32_e32 v55, vcc_lo, v12
	v_cmp_ne_u32_e32 vcc, 63, v51
	v_or_b32_e32 v9, 0x80000000, v9
	v_ffbl_b32_e32 v9, v9
	v_addc_co_u32_e32 v20, vcc, 0, v44, vcc
	v_lshlrev_b32_e32 v52, 2, v20
	v_add_u32_e32 v9, 32, v9
	v_ffbl_b32_e32 v55, v55
	v_min_u32_e32 v9, v55, v9
	v_cmp_lt_u32_e32 vcc, v51, v9
	ds_bpermute_b32 v53, v52, v24
	ds_bpermute_b32 v54, v52, v25
	v_and_b32_e32 v20, 0xff, v64
	ds_bpermute_b32 v21, v52, v20
	s_and_saveexec_b64 s[0:1], vcc
	s_cbranch_execz .LBB94_126
; %bb.125:
	v_mov_b32_e32 v20, 0
	v_cmp_eq_u16_sdwa vcc, v64, v20 src0_sel:BYTE_0 src1_sel:DWORD
	s_waitcnt lgkmcnt(0)
	v_or_b32_e32 v20, v21, v64
	v_and_b32_e32 v64, 1, v20
	v_cndmask_b32_e32 v55, 0, v54, vcc
	v_cndmask_b32_e32 v54, 0, v53, vcc
	v_lshl_add_u64 v[24:25], v[54:55], 0, v[24:25]
	v_and_b32_e32 v20, 1, v20
.LBB94_126:
	s_or_b64 exec, exec, s[0:1]
	v_cmp_gt_u32_e32 vcc, 62, v51
	s_waitcnt lgkmcnt(1)
	v_add_u32_e32 v54, 2, v51
	s_waitcnt lgkmcnt(0)
	v_cndmask_b32_e64 v21, 0, 1, vcc
	v_lshlrev_b32_e32 v21, 1, v21
	v_add_lshl_u32 v53, v21, v44, 2
	ds_bpermute_b32 v55, v53, v24
	ds_bpermute_b32 v56, v53, v25
	ds_bpermute_b32 v21, v53, v20
	v_cmp_le_u32_e32 vcc, v54, v9
	s_and_saveexec_b64 s[52:53], vcc
	s_cbranch_execz .LBB94_128
; %bb.127:
	v_mov_b32_e32 v20, 0
	v_cmp_eq_u16_sdwa vcc, v64, v20 src0_sel:BYTE_0 src1_sel:DWORD
	v_and_b32_e32 v20, 1, v64
	s_waitcnt lgkmcnt(1)
	v_cndmask_b32_e32 v57, 0, v56, vcc
	v_cndmask_b32_e32 v56, 0, v55, vcc
	v_cmp_eq_u32_e32 vcc, 1, v20
	s_waitcnt lgkmcnt(0)
	v_and_b32_e32 v20, 1, v21
	v_cmp_eq_u32_e64 s[0:1], 1, v20
	s_or_b64 s[0:1], vcc, s[0:1]
	v_lshl_add_u64 v[24:25], v[56:57], 0, v[24:25]
	v_cndmask_b32_e64 v64, 0, 1, s[0:1]
	v_cndmask_b32_e64 v20, 0, 1, s[0:1]
.LBB94_128:
	s_or_b64 exec, exec, s[52:53]
	v_cmp_gt_u32_e32 vcc, 60, v51
	s_waitcnt lgkmcnt(1)
	v_add_u32_e32 v56, 4, v51
	s_waitcnt lgkmcnt(0)
	v_cndmask_b32_e64 v21, 0, 1, vcc
	v_lshlrev_b32_e32 v21, 2, v21
	v_add_lshl_u32 v55, v21, v44, 2
	ds_bpermute_b32 v57, v55, v24
	ds_bpermute_b32 v58, v55, v25
	ds_bpermute_b32 v21, v55, v20
	v_cmp_le_u32_e32 vcc, v56, v9
	s_and_saveexec_b64 s[52:53], vcc
	s_cbranch_execz .LBB94_130
; %bb.129:
	v_mov_b32_e32 v20, 0
	v_cmp_eq_u16_sdwa vcc, v64, v20 src0_sel:BYTE_0 src1_sel:DWORD
	v_and_b32_e32 v20, 1, v64
	s_waitcnt lgkmcnt(1)
	v_cndmask_b32_e32 v59, 0, v58, vcc
	v_cndmask_b32_e32 v58, 0, v57, vcc
	v_cmp_eq_u32_e32 vcc, 1, v20
	s_waitcnt lgkmcnt(0)
	v_and_b32_e32 v20, 1, v21
	v_cmp_eq_u32_e64 s[0:1], 1, v20
	s_or_b64 s[0:1], vcc, s[0:1]
	v_lshl_add_u64 v[24:25], v[58:59], 0, v[24:25]
	v_cndmask_b32_e64 v64, 0, 1, s[0:1]
	v_cndmask_b32_e64 v20, 0, 1, s[0:1]
.LBB94_130:
	;; [unrolled: 30-line block ×4, first 2 shown]
	s_or_b64 exec, exec, s[52:53]
	v_cmp_gt_u32_e32 vcc, 32, v51
	s_waitcnt lgkmcnt(1)
	v_add_u32_e32 v62, 32, v51
	s_waitcnt lgkmcnt(0)
	v_cndmask_b32_e64 v21, 0, 1, vcc
	v_lshlrev_b32_e32 v21, 5, v21
	v_add_lshl_u32 v61, v21, v44, 2
	ds_bpermute_b32 v21, v61, v24
	ds_bpermute_b32 v44, v61, v25
	;; [unrolled: 1-line block ×3, first 2 shown]
	v_cmp_le_u32_e32 vcc, v62, v9
	s_and_saveexec_b64 s[52:53], vcc
	s_cbranch_execz .LBB94_136
; %bb.135:
	v_mov_b32_e32 v9, 0
	v_cmp_eq_u16_sdwa vcc, v64, v9 src0_sel:BYTE_0 src1_sel:DWORD
	v_and_b32_e32 v9, 1, v64
	s_waitcnt lgkmcnt(1)
	v_cndmask_b32_e32 v67, 0, v44, vcc
	v_cndmask_b32_e32 v66, 0, v21, vcc
	v_cmp_eq_u32_e32 vcc, 1, v9
	s_waitcnt lgkmcnt(0)
	v_and_b32_e32 v9, 1, v20
	v_cmp_eq_u32_e64 s[0:1], 1, v9
	s_or_b64 s[0:1], vcc, s[0:1]
	v_lshl_add_u64 v[24:25], v[66:67], 0, v[24:25]
	v_cndmask_b32_e64 v64, 0, 1, s[0:1]
.LBB94_136:
	s_or_b64 exec, exec, s[52:53]
	v_mov_b32_e32 v9, 0
	v_mov_b32_e32 v63, 2
	s_branch .LBB94_138
.LBB94_137:                             ;   in Loop: Header=BB94_138 Depth=1
	s_or_b64 exec, exec, s[56:57]
	v_cmp_eq_u16_sdwa vcc, v44, v9 src0_sel:BYTE_0 src1_sel:DWORD
	v_and_b32_e32 v64, 1, v44
	v_subrev_u32_e32 v8, 64, v8
	v_cndmask_b32_e32 v25, 0, v25, vcc
	v_cndmask_b32_e32 v24, 0, v24, vcc
	v_cmp_eq_u32_e32 vcc, 1, v64
	s_or_b64 s[0:1], vcc, s[52:53]
	v_lshl_add_u64 v[24:25], v[24:25], 0, v[20:21]
	v_cndmask_b32_e64 v64, 0, 1, s[0:1]
.LBB94_138:                             ; =>This Loop Header: Depth=1
                                        ;     Child Loop BB94_141 Depth 2
                                        ;       Child Loop BB94_142 Depth 3
	v_cmp_ne_u16_sdwa s[0:1], v45, v63 src0_sel:BYTE_0 src1_sel:DWORD
	s_waitcnt lgkmcnt(1)
	v_mov_b32_e32 v44, v64
	s_waitcnt lgkmcnt(0)
	v_cndmask_b32_e64 v20, 0, 1, s[0:1]
	;;#ASMSTART
	;;#ASMEND
	s_nop 0
	v_cmp_ne_u32_e32 vcc, 0, v20
	s_cmp_lg_u64 vcc, exec
	v_mov_b64_e32 v[20:21], v[24:25]
	s_cbranch_scc1 .LBB94_157
; %bb.139:                              ;   in Loop: Header=BB94_138 Depth=1
	global_load_ubyte v45, v8, s[44:45] sc1
	s_waitcnt vmcnt(0)
	v_cmp_eq_u16_e32 vcc, 0, v45
	s_and_saveexec_b64 s[0:1], vcc
	s_cbranch_execz .LBB94_145
; %bb.140:                              ;   in Loop: Header=BB94_138 Depth=1
	v_lshl_add_u64 v[24:25], s[44:45], 0, v[8:9]
	s_mov_b32 s56, 1
	s_mov_b64 s[52:53], 0
.LBB94_141:                             ;   Parent Loop BB94_138 Depth=1
                                        ; =>  This Loop Header: Depth=2
                                        ;       Child Loop BB94_142 Depth 3
	s_max_u32 s57, s56, 1
.LBB94_142:                             ;   Parent Loop BB94_138 Depth=1
                                        ;     Parent Loop BB94_141 Depth=2
                                        ; =>    This Inner Loop Header: Depth=3
	s_add_i32 s57, s57, -1
	s_cmp_eq_u32 s57, 0
	s_sleep 1
	s_cbranch_scc0 .LBB94_142
; %bb.143:                              ;   in Loop: Header=BB94_141 Depth=2
	global_load_ubyte v45, v[24:25], off sc1
	s_cmp_lt_u32 s56, 32
	s_cselect_b64 s[60:61], -1, 0
	s_cmp_lg_u64 s[60:61], 0
	s_addc_u32 s56, s56, 0
	s_waitcnt vmcnt(0)
	v_cmp_ne_u16_e32 vcc, 0, v45
	s_or_b64 s[52:53], vcc, s[52:53]
	s_andn2_b64 exec, exec, s[52:53]
	s_cbranch_execnz .LBB94_141
; %bb.144:                              ;   in Loop: Header=BB94_138 Depth=1
	s_or_b64 exec, exec, s[52:53]
.LBB94_145:                             ;   in Loop: Header=BB94_138 Depth=1
	s_or_b64 exec, exec, s[0:1]
	v_mov_b32_e32 v24, s43
	v_mov_b32_e32 v25, s41
	v_cmp_eq_u16_e32 vcc, 1, v45
	v_mov_b32_e32 v64, s40
	s_waitcnt vmcnt(0)
	v_cndmask_b32_e32 v25, v24, v25, vcc
	v_mov_b32_e32 v24, s42
	v_cndmask_b32_e32 v24, v24, v64, vcc
	v_lshl_add_u64 v[66:67], v[8:9], 4, v[24:25]
	global_load_dword v24, v[66:67], off sc1
	global_load_dword v25, v[66:67], off offset:4 sc1
	global_load_dword v64, v[66:67], off offset:8 sc1
	;; [unrolled: 1-line block ×3, first 2 shown]
	v_cmp_eq_u16_e32 vcc, 2, v45
	s_waitcnt vmcnt(3)
	ds_bpermute_b32 v68, v52, v24
	s_waitcnt vmcnt(0)
	v_and_b32_e32 v65, vcc_hi, v13
	v_and_b32_e32 v66, 0xff, v64
	v_or_b32_e32 v65, 0x80000000, v65
	ds_bpermute_b32 v69, v52, v25
	ds_bpermute_b32 v67, v52, v66
	v_and_b32_e32 v70, vcc_lo, v12
	v_ffbl_b32_e32 v65, v65
	v_add_u32_e32 v65, 32, v65
	v_ffbl_b32_e32 v70, v70
	v_min_u32_e32 v65, v70, v65
	v_cmp_lt_u32_e32 vcc, v51, v65
	s_and_saveexec_b64 s[0:1], vcc
	s_cbranch_execz .LBB94_147
; %bb.146:                              ;   in Loop: Header=BB94_138 Depth=1
	v_cmp_eq_u16_sdwa vcc, v64, v9 src0_sel:BYTE_0 src1_sel:DWORD
	s_waitcnt lgkmcnt(0)
	v_or_b32_e32 v66, v67, v64
	v_and_b32_e32 v64, 1, v66
	v_cndmask_b32_e32 v69, 0, v69, vcc
	v_cndmask_b32_e32 v68, 0, v68, vcc
	v_lshl_add_u64 v[24:25], v[68:69], 0, v[24:25]
	v_and_b32_e32 v66, 1, v66
.LBB94_147:                             ;   in Loop: Header=BB94_138 Depth=1
	s_or_b64 exec, exec, s[0:1]
	s_waitcnt lgkmcnt(2)
	ds_bpermute_b32 v68, v53, v24
	s_waitcnt lgkmcnt(2)
	ds_bpermute_b32 v69, v53, v25
	;; [unrolled: 2-line block ×3, first 2 shown]
	v_and_b32_e32 v70, 1, v64
	v_cmp_le_u32_e32 vcc, v54, v65
	v_cmp_eq_u32_e64 s[52:53], 1, v70
	s_and_saveexec_b64 s[0:1], vcc
	s_cbranch_execz .LBB94_149
; %bb.148:                              ;   in Loop: Header=BB94_138 Depth=1
	v_cmp_eq_u16_sdwa vcc, v64, v9 src0_sel:BYTE_0 src1_sel:DWORD
	s_waitcnt lgkmcnt(0)
	v_and_b32_e32 v64, 1, v67
	v_cndmask_b32_e32 v69, 0, v69, vcc
	v_cndmask_b32_e32 v68, 0, v68, vcc
	v_cmp_eq_u32_e32 vcc, 1, v64
	s_or_b64 s[56:57], s[52:53], vcc
	v_cndmask_b32_e64 v64, 0, 1, s[56:57]
	v_cndmask_b32_e64 v66, 0, 1, s[56:57]
	s_andn2_b64 s[52:53], s[52:53], exec
	s_and_b64 s[56:57], s[56:57], exec
	v_lshl_add_u64 v[24:25], v[68:69], 0, v[24:25]
	s_or_b64 s[52:53], s[52:53], s[56:57]
.LBB94_149:                             ;   in Loop: Header=BB94_138 Depth=1
	s_or_b64 exec, exec, s[0:1]
	s_waitcnt lgkmcnt(2)
	ds_bpermute_b32 v68, v55, v24
	s_waitcnt lgkmcnt(2)
	ds_bpermute_b32 v69, v55, v25
	s_waitcnt lgkmcnt(2)
	ds_bpermute_b32 v67, v55, v66
	v_cmp_le_u32_e32 vcc, v56, v65
	s_and_saveexec_b64 s[56:57], vcc
	s_cbranch_execz .LBB94_151
; %bb.150:                              ;   in Loop: Header=BB94_138 Depth=1
	v_cmp_eq_u16_sdwa vcc, v64, v9 src0_sel:BYTE_0 src1_sel:DWORD
	v_and_b32_e32 v64, 1, v64
	s_andn2_b64 s[52:53], s[52:53], exec
	s_waitcnt lgkmcnt(1)
	v_cndmask_b32_e32 v69, 0, v69, vcc
	v_cndmask_b32_e32 v68, 0, v68, vcc
	v_cmp_eq_u32_e32 vcc, 1, v64
	s_waitcnt lgkmcnt(0)
	v_and_b32_e32 v64, 1, v67
	v_cmp_eq_u32_e64 s[0:1], 1, v64
	s_or_b64 s[0:1], vcc, s[0:1]
	v_lshl_add_u64 v[24:25], v[68:69], 0, v[24:25]
	v_cndmask_b32_e64 v64, 0, 1, s[0:1]
	v_cndmask_b32_e64 v66, 0, 1, s[0:1]
	s_and_b64 s[0:1], s[0:1], exec
	s_or_b64 s[52:53], s[52:53], s[0:1]
.LBB94_151:                             ;   in Loop: Header=BB94_138 Depth=1
	s_or_b64 exec, exec, s[56:57]
	s_waitcnt lgkmcnt(2)
	ds_bpermute_b32 v68, v57, v24
	s_waitcnt lgkmcnt(2)
	ds_bpermute_b32 v69, v57, v25
	s_waitcnt lgkmcnt(2)
	ds_bpermute_b32 v67, v57, v66
	v_cmp_le_u32_e32 vcc, v58, v65
	s_and_saveexec_b64 s[56:57], vcc
	s_cbranch_execz .LBB94_153
; %bb.152:                              ;   in Loop: Header=BB94_138 Depth=1
	v_cmp_eq_u16_sdwa vcc, v64, v9 src0_sel:BYTE_0 src1_sel:DWORD
	v_and_b32_e32 v64, 1, v64
	s_andn2_b64 s[52:53], s[52:53], exec
	s_waitcnt lgkmcnt(1)
	v_cndmask_b32_e32 v69, 0, v69, vcc
	v_cndmask_b32_e32 v68, 0, v68, vcc
	v_cmp_eq_u32_e32 vcc, 1, v64
	s_waitcnt lgkmcnt(0)
	v_and_b32_e32 v64, 1, v67
	v_cmp_eq_u32_e64 s[0:1], 1, v64
	s_or_b64 s[0:1], vcc, s[0:1]
	v_lshl_add_u64 v[24:25], v[68:69], 0, v[24:25]
	v_cndmask_b32_e64 v64, 0, 1, s[0:1]
	v_cndmask_b32_e64 v66, 0, 1, s[0:1]
	s_and_b64 s[0:1], s[0:1], exec
	s_or_b64 s[52:53], s[52:53], s[0:1]
.LBB94_153:                             ;   in Loop: Header=BB94_138 Depth=1
	s_or_b64 exec, exec, s[56:57]
	s_waitcnt lgkmcnt(2)
	ds_bpermute_b32 v68, v59, v24
	s_waitcnt lgkmcnt(2)
	ds_bpermute_b32 v69, v59, v25
	s_waitcnt lgkmcnt(2)
	ds_bpermute_b32 v67, v59, v66
	v_cmp_le_u32_e32 vcc, v60, v65
	s_and_saveexec_b64 s[56:57], vcc
	s_cbranch_execz .LBB94_155
; %bb.154:                              ;   in Loop: Header=BB94_138 Depth=1
	v_cmp_eq_u16_sdwa vcc, v64, v9 src0_sel:BYTE_0 src1_sel:DWORD
	v_and_b32_e32 v64, 1, v64
	s_andn2_b64 s[52:53], s[52:53], exec
	s_waitcnt lgkmcnt(1)
	v_cndmask_b32_e32 v69, 0, v69, vcc
	v_cndmask_b32_e32 v68, 0, v68, vcc
	v_cmp_eq_u32_e32 vcc, 1, v64
	s_waitcnt lgkmcnt(0)
	v_and_b32_e32 v64, 1, v67
	v_cmp_eq_u32_e64 s[0:1], 1, v64
	s_or_b64 s[0:1], vcc, s[0:1]
	v_lshl_add_u64 v[24:25], v[68:69], 0, v[24:25]
	v_cndmask_b32_e64 v64, 0, 1, s[0:1]
	v_cndmask_b32_e64 v66, 0, 1, s[0:1]
	s_and_b64 s[0:1], s[0:1], exec
	s_or_b64 s[52:53], s[52:53], s[0:1]
.LBB94_155:                             ;   in Loop: Header=BB94_138 Depth=1
	s_or_b64 exec, exec, s[56:57]
	s_waitcnt lgkmcnt(0)
	ds_bpermute_b32 v67, v61, v24
	ds_bpermute_b32 v68, v61, v25
	;; [unrolled: 1-line block ×3, first 2 shown]
	v_cmp_le_u32_e32 vcc, v62, v65
	s_and_saveexec_b64 s[56:57], vcc
	s_cbranch_execz .LBB94_137
; %bb.156:                              ;   in Loop: Header=BB94_138 Depth=1
	v_cmp_eq_u16_sdwa vcc, v64, v9 src0_sel:BYTE_0 src1_sel:DWORD
	v_and_b32_e32 v64, 1, v64
	s_andn2_b64 s[52:53], s[52:53], exec
	s_waitcnt lgkmcnt(1)
	v_cndmask_b32_e32 v69, 0, v68, vcc
	v_cndmask_b32_e32 v68, 0, v67, vcc
	v_cmp_eq_u32_e32 vcc, 1, v64
	s_waitcnt lgkmcnt(0)
	v_and_b32_e32 v64, 1, v66
	v_cmp_eq_u32_e64 s[0:1], 1, v64
	s_or_b64 s[0:1], vcc, s[0:1]
	s_and_b64 s[0:1], s[0:1], exec
	v_lshl_add_u64 v[24:25], v[68:69], 0, v[24:25]
	s_or_b64 s[52:53], s[52:53], s[0:1]
	s_branch .LBB94_137
.LBB94_157:                             ;   in Loop: Header=BB94_138 Depth=1
                                        ; implicit-def: $vgpr64
                                        ; implicit-def: $vgpr24_vgpr25
                                        ; implicit-def: $vgpr45
	s_cbranch_execz .LBB94_138
; %bb.158:
	s_and_saveexec_b64 s[0:1], s[34:35]
	s_cbranch_execz .LBB94_160
; %bb.159:
	s_mov_b32 s41, 0
	v_mov_b32_e32 v12, 0
	s_add_i32 s40, s47, 64
	v_cmp_eq_u32_sdwa vcc, v50, v12 src0_sel:BYTE_0 src1_sel:DWORD
	s_lshl_b64 s[52:53], s[40:41], 4
	v_and_b32_e32 v13, 1, v50
	v_cndmask_b32_e32 v9, 0, v21, vcc
	v_cndmask_b32_e32 v8, 0, v20, vcc
	s_add_u32 s52, s42, s52
	v_lshl_add_u64 v[8:9], v[8:9], 0, v[48:49]
	v_and_b32_e32 v24, 1, v44
	v_cmp_eq_u32_e32 vcc, 1, v13
	s_addc_u32 s53, s43, s53
	s_nop 0
	v_cndmask_b32_e64 v13, v24, 1, vcc
	global_store_dword v12, v8, s[52:53] sc1
	global_store_dword v12, v9, s[52:53] offset:4 sc1
	global_store_dword v12, v13, s[52:53] offset:8 sc1
	;; [unrolled: 1-line block ×3, first 2 shown]
	v_mov_b32_e32 v8, s40
	v_mov_b32_e32 v9, 2
	s_waitcnt vmcnt(0) lgkmcnt(0)
	global_store_byte v8, v9, s[44:45] sc1
.LBB94_160:
	s_or_b64 exec, exec, s[0:1]
	s_and_b64 exec, exec, s[36:37]
	s_cbranch_execz .LBB94_162
; %bb.161:
	v_mov_b32_e32 v8, 0
	ds_write_b64 v8, v[20:21] offset:48
	ds_write_b8 v8, v44 offset:56
.LBB94_162:
	s_or_b64 exec, exec, s[50:51]
	s_waitcnt lgkmcnt(0)
	v_cndmask_b32_e64 v8, v41, v36, s[34:35]
	v_mov_b32_e32 v13, 0
	v_cndmask_b32_e64 v9, v40, v5, s[34:35]
	v_cndmask_b32_e64 v12, v37, v4, s[34:35]
	v_cmp_eq_u16_sdwa vcc, v1, v13 src0_sel:BYTE_0 src1_sel:DWORD
	v_and_b32_e32 v20, 1, v1
	v_and_b32_e32 v8, 1, v8
	s_barrier
	ds_read_b64 v[4:5], v13 offset:48
	v_cndmask_b32_e32 v12, 0, v12, vcc
	v_cndmask_b32_e32 v9, 0, v9, vcc
	v_cmp_eq_u32_e32 vcc, 1, v20
	v_cmp_eq_u32_e64 s[0:1], 1, v8
	s_or_b64 s[0:1], vcc, s[0:1]
	v_cndmask_b32_e64 v9, v9, 0, s[36:37]
	v_cndmask_b32_e64 v8, 0, 1, s[0:1]
	;; [unrolled: 1-line block ×4, first 2 shown]
	v_cmp_eq_u16_sdwa vcc, v20, v13 src0_sel:BYTE_0 src1_sel:DWORD
	v_lshl_add_u64 v[8:9], v[8:9], 0, v[2:3]
	s_waitcnt lgkmcnt(0)
	v_cndmask_b32_e32 v5, 0, v5, vcc
	v_cndmask_b32_e32 v4, 0, v4, vcc
	v_lshl_add_u64 v[48:49], v[8:9], 0, v[4:5]
	v_cndmask_b32_e64 v5, 0, v49, s[6:7]
	v_cndmask_b32_e64 v4, 0, v48, s[6:7]
	v_lshl_add_u64 v[50:51], v[4:5], 0, v[14:15]
	v_cndmask_b32_e64 v5, 0, v51, s[8:9]
	v_cndmask_b32_e64 v4, 0, v50, s[8:9]
	;; [unrolled: 3-line block ×13, first 2 shown]
	v_lshl_add_u64 v[74:75], v[4:5], 0, v[16:17]
	s_branch .LBB94_193
.LBB94_163:
                                        ; implicit-def: $vgpr74_vgpr75
                                        ; implicit-def: $vgpr70_vgpr71
                                        ; implicit-def: $vgpr66_vgpr67
                                        ; implicit-def: $vgpr62_vgpr63
                                        ; implicit-def: $vgpr58_vgpr59
                                        ; implicit-def: $vgpr54_vgpr55
                                        ; implicit-def: $vgpr50_vgpr51
	s_cbranch_execz .LBB94_193
; %bb.164:
	s_cmp_lg_u64 s[64:65], 0
	s_cselect_b32 s7, s59, 0
	s_cselect_b32 s6, s58, 0
	s_cmp_lg_u64 s[6:7], 0
	s_cselect_b64 s[0:1], -1, 0
	s_and_b64 s[8:9], s[36:37], s[0:1]
	s_and_saveexec_b64 s[0:1], s[8:9]
	s_cbranch_execz .LBB94_166
; %bb.165:
	v_mov_b32_e32 v8, 0
	global_load_dwordx2 v[4:5], v8, s[6:7]
	global_load_ubyte v9, v8, s[6:7] offset:8
	v_cmp_eq_u16_sdwa vcc, v1, v8 src0_sel:BYTE_0 src1_sel:DWORD
	s_waitcnt vmcnt(0)
	v_or_b32_e32 v1, v1, v9
	v_cndmask_b32_e32 v5, 0, v5, vcc
	v_cndmask_b32_e32 v4, 0, v4, vcc
	v_lshl_add_u64 v[2:3], v[4:5], 0, v[2:3]
	v_and_b32_e32 v1, 1, v1
.LBB94_166:
	s_or_b64 exec, exec, s[0:1]
	v_mov_b32_e32 v9, 0
	v_cmp_eq_u16_sdwa vcc, v82, v9 src0_sel:BYTE_0 src1_sel:DWORD
	v_cmp_eq_u16_sdwa s[6:7], v81, v9 src0_sel:BYTE_0 src1_sel:DWORD
	v_cmp_eq_u16_sdwa s[8:9], v83, v9 src0_sel:BYTE_0 src1_sel:DWORD
	v_cndmask_b32_e32 v5, 0, v3, vcc
	v_cndmask_b32_e32 v4, 0, v2, vcc
	v_lshl_add_u64 v[50:51], v[4:5], 0, v[14:15]
	v_cndmask_b32_e64 v5, 0, v51, s[6:7]
	v_cndmask_b32_e64 v4, 0, v50, s[6:7]
	v_lshl_add_u64 v[52:53], v[4:5], 0, v[6:7]
	v_cndmask_b32_e64 v5, 0, v53, s[8:9]
	v_cndmask_b32_e64 v4, 0, v52, s[8:9]
	v_lshl_add_u64 v[54:55], v[4:5], 0, v[22:23]
	v_cmp_eq_u16_sdwa s[10:11], v84, v9 src0_sel:BYTE_0 src1_sel:DWORD
	v_cmp_eq_u16_sdwa s[12:13], v85, v9 src0_sel:BYTE_0 src1_sel:DWORD
	v_cmp_eq_u16_sdwa s[14:15], v86, v9 src0_sel:BYTE_0 src1_sel:DWORD
	v_cndmask_b32_e64 v5, 0, v55, s[10:11]
	v_cndmask_b32_e64 v4, 0, v54, s[10:11]
	v_lshl_add_u64 v[56:57], v[4:5], 0, v[10:11]
	v_cndmask_b32_e64 v5, 0, v57, s[12:13]
	v_cndmask_b32_e64 v4, 0, v56, s[12:13]
	v_lshl_add_u64 v[58:59], v[4:5], 0, v[30:31]
	v_cndmask_b32_e64 v5, 0, v59, s[14:15]
	v_cndmask_b32_e64 v4, 0, v58, s[14:15]
	v_lshl_add_u64 v[60:61], v[4:5], 0, v[18:19]
	v_cmp_eq_u16_sdwa s[16:17], v87, v9 src0_sel:BYTE_0 src1_sel:DWORD
	v_cmp_eq_u16_sdwa s[18:19], v88, v9 src0_sel:BYTE_0 src1_sel:DWORD
	v_cmp_eq_u16_sdwa s[20:21], v89, v9 src0_sel:BYTE_0 src1_sel:DWORD
	v_cndmask_b32_e64 v5, 0, v61, s[16:17]
	v_cndmask_b32_e64 v4, 0, v60, s[16:17]
	v_lshl_add_u64 v[62:63], v[4:5], 0, v[38:39]
	v_cndmask_b32_e64 v5, 0, v63, s[18:19]
	v_cndmask_b32_e64 v4, 0, v62, s[18:19]
	v_lshl_add_u64 v[64:65], v[4:5], 0, v[26:27]
	v_cndmask_b32_e64 v5, 0, v65, s[20:21]
	v_cndmask_b32_e64 v4, 0, v64, s[20:21]
	v_lshl_add_u64 v[66:67], v[4:5], 0, v[42:43]
	v_cmp_eq_u16_sdwa s[22:23], v90, v9 src0_sel:BYTE_0 src1_sel:DWORD
	v_cmp_eq_u16_sdwa s[24:25], v91, v9 src0_sel:BYTE_0 src1_sel:DWORD
	v_cmp_eq_u16_sdwa s[26:27], v80, v9 src0_sel:BYTE_0 src1_sel:DWORD
	v_cndmask_b32_e64 v5, 0, v67, s[22:23]
	v_cndmask_b32_e64 v4, 0, v66, s[22:23]
	v_lshl_add_u64 v[68:69], v[4:5], 0, v[34:35]
	v_cndmask_b32_e64 v5, 0, v69, s[24:25]
	v_cndmask_b32_e64 v4, 0, v68, s[24:25]
	v_lshl_add_u64 v[70:71], v[4:5], 0, v[46:47]
	v_cndmask_b32_e64 v5, 0, v71, s[26:27]
	v_cndmask_b32_e64 v4, 0, v70, s[26:27]
	v_lshl_add_u64 v[72:73], v[4:5], 0, v[78:79]
	v_cmp_eq_u16_sdwa s[28:29], v33, v9 src0_sel:BYTE_0 src1_sel:DWORD
	v_and_b32_e32 v8, 0xff, v1
	v_mbcnt_hi_u32_b32 v12, -1, v28
	v_cndmask_b32_e64 v5, 0, v73, s[28:29]
	v_cndmask_b32_e64 v4, 0, v72, s[28:29]
	v_lshl_add_u64 v[74:75], v[4:5], 0, v[16:17]
	v_or_b32_e32 v4, v29, v90
	v_or_b32_e32 v4, v4, v89
	;; [unrolled: 1-line block ×10, first 2 shown]
	v_and_b32_e32 v4, 1, v4
	v_cmp_eq_u32_e64 s[0:1], 1, v4
	v_and_b32_e32 v20, 15, v12
	v_mov_b32_dpp v24, v74 row_shr:1 row_mask:0xf bank_mask:0xf
	v_cndmask_b32_e64 v13, v8, 1, s[0:1]
	v_mov_b32_dpp v25, v75 row_shr:1 row_mask:0xf bank_mask:0xf
	v_cmp_ne_u32_e64 s[0:1], 0, v20
	v_mov_b32_dpp v21, v13 row_shr:1 row_mask:0xf bank_mask:0xf
	v_mov_b64_e32 v[4:5], v[74:75]
	v_mov_b32_e32 v9, v75
	v_mov_b32_e32 v8, v74
	s_and_saveexec_b64 s[30:31], s[0:1]
; %bb.167:
	v_cmp_eq_u32_e64 s[0:1], 0, v13
	v_and_or_b32 v13, v21, 1, v13
	s_nop 0
	v_cndmask_b32_e64 v5, 0, v25, s[0:1]
	v_cndmask_b32_e64 v4, 0, v24, s[0:1]
	v_lshl_add_u64 v[4:5], v[74:75], 0, v[4:5]
	v_mov_b32_e32 v9, v5
	v_mov_b32_e32 v8, v4
; %bb.168:
	s_or_b64 exec, exec, s[30:31]
	s_nop 0
	v_mov_b32_dpp v24, v8 row_shr:2 row_mask:0xf bank_mask:0xf
	v_mov_b32_dpp v25, v9 row_shr:2 row_mask:0xf bank_mask:0xf
	v_mov_b32_dpp v21, v13 row_shr:2 row_mask:0xf bank_mask:0xf
	v_cmp_lt_u32_e64 s[0:1], 1, v20
	s_and_saveexec_b64 s[30:31], s[0:1]
; %bb.169:
	v_cmp_eq_u32_e64 s[0:1], 0, v13
	s_nop 1
	v_cndmask_b32_e64 v9, 0, v25, s[0:1]
	v_cndmask_b32_e64 v8, 0, v24, s[0:1]
	v_lshl_add_u64 v[8:9], v[8:9], 0, v[4:5]
	v_or_b32_e32 v4, v21, v13
	v_and_b32_e32 v13, 1, v4
	v_mov_b64_e32 v[4:5], v[8:9]
; %bb.170:
	s_or_b64 exec, exec, s[30:31]
	v_mov_b32_dpp v24, v8 row_shr:4 row_mask:0xf bank_mask:0xf
	v_mov_b32_dpp v25, v9 row_shr:4 row_mask:0xf bank_mask:0xf
	v_mov_b32_dpp v21, v13 row_shr:4 row_mask:0xf bank_mask:0xf
	v_cmp_lt_u32_e64 s[0:1], 3, v20
	s_and_saveexec_b64 s[30:31], s[0:1]
; %bb.171:
	v_cmp_eq_u32_e64 s[0:1], 0, v13
	s_nop 1
	v_cndmask_b32_e64 v9, 0, v25, s[0:1]
	v_cndmask_b32_e64 v8, 0, v24, s[0:1]
	v_lshl_add_u64 v[8:9], v[8:9], 0, v[4:5]
	v_or_b32_e32 v4, v21, v13
	v_and_b32_e32 v13, 1, v4
	v_mov_b64_e32 v[4:5], v[8:9]
; %bb.172:
	s_or_b64 exec, exec, s[30:31]
	;; [unrolled: 16-line block ×3, first 2 shown]
	v_and_b32_e32 v25, 16, v12
	v_mov_b32_dpp v21, v8 row_bcast:15 row_mask:0xf bank_mask:0xf
	v_mov_b32_dpp v24, v9 row_bcast:15 row_mask:0xf bank_mask:0xf
	;; [unrolled: 1-line block ×3, first 2 shown]
	v_cmp_ne_u32_e64 s[0:1], 0, v25
	s_and_saveexec_b64 s[30:31], s[0:1]
; %bb.175:
	v_cmp_eq_u32_e64 s[0:1], 0, v13
	s_nop 1
	v_cndmask_b32_e64 v9, 0, v24, s[0:1]
	v_cndmask_b32_e64 v8, 0, v21, s[0:1]
	v_lshl_add_u64 v[4:5], v[8:9], 0, v[4:5]
	v_or_b32_e32 v8, v20, v13
	v_and_b32_e32 v13, 1, v8
	v_mov_b32_e32 v9, v5
	v_mov_b32_e32 v8, v4
; %bb.176:
	s_or_b64 exec, exec, s[30:31]
	s_nop 0
	v_mov_b32_dpp v20, v8 row_bcast:31 row_mask:0xf bank_mask:0xf
	v_mov_b32_dpp v21, v9 row_bcast:31 row_mask:0xf bank_mask:0xf
	;; [unrolled: 1-line block ×3, first 2 shown]
	v_cmp_lt_u32_e64 s[0:1], 31, v12
	v_mov_b32_e32 v8, v13
	s_and_saveexec_b64 s[30:31], s[0:1]
; %bb.177:
	v_cmp_eq_u32_e64 s[0:1], 0, v13
	v_or_b32_e32 v9, v9, v13
	v_and_b32_e32 v8, 1, v9
	v_cndmask_b32_e64 v21, 0, v21, s[0:1]
	v_cndmask_b32_e64 v20, 0, v20, s[0:1]
	v_lshl_add_u64 v[4:5], v[20:21], 0, v[4:5]
	v_and_b32_e32 v13, 1, v9
; %bb.178:
	s_or_b64 exec, exec, s[30:31]
	v_or_b32_e32 v9, 63, v0
	v_lshrrev_b32_e32 v20, 6, v0
	v_cmp_eq_u32_e64 s[0:1], v9, v0
	s_and_saveexec_b64 s[30:31], s[0:1]
	s_cbranch_execz .LBB94_180
; %bb.179:
	v_lshlrev_b32_e32 v9, 4, v20
	ds_write_b64 v9, v[4:5]
	ds_write_b8 v9, v8 offset:8
.LBB94_180:
	s_or_b64 exec, exec, s[30:31]
	v_cmp_gt_u32_e64 s[0:1], 4, v0
	s_waitcnt lgkmcnt(0)
	s_barrier
	s_and_saveexec_b64 s[34:35], s[0:1]
	s_cbranch_execz .LBB94_186
; %bb.181:
	v_lshlrev_b32_e32 v21, 4, v0
	ds_read_b64 v[8:9], v21
	ds_read_b32 v24, v21 offset:8
	v_and_b32_e32 v25, 3, v12
	v_cmp_ne_u32_e64 s[0:1], 0, v25
	s_waitcnt lgkmcnt(1)
	v_mov_b32_dpp v36, v8 row_shr:1 row_mask:0xf bank_mask:0xf
	v_mov_b32_dpp v37, v9 row_shr:1 row_mask:0xf bank_mask:0xf
	s_waitcnt lgkmcnt(0)
	v_mov_b32_dpp v33, v24 row_shr:1 row_mask:0xf bank_mask:0xf
	v_mov_b32_e32 v28, v24
	v_mov_b32_e32 v29, v24
	s_and_saveexec_b64 s[30:31], s[0:1]
; %bb.182:
	v_mov_b32_e32 v28, 0
	v_cmp_eq_u16_sdwa s[0:1], v24, v28 src0_sel:BYTE_0 src1_sel:DWORD
	s_nop 1
	v_cndmask_b32_e64 v29, 0, v37, s[0:1]
	v_cndmask_b32_e64 v28, 0, v36, s[0:1]
	v_lshl_add_u64 v[8:9], v[28:29], 0, v[8:9]
	v_or_b32_e32 v29, v33, v24
	v_and_b32_e32 v28, 1, v29
	v_and_b32_e32 v29, 1, v29
	s_movk_i32 s0, 0xff00
	v_and_or_b32 v24, v24, s0, v29
; %bb.183:
	s_or_b64 exec, exec, s[30:31]
	v_mov_b32_dpp v33, v8 row_shr:2 row_mask:0xf bank_mask:0xf
	v_mov_b32_dpp v36, v9 row_shr:2 row_mask:0xf bank_mask:0xf
	;; [unrolled: 1-line block ×3, first 2 shown]
	v_cmp_lt_u32_e64 s[0:1], 1, v25
	s_and_saveexec_b64 s[40:41], s[0:1]
; %bb.184:
	v_mov_b32_e32 v25, 0
	v_cmp_eq_u16_sdwa s[0:1], v29, v25 src0_sel:BYTE_0 src1_sel:DWORD
	v_and_b32_e32 v25, 1, v29
	v_and_b32_e32 v24, 1, v24
	v_cndmask_b32_e64 v37, 0, v36, s[0:1]
	v_cndmask_b32_e64 v36, 0, v33, s[0:1]
	v_cmp_eq_u32_e64 s[0:1], 1, v25
	v_cmp_eq_u32_e64 s[30:31], 1, v24
	s_or_b64 s[0:1], s[0:1], s[30:31]
	v_lshl_add_u64 v[8:9], v[36:37], 0, v[8:9]
	v_cndmask_b32_e64 v28, 0, 1, s[0:1]
; %bb.185:
	s_or_b64 exec, exec, s[40:41]
	ds_write_b64 v21, v[8:9]
	ds_write_b8 v21, v28 offset:8
.LBB94_186:
	s_or_b64 exec, exec, s[34:35]
	v_cmp_lt_u32_e64 s[0:1], 63, v0
	v_mov_b64_e32 v[8:9], 0
	s_waitcnt lgkmcnt(0)
	s_barrier
	s_and_saveexec_b64 s[30:31], s[0:1]
	s_cbranch_execz .LBB94_188
; %bb.187:
	v_lshl_add_u32 v8, v20, 4, -16
	ds_read_b64 v[8:9], v8
	v_cmp_eq_u32_e64 s[0:1], 0, v13
	s_waitcnt lgkmcnt(0)
	s_nop 0
	v_cndmask_b32_e64 v21, 0, v9, s[0:1]
	v_cndmask_b32_e64 v20, 0, v8, s[0:1]
	v_lshl_add_u64 v[4:5], v[20:21], 0, v[4:5]
.LBB94_188:
	s_or_b64 exec, exec, s[30:31]
	v_add_u32_e32 v13, -1, v12
	v_and_b32_e32 v20, 64, v12
	v_cmp_lt_i32_e64 s[0:1], v13, v20
	s_nop 1
	v_cndmask_b32_e64 v13, v13, v12, s[0:1]
	v_lshlrev_b32_e32 v13, 2, v13
	ds_bpermute_b32 v4, v13, v4
	ds_bpermute_b32 v5, v13, v5
	s_and_saveexec_b64 s[30:31], s[4:5]
	s_cbranch_execz .LBB94_190
; %bb.189:
	v_cmp_eq_u32_e64 s[0:1], 0, v12
	;;#ASMSTART
	;;#ASMEND
	s_waitcnt lgkmcnt(1)
	s_nop 0
	v_cndmask_b32_e64 v4, v4, v8, s[0:1]
	v_mov_b32_e32 v8, 0
	s_waitcnt lgkmcnt(0)
	v_cndmask_b32_e64 v5, v5, v9, s[0:1]
	v_cmp_eq_u16_sdwa s[0:1], v1, v8 src0_sel:BYTE_0 src1_sel:DWORD
	s_nop 1
	v_cndmask_b32_e64 v5, 0, v5, s[0:1]
	v_cndmask_b32_e64 v4, 0, v4, s[0:1]
	v_lshl_add_u64 v[2:3], v[4:5], 0, v[2:3]
	v_cndmask_b32_e32 v5, 0, v3, vcc
	v_cndmask_b32_e32 v4, 0, v2, vcc
	v_lshl_add_u64 v[50:51], v[4:5], 0, v[14:15]
	v_cndmask_b32_e64 v5, 0, v51, s[6:7]
	v_cndmask_b32_e64 v4, 0, v50, s[6:7]
	v_lshl_add_u64 v[52:53], v[4:5], 0, v[6:7]
	v_cndmask_b32_e64 v5, 0, v53, s[8:9]
	v_cndmask_b32_e64 v4, 0, v52, s[8:9]
	;; [unrolled: 3-line block ×12, first 2 shown]
	v_lshl_add_u64 v[74:75], v[4:5], 0, v[16:17]
.LBB94_190:
	s_or_b64 exec, exec, s[30:31]
	s_and_saveexec_b64 s[0:1], s[36:37]
	s_cbranch_execz .LBB94_192
; %bb.191:
	v_mov_b32_e32 v1, 0
	s_waitcnt lgkmcnt(0)
	ds_read_b64 v[4:5], v1 offset:48
	ds_read_u8 v6, v1 offset:56
	s_waitcnt lgkmcnt(1)
	global_store_dword v1, v4, s[42:43] offset:1024 sc1
	global_store_dword v1, v5, s[42:43] offset:1028 sc1
	s_waitcnt lgkmcnt(0)
	global_store_dword v1, v6, s[42:43] offset:1032 sc1
	global_store_dword v1, v1, s[42:43] offset:1036 sc1
	v_mov_b32_e32 v4, 2
	s_waitcnt vmcnt(0)
	global_store_byte v1, v4, s[44:45] offset:64 sc1
.LBB94_192:
	s_or_b64 exec, exec, s[0:1]
	v_mov_b64_e32 v[48:49], v[2:3]
.LBB94_193:
	s_add_u32 s0, s54, s38
	s_addc_u32 s1, s55, s39
	s_add_u32 s0, s0, s48
	v_mul_u32_u24_e32 v1, 14, v0
	s_addc_u32 s1, s1, s49
	s_and_b64 vcc, exec, s[2:3]
	v_lshlrev_b32_e32 v30, 3, v1
	s_cbranch_vccz .LBB94_221
; %bb.194:
	s_movk_i32 s2, 0xff98
	v_mad_i32_i24 v1, v0, s2, v30
	s_waitcnt lgkmcnt(0)
	s_barrier
	ds_write_b128 v30, v[48:51]
	ds_write_b128 v30, v[52:55] offset:16
	ds_write_b128 v30, v[56:59] offset:32
	;; [unrolled: 1-line block ×6, first 2 shown]
	s_waitcnt lgkmcnt(0)
	s_barrier
	ds_read2st64_b64 v[26:29], v1 offset0:4 offset1:8
	ds_read2st64_b64 v[22:25], v1 offset0:12 offset1:16
	;; [unrolled: 1-line block ×6, first 2 shown]
	ds_read_b64 v[4:5], v1 offset:26624
	s_add_i32 s33, s33, s46
	v_mov_b32_e32 v33, 0
	v_lshl_add_u64 v[2:3], s[0:1], 0, v[32:33]
	v_cmp_gt_u32_e32 vcc, s33, v0
	s_and_saveexec_b64 s[2:3], vcc
	s_cbranch_execz .LBB94_196
; %bb.195:
	v_mul_i32_i24_e32 v1, 0xffffff98, v0
	v_add_u32_e32 v1, v30, v1
	ds_read_b64 v[34:35], v1
	s_waitcnt lgkmcnt(0)
	flat_store_dwordx2 v[2:3], v[34:35]
.LBB94_196:
	s_or_b64 exec, exec, s[2:3]
	v_or_b32_e32 v1, 0x100, v0
	v_cmp_gt_u32_e32 vcc, s33, v1
	s_and_saveexec_b64 s[2:3], vcc
	s_cbranch_execz .LBB94_198
; %bb.197:
	s_waitcnt lgkmcnt(0)
	flat_store_dwordx2 v[2:3], v[26:27] offset:2048
.LBB94_198:
	s_or_b64 exec, exec, s[2:3]
	v_or_b32_e32 v1, 0x200, v0
	v_cmp_gt_u32_e32 vcc, s33, v1
	s_and_saveexec_b64 s[2:3], vcc
	s_cbranch_execz .LBB94_200
; %bb.199:
	s_waitcnt lgkmcnt(0)
	v_add_co_u32_e32 v26, vcc, 0x1000, v2
	s_nop 1
	v_addc_co_u32_e32 v27, vcc, 0, v3, vcc
	flat_store_dwordx2 v[26:27], v[28:29]
.LBB94_200:
	s_or_b64 exec, exec, s[2:3]
	v_or_b32_e32 v1, 0x300, v0
	v_cmp_gt_u32_e32 vcc, s33, v1
	s_and_saveexec_b64 s[2:3], vcc
	s_cbranch_execz .LBB94_202
; %bb.201:
	s_waitcnt lgkmcnt(0)
	v_add_co_u32_e32 v26, vcc, 0x1000, v2
	s_nop 1
	v_addc_co_u32_e32 v27, vcc, 0, v3, vcc
	flat_store_dwordx2 v[26:27], v[22:23] offset:2048
.LBB94_202:
	s_or_b64 exec, exec, s[2:3]
	v_or_b32_e32 v1, 0x400, v0
	v_cmp_gt_u32_e32 vcc, s33, v1
	s_and_saveexec_b64 s[2:3], vcc
	s_cbranch_execz .LBB94_204
; %bb.203:
	s_waitcnt lgkmcnt(0)
	v_add_co_u32_e32 v22, vcc, 0x2000, v2
	s_nop 1
	v_addc_co_u32_e32 v23, vcc, 0, v3, vcc
	flat_store_dwordx2 v[22:23], v[24:25]
.LBB94_204:
	s_or_b64 exec, exec, s[2:3]
	v_or_b32_e32 v1, 0x500, v0
	v_cmp_gt_u32_e32 vcc, s33, v1
	s_and_saveexec_b64 s[2:3], vcc
	s_cbranch_execz .LBB94_206
; %bb.205:
	s_waitcnt lgkmcnt(0)
	v_add_co_u32_e32 v22, vcc, 0x2000, v2
	s_nop 1
	v_addc_co_u32_e32 v23, vcc, 0, v3, vcc
	flat_store_dwordx2 v[22:23], v[18:19] offset:2048
.LBB94_206:
	;; [unrolled: 24-line block ×5, first 2 shown]
	s_or_b64 exec, exec, s[2:3]
	v_or_b32_e32 v1, 0xc00, v0
	v_cmp_gt_u32_e32 vcc, s33, v1
	s_and_saveexec_b64 s[2:3], vcc
	s_cbranch_execz .LBB94_220
; %bb.219:
	v_add_co_u32_e32 v2, vcc, 0x6000, v2
	s_nop 1
	v_addc_co_u32_e32 v3, vcc, 0, v3, vcc
	s_waitcnt lgkmcnt(0)
	flat_store_dwordx2 v[2:3], v[8:9]
.LBB94_220:
	s_or_b64 exec, exec, s[2:3]
	v_or_b32_e32 v2, 0xd00, v0
	v_mov_b32_e32 v1, v33
	v_cmp_gt_u32_e64 s[2:3], s33, v2
	s_branch .LBB94_223
.LBB94_221:
	s_mov_b64 s[2:3], 0
                                        ; implicit-def: $vgpr4_vgpr5
	s_cbranch_execz .LBB94_223
; %bb.222:
	v_mov_b32_e32 v1, 0
	s_movk_i32 s4, 0xff98
	v_mad_i32_i24 v2, v0, s4, v30
	v_mov_b32_e32 v33, v1
	s_waitcnt lgkmcnt(0)
	s_barrier
	ds_write_b128 v30, v[48:51]
	ds_write_b128 v30, v[52:55] offset:16
	ds_write_b128 v30, v[56:59] offset:32
	;; [unrolled: 1-line block ×6, first 2 shown]
	s_waitcnt lgkmcnt(0)
	s_barrier
	ds_read2st64_b64 v[6:9], v2 offset1:4
	ds_read2st64_b64 v[10:13], v2 offset0:8 offset1:12
	ds_read2st64_b64 v[14:17], v2 offset0:16 offset1:20
	;; [unrolled: 1-line block ×6, first 2 shown]
	v_lshl_add_u64 v[30:31], s[0:1], 0, v[32:33]
	s_movk_i32 s4, 0x1000
	s_waitcnt lgkmcnt(0)
	flat_store_dwordx2 v[30:31], v[6:7]
	flat_store_dwordx2 v[30:31], v[8:9] offset:2048
	v_add_co_u32_e32 v6, vcc, s4, v30
	s_movk_i32 s4, 0x2000
	s_nop 0
	v_addc_co_u32_e32 v7, vcc, 0, v31, vcc
	flat_store_dwordx2 v[6:7], v[10:11]
	flat_store_dwordx2 v[6:7], v[12:13] offset:2048
	v_add_co_u32_e32 v6, vcc, s4, v30
	s_movk_i32 s4, 0x3000
	s_nop 0
	v_addc_co_u32_e32 v7, vcc, 0, v31, vcc
	;; [unrolled: 6-line block ×3, first 2 shown]
	flat_store_dwordx2 v[6:7], v[18:19]
	flat_store_dwordx2 v[6:7], v[20:21] offset:2048
	v_add_co_u32_e32 v6, vcc, s4, v30
	s_or_b64 s[2:3], s[2:3], exec
	s_nop 0
	v_addc_co_u32_e32 v7, vcc, 0, v31, vcc
	flat_store_dwordx2 v[6:7], v[22:23]
	flat_store_dwordx2 v[6:7], v[24:25] offset:2048
	v_add_co_u32_e32 v6, vcc, 0x5000, v30
	s_nop 1
	v_addc_co_u32_e32 v7, vcc, 0, v31, vcc
	flat_store_dwordx2 v[6:7], v[26:27]
	flat_store_dwordx2 v[6:7], v[28:29] offset:2048
	v_add_co_u32_e32 v6, vcc, 0x6000, v30
	s_nop 1
	v_addc_co_u32_e32 v7, vcc, 0, v31, vcc
	flat_store_dwordx2 v[6:7], v[2:3]
.LBB94_223:
	s_and_saveexec_b64 s[4:5], s[2:3]
	s_cbranch_execnz .LBB94_225
; %bb.224:
	s_endpgm
.LBB94_225:
	v_lshl_add_u64 v[0:1], v[0:1], 3, s[0:1]
	v_add_co_u32_e32 v0, vcc, 0x6000, v0
	s_nop 1
	v_addc_co_u32_e32 v1, vcc, 0, v1, vcc
	s_waitcnt lgkmcnt(0)
	flat_store_dwordx2 v[0:1], v[4:5] offset:2048
	s_endpgm
.LBB94_226:
	v_lshl_add_u64 v[6:7], s[50:51], 0, v[2:3]
	flat_load_dwordx2 v[6:7], v[6:7]
	s_or_b64 exec, exec, s[0:1]
                                        ; implicit-def: $vgpr8_vgpr9
	s_and_saveexec_b64 s[0:1], s[8:9]
	s_cbranch_execz .LBB94_41
.LBB94_227:
	v_mov_b32_e32 v3, 0
	v_lshl_add_u64 v[8:9], s[50:51], 0, v[2:3]
	flat_load_dwordx2 v[8:9], v[8:9] offset:2048
	s_or_b64 exec, exec, s[0:1]
                                        ; implicit-def: $vgpr10_vgpr11
	s_and_saveexec_b64 s[0:1], s[10:11]
	s_cbranch_execz .LBB94_42
.LBB94_228:
	v_lshlrev_b32_e32 v10, 3, v1
	v_mov_b32_e32 v11, 0
	v_lshl_add_u64 v[10:11], s[50:51], 0, v[10:11]
	flat_load_dwordx2 v[10:11], v[10:11]
	s_or_b64 exec, exec, s[0:1]
                                        ; implicit-def: $vgpr12_vgpr13
	s_and_saveexec_b64 s[0:1], s[12:13]
	s_cbranch_execz .LBB94_43
.LBB94_229:
	v_lshlrev_b32_e32 v12, 3, v32
	v_mov_b32_e32 v13, 0
	v_lshl_add_u64 v[12:13], s[50:51], 0, v[12:13]
	flat_load_dwordx2 v[12:13], v[12:13]
	s_or_b64 exec, exec, s[0:1]
                                        ; implicit-def: $vgpr14_vgpr15
	s_and_saveexec_b64 s[0:1], s[14:15]
	s_cbranch_execz .LBB94_44
.LBB94_230:
	v_lshlrev_b32_e32 v14, 3, v33
	v_mov_b32_e32 v15, 0
	v_lshl_add_u64 v[14:15], s[50:51], 0, v[14:15]
	flat_load_dwordx2 v[14:15], v[14:15]
	s_or_b64 exec, exec, s[0:1]
                                        ; implicit-def: $vgpr16_vgpr17
	s_and_saveexec_b64 s[0:1], s[16:17]
	s_cbranch_execz .LBB94_45
.LBB94_231:
	v_lshlrev_b32_e32 v16, 3, v34
	v_mov_b32_e32 v17, 0
	v_lshl_add_u64 v[16:17], s[50:51], 0, v[16:17]
	flat_load_dwordx2 v[16:17], v[16:17]
	s_or_b64 exec, exec, s[0:1]
                                        ; implicit-def: $vgpr18_vgpr19
	s_and_saveexec_b64 s[0:1], s[18:19]
	s_cbranch_execz .LBB94_46
.LBB94_232:
	v_lshlrev_b32_e32 v18, 3, v35
	v_mov_b32_e32 v19, 0
	v_lshl_add_u64 v[18:19], s[50:51], 0, v[18:19]
	flat_load_dwordx2 v[18:19], v[18:19]
	s_or_b64 exec, exec, s[0:1]
                                        ; implicit-def: $vgpr20_vgpr21
	s_and_saveexec_b64 s[0:1], s[20:21]
	s_cbranch_execz .LBB94_47
.LBB94_233:
	v_lshlrev_b32_e32 v20, 3, v37
	v_mov_b32_e32 v21, 0
	v_lshl_add_u64 v[20:21], s[50:51], 0, v[20:21]
	flat_load_dwordx2 v[20:21], v[20:21]
	s_or_b64 exec, exec, s[0:1]
                                        ; implicit-def: $vgpr22_vgpr23
	s_and_saveexec_b64 s[0:1], s[22:23]
	s_cbranch_execz .LBB94_48
.LBB94_234:
	v_lshlrev_b32_e32 v22, 3, v38
	v_mov_b32_e32 v23, 0
	v_lshl_add_u64 v[22:23], s[50:51], 0, v[22:23]
	flat_load_dwordx2 v[22:23], v[22:23]
	s_or_b64 exec, exec, s[0:1]
                                        ; implicit-def: $vgpr24_vgpr25
	s_and_saveexec_b64 s[0:1], s[24:25]
	s_cbranch_execz .LBB94_49
.LBB94_235:
	v_lshlrev_b32_e32 v24, 3, v39
	v_mov_b32_e32 v25, 0
	v_lshl_add_u64 v[24:25], s[50:51], 0, v[24:25]
	flat_load_dwordx2 v[24:25], v[24:25]
	s_or_b64 exec, exec, s[0:1]
                                        ; implicit-def: $vgpr26_vgpr27
	s_and_saveexec_b64 s[0:1], s[26:27]
	s_cbranch_execz .LBB94_50
.LBB94_236:
	v_lshlrev_b32_e32 v26, 3, v40
	v_mov_b32_e32 v27, 0
	v_lshl_add_u64 v[26:27], s[50:51], 0, v[26:27]
	flat_load_dwordx2 v[26:27], v[26:27]
	s_or_b64 exec, exec, s[0:1]
                                        ; implicit-def: $vgpr28_vgpr29
	s_and_saveexec_b64 s[0:1], s[28:29]
	s_cbranch_execz .LBB94_51
.LBB94_237:
	v_lshlrev_b32_e32 v28, 3, v41
	v_mov_b32_e32 v29, 0
	v_lshl_add_u64 v[28:29], s[50:51], 0, v[28:29]
	flat_load_dwordx2 v[28:29], v[28:29]
	s_or_b64 exec, exec, s[0:1]
                                        ; implicit-def: $vgpr30_vgpr31
	s_and_saveexec_b64 s[0:1], s[30:31]
	s_cbranch_execz .LBB94_52
.LBB94_238:
	v_lshlrev_b32_e32 v30, 3, v42
	v_mov_b32_e32 v31, 0
	v_lshl_add_u64 v[30:31], s[50:51], 0, v[30:31]
	flat_load_dwordx2 v[30:31], v[30:31]
	s_or_b64 exec, exec, s[0:1]
                                        ; implicit-def: $vgpr32_vgpr33
	s_and_saveexec_b64 s[0:1], s[34:35]
	s_cbranch_execnz .LBB94_53
	s_branch .LBB94_54
.LBB94_239:
                                        ; implicit-def: $sgpr0_sgpr1
	s_branch .LBB94_36
.LBB94_240:
                                        ; implicit-def: $sgpr0_sgpr1
	s_branch .LBB94_85
	.section	.rodata,"a",@progbits
	.p2align	6, 0x0
	.amdhsa_kernel _ZN7rocprim17ROCPRIM_400000_NS6detail17trampoline_kernelINS0_14default_configENS1_27scan_by_key_config_selectorIxxEEZZNS1_16scan_by_key_implILNS1_25lookback_scan_determinismE0ELb0ES3_N6thrust23THRUST_200600_302600_NS6detail15normal_iteratorINS9_10device_ptrIxEEEESE_SE_xNS9_4plusIvEENS9_8equal_toIxEExEE10hipError_tPvRmT2_T3_T4_T5_mT6_T7_P12ihipStream_tbENKUlT_T0_E_clISt17integral_constantIbLb1EESZ_EEDaSU_SV_EUlSU_E_NS1_11comp_targetILNS1_3genE5ELNS1_11target_archE942ELNS1_3gpuE9ELNS1_3repE0EEENS1_30default_config_static_selectorELNS0_4arch9wavefront6targetE1EEEvT1_
		.amdhsa_group_segment_fixed_size 32768
		.amdhsa_private_segment_fixed_size 0
		.amdhsa_kernarg_size 136
		.amdhsa_user_sgpr_count 2
		.amdhsa_user_sgpr_dispatch_ptr 0
		.amdhsa_user_sgpr_queue_ptr 0
		.amdhsa_user_sgpr_kernarg_segment_ptr 1
		.amdhsa_user_sgpr_dispatch_id 0
		.amdhsa_user_sgpr_kernarg_preload_length 0
		.amdhsa_user_sgpr_kernarg_preload_offset 0
		.amdhsa_user_sgpr_private_segment_size 0
		.amdhsa_uses_dynamic_stack 0
		.amdhsa_enable_private_segment 0
		.amdhsa_system_sgpr_workgroup_id_x 1
		.amdhsa_system_sgpr_workgroup_id_y 0
		.amdhsa_system_sgpr_workgroup_id_z 0
		.amdhsa_system_sgpr_workgroup_info 0
		.amdhsa_system_vgpr_workitem_id 0
		.amdhsa_next_free_vgpr 92
		.amdhsa_next_free_sgpr 70
		.amdhsa_accum_offset 92
		.amdhsa_reserve_vcc 1
		.amdhsa_float_round_mode_32 0
		.amdhsa_float_round_mode_16_64 0
		.amdhsa_float_denorm_mode_32 3
		.amdhsa_float_denorm_mode_16_64 3
		.amdhsa_dx10_clamp 1
		.amdhsa_ieee_mode 1
		.amdhsa_fp16_overflow 0
		.amdhsa_tg_split 0
		.amdhsa_exception_fp_ieee_invalid_op 0
		.amdhsa_exception_fp_denorm_src 0
		.amdhsa_exception_fp_ieee_div_zero 0
		.amdhsa_exception_fp_ieee_overflow 0
		.amdhsa_exception_fp_ieee_underflow 0
		.amdhsa_exception_fp_ieee_inexact 0
		.amdhsa_exception_int_div_zero 0
	.end_amdhsa_kernel
	.section	.text._ZN7rocprim17ROCPRIM_400000_NS6detail17trampoline_kernelINS0_14default_configENS1_27scan_by_key_config_selectorIxxEEZZNS1_16scan_by_key_implILNS1_25lookback_scan_determinismE0ELb0ES3_N6thrust23THRUST_200600_302600_NS6detail15normal_iteratorINS9_10device_ptrIxEEEESE_SE_xNS9_4plusIvEENS9_8equal_toIxEExEE10hipError_tPvRmT2_T3_T4_T5_mT6_T7_P12ihipStream_tbENKUlT_T0_E_clISt17integral_constantIbLb1EESZ_EEDaSU_SV_EUlSU_E_NS1_11comp_targetILNS1_3genE5ELNS1_11target_archE942ELNS1_3gpuE9ELNS1_3repE0EEENS1_30default_config_static_selectorELNS0_4arch9wavefront6targetE1EEEvT1_,"axG",@progbits,_ZN7rocprim17ROCPRIM_400000_NS6detail17trampoline_kernelINS0_14default_configENS1_27scan_by_key_config_selectorIxxEEZZNS1_16scan_by_key_implILNS1_25lookback_scan_determinismE0ELb0ES3_N6thrust23THRUST_200600_302600_NS6detail15normal_iteratorINS9_10device_ptrIxEEEESE_SE_xNS9_4plusIvEENS9_8equal_toIxEExEE10hipError_tPvRmT2_T3_T4_T5_mT6_T7_P12ihipStream_tbENKUlT_T0_E_clISt17integral_constantIbLb1EESZ_EEDaSU_SV_EUlSU_E_NS1_11comp_targetILNS1_3genE5ELNS1_11target_archE942ELNS1_3gpuE9ELNS1_3repE0EEENS1_30default_config_static_selectorELNS0_4arch9wavefront6targetE1EEEvT1_,comdat
.Lfunc_end94:
	.size	_ZN7rocprim17ROCPRIM_400000_NS6detail17trampoline_kernelINS0_14default_configENS1_27scan_by_key_config_selectorIxxEEZZNS1_16scan_by_key_implILNS1_25lookback_scan_determinismE0ELb0ES3_N6thrust23THRUST_200600_302600_NS6detail15normal_iteratorINS9_10device_ptrIxEEEESE_SE_xNS9_4plusIvEENS9_8equal_toIxEExEE10hipError_tPvRmT2_T3_T4_T5_mT6_T7_P12ihipStream_tbENKUlT_T0_E_clISt17integral_constantIbLb1EESZ_EEDaSU_SV_EUlSU_E_NS1_11comp_targetILNS1_3genE5ELNS1_11target_archE942ELNS1_3gpuE9ELNS1_3repE0EEENS1_30default_config_static_selectorELNS0_4arch9wavefront6targetE1EEEvT1_, .Lfunc_end94-_ZN7rocprim17ROCPRIM_400000_NS6detail17trampoline_kernelINS0_14default_configENS1_27scan_by_key_config_selectorIxxEEZZNS1_16scan_by_key_implILNS1_25lookback_scan_determinismE0ELb0ES3_N6thrust23THRUST_200600_302600_NS6detail15normal_iteratorINS9_10device_ptrIxEEEESE_SE_xNS9_4plusIvEENS9_8equal_toIxEExEE10hipError_tPvRmT2_T3_T4_T5_mT6_T7_P12ihipStream_tbENKUlT_T0_E_clISt17integral_constantIbLb1EESZ_EEDaSU_SV_EUlSU_E_NS1_11comp_targetILNS1_3genE5ELNS1_11target_archE942ELNS1_3gpuE9ELNS1_3repE0EEENS1_30default_config_static_selectorELNS0_4arch9wavefront6targetE1EEEvT1_
                                        ; -- End function
	.section	.AMDGPU.csdata,"",@progbits
; Kernel info:
; codeLenInByte = 12580
; NumSgprs: 76
; NumVgprs: 92
; NumAgprs: 0
; TotalNumVgprs: 92
; ScratchSize: 0
; MemoryBound: 0
; FloatMode: 240
; IeeeMode: 1
; LDSByteSize: 32768 bytes/workgroup (compile time only)
; SGPRBlocks: 9
; VGPRBlocks: 11
; NumSGPRsForWavesPerEU: 76
; NumVGPRsForWavesPerEU: 92
; AccumOffset: 92
; Occupancy: 2
; WaveLimiterHint : 1
; COMPUTE_PGM_RSRC2:SCRATCH_EN: 0
; COMPUTE_PGM_RSRC2:USER_SGPR: 2
; COMPUTE_PGM_RSRC2:TRAP_HANDLER: 0
; COMPUTE_PGM_RSRC2:TGID_X_EN: 1
; COMPUTE_PGM_RSRC2:TGID_Y_EN: 0
; COMPUTE_PGM_RSRC2:TGID_Z_EN: 0
; COMPUTE_PGM_RSRC2:TIDIG_COMP_CNT: 0
; COMPUTE_PGM_RSRC3_GFX90A:ACCUM_OFFSET: 22
; COMPUTE_PGM_RSRC3_GFX90A:TG_SPLIT: 0
	.section	.text._ZN7rocprim17ROCPRIM_400000_NS6detail17trampoline_kernelINS0_14default_configENS1_27scan_by_key_config_selectorIxxEEZZNS1_16scan_by_key_implILNS1_25lookback_scan_determinismE0ELb0ES3_N6thrust23THRUST_200600_302600_NS6detail15normal_iteratorINS9_10device_ptrIxEEEESE_SE_xNS9_4plusIvEENS9_8equal_toIxEExEE10hipError_tPvRmT2_T3_T4_T5_mT6_T7_P12ihipStream_tbENKUlT_T0_E_clISt17integral_constantIbLb1EESZ_EEDaSU_SV_EUlSU_E_NS1_11comp_targetILNS1_3genE4ELNS1_11target_archE910ELNS1_3gpuE8ELNS1_3repE0EEENS1_30default_config_static_selectorELNS0_4arch9wavefront6targetE1EEEvT1_,"axG",@progbits,_ZN7rocprim17ROCPRIM_400000_NS6detail17trampoline_kernelINS0_14default_configENS1_27scan_by_key_config_selectorIxxEEZZNS1_16scan_by_key_implILNS1_25lookback_scan_determinismE0ELb0ES3_N6thrust23THRUST_200600_302600_NS6detail15normal_iteratorINS9_10device_ptrIxEEEESE_SE_xNS9_4plusIvEENS9_8equal_toIxEExEE10hipError_tPvRmT2_T3_T4_T5_mT6_T7_P12ihipStream_tbENKUlT_T0_E_clISt17integral_constantIbLb1EESZ_EEDaSU_SV_EUlSU_E_NS1_11comp_targetILNS1_3genE4ELNS1_11target_archE910ELNS1_3gpuE8ELNS1_3repE0EEENS1_30default_config_static_selectorELNS0_4arch9wavefront6targetE1EEEvT1_,comdat
	.protected	_ZN7rocprim17ROCPRIM_400000_NS6detail17trampoline_kernelINS0_14default_configENS1_27scan_by_key_config_selectorIxxEEZZNS1_16scan_by_key_implILNS1_25lookback_scan_determinismE0ELb0ES3_N6thrust23THRUST_200600_302600_NS6detail15normal_iteratorINS9_10device_ptrIxEEEESE_SE_xNS9_4plusIvEENS9_8equal_toIxEExEE10hipError_tPvRmT2_T3_T4_T5_mT6_T7_P12ihipStream_tbENKUlT_T0_E_clISt17integral_constantIbLb1EESZ_EEDaSU_SV_EUlSU_E_NS1_11comp_targetILNS1_3genE4ELNS1_11target_archE910ELNS1_3gpuE8ELNS1_3repE0EEENS1_30default_config_static_selectorELNS0_4arch9wavefront6targetE1EEEvT1_ ; -- Begin function _ZN7rocprim17ROCPRIM_400000_NS6detail17trampoline_kernelINS0_14default_configENS1_27scan_by_key_config_selectorIxxEEZZNS1_16scan_by_key_implILNS1_25lookback_scan_determinismE0ELb0ES3_N6thrust23THRUST_200600_302600_NS6detail15normal_iteratorINS9_10device_ptrIxEEEESE_SE_xNS9_4plusIvEENS9_8equal_toIxEExEE10hipError_tPvRmT2_T3_T4_T5_mT6_T7_P12ihipStream_tbENKUlT_T0_E_clISt17integral_constantIbLb1EESZ_EEDaSU_SV_EUlSU_E_NS1_11comp_targetILNS1_3genE4ELNS1_11target_archE910ELNS1_3gpuE8ELNS1_3repE0EEENS1_30default_config_static_selectorELNS0_4arch9wavefront6targetE1EEEvT1_
	.globl	_ZN7rocprim17ROCPRIM_400000_NS6detail17trampoline_kernelINS0_14default_configENS1_27scan_by_key_config_selectorIxxEEZZNS1_16scan_by_key_implILNS1_25lookback_scan_determinismE0ELb0ES3_N6thrust23THRUST_200600_302600_NS6detail15normal_iteratorINS9_10device_ptrIxEEEESE_SE_xNS9_4plusIvEENS9_8equal_toIxEExEE10hipError_tPvRmT2_T3_T4_T5_mT6_T7_P12ihipStream_tbENKUlT_T0_E_clISt17integral_constantIbLb1EESZ_EEDaSU_SV_EUlSU_E_NS1_11comp_targetILNS1_3genE4ELNS1_11target_archE910ELNS1_3gpuE8ELNS1_3repE0EEENS1_30default_config_static_selectorELNS0_4arch9wavefront6targetE1EEEvT1_
	.p2align	8
	.type	_ZN7rocprim17ROCPRIM_400000_NS6detail17trampoline_kernelINS0_14default_configENS1_27scan_by_key_config_selectorIxxEEZZNS1_16scan_by_key_implILNS1_25lookback_scan_determinismE0ELb0ES3_N6thrust23THRUST_200600_302600_NS6detail15normal_iteratorINS9_10device_ptrIxEEEESE_SE_xNS9_4plusIvEENS9_8equal_toIxEExEE10hipError_tPvRmT2_T3_T4_T5_mT6_T7_P12ihipStream_tbENKUlT_T0_E_clISt17integral_constantIbLb1EESZ_EEDaSU_SV_EUlSU_E_NS1_11comp_targetILNS1_3genE4ELNS1_11target_archE910ELNS1_3gpuE8ELNS1_3repE0EEENS1_30default_config_static_selectorELNS0_4arch9wavefront6targetE1EEEvT1_,@function
_ZN7rocprim17ROCPRIM_400000_NS6detail17trampoline_kernelINS0_14default_configENS1_27scan_by_key_config_selectorIxxEEZZNS1_16scan_by_key_implILNS1_25lookback_scan_determinismE0ELb0ES3_N6thrust23THRUST_200600_302600_NS6detail15normal_iteratorINS9_10device_ptrIxEEEESE_SE_xNS9_4plusIvEENS9_8equal_toIxEExEE10hipError_tPvRmT2_T3_T4_T5_mT6_T7_P12ihipStream_tbENKUlT_T0_E_clISt17integral_constantIbLb1EESZ_EEDaSU_SV_EUlSU_E_NS1_11comp_targetILNS1_3genE4ELNS1_11target_archE910ELNS1_3gpuE8ELNS1_3repE0EEENS1_30default_config_static_selectorELNS0_4arch9wavefront6targetE1EEEvT1_: ; @_ZN7rocprim17ROCPRIM_400000_NS6detail17trampoline_kernelINS0_14default_configENS1_27scan_by_key_config_selectorIxxEEZZNS1_16scan_by_key_implILNS1_25lookback_scan_determinismE0ELb0ES3_N6thrust23THRUST_200600_302600_NS6detail15normal_iteratorINS9_10device_ptrIxEEEESE_SE_xNS9_4plusIvEENS9_8equal_toIxEExEE10hipError_tPvRmT2_T3_T4_T5_mT6_T7_P12ihipStream_tbENKUlT_T0_E_clISt17integral_constantIbLb1EESZ_EEDaSU_SV_EUlSU_E_NS1_11comp_targetILNS1_3genE4ELNS1_11target_archE910ELNS1_3gpuE8ELNS1_3repE0EEENS1_30default_config_static_selectorELNS0_4arch9wavefront6targetE1EEEvT1_
; %bb.0:
	.section	.rodata,"a",@progbits
	.p2align	6, 0x0
	.amdhsa_kernel _ZN7rocprim17ROCPRIM_400000_NS6detail17trampoline_kernelINS0_14default_configENS1_27scan_by_key_config_selectorIxxEEZZNS1_16scan_by_key_implILNS1_25lookback_scan_determinismE0ELb0ES3_N6thrust23THRUST_200600_302600_NS6detail15normal_iteratorINS9_10device_ptrIxEEEESE_SE_xNS9_4plusIvEENS9_8equal_toIxEExEE10hipError_tPvRmT2_T3_T4_T5_mT6_T7_P12ihipStream_tbENKUlT_T0_E_clISt17integral_constantIbLb1EESZ_EEDaSU_SV_EUlSU_E_NS1_11comp_targetILNS1_3genE4ELNS1_11target_archE910ELNS1_3gpuE8ELNS1_3repE0EEENS1_30default_config_static_selectorELNS0_4arch9wavefront6targetE1EEEvT1_
		.amdhsa_group_segment_fixed_size 0
		.amdhsa_private_segment_fixed_size 0
		.amdhsa_kernarg_size 136
		.amdhsa_user_sgpr_count 2
		.amdhsa_user_sgpr_dispatch_ptr 0
		.amdhsa_user_sgpr_queue_ptr 0
		.amdhsa_user_sgpr_kernarg_segment_ptr 1
		.amdhsa_user_sgpr_dispatch_id 0
		.amdhsa_user_sgpr_kernarg_preload_length 0
		.amdhsa_user_sgpr_kernarg_preload_offset 0
		.amdhsa_user_sgpr_private_segment_size 0
		.amdhsa_uses_dynamic_stack 0
		.amdhsa_enable_private_segment 0
		.amdhsa_system_sgpr_workgroup_id_x 1
		.amdhsa_system_sgpr_workgroup_id_y 0
		.amdhsa_system_sgpr_workgroup_id_z 0
		.amdhsa_system_sgpr_workgroup_info 0
		.amdhsa_system_vgpr_workitem_id 0
		.amdhsa_next_free_vgpr 1
		.amdhsa_next_free_sgpr 0
		.amdhsa_accum_offset 4
		.amdhsa_reserve_vcc 0
		.amdhsa_float_round_mode_32 0
		.amdhsa_float_round_mode_16_64 0
		.amdhsa_float_denorm_mode_32 3
		.amdhsa_float_denorm_mode_16_64 3
		.amdhsa_dx10_clamp 1
		.amdhsa_ieee_mode 1
		.amdhsa_fp16_overflow 0
		.amdhsa_tg_split 0
		.amdhsa_exception_fp_ieee_invalid_op 0
		.amdhsa_exception_fp_denorm_src 0
		.amdhsa_exception_fp_ieee_div_zero 0
		.amdhsa_exception_fp_ieee_overflow 0
		.amdhsa_exception_fp_ieee_underflow 0
		.amdhsa_exception_fp_ieee_inexact 0
		.amdhsa_exception_int_div_zero 0
	.end_amdhsa_kernel
	.section	.text._ZN7rocprim17ROCPRIM_400000_NS6detail17trampoline_kernelINS0_14default_configENS1_27scan_by_key_config_selectorIxxEEZZNS1_16scan_by_key_implILNS1_25lookback_scan_determinismE0ELb0ES3_N6thrust23THRUST_200600_302600_NS6detail15normal_iteratorINS9_10device_ptrIxEEEESE_SE_xNS9_4plusIvEENS9_8equal_toIxEExEE10hipError_tPvRmT2_T3_T4_T5_mT6_T7_P12ihipStream_tbENKUlT_T0_E_clISt17integral_constantIbLb1EESZ_EEDaSU_SV_EUlSU_E_NS1_11comp_targetILNS1_3genE4ELNS1_11target_archE910ELNS1_3gpuE8ELNS1_3repE0EEENS1_30default_config_static_selectorELNS0_4arch9wavefront6targetE1EEEvT1_,"axG",@progbits,_ZN7rocprim17ROCPRIM_400000_NS6detail17trampoline_kernelINS0_14default_configENS1_27scan_by_key_config_selectorIxxEEZZNS1_16scan_by_key_implILNS1_25lookback_scan_determinismE0ELb0ES3_N6thrust23THRUST_200600_302600_NS6detail15normal_iteratorINS9_10device_ptrIxEEEESE_SE_xNS9_4plusIvEENS9_8equal_toIxEExEE10hipError_tPvRmT2_T3_T4_T5_mT6_T7_P12ihipStream_tbENKUlT_T0_E_clISt17integral_constantIbLb1EESZ_EEDaSU_SV_EUlSU_E_NS1_11comp_targetILNS1_3genE4ELNS1_11target_archE910ELNS1_3gpuE8ELNS1_3repE0EEENS1_30default_config_static_selectorELNS0_4arch9wavefront6targetE1EEEvT1_,comdat
.Lfunc_end95:
	.size	_ZN7rocprim17ROCPRIM_400000_NS6detail17trampoline_kernelINS0_14default_configENS1_27scan_by_key_config_selectorIxxEEZZNS1_16scan_by_key_implILNS1_25lookback_scan_determinismE0ELb0ES3_N6thrust23THRUST_200600_302600_NS6detail15normal_iteratorINS9_10device_ptrIxEEEESE_SE_xNS9_4plusIvEENS9_8equal_toIxEExEE10hipError_tPvRmT2_T3_T4_T5_mT6_T7_P12ihipStream_tbENKUlT_T0_E_clISt17integral_constantIbLb1EESZ_EEDaSU_SV_EUlSU_E_NS1_11comp_targetILNS1_3genE4ELNS1_11target_archE910ELNS1_3gpuE8ELNS1_3repE0EEENS1_30default_config_static_selectorELNS0_4arch9wavefront6targetE1EEEvT1_, .Lfunc_end95-_ZN7rocprim17ROCPRIM_400000_NS6detail17trampoline_kernelINS0_14default_configENS1_27scan_by_key_config_selectorIxxEEZZNS1_16scan_by_key_implILNS1_25lookback_scan_determinismE0ELb0ES3_N6thrust23THRUST_200600_302600_NS6detail15normal_iteratorINS9_10device_ptrIxEEEESE_SE_xNS9_4plusIvEENS9_8equal_toIxEExEE10hipError_tPvRmT2_T3_T4_T5_mT6_T7_P12ihipStream_tbENKUlT_T0_E_clISt17integral_constantIbLb1EESZ_EEDaSU_SV_EUlSU_E_NS1_11comp_targetILNS1_3genE4ELNS1_11target_archE910ELNS1_3gpuE8ELNS1_3repE0EEENS1_30default_config_static_selectorELNS0_4arch9wavefront6targetE1EEEvT1_
                                        ; -- End function
	.section	.AMDGPU.csdata,"",@progbits
; Kernel info:
; codeLenInByte = 0
; NumSgprs: 6
; NumVgprs: 0
; NumAgprs: 0
; TotalNumVgprs: 0
; ScratchSize: 0
; MemoryBound: 0
; FloatMode: 240
; IeeeMode: 1
; LDSByteSize: 0 bytes/workgroup (compile time only)
; SGPRBlocks: 0
; VGPRBlocks: 0
; NumSGPRsForWavesPerEU: 6
; NumVGPRsForWavesPerEU: 1
; AccumOffset: 4
; Occupancy: 8
; WaveLimiterHint : 0
; COMPUTE_PGM_RSRC2:SCRATCH_EN: 0
; COMPUTE_PGM_RSRC2:USER_SGPR: 2
; COMPUTE_PGM_RSRC2:TRAP_HANDLER: 0
; COMPUTE_PGM_RSRC2:TGID_X_EN: 1
; COMPUTE_PGM_RSRC2:TGID_Y_EN: 0
; COMPUTE_PGM_RSRC2:TGID_Z_EN: 0
; COMPUTE_PGM_RSRC2:TIDIG_COMP_CNT: 0
; COMPUTE_PGM_RSRC3_GFX90A:ACCUM_OFFSET: 0
; COMPUTE_PGM_RSRC3_GFX90A:TG_SPLIT: 0
	.section	.text._ZN7rocprim17ROCPRIM_400000_NS6detail17trampoline_kernelINS0_14default_configENS1_27scan_by_key_config_selectorIxxEEZZNS1_16scan_by_key_implILNS1_25lookback_scan_determinismE0ELb0ES3_N6thrust23THRUST_200600_302600_NS6detail15normal_iteratorINS9_10device_ptrIxEEEESE_SE_xNS9_4plusIvEENS9_8equal_toIxEExEE10hipError_tPvRmT2_T3_T4_T5_mT6_T7_P12ihipStream_tbENKUlT_T0_E_clISt17integral_constantIbLb1EESZ_EEDaSU_SV_EUlSU_E_NS1_11comp_targetILNS1_3genE3ELNS1_11target_archE908ELNS1_3gpuE7ELNS1_3repE0EEENS1_30default_config_static_selectorELNS0_4arch9wavefront6targetE1EEEvT1_,"axG",@progbits,_ZN7rocprim17ROCPRIM_400000_NS6detail17trampoline_kernelINS0_14default_configENS1_27scan_by_key_config_selectorIxxEEZZNS1_16scan_by_key_implILNS1_25lookback_scan_determinismE0ELb0ES3_N6thrust23THRUST_200600_302600_NS6detail15normal_iteratorINS9_10device_ptrIxEEEESE_SE_xNS9_4plusIvEENS9_8equal_toIxEExEE10hipError_tPvRmT2_T3_T4_T5_mT6_T7_P12ihipStream_tbENKUlT_T0_E_clISt17integral_constantIbLb1EESZ_EEDaSU_SV_EUlSU_E_NS1_11comp_targetILNS1_3genE3ELNS1_11target_archE908ELNS1_3gpuE7ELNS1_3repE0EEENS1_30default_config_static_selectorELNS0_4arch9wavefront6targetE1EEEvT1_,comdat
	.protected	_ZN7rocprim17ROCPRIM_400000_NS6detail17trampoline_kernelINS0_14default_configENS1_27scan_by_key_config_selectorIxxEEZZNS1_16scan_by_key_implILNS1_25lookback_scan_determinismE0ELb0ES3_N6thrust23THRUST_200600_302600_NS6detail15normal_iteratorINS9_10device_ptrIxEEEESE_SE_xNS9_4plusIvEENS9_8equal_toIxEExEE10hipError_tPvRmT2_T3_T4_T5_mT6_T7_P12ihipStream_tbENKUlT_T0_E_clISt17integral_constantIbLb1EESZ_EEDaSU_SV_EUlSU_E_NS1_11comp_targetILNS1_3genE3ELNS1_11target_archE908ELNS1_3gpuE7ELNS1_3repE0EEENS1_30default_config_static_selectorELNS0_4arch9wavefront6targetE1EEEvT1_ ; -- Begin function _ZN7rocprim17ROCPRIM_400000_NS6detail17trampoline_kernelINS0_14default_configENS1_27scan_by_key_config_selectorIxxEEZZNS1_16scan_by_key_implILNS1_25lookback_scan_determinismE0ELb0ES3_N6thrust23THRUST_200600_302600_NS6detail15normal_iteratorINS9_10device_ptrIxEEEESE_SE_xNS9_4plusIvEENS9_8equal_toIxEExEE10hipError_tPvRmT2_T3_T4_T5_mT6_T7_P12ihipStream_tbENKUlT_T0_E_clISt17integral_constantIbLb1EESZ_EEDaSU_SV_EUlSU_E_NS1_11comp_targetILNS1_3genE3ELNS1_11target_archE908ELNS1_3gpuE7ELNS1_3repE0EEENS1_30default_config_static_selectorELNS0_4arch9wavefront6targetE1EEEvT1_
	.globl	_ZN7rocprim17ROCPRIM_400000_NS6detail17trampoline_kernelINS0_14default_configENS1_27scan_by_key_config_selectorIxxEEZZNS1_16scan_by_key_implILNS1_25lookback_scan_determinismE0ELb0ES3_N6thrust23THRUST_200600_302600_NS6detail15normal_iteratorINS9_10device_ptrIxEEEESE_SE_xNS9_4plusIvEENS9_8equal_toIxEExEE10hipError_tPvRmT2_T3_T4_T5_mT6_T7_P12ihipStream_tbENKUlT_T0_E_clISt17integral_constantIbLb1EESZ_EEDaSU_SV_EUlSU_E_NS1_11comp_targetILNS1_3genE3ELNS1_11target_archE908ELNS1_3gpuE7ELNS1_3repE0EEENS1_30default_config_static_selectorELNS0_4arch9wavefront6targetE1EEEvT1_
	.p2align	8
	.type	_ZN7rocprim17ROCPRIM_400000_NS6detail17trampoline_kernelINS0_14default_configENS1_27scan_by_key_config_selectorIxxEEZZNS1_16scan_by_key_implILNS1_25lookback_scan_determinismE0ELb0ES3_N6thrust23THRUST_200600_302600_NS6detail15normal_iteratorINS9_10device_ptrIxEEEESE_SE_xNS9_4plusIvEENS9_8equal_toIxEExEE10hipError_tPvRmT2_T3_T4_T5_mT6_T7_P12ihipStream_tbENKUlT_T0_E_clISt17integral_constantIbLb1EESZ_EEDaSU_SV_EUlSU_E_NS1_11comp_targetILNS1_3genE3ELNS1_11target_archE908ELNS1_3gpuE7ELNS1_3repE0EEENS1_30default_config_static_selectorELNS0_4arch9wavefront6targetE1EEEvT1_,@function
_ZN7rocprim17ROCPRIM_400000_NS6detail17trampoline_kernelINS0_14default_configENS1_27scan_by_key_config_selectorIxxEEZZNS1_16scan_by_key_implILNS1_25lookback_scan_determinismE0ELb0ES3_N6thrust23THRUST_200600_302600_NS6detail15normal_iteratorINS9_10device_ptrIxEEEESE_SE_xNS9_4plusIvEENS9_8equal_toIxEExEE10hipError_tPvRmT2_T3_T4_T5_mT6_T7_P12ihipStream_tbENKUlT_T0_E_clISt17integral_constantIbLb1EESZ_EEDaSU_SV_EUlSU_E_NS1_11comp_targetILNS1_3genE3ELNS1_11target_archE908ELNS1_3gpuE7ELNS1_3repE0EEENS1_30default_config_static_selectorELNS0_4arch9wavefront6targetE1EEEvT1_: ; @_ZN7rocprim17ROCPRIM_400000_NS6detail17trampoline_kernelINS0_14default_configENS1_27scan_by_key_config_selectorIxxEEZZNS1_16scan_by_key_implILNS1_25lookback_scan_determinismE0ELb0ES3_N6thrust23THRUST_200600_302600_NS6detail15normal_iteratorINS9_10device_ptrIxEEEESE_SE_xNS9_4plusIvEENS9_8equal_toIxEExEE10hipError_tPvRmT2_T3_T4_T5_mT6_T7_P12ihipStream_tbENKUlT_T0_E_clISt17integral_constantIbLb1EESZ_EEDaSU_SV_EUlSU_E_NS1_11comp_targetILNS1_3genE3ELNS1_11target_archE908ELNS1_3gpuE7ELNS1_3repE0EEENS1_30default_config_static_selectorELNS0_4arch9wavefront6targetE1EEEvT1_
; %bb.0:
	.section	.rodata,"a",@progbits
	.p2align	6, 0x0
	.amdhsa_kernel _ZN7rocprim17ROCPRIM_400000_NS6detail17trampoline_kernelINS0_14default_configENS1_27scan_by_key_config_selectorIxxEEZZNS1_16scan_by_key_implILNS1_25lookback_scan_determinismE0ELb0ES3_N6thrust23THRUST_200600_302600_NS6detail15normal_iteratorINS9_10device_ptrIxEEEESE_SE_xNS9_4plusIvEENS9_8equal_toIxEExEE10hipError_tPvRmT2_T3_T4_T5_mT6_T7_P12ihipStream_tbENKUlT_T0_E_clISt17integral_constantIbLb1EESZ_EEDaSU_SV_EUlSU_E_NS1_11comp_targetILNS1_3genE3ELNS1_11target_archE908ELNS1_3gpuE7ELNS1_3repE0EEENS1_30default_config_static_selectorELNS0_4arch9wavefront6targetE1EEEvT1_
		.amdhsa_group_segment_fixed_size 0
		.amdhsa_private_segment_fixed_size 0
		.amdhsa_kernarg_size 136
		.amdhsa_user_sgpr_count 2
		.amdhsa_user_sgpr_dispatch_ptr 0
		.amdhsa_user_sgpr_queue_ptr 0
		.amdhsa_user_sgpr_kernarg_segment_ptr 1
		.amdhsa_user_sgpr_dispatch_id 0
		.amdhsa_user_sgpr_kernarg_preload_length 0
		.amdhsa_user_sgpr_kernarg_preload_offset 0
		.amdhsa_user_sgpr_private_segment_size 0
		.amdhsa_uses_dynamic_stack 0
		.amdhsa_enable_private_segment 0
		.amdhsa_system_sgpr_workgroup_id_x 1
		.amdhsa_system_sgpr_workgroup_id_y 0
		.amdhsa_system_sgpr_workgroup_id_z 0
		.amdhsa_system_sgpr_workgroup_info 0
		.amdhsa_system_vgpr_workitem_id 0
		.amdhsa_next_free_vgpr 1
		.amdhsa_next_free_sgpr 0
		.amdhsa_accum_offset 4
		.amdhsa_reserve_vcc 0
		.amdhsa_float_round_mode_32 0
		.amdhsa_float_round_mode_16_64 0
		.amdhsa_float_denorm_mode_32 3
		.amdhsa_float_denorm_mode_16_64 3
		.amdhsa_dx10_clamp 1
		.amdhsa_ieee_mode 1
		.amdhsa_fp16_overflow 0
		.amdhsa_tg_split 0
		.amdhsa_exception_fp_ieee_invalid_op 0
		.amdhsa_exception_fp_denorm_src 0
		.amdhsa_exception_fp_ieee_div_zero 0
		.amdhsa_exception_fp_ieee_overflow 0
		.amdhsa_exception_fp_ieee_underflow 0
		.amdhsa_exception_fp_ieee_inexact 0
		.amdhsa_exception_int_div_zero 0
	.end_amdhsa_kernel
	.section	.text._ZN7rocprim17ROCPRIM_400000_NS6detail17trampoline_kernelINS0_14default_configENS1_27scan_by_key_config_selectorIxxEEZZNS1_16scan_by_key_implILNS1_25lookback_scan_determinismE0ELb0ES3_N6thrust23THRUST_200600_302600_NS6detail15normal_iteratorINS9_10device_ptrIxEEEESE_SE_xNS9_4plusIvEENS9_8equal_toIxEExEE10hipError_tPvRmT2_T3_T4_T5_mT6_T7_P12ihipStream_tbENKUlT_T0_E_clISt17integral_constantIbLb1EESZ_EEDaSU_SV_EUlSU_E_NS1_11comp_targetILNS1_3genE3ELNS1_11target_archE908ELNS1_3gpuE7ELNS1_3repE0EEENS1_30default_config_static_selectorELNS0_4arch9wavefront6targetE1EEEvT1_,"axG",@progbits,_ZN7rocprim17ROCPRIM_400000_NS6detail17trampoline_kernelINS0_14default_configENS1_27scan_by_key_config_selectorIxxEEZZNS1_16scan_by_key_implILNS1_25lookback_scan_determinismE0ELb0ES3_N6thrust23THRUST_200600_302600_NS6detail15normal_iteratorINS9_10device_ptrIxEEEESE_SE_xNS9_4plusIvEENS9_8equal_toIxEExEE10hipError_tPvRmT2_T3_T4_T5_mT6_T7_P12ihipStream_tbENKUlT_T0_E_clISt17integral_constantIbLb1EESZ_EEDaSU_SV_EUlSU_E_NS1_11comp_targetILNS1_3genE3ELNS1_11target_archE908ELNS1_3gpuE7ELNS1_3repE0EEENS1_30default_config_static_selectorELNS0_4arch9wavefront6targetE1EEEvT1_,comdat
.Lfunc_end96:
	.size	_ZN7rocprim17ROCPRIM_400000_NS6detail17trampoline_kernelINS0_14default_configENS1_27scan_by_key_config_selectorIxxEEZZNS1_16scan_by_key_implILNS1_25lookback_scan_determinismE0ELb0ES3_N6thrust23THRUST_200600_302600_NS6detail15normal_iteratorINS9_10device_ptrIxEEEESE_SE_xNS9_4plusIvEENS9_8equal_toIxEExEE10hipError_tPvRmT2_T3_T4_T5_mT6_T7_P12ihipStream_tbENKUlT_T0_E_clISt17integral_constantIbLb1EESZ_EEDaSU_SV_EUlSU_E_NS1_11comp_targetILNS1_3genE3ELNS1_11target_archE908ELNS1_3gpuE7ELNS1_3repE0EEENS1_30default_config_static_selectorELNS0_4arch9wavefront6targetE1EEEvT1_, .Lfunc_end96-_ZN7rocprim17ROCPRIM_400000_NS6detail17trampoline_kernelINS0_14default_configENS1_27scan_by_key_config_selectorIxxEEZZNS1_16scan_by_key_implILNS1_25lookback_scan_determinismE0ELb0ES3_N6thrust23THRUST_200600_302600_NS6detail15normal_iteratorINS9_10device_ptrIxEEEESE_SE_xNS9_4plusIvEENS9_8equal_toIxEExEE10hipError_tPvRmT2_T3_T4_T5_mT6_T7_P12ihipStream_tbENKUlT_T0_E_clISt17integral_constantIbLb1EESZ_EEDaSU_SV_EUlSU_E_NS1_11comp_targetILNS1_3genE3ELNS1_11target_archE908ELNS1_3gpuE7ELNS1_3repE0EEENS1_30default_config_static_selectorELNS0_4arch9wavefront6targetE1EEEvT1_
                                        ; -- End function
	.section	.AMDGPU.csdata,"",@progbits
; Kernel info:
; codeLenInByte = 0
; NumSgprs: 6
; NumVgprs: 0
; NumAgprs: 0
; TotalNumVgprs: 0
; ScratchSize: 0
; MemoryBound: 0
; FloatMode: 240
; IeeeMode: 1
; LDSByteSize: 0 bytes/workgroup (compile time only)
; SGPRBlocks: 0
; VGPRBlocks: 0
; NumSGPRsForWavesPerEU: 6
; NumVGPRsForWavesPerEU: 1
; AccumOffset: 4
; Occupancy: 8
; WaveLimiterHint : 0
; COMPUTE_PGM_RSRC2:SCRATCH_EN: 0
; COMPUTE_PGM_RSRC2:USER_SGPR: 2
; COMPUTE_PGM_RSRC2:TRAP_HANDLER: 0
; COMPUTE_PGM_RSRC2:TGID_X_EN: 1
; COMPUTE_PGM_RSRC2:TGID_Y_EN: 0
; COMPUTE_PGM_RSRC2:TGID_Z_EN: 0
; COMPUTE_PGM_RSRC2:TIDIG_COMP_CNT: 0
; COMPUTE_PGM_RSRC3_GFX90A:ACCUM_OFFSET: 0
; COMPUTE_PGM_RSRC3_GFX90A:TG_SPLIT: 0
	.section	.text._ZN7rocprim17ROCPRIM_400000_NS6detail17trampoline_kernelINS0_14default_configENS1_27scan_by_key_config_selectorIxxEEZZNS1_16scan_by_key_implILNS1_25lookback_scan_determinismE0ELb0ES3_N6thrust23THRUST_200600_302600_NS6detail15normal_iteratorINS9_10device_ptrIxEEEESE_SE_xNS9_4plusIvEENS9_8equal_toIxEExEE10hipError_tPvRmT2_T3_T4_T5_mT6_T7_P12ihipStream_tbENKUlT_T0_E_clISt17integral_constantIbLb1EESZ_EEDaSU_SV_EUlSU_E_NS1_11comp_targetILNS1_3genE2ELNS1_11target_archE906ELNS1_3gpuE6ELNS1_3repE0EEENS1_30default_config_static_selectorELNS0_4arch9wavefront6targetE1EEEvT1_,"axG",@progbits,_ZN7rocprim17ROCPRIM_400000_NS6detail17trampoline_kernelINS0_14default_configENS1_27scan_by_key_config_selectorIxxEEZZNS1_16scan_by_key_implILNS1_25lookback_scan_determinismE0ELb0ES3_N6thrust23THRUST_200600_302600_NS6detail15normal_iteratorINS9_10device_ptrIxEEEESE_SE_xNS9_4plusIvEENS9_8equal_toIxEExEE10hipError_tPvRmT2_T3_T4_T5_mT6_T7_P12ihipStream_tbENKUlT_T0_E_clISt17integral_constantIbLb1EESZ_EEDaSU_SV_EUlSU_E_NS1_11comp_targetILNS1_3genE2ELNS1_11target_archE906ELNS1_3gpuE6ELNS1_3repE0EEENS1_30default_config_static_selectorELNS0_4arch9wavefront6targetE1EEEvT1_,comdat
	.protected	_ZN7rocprim17ROCPRIM_400000_NS6detail17trampoline_kernelINS0_14default_configENS1_27scan_by_key_config_selectorIxxEEZZNS1_16scan_by_key_implILNS1_25lookback_scan_determinismE0ELb0ES3_N6thrust23THRUST_200600_302600_NS6detail15normal_iteratorINS9_10device_ptrIxEEEESE_SE_xNS9_4plusIvEENS9_8equal_toIxEExEE10hipError_tPvRmT2_T3_T4_T5_mT6_T7_P12ihipStream_tbENKUlT_T0_E_clISt17integral_constantIbLb1EESZ_EEDaSU_SV_EUlSU_E_NS1_11comp_targetILNS1_3genE2ELNS1_11target_archE906ELNS1_3gpuE6ELNS1_3repE0EEENS1_30default_config_static_selectorELNS0_4arch9wavefront6targetE1EEEvT1_ ; -- Begin function _ZN7rocprim17ROCPRIM_400000_NS6detail17trampoline_kernelINS0_14default_configENS1_27scan_by_key_config_selectorIxxEEZZNS1_16scan_by_key_implILNS1_25lookback_scan_determinismE0ELb0ES3_N6thrust23THRUST_200600_302600_NS6detail15normal_iteratorINS9_10device_ptrIxEEEESE_SE_xNS9_4plusIvEENS9_8equal_toIxEExEE10hipError_tPvRmT2_T3_T4_T5_mT6_T7_P12ihipStream_tbENKUlT_T0_E_clISt17integral_constantIbLb1EESZ_EEDaSU_SV_EUlSU_E_NS1_11comp_targetILNS1_3genE2ELNS1_11target_archE906ELNS1_3gpuE6ELNS1_3repE0EEENS1_30default_config_static_selectorELNS0_4arch9wavefront6targetE1EEEvT1_
	.globl	_ZN7rocprim17ROCPRIM_400000_NS6detail17trampoline_kernelINS0_14default_configENS1_27scan_by_key_config_selectorIxxEEZZNS1_16scan_by_key_implILNS1_25lookback_scan_determinismE0ELb0ES3_N6thrust23THRUST_200600_302600_NS6detail15normal_iteratorINS9_10device_ptrIxEEEESE_SE_xNS9_4plusIvEENS9_8equal_toIxEExEE10hipError_tPvRmT2_T3_T4_T5_mT6_T7_P12ihipStream_tbENKUlT_T0_E_clISt17integral_constantIbLb1EESZ_EEDaSU_SV_EUlSU_E_NS1_11comp_targetILNS1_3genE2ELNS1_11target_archE906ELNS1_3gpuE6ELNS1_3repE0EEENS1_30default_config_static_selectorELNS0_4arch9wavefront6targetE1EEEvT1_
	.p2align	8
	.type	_ZN7rocprim17ROCPRIM_400000_NS6detail17trampoline_kernelINS0_14default_configENS1_27scan_by_key_config_selectorIxxEEZZNS1_16scan_by_key_implILNS1_25lookback_scan_determinismE0ELb0ES3_N6thrust23THRUST_200600_302600_NS6detail15normal_iteratorINS9_10device_ptrIxEEEESE_SE_xNS9_4plusIvEENS9_8equal_toIxEExEE10hipError_tPvRmT2_T3_T4_T5_mT6_T7_P12ihipStream_tbENKUlT_T0_E_clISt17integral_constantIbLb1EESZ_EEDaSU_SV_EUlSU_E_NS1_11comp_targetILNS1_3genE2ELNS1_11target_archE906ELNS1_3gpuE6ELNS1_3repE0EEENS1_30default_config_static_selectorELNS0_4arch9wavefront6targetE1EEEvT1_,@function
_ZN7rocprim17ROCPRIM_400000_NS6detail17trampoline_kernelINS0_14default_configENS1_27scan_by_key_config_selectorIxxEEZZNS1_16scan_by_key_implILNS1_25lookback_scan_determinismE0ELb0ES3_N6thrust23THRUST_200600_302600_NS6detail15normal_iteratorINS9_10device_ptrIxEEEESE_SE_xNS9_4plusIvEENS9_8equal_toIxEExEE10hipError_tPvRmT2_T3_T4_T5_mT6_T7_P12ihipStream_tbENKUlT_T0_E_clISt17integral_constantIbLb1EESZ_EEDaSU_SV_EUlSU_E_NS1_11comp_targetILNS1_3genE2ELNS1_11target_archE906ELNS1_3gpuE6ELNS1_3repE0EEENS1_30default_config_static_selectorELNS0_4arch9wavefront6targetE1EEEvT1_: ; @_ZN7rocprim17ROCPRIM_400000_NS6detail17trampoline_kernelINS0_14default_configENS1_27scan_by_key_config_selectorIxxEEZZNS1_16scan_by_key_implILNS1_25lookback_scan_determinismE0ELb0ES3_N6thrust23THRUST_200600_302600_NS6detail15normal_iteratorINS9_10device_ptrIxEEEESE_SE_xNS9_4plusIvEENS9_8equal_toIxEExEE10hipError_tPvRmT2_T3_T4_T5_mT6_T7_P12ihipStream_tbENKUlT_T0_E_clISt17integral_constantIbLb1EESZ_EEDaSU_SV_EUlSU_E_NS1_11comp_targetILNS1_3genE2ELNS1_11target_archE906ELNS1_3gpuE6ELNS1_3repE0EEENS1_30default_config_static_selectorELNS0_4arch9wavefront6targetE1EEEvT1_
; %bb.0:
	.section	.rodata,"a",@progbits
	.p2align	6, 0x0
	.amdhsa_kernel _ZN7rocprim17ROCPRIM_400000_NS6detail17trampoline_kernelINS0_14default_configENS1_27scan_by_key_config_selectorIxxEEZZNS1_16scan_by_key_implILNS1_25lookback_scan_determinismE0ELb0ES3_N6thrust23THRUST_200600_302600_NS6detail15normal_iteratorINS9_10device_ptrIxEEEESE_SE_xNS9_4plusIvEENS9_8equal_toIxEExEE10hipError_tPvRmT2_T3_T4_T5_mT6_T7_P12ihipStream_tbENKUlT_T0_E_clISt17integral_constantIbLb1EESZ_EEDaSU_SV_EUlSU_E_NS1_11comp_targetILNS1_3genE2ELNS1_11target_archE906ELNS1_3gpuE6ELNS1_3repE0EEENS1_30default_config_static_selectorELNS0_4arch9wavefront6targetE1EEEvT1_
		.amdhsa_group_segment_fixed_size 0
		.amdhsa_private_segment_fixed_size 0
		.amdhsa_kernarg_size 136
		.amdhsa_user_sgpr_count 2
		.amdhsa_user_sgpr_dispatch_ptr 0
		.amdhsa_user_sgpr_queue_ptr 0
		.amdhsa_user_sgpr_kernarg_segment_ptr 1
		.amdhsa_user_sgpr_dispatch_id 0
		.amdhsa_user_sgpr_kernarg_preload_length 0
		.amdhsa_user_sgpr_kernarg_preload_offset 0
		.amdhsa_user_sgpr_private_segment_size 0
		.amdhsa_uses_dynamic_stack 0
		.amdhsa_enable_private_segment 0
		.amdhsa_system_sgpr_workgroup_id_x 1
		.amdhsa_system_sgpr_workgroup_id_y 0
		.amdhsa_system_sgpr_workgroup_id_z 0
		.amdhsa_system_sgpr_workgroup_info 0
		.amdhsa_system_vgpr_workitem_id 0
		.amdhsa_next_free_vgpr 1
		.amdhsa_next_free_sgpr 0
		.amdhsa_accum_offset 4
		.amdhsa_reserve_vcc 0
		.amdhsa_float_round_mode_32 0
		.amdhsa_float_round_mode_16_64 0
		.amdhsa_float_denorm_mode_32 3
		.amdhsa_float_denorm_mode_16_64 3
		.amdhsa_dx10_clamp 1
		.amdhsa_ieee_mode 1
		.amdhsa_fp16_overflow 0
		.amdhsa_tg_split 0
		.amdhsa_exception_fp_ieee_invalid_op 0
		.amdhsa_exception_fp_denorm_src 0
		.amdhsa_exception_fp_ieee_div_zero 0
		.amdhsa_exception_fp_ieee_overflow 0
		.amdhsa_exception_fp_ieee_underflow 0
		.amdhsa_exception_fp_ieee_inexact 0
		.amdhsa_exception_int_div_zero 0
	.end_amdhsa_kernel
	.section	.text._ZN7rocprim17ROCPRIM_400000_NS6detail17trampoline_kernelINS0_14default_configENS1_27scan_by_key_config_selectorIxxEEZZNS1_16scan_by_key_implILNS1_25lookback_scan_determinismE0ELb0ES3_N6thrust23THRUST_200600_302600_NS6detail15normal_iteratorINS9_10device_ptrIxEEEESE_SE_xNS9_4plusIvEENS9_8equal_toIxEExEE10hipError_tPvRmT2_T3_T4_T5_mT6_T7_P12ihipStream_tbENKUlT_T0_E_clISt17integral_constantIbLb1EESZ_EEDaSU_SV_EUlSU_E_NS1_11comp_targetILNS1_3genE2ELNS1_11target_archE906ELNS1_3gpuE6ELNS1_3repE0EEENS1_30default_config_static_selectorELNS0_4arch9wavefront6targetE1EEEvT1_,"axG",@progbits,_ZN7rocprim17ROCPRIM_400000_NS6detail17trampoline_kernelINS0_14default_configENS1_27scan_by_key_config_selectorIxxEEZZNS1_16scan_by_key_implILNS1_25lookback_scan_determinismE0ELb0ES3_N6thrust23THRUST_200600_302600_NS6detail15normal_iteratorINS9_10device_ptrIxEEEESE_SE_xNS9_4plusIvEENS9_8equal_toIxEExEE10hipError_tPvRmT2_T3_T4_T5_mT6_T7_P12ihipStream_tbENKUlT_T0_E_clISt17integral_constantIbLb1EESZ_EEDaSU_SV_EUlSU_E_NS1_11comp_targetILNS1_3genE2ELNS1_11target_archE906ELNS1_3gpuE6ELNS1_3repE0EEENS1_30default_config_static_selectorELNS0_4arch9wavefront6targetE1EEEvT1_,comdat
.Lfunc_end97:
	.size	_ZN7rocprim17ROCPRIM_400000_NS6detail17trampoline_kernelINS0_14default_configENS1_27scan_by_key_config_selectorIxxEEZZNS1_16scan_by_key_implILNS1_25lookback_scan_determinismE0ELb0ES3_N6thrust23THRUST_200600_302600_NS6detail15normal_iteratorINS9_10device_ptrIxEEEESE_SE_xNS9_4plusIvEENS9_8equal_toIxEExEE10hipError_tPvRmT2_T3_T4_T5_mT6_T7_P12ihipStream_tbENKUlT_T0_E_clISt17integral_constantIbLb1EESZ_EEDaSU_SV_EUlSU_E_NS1_11comp_targetILNS1_3genE2ELNS1_11target_archE906ELNS1_3gpuE6ELNS1_3repE0EEENS1_30default_config_static_selectorELNS0_4arch9wavefront6targetE1EEEvT1_, .Lfunc_end97-_ZN7rocprim17ROCPRIM_400000_NS6detail17trampoline_kernelINS0_14default_configENS1_27scan_by_key_config_selectorIxxEEZZNS1_16scan_by_key_implILNS1_25lookback_scan_determinismE0ELb0ES3_N6thrust23THRUST_200600_302600_NS6detail15normal_iteratorINS9_10device_ptrIxEEEESE_SE_xNS9_4plusIvEENS9_8equal_toIxEExEE10hipError_tPvRmT2_T3_T4_T5_mT6_T7_P12ihipStream_tbENKUlT_T0_E_clISt17integral_constantIbLb1EESZ_EEDaSU_SV_EUlSU_E_NS1_11comp_targetILNS1_3genE2ELNS1_11target_archE906ELNS1_3gpuE6ELNS1_3repE0EEENS1_30default_config_static_selectorELNS0_4arch9wavefront6targetE1EEEvT1_
                                        ; -- End function
	.section	.AMDGPU.csdata,"",@progbits
; Kernel info:
; codeLenInByte = 0
; NumSgprs: 6
; NumVgprs: 0
; NumAgprs: 0
; TotalNumVgprs: 0
; ScratchSize: 0
; MemoryBound: 0
; FloatMode: 240
; IeeeMode: 1
; LDSByteSize: 0 bytes/workgroup (compile time only)
; SGPRBlocks: 0
; VGPRBlocks: 0
; NumSGPRsForWavesPerEU: 6
; NumVGPRsForWavesPerEU: 1
; AccumOffset: 4
; Occupancy: 8
; WaveLimiterHint : 0
; COMPUTE_PGM_RSRC2:SCRATCH_EN: 0
; COMPUTE_PGM_RSRC2:USER_SGPR: 2
; COMPUTE_PGM_RSRC2:TRAP_HANDLER: 0
; COMPUTE_PGM_RSRC2:TGID_X_EN: 1
; COMPUTE_PGM_RSRC2:TGID_Y_EN: 0
; COMPUTE_PGM_RSRC2:TGID_Z_EN: 0
; COMPUTE_PGM_RSRC2:TIDIG_COMP_CNT: 0
; COMPUTE_PGM_RSRC3_GFX90A:ACCUM_OFFSET: 0
; COMPUTE_PGM_RSRC3_GFX90A:TG_SPLIT: 0
	.section	.text._ZN7rocprim17ROCPRIM_400000_NS6detail17trampoline_kernelINS0_14default_configENS1_27scan_by_key_config_selectorIxxEEZZNS1_16scan_by_key_implILNS1_25lookback_scan_determinismE0ELb0ES3_N6thrust23THRUST_200600_302600_NS6detail15normal_iteratorINS9_10device_ptrIxEEEESE_SE_xNS9_4plusIvEENS9_8equal_toIxEExEE10hipError_tPvRmT2_T3_T4_T5_mT6_T7_P12ihipStream_tbENKUlT_T0_E_clISt17integral_constantIbLb1EESZ_EEDaSU_SV_EUlSU_E_NS1_11comp_targetILNS1_3genE10ELNS1_11target_archE1200ELNS1_3gpuE4ELNS1_3repE0EEENS1_30default_config_static_selectorELNS0_4arch9wavefront6targetE1EEEvT1_,"axG",@progbits,_ZN7rocprim17ROCPRIM_400000_NS6detail17trampoline_kernelINS0_14default_configENS1_27scan_by_key_config_selectorIxxEEZZNS1_16scan_by_key_implILNS1_25lookback_scan_determinismE0ELb0ES3_N6thrust23THRUST_200600_302600_NS6detail15normal_iteratorINS9_10device_ptrIxEEEESE_SE_xNS9_4plusIvEENS9_8equal_toIxEExEE10hipError_tPvRmT2_T3_T4_T5_mT6_T7_P12ihipStream_tbENKUlT_T0_E_clISt17integral_constantIbLb1EESZ_EEDaSU_SV_EUlSU_E_NS1_11comp_targetILNS1_3genE10ELNS1_11target_archE1200ELNS1_3gpuE4ELNS1_3repE0EEENS1_30default_config_static_selectorELNS0_4arch9wavefront6targetE1EEEvT1_,comdat
	.protected	_ZN7rocprim17ROCPRIM_400000_NS6detail17trampoline_kernelINS0_14default_configENS1_27scan_by_key_config_selectorIxxEEZZNS1_16scan_by_key_implILNS1_25lookback_scan_determinismE0ELb0ES3_N6thrust23THRUST_200600_302600_NS6detail15normal_iteratorINS9_10device_ptrIxEEEESE_SE_xNS9_4plusIvEENS9_8equal_toIxEExEE10hipError_tPvRmT2_T3_T4_T5_mT6_T7_P12ihipStream_tbENKUlT_T0_E_clISt17integral_constantIbLb1EESZ_EEDaSU_SV_EUlSU_E_NS1_11comp_targetILNS1_3genE10ELNS1_11target_archE1200ELNS1_3gpuE4ELNS1_3repE0EEENS1_30default_config_static_selectorELNS0_4arch9wavefront6targetE1EEEvT1_ ; -- Begin function _ZN7rocprim17ROCPRIM_400000_NS6detail17trampoline_kernelINS0_14default_configENS1_27scan_by_key_config_selectorIxxEEZZNS1_16scan_by_key_implILNS1_25lookback_scan_determinismE0ELb0ES3_N6thrust23THRUST_200600_302600_NS6detail15normal_iteratorINS9_10device_ptrIxEEEESE_SE_xNS9_4plusIvEENS9_8equal_toIxEExEE10hipError_tPvRmT2_T3_T4_T5_mT6_T7_P12ihipStream_tbENKUlT_T0_E_clISt17integral_constantIbLb1EESZ_EEDaSU_SV_EUlSU_E_NS1_11comp_targetILNS1_3genE10ELNS1_11target_archE1200ELNS1_3gpuE4ELNS1_3repE0EEENS1_30default_config_static_selectorELNS0_4arch9wavefront6targetE1EEEvT1_
	.globl	_ZN7rocprim17ROCPRIM_400000_NS6detail17trampoline_kernelINS0_14default_configENS1_27scan_by_key_config_selectorIxxEEZZNS1_16scan_by_key_implILNS1_25lookback_scan_determinismE0ELb0ES3_N6thrust23THRUST_200600_302600_NS6detail15normal_iteratorINS9_10device_ptrIxEEEESE_SE_xNS9_4plusIvEENS9_8equal_toIxEExEE10hipError_tPvRmT2_T3_T4_T5_mT6_T7_P12ihipStream_tbENKUlT_T0_E_clISt17integral_constantIbLb1EESZ_EEDaSU_SV_EUlSU_E_NS1_11comp_targetILNS1_3genE10ELNS1_11target_archE1200ELNS1_3gpuE4ELNS1_3repE0EEENS1_30default_config_static_selectorELNS0_4arch9wavefront6targetE1EEEvT1_
	.p2align	8
	.type	_ZN7rocprim17ROCPRIM_400000_NS6detail17trampoline_kernelINS0_14default_configENS1_27scan_by_key_config_selectorIxxEEZZNS1_16scan_by_key_implILNS1_25lookback_scan_determinismE0ELb0ES3_N6thrust23THRUST_200600_302600_NS6detail15normal_iteratorINS9_10device_ptrIxEEEESE_SE_xNS9_4plusIvEENS9_8equal_toIxEExEE10hipError_tPvRmT2_T3_T4_T5_mT6_T7_P12ihipStream_tbENKUlT_T0_E_clISt17integral_constantIbLb1EESZ_EEDaSU_SV_EUlSU_E_NS1_11comp_targetILNS1_3genE10ELNS1_11target_archE1200ELNS1_3gpuE4ELNS1_3repE0EEENS1_30default_config_static_selectorELNS0_4arch9wavefront6targetE1EEEvT1_,@function
_ZN7rocprim17ROCPRIM_400000_NS6detail17trampoline_kernelINS0_14default_configENS1_27scan_by_key_config_selectorIxxEEZZNS1_16scan_by_key_implILNS1_25lookback_scan_determinismE0ELb0ES3_N6thrust23THRUST_200600_302600_NS6detail15normal_iteratorINS9_10device_ptrIxEEEESE_SE_xNS9_4plusIvEENS9_8equal_toIxEExEE10hipError_tPvRmT2_T3_T4_T5_mT6_T7_P12ihipStream_tbENKUlT_T0_E_clISt17integral_constantIbLb1EESZ_EEDaSU_SV_EUlSU_E_NS1_11comp_targetILNS1_3genE10ELNS1_11target_archE1200ELNS1_3gpuE4ELNS1_3repE0EEENS1_30default_config_static_selectorELNS0_4arch9wavefront6targetE1EEEvT1_: ; @_ZN7rocprim17ROCPRIM_400000_NS6detail17trampoline_kernelINS0_14default_configENS1_27scan_by_key_config_selectorIxxEEZZNS1_16scan_by_key_implILNS1_25lookback_scan_determinismE0ELb0ES3_N6thrust23THRUST_200600_302600_NS6detail15normal_iteratorINS9_10device_ptrIxEEEESE_SE_xNS9_4plusIvEENS9_8equal_toIxEExEE10hipError_tPvRmT2_T3_T4_T5_mT6_T7_P12ihipStream_tbENKUlT_T0_E_clISt17integral_constantIbLb1EESZ_EEDaSU_SV_EUlSU_E_NS1_11comp_targetILNS1_3genE10ELNS1_11target_archE1200ELNS1_3gpuE4ELNS1_3repE0EEENS1_30default_config_static_selectorELNS0_4arch9wavefront6targetE1EEEvT1_
; %bb.0:
	.section	.rodata,"a",@progbits
	.p2align	6, 0x0
	.amdhsa_kernel _ZN7rocprim17ROCPRIM_400000_NS6detail17trampoline_kernelINS0_14default_configENS1_27scan_by_key_config_selectorIxxEEZZNS1_16scan_by_key_implILNS1_25lookback_scan_determinismE0ELb0ES3_N6thrust23THRUST_200600_302600_NS6detail15normal_iteratorINS9_10device_ptrIxEEEESE_SE_xNS9_4plusIvEENS9_8equal_toIxEExEE10hipError_tPvRmT2_T3_T4_T5_mT6_T7_P12ihipStream_tbENKUlT_T0_E_clISt17integral_constantIbLb1EESZ_EEDaSU_SV_EUlSU_E_NS1_11comp_targetILNS1_3genE10ELNS1_11target_archE1200ELNS1_3gpuE4ELNS1_3repE0EEENS1_30default_config_static_selectorELNS0_4arch9wavefront6targetE1EEEvT1_
		.amdhsa_group_segment_fixed_size 0
		.amdhsa_private_segment_fixed_size 0
		.amdhsa_kernarg_size 136
		.amdhsa_user_sgpr_count 2
		.amdhsa_user_sgpr_dispatch_ptr 0
		.amdhsa_user_sgpr_queue_ptr 0
		.amdhsa_user_sgpr_kernarg_segment_ptr 1
		.amdhsa_user_sgpr_dispatch_id 0
		.amdhsa_user_sgpr_kernarg_preload_length 0
		.amdhsa_user_sgpr_kernarg_preload_offset 0
		.amdhsa_user_sgpr_private_segment_size 0
		.amdhsa_uses_dynamic_stack 0
		.amdhsa_enable_private_segment 0
		.amdhsa_system_sgpr_workgroup_id_x 1
		.amdhsa_system_sgpr_workgroup_id_y 0
		.amdhsa_system_sgpr_workgroup_id_z 0
		.amdhsa_system_sgpr_workgroup_info 0
		.amdhsa_system_vgpr_workitem_id 0
		.amdhsa_next_free_vgpr 1
		.amdhsa_next_free_sgpr 0
		.amdhsa_accum_offset 4
		.amdhsa_reserve_vcc 0
		.amdhsa_float_round_mode_32 0
		.amdhsa_float_round_mode_16_64 0
		.amdhsa_float_denorm_mode_32 3
		.amdhsa_float_denorm_mode_16_64 3
		.amdhsa_dx10_clamp 1
		.amdhsa_ieee_mode 1
		.amdhsa_fp16_overflow 0
		.amdhsa_tg_split 0
		.amdhsa_exception_fp_ieee_invalid_op 0
		.amdhsa_exception_fp_denorm_src 0
		.amdhsa_exception_fp_ieee_div_zero 0
		.amdhsa_exception_fp_ieee_overflow 0
		.amdhsa_exception_fp_ieee_underflow 0
		.amdhsa_exception_fp_ieee_inexact 0
		.amdhsa_exception_int_div_zero 0
	.end_amdhsa_kernel
	.section	.text._ZN7rocprim17ROCPRIM_400000_NS6detail17trampoline_kernelINS0_14default_configENS1_27scan_by_key_config_selectorIxxEEZZNS1_16scan_by_key_implILNS1_25lookback_scan_determinismE0ELb0ES3_N6thrust23THRUST_200600_302600_NS6detail15normal_iteratorINS9_10device_ptrIxEEEESE_SE_xNS9_4plusIvEENS9_8equal_toIxEExEE10hipError_tPvRmT2_T3_T4_T5_mT6_T7_P12ihipStream_tbENKUlT_T0_E_clISt17integral_constantIbLb1EESZ_EEDaSU_SV_EUlSU_E_NS1_11comp_targetILNS1_3genE10ELNS1_11target_archE1200ELNS1_3gpuE4ELNS1_3repE0EEENS1_30default_config_static_selectorELNS0_4arch9wavefront6targetE1EEEvT1_,"axG",@progbits,_ZN7rocprim17ROCPRIM_400000_NS6detail17trampoline_kernelINS0_14default_configENS1_27scan_by_key_config_selectorIxxEEZZNS1_16scan_by_key_implILNS1_25lookback_scan_determinismE0ELb0ES3_N6thrust23THRUST_200600_302600_NS6detail15normal_iteratorINS9_10device_ptrIxEEEESE_SE_xNS9_4plusIvEENS9_8equal_toIxEExEE10hipError_tPvRmT2_T3_T4_T5_mT6_T7_P12ihipStream_tbENKUlT_T0_E_clISt17integral_constantIbLb1EESZ_EEDaSU_SV_EUlSU_E_NS1_11comp_targetILNS1_3genE10ELNS1_11target_archE1200ELNS1_3gpuE4ELNS1_3repE0EEENS1_30default_config_static_selectorELNS0_4arch9wavefront6targetE1EEEvT1_,comdat
.Lfunc_end98:
	.size	_ZN7rocprim17ROCPRIM_400000_NS6detail17trampoline_kernelINS0_14default_configENS1_27scan_by_key_config_selectorIxxEEZZNS1_16scan_by_key_implILNS1_25lookback_scan_determinismE0ELb0ES3_N6thrust23THRUST_200600_302600_NS6detail15normal_iteratorINS9_10device_ptrIxEEEESE_SE_xNS9_4plusIvEENS9_8equal_toIxEExEE10hipError_tPvRmT2_T3_T4_T5_mT6_T7_P12ihipStream_tbENKUlT_T0_E_clISt17integral_constantIbLb1EESZ_EEDaSU_SV_EUlSU_E_NS1_11comp_targetILNS1_3genE10ELNS1_11target_archE1200ELNS1_3gpuE4ELNS1_3repE0EEENS1_30default_config_static_selectorELNS0_4arch9wavefront6targetE1EEEvT1_, .Lfunc_end98-_ZN7rocprim17ROCPRIM_400000_NS6detail17trampoline_kernelINS0_14default_configENS1_27scan_by_key_config_selectorIxxEEZZNS1_16scan_by_key_implILNS1_25lookback_scan_determinismE0ELb0ES3_N6thrust23THRUST_200600_302600_NS6detail15normal_iteratorINS9_10device_ptrIxEEEESE_SE_xNS9_4plusIvEENS9_8equal_toIxEExEE10hipError_tPvRmT2_T3_T4_T5_mT6_T7_P12ihipStream_tbENKUlT_T0_E_clISt17integral_constantIbLb1EESZ_EEDaSU_SV_EUlSU_E_NS1_11comp_targetILNS1_3genE10ELNS1_11target_archE1200ELNS1_3gpuE4ELNS1_3repE0EEENS1_30default_config_static_selectorELNS0_4arch9wavefront6targetE1EEEvT1_
                                        ; -- End function
	.section	.AMDGPU.csdata,"",@progbits
; Kernel info:
; codeLenInByte = 0
; NumSgprs: 6
; NumVgprs: 0
; NumAgprs: 0
; TotalNumVgprs: 0
; ScratchSize: 0
; MemoryBound: 0
; FloatMode: 240
; IeeeMode: 1
; LDSByteSize: 0 bytes/workgroup (compile time only)
; SGPRBlocks: 0
; VGPRBlocks: 0
; NumSGPRsForWavesPerEU: 6
; NumVGPRsForWavesPerEU: 1
; AccumOffset: 4
; Occupancy: 8
; WaveLimiterHint : 0
; COMPUTE_PGM_RSRC2:SCRATCH_EN: 0
; COMPUTE_PGM_RSRC2:USER_SGPR: 2
; COMPUTE_PGM_RSRC2:TRAP_HANDLER: 0
; COMPUTE_PGM_RSRC2:TGID_X_EN: 1
; COMPUTE_PGM_RSRC2:TGID_Y_EN: 0
; COMPUTE_PGM_RSRC2:TGID_Z_EN: 0
; COMPUTE_PGM_RSRC2:TIDIG_COMP_CNT: 0
; COMPUTE_PGM_RSRC3_GFX90A:ACCUM_OFFSET: 0
; COMPUTE_PGM_RSRC3_GFX90A:TG_SPLIT: 0
	.section	.text._ZN7rocprim17ROCPRIM_400000_NS6detail17trampoline_kernelINS0_14default_configENS1_27scan_by_key_config_selectorIxxEEZZNS1_16scan_by_key_implILNS1_25lookback_scan_determinismE0ELb0ES3_N6thrust23THRUST_200600_302600_NS6detail15normal_iteratorINS9_10device_ptrIxEEEESE_SE_xNS9_4plusIvEENS9_8equal_toIxEExEE10hipError_tPvRmT2_T3_T4_T5_mT6_T7_P12ihipStream_tbENKUlT_T0_E_clISt17integral_constantIbLb1EESZ_EEDaSU_SV_EUlSU_E_NS1_11comp_targetILNS1_3genE9ELNS1_11target_archE1100ELNS1_3gpuE3ELNS1_3repE0EEENS1_30default_config_static_selectorELNS0_4arch9wavefront6targetE1EEEvT1_,"axG",@progbits,_ZN7rocprim17ROCPRIM_400000_NS6detail17trampoline_kernelINS0_14default_configENS1_27scan_by_key_config_selectorIxxEEZZNS1_16scan_by_key_implILNS1_25lookback_scan_determinismE0ELb0ES3_N6thrust23THRUST_200600_302600_NS6detail15normal_iteratorINS9_10device_ptrIxEEEESE_SE_xNS9_4plusIvEENS9_8equal_toIxEExEE10hipError_tPvRmT2_T3_T4_T5_mT6_T7_P12ihipStream_tbENKUlT_T0_E_clISt17integral_constantIbLb1EESZ_EEDaSU_SV_EUlSU_E_NS1_11comp_targetILNS1_3genE9ELNS1_11target_archE1100ELNS1_3gpuE3ELNS1_3repE0EEENS1_30default_config_static_selectorELNS0_4arch9wavefront6targetE1EEEvT1_,comdat
	.protected	_ZN7rocprim17ROCPRIM_400000_NS6detail17trampoline_kernelINS0_14default_configENS1_27scan_by_key_config_selectorIxxEEZZNS1_16scan_by_key_implILNS1_25lookback_scan_determinismE0ELb0ES3_N6thrust23THRUST_200600_302600_NS6detail15normal_iteratorINS9_10device_ptrIxEEEESE_SE_xNS9_4plusIvEENS9_8equal_toIxEExEE10hipError_tPvRmT2_T3_T4_T5_mT6_T7_P12ihipStream_tbENKUlT_T0_E_clISt17integral_constantIbLb1EESZ_EEDaSU_SV_EUlSU_E_NS1_11comp_targetILNS1_3genE9ELNS1_11target_archE1100ELNS1_3gpuE3ELNS1_3repE0EEENS1_30default_config_static_selectorELNS0_4arch9wavefront6targetE1EEEvT1_ ; -- Begin function _ZN7rocprim17ROCPRIM_400000_NS6detail17trampoline_kernelINS0_14default_configENS1_27scan_by_key_config_selectorIxxEEZZNS1_16scan_by_key_implILNS1_25lookback_scan_determinismE0ELb0ES3_N6thrust23THRUST_200600_302600_NS6detail15normal_iteratorINS9_10device_ptrIxEEEESE_SE_xNS9_4plusIvEENS9_8equal_toIxEExEE10hipError_tPvRmT2_T3_T4_T5_mT6_T7_P12ihipStream_tbENKUlT_T0_E_clISt17integral_constantIbLb1EESZ_EEDaSU_SV_EUlSU_E_NS1_11comp_targetILNS1_3genE9ELNS1_11target_archE1100ELNS1_3gpuE3ELNS1_3repE0EEENS1_30default_config_static_selectorELNS0_4arch9wavefront6targetE1EEEvT1_
	.globl	_ZN7rocprim17ROCPRIM_400000_NS6detail17trampoline_kernelINS0_14default_configENS1_27scan_by_key_config_selectorIxxEEZZNS1_16scan_by_key_implILNS1_25lookback_scan_determinismE0ELb0ES3_N6thrust23THRUST_200600_302600_NS6detail15normal_iteratorINS9_10device_ptrIxEEEESE_SE_xNS9_4plusIvEENS9_8equal_toIxEExEE10hipError_tPvRmT2_T3_T4_T5_mT6_T7_P12ihipStream_tbENKUlT_T0_E_clISt17integral_constantIbLb1EESZ_EEDaSU_SV_EUlSU_E_NS1_11comp_targetILNS1_3genE9ELNS1_11target_archE1100ELNS1_3gpuE3ELNS1_3repE0EEENS1_30default_config_static_selectorELNS0_4arch9wavefront6targetE1EEEvT1_
	.p2align	8
	.type	_ZN7rocprim17ROCPRIM_400000_NS6detail17trampoline_kernelINS0_14default_configENS1_27scan_by_key_config_selectorIxxEEZZNS1_16scan_by_key_implILNS1_25lookback_scan_determinismE0ELb0ES3_N6thrust23THRUST_200600_302600_NS6detail15normal_iteratorINS9_10device_ptrIxEEEESE_SE_xNS9_4plusIvEENS9_8equal_toIxEExEE10hipError_tPvRmT2_T3_T4_T5_mT6_T7_P12ihipStream_tbENKUlT_T0_E_clISt17integral_constantIbLb1EESZ_EEDaSU_SV_EUlSU_E_NS1_11comp_targetILNS1_3genE9ELNS1_11target_archE1100ELNS1_3gpuE3ELNS1_3repE0EEENS1_30default_config_static_selectorELNS0_4arch9wavefront6targetE1EEEvT1_,@function
_ZN7rocprim17ROCPRIM_400000_NS6detail17trampoline_kernelINS0_14default_configENS1_27scan_by_key_config_selectorIxxEEZZNS1_16scan_by_key_implILNS1_25lookback_scan_determinismE0ELb0ES3_N6thrust23THRUST_200600_302600_NS6detail15normal_iteratorINS9_10device_ptrIxEEEESE_SE_xNS9_4plusIvEENS9_8equal_toIxEExEE10hipError_tPvRmT2_T3_T4_T5_mT6_T7_P12ihipStream_tbENKUlT_T0_E_clISt17integral_constantIbLb1EESZ_EEDaSU_SV_EUlSU_E_NS1_11comp_targetILNS1_3genE9ELNS1_11target_archE1100ELNS1_3gpuE3ELNS1_3repE0EEENS1_30default_config_static_selectorELNS0_4arch9wavefront6targetE1EEEvT1_: ; @_ZN7rocprim17ROCPRIM_400000_NS6detail17trampoline_kernelINS0_14default_configENS1_27scan_by_key_config_selectorIxxEEZZNS1_16scan_by_key_implILNS1_25lookback_scan_determinismE0ELb0ES3_N6thrust23THRUST_200600_302600_NS6detail15normal_iteratorINS9_10device_ptrIxEEEESE_SE_xNS9_4plusIvEENS9_8equal_toIxEExEE10hipError_tPvRmT2_T3_T4_T5_mT6_T7_P12ihipStream_tbENKUlT_T0_E_clISt17integral_constantIbLb1EESZ_EEDaSU_SV_EUlSU_E_NS1_11comp_targetILNS1_3genE9ELNS1_11target_archE1100ELNS1_3gpuE3ELNS1_3repE0EEENS1_30default_config_static_selectorELNS0_4arch9wavefront6targetE1EEEvT1_
; %bb.0:
	.section	.rodata,"a",@progbits
	.p2align	6, 0x0
	.amdhsa_kernel _ZN7rocprim17ROCPRIM_400000_NS6detail17trampoline_kernelINS0_14default_configENS1_27scan_by_key_config_selectorIxxEEZZNS1_16scan_by_key_implILNS1_25lookback_scan_determinismE0ELb0ES3_N6thrust23THRUST_200600_302600_NS6detail15normal_iteratorINS9_10device_ptrIxEEEESE_SE_xNS9_4plusIvEENS9_8equal_toIxEExEE10hipError_tPvRmT2_T3_T4_T5_mT6_T7_P12ihipStream_tbENKUlT_T0_E_clISt17integral_constantIbLb1EESZ_EEDaSU_SV_EUlSU_E_NS1_11comp_targetILNS1_3genE9ELNS1_11target_archE1100ELNS1_3gpuE3ELNS1_3repE0EEENS1_30default_config_static_selectorELNS0_4arch9wavefront6targetE1EEEvT1_
		.amdhsa_group_segment_fixed_size 0
		.amdhsa_private_segment_fixed_size 0
		.amdhsa_kernarg_size 136
		.amdhsa_user_sgpr_count 2
		.amdhsa_user_sgpr_dispatch_ptr 0
		.amdhsa_user_sgpr_queue_ptr 0
		.amdhsa_user_sgpr_kernarg_segment_ptr 1
		.amdhsa_user_sgpr_dispatch_id 0
		.amdhsa_user_sgpr_kernarg_preload_length 0
		.amdhsa_user_sgpr_kernarg_preload_offset 0
		.amdhsa_user_sgpr_private_segment_size 0
		.amdhsa_uses_dynamic_stack 0
		.amdhsa_enable_private_segment 0
		.amdhsa_system_sgpr_workgroup_id_x 1
		.amdhsa_system_sgpr_workgroup_id_y 0
		.amdhsa_system_sgpr_workgroup_id_z 0
		.amdhsa_system_sgpr_workgroup_info 0
		.amdhsa_system_vgpr_workitem_id 0
		.amdhsa_next_free_vgpr 1
		.amdhsa_next_free_sgpr 0
		.amdhsa_accum_offset 4
		.amdhsa_reserve_vcc 0
		.amdhsa_float_round_mode_32 0
		.amdhsa_float_round_mode_16_64 0
		.amdhsa_float_denorm_mode_32 3
		.amdhsa_float_denorm_mode_16_64 3
		.amdhsa_dx10_clamp 1
		.amdhsa_ieee_mode 1
		.amdhsa_fp16_overflow 0
		.amdhsa_tg_split 0
		.amdhsa_exception_fp_ieee_invalid_op 0
		.amdhsa_exception_fp_denorm_src 0
		.amdhsa_exception_fp_ieee_div_zero 0
		.amdhsa_exception_fp_ieee_overflow 0
		.amdhsa_exception_fp_ieee_underflow 0
		.amdhsa_exception_fp_ieee_inexact 0
		.amdhsa_exception_int_div_zero 0
	.end_amdhsa_kernel
	.section	.text._ZN7rocprim17ROCPRIM_400000_NS6detail17trampoline_kernelINS0_14default_configENS1_27scan_by_key_config_selectorIxxEEZZNS1_16scan_by_key_implILNS1_25lookback_scan_determinismE0ELb0ES3_N6thrust23THRUST_200600_302600_NS6detail15normal_iteratorINS9_10device_ptrIxEEEESE_SE_xNS9_4plusIvEENS9_8equal_toIxEExEE10hipError_tPvRmT2_T3_T4_T5_mT6_T7_P12ihipStream_tbENKUlT_T0_E_clISt17integral_constantIbLb1EESZ_EEDaSU_SV_EUlSU_E_NS1_11comp_targetILNS1_3genE9ELNS1_11target_archE1100ELNS1_3gpuE3ELNS1_3repE0EEENS1_30default_config_static_selectorELNS0_4arch9wavefront6targetE1EEEvT1_,"axG",@progbits,_ZN7rocprim17ROCPRIM_400000_NS6detail17trampoline_kernelINS0_14default_configENS1_27scan_by_key_config_selectorIxxEEZZNS1_16scan_by_key_implILNS1_25lookback_scan_determinismE0ELb0ES3_N6thrust23THRUST_200600_302600_NS6detail15normal_iteratorINS9_10device_ptrIxEEEESE_SE_xNS9_4plusIvEENS9_8equal_toIxEExEE10hipError_tPvRmT2_T3_T4_T5_mT6_T7_P12ihipStream_tbENKUlT_T0_E_clISt17integral_constantIbLb1EESZ_EEDaSU_SV_EUlSU_E_NS1_11comp_targetILNS1_3genE9ELNS1_11target_archE1100ELNS1_3gpuE3ELNS1_3repE0EEENS1_30default_config_static_selectorELNS0_4arch9wavefront6targetE1EEEvT1_,comdat
.Lfunc_end99:
	.size	_ZN7rocprim17ROCPRIM_400000_NS6detail17trampoline_kernelINS0_14default_configENS1_27scan_by_key_config_selectorIxxEEZZNS1_16scan_by_key_implILNS1_25lookback_scan_determinismE0ELb0ES3_N6thrust23THRUST_200600_302600_NS6detail15normal_iteratorINS9_10device_ptrIxEEEESE_SE_xNS9_4plusIvEENS9_8equal_toIxEExEE10hipError_tPvRmT2_T3_T4_T5_mT6_T7_P12ihipStream_tbENKUlT_T0_E_clISt17integral_constantIbLb1EESZ_EEDaSU_SV_EUlSU_E_NS1_11comp_targetILNS1_3genE9ELNS1_11target_archE1100ELNS1_3gpuE3ELNS1_3repE0EEENS1_30default_config_static_selectorELNS0_4arch9wavefront6targetE1EEEvT1_, .Lfunc_end99-_ZN7rocprim17ROCPRIM_400000_NS6detail17trampoline_kernelINS0_14default_configENS1_27scan_by_key_config_selectorIxxEEZZNS1_16scan_by_key_implILNS1_25lookback_scan_determinismE0ELb0ES3_N6thrust23THRUST_200600_302600_NS6detail15normal_iteratorINS9_10device_ptrIxEEEESE_SE_xNS9_4plusIvEENS9_8equal_toIxEExEE10hipError_tPvRmT2_T3_T4_T5_mT6_T7_P12ihipStream_tbENKUlT_T0_E_clISt17integral_constantIbLb1EESZ_EEDaSU_SV_EUlSU_E_NS1_11comp_targetILNS1_3genE9ELNS1_11target_archE1100ELNS1_3gpuE3ELNS1_3repE0EEENS1_30default_config_static_selectorELNS0_4arch9wavefront6targetE1EEEvT1_
                                        ; -- End function
	.section	.AMDGPU.csdata,"",@progbits
; Kernel info:
; codeLenInByte = 0
; NumSgprs: 6
; NumVgprs: 0
; NumAgprs: 0
; TotalNumVgprs: 0
; ScratchSize: 0
; MemoryBound: 0
; FloatMode: 240
; IeeeMode: 1
; LDSByteSize: 0 bytes/workgroup (compile time only)
; SGPRBlocks: 0
; VGPRBlocks: 0
; NumSGPRsForWavesPerEU: 6
; NumVGPRsForWavesPerEU: 1
; AccumOffset: 4
; Occupancy: 8
; WaveLimiterHint : 0
; COMPUTE_PGM_RSRC2:SCRATCH_EN: 0
; COMPUTE_PGM_RSRC2:USER_SGPR: 2
; COMPUTE_PGM_RSRC2:TRAP_HANDLER: 0
; COMPUTE_PGM_RSRC2:TGID_X_EN: 1
; COMPUTE_PGM_RSRC2:TGID_Y_EN: 0
; COMPUTE_PGM_RSRC2:TGID_Z_EN: 0
; COMPUTE_PGM_RSRC2:TIDIG_COMP_CNT: 0
; COMPUTE_PGM_RSRC3_GFX90A:ACCUM_OFFSET: 0
; COMPUTE_PGM_RSRC3_GFX90A:TG_SPLIT: 0
	.section	.text._ZN7rocprim17ROCPRIM_400000_NS6detail17trampoline_kernelINS0_14default_configENS1_27scan_by_key_config_selectorIxxEEZZNS1_16scan_by_key_implILNS1_25lookback_scan_determinismE0ELb0ES3_N6thrust23THRUST_200600_302600_NS6detail15normal_iteratorINS9_10device_ptrIxEEEESE_SE_xNS9_4plusIvEENS9_8equal_toIxEExEE10hipError_tPvRmT2_T3_T4_T5_mT6_T7_P12ihipStream_tbENKUlT_T0_E_clISt17integral_constantIbLb1EESZ_EEDaSU_SV_EUlSU_E_NS1_11comp_targetILNS1_3genE8ELNS1_11target_archE1030ELNS1_3gpuE2ELNS1_3repE0EEENS1_30default_config_static_selectorELNS0_4arch9wavefront6targetE1EEEvT1_,"axG",@progbits,_ZN7rocprim17ROCPRIM_400000_NS6detail17trampoline_kernelINS0_14default_configENS1_27scan_by_key_config_selectorIxxEEZZNS1_16scan_by_key_implILNS1_25lookback_scan_determinismE0ELb0ES3_N6thrust23THRUST_200600_302600_NS6detail15normal_iteratorINS9_10device_ptrIxEEEESE_SE_xNS9_4plusIvEENS9_8equal_toIxEExEE10hipError_tPvRmT2_T3_T4_T5_mT6_T7_P12ihipStream_tbENKUlT_T0_E_clISt17integral_constantIbLb1EESZ_EEDaSU_SV_EUlSU_E_NS1_11comp_targetILNS1_3genE8ELNS1_11target_archE1030ELNS1_3gpuE2ELNS1_3repE0EEENS1_30default_config_static_selectorELNS0_4arch9wavefront6targetE1EEEvT1_,comdat
	.protected	_ZN7rocprim17ROCPRIM_400000_NS6detail17trampoline_kernelINS0_14default_configENS1_27scan_by_key_config_selectorIxxEEZZNS1_16scan_by_key_implILNS1_25lookback_scan_determinismE0ELb0ES3_N6thrust23THRUST_200600_302600_NS6detail15normal_iteratorINS9_10device_ptrIxEEEESE_SE_xNS9_4plusIvEENS9_8equal_toIxEExEE10hipError_tPvRmT2_T3_T4_T5_mT6_T7_P12ihipStream_tbENKUlT_T0_E_clISt17integral_constantIbLb1EESZ_EEDaSU_SV_EUlSU_E_NS1_11comp_targetILNS1_3genE8ELNS1_11target_archE1030ELNS1_3gpuE2ELNS1_3repE0EEENS1_30default_config_static_selectorELNS0_4arch9wavefront6targetE1EEEvT1_ ; -- Begin function _ZN7rocprim17ROCPRIM_400000_NS6detail17trampoline_kernelINS0_14default_configENS1_27scan_by_key_config_selectorIxxEEZZNS1_16scan_by_key_implILNS1_25lookback_scan_determinismE0ELb0ES3_N6thrust23THRUST_200600_302600_NS6detail15normal_iteratorINS9_10device_ptrIxEEEESE_SE_xNS9_4plusIvEENS9_8equal_toIxEExEE10hipError_tPvRmT2_T3_T4_T5_mT6_T7_P12ihipStream_tbENKUlT_T0_E_clISt17integral_constantIbLb1EESZ_EEDaSU_SV_EUlSU_E_NS1_11comp_targetILNS1_3genE8ELNS1_11target_archE1030ELNS1_3gpuE2ELNS1_3repE0EEENS1_30default_config_static_selectorELNS0_4arch9wavefront6targetE1EEEvT1_
	.globl	_ZN7rocprim17ROCPRIM_400000_NS6detail17trampoline_kernelINS0_14default_configENS1_27scan_by_key_config_selectorIxxEEZZNS1_16scan_by_key_implILNS1_25lookback_scan_determinismE0ELb0ES3_N6thrust23THRUST_200600_302600_NS6detail15normal_iteratorINS9_10device_ptrIxEEEESE_SE_xNS9_4plusIvEENS9_8equal_toIxEExEE10hipError_tPvRmT2_T3_T4_T5_mT6_T7_P12ihipStream_tbENKUlT_T0_E_clISt17integral_constantIbLb1EESZ_EEDaSU_SV_EUlSU_E_NS1_11comp_targetILNS1_3genE8ELNS1_11target_archE1030ELNS1_3gpuE2ELNS1_3repE0EEENS1_30default_config_static_selectorELNS0_4arch9wavefront6targetE1EEEvT1_
	.p2align	8
	.type	_ZN7rocprim17ROCPRIM_400000_NS6detail17trampoline_kernelINS0_14default_configENS1_27scan_by_key_config_selectorIxxEEZZNS1_16scan_by_key_implILNS1_25lookback_scan_determinismE0ELb0ES3_N6thrust23THRUST_200600_302600_NS6detail15normal_iteratorINS9_10device_ptrIxEEEESE_SE_xNS9_4plusIvEENS9_8equal_toIxEExEE10hipError_tPvRmT2_T3_T4_T5_mT6_T7_P12ihipStream_tbENKUlT_T0_E_clISt17integral_constantIbLb1EESZ_EEDaSU_SV_EUlSU_E_NS1_11comp_targetILNS1_3genE8ELNS1_11target_archE1030ELNS1_3gpuE2ELNS1_3repE0EEENS1_30default_config_static_selectorELNS0_4arch9wavefront6targetE1EEEvT1_,@function
_ZN7rocprim17ROCPRIM_400000_NS6detail17trampoline_kernelINS0_14default_configENS1_27scan_by_key_config_selectorIxxEEZZNS1_16scan_by_key_implILNS1_25lookback_scan_determinismE0ELb0ES3_N6thrust23THRUST_200600_302600_NS6detail15normal_iteratorINS9_10device_ptrIxEEEESE_SE_xNS9_4plusIvEENS9_8equal_toIxEExEE10hipError_tPvRmT2_T3_T4_T5_mT6_T7_P12ihipStream_tbENKUlT_T0_E_clISt17integral_constantIbLb1EESZ_EEDaSU_SV_EUlSU_E_NS1_11comp_targetILNS1_3genE8ELNS1_11target_archE1030ELNS1_3gpuE2ELNS1_3repE0EEENS1_30default_config_static_selectorELNS0_4arch9wavefront6targetE1EEEvT1_: ; @_ZN7rocprim17ROCPRIM_400000_NS6detail17trampoline_kernelINS0_14default_configENS1_27scan_by_key_config_selectorIxxEEZZNS1_16scan_by_key_implILNS1_25lookback_scan_determinismE0ELb0ES3_N6thrust23THRUST_200600_302600_NS6detail15normal_iteratorINS9_10device_ptrIxEEEESE_SE_xNS9_4plusIvEENS9_8equal_toIxEExEE10hipError_tPvRmT2_T3_T4_T5_mT6_T7_P12ihipStream_tbENKUlT_T0_E_clISt17integral_constantIbLb1EESZ_EEDaSU_SV_EUlSU_E_NS1_11comp_targetILNS1_3genE8ELNS1_11target_archE1030ELNS1_3gpuE2ELNS1_3repE0EEENS1_30default_config_static_selectorELNS0_4arch9wavefront6targetE1EEEvT1_
; %bb.0:
	.section	.rodata,"a",@progbits
	.p2align	6, 0x0
	.amdhsa_kernel _ZN7rocprim17ROCPRIM_400000_NS6detail17trampoline_kernelINS0_14default_configENS1_27scan_by_key_config_selectorIxxEEZZNS1_16scan_by_key_implILNS1_25lookback_scan_determinismE0ELb0ES3_N6thrust23THRUST_200600_302600_NS6detail15normal_iteratorINS9_10device_ptrIxEEEESE_SE_xNS9_4plusIvEENS9_8equal_toIxEExEE10hipError_tPvRmT2_T3_T4_T5_mT6_T7_P12ihipStream_tbENKUlT_T0_E_clISt17integral_constantIbLb1EESZ_EEDaSU_SV_EUlSU_E_NS1_11comp_targetILNS1_3genE8ELNS1_11target_archE1030ELNS1_3gpuE2ELNS1_3repE0EEENS1_30default_config_static_selectorELNS0_4arch9wavefront6targetE1EEEvT1_
		.amdhsa_group_segment_fixed_size 0
		.amdhsa_private_segment_fixed_size 0
		.amdhsa_kernarg_size 136
		.amdhsa_user_sgpr_count 2
		.amdhsa_user_sgpr_dispatch_ptr 0
		.amdhsa_user_sgpr_queue_ptr 0
		.amdhsa_user_sgpr_kernarg_segment_ptr 1
		.amdhsa_user_sgpr_dispatch_id 0
		.amdhsa_user_sgpr_kernarg_preload_length 0
		.amdhsa_user_sgpr_kernarg_preload_offset 0
		.amdhsa_user_sgpr_private_segment_size 0
		.amdhsa_uses_dynamic_stack 0
		.amdhsa_enable_private_segment 0
		.amdhsa_system_sgpr_workgroup_id_x 1
		.amdhsa_system_sgpr_workgroup_id_y 0
		.amdhsa_system_sgpr_workgroup_id_z 0
		.amdhsa_system_sgpr_workgroup_info 0
		.amdhsa_system_vgpr_workitem_id 0
		.amdhsa_next_free_vgpr 1
		.amdhsa_next_free_sgpr 0
		.amdhsa_accum_offset 4
		.amdhsa_reserve_vcc 0
		.amdhsa_float_round_mode_32 0
		.amdhsa_float_round_mode_16_64 0
		.amdhsa_float_denorm_mode_32 3
		.amdhsa_float_denorm_mode_16_64 3
		.amdhsa_dx10_clamp 1
		.amdhsa_ieee_mode 1
		.amdhsa_fp16_overflow 0
		.amdhsa_tg_split 0
		.amdhsa_exception_fp_ieee_invalid_op 0
		.amdhsa_exception_fp_denorm_src 0
		.amdhsa_exception_fp_ieee_div_zero 0
		.amdhsa_exception_fp_ieee_overflow 0
		.amdhsa_exception_fp_ieee_underflow 0
		.amdhsa_exception_fp_ieee_inexact 0
		.amdhsa_exception_int_div_zero 0
	.end_amdhsa_kernel
	.section	.text._ZN7rocprim17ROCPRIM_400000_NS6detail17trampoline_kernelINS0_14default_configENS1_27scan_by_key_config_selectorIxxEEZZNS1_16scan_by_key_implILNS1_25lookback_scan_determinismE0ELb0ES3_N6thrust23THRUST_200600_302600_NS6detail15normal_iteratorINS9_10device_ptrIxEEEESE_SE_xNS9_4plusIvEENS9_8equal_toIxEExEE10hipError_tPvRmT2_T3_T4_T5_mT6_T7_P12ihipStream_tbENKUlT_T0_E_clISt17integral_constantIbLb1EESZ_EEDaSU_SV_EUlSU_E_NS1_11comp_targetILNS1_3genE8ELNS1_11target_archE1030ELNS1_3gpuE2ELNS1_3repE0EEENS1_30default_config_static_selectorELNS0_4arch9wavefront6targetE1EEEvT1_,"axG",@progbits,_ZN7rocprim17ROCPRIM_400000_NS6detail17trampoline_kernelINS0_14default_configENS1_27scan_by_key_config_selectorIxxEEZZNS1_16scan_by_key_implILNS1_25lookback_scan_determinismE0ELb0ES3_N6thrust23THRUST_200600_302600_NS6detail15normal_iteratorINS9_10device_ptrIxEEEESE_SE_xNS9_4plusIvEENS9_8equal_toIxEExEE10hipError_tPvRmT2_T3_T4_T5_mT6_T7_P12ihipStream_tbENKUlT_T0_E_clISt17integral_constantIbLb1EESZ_EEDaSU_SV_EUlSU_E_NS1_11comp_targetILNS1_3genE8ELNS1_11target_archE1030ELNS1_3gpuE2ELNS1_3repE0EEENS1_30default_config_static_selectorELNS0_4arch9wavefront6targetE1EEEvT1_,comdat
.Lfunc_end100:
	.size	_ZN7rocprim17ROCPRIM_400000_NS6detail17trampoline_kernelINS0_14default_configENS1_27scan_by_key_config_selectorIxxEEZZNS1_16scan_by_key_implILNS1_25lookback_scan_determinismE0ELb0ES3_N6thrust23THRUST_200600_302600_NS6detail15normal_iteratorINS9_10device_ptrIxEEEESE_SE_xNS9_4plusIvEENS9_8equal_toIxEExEE10hipError_tPvRmT2_T3_T4_T5_mT6_T7_P12ihipStream_tbENKUlT_T0_E_clISt17integral_constantIbLb1EESZ_EEDaSU_SV_EUlSU_E_NS1_11comp_targetILNS1_3genE8ELNS1_11target_archE1030ELNS1_3gpuE2ELNS1_3repE0EEENS1_30default_config_static_selectorELNS0_4arch9wavefront6targetE1EEEvT1_, .Lfunc_end100-_ZN7rocprim17ROCPRIM_400000_NS6detail17trampoline_kernelINS0_14default_configENS1_27scan_by_key_config_selectorIxxEEZZNS1_16scan_by_key_implILNS1_25lookback_scan_determinismE0ELb0ES3_N6thrust23THRUST_200600_302600_NS6detail15normal_iteratorINS9_10device_ptrIxEEEESE_SE_xNS9_4plusIvEENS9_8equal_toIxEExEE10hipError_tPvRmT2_T3_T4_T5_mT6_T7_P12ihipStream_tbENKUlT_T0_E_clISt17integral_constantIbLb1EESZ_EEDaSU_SV_EUlSU_E_NS1_11comp_targetILNS1_3genE8ELNS1_11target_archE1030ELNS1_3gpuE2ELNS1_3repE0EEENS1_30default_config_static_selectorELNS0_4arch9wavefront6targetE1EEEvT1_
                                        ; -- End function
	.section	.AMDGPU.csdata,"",@progbits
; Kernel info:
; codeLenInByte = 0
; NumSgprs: 6
; NumVgprs: 0
; NumAgprs: 0
; TotalNumVgprs: 0
; ScratchSize: 0
; MemoryBound: 0
; FloatMode: 240
; IeeeMode: 1
; LDSByteSize: 0 bytes/workgroup (compile time only)
; SGPRBlocks: 0
; VGPRBlocks: 0
; NumSGPRsForWavesPerEU: 6
; NumVGPRsForWavesPerEU: 1
; AccumOffset: 4
; Occupancy: 8
; WaveLimiterHint : 0
; COMPUTE_PGM_RSRC2:SCRATCH_EN: 0
; COMPUTE_PGM_RSRC2:USER_SGPR: 2
; COMPUTE_PGM_RSRC2:TRAP_HANDLER: 0
; COMPUTE_PGM_RSRC2:TGID_X_EN: 1
; COMPUTE_PGM_RSRC2:TGID_Y_EN: 0
; COMPUTE_PGM_RSRC2:TGID_Z_EN: 0
; COMPUTE_PGM_RSRC2:TIDIG_COMP_CNT: 0
; COMPUTE_PGM_RSRC3_GFX90A:ACCUM_OFFSET: 0
; COMPUTE_PGM_RSRC3_GFX90A:TG_SPLIT: 0
	.section	.text._ZN7rocprim17ROCPRIM_400000_NS6detail17trampoline_kernelINS0_14default_configENS1_27scan_by_key_config_selectorIxxEEZZNS1_16scan_by_key_implILNS1_25lookback_scan_determinismE0ELb0ES3_N6thrust23THRUST_200600_302600_NS6detail15normal_iteratorINS9_10device_ptrIxEEEESE_SE_xNS9_4plusIvEENS9_8equal_toIxEExEE10hipError_tPvRmT2_T3_T4_T5_mT6_T7_P12ihipStream_tbENKUlT_T0_E_clISt17integral_constantIbLb1EESY_IbLb0EEEEDaSU_SV_EUlSU_E_NS1_11comp_targetILNS1_3genE0ELNS1_11target_archE4294967295ELNS1_3gpuE0ELNS1_3repE0EEENS1_30default_config_static_selectorELNS0_4arch9wavefront6targetE1EEEvT1_,"axG",@progbits,_ZN7rocprim17ROCPRIM_400000_NS6detail17trampoline_kernelINS0_14default_configENS1_27scan_by_key_config_selectorIxxEEZZNS1_16scan_by_key_implILNS1_25lookback_scan_determinismE0ELb0ES3_N6thrust23THRUST_200600_302600_NS6detail15normal_iteratorINS9_10device_ptrIxEEEESE_SE_xNS9_4plusIvEENS9_8equal_toIxEExEE10hipError_tPvRmT2_T3_T4_T5_mT6_T7_P12ihipStream_tbENKUlT_T0_E_clISt17integral_constantIbLb1EESY_IbLb0EEEEDaSU_SV_EUlSU_E_NS1_11comp_targetILNS1_3genE0ELNS1_11target_archE4294967295ELNS1_3gpuE0ELNS1_3repE0EEENS1_30default_config_static_selectorELNS0_4arch9wavefront6targetE1EEEvT1_,comdat
	.protected	_ZN7rocprim17ROCPRIM_400000_NS6detail17trampoline_kernelINS0_14default_configENS1_27scan_by_key_config_selectorIxxEEZZNS1_16scan_by_key_implILNS1_25lookback_scan_determinismE0ELb0ES3_N6thrust23THRUST_200600_302600_NS6detail15normal_iteratorINS9_10device_ptrIxEEEESE_SE_xNS9_4plusIvEENS9_8equal_toIxEExEE10hipError_tPvRmT2_T3_T4_T5_mT6_T7_P12ihipStream_tbENKUlT_T0_E_clISt17integral_constantIbLb1EESY_IbLb0EEEEDaSU_SV_EUlSU_E_NS1_11comp_targetILNS1_3genE0ELNS1_11target_archE4294967295ELNS1_3gpuE0ELNS1_3repE0EEENS1_30default_config_static_selectorELNS0_4arch9wavefront6targetE1EEEvT1_ ; -- Begin function _ZN7rocprim17ROCPRIM_400000_NS6detail17trampoline_kernelINS0_14default_configENS1_27scan_by_key_config_selectorIxxEEZZNS1_16scan_by_key_implILNS1_25lookback_scan_determinismE0ELb0ES3_N6thrust23THRUST_200600_302600_NS6detail15normal_iteratorINS9_10device_ptrIxEEEESE_SE_xNS9_4plusIvEENS9_8equal_toIxEExEE10hipError_tPvRmT2_T3_T4_T5_mT6_T7_P12ihipStream_tbENKUlT_T0_E_clISt17integral_constantIbLb1EESY_IbLb0EEEEDaSU_SV_EUlSU_E_NS1_11comp_targetILNS1_3genE0ELNS1_11target_archE4294967295ELNS1_3gpuE0ELNS1_3repE0EEENS1_30default_config_static_selectorELNS0_4arch9wavefront6targetE1EEEvT1_
	.globl	_ZN7rocprim17ROCPRIM_400000_NS6detail17trampoline_kernelINS0_14default_configENS1_27scan_by_key_config_selectorIxxEEZZNS1_16scan_by_key_implILNS1_25lookback_scan_determinismE0ELb0ES3_N6thrust23THRUST_200600_302600_NS6detail15normal_iteratorINS9_10device_ptrIxEEEESE_SE_xNS9_4plusIvEENS9_8equal_toIxEExEE10hipError_tPvRmT2_T3_T4_T5_mT6_T7_P12ihipStream_tbENKUlT_T0_E_clISt17integral_constantIbLb1EESY_IbLb0EEEEDaSU_SV_EUlSU_E_NS1_11comp_targetILNS1_3genE0ELNS1_11target_archE4294967295ELNS1_3gpuE0ELNS1_3repE0EEENS1_30default_config_static_selectorELNS0_4arch9wavefront6targetE1EEEvT1_
	.p2align	8
	.type	_ZN7rocprim17ROCPRIM_400000_NS6detail17trampoline_kernelINS0_14default_configENS1_27scan_by_key_config_selectorIxxEEZZNS1_16scan_by_key_implILNS1_25lookback_scan_determinismE0ELb0ES3_N6thrust23THRUST_200600_302600_NS6detail15normal_iteratorINS9_10device_ptrIxEEEESE_SE_xNS9_4plusIvEENS9_8equal_toIxEExEE10hipError_tPvRmT2_T3_T4_T5_mT6_T7_P12ihipStream_tbENKUlT_T0_E_clISt17integral_constantIbLb1EESY_IbLb0EEEEDaSU_SV_EUlSU_E_NS1_11comp_targetILNS1_3genE0ELNS1_11target_archE4294967295ELNS1_3gpuE0ELNS1_3repE0EEENS1_30default_config_static_selectorELNS0_4arch9wavefront6targetE1EEEvT1_,@function
_ZN7rocprim17ROCPRIM_400000_NS6detail17trampoline_kernelINS0_14default_configENS1_27scan_by_key_config_selectorIxxEEZZNS1_16scan_by_key_implILNS1_25lookback_scan_determinismE0ELb0ES3_N6thrust23THRUST_200600_302600_NS6detail15normal_iteratorINS9_10device_ptrIxEEEESE_SE_xNS9_4plusIvEENS9_8equal_toIxEExEE10hipError_tPvRmT2_T3_T4_T5_mT6_T7_P12ihipStream_tbENKUlT_T0_E_clISt17integral_constantIbLb1EESY_IbLb0EEEEDaSU_SV_EUlSU_E_NS1_11comp_targetILNS1_3genE0ELNS1_11target_archE4294967295ELNS1_3gpuE0ELNS1_3repE0EEENS1_30default_config_static_selectorELNS0_4arch9wavefront6targetE1EEEvT1_: ; @_ZN7rocprim17ROCPRIM_400000_NS6detail17trampoline_kernelINS0_14default_configENS1_27scan_by_key_config_selectorIxxEEZZNS1_16scan_by_key_implILNS1_25lookback_scan_determinismE0ELb0ES3_N6thrust23THRUST_200600_302600_NS6detail15normal_iteratorINS9_10device_ptrIxEEEESE_SE_xNS9_4plusIvEENS9_8equal_toIxEExEE10hipError_tPvRmT2_T3_T4_T5_mT6_T7_P12ihipStream_tbENKUlT_T0_E_clISt17integral_constantIbLb1EESY_IbLb0EEEEDaSU_SV_EUlSU_E_NS1_11comp_targetILNS1_3genE0ELNS1_11target_archE4294967295ELNS1_3gpuE0ELNS1_3repE0EEENS1_30default_config_static_selectorELNS0_4arch9wavefront6targetE1EEEvT1_
; %bb.0:
	.section	.rodata,"a",@progbits
	.p2align	6, 0x0
	.amdhsa_kernel _ZN7rocprim17ROCPRIM_400000_NS6detail17trampoline_kernelINS0_14default_configENS1_27scan_by_key_config_selectorIxxEEZZNS1_16scan_by_key_implILNS1_25lookback_scan_determinismE0ELb0ES3_N6thrust23THRUST_200600_302600_NS6detail15normal_iteratorINS9_10device_ptrIxEEEESE_SE_xNS9_4plusIvEENS9_8equal_toIxEExEE10hipError_tPvRmT2_T3_T4_T5_mT6_T7_P12ihipStream_tbENKUlT_T0_E_clISt17integral_constantIbLb1EESY_IbLb0EEEEDaSU_SV_EUlSU_E_NS1_11comp_targetILNS1_3genE0ELNS1_11target_archE4294967295ELNS1_3gpuE0ELNS1_3repE0EEENS1_30default_config_static_selectorELNS0_4arch9wavefront6targetE1EEEvT1_
		.amdhsa_group_segment_fixed_size 0
		.amdhsa_private_segment_fixed_size 0
		.amdhsa_kernarg_size 136
		.amdhsa_user_sgpr_count 2
		.amdhsa_user_sgpr_dispatch_ptr 0
		.amdhsa_user_sgpr_queue_ptr 0
		.amdhsa_user_sgpr_kernarg_segment_ptr 1
		.amdhsa_user_sgpr_dispatch_id 0
		.amdhsa_user_sgpr_kernarg_preload_length 0
		.amdhsa_user_sgpr_kernarg_preload_offset 0
		.amdhsa_user_sgpr_private_segment_size 0
		.amdhsa_uses_dynamic_stack 0
		.amdhsa_enable_private_segment 0
		.amdhsa_system_sgpr_workgroup_id_x 1
		.amdhsa_system_sgpr_workgroup_id_y 0
		.amdhsa_system_sgpr_workgroup_id_z 0
		.amdhsa_system_sgpr_workgroup_info 0
		.amdhsa_system_vgpr_workitem_id 0
		.amdhsa_next_free_vgpr 1
		.amdhsa_next_free_sgpr 0
		.amdhsa_accum_offset 4
		.amdhsa_reserve_vcc 0
		.amdhsa_float_round_mode_32 0
		.amdhsa_float_round_mode_16_64 0
		.amdhsa_float_denorm_mode_32 3
		.amdhsa_float_denorm_mode_16_64 3
		.amdhsa_dx10_clamp 1
		.amdhsa_ieee_mode 1
		.amdhsa_fp16_overflow 0
		.amdhsa_tg_split 0
		.amdhsa_exception_fp_ieee_invalid_op 0
		.amdhsa_exception_fp_denorm_src 0
		.amdhsa_exception_fp_ieee_div_zero 0
		.amdhsa_exception_fp_ieee_overflow 0
		.amdhsa_exception_fp_ieee_underflow 0
		.amdhsa_exception_fp_ieee_inexact 0
		.amdhsa_exception_int_div_zero 0
	.end_amdhsa_kernel
	.section	.text._ZN7rocprim17ROCPRIM_400000_NS6detail17trampoline_kernelINS0_14default_configENS1_27scan_by_key_config_selectorIxxEEZZNS1_16scan_by_key_implILNS1_25lookback_scan_determinismE0ELb0ES3_N6thrust23THRUST_200600_302600_NS6detail15normal_iteratorINS9_10device_ptrIxEEEESE_SE_xNS9_4plusIvEENS9_8equal_toIxEExEE10hipError_tPvRmT2_T3_T4_T5_mT6_T7_P12ihipStream_tbENKUlT_T0_E_clISt17integral_constantIbLb1EESY_IbLb0EEEEDaSU_SV_EUlSU_E_NS1_11comp_targetILNS1_3genE0ELNS1_11target_archE4294967295ELNS1_3gpuE0ELNS1_3repE0EEENS1_30default_config_static_selectorELNS0_4arch9wavefront6targetE1EEEvT1_,"axG",@progbits,_ZN7rocprim17ROCPRIM_400000_NS6detail17trampoline_kernelINS0_14default_configENS1_27scan_by_key_config_selectorIxxEEZZNS1_16scan_by_key_implILNS1_25lookback_scan_determinismE0ELb0ES3_N6thrust23THRUST_200600_302600_NS6detail15normal_iteratorINS9_10device_ptrIxEEEESE_SE_xNS9_4plusIvEENS9_8equal_toIxEExEE10hipError_tPvRmT2_T3_T4_T5_mT6_T7_P12ihipStream_tbENKUlT_T0_E_clISt17integral_constantIbLb1EESY_IbLb0EEEEDaSU_SV_EUlSU_E_NS1_11comp_targetILNS1_3genE0ELNS1_11target_archE4294967295ELNS1_3gpuE0ELNS1_3repE0EEENS1_30default_config_static_selectorELNS0_4arch9wavefront6targetE1EEEvT1_,comdat
.Lfunc_end101:
	.size	_ZN7rocprim17ROCPRIM_400000_NS6detail17trampoline_kernelINS0_14default_configENS1_27scan_by_key_config_selectorIxxEEZZNS1_16scan_by_key_implILNS1_25lookback_scan_determinismE0ELb0ES3_N6thrust23THRUST_200600_302600_NS6detail15normal_iteratorINS9_10device_ptrIxEEEESE_SE_xNS9_4plusIvEENS9_8equal_toIxEExEE10hipError_tPvRmT2_T3_T4_T5_mT6_T7_P12ihipStream_tbENKUlT_T0_E_clISt17integral_constantIbLb1EESY_IbLb0EEEEDaSU_SV_EUlSU_E_NS1_11comp_targetILNS1_3genE0ELNS1_11target_archE4294967295ELNS1_3gpuE0ELNS1_3repE0EEENS1_30default_config_static_selectorELNS0_4arch9wavefront6targetE1EEEvT1_, .Lfunc_end101-_ZN7rocprim17ROCPRIM_400000_NS6detail17trampoline_kernelINS0_14default_configENS1_27scan_by_key_config_selectorIxxEEZZNS1_16scan_by_key_implILNS1_25lookback_scan_determinismE0ELb0ES3_N6thrust23THRUST_200600_302600_NS6detail15normal_iteratorINS9_10device_ptrIxEEEESE_SE_xNS9_4plusIvEENS9_8equal_toIxEExEE10hipError_tPvRmT2_T3_T4_T5_mT6_T7_P12ihipStream_tbENKUlT_T0_E_clISt17integral_constantIbLb1EESY_IbLb0EEEEDaSU_SV_EUlSU_E_NS1_11comp_targetILNS1_3genE0ELNS1_11target_archE4294967295ELNS1_3gpuE0ELNS1_3repE0EEENS1_30default_config_static_selectorELNS0_4arch9wavefront6targetE1EEEvT1_
                                        ; -- End function
	.section	.AMDGPU.csdata,"",@progbits
; Kernel info:
; codeLenInByte = 0
; NumSgprs: 6
; NumVgprs: 0
; NumAgprs: 0
; TotalNumVgprs: 0
; ScratchSize: 0
; MemoryBound: 0
; FloatMode: 240
; IeeeMode: 1
; LDSByteSize: 0 bytes/workgroup (compile time only)
; SGPRBlocks: 0
; VGPRBlocks: 0
; NumSGPRsForWavesPerEU: 6
; NumVGPRsForWavesPerEU: 1
; AccumOffset: 4
; Occupancy: 8
; WaveLimiterHint : 0
; COMPUTE_PGM_RSRC2:SCRATCH_EN: 0
; COMPUTE_PGM_RSRC2:USER_SGPR: 2
; COMPUTE_PGM_RSRC2:TRAP_HANDLER: 0
; COMPUTE_PGM_RSRC2:TGID_X_EN: 1
; COMPUTE_PGM_RSRC2:TGID_Y_EN: 0
; COMPUTE_PGM_RSRC2:TGID_Z_EN: 0
; COMPUTE_PGM_RSRC2:TIDIG_COMP_CNT: 0
; COMPUTE_PGM_RSRC3_GFX90A:ACCUM_OFFSET: 0
; COMPUTE_PGM_RSRC3_GFX90A:TG_SPLIT: 0
	.section	.text._ZN7rocprim17ROCPRIM_400000_NS6detail17trampoline_kernelINS0_14default_configENS1_27scan_by_key_config_selectorIxxEEZZNS1_16scan_by_key_implILNS1_25lookback_scan_determinismE0ELb0ES3_N6thrust23THRUST_200600_302600_NS6detail15normal_iteratorINS9_10device_ptrIxEEEESE_SE_xNS9_4plusIvEENS9_8equal_toIxEExEE10hipError_tPvRmT2_T3_T4_T5_mT6_T7_P12ihipStream_tbENKUlT_T0_E_clISt17integral_constantIbLb1EESY_IbLb0EEEEDaSU_SV_EUlSU_E_NS1_11comp_targetILNS1_3genE10ELNS1_11target_archE1201ELNS1_3gpuE5ELNS1_3repE0EEENS1_30default_config_static_selectorELNS0_4arch9wavefront6targetE1EEEvT1_,"axG",@progbits,_ZN7rocprim17ROCPRIM_400000_NS6detail17trampoline_kernelINS0_14default_configENS1_27scan_by_key_config_selectorIxxEEZZNS1_16scan_by_key_implILNS1_25lookback_scan_determinismE0ELb0ES3_N6thrust23THRUST_200600_302600_NS6detail15normal_iteratorINS9_10device_ptrIxEEEESE_SE_xNS9_4plusIvEENS9_8equal_toIxEExEE10hipError_tPvRmT2_T3_T4_T5_mT6_T7_P12ihipStream_tbENKUlT_T0_E_clISt17integral_constantIbLb1EESY_IbLb0EEEEDaSU_SV_EUlSU_E_NS1_11comp_targetILNS1_3genE10ELNS1_11target_archE1201ELNS1_3gpuE5ELNS1_3repE0EEENS1_30default_config_static_selectorELNS0_4arch9wavefront6targetE1EEEvT1_,comdat
	.protected	_ZN7rocprim17ROCPRIM_400000_NS6detail17trampoline_kernelINS0_14default_configENS1_27scan_by_key_config_selectorIxxEEZZNS1_16scan_by_key_implILNS1_25lookback_scan_determinismE0ELb0ES3_N6thrust23THRUST_200600_302600_NS6detail15normal_iteratorINS9_10device_ptrIxEEEESE_SE_xNS9_4plusIvEENS9_8equal_toIxEExEE10hipError_tPvRmT2_T3_T4_T5_mT6_T7_P12ihipStream_tbENKUlT_T0_E_clISt17integral_constantIbLb1EESY_IbLb0EEEEDaSU_SV_EUlSU_E_NS1_11comp_targetILNS1_3genE10ELNS1_11target_archE1201ELNS1_3gpuE5ELNS1_3repE0EEENS1_30default_config_static_selectorELNS0_4arch9wavefront6targetE1EEEvT1_ ; -- Begin function _ZN7rocprim17ROCPRIM_400000_NS6detail17trampoline_kernelINS0_14default_configENS1_27scan_by_key_config_selectorIxxEEZZNS1_16scan_by_key_implILNS1_25lookback_scan_determinismE0ELb0ES3_N6thrust23THRUST_200600_302600_NS6detail15normal_iteratorINS9_10device_ptrIxEEEESE_SE_xNS9_4plusIvEENS9_8equal_toIxEExEE10hipError_tPvRmT2_T3_T4_T5_mT6_T7_P12ihipStream_tbENKUlT_T0_E_clISt17integral_constantIbLb1EESY_IbLb0EEEEDaSU_SV_EUlSU_E_NS1_11comp_targetILNS1_3genE10ELNS1_11target_archE1201ELNS1_3gpuE5ELNS1_3repE0EEENS1_30default_config_static_selectorELNS0_4arch9wavefront6targetE1EEEvT1_
	.globl	_ZN7rocprim17ROCPRIM_400000_NS6detail17trampoline_kernelINS0_14default_configENS1_27scan_by_key_config_selectorIxxEEZZNS1_16scan_by_key_implILNS1_25lookback_scan_determinismE0ELb0ES3_N6thrust23THRUST_200600_302600_NS6detail15normal_iteratorINS9_10device_ptrIxEEEESE_SE_xNS9_4plusIvEENS9_8equal_toIxEExEE10hipError_tPvRmT2_T3_T4_T5_mT6_T7_P12ihipStream_tbENKUlT_T0_E_clISt17integral_constantIbLb1EESY_IbLb0EEEEDaSU_SV_EUlSU_E_NS1_11comp_targetILNS1_3genE10ELNS1_11target_archE1201ELNS1_3gpuE5ELNS1_3repE0EEENS1_30default_config_static_selectorELNS0_4arch9wavefront6targetE1EEEvT1_
	.p2align	8
	.type	_ZN7rocprim17ROCPRIM_400000_NS6detail17trampoline_kernelINS0_14default_configENS1_27scan_by_key_config_selectorIxxEEZZNS1_16scan_by_key_implILNS1_25lookback_scan_determinismE0ELb0ES3_N6thrust23THRUST_200600_302600_NS6detail15normal_iteratorINS9_10device_ptrIxEEEESE_SE_xNS9_4plusIvEENS9_8equal_toIxEExEE10hipError_tPvRmT2_T3_T4_T5_mT6_T7_P12ihipStream_tbENKUlT_T0_E_clISt17integral_constantIbLb1EESY_IbLb0EEEEDaSU_SV_EUlSU_E_NS1_11comp_targetILNS1_3genE10ELNS1_11target_archE1201ELNS1_3gpuE5ELNS1_3repE0EEENS1_30default_config_static_selectorELNS0_4arch9wavefront6targetE1EEEvT1_,@function
_ZN7rocprim17ROCPRIM_400000_NS6detail17trampoline_kernelINS0_14default_configENS1_27scan_by_key_config_selectorIxxEEZZNS1_16scan_by_key_implILNS1_25lookback_scan_determinismE0ELb0ES3_N6thrust23THRUST_200600_302600_NS6detail15normal_iteratorINS9_10device_ptrIxEEEESE_SE_xNS9_4plusIvEENS9_8equal_toIxEExEE10hipError_tPvRmT2_T3_T4_T5_mT6_T7_P12ihipStream_tbENKUlT_T0_E_clISt17integral_constantIbLb1EESY_IbLb0EEEEDaSU_SV_EUlSU_E_NS1_11comp_targetILNS1_3genE10ELNS1_11target_archE1201ELNS1_3gpuE5ELNS1_3repE0EEENS1_30default_config_static_selectorELNS0_4arch9wavefront6targetE1EEEvT1_: ; @_ZN7rocprim17ROCPRIM_400000_NS6detail17trampoline_kernelINS0_14default_configENS1_27scan_by_key_config_selectorIxxEEZZNS1_16scan_by_key_implILNS1_25lookback_scan_determinismE0ELb0ES3_N6thrust23THRUST_200600_302600_NS6detail15normal_iteratorINS9_10device_ptrIxEEEESE_SE_xNS9_4plusIvEENS9_8equal_toIxEExEE10hipError_tPvRmT2_T3_T4_T5_mT6_T7_P12ihipStream_tbENKUlT_T0_E_clISt17integral_constantIbLb1EESY_IbLb0EEEEDaSU_SV_EUlSU_E_NS1_11comp_targetILNS1_3genE10ELNS1_11target_archE1201ELNS1_3gpuE5ELNS1_3repE0EEENS1_30default_config_static_selectorELNS0_4arch9wavefront6targetE1EEEvT1_
; %bb.0:
	.section	.rodata,"a",@progbits
	.p2align	6, 0x0
	.amdhsa_kernel _ZN7rocprim17ROCPRIM_400000_NS6detail17trampoline_kernelINS0_14default_configENS1_27scan_by_key_config_selectorIxxEEZZNS1_16scan_by_key_implILNS1_25lookback_scan_determinismE0ELb0ES3_N6thrust23THRUST_200600_302600_NS6detail15normal_iteratorINS9_10device_ptrIxEEEESE_SE_xNS9_4plusIvEENS9_8equal_toIxEExEE10hipError_tPvRmT2_T3_T4_T5_mT6_T7_P12ihipStream_tbENKUlT_T0_E_clISt17integral_constantIbLb1EESY_IbLb0EEEEDaSU_SV_EUlSU_E_NS1_11comp_targetILNS1_3genE10ELNS1_11target_archE1201ELNS1_3gpuE5ELNS1_3repE0EEENS1_30default_config_static_selectorELNS0_4arch9wavefront6targetE1EEEvT1_
		.amdhsa_group_segment_fixed_size 0
		.amdhsa_private_segment_fixed_size 0
		.amdhsa_kernarg_size 136
		.amdhsa_user_sgpr_count 2
		.amdhsa_user_sgpr_dispatch_ptr 0
		.amdhsa_user_sgpr_queue_ptr 0
		.amdhsa_user_sgpr_kernarg_segment_ptr 1
		.amdhsa_user_sgpr_dispatch_id 0
		.amdhsa_user_sgpr_kernarg_preload_length 0
		.amdhsa_user_sgpr_kernarg_preload_offset 0
		.amdhsa_user_sgpr_private_segment_size 0
		.amdhsa_uses_dynamic_stack 0
		.amdhsa_enable_private_segment 0
		.amdhsa_system_sgpr_workgroup_id_x 1
		.amdhsa_system_sgpr_workgroup_id_y 0
		.amdhsa_system_sgpr_workgroup_id_z 0
		.amdhsa_system_sgpr_workgroup_info 0
		.amdhsa_system_vgpr_workitem_id 0
		.amdhsa_next_free_vgpr 1
		.amdhsa_next_free_sgpr 0
		.amdhsa_accum_offset 4
		.amdhsa_reserve_vcc 0
		.amdhsa_float_round_mode_32 0
		.amdhsa_float_round_mode_16_64 0
		.amdhsa_float_denorm_mode_32 3
		.amdhsa_float_denorm_mode_16_64 3
		.amdhsa_dx10_clamp 1
		.amdhsa_ieee_mode 1
		.amdhsa_fp16_overflow 0
		.amdhsa_tg_split 0
		.amdhsa_exception_fp_ieee_invalid_op 0
		.amdhsa_exception_fp_denorm_src 0
		.amdhsa_exception_fp_ieee_div_zero 0
		.amdhsa_exception_fp_ieee_overflow 0
		.amdhsa_exception_fp_ieee_underflow 0
		.amdhsa_exception_fp_ieee_inexact 0
		.amdhsa_exception_int_div_zero 0
	.end_amdhsa_kernel
	.section	.text._ZN7rocprim17ROCPRIM_400000_NS6detail17trampoline_kernelINS0_14default_configENS1_27scan_by_key_config_selectorIxxEEZZNS1_16scan_by_key_implILNS1_25lookback_scan_determinismE0ELb0ES3_N6thrust23THRUST_200600_302600_NS6detail15normal_iteratorINS9_10device_ptrIxEEEESE_SE_xNS9_4plusIvEENS9_8equal_toIxEExEE10hipError_tPvRmT2_T3_T4_T5_mT6_T7_P12ihipStream_tbENKUlT_T0_E_clISt17integral_constantIbLb1EESY_IbLb0EEEEDaSU_SV_EUlSU_E_NS1_11comp_targetILNS1_3genE10ELNS1_11target_archE1201ELNS1_3gpuE5ELNS1_3repE0EEENS1_30default_config_static_selectorELNS0_4arch9wavefront6targetE1EEEvT1_,"axG",@progbits,_ZN7rocprim17ROCPRIM_400000_NS6detail17trampoline_kernelINS0_14default_configENS1_27scan_by_key_config_selectorIxxEEZZNS1_16scan_by_key_implILNS1_25lookback_scan_determinismE0ELb0ES3_N6thrust23THRUST_200600_302600_NS6detail15normal_iteratorINS9_10device_ptrIxEEEESE_SE_xNS9_4plusIvEENS9_8equal_toIxEExEE10hipError_tPvRmT2_T3_T4_T5_mT6_T7_P12ihipStream_tbENKUlT_T0_E_clISt17integral_constantIbLb1EESY_IbLb0EEEEDaSU_SV_EUlSU_E_NS1_11comp_targetILNS1_3genE10ELNS1_11target_archE1201ELNS1_3gpuE5ELNS1_3repE0EEENS1_30default_config_static_selectorELNS0_4arch9wavefront6targetE1EEEvT1_,comdat
.Lfunc_end102:
	.size	_ZN7rocprim17ROCPRIM_400000_NS6detail17trampoline_kernelINS0_14default_configENS1_27scan_by_key_config_selectorIxxEEZZNS1_16scan_by_key_implILNS1_25lookback_scan_determinismE0ELb0ES3_N6thrust23THRUST_200600_302600_NS6detail15normal_iteratorINS9_10device_ptrIxEEEESE_SE_xNS9_4plusIvEENS9_8equal_toIxEExEE10hipError_tPvRmT2_T3_T4_T5_mT6_T7_P12ihipStream_tbENKUlT_T0_E_clISt17integral_constantIbLb1EESY_IbLb0EEEEDaSU_SV_EUlSU_E_NS1_11comp_targetILNS1_3genE10ELNS1_11target_archE1201ELNS1_3gpuE5ELNS1_3repE0EEENS1_30default_config_static_selectorELNS0_4arch9wavefront6targetE1EEEvT1_, .Lfunc_end102-_ZN7rocprim17ROCPRIM_400000_NS6detail17trampoline_kernelINS0_14default_configENS1_27scan_by_key_config_selectorIxxEEZZNS1_16scan_by_key_implILNS1_25lookback_scan_determinismE0ELb0ES3_N6thrust23THRUST_200600_302600_NS6detail15normal_iteratorINS9_10device_ptrIxEEEESE_SE_xNS9_4plusIvEENS9_8equal_toIxEExEE10hipError_tPvRmT2_T3_T4_T5_mT6_T7_P12ihipStream_tbENKUlT_T0_E_clISt17integral_constantIbLb1EESY_IbLb0EEEEDaSU_SV_EUlSU_E_NS1_11comp_targetILNS1_3genE10ELNS1_11target_archE1201ELNS1_3gpuE5ELNS1_3repE0EEENS1_30default_config_static_selectorELNS0_4arch9wavefront6targetE1EEEvT1_
                                        ; -- End function
	.section	.AMDGPU.csdata,"",@progbits
; Kernel info:
; codeLenInByte = 0
; NumSgprs: 6
; NumVgprs: 0
; NumAgprs: 0
; TotalNumVgprs: 0
; ScratchSize: 0
; MemoryBound: 0
; FloatMode: 240
; IeeeMode: 1
; LDSByteSize: 0 bytes/workgroup (compile time only)
; SGPRBlocks: 0
; VGPRBlocks: 0
; NumSGPRsForWavesPerEU: 6
; NumVGPRsForWavesPerEU: 1
; AccumOffset: 4
; Occupancy: 8
; WaveLimiterHint : 0
; COMPUTE_PGM_RSRC2:SCRATCH_EN: 0
; COMPUTE_PGM_RSRC2:USER_SGPR: 2
; COMPUTE_PGM_RSRC2:TRAP_HANDLER: 0
; COMPUTE_PGM_RSRC2:TGID_X_EN: 1
; COMPUTE_PGM_RSRC2:TGID_Y_EN: 0
; COMPUTE_PGM_RSRC2:TGID_Z_EN: 0
; COMPUTE_PGM_RSRC2:TIDIG_COMP_CNT: 0
; COMPUTE_PGM_RSRC3_GFX90A:ACCUM_OFFSET: 0
; COMPUTE_PGM_RSRC3_GFX90A:TG_SPLIT: 0
	.section	.text._ZN7rocprim17ROCPRIM_400000_NS6detail17trampoline_kernelINS0_14default_configENS1_27scan_by_key_config_selectorIxxEEZZNS1_16scan_by_key_implILNS1_25lookback_scan_determinismE0ELb0ES3_N6thrust23THRUST_200600_302600_NS6detail15normal_iteratorINS9_10device_ptrIxEEEESE_SE_xNS9_4plusIvEENS9_8equal_toIxEExEE10hipError_tPvRmT2_T3_T4_T5_mT6_T7_P12ihipStream_tbENKUlT_T0_E_clISt17integral_constantIbLb1EESY_IbLb0EEEEDaSU_SV_EUlSU_E_NS1_11comp_targetILNS1_3genE5ELNS1_11target_archE942ELNS1_3gpuE9ELNS1_3repE0EEENS1_30default_config_static_selectorELNS0_4arch9wavefront6targetE1EEEvT1_,"axG",@progbits,_ZN7rocprim17ROCPRIM_400000_NS6detail17trampoline_kernelINS0_14default_configENS1_27scan_by_key_config_selectorIxxEEZZNS1_16scan_by_key_implILNS1_25lookback_scan_determinismE0ELb0ES3_N6thrust23THRUST_200600_302600_NS6detail15normal_iteratorINS9_10device_ptrIxEEEESE_SE_xNS9_4plusIvEENS9_8equal_toIxEExEE10hipError_tPvRmT2_T3_T4_T5_mT6_T7_P12ihipStream_tbENKUlT_T0_E_clISt17integral_constantIbLb1EESY_IbLb0EEEEDaSU_SV_EUlSU_E_NS1_11comp_targetILNS1_3genE5ELNS1_11target_archE942ELNS1_3gpuE9ELNS1_3repE0EEENS1_30default_config_static_selectorELNS0_4arch9wavefront6targetE1EEEvT1_,comdat
	.protected	_ZN7rocprim17ROCPRIM_400000_NS6detail17trampoline_kernelINS0_14default_configENS1_27scan_by_key_config_selectorIxxEEZZNS1_16scan_by_key_implILNS1_25lookback_scan_determinismE0ELb0ES3_N6thrust23THRUST_200600_302600_NS6detail15normal_iteratorINS9_10device_ptrIxEEEESE_SE_xNS9_4plusIvEENS9_8equal_toIxEExEE10hipError_tPvRmT2_T3_T4_T5_mT6_T7_P12ihipStream_tbENKUlT_T0_E_clISt17integral_constantIbLb1EESY_IbLb0EEEEDaSU_SV_EUlSU_E_NS1_11comp_targetILNS1_3genE5ELNS1_11target_archE942ELNS1_3gpuE9ELNS1_3repE0EEENS1_30default_config_static_selectorELNS0_4arch9wavefront6targetE1EEEvT1_ ; -- Begin function _ZN7rocprim17ROCPRIM_400000_NS6detail17trampoline_kernelINS0_14default_configENS1_27scan_by_key_config_selectorIxxEEZZNS1_16scan_by_key_implILNS1_25lookback_scan_determinismE0ELb0ES3_N6thrust23THRUST_200600_302600_NS6detail15normal_iteratorINS9_10device_ptrIxEEEESE_SE_xNS9_4plusIvEENS9_8equal_toIxEExEE10hipError_tPvRmT2_T3_T4_T5_mT6_T7_P12ihipStream_tbENKUlT_T0_E_clISt17integral_constantIbLb1EESY_IbLb0EEEEDaSU_SV_EUlSU_E_NS1_11comp_targetILNS1_3genE5ELNS1_11target_archE942ELNS1_3gpuE9ELNS1_3repE0EEENS1_30default_config_static_selectorELNS0_4arch9wavefront6targetE1EEEvT1_
	.globl	_ZN7rocprim17ROCPRIM_400000_NS6detail17trampoline_kernelINS0_14default_configENS1_27scan_by_key_config_selectorIxxEEZZNS1_16scan_by_key_implILNS1_25lookback_scan_determinismE0ELb0ES3_N6thrust23THRUST_200600_302600_NS6detail15normal_iteratorINS9_10device_ptrIxEEEESE_SE_xNS9_4plusIvEENS9_8equal_toIxEExEE10hipError_tPvRmT2_T3_T4_T5_mT6_T7_P12ihipStream_tbENKUlT_T0_E_clISt17integral_constantIbLb1EESY_IbLb0EEEEDaSU_SV_EUlSU_E_NS1_11comp_targetILNS1_3genE5ELNS1_11target_archE942ELNS1_3gpuE9ELNS1_3repE0EEENS1_30default_config_static_selectorELNS0_4arch9wavefront6targetE1EEEvT1_
	.p2align	8
	.type	_ZN7rocprim17ROCPRIM_400000_NS6detail17trampoline_kernelINS0_14default_configENS1_27scan_by_key_config_selectorIxxEEZZNS1_16scan_by_key_implILNS1_25lookback_scan_determinismE0ELb0ES3_N6thrust23THRUST_200600_302600_NS6detail15normal_iteratorINS9_10device_ptrIxEEEESE_SE_xNS9_4plusIvEENS9_8equal_toIxEExEE10hipError_tPvRmT2_T3_T4_T5_mT6_T7_P12ihipStream_tbENKUlT_T0_E_clISt17integral_constantIbLb1EESY_IbLb0EEEEDaSU_SV_EUlSU_E_NS1_11comp_targetILNS1_3genE5ELNS1_11target_archE942ELNS1_3gpuE9ELNS1_3repE0EEENS1_30default_config_static_selectorELNS0_4arch9wavefront6targetE1EEEvT1_,@function
_ZN7rocprim17ROCPRIM_400000_NS6detail17trampoline_kernelINS0_14default_configENS1_27scan_by_key_config_selectorIxxEEZZNS1_16scan_by_key_implILNS1_25lookback_scan_determinismE0ELb0ES3_N6thrust23THRUST_200600_302600_NS6detail15normal_iteratorINS9_10device_ptrIxEEEESE_SE_xNS9_4plusIvEENS9_8equal_toIxEExEE10hipError_tPvRmT2_T3_T4_T5_mT6_T7_P12ihipStream_tbENKUlT_T0_E_clISt17integral_constantIbLb1EESY_IbLb0EEEEDaSU_SV_EUlSU_E_NS1_11comp_targetILNS1_3genE5ELNS1_11target_archE942ELNS1_3gpuE9ELNS1_3repE0EEENS1_30default_config_static_selectorELNS0_4arch9wavefront6targetE1EEEvT1_: ; @_ZN7rocprim17ROCPRIM_400000_NS6detail17trampoline_kernelINS0_14default_configENS1_27scan_by_key_config_selectorIxxEEZZNS1_16scan_by_key_implILNS1_25lookback_scan_determinismE0ELb0ES3_N6thrust23THRUST_200600_302600_NS6detail15normal_iteratorINS9_10device_ptrIxEEEESE_SE_xNS9_4plusIvEENS9_8equal_toIxEExEE10hipError_tPvRmT2_T3_T4_T5_mT6_T7_P12ihipStream_tbENKUlT_T0_E_clISt17integral_constantIbLb1EESY_IbLb0EEEEDaSU_SV_EUlSU_E_NS1_11comp_targetILNS1_3genE5ELNS1_11target_archE942ELNS1_3gpuE9ELNS1_3repE0EEENS1_30default_config_static_selectorELNS0_4arch9wavefront6targetE1EEEvT1_
; %bb.0:
	s_load_dwordx8 s[44:51], s[0:1], 0x0
	s_load_dwordx8 s[36:43], s[0:1], 0x30
	s_load_dwordx2 s[60:61], s[0:1], 0x50
	s_load_dword s3, s[0:1], 0x58
	s_load_dwordx8 s[52:59], s[0:1], 0x60
	s_waitcnt lgkmcnt(0)
	s_lshl_b64 s[46:47], s[46:47], 3
	s_add_u32 s4, s44, s46
	s_addc_u32 s5, s45, s47
	s_add_u32 s6, s48, s46
	s_mul_i32 s0, s61, s3
	s_mul_hi_u32 s1, s60, s3
	s_addc_u32 s7, s49, s47
	s_add_i32 s8, s1, s0
	s_cmp_lg_u64 s[56:57], 0
	s_mul_i32 s0, s2, 0xe00
	s_mov_b32 s1, 0
	s_cselect_b64 s[56:57], -1, 0
	s_lshl_b64 s[44:45], s[0:1], 3
	s_add_u32 s48, s4, s44
	s_addc_u32 s49, s5, s45
	s_add_u32 s34, s6, s44
	s_mul_i32 s3, s60, s3
	s_addc_u32 s35, s7, s45
	s_add_u32 s62, s3, s2
	s_addc_u32 s63, s8, 0
	s_add_u32 s4, s52, -1
	s_addc_u32 s5, s53, -1
	v_mov_b64_e32 v[2:3], s[4:5]
	v_cmp_ge_u64_e64 s[0:1], s[62:63], v[2:3]
	s_mov_b64 s[10:11], 0
	s_mov_b64 s[6:7], -1
	s_and_b64 vcc, exec, s[0:1]
	s_mul_i32 s33, s4, 0xfffff200
	s_barrier
	s_cbranch_vccz .LBB103_77
; %bb.1:
	v_mov_b64_e32 v[2:3], s[48:49]
	flat_load_dwordx2 v[4:5], v[2:3]
	s_add_i32 s43, s33, s42
	v_cmp_gt_u32_e64 s[30:31], s43, v0
	s_waitcnt vmcnt(0) lgkmcnt(0)
	v_mov_b64_e32 v[6:7], v[4:5]
	s_and_saveexec_b64 s[4:5], s[30:31]
	s_cbranch_execz .LBB103_3
; %bb.2:
	v_lshlrev_b32_e32 v2, 3, v0
	v_mov_b32_e32 v3, 0
	v_lshl_add_u64 v[2:3], s[48:49], 0, v[2:3]
	flat_load_dwordx2 v[6:7], v[2:3]
.LBB103_3:
	s_or_b64 exec, exec, s[4:5]
	v_or_b32_e32 v1, 0x100, v0
	v_cmp_gt_u32_e64 s[4:5], s43, v1
	v_mov_b64_e32 v[8:9], v[4:5]
	s_and_saveexec_b64 s[6:7], s[4:5]
	s_cbranch_execz .LBB103_5
; %bb.4:
	v_lshlrev_b32_e32 v2, 3, v0
	v_mov_b32_e32 v3, 0
	v_lshl_add_u64 v[2:3], s[48:49], 0, v[2:3]
	flat_load_dwordx2 v[8:9], v[2:3] offset:2048
.LBB103_5:
	s_or_b64 exec, exec, s[6:7]
	v_or_b32_e32 v1, 0x200, v0
	v_cmp_gt_u32_e64 s[6:7], s43, v1
	v_mov_b64_e32 v[10:11], v[4:5]
	s_and_saveexec_b64 s[8:9], s[6:7]
	s_cbranch_execz .LBB103_7
; %bb.6:
	v_lshlrev_b32_e32 v2, 3, v1
	v_mov_b32_e32 v3, 0
	v_lshl_add_u64 v[2:3], s[48:49], 0, v[2:3]
	flat_load_dwordx2 v[10:11], v[2:3]
.LBB103_7:
	s_or_b64 exec, exec, s[8:9]
	v_or_b32_e32 v32, 0x300, v0
	v_cmp_gt_u32_e64 s[8:9], s43, v32
	v_mov_b64_e32 v[12:13], v[4:5]
	s_and_saveexec_b64 s[10:11], s[8:9]
	s_cbranch_execz .LBB103_9
; %bb.8:
	v_lshlrev_b32_e32 v2, 3, v32
	v_mov_b32_e32 v3, 0
	v_lshl_add_u64 v[2:3], s[48:49], 0, v[2:3]
	flat_load_dwordx2 v[12:13], v[2:3]
.LBB103_9:
	;; [unrolled: 12-line block ×11, first 2 shown]
	s_or_b64 exec, exec, s[28:29]
	v_or_b32_e32 v43, 0xd00, v0
	v_cmp_gt_u32_e64 s[28:29], s43, v43
	s_and_saveexec_b64 s[52:53], s[28:29]
	s_cbranch_execz .LBB103_29
; %bb.28:
	v_lshlrev_b32_e32 v2, 3, v43
	v_mov_b32_e32 v3, 0
	v_lshl_add_u64 v[2:3], s[48:49], 0, v[2:3]
	flat_load_dwordx2 v[4:5], v[2:3]
.LBB103_29:
	s_or_b64 exec, exec, s[52:53]
	v_lshlrev_b32_e32 v2, 3, v0
	s_movk_i32 s3, 0x68
	v_mad_u32_u24 v36, v0, s3, v2
	s_waitcnt vmcnt(0) lgkmcnt(0)
	ds_write2st64_b64 v2, v[6:7], v[8:9] offset1:4
	ds_write2st64_b64 v2, v[10:11], v[12:13] offset0:8 offset1:12
	ds_write2st64_b64 v2, v[14:15], v[16:17] offset0:16 offset1:20
	;; [unrolled: 1-line block ×6, first 2 shown]
	s_waitcnt lgkmcnt(0)
	s_barrier
	ds_read_b128 v[74:77], v36
	ds_read_b128 v[70:73], v36 offset:16
	ds_read_b128 v[66:69], v36 offset:32
	;; [unrolled: 1-line block ×6, first 2 shown]
	s_cmp_eq_u64 s[62:63], 0
	s_mov_b64 s[52:53], s[48:49]
	s_cbranch_scc1 .LBB103_33
; %bb.30:
	s_andn2_b64 vcc, exec, s[56:57]
	s_cbranch_vccnz .LBB103_235
; %bb.31:
	s_lshl_b64 s[52:53], s[62:63], 3
	s_add_u32 s3, s58, s52
	s_addc_u32 s53, s59, s53
	s_add_u32 s52, s3, -8
	s_addc_u32 s53, s53, -1
	s_cbranch_execnz .LBB103_33
.LBB103_32:
	s_add_u32 s52, s48, -8
	s_addc_u32 s53, s49, -1
.LBB103_33:
	v_mov_b64_e32 v[4:5], s[52:53]
	flat_load_dwordx2 v[4:5], v[4:5]
	s_movk_i32 s3, 0xff98
	v_mad_i32_i24 v3, v0, s3, v36
	v_cmp_ne_u32_e32 vcc, 0, v0
	s_waitcnt lgkmcnt(0)
	ds_write_b64 v3, v[60:61] offset:28672
	s_waitcnt lgkmcnt(0)
	s_barrier
	s_and_saveexec_b64 s[52:53], vcc
	s_cbranch_execz .LBB103_35
; %bb.34:
	v_mul_i32_i24_e32 v3, 0xffffff98, v0
	v_add_u32_e32 v3, v36, v3
	s_waitcnt vmcnt(0)
	ds_read_b64 v[4:5], v3 offset:28664
.LBB103_35:
	s_or_b64 exec, exec, s[52:53]
	v_mov_b32_e32 v3, 0
	s_waitcnt lgkmcnt(0)
	s_barrier
	s_waitcnt lgkmcnt(0)
                                        ; implicit-def: $vgpr6_vgpr7
	s_and_saveexec_b64 s[52:53], s[30:31]
	s_cbranch_execnz .LBB103_222
; %bb.36:
	s_or_b64 exec, exec, s[52:53]
                                        ; implicit-def: $vgpr8_vgpr9
	s_and_saveexec_b64 s[30:31], s[4:5]
	s_cbranch_execnz .LBB103_223
.LBB103_37:
	s_or_b64 exec, exec, s[30:31]
                                        ; implicit-def: $vgpr10_vgpr11
	s_and_saveexec_b64 s[4:5], s[6:7]
	s_cbranch_execnz .LBB103_224
.LBB103_38:
	s_or_b64 exec, exec, s[4:5]
                                        ; implicit-def: $vgpr12_vgpr13
	s_and_saveexec_b64 s[4:5], s[8:9]
	s_cbranch_execnz .LBB103_225
.LBB103_39:
	s_or_b64 exec, exec, s[4:5]
                                        ; implicit-def: $vgpr14_vgpr15
	s_and_saveexec_b64 s[4:5], s[10:11]
	s_cbranch_execnz .LBB103_226
.LBB103_40:
	s_or_b64 exec, exec, s[4:5]
                                        ; implicit-def: $vgpr16_vgpr17
	s_and_saveexec_b64 s[4:5], s[12:13]
	s_cbranch_execnz .LBB103_227
.LBB103_41:
	s_or_b64 exec, exec, s[4:5]
                                        ; implicit-def: $vgpr18_vgpr19
	s_and_saveexec_b64 s[4:5], s[14:15]
	s_cbranch_execnz .LBB103_228
.LBB103_42:
	s_or_b64 exec, exec, s[4:5]
                                        ; implicit-def: $vgpr20_vgpr21
	s_and_saveexec_b64 s[4:5], s[16:17]
	s_cbranch_execnz .LBB103_229
.LBB103_43:
	s_or_b64 exec, exec, s[4:5]
                                        ; implicit-def: $vgpr22_vgpr23
	s_and_saveexec_b64 s[4:5], s[18:19]
	s_cbranch_execnz .LBB103_230
.LBB103_44:
	s_or_b64 exec, exec, s[4:5]
                                        ; implicit-def: $vgpr24_vgpr25
	s_and_saveexec_b64 s[4:5], s[20:21]
	s_cbranch_execnz .LBB103_231
.LBB103_45:
	s_or_b64 exec, exec, s[4:5]
                                        ; implicit-def: $vgpr26_vgpr27
	s_and_saveexec_b64 s[4:5], s[22:23]
	s_cbranch_execnz .LBB103_232
.LBB103_46:
	s_or_b64 exec, exec, s[4:5]
                                        ; implicit-def: $vgpr28_vgpr29
	s_and_saveexec_b64 s[4:5], s[24:25]
	s_cbranch_execnz .LBB103_233
.LBB103_47:
	s_or_b64 exec, exec, s[4:5]
                                        ; implicit-def: $vgpr30_vgpr31
	s_and_saveexec_b64 s[4:5], s[26:27]
	s_cbranch_execnz .LBB103_234
.LBB103_48:
	s_or_b64 exec, exec, s[4:5]
                                        ; implicit-def: $vgpr32_vgpr33
	s_and_saveexec_b64 s[4:5], s[28:29]
	s_cbranch_execz .LBB103_50
.LBB103_49:
	v_lshlrev_b32_e32 v32, 3, v43
	v_mov_b32_e32 v33, 0
	v_lshl_add_u64 v[32:33], s[34:35], 0, v[32:33]
	flat_load_dwordx2 v[32:33], v[32:33]
.LBB103_50:
	s_or_b64 exec, exec, s[4:5]
	v_mul_u32_u24_e32 v37, 14, v0
	v_mov_b64_e32 v[78:79], 0
	s_waitcnt vmcnt(0) lgkmcnt(0)
	ds_write2st64_b64 v2, v[6:7], v[8:9] offset1:4
	ds_write2st64_b64 v2, v[10:11], v[12:13] offset0:8 offset1:12
	ds_write2st64_b64 v2, v[14:15], v[16:17] offset0:16 offset1:20
	;; [unrolled: 1-line block ×6, first 2 shown]
	v_cmp_gt_u32_e32 vcc, s43, v37
	s_mov_b64 s[10:11], 0
	s_mov_b64 s[6:7], 0
	s_mov_b32 s3, 0
	v_mov_b32_e32 v80, 0
	v_mov_b32_e32 v91, 0
	v_mov_b64_e32 v[46:47], v[78:79]
	v_mov_b32_e32 v90, 0
	v_mov_b64_e32 v[34:35], v[78:79]
	v_mov_b32_e32 v89, 0
	v_mov_b64_e32 v[42:43], v[78:79]
	v_mov_b32_e32 v88, 0
	v_mov_b64_e32 v[26:27], v[78:79]
	v_mov_b32_e32 v87, 0
	v_mov_b64_e32 v[38:39], v[78:79]
	v_mov_b32_e32 v86, 0
	v_mov_b64_e32 v[18:19], v[78:79]
	v_mov_b32_e32 v85, 0
	v_mov_b64_e32 v[30:31], v[78:79]
	v_mov_b32_e32 v84, 0
	v_mov_b64_e32 v[10:11], v[78:79]
	v_mov_b32_e32 v83, 0
	v_mov_b64_e32 v[22:23], v[78:79]
	v_mov_b32_e32 v81, 0
	v_mov_b64_e32 v[6:7], v[78:79]
	v_mov_b32_e32 v82, 0
	v_mov_b64_e32 v[14:15], v[78:79]
	v_mov_b32_e32 v1, 0
	v_mov_b64_e32 v[2:3], v[78:79]
	s_waitcnt lgkmcnt(0)
	s_barrier
	s_waitcnt lgkmcnt(0)
                                        ; implicit-def: $sgpr4_sgpr5
                                        ; implicit-def: $vgpr52_vgpr53
	s_and_saveexec_b64 s[8:9], vcc
	s_cbranch_execz .LBB103_76
; %bb.51:
	ds_read_b64 v[2:3], v36
	v_cmp_ne_u64_e32 vcc, v[4:5], v[74:75]
	v_or_b32_e32 v4, 1, v37
	v_mov_b64_e32 v[78:79], 0
	v_cndmask_b32_e64 v1, 0, 1, vcc
	v_cmp_gt_u32_e32 vcc, s43, v4
	s_mov_b64 s[12:13], 0
	s_mov_b64 s[4:5], 0
	v_mov_b32_e32 v80, 0
	v_mov_b32_e32 v91, 0
	v_mov_b64_e32 v[46:47], v[78:79]
	v_mov_b32_e32 v90, 0
	v_mov_b64_e32 v[34:35], v[78:79]
	;; [unrolled: 2-line block ×11, first 2 shown]
                                        ; implicit-def: $sgpr14_sgpr15
                                        ; implicit-def: $vgpr52_vgpr53
	s_and_saveexec_b64 s[10:11], vcc
	s_cbranch_execz .LBB103_75
; %bb.52:
	ds_read2_b64 v[14:17], v36 offset0:1 offset1:2
	v_cmp_ne_u64_e32 vcc, v[74:75], v[76:77]
	v_add_u32_e32 v4, 2, v37
	v_mov_b64_e32 v[78:79], 0
	v_cndmask_b32_e64 v82, 0, 1, vcc
	v_cmp_gt_u32_e32 vcc, s43, v4
	s_mov_b64 s[16:17], 0
	v_mov_b32_e32 v80, 0
	v_mov_b32_e32 v91, 0
	v_mov_b64_e32 v[46:47], v[78:79]
	v_mov_b32_e32 v90, 0
	v_mov_b64_e32 v[34:35], v[78:79]
	;; [unrolled: 2-line block ×10, first 2 shown]
                                        ; implicit-def: $sgpr14_sgpr15
                                        ; implicit-def: $vgpr52_vgpr53
	s_and_saveexec_b64 s[12:13], vcc
	s_cbranch_execz .LBB103_74
; %bb.53:
	v_cmp_ne_u64_e32 vcc, v[76:77], v[70:71]
	v_add_u32_e32 v4, 3, v37
	v_mov_b64_e32 v[78:79], 0
	s_waitcnt lgkmcnt(0)
	v_mov_b32_e32 v6, v16
	v_mov_b32_e32 v7, v17
	v_cndmask_b32_e64 v81, 0, 1, vcc
	v_cmp_gt_u32_e32 vcc, s43, v4
	v_mov_b32_e32 v80, 0
	v_mov_b32_e32 v91, 0
	v_mov_b64_e32 v[46:47], v[78:79]
	v_mov_b32_e32 v90, 0
	v_mov_b64_e32 v[34:35], v[78:79]
	;; [unrolled: 2-line block ×9, first 2 shown]
                                        ; implicit-def: $sgpr18_sgpr19
                                        ; implicit-def: $vgpr52_vgpr53
	s_and_saveexec_b64 s[14:15], vcc
	s_cbranch_execz .LBB103_73
; %bb.54:
	ds_read2_b64 v[22:25], v36 offset0:3 offset1:4
	v_cmp_ne_u64_e32 vcc, v[70:71], v[72:73]
	v_add_u32_e32 v4, 4, v37
	v_mov_b64_e32 v[78:79], 0
	v_cndmask_b32_e64 v83, 0, 1, vcc
	v_cmp_gt_u32_e32 vcc, s43, v4
	s_mov_b64 s[20:21], 0
	v_mov_b32_e32 v80, 0
	v_mov_b32_e32 v91, 0
	v_mov_b64_e32 v[46:47], v[78:79]
	v_mov_b32_e32 v90, 0
	v_mov_b64_e32 v[34:35], v[78:79]
	;; [unrolled: 2-line block ×8, first 2 shown]
                                        ; implicit-def: $sgpr18_sgpr19
                                        ; implicit-def: $vgpr52_vgpr53
	s_and_saveexec_b64 s[16:17], vcc
	s_cbranch_execz .LBB103_72
; %bb.55:
	v_cmp_ne_u64_e32 vcc, v[72:73], v[66:67]
	v_add_u32_e32 v4, 5, v37
	v_mov_b64_e32 v[78:79], 0
	s_waitcnt lgkmcnt(0)
	v_mov_b32_e32 v10, v24
	v_mov_b32_e32 v11, v25
	v_cndmask_b32_e64 v84, 0, 1, vcc
	v_cmp_gt_u32_e32 vcc, s43, v4
	v_mov_b32_e32 v80, 0
	v_mov_b32_e32 v91, 0
	v_mov_b64_e32 v[46:47], v[78:79]
	v_mov_b32_e32 v90, 0
	v_mov_b64_e32 v[34:35], v[78:79]
	;; [unrolled: 2-line block ×7, first 2 shown]
                                        ; implicit-def: $sgpr22_sgpr23
                                        ; implicit-def: $vgpr52_vgpr53
	s_and_saveexec_b64 s[18:19], vcc
	s_cbranch_execz .LBB103_71
; %bb.56:
	ds_read2_b64 v[30:33], v36 offset0:5 offset1:6
	v_cmp_ne_u64_e32 vcc, v[66:67], v[68:69]
	v_add_u32_e32 v4, 6, v37
	v_mov_b64_e32 v[78:79], 0
	v_cndmask_b32_e64 v85, 0, 1, vcc
	v_cmp_gt_u32_e32 vcc, s43, v4
	s_mov_b64 s[24:25], 0
	v_mov_b32_e32 v80, 0
	v_mov_b32_e32 v91, 0
	v_mov_b64_e32 v[46:47], v[78:79]
	v_mov_b32_e32 v90, 0
	v_mov_b64_e32 v[34:35], v[78:79]
	;; [unrolled: 2-line block ×6, first 2 shown]
                                        ; implicit-def: $sgpr22_sgpr23
                                        ; implicit-def: $vgpr52_vgpr53
	s_and_saveexec_b64 s[20:21], vcc
	s_cbranch_execz .LBB103_70
; %bb.57:
	v_cmp_ne_u64_e32 vcc, v[68:69], v[62:63]
	v_add_u32_e32 v4, 7, v37
	v_mov_b64_e32 v[78:79], 0
	s_waitcnt lgkmcnt(0)
	v_mov_b32_e32 v18, v32
	v_mov_b32_e32 v19, v33
	v_cndmask_b32_e64 v86, 0, 1, vcc
	v_cmp_gt_u32_e32 vcc, s43, v4
	v_mov_b32_e32 v80, 0
	v_mov_b32_e32 v91, 0
	v_mov_b64_e32 v[46:47], v[78:79]
	v_mov_b32_e32 v90, 0
	v_mov_b64_e32 v[34:35], v[78:79]
	;; [unrolled: 2-line block ×5, first 2 shown]
                                        ; implicit-def: $sgpr26_sgpr27
                                        ; implicit-def: $vgpr52_vgpr53
	s_and_saveexec_b64 s[22:23], vcc
	s_cbranch_execz .LBB103_69
; %bb.58:
	ds_read2_b64 v[38:41], v36 offset0:7 offset1:8
	v_cmp_ne_u64_e32 vcc, v[62:63], v[64:65]
	v_add_u32_e32 v4, 8, v37
	v_mov_b64_e32 v[78:79], 0
	v_cndmask_b32_e64 v87, 0, 1, vcc
	v_cmp_gt_u32_e32 vcc, s43, v4
	s_mov_b64 s[28:29], 0
	v_mov_b32_e32 v80, 0
	v_mov_b32_e32 v91, 0
	v_mov_b64_e32 v[46:47], v[78:79]
	v_mov_b32_e32 v90, 0
	v_mov_b64_e32 v[34:35], v[78:79]
	;; [unrolled: 2-line block ×4, first 2 shown]
                                        ; implicit-def: $sgpr26_sgpr27
                                        ; implicit-def: $vgpr52_vgpr53
	s_and_saveexec_b64 s[24:25], vcc
	s_cbranch_execz .LBB103_68
; %bb.59:
	v_cmp_ne_u64_e32 vcc, v[64:65], v[48:49]
	v_add_u32_e32 v4, 9, v37
	v_mov_b64_e32 v[78:79], 0
	s_waitcnt lgkmcnt(0)
	v_mov_b32_e32 v26, v40
	v_mov_b32_e32 v27, v41
	v_cndmask_b32_e64 v88, 0, 1, vcc
	v_cmp_gt_u32_e32 vcc, s43, v4
	v_mov_b32_e32 v80, 0
	v_mov_b32_e32 v91, 0
	v_mov_b64_e32 v[46:47], v[78:79]
	v_mov_b32_e32 v90, 0
	v_mov_b64_e32 v[34:35], v[78:79]
	;; [unrolled: 2-line block ×3, first 2 shown]
                                        ; implicit-def: $sgpr30_sgpr31
                                        ; implicit-def: $vgpr52_vgpr53
	s_and_saveexec_b64 s[26:27], vcc
	s_cbranch_execz .LBB103_67
; %bb.60:
	ds_read2_b64 v[42:45], v36 offset0:9 offset1:10
	v_cmp_ne_u64_e32 vcc, v[48:49], v[50:51]
	v_add_u32_e32 v4, 10, v37
	v_mov_b64_e32 v[78:79], 0
	v_cndmask_b32_e64 v89, 0, 1, vcc
	v_cmp_gt_u32_e32 vcc, s43, v4
	s_mov_b64 s[52:53], 0
	v_mov_b32_e32 v80, 0
	v_mov_b32_e32 v91, 0
	v_mov_b64_e32 v[46:47], v[78:79]
	v_mov_b32_e32 v90, 0
	v_mov_b64_e32 v[34:35], v[78:79]
                                        ; implicit-def: $sgpr30_sgpr31
                                        ; implicit-def: $vgpr52_vgpr53
	s_and_saveexec_b64 s[28:29], vcc
	s_cbranch_execz .LBB103_66
; %bb.61:
	v_cmp_ne_u64_e32 vcc, v[50:51], v[54:55]
	v_add_u32_e32 v4, 11, v37
	v_mov_b64_e32 v[78:79], 0
	s_waitcnt lgkmcnt(0)
	v_mov_b32_e32 v34, v44
	v_mov_b32_e32 v35, v45
	v_cndmask_b32_e64 v90, 0, 1, vcc
	v_cmp_gt_u32_e32 vcc, s43, v4
	v_mov_b32_e32 v80, 0
	v_mov_b32_e32 v91, 0
	v_mov_b64_e32 v[46:47], v[78:79]
                                        ; implicit-def: $sgpr64_sgpr65
                                        ; implicit-def: $vgpr52_vgpr53
	s_and_saveexec_b64 s[30:31], vcc
	s_cbranch_execz .LBB103_65
; %bb.62:
	ds_read2_b64 v[46:49], v36 offset0:11 offset1:12
	v_cmp_ne_u64_e32 vcc, v[54:55], v[56:57]
	v_add_u32_e32 v4, 12, v37
	v_mov_b32_e32 v80, 0
	v_cndmask_b32_e64 v91, 0, 1, vcc
	v_cmp_gt_u32_e32 vcc, s43, v4
	v_mov_b64_e32 v[78:79], 0
                                        ; implicit-def: $sgpr52_sgpr53
                                        ; implicit-def: $vgpr52_vgpr53
	s_and_saveexec_b64 s[64:65], vcc
	s_xor_b64 s[64:65], exec, s[64:65]
	s_cbranch_execz .LBB103_64
; %bb.63:
	ds_read_b64 v[52:53], v36 offset:104
	v_cmp_ne_u64_e64 s[4:5], v[56:57], v[58:59]
	v_add_u32_e32 v4, 13, v37
	v_cmp_ne_u64_e32 vcc, v[58:59], v[60:61]
	v_cndmask_b32_e64 v80, 0, 1, s[4:5]
	v_cmp_gt_u32_e64 s[4:5], s43, v4
	s_and_b64 s[52:53], vcc, exec
	s_and_b64 s[4:5], s[4:5], exec
	s_waitcnt lgkmcnt(1)
	v_mov_b64_e32 v[50:51], v[48:49]
	v_mov_b64_e32 v[78:79], v[48:49]
.LBB103_64:
	s_or_b64 exec, exec, s[64:65]
	s_and_b64 s[64:65], s[52:53], exec
	s_and_b64 s[52:53], s[4:5], exec
.LBB103_65:
	s_or_b64 exec, exec, s[30:31]
	s_and_b64 s[30:31], s[64:65], exec
	s_and_b64 s[4:5], s[52:53], exec
	s_waitcnt lgkmcnt(0)
	v_mov_b64_e32 v[36:37], v[46:47]
	v_mov_b64_e32 v[28:29], v[42:43]
	;; [unrolled: 1-line block ×6, first 2 shown]
.LBB103_66:
	s_or_b64 exec, exec, s[28:29]
	s_and_b64 s[30:31], s[30:31], exec
	s_and_b64 s[28:29], s[4:5], exec
.LBB103_67:
	s_or_b64 exec, exec, s[26:27]
	s_and_b64 s[26:27], s[30:31], exec
	s_and_b64 s[4:5], s[28:29], exec
.LBB103_68:
	s_or_b64 exec, exec, s[24:25]
	s_and_b64 s[26:27], s[26:27], exec
	s_and_b64 s[24:25], s[4:5], exec
.LBB103_69:
	s_or_b64 exec, exec, s[22:23]
	s_and_b64 s[22:23], s[26:27], exec
	s_and_b64 s[4:5], s[24:25], exec
.LBB103_70:
	s_or_b64 exec, exec, s[20:21]
	s_and_b64 s[22:23], s[22:23], exec
	s_and_b64 s[20:21], s[4:5], exec
.LBB103_71:
	s_or_b64 exec, exec, s[18:19]
	s_and_b64 s[18:19], s[22:23], exec
	s_and_b64 s[4:5], s[20:21], exec
.LBB103_72:
	s_or_b64 exec, exec, s[16:17]
	s_and_b64 s[18:19], s[18:19], exec
	s_and_b64 s[16:17], s[4:5], exec
.LBB103_73:
	s_or_b64 exec, exec, s[14:15]
	s_and_b64 s[14:15], s[18:19], exec
	s_and_b64 s[4:5], s[16:17], exec
.LBB103_74:
	s_or_b64 exec, exec, s[12:13]
	s_and_b64 s[14:15], s[14:15], exec
	s_and_b64 s[12:13], s[4:5], exec
.LBB103_75:
	s_or_b64 exec, exec, s[10:11]
	s_and_b64 s[4:5], s[14:15], exec
	s_and_b64 s[10:11], s[12:13], exec
.LBB103_76:
	s_or_b64 exec, exec, s[8:9]
	s_mov_b64 s[8:9], 0
	s_and_b64 vcc, exec, s[6:7]
	s_waitcnt lgkmcnt(0)
	v_lshlrev_b32_e32 v32, 3, v0
	s_cbranch_vccnz .LBB103_78
	s_branch .LBB103_86
.LBB103_77:
                                        ; implicit-def: $sgpr4_sgpr5
                                        ; implicit-def: $vgpr52_vgpr53
                                        ; implicit-def: $vgpr80
                                        ; implicit-def: $vgpr91
                                        ; implicit-def: $vgpr36_vgpr37
                                        ; implicit-def: $vgpr90
                                        ; implicit-def: $vgpr89
                                        ; implicit-def: $vgpr28_vgpr29
                                        ; implicit-def: $vgpr88
                                        ; implicit-def: $vgpr87
                                        ; implicit-def: $vgpr20_vgpr21
                                        ; implicit-def: $vgpr86
                                        ; implicit-def: $vgpr85
                                        ; implicit-def: $vgpr12_vgpr13
                                        ; implicit-def: $vgpr84
                                        ; implicit-def: $vgpr83
                                        ; implicit-def: $vgpr8_vgpr9
                                        ; implicit-def: $vgpr81
                                        ; implicit-def: $vgpr82
                                        ; implicit-def: $vgpr4_vgpr5
                                        ; implicit-def: $vgpr1
                                        ; implicit-def: $sgpr3
                                        ; implicit-def: $sgpr8_sgpr9
                                        ; implicit-def: $vgpr78_vgpr79
                                        ; implicit-def: $vgpr46_vgpr47
                                        ; implicit-def: $vgpr42_vgpr43
                                        ; implicit-def: $vgpr38_vgpr39
                                        ; implicit-def: $vgpr30_vgpr31
                                        ; implicit-def: $vgpr22_vgpr23
                                        ; implicit-def: $vgpr14_vgpr15
	s_and_b64 vcc, exec, s[6:7]
	v_lshlrev_b32_e32 v32, 3, v0
	s_cbranch_vccz .LBB103_86
.LBB103_78:
	v_mov_b32_e32 v33, 0
	v_lshl_add_u64 v[2:3], s[48:49], 0, v[32:33]
	v_add_co_u32_e32 v4, vcc, 0x1000, v2
	s_movk_i32 s3, 0x68
	s_nop 0
	v_addc_co_u32_e32 v5, vcc, 0, v3, vcc
	flat_load_dwordx2 v[6:7], v[2:3]
	flat_load_dwordx2 v[8:9], v[2:3] offset:2048
	flat_load_dwordx2 v[10:11], v[4:5]
	flat_load_dwordx2 v[12:13], v[4:5] offset:2048
	v_add_co_u32_e32 v4, vcc, 0x2000, v2
	v_mad_u32_u24 v1, v0, s3, v32
	s_nop 0
	v_addc_co_u32_e32 v5, vcc, 0, v3, vcc
	v_add_co_u32_e32 v14, vcc, 0x3000, v2
	s_cmp_eq_u64 s[62:63], 0
	s_nop 0
	v_addc_co_u32_e32 v15, vcc, 0, v3, vcc
	flat_load_dwordx2 v[16:17], v[4:5]
	flat_load_dwordx2 v[18:19], v[4:5] offset:2048
	flat_load_dwordx2 v[20:21], v[14:15]
	flat_load_dwordx2 v[22:23], v[14:15] offset:2048
	v_add_co_u32_e32 v4, vcc, 0x4000, v2
	s_nop 1
	v_addc_co_u32_e32 v5, vcc, 0, v3, vcc
	v_add_co_u32_e32 v14, vcc, 0x5000, v2
	s_nop 1
	v_addc_co_u32_e32 v15, vcc, 0, v3, vcc
	v_add_co_u32_e32 v2, vcc, 0x6000, v2
	flat_load_dwordx2 v[24:25], v[4:5]
	flat_load_dwordx2 v[26:27], v[4:5] offset:2048
	flat_load_dwordx2 v[28:29], v[14:15]
	flat_load_dwordx2 v[30:31], v[14:15] offset:2048
	v_addc_co_u32_e32 v3, vcc, 0, v3, vcc
	flat_load_dwordx2 v[4:5], v[2:3]
	flat_load_dwordx2 v[14:15], v[2:3] offset:2048
	s_waitcnt vmcnt(0) lgkmcnt(0)
	ds_write2st64_b64 v32, v[6:7], v[8:9] offset1:4
	ds_write2st64_b64 v32, v[10:11], v[12:13] offset0:8 offset1:12
	ds_write2st64_b64 v32, v[16:17], v[18:19] offset0:16 offset1:20
	;; [unrolled: 1-line block ×6, first 2 shown]
	s_waitcnt lgkmcnt(0)
	s_barrier
	ds_read_b128 v[14:17], v1
	ds_read_b128 v[2:5], v1 offset:16
	ds_read_b128 v[6:9], v1 offset:32
	;; [unrolled: 1-line block ×6, first 2 shown]
	s_cbranch_scc1 .LBB103_83
; %bb.79:
	s_andn2_b64 vcc, exec, s[56:57]
	s_cbranch_vccnz .LBB103_236
; %bb.80:
	s_lshl_b64 s[4:5], s[62:63], 3
	s_add_u32 s3, s58, s4
	s_addc_u32 s5, s59, s5
	s_add_u32 s4, s3, -8
	s_addc_u32 s5, s5, -1
	s_cbranch_execnz .LBB103_82
.LBB103_81:
	s_add_u32 s4, s48, -8
	s_addc_u32 s5, s49, -1
.LBB103_82:
	s_mov_b64 s[48:49], s[4:5]
.LBB103_83:
	v_mov_b64_e32 v[30:31], s[48:49]
	flat_load_dwordx2 v[30:31], v[30:31]
	s_movk_i32 s3, 0xff98
	v_mad_i32_i24 v33, v0, s3, v1
	v_cmp_ne_u32_e32 vcc, 0, v0
	s_waitcnt lgkmcnt(0)
	ds_write_b64 v33, v[28:29] offset:28672
	s_waitcnt lgkmcnt(0)
	s_barrier
	s_and_saveexec_b64 s[4:5], vcc
	s_cbranch_execz .LBB103_85
; %bb.84:
	s_waitcnt vmcnt(0)
	v_mul_i32_i24_e32 v30, 0xffffff98, v0
	v_add_u32_e32 v30, v1, v30
	ds_read_b64 v[30:31], v30 offset:28664
.LBB103_85:
	s_or_b64 exec, exec, s[4:5]
	v_mov_b32_e32 v33, 0
	v_lshl_add_u64 v[34:35], s[34:35], 0, v[32:33]
	s_movk_i32 s3, 0x1000
	v_add_co_u32_e32 v36, vcc, s3, v34
	s_movk_i32 s3, 0x2000
	s_nop 0
	v_addc_co_u32_e32 v37, vcc, 0, v35, vcc
	s_waitcnt lgkmcnt(0)
	s_barrier
	flat_load_dwordx2 v[38:39], v[34:35]
	flat_load_dwordx2 v[40:41], v[34:35] offset:2048
	flat_load_dwordx2 v[42:43], v[36:37]
	flat_load_dwordx2 v[44:45], v[36:37] offset:2048
	v_add_co_u32_e32 v36, vcc, s3, v34
	s_movk_i32 s3, 0x3000
	s_nop 0
	v_addc_co_u32_e32 v37, vcc, 0, v35, vcc
	v_add_co_u32_e32 v46, vcc, s3, v34
	s_movk_i32 s3, 0x4000
	s_nop 0
	v_addc_co_u32_e32 v47, vcc, 0, v35, vcc
	flat_load_dwordx2 v[48:49], v[36:37]
	flat_load_dwordx2 v[50:51], v[36:37] offset:2048
	flat_load_dwordx2 v[52:53], v[46:47]
	flat_load_dwordx2 v[54:55], v[46:47] offset:2048
	v_add_co_u32_e32 v36, vcc, s3, v34
	s_movk_i32 s3, 0x5000
	s_nop 0
	v_addc_co_u32_e32 v37, vcc, 0, v35, vcc
	v_add_co_u32_e32 v46, vcc, s3, v34
	s_movk_i32 s3, 0x6000
	s_nop 0
	v_addc_co_u32_e32 v47, vcc, 0, v35, vcc
	v_add_co_u32_e32 v34, vcc, s3, v34
	flat_load_dwordx2 v[56:57], v[36:37]
	flat_load_dwordx2 v[58:59], v[36:37] offset:2048
	flat_load_dwordx2 v[60:61], v[46:47]
	flat_load_dwordx2 v[62:63], v[46:47] offset:2048
	v_addc_co_u32_e32 v35, vcc, 0, v35, vcc
	flat_load_dwordx2 v[36:37], v[34:35]
	flat_load_dwordx2 v[46:47], v[34:35] offset:2048
	v_cmp_ne_u64_e32 vcc, v[24:25], v[26:27]
	v_cmp_ne_u64_e64 s[4:5], v[26:27], v[28:29]
	s_mov_b64 s[10:11], -1
	v_cndmask_b32_e64 v80, 0, 1, vcc
	v_cmp_ne_u64_e32 vcc, v[22:23], v[24:25]
                                        ; implicit-def: $sgpr3
                                        ; implicit-def: $sgpr8_sgpr9
                                        ; implicit-def: $vgpr78_vgpr79
	s_waitcnt vmcnt(0) lgkmcnt(0)
	ds_write2st64_b64 v32, v[38:39], v[40:41] offset1:4
	ds_write2st64_b64 v32, v[42:43], v[44:45] offset0:8 offset1:12
	ds_write2st64_b64 v32, v[48:49], v[50:51] offset0:16 offset1:20
	;; [unrolled: 1-line block ×6, first 2 shown]
	v_cndmask_b32_e64 v91, 0, 1, vcc
	v_cmp_ne_u64_e32 vcc, v[20:21], v[22:23]
	s_waitcnt lgkmcnt(0)
	s_barrier
	v_cndmask_b32_e64 v90, 0, 1, vcc
	v_cmp_ne_u64_e32 vcc, v[18:19], v[20:21]
	s_waitcnt lgkmcnt(0)
                                        ; implicit-def: $vgpr46_vgpr47
                                        ; implicit-def: $vgpr42_vgpr43
                                        ; implicit-def: $vgpr38_vgpr39
                                        ; implicit-def: $vgpr22_vgpr23
	s_nop 0
	v_cndmask_b32_e64 v89, 0, 1, vcc
	v_cmp_ne_u64_e32 vcc, v[12:13], v[18:19]
	s_nop 1
	v_cndmask_b32_e64 v88, 0, 1, vcc
	v_cmp_ne_u64_e32 vcc, v[10:11], v[12:13]
	s_nop 1
	v_cndmask_b32_e64 v87, 0, 1, vcc
	v_cmp_ne_u64_e32 vcc, v[8:9], v[10:11]
	s_nop 1
	v_cndmask_b32_e64 v86, 0, 1, vcc
	v_cmp_ne_u64_e32 vcc, v[6:7], v[8:9]
	s_nop 1
	v_cndmask_b32_e64 v85, 0, 1, vcc
	v_cmp_ne_u64_e32 vcc, v[4:5], v[6:7]
	s_nop 1
	v_cndmask_b32_e64 v84, 0, 1, vcc
	v_cmp_ne_u64_e32 vcc, v[2:3], v[4:5]
	s_nop 1
	v_cndmask_b32_e64 v83, 0, 1, vcc
	v_cmp_ne_u64_e32 vcc, v[16:17], v[2:3]
	ds_read_b128 v[2:5], v1
	ds_read_b128 v[6:9], v1 offset:16
	ds_read_b128 v[10:13], v1 offset:32
	;; [unrolled: 1-line block ×6, first 2 shown]
	v_cndmask_b32_e64 v81, 0, 1, vcc
	v_cmp_ne_u64_e32 vcc, v[14:15], v[16:17]
	s_nop 1
	v_cndmask_b32_e64 v82, 0, 1, vcc
	v_cmp_ne_u64_e32 vcc, v[30:31], v[14:15]
                                        ; implicit-def: $vgpr30_vgpr31
                                        ; implicit-def: $vgpr14_vgpr15
	s_nop 1
	v_cndmask_b32_e64 v1, 0, 1, vcc
.LBB103_86:
	v_mov_b64_e32 v[16:17], s[8:9]
	v_mov_b32_e32 v33, s3
	s_and_saveexec_b64 s[6:7], s[10:11]
	s_cbranch_execz .LBB103_88
; %bb.87:
	v_cndmask_b32_e64 v33, 0, 1, s[4:5]
	s_waitcnt lgkmcnt(6)
	v_mov_b64_e32 v[14:15], v[4:5]
	s_waitcnt lgkmcnt(5)
	v_mov_b64_e32 v[22:23], v[8:9]
	;; [unrolled: 2-line block ×7, first 2 shown]
	v_mov_b64_e32 v[16:17], v[52:53]
.LBB103_88:
	s_or_b64 exec, exec, s[6:7]
	s_waitcnt lgkmcnt(6)
	v_or_b32_e32 v4, v33, v80
	s_cmp_lg_u32 s2, 0
	s_waitcnt lgkmcnt(2)
	v_or_b32_e32 v29, v4, v91
	v_mbcnt_lo_u32_b32 v28, -1, 0
	s_waitcnt lgkmcnt(0)
	s_barrier
	s_cbranch_scc0 .LBB103_159
; %bb.89:
	v_mov_b32_e32 v8, 0
	v_cmp_eq_u16_sdwa s[30:31], v82, v8 src0_sel:BYTE_0 src1_sel:DWORD
	v_cmp_eq_u16_sdwa s[4:5], v81, v8 src0_sel:BYTE_0 src1_sel:DWORD
	v_cmp_eq_u16_sdwa s[6:7], v83, v8 src0_sel:BYTE_0 src1_sel:DWORD
	v_cndmask_b32_e64 v5, 0, v3, s[30:31]
	v_cndmask_b32_e64 v4, 0, v2, s[30:31]
	v_lshl_add_u64 v[4:5], v[4:5], 0, v[14:15]
	v_cndmask_b32_e64 v5, 0, v5, s[4:5]
	v_cndmask_b32_e64 v4, 0, v4, s[4:5]
	v_lshl_add_u64 v[4:5], v[4:5], 0, v[6:7]
	v_cndmask_b32_e64 v5, 0, v5, s[6:7]
	v_cndmask_b32_e64 v4, 0, v4, s[6:7]
	v_lshl_add_u64 v[4:5], v[4:5], 0, v[22:23]
	v_cmp_eq_u16_sdwa s[8:9], v84, v8 src0_sel:BYTE_0 src1_sel:DWORD
	v_cmp_eq_u16_sdwa s[10:11], v85, v8 src0_sel:BYTE_0 src1_sel:DWORD
	v_cmp_eq_u16_sdwa s[12:13], v86, v8 src0_sel:BYTE_0 src1_sel:DWORD
	v_cndmask_b32_e64 v5, 0, v5, s[8:9]
	v_cndmask_b32_e64 v4, 0, v4, s[8:9]
	v_lshl_add_u64 v[4:5], v[4:5], 0, v[10:11]
	v_cndmask_b32_e64 v5, 0, v5, s[10:11]
	v_cndmask_b32_e64 v4, 0, v4, s[10:11]
	v_lshl_add_u64 v[4:5], v[4:5], 0, v[30:31]
	v_cndmask_b32_e64 v5, 0, v5, s[12:13]
	v_cndmask_b32_e64 v4, 0, v4, s[12:13]
	v_lshl_add_u64 v[4:5], v[4:5], 0, v[18:19]
	;; [unrolled: 12-line block ×4, first 2 shown]
	v_cmp_eq_u16_sdwa s[26:27], v33, v8 src0_sel:BYTE_0 src1_sel:DWORD
	v_and_b32_e32 v12, 0xff, v1
	v_mbcnt_hi_u32_b32 v44, -1, v28
	v_cndmask_b32_e64 v5, 0, v5, s[26:27]
	v_cndmask_b32_e64 v4, 0, v4, s[26:27]
	v_lshl_add_u64 v[8:9], v[4:5], 0, v[16:17]
	v_or_b32_e32 v4, v29, v90
	v_or_b32_e32 v4, v4, v89
	;; [unrolled: 1-line block ×10, first 2 shown]
	v_and_b32_e32 v4, 1, v4
	v_cmp_eq_u32_e32 vcc, 1, v4
	v_and_b32_e32 v4, 15, v44
	v_mov_b32_dpp v13, v8 row_shr:1 row_mask:0xf bank_mask:0xf
	v_cndmask_b32_e64 v12, v12, 1, vcc
	v_mov_b32_dpp v20, v9 row_shr:1 row_mask:0xf bank_mask:0xf
	v_cmp_ne_u32_e32 vcc, 0, v4
	v_mov_b32_dpp v5, v12 row_shr:1 row_mask:0xf bank_mask:0xf
	s_and_saveexec_b64 s[28:29], vcc
; %bb.90:
	v_cmp_eq_u32_e32 vcc, 0, v12
	v_and_or_b32 v12, v5, 1, v12
	s_nop 0
	v_cndmask_b32_e32 v21, 0, v20, vcc
	v_cndmask_b32_e32 v20, 0, v13, vcc
	v_lshl_add_u64 v[8:9], v[20:21], 0, v[8:9]
; %bb.91:
	s_or_b64 exec, exec, s[28:29]
	s_nop 0
	v_mov_b32_dpp v13, v8 row_shr:2 row_mask:0xf bank_mask:0xf
	v_mov_b32_dpp v20, v9 row_shr:2 row_mask:0xf bank_mask:0xf
	v_mov_b32_dpp v5, v12 row_shr:2 row_mask:0xf bank_mask:0xf
	v_cmp_lt_u32_e32 vcc, 1, v4
	s_and_saveexec_b64 s[28:29], vcc
; %bb.92:
	v_cmp_eq_u32_e32 vcc, 0, v12
	v_or_b32_e32 v5, v5, v12
	v_and_b32_e32 v12, 1, v5
	v_cndmask_b32_e32 v21, 0, v20, vcc
	v_cndmask_b32_e32 v20, 0, v13, vcc
	v_lshl_add_u64 v[8:9], v[20:21], 0, v[8:9]
; %bb.93:
	s_or_b64 exec, exec, s[28:29]
	s_nop 0
	v_mov_b32_dpp v13, v8 row_shr:4 row_mask:0xf bank_mask:0xf
	v_mov_b32_dpp v20, v9 row_shr:4 row_mask:0xf bank_mask:0xf
	v_mov_b32_dpp v5, v12 row_shr:4 row_mask:0xf bank_mask:0xf
	v_cmp_lt_u32_e32 vcc, 3, v4
	s_and_saveexec_b64 s[28:29], vcc
; %bb.94:
	v_cmp_eq_u32_e32 vcc, 0, v12
	v_or_b32_e32 v5, v5, v12
	v_and_b32_e32 v12, 1, v5
	;; [unrolled: 15-line block ×3, first 2 shown]
	v_cndmask_b32_e32 v21, 0, v20, vcc
	v_cndmask_b32_e32 v20, 0, v13, vcc
	v_lshl_add_u64 v[8:9], v[20:21], 0, v[8:9]
; %bb.97:
	s_or_b64 exec, exec, s[28:29]
	v_and_b32_e32 v20, 16, v44
	v_mov_b32_dpp v5, v8 row_bcast:15 row_mask:0xf bank_mask:0xf
	v_mov_b32_dpp v13, v9 row_bcast:15 row_mask:0xf bank_mask:0xf
	;; [unrolled: 1-line block ×3, first 2 shown]
	v_cmp_ne_u32_e32 vcc, 0, v20
	s_and_saveexec_b64 s[28:29], vcc
; %bb.98:
	v_cmp_eq_u32_e32 vcc, 0, v12
	v_or_b32_e32 v4, v4, v12
	v_and_b32_e32 v12, 1, v4
	v_cndmask_b32_e32 v21, 0, v13, vcc
	v_cndmask_b32_e32 v20, 0, v5, vcc
	v_lshl_add_u64 v[8:9], v[20:21], 0, v[8:9]
; %bb.99:
	s_or_b64 exec, exec, s[28:29]
	s_nop 0
	v_mov_b32_dpp v13, v8 row_bcast:31 row_mask:0xf bank_mask:0xf
	v_mov_b32_dpp v20, v9 row_bcast:31 row_mask:0xf bank_mask:0xf
	;; [unrolled: 1-line block ×3, first 2 shown]
	v_cmp_lt_u32_e32 vcc, 31, v44
	v_mov_b32_e32 v4, v12
	s_and_saveexec_b64 s[28:29], vcc
; %bb.100:
	v_cmp_eq_u32_e32 vcc, 0, v12
	v_or_b32_e32 v5, v5, v12
	v_and_b32_e32 v4, 1, v5
	v_cndmask_b32_e32 v21, 0, v20, vcc
	v_cndmask_b32_e32 v20, 0, v13, vcc
	v_lshl_add_u64 v[8:9], v[20:21], 0, v[8:9]
	v_and_b32_e32 v12, 1, v5
; %bb.101:
	s_or_b64 exec, exec, s[28:29]
	v_or_b32_e32 v5, 63, v0
	v_lshrrev_b32_e32 v13, 6, v0
	v_cmp_eq_u32_e32 vcc, v5, v0
	s_and_saveexec_b64 s[28:29], vcc
	s_cbranch_execz .LBB103_103
; %bb.102:
	v_lshlrev_b32_e32 v5, 4, v13
	ds_write_b64 v5, v[8:9]
	ds_write_b8 v5, v4 offset:8
.LBB103_103:
	s_or_b64 exec, exec, s[28:29]
	v_cmp_gt_u32_e32 vcc, 4, v0
	s_waitcnt lgkmcnt(0)
	s_barrier
	s_and_saveexec_b64 s[34:35], vcc
	s_cbranch_execz .LBB103_109
; %bb.104:
	v_lshlrev_b32_e32 v20, 4, v0
	ds_read_b64 v[4:5], v20
	ds_read_b32 v21, v20 offset:8
	v_and_b32_e32 v24, 3, v44
	v_cmp_ne_u32_e32 vcc, 0, v24
	s_waitcnt lgkmcnt(1)
	v_mov_b32_dpp v40, v4 row_shr:1 row_mask:0xf bank_mask:0xf
	v_mov_b32_dpp v41, v5 row_shr:1 row_mask:0xf bank_mask:0xf
	s_waitcnt lgkmcnt(0)
	v_mov_b32_dpp v37, v21 row_shr:1 row_mask:0xf bank_mask:0xf
	v_mov_b32_e32 v25, v21
	v_mov_b32_e32 v36, v21
	s_and_saveexec_b64 s[28:29], vcc
; %bb.105:
	v_mov_b32_e32 v25, 0
	v_cmp_eq_u16_sdwa vcc, v21, v25 src0_sel:BYTE_0 src1_sel:DWORD
	v_or_b32_e32 v36, v37, v21
	v_and_b32_e32 v25, 1, v36
	v_cndmask_b32_e32 v41, 0, v41, vcc
	v_cndmask_b32_e32 v40, 0, v40, vcc
	v_and_b32_e32 v36, 1, v36
	s_movk_i32 s3, 0xff00
	v_lshl_add_u64 v[4:5], v[40:41], 0, v[4:5]
	v_and_or_b32 v21, v21, s3, v36
; %bb.106:
	s_or_b64 exec, exec, s[28:29]
	v_mov_b32_dpp v37, v4 row_shr:2 row_mask:0xf bank_mask:0xf
	v_mov_b32_dpp v40, v5 row_shr:2 row_mask:0xf bank_mask:0xf
	;; [unrolled: 1-line block ×3, first 2 shown]
	v_cmp_lt_u32_e32 vcc, 1, v24
	s_and_saveexec_b64 s[48:49], vcc
; %bb.107:
	v_mov_b32_e32 v24, 0
	v_cmp_eq_u16_sdwa vcc, v36, v24 src0_sel:BYTE_0 src1_sel:DWORD
	v_and_b32_e32 v21, 1, v21
	v_cmp_eq_u32_e64 s[28:29], 1, v21
	v_cndmask_b32_e32 v25, 0, v40, vcc
	v_cndmask_b32_e32 v24, 0, v37, vcc
	v_lshl_add_u64 v[4:5], v[24:25], 0, v[4:5]
	v_and_b32_e32 v24, 1, v36
	v_cmp_eq_u32_e32 vcc, 1, v24
	s_or_b64 s[28:29], vcc, s[28:29]
	v_cndmask_b32_e64 v25, 0, 1, s[28:29]
; %bb.108:
	s_or_b64 exec, exec, s[48:49]
	ds_write_b64 v20, v[4:5]
	ds_write_b8 v20, v25 offset:8
.LBB103_109:
	s_or_b64 exec, exec, s[34:35]
	v_cmp_gt_u32_e32 vcc, 64, v0
	v_cmp_lt_u32_e64 s[28:29], 63, v0
	v_mov_b32_e32 v36, 0
	v_mov_b64_e32 v[4:5], 0
	s_waitcnt lgkmcnt(0)
	s_barrier
	s_and_saveexec_b64 s[34:35], s[28:29]
	s_cbranch_execz .LBB103_111
; %bb.110:
	v_lshl_add_u32 v13, v13, 4, -16
	ds_read_b64 v[4:5], v13
	ds_read_u8 v36, v13 offset:8
	v_and_b32_e32 v20, 1, v12
	v_cmp_eq_u32_e64 s[28:29], 0, v12
	s_waitcnt lgkmcnt(1)
	s_nop 0
	v_cndmask_b32_e64 v13, 0, v5, s[28:29]
	v_cndmask_b32_e64 v12, 0, v4, s[28:29]
	v_cmp_eq_u32_e64 s[28:29], 1, v20
	v_lshl_add_u64 v[8:9], v[12:13], 0, v[8:9]
	s_waitcnt lgkmcnt(0)
	v_cndmask_b32_e64 v12, v36, 1, s[28:29]
.LBB103_111:
	s_or_b64 exec, exec, s[34:35]
	v_add_u32_e32 v13, -1, v44
	v_and_b32_e32 v20, 64, v44
	v_cmp_lt_i32_e64 s[28:29], v13, v20
	s_nop 1
	v_cndmask_b32_e64 v13, v13, v44, s[28:29]
	v_lshlrev_b32_e32 v13, 2, v13
	ds_bpermute_b32 v37, v13, v8
	ds_bpermute_b32 v40, v13, v9
	ds_bpermute_b32 v41, v13, v12
	v_cmp_eq_u32_e64 s[28:29], 0, v44
	s_and_saveexec_b64 s[48:49], vcc
	s_cbranch_execz .LBB103_158
; %bb.112:
	v_mov_b32_e32 v13, 0
	ds_read2_b64 v[48:51], v13 offset0:6 offset1:7
	s_and_saveexec_b64 s[34:35], s[28:29]
	s_cbranch_execz .LBB103_114
; %bb.113:
	s_add_i32 s52, s2, 64
	s_mov_b32 s53, 0
	s_lshl_b64 s[56:57], s[52:53], 4
	s_add_u32 s56, s36, s56
	s_addc_u32 s57, s37, s57
	v_mov_b32_e32 v8, s52
	v_mov_b32_e32 v9, 1
	s_waitcnt lgkmcnt(0)
	global_store_dword v13, v48, s[56:57] sc1
	global_store_dword v13, v49, s[56:57] offset:4 sc1
	global_store_dword v13, v50, s[56:57] offset:8 sc1
	;; [unrolled: 1-line block ×3, first 2 shown]
	s_waitcnt vmcnt(0)
	global_store_byte v8, v9, s[40:41] sc1
.LBB103_114:
	s_or_b64 exec, exec, s[34:35]
	v_xad_u32 v8, v44, -1, s2
	v_add_u32_e32 v12, 64, v8
	global_load_ubyte v45, v12, s[40:41] sc1
	s_waitcnt vmcnt(0)
	v_cmp_eq_u16_e32 vcc, 0, v45
	s_and_saveexec_b64 s[34:35], vcc
	s_cbranch_execz .LBB103_120
; %bb.115:
	v_lshl_add_u64 v[20:21], s[40:41], 0, v[12:13]
	s_mov_b32 s3, 1
	s_mov_b64 s[52:53], 0
.LBB103_116:                            ; =>This Loop Header: Depth=1
                                        ;     Child Loop BB103_117 Depth 2
	s_max_u32 s43, s3, 1
.LBB103_117:                            ;   Parent Loop BB103_116 Depth=1
                                        ; =>  This Inner Loop Header: Depth=2
	s_add_i32 s43, s43, -1
	s_cmp_eq_u32 s43, 0
	s_sleep 1
	s_cbranch_scc0 .LBB103_117
; %bb.118:                              ;   in Loop: Header=BB103_116 Depth=1
	global_load_ubyte v45, v[20:21], off sc1
	s_cmp_lt_u32 s3, 32
	s_cselect_b64 s[56:57], -1, 0
	s_cmp_lg_u64 s[56:57], 0
	s_addc_u32 s3, s3, 0
	s_waitcnt vmcnt(0)
	v_cmp_ne_u16_e32 vcc, 0, v45
	s_or_b64 s[52:53], vcc, s[52:53]
	s_andn2_b64 exec, exec, s[52:53]
	s_cbranch_execnz .LBB103_116
; %bb.119:
	s_or_b64 exec, exec, s[52:53]
.LBB103_120:
	s_or_b64 exec, exec, s[34:35]
	v_mov_b32_e32 v9, s39
	v_mov_b32_e32 v20, s37
	v_cmp_eq_u16_e32 vcc, 1, v45
	s_waitcnt vmcnt(0) lgkmcnt(0)
	s_nop 0
	v_cndmask_b32_e32 v21, v9, v20, vcc
	v_mov_b32_e32 v9, s38
	v_mov_b32_e32 v20, s36
	v_cndmask_b32_e32 v20, v9, v20, vcc
	v_lshl_add_u64 v[12:13], v[12:13], 4, v[20:21]
	global_load_dword v24, v[12:13], off sc1
	global_load_dword v25, v[12:13], off offset:4 sc1
	global_load_dword v64, v[12:13], off offset:8 sc1
	;; [unrolled: 1-line block ×3, first 2 shown]
	v_cmp_eq_u16_e32 vcc, 2, v45
	v_lshlrev_b64 v[12:13], v44, -1
	v_and_b32_e32 v51, 63, v44
	s_waitcnt vmcnt(0)
	v_and_b32_e32 v9, vcc_hi, v13
	v_and_b32_e32 v55, vcc_lo, v12
	v_cmp_ne_u32_e32 vcc, 63, v51
	v_or_b32_e32 v9, 0x80000000, v9
	v_ffbl_b32_e32 v9, v9
	v_addc_co_u32_e32 v20, vcc, 0, v44, vcc
	v_lshlrev_b32_e32 v52, 2, v20
	v_add_u32_e32 v9, 32, v9
	v_ffbl_b32_e32 v55, v55
	v_min_u32_e32 v9, v55, v9
	v_cmp_lt_u32_e32 vcc, v51, v9
	ds_bpermute_b32 v53, v52, v24
	ds_bpermute_b32 v54, v52, v25
	v_and_b32_e32 v20, 0xff, v64
	ds_bpermute_b32 v21, v52, v20
	s_and_saveexec_b64 s[34:35], vcc
	s_cbranch_execz .LBB103_122
; %bb.121:
	v_mov_b32_e32 v20, 0
	v_cmp_eq_u16_sdwa vcc, v64, v20 src0_sel:BYTE_0 src1_sel:DWORD
	s_waitcnt lgkmcnt(0)
	v_or_b32_e32 v20, v21, v64
	v_and_b32_e32 v64, 1, v20
	v_cndmask_b32_e32 v55, 0, v54, vcc
	v_cndmask_b32_e32 v54, 0, v53, vcc
	v_lshl_add_u64 v[24:25], v[54:55], 0, v[24:25]
	v_and_b32_e32 v20, 1, v20
.LBB103_122:
	s_or_b64 exec, exec, s[34:35]
	v_cmp_gt_u32_e32 vcc, 62, v51
	s_waitcnt lgkmcnt(1)
	v_add_u32_e32 v54, 2, v51
	s_waitcnt lgkmcnt(0)
	v_cndmask_b32_e64 v21, 0, 1, vcc
	v_lshlrev_b32_e32 v21, 1, v21
	v_add_lshl_u32 v53, v21, v44, 2
	ds_bpermute_b32 v55, v53, v24
	ds_bpermute_b32 v56, v53, v25
	ds_bpermute_b32 v21, v53, v20
	v_cmp_le_u32_e32 vcc, v54, v9
	s_and_saveexec_b64 s[52:53], vcc
	s_cbranch_execz .LBB103_124
; %bb.123:
	v_mov_b32_e32 v20, 0
	v_cmp_eq_u16_sdwa vcc, v64, v20 src0_sel:BYTE_0 src1_sel:DWORD
	v_and_b32_e32 v20, 1, v64
	s_waitcnt lgkmcnt(1)
	v_cndmask_b32_e32 v57, 0, v56, vcc
	v_cndmask_b32_e32 v56, 0, v55, vcc
	v_cmp_eq_u32_e32 vcc, 1, v20
	s_waitcnt lgkmcnt(0)
	v_and_b32_e32 v20, 1, v21
	v_cmp_eq_u32_e64 s[34:35], 1, v20
	s_or_b64 s[34:35], vcc, s[34:35]
	v_lshl_add_u64 v[24:25], v[56:57], 0, v[24:25]
	v_cndmask_b32_e64 v64, 0, 1, s[34:35]
	v_cndmask_b32_e64 v20, 0, 1, s[34:35]
.LBB103_124:
	s_or_b64 exec, exec, s[52:53]
	v_cmp_gt_u32_e32 vcc, 60, v51
	s_waitcnt lgkmcnt(1)
	v_add_u32_e32 v56, 4, v51
	s_waitcnt lgkmcnt(0)
	v_cndmask_b32_e64 v21, 0, 1, vcc
	v_lshlrev_b32_e32 v21, 2, v21
	v_add_lshl_u32 v55, v21, v44, 2
	ds_bpermute_b32 v57, v55, v24
	ds_bpermute_b32 v58, v55, v25
	ds_bpermute_b32 v21, v55, v20
	v_cmp_le_u32_e32 vcc, v56, v9
	s_and_saveexec_b64 s[52:53], vcc
	s_cbranch_execz .LBB103_126
; %bb.125:
	v_mov_b32_e32 v20, 0
	v_cmp_eq_u16_sdwa vcc, v64, v20 src0_sel:BYTE_0 src1_sel:DWORD
	v_and_b32_e32 v20, 1, v64
	s_waitcnt lgkmcnt(1)
	v_cndmask_b32_e32 v59, 0, v58, vcc
	v_cndmask_b32_e32 v58, 0, v57, vcc
	v_cmp_eq_u32_e32 vcc, 1, v20
	s_waitcnt lgkmcnt(0)
	v_and_b32_e32 v20, 1, v21
	v_cmp_eq_u32_e64 s[34:35], 1, v20
	s_or_b64 s[34:35], vcc, s[34:35]
	v_lshl_add_u64 v[24:25], v[58:59], 0, v[24:25]
	v_cndmask_b32_e64 v64, 0, 1, s[34:35]
	v_cndmask_b32_e64 v20, 0, 1, s[34:35]
.LBB103_126:
	;; [unrolled: 30-line block ×4, first 2 shown]
	s_or_b64 exec, exec, s[52:53]
	v_cmp_gt_u32_e32 vcc, 32, v51
	s_waitcnt lgkmcnt(1)
	v_add_u32_e32 v62, 32, v51
	s_waitcnt lgkmcnt(0)
	v_cndmask_b32_e64 v21, 0, 1, vcc
	v_lshlrev_b32_e32 v21, 5, v21
	v_add_lshl_u32 v61, v21, v44, 2
	ds_bpermute_b32 v21, v61, v24
	ds_bpermute_b32 v44, v61, v25
	ds_bpermute_b32 v20, v61, v20
	v_cmp_le_u32_e32 vcc, v62, v9
	s_and_saveexec_b64 s[52:53], vcc
	s_cbranch_execz .LBB103_132
; %bb.131:
	v_mov_b32_e32 v9, 0
	v_cmp_eq_u16_sdwa vcc, v64, v9 src0_sel:BYTE_0 src1_sel:DWORD
	v_and_b32_e32 v9, 1, v64
	s_waitcnt lgkmcnt(1)
	v_cndmask_b32_e32 v67, 0, v44, vcc
	v_cndmask_b32_e32 v66, 0, v21, vcc
	v_cmp_eq_u32_e32 vcc, 1, v9
	s_waitcnt lgkmcnt(0)
	v_and_b32_e32 v9, 1, v20
	v_cmp_eq_u32_e64 s[34:35], 1, v9
	s_or_b64 s[34:35], vcc, s[34:35]
	v_lshl_add_u64 v[24:25], v[66:67], 0, v[24:25]
	v_cndmask_b32_e64 v64, 0, 1, s[34:35]
.LBB103_132:
	s_or_b64 exec, exec, s[52:53]
	v_mov_b32_e32 v9, 0
	v_mov_b32_e32 v63, 2
	s_branch .LBB103_134
.LBB103_133:                            ;   in Loop: Header=BB103_134 Depth=1
	s_or_b64 exec, exec, s[56:57]
	v_cmp_eq_u16_sdwa vcc, v44, v9 src0_sel:BYTE_0 src1_sel:DWORD
	v_and_b32_e32 v64, 1, v44
	v_subrev_u32_e32 v8, 64, v8
	v_cndmask_b32_e32 v25, 0, v25, vcc
	v_cndmask_b32_e32 v24, 0, v24, vcc
	v_cmp_eq_u32_e32 vcc, 1, v64
	s_or_b64 s[34:35], vcc, s[52:53]
	v_lshl_add_u64 v[24:25], v[24:25], 0, v[20:21]
	v_cndmask_b32_e64 v64, 0, 1, s[34:35]
.LBB103_134:                            ; =>This Loop Header: Depth=1
                                        ;     Child Loop BB103_137 Depth 2
                                        ;       Child Loop BB103_138 Depth 3
	v_cmp_ne_u16_sdwa s[34:35], v45, v63 src0_sel:BYTE_0 src1_sel:DWORD
	s_waitcnt lgkmcnt(1)
	v_mov_b32_e32 v44, v64
	s_waitcnt lgkmcnt(0)
	v_cndmask_b32_e64 v20, 0, 1, s[34:35]
	;;#ASMSTART
	;;#ASMEND
	s_nop 0
	v_cmp_ne_u32_e32 vcc, 0, v20
	s_cmp_lg_u64 vcc, exec
	v_mov_b64_e32 v[20:21], v[24:25]
	s_cbranch_scc1 .LBB103_153
; %bb.135:                              ;   in Loop: Header=BB103_134 Depth=1
	global_load_ubyte v45, v8, s[40:41] sc1
	s_waitcnt vmcnt(0)
	v_cmp_eq_u16_e32 vcc, 0, v45
	s_and_saveexec_b64 s[34:35], vcc
	s_cbranch_execz .LBB103_141
; %bb.136:                              ;   in Loop: Header=BB103_134 Depth=1
	v_lshl_add_u64 v[24:25], s[40:41], 0, v[8:9]
	s_mov_b32 s3, 1
	s_mov_b64 s[52:53], 0
.LBB103_137:                            ;   Parent Loop BB103_134 Depth=1
                                        ; =>  This Loop Header: Depth=2
                                        ;       Child Loop BB103_138 Depth 3
	s_max_u32 s43, s3, 1
.LBB103_138:                            ;   Parent Loop BB103_134 Depth=1
                                        ;     Parent Loop BB103_137 Depth=2
                                        ; =>    This Inner Loop Header: Depth=3
	s_add_i32 s43, s43, -1
	s_cmp_eq_u32 s43, 0
	s_sleep 1
	s_cbranch_scc0 .LBB103_138
; %bb.139:                              ;   in Loop: Header=BB103_137 Depth=2
	global_load_ubyte v45, v[24:25], off sc1
	s_cmp_lt_u32 s3, 32
	s_cselect_b64 s[56:57], -1, 0
	s_cmp_lg_u64 s[56:57], 0
	s_addc_u32 s3, s3, 0
	s_waitcnt vmcnt(0)
	v_cmp_ne_u16_e32 vcc, 0, v45
	s_or_b64 s[52:53], vcc, s[52:53]
	s_andn2_b64 exec, exec, s[52:53]
	s_cbranch_execnz .LBB103_137
; %bb.140:                              ;   in Loop: Header=BB103_134 Depth=1
	s_or_b64 exec, exec, s[52:53]
.LBB103_141:                            ;   in Loop: Header=BB103_134 Depth=1
	s_or_b64 exec, exec, s[34:35]
	v_mov_b32_e32 v24, s39
	v_mov_b32_e32 v25, s37
	v_cmp_eq_u16_e32 vcc, 1, v45
	v_mov_b32_e32 v64, s36
	s_waitcnt vmcnt(0)
	v_cndmask_b32_e32 v25, v24, v25, vcc
	v_mov_b32_e32 v24, s38
	v_cndmask_b32_e32 v24, v24, v64, vcc
	v_lshl_add_u64 v[66:67], v[8:9], 4, v[24:25]
	global_load_dword v24, v[66:67], off sc1
	global_load_dword v25, v[66:67], off offset:4 sc1
	global_load_dword v64, v[66:67], off offset:8 sc1
	;; [unrolled: 1-line block ×3, first 2 shown]
	v_cmp_eq_u16_e32 vcc, 2, v45
	s_waitcnt vmcnt(3)
	ds_bpermute_b32 v68, v52, v24
	s_waitcnt vmcnt(0)
	v_and_b32_e32 v65, vcc_hi, v13
	v_and_b32_e32 v66, 0xff, v64
	v_or_b32_e32 v65, 0x80000000, v65
	ds_bpermute_b32 v69, v52, v25
	ds_bpermute_b32 v67, v52, v66
	v_and_b32_e32 v70, vcc_lo, v12
	v_ffbl_b32_e32 v65, v65
	v_add_u32_e32 v65, 32, v65
	v_ffbl_b32_e32 v70, v70
	v_min_u32_e32 v65, v70, v65
	v_cmp_lt_u32_e32 vcc, v51, v65
	s_and_saveexec_b64 s[34:35], vcc
	s_cbranch_execz .LBB103_143
; %bb.142:                              ;   in Loop: Header=BB103_134 Depth=1
	v_cmp_eq_u16_sdwa vcc, v64, v9 src0_sel:BYTE_0 src1_sel:DWORD
	s_waitcnt lgkmcnt(0)
	v_or_b32_e32 v66, v67, v64
	v_and_b32_e32 v64, 1, v66
	v_cndmask_b32_e32 v69, 0, v69, vcc
	v_cndmask_b32_e32 v68, 0, v68, vcc
	v_lshl_add_u64 v[24:25], v[68:69], 0, v[24:25]
	v_and_b32_e32 v66, 1, v66
.LBB103_143:                            ;   in Loop: Header=BB103_134 Depth=1
	s_or_b64 exec, exec, s[34:35]
	s_waitcnt lgkmcnt(2)
	ds_bpermute_b32 v68, v53, v24
	s_waitcnt lgkmcnt(2)
	ds_bpermute_b32 v69, v53, v25
	;; [unrolled: 2-line block ×3, first 2 shown]
	v_and_b32_e32 v70, 1, v64
	v_cmp_le_u32_e32 vcc, v54, v65
	v_cmp_eq_u32_e64 s[52:53], 1, v70
	s_and_saveexec_b64 s[34:35], vcc
	s_cbranch_execz .LBB103_145
; %bb.144:                              ;   in Loop: Header=BB103_134 Depth=1
	v_cmp_eq_u16_sdwa vcc, v64, v9 src0_sel:BYTE_0 src1_sel:DWORD
	s_waitcnt lgkmcnt(0)
	v_and_b32_e32 v64, 1, v67
	v_cndmask_b32_e32 v69, 0, v69, vcc
	v_cndmask_b32_e32 v68, 0, v68, vcc
	v_cmp_eq_u32_e32 vcc, 1, v64
	s_or_b64 s[56:57], s[52:53], vcc
	v_cndmask_b32_e64 v64, 0, 1, s[56:57]
	v_cndmask_b32_e64 v66, 0, 1, s[56:57]
	s_andn2_b64 s[52:53], s[52:53], exec
	s_and_b64 s[56:57], s[56:57], exec
	v_lshl_add_u64 v[24:25], v[68:69], 0, v[24:25]
	s_or_b64 s[52:53], s[52:53], s[56:57]
.LBB103_145:                            ;   in Loop: Header=BB103_134 Depth=1
	s_or_b64 exec, exec, s[34:35]
	s_waitcnt lgkmcnt(2)
	ds_bpermute_b32 v68, v55, v24
	s_waitcnt lgkmcnt(2)
	ds_bpermute_b32 v69, v55, v25
	s_waitcnt lgkmcnt(2)
	ds_bpermute_b32 v67, v55, v66
	v_cmp_le_u32_e32 vcc, v56, v65
	s_and_saveexec_b64 s[56:57], vcc
	s_cbranch_execz .LBB103_147
; %bb.146:                              ;   in Loop: Header=BB103_134 Depth=1
	v_cmp_eq_u16_sdwa vcc, v64, v9 src0_sel:BYTE_0 src1_sel:DWORD
	v_and_b32_e32 v64, 1, v64
	s_andn2_b64 s[52:53], s[52:53], exec
	s_waitcnt lgkmcnt(1)
	v_cndmask_b32_e32 v69, 0, v69, vcc
	v_cndmask_b32_e32 v68, 0, v68, vcc
	v_cmp_eq_u32_e32 vcc, 1, v64
	s_waitcnt lgkmcnt(0)
	v_and_b32_e32 v64, 1, v67
	v_cmp_eq_u32_e64 s[34:35], 1, v64
	s_or_b64 s[34:35], vcc, s[34:35]
	v_lshl_add_u64 v[24:25], v[68:69], 0, v[24:25]
	v_cndmask_b32_e64 v64, 0, 1, s[34:35]
	v_cndmask_b32_e64 v66, 0, 1, s[34:35]
	s_and_b64 s[34:35], s[34:35], exec
	s_or_b64 s[52:53], s[52:53], s[34:35]
.LBB103_147:                            ;   in Loop: Header=BB103_134 Depth=1
	s_or_b64 exec, exec, s[56:57]
	s_waitcnt lgkmcnt(2)
	ds_bpermute_b32 v68, v57, v24
	s_waitcnt lgkmcnt(2)
	ds_bpermute_b32 v69, v57, v25
	s_waitcnt lgkmcnt(2)
	ds_bpermute_b32 v67, v57, v66
	v_cmp_le_u32_e32 vcc, v58, v65
	s_and_saveexec_b64 s[56:57], vcc
	s_cbranch_execz .LBB103_149
; %bb.148:                              ;   in Loop: Header=BB103_134 Depth=1
	v_cmp_eq_u16_sdwa vcc, v64, v9 src0_sel:BYTE_0 src1_sel:DWORD
	v_and_b32_e32 v64, 1, v64
	s_andn2_b64 s[52:53], s[52:53], exec
	s_waitcnt lgkmcnt(1)
	v_cndmask_b32_e32 v69, 0, v69, vcc
	v_cndmask_b32_e32 v68, 0, v68, vcc
	v_cmp_eq_u32_e32 vcc, 1, v64
	s_waitcnt lgkmcnt(0)
	v_and_b32_e32 v64, 1, v67
	v_cmp_eq_u32_e64 s[34:35], 1, v64
	s_or_b64 s[34:35], vcc, s[34:35]
	v_lshl_add_u64 v[24:25], v[68:69], 0, v[24:25]
	v_cndmask_b32_e64 v64, 0, 1, s[34:35]
	v_cndmask_b32_e64 v66, 0, 1, s[34:35]
	s_and_b64 s[34:35], s[34:35], exec
	s_or_b64 s[52:53], s[52:53], s[34:35]
.LBB103_149:                            ;   in Loop: Header=BB103_134 Depth=1
	;; [unrolled: 28-line block ×3, first 2 shown]
	s_or_b64 exec, exec, s[56:57]
	s_waitcnt lgkmcnt(0)
	ds_bpermute_b32 v67, v61, v24
	ds_bpermute_b32 v68, v61, v25
	;; [unrolled: 1-line block ×3, first 2 shown]
	v_cmp_le_u32_e32 vcc, v62, v65
	s_and_saveexec_b64 s[56:57], vcc
	s_cbranch_execz .LBB103_133
; %bb.152:                              ;   in Loop: Header=BB103_134 Depth=1
	v_cmp_eq_u16_sdwa vcc, v64, v9 src0_sel:BYTE_0 src1_sel:DWORD
	v_and_b32_e32 v64, 1, v64
	s_andn2_b64 s[52:53], s[52:53], exec
	s_waitcnt lgkmcnt(1)
	v_cndmask_b32_e32 v69, 0, v68, vcc
	v_cndmask_b32_e32 v68, 0, v67, vcc
	v_cmp_eq_u32_e32 vcc, 1, v64
	s_waitcnt lgkmcnt(0)
	v_and_b32_e32 v64, 1, v66
	v_cmp_eq_u32_e64 s[34:35], 1, v64
	s_or_b64 s[34:35], vcc, s[34:35]
	s_and_b64 s[34:35], s[34:35], exec
	v_lshl_add_u64 v[24:25], v[68:69], 0, v[24:25]
	s_or_b64 s[52:53], s[52:53], s[34:35]
	s_branch .LBB103_133
.LBB103_153:                            ;   in Loop: Header=BB103_134 Depth=1
                                        ; implicit-def: $vgpr64
                                        ; implicit-def: $vgpr24_vgpr25
                                        ; implicit-def: $vgpr45
	s_cbranch_execz .LBB103_134
; %bb.154:
	s_and_saveexec_b64 s[34:35], s[28:29]
	s_cbranch_execz .LBB103_156
; %bb.155:
	s_mov_b32 s3, 0
	v_mov_b32_e32 v12, 0
	s_add_i32 s2, s2, 64
	v_cmp_eq_u32_sdwa vcc, v50, v12 src0_sel:BYTE_0 src1_sel:DWORD
	s_lshl_b64 s[36:37], s[2:3], 4
	v_and_b32_e32 v13, 1, v50
	v_cndmask_b32_e32 v9, 0, v21, vcc
	v_cndmask_b32_e32 v8, 0, v20, vcc
	s_add_u32 s36, s38, s36
	v_lshl_add_u64 v[8:9], v[8:9], 0, v[48:49]
	v_and_b32_e32 v24, 1, v44
	v_cmp_eq_u32_e32 vcc, 1, v13
	s_addc_u32 s37, s39, s37
	s_nop 0
	v_cndmask_b32_e64 v13, v24, 1, vcc
	global_store_dword v12, v8, s[36:37] sc1
	global_store_dword v12, v9, s[36:37] offset:4 sc1
	global_store_dword v12, v13, s[36:37] offset:8 sc1
	;; [unrolled: 1-line block ×3, first 2 shown]
	v_mov_b32_e32 v8, s2
	v_mov_b32_e32 v9, 2
	s_waitcnt vmcnt(0) lgkmcnt(0)
	global_store_byte v8, v9, s[40:41] sc1
.LBB103_156:
	s_or_b64 exec, exec, s[34:35]
	v_cmp_eq_u32_e32 vcc, 0, v0
	s_and_b64 exec, exec, vcc
	s_cbranch_execz .LBB103_158
; %bb.157:
	v_mov_b32_e32 v8, 0
	ds_write_b64 v8, v[20:21] offset:48
	ds_write_b8 v8, v44 offset:56
.LBB103_158:
	s_or_b64 exec, exec, s[48:49]
	s_waitcnt lgkmcnt(0)
	v_cndmask_b32_e64 v8, v41, v36, s[28:29]
	v_mov_b32_e32 v13, 0
	v_cndmask_b32_e64 v9, v40, v5, s[28:29]
	v_cndmask_b32_e64 v12, v37, v4, s[28:29]
	v_cmp_eq_u16_sdwa vcc, v1, v13 src0_sel:BYTE_0 src1_sel:DWORD
	v_and_b32_e32 v20, 1, v1
	v_and_b32_e32 v8, 1, v8
	s_barrier
	ds_read_b64 v[4:5], v13 offset:48
	v_cndmask_b32_e32 v12, 0, v12, vcc
	v_cndmask_b32_e32 v9, 0, v9, vcc
	v_cmp_eq_u32_e32 vcc, 1, v20
	v_cmp_eq_u32_e64 s[2:3], 1, v8
	s_or_b64 s[2:3], vcc, s[2:3]
	v_cmp_eq_u32_e32 vcc, 0, v0
	v_cndmask_b32_e64 v8, 0, 1, s[2:3]
	s_nop 0
	v_cndmask_b32_e32 v20, v8, v1, vcc
	v_cndmask_b32_e64 v9, v9, 0, vcc
	v_cndmask_b32_e64 v8, v12, 0, vcc
	v_cmp_eq_u16_sdwa vcc, v20, v13 src0_sel:BYTE_0 src1_sel:DWORD
	v_lshl_add_u64 v[8:9], v[8:9], 0, v[2:3]
	s_waitcnt lgkmcnt(0)
	v_cndmask_b32_e32 v5, 0, v5, vcc
	v_cndmask_b32_e32 v4, 0, v4, vcc
	v_lshl_add_u64 v[48:49], v[8:9], 0, v[4:5]
	v_cndmask_b32_e64 v5, 0, v49, s[30:31]
	v_cndmask_b32_e64 v4, 0, v48, s[30:31]
	v_lshl_add_u64 v[50:51], v[4:5], 0, v[14:15]
	v_cndmask_b32_e64 v5, 0, v51, s[4:5]
	v_cndmask_b32_e64 v4, 0, v50, s[4:5]
	;; [unrolled: 3-line block ×13, first 2 shown]
	v_lshl_add_u64 v[74:75], v[4:5], 0, v[16:17]
	s_branch .LBB103_189
.LBB103_159:
                                        ; implicit-def: $vgpr74_vgpr75
                                        ; implicit-def: $vgpr70_vgpr71
                                        ; implicit-def: $vgpr66_vgpr67
                                        ; implicit-def: $vgpr62_vgpr63
                                        ; implicit-def: $vgpr58_vgpr59
                                        ; implicit-def: $vgpr54_vgpr55
                                        ; implicit-def: $vgpr50_vgpr51
	s_cbranch_execz .LBB103_189
; %bb.160:
	s_cmp_lg_u64 s[60:61], 0
	s_cselect_b32 s5, s55, 0
	s_cselect_b32 s4, s54, 0
	s_cmp_lg_u64 s[4:5], 0
	s_cselect_b64 s[6:7], -1, 0
	v_cmp_eq_u32_e32 vcc, 0, v0
	v_cmp_ne_u32_e64 s[2:3], 0, v0
	s_and_b64 s[8:9], vcc, s[6:7]
	s_and_saveexec_b64 s[6:7], s[8:9]
	s_cbranch_execz .LBB103_162
; %bb.161:
	v_mov_b32_e32 v8, 0
	global_load_dwordx2 v[4:5], v8, s[4:5]
	global_load_ubyte v9, v8, s[4:5] offset:8
	v_cmp_eq_u16_sdwa s[4:5], v1, v8 src0_sel:BYTE_0 src1_sel:DWORD
	s_waitcnt vmcnt(0)
	v_or_b32_e32 v1, v1, v9
	v_cndmask_b32_e64 v5, 0, v5, s[4:5]
	v_cndmask_b32_e64 v4, 0, v4, s[4:5]
	v_lshl_add_u64 v[2:3], v[4:5], 0, v[2:3]
	v_and_b32_e32 v1, 1, v1
.LBB103_162:
	s_or_b64 exec, exec, s[6:7]
	v_mov_b32_e32 v9, 0
	v_cmp_eq_u16_sdwa s[4:5], v82, v9 src0_sel:BYTE_0 src1_sel:DWORD
	v_cmp_eq_u16_sdwa s[6:7], v81, v9 src0_sel:BYTE_0 src1_sel:DWORD
	v_cmp_eq_u16_sdwa s[8:9], v83, v9 src0_sel:BYTE_0 src1_sel:DWORD
	v_cndmask_b32_e64 v5, 0, v3, s[4:5]
	v_cndmask_b32_e64 v4, 0, v2, s[4:5]
	v_lshl_add_u64 v[50:51], v[4:5], 0, v[14:15]
	v_cndmask_b32_e64 v5, 0, v51, s[6:7]
	v_cndmask_b32_e64 v4, 0, v50, s[6:7]
	v_lshl_add_u64 v[52:53], v[4:5], 0, v[6:7]
	v_cndmask_b32_e64 v5, 0, v53, s[8:9]
	v_cndmask_b32_e64 v4, 0, v52, s[8:9]
	v_lshl_add_u64 v[54:55], v[4:5], 0, v[22:23]
	v_cmp_eq_u16_sdwa s[10:11], v84, v9 src0_sel:BYTE_0 src1_sel:DWORD
	v_cmp_eq_u16_sdwa s[12:13], v85, v9 src0_sel:BYTE_0 src1_sel:DWORD
	v_cmp_eq_u16_sdwa s[14:15], v86, v9 src0_sel:BYTE_0 src1_sel:DWORD
	v_cndmask_b32_e64 v5, 0, v55, s[10:11]
	v_cndmask_b32_e64 v4, 0, v54, s[10:11]
	v_lshl_add_u64 v[56:57], v[4:5], 0, v[10:11]
	v_cndmask_b32_e64 v5, 0, v57, s[12:13]
	v_cndmask_b32_e64 v4, 0, v56, s[12:13]
	v_lshl_add_u64 v[58:59], v[4:5], 0, v[30:31]
	v_cndmask_b32_e64 v5, 0, v59, s[14:15]
	v_cndmask_b32_e64 v4, 0, v58, s[14:15]
	v_lshl_add_u64 v[60:61], v[4:5], 0, v[18:19]
	;; [unrolled: 12-line block ×4, first 2 shown]
	v_cmp_eq_u16_sdwa s[28:29], v33, v9 src0_sel:BYTE_0 src1_sel:DWORD
	v_and_b32_e32 v8, 0xff, v1
	v_mbcnt_hi_u32_b32 v12, -1, v28
	v_cndmask_b32_e64 v5, 0, v73, s[28:29]
	v_cndmask_b32_e64 v4, 0, v72, s[28:29]
	v_lshl_add_u64 v[74:75], v[4:5], 0, v[16:17]
	v_or_b32_e32 v4, v29, v90
	v_or_b32_e32 v4, v4, v89
	;; [unrolled: 1-line block ×10, first 2 shown]
	v_and_b32_e32 v4, 1, v4
	v_cmp_eq_u32_e64 s[30:31], 1, v4
	v_and_b32_e32 v20, 15, v12
	v_mov_b32_dpp v24, v74 row_shr:1 row_mask:0xf bank_mask:0xf
	v_cndmask_b32_e64 v13, v8, 1, s[30:31]
	v_mov_b32_dpp v25, v75 row_shr:1 row_mask:0xf bank_mask:0xf
	v_cmp_ne_u32_e64 s[30:31], 0, v20
	v_mov_b32_dpp v21, v13 row_shr:1 row_mask:0xf bank_mask:0xf
	v_mov_b64_e32 v[4:5], v[74:75]
	v_mov_b32_e32 v9, v75
	v_mov_b32_e32 v8, v74
	s_and_saveexec_b64 s[34:35], s[30:31]
; %bb.163:
	v_cmp_eq_u32_e64 s[30:31], 0, v13
	v_and_or_b32 v13, v21, 1, v13
	s_nop 0
	v_cndmask_b32_e64 v5, 0, v25, s[30:31]
	v_cndmask_b32_e64 v4, 0, v24, s[30:31]
	v_lshl_add_u64 v[4:5], v[74:75], 0, v[4:5]
	v_mov_b32_e32 v9, v5
	v_mov_b32_e32 v8, v4
; %bb.164:
	s_or_b64 exec, exec, s[34:35]
	s_nop 0
	v_mov_b32_dpp v24, v8 row_shr:2 row_mask:0xf bank_mask:0xf
	v_mov_b32_dpp v25, v9 row_shr:2 row_mask:0xf bank_mask:0xf
	v_mov_b32_dpp v21, v13 row_shr:2 row_mask:0xf bank_mask:0xf
	v_cmp_lt_u32_e64 s[30:31], 1, v20
	s_and_saveexec_b64 s[34:35], s[30:31]
; %bb.165:
	v_cmp_eq_u32_e64 s[30:31], 0, v13
	s_nop 1
	v_cndmask_b32_e64 v9, 0, v25, s[30:31]
	v_cndmask_b32_e64 v8, 0, v24, s[30:31]
	v_lshl_add_u64 v[8:9], v[8:9], 0, v[4:5]
	v_or_b32_e32 v4, v21, v13
	v_and_b32_e32 v13, 1, v4
	v_mov_b64_e32 v[4:5], v[8:9]
; %bb.166:
	s_or_b64 exec, exec, s[34:35]
	v_mov_b32_dpp v24, v8 row_shr:4 row_mask:0xf bank_mask:0xf
	v_mov_b32_dpp v25, v9 row_shr:4 row_mask:0xf bank_mask:0xf
	v_mov_b32_dpp v21, v13 row_shr:4 row_mask:0xf bank_mask:0xf
	v_cmp_lt_u32_e64 s[30:31], 3, v20
	s_and_saveexec_b64 s[34:35], s[30:31]
; %bb.167:
	v_cmp_eq_u32_e64 s[30:31], 0, v13
	s_nop 1
	v_cndmask_b32_e64 v9, 0, v25, s[30:31]
	v_cndmask_b32_e64 v8, 0, v24, s[30:31]
	v_lshl_add_u64 v[8:9], v[8:9], 0, v[4:5]
	v_or_b32_e32 v4, v21, v13
	v_and_b32_e32 v13, 1, v4
	v_mov_b64_e32 v[4:5], v[8:9]
; %bb.168:
	s_or_b64 exec, exec, s[34:35]
	;; [unrolled: 16-line block ×3, first 2 shown]
	v_and_b32_e32 v25, 16, v12
	v_mov_b32_dpp v21, v8 row_bcast:15 row_mask:0xf bank_mask:0xf
	v_mov_b32_dpp v24, v9 row_bcast:15 row_mask:0xf bank_mask:0xf
	;; [unrolled: 1-line block ×3, first 2 shown]
	v_cmp_ne_u32_e64 s[30:31], 0, v25
	s_and_saveexec_b64 s[34:35], s[30:31]
; %bb.171:
	v_cmp_eq_u32_e64 s[30:31], 0, v13
	s_nop 1
	v_cndmask_b32_e64 v9, 0, v24, s[30:31]
	v_cndmask_b32_e64 v8, 0, v21, s[30:31]
	v_lshl_add_u64 v[4:5], v[8:9], 0, v[4:5]
	v_or_b32_e32 v8, v20, v13
	v_and_b32_e32 v13, 1, v8
	v_mov_b32_e32 v9, v5
	v_mov_b32_e32 v8, v4
; %bb.172:
	s_or_b64 exec, exec, s[34:35]
	s_nop 0
	v_mov_b32_dpp v20, v8 row_bcast:31 row_mask:0xf bank_mask:0xf
	v_mov_b32_dpp v21, v9 row_bcast:31 row_mask:0xf bank_mask:0xf
	;; [unrolled: 1-line block ×3, first 2 shown]
	v_cmp_lt_u32_e64 s[30:31], 31, v12
	v_mov_b32_e32 v8, v13
	s_and_saveexec_b64 s[34:35], s[30:31]
; %bb.173:
	v_cmp_eq_u32_e64 s[30:31], 0, v13
	v_or_b32_e32 v9, v9, v13
	v_and_b32_e32 v8, 1, v9
	v_cndmask_b32_e64 v21, 0, v21, s[30:31]
	v_cndmask_b32_e64 v20, 0, v20, s[30:31]
	v_lshl_add_u64 v[4:5], v[20:21], 0, v[4:5]
	v_and_b32_e32 v13, 1, v9
; %bb.174:
	s_or_b64 exec, exec, s[34:35]
	v_or_b32_e32 v9, 63, v0
	v_lshrrev_b32_e32 v20, 6, v0
	v_cmp_eq_u32_e64 s[30:31], v9, v0
	s_and_saveexec_b64 s[34:35], s[30:31]
	s_cbranch_execz .LBB103_176
; %bb.175:
	v_lshlrev_b32_e32 v9, 4, v20
	ds_write_b64 v9, v[4:5]
	ds_write_b8 v9, v8 offset:8
.LBB103_176:
	s_or_b64 exec, exec, s[34:35]
	v_cmp_gt_u32_e64 s[30:31], 4, v0
	s_waitcnt lgkmcnt(0)
	s_barrier
	s_and_saveexec_b64 s[36:37], s[30:31]
	s_cbranch_execz .LBB103_182
; %bb.177:
	v_lshlrev_b32_e32 v21, 4, v0
	ds_read_b64 v[8:9], v21
	ds_read_b32 v24, v21 offset:8
	v_and_b32_e32 v25, 3, v12
	v_cmp_ne_u32_e64 s[30:31], 0, v25
	s_waitcnt lgkmcnt(1)
	v_mov_b32_dpp v36, v8 row_shr:1 row_mask:0xf bank_mask:0xf
	v_mov_b32_dpp v37, v9 row_shr:1 row_mask:0xf bank_mask:0xf
	s_waitcnt lgkmcnt(0)
	v_mov_b32_dpp v33, v24 row_shr:1 row_mask:0xf bank_mask:0xf
	v_mov_b32_e32 v28, v24
	v_mov_b32_e32 v29, v24
	s_and_saveexec_b64 s[34:35], s[30:31]
; %bb.178:
	v_mov_b32_e32 v28, 0
	v_cmp_eq_u16_sdwa s[30:31], v24, v28 src0_sel:BYTE_0 src1_sel:DWORD
	s_nop 1
	v_cndmask_b32_e64 v29, 0, v37, s[30:31]
	v_cndmask_b32_e64 v28, 0, v36, s[30:31]
	v_lshl_add_u64 v[8:9], v[28:29], 0, v[8:9]
	v_or_b32_e32 v29, v33, v24
	v_and_b32_e32 v28, 1, v29
	v_and_b32_e32 v29, 1, v29
	s_movk_i32 s30, 0xff00
	v_and_or_b32 v24, v24, s30, v29
; %bb.179:
	s_or_b64 exec, exec, s[34:35]
	v_mov_b32_dpp v33, v8 row_shr:2 row_mask:0xf bank_mask:0xf
	v_mov_b32_dpp v36, v9 row_shr:2 row_mask:0xf bank_mask:0xf
	;; [unrolled: 1-line block ×3, first 2 shown]
	v_cmp_lt_u32_e64 s[30:31], 1, v25
	s_and_saveexec_b64 s[48:49], s[30:31]
; %bb.180:
	v_mov_b32_e32 v25, 0
	v_cmp_eq_u16_sdwa s[30:31], v29, v25 src0_sel:BYTE_0 src1_sel:DWORD
	v_and_b32_e32 v25, 1, v29
	v_and_b32_e32 v24, 1, v24
	v_cndmask_b32_e64 v37, 0, v36, s[30:31]
	v_cndmask_b32_e64 v36, 0, v33, s[30:31]
	v_cmp_eq_u32_e64 s[30:31], 1, v25
	v_cmp_eq_u32_e64 s[34:35], 1, v24
	s_or_b64 s[30:31], s[30:31], s[34:35]
	v_lshl_add_u64 v[8:9], v[36:37], 0, v[8:9]
	v_cndmask_b32_e64 v28, 0, 1, s[30:31]
; %bb.181:
	s_or_b64 exec, exec, s[48:49]
	ds_write_b64 v21, v[8:9]
	ds_write_b8 v21, v28 offset:8
.LBB103_182:
	s_or_b64 exec, exec, s[36:37]
	v_cmp_lt_u32_e64 s[30:31], 63, v0
	v_mov_b64_e32 v[8:9], 0
	s_waitcnt lgkmcnt(0)
	s_barrier
	s_and_saveexec_b64 s[34:35], s[30:31]
	s_cbranch_execz .LBB103_184
; %bb.183:
	v_lshl_add_u32 v8, v20, 4, -16
	ds_read_b64 v[8:9], v8
	v_cmp_eq_u32_e64 s[30:31], 0, v13
	s_waitcnt lgkmcnt(0)
	s_nop 0
	v_cndmask_b32_e64 v21, 0, v9, s[30:31]
	v_cndmask_b32_e64 v20, 0, v8, s[30:31]
	v_lshl_add_u64 v[4:5], v[20:21], 0, v[4:5]
.LBB103_184:
	s_or_b64 exec, exec, s[34:35]
	v_add_u32_e32 v13, -1, v12
	v_and_b32_e32 v20, 64, v12
	v_cmp_lt_i32_e64 s[30:31], v13, v20
	s_nop 1
	v_cndmask_b32_e64 v13, v13, v12, s[30:31]
	v_lshlrev_b32_e32 v13, 2, v13
	ds_bpermute_b32 v4, v13, v4
	ds_bpermute_b32 v5, v13, v5
	s_and_saveexec_b64 s[30:31], s[2:3]
	s_cbranch_execz .LBB103_186
; %bb.185:
	v_cmp_eq_u32_e64 s[2:3], 0, v12
	;;#ASMSTART
	;;#ASMEND
	s_waitcnt lgkmcnt(1)
	s_nop 0
	v_cndmask_b32_e64 v4, v4, v8, s[2:3]
	v_mov_b32_e32 v8, 0
	s_waitcnt lgkmcnt(0)
	v_cndmask_b32_e64 v5, v5, v9, s[2:3]
	v_cmp_eq_u16_sdwa s[2:3], v1, v8 src0_sel:BYTE_0 src1_sel:DWORD
	s_nop 1
	v_cndmask_b32_e64 v5, 0, v5, s[2:3]
	v_cndmask_b32_e64 v4, 0, v4, s[2:3]
	v_lshl_add_u64 v[2:3], v[4:5], 0, v[2:3]
	v_cndmask_b32_e64 v5, 0, v3, s[4:5]
	v_cndmask_b32_e64 v4, 0, v2, s[4:5]
	v_lshl_add_u64 v[50:51], v[4:5], 0, v[14:15]
	;; [unrolled: 3-line block ×14, first 2 shown]
.LBB103_186:
	s_or_b64 exec, exec, s[30:31]
	s_and_saveexec_b64 s[2:3], vcc
	s_cbranch_execz .LBB103_188
; %bb.187:
	v_mov_b32_e32 v1, 0
	s_waitcnt lgkmcnt(0)
	ds_read_b64 v[4:5], v1 offset:48
	ds_read_u8 v6, v1 offset:56
	s_waitcnt lgkmcnt(1)
	global_store_dword v1, v4, s[38:39] offset:1024 sc1
	global_store_dword v1, v5, s[38:39] offset:1028 sc1
	s_waitcnt lgkmcnt(0)
	global_store_dword v1, v6, s[38:39] offset:1032 sc1
	global_store_dword v1, v1, s[38:39] offset:1036 sc1
	v_mov_b32_e32 v4, 2
	s_waitcnt vmcnt(0)
	global_store_byte v1, v4, s[40:41] offset:64 sc1
.LBB103_188:
	s_or_b64 exec, exec, s[2:3]
	v_mov_b64_e32 v[48:49], v[2:3]
.LBB103_189:
	s_add_u32 s2, s50, s46
	s_addc_u32 s3, s51, s47
	s_add_u32 s2, s2, s44
	v_mul_u32_u24_e32 v1, 14, v0
	s_addc_u32 s3, s3, s45
	s_and_b64 vcc, exec, s[0:1]
	v_lshlrev_b32_e32 v30, 3, v1
	s_cbranch_vccz .LBB103_217
; %bb.190:
	s_movk_i32 s0, 0xff98
	v_mad_i32_i24 v1, v0, s0, v30
	s_waitcnt lgkmcnt(0)
	s_barrier
	ds_write_b128 v30, v[48:51]
	ds_write_b128 v30, v[52:55] offset:16
	ds_write_b128 v30, v[56:59] offset:32
	;; [unrolled: 1-line block ×6, first 2 shown]
	s_waitcnt lgkmcnt(0)
	s_barrier
	ds_read2st64_b64 v[26:29], v1 offset0:4 offset1:8
	ds_read2st64_b64 v[22:25], v1 offset0:12 offset1:16
	;; [unrolled: 1-line block ×6, first 2 shown]
	ds_read_b64 v[4:5], v1 offset:26624
	s_add_i32 s33, s33, s42
	v_mov_b32_e32 v33, 0
	v_lshl_add_u64 v[2:3], s[2:3], 0, v[32:33]
	v_cmp_gt_u32_e32 vcc, s33, v0
	s_and_saveexec_b64 s[0:1], vcc
	s_cbranch_execz .LBB103_192
; %bb.191:
	v_mul_i32_i24_e32 v1, 0xffffff98, v0
	v_add_u32_e32 v1, v30, v1
	ds_read_b64 v[34:35], v1
	s_waitcnt lgkmcnt(0)
	flat_store_dwordx2 v[2:3], v[34:35]
.LBB103_192:
	s_or_b64 exec, exec, s[0:1]
	v_or_b32_e32 v1, 0x100, v0
	v_cmp_gt_u32_e32 vcc, s33, v1
	s_and_saveexec_b64 s[0:1], vcc
	s_cbranch_execz .LBB103_194
; %bb.193:
	s_waitcnt lgkmcnt(0)
	flat_store_dwordx2 v[2:3], v[26:27] offset:2048
.LBB103_194:
	s_or_b64 exec, exec, s[0:1]
	v_or_b32_e32 v1, 0x200, v0
	v_cmp_gt_u32_e32 vcc, s33, v1
	s_and_saveexec_b64 s[0:1], vcc
	s_cbranch_execz .LBB103_196
; %bb.195:
	s_waitcnt lgkmcnt(0)
	v_add_co_u32_e32 v26, vcc, 0x1000, v2
	s_nop 1
	v_addc_co_u32_e32 v27, vcc, 0, v3, vcc
	flat_store_dwordx2 v[26:27], v[28:29]
.LBB103_196:
	s_or_b64 exec, exec, s[0:1]
	v_or_b32_e32 v1, 0x300, v0
	v_cmp_gt_u32_e32 vcc, s33, v1
	s_and_saveexec_b64 s[0:1], vcc
	s_cbranch_execz .LBB103_198
; %bb.197:
	s_waitcnt lgkmcnt(0)
	v_add_co_u32_e32 v26, vcc, 0x1000, v2
	s_nop 1
	v_addc_co_u32_e32 v27, vcc, 0, v3, vcc
	flat_store_dwordx2 v[26:27], v[22:23] offset:2048
.LBB103_198:
	s_or_b64 exec, exec, s[0:1]
	v_or_b32_e32 v1, 0x400, v0
	v_cmp_gt_u32_e32 vcc, s33, v1
	s_and_saveexec_b64 s[0:1], vcc
	s_cbranch_execz .LBB103_200
; %bb.199:
	s_waitcnt lgkmcnt(0)
	v_add_co_u32_e32 v22, vcc, 0x2000, v2
	s_nop 1
	v_addc_co_u32_e32 v23, vcc, 0, v3, vcc
	flat_store_dwordx2 v[22:23], v[24:25]
.LBB103_200:
	s_or_b64 exec, exec, s[0:1]
	v_or_b32_e32 v1, 0x500, v0
	v_cmp_gt_u32_e32 vcc, s33, v1
	s_and_saveexec_b64 s[0:1], vcc
	s_cbranch_execz .LBB103_202
; %bb.201:
	s_waitcnt lgkmcnt(0)
	v_add_co_u32_e32 v22, vcc, 0x2000, v2
	s_nop 1
	v_addc_co_u32_e32 v23, vcc, 0, v3, vcc
	flat_store_dwordx2 v[22:23], v[18:19] offset:2048
.LBB103_202:
	;; [unrolled: 24-line block ×5, first 2 shown]
	s_or_b64 exec, exec, s[0:1]
	v_or_b32_e32 v1, 0xc00, v0
	v_cmp_gt_u32_e32 vcc, s33, v1
	s_and_saveexec_b64 s[0:1], vcc
	s_cbranch_execz .LBB103_216
; %bb.215:
	v_add_co_u32_e32 v2, vcc, 0x6000, v2
	s_nop 1
	v_addc_co_u32_e32 v3, vcc, 0, v3, vcc
	s_waitcnt lgkmcnt(0)
	flat_store_dwordx2 v[2:3], v[8:9]
.LBB103_216:
	s_or_b64 exec, exec, s[0:1]
	v_or_b32_e32 v2, 0xd00, v0
	v_mov_b32_e32 v1, v33
	v_cmp_gt_u32_e64 s[0:1], s33, v2
	s_branch .LBB103_219
.LBB103_217:
	s_mov_b64 s[0:1], 0
                                        ; implicit-def: $vgpr4_vgpr5
	s_cbranch_execz .LBB103_219
; %bb.218:
	v_mov_b32_e32 v1, 0
	s_movk_i32 s4, 0xff98
	v_mad_i32_i24 v2, v0, s4, v30
	v_mov_b32_e32 v33, v1
	s_waitcnt lgkmcnt(0)
	s_barrier
	ds_write_b128 v30, v[48:51]
	ds_write_b128 v30, v[52:55] offset:16
	ds_write_b128 v30, v[56:59] offset:32
	;; [unrolled: 1-line block ×6, first 2 shown]
	s_waitcnt lgkmcnt(0)
	s_barrier
	ds_read2st64_b64 v[6:9], v2 offset1:4
	ds_read2st64_b64 v[10:13], v2 offset0:8 offset1:12
	ds_read2st64_b64 v[14:17], v2 offset0:16 offset1:20
	;; [unrolled: 1-line block ×6, first 2 shown]
	v_lshl_add_u64 v[30:31], s[2:3], 0, v[32:33]
	s_movk_i32 s4, 0x1000
	s_waitcnt lgkmcnt(0)
	flat_store_dwordx2 v[30:31], v[6:7]
	flat_store_dwordx2 v[30:31], v[8:9] offset:2048
	v_add_co_u32_e32 v6, vcc, s4, v30
	s_movk_i32 s4, 0x2000
	s_nop 0
	v_addc_co_u32_e32 v7, vcc, 0, v31, vcc
	flat_store_dwordx2 v[6:7], v[10:11]
	flat_store_dwordx2 v[6:7], v[12:13] offset:2048
	v_add_co_u32_e32 v6, vcc, s4, v30
	s_movk_i32 s4, 0x3000
	s_nop 0
	v_addc_co_u32_e32 v7, vcc, 0, v31, vcc
	;; [unrolled: 6-line block ×3, first 2 shown]
	flat_store_dwordx2 v[6:7], v[18:19]
	flat_store_dwordx2 v[6:7], v[20:21] offset:2048
	v_add_co_u32_e32 v6, vcc, s4, v30
	s_or_b64 s[0:1], s[0:1], exec
	s_nop 0
	v_addc_co_u32_e32 v7, vcc, 0, v31, vcc
	flat_store_dwordx2 v[6:7], v[22:23]
	flat_store_dwordx2 v[6:7], v[24:25] offset:2048
	v_add_co_u32_e32 v6, vcc, 0x5000, v30
	s_nop 1
	v_addc_co_u32_e32 v7, vcc, 0, v31, vcc
	flat_store_dwordx2 v[6:7], v[26:27]
	flat_store_dwordx2 v[6:7], v[28:29] offset:2048
	v_add_co_u32_e32 v6, vcc, 0x6000, v30
	s_nop 1
	v_addc_co_u32_e32 v7, vcc, 0, v31, vcc
	flat_store_dwordx2 v[6:7], v[2:3]
.LBB103_219:
	s_and_saveexec_b64 s[4:5], s[0:1]
	s_cbranch_execnz .LBB103_221
; %bb.220:
	s_endpgm
.LBB103_221:
	v_lshl_add_u64 v[0:1], v[0:1], 3, s[2:3]
	v_add_co_u32_e32 v0, vcc, 0x6000, v0
	s_nop 1
	v_addc_co_u32_e32 v1, vcc, 0, v1, vcc
	s_waitcnt lgkmcnt(0)
	flat_store_dwordx2 v[0:1], v[4:5] offset:2048
	s_endpgm
.LBB103_222:
	v_lshl_add_u64 v[6:7], s[34:35], 0, v[2:3]
	flat_load_dwordx2 v[6:7], v[6:7]
	s_or_b64 exec, exec, s[52:53]
                                        ; implicit-def: $vgpr8_vgpr9
	s_and_saveexec_b64 s[30:31], s[4:5]
	s_cbranch_execz .LBB103_37
.LBB103_223:
	v_mov_b32_e32 v3, 0
	v_lshl_add_u64 v[8:9], s[34:35], 0, v[2:3]
	flat_load_dwordx2 v[8:9], v[8:9] offset:2048
	s_or_b64 exec, exec, s[30:31]
                                        ; implicit-def: $vgpr10_vgpr11
	s_and_saveexec_b64 s[4:5], s[6:7]
	s_cbranch_execz .LBB103_38
.LBB103_224:
	v_lshlrev_b32_e32 v10, 3, v1
	v_mov_b32_e32 v11, 0
	v_lshl_add_u64 v[10:11], s[34:35], 0, v[10:11]
	flat_load_dwordx2 v[10:11], v[10:11]
	s_or_b64 exec, exec, s[4:5]
                                        ; implicit-def: $vgpr12_vgpr13
	s_and_saveexec_b64 s[4:5], s[8:9]
	s_cbranch_execz .LBB103_39
.LBB103_225:
	v_lshlrev_b32_e32 v12, 3, v32
	v_mov_b32_e32 v13, 0
	v_lshl_add_u64 v[12:13], s[34:35], 0, v[12:13]
	flat_load_dwordx2 v[12:13], v[12:13]
	s_or_b64 exec, exec, s[4:5]
                                        ; implicit-def: $vgpr14_vgpr15
	s_and_saveexec_b64 s[4:5], s[10:11]
	s_cbranch_execz .LBB103_40
.LBB103_226:
	v_lshlrev_b32_e32 v14, 3, v33
	v_mov_b32_e32 v15, 0
	v_lshl_add_u64 v[14:15], s[34:35], 0, v[14:15]
	flat_load_dwordx2 v[14:15], v[14:15]
	s_or_b64 exec, exec, s[4:5]
                                        ; implicit-def: $vgpr16_vgpr17
	s_and_saveexec_b64 s[4:5], s[12:13]
	s_cbranch_execz .LBB103_41
.LBB103_227:
	v_lshlrev_b32_e32 v16, 3, v34
	v_mov_b32_e32 v17, 0
	v_lshl_add_u64 v[16:17], s[34:35], 0, v[16:17]
	flat_load_dwordx2 v[16:17], v[16:17]
	s_or_b64 exec, exec, s[4:5]
                                        ; implicit-def: $vgpr18_vgpr19
	s_and_saveexec_b64 s[4:5], s[14:15]
	s_cbranch_execz .LBB103_42
.LBB103_228:
	v_lshlrev_b32_e32 v18, 3, v35
	v_mov_b32_e32 v19, 0
	v_lshl_add_u64 v[18:19], s[34:35], 0, v[18:19]
	flat_load_dwordx2 v[18:19], v[18:19]
	s_or_b64 exec, exec, s[4:5]
                                        ; implicit-def: $vgpr20_vgpr21
	s_and_saveexec_b64 s[4:5], s[16:17]
	s_cbranch_execz .LBB103_43
.LBB103_229:
	v_lshlrev_b32_e32 v20, 3, v37
	v_mov_b32_e32 v21, 0
	v_lshl_add_u64 v[20:21], s[34:35], 0, v[20:21]
	flat_load_dwordx2 v[20:21], v[20:21]
	s_or_b64 exec, exec, s[4:5]
                                        ; implicit-def: $vgpr22_vgpr23
	s_and_saveexec_b64 s[4:5], s[18:19]
	s_cbranch_execz .LBB103_44
.LBB103_230:
	v_lshlrev_b32_e32 v22, 3, v38
	v_mov_b32_e32 v23, 0
	v_lshl_add_u64 v[22:23], s[34:35], 0, v[22:23]
	flat_load_dwordx2 v[22:23], v[22:23]
	s_or_b64 exec, exec, s[4:5]
                                        ; implicit-def: $vgpr24_vgpr25
	s_and_saveexec_b64 s[4:5], s[20:21]
	s_cbranch_execz .LBB103_45
.LBB103_231:
	v_lshlrev_b32_e32 v24, 3, v39
	v_mov_b32_e32 v25, 0
	v_lshl_add_u64 v[24:25], s[34:35], 0, v[24:25]
	flat_load_dwordx2 v[24:25], v[24:25]
	s_or_b64 exec, exec, s[4:5]
                                        ; implicit-def: $vgpr26_vgpr27
	s_and_saveexec_b64 s[4:5], s[22:23]
	s_cbranch_execz .LBB103_46
.LBB103_232:
	v_lshlrev_b32_e32 v26, 3, v40
	v_mov_b32_e32 v27, 0
	v_lshl_add_u64 v[26:27], s[34:35], 0, v[26:27]
	flat_load_dwordx2 v[26:27], v[26:27]
	s_or_b64 exec, exec, s[4:5]
                                        ; implicit-def: $vgpr28_vgpr29
	s_and_saveexec_b64 s[4:5], s[24:25]
	s_cbranch_execz .LBB103_47
.LBB103_233:
	v_lshlrev_b32_e32 v28, 3, v41
	v_mov_b32_e32 v29, 0
	v_lshl_add_u64 v[28:29], s[34:35], 0, v[28:29]
	flat_load_dwordx2 v[28:29], v[28:29]
	s_or_b64 exec, exec, s[4:5]
                                        ; implicit-def: $vgpr30_vgpr31
	s_and_saveexec_b64 s[4:5], s[26:27]
	s_cbranch_execz .LBB103_48
.LBB103_234:
	v_lshlrev_b32_e32 v30, 3, v42
	v_mov_b32_e32 v31, 0
	v_lshl_add_u64 v[30:31], s[34:35], 0, v[30:31]
	flat_load_dwordx2 v[30:31], v[30:31]
	s_or_b64 exec, exec, s[4:5]
                                        ; implicit-def: $vgpr32_vgpr33
	s_and_saveexec_b64 s[4:5], s[28:29]
	s_cbranch_execnz .LBB103_49
	s_branch .LBB103_50
.LBB103_235:
                                        ; implicit-def: $sgpr52_sgpr53
	s_branch .LBB103_32
.LBB103_236:
                                        ; implicit-def: $sgpr4_sgpr5
	s_branch .LBB103_81
	.section	.rodata,"a",@progbits
	.p2align	6, 0x0
	.amdhsa_kernel _ZN7rocprim17ROCPRIM_400000_NS6detail17trampoline_kernelINS0_14default_configENS1_27scan_by_key_config_selectorIxxEEZZNS1_16scan_by_key_implILNS1_25lookback_scan_determinismE0ELb0ES3_N6thrust23THRUST_200600_302600_NS6detail15normal_iteratorINS9_10device_ptrIxEEEESE_SE_xNS9_4plusIvEENS9_8equal_toIxEExEE10hipError_tPvRmT2_T3_T4_T5_mT6_T7_P12ihipStream_tbENKUlT_T0_E_clISt17integral_constantIbLb1EESY_IbLb0EEEEDaSU_SV_EUlSU_E_NS1_11comp_targetILNS1_3genE5ELNS1_11target_archE942ELNS1_3gpuE9ELNS1_3repE0EEENS1_30default_config_static_selectorELNS0_4arch9wavefront6targetE1EEEvT1_
		.amdhsa_group_segment_fixed_size 32768
		.amdhsa_private_segment_fixed_size 0
		.amdhsa_kernarg_size 136
		.amdhsa_user_sgpr_count 2
		.amdhsa_user_sgpr_dispatch_ptr 0
		.amdhsa_user_sgpr_queue_ptr 0
		.amdhsa_user_sgpr_kernarg_segment_ptr 1
		.amdhsa_user_sgpr_dispatch_id 0
		.amdhsa_user_sgpr_kernarg_preload_length 0
		.amdhsa_user_sgpr_kernarg_preload_offset 0
		.amdhsa_user_sgpr_private_segment_size 0
		.amdhsa_uses_dynamic_stack 0
		.amdhsa_enable_private_segment 0
		.amdhsa_system_sgpr_workgroup_id_x 1
		.amdhsa_system_sgpr_workgroup_id_y 0
		.amdhsa_system_sgpr_workgroup_id_z 0
		.amdhsa_system_sgpr_workgroup_info 0
		.amdhsa_system_vgpr_workitem_id 0
		.amdhsa_next_free_vgpr 92
		.amdhsa_next_free_sgpr 66
		.amdhsa_accum_offset 92
		.amdhsa_reserve_vcc 1
		.amdhsa_float_round_mode_32 0
		.amdhsa_float_round_mode_16_64 0
		.amdhsa_float_denorm_mode_32 3
		.amdhsa_float_denorm_mode_16_64 3
		.amdhsa_dx10_clamp 1
		.amdhsa_ieee_mode 1
		.amdhsa_fp16_overflow 0
		.amdhsa_tg_split 0
		.amdhsa_exception_fp_ieee_invalid_op 0
		.amdhsa_exception_fp_denorm_src 0
		.amdhsa_exception_fp_ieee_div_zero 0
		.amdhsa_exception_fp_ieee_overflow 0
		.amdhsa_exception_fp_ieee_underflow 0
		.amdhsa_exception_fp_ieee_inexact 0
		.amdhsa_exception_int_div_zero 0
	.end_amdhsa_kernel
	.section	.text._ZN7rocprim17ROCPRIM_400000_NS6detail17trampoline_kernelINS0_14default_configENS1_27scan_by_key_config_selectorIxxEEZZNS1_16scan_by_key_implILNS1_25lookback_scan_determinismE0ELb0ES3_N6thrust23THRUST_200600_302600_NS6detail15normal_iteratorINS9_10device_ptrIxEEEESE_SE_xNS9_4plusIvEENS9_8equal_toIxEExEE10hipError_tPvRmT2_T3_T4_T5_mT6_T7_P12ihipStream_tbENKUlT_T0_E_clISt17integral_constantIbLb1EESY_IbLb0EEEEDaSU_SV_EUlSU_E_NS1_11comp_targetILNS1_3genE5ELNS1_11target_archE942ELNS1_3gpuE9ELNS1_3repE0EEENS1_30default_config_static_selectorELNS0_4arch9wavefront6targetE1EEEvT1_,"axG",@progbits,_ZN7rocprim17ROCPRIM_400000_NS6detail17trampoline_kernelINS0_14default_configENS1_27scan_by_key_config_selectorIxxEEZZNS1_16scan_by_key_implILNS1_25lookback_scan_determinismE0ELb0ES3_N6thrust23THRUST_200600_302600_NS6detail15normal_iteratorINS9_10device_ptrIxEEEESE_SE_xNS9_4plusIvEENS9_8equal_toIxEExEE10hipError_tPvRmT2_T3_T4_T5_mT6_T7_P12ihipStream_tbENKUlT_T0_E_clISt17integral_constantIbLb1EESY_IbLb0EEEEDaSU_SV_EUlSU_E_NS1_11comp_targetILNS1_3genE5ELNS1_11target_archE942ELNS1_3gpuE9ELNS1_3repE0EEENS1_30default_config_static_selectorELNS0_4arch9wavefront6targetE1EEEvT1_,comdat
.Lfunc_end103:
	.size	_ZN7rocprim17ROCPRIM_400000_NS6detail17trampoline_kernelINS0_14default_configENS1_27scan_by_key_config_selectorIxxEEZZNS1_16scan_by_key_implILNS1_25lookback_scan_determinismE0ELb0ES3_N6thrust23THRUST_200600_302600_NS6detail15normal_iteratorINS9_10device_ptrIxEEEESE_SE_xNS9_4plusIvEENS9_8equal_toIxEExEE10hipError_tPvRmT2_T3_T4_T5_mT6_T7_P12ihipStream_tbENKUlT_T0_E_clISt17integral_constantIbLb1EESY_IbLb0EEEEDaSU_SV_EUlSU_E_NS1_11comp_targetILNS1_3genE5ELNS1_11target_archE942ELNS1_3gpuE9ELNS1_3repE0EEENS1_30default_config_static_selectorELNS0_4arch9wavefront6targetE1EEEvT1_, .Lfunc_end103-_ZN7rocprim17ROCPRIM_400000_NS6detail17trampoline_kernelINS0_14default_configENS1_27scan_by_key_config_selectorIxxEEZZNS1_16scan_by_key_implILNS1_25lookback_scan_determinismE0ELb0ES3_N6thrust23THRUST_200600_302600_NS6detail15normal_iteratorINS9_10device_ptrIxEEEESE_SE_xNS9_4plusIvEENS9_8equal_toIxEExEE10hipError_tPvRmT2_T3_T4_T5_mT6_T7_P12ihipStream_tbENKUlT_T0_E_clISt17integral_constantIbLb1EESY_IbLb0EEEEDaSU_SV_EUlSU_E_NS1_11comp_targetILNS1_3genE5ELNS1_11target_archE942ELNS1_3gpuE9ELNS1_3repE0EEENS1_30default_config_static_selectorELNS0_4arch9wavefront6targetE1EEEvT1_
                                        ; -- End function
	.section	.AMDGPU.csdata,"",@progbits
; Kernel info:
; codeLenInByte = 12480
; NumSgprs: 72
; NumVgprs: 92
; NumAgprs: 0
; TotalNumVgprs: 92
; ScratchSize: 0
; MemoryBound: 0
; FloatMode: 240
; IeeeMode: 1
; LDSByteSize: 32768 bytes/workgroup (compile time only)
; SGPRBlocks: 8
; VGPRBlocks: 11
; NumSGPRsForWavesPerEU: 72
; NumVGPRsForWavesPerEU: 92
; AccumOffset: 92
; Occupancy: 2
; WaveLimiterHint : 1
; COMPUTE_PGM_RSRC2:SCRATCH_EN: 0
; COMPUTE_PGM_RSRC2:USER_SGPR: 2
; COMPUTE_PGM_RSRC2:TRAP_HANDLER: 0
; COMPUTE_PGM_RSRC2:TGID_X_EN: 1
; COMPUTE_PGM_RSRC2:TGID_Y_EN: 0
; COMPUTE_PGM_RSRC2:TGID_Z_EN: 0
; COMPUTE_PGM_RSRC2:TIDIG_COMP_CNT: 0
; COMPUTE_PGM_RSRC3_GFX90A:ACCUM_OFFSET: 22
; COMPUTE_PGM_RSRC3_GFX90A:TG_SPLIT: 0
	.section	.text._ZN7rocprim17ROCPRIM_400000_NS6detail17trampoline_kernelINS0_14default_configENS1_27scan_by_key_config_selectorIxxEEZZNS1_16scan_by_key_implILNS1_25lookback_scan_determinismE0ELb0ES3_N6thrust23THRUST_200600_302600_NS6detail15normal_iteratorINS9_10device_ptrIxEEEESE_SE_xNS9_4plusIvEENS9_8equal_toIxEExEE10hipError_tPvRmT2_T3_T4_T5_mT6_T7_P12ihipStream_tbENKUlT_T0_E_clISt17integral_constantIbLb1EESY_IbLb0EEEEDaSU_SV_EUlSU_E_NS1_11comp_targetILNS1_3genE4ELNS1_11target_archE910ELNS1_3gpuE8ELNS1_3repE0EEENS1_30default_config_static_selectorELNS0_4arch9wavefront6targetE1EEEvT1_,"axG",@progbits,_ZN7rocprim17ROCPRIM_400000_NS6detail17trampoline_kernelINS0_14default_configENS1_27scan_by_key_config_selectorIxxEEZZNS1_16scan_by_key_implILNS1_25lookback_scan_determinismE0ELb0ES3_N6thrust23THRUST_200600_302600_NS6detail15normal_iteratorINS9_10device_ptrIxEEEESE_SE_xNS9_4plusIvEENS9_8equal_toIxEExEE10hipError_tPvRmT2_T3_T4_T5_mT6_T7_P12ihipStream_tbENKUlT_T0_E_clISt17integral_constantIbLb1EESY_IbLb0EEEEDaSU_SV_EUlSU_E_NS1_11comp_targetILNS1_3genE4ELNS1_11target_archE910ELNS1_3gpuE8ELNS1_3repE0EEENS1_30default_config_static_selectorELNS0_4arch9wavefront6targetE1EEEvT1_,comdat
	.protected	_ZN7rocprim17ROCPRIM_400000_NS6detail17trampoline_kernelINS0_14default_configENS1_27scan_by_key_config_selectorIxxEEZZNS1_16scan_by_key_implILNS1_25lookback_scan_determinismE0ELb0ES3_N6thrust23THRUST_200600_302600_NS6detail15normal_iteratorINS9_10device_ptrIxEEEESE_SE_xNS9_4plusIvEENS9_8equal_toIxEExEE10hipError_tPvRmT2_T3_T4_T5_mT6_T7_P12ihipStream_tbENKUlT_T0_E_clISt17integral_constantIbLb1EESY_IbLb0EEEEDaSU_SV_EUlSU_E_NS1_11comp_targetILNS1_3genE4ELNS1_11target_archE910ELNS1_3gpuE8ELNS1_3repE0EEENS1_30default_config_static_selectorELNS0_4arch9wavefront6targetE1EEEvT1_ ; -- Begin function _ZN7rocprim17ROCPRIM_400000_NS6detail17trampoline_kernelINS0_14default_configENS1_27scan_by_key_config_selectorIxxEEZZNS1_16scan_by_key_implILNS1_25lookback_scan_determinismE0ELb0ES3_N6thrust23THRUST_200600_302600_NS6detail15normal_iteratorINS9_10device_ptrIxEEEESE_SE_xNS9_4plusIvEENS9_8equal_toIxEExEE10hipError_tPvRmT2_T3_T4_T5_mT6_T7_P12ihipStream_tbENKUlT_T0_E_clISt17integral_constantIbLb1EESY_IbLb0EEEEDaSU_SV_EUlSU_E_NS1_11comp_targetILNS1_3genE4ELNS1_11target_archE910ELNS1_3gpuE8ELNS1_3repE0EEENS1_30default_config_static_selectorELNS0_4arch9wavefront6targetE1EEEvT1_
	.globl	_ZN7rocprim17ROCPRIM_400000_NS6detail17trampoline_kernelINS0_14default_configENS1_27scan_by_key_config_selectorIxxEEZZNS1_16scan_by_key_implILNS1_25lookback_scan_determinismE0ELb0ES3_N6thrust23THRUST_200600_302600_NS6detail15normal_iteratorINS9_10device_ptrIxEEEESE_SE_xNS9_4plusIvEENS9_8equal_toIxEExEE10hipError_tPvRmT2_T3_T4_T5_mT6_T7_P12ihipStream_tbENKUlT_T0_E_clISt17integral_constantIbLb1EESY_IbLb0EEEEDaSU_SV_EUlSU_E_NS1_11comp_targetILNS1_3genE4ELNS1_11target_archE910ELNS1_3gpuE8ELNS1_3repE0EEENS1_30default_config_static_selectorELNS0_4arch9wavefront6targetE1EEEvT1_
	.p2align	8
	.type	_ZN7rocprim17ROCPRIM_400000_NS6detail17trampoline_kernelINS0_14default_configENS1_27scan_by_key_config_selectorIxxEEZZNS1_16scan_by_key_implILNS1_25lookback_scan_determinismE0ELb0ES3_N6thrust23THRUST_200600_302600_NS6detail15normal_iteratorINS9_10device_ptrIxEEEESE_SE_xNS9_4plusIvEENS9_8equal_toIxEExEE10hipError_tPvRmT2_T3_T4_T5_mT6_T7_P12ihipStream_tbENKUlT_T0_E_clISt17integral_constantIbLb1EESY_IbLb0EEEEDaSU_SV_EUlSU_E_NS1_11comp_targetILNS1_3genE4ELNS1_11target_archE910ELNS1_3gpuE8ELNS1_3repE0EEENS1_30default_config_static_selectorELNS0_4arch9wavefront6targetE1EEEvT1_,@function
_ZN7rocprim17ROCPRIM_400000_NS6detail17trampoline_kernelINS0_14default_configENS1_27scan_by_key_config_selectorIxxEEZZNS1_16scan_by_key_implILNS1_25lookback_scan_determinismE0ELb0ES3_N6thrust23THRUST_200600_302600_NS6detail15normal_iteratorINS9_10device_ptrIxEEEESE_SE_xNS9_4plusIvEENS9_8equal_toIxEExEE10hipError_tPvRmT2_T3_T4_T5_mT6_T7_P12ihipStream_tbENKUlT_T0_E_clISt17integral_constantIbLb1EESY_IbLb0EEEEDaSU_SV_EUlSU_E_NS1_11comp_targetILNS1_3genE4ELNS1_11target_archE910ELNS1_3gpuE8ELNS1_3repE0EEENS1_30default_config_static_selectorELNS0_4arch9wavefront6targetE1EEEvT1_: ; @_ZN7rocprim17ROCPRIM_400000_NS6detail17trampoline_kernelINS0_14default_configENS1_27scan_by_key_config_selectorIxxEEZZNS1_16scan_by_key_implILNS1_25lookback_scan_determinismE0ELb0ES3_N6thrust23THRUST_200600_302600_NS6detail15normal_iteratorINS9_10device_ptrIxEEEESE_SE_xNS9_4plusIvEENS9_8equal_toIxEExEE10hipError_tPvRmT2_T3_T4_T5_mT6_T7_P12ihipStream_tbENKUlT_T0_E_clISt17integral_constantIbLb1EESY_IbLb0EEEEDaSU_SV_EUlSU_E_NS1_11comp_targetILNS1_3genE4ELNS1_11target_archE910ELNS1_3gpuE8ELNS1_3repE0EEENS1_30default_config_static_selectorELNS0_4arch9wavefront6targetE1EEEvT1_
; %bb.0:
	.section	.rodata,"a",@progbits
	.p2align	6, 0x0
	.amdhsa_kernel _ZN7rocprim17ROCPRIM_400000_NS6detail17trampoline_kernelINS0_14default_configENS1_27scan_by_key_config_selectorIxxEEZZNS1_16scan_by_key_implILNS1_25lookback_scan_determinismE0ELb0ES3_N6thrust23THRUST_200600_302600_NS6detail15normal_iteratorINS9_10device_ptrIxEEEESE_SE_xNS9_4plusIvEENS9_8equal_toIxEExEE10hipError_tPvRmT2_T3_T4_T5_mT6_T7_P12ihipStream_tbENKUlT_T0_E_clISt17integral_constantIbLb1EESY_IbLb0EEEEDaSU_SV_EUlSU_E_NS1_11comp_targetILNS1_3genE4ELNS1_11target_archE910ELNS1_3gpuE8ELNS1_3repE0EEENS1_30default_config_static_selectorELNS0_4arch9wavefront6targetE1EEEvT1_
		.amdhsa_group_segment_fixed_size 0
		.amdhsa_private_segment_fixed_size 0
		.amdhsa_kernarg_size 136
		.amdhsa_user_sgpr_count 2
		.amdhsa_user_sgpr_dispatch_ptr 0
		.amdhsa_user_sgpr_queue_ptr 0
		.amdhsa_user_sgpr_kernarg_segment_ptr 1
		.amdhsa_user_sgpr_dispatch_id 0
		.amdhsa_user_sgpr_kernarg_preload_length 0
		.amdhsa_user_sgpr_kernarg_preload_offset 0
		.amdhsa_user_sgpr_private_segment_size 0
		.amdhsa_uses_dynamic_stack 0
		.amdhsa_enable_private_segment 0
		.amdhsa_system_sgpr_workgroup_id_x 1
		.amdhsa_system_sgpr_workgroup_id_y 0
		.amdhsa_system_sgpr_workgroup_id_z 0
		.amdhsa_system_sgpr_workgroup_info 0
		.amdhsa_system_vgpr_workitem_id 0
		.amdhsa_next_free_vgpr 1
		.amdhsa_next_free_sgpr 0
		.amdhsa_accum_offset 4
		.amdhsa_reserve_vcc 0
		.amdhsa_float_round_mode_32 0
		.amdhsa_float_round_mode_16_64 0
		.amdhsa_float_denorm_mode_32 3
		.amdhsa_float_denorm_mode_16_64 3
		.amdhsa_dx10_clamp 1
		.amdhsa_ieee_mode 1
		.amdhsa_fp16_overflow 0
		.amdhsa_tg_split 0
		.amdhsa_exception_fp_ieee_invalid_op 0
		.amdhsa_exception_fp_denorm_src 0
		.amdhsa_exception_fp_ieee_div_zero 0
		.amdhsa_exception_fp_ieee_overflow 0
		.amdhsa_exception_fp_ieee_underflow 0
		.amdhsa_exception_fp_ieee_inexact 0
		.amdhsa_exception_int_div_zero 0
	.end_amdhsa_kernel
	.section	.text._ZN7rocprim17ROCPRIM_400000_NS6detail17trampoline_kernelINS0_14default_configENS1_27scan_by_key_config_selectorIxxEEZZNS1_16scan_by_key_implILNS1_25lookback_scan_determinismE0ELb0ES3_N6thrust23THRUST_200600_302600_NS6detail15normal_iteratorINS9_10device_ptrIxEEEESE_SE_xNS9_4plusIvEENS9_8equal_toIxEExEE10hipError_tPvRmT2_T3_T4_T5_mT6_T7_P12ihipStream_tbENKUlT_T0_E_clISt17integral_constantIbLb1EESY_IbLb0EEEEDaSU_SV_EUlSU_E_NS1_11comp_targetILNS1_3genE4ELNS1_11target_archE910ELNS1_3gpuE8ELNS1_3repE0EEENS1_30default_config_static_selectorELNS0_4arch9wavefront6targetE1EEEvT1_,"axG",@progbits,_ZN7rocprim17ROCPRIM_400000_NS6detail17trampoline_kernelINS0_14default_configENS1_27scan_by_key_config_selectorIxxEEZZNS1_16scan_by_key_implILNS1_25lookback_scan_determinismE0ELb0ES3_N6thrust23THRUST_200600_302600_NS6detail15normal_iteratorINS9_10device_ptrIxEEEESE_SE_xNS9_4plusIvEENS9_8equal_toIxEExEE10hipError_tPvRmT2_T3_T4_T5_mT6_T7_P12ihipStream_tbENKUlT_T0_E_clISt17integral_constantIbLb1EESY_IbLb0EEEEDaSU_SV_EUlSU_E_NS1_11comp_targetILNS1_3genE4ELNS1_11target_archE910ELNS1_3gpuE8ELNS1_3repE0EEENS1_30default_config_static_selectorELNS0_4arch9wavefront6targetE1EEEvT1_,comdat
.Lfunc_end104:
	.size	_ZN7rocprim17ROCPRIM_400000_NS6detail17trampoline_kernelINS0_14default_configENS1_27scan_by_key_config_selectorIxxEEZZNS1_16scan_by_key_implILNS1_25lookback_scan_determinismE0ELb0ES3_N6thrust23THRUST_200600_302600_NS6detail15normal_iteratorINS9_10device_ptrIxEEEESE_SE_xNS9_4plusIvEENS9_8equal_toIxEExEE10hipError_tPvRmT2_T3_T4_T5_mT6_T7_P12ihipStream_tbENKUlT_T0_E_clISt17integral_constantIbLb1EESY_IbLb0EEEEDaSU_SV_EUlSU_E_NS1_11comp_targetILNS1_3genE4ELNS1_11target_archE910ELNS1_3gpuE8ELNS1_3repE0EEENS1_30default_config_static_selectorELNS0_4arch9wavefront6targetE1EEEvT1_, .Lfunc_end104-_ZN7rocprim17ROCPRIM_400000_NS6detail17trampoline_kernelINS0_14default_configENS1_27scan_by_key_config_selectorIxxEEZZNS1_16scan_by_key_implILNS1_25lookback_scan_determinismE0ELb0ES3_N6thrust23THRUST_200600_302600_NS6detail15normal_iteratorINS9_10device_ptrIxEEEESE_SE_xNS9_4plusIvEENS9_8equal_toIxEExEE10hipError_tPvRmT2_T3_T4_T5_mT6_T7_P12ihipStream_tbENKUlT_T0_E_clISt17integral_constantIbLb1EESY_IbLb0EEEEDaSU_SV_EUlSU_E_NS1_11comp_targetILNS1_3genE4ELNS1_11target_archE910ELNS1_3gpuE8ELNS1_3repE0EEENS1_30default_config_static_selectorELNS0_4arch9wavefront6targetE1EEEvT1_
                                        ; -- End function
	.section	.AMDGPU.csdata,"",@progbits
; Kernel info:
; codeLenInByte = 0
; NumSgprs: 6
; NumVgprs: 0
; NumAgprs: 0
; TotalNumVgprs: 0
; ScratchSize: 0
; MemoryBound: 0
; FloatMode: 240
; IeeeMode: 1
; LDSByteSize: 0 bytes/workgroup (compile time only)
; SGPRBlocks: 0
; VGPRBlocks: 0
; NumSGPRsForWavesPerEU: 6
; NumVGPRsForWavesPerEU: 1
; AccumOffset: 4
; Occupancy: 8
; WaveLimiterHint : 0
; COMPUTE_PGM_RSRC2:SCRATCH_EN: 0
; COMPUTE_PGM_RSRC2:USER_SGPR: 2
; COMPUTE_PGM_RSRC2:TRAP_HANDLER: 0
; COMPUTE_PGM_RSRC2:TGID_X_EN: 1
; COMPUTE_PGM_RSRC2:TGID_Y_EN: 0
; COMPUTE_PGM_RSRC2:TGID_Z_EN: 0
; COMPUTE_PGM_RSRC2:TIDIG_COMP_CNT: 0
; COMPUTE_PGM_RSRC3_GFX90A:ACCUM_OFFSET: 0
; COMPUTE_PGM_RSRC3_GFX90A:TG_SPLIT: 0
	.section	.text._ZN7rocprim17ROCPRIM_400000_NS6detail17trampoline_kernelINS0_14default_configENS1_27scan_by_key_config_selectorIxxEEZZNS1_16scan_by_key_implILNS1_25lookback_scan_determinismE0ELb0ES3_N6thrust23THRUST_200600_302600_NS6detail15normal_iteratorINS9_10device_ptrIxEEEESE_SE_xNS9_4plusIvEENS9_8equal_toIxEExEE10hipError_tPvRmT2_T3_T4_T5_mT6_T7_P12ihipStream_tbENKUlT_T0_E_clISt17integral_constantIbLb1EESY_IbLb0EEEEDaSU_SV_EUlSU_E_NS1_11comp_targetILNS1_3genE3ELNS1_11target_archE908ELNS1_3gpuE7ELNS1_3repE0EEENS1_30default_config_static_selectorELNS0_4arch9wavefront6targetE1EEEvT1_,"axG",@progbits,_ZN7rocprim17ROCPRIM_400000_NS6detail17trampoline_kernelINS0_14default_configENS1_27scan_by_key_config_selectorIxxEEZZNS1_16scan_by_key_implILNS1_25lookback_scan_determinismE0ELb0ES3_N6thrust23THRUST_200600_302600_NS6detail15normal_iteratorINS9_10device_ptrIxEEEESE_SE_xNS9_4plusIvEENS9_8equal_toIxEExEE10hipError_tPvRmT2_T3_T4_T5_mT6_T7_P12ihipStream_tbENKUlT_T0_E_clISt17integral_constantIbLb1EESY_IbLb0EEEEDaSU_SV_EUlSU_E_NS1_11comp_targetILNS1_3genE3ELNS1_11target_archE908ELNS1_3gpuE7ELNS1_3repE0EEENS1_30default_config_static_selectorELNS0_4arch9wavefront6targetE1EEEvT1_,comdat
	.protected	_ZN7rocprim17ROCPRIM_400000_NS6detail17trampoline_kernelINS0_14default_configENS1_27scan_by_key_config_selectorIxxEEZZNS1_16scan_by_key_implILNS1_25lookback_scan_determinismE0ELb0ES3_N6thrust23THRUST_200600_302600_NS6detail15normal_iteratorINS9_10device_ptrIxEEEESE_SE_xNS9_4plusIvEENS9_8equal_toIxEExEE10hipError_tPvRmT2_T3_T4_T5_mT6_T7_P12ihipStream_tbENKUlT_T0_E_clISt17integral_constantIbLb1EESY_IbLb0EEEEDaSU_SV_EUlSU_E_NS1_11comp_targetILNS1_3genE3ELNS1_11target_archE908ELNS1_3gpuE7ELNS1_3repE0EEENS1_30default_config_static_selectorELNS0_4arch9wavefront6targetE1EEEvT1_ ; -- Begin function _ZN7rocprim17ROCPRIM_400000_NS6detail17trampoline_kernelINS0_14default_configENS1_27scan_by_key_config_selectorIxxEEZZNS1_16scan_by_key_implILNS1_25lookback_scan_determinismE0ELb0ES3_N6thrust23THRUST_200600_302600_NS6detail15normal_iteratorINS9_10device_ptrIxEEEESE_SE_xNS9_4plusIvEENS9_8equal_toIxEExEE10hipError_tPvRmT2_T3_T4_T5_mT6_T7_P12ihipStream_tbENKUlT_T0_E_clISt17integral_constantIbLb1EESY_IbLb0EEEEDaSU_SV_EUlSU_E_NS1_11comp_targetILNS1_3genE3ELNS1_11target_archE908ELNS1_3gpuE7ELNS1_3repE0EEENS1_30default_config_static_selectorELNS0_4arch9wavefront6targetE1EEEvT1_
	.globl	_ZN7rocprim17ROCPRIM_400000_NS6detail17trampoline_kernelINS0_14default_configENS1_27scan_by_key_config_selectorIxxEEZZNS1_16scan_by_key_implILNS1_25lookback_scan_determinismE0ELb0ES3_N6thrust23THRUST_200600_302600_NS6detail15normal_iteratorINS9_10device_ptrIxEEEESE_SE_xNS9_4plusIvEENS9_8equal_toIxEExEE10hipError_tPvRmT2_T3_T4_T5_mT6_T7_P12ihipStream_tbENKUlT_T0_E_clISt17integral_constantIbLb1EESY_IbLb0EEEEDaSU_SV_EUlSU_E_NS1_11comp_targetILNS1_3genE3ELNS1_11target_archE908ELNS1_3gpuE7ELNS1_3repE0EEENS1_30default_config_static_selectorELNS0_4arch9wavefront6targetE1EEEvT1_
	.p2align	8
	.type	_ZN7rocprim17ROCPRIM_400000_NS6detail17trampoline_kernelINS0_14default_configENS1_27scan_by_key_config_selectorIxxEEZZNS1_16scan_by_key_implILNS1_25lookback_scan_determinismE0ELb0ES3_N6thrust23THRUST_200600_302600_NS6detail15normal_iteratorINS9_10device_ptrIxEEEESE_SE_xNS9_4plusIvEENS9_8equal_toIxEExEE10hipError_tPvRmT2_T3_T4_T5_mT6_T7_P12ihipStream_tbENKUlT_T0_E_clISt17integral_constantIbLb1EESY_IbLb0EEEEDaSU_SV_EUlSU_E_NS1_11comp_targetILNS1_3genE3ELNS1_11target_archE908ELNS1_3gpuE7ELNS1_3repE0EEENS1_30default_config_static_selectorELNS0_4arch9wavefront6targetE1EEEvT1_,@function
_ZN7rocprim17ROCPRIM_400000_NS6detail17trampoline_kernelINS0_14default_configENS1_27scan_by_key_config_selectorIxxEEZZNS1_16scan_by_key_implILNS1_25lookback_scan_determinismE0ELb0ES3_N6thrust23THRUST_200600_302600_NS6detail15normal_iteratorINS9_10device_ptrIxEEEESE_SE_xNS9_4plusIvEENS9_8equal_toIxEExEE10hipError_tPvRmT2_T3_T4_T5_mT6_T7_P12ihipStream_tbENKUlT_T0_E_clISt17integral_constantIbLb1EESY_IbLb0EEEEDaSU_SV_EUlSU_E_NS1_11comp_targetILNS1_3genE3ELNS1_11target_archE908ELNS1_3gpuE7ELNS1_3repE0EEENS1_30default_config_static_selectorELNS0_4arch9wavefront6targetE1EEEvT1_: ; @_ZN7rocprim17ROCPRIM_400000_NS6detail17trampoline_kernelINS0_14default_configENS1_27scan_by_key_config_selectorIxxEEZZNS1_16scan_by_key_implILNS1_25lookback_scan_determinismE0ELb0ES3_N6thrust23THRUST_200600_302600_NS6detail15normal_iteratorINS9_10device_ptrIxEEEESE_SE_xNS9_4plusIvEENS9_8equal_toIxEExEE10hipError_tPvRmT2_T3_T4_T5_mT6_T7_P12ihipStream_tbENKUlT_T0_E_clISt17integral_constantIbLb1EESY_IbLb0EEEEDaSU_SV_EUlSU_E_NS1_11comp_targetILNS1_3genE3ELNS1_11target_archE908ELNS1_3gpuE7ELNS1_3repE0EEENS1_30default_config_static_selectorELNS0_4arch9wavefront6targetE1EEEvT1_
; %bb.0:
	.section	.rodata,"a",@progbits
	.p2align	6, 0x0
	.amdhsa_kernel _ZN7rocprim17ROCPRIM_400000_NS6detail17trampoline_kernelINS0_14default_configENS1_27scan_by_key_config_selectorIxxEEZZNS1_16scan_by_key_implILNS1_25lookback_scan_determinismE0ELb0ES3_N6thrust23THRUST_200600_302600_NS6detail15normal_iteratorINS9_10device_ptrIxEEEESE_SE_xNS9_4plusIvEENS9_8equal_toIxEExEE10hipError_tPvRmT2_T3_T4_T5_mT6_T7_P12ihipStream_tbENKUlT_T0_E_clISt17integral_constantIbLb1EESY_IbLb0EEEEDaSU_SV_EUlSU_E_NS1_11comp_targetILNS1_3genE3ELNS1_11target_archE908ELNS1_3gpuE7ELNS1_3repE0EEENS1_30default_config_static_selectorELNS0_4arch9wavefront6targetE1EEEvT1_
		.amdhsa_group_segment_fixed_size 0
		.amdhsa_private_segment_fixed_size 0
		.amdhsa_kernarg_size 136
		.amdhsa_user_sgpr_count 2
		.amdhsa_user_sgpr_dispatch_ptr 0
		.amdhsa_user_sgpr_queue_ptr 0
		.amdhsa_user_sgpr_kernarg_segment_ptr 1
		.amdhsa_user_sgpr_dispatch_id 0
		.amdhsa_user_sgpr_kernarg_preload_length 0
		.amdhsa_user_sgpr_kernarg_preload_offset 0
		.amdhsa_user_sgpr_private_segment_size 0
		.amdhsa_uses_dynamic_stack 0
		.amdhsa_enable_private_segment 0
		.amdhsa_system_sgpr_workgroup_id_x 1
		.amdhsa_system_sgpr_workgroup_id_y 0
		.amdhsa_system_sgpr_workgroup_id_z 0
		.amdhsa_system_sgpr_workgroup_info 0
		.amdhsa_system_vgpr_workitem_id 0
		.amdhsa_next_free_vgpr 1
		.amdhsa_next_free_sgpr 0
		.amdhsa_accum_offset 4
		.amdhsa_reserve_vcc 0
		.amdhsa_float_round_mode_32 0
		.amdhsa_float_round_mode_16_64 0
		.amdhsa_float_denorm_mode_32 3
		.amdhsa_float_denorm_mode_16_64 3
		.amdhsa_dx10_clamp 1
		.amdhsa_ieee_mode 1
		.amdhsa_fp16_overflow 0
		.amdhsa_tg_split 0
		.amdhsa_exception_fp_ieee_invalid_op 0
		.amdhsa_exception_fp_denorm_src 0
		.amdhsa_exception_fp_ieee_div_zero 0
		.amdhsa_exception_fp_ieee_overflow 0
		.amdhsa_exception_fp_ieee_underflow 0
		.amdhsa_exception_fp_ieee_inexact 0
		.amdhsa_exception_int_div_zero 0
	.end_amdhsa_kernel
	.section	.text._ZN7rocprim17ROCPRIM_400000_NS6detail17trampoline_kernelINS0_14default_configENS1_27scan_by_key_config_selectorIxxEEZZNS1_16scan_by_key_implILNS1_25lookback_scan_determinismE0ELb0ES3_N6thrust23THRUST_200600_302600_NS6detail15normal_iteratorINS9_10device_ptrIxEEEESE_SE_xNS9_4plusIvEENS9_8equal_toIxEExEE10hipError_tPvRmT2_T3_T4_T5_mT6_T7_P12ihipStream_tbENKUlT_T0_E_clISt17integral_constantIbLb1EESY_IbLb0EEEEDaSU_SV_EUlSU_E_NS1_11comp_targetILNS1_3genE3ELNS1_11target_archE908ELNS1_3gpuE7ELNS1_3repE0EEENS1_30default_config_static_selectorELNS0_4arch9wavefront6targetE1EEEvT1_,"axG",@progbits,_ZN7rocprim17ROCPRIM_400000_NS6detail17trampoline_kernelINS0_14default_configENS1_27scan_by_key_config_selectorIxxEEZZNS1_16scan_by_key_implILNS1_25lookback_scan_determinismE0ELb0ES3_N6thrust23THRUST_200600_302600_NS6detail15normal_iteratorINS9_10device_ptrIxEEEESE_SE_xNS9_4plusIvEENS9_8equal_toIxEExEE10hipError_tPvRmT2_T3_T4_T5_mT6_T7_P12ihipStream_tbENKUlT_T0_E_clISt17integral_constantIbLb1EESY_IbLb0EEEEDaSU_SV_EUlSU_E_NS1_11comp_targetILNS1_3genE3ELNS1_11target_archE908ELNS1_3gpuE7ELNS1_3repE0EEENS1_30default_config_static_selectorELNS0_4arch9wavefront6targetE1EEEvT1_,comdat
.Lfunc_end105:
	.size	_ZN7rocprim17ROCPRIM_400000_NS6detail17trampoline_kernelINS0_14default_configENS1_27scan_by_key_config_selectorIxxEEZZNS1_16scan_by_key_implILNS1_25lookback_scan_determinismE0ELb0ES3_N6thrust23THRUST_200600_302600_NS6detail15normal_iteratorINS9_10device_ptrIxEEEESE_SE_xNS9_4plusIvEENS9_8equal_toIxEExEE10hipError_tPvRmT2_T3_T4_T5_mT6_T7_P12ihipStream_tbENKUlT_T0_E_clISt17integral_constantIbLb1EESY_IbLb0EEEEDaSU_SV_EUlSU_E_NS1_11comp_targetILNS1_3genE3ELNS1_11target_archE908ELNS1_3gpuE7ELNS1_3repE0EEENS1_30default_config_static_selectorELNS0_4arch9wavefront6targetE1EEEvT1_, .Lfunc_end105-_ZN7rocprim17ROCPRIM_400000_NS6detail17trampoline_kernelINS0_14default_configENS1_27scan_by_key_config_selectorIxxEEZZNS1_16scan_by_key_implILNS1_25lookback_scan_determinismE0ELb0ES3_N6thrust23THRUST_200600_302600_NS6detail15normal_iteratorINS9_10device_ptrIxEEEESE_SE_xNS9_4plusIvEENS9_8equal_toIxEExEE10hipError_tPvRmT2_T3_T4_T5_mT6_T7_P12ihipStream_tbENKUlT_T0_E_clISt17integral_constantIbLb1EESY_IbLb0EEEEDaSU_SV_EUlSU_E_NS1_11comp_targetILNS1_3genE3ELNS1_11target_archE908ELNS1_3gpuE7ELNS1_3repE0EEENS1_30default_config_static_selectorELNS0_4arch9wavefront6targetE1EEEvT1_
                                        ; -- End function
	.section	.AMDGPU.csdata,"",@progbits
; Kernel info:
; codeLenInByte = 0
; NumSgprs: 6
; NumVgprs: 0
; NumAgprs: 0
; TotalNumVgprs: 0
; ScratchSize: 0
; MemoryBound: 0
; FloatMode: 240
; IeeeMode: 1
; LDSByteSize: 0 bytes/workgroup (compile time only)
; SGPRBlocks: 0
; VGPRBlocks: 0
; NumSGPRsForWavesPerEU: 6
; NumVGPRsForWavesPerEU: 1
; AccumOffset: 4
; Occupancy: 8
; WaveLimiterHint : 0
; COMPUTE_PGM_RSRC2:SCRATCH_EN: 0
; COMPUTE_PGM_RSRC2:USER_SGPR: 2
; COMPUTE_PGM_RSRC2:TRAP_HANDLER: 0
; COMPUTE_PGM_RSRC2:TGID_X_EN: 1
; COMPUTE_PGM_RSRC2:TGID_Y_EN: 0
; COMPUTE_PGM_RSRC2:TGID_Z_EN: 0
; COMPUTE_PGM_RSRC2:TIDIG_COMP_CNT: 0
; COMPUTE_PGM_RSRC3_GFX90A:ACCUM_OFFSET: 0
; COMPUTE_PGM_RSRC3_GFX90A:TG_SPLIT: 0
	.section	.text._ZN7rocprim17ROCPRIM_400000_NS6detail17trampoline_kernelINS0_14default_configENS1_27scan_by_key_config_selectorIxxEEZZNS1_16scan_by_key_implILNS1_25lookback_scan_determinismE0ELb0ES3_N6thrust23THRUST_200600_302600_NS6detail15normal_iteratorINS9_10device_ptrIxEEEESE_SE_xNS9_4plusIvEENS9_8equal_toIxEExEE10hipError_tPvRmT2_T3_T4_T5_mT6_T7_P12ihipStream_tbENKUlT_T0_E_clISt17integral_constantIbLb1EESY_IbLb0EEEEDaSU_SV_EUlSU_E_NS1_11comp_targetILNS1_3genE2ELNS1_11target_archE906ELNS1_3gpuE6ELNS1_3repE0EEENS1_30default_config_static_selectorELNS0_4arch9wavefront6targetE1EEEvT1_,"axG",@progbits,_ZN7rocprim17ROCPRIM_400000_NS6detail17trampoline_kernelINS0_14default_configENS1_27scan_by_key_config_selectorIxxEEZZNS1_16scan_by_key_implILNS1_25lookback_scan_determinismE0ELb0ES3_N6thrust23THRUST_200600_302600_NS6detail15normal_iteratorINS9_10device_ptrIxEEEESE_SE_xNS9_4plusIvEENS9_8equal_toIxEExEE10hipError_tPvRmT2_T3_T4_T5_mT6_T7_P12ihipStream_tbENKUlT_T0_E_clISt17integral_constantIbLb1EESY_IbLb0EEEEDaSU_SV_EUlSU_E_NS1_11comp_targetILNS1_3genE2ELNS1_11target_archE906ELNS1_3gpuE6ELNS1_3repE0EEENS1_30default_config_static_selectorELNS0_4arch9wavefront6targetE1EEEvT1_,comdat
	.protected	_ZN7rocprim17ROCPRIM_400000_NS6detail17trampoline_kernelINS0_14default_configENS1_27scan_by_key_config_selectorIxxEEZZNS1_16scan_by_key_implILNS1_25lookback_scan_determinismE0ELb0ES3_N6thrust23THRUST_200600_302600_NS6detail15normal_iteratorINS9_10device_ptrIxEEEESE_SE_xNS9_4plusIvEENS9_8equal_toIxEExEE10hipError_tPvRmT2_T3_T4_T5_mT6_T7_P12ihipStream_tbENKUlT_T0_E_clISt17integral_constantIbLb1EESY_IbLb0EEEEDaSU_SV_EUlSU_E_NS1_11comp_targetILNS1_3genE2ELNS1_11target_archE906ELNS1_3gpuE6ELNS1_3repE0EEENS1_30default_config_static_selectorELNS0_4arch9wavefront6targetE1EEEvT1_ ; -- Begin function _ZN7rocprim17ROCPRIM_400000_NS6detail17trampoline_kernelINS0_14default_configENS1_27scan_by_key_config_selectorIxxEEZZNS1_16scan_by_key_implILNS1_25lookback_scan_determinismE0ELb0ES3_N6thrust23THRUST_200600_302600_NS6detail15normal_iteratorINS9_10device_ptrIxEEEESE_SE_xNS9_4plusIvEENS9_8equal_toIxEExEE10hipError_tPvRmT2_T3_T4_T5_mT6_T7_P12ihipStream_tbENKUlT_T0_E_clISt17integral_constantIbLb1EESY_IbLb0EEEEDaSU_SV_EUlSU_E_NS1_11comp_targetILNS1_3genE2ELNS1_11target_archE906ELNS1_3gpuE6ELNS1_3repE0EEENS1_30default_config_static_selectorELNS0_4arch9wavefront6targetE1EEEvT1_
	.globl	_ZN7rocprim17ROCPRIM_400000_NS6detail17trampoline_kernelINS0_14default_configENS1_27scan_by_key_config_selectorIxxEEZZNS1_16scan_by_key_implILNS1_25lookback_scan_determinismE0ELb0ES3_N6thrust23THRUST_200600_302600_NS6detail15normal_iteratorINS9_10device_ptrIxEEEESE_SE_xNS9_4plusIvEENS9_8equal_toIxEExEE10hipError_tPvRmT2_T3_T4_T5_mT6_T7_P12ihipStream_tbENKUlT_T0_E_clISt17integral_constantIbLb1EESY_IbLb0EEEEDaSU_SV_EUlSU_E_NS1_11comp_targetILNS1_3genE2ELNS1_11target_archE906ELNS1_3gpuE6ELNS1_3repE0EEENS1_30default_config_static_selectorELNS0_4arch9wavefront6targetE1EEEvT1_
	.p2align	8
	.type	_ZN7rocprim17ROCPRIM_400000_NS6detail17trampoline_kernelINS0_14default_configENS1_27scan_by_key_config_selectorIxxEEZZNS1_16scan_by_key_implILNS1_25lookback_scan_determinismE0ELb0ES3_N6thrust23THRUST_200600_302600_NS6detail15normal_iteratorINS9_10device_ptrIxEEEESE_SE_xNS9_4plusIvEENS9_8equal_toIxEExEE10hipError_tPvRmT2_T3_T4_T5_mT6_T7_P12ihipStream_tbENKUlT_T0_E_clISt17integral_constantIbLb1EESY_IbLb0EEEEDaSU_SV_EUlSU_E_NS1_11comp_targetILNS1_3genE2ELNS1_11target_archE906ELNS1_3gpuE6ELNS1_3repE0EEENS1_30default_config_static_selectorELNS0_4arch9wavefront6targetE1EEEvT1_,@function
_ZN7rocprim17ROCPRIM_400000_NS6detail17trampoline_kernelINS0_14default_configENS1_27scan_by_key_config_selectorIxxEEZZNS1_16scan_by_key_implILNS1_25lookback_scan_determinismE0ELb0ES3_N6thrust23THRUST_200600_302600_NS6detail15normal_iteratorINS9_10device_ptrIxEEEESE_SE_xNS9_4plusIvEENS9_8equal_toIxEExEE10hipError_tPvRmT2_T3_T4_T5_mT6_T7_P12ihipStream_tbENKUlT_T0_E_clISt17integral_constantIbLb1EESY_IbLb0EEEEDaSU_SV_EUlSU_E_NS1_11comp_targetILNS1_3genE2ELNS1_11target_archE906ELNS1_3gpuE6ELNS1_3repE0EEENS1_30default_config_static_selectorELNS0_4arch9wavefront6targetE1EEEvT1_: ; @_ZN7rocprim17ROCPRIM_400000_NS6detail17trampoline_kernelINS0_14default_configENS1_27scan_by_key_config_selectorIxxEEZZNS1_16scan_by_key_implILNS1_25lookback_scan_determinismE0ELb0ES3_N6thrust23THRUST_200600_302600_NS6detail15normal_iteratorINS9_10device_ptrIxEEEESE_SE_xNS9_4plusIvEENS9_8equal_toIxEExEE10hipError_tPvRmT2_T3_T4_T5_mT6_T7_P12ihipStream_tbENKUlT_T0_E_clISt17integral_constantIbLb1EESY_IbLb0EEEEDaSU_SV_EUlSU_E_NS1_11comp_targetILNS1_3genE2ELNS1_11target_archE906ELNS1_3gpuE6ELNS1_3repE0EEENS1_30default_config_static_selectorELNS0_4arch9wavefront6targetE1EEEvT1_
; %bb.0:
	.section	.rodata,"a",@progbits
	.p2align	6, 0x0
	.amdhsa_kernel _ZN7rocprim17ROCPRIM_400000_NS6detail17trampoline_kernelINS0_14default_configENS1_27scan_by_key_config_selectorIxxEEZZNS1_16scan_by_key_implILNS1_25lookback_scan_determinismE0ELb0ES3_N6thrust23THRUST_200600_302600_NS6detail15normal_iteratorINS9_10device_ptrIxEEEESE_SE_xNS9_4plusIvEENS9_8equal_toIxEExEE10hipError_tPvRmT2_T3_T4_T5_mT6_T7_P12ihipStream_tbENKUlT_T0_E_clISt17integral_constantIbLb1EESY_IbLb0EEEEDaSU_SV_EUlSU_E_NS1_11comp_targetILNS1_3genE2ELNS1_11target_archE906ELNS1_3gpuE6ELNS1_3repE0EEENS1_30default_config_static_selectorELNS0_4arch9wavefront6targetE1EEEvT1_
		.amdhsa_group_segment_fixed_size 0
		.amdhsa_private_segment_fixed_size 0
		.amdhsa_kernarg_size 136
		.amdhsa_user_sgpr_count 2
		.amdhsa_user_sgpr_dispatch_ptr 0
		.amdhsa_user_sgpr_queue_ptr 0
		.amdhsa_user_sgpr_kernarg_segment_ptr 1
		.amdhsa_user_sgpr_dispatch_id 0
		.amdhsa_user_sgpr_kernarg_preload_length 0
		.amdhsa_user_sgpr_kernarg_preload_offset 0
		.amdhsa_user_sgpr_private_segment_size 0
		.amdhsa_uses_dynamic_stack 0
		.amdhsa_enable_private_segment 0
		.amdhsa_system_sgpr_workgroup_id_x 1
		.amdhsa_system_sgpr_workgroup_id_y 0
		.amdhsa_system_sgpr_workgroup_id_z 0
		.amdhsa_system_sgpr_workgroup_info 0
		.amdhsa_system_vgpr_workitem_id 0
		.amdhsa_next_free_vgpr 1
		.amdhsa_next_free_sgpr 0
		.amdhsa_accum_offset 4
		.amdhsa_reserve_vcc 0
		.amdhsa_float_round_mode_32 0
		.amdhsa_float_round_mode_16_64 0
		.amdhsa_float_denorm_mode_32 3
		.amdhsa_float_denorm_mode_16_64 3
		.amdhsa_dx10_clamp 1
		.amdhsa_ieee_mode 1
		.amdhsa_fp16_overflow 0
		.amdhsa_tg_split 0
		.amdhsa_exception_fp_ieee_invalid_op 0
		.amdhsa_exception_fp_denorm_src 0
		.amdhsa_exception_fp_ieee_div_zero 0
		.amdhsa_exception_fp_ieee_overflow 0
		.amdhsa_exception_fp_ieee_underflow 0
		.amdhsa_exception_fp_ieee_inexact 0
		.amdhsa_exception_int_div_zero 0
	.end_amdhsa_kernel
	.section	.text._ZN7rocprim17ROCPRIM_400000_NS6detail17trampoline_kernelINS0_14default_configENS1_27scan_by_key_config_selectorIxxEEZZNS1_16scan_by_key_implILNS1_25lookback_scan_determinismE0ELb0ES3_N6thrust23THRUST_200600_302600_NS6detail15normal_iteratorINS9_10device_ptrIxEEEESE_SE_xNS9_4plusIvEENS9_8equal_toIxEExEE10hipError_tPvRmT2_T3_T4_T5_mT6_T7_P12ihipStream_tbENKUlT_T0_E_clISt17integral_constantIbLb1EESY_IbLb0EEEEDaSU_SV_EUlSU_E_NS1_11comp_targetILNS1_3genE2ELNS1_11target_archE906ELNS1_3gpuE6ELNS1_3repE0EEENS1_30default_config_static_selectorELNS0_4arch9wavefront6targetE1EEEvT1_,"axG",@progbits,_ZN7rocprim17ROCPRIM_400000_NS6detail17trampoline_kernelINS0_14default_configENS1_27scan_by_key_config_selectorIxxEEZZNS1_16scan_by_key_implILNS1_25lookback_scan_determinismE0ELb0ES3_N6thrust23THRUST_200600_302600_NS6detail15normal_iteratorINS9_10device_ptrIxEEEESE_SE_xNS9_4plusIvEENS9_8equal_toIxEExEE10hipError_tPvRmT2_T3_T4_T5_mT6_T7_P12ihipStream_tbENKUlT_T0_E_clISt17integral_constantIbLb1EESY_IbLb0EEEEDaSU_SV_EUlSU_E_NS1_11comp_targetILNS1_3genE2ELNS1_11target_archE906ELNS1_3gpuE6ELNS1_3repE0EEENS1_30default_config_static_selectorELNS0_4arch9wavefront6targetE1EEEvT1_,comdat
.Lfunc_end106:
	.size	_ZN7rocprim17ROCPRIM_400000_NS6detail17trampoline_kernelINS0_14default_configENS1_27scan_by_key_config_selectorIxxEEZZNS1_16scan_by_key_implILNS1_25lookback_scan_determinismE0ELb0ES3_N6thrust23THRUST_200600_302600_NS6detail15normal_iteratorINS9_10device_ptrIxEEEESE_SE_xNS9_4plusIvEENS9_8equal_toIxEExEE10hipError_tPvRmT2_T3_T4_T5_mT6_T7_P12ihipStream_tbENKUlT_T0_E_clISt17integral_constantIbLb1EESY_IbLb0EEEEDaSU_SV_EUlSU_E_NS1_11comp_targetILNS1_3genE2ELNS1_11target_archE906ELNS1_3gpuE6ELNS1_3repE0EEENS1_30default_config_static_selectorELNS0_4arch9wavefront6targetE1EEEvT1_, .Lfunc_end106-_ZN7rocprim17ROCPRIM_400000_NS6detail17trampoline_kernelINS0_14default_configENS1_27scan_by_key_config_selectorIxxEEZZNS1_16scan_by_key_implILNS1_25lookback_scan_determinismE0ELb0ES3_N6thrust23THRUST_200600_302600_NS6detail15normal_iteratorINS9_10device_ptrIxEEEESE_SE_xNS9_4plusIvEENS9_8equal_toIxEExEE10hipError_tPvRmT2_T3_T4_T5_mT6_T7_P12ihipStream_tbENKUlT_T0_E_clISt17integral_constantIbLb1EESY_IbLb0EEEEDaSU_SV_EUlSU_E_NS1_11comp_targetILNS1_3genE2ELNS1_11target_archE906ELNS1_3gpuE6ELNS1_3repE0EEENS1_30default_config_static_selectorELNS0_4arch9wavefront6targetE1EEEvT1_
                                        ; -- End function
	.section	.AMDGPU.csdata,"",@progbits
; Kernel info:
; codeLenInByte = 0
; NumSgprs: 6
; NumVgprs: 0
; NumAgprs: 0
; TotalNumVgprs: 0
; ScratchSize: 0
; MemoryBound: 0
; FloatMode: 240
; IeeeMode: 1
; LDSByteSize: 0 bytes/workgroup (compile time only)
; SGPRBlocks: 0
; VGPRBlocks: 0
; NumSGPRsForWavesPerEU: 6
; NumVGPRsForWavesPerEU: 1
; AccumOffset: 4
; Occupancy: 8
; WaveLimiterHint : 0
; COMPUTE_PGM_RSRC2:SCRATCH_EN: 0
; COMPUTE_PGM_RSRC2:USER_SGPR: 2
; COMPUTE_PGM_RSRC2:TRAP_HANDLER: 0
; COMPUTE_PGM_RSRC2:TGID_X_EN: 1
; COMPUTE_PGM_RSRC2:TGID_Y_EN: 0
; COMPUTE_PGM_RSRC2:TGID_Z_EN: 0
; COMPUTE_PGM_RSRC2:TIDIG_COMP_CNT: 0
; COMPUTE_PGM_RSRC3_GFX90A:ACCUM_OFFSET: 0
; COMPUTE_PGM_RSRC3_GFX90A:TG_SPLIT: 0
	.section	.text._ZN7rocprim17ROCPRIM_400000_NS6detail17trampoline_kernelINS0_14default_configENS1_27scan_by_key_config_selectorIxxEEZZNS1_16scan_by_key_implILNS1_25lookback_scan_determinismE0ELb0ES3_N6thrust23THRUST_200600_302600_NS6detail15normal_iteratorINS9_10device_ptrIxEEEESE_SE_xNS9_4plusIvEENS9_8equal_toIxEExEE10hipError_tPvRmT2_T3_T4_T5_mT6_T7_P12ihipStream_tbENKUlT_T0_E_clISt17integral_constantIbLb1EESY_IbLb0EEEEDaSU_SV_EUlSU_E_NS1_11comp_targetILNS1_3genE10ELNS1_11target_archE1200ELNS1_3gpuE4ELNS1_3repE0EEENS1_30default_config_static_selectorELNS0_4arch9wavefront6targetE1EEEvT1_,"axG",@progbits,_ZN7rocprim17ROCPRIM_400000_NS6detail17trampoline_kernelINS0_14default_configENS1_27scan_by_key_config_selectorIxxEEZZNS1_16scan_by_key_implILNS1_25lookback_scan_determinismE0ELb0ES3_N6thrust23THRUST_200600_302600_NS6detail15normal_iteratorINS9_10device_ptrIxEEEESE_SE_xNS9_4plusIvEENS9_8equal_toIxEExEE10hipError_tPvRmT2_T3_T4_T5_mT6_T7_P12ihipStream_tbENKUlT_T0_E_clISt17integral_constantIbLb1EESY_IbLb0EEEEDaSU_SV_EUlSU_E_NS1_11comp_targetILNS1_3genE10ELNS1_11target_archE1200ELNS1_3gpuE4ELNS1_3repE0EEENS1_30default_config_static_selectorELNS0_4arch9wavefront6targetE1EEEvT1_,comdat
	.protected	_ZN7rocprim17ROCPRIM_400000_NS6detail17trampoline_kernelINS0_14default_configENS1_27scan_by_key_config_selectorIxxEEZZNS1_16scan_by_key_implILNS1_25lookback_scan_determinismE0ELb0ES3_N6thrust23THRUST_200600_302600_NS6detail15normal_iteratorINS9_10device_ptrIxEEEESE_SE_xNS9_4plusIvEENS9_8equal_toIxEExEE10hipError_tPvRmT2_T3_T4_T5_mT6_T7_P12ihipStream_tbENKUlT_T0_E_clISt17integral_constantIbLb1EESY_IbLb0EEEEDaSU_SV_EUlSU_E_NS1_11comp_targetILNS1_3genE10ELNS1_11target_archE1200ELNS1_3gpuE4ELNS1_3repE0EEENS1_30default_config_static_selectorELNS0_4arch9wavefront6targetE1EEEvT1_ ; -- Begin function _ZN7rocprim17ROCPRIM_400000_NS6detail17trampoline_kernelINS0_14default_configENS1_27scan_by_key_config_selectorIxxEEZZNS1_16scan_by_key_implILNS1_25lookback_scan_determinismE0ELb0ES3_N6thrust23THRUST_200600_302600_NS6detail15normal_iteratorINS9_10device_ptrIxEEEESE_SE_xNS9_4plusIvEENS9_8equal_toIxEExEE10hipError_tPvRmT2_T3_T4_T5_mT6_T7_P12ihipStream_tbENKUlT_T0_E_clISt17integral_constantIbLb1EESY_IbLb0EEEEDaSU_SV_EUlSU_E_NS1_11comp_targetILNS1_3genE10ELNS1_11target_archE1200ELNS1_3gpuE4ELNS1_3repE0EEENS1_30default_config_static_selectorELNS0_4arch9wavefront6targetE1EEEvT1_
	.globl	_ZN7rocprim17ROCPRIM_400000_NS6detail17trampoline_kernelINS0_14default_configENS1_27scan_by_key_config_selectorIxxEEZZNS1_16scan_by_key_implILNS1_25lookback_scan_determinismE0ELb0ES3_N6thrust23THRUST_200600_302600_NS6detail15normal_iteratorINS9_10device_ptrIxEEEESE_SE_xNS9_4plusIvEENS9_8equal_toIxEExEE10hipError_tPvRmT2_T3_T4_T5_mT6_T7_P12ihipStream_tbENKUlT_T0_E_clISt17integral_constantIbLb1EESY_IbLb0EEEEDaSU_SV_EUlSU_E_NS1_11comp_targetILNS1_3genE10ELNS1_11target_archE1200ELNS1_3gpuE4ELNS1_3repE0EEENS1_30default_config_static_selectorELNS0_4arch9wavefront6targetE1EEEvT1_
	.p2align	8
	.type	_ZN7rocprim17ROCPRIM_400000_NS6detail17trampoline_kernelINS0_14default_configENS1_27scan_by_key_config_selectorIxxEEZZNS1_16scan_by_key_implILNS1_25lookback_scan_determinismE0ELb0ES3_N6thrust23THRUST_200600_302600_NS6detail15normal_iteratorINS9_10device_ptrIxEEEESE_SE_xNS9_4plusIvEENS9_8equal_toIxEExEE10hipError_tPvRmT2_T3_T4_T5_mT6_T7_P12ihipStream_tbENKUlT_T0_E_clISt17integral_constantIbLb1EESY_IbLb0EEEEDaSU_SV_EUlSU_E_NS1_11comp_targetILNS1_3genE10ELNS1_11target_archE1200ELNS1_3gpuE4ELNS1_3repE0EEENS1_30default_config_static_selectorELNS0_4arch9wavefront6targetE1EEEvT1_,@function
_ZN7rocprim17ROCPRIM_400000_NS6detail17trampoline_kernelINS0_14default_configENS1_27scan_by_key_config_selectorIxxEEZZNS1_16scan_by_key_implILNS1_25lookback_scan_determinismE0ELb0ES3_N6thrust23THRUST_200600_302600_NS6detail15normal_iteratorINS9_10device_ptrIxEEEESE_SE_xNS9_4plusIvEENS9_8equal_toIxEExEE10hipError_tPvRmT2_T3_T4_T5_mT6_T7_P12ihipStream_tbENKUlT_T0_E_clISt17integral_constantIbLb1EESY_IbLb0EEEEDaSU_SV_EUlSU_E_NS1_11comp_targetILNS1_3genE10ELNS1_11target_archE1200ELNS1_3gpuE4ELNS1_3repE0EEENS1_30default_config_static_selectorELNS0_4arch9wavefront6targetE1EEEvT1_: ; @_ZN7rocprim17ROCPRIM_400000_NS6detail17trampoline_kernelINS0_14default_configENS1_27scan_by_key_config_selectorIxxEEZZNS1_16scan_by_key_implILNS1_25lookback_scan_determinismE0ELb0ES3_N6thrust23THRUST_200600_302600_NS6detail15normal_iteratorINS9_10device_ptrIxEEEESE_SE_xNS9_4plusIvEENS9_8equal_toIxEExEE10hipError_tPvRmT2_T3_T4_T5_mT6_T7_P12ihipStream_tbENKUlT_T0_E_clISt17integral_constantIbLb1EESY_IbLb0EEEEDaSU_SV_EUlSU_E_NS1_11comp_targetILNS1_3genE10ELNS1_11target_archE1200ELNS1_3gpuE4ELNS1_3repE0EEENS1_30default_config_static_selectorELNS0_4arch9wavefront6targetE1EEEvT1_
; %bb.0:
	.section	.rodata,"a",@progbits
	.p2align	6, 0x0
	.amdhsa_kernel _ZN7rocprim17ROCPRIM_400000_NS6detail17trampoline_kernelINS0_14default_configENS1_27scan_by_key_config_selectorIxxEEZZNS1_16scan_by_key_implILNS1_25lookback_scan_determinismE0ELb0ES3_N6thrust23THRUST_200600_302600_NS6detail15normal_iteratorINS9_10device_ptrIxEEEESE_SE_xNS9_4plusIvEENS9_8equal_toIxEExEE10hipError_tPvRmT2_T3_T4_T5_mT6_T7_P12ihipStream_tbENKUlT_T0_E_clISt17integral_constantIbLb1EESY_IbLb0EEEEDaSU_SV_EUlSU_E_NS1_11comp_targetILNS1_3genE10ELNS1_11target_archE1200ELNS1_3gpuE4ELNS1_3repE0EEENS1_30default_config_static_selectorELNS0_4arch9wavefront6targetE1EEEvT1_
		.amdhsa_group_segment_fixed_size 0
		.amdhsa_private_segment_fixed_size 0
		.amdhsa_kernarg_size 136
		.amdhsa_user_sgpr_count 2
		.amdhsa_user_sgpr_dispatch_ptr 0
		.amdhsa_user_sgpr_queue_ptr 0
		.amdhsa_user_sgpr_kernarg_segment_ptr 1
		.amdhsa_user_sgpr_dispatch_id 0
		.amdhsa_user_sgpr_kernarg_preload_length 0
		.amdhsa_user_sgpr_kernarg_preload_offset 0
		.amdhsa_user_sgpr_private_segment_size 0
		.amdhsa_uses_dynamic_stack 0
		.amdhsa_enable_private_segment 0
		.amdhsa_system_sgpr_workgroup_id_x 1
		.amdhsa_system_sgpr_workgroup_id_y 0
		.amdhsa_system_sgpr_workgroup_id_z 0
		.amdhsa_system_sgpr_workgroup_info 0
		.amdhsa_system_vgpr_workitem_id 0
		.amdhsa_next_free_vgpr 1
		.amdhsa_next_free_sgpr 0
		.amdhsa_accum_offset 4
		.amdhsa_reserve_vcc 0
		.amdhsa_float_round_mode_32 0
		.amdhsa_float_round_mode_16_64 0
		.amdhsa_float_denorm_mode_32 3
		.amdhsa_float_denorm_mode_16_64 3
		.amdhsa_dx10_clamp 1
		.amdhsa_ieee_mode 1
		.amdhsa_fp16_overflow 0
		.amdhsa_tg_split 0
		.amdhsa_exception_fp_ieee_invalid_op 0
		.amdhsa_exception_fp_denorm_src 0
		.amdhsa_exception_fp_ieee_div_zero 0
		.amdhsa_exception_fp_ieee_overflow 0
		.amdhsa_exception_fp_ieee_underflow 0
		.amdhsa_exception_fp_ieee_inexact 0
		.amdhsa_exception_int_div_zero 0
	.end_amdhsa_kernel
	.section	.text._ZN7rocprim17ROCPRIM_400000_NS6detail17trampoline_kernelINS0_14default_configENS1_27scan_by_key_config_selectorIxxEEZZNS1_16scan_by_key_implILNS1_25lookback_scan_determinismE0ELb0ES3_N6thrust23THRUST_200600_302600_NS6detail15normal_iteratorINS9_10device_ptrIxEEEESE_SE_xNS9_4plusIvEENS9_8equal_toIxEExEE10hipError_tPvRmT2_T3_T4_T5_mT6_T7_P12ihipStream_tbENKUlT_T0_E_clISt17integral_constantIbLb1EESY_IbLb0EEEEDaSU_SV_EUlSU_E_NS1_11comp_targetILNS1_3genE10ELNS1_11target_archE1200ELNS1_3gpuE4ELNS1_3repE0EEENS1_30default_config_static_selectorELNS0_4arch9wavefront6targetE1EEEvT1_,"axG",@progbits,_ZN7rocprim17ROCPRIM_400000_NS6detail17trampoline_kernelINS0_14default_configENS1_27scan_by_key_config_selectorIxxEEZZNS1_16scan_by_key_implILNS1_25lookback_scan_determinismE0ELb0ES3_N6thrust23THRUST_200600_302600_NS6detail15normal_iteratorINS9_10device_ptrIxEEEESE_SE_xNS9_4plusIvEENS9_8equal_toIxEExEE10hipError_tPvRmT2_T3_T4_T5_mT6_T7_P12ihipStream_tbENKUlT_T0_E_clISt17integral_constantIbLb1EESY_IbLb0EEEEDaSU_SV_EUlSU_E_NS1_11comp_targetILNS1_3genE10ELNS1_11target_archE1200ELNS1_3gpuE4ELNS1_3repE0EEENS1_30default_config_static_selectorELNS0_4arch9wavefront6targetE1EEEvT1_,comdat
.Lfunc_end107:
	.size	_ZN7rocprim17ROCPRIM_400000_NS6detail17trampoline_kernelINS0_14default_configENS1_27scan_by_key_config_selectorIxxEEZZNS1_16scan_by_key_implILNS1_25lookback_scan_determinismE0ELb0ES3_N6thrust23THRUST_200600_302600_NS6detail15normal_iteratorINS9_10device_ptrIxEEEESE_SE_xNS9_4plusIvEENS9_8equal_toIxEExEE10hipError_tPvRmT2_T3_T4_T5_mT6_T7_P12ihipStream_tbENKUlT_T0_E_clISt17integral_constantIbLb1EESY_IbLb0EEEEDaSU_SV_EUlSU_E_NS1_11comp_targetILNS1_3genE10ELNS1_11target_archE1200ELNS1_3gpuE4ELNS1_3repE0EEENS1_30default_config_static_selectorELNS0_4arch9wavefront6targetE1EEEvT1_, .Lfunc_end107-_ZN7rocprim17ROCPRIM_400000_NS6detail17trampoline_kernelINS0_14default_configENS1_27scan_by_key_config_selectorIxxEEZZNS1_16scan_by_key_implILNS1_25lookback_scan_determinismE0ELb0ES3_N6thrust23THRUST_200600_302600_NS6detail15normal_iteratorINS9_10device_ptrIxEEEESE_SE_xNS9_4plusIvEENS9_8equal_toIxEExEE10hipError_tPvRmT2_T3_T4_T5_mT6_T7_P12ihipStream_tbENKUlT_T0_E_clISt17integral_constantIbLb1EESY_IbLb0EEEEDaSU_SV_EUlSU_E_NS1_11comp_targetILNS1_3genE10ELNS1_11target_archE1200ELNS1_3gpuE4ELNS1_3repE0EEENS1_30default_config_static_selectorELNS0_4arch9wavefront6targetE1EEEvT1_
                                        ; -- End function
	.section	.AMDGPU.csdata,"",@progbits
; Kernel info:
; codeLenInByte = 0
; NumSgprs: 6
; NumVgprs: 0
; NumAgprs: 0
; TotalNumVgprs: 0
; ScratchSize: 0
; MemoryBound: 0
; FloatMode: 240
; IeeeMode: 1
; LDSByteSize: 0 bytes/workgroup (compile time only)
; SGPRBlocks: 0
; VGPRBlocks: 0
; NumSGPRsForWavesPerEU: 6
; NumVGPRsForWavesPerEU: 1
; AccumOffset: 4
; Occupancy: 8
; WaveLimiterHint : 0
; COMPUTE_PGM_RSRC2:SCRATCH_EN: 0
; COMPUTE_PGM_RSRC2:USER_SGPR: 2
; COMPUTE_PGM_RSRC2:TRAP_HANDLER: 0
; COMPUTE_PGM_RSRC2:TGID_X_EN: 1
; COMPUTE_PGM_RSRC2:TGID_Y_EN: 0
; COMPUTE_PGM_RSRC2:TGID_Z_EN: 0
; COMPUTE_PGM_RSRC2:TIDIG_COMP_CNT: 0
; COMPUTE_PGM_RSRC3_GFX90A:ACCUM_OFFSET: 0
; COMPUTE_PGM_RSRC3_GFX90A:TG_SPLIT: 0
	.section	.text._ZN7rocprim17ROCPRIM_400000_NS6detail17trampoline_kernelINS0_14default_configENS1_27scan_by_key_config_selectorIxxEEZZNS1_16scan_by_key_implILNS1_25lookback_scan_determinismE0ELb0ES3_N6thrust23THRUST_200600_302600_NS6detail15normal_iteratorINS9_10device_ptrIxEEEESE_SE_xNS9_4plusIvEENS9_8equal_toIxEExEE10hipError_tPvRmT2_T3_T4_T5_mT6_T7_P12ihipStream_tbENKUlT_T0_E_clISt17integral_constantIbLb1EESY_IbLb0EEEEDaSU_SV_EUlSU_E_NS1_11comp_targetILNS1_3genE9ELNS1_11target_archE1100ELNS1_3gpuE3ELNS1_3repE0EEENS1_30default_config_static_selectorELNS0_4arch9wavefront6targetE1EEEvT1_,"axG",@progbits,_ZN7rocprim17ROCPRIM_400000_NS6detail17trampoline_kernelINS0_14default_configENS1_27scan_by_key_config_selectorIxxEEZZNS1_16scan_by_key_implILNS1_25lookback_scan_determinismE0ELb0ES3_N6thrust23THRUST_200600_302600_NS6detail15normal_iteratorINS9_10device_ptrIxEEEESE_SE_xNS9_4plusIvEENS9_8equal_toIxEExEE10hipError_tPvRmT2_T3_T4_T5_mT6_T7_P12ihipStream_tbENKUlT_T0_E_clISt17integral_constantIbLb1EESY_IbLb0EEEEDaSU_SV_EUlSU_E_NS1_11comp_targetILNS1_3genE9ELNS1_11target_archE1100ELNS1_3gpuE3ELNS1_3repE0EEENS1_30default_config_static_selectorELNS0_4arch9wavefront6targetE1EEEvT1_,comdat
	.protected	_ZN7rocprim17ROCPRIM_400000_NS6detail17trampoline_kernelINS0_14default_configENS1_27scan_by_key_config_selectorIxxEEZZNS1_16scan_by_key_implILNS1_25lookback_scan_determinismE0ELb0ES3_N6thrust23THRUST_200600_302600_NS6detail15normal_iteratorINS9_10device_ptrIxEEEESE_SE_xNS9_4plusIvEENS9_8equal_toIxEExEE10hipError_tPvRmT2_T3_T4_T5_mT6_T7_P12ihipStream_tbENKUlT_T0_E_clISt17integral_constantIbLb1EESY_IbLb0EEEEDaSU_SV_EUlSU_E_NS1_11comp_targetILNS1_3genE9ELNS1_11target_archE1100ELNS1_3gpuE3ELNS1_3repE0EEENS1_30default_config_static_selectorELNS0_4arch9wavefront6targetE1EEEvT1_ ; -- Begin function _ZN7rocprim17ROCPRIM_400000_NS6detail17trampoline_kernelINS0_14default_configENS1_27scan_by_key_config_selectorIxxEEZZNS1_16scan_by_key_implILNS1_25lookback_scan_determinismE0ELb0ES3_N6thrust23THRUST_200600_302600_NS6detail15normal_iteratorINS9_10device_ptrIxEEEESE_SE_xNS9_4plusIvEENS9_8equal_toIxEExEE10hipError_tPvRmT2_T3_T4_T5_mT6_T7_P12ihipStream_tbENKUlT_T0_E_clISt17integral_constantIbLb1EESY_IbLb0EEEEDaSU_SV_EUlSU_E_NS1_11comp_targetILNS1_3genE9ELNS1_11target_archE1100ELNS1_3gpuE3ELNS1_3repE0EEENS1_30default_config_static_selectorELNS0_4arch9wavefront6targetE1EEEvT1_
	.globl	_ZN7rocprim17ROCPRIM_400000_NS6detail17trampoline_kernelINS0_14default_configENS1_27scan_by_key_config_selectorIxxEEZZNS1_16scan_by_key_implILNS1_25lookback_scan_determinismE0ELb0ES3_N6thrust23THRUST_200600_302600_NS6detail15normal_iteratorINS9_10device_ptrIxEEEESE_SE_xNS9_4plusIvEENS9_8equal_toIxEExEE10hipError_tPvRmT2_T3_T4_T5_mT6_T7_P12ihipStream_tbENKUlT_T0_E_clISt17integral_constantIbLb1EESY_IbLb0EEEEDaSU_SV_EUlSU_E_NS1_11comp_targetILNS1_3genE9ELNS1_11target_archE1100ELNS1_3gpuE3ELNS1_3repE0EEENS1_30default_config_static_selectorELNS0_4arch9wavefront6targetE1EEEvT1_
	.p2align	8
	.type	_ZN7rocprim17ROCPRIM_400000_NS6detail17trampoline_kernelINS0_14default_configENS1_27scan_by_key_config_selectorIxxEEZZNS1_16scan_by_key_implILNS1_25lookback_scan_determinismE0ELb0ES3_N6thrust23THRUST_200600_302600_NS6detail15normal_iteratorINS9_10device_ptrIxEEEESE_SE_xNS9_4plusIvEENS9_8equal_toIxEExEE10hipError_tPvRmT2_T3_T4_T5_mT6_T7_P12ihipStream_tbENKUlT_T0_E_clISt17integral_constantIbLb1EESY_IbLb0EEEEDaSU_SV_EUlSU_E_NS1_11comp_targetILNS1_3genE9ELNS1_11target_archE1100ELNS1_3gpuE3ELNS1_3repE0EEENS1_30default_config_static_selectorELNS0_4arch9wavefront6targetE1EEEvT1_,@function
_ZN7rocprim17ROCPRIM_400000_NS6detail17trampoline_kernelINS0_14default_configENS1_27scan_by_key_config_selectorIxxEEZZNS1_16scan_by_key_implILNS1_25lookback_scan_determinismE0ELb0ES3_N6thrust23THRUST_200600_302600_NS6detail15normal_iteratorINS9_10device_ptrIxEEEESE_SE_xNS9_4plusIvEENS9_8equal_toIxEExEE10hipError_tPvRmT2_T3_T4_T5_mT6_T7_P12ihipStream_tbENKUlT_T0_E_clISt17integral_constantIbLb1EESY_IbLb0EEEEDaSU_SV_EUlSU_E_NS1_11comp_targetILNS1_3genE9ELNS1_11target_archE1100ELNS1_3gpuE3ELNS1_3repE0EEENS1_30default_config_static_selectorELNS0_4arch9wavefront6targetE1EEEvT1_: ; @_ZN7rocprim17ROCPRIM_400000_NS6detail17trampoline_kernelINS0_14default_configENS1_27scan_by_key_config_selectorIxxEEZZNS1_16scan_by_key_implILNS1_25lookback_scan_determinismE0ELb0ES3_N6thrust23THRUST_200600_302600_NS6detail15normal_iteratorINS9_10device_ptrIxEEEESE_SE_xNS9_4plusIvEENS9_8equal_toIxEExEE10hipError_tPvRmT2_T3_T4_T5_mT6_T7_P12ihipStream_tbENKUlT_T0_E_clISt17integral_constantIbLb1EESY_IbLb0EEEEDaSU_SV_EUlSU_E_NS1_11comp_targetILNS1_3genE9ELNS1_11target_archE1100ELNS1_3gpuE3ELNS1_3repE0EEENS1_30default_config_static_selectorELNS0_4arch9wavefront6targetE1EEEvT1_
; %bb.0:
	.section	.rodata,"a",@progbits
	.p2align	6, 0x0
	.amdhsa_kernel _ZN7rocprim17ROCPRIM_400000_NS6detail17trampoline_kernelINS0_14default_configENS1_27scan_by_key_config_selectorIxxEEZZNS1_16scan_by_key_implILNS1_25lookback_scan_determinismE0ELb0ES3_N6thrust23THRUST_200600_302600_NS6detail15normal_iteratorINS9_10device_ptrIxEEEESE_SE_xNS9_4plusIvEENS9_8equal_toIxEExEE10hipError_tPvRmT2_T3_T4_T5_mT6_T7_P12ihipStream_tbENKUlT_T0_E_clISt17integral_constantIbLb1EESY_IbLb0EEEEDaSU_SV_EUlSU_E_NS1_11comp_targetILNS1_3genE9ELNS1_11target_archE1100ELNS1_3gpuE3ELNS1_3repE0EEENS1_30default_config_static_selectorELNS0_4arch9wavefront6targetE1EEEvT1_
		.amdhsa_group_segment_fixed_size 0
		.amdhsa_private_segment_fixed_size 0
		.amdhsa_kernarg_size 136
		.amdhsa_user_sgpr_count 2
		.amdhsa_user_sgpr_dispatch_ptr 0
		.amdhsa_user_sgpr_queue_ptr 0
		.amdhsa_user_sgpr_kernarg_segment_ptr 1
		.amdhsa_user_sgpr_dispatch_id 0
		.amdhsa_user_sgpr_kernarg_preload_length 0
		.amdhsa_user_sgpr_kernarg_preload_offset 0
		.amdhsa_user_sgpr_private_segment_size 0
		.amdhsa_uses_dynamic_stack 0
		.amdhsa_enable_private_segment 0
		.amdhsa_system_sgpr_workgroup_id_x 1
		.amdhsa_system_sgpr_workgroup_id_y 0
		.amdhsa_system_sgpr_workgroup_id_z 0
		.amdhsa_system_sgpr_workgroup_info 0
		.amdhsa_system_vgpr_workitem_id 0
		.amdhsa_next_free_vgpr 1
		.amdhsa_next_free_sgpr 0
		.amdhsa_accum_offset 4
		.amdhsa_reserve_vcc 0
		.amdhsa_float_round_mode_32 0
		.amdhsa_float_round_mode_16_64 0
		.amdhsa_float_denorm_mode_32 3
		.amdhsa_float_denorm_mode_16_64 3
		.amdhsa_dx10_clamp 1
		.amdhsa_ieee_mode 1
		.amdhsa_fp16_overflow 0
		.amdhsa_tg_split 0
		.amdhsa_exception_fp_ieee_invalid_op 0
		.amdhsa_exception_fp_denorm_src 0
		.amdhsa_exception_fp_ieee_div_zero 0
		.amdhsa_exception_fp_ieee_overflow 0
		.amdhsa_exception_fp_ieee_underflow 0
		.amdhsa_exception_fp_ieee_inexact 0
		.amdhsa_exception_int_div_zero 0
	.end_amdhsa_kernel
	.section	.text._ZN7rocprim17ROCPRIM_400000_NS6detail17trampoline_kernelINS0_14default_configENS1_27scan_by_key_config_selectorIxxEEZZNS1_16scan_by_key_implILNS1_25lookback_scan_determinismE0ELb0ES3_N6thrust23THRUST_200600_302600_NS6detail15normal_iteratorINS9_10device_ptrIxEEEESE_SE_xNS9_4plusIvEENS9_8equal_toIxEExEE10hipError_tPvRmT2_T3_T4_T5_mT6_T7_P12ihipStream_tbENKUlT_T0_E_clISt17integral_constantIbLb1EESY_IbLb0EEEEDaSU_SV_EUlSU_E_NS1_11comp_targetILNS1_3genE9ELNS1_11target_archE1100ELNS1_3gpuE3ELNS1_3repE0EEENS1_30default_config_static_selectorELNS0_4arch9wavefront6targetE1EEEvT1_,"axG",@progbits,_ZN7rocprim17ROCPRIM_400000_NS6detail17trampoline_kernelINS0_14default_configENS1_27scan_by_key_config_selectorIxxEEZZNS1_16scan_by_key_implILNS1_25lookback_scan_determinismE0ELb0ES3_N6thrust23THRUST_200600_302600_NS6detail15normal_iteratorINS9_10device_ptrIxEEEESE_SE_xNS9_4plusIvEENS9_8equal_toIxEExEE10hipError_tPvRmT2_T3_T4_T5_mT6_T7_P12ihipStream_tbENKUlT_T0_E_clISt17integral_constantIbLb1EESY_IbLb0EEEEDaSU_SV_EUlSU_E_NS1_11comp_targetILNS1_3genE9ELNS1_11target_archE1100ELNS1_3gpuE3ELNS1_3repE0EEENS1_30default_config_static_selectorELNS0_4arch9wavefront6targetE1EEEvT1_,comdat
.Lfunc_end108:
	.size	_ZN7rocprim17ROCPRIM_400000_NS6detail17trampoline_kernelINS0_14default_configENS1_27scan_by_key_config_selectorIxxEEZZNS1_16scan_by_key_implILNS1_25lookback_scan_determinismE0ELb0ES3_N6thrust23THRUST_200600_302600_NS6detail15normal_iteratorINS9_10device_ptrIxEEEESE_SE_xNS9_4plusIvEENS9_8equal_toIxEExEE10hipError_tPvRmT2_T3_T4_T5_mT6_T7_P12ihipStream_tbENKUlT_T0_E_clISt17integral_constantIbLb1EESY_IbLb0EEEEDaSU_SV_EUlSU_E_NS1_11comp_targetILNS1_3genE9ELNS1_11target_archE1100ELNS1_3gpuE3ELNS1_3repE0EEENS1_30default_config_static_selectorELNS0_4arch9wavefront6targetE1EEEvT1_, .Lfunc_end108-_ZN7rocprim17ROCPRIM_400000_NS6detail17trampoline_kernelINS0_14default_configENS1_27scan_by_key_config_selectorIxxEEZZNS1_16scan_by_key_implILNS1_25lookback_scan_determinismE0ELb0ES3_N6thrust23THRUST_200600_302600_NS6detail15normal_iteratorINS9_10device_ptrIxEEEESE_SE_xNS9_4plusIvEENS9_8equal_toIxEExEE10hipError_tPvRmT2_T3_T4_T5_mT6_T7_P12ihipStream_tbENKUlT_T0_E_clISt17integral_constantIbLb1EESY_IbLb0EEEEDaSU_SV_EUlSU_E_NS1_11comp_targetILNS1_3genE9ELNS1_11target_archE1100ELNS1_3gpuE3ELNS1_3repE0EEENS1_30default_config_static_selectorELNS0_4arch9wavefront6targetE1EEEvT1_
                                        ; -- End function
	.section	.AMDGPU.csdata,"",@progbits
; Kernel info:
; codeLenInByte = 0
; NumSgprs: 6
; NumVgprs: 0
; NumAgprs: 0
; TotalNumVgprs: 0
; ScratchSize: 0
; MemoryBound: 0
; FloatMode: 240
; IeeeMode: 1
; LDSByteSize: 0 bytes/workgroup (compile time only)
; SGPRBlocks: 0
; VGPRBlocks: 0
; NumSGPRsForWavesPerEU: 6
; NumVGPRsForWavesPerEU: 1
; AccumOffset: 4
; Occupancy: 8
; WaveLimiterHint : 0
; COMPUTE_PGM_RSRC2:SCRATCH_EN: 0
; COMPUTE_PGM_RSRC2:USER_SGPR: 2
; COMPUTE_PGM_RSRC2:TRAP_HANDLER: 0
; COMPUTE_PGM_RSRC2:TGID_X_EN: 1
; COMPUTE_PGM_RSRC2:TGID_Y_EN: 0
; COMPUTE_PGM_RSRC2:TGID_Z_EN: 0
; COMPUTE_PGM_RSRC2:TIDIG_COMP_CNT: 0
; COMPUTE_PGM_RSRC3_GFX90A:ACCUM_OFFSET: 0
; COMPUTE_PGM_RSRC3_GFX90A:TG_SPLIT: 0
	.section	.text._ZN7rocprim17ROCPRIM_400000_NS6detail17trampoline_kernelINS0_14default_configENS1_27scan_by_key_config_selectorIxxEEZZNS1_16scan_by_key_implILNS1_25lookback_scan_determinismE0ELb0ES3_N6thrust23THRUST_200600_302600_NS6detail15normal_iteratorINS9_10device_ptrIxEEEESE_SE_xNS9_4plusIvEENS9_8equal_toIxEExEE10hipError_tPvRmT2_T3_T4_T5_mT6_T7_P12ihipStream_tbENKUlT_T0_E_clISt17integral_constantIbLb1EESY_IbLb0EEEEDaSU_SV_EUlSU_E_NS1_11comp_targetILNS1_3genE8ELNS1_11target_archE1030ELNS1_3gpuE2ELNS1_3repE0EEENS1_30default_config_static_selectorELNS0_4arch9wavefront6targetE1EEEvT1_,"axG",@progbits,_ZN7rocprim17ROCPRIM_400000_NS6detail17trampoline_kernelINS0_14default_configENS1_27scan_by_key_config_selectorIxxEEZZNS1_16scan_by_key_implILNS1_25lookback_scan_determinismE0ELb0ES3_N6thrust23THRUST_200600_302600_NS6detail15normal_iteratorINS9_10device_ptrIxEEEESE_SE_xNS9_4plusIvEENS9_8equal_toIxEExEE10hipError_tPvRmT2_T3_T4_T5_mT6_T7_P12ihipStream_tbENKUlT_T0_E_clISt17integral_constantIbLb1EESY_IbLb0EEEEDaSU_SV_EUlSU_E_NS1_11comp_targetILNS1_3genE8ELNS1_11target_archE1030ELNS1_3gpuE2ELNS1_3repE0EEENS1_30default_config_static_selectorELNS0_4arch9wavefront6targetE1EEEvT1_,comdat
	.protected	_ZN7rocprim17ROCPRIM_400000_NS6detail17trampoline_kernelINS0_14default_configENS1_27scan_by_key_config_selectorIxxEEZZNS1_16scan_by_key_implILNS1_25lookback_scan_determinismE0ELb0ES3_N6thrust23THRUST_200600_302600_NS6detail15normal_iteratorINS9_10device_ptrIxEEEESE_SE_xNS9_4plusIvEENS9_8equal_toIxEExEE10hipError_tPvRmT2_T3_T4_T5_mT6_T7_P12ihipStream_tbENKUlT_T0_E_clISt17integral_constantIbLb1EESY_IbLb0EEEEDaSU_SV_EUlSU_E_NS1_11comp_targetILNS1_3genE8ELNS1_11target_archE1030ELNS1_3gpuE2ELNS1_3repE0EEENS1_30default_config_static_selectorELNS0_4arch9wavefront6targetE1EEEvT1_ ; -- Begin function _ZN7rocprim17ROCPRIM_400000_NS6detail17trampoline_kernelINS0_14default_configENS1_27scan_by_key_config_selectorIxxEEZZNS1_16scan_by_key_implILNS1_25lookback_scan_determinismE0ELb0ES3_N6thrust23THRUST_200600_302600_NS6detail15normal_iteratorINS9_10device_ptrIxEEEESE_SE_xNS9_4plusIvEENS9_8equal_toIxEExEE10hipError_tPvRmT2_T3_T4_T5_mT6_T7_P12ihipStream_tbENKUlT_T0_E_clISt17integral_constantIbLb1EESY_IbLb0EEEEDaSU_SV_EUlSU_E_NS1_11comp_targetILNS1_3genE8ELNS1_11target_archE1030ELNS1_3gpuE2ELNS1_3repE0EEENS1_30default_config_static_selectorELNS0_4arch9wavefront6targetE1EEEvT1_
	.globl	_ZN7rocprim17ROCPRIM_400000_NS6detail17trampoline_kernelINS0_14default_configENS1_27scan_by_key_config_selectorIxxEEZZNS1_16scan_by_key_implILNS1_25lookback_scan_determinismE0ELb0ES3_N6thrust23THRUST_200600_302600_NS6detail15normal_iteratorINS9_10device_ptrIxEEEESE_SE_xNS9_4plusIvEENS9_8equal_toIxEExEE10hipError_tPvRmT2_T3_T4_T5_mT6_T7_P12ihipStream_tbENKUlT_T0_E_clISt17integral_constantIbLb1EESY_IbLb0EEEEDaSU_SV_EUlSU_E_NS1_11comp_targetILNS1_3genE8ELNS1_11target_archE1030ELNS1_3gpuE2ELNS1_3repE0EEENS1_30default_config_static_selectorELNS0_4arch9wavefront6targetE1EEEvT1_
	.p2align	8
	.type	_ZN7rocprim17ROCPRIM_400000_NS6detail17trampoline_kernelINS0_14default_configENS1_27scan_by_key_config_selectorIxxEEZZNS1_16scan_by_key_implILNS1_25lookback_scan_determinismE0ELb0ES3_N6thrust23THRUST_200600_302600_NS6detail15normal_iteratorINS9_10device_ptrIxEEEESE_SE_xNS9_4plusIvEENS9_8equal_toIxEExEE10hipError_tPvRmT2_T3_T4_T5_mT6_T7_P12ihipStream_tbENKUlT_T0_E_clISt17integral_constantIbLb1EESY_IbLb0EEEEDaSU_SV_EUlSU_E_NS1_11comp_targetILNS1_3genE8ELNS1_11target_archE1030ELNS1_3gpuE2ELNS1_3repE0EEENS1_30default_config_static_selectorELNS0_4arch9wavefront6targetE1EEEvT1_,@function
_ZN7rocprim17ROCPRIM_400000_NS6detail17trampoline_kernelINS0_14default_configENS1_27scan_by_key_config_selectorIxxEEZZNS1_16scan_by_key_implILNS1_25lookback_scan_determinismE0ELb0ES3_N6thrust23THRUST_200600_302600_NS6detail15normal_iteratorINS9_10device_ptrIxEEEESE_SE_xNS9_4plusIvEENS9_8equal_toIxEExEE10hipError_tPvRmT2_T3_T4_T5_mT6_T7_P12ihipStream_tbENKUlT_T0_E_clISt17integral_constantIbLb1EESY_IbLb0EEEEDaSU_SV_EUlSU_E_NS1_11comp_targetILNS1_3genE8ELNS1_11target_archE1030ELNS1_3gpuE2ELNS1_3repE0EEENS1_30default_config_static_selectorELNS0_4arch9wavefront6targetE1EEEvT1_: ; @_ZN7rocprim17ROCPRIM_400000_NS6detail17trampoline_kernelINS0_14default_configENS1_27scan_by_key_config_selectorIxxEEZZNS1_16scan_by_key_implILNS1_25lookback_scan_determinismE0ELb0ES3_N6thrust23THRUST_200600_302600_NS6detail15normal_iteratorINS9_10device_ptrIxEEEESE_SE_xNS9_4plusIvEENS9_8equal_toIxEExEE10hipError_tPvRmT2_T3_T4_T5_mT6_T7_P12ihipStream_tbENKUlT_T0_E_clISt17integral_constantIbLb1EESY_IbLb0EEEEDaSU_SV_EUlSU_E_NS1_11comp_targetILNS1_3genE8ELNS1_11target_archE1030ELNS1_3gpuE2ELNS1_3repE0EEENS1_30default_config_static_selectorELNS0_4arch9wavefront6targetE1EEEvT1_
; %bb.0:
	.section	.rodata,"a",@progbits
	.p2align	6, 0x0
	.amdhsa_kernel _ZN7rocprim17ROCPRIM_400000_NS6detail17trampoline_kernelINS0_14default_configENS1_27scan_by_key_config_selectorIxxEEZZNS1_16scan_by_key_implILNS1_25lookback_scan_determinismE0ELb0ES3_N6thrust23THRUST_200600_302600_NS6detail15normal_iteratorINS9_10device_ptrIxEEEESE_SE_xNS9_4plusIvEENS9_8equal_toIxEExEE10hipError_tPvRmT2_T3_T4_T5_mT6_T7_P12ihipStream_tbENKUlT_T0_E_clISt17integral_constantIbLb1EESY_IbLb0EEEEDaSU_SV_EUlSU_E_NS1_11comp_targetILNS1_3genE8ELNS1_11target_archE1030ELNS1_3gpuE2ELNS1_3repE0EEENS1_30default_config_static_selectorELNS0_4arch9wavefront6targetE1EEEvT1_
		.amdhsa_group_segment_fixed_size 0
		.amdhsa_private_segment_fixed_size 0
		.amdhsa_kernarg_size 136
		.amdhsa_user_sgpr_count 2
		.amdhsa_user_sgpr_dispatch_ptr 0
		.amdhsa_user_sgpr_queue_ptr 0
		.amdhsa_user_sgpr_kernarg_segment_ptr 1
		.amdhsa_user_sgpr_dispatch_id 0
		.amdhsa_user_sgpr_kernarg_preload_length 0
		.amdhsa_user_sgpr_kernarg_preload_offset 0
		.amdhsa_user_sgpr_private_segment_size 0
		.amdhsa_uses_dynamic_stack 0
		.amdhsa_enable_private_segment 0
		.amdhsa_system_sgpr_workgroup_id_x 1
		.amdhsa_system_sgpr_workgroup_id_y 0
		.amdhsa_system_sgpr_workgroup_id_z 0
		.amdhsa_system_sgpr_workgroup_info 0
		.amdhsa_system_vgpr_workitem_id 0
		.amdhsa_next_free_vgpr 1
		.amdhsa_next_free_sgpr 0
		.amdhsa_accum_offset 4
		.amdhsa_reserve_vcc 0
		.amdhsa_float_round_mode_32 0
		.amdhsa_float_round_mode_16_64 0
		.amdhsa_float_denorm_mode_32 3
		.amdhsa_float_denorm_mode_16_64 3
		.amdhsa_dx10_clamp 1
		.amdhsa_ieee_mode 1
		.amdhsa_fp16_overflow 0
		.amdhsa_tg_split 0
		.amdhsa_exception_fp_ieee_invalid_op 0
		.amdhsa_exception_fp_denorm_src 0
		.amdhsa_exception_fp_ieee_div_zero 0
		.amdhsa_exception_fp_ieee_overflow 0
		.amdhsa_exception_fp_ieee_underflow 0
		.amdhsa_exception_fp_ieee_inexact 0
		.amdhsa_exception_int_div_zero 0
	.end_amdhsa_kernel
	.section	.text._ZN7rocprim17ROCPRIM_400000_NS6detail17trampoline_kernelINS0_14default_configENS1_27scan_by_key_config_selectorIxxEEZZNS1_16scan_by_key_implILNS1_25lookback_scan_determinismE0ELb0ES3_N6thrust23THRUST_200600_302600_NS6detail15normal_iteratorINS9_10device_ptrIxEEEESE_SE_xNS9_4plusIvEENS9_8equal_toIxEExEE10hipError_tPvRmT2_T3_T4_T5_mT6_T7_P12ihipStream_tbENKUlT_T0_E_clISt17integral_constantIbLb1EESY_IbLb0EEEEDaSU_SV_EUlSU_E_NS1_11comp_targetILNS1_3genE8ELNS1_11target_archE1030ELNS1_3gpuE2ELNS1_3repE0EEENS1_30default_config_static_selectorELNS0_4arch9wavefront6targetE1EEEvT1_,"axG",@progbits,_ZN7rocprim17ROCPRIM_400000_NS6detail17trampoline_kernelINS0_14default_configENS1_27scan_by_key_config_selectorIxxEEZZNS1_16scan_by_key_implILNS1_25lookback_scan_determinismE0ELb0ES3_N6thrust23THRUST_200600_302600_NS6detail15normal_iteratorINS9_10device_ptrIxEEEESE_SE_xNS9_4plusIvEENS9_8equal_toIxEExEE10hipError_tPvRmT2_T3_T4_T5_mT6_T7_P12ihipStream_tbENKUlT_T0_E_clISt17integral_constantIbLb1EESY_IbLb0EEEEDaSU_SV_EUlSU_E_NS1_11comp_targetILNS1_3genE8ELNS1_11target_archE1030ELNS1_3gpuE2ELNS1_3repE0EEENS1_30default_config_static_selectorELNS0_4arch9wavefront6targetE1EEEvT1_,comdat
.Lfunc_end109:
	.size	_ZN7rocprim17ROCPRIM_400000_NS6detail17trampoline_kernelINS0_14default_configENS1_27scan_by_key_config_selectorIxxEEZZNS1_16scan_by_key_implILNS1_25lookback_scan_determinismE0ELb0ES3_N6thrust23THRUST_200600_302600_NS6detail15normal_iteratorINS9_10device_ptrIxEEEESE_SE_xNS9_4plusIvEENS9_8equal_toIxEExEE10hipError_tPvRmT2_T3_T4_T5_mT6_T7_P12ihipStream_tbENKUlT_T0_E_clISt17integral_constantIbLb1EESY_IbLb0EEEEDaSU_SV_EUlSU_E_NS1_11comp_targetILNS1_3genE8ELNS1_11target_archE1030ELNS1_3gpuE2ELNS1_3repE0EEENS1_30default_config_static_selectorELNS0_4arch9wavefront6targetE1EEEvT1_, .Lfunc_end109-_ZN7rocprim17ROCPRIM_400000_NS6detail17trampoline_kernelINS0_14default_configENS1_27scan_by_key_config_selectorIxxEEZZNS1_16scan_by_key_implILNS1_25lookback_scan_determinismE0ELb0ES3_N6thrust23THRUST_200600_302600_NS6detail15normal_iteratorINS9_10device_ptrIxEEEESE_SE_xNS9_4plusIvEENS9_8equal_toIxEExEE10hipError_tPvRmT2_T3_T4_T5_mT6_T7_P12ihipStream_tbENKUlT_T0_E_clISt17integral_constantIbLb1EESY_IbLb0EEEEDaSU_SV_EUlSU_E_NS1_11comp_targetILNS1_3genE8ELNS1_11target_archE1030ELNS1_3gpuE2ELNS1_3repE0EEENS1_30default_config_static_selectorELNS0_4arch9wavefront6targetE1EEEvT1_
                                        ; -- End function
	.section	.AMDGPU.csdata,"",@progbits
; Kernel info:
; codeLenInByte = 0
; NumSgprs: 6
; NumVgprs: 0
; NumAgprs: 0
; TotalNumVgprs: 0
; ScratchSize: 0
; MemoryBound: 0
; FloatMode: 240
; IeeeMode: 1
; LDSByteSize: 0 bytes/workgroup (compile time only)
; SGPRBlocks: 0
; VGPRBlocks: 0
; NumSGPRsForWavesPerEU: 6
; NumVGPRsForWavesPerEU: 1
; AccumOffset: 4
; Occupancy: 8
; WaveLimiterHint : 0
; COMPUTE_PGM_RSRC2:SCRATCH_EN: 0
; COMPUTE_PGM_RSRC2:USER_SGPR: 2
; COMPUTE_PGM_RSRC2:TRAP_HANDLER: 0
; COMPUTE_PGM_RSRC2:TGID_X_EN: 1
; COMPUTE_PGM_RSRC2:TGID_Y_EN: 0
; COMPUTE_PGM_RSRC2:TGID_Z_EN: 0
; COMPUTE_PGM_RSRC2:TIDIG_COMP_CNT: 0
; COMPUTE_PGM_RSRC3_GFX90A:ACCUM_OFFSET: 0
; COMPUTE_PGM_RSRC3_GFX90A:TG_SPLIT: 0
	.section	.text._ZN7rocprim17ROCPRIM_400000_NS6detail17trampoline_kernelINS0_14default_configENS1_27scan_by_key_config_selectorIxxEEZZNS1_16scan_by_key_implILNS1_25lookback_scan_determinismE0ELb0ES3_N6thrust23THRUST_200600_302600_NS6detail15normal_iteratorINS9_10device_ptrIxEEEESE_SE_xNS9_4plusIvEENS9_8equal_toIxEExEE10hipError_tPvRmT2_T3_T4_T5_mT6_T7_P12ihipStream_tbENKUlT_T0_E_clISt17integral_constantIbLb0EESY_IbLb1EEEEDaSU_SV_EUlSU_E_NS1_11comp_targetILNS1_3genE0ELNS1_11target_archE4294967295ELNS1_3gpuE0ELNS1_3repE0EEENS1_30default_config_static_selectorELNS0_4arch9wavefront6targetE1EEEvT1_,"axG",@progbits,_ZN7rocprim17ROCPRIM_400000_NS6detail17trampoline_kernelINS0_14default_configENS1_27scan_by_key_config_selectorIxxEEZZNS1_16scan_by_key_implILNS1_25lookback_scan_determinismE0ELb0ES3_N6thrust23THRUST_200600_302600_NS6detail15normal_iteratorINS9_10device_ptrIxEEEESE_SE_xNS9_4plusIvEENS9_8equal_toIxEExEE10hipError_tPvRmT2_T3_T4_T5_mT6_T7_P12ihipStream_tbENKUlT_T0_E_clISt17integral_constantIbLb0EESY_IbLb1EEEEDaSU_SV_EUlSU_E_NS1_11comp_targetILNS1_3genE0ELNS1_11target_archE4294967295ELNS1_3gpuE0ELNS1_3repE0EEENS1_30default_config_static_selectorELNS0_4arch9wavefront6targetE1EEEvT1_,comdat
	.protected	_ZN7rocprim17ROCPRIM_400000_NS6detail17trampoline_kernelINS0_14default_configENS1_27scan_by_key_config_selectorIxxEEZZNS1_16scan_by_key_implILNS1_25lookback_scan_determinismE0ELb0ES3_N6thrust23THRUST_200600_302600_NS6detail15normal_iteratorINS9_10device_ptrIxEEEESE_SE_xNS9_4plusIvEENS9_8equal_toIxEExEE10hipError_tPvRmT2_T3_T4_T5_mT6_T7_P12ihipStream_tbENKUlT_T0_E_clISt17integral_constantIbLb0EESY_IbLb1EEEEDaSU_SV_EUlSU_E_NS1_11comp_targetILNS1_3genE0ELNS1_11target_archE4294967295ELNS1_3gpuE0ELNS1_3repE0EEENS1_30default_config_static_selectorELNS0_4arch9wavefront6targetE1EEEvT1_ ; -- Begin function _ZN7rocprim17ROCPRIM_400000_NS6detail17trampoline_kernelINS0_14default_configENS1_27scan_by_key_config_selectorIxxEEZZNS1_16scan_by_key_implILNS1_25lookback_scan_determinismE0ELb0ES3_N6thrust23THRUST_200600_302600_NS6detail15normal_iteratorINS9_10device_ptrIxEEEESE_SE_xNS9_4plusIvEENS9_8equal_toIxEExEE10hipError_tPvRmT2_T3_T4_T5_mT6_T7_P12ihipStream_tbENKUlT_T0_E_clISt17integral_constantIbLb0EESY_IbLb1EEEEDaSU_SV_EUlSU_E_NS1_11comp_targetILNS1_3genE0ELNS1_11target_archE4294967295ELNS1_3gpuE0ELNS1_3repE0EEENS1_30default_config_static_selectorELNS0_4arch9wavefront6targetE1EEEvT1_
	.globl	_ZN7rocprim17ROCPRIM_400000_NS6detail17trampoline_kernelINS0_14default_configENS1_27scan_by_key_config_selectorIxxEEZZNS1_16scan_by_key_implILNS1_25lookback_scan_determinismE0ELb0ES3_N6thrust23THRUST_200600_302600_NS6detail15normal_iteratorINS9_10device_ptrIxEEEESE_SE_xNS9_4plusIvEENS9_8equal_toIxEExEE10hipError_tPvRmT2_T3_T4_T5_mT6_T7_P12ihipStream_tbENKUlT_T0_E_clISt17integral_constantIbLb0EESY_IbLb1EEEEDaSU_SV_EUlSU_E_NS1_11comp_targetILNS1_3genE0ELNS1_11target_archE4294967295ELNS1_3gpuE0ELNS1_3repE0EEENS1_30default_config_static_selectorELNS0_4arch9wavefront6targetE1EEEvT1_
	.p2align	8
	.type	_ZN7rocprim17ROCPRIM_400000_NS6detail17trampoline_kernelINS0_14default_configENS1_27scan_by_key_config_selectorIxxEEZZNS1_16scan_by_key_implILNS1_25lookback_scan_determinismE0ELb0ES3_N6thrust23THRUST_200600_302600_NS6detail15normal_iteratorINS9_10device_ptrIxEEEESE_SE_xNS9_4plusIvEENS9_8equal_toIxEExEE10hipError_tPvRmT2_T3_T4_T5_mT6_T7_P12ihipStream_tbENKUlT_T0_E_clISt17integral_constantIbLb0EESY_IbLb1EEEEDaSU_SV_EUlSU_E_NS1_11comp_targetILNS1_3genE0ELNS1_11target_archE4294967295ELNS1_3gpuE0ELNS1_3repE0EEENS1_30default_config_static_selectorELNS0_4arch9wavefront6targetE1EEEvT1_,@function
_ZN7rocprim17ROCPRIM_400000_NS6detail17trampoline_kernelINS0_14default_configENS1_27scan_by_key_config_selectorIxxEEZZNS1_16scan_by_key_implILNS1_25lookback_scan_determinismE0ELb0ES3_N6thrust23THRUST_200600_302600_NS6detail15normal_iteratorINS9_10device_ptrIxEEEESE_SE_xNS9_4plusIvEENS9_8equal_toIxEExEE10hipError_tPvRmT2_T3_T4_T5_mT6_T7_P12ihipStream_tbENKUlT_T0_E_clISt17integral_constantIbLb0EESY_IbLb1EEEEDaSU_SV_EUlSU_E_NS1_11comp_targetILNS1_3genE0ELNS1_11target_archE4294967295ELNS1_3gpuE0ELNS1_3repE0EEENS1_30default_config_static_selectorELNS0_4arch9wavefront6targetE1EEEvT1_: ; @_ZN7rocprim17ROCPRIM_400000_NS6detail17trampoline_kernelINS0_14default_configENS1_27scan_by_key_config_selectorIxxEEZZNS1_16scan_by_key_implILNS1_25lookback_scan_determinismE0ELb0ES3_N6thrust23THRUST_200600_302600_NS6detail15normal_iteratorINS9_10device_ptrIxEEEESE_SE_xNS9_4plusIvEENS9_8equal_toIxEExEE10hipError_tPvRmT2_T3_T4_T5_mT6_T7_P12ihipStream_tbENKUlT_T0_E_clISt17integral_constantIbLb0EESY_IbLb1EEEEDaSU_SV_EUlSU_E_NS1_11comp_targetILNS1_3genE0ELNS1_11target_archE4294967295ELNS1_3gpuE0ELNS1_3repE0EEENS1_30default_config_static_selectorELNS0_4arch9wavefront6targetE1EEEvT1_
; %bb.0:
	.section	.rodata,"a",@progbits
	.p2align	6, 0x0
	.amdhsa_kernel _ZN7rocprim17ROCPRIM_400000_NS6detail17trampoline_kernelINS0_14default_configENS1_27scan_by_key_config_selectorIxxEEZZNS1_16scan_by_key_implILNS1_25lookback_scan_determinismE0ELb0ES3_N6thrust23THRUST_200600_302600_NS6detail15normal_iteratorINS9_10device_ptrIxEEEESE_SE_xNS9_4plusIvEENS9_8equal_toIxEExEE10hipError_tPvRmT2_T3_T4_T5_mT6_T7_P12ihipStream_tbENKUlT_T0_E_clISt17integral_constantIbLb0EESY_IbLb1EEEEDaSU_SV_EUlSU_E_NS1_11comp_targetILNS1_3genE0ELNS1_11target_archE4294967295ELNS1_3gpuE0ELNS1_3repE0EEENS1_30default_config_static_selectorELNS0_4arch9wavefront6targetE1EEEvT1_
		.amdhsa_group_segment_fixed_size 0
		.amdhsa_private_segment_fixed_size 0
		.amdhsa_kernarg_size 136
		.amdhsa_user_sgpr_count 2
		.amdhsa_user_sgpr_dispatch_ptr 0
		.amdhsa_user_sgpr_queue_ptr 0
		.amdhsa_user_sgpr_kernarg_segment_ptr 1
		.amdhsa_user_sgpr_dispatch_id 0
		.amdhsa_user_sgpr_kernarg_preload_length 0
		.amdhsa_user_sgpr_kernarg_preload_offset 0
		.amdhsa_user_sgpr_private_segment_size 0
		.amdhsa_uses_dynamic_stack 0
		.amdhsa_enable_private_segment 0
		.amdhsa_system_sgpr_workgroup_id_x 1
		.amdhsa_system_sgpr_workgroup_id_y 0
		.amdhsa_system_sgpr_workgroup_id_z 0
		.amdhsa_system_sgpr_workgroup_info 0
		.amdhsa_system_vgpr_workitem_id 0
		.amdhsa_next_free_vgpr 1
		.amdhsa_next_free_sgpr 0
		.amdhsa_accum_offset 4
		.amdhsa_reserve_vcc 0
		.amdhsa_float_round_mode_32 0
		.amdhsa_float_round_mode_16_64 0
		.amdhsa_float_denorm_mode_32 3
		.amdhsa_float_denorm_mode_16_64 3
		.amdhsa_dx10_clamp 1
		.amdhsa_ieee_mode 1
		.amdhsa_fp16_overflow 0
		.amdhsa_tg_split 0
		.amdhsa_exception_fp_ieee_invalid_op 0
		.amdhsa_exception_fp_denorm_src 0
		.amdhsa_exception_fp_ieee_div_zero 0
		.amdhsa_exception_fp_ieee_overflow 0
		.amdhsa_exception_fp_ieee_underflow 0
		.amdhsa_exception_fp_ieee_inexact 0
		.amdhsa_exception_int_div_zero 0
	.end_amdhsa_kernel
	.section	.text._ZN7rocprim17ROCPRIM_400000_NS6detail17trampoline_kernelINS0_14default_configENS1_27scan_by_key_config_selectorIxxEEZZNS1_16scan_by_key_implILNS1_25lookback_scan_determinismE0ELb0ES3_N6thrust23THRUST_200600_302600_NS6detail15normal_iteratorINS9_10device_ptrIxEEEESE_SE_xNS9_4plusIvEENS9_8equal_toIxEExEE10hipError_tPvRmT2_T3_T4_T5_mT6_T7_P12ihipStream_tbENKUlT_T0_E_clISt17integral_constantIbLb0EESY_IbLb1EEEEDaSU_SV_EUlSU_E_NS1_11comp_targetILNS1_3genE0ELNS1_11target_archE4294967295ELNS1_3gpuE0ELNS1_3repE0EEENS1_30default_config_static_selectorELNS0_4arch9wavefront6targetE1EEEvT1_,"axG",@progbits,_ZN7rocprim17ROCPRIM_400000_NS6detail17trampoline_kernelINS0_14default_configENS1_27scan_by_key_config_selectorIxxEEZZNS1_16scan_by_key_implILNS1_25lookback_scan_determinismE0ELb0ES3_N6thrust23THRUST_200600_302600_NS6detail15normal_iteratorINS9_10device_ptrIxEEEESE_SE_xNS9_4plusIvEENS9_8equal_toIxEExEE10hipError_tPvRmT2_T3_T4_T5_mT6_T7_P12ihipStream_tbENKUlT_T0_E_clISt17integral_constantIbLb0EESY_IbLb1EEEEDaSU_SV_EUlSU_E_NS1_11comp_targetILNS1_3genE0ELNS1_11target_archE4294967295ELNS1_3gpuE0ELNS1_3repE0EEENS1_30default_config_static_selectorELNS0_4arch9wavefront6targetE1EEEvT1_,comdat
.Lfunc_end110:
	.size	_ZN7rocprim17ROCPRIM_400000_NS6detail17trampoline_kernelINS0_14default_configENS1_27scan_by_key_config_selectorIxxEEZZNS1_16scan_by_key_implILNS1_25lookback_scan_determinismE0ELb0ES3_N6thrust23THRUST_200600_302600_NS6detail15normal_iteratorINS9_10device_ptrIxEEEESE_SE_xNS9_4plusIvEENS9_8equal_toIxEExEE10hipError_tPvRmT2_T3_T4_T5_mT6_T7_P12ihipStream_tbENKUlT_T0_E_clISt17integral_constantIbLb0EESY_IbLb1EEEEDaSU_SV_EUlSU_E_NS1_11comp_targetILNS1_3genE0ELNS1_11target_archE4294967295ELNS1_3gpuE0ELNS1_3repE0EEENS1_30default_config_static_selectorELNS0_4arch9wavefront6targetE1EEEvT1_, .Lfunc_end110-_ZN7rocprim17ROCPRIM_400000_NS6detail17trampoline_kernelINS0_14default_configENS1_27scan_by_key_config_selectorIxxEEZZNS1_16scan_by_key_implILNS1_25lookback_scan_determinismE0ELb0ES3_N6thrust23THRUST_200600_302600_NS6detail15normal_iteratorINS9_10device_ptrIxEEEESE_SE_xNS9_4plusIvEENS9_8equal_toIxEExEE10hipError_tPvRmT2_T3_T4_T5_mT6_T7_P12ihipStream_tbENKUlT_T0_E_clISt17integral_constantIbLb0EESY_IbLb1EEEEDaSU_SV_EUlSU_E_NS1_11comp_targetILNS1_3genE0ELNS1_11target_archE4294967295ELNS1_3gpuE0ELNS1_3repE0EEENS1_30default_config_static_selectorELNS0_4arch9wavefront6targetE1EEEvT1_
                                        ; -- End function
	.section	.AMDGPU.csdata,"",@progbits
; Kernel info:
; codeLenInByte = 0
; NumSgprs: 6
; NumVgprs: 0
; NumAgprs: 0
; TotalNumVgprs: 0
; ScratchSize: 0
; MemoryBound: 0
; FloatMode: 240
; IeeeMode: 1
; LDSByteSize: 0 bytes/workgroup (compile time only)
; SGPRBlocks: 0
; VGPRBlocks: 0
; NumSGPRsForWavesPerEU: 6
; NumVGPRsForWavesPerEU: 1
; AccumOffset: 4
; Occupancy: 8
; WaveLimiterHint : 0
; COMPUTE_PGM_RSRC2:SCRATCH_EN: 0
; COMPUTE_PGM_RSRC2:USER_SGPR: 2
; COMPUTE_PGM_RSRC2:TRAP_HANDLER: 0
; COMPUTE_PGM_RSRC2:TGID_X_EN: 1
; COMPUTE_PGM_RSRC2:TGID_Y_EN: 0
; COMPUTE_PGM_RSRC2:TGID_Z_EN: 0
; COMPUTE_PGM_RSRC2:TIDIG_COMP_CNT: 0
; COMPUTE_PGM_RSRC3_GFX90A:ACCUM_OFFSET: 0
; COMPUTE_PGM_RSRC3_GFX90A:TG_SPLIT: 0
	.section	.text._ZN7rocprim17ROCPRIM_400000_NS6detail17trampoline_kernelINS0_14default_configENS1_27scan_by_key_config_selectorIxxEEZZNS1_16scan_by_key_implILNS1_25lookback_scan_determinismE0ELb0ES3_N6thrust23THRUST_200600_302600_NS6detail15normal_iteratorINS9_10device_ptrIxEEEESE_SE_xNS9_4plusIvEENS9_8equal_toIxEExEE10hipError_tPvRmT2_T3_T4_T5_mT6_T7_P12ihipStream_tbENKUlT_T0_E_clISt17integral_constantIbLb0EESY_IbLb1EEEEDaSU_SV_EUlSU_E_NS1_11comp_targetILNS1_3genE10ELNS1_11target_archE1201ELNS1_3gpuE5ELNS1_3repE0EEENS1_30default_config_static_selectorELNS0_4arch9wavefront6targetE1EEEvT1_,"axG",@progbits,_ZN7rocprim17ROCPRIM_400000_NS6detail17trampoline_kernelINS0_14default_configENS1_27scan_by_key_config_selectorIxxEEZZNS1_16scan_by_key_implILNS1_25lookback_scan_determinismE0ELb0ES3_N6thrust23THRUST_200600_302600_NS6detail15normal_iteratorINS9_10device_ptrIxEEEESE_SE_xNS9_4plusIvEENS9_8equal_toIxEExEE10hipError_tPvRmT2_T3_T4_T5_mT6_T7_P12ihipStream_tbENKUlT_T0_E_clISt17integral_constantIbLb0EESY_IbLb1EEEEDaSU_SV_EUlSU_E_NS1_11comp_targetILNS1_3genE10ELNS1_11target_archE1201ELNS1_3gpuE5ELNS1_3repE0EEENS1_30default_config_static_selectorELNS0_4arch9wavefront6targetE1EEEvT1_,comdat
	.protected	_ZN7rocprim17ROCPRIM_400000_NS6detail17trampoline_kernelINS0_14default_configENS1_27scan_by_key_config_selectorIxxEEZZNS1_16scan_by_key_implILNS1_25lookback_scan_determinismE0ELb0ES3_N6thrust23THRUST_200600_302600_NS6detail15normal_iteratorINS9_10device_ptrIxEEEESE_SE_xNS9_4plusIvEENS9_8equal_toIxEExEE10hipError_tPvRmT2_T3_T4_T5_mT6_T7_P12ihipStream_tbENKUlT_T0_E_clISt17integral_constantIbLb0EESY_IbLb1EEEEDaSU_SV_EUlSU_E_NS1_11comp_targetILNS1_3genE10ELNS1_11target_archE1201ELNS1_3gpuE5ELNS1_3repE0EEENS1_30default_config_static_selectorELNS0_4arch9wavefront6targetE1EEEvT1_ ; -- Begin function _ZN7rocprim17ROCPRIM_400000_NS6detail17trampoline_kernelINS0_14default_configENS1_27scan_by_key_config_selectorIxxEEZZNS1_16scan_by_key_implILNS1_25lookback_scan_determinismE0ELb0ES3_N6thrust23THRUST_200600_302600_NS6detail15normal_iteratorINS9_10device_ptrIxEEEESE_SE_xNS9_4plusIvEENS9_8equal_toIxEExEE10hipError_tPvRmT2_T3_T4_T5_mT6_T7_P12ihipStream_tbENKUlT_T0_E_clISt17integral_constantIbLb0EESY_IbLb1EEEEDaSU_SV_EUlSU_E_NS1_11comp_targetILNS1_3genE10ELNS1_11target_archE1201ELNS1_3gpuE5ELNS1_3repE0EEENS1_30default_config_static_selectorELNS0_4arch9wavefront6targetE1EEEvT1_
	.globl	_ZN7rocprim17ROCPRIM_400000_NS6detail17trampoline_kernelINS0_14default_configENS1_27scan_by_key_config_selectorIxxEEZZNS1_16scan_by_key_implILNS1_25lookback_scan_determinismE0ELb0ES3_N6thrust23THRUST_200600_302600_NS6detail15normal_iteratorINS9_10device_ptrIxEEEESE_SE_xNS9_4plusIvEENS9_8equal_toIxEExEE10hipError_tPvRmT2_T3_T4_T5_mT6_T7_P12ihipStream_tbENKUlT_T0_E_clISt17integral_constantIbLb0EESY_IbLb1EEEEDaSU_SV_EUlSU_E_NS1_11comp_targetILNS1_3genE10ELNS1_11target_archE1201ELNS1_3gpuE5ELNS1_3repE0EEENS1_30default_config_static_selectorELNS0_4arch9wavefront6targetE1EEEvT1_
	.p2align	8
	.type	_ZN7rocprim17ROCPRIM_400000_NS6detail17trampoline_kernelINS0_14default_configENS1_27scan_by_key_config_selectorIxxEEZZNS1_16scan_by_key_implILNS1_25lookback_scan_determinismE0ELb0ES3_N6thrust23THRUST_200600_302600_NS6detail15normal_iteratorINS9_10device_ptrIxEEEESE_SE_xNS9_4plusIvEENS9_8equal_toIxEExEE10hipError_tPvRmT2_T3_T4_T5_mT6_T7_P12ihipStream_tbENKUlT_T0_E_clISt17integral_constantIbLb0EESY_IbLb1EEEEDaSU_SV_EUlSU_E_NS1_11comp_targetILNS1_3genE10ELNS1_11target_archE1201ELNS1_3gpuE5ELNS1_3repE0EEENS1_30default_config_static_selectorELNS0_4arch9wavefront6targetE1EEEvT1_,@function
_ZN7rocprim17ROCPRIM_400000_NS6detail17trampoline_kernelINS0_14default_configENS1_27scan_by_key_config_selectorIxxEEZZNS1_16scan_by_key_implILNS1_25lookback_scan_determinismE0ELb0ES3_N6thrust23THRUST_200600_302600_NS6detail15normal_iteratorINS9_10device_ptrIxEEEESE_SE_xNS9_4plusIvEENS9_8equal_toIxEExEE10hipError_tPvRmT2_T3_T4_T5_mT6_T7_P12ihipStream_tbENKUlT_T0_E_clISt17integral_constantIbLb0EESY_IbLb1EEEEDaSU_SV_EUlSU_E_NS1_11comp_targetILNS1_3genE10ELNS1_11target_archE1201ELNS1_3gpuE5ELNS1_3repE0EEENS1_30default_config_static_selectorELNS0_4arch9wavefront6targetE1EEEvT1_: ; @_ZN7rocprim17ROCPRIM_400000_NS6detail17trampoline_kernelINS0_14default_configENS1_27scan_by_key_config_selectorIxxEEZZNS1_16scan_by_key_implILNS1_25lookback_scan_determinismE0ELb0ES3_N6thrust23THRUST_200600_302600_NS6detail15normal_iteratorINS9_10device_ptrIxEEEESE_SE_xNS9_4plusIvEENS9_8equal_toIxEExEE10hipError_tPvRmT2_T3_T4_T5_mT6_T7_P12ihipStream_tbENKUlT_T0_E_clISt17integral_constantIbLb0EESY_IbLb1EEEEDaSU_SV_EUlSU_E_NS1_11comp_targetILNS1_3genE10ELNS1_11target_archE1201ELNS1_3gpuE5ELNS1_3repE0EEENS1_30default_config_static_selectorELNS0_4arch9wavefront6targetE1EEEvT1_
; %bb.0:
	.section	.rodata,"a",@progbits
	.p2align	6, 0x0
	.amdhsa_kernel _ZN7rocprim17ROCPRIM_400000_NS6detail17trampoline_kernelINS0_14default_configENS1_27scan_by_key_config_selectorIxxEEZZNS1_16scan_by_key_implILNS1_25lookback_scan_determinismE0ELb0ES3_N6thrust23THRUST_200600_302600_NS6detail15normal_iteratorINS9_10device_ptrIxEEEESE_SE_xNS9_4plusIvEENS9_8equal_toIxEExEE10hipError_tPvRmT2_T3_T4_T5_mT6_T7_P12ihipStream_tbENKUlT_T0_E_clISt17integral_constantIbLb0EESY_IbLb1EEEEDaSU_SV_EUlSU_E_NS1_11comp_targetILNS1_3genE10ELNS1_11target_archE1201ELNS1_3gpuE5ELNS1_3repE0EEENS1_30default_config_static_selectorELNS0_4arch9wavefront6targetE1EEEvT1_
		.amdhsa_group_segment_fixed_size 0
		.amdhsa_private_segment_fixed_size 0
		.amdhsa_kernarg_size 136
		.amdhsa_user_sgpr_count 2
		.amdhsa_user_sgpr_dispatch_ptr 0
		.amdhsa_user_sgpr_queue_ptr 0
		.amdhsa_user_sgpr_kernarg_segment_ptr 1
		.amdhsa_user_sgpr_dispatch_id 0
		.amdhsa_user_sgpr_kernarg_preload_length 0
		.amdhsa_user_sgpr_kernarg_preload_offset 0
		.amdhsa_user_sgpr_private_segment_size 0
		.amdhsa_uses_dynamic_stack 0
		.amdhsa_enable_private_segment 0
		.amdhsa_system_sgpr_workgroup_id_x 1
		.amdhsa_system_sgpr_workgroup_id_y 0
		.amdhsa_system_sgpr_workgroup_id_z 0
		.amdhsa_system_sgpr_workgroup_info 0
		.amdhsa_system_vgpr_workitem_id 0
		.amdhsa_next_free_vgpr 1
		.amdhsa_next_free_sgpr 0
		.amdhsa_accum_offset 4
		.amdhsa_reserve_vcc 0
		.amdhsa_float_round_mode_32 0
		.amdhsa_float_round_mode_16_64 0
		.amdhsa_float_denorm_mode_32 3
		.amdhsa_float_denorm_mode_16_64 3
		.amdhsa_dx10_clamp 1
		.amdhsa_ieee_mode 1
		.amdhsa_fp16_overflow 0
		.amdhsa_tg_split 0
		.amdhsa_exception_fp_ieee_invalid_op 0
		.amdhsa_exception_fp_denorm_src 0
		.amdhsa_exception_fp_ieee_div_zero 0
		.amdhsa_exception_fp_ieee_overflow 0
		.amdhsa_exception_fp_ieee_underflow 0
		.amdhsa_exception_fp_ieee_inexact 0
		.amdhsa_exception_int_div_zero 0
	.end_amdhsa_kernel
	.section	.text._ZN7rocprim17ROCPRIM_400000_NS6detail17trampoline_kernelINS0_14default_configENS1_27scan_by_key_config_selectorIxxEEZZNS1_16scan_by_key_implILNS1_25lookback_scan_determinismE0ELb0ES3_N6thrust23THRUST_200600_302600_NS6detail15normal_iteratorINS9_10device_ptrIxEEEESE_SE_xNS9_4plusIvEENS9_8equal_toIxEExEE10hipError_tPvRmT2_T3_T4_T5_mT6_T7_P12ihipStream_tbENKUlT_T0_E_clISt17integral_constantIbLb0EESY_IbLb1EEEEDaSU_SV_EUlSU_E_NS1_11comp_targetILNS1_3genE10ELNS1_11target_archE1201ELNS1_3gpuE5ELNS1_3repE0EEENS1_30default_config_static_selectorELNS0_4arch9wavefront6targetE1EEEvT1_,"axG",@progbits,_ZN7rocprim17ROCPRIM_400000_NS6detail17trampoline_kernelINS0_14default_configENS1_27scan_by_key_config_selectorIxxEEZZNS1_16scan_by_key_implILNS1_25lookback_scan_determinismE0ELb0ES3_N6thrust23THRUST_200600_302600_NS6detail15normal_iteratorINS9_10device_ptrIxEEEESE_SE_xNS9_4plusIvEENS9_8equal_toIxEExEE10hipError_tPvRmT2_T3_T4_T5_mT6_T7_P12ihipStream_tbENKUlT_T0_E_clISt17integral_constantIbLb0EESY_IbLb1EEEEDaSU_SV_EUlSU_E_NS1_11comp_targetILNS1_3genE10ELNS1_11target_archE1201ELNS1_3gpuE5ELNS1_3repE0EEENS1_30default_config_static_selectorELNS0_4arch9wavefront6targetE1EEEvT1_,comdat
.Lfunc_end111:
	.size	_ZN7rocprim17ROCPRIM_400000_NS6detail17trampoline_kernelINS0_14default_configENS1_27scan_by_key_config_selectorIxxEEZZNS1_16scan_by_key_implILNS1_25lookback_scan_determinismE0ELb0ES3_N6thrust23THRUST_200600_302600_NS6detail15normal_iteratorINS9_10device_ptrIxEEEESE_SE_xNS9_4plusIvEENS9_8equal_toIxEExEE10hipError_tPvRmT2_T3_T4_T5_mT6_T7_P12ihipStream_tbENKUlT_T0_E_clISt17integral_constantIbLb0EESY_IbLb1EEEEDaSU_SV_EUlSU_E_NS1_11comp_targetILNS1_3genE10ELNS1_11target_archE1201ELNS1_3gpuE5ELNS1_3repE0EEENS1_30default_config_static_selectorELNS0_4arch9wavefront6targetE1EEEvT1_, .Lfunc_end111-_ZN7rocprim17ROCPRIM_400000_NS6detail17trampoline_kernelINS0_14default_configENS1_27scan_by_key_config_selectorIxxEEZZNS1_16scan_by_key_implILNS1_25lookback_scan_determinismE0ELb0ES3_N6thrust23THRUST_200600_302600_NS6detail15normal_iteratorINS9_10device_ptrIxEEEESE_SE_xNS9_4plusIvEENS9_8equal_toIxEExEE10hipError_tPvRmT2_T3_T4_T5_mT6_T7_P12ihipStream_tbENKUlT_T0_E_clISt17integral_constantIbLb0EESY_IbLb1EEEEDaSU_SV_EUlSU_E_NS1_11comp_targetILNS1_3genE10ELNS1_11target_archE1201ELNS1_3gpuE5ELNS1_3repE0EEENS1_30default_config_static_selectorELNS0_4arch9wavefront6targetE1EEEvT1_
                                        ; -- End function
	.section	.AMDGPU.csdata,"",@progbits
; Kernel info:
; codeLenInByte = 0
; NumSgprs: 6
; NumVgprs: 0
; NumAgprs: 0
; TotalNumVgprs: 0
; ScratchSize: 0
; MemoryBound: 0
; FloatMode: 240
; IeeeMode: 1
; LDSByteSize: 0 bytes/workgroup (compile time only)
; SGPRBlocks: 0
; VGPRBlocks: 0
; NumSGPRsForWavesPerEU: 6
; NumVGPRsForWavesPerEU: 1
; AccumOffset: 4
; Occupancy: 8
; WaveLimiterHint : 0
; COMPUTE_PGM_RSRC2:SCRATCH_EN: 0
; COMPUTE_PGM_RSRC2:USER_SGPR: 2
; COMPUTE_PGM_RSRC2:TRAP_HANDLER: 0
; COMPUTE_PGM_RSRC2:TGID_X_EN: 1
; COMPUTE_PGM_RSRC2:TGID_Y_EN: 0
; COMPUTE_PGM_RSRC2:TGID_Z_EN: 0
; COMPUTE_PGM_RSRC2:TIDIG_COMP_CNT: 0
; COMPUTE_PGM_RSRC3_GFX90A:ACCUM_OFFSET: 0
; COMPUTE_PGM_RSRC3_GFX90A:TG_SPLIT: 0
	.section	.text._ZN7rocprim17ROCPRIM_400000_NS6detail17trampoline_kernelINS0_14default_configENS1_27scan_by_key_config_selectorIxxEEZZNS1_16scan_by_key_implILNS1_25lookback_scan_determinismE0ELb0ES3_N6thrust23THRUST_200600_302600_NS6detail15normal_iteratorINS9_10device_ptrIxEEEESE_SE_xNS9_4plusIvEENS9_8equal_toIxEExEE10hipError_tPvRmT2_T3_T4_T5_mT6_T7_P12ihipStream_tbENKUlT_T0_E_clISt17integral_constantIbLb0EESY_IbLb1EEEEDaSU_SV_EUlSU_E_NS1_11comp_targetILNS1_3genE5ELNS1_11target_archE942ELNS1_3gpuE9ELNS1_3repE0EEENS1_30default_config_static_selectorELNS0_4arch9wavefront6targetE1EEEvT1_,"axG",@progbits,_ZN7rocprim17ROCPRIM_400000_NS6detail17trampoline_kernelINS0_14default_configENS1_27scan_by_key_config_selectorIxxEEZZNS1_16scan_by_key_implILNS1_25lookback_scan_determinismE0ELb0ES3_N6thrust23THRUST_200600_302600_NS6detail15normal_iteratorINS9_10device_ptrIxEEEESE_SE_xNS9_4plusIvEENS9_8equal_toIxEExEE10hipError_tPvRmT2_T3_T4_T5_mT6_T7_P12ihipStream_tbENKUlT_T0_E_clISt17integral_constantIbLb0EESY_IbLb1EEEEDaSU_SV_EUlSU_E_NS1_11comp_targetILNS1_3genE5ELNS1_11target_archE942ELNS1_3gpuE9ELNS1_3repE0EEENS1_30default_config_static_selectorELNS0_4arch9wavefront6targetE1EEEvT1_,comdat
	.protected	_ZN7rocprim17ROCPRIM_400000_NS6detail17trampoline_kernelINS0_14default_configENS1_27scan_by_key_config_selectorIxxEEZZNS1_16scan_by_key_implILNS1_25lookback_scan_determinismE0ELb0ES3_N6thrust23THRUST_200600_302600_NS6detail15normal_iteratorINS9_10device_ptrIxEEEESE_SE_xNS9_4plusIvEENS9_8equal_toIxEExEE10hipError_tPvRmT2_T3_T4_T5_mT6_T7_P12ihipStream_tbENKUlT_T0_E_clISt17integral_constantIbLb0EESY_IbLb1EEEEDaSU_SV_EUlSU_E_NS1_11comp_targetILNS1_3genE5ELNS1_11target_archE942ELNS1_3gpuE9ELNS1_3repE0EEENS1_30default_config_static_selectorELNS0_4arch9wavefront6targetE1EEEvT1_ ; -- Begin function _ZN7rocprim17ROCPRIM_400000_NS6detail17trampoline_kernelINS0_14default_configENS1_27scan_by_key_config_selectorIxxEEZZNS1_16scan_by_key_implILNS1_25lookback_scan_determinismE0ELb0ES3_N6thrust23THRUST_200600_302600_NS6detail15normal_iteratorINS9_10device_ptrIxEEEESE_SE_xNS9_4plusIvEENS9_8equal_toIxEExEE10hipError_tPvRmT2_T3_T4_T5_mT6_T7_P12ihipStream_tbENKUlT_T0_E_clISt17integral_constantIbLb0EESY_IbLb1EEEEDaSU_SV_EUlSU_E_NS1_11comp_targetILNS1_3genE5ELNS1_11target_archE942ELNS1_3gpuE9ELNS1_3repE0EEENS1_30default_config_static_selectorELNS0_4arch9wavefront6targetE1EEEvT1_
	.globl	_ZN7rocprim17ROCPRIM_400000_NS6detail17trampoline_kernelINS0_14default_configENS1_27scan_by_key_config_selectorIxxEEZZNS1_16scan_by_key_implILNS1_25lookback_scan_determinismE0ELb0ES3_N6thrust23THRUST_200600_302600_NS6detail15normal_iteratorINS9_10device_ptrIxEEEESE_SE_xNS9_4plusIvEENS9_8equal_toIxEExEE10hipError_tPvRmT2_T3_T4_T5_mT6_T7_P12ihipStream_tbENKUlT_T0_E_clISt17integral_constantIbLb0EESY_IbLb1EEEEDaSU_SV_EUlSU_E_NS1_11comp_targetILNS1_3genE5ELNS1_11target_archE942ELNS1_3gpuE9ELNS1_3repE0EEENS1_30default_config_static_selectorELNS0_4arch9wavefront6targetE1EEEvT1_
	.p2align	8
	.type	_ZN7rocprim17ROCPRIM_400000_NS6detail17trampoline_kernelINS0_14default_configENS1_27scan_by_key_config_selectorIxxEEZZNS1_16scan_by_key_implILNS1_25lookback_scan_determinismE0ELb0ES3_N6thrust23THRUST_200600_302600_NS6detail15normal_iteratorINS9_10device_ptrIxEEEESE_SE_xNS9_4plusIvEENS9_8equal_toIxEExEE10hipError_tPvRmT2_T3_T4_T5_mT6_T7_P12ihipStream_tbENKUlT_T0_E_clISt17integral_constantIbLb0EESY_IbLb1EEEEDaSU_SV_EUlSU_E_NS1_11comp_targetILNS1_3genE5ELNS1_11target_archE942ELNS1_3gpuE9ELNS1_3repE0EEENS1_30default_config_static_selectorELNS0_4arch9wavefront6targetE1EEEvT1_,@function
_ZN7rocprim17ROCPRIM_400000_NS6detail17trampoline_kernelINS0_14default_configENS1_27scan_by_key_config_selectorIxxEEZZNS1_16scan_by_key_implILNS1_25lookback_scan_determinismE0ELb0ES3_N6thrust23THRUST_200600_302600_NS6detail15normal_iteratorINS9_10device_ptrIxEEEESE_SE_xNS9_4plusIvEENS9_8equal_toIxEExEE10hipError_tPvRmT2_T3_T4_T5_mT6_T7_P12ihipStream_tbENKUlT_T0_E_clISt17integral_constantIbLb0EESY_IbLb1EEEEDaSU_SV_EUlSU_E_NS1_11comp_targetILNS1_3genE5ELNS1_11target_archE942ELNS1_3gpuE9ELNS1_3repE0EEENS1_30default_config_static_selectorELNS0_4arch9wavefront6targetE1EEEvT1_: ; @_ZN7rocprim17ROCPRIM_400000_NS6detail17trampoline_kernelINS0_14default_configENS1_27scan_by_key_config_selectorIxxEEZZNS1_16scan_by_key_implILNS1_25lookback_scan_determinismE0ELb0ES3_N6thrust23THRUST_200600_302600_NS6detail15normal_iteratorINS9_10device_ptrIxEEEESE_SE_xNS9_4plusIvEENS9_8equal_toIxEExEE10hipError_tPvRmT2_T3_T4_T5_mT6_T7_P12ihipStream_tbENKUlT_T0_E_clISt17integral_constantIbLb0EESY_IbLb1EEEEDaSU_SV_EUlSU_E_NS1_11comp_targetILNS1_3genE5ELNS1_11target_archE942ELNS1_3gpuE9ELNS1_3repE0EEENS1_30default_config_static_selectorELNS0_4arch9wavefront6targetE1EEEvT1_
; %bb.0:
	s_load_dwordx8 s[40:47], s[0:1], 0x30
	s_load_dwordx2 s[64:65], s[0:1], 0x50
	v_cmp_ne_u32_e64 s[4:5], 0, v0
	v_cmp_eq_u32_e64 s[36:37], 0, v0
	s_and_saveexec_b64 s[2:3], s[36:37]
	s_cbranch_execz .LBB112_4
; %bb.1:
	s_mov_b64 s[8:9], exec
	v_mbcnt_lo_u32_b32 v1, s8, 0
	v_mbcnt_hi_u32_b32 v1, s9, v1
	v_cmp_eq_u32_e32 vcc, 0, v1
                                        ; implicit-def: $vgpr2
	s_and_saveexec_b64 s[6:7], vcc
	s_cbranch_execz .LBB112_3
; %bb.2:
	s_load_dwordx2 s[10:11], s[0:1], 0x80
	s_bcnt1_i32_b64 s8, s[8:9]
	v_mov_b32_e32 v2, 0
	v_mov_b32_e32 v3, s8
	s_waitcnt lgkmcnt(0)
	global_atomic_add v2, v2, v3, s[10:11] sc0
.LBB112_3:
	s_or_b64 exec, exec, s[6:7]
	s_waitcnt vmcnt(0)
	v_readfirstlane_b32 s6, v2
	v_mov_b32_e32 v2, 0
	s_nop 0
	v_add_u32_e32 v1, s6, v1
	ds_write_b32 v2, v1
.LBB112_4:
	s_or_b64 exec, exec, s[2:3]
	s_load_dwordx8 s[48:55], s[0:1], 0x0
	s_load_dword s2, s[0:1], 0x58
	s_load_dwordx8 s[56:63], s[0:1], 0x60
	v_mov_b32_e32 v1, 0
	s_waitcnt lgkmcnt(0)
	s_barrier
	ds_read_b32 v1, v1
	s_lshl_b64 s[38:39], s[50:51], 3
	s_add_u32 s3, s48, s38
	s_addc_u32 s6, s49, s39
	s_add_u32 s7, s52, s38
	s_mul_i32 s0, s65, s2
	s_mul_hi_u32 s1, s64, s2
	s_addc_u32 s8, s53, s39
	s_add_i32 s9, s1, s0
	s_waitcnt lgkmcnt(0)
	v_readfirstlane_b32 s47, v1
	s_cmp_lg_u64 s[60:61], 0
	s_mov_b32 s1, 0
	s_mul_i32 s0, s47, 0xe00
	s_cselect_b64 s[60:61], -1, 0
	s_lshl_b64 s[48:49], s[0:1], 3
	s_add_u32 s52, s3, s48
	s_addc_u32 s53, s6, s49
	s_add_u32 s50, s7, s48
	s_mul_i32 s2, s64, s2
	s_addc_u32 s51, s8, s49
	s_add_u32 s66, s2, s47
	s_addc_u32 s67, s9, 0
	s_add_u32 s0, s56, -1
	s_addc_u32 s1, s57, -1
	v_mov_b64_e32 v[2:3], s[0:1]
	v_cmp_ge_u64_e64 s[2:3], s[66:67], v[2:3]
	s_mov_b64 s[10:11], 0
	s_mov_b64 s[6:7], -1
	s_and_b64 vcc, exec, s[2:3]
	s_mul_i32 s33, s0, 0xfffff200
	s_barrier
	s_barrier
	s_cbranch_vccz .LBB112_81
; %bb.5:
	v_mov_b64_e32 v[2:3], s[52:53]
	flat_load_dwordx2 v[28:29], v[2:3]
	s_add_i32 s69, s33, s46
	v_cmp_gt_u32_e64 s[6:7], s69, v0
	s_waitcnt vmcnt(0) lgkmcnt(0)
	v_mov_b64_e32 v[30:31], v[28:29]
	s_and_saveexec_b64 s[0:1], s[6:7]
	s_cbranch_execz .LBB112_7
; %bb.6:
	v_lshlrev_b32_e32 v2, 3, v0
	v_mov_b32_e32 v3, 0
	v_lshl_add_u64 v[2:3], s[52:53], 0, v[2:3]
	flat_load_dwordx2 v[30:31], v[2:3]
.LBB112_7:
	s_or_b64 exec, exec, s[0:1]
	v_or_b32_e32 v1, 0x100, v0
	v_cmp_gt_u32_e64 s[8:9], s69, v1
	v_mov_b64_e32 v[32:33], v[28:29]
	s_and_saveexec_b64 s[0:1], s[8:9]
	s_cbranch_execz .LBB112_9
; %bb.8:
	v_lshlrev_b32_e32 v2, 3, v0
	v_mov_b32_e32 v3, 0
	v_lshl_add_u64 v[2:3], s[52:53], 0, v[2:3]
	flat_load_dwordx2 v[32:33], v[2:3] offset:2048
.LBB112_9:
	s_or_b64 exec, exec, s[0:1]
	v_or_b32_e32 v1, 0x200, v0
	v_cmp_gt_u32_e64 s[10:11], s69, v1
	v_lshlrev_b32_e32 v2, 3, v1
	v_mov_b64_e32 v[34:35], v[28:29]
	s_and_saveexec_b64 s[0:1], s[10:11]
	s_cbranch_execz .LBB112_11
; %bb.10:
	v_mov_b32_e32 v3, 0
	v_lshl_add_u64 v[4:5], s[52:53], 0, v[2:3]
	flat_load_dwordx2 v[34:35], v[4:5]
.LBB112_11:
	s_or_b64 exec, exec, s[0:1]
	v_or_b32_e32 v1, 0x300, v0
	v_cmp_gt_u32_e64 s[12:13], s69, v1
	v_lshlrev_b32_e32 v4, 3, v1
	v_mov_b64_e32 v[36:37], v[28:29]
	s_and_saveexec_b64 s[0:1], s[12:13]
	s_cbranch_execz .LBB112_13
; %bb.12:
	v_mov_b32_e32 v5, 0
	v_lshl_add_u64 v[6:7], s[52:53], 0, v[4:5]
	flat_load_dwordx2 v[36:37], v[6:7]
.LBB112_13:
	;; [unrolled: 12-line block ×11, first 2 shown]
	s_or_b64 exec, exec, s[0:1]
	v_or_b32_e32 v1, 0xd00, v0
	v_cmp_gt_u32_e64 s[34:35], s69, v1
	v_lshlrev_b32_e32 v24, 3, v1
	s_and_saveexec_b64 s[0:1], s[34:35]
	s_cbranch_execz .LBB112_33
; %bb.32:
	v_mov_b32_e32 v25, 0
	v_lshl_add_u64 v[26:27], s[52:53], 0, v[24:25]
	flat_load_dwordx2 v[28:29], v[26:27]
.LBB112_33:
	s_or_b64 exec, exec, s[0:1]
	v_lshlrev_b32_e32 v26, 3, v0
	s_movk_i32 s0, 0x68
	s_waitcnt vmcnt(0) lgkmcnt(0)
	ds_write2st64_b64 v26, v[30:31], v[32:33] offset1:4
	ds_write2st64_b64 v26, v[34:35], v[36:37] offset0:8 offset1:12
	ds_write2st64_b64 v26, v[38:39], v[40:41] offset0:16 offset1:20
	;; [unrolled: 1-line block ×6, first 2 shown]
	v_mad_u32_u24 v36, v0, s0, v26
	s_waitcnt lgkmcnt(0)
	s_barrier
	ds_read_b128 v[74:77], v36
	ds_read_b128 v[70:73], v36 offset:16
	ds_read_b128 v[66:69], v36 offset:32
	;; [unrolled: 1-line block ×6, first 2 shown]
	s_cmp_eq_u64 s[66:67], 0
	s_mov_b64 s[0:1], s[52:53]
	s_cbranch_scc1 .LBB112_37
; %bb.34:
	s_andn2_b64 vcc, exec, s[60:61]
	s_cbranch_vccnz .LBB112_235
; %bb.35:
	s_lshl_b64 s[0:1], s[66:67], 3
	s_add_u32 s0, s62, s0
	s_addc_u32 s1, s63, s1
	s_add_u32 s0, s0, -8
	s_addc_u32 s1, s1, -1
	s_cbranch_execnz .LBB112_37
.LBB112_36:
	s_add_u32 s0, s52, -8
	s_addc_u32 s1, s53, -1
.LBB112_37:
	v_mov_b64_e32 v[28:29], s[0:1]
	flat_load_dwordx2 v[28:29], v[28:29]
	s_movk_i32 s0, 0xff98
	v_mad_i32_i24 v1, v0, s0, v36
	s_waitcnt lgkmcnt(0)
	ds_write_b64 v1, v[60:61] offset:28672
	s_waitcnt lgkmcnt(0)
	s_barrier
	s_and_saveexec_b64 s[0:1], s[4:5]
	s_cbranch_execz .LBB112_39
; %bb.38:
	v_mul_i32_i24_e32 v1, 0xffffff98, v0
	v_add_u32_e32 v1, v36, v1
	s_waitcnt vmcnt(0)
	ds_read_b64 v[28:29], v1 offset:28664
.LBB112_39:
	s_or_b64 exec, exec, s[0:1]
	v_mov_b32_e32 v27, 0
	s_waitcnt lgkmcnt(0)
	s_barrier
	s_waitcnt lgkmcnt(0)
                                        ; implicit-def: $vgpr30_vgpr31
	s_and_saveexec_b64 s[0:1], s[6:7]
	s_cbranch_execnz .LBB112_222
; %bb.40:
	s_or_b64 exec, exec, s[0:1]
                                        ; implicit-def: $vgpr32_vgpr33
	s_and_saveexec_b64 s[0:1], s[8:9]
	s_cbranch_execnz .LBB112_223
.LBB112_41:
	s_or_b64 exec, exec, s[0:1]
                                        ; implicit-def: $vgpr34_vgpr35
	s_and_saveexec_b64 s[0:1], s[10:11]
	s_cbranch_execnz .LBB112_224
.LBB112_42:
	s_or_b64 exec, exec, s[0:1]
                                        ; implicit-def: $vgpr2_vgpr3
	s_and_saveexec_b64 s[0:1], s[12:13]
	s_cbranch_execnz .LBB112_225
.LBB112_43:
	s_or_b64 exec, exec, s[0:1]
                                        ; implicit-def: $vgpr4_vgpr5
	s_and_saveexec_b64 s[0:1], s[14:15]
	s_cbranch_execnz .LBB112_226
.LBB112_44:
	s_or_b64 exec, exec, s[0:1]
                                        ; implicit-def: $vgpr6_vgpr7
	s_and_saveexec_b64 s[0:1], s[16:17]
	s_cbranch_execnz .LBB112_227
.LBB112_45:
	s_or_b64 exec, exec, s[0:1]
                                        ; implicit-def: $vgpr8_vgpr9
	s_and_saveexec_b64 s[0:1], s[18:19]
	s_cbranch_execnz .LBB112_228
.LBB112_46:
	s_or_b64 exec, exec, s[0:1]
                                        ; implicit-def: $vgpr10_vgpr11
	s_and_saveexec_b64 s[0:1], s[20:21]
	s_cbranch_execnz .LBB112_229
.LBB112_47:
	s_or_b64 exec, exec, s[0:1]
                                        ; implicit-def: $vgpr12_vgpr13
	s_and_saveexec_b64 s[0:1], s[22:23]
	s_cbranch_execnz .LBB112_230
.LBB112_48:
	s_or_b64 exec, exec, s[0:1]
                                        ; implicit-def: $vgpr14_vgpr15
	s_and_saveexec_b64 s[0:1], s[24:25]
	s_cbranch_execnz .LBB112_231
.LBB112_49:
	s_or_b64 exec, exec, s[0:1]
                                        ; implicit-def: $vgpr16_vgpr17
	s_and_saveexec_b64 s[0:1], s[26:27]
	s_cbranch_execnz .LBB112_232
.LBB112_50:
	s_or_b64 exec, exec, s[0:1]
                                        ; implicit-def: $vgpr18_vgpr19
	s_and_saveexec_b64 s[0:1], s[28:29]
	s_cbranch_execnz .LBB112_233
.LBB112_51:
	s_or_b64 exec, exec, s[0:1]
                                        ; implicit-def: $vgpr20_vgpr21
	s_and_saveexec_b64 s[0:1], s[30:31]
	s_cbranch_execnz .LBB112_234
.LBB112_52:
	s_or_b64 exec, exec, s[0:1]
                                        ; implicit-def: $vgpr22_vgpr23
	s_and_saveexec_b64 s[0:1], s[34:35]
	s_cbranch_execz .LBB112_54
.LBB112_53:
	v_mov_b32_e32 v25, 0
	v_lshl_add_u64 v[22:23], s[50:51], 0, v[24:25]
	flat_load_dwordx2 v[22:23], v[22:23]
.LBB112_54:
	s_or_b64 exec, exec, s[0:1]
	v_mul_u32_u24_e32 v37, 14, v0
	v_mov_b64_e32 v[78:79], 0
	s_waitcnt vmcnt(0) lgkmcnt(0)
	ds_write2st64_b64 v26, v[30:31], v[32:33] offset1:4
	ds_write2st64_b64 v26, v[34:35], v[2:3] offset0:8 offset1:12
	ds_write2st64_b64 v26, v[4:5], v[6:7] offset0:16 offset1:20
	;; [unrolled: 1-line block ×6, first 2 shown]
	v_cmp_gt_u32_e32 vcc, s69, v37
	s_mov_b64 s[10:11], 0
	s_mov_b64 s[6:7], 0
	s_mov_b32 s68, 0
	v_mov_b32_e32 v80, 0
	v_mov_b32_e32 v91, 0
	v_mov_b64_e32 v[46:47], v[78:79]
	v_mov_b32_e32 v90, 0
	v_mov_b64_e32 v[34:35], v[78:79]
	;; [unrolled: 2-line block ×12, first 2 shown]
	s_waitcnt lgkmcnt(0)
	s_barrier
	s_waitcnt lgkmcnt(0)
                                        ; implicit-def: $sgpr0_sgpr1
                                        ; implicit-def: $vgpr52_vgpr53
	s_and_saveexec_b64 s[8:9], vcc
	s_cbranch_execz .LBB112_80
; %bb.55:
	ds_read_b64 v[2:3], v36
	v_cmp_ne_u64_e32 vcc, v[28:29], v[74:75]
	v_or_b32_e32 v4, 1, v37
	v_mov_b64_e32 v[78:79], 0
	v_cndmask_b32_e64 v1, 0, 1, vcc
	v_cmp_gt_u32_e32 vcc, s69, v4
	s_mov_b64 s[12:13], 0
	s_mov_b64 s[0:1], 0
	v_mov_b32_e32 v80, 0
	v_mov_b32_e32 v91, 0
	v_mov_b64_e32 v[46:47], v[78:79]
	v_mov_b32_e32 v90, 0
	v_mov_b64_e32 v[34:35], v[78:79]
	;; [unrolled: 2-line block ×11, first 2 shown]
                                        ; implicit-def: $sgpr14_sgpr15
                                        ; implicit-def: $vgpr52_vgpr53
	s_and_saveexec_b64 s[10:11], vcc
	s_cbranch_execz .LBB112_79
; %bb.56:
	ds_read2_b64 v[14:17], v36 offset0:1 offset1:2
	v_cmp_ne_u64_e32 vcc, v[74:75], v[76:77]
	v_add_u32_e32 v4, 2, v37
	v_mov_b64_e32 v[78:79], 0
	v_cndmask_b32_e64 v82, 0, 1, vcc
	v_cmp_gt_u32_e32 vcc, s69, v4
	s_mov_b64 s[16:17], 0
	v_mov_b32_e32 v80, 0
	v_mov_b32_e32 v91, 0
	v_mov_b64_e32 v[46:47], v[78:79]
	v_mov_b32_e32 v90, 0
	v_mov_b64_e32 v[34:35], v[78:79]
	;; [unrolled: 2-line block ×10, first 2 shown]
                                        ; implicit-def: $sgpr14_sgpr15
                                        ; implicit-def: $vgpr52_vgpr53
	s_and_saveexec_b64 s[12:13], vcc
	s_cbranch_execz .LBB112_78
; %bb.57:
	v_cmp_ne_u64_e32 vcc, v[76:77], v[70:71]
	v_add_u32_e32 v4, 3, v37
	v_mov_b64_e32 v[78:79], 0
	s_waitcnt lgkmcnt(0)
	v_mov_b32_e32 v6, v16
	v_mov_b32_e32 v7, v17
	v_cndmask_b32_e64 v81, 0, 1, vcc
	v_cmp_gt_u32_e32 vcc, s69, v4
	v_mov_b32_e32 v80, 0
	v_mov_b32_e32 v91, 0
	v_mov_b64_e32 v[46:47], v[78:79]
	v_mov_b32_e32 v90, 0
	v_mov_b64_e32 v[34:35], v[78:79]
	;; [unrolled: 2-line block ×9, first 2 shown]
                                        ; implicit-def: $sgpr18_sgpr19
                                        ; implicit-def: $vgpr52_vgpr53
	s_and_saveexec_b64 s[14:15], vcc
	s_cbranch_execz .LBB112_77
; %bb.58:
	ds_read2_b64 v[22:25], v36 offset0:3 offset1:4
	v_cmp_ne_u64_e32 vcc, v[70:71], v[72:73]
	v_add_u32_e32 v4, 4, v37
	v_mov_b64_e32 v[78:79], 0
	v_cndmask_b32_e64 v83, 0, 1, vcc
	v_cmp_gt_u32_e32 vcc, s69, v4
	s_mov_b64 s[20:21], 0
	v_mov_b32_e32 v80, 0
	v_mov_b32_e32 v91, 0
	v_mov_b64_e32 v[46:47], v[78:79]
	v_mov_b32_e32 v90, 0
	v_mov_b64_e32 v[34:35], v[78:79]
	;; [unrolled: 2-line block ×8, first 2 shown]
                                        ; implicit-def: $sgpr18_sgpr19
                                        ; implicit-def: $vgpr52_vgpr53
	s_and_saveexec_b64 s[16:17], vcc
	s_cbranch_execz .LBB112_76
; %bb.59:
	v_cmp_ne_u64_e32 vcc, v[72:73], v[66:67]
	v_add_u32_e32 v4, 5, v37
	v_mov_b64_e32 v[78:79], 0
	s_waitcnt lgkmcnt(0)
	v_mov_b32_e32 v10, v24
	v_mov_b32_e32 v11, v25
	v_cndmask_b32_e64 v84, 0, 1, vcc
	v_cmp_gt_u32_e32 vcc, s69, v4
	v_mov_b32_e32 v80, 0
	v_mov_b32_e32 v91, 0
	v_mov_b64_e32 v[46:47], v[78:79]
	v_mov_b32_e32 v90, 0
	v_mov_b64_e32 v[34:35], v[78:79]
	;; [unrolled: 2-line block ×7, first 2 shown]
                                        ; implicit-def: $sgpr22_sgpr23
                                        ; implicit-def: $vgpr52_vgpr53
	s_and_saveexec_b64 s[18:19], vcc
	s_cbranch_execz .LBB112_75
; %bb.60:
	ds_read2_b64 v[30:33], v36 offset0:5 offset1:6
	v_cmp_ne_u64_e32 vcc, v[66:67], v[68:69]
	v_add_u32_e32 v4, 6, v37
	v_mov_b64_e32 v[78:79], 0
	v_cndmask_b32_e64 v85, 0, 1, vcc
	v_cmp_gt_u32_e32 vcc, s69, v4
	s_mov_b64 s[24:25], 0
	v_mov_b32_e32 v80, 0
	v_mov_b32_e32 v91, 0
	v_mov_b64_e32 v[46:47], v[78:79]
	v_mov_b32_e32 v90, 0
	v_mov_b64_e32 v[34:35], v[78:79]
	;; [unrolled: 2-line block ×6, first 2 shown]
                                        ; implicit-def: $sgpr22_sgpr23
                                        ; implicit-def: $vgpr52_vgpr53
	s_and_saveexec_b64 s[20:21], vcc
	s_cbranch_execz .LBB112_74
; %bb.61:
	v_cmp_ne_u64_e32 vcc, v[68:69], v[62:63]
	v_add_u32_e32 v4, 7, v37
	v_mov_b64_e32 v[78:79], 0
	s_waitcnt lgkmcnt(0)
	v_mov_b32_e32 v18, v32
	v_mov_b32_e32 v19, v33
	v_cndmask_b32_e64 v86, 0, 1, vcc
	v_cmp_gt_u32_e32 vcc, s69, v4
	v_mov_b32_e32 v80, 0
	v_mov_b32_e32 v91, 0
	v_mov_b64_e32 v[46:47], v[78:79]
	v_mov_b32_e32 v90, 0
	v_mov_b64_e32 v[34:35], v[78:79]
	;; [unrolled: 2-line block ×5, first 2 shown]
                                        ; implicit-def: $sgpr26_sgpr27
                                        ; implicit-def: $vgpr52_vgpr53
	s_and_saveexec_b64 s[22:23], vcc
	s_cbranch_execz .LBB112_73
; %bb.62:
	ds_read2_b64 v[38:41], v36 offset0:7 offset1:8
	v_cmp_ne_u64_e32 vcc, v[62:63], v[64:65]
	v_add_u32_e32 v4, 8, v37
	v_mov_b64_e32 v[78:79], 0
	v_cndmask_b32_e64 v87, 0, 1, vcc
	v_cmp_gt_u32_e32 vcc, s69, v4
	s_mov_b64 s[28:29], 0
	v_mov_b32_e32 v80, 0
	v_mov_b32_e32 v91, 0
	v_mov_b64_e32 v[46:47], v[78:79]
	v_mov_b32_e32 v90, 0
	v_mov_b64_e32 v[34:35], v[78:79]
	;; [unrolled: 2-line block ×4, first 2 shown]
                                        ; implicit-def: $sgpr26_sgpr27
                                        ; implicit-def: $vgpr52_vgpr53
	s_and_saveexec_b64 s[24:25], vcc
	s_cbranch_execz .LBB112_72
; %bb.63:
	v_cmp_ne_u64_e32 vcc, v[64:65], v[48:49]
	v_add_u32_e32 v4, 9, v37
	v_mov_b64_e32 v[78:79], 0
	s_waitcnt lgkmcnt(0)
	v_mov_b32_e32 v26, v40
	v_mov_b32_e32 v27, v41
	v_cndmask_b32_e64 v88, 0, 1, vcc
	v_cmp_gt_u32_e32 vcc, s69, v4
	v_mov_b32_e32 v80, 0
	v_mov_b32_e32 v91, 0
	v_mov_b64_e32 v[46:47], v[78:79]
	v_mov_b32_e32 v90, 0
	v_mov_b64_e32 v[34:35], v[78:79]
	;; [unrolled: 2-line block ×3, first 2 shown]
                                        ; implicit-def: $sgpr30_sgpr31
                                        ; implicit-def: $vgpr52_vgpr53
	s_and_saveexec_b64 s[26:27], vcc
	s_cbranch_execz .LBB112_71
; %bb.64:
	ds_read2_b64 v[42:45], v36 offset0:9 offset1:10
	v_cmp_ne_u64_e32 vcc, v[48:49], v[50:51]
	v_add_u32_e32 v4, 10, v37
	v_mov_b64_e32 v[78:79], 0
	v_cndmask_b32_e64 v89, 0, 1, vcc
	v_cmp_gt_u32_e32 vcc, s69, v4
	s_mov_b64 s[34:35], 0
	v_mov_b32_e32 v80, 0
	v_mov_b32_e32 v91, 0
	v_mov_b64_e32 v[46:47], v[78:79]
	v_mov_b32_e32 v90, 0
	v_mov_b64_e32 v[34:35], v[78:79]
                                        ; implicit-def: $sgpr30_sgpr31
                                        ; implicit-def: $vgpr52_vgpr53
	s_and_saveexec_b64 s[28:29], vcc
	s_cbranch_execz .LBB112_70
; %bb.65:
	v_cmp_ne_u64_e32 vcc, v[50:51], v[54:55]
	v_add_u32_e32 v4, 11, v37
	v_mov_b64_e32 v[78:79], 0
	s_waitcnt lgkmcnt(0)
	v_mov_b32_e32 v34, v44
	v_mov_b32_e32 v35, v45
	v_cndmask_b32_e64 v90, 0, 1, vcc
	v_cmp_gt_u32_e32 vcc, s69, v4
	v_mov_b32_e32 v80, 0
	v_mov_b32_e32 v91, 0
	v_mov_b64_e32 v[46:47], v[78:79]
                                        ; implicit-def: $sgpr56_sgpr57
                                        ; implicit-def: $vgpr52_vgpr53
	s_and_saveexec_b64 s[30:31], vcc
	s_cbranch_execz .LBB112_69
; %bb.66:
	ds_read2_b64 v[46:49], v36 offset0:11 offset1:12
	v_cmp_ne_u64_e32 vcc, v[54:55], v[56:57]
	v_add_u32_e32 v4, 12, v37
	v_mov_b32_e32 v80, 0
	v_cndmask_b32_e64 v91, 0, 1, vcc
	v_cmp_gt_u32_e32 vcc, s69, v4
	v_mov_b64_e32 v[78:79], 0
                                        ; implicit-def: $sgpr34_sgpr35
                                        ; implicit-def: $vgpr52_vgpr53
	s_and_saveexec_b64 s[56:57], vcc
	s_xor_b64 s[56:57], exec, s[56:57]
	s_cbranch_execz .LBB112_68
; %bb.67:
	ds_read_b64 v[52:53], v36 offset:104
	v_cmp_ne_u64_e64 s[0:1], v[56:57], v[58:59]
	v_add_u32_e32 v4, 13, v37
	v_cmp_ne_u64_e32 vcc, v[58:59], v[60:61]
	v_cndmask_b32_e64 v80, 0, 1, s[0:1]
	v_cmp_gt_u32_e64 s[0:1], s69, v4
	s_and_b64 s[34:35], vcc, exec
	s_and_b64 s[0:1], s[0:1], exec
	s_waitcnt lgkmcnt(1)
	v_mov_b64_e32 v[50:51], v[48:49]
	v_mov_b64_e32 v[78:79], v[48:49]
.LBB112_68:
	s_or_b64 exec, exec, s[56:57]
	s_and_b64 s[56:57], s[34:35], exec
	s_and_b64 s[34:35], s[0:1], exec
.LBB112_69:
	s_or_b64 exec, exec, s[30:31]
	s_and_b64 s[30:31], s[56:57], exec
	s_and_b64 s[0:1], s[34:35], exec
	s_waitcnt lgkmcnt(0)
	v_mov_b64_e32 v[36:37], v[46:47]
	v_mov_b64_e32 v[28:29], v[42:43]
	;; [unrolled: 1-line block ×6, first 2 shown]
.LBB112_70:
	s_or_b64 exec, exec, s[28:29]
	s_and_b64 s[30:31], s[30:31], exec
	s_and_b64 s[28:29], s[0:1], exec
.LBB112_71:
	s_or_b64 exec, exec, s[26:27]
	s_and_b64 s[26:27], s[30:31], exec
	s_and_b64 s[0:1], s[28:29], exec
.LBB112_72:
	s_or_b64 exec, exec, s[24:25]
	s_and_b64 s[26:27], s[26:27], exec
	s_and_b64 s[24:25], s[0:1], exec
.LBB112_73:
	s_or_b64 exec, exec, s[22:23]
	s_and_b64 s[22:23], s[26:27], exec
	s_and_b64 s[0:1], s[24:25], exec
.LBB112_74:
	s_or_b64 exec, exec, s[20:21]
	s_and_b64 s[22:23], s[22:23], exec
	s_and_b64 s[20:21], s[0:1], exec
.LBB112_75:
	s_or_b64 exec, exec, s[18:19]
	s_and_b64 s[18:19], s[22:23], exec
	s_and_b64 s[0:1], s[20:21], exec
.LBB112_76:
	s_or_b64 exec, exec, s[16:17]
	s_and_b64 s[18:19], s[18:19], exec
	s_and_b64 s[16:17], s[0:1], exec
.LBB112_77:
	s_or_b64 exec, exec, s[14:15]
	s_and_b64 s[14:15], s[18:19], exec
	s_and_b64 s[0:1], s[16:17], exec
.LBB112_78:
	s_or_b64 exec, exec, s[12:13]
	s_and_b64 s[14:15], s[14:15], exec
	s_and_b64 s[12:13], s[0:1], exec
.LBB112_79:
	s_or_b64 exec, exec, s[10:11]
	s_and_b64 s[0:1], s[14:15], exec
	s_and_b64 s[10:11], s[12:13], exec
.LBB112_80:
	s_or_b64 exec, exec, s[8:9]
	s_mov_b64 s[8:9], 0
	s_and_b64 vcc, exec, s[6:7]
	s_waitcnt lgkmcnt(0)
	v_lshlrev_b32_e32 v32, 3, v0
	s_cbranch_vccnz .LBB112_82
	s_branch .LBB112_90
.LBB112_81:
                                        ; implicit-def: $sgpr0_sgpr1
                                        ; implicit-def: $vgpr52_vgpr53
                                        ; implicit-def: $vgpr80
                                        ; implicit-def: $vgpr91
                                        ; implicit-def: $vgpr36_vgpr37
                                        ; implicit-def: $vgpr90
                                        ; implicit-def: $vgpr89
                                        ; implicit-def: $vgpr28_vgpr29
                                        ; implicit-def: $vgpr88
                                        ; implicit-def: $vgpr87
                                        ; implicit-def: $vgpr20_vgpr21
                                        ; implicit-def: $vgpr86
                                        ; implicit-def: $vgpr85
                                        ; implicit-def: $vgpr12_vgpr13
                                        ; implicit-def: $vgpr84
                                        ; implicit-def: $vgpr83
                                        ; implicit-def: $vgpr8_vgpr9
                                        ; implicit-def: $vgpr81
                                        ; implicit-def: $vgpr82
                                        ; implicit-def: $vgpr4_vgpr5
                                        ; implicit-def: $vgpr1
                                        ; implicit-def: $sgpr68
                                        ; implicit-def: $sgpr8_sgpr9
                                        ; implicit-def: $vgpr78_vgpr79
                                        ; implicit-def: $vgpr46_vgpr47
                                        ; implicit-def: $vgpr42_vgpr43
                                        ; implicit-def: $vgpr38_vgpr39
                                        ; implicit-def: $vgpr30_vgpr31
                                        ; implicit-def: $vgpr22_vgpr23
                                        ; implicit-def: $vgpr14_vgpr15
	s_and_b64 vcc, exec, s[6:7]
	v_lshlrev_b32_e32 v32, 3, v0
	s_cbranch_vccz .LBB112_90
.LBB112_82:
	v_mov_b32_e32 v33, 0
	v_lshl_add_u64 v[2:3], s[52:53], 0, v[32:33]
	v_add_co_u32_e32 v4, vcc, 0x1000, v2
	s_movk_i32 s0, 0x68
	s_nop 0
	v_addc_co_u32_e32 v5, vcc, 0, v3, vcc
	flat_load_dwordx2 v[6:7], v[2:3]
	flat_load_dwordx2 v[8:9], v[2:3] offset:2048
	flat_load_dwordx2 v[10:11], v[4:5]
	flat_load_dwordx2 v[12:13], v[4:5] offset:2048
	v_add_co_u32_e32 v4, vcc, 0x2000, v2
	v_mad_u32_u24 v1, v0, s0, v32
	s_nop 0
	v_addc_co_u32_e32 v5, vcc, 0, v3, vcc
	v_add_co_u32_e32 v14, vcc, 0x3000, v2
	s_cmp_eq_u64 s[66:67], 0
	s_nop 0
	v_addc_co_u32_e32 v15, vcc, 0, v3, vcc
	flat_load_dwordx2 v[16:17], v[4:5]
	flat_load_dwordx2 v[18:19], v[4:5] offset:2048
	flat_load_dwordx2 v[20:21], v[14:15]
	flat_load_dwordx2 v[22:23], v[14:15] offset:2048
	v_add_co_u32_e32 v4, vcc, 0x4000, v2
	s_nop 1
	v_addc_co_u32_e32 v5, vcc, 0, v3, vcc
	v_add_co_u32_e32 v14, vcc, 0x5000, v2
	s_nop 1
	v_addc_co_u32_e32 v15, vcc, 0, v3, vcc
	v_add_co_u32_e32 v2, vcc, 0x6000, v2
	flat_load_dwordx2 v[24:25], v[4:5]
	flat_load_dwordx2 v[26:27], v[4:5] offset:2048
	flat_load_dwordx2 v[28:29], v[14:15]
	flat_load_dwordx2 v[30:31], v[14:15] offset:2048
	v_addc_co_u32_e32 v3, vcc, 0, v3, vcc
	flat_load_dwordx2 v[4:5], v[2:3]
	flat_load_dwordx2 v[14:15], v[2:3] offset:2048
	s_waitcnt vmcnt(0) lgkmcnt(0)
	ds_write2st64_b64 v32, v[6:7], v[8:9] offset1:4
	ds_write2st64_b64 v32, v[10:11], v[12:13] offset0:8 offset1:12
	ds_write2st64_b64 v32, v[16:17], v[18:19] offset0:16 offset1:20
	;; [unrolled: 1-line block ×6, first 2 shown]
	s_waitcnt lgkmcnt(0)
	s_barrier
	ds_read_b128 v[14:17], v1
	ds_read_b128 v[2:5], v1 offset:16
	ds_read_b128 v[6:9], v1 offset:32
	;; [unrolled: 1-line block ×6, first 2 shown]
	s_cbranch_scc1 .LBB112_87
; %bb.83:
	s_andn2_b64 vcc, exec, s[60:61]
	s_cbranch_vccnz .LBB112_236
; %bb.84:
	s_lshl_b64 s[0:1], s[66:67], 3
	s_add_u32 s0, s62, s0
	s_addc_u32 s1, s63, s1
	s_add_u32 s0, s0, -8
	s_addc_u32 s1, s1, -1
	s_cbranch_execnz .LBB112_86
.LBB112_85:
	s_add_u32 s0, s52, -8
	s_addc_u32 s1, s53, -1
.LBB112_86:
	s_mov_b64 s[52:53], s[0:1]
.LBB112_87:
	v_mov_b64_e32 v[30:31], s[52:53]
	flat_load_dwordx2 v[30:31], v[30:31]
	s_movk_i32 s0, 0xff98
	v_mad_i32_i24 v33, v0, s0, v1
	s_waitcnt lgkmcnt(0)
	ds_write_b64 v33, v[28:29] offset:28672
	s_waitcnt lgkmcnt(0)
	s_barrier
	s_and_saveexec_b64 s[0:1], s[4:5]
	s_cbranch_execz .LBB112_89
; %bb.88:
	s_waitcnt vmcnt(0)
	v_mul_i32_i24_e32 v30, 0xffffff98, v0
	v_add_u32_e32 v30, v1, v30
	ds_read_b64 v[30:31], v30 offset:28664
.LBB112_89:
	s_or_b64 exec, exec, s[0:1]
	v_mov_b32_e32 v33, 0
	v_lshl_add_u64 v[34:35], s[50:51], 0, v[32:33]
	s_movk_i32 s0, 0x1000
	v_add_co_u32_e32 v36, vcc, s0, v34
	s_movk_i32 s0, 0x2000
	s_nop 0
	v_addc_co_u32_e32 v37, vcc, 0, v35, vcc
	s_waitcnt lgkmcnt(0)
	s_barrier
	flat_load_dwordx2 v[38:39], v[34:35]
	flat_load_dwordx2 v[40:41], v[34:35] offset:2048
	flat_load_dwordx2 v[42:43], v[36:37]
	flat_load_dwordx2 v[44:45], v[36:37] offset:2048
	v_add_co_u32_e32 v36, vcc, s0, v34
	s_movk_i32 s0, 0x3000
	s_nop 0
	v_addc_co_u32_e32 v37, vcc, 0, v35, vcc
	v_add_co_u32_e32 v46, vcc, s0, v34
	s_movk_i32 s0, 0x4000
	s_nop 0
	v_addc_co_u32_e32 v47, vcc, 0, v35, vcc
	flat_load_dwordx2 v[48:49], v[36:37]
	flat_load_dwordx2 v[50:51], v[36:37] offset:2048
	flat_load_dwordx2 v[52:53], v[46:47]
	flat_load_dwordx2 v[54:55], v[46:47] offset:2048
	v_add_co_u32_e32 v36, vcc, s0, v34
	s_movk_i32 s0, 0x5000
	s_nop 0
	v_addc_co_u32_e32 v37, vcc, 0, v35, vcc
	v_add_co_u32_e32 v46, vcc, s0, v34
	s_movk_i32 s0, 0x6000
	s_nop 0
	v_addc_co_u32_e32 v47, vcc, 0, v35, vcc
	v_add_co_u32_e32 v34, vcc, s0, v34
	flat_load_dwordx2 v[56:57], v[36:37]
	flat_load_dwordx2 v[58:59], v[36:37] offset:2048
	flat_load_dwordx2 v[60:61], v[46:47]
	flat_load_dwordx2 v[62:63], v[46:47] offset:2048
	v_addc_co_u32_e32 v35, vcc, 0, v35, vcc
	flat_load_dwordx2 v[36:37], v[34:35]
	flat_load_dwordx2 v[46:47], v[34:35] offset:2048
	v_cmp_ne_u64_e32 vcc, v[24:25], v[26:27]
	v_cmp_ne_u64_e64 s[0:1], v[26:27], v[28:29]
	s_mov_b64 s[10:11], -1
	v_cndmask_b32_e64 v80, 0, 1, vcc
	v_cmp_ne_u64_e32 vcc, v[22:23], v[24:25]
                                        ; implicit-def: $sgpr68
                                        ; implicit-def: $sgpr8_sgpr9
                                        ; implicit-def: $vgpr78_vgpr79
	s_waitcnt vmcnt(0) lgkmcnt(0)
	ds_write2st64_b64 v32, v[38:39], v[40:41] offset1:4
	ds_write2st64_b64 v32, v[42:43], v[44:45] offset0:8 offset1:12
	ds_write2st64_b64 v32, v[48:49], v[50:51] offset0:16 offset1:20
	ds_write2st64_b64 v32, v[52:53], v[54:55] offset0:24 offset1:28
	ds_write2st64_b64 v32, v[56:57], v[58:59] offset0:32 offset1:36
	ds_write2st64_b64 v32, v[60:61], v[62:63] offset0:40 offset1:44
	ds_write2st64_b64 v32, v[36:37], v[46:47] offset0:48 offset1:52
	v_cndmask_b32_e64 v91, 0, 1, vcc
	v_cmp_ne_u64_e32 vcc, v[20:21], v[22:23]
	s_waitcnt lgkmcnt(0)
	s_barrier
	v_cndmask_b32_e64 v90, 0, 1, vcc
	v_cmp_ne_u64_e32 vcc, v[18:19], v[20:21]
	s_waitcnt lgkmcnt(0)
                                        ; implicit-def: $vgpr46_vgpr47
                                        ; implicit-def: $vgpr42_vgpr43
                                        ; implicit-def: $vgpr38_vgpr39
                                        ; implicit-def: $vgpr22_vgpr23
	s_nop 0
	v_cndmask_b32_e64 v89, 0, 1, vcc
	v_cmp_ne_u64_e32 vcc, v[12:13], v[18:19]
	s_nop 1
	v_cndmask_b32_e64 v88, 0, 1, vcc
	v_cmp_ne_u64_e32 vcc, v[10:11], v[12:13]
	;; [unrolled: 3-line block ×7, first 2 shown]
	ds_read_b128 v[2:5], v1
	ds_read_b128 v[6:9], v1 offset:16
	ds_read_b128 v[10:13], v1 offset:32
	;; [unrolled: 1-line block ×6, first 2 shown]
	v_cndmask_b32_e64 v81, 0, 1, vcc
	v_cmp_ne_u64_e32 vcc, v[14:15], v[16:17]
	s_nop 1
	v_cndmask_b32_e64 v82, 0, 1, vcc
	v_cmp_ne_u64_e32 vcc, v[30:31], v[14:15]
                                        ; implicit-def: $vgpr30_vgpr31
                                        ; implicit-def: $vgpr14_vgpr15
	s_nop 1
	v_cndmask_b32_e64 v1, 0, 1, vcc
.LBB112_90:
	v_mov_b64_e32 v[16:17], s[8:9]
	v_mov_b32_e32 v33, s68
	s_and_saveexec_b64 s[6:7], s[10:11]
	s_cbranch_execz .LBB112_92
; %bb.91:
	v_cndmask_b32_e64 v33, 0, 1, s[0:1]
	s_waitcnt lgkmcnt(6)
	v_mov_b64_e32 v[14:15], v[4:5]
	s_waitcnt lgkmcnt(5)
	v_mov_b64_e32 v[22:23], v[8:9]
	;; [unrolled: 2-line block ×7, first 2 shown]
	v_mov_b64_e32 v[16:17], v[52:53]
.LBB112_92:
	s_or_b64 exec, exec, s[6:7]
	s_waitcnt lgkmcnt(6)
	v_or_b32_e32 v4, v33, v80
	s_cmp_lg_u32 s47, 0
	s_waitcnt lgkmcnt(2)
	v_or_b32_e32 v29, v4, v91
	v_mbcnt_lo_u32_b32 v28, -1, 0
	s_waitcnt lgkmcnt(0)
	s_barrier
	s_cbranch_scc0 .LBB112_159
; %bb.93:
	v_mov_b32_e32 v8, 0
	v_cmp_eq_u16_sdwa s[6:7], v82, v8 src0_sel:BYTE_0 src1_sel:DWORD
	v_cmp_eq_u16_sdwa s[8:9], v81, v8 src0_sel:BYTE_0 src1_sel:DWORD
	v_cmp_eq_u16_sdwa s[10:11], v83, v8 src0_sel:BYTE_0 src1_sel:DWORD
	v_cndmask_b32_e64 v5, 0, v3, s[6:7]
	v_cndmask_b32_e64 v4, 0, v2, s[6:7]
	v_lshl_add_u64 v[4:5], v[4:5], 0, v[14:15]
	v_cndmask_b32_e64 v5, 0, v5, s[8:9]
	v_cndmask_b32_e64 v4, 0, v4, s[8:9]
	v_lshl_add_u64 v[4:5], v[4:5], 0, v[6:7]
	v_cndmask_b32_e64 v5, 0, v5, s[10:11]
	v_cndmask_b32_e64 v4, 0, v4, s[10:11]
	v_lshl_add_u64 v[4:5], v[4:5], 0, v[22:23]
	v_cmp_eq_u16_sdwa s[12:13], v84, v8 src0_sel:BYTE_0 src1_sel:DWORD
	v_cmp_eq_u16_sdwa s[14:15], v85, v8 src0_sel:BYTE_0 src1_sel:DWORD
	v_cmp_eq_u16_sdwa s[16:17], v86, v8 src0_sel:BYTE_0 src1_sel:DWORD
	v_cndmask_b32_e64 v5, 0, v5, s[12:13]
	v_cndmask_b32_e64 v4, 0, v4, s[12:13]
	v_lshl_add_u64 v[4:5], v[4:5], 0, v[10:11]
	v_cndmask_b32_e64 v5, 0, v5, s[14:15]
	v_cndmask_b32_e64 v4, 0, v4, s[14:15]
	v_lshl_add_u64 v[4:5], v[4:5], 0, v[30:31]
	v_cndmask_b32_e64 v5, 0, v5, s[16:17]
	v_cndmask_b32_e64 v4, 0, v4, s[16:17]
	v_lshl_add_u64 v[4:5], v[4:5], 0, v[18:19]
	;; [unrolled: 12-line block ×4, first 2 shown]
	v_cmp_eq_u16_sdwa s[30:31], v33, v8 src0_sel:BYTE_0 src1_sel:DWORD
	v_and_b32_e32 v12, 0xff, v1
	v_mbcnt_hi_u32_b32 v44, -1, v28
	v_cndmask_b32_e64 v5, 0, v5, s[30:31]
	v_cndmask_b32_e64 v4, 0, v4, s[30:31]
	v_lshl_add_u64 v[8:9], v[4:5], 0, v[16:17]
	v_or_b32_e32 v4, v29, v90
	v_or_b32_e32 v4, v4, v89
	;; [unrolled: 1-line block ×10, first 2 shown]
	v_and_b32_e32 v4, 1, v4
	v_cmp_eq_u32_e32 vcc, 1, v4
	v_and_b32_e32 v4, 15, v44
	v_mov_b32_dpp v13, v8 row_shr:1 row_mask:0xf bank_mask:0xf
	v_cndmask_b32_e64 v12, v12, 1, vcc
	v_mov_b32_dpp v20, v9 row_shr:1 row_mask:0xf bank_mask:0xf
	v_cmp_ne_u32_e32 vcc, 0, v4
	v_mov_b32_dpp v5, v12 row_shr:1 row_mask:0xf bank_mask:0xf
	s_and_saveexec_b64 s[0:1], vcc
; %bb.94:
	v_cmp_eq_u32_e32 vcc, 0, v12
	v_and_or_b32 v12, v5, 1, v12
	s_nop 0
	v_cndmask_b32_e32 v21, 0, v20, vcc
	v_cndmask_b32_e32 v20, 0, v13, vcc
	v_lshl_add_u64 v[8:9], v[20:21], 0, v[8:9]
; %bb.95:
	s_or_b64 exec, exec, s[0:1]
	s_nop 0
	v_mov_b32_dpp v13, v8 row_shr:2 row_mask:0xf bank_mask:0xf
	v_mov_b32_dpp v20, v9 row_shr:2 row_mask:0xf bank_mask:0xf
	v_mov_b32_dpp v5, v12 row_shr:2 row_mask:0xf bank_mask:0xf
	v_cmp_lt_u32_e32 vcc, 1, v4
	s_and_saveexec_b64 s[0:1], vcc
; %bb.96:
	v_cmp_eq_u32_e32 vcc, 0, v12
	v_or_b32_e32 v5, v5, v12
	v_and_b32_e32 v12, 1, v5
	v_cndmask_b32_e32 v21, 0, v20, vcc
	v_cndmask_b32_e32 v20, 0, v13, vcc
	v_lshl_add_u64 v[8:9], v[20:21], 0, v[8:9]
; %bb.97:
	s_or_b64 exec, exec, s[0:1]
	s_nop 0
	v_mov_b32_dpp v13, v8 row_shr:4 row_mask:0xf bank_mask:0xf
	v_mov_b32_dpp v20, v9 row_shr:4 row_mask:0xf bank_mask:0xf
	v_mov_b32_dpp v5, v12 row_shr:4 row_mask:0xf bank_mask:0xf
	v_cmp_lt_u32_e32 vcc, 3, v4
	s_and_saveexec_b64 s[0:1], vcc
; %bb.98:
	v_cmp_eq_u32_e32 vcc, 0, v12
	v_or_b32_e32 v5, v5, v12
	v_and_b32_e32 v12, 1, v5
	;; [unrolled: 15-line block ×3, first 2 shown]
	v_cndmask_b32_e32 v21, 0, v20, vcc
	v_cndmask_b32_e32 v20, 0, v13, vcc
	v_lshl_add_u64 v[8:9], v[20:21], 0, v[8:9]
; %bb.101:
	s_or_b64 exec, exec, s[0:1]
	v_and_b32_e32 v20, 16, v44
	v_mov_b32_dpp v5, v8 row_bcast:15 row_mask:0xf bank_mask:0xf
	v_mov_b32_dpp v13, v9 row_bcast:15 row_mask:0xf bank_mask:0xf
	;; [unrolled: 1-line block ×3, first 2 shown]
	v_cmp_ne_u32_e32 vcc, 0, v20
	s_and_saveexec_b64 s[0:1], vcc
; %bb.102:
	v_cmp_eq_u32_e32 vcc, 0, v12
	v_or_b32_e32 v4, v4, v12
	v_and_b32_e32 v12, 1, v4
	v_cndmask_b32_e32 v21, 0, v13, vcc
	v_cndmask_b32_e32 v20, 0, v5, vcc
	v_lshl_add_u64 v[8:9], v[20:21], 0, v[8:9]
; %bb.103:
	s_or_b64 exec, exec, s[0:1]
	s_nop 0
	v_mov_b32_dpp v13, v8 row_bcast:31 row_mask:0xf bank_mask:0xf
	v_mov_b32_dpp v20, v9 row_bcast:31 row_mask:0xf bank_mask:0xf
	;; [unrolled: 1-line block ×3, first 2 shown]
	v_cmp_lt_u32_e32 vcc, 31, v44
	v_mov_b32_e32 v4, v12
	s_and_saveexec_b64 s[0:1], vcc
; %bb.104:
	v_cmp_eq_u32_e32 vcc, 0, v12
	v_or_b32_e32 v5, v5, v12
	v_and_b32_e32 v4, 1, v5
	v_cndmask_b32_e32 v21, 0, v20, vcc
	v_cndmask_b32_e32 v20, 0, v13, vcc
	v_lshl_add_u64 v[8:9], v[20:21], 0, v[8:9]
	v_and_b32_e32 v12, 1, v5
; %bb.105:
	s_or_b64 exec, exec, s[0:1]
	v_or_b32_e32 v5, 63, v0
	v_lshrrev_b32_e32 v13, 6, v0
	v_cmp_eq_u32_e32 vcc, v5, v0
	s_and_saveexec_b64 s[0:1], vcc
	s_cbranch_execz .LBB112_107
; %bb.106:
	v_lshlrev_b32_e32 v5, 4, v13
	ds_write_b64 v5, v[8:9]
	ds_write_b8 v5, v4 offset:8
.LBB112_107:
	s_or_b64 exec, exec, s[0:1]
	v_cmp_gt_u32_e32 vcc, 4, v0
	s_waitcnt lgkmcnt(0)
	s_barrier
	s_and_saveexec_b64 s[34:35], vcc
	s_cbranch_execz .LBB112_113
; %bb.108:
	v_lshlrev_b32_e32 v20, 4, v0
	ds_read_b64 v[4:5], v20
	ds_read_b32 v21, v20 offset:8
	v_and_b32_e32 v24, 3, v44
	v_cmp_ne_u32_e32 vcc, 0, v24
	s_waitcnt lgkmcnt(1)
	v_mov_b32_dpp v40, v4 row_shr:1 row_mask:0xf bank_mask:0xf
	v_mov_b32_dpp v41, v5 row_shr:1 row_mask:0xf bank_mask:0xf
	s_waitcnt lgkmcnt(0)
	v_mov_b32_dpp v37, v21 row_shr:1 row_mask:0xf bank_mask:0xf
	v_mov_b32_e32 v25, v21
	v_mov_b32_e32 v36, v21
	s_and_saveexec_b64 s[0:1], vcc
; %bb.109:
	v_mov_b32_e32 v25, 0
	v_cmp_eq_u16_sdwa vcc, v21, v25 src0_sel:BYTE_0 src1_sel:DWORD
	v_or_b32_e32 v36, v37, v21
	v_and_b32_e32 v25, 1, v36
	v_cndmask_b32_e32 v41, 0, v41, vcc
	v_cndmask_b32_e32 v40, 0, v40, vcc
	v_and_b32_e32 v36, 1, v36
	s_movk_i32 s50, 0xff00
	v_lshl_add_u64 v[4:5], v[40:41], 0, v[4:5]
	v_and_or_b32 v21, v21, s50, v36
; %bb.110:
	s_or_b64 exec, exec, s[0:1]
	v_mov_b32_dpp v37, v4 row_shr:2 row_mask:0xf bank_mask:0xf
	v_mov_b32_dpp v40, v5 row_shr:2 row_mask:0xf bank_mask:0xf
	;; [unrolled: 1-line block ×3, first 2 shown]
	v_cmp_lt_u32_e32 vcc, 1, v24
	s_and_saveexec_b64 s[50:51], vcc
; %bb.111:
	v_mov_b32_e32 v24, 0
	v_cmp_eq_u16_sdwa vcc, v36, v24 src0_sel:BYTE_0 src1_sel:DWORD
	v_and_b32_e32 v21, 1, v21
	v_cmp_eq_u32_e64 s[0:1], 1, v21
	v_cndmask_b32_e32 v25, 0, v40, vcc
	v_cndmask_b32_e32 v24, 0, v37, vcc
	v_lshl_add_u64 v[4:5], v[24:25], 0, v[4:5]
	v_and_b32_e32 v24, 1, v36
	v_cmp_eq_u32_e32 vcc, 1, v24
	s_or_b64 s[0:1], vcc, s[0:1]
	v_cndmask_b32_e64 v25, 0, 1, s[0:1]
; %bb.112:
	s_or_b64 exec, exec, s[50:51]
	ds_write_b64 v20, v[4:5]
	ds_write_b8 v20, v25 offset:8
.LBB112_113:
	s_or_b64 exec, exec, s[34:35]
	v_cmp_gt_u32_e32 vcc, 64, v0
	v_cmp_lt_u32_e64 s[0:1], 63, v0
	v_mov_b32_e32 v36, 0
	v_mov_b64_e32 v[4:5], 0
	s_waitcnt lgkmcnt(0)
	s_barrier
	s_and_saveexec_b64 s[34:35], s[0:1]
	s_cbranch_execz .LBB112_115
; %bb.114:
	v_lshl_add_u32 v13, v13, 4, -16
	ds_read_b64 v[4:5], v13
	ds_read_u8 v36, v13 offset:8
	v_and_b32_e32 v20, 1, v12
	v_cmp_eq_u32_e64 s[0:1], 0, v12
	s_waitcnt lgkmcnt(1)
	s_nop 0
	v_cndmask_b32_e64 v13, 0, v5, s[0:1]
	v_cndmask_b32_e64 v12, 0, v4, s[0:1]
	v_cmp_eq_u32_e64 s[0:1], 1, v20
	v_lshl_add_u64 v[8:9], v[12:13], 0, v[8:9]
	s_waitcnt lgkmcnt(0)
	v_cndmask_b32_e64 v12, v36, 1, s[0:1]
.LBB112_115:
	s_or_b64 exec, exec, s[34:35]
	v_add_u32_e32 v13, -1, v44
	v_and_b32_e32 v20, 64, v44
	v_cmp_lt_i32_e64 s[0:1], v13, v20
	v_cmp_eq_u32_e64 s[34:35], 0, v44
	s_nop 0
	v_cndmask_b32_e64 v13, v13, v44, s[0:1]
	v_lshlrev_b32_e32 v13, 2, v13
	ds_bpermute_b32 v37, v13, v8
	ds_bpermute_b32 v40, v13, v9
	;; [unrolled: 1-line block ×3, first 2 shown]
	s_and_saveexec_b64 s[50:51], vcc
	s_cbranch_execz .LBB112_158
; %bb.116:
	v_mov_b32_e32 v13, 0
	ds_read2_b64 v[48:51], v13 offset0:6 offset1:7
	s_and_saveexec_b64 s[0:1], s[34:35]
	s_cbranch_execz .LBB112_118
; %bb.117:
	s_add_i32 s52, s47, 64
	s_mov_b32 s53, 0
	s_lshl_b64 s[56:57], s[52:53], 4
	s_add_u32 s56, s40, s56
	s_addc_u32 s57, s41, s57
	v_mov_b32_e32 v8, s52
	v_mov_b32_e32 v9, 1
	s_waitcnt lgkmcnt(0)
	global_store_dword v13, v48, s[56:57] sc1
	global_store_dword v13, v49, s[56:57] offset:4 sc1
	global_store_dword v13, v50, s[56:57] offset:8 sc1
	;; [unrolled: 1-line block ×3, first 2 shown]
	s_waitcnt vmcnt(0)
	global_store_byte v8, v9, s[44:45] sc1
.LBB112_118:
	s_or_b64 exec, exec, s[0:1]
	v_xad_u32 v8, v44, -1, s47
	v_add_u32_e32 v12, 64, v8
	global_load_ubyte v45, v12, s[44:45] sc1
	s_waitcnt vmcnt(0)
	v_cmp_eq_u16_e32 vcc, 0, v45
	s_and_saveexec_b64 s[0:1], vcc
	s_cbranch_execz .LBB112_122
; %bb.119:
	v_lshl_add_u64 v[20:21], s[44:45], 0, v[12:13]
	s_mov_b64 s[52:53], 0
.LBB112_120:                            ; =>This Inner Loop Header: Depth=1
	global_load_ubyte v45, v[20:21], off sc1
	s_waitcnt vmcnt(0)
	v_cmp_ne_u16_e32 vcc, 0, v45
	s_or_b64 s[52:53], vcc, s[52:53]
	s_andn2_b64 exec, exec, s[52:53]
	s_cbranch_execnz .LBB112_120
; %bb.121:
	s_or_b64 exec, exec, s[52:53]
.LBB112_122:
	s_or_b64 exec, exec, s[0:1]
	v_mov_b32_e32 v9, s43
	v_mov_b32_e32 v20, s41
	v_cmp_eq_u16_e32 vcc, 1, v45
	s_waitcnt vmcnt(0) lgkmcnt(0)
	s_nop 0
	v_cndmask_b32_e32 v21, v9, v20, vcc
	v_mov_b32_e32 v9, s42
	v_mov_b32_e32 v20, s40
	v_cndmask_b32_e32 v20, v9, v20, vcc
	v_lshl_add_u64 v[12:13], v[12:13], 4, v[20:21]
	global_load_dword v24, v[12:13], off sc1
	global_load_dword v25, v[12:13], off offset:4 sc1
	global_load_dword v64, v[12:13], off offset:8 sc1
	;; [unrolled: 1-line block ×3, first 2 shown]
	v_cmp_eq_u16_e32 vcc, 2, v45
	v_lshlrev_b64 v[12:13], v44, -1
	v_and_b32_e32 v51, 63, v44
	s_waitcnt vmcnt(0)
	v_and_b32_e32 v9, vcc_hi, v13
	v_and_b32_e32 v55, vcc_lo, v12
	v_cmp_ne_u32_e32 vcc, 63, v51
	v_or_b32_e32 v9, 0x80000000, v9
	v_ffbl_b32_e32 v9, v9
	v_addc_co_u32_e32 v20, vcc, 0, v44, vcc
	v_lshlrev_b32_e32 v52, 2, v20
	v_add_u32_e32 v9, 32, v9
	v_ffbl_b32_e32 v55, v55
	v_min_u32_e32 v9, v55, v9
	v_cmp_lt_u32_e32 vcc, v51, v9
	ds_bpermute_b32 v53, v52, v24
	ds_bpermute_b32 v54, v52, v25
	v_and_b32_e32 v20, 0xff, v64
	ds_bpermute_b32 v21, v52, v20
	s_and_saveexec_b64 s[0:1], vcc
	s_cbranch_execz .LBB112_124
; %bb.123:
	v_mov_b32_e32 v20, 0
	v_cmp_eq_u16_sdwa vcc, v64, v20 src0_sel:BYTE_0 src1_sel:DWORD
	s_waitcnt lgkmcnt(0)
	v_or_b32_e32 v20, v21, v64
	v_and_b32_e32 v64, 1, v20
	v_cndmask_b32_e32 v55, 0, v54, vcc
	v_cndmask_b32_e32 v54, 0, v53, vcc
	v_lshl_add_u64 v[24:25], v[54:55], 0, v[24:25]
	v_and_b32_e32 v20, 1, v20
.LBB112_124:
	s_or_b64 exec, exec, s[0:1]
	v_cmp_gt_u32_e32 vcc, 62, v51
	s_waitcnt lgkmcnt(1)
	v_add_u32_e32 v54, 2, v51
	s_waitcnt lgkmcnt(0)
	v_cndmask_b32_e64 v21, 0, 1, vcc
	v_lshlrev_b32_e32 v21, 1, v21
	v_add_lshl_u32 v53, v21, v44, 2
	ds_bpermute_b32 v55, v53, v24
	ds_bpermute_b32 v56, v53, v25
	ds_bpermute_b32 v21, v53, v20
	v_cmp_le_u32_e32 vcc, v54, v9
	s_and_saveexec_b64 s[52:53], vcc
	s_cbranch_execz .LBB112_126
; %bb.125:
	v_mov_b32_e32 v20, 0
	v_cmp_eq_u16_sdwa vcc, v64, v20 src0_sel:BYTE_0 src1_sel:DWORD
	v_and_b32_e32 v20, 1, v64
	s_waitcnt lgkmcnt(1)
	v_cndmask_b32_e32 v57, 0, v56, vcc
	v_cndmask_b32_e32 v56, 0, v55, vcc
	v_cmp_eq_u32_e32 vcc, 1, v20
	s_waitcnt lgkmcnt(0)
	v_and_b32_e32 v20, 1, v21
	v_cmp_eq_u32_e64 s[0:1], 1, v20
	s_or_b64 s[0:1], vcc, s[0:1]
	v_lshl_add_u64 v[24:25], v[56:57], 0, v[24:25]
	v_cndmask_b32_e64 v64, 0, 1, s[0:1]
	v_cndmask_b32_e64 v20, 0, 1, s[0:1]
.LBB112_126:
	s_or_b64 exec, exec, s[52:53]
	v_cmp_gt_u32_e32 vcc, 60, v51
	s_waitcnt lgkmcnt(1)
	v_add_u32_e32 v56, 4, v51
	s_waitcnt lgkmcnt(0)
	v_cndmask_b32_e64 v21, 0, 1, vcc
	v_lshlrev_b32_e32 v21, 2, v21
	v_add_lshl_u32 v55, v21, v44, 2
	ds_bpermute_b32 v57, v55, v24
	ds_bpermute_b32 v58, v55, v25
	ds_bpermute_b32 v21, v55, v20
	v_cmp_le_u32_e32 vcc, v56, v9
	s_and_saveexec_b64 s[52:53], vcc
	s_cbranch_execz .LBB112_128
; %bb.127:
	v_mov_b32_e32 v20, 0
	v_cmp_eq_u16_sdwa vcc, v64, v20 src0_sel:BYTE_0 src1_sel:DWORD
	v_and_b32_e32 v20, 1, v64
	s_waitcnt lgkmcnt(1)
	v_cndmask_b32_e32 v59, 0, v58, vcc
	v_cndmask_b32_e32 v58, 0, v57, vcc
	v_cmp_eq_u32_e32 vcc, 1, v20
	s_waitcnt lgkmcnt(0)
	v_and_b32_e32 v20, 1, v21
	v_cmp_eq_u32_e64 s[0:1], 1, v20
	s_or_b64 s[0:1], vcc, s[0:1]
	v_lshl_add_u64 v[24:25], v[58:59], 0, v[24:25]
	v_cndmask_b32_e64 v64, 0, 1, s[0:1]
	v_cndmask_b32_e64 v20, 0, 1, s[0:1]
.LBB112_128:
	;; [unrolled: 30-line block ×4, first 2 shown]
	s_or_b64 exec, exec, s[52:53]
	v_cmp_gt_u32_e32 vcc, 32, v51
	s_waitcnt lgkmcnt(1)
	v_add_u32_e32 v62, 32, v51
	s_waitcnt lgkmcnt(0)
	v_cndmask_b32_e64 v21, 0, 1, vcc
	v_lshlrev_b32_e32 v21, 5, v21
	v_add_lshl_u32 v61, v21, v44, 2
	ds_bpermute_b32 v21, v61, v24
	ds_bpermute_b32 v44, v61, v25
	ds_bpermute_b32 v20, v61, v20
	v_cmp_le_u32_e32 vcc, v62, v9
	s_and_saveexec_b64 s[52:53], vcc
	s_cbranch_execz .LBB112_134
; %bb.133:
	v_mov_b32_e32 v9, 0
	v_cmp_eq_u16_sdwa vcc, v64, v9 src0_sel:BYTE_0 src1_sel:DWORD
	v_and_b32_e32 v9, 1, v64
	s_waitcnt lgkmcnt(1)
	v_cndmask_b32_e32 v67, 0, v44, vcc
	v_cndmask_b32_e32 v66, 0, v21, vcc
	v_cmp_eq_u32_e32 vcc, 1, v9
	s_waitcnt lgkmcnt(0)
	v_and_b32_e32 v9, 1, v20
	v_cmp_eq_u32_e64 s[0:1], 1, v9
	s_or_b64 s[0:1], vcc, s[0:1]
	v_lshl_add_u64 v[24:25], v[66:67], 0, v[24:25]
	v_cndmask_b32_e64 v64, 0, 1, s[0:1]
.LBB112_134:
	s_or_b64 exec, exec, s[52:53]
	v_mov_b32_e32 v9, 0
	v_mov_b32_e32 v63, 2
	s_branch .LBB112_136
.LBB112_135:                            ;   in Loop: Header=BB112_136 Depth=1
	s_or_b64 exec, exec, s[56:57]
	v_cmp_eq_u16_sdwa vcc, v44, v9 src0_sel:BYTE_0 src1_sel:DWORD
	v_and_b32_e32 v64, 1, v44
	v_subrev_u32_e32 v8, 64, v8
	v_cndmask_b32_e32 v25, 0, v25, vcc
	v_cndmask_b32_e32 v24, 0, v24, vcc
	v_cmp_eq_u32_e32 vcc, 1, v64
	s_or_b64 s[0:1], vcc, s[52:53]
	v_lshl_add_u64 v[24:25], v[24:25], 0, v[20:21]
	v_cndmask_b32_e64 v64, 0, 1, s[0:1]
.LBB112_136:                            ; =>This Loop Header: Depth=1
                                        ;     Child Loop BB112_139 Depth 2
	v_cmp_ne_u16_sdwa s[0:1], v45, v63 src0_sel:BYTE_0 src1_sel:DWORD
	s_waitcnt lgkmcnt(1)
	v_mov_b32_e32 v44, v64
	s_waitcnt lgkmcnt(0)
	v_cndmask_b32_e64 v20, 0, 1, s[0:1]
	;;#ASMSTART
	;;#ASMEND
	s_nop 0
	v_cmp_ne_u32_e32 vcc, 0, v20
	s_cmp_lg_u64 vcc, exec
	v_mov_b64_e32 v[20:21], v[24:25]
	s_cbranch_scc1 .LBB112_153
; %bb.137:                              ;   in Loop: Header=BB112_136 Depth=1
	global_load_ubyte v45, v8, s[44:45] sc1
	s_waitcnt vmcnt(0)
	v_cmp_eq_u16_e32 vcc, 0, v45
	s_and_saveexec_b64 s[0:1], vcc
	s_cbranch_execz .LBB112_141
; %bb.138:                              ;   in Loop: Header=BB112_136 Depth=1
	v_lshl_add_u64 v[24:25], s[44:45], 0, v[8:9]
	s_mov_b64 s[52:53], 0
.LBB112_139:                            ;   Parent Loop BB112_136 Depth=1
                                        ; =>  This Inner Loop Header: Depth=2
	global_load_ubyte v45, v[24:25], off sc1
	s_waitcnt vmcnt(0)
	v_cmp_ne_u16_e32 vcc, 0, v45
	s_or_b64 s[52:53], vcc, s[52:53]
	s_andn2_b64 exec, exec, s[52:53]
	s_cbranch_execnz .LBB112_139
; %bb.140:                              ;   in Loop: Header=BB112_136 Depth=1
	s_or_b64 exec, exec, s[52:53]
.LBB112_141:                            ;   in Loop: Header=BB112_136 Depth=1
	s_or_b64 exec, exec, s[0:1]
	v_mov_b32_e32 v24, s43
	v_mov_b32_e32 v25, s41
	v_cmp_eq_u16_e32 vcc, 1, v45
	v_mov_b32_e32 v64, s40
	s_waitcnt vmcnt(0)
	v_cndmask_b32_e32 v25, v24, v25, vcc
	v_mov_b32_e32 v24, s42
	v_cndmask_b32_e32 v24, v24, v64, vcc
	v_lshl_add_u64 v[66:67], v[8:9], 4, v[24:25]
	global_load_dword v24, v[66:67], off sc1
	global_load_dword v25, v[66:67], off offset:4 sc1
	global_load_dword v64, v[66:67], off offset:8 sc1
	;; [unrolled: 1-line block ×3, first 2 shown]
	v_cmp_eq_u16_e32 vcc, 2, v45
	s_waitcnt vmcnt(3)
	ds_bpermute_b32 v68, v52, v24
	s_waitcnt vmcnt(0)
	v_and_b32_e32 v65, vcc_hi, v13
	v_and_b32_e32 v66, 0xff, v64
	v_or_b32_e32 v65, 0x80000000, v65
	ds_bpermute_b32 v69, v52, v25
	ds_bpermute_b32 v67, v52, v66
	v_and_b32_e32 v70, vcc_lo, v12
	v_ffbl_b32_e32 v65, v65
	v_add_u32_e32 v65, 32, v65
	v_ffbl_b32_e32 v70, v70
	v_min_u32_e32 v65, v70, v65
	v_cmp_lt_u32_e32 vcc, v51, v65
	s_and_saveexec_b64 s[0:1], vcc
	s_cbranch_execz .LBB112_143
; %bb.142:                              ;   in Loop: Header=BB112_136 Depth=1
	v_cmp_eq_u16_sdwa vcc, v64, v9 src0_sel:BYTE_0 src1_sel:DWORD
	s_waitcnt lgkmcnt(0)
	v_or_b32_e32 v66, v67, v64
	v_and_b32_e32 v64, 1, v66
	v_cndmask_b32_e32 v69, 0, v69, vcc
	v_cndmask_b32_e32 v68, 0, v68, vcc
	v_lshl_add_u64 v[24:25], v[68:69], 0, v[24:25]
	v_and_b32_e32 v66, 1, v66
.LBB112_143:                            ;   in Loop: Header=BB112_136 Depth=1
	s_or_b64 exec, exec, s[0:1]
	s_waitcnt lgkmcnt(2)
	ds_bpermute_b32 v68, v53, v24
	s_waitcnt lgkmcnt(2)
	ds_bpermute_b32 v69, v53, v25
	s_waitcnt lgkmcnt(2)
	ds_bpermute_b32 v67, v53, v66
	v_and_b32_e32 v70, 1, v64
	v_cmp_le_u32_e32 vcc, v54, v65
	v_cmp_eq_u32_e64 s[52:53], 1, v70
	s_and_saveexec_b64 s[0:1], vcc
	s_cbranch_execz .LBB112_145
; %bb.144:                              ;   in Loop: Header=BB112_136 Depth=1
	v_cmp_eq_u16_sdwa vcc, v64, v9 src0_sel:BYTE_0 src1_sel:DWORD
	s_waitcnt lgkmcnt(0)
	v_and_b32_e32 v64, 1, v67
	v_cndmask_b32_e32 v69, 0, v69, vcc
	v_cndmask_b32_e32 v68, 0, v68, vcc
	v_cmp_eq_u32_e32 vcc, 1, v64
	s_or_b64 s[56:57], s[52:53], vcc
	v_cndmask_b32_e64 v64, 0, 1, s[56:57]
	v_cndmask_b32_e64 v66, 0, 1, s[56:57]
	s_andn2_b64 s[52:53], s[52:53], exec
	s_and_b64 s[56:57], s[56:57], exec
	v_lshl_add_u64 v[24:25], v[68:69], 0, v[24:25]
	s_or_b64 s[52:53], s[52:53], s[56:57]
.LBB112_145:                            ;   in Loop: Header=BB112_136 Depth=1
	s_or_b64 exec, exec, s[0:1]
	s_waitcnt lgkmcnt(2)
	ds_bpermute_b32 v68, v55, v24
	s_waitcnt lgkmcnt(2)
	ds_bpermute_b32 v69, v55, v25
	s_waitcnt lgkmcnt(2)
	ds_bpermute_b32 v67, v55, v66
	v_cmp_le_u32_e32 vcc, v56, v65
	s_and_saveexec_b64 s[56:57], vcc
	s_cbranch_execz .LBB112_147
; %bb.146:                              ;   in Loop: Header=BB112_136 Depth=1
	v_cmp_eq_u16_sdwa vcc, v64, v9 src0_sel:BYTE_0 src1_sel:DWORD
	v_and_b32_e32 v64, 1, v64
	s_andn2_b64 s[52:53], s[52:53], exec
	s_waitcnt lgkmcnt(1)
	v_cndmask_b32_e32 v69, 0, v69, vcc
	v_cndmask_b32_e32 v68, 0, v68, vcc
	v_cmp_eq_u32_e32 vcc, 1, v64
	s_waitcnt lgkmcnt(0)
	v_and_b32_e32 v64, 1, v67
	v_cmp_eq_u32_e64 s[0:1], 1, v64
	s_or_b64 s[0:1], vcc, s[0:1]
	v_lshl_add_u64 v[24:25], v[68:69], 0, v[24:25]
	v_cndmask_b32_e64 v64, 0, 1, s[0:1]
	v_cndmask_b32_e64 v66, 0, 1, s[0:1]
	s_and_b64 s[0:1], s[0:1], exec
	s_or_b64 s[52:53], s[52:53], s[0:1]
.LBB112_147:                            ;   in Loop: Header=BB112_136 Depth=1
	s_or_b64 exec, exec, s[56:57]
	s_waitcnt lgkmcnt(2)
	ds_bpermute_b32 v68, v57, v24
	s_waitcnt lgkmcnt(2)
	ds_bpermute_b32 v69, v57, v25
	s_waitcnt lgkmcnt(2)
	ds_bpermute_b32 v67, v57, v66
	v_cmp_le_u32_e32 vcc, v58, v65
	s_and_saveexec_b64 s[56:57], vcc
	s_cbranch_execz .LBB112_149
; %bb.148:                              ;   in Loop: Header=BB112_136 Depth=1
	v_cmp_eq_u16_sdwa vcc, v64, v9 src0_sel:BYTE_0 src1_sel:DWORD
	v_and_b32_e32 v64, 1, v64
	s_andn2_b64 s[52:53], s[52:53], exec
	s_waitcnt lgkmcnt(1)
	v_cndmask_b32_e32 v69, 0, v69, vcc
	v_cndmask_b32_e32 v68, 0, v68, vcc
	v_cmp_eq_u32_e32 vcc, 1, v64
	s_waitcnt lgkmcnt(0)
	v_and_b32_e32 v64, 1, v67
	v_cmp_eq_u32_e64 s[0:1], 1, v64
	s_or_b64 s[0:1], vcc, s[0:1]
	v_lshl_add_u64 v[24:25], v[68:69], 0, v[24:25]
	v_cndmask_b32_e64 v64, 0, 1, s[0:1]
	v_cndmask_b32_e64 v66, 0, 1, s[0:1]
	s_and_b64 s[0:1], s[0:1], exec
	s_or_b64 s[52:53], s[52:53], s[0:1]
.LBB112_149:                            ;   in Loop: Header=BB112_136 Depth=1
	s_or_b64 exec, exec, s[56:57]
	s_waitcnt lgkmcnt(2)
	ds_bpermute_b32 v68, v59, v24
	s_waitcnt lgkmcnt(2)
	ds_bpermute_b32 v69, v59, v25
	s_waitcnt lgkmcnt(2)
	ds_bpermute_b32 v67, v59, v66
	v_cmp_le_u32_e32 vcc, v60, v65
	s_and_saveexec_b64 s[56:57], vcc
	s_cbranch_execz .LBB112_151
; %bb.150:                              ;   in Loop: Header=BB112_136 Depth=1
	v_cmp_eq_u16_sdwa vcc, v64, v9 src0_sel:BYTE_0 src1_sel:DWORD
	v_and_b32_e32 v64, 1, v64
	s_andn2_b64 s[52:53], s[52:53], exec
	s_waitcnt lgkmcnt(1)
	v_cndmask_b32_e32 v69, 0, v69, vcc
	v_cndmask_b32_e32 v68, 0, v68, vcc
	v_cmp_eq_u32_e32 vcc, 1, v64
	s_waitcnt lgkmcnt(0)
	v_and_b32_e32 v64, 1, v67
	v_cmp_eq_u32_e64 s[0:1], 1, v64
	s_or_b64 s[0:1], vcc, s[0:1]
	v_lshl_add_u64 v[24:25], v[68:69], 0, v[24:25]
	v_cndmask_b32_e64 v64, 0, 1, s[0:1]
	v_cndmask_b32_e64 v66, 0, 1, s[0:1]
	s_and_b64 s[0:1], s[0:1], exec
	s_or_b64 s[52:53], s[52:53], s[0:1]
.LBB112_151:                            ;   in Loop: Header=BB112_136 Depth=1
	s_or_b64 exec, exec, s[56:57]
	s_waitcnt lgkmcnt(0)
	ds_bpermute_b32 v67, v61, v24
	ds_bpermute_b32 v68, v61, v25
	;; [unrolled: 1-line block ×3, first 2 shown]
	v_cmp_le_u32_e32 vcc, v62, v65
	s_and_saveexec_b64 s[56:57], vcc
	s_cbranch_execz .LBB112_135
; %bb.152:                              ;   in Loop: Header=BB112_136 Depth=1
	v_cmp_eq_u16_sdwa vcc, v64, v9 src0_sel:BYTE_0 src1_sel:DWORD
	v_and_b32_e32 v64, 1, v64
	s_andn2_b64 s[52:53], s[52:53], exec
	s_waitcnt lgkmcnt(1)
	v_cndmask_b32_e32 v69, 0, v68, vcc
	v_cndmask_b32_e32 v68, 0, v67, vcc
	v_cmp_eq_u32_e32 vcc, 1, v64
	s_waitcnt lgkmcnt(0)
	v_and_b32_e32 v64, 1, v66
	v_cmp_eq_u32_e64 s[0:1], 1, v64
	s_or_b64 s[0:1], vcc, s[0:1]
	s_and_b64 s[0:1], s[0:1], exec
	v_lshl_add_u64 v[24:25], v[68:69], 0, v[24:25]
	s_or_b64 s[52:53], s[52:53], s[0:1]
	s_branch .LBB112_135
.LBB112_153:                            ;   in Loop: Header=BB112_136 Depth=1
                                        ; implicit-def: $vgpr64
                                        ; implicit-def: $vgpr24_vgpr25
                                        ; implicit-def: $vgpr45
	s_cbranch_execz .LBB112_136
; %bb.154:
	s_and_saveexec_b64 s[0:1], s[34:35]
	s_cbranch_execz .LBB112_156
; %bb.155:
	s_mov_b32 s41, 0
	v_mov_b32_e32 v12, 0
	s_add_i32 s40, s47, 64
	v_cmp_eq_u32_sdwa vcc, v50, v12 src0_sel:BYTE_0 src1_sel:DWORD
	s_lshl_b64 s[52:53], s[40:41], 4
	v_and_b32_e32 v13, 1, v50
	v_cndmask_b32_e32 v9, 0, v21, vcc
	v_cndmask_b32_e32 v8, 0, v20, vcc
	s_add_u32 s52, s42, s52
	v_lshl_add_u64 v[8:9], v[8:9], 0, v[48:49]
	v_and_b32_e32 v24, 1, v44
	v_cmp_eq_u32_e32 vcc, 1, v13
	s_addc_u32 s53, s43, s53
	s_nop 0
	v_cndmask_b32_e64 v13, v24, 1, vcc
	global_store_dword v12, v8, s[52:53] sc1
	global_store_dword v12, v9, s[52:53] offset:4 sc1
	global_store_dword v12, v13, s[52:53] offset:8 sc1
	global_store_dword v12, v12, s[52:53] offset:12 sc1
	v_mov_b32_e32 v8, s40
	v_mov_b32_e32 v9, 2
	s_waitcnt vmcnt(0) lgkmcnt(0)
	global_store_byte v8, v9, s[44:45] sc1
.LBB112_156:
	s_or_b64 exec, exec, s[0:1]
	s_and_b64 exec, exec, s[36:37]
	s_cbranch_execz .LBB112_158
; %bb.157:
	v_mov_b32_e32 v8, 0
	ds_write_b64 v8, v[20:21] offset:48
	ds_write_b8 v8, v44 offset:56
.LBB112_158:
	s_or_b64 exec, exec, s[50:51]
	s_waitcnt lgkmcnt(0)
	v_cndmask_b32_e64 v8, v41, v36, s[34:35]
	v_mov_b32_e32 v13, 0
	v_cndmask_b32_e64 v9, v40, v5, s[34:35]
	v_cndmask_b32_e64 v12, v37, v4, s[34:35]
	v_cmp_eq_u16_sdwa vcc, v1, v13 src0_sel:BYTE_0 src1_sel:DWORD
	v_and_b32_e32 v20, 1, v1
	v_and_b32_e32 v8, 1, v8
	s_barrier
	ds_read_b64 v[4:5], v13 offset:48
	v_cndmask_b32_e32 v12, 0, v12, vcc
	v_cndmask_b32_e32 v9, 0, v9, vcc
	v_cmp_eq_u32_e32 vcc, 1, v20
	v_cmp_eq_u32_e64 s[0:1], 1, v8
	s_or_b64 s[0:1], vcc, s[0:1]
	v_cndmask_b32_e64 v9, v9, 0, s[36:37]
	v_cndmask_b32_e64 v8, 0, 1, s[0:1]
	;; [unrolled: 1-line block ×4, first 2 shown]
	v_cmp_eq_u16_sdwa vcc, v20, v13 src0_sel:BYTE_0 src1_sel:DWORD
	v_lshl_add_u64 v[8:9], v[8:9], 0, v[2:3]
	s_waitcnt lgkmcnt(0)
	v_cndmask_b32_e32 v5, 0, v5, vcc
	v_cndmask_b32_e32 v4, 0, v4, vcc
	v_lshl_add_u64 v[48:49], v[8:9], 0, v[4:5]
	v_cndmask_b32_e64 v5, 0, v49, s[6:7]
	v_cndmask_b32_e64 v4, 0, v48, s[6:7]
	v_lshl_add_u64 v[50:51], v[4:5], 0, v[14:15]
	v_cndmask_b32_e64 v5, 0, v51, s[8:9]
	v_cndmask_b32_e64 v4, 0, v50, s[8:9]
	;; [unrolled: 3-line block ×13, first 2 shown]
	v_lshl_add_u64 v[74:75], v[4:5], 0, v[16:17]
	s_branch .LBB112_189
.LBB112_159:
                                        ; implicit-def: $vgpr74_vgpr75
                                        ; implicit-def: $vgpr70_vgpr71
                                        ; implicit-def: $vgpr66_vgpr67
                                        ; implicit-def: $vgpr62_vgpr63
                                        ; implicit-def: $vgpr58_vgpr59
                                        ; implicit-def: $vgpr54_vgpr55
                                        ; implicit-def: $vgpr50_vgpr51
	s_cbranch_execz .LBB112_189
; %bb.160:
	s_cmp_lg_u64 s[64:65], 0
	s_cselect_b32 s7, s59, 0
	s_cselect_b32 s6, s58, 0
	s_cmp_lg_u64 s[6:7], 0
	s_cselect_b64 s[0:1], -1, 0
	s_and_b64 s[8:9], s[36:37], s[0:1]
	s_and_saveexec_b64 s[0:1], s[8:9]
	s_cbranch_execz .LBB112_162
; %bb.161:
	v_mov_b32_e32 v8, 0
	global_load_dwordx2 v[4:5], v8, s[6:7]
	global_load_ubyte v9, v8, s[6:7] offset:8
	v_cmp_eq_u16_sdwa vcc, v1, v8 src0_sel:BYTE_0 src1_sel:DWORD
	s_waitcnt vmcnt(0)
	v_or_b32_e32 v1, v1, v9
	v_cndmask_b32_e32 v5, 0, v5, vcc
	v_cndmask_b32_e32 v4, 0, v4, vcc
	v_lshl_add_u64 v[2:3], v[4:5], 0, v[2:3]
	v_and_b32_e32 v1, 1, v1
.LBB112_162:
	s_or_b64 exec, exec, s[0:1]
	v_mov_b32_e32 v9, 0
	v_cmp_eq_u16_sdwa vcc, v82, v9 src0_sel:BYTE_0 src1_sel:DWORD
	v_cmp_eq_u16_sdwa s[6:7], v81, v9 src0_sel:BYTE_0 src1_sel:DWORD
	v_cmp_eq_u16_sdwa s[8:9], v83, v9 src0_sel:BYTE_0 src1_sel:DWORD
	v_cndmask_b32_e32 v5, 0, v3, vcc
	v_cndmask_b32_e32 v4, 0, v2, vcc
	v_lshl_add_u64 v[50:51], v[4:5], 0, v[14:15]
	v_cndmask_b32_e64 v5, 0, v51, s[6:7]
	v_cndmask_b32_e64 v4, 0, v50, s[6:7]
	v_lshl_add_u64 v[52:53], v[4:5], 0, v[6:7]
	v_cndmask_b32_e64 v5, 0, v53, s[8:9]
	v_cndmask_b32_e64 v4, 0, v52, s[8:9]
	v_lshl_add_u64 v[54:55], v[4:5], 0, v[22:23]
	v_cmp_eq_u16_sdwa s[10:11], v84, v9 src0_sel:BYTE_0 src1_sel:DWORD
	v_cmp_eq_u16_sdwa s[12:13], v85, v9 src0_sel:BYTE_0 src1_sel:DWORD
	v_cmp_eq_u16_sdwa s[14:15], v86, v9 src0_sel:BYTE_0 src1_sel:DWORD
	v_cndmask_b32_e64 v5, 0, v55, s[10:11]
	v_cndmask_b32_e64 v4, 0, v54, s[10:11]
	v_lshl_add_u64 v[56:57], v[4:5], 0, v[10:11]
	v_cndmask_b32_e64 v5, 0, v57, s[12:13]
	v_cndmask_b32_e64 v4, 0, v56, s[12:13]
	v_lshl_add_u64 v[58:59], v[4:5], 0, v[30:31]
	v_cndmask_b32_e64 v5, 0, v59, s[14:15]
	v_cndmask_b32_e64 v4, 0, v58, s[14:15]
	v_lshl_add_u64 v[60:61], v[4:5], 0, v[18:19]
	v_cmp_eq_u16_sdwa s[16:17], v87, v9 src0_sel:BYTE_0 src1_sel:DWORD
	v_cmp_eq_u16_sdwa s[18:19], v88, v9 src0_sel:BYTE_0 src1_sel:DWORD
	v_cmp_eq_u16_sdwa s[20:21], v89, v9 src0_sel:BYTE_0 src1_sel:DWORD
	v_cndmask_b32_e64 v5, 0, v61, s[16:17]
	v_cndmask_b32_e64 v4, 0, v60, s[16:17]
	;; [unrolled: 12-line block ×3, first 2 shown]
	v_lshl_add_u64 v[68:69], v[4:5], 0, v[34:35]
	v_cndmask_b32_e64 v5, 0, v69, s[24:25]
	v_cndmask_b32_e64 v4, 0, v68, s[24:25]
	v_lshl_add_u64 v[70:71], v[4:5], 0, v[46:47]
	v_cndmask_b32_e64 v5, 0, v71, s[26:27]
	v_cndmask_b32_e64 v4, 0, v70, s[26:27]
	v_lshl_add_u64 v[72:73], v[4:5], 0, v[78:79]
	v_cmp_eq_u16_sdwa s[28:29], v33, v9 src0_sel:BYTE_0 src1_sel:DWORD
	v_and_b32_e32 v8, 0xff, v1
	v_mbcnt_hi_u32_b32 v12, -1, v28
	v_cndmask_b32_e64 v5, 0, v73, s[28:29]
	v_cndmask_b32_e64 v4, 0, v72, s[28:29]
	v_lshl_add_u64 v[74:75], v[4:5], 0, v[16:17]
	v_or_b32_e32 v4, v29, v90
	v_or_b32_e32 v4, v4, v89
	;; [unrolled: 1-line block ×10, first 2 shown]
	v_and_b32_e32 v4, 1, v4
	v_cmp_eq_u32_e64 s[0:1], 1, v4
	v_and_b32_e32 v20, 15, v12
	v_mov_b32_dpp v24, v74 row_shr:1 row_mask:0xf bank_mask:0xf
	v_cndmask_b32_e64 v13, v8, 1, s[0:1]
	v_mov_b32_dpp v25, v75 row_shr:1 row_mask:0xf bank_mask:0xf
	v_cmp_ne_u32_e64 s[0:1], 0, v20
	v_mov_b32_dpp v21, v13 row_shr:1 row_mask:0xf bank_mask:0xf
	v_mov_b64_e32 v[4:5], v[74:75]
	v_mov_b32_e32 v9, v75
	v_mov_b32_e32 v8, v74
	s_and_saveexec_b64 s[30:31], s[0:1]
; %bb.163:
	v_cmp_eq_u32_e64 s[0:1], 0, v13
	v_and_or_b32 v13, v21, 1, v13
	s_nop 0
	v_cndmask_b32_e64 v5, 0, v25, s[0:1]
	v_cndmask_b32_e64 v4, 0, v24, s[0:1]
	v_lshl_add_u64 v[4:5], v[74:75], 0, v[4:5]
	v_mov_b32_e32 v9, v5
	v_mov_b32_e32 v8, v4
; %bb.164:
	s_or_b64 exec, exec, s[30:31]
	s_nop 0
	v_mov_b32_dpp v24, v8 row_shr:2 row_mask:0xf bank_mask:0xf
	v_mov_b32_dpp v25, v9 row_shr:2 row_mask:0xf bank_mask:0xf
	v_mov_b32_dpp v21, v13 row_shr:2 row_mask:0xf bank_mask:0xf
	v_cmp_lt_u32_e64 s[0:1], 1, v20
	s_and_saveexec_b64 s[30:31], s[0:1]
; %bb.165:
	v_cmp_eq_u32_e64 s[0:1], 0, v13
	s_nop 1
	v_cndmask_b32_e64 v9, 0, v25, s[0:1]
	v_cndmask_b32_e64 v8, 0, v24, s[0:1]
	v_lshl_add_u64 v[8:9], v[8:9], 0, v[4:5]
	v_or_b32_e32 v4, v21, v13
	v_and_b32_e32 v13, 1, v4
	v_mov_b64_e32 v[4:5], v[8:9]
; %bb.166:
	s_or_b64 exec, exec, s[30:31]
	v_mov_b32_dpp v24, v8 row_shr:4 row_mask:0xf bank_mask:0xf
	v_mov_b32_dpp v25, v9 row_shr:4 row_mask:0xf bank_mask:0xf
	v_mov_b32_dpp v21, v13 row_shr:4 row_mask:0xf bank_mask:0xf
	v_cmp_lt_u32_e64 s[0:1], 3, v20
	s_and_saveexec_b64 s[30:31], s[0:1]
; %bb.167:
	v_cmp_eq_u32_e64 s[0:1], 0, v13
	s_nop 1
	v_cndmask_b32_e64 v9, 0, v25, s[0:1]
	v_cndmask_b32_e64 v8, 0, v24, s[0:1]
	v_lshl_add_u64 v[8:9], v[8:9], 0, v[4:5]
	v_or_b32_e32 v4, v21, v13
	v_and_b32_e32 v13, 1, v4
	v_mov_b64_e32 v[4:5], v[8:9]
; %bb.168:
	s_or_b64 exec, exec, s[30:31]
	;; [unrolled: 16-line block ×3, first 2 shown]
	v_and_b32_e32 v25, 16, v12
	v_mov_b32_dpp v21, v8 row_bcast:15 row_mask:0xf bank_mask:0xf
	v_mov_b32_dpp v24, v9 row_bcast:15 row_mask:0xf bank_mask:0xf
	;; [unrolled: 1-line block ×3, first 2 shown]
	v_cmp_ne_u32_e64 s[0:1], 0, v25
	s_and_saveexec_b64 s[30:31], s[0:1]
; %bb.171:
	v_cmp_eq_u32_e64 s[0:1], 0, v13
	s_nop 1
	v_cndmask_b32_e64 v9, 0, v24, s[0:1]
	v_cndmask_b32_e64 v8, 0, v21, s[0:1]
	v_lshl_add_u64 v[4:5], v[8:9], 0, v[4:5]
	v_or_b32_e32 v8, v20, v13
	v_and_b32_e32 v13, 1, v8
	v_mov_b32_e32 v9, v5
	v_mov_b32_e32 v8, v4
; %bb.172:
	s_or_b64 exec, exec, s[30:31]
	s_nop 0
	v_mov_b32_dpp v20, v8 row_bcast:31 row_mask:0xf bank_mask:0xf
	v_mov_b32_dpp v21, v9 row_bcast:31 row_mask:0xf bank_mask:0xf
	;; [unrolled: 1-line block ×3, first 2 shown]
	v_cmp_lt_u32_e64 s[0:1], 31, v12
	v_mov_b32_e32 v8, v13
	s_and_saveexec_b64 s[30:31], s[0:1]
; %bb.173:
	v_cmp_eq_u32_e64 s[0:1], 0, v13
	v_or_b32_e32 v9, v9, v13
	v_and_b32_e32 v8, 1, v9
	v_cndmask_b32_e64 v21, 0, v21, s[0:1]
	v_cndmask_b32_e64 v20, 0, v20, s[0:1]
	v_lshl_add_u64 v[4:5], v[20:21], 0, v[4:5]
	v_and_b32_e32 v13, 1, v9
; %bb.174:
	s_or_b64 exec, exec, s[30:31]
	v_or_b32_e32 v9, 63, v0
	v_lshrrev_b32_e32 v20, 6, v0
	v_cmp_eq_u32_e64 s[0:1], v9, v0
	s_and_saveexec_b64 s[30:31], s[0:1]
	s_cbranch_execz .LBB112_176
; %bb.175:
	v_lshlrev_b32_e32 v9, 4, v20
	ds_write_b64 v9, v[4:5]
	ds_write_b8 v9, v8 offset:8
.LBB112_176:
	s_or_b64 exec, exec, s[30:31]
	v_cmp_gt_u32_e64 s[0:1], 4, v0
	s_waitcnt lgkmcnt(0)
	s_barrier
	s_and_saveexec_b64 s[34:35], s[0:1]
	s_cbranch_execz .LBB112_182
; %bb.177:
	v_lshlrev_b32_e32 v21, 4, v0
	ds_read_b64 v[8:9], v21
	ds_read_b32 v24, v21 offset:8
	v_and_b32_e32 v25, 3, v12
	v_cmp_ne_u32_e64 s[0:1], 0, v25
	s_waitcnt lgkmcnt(1)
	v_mov_b32_dpp v36, v8 row_shr:1 row_mask:0xf bank_mask:0xf
	v_mov_b32_dpp v37, v9 row_shr:1 row_mask:0xf bank_mask:0xf
	s_waitcnt lgkmcnt(0)
	v_mov_b32_dpp v33, v24 row_shr:1 row_mask:0xf bank_mask:0xf
	v_mov_b32_e32 v28, v24
	v_mov_b32_e32 v29, v24
	s_and_saveexec_b64 s[30:31], s[0:1]
; %bb.178:
	v_mov_b32_e32 v28, 0
	v_cmp_eq_u16_sdwa s[0:1], v24, v28 src0_sel:BYTE_0 src1_sel:DWORD
	s_nop 1
	v_cndmask_b32_e64 v29, 0, v37, s[0:1]
	v_cndmask_b32_e64 v28, 0, v36, s[0:1]
	v_lshl_add_u64 v[8:9], v[28:29], 0, v[8:9]
	v_or_b32_e32 v29, v33, v24
	v_and_b32_e32 v28, 1, v29
	v_and_b32_e32 v29, 1, v29
	s_movk_i32 s0, 0xff00
	v_and_or_b32 v24, v24, s0, v29
; %bb.179:
	s_or_b64 exec, exec, s[30:31]
	v_mov_b32_dpp v33, v8 row_shr:2 row_mask:0xf bank_mask:0xf
	v_mov_b32_dpp v36, v9 row_shr:2 row_mask:0xf bank_mask:0xf
	;; [unrolled: 1-line block ×3, first 2 shown]
	v_cmp_lt_u32_e64 s[0:1], 1, v25
	s_and_saveexec_b64 s[40:41], s[0:1]
; %bb.180:
	v_mov_b32_e32 v25, 0
	v_cmp_eq_u16_sdwa s[0:1], v29, v25 src0_sel:BYTE_0 src1_sel:DWORD
	v_and_b32_e32 v25, 1, v29
	v_and_b32_e32 v24, 1, v24
	v_cndmask_b32_e64 v37, 0, v36, s[0:1]
	v_cndmask_b32_e64 v36, 0, v33, s[0:1]
	v_cmp_eq_u32_e64 s[0:1], 1, v25
	v_cmp_eq_u32_e64 s[30:31], 1, v24
	s_or_b64 s[0:1], s[0:1], s[30:31]
	v_lshl_add_u64 v[8:9], v[36:37], 0, v[8:9]
	v_cndmask_b32_e64 v28, 0, 1, s[0:1]
; %bb.181:
	s_or_b64 exec, exec, s[40:41]
	ds_write_b64 v21, v[8:9]
	ds_write_b8 v21, v28 offset:8
.LBB112_182:
	s_or_b64 exec, exec, s[34:35]
	v_cmp_lt_u32_e64 s[0:1], 63, v0
	v_mov_b64_e32 v[8:9], 0
	s_waitcnt lgkmcnt(0)
	s_barrier
	s_and_saveexec_b64 s[30:31], s[0:1]
	s_cbranch_execz .LBB112_184
; %bb.183:
	v_lshl_add_u32 v8, v20, 4, -16
	ds_read_b64 v[8:9], v8
	v_cmp_eq_u32_e64 s[0:1], 0, v13
	s_waitcnt lgkmcnt(0)
	s_nop 0
	v_cndmask_b32_e64 v21, 0, v9, s[0:1]
	v_cndmask_b32_e64 v20, 0, v8, s[0:1]
	v_lshl_add_u64 v[4:5], v[20:21], 0, v[4:5]
.LBB112_184:
	s_or_b64 exec, exec, s[30:31]
	v_add_u32_e32 v13, -1, v12
	v_and_b32_e32 v20, 64, v12
	v_cmp_lt_i32_e64 s[0:1], v13, v20
	s_nop 1
	v_cndmask_b32_e64 v13, v13, v12, s[0:1]
	v_lshlrev_b32_e32 v13, 2, v13
	ds_bpermute_b32 v4, v13, v4
	ds_bpermute_b32 v5, v13, v5
	s_and_saveexec_b64 s[30:31], s[4:5]
	s_cbranch_execz .LBB112_186
; %bb.185:
	v_cmp_eq_u32_e64 s[0:1], 0, v12
	;;#ASMSTART
	;;#ASMEND
	s_waitcnt lgkmcnt(1)
	s_nop 0
	v_cndmask_b32_e64 v4, v4, v8, s[0:1]
	v_mov_b32_e32 v8, 0
	s_waitcnt lgkmcnt(0)
	v_cndmask_b32_e64 v5, v5, v9, s[0:1]
	v_cmp_eq_u16_sdwa s[0:1], v1, v8 src0_sel:BYTE_0 src1_sel:DWORD
	s_nop 1
	v_cndmask_b32_e64 v5, 0, v5, s[0:1]
	v_cndmask_b32_e64 v4, 0, v4, s[0:1]
	v_lshl_add_u64 v[2:3], v[4:5], 0, v[2:3]
	v_cndmask_b32_e32 v5, 0, v3, vcc
	v_cndmask_b32_e32 v4, 0, v2, vcc
	v_lshl_add_u64 v[50:51], v[4:5], 0, v[14:15]
	v_cndmask_b32_e64 v5, 0, v51, s[6:7]
	v_cndmask_b32_e64 v4, 0, v50, s[6:7]
	v_lshl_add_u64 v[52:53], v[4:5], 0, v[6:7]
	v_cndmask_b32_e64 v5, 0, v53, s[8:9]
	v_cndmask_b32_e64 v4, 0, v52, s[8:9]
	;; [unrolled: 3-line block ×12, first 2 shown]
	v_lshl_add_u64 v[74:75], v[4:5], 0, v[16:17]
.LBB112_186:
	s_or_b64 exec, exec, s[30:31]
	s_and_saveexec_b64 s[0:1], s[36:37]
	s_cbranch_execz .LBB112_188
; %bb.187:
	v_mov_b32_e32 v1, 0
	s_waitcnt lgkmcnt(0)
	ds_read_b64 v[4:5], v1 offset:48
	ds_read_u8 v6, v1 offset:56
	s_waitcnt lgkmcnt(1)
	global_store_dword v1, v4, s[42:43] offset:1024 sc1
	global_store_dword v1, v5, s[42:43] offset:1028 sc1
	s_waitcnt lgkmcnt(0)
	global_store_dword v1, v6, s[42:43] offset:1032 sc1
	global_store_dword v1, v1, s[42:43] offset:1036 sc1
	v_mov_b32_e32 v4, 2
	s_waitcnt vmcnt(0)
	global_store_byte v1, v4, s[44:45] offset:64 sc1
.LBB112_188:
	s_or_b64 exec, exec, s[0:1]
	v_mov_b64_e32 v[48:49], v[2:3]
.LBB112_189:
	s_add_u32 s0, s54, s38
	s_addc_u32 s1, s55, s39
	s_add_u32 s0, s0, s48
	v_mul_u32_u24_e32 v1, 14, v0
	s_addc_u32 s1, s1, s49
	s_and_b64 vcc, exec, s[2:3]
	v_lshlrev_b32_e32 v30, 3, v1
	s_cbranch_vccz .LBB112_217
; %bb.190:
	s_movk_i32 s2, 0xff98
	v_mad_i32_i24 v1, v0, s2, v30
	s_waitcnt lgkmcnt(0)
	s_barrier
	ds_write_b128 v30, v[48:51]
	ds_write_b128 v30, v[52:55] offset:16
	ds_write_b128 v30, v[56:59] offset:32
	;; [unrolled: 1-line block ×6, first 2 shown]
	s_waitcnt lgkmcnt(0)
	s_barrier
	ds_read2st64_b64 v[26:29], v1 offset0:4 offset1:8
	ds_read2st64_b64 v[22:25], v1 offset0:12 offset1:16
	;; [unrolled: 1-line block ×6, first 2 shown]
	ds_read_b64 v[4:5], v1 offset:26624
	s_add_i32 s33, s33, s46
	v_mov_b32_e32 v33, 0
	v_lshl_add_u64 v[2:3], s[0:1], 0, v[32:33]
	v_cmp_gt_u32_e32 vcc, s33, v0
	s_and_saveexec_b64 s[2:3], vcc
	s_cbranch_execz .LBB112_192
; %bb.191:
	v_mul_i32_i24_e32 v1, 0xffffff98, v0
	v_add_u32_e32 v1, v30, v1
	ds_read_b64 v[34:35], v1
	s_waitcnt lgkmcnt(0)
	flat_store_dwordx2 v[2:3], v[34:35]
.LBB112_192:
	s_or_b64 exec, exec, s[2:3]
	v_or_b32_e32 v1, 0x100, v0
	v_cmp_gt_u32_e32 vcc, s33, v1
	s_and_saveexec_b64 s[2:3], vcc
	s_cbranch_execz .LBB112_194
; %bb.193:
	s_waitcnt lgkmcnt(0)
	flat_store_dwordx2 v[2:3], v[26:27] offset:2048
.LBB112_194:
	s_or_b64 exec, exec, s[2:3]
	v_or_b32_e32 v1, 0x200, v0
	v_cmp_gt_u32_e32 vcc, s33, v1
	s_and_saveexec_b64 s[2:3], vcc
	s_cbranch_execz .LBB112_196
; %bb.195:
	s_waitcnt lgkmcnt(0)
	v_add_co_u32_e32 v26, vcc, 0x1000, v2
	s_nop 1
	v_addc_co_u32_e32 v27, vcc, 0, v3, vcc
	flat_store_dwordx2 v[26:27], v[28:29]
.LBB112_196:
	s_or_b64 exec, exec, s[2:3]
	v_or_b32_e32 v1, 0x300, v0
	v_cmp_gt_u32_e32 vcc, s33, v1
	s_and_saveexec_b64 s[2:3], vcc
	s_cbranch_execz .LBB112_198
; %bb.197:
	s_waitcnt lgkmcnt(0)
	v_add_co_u32_e32 v26, vcc, 0x1000, v2
	s_nop 1
	v_addc_co_u32_e32 v27, vcc, 0, v3, vcc
	flat_store_dwordx2 v[26:27], v[22:23] offset:2048
.LBB112_198:
	s_or_b64 exec, exec, s[2:3]
	v_or_b32_e32 v1, 0x400, v0
	v_cmp_gt_u32_e32 vcc, s33, v1
	s_and_saveexec_b64 s[2:3], vcc
	s_cbranch_execz .LBB112_200
; %bb.199:
	s_waitcnt lgkmcnt(0)
	v_add_co_u32_e32 v22, vcc, 0x2000, v2
	s_nop 1
	v_addc_co_u32_e32 v23, vcc, 0, v3, vcc
	flat_store_dwordx2 v[22:23], v[24:25]
.LBB112_200:
	s_or_b64 exec, exec, s[2:3]
	v_or_b32_e32 v1, 0x500, v0
	v_cmp_gt_u32_e32 vcc, s33, v1
	s_and_saveexec_b64 s[2:3], vcc
	s_cbranch_execz .LBB112_202
; %bb.201:
	s_waitcnt lgkmcnt(0)
	v_add_co_u32_e32 v22, vcc, 0x2000, v2
	s_nop 1
	v_addc_co_u32_e32 v23, vcc, 0, v3, vcc
	flat_store_dwordx2 v[22:23], v[18:19] offset:2048
.LBB112_202:
	s_or_b64 exec, exec, s[2:3]
	v_or_b32_e32 v1, 0x600, v0
	v_cmp_gt_u32_e32 vcc, s33, v1
	s_and_saveexec_b64 s[2:3], vcc
	s_cbranch_execz .LBB112_204
; %bb.203:
	s_waitcnt lgkmcnt(0)
	v_add_co_u32_e32 v18, vcc, 0x3000, v2
	s_nop 1
	v_addc_co_u32_e32 v19, vcc, 0, v3, vcc
	flat_store_dwordx2 v[18:19], v[20:21]
.LBB112_204:
	s_or_b64 exec, exec, s[2:3]
	v_or_b32_e32 v1, 0x700, v0
	v_cmp_gt_u32_e32 vcc, s33, v1
	s_and_saveexec_b64 s[2:3], vcc
	s_cbranch_execz .LBB112_206
; %bb.205:
	s_waitcnt lgkmcnt(0)
	v_add_co_u32_e32 v18, vcc, 0x3000, v2
	s_nop 1
	v_addc_co_u32_e32 v19, vcc, 0, v3, vcc
	flat_store_dwordx2 v[18:19], v[14:15] offset:2048
.LBB112_206:
	s_or_b64 exec, exec, s[2:3]
	v_or_b32_e32 v1, 0x800, v0
	v_cmp_gt_u32_e32 vcc, s33, v1
	s_and_saveexec_b64 s[2:3], vcc
	s_cbranch_execz .LBB112_208
; %bb.207:
	s_waitcnt lgkmcnt(0)
	v_add_co_u32_e32 v14, vcc, 0x4000, v2
	s_nop 1
	v_addc_co_u32_e32 v15, vcc, 0, v3, vcc
	flat_store_dwordx2 v[14:15], v[16:17]
.LBB112_208:
	s_or_b64 exec, exec, s[2:3]
	v_or_b32_e32 v1, 0x900, v0
	v_cmp_gt_u32_e32 vcc, s33, v1
	s_and_saveexec_b64 s[2:3], vcc
	s_cbranch_execz .LBB112_210
; %bb.209:
	s_waitcnt lgkmcnt(0)
	v_add_co_u32_e32 v14, vcc, 0x4000, v2
	s_nop 1
	v_addc_co_u32_e32 v15, vcc, 0, v3, vcc
	flat_store_dwordx2 v[14:15], v[10:11] offset:2048
.LBB112_210:
	s_or_b64 exec, exec, s[2:3]
	v_or_b32_e32 v1, 0xa00, v0
	v_cmp_gt_u32_e32 vcc, s33, v1
	s_and_saveexec_b64 s[2:3], vcc
	s_cbranch_execz .LBB112_212
; %bb.211:
	s_waitcnt lgkmcnt(0)
	v_add_co_u32_e32 v10, vcc, 0x5000, v2
	s_nop 1
	v_addc_co_u32_e32 v11, vcc, 0, v3, vcc
	flat_store_dwordx2 v[10:11], v[12:13]
.LBB112_212:
	s_or_b64 exec, exec, s[2:3]
	v_or_b32_e32 v1, 0xb00, v0
	v_cmp_gt_u32_e32 vcc, s33, v1
	s_and_saveexec_b64 s[2:3], vcc
	s_cbranch_execz .LBB112_214
; %bb.213:
	s_waitcnt lgkmcnt(0)
	v_add_co_u32_e32 v10, vcc, 0x5000, v2
	s_nop 1
	v_addc_co_u32_e32 v11, vcc, 0, v3, vcc
	flat_store_dwordx2 v[10:11], v[6:7] offset:2048
.LBB112_214:
	s_or_b64 exec, exec, s[2:3]
	v_or_b32_e32 v1, 0xc00, v0
	v_cmp_gt_u32_e32 vcc, s33, v1
	s_and_saveexec_b64 s[2:3], vcc
	s_cbranch_execz .LBB112_216
; %bb.215:
	v_add_co_u32_e32 v2, vcc, 0x6000, v2
	s_nop 1
	v_addc_co_u32_e32 v3, vcc, 0, v3, vcc
	s_waitcnt lgkmcnt(0)
	flat_store_dwordx2 v[2:3], v[8:9]
.LBB112_216:
	s_or_b64 exec, exec, s[2:3]
	v_or_b32_e32 v2, 0xd00, v0
	v_mov_b32_e32 v1, v33
	v_cmp_gt_u32_e64 s[2:3], s33, v2
	s_branch .LBB112_219
.LBB112_217:
	s_mov_b64 s[2:3], 0
                                        ; implicit-def: $vgpr4_vgpr5
	s_cbranch_execz .LBB112_219
; %bb.218:
	v_mov_b32_e32 v1, 0
	s_movk_i32 s4, 0xff98
	v_mad_i32_i24 v2, v0, s4, v30
	v_mov_b32_e32 v33, v1
	s_waitcnt lgkmcnt(0)
	s_barrier
	ds_write_b128 v30, v[48:51]
	ds_write_b128 v30, v[52:55] offset:16
	ds_write_b128 v30, v[56:59] offset:32
	;; [unrolled: 1-line block ×6, first 2 shown]
	s_waitcnt lgkmcnt(0)
	s_barrier
	ds_read2st64_b64 v[6:9], v2 offset1:4
	ds_read2st64_b64 v[10:13], v2 offset0:8 offset1:12
	ds_read2st64_b64 v[14:17], v2 offset0:16 offset1:20
	;; [unrolled: 1-line block ×6, first 2 shown]
	v_lshl_add_u64 v[30:31], s[0:1], 0, v[32:33]
	s_movk_i32 s4, 0x1000
	s_waitcnt lgkmcnt(0)
	flat_store_dwordx2 v[30:31], v[6:7]
	flat_store_dwordx2 v[30:31], v[8:9] offset:2048
	v_add_co_u32_e32 v6, vcc, s4, v30
	s_movk_i32 s4, 0x2000
	s_nop 0
	v_addc_co_u32_e32 v7, vcc, 0, v31, vcc
	flat_store_dwordx2 v[6:7], v[10:11]
	flat_store_dwordx2 v[6:7], v[12:13] offset:2048
	v_add_co_u32_e32 v6, vcc, s4, v30
	s_movk_i32 s4, 0x3000
	s_nop 0
	v_addc_co_u32_e32 v7, vcc, 0, v31, vcc
	;; [unrolled: 6-line block ×3, first 2 shown]
	flat_store_dwordx2 v[6:7], v[18:19]
	flat_store_dwordx2 v[6:7], v[20:21] offset:2048
	v_add_co_u32_e32 v6, vcc, s4, v30
	s_or_b64 s[2:3], s[2:3], exec
	s_nop 0
	v_addc_co_u32_e32 v7, vcc, 0, v31, vcc
	flat_store_dwordx2 v[6:7], v[22:23]
	flat_store_dwordx2 v[6:7], v[24:25] offset:2048
	v_add_co_u32_e32 v6, vcc, 0x5000, v30
	s_nop 1
	v_addc_co_u32_e32 v7, vcc, 0, v31, vcc
	flat_store_dwordx2 v[6:7], v[26:27]
	flat_store_dwordx2 v[6:7], v[28:29] offset:2048
	v_add_co_u32_e32 v6, vcc, 0x6000, v30
	s_nop 1
	v_addc_co_u32_e32 v7, vcc, 0, v31, vcc
	flat_store_dwordx2 v[6:7], v[2:3]
.LBB112_219:
	s_and_saveexec_b64 s[4:5], s[2:3]
	s_cbranch_execnz .LBB112_221
; %bb.220:
	s_endpgm
.LBB112_221:
	v_lshl_add_u64 v[0:1], v[0:1], 3, s[0:1]
	v_add_co_u32_e32 v0, vcc, 0x6000, v0
	s_nop 1
	v_addc_co_u32_e32 v1, vcc, 0, v1, vcc
	s_waitcnt lgkmcnt(0)
	flat_store_dwordx2 v[0:1], v[4:5] offset:2048
	s_endpgm
.LBB112_222:
	v_lshl_add_u64 v[30:31], s[50:51], 0, v[26:27]
	flat_load_dwordx2 v[30:31], v[30:31]
	s_or_b64 exec, exec, s[0:1]
                                        ; implicit-def: $vgpr32_vgpr33
	s_and_saveexec_b64 s[0:1], s[8:9]
	s_cbranch_execz .LBB112_41
.LBB112_223:
	v_mov_b32_e32 v27, 0
	v_lshl_add_u64 v[32:33], s[50:51], 0, v[26:27]
	flat_load_dwordx2 v[32:33], v[32:33] offset:2048
	s_or_b64 exec, exec, s[0:1]
                                        ; implicit-def: $vgpr34_vgpr35
	s_and_saveexec_b64 s[0:1], s[10:11]
	s_cbranch_execz .LBB112_42
.LBB112_224:
	v_mov_b32_e32 v3, 0
	v_lshl_add_u64 v[2:3], s[50:51], 0, v[2:3]
	flat_load_dwordx2 v[34:35], v[2:3]
	s_or_b64 exec, exec, s[0:1]
                                        ; implicit-def: $vgpr2_vgpr3
	s_and_saveexec_b64 s[0:1], s[12:13]
	s_cbranch_execz .LBB112_43
.LBB112_225:
	v_mov_b32_e32 v5, 0
	v_lshl_add_u64 v[2:3], s[50:51], 0, v[4:5]
	flat_load_dwordx2 v[2:3], v[2:3]
	s_or_b64 exec, exec, s[0:1]
                                        ; implicit-def: $vgpr4_vgpr5
	s_and_saveexec_b64 s[0:1], s[14:15]
	s_cbranch_execz .LBB112_44
.LBB112_226:
	v_mov_b32_e32 v7, 0
	v_lshl_add_u64 v[4:5], s[50:51], 0, v[6:7]
	flat_load_dwordx2 v[4:5], v[4:5]
	s_or_b64 exec, exec, s[0:1]
                                        ; implicit-def: $vgpr6_vgpr7
	s_and_saveexec_b64 s[0:1], s[16:17]
	s_cbranch_execz .LBB112_45
.LBB112_227:
	v_mov_b32_e32 v9, 0
	v_lshl_add_u64 v[6:7], s[50:51], 0, v[8:9]
	flat_load_dwordx2 v[6:7], v[6:7]
	s_or_b64 exec, exec, s[0:1]
                                        ; implicit-def: $vgpr8_vgpr9
	s_and_saveexec_b64 s[0:1], s[18:19]
	s_cbranch_execz .LBB112_46
.LBB112_228:
	v_mov_b32_e32 v11, 0
	v_lshl_add_u64 v[8:9], s[50:51], 0, v[10:11]
	flat_load_dwordx2 v[8:9], v[8:9]
	s_or_b64 exec, exec, s[0:1]
                                        ; implicit-def: $vgpr10_vgpr11
	s_and_saveexec_b64 s[0:1], s[20:21]
	s_cbranch_execz .LBB112_47
.LBB112_229:
	v_mov_b32_e32 v13, 0
	v_lshl_add_u64 v[10:11], s[50:51], 0, v[12:13]
	flat_load_dwordx2 v[10:11], v[10:11]
	s_or_b64 exec, exec, s[0:1]
                                        ; implicit-def: $vgpr12_vgpr13
	s_and_saveexec_b64 s[0:1], s[22:23]
	s_cbranch_execz .LBB112_48
.LBB112_230:
	v_mov_b32_e32 v15, 0
	v_lshl_add_u64 v[12:13], s[50:51], 0, v[14:15]
	flat_load_dwordx2 v[12:13], v[12:13]
	s_or_b64 exec, exec, s[0:1]
                                        ; implicit-def: $vgpr14_vgpr15
	s_and_saveexec_b64 s[0:1], s[24:25]
	s_cbranch_execz .LBB112_49
.LBB112_231:
	v_mov_b32_e32 v17, 0
	v_lshl_add_u64 v[14:15], s[50:51], 0, v[16:17]
	flat_load_dwordx2 v[14:15], v[14:15]
	s_or_b64 exec, exec, s[0:1]
                                        ; implicit-def: $vgpr16_vgpr17
	s_and_saveexec_b64 s[0:1], s[26:27]
	s_cbranch_execz .LBB112_50
.LBB112_232:
	v_mov_b32_e32 v19, 0
	v_lshl_add_u64 v[16:17], s[50:51], 0, v[18:19]
	flat_load_dwordx2 v[16:17], v[16:17]
	s_or_b64 exec, exec, s[0:1]
                                        ; implicit-def: $vgpr18_vgpr19
	s_and_saveexec_b64 s[0:1], s[28:29]
	s_cbranch_execz .LBB112_51
.LBB112_233:
	v_mov_b32_e32 v21, 0
	v_lshl_add_u64 v[18:19], s[50:51], 0, v[20:21]
	flat_load_dwordx2 v[18:19], v[18:19]
	s_or_b64 exec, exec, s[0:1]
                                        ; implicit-def: $vgpr20_vgpr21
	s_and_saveexec_b64 s[0:1], s[30:31]
	s_cbranch_execz .LBB112_52
.LBB112_234:
	v_mov_b32_e32 v23, 0
	v_lshl_add_u64 v[20:21], s[50:51], 0, v[22:23]
	flat_load_dwordx2 v[20:21], v[20:21]
	s_or_b64 exec, exec, s[0:1]
                                        ; implicit-def: $vgpr22_vgpr23
	s_and_saveexec_b64 s[0:1], s[34:35]
	s_cbranch_execnz .LBB112_53
	s_branch .LBB112_54
.LBB112_235:
                                        ; implicit-def: $sgpr0_sgpr1
	s_branch .LBB112_36
.LBB112_236:
                                        ; implicit-def: $sgpr0_sgpr1
	s_branch .LBB112_85
	.section	.rodata,"a",@progbits
	.p2align	6, 0x0
	.amdhsa_kernel _ZN7rocprim17ROCPRIM_400000_NS6detail17trampoline_kernelINS0_14default_configENS1_27scan_by_key_config_selectorIxxEEZZNS1_16scan_by_key_implILNS1_25lookback_scan_determinismE0ELb0ES3_N6thrust23THRUST_200600_302600_NS6detail15normal_iteratorINS9_10device_ptrIxEEEESE_SE_xNS9_4plusIvEENS9_8equal_toIxEExEE10hipError_tPvRmT2_T3_T4_T5_mT6_T7_P12ihipStream_tbENKUlT_T0_E_clISt17integral_constantIbLb0EESY_IbLb1EEEEDaSU_SV_EUlSU_E_NS1_11comp_targetILNS1_3genE5ELNS1_11target_archE942ELNS1_3gpuE9ELNS1_3repE0EEENS1_30default_config_static_selectorELNS0_4arch9wavefront6targetE1EEEvT1_
		.amdhsa_group_segment_fixed_size 32768
		.amdhsa_private_segment_fixed_size 0
		.amdhsa_kernarg_size 136
		.amdhsa_user_sgpr_count 2
		.amdhsa_user_sgpr_dispatch_ptr 0
		.amdhsa_user_sgpr_queue_ptr 0
		.amdhsa_user_sgpr_kernarg_segment_ptr 1
		.amdhsa_user_sgpr_dispatch_id 0
		.amdhsa_user_sgpr_kernarg_preload_length 0
		.amdhsa_user_sgpr_kernarg_preload_offset 0
		.amdhsa_user_sgpr_private_segment_size 0
		.amdhsa_uses_dynamic_stack 0
		.amdhsa_enable_private_segment 0
		.amdhsa_system_sgpr_workgroup_id_x 1
		.amdhsa_system_sgpr_workgroup_id_y 0
		.amdhsa_system_sgpr_workgroup_id_z 0
		.amdhsa_system_sgpr_workgroup_info 0
		.amdhsa_system_vgpr_workitem_id 0
		.amdhsa_next_free_vgpr 92
		.amdhsa_next_free_sgpr 70
		.amdhsa_accum_offset 92
		.amdhsa_reserve_vcc 1
		.amdhsa_float_round_mode_32 0
		.amdhsa_float_round_mode_16_64 0
		.amdhsa_float_denorm_mode_32 3
		.amdhsa_float_denorm_mode_16_64 3
		.amdhsa_dx10_clamp 1
		.amdhsa_ieee_mode 1
		.amdhsa_fp16_overflow 0
		.amdhsa_tg_split 0
		.amdhsa_exception_fp_ieee_invalid_op 0
		.amdhsa_exception_fp_denorm_src 0
		.amdhsa_exception_fp_ieee_div_zero 0
		.amdhsa_exception_fp_ieee_overflow 0
		.amdhsa_exception_fp_ieee_underflow 0
		.amdhsa_exception_fp_ieee_inexact 0
		.amdhsa_exception_int_div_zero 0
	.end_amdhsa_kernel
	.section	.text._ZN7rocprim17ROCPRIM_400000_NS6detail17trampoline_kernelINS0_14default_configENS1_27scan_by_key_config_selectorIxxEEZZNS1_16scan_by_key_implILNS1_25lookback_scan_determinismE0ELb0ES3_N6thrust23THRUST_200600_302600_NS6detail15normal_iteratorINS9_10device_ptrIxEEEESE_SE_xNS9_4plusIvEENS9_8equal_toIxEExEE10hipError_tPvRmT2_T3_T4_T5_mT6_T7_P12ihipStream_tbENKUlT_T0_E_clISt17integral_constantIbLb0EESY_IbLb1EEEEDaSU_SV_EUlSU_E_NS1_11comp_targetILNS1_3genE5ELNS1_11target_archE942ELNS1_3gpuE9ELNS1_3repE0EEENS1_30default_config_static_selectorELNS0_4arch9wavefront6targetE1EEEvT1_,"axG",@progbits,_ZN7rocprim17ROCPRIM_400000_NS6detail17trampoline_kernelINS0_14default_configENS1_27scan_by_key_config_selectorIxxEEZZNS1_16scan_by_key_implILNS1_25lookback_scan_determinismE0ELb0ES3_N6thrust23THRUST_200600_302600_NS6detail15normal_iteratorINS9_10device_ptrIxEEEESE_SE_xNS9_4plusIvEENS9_8equal_toIxEExEE10hipError_tPvRmT2_T3_T4_T5_mT6_T7_P12ihipStream_tbENKUlT_T0_E_clISt17integral_constantIbLb0EESY_IbLb1EEEEDaSU_SV_EUlSU_E_NS1_11comp_targetILNS1_3genE5ELNS1_11target_archE942ELNS1_3gpuE9ELNS1_3repE0EEENS1_30default_config_static_selectorELNS0_4arch9wavefront6targetE1EEEvT1_,comdat
.Lfunc_end112:
	.size	_ZN7rocprim17ROCPRIM_400000_NS6detail17trampoline_kernelINS0_14default_configENS1_27scan_by_key_config_selectorIxxEEZZNS1_16scan_by_key_implILNS1_25lookback_scan_determinismE0ELb0ES3_N6thrust23THRUST_200600_302600_NS6detail15normal_iteratorINS9_10device_ptrIxEEEESE_SE_xNS9_4plusIvEENS9_8equal_toIxEExEE10hipError_tPvRmT2_T3_T4_T5_mT6_T7_P12ihipStream_tbENKUlT_T0_E_clISt17integral_constantIbLb0EESY_IbLb1EEEEDaSU_SV_EUlSU_E_NS1_11comp_targetILNS1_3genE5ELNS1_11target_archE942ELNS1_3gpuE9ELNS1_3repE0EEENS1_30default_config_static_selectorELNS0_4arch9wavefront6targetE1EEEvT1_, .Lfunc_end112-_ZN7rocprim17ROCPRIM_400000_NS6detail17trampoline_kernelINS0_14default_configENS1_27scan_by_key_config_selectorIxxEEZZNS1_16scan_by_key_implILNS1_25lookback_scan_determinismE0ELb0ES3_N6thrust23THRUST_200600_302600_NS6detail15normal_iteratorINS9_10device_ptrIxEEEESE_SE_xNS9_4plusIvEENS9_8equal_toIxEExEE10hipError_tPvRmT2_T3_T4_T5_mT6_T7_P12ihipStream_tbENKUlT_T0_E_clISt17integral_constantIbLb0EESY_IbLb1EEEEDaSU_SV_EUlSU_E_NS1_11comp_targetILNS1_3genE5ELNS1_11target_archE942ELNS1_3gpuE9ELNS1_3repE0EEENS1_30default_config_static_selectorELNS0_4arch9wavefront6targetE1EEEvT1_
                                        ; -- End function
	.section	.AMDGPU.csdata,"",@progbits
; Kernel info:
; codeLenInByte = 12452
; NumSgprs: 76
; NumVgprs: 92
; NumAgprs: 0
; TotalNumVgprs: 92
; ScratchSize: 0
; MemoryBound: 0
; FloatMode: 240
; IeeeMode: 1
; LDSByteSize: 32768 bytes/workgroup (compile time only)
; SGPRBlocks: 9
; VGPRBlocks: 11
; NumSGPRsForWavesPerEU: 76
; NumVGPRsForWavesPerEU: 92
; AccumOffset: 92
; Occupancy: 2
; WaveLimiterHint : 1
; COMPUTE_PGM_RSRC2:SCRATCH_EN: 0
; COMPUTE_PGM_RSRC2:USER_SGPR: 2
; COMPUTE_PGM_RSRC2:TRAP_HANDLER: 0
; COMPUTE_PGM_RSRC2:TGID_X_EN: 1
; COMPUTE_PGM_RSRC2:TGID_Y_EN: 0
; COMPUTE_PGM_RSRC2:TGID_Z_EN: 0
; COMPUTE_PGM_RSRC2:TIDIG_COMP_CNT: 0
; COMPUTE_PGM_RSRC3_GFX90A:ACCUM_OFFSET: 22
; COMPUTE_PGM_RSRC3_GFX90A:TG_SPLIT: 0
	.section	.text._ZN7rocprim17ROCPRIM_400000_NS6detail17trampoline_kernelINS0_14default_configENS1_27scan_by_key_config_selectorIxxEEZZNS1_16scan_by_key_implILNS1_25lookback_scan_determinismE0ELb0ES3_N6thrust23THRUST_200600_302600_NS6detail15normal_iteratorINS9_10device_ptrIxEEEESE_SE_xNS9_4plusIvEENS9_8equal_toIxEExEE10hipError_tPvRmT2_T3_T4_T5_mT6_T7_P12ihipStream_tbENKUlT_T0_E_clISt17integral_constantIbLb0EESY_IbLb1EEEEDaSU_SV_EUlSU_E_NS1_11comp_targetILNS1_3genE4ELNS1_11target_archE910ELNS1_3gpuE8ELNS1_3repE0EEENS1_30default_config_static_selectorELNS0_4arch9wavefront6targetE1EEEvT1_,"axG",@progbits,_ZN7rocprim17ROCPRIM_400000_NS6detail17trampoline_kernelINS0_14default_configENS1_27scan_by_key_config_selectorIxxEEZZNS1_16scan_by_key_implILNS1_25lookback_scan_determinismE0ELb0ES3_N6thrust23THRUST_200600_302600_NS6detail15normal_iteratorINS9_10device_ptrIxEEEESE_SE_xNS9_4plusIvEENS9_8equal_toIxEExEE10hipError_tPvRmT2_T3_T4_T5_mT6_T7_P12ihipStream_tbENKUlT_T0_E_clISt17integral_constantIbLb0EESY_IbLb1EEEEDaSU_SV_EUlSU_E_NS1_11comp_targetILNS1_3genE4ELNS1_11target_archE910ELNS1_3gpuE8ELNS1_3repE0EEENS1_30default_config_static_selectorELNS0_4arch9wavefront6targetE1EEEvT1_,comdat
	.protected	_ZN7rocprim17ROCPRIM_400000_NS6detail17trampoline_kernelINS0_14default_configENS1_27scan_by_key_config_selectorIxxEEZZNS1_16scan_by_key_implILNS1_25lookback_scan_determinismE0ELb0ES3_N6thrust23THRUST_200600_302600_NS6detail15normal_iteratorINS9_10device_ptrIxEEEESE_SE_xNS9_4plusIvEENS9_8equal_toIxEExEE10hipError_tPvRmT2_T3_T4_T5_mT6_T7_P12ihipStream_tbENKUlT_T0_E_clISt17integral_constantIbLb0EESY_IbLb1EEEEDaSU_SV_EUlSU_E_NS1_11comp_targetILNS1_3genE4ELNS1_11target_archE910ELNS1_3gpuE8ELNS1_3repE0EEENS1_30default_config_static_selectorELNS0_4arch9wavefront6targetE1EEEvT1_ ; -- Begin function _ZN7rocprim17ROCPRIM_400000_NS6detail17trampoline_kernelINS0_14default_configENS1_27scan_by_key_config_selectorIxxEEZZNS1_16scan_by_key_implILNS1_25lookback_scan_determinismE0ELb0ES3_N6thrust23THRUST_200600_302600_NS6detail15normal_iteratorINS9_10device_ptrIxEEEESE_SE_xNS9_4plusIvEENS9_8equal_toIxEExEE10hipError_tPvRmT2_T3_T4_T5_mT6_T7_P12ihipStream_tbENKUlT_T0_E_clISt17integral_constantIbLb0EESY_IbLb1EEEEDaSU_SV_EUlSU_E_NS1_11comp_targetILNS1_3genE4ELNS1_11target_archE910ELNS1_3gpuE8ELNS1_3repE0EEENS1_30default_config_static_selectorELNS0_4arch9wavefront6targetE1EEEvT1_
	.globl	_ZN7rocprim17ROCPRIM_400000_NS6detail17trampoline_kernelINS0_14default_configENS1_27scan_by_key_config_selectorIxxEEZZNS1_16scan_by_key_implILNS1_25lookback_scan_determinismE0ELb0ES3_N6thrust23THRUST_200600_302600_NS6detail15normal_iteratorINS9_10device_ptrIxEEEESE_SE_xNS9_4plusIvEENS9_8equal_toIxEExEE10hipError_tPvRmT2_T3_T4_T5_mT6_T7_P12ihipStream_tbENKUlT_T0_E_clISt17integral_constantIbLb0EESY_IbLb1EEEEDaSU_SV_EUlSU_E_NS1_11comp_targetILNS1_3genE4ELNS1_11target_archE910ELNS1_3gpuE8ELNS1_3repE0EEENS1_30default_config_static_selectorELNS0_4arch9wavefront6targetE1EEEvT1_
	.p2align	8
	.type	_ZN7rocprim17ROCPRIM_400000_NS6detail17trampoline_kernelINS0_14default_configENS1_27scan_by_key_config_selectorIxxEEZZNS1_16scan_by_key_implILNS1_25lookback_scan_determinismE0ELb0ES3_N6thrust23THRUST_200600_302600_NS6detail15normal_iteratorINS9_10device_ptrIxEEEESE_SE_xNS9_4plusIvEENS9_8equal_toIxEExEE10hipError_tPvRmT2_T3_T4_T5_mT6_T7_P12ihipStream_tbENKUlT_T0_E_clISt17integral_constantIbLb0EESY_IbLb1EEEEDaSU_SV_EUlSU_E_NS1_11comp_targetILNS1_3genE4ELNS1_11target_archE910ELNS1_3gpuE8ELNS1_3repE0EEENS1_30default_config_static_selectorELNS0_4arch9wavefront6targetE1EEEvT1_,@function
_ZN7rocprim17ROCPRIM_400000_NS6detail17trampoline_kernelINS0_14default_configENS1_27scan_by_key_config_selectorIxxEEZZNS1_16scan_by_key_implILNS1_25lookback_scan_determinismE0ELb0ES3_N6thrust23THRUST_200600_302600_NS6detail15normal_iteratorINS9_10device_ptrIxEEEESE_SE_xNS9_4plusIvEENS9_8equal_toIxEExEE10hipError_tPvRmT2_T3_T4_T5_mT6_T7_P12ihipStream_tbENKUlT_T0_E_clISt17integral_constantIbLb0EESY_IbLb1EEEEDaSU_SV_EUlSU_E_NS1_11comp_targetILNS1_3genE4ELNS1_11target_archE910ELNS1_3gpuE8ELNS1_3repE0EEENS1_30default_config_static_selectorELNS0_4arch9wavefront6targetE1EEEvT1_: ; @_ZN7rocprim17ROCPRIM_400000_NS6detail17trampoline_kernelINS0_14default_configENS1_27scan_by_key_config_selectorIxxEEZZNS1_16scan_by_key_implILNS1_25lookback_scan_determinismE0ELb0ES3_N6thrust23THRUST_200600_302600_NS6detail15normal_iteratorINS9_10device_ptrIxEEEESE_SE_xNS9_4plusIvEENS9_8equal_toIxEExEE10hipError_tPvRmT2_T3_T4_T5_mT6_T7_P12ihipStream_tbENKUlT_T0_E_clISt17integral_constantIbLb0EESY_IbLb1EEEEDaSU_SV_EUlSU_E_NS1_11comp_targetILNS1_3genE4ELNS1_11target_archE910ELNS1_3gpuE8ELNS1_3repE0EEENS1_30default_config_static_selectorELNS0_4arch9wavefront6targetE1EEEvT1_
; %bb.0:
	.section	.rodata,"a",@progbits
	.p2align	6, 0x0
	.amdhsa_kernel _ZN7rocprim17ROCPRIM_400000_NS6detail17trampoline_kernelINS0_14default_configENS1_27scan_by_key_config_selectorIxxEEZZNS1_16scan_by_key_implILNS1_25lookback_scan_determinismE0ELb0ES3_N6thrust23THRUST_200600_302600_NS6detail15normal_iteratorINS9_10device_ptrIxEEEESE_SE_xNS9_4plusIvEENS9_8equal_toIxEExEE10hipError_tPvRmT2_T3_T4_T5_mT6_T7_P12ihipStream_tbENKUlT_T0_E_clISt17integral_constantIbLb0EESY_IbLb1EEEEDaSU_SV_EUlSU_E_NS1_11comp_targetILNS1_3genE4ELNS1_11target_archE910ELNS1_3gpuE8ELNS1_3repE0EEENS1_30default_config_static_selectorELNS0_4arch9wavefront6targetE1EEEvT1_
		.amdhsa_group_segment_fixed_size 0
		.amdhsa_private_segment_fixed_size 0
		.amdhsa_kernarg_size 136
		.amdhsa_user_sgpr_count 2
		.amdhsa_user_sgpr_dispatch_ptr 0
		.amdhsa_user_sgpr_queue_ptr 0
		.amdhsa_user_sgpr_kernarg_segment_ptr 1
		.amdhsa_user_sgpr_dispatch_id 0
		.amdhsa_user_sgpr_kernarg_preload_length 0
		.amdhsa_user_sgpr_kernarg_preload_offset 0
		.amdhsa_user_sgpr_private_segment_size 0
		.amdhsa_uses_dynamic_stack 0
		.amdhsa_enable_private_segment 0
		.amdhsa_system_sgpr_workgroup_id_x 1
		.amdhsa_system_sgpr_workgroup_id_y 0
		.amdhsa_system_sgpr_workgroup_id_z 0
		.amdhsa_system_sgpr_workgroup_info 0
		.amdhsa_system_vgpr_workitem_id 0
		.amdhsa_next_free_vgpr 1
		.amdhsa_next_free_sgpr 0
		.amdhsa_accum_offset 4
		.amdhsa_reserve_vcc 0
		.amdhsa_float_round_mode_32 0
		.amdhsa_float_round_mode_16_64 0
		.amdhsa_float_denorm_mode_32 3
		.amdhsa_float_denorm_mode_16_64 3
		.amdhsa_dx10_clamp 1
		.amdhsa_ieee_mode 1
		.amdhsa_fp16_overflow 0
		.amdhsa_tg_split 0
		.amdhsa_exception_fp_ieee_invalid_op 0
		.amdhsa_exception_fp_denorm_src 0
		.amdhsa_exception_fp_ieee_div_zero 0
		.amdhsa_exception_fp_ieee_overflow 0
		.amdhsa_exception_fp_ieee_underflow 0
		.amdhsa_exception_fp_ieee_inexact 0
		.amdhsa_exception_int_div_zero 0
	.end_amdhsa_kernel
	.section	.text._ZN7rocprim17ROCPRIM_400000_NS6detail17trampoline_kernelINS0_14default_configENS1_27scan_by_key_config_selectorIxxEEZZNS1_16scan_by_key_implILNS1_25lookback_scan_determinismE0ELb0ES3_N6thrust23THRUST_200600_302600_NS6detail15normal_iteratorINS9_10device_ptrIxEEEESE_SE_xNS9_4plusIvEENS9_8equal_toIxEExEE10hipError_tPvRmT2_T3_T4_T5_mT6_T7_P12ihipStream_tbENKUlT_T0_E_clISt17integral_constantIbLb0EESY_IbLb1EEEEDaSU_SV_EUlSU_E_NS1_11comp_targetILNS1_3genE4ELNS1_11target_archE910ELNS1_3gpuE8ELNS1_3repE0EEENS1_30default_config_static_selectorELNS0_4arch9wavefront6targetE1EEEvT1_,"axG",@progbits,_ZN7rocprim17ROCPRIM_400000_NS6detail17trampoline_kernelINS0_14default_configENS1_27scan_by_key_config_selectorIxxEEZZNS1_16scan_by_key_implILNS1_25lookback_scan_determinismE0ELb0ES3_N6thrust23THRUST_200600_302600_NS6detail15normal_iteratorINS9_10device_ptrIxEEEESE_SE_xNS9_4plusIvEENS9_8equal_toIxEExEE10hipError_tPvRmT2_T3_T4_T5_mT6_T7_P12ihipStream_tbENKUlT_T0_E_clISt17integral_constantIbLb0EESY_IbLb1EEEEDaSU_SV_EUlSU_E_NS1_11comp_targetILNS1_3genE4ELNS1_11target_archE910ELNS1_3gpuE8ELNS1_3repE0EEENS1_30default_config_static_selectorELNS0_4arch9wavefront6targetE1EEEvT1_,comdat
.Lfunc_end113:
	.size	_ZN7rocprim17ROCPRIM_400000_NS6detail17trampoline_kernelINS0_14default_configENS1_27scan_by_key_config_selectorIxxEEZZNS1_16scan_by_key_implILNS1_25lookback_scan_determinismE0ELb0ES3_N6thrust23THRUST_200600_302600_NS6detail15normal_iteratorINS9_10device_ptrIxEEEESE_SE_xNS9_4plusIvEENS9_8equal_toIxEExEE10hipError_tPvRmT2_T3_T4_T5_mT6_T7_P12ihipStream_tbENKUlT_T0_E_clISt17integral_constantIbLb0EESY_IbLb1EEEEDaSU_SV_EUlSU_E_NS1_11comp_targetILNS1_3genE4ELNS1_11target_archE910ELNS1_3gpuE8ELNS1_3repE0EEENS1_30default_config_static_selectorELNS0_4arch9wavefront6targetE1EEEvT1_, .Lfunc_end113-_ZN7rocprim17ROCPRIM_400000_NS6detail17trampoline_kernelINS0_14default_configENS1_27scan_by_key_config_selectorIxxEEZZNS1_16scan_by_key_implILNS1_25lookback_scan_determinismE0ELb0ES3_N6thrust23THRUST_200600_302600_NS6detail15normal_iteratorINS9_10device_ptrIxEEEESE_SE_xNS9_4plusIvEENS9_8equal_toIxEExEE10hipError_tPvRmT2_T3_T4_T5_mT6_T7_P12ihipStream_tbENKUlT_T0_E_clISt17integral_constantIbLb0EESY_IbLb1EEEEDaSU_SV_EUlSU_E_NS1_11comp_targetILNS1_3genE4ELNS1_11target_archE910ELNS1_3gpuE8ELNS1_3repE0EEENS1_30default_config_static_selectorELNS0_4arch9wavefront6targetE1EEEvT1_
                                        ; -- End function
	.section	.AMDGPU.csdata,"",@progbits
; Kernel info:
; codeLenInByte = 0
; NumSgprs: 6
; NumVgprs: 0
; NumAgprs: 0
; TotalNumVgprs: 0
; ScratchSize: 0
; MemoryBound: 0
; FloatMode: 240
; IeeeMode: 1
; LDSByteSize: 0 bytes/workgroup (compile time only)
; SGPRBlocks: 0
; VGPRBlocks: 0
; NumSGPRsForWavesPerEU: 6
; NumVGPRsForWavesPerEU: 1
; AccumOffset: 4
; Occupancy: 8
; WaveLimiterHint : 0
; COMPUTE_PGM_RSRC2:SCRATCH_EN: 0
; COMPUTE_PGM_RSRC2:USER_SGPR: 2
; COMPUTE_PGM_RSRC2:TRAP_HANDLER: 0
; COMPUTE_PGM_RSRC2:TGID_X_EN: 1
; COMPUTE_PGM_RSRC2:TGID_Y_EN: 0
; COMPUTE_PGM_RSRC2:TGID_Z_EN: 0
; COMPUTE_PGM_RSRC2:TIDIG_COMP_CNT: 0
; COMPUTE_PGM_RSRC3_GFX90A:ACCUM_OFFSET: 0
; COMPUTE_PGM_RSRC3_GFX90A:TG_SPLIT: 0
	.section	.text._ZN7rocprim17ROCPRIM_400000_NS6detail17trampoline_kernelINS0_14default_configENS1_27scan_by_key_config_selectorIxxEEZZNS1_16scan_by_key_implILNS1_25lookback_scan_determinismE0ELb0ES3_N6thrust23THRUST_200600_302600_NS6detail15normal_iteratorINS9_10device_ptrIxEEEESE_SE_xNS9_4plusIvEENS9_8equal_toIxEExEE10hipError_tPvRmT2_T3_T4_T5_mT6_T7_P12ihipStream_tbENKUlT_T0_E_clISt17integral_constantIbLb0EESY_IbLb1EEEEDaSU_SV_EUlSU_E_NS1_11comp_targetILNS1_3genE3ELNS1_11target_archE908ELNS1_3gpuE7ELNS1_3repE0EEENS1_30default_config_static_selectorELNS0_4arch9wavefront6targetE1EEEvT1_,"axG",@progbits,_ZN7rocprim17ROCPRIM_400000_NS6detail17trampoline_kernelINS0_14default_configENS1_27scan_by_key_config_selectorIxxEEZZNS1_16scan_by_key_implILNS1_25lookback_scan_determinismE0ELb0ES3_N6thrust23THRUST_200600_302600_NS6detail15normal_iteratorINS9_10device_ptrIxEEEESE_SE_xNS9_4plusIvEENS9_8equal_toIxEExEE10hipError_tPvRmT2_T3_T4_T5_mT6_T7_P12ihipStream_tbENKUlT_T0_E_clISt17integral_constantIbLb0EESY_IbLb1EEEEDaSU_SV_EUlSU_E_NS1_11comp_targetILNS1_3genE3ELNS1_11target_archE908ELNS1_3gpuE7ELNS1_3repE0EEENS1_30default_config_static_selectorELNS0_4arch9wavefront6targetE1EEEvT1_,comdat
	.protected	_ZN7rocprim17ROCPRIM_400000_NS6detail17trampoline_kernelINS0_14default_configENS1_27scan_by_key_config_selectorIxxEEZZNS1_16scan_by_key_implILNS1_25lookback_scan_determinismE0ELb0ES3_N6thrust23THRUST_200600_302600_NS6detail15normal_iteratorINS9_10device_ptrIxEEEESE_SE_xNS9_4plusIvEENS9_8equal_toIxEExEE10hipError_tPvRmT2_T3_T4_T5_mT6_T7_P12ihipStream_tbENKUlT_T0_E_clISt17integral_constantIbLb0EESY_IbLb1EEEEDaSU_SV_EUlSU_E_NS1_11comp_targetILNS1_3genE3ELNS1_11target_archE908ELNS1_3gpuE7ELNS1_3repE0EEENS1_30default_config_static_selectorELNS0_4arch9wavefront6targetE1EEEvT1_ ; -- Begin function _ZN7rocprim17ROCPRIM_400000_NS6detail17trampoline_kernelINS0_14default_configENS1_27scan_by_key_config_selectorIxxEEZZNS1_16scan_by_key_implILNS1_25lookback_scan_determinismE0ELb0ES3_N6thrust23THRUST_200600_302600_NS6detail15normal_iteratorINS9_10device_ptrIxEEEESE_SE_xNS9_4plusIvEENS9_8equal_toIxEExEE10hipError_tPvRmT2_T3_T4_T5_mT6_T7_P12ihipStream_tbENKUlT_T0_E_clISt17integral_constantIbLb0EESY_IbLb1EEEEDaSU_SV_EUlSU_E_NS1_11comp_targetILNS1_3genE3ELNS1_11target_archE908ELNS1_3gpuE7ELNS1_3repE0EEENS1_30default_config_static_selectorELNS0_4arch9wavefront6targetE1EEEvT1_
	.globl	_ZN7rocprim17ROCPRIM_400000_NS6detail17trampoline_kernelINS0_14default_configENS1_27scan_by_key_config_selectorIxxEEZZNS1_16scan_by_key_implILNS1_25lookback_scan_determinismE0ELb0ES3_N6thrust23THRUST_200600_302600_NS6detail15normal_iteratorINS9_10device_ptrIxEEEESE_SE_xNS9_4plusIvEENS9_8equal_toIxEExEE10hipError_tPvRmT2_T3_T4_T5_mT6_T7_P12ihipStream_tbENKUlT_T0_E_clISt17integral_constantIbLb0EESY_IbLb1EEEEDaSU_SV_EUlSU_E_NS1_11comp_targetILNS1_3genE3ELNS1_11target_archE908ELNS1_3gpuE7ELNS1_3repE0EEENS1_30default_config_static_selectorELNS0_4arch9wavefront6targetE1EEEvT1_
	.p2align	8
	.type	_ZN7rocprim17ROCPRIM_400000_NS6detail17trampoline_kernelINS0_14default_configENS1_27scan_by_key_config_selectorIxxEEZZNS1_16scan_by_key_implILNS1_25lookback_scan_determinismE0ELb0ES3_N6thrust23THRUST_200600_302600_NS6detail15normal_iteratorINS9_10device_ptrIxEEEESE_SE_xNS9_4plusIvEENS9_8equal_toIxEExEE10hipError_tPvRmT2_T3_T4_T5_mT6_T7_P12ihipStream_tbENKUlT_T0_E_clISt17integral_constantIbLb0EESY_IbLb1EEEEDaSU_SV_EUlSU_E_NS1_11comp_targetILNS1_3genE3ELNS1_11target_archE908ELNS1_3gpuE7ELNS1_3repE0EEENS1_30default_config_static_selectorELNS0_4arch9wavefront6targetE1EEEvT1_,@function
_ZN7rocprim17ROCPRIM_400000_NS6detail17trampoline_kernelINS0_14default_configENS1_27scan_by_key_config_selectorIxxEEZZNS1_16scan_by_key_implILNS1_25lookback_scan_determinismE0ELb0ES3_N6thrust23THRUST_200600_302600_NS6detail15normal_iteratorINS9_10device_ptrIxEEEESE_SE_xNS9_4plusIvEENS9_8equal_toIxEExEE10hipError_tPvRmT2_T3_T4_T5_mT6_T7_P12ihipStream_tbENKUlT_T0_E_clISt17integral_constantIbLb0EESY_IbLb1EEEEDaSU_SV_EUlSU_E_NS1_11comp_targetILNS1_3genE3ELNS1_11target_archE908ELNS1_3gpuE7ELNS1_3repE0EEENS1_30default_config_static_selectorELNS0_4arch9wavefront6targetE1EEEvT1_: ; @_ZN7rocprim17ROCPRIM_400000_NS6detail17trampoline_kernelINS0_14default_configENS1_27scan_by_key_config_selectorIxxEEZZNS1_16scan_by_key_implILNS1_25lookback_scan_determinismE0ELb0ES3_N6thrust23THRUST_200600_302600_NS6detail15normal_iteratorINS9_10device_ptrIxEEEESE_SE_xNS9_4plusIvEENS9_8equal_toIxEExEE10hipError_tPvRmT2_T3_T4_T5_mT6_T7_P12ihipStream_tbENKUlT_T0_E_clISt17integral_constantIbLb0EESY_IbLb1EEEEDaSU_SV_EUlSU_E_NS1_11comp_targetILNS1_3genE3ELNS1_11target_archE908ELNS1_3gpuE7ELNS1_3repE0EEENS1_30default_config_static_selectorELNS0_4arch9wavefront6targetE1EEEvT1_
; %bb.0:
	.section	.rodata,"a",@progbits
	.p2align	6, 0x0
	.amdhsa_kernel _ZN7rocprim17ROCPRIM_400000_NS6detail17trampoline_kernelINS0_14default_configENS1_27scan_by_key_config_selectorIxxEEZZNS1_16scan_by_key_implILNS1_25lookback_scan_determinismE0ELb0ES3_N6thrust23THRUST_200600_302600_NS6detail15normal_iteratorINS9_10device_ptrIxEEEESE_SE_xNS9_4plusIvEENS9_8equal_toIxEExEE10hipError_tPvRmT2_T3_T4_T5_mT6_T7_P12ihipStream_tbENKUlT_T0_E_clISt17integral_constantIbLb0EESY_IbLb1EEEEDaSU_SV_EUlSU_E_NS1_11comp_targetILNS1_3genE3ELNS1_11target_archE908ELNS1_3gpuE7ELNS1_3repE0EEENS1_30default_config_static_selectorELNS0_4arch9wavefront6targetE1EEEvT1_
		.amdhsa_group_segment_fixed_size 0
		.amdhsa_private_segment_fixed_size 0
		.amdhsa_kernarg_size 136
		.amdhsa_user_sgpr_count 2
		.amdhsa_user_sgpr_dispatch_ptr 0
		.amdhsa_user_sgpr_queue_ptr 0
		.amdhsa_user_sgpr_kernarg_segment_ptr 1
		.amdhsa_user_sgpr_dispatch_id 0
		.amdhsa_user_sgpr_kernarg_preload_length 0
		.amdhsa_user_sgpr_kernarg_preload_offset 0
		.amdhsa_user_sgpr_private_segment_size 0
		.amdhsa_uses_dynamic_stack 0
		.amdhsa_enable_private_segment 0
		.amdhsa_system_sgpr_workgroup_id_x 1
		.amdhsa_system_sgpr_workgroup_id_y 0
		.amdhsa_system_sgpr_workgroup_id_z 0
		.amdhsa_system_sgpr_workgroup_info 0
		.amdhsa_system_vgpr_workitem_id 0
		.amdhsa_next_free_vgpr 1
		.amdhsa_next_free_sgpr 0
		.amdhsa_accum_offset 4
		.amdhsa_reserve_vcc 0
		.amdhsa_float_round_mode_32 0
		.amdhsa_float_round_mode_16_64 0
		.amdhsa_float_denorm_mode_32 3
		.amdhsa_float_denorm_mode_16_64 3
		.amdhsa_dx10_clamp 1
		.amdhsa_ieee_mode 1
		.amdhsa_fp16_overflow 0
		.amdhsa_tg_split 0
		.amdhsa_exception_fp_ieee_invalid_op 0
		.amdhsa_exception_fp_denorm_src 0
		.amdhsa_exception_fp_ieee_div_zero 0
		.amdhsa_exception_fp_ieee_overflow 0
		.amdhsa_exception_fp_ieee_underflow 0
		.amdhsa_exception_fp_ieee_inexact 0
		.amdhsa_exception_int_div_zero 0
	.end_amdhsa_kernel
	.section	.text._ZN7rocprim17ROCPRIM_400000_NS6detail17trampoline_kernelINS0_14default_configENS1_27scan_by_key_config_selectorIxxEEZZNS1_16scan_by_key_implILNS1_25lookback_scan_determinismE0ELb0ES3_N6thrust23THRUST_200600_302600_NS6detail15normal_iteratorINS9_10device_ptrIxEEEESE_SE_xNS9_4plusIvEENS9_8equal_toIxEExEE10hipError_tPvRmT2_T3_T4_T5_mT6_T7_P12ihipStream_tbENKUlT_T0_E_clISt17integral_constantIbLb0EESY_IbLb1EEEEDaSU_SV_EUlSU_E_NS1_11comp_targetILNS1_3genE3ELNS1_11target_archE908ELNS1_3gpuE7ELNS1_3repE0EEENS1_30default_config_static_selectorELNS0_4arch9wavefront6targetE1EEEvT1_,"axG",@progbits,_ZN7rocprim17ROCPRIM_400000_NS6detail17trampoline_kernelINS0_14default_configENS1_27scan_by_key_config_selectorIxxEEZZNS1_16scan_by_key_implILNS1_25lookback_scan_determinismE0ELb0ES3_N6thrust23THRUST_200600_302600_NS6detail15normal_iteratorINS9_10device_ptrIxEEEESE_SE_xNS9_4plusIvEENS9_8equal_toIxEExEE10hipError_tPvRmT2_T3_T4_T5_mT6_T7_P12ihipStream_tbENKUlT_T0_E_clISt17integral_constantIbLb0EESY_IbLb1EEEEDaSU_SV_EUlSU_E_NS1_11comp_targetILNS1_3genE3ELNS1_11target_archE908ELNS1_3gpuE7ELNS1_3repE0EEENS1_30default_config_static_selectorELNS0_4arch9wavefront6targetE1EEEvT1_,comdat
.Lfunc_end114:
	.size	_ZN7rocprim17ROCPRIM_400000_NS6detail17trampoline_kernelINS0_14default_configENS1_27scan_by_key_config_selectorIxxEEZZNS1_16scan_by_key_implILNS1_25lookback_scan_determinismE0ELb0ES3_N6thrust23THRUST_200600_302600_NS6detail15normal_iteratorINS9_10device_ptrIxEEEESE_SE_xNS9_4plusIvEENS9_8equal_toIxEExEE10hipError_tPvRmT2_T3_T4_T5_mT6_T7_P12ihipStream_tbENKUlT_T0_E_clISt17integral_constantIbLb0EESY_IbLb1EEEEDaSU_SV_EUlSU_E_NS1_11comp_targetILNS1_3genE3ELNS1_11target_archE908ELNS1_3gpuE7ELNS1_3repE0EEENS1_30default_config_static_selectorELNS0_4arch9wavefront6targetE1EEEvT1_, .Lfunc_end114-_ZN7rocprim17ROCPRIM_400000_NS6detail17trampoline_kernelINS0_14default_configENS1_27scan_by_key_config_selectorIxxEEZZNS1_16scan_by_key_implILNS1_25lookback_scan_determinismE0ELb0ES3_N6thrust23THRUST_200600_302600_NS6detail15normal_iteratorINS9_10device_ptrIxEEEESE_SE_xNS9_4plusIvEENS9_8equal_toIxEExEE10hipError_tPvRmT2_T3_T4_T5_mT6_T7_P12ihipStream_tbENKUlT_T0_E_clISt17integral_constantIbLb0EESY_IbLb1EEEEDaSU_SV_EUlSU_E_NS1_11comp_targetILNS1_3genE3ELNS1_11target_archE908ELNS1_3gpuE7ELNS1_3repE0EEENS1_30default_config_static_selectorELNS0_4arch9wavefront6targetE1EEEvT1_
                                        ; -- End function
	.section	.AMDGPU.csdata,"",@progbits
; Kernel info:
; codeLenInByte = 0
; NumSgprs: 6
; NumVgprs: 0
; NumAgprs: 0
; TotalNumVgprs: 0
; ScratchSize: 0
; MemoryBound: 0
; FloatMode: 240
; IeeeMode: 1
; LDSByteSize: 0 bytes/workgroup (compile time only)
; SGPRBlocks: 0
; VGPRBlocks: 0
; NumSGPRsForWavesPerEU: 6
; NumVGPRsForWavesPerEU: 1
; AccumOffset: 4
; Occupancy: 8
; WaveLimiterHint : 0
; COMPUTE_PGM_RSRC2:SCRATCH_EN: 0
; COMPUTE_PGM_RSRC2:USER_SGPR: 2
; COMPUTE_PGM_RSRC2:TRAP_HANDLER: 0
; COMPUTE_PGM_RSRC2:TGID_X_EN: 1
; COMPUTE_PGM_RSRC2:TGID_Y_EN: 0
; COMPUTE_PGM_RSRC2:TGID_Z_EN: 0
; COMPUTE_PGM_RSRC2:TIDIG_COMP_CNT: 0
; COMPUTE_PGM_RSRC3_GFX90A:ACCUM_OFFSET: 0
; COMPUTE_PGM_RSRC3_GFX90A:TG_SPLIT: 0
	.section	.text._ZN7rocprim17ROCPRIM_400000_NS6detail17trampoline_kernelINS0_14default_configENS1_27scan_by_key_config_selectorIxxEEZZNS1_16scan_by_key_implILNS1_25lookback_scan_determinismE0ELb0ES3_N6thrust23THRUST_200600_302600_NS6detail15normal_iteratorINS9_10device_ptrIxEEEESE_SE_xNS9_4plusIvEENS9_8equal_toIxEExEE10hipError_tPvRmT2_T3_T4_T5_mT6_T7_P12ihipStream_tbENKUlT_T0_E_clISt17integral_constantIbLb0EESY_IbLb1EEEEDaSU_SV_EUlSU_E_NS1_11comp_targetILNS1_3genE2ELNS1_11target_archE906ELNS1_3gpuE6ELNS1_3repE0EEENS1_30default_config_static_selectorELNS0_4arch9wavefront6targetE1EEEvT1_,"axG",@progbits,_ZN7rocprim17ROCPRIM_400000_NS6detail17trampoline_kernelINS0_14default_configENS1_27scan_by_key_config_selectorIxxEEZZNS1_16scan_by_key_implILNS1_25lookback_scan_determinismE0ELb0ES3_N6thrust23THRUST_200600_302600_NS6detail15normal_iteratorINS9_10device_ptrIxEEEESE_SE_xNS9_4plusIvEENS9_8equal_toIxEExEE10hipError_tPvRmT2_T3_T4_T5_mT6_T7_P12ihipStream_tbENKUlT_T0_E_clISt17integral_constantIbLb0EESY_IbLb1EEEEDaSU_SV_EUlSU_E_NS1_11comp_targetILNS1_3genE2ELNS1_11target_archE906ELNS1_3gpuE6ELNS1_3repE0EEENS1_30default_config_static_selectorELNS0_4arch9wavefront6targetE1EEEvT1_,comdat
	.protected	_ZN7rocprim17ROCPRIM_400000_NS6detail17trampoline_kernelINS0_14default_configENS1_27scan_by_key_config_selectorIxxEEZZNS1_16scan_by_key_implILNS1_25lookback_scan_determinismE0ELb0ES3_N6thrust23THRUST_200600_302600_NS6detail15normal_iteratorINS9_10device_ptrIxEEEESE_SE_xNS9_4plusIvEENS9_8equal_toIxEExEE10hipError_tPvRmT2_T3_T4_T5_mT6_T7_P12ihipStream_tbENKUlT_T0_E_clISt17integral_constantIbLb0EESY_IbLb1EEEEDaSU_SV_EUlSU_E_NS1_11comp_targetILNS1_3genE2ELNS1_11target_archE906ELNS1_3gpuE6ELNS1_3repE0EEENS1_30default_config_static_selectorELNS0_4arch9wavefront6targetE1EEEvT1_ ; -- Begin function _ZN7rocprim17ROCPRIM_400000_NS6detail17trampoline_kernelINS0_14default_configENS1_27scan_by_key_config_selectorIxxEEZZNS1_16scan_by_key_implILNS1_25lookback_scan_determinismE0ELb0ES3_N6thrust23THRUST_200600_302600_NS6detail15normal_iteratorINS9_10device_ptrIxEEEESE_SE_xNS9_4plusIvEENS9_8equal_toIxEExEE10hipError_tPvRmT2_T3_T4_T5_mT6_T7_P12ihipStream_tbENKUlT_T0_E_clISt17integral_constantIbLb0EESY_IbLb1EEEEDaSU_SV_EUlSU_E_NS1_11comp_targetILNS1_3genE2ELNS1_11target_archE906ELNS1_3gpuE6ELNS1_3repE0EEENS1_30default_config_static_selectorELNS0_4arch9wavefront6targetE1EEEvT1_
	.globl	_ZN7rocprim17ROCPRIM_400000_NS6detail17trampoline_kernelINS0_14default_configENS1_27scan_by_key_config_selectorIxxEEZZNS1_16scan_by_key_implILNS1_25lookback_scan_determinismE0ELb0ES3_N6thrust23THRUST_200600_302600_NS6detail15normal_iteratorINS9_10device_ptrIxEEEESE_SE_xNS9_4plusIvEENS9_8equal_toIxEExEE10hipError_tPvRmT2_T3_T4_T5_mT6_T7_P12ihipStream_tbENKUlT_T0_E_clISt17integral_constantIbLb0EESY_IbLb1EEEEDaSU_SV_EUlSU_E_NS1_11comp_targetILNS1_3genE2ELNS1_11target_archE906ELNS1_3gpuE6ELNS1_3repE0EEENS1_30default_config_static_selectorELNS0_4arch9wavefront6targetE1EEEvT1_
	.p2align	8
	.type	_ZN7rocprim17ROCPRIM_400000_NS6detail17trampoline_kernelINS0_14default_configENS1_27scan_by_key_config_selectorIxxEEZZNS1_16scan_by_key_implILNS1_25lookback_scan_determinismE0ELb0ES3_N6thrust23THRUST_200600_302600_NS6detail15normal_iteratorINS9_10device_ptrIxEEEESE_SE_xNS9_4plusIvEENS9_8equal_toIxEExEE10hipError_tPvRmT2_T3_T4_T5_mT6_T7_P12ihipStream_tbENKUlT_T0_E_clISt17integral_constantIbLb0EESY_IbLb1EEEEDaSU_SV_EUlSU_E_NS1_11comp_targetILNS1_3genE2ELNS1_11target_archE906ELNS1_3gpuE6ELNS1_3repE0EEENS1_30default_config_static_selectorELNS0_4arch9wavefront6targetE1EEEvT1_,@function
_ZN7rocprim17ROCPRIM_400000_NS6detail17trampoline_kernelINS0_14default_configENS1_27scan_by_key_config_selectorIxxEEZZNS1_16scan_by_key_implILNS1_25lookback_scan_determinismE0ELb0ES3_N6thrust23THRUST_200600_302600_NS6detail15normal_iteratorINS9_10device_ptrIxEEEESE_SE_xNS9_4plusIvEENS9_8equal_toIxEExEE10hipError_tPvRmT2_T3_T4_T5_mT6_T7_P12ihipStream_tbENKUlT_T0_E_clISt17integral_constantIbLb0EESY_IbLb1EEEEDaSU_SV_EUlSU_E_NS1_11comp_targetILNS1_3genE2ELNS1_11target_archE906ELNS1_3gpuE6ELNS1_3repE0EEENS1_30default_config_static_selectorELNS0_4arch9wavefront6targetE1EEEvT1_: ; @_ZN7rocprim17ROCPRIM_400000_NS6detail17trampoline_kernelINS0_14default_configENS1_27scan_by_key_config_selectorIxxEEZZNS1_16scan_by_key_implILNS1_25lookback_scan_determinismE0ELb0ES3_N6thrust23THRUST_200600_302600_NS6detail15normal_iteratorINS9_10device_ptrIxEEEESE_SE_xNS9_4plusIvEENS9_8equal_toIxEExEE10hipError_tPvRmT2_T3_T4_T5_mT6_T7_P12ihipStream_tbENKUlT_T0_E_clISt17integral_constantIbLb0EESY_IbLb1EEEEDaSU_SV_EUlSU_E_NS1_11comp_targetILNS1_3genE2ELNS1_11target_archE906ELNS1_3gpuE6ELNS1_3repE0EEENS1_30default_config_static_selectorELNS0_4arch9wavefront6targetE1EEEvT1_
; %bb.0:
	.section	.rodata,"a",@progbits
	.p2align	6, 0x0
	.amdhsa_kernel _ZN7rocprim17ROCPRIM_400000_NS6detail17trampoline_kernelINS0_14default_configENS1_27scan_by_key_config_selectorIxxEEZZNS1_16scan_by_key_implILNS1_25lookback_scan_determinismE0ELb0ES3_N6thrust23THRUST_200600_302600_NS6detail15normal_iteratorINS9_10device_ptrIxEEEESE_SE_xNS9_4plusIvEENS9_8equal_toIxEExEE10hipError_tPvRmT2_T3_T4_T5_mT6_T7_P12ihipStream_tbENKUlT_T0_E_clISt17integral_constantIbLb0EESY_IbLb1EEEEDaSU_SV_EUlSU_E_NS1_11comp_targetILNS1_3genE2ELNS1_11target_archE906ELNS1_3gpuE6ELNS1_3repE0EEENS1_30default_config_static_selectorELNS0_4arch9wavefront6targetE1EEEvT1_
		.amdhsa_group_segment_fixed_size 0
		.amdhsa_private_segment_fixed_size 0
		.amdhsa_kernarg_size 136
		.amdhsa_user_sgpr_count 2
		.amdhsa_user_sgpr_dispatch_ptr 0
		.amdhsa_user_sgpr_queue_ptr 0
		.amdhsa_user_sgpr_kernarg_segment_ptr 1
		.amdhsa_user_sgpr_dispatch_id 0
		.amdhsa_user_sgpr_kernarg_preload_length 0
		.amdhsa_user_sgpr_kernarg_preload_offset 0
		.amdhsa_user_sgpr_private_segment_size 0
		.amdhsa_uses_dynamic_stack 0
		.amdhsa_enable_private_segment 0
		.amdhsa_system_sgpr_workgroup_id_x 1
		.amdhsa_system_sgpr_workgroup_id_y 0
		.amdhsa_system_sgpr_workgroup_id_z 0
		.amdhsa_system_sgpr_workgroup_info 0
		.amdhsa_system_vgpr_workitem_id 0
		.amdhsa_next_free_vgpr 1
		.amdhsa_next_free_sgpr 0
		.amdhsa_accum_offset 4
		.amdhsa_reserve_vcc 0
		.amdhsa_float_round_mode_32 0
		.amdhsa_float_round_mode_16_64 0
		.amdhsa_float_denorm_mode_32 3
		.amdhsa_float_denorm_mode_16_64 3
		.amdhsa_dx10_clamp 1
		.amdhsa_ieee_mode 1
		.amdhsa_fp16_overflow 0
		.amdhsa_tg_split 0
		.amdhsa_exception_fp_ieee_invalid_op 0
		.amdhsa_exception_fp_denorm_src 0
		.amdhsa_exception_fp_ieee_div_zero 0
		.amdhsa_exception_fp_ieee_overflow 0
		.amdhsa_exception_fp_ieee_underflow 0
		.amdhsa_exception_fp_ieee_inexact 0
		.amdhsa_exception_int_div_zero 0
	.end_amdhsa_kernel
	.section	.text._ZN7rocprim17ROCPRIM_400000_NS6detail17trampoline_kernelINS0_14default_configENS1_27scan_by_key_config_selectorIxxEEZZNS1_16scan_by_key_implILNS1_25lookback_scan_determinismE0ELb0ES3_N6thrust23THRUST_200600_302600_NS6detail15normal_iteratorINS9_10device_ptrIxEEEESE_SE_xNS9_4plusIvEENS9_8equal_toIxEExEE10hipError_tPvRmT2_T3_T4_T5_mT6_T7_P12ihipStream_tbENKUlT_T0_E_clISt17integral_constantIbLb0EESY_IbLb1EEEEDaSU_SV_EUlSU_E_NS1_11comp_targetILNS1_3genE2ELNS1_11target_archE906ELNS1_3gpuE6ELNS1_3repE0EEENS1_30default_config_static_selectorELNS0_4arch9wavefront6targetE1EEEvT1_,"axG",@progbits,_ZN7rocprim17ROCPRIM_400000_NS6detail17trampoline_kernelINS0_14default_configENS1_27scan_by_key_config_selectorIxxEEZZNS1_16scan_by_key_implILNS1_25lookback_scan_determinismE0ELb0ES3_N6thrust23THRUST_200600_302600_NS6detail15normal_iteratorINS9_10device_ptrIxEEEESE_SE_xNS9_4plusIvEENS9_8equal_toIxEExEE10hipError_tPvRmT2_T3_T4_T5_mT6_T7_P12ihipStream_tbENKUlT_T0_E_clISt17integral_constantIbLb0EESY_IbLb1EEEEDaSU_SV_EUlSU_E_NS1_11comp_targetILNS1_3genE2ELNS1_11target_archE906ELNS1_3gpuE6ELNS1_3repE0EEENS1_30default_config_static_selectorELNS0_4arch9wavefront6targetE1EEEvT1_,comdat
.Lfunc_end115:
	.size	_ZN7rocprim17ROCPRIM_400000_NS6detail17trampoline_kernelINS0_14default_configENS1_27scan_by_key_config_selectorIxxEEZZNS1_16scan_by_key_implILNS1_25lookback_scan_determinismE0ELb0ES3_N6thrust23THRUST_200600_302600_NS6detail15normal_iteratorINS9_10device_ptrIxEEEESE_SE_xNS9_4plusIvEENS9_8equal_toIxEExEE10hipError_tPvRmT2_T3_T4_T5_mT6_T7_P12ihipStream_tbENKUlT_T0_E_clISt17integral_constantIbLb0EESY_IbLb1EEEEDaSU_SV_EUlSU_E_NS1_11comp_targetILNS1_3genE2ELNS1_11target_archE906ELNS1_3gpuE6ELNS1_3repE0EEENS1_30default_config_static_selectorELNS0_4arch9wavefront6targetE1EEEvT1_, .Lfunc_end115-_ZN7rocprim17ROCPRIM_400000_NS6detail17trampoline_kernelINS0_14default_configENS1_27scan_by_key_config_selectorIxxEEZZNS1_16scan_by_key_implILNS1_25lookback_scan_determinismE0ELb0ES3_N6thrust23THRUST_200600_302600_NS6detail15normal_iteratorINS9_10device_ptrIxEEEESE_SE_xNS9_4plusIvEENS9_8equal_toIxEExEE10hipError_tPvRmT2_T3_T4_T5_mT6_T7_P12ihipStream_tbENKUlT_T0_E_clISt17integral_constantIbLb0EESY_IbLb1EEEEDaSU_SV_EUlSU_E_NS1_11comp_targetILNS1_3genE2ELNS1_11target_archE906ELNS1_3gpuE6ELNS1_3repE0EEENS1_30default_config_static_selectorELNS0_4arch9wavefront6targetE1EEEvT1_
                                        ; -- End function
	.section	.AMDGPU.csdata,"",@progbits
; Kernel info:
; codeLenInByte = 0
; NumSgprs: 6
; NumVgprs: 0
; NumAgprs: 0
; TotalNumVgprs: 0
; ScratchSize: 0
; MemoryBound: 0
; FloatMode: 240
; IeeeMode: 1
; LDSByteSize: 0 bytes/workgroup (compile time only)
; SGPRBlocks: 0
; VGPRBlocks: 0
; NumSGPRsForWavesPerEU: 6
; NumVGPRsForWavesPerEU: 1
; AccumOffset: 4
; Occupancy: 8
; WaveLimiterHint : 0
; COMPUTE_PGM_RSRC2:SCRATCH_EN: 0
; COMPUTE_PGM_RSRC2:USER_SGPR: 2
; COMPUTE_PGM_RSRC2:TRAP_HANDLER: 0
; COMPUTE_PGM_RSRC2:TGID_X_EN: 1
; COMPUTE_PGM_RSRC2:TGID_Y_EN: 0
; COMPUTE_PGM_RSRC2:TGID_Z_EN: 0
; COMPUTE_PGM_RSRC2:TIDIG_COMP_CNT: 0
; COMPUTE_PGM_RSRC3_GFX90A:ACCUM_OFFSET: 0
; COMPUTE_PGM_RSRC3_GFX90A:TG_SPLIT: 0
	.section	.text._ZN7rocprim17ROCPRIM_400000_NS6detail17trampoline_kernelINS0_14default_configENS1_27scan_by_key_config_selectorIxxEEZZNS1_16scan_by_key_implILNS1_25lookback_scan_determinismE0ELb0ES3_N6thrust23THRUST_200600_302600_NS6detail15normal_iteratorINS9_10device_ptrIxEEEESE_SE_xNS9_4plusIvEENS9_8equal_toIxEExEE10hipError_tPvRmT2_T3_T4_T5_mT6_T7_P12ihipStream_tbENKUlT_T0_E_clISt17integral_constantIbLb0EESY_IbLb1EEEEDaSU_SV_EUlSU_E_NS1_11comp_targetILNS1_3genE10ELNS1_11target_archE1200ELNS1_3gpuE4ELNS1_3repE0EEENS1_30default_config_static_selectorELNS0_4arch9wavefront6targetE1EEEvT1_,"axG",@progbits,_ZN7rocprim17ROCPRIM_400000_NS6detail17trampoline_kernelINS0_14default_configENS1_27scan_by_key_config_selectorIxxEEZZNS1_16scan_by_key_implILNS1_25lookback_scan_determinismE0ELb0ES3_N6thrust23THRUST_200600_302600_NS6detail15normal_iteratorINS9_10device_ptrIxEEEESE_SE_xNS9_4plusIvEENS9_8equal_toIxEExEE10hipError_tPvRmT2_T3_T4_T5_mT6_T7_P12ihipStream_tbENKUlT_T0_E_clISt17integral_constantIbLb0EESY_IbLb1EEEEDaSU_SV_EUlSU_E_NS1_11comp_targetILNS1_3genE10ELNS1_11target_archE1200ELNS1_3gpuE4ELNS1_3repE0EEENS1_30default_config_static_selectorELNS0_4arch9wavefront6targetE1EEEvT1_,comdat
	.protected	_ZN7rocprim17ROCPRIM_400000_NS6detail17trampoline_kernelINS0_14default_configENS1_27scan_by_key_config_selectorIxxEEZZNS1_16scan_by_key_implILNS1_25lookback_scan_determinismE0ELb0ES3_N6thrust23THRUST_200600_302600_NS6detail15normal_iteratorINS9_10device_ptrIxEEEESE_SE_xNS9_4plusIvEENS9_8equal_toIxEExEE10hipError_tPvRmT2_T3_T4_T5_mT6_T7_P12ihipStream_tbENKUlT_T0_E_clISt17integral_constantIbLb0EESY_IbLb1EEEEDaSU_SV_EUlSU_E_NS1_11comp_targetILNS1_3genE10ELNS1_11target_archE1200ELNS1_3gpuE4ELNS1_3repE0EEENS1_30default_config_static_selectorELNS0_4arch9wavefront6targetE1EEEvT1_ ; -- Begin function _ZN7rocprim17ROCPRIM_400000_NS6detail17trampoline_kernelINS0_14default_configENS1_27scan_by_key_config_selectorIxxEEZZNS1_16scan_by_key_implILNS1_25lookback_scan_determinismE0ELb0ES3_N6thrust23THRUST_200600_302600_NS6detail15normal_iteratorINS9_10device_ptrIxEEEESE_SE_xNS9_4plusIvEENS9_8equal_toIxEExEE10hipError_tPvRmT2_T3_T4_T5_mT6_T7_P12ihipStream_tbENKUlT_T0_E_clISt17integral_constantIbLb0EESY_IbLb1EEEEDaSU_SV_EUlSU_E_NS1_11comp_targetILNS1_3genE10ELNS1_11target_archE1200ELNS1_3gpuE4ELNS1_3repE0EEENS1_30default_config_static_selectorELNS0_4arch9wavefront6targetE1EEEvT1_
	.globl	_ZN7rocprim17ROCPRIM_400000_NS6detail17trampoline_kernelINS0_14default_configENS1_27scan_by_key_config_selectorIxxEEZZNS1_16scan_by_key_implILNS1_25lookback_scan_determinismE0ELb0ES3_N6thrust23THRUST_200600_302600_NS6detail15normal_iteratorINS9_10device_ptrIxEEEESE_SE_xNS9_4plusIvEENS9_8equal_toIxEExEE10hipError_tPvRmT2_T3_T4_T5_mT6_T7_P12ihipStream_tbENKUlT_T0_E_clISt17integral_constantIbLb0EESY_IbLb1EEEEDaSU_SV_EUlSU_E_NS1_11comp_targetILNS1_3genE10ELNS1_11target_archE1200ELNS1_3gpuE4ELNS1_3repE0EEENS1_30default_config_static_selectorELNS0_4arch9wavefront6targetE1EEEvT1_
	.p2align	8
	.type	_ZN7rocprim17ROCPRIM_400000_NS6detail17trampoline_kernelINS0_14default_configENS1_27scan_by_key_config_selectorIxxEEZZNS1_16scan_by_key_implILNS1_25lookback_scan_determinismE0ELb0ES3_N6thrust23THRUST_200600_302600_NS6detail15normal_iteratorINS9_10device_ptrIxEEEESE_SE_xNS9_4plusIvEENS9_8equal_toIxEExEE10hipError_tPvRmT2_T3_T4_T5_mT6_T7_P12ihipStream_tbENKUlT_T0_E_clISt17integral_constantIbLb0EESY_IbLb1EEEEDaSU_SV_EUlSU_E_NS1_11comp_targetILNS1_3genE10ELNS1_11target_archE1200ELNS1_3gpuE4ELNS1_3repE0EEENS1_30default_config_static_selectorELNS0_4arch9wavefront6targetE1EEEvT1_,@function
_ZN7rocprim17ROCPRIM_400000_NS6detail17trampoline_kernelINS0_14default_configENS1_27scan_by_key_config_selectorIxxEEZZNS1_16scan_by_key_implILNS1_25lookback_scan_determinismE0ELb0ES3_N6thrust23THRUST_200600_302600_NS6detail15normal_iteratorINS9_10device_ptrIxEEEESE_SE_xNS9_4plusIvEENS9_8equal_toIxEExEE10hipError_tPvRmT2_T3_T4_T5_mT6_T7_P12ihipStream_tbENKUlT_T0_E_clISt17integral_constantIbLb0EESY_IbLb1EEEEDaSU_SV_EUlSU_E_NS1_11comp_targetILNS1_3genE10ELNS1_11target_archE1200ELNS1_3gpuE4ELNS1_3repE0EEENS1_30default_config_static_selectorELNS0_4arch9wavefront6targetE1EEEvT1_: ; @_ZN7rocprim17ROCPRIM_400000_NS6detail17trampoline_kernelINS0_14default_configENS1_27scan_by_key_config_selectorIxxEEZZNS1_16scan_by_key_implILNS1_25lookback_scan_determinismE0ELb0ES3_N6thrust23THRUST_200600_302600_NS6detail15normal_iteratorINS9_10device_ptrIxEEEESE_SE_xNS9_4plusIvEENS9_8equal_toIxEExEE10hipError_tPvRmT2_T3_T4_T5_mT6_T7_P12ihipStream_tbENKUlT_T0_E_clISt17integral_constantIbLb0EESY_IbLb1EEEEDaSU_SV_EUlSU_E_NS1_11comp_targetILNS1_3genE10ELNS1_11target_archE1200ELNS1_3gpuE4ELNS1_3repE0EEENS1_30default_config_static_selectorELNS0_4arch9wavefront6targetE1EEEvT1_
; %bb.0:
	.section	.rodata,"a",@progbits
	.p2align	6, 0x0
	.amdhsa_kernel _ZN7rocprim17ROCPRIM_400000_NS6detail17trampoline_kernelINS0_14default_configENS1_27scan_by_key_config_selectorIxxEEZZNS1_16scan_by_key_implILNS1_25lookback_scan_determinismE0ELb0ES3_N6thrust23THRUST_200600_302600_NS6detail15normal_iteratorINS9_10device_ptrIxEEEESE_SE_xNS9_4plusIvEENS9_8equal_toIxEExEE10hipError_tPvRmT2_T3_T4_T5_mT6_T7_P12ihipStream_tbENKUlT_T0_E_clISt17integral_constantIbLb0EESY_IbLb1EEEEDaSU_SV_EUlSU_E_NS1_11comp_targetILNS1_3genE10ELNS1_11target_archE1200ELNS1_3gpuE4ELNS1_3repE0EEENS1_30default_config_static_selectorELNS0_4arch9wavefront6targetE1EEEvT1_
		.amdhsa_group_segment_fixed_size 0
		.amdhsa_private_segment_fixed_size 0
		.amdhsa_kernarg_size 136
		.amdhsa_user_sgpr_count 2
		.amdhsa_user_sgpr_dispatch_ptr 0
		.amdhsa_user_sgpr_queue_ptr 0
		.amdhsa_user_sgpr_kernarg_segment_ptr 1
		.amdhsa_user_sgpr_dispatch_id 0
		.amdhsa_user_sgpr_kernarg_preload_length 0
		.amdhsa_user_sgpr_kernarg_preload_offset 0
		.amdhsa_user_sgpr_private_segment_size 0
		.amdhsa_uses_dynamic_stack 0
		.amdhsa_enable_private_segment 0
		.amdhsa_system_sgpr_workgroup_id_x 1
		.amdhsa_system_sgpr_workgroup_id_y 0
		.amdhsa_system_sgpr_workgroup_id_z 0
		.amdhsa_system_sgpr_workgroup_info 0
		.amdhsa_system_vgpr_workitem_id 0
		.amdhsa_next_free_vgpr 1
		.amdhsa_next_free_sgpr 0
		.amdhsa_accum_offset 4
		.amdhsa_reserve_vcc 0
		.amdhsa_float_round_mode_32 0
		.amdhsa_float_round_mode_16_64 0
		.amdhsa_float_denorm_mode_32 3
		.amdhsa_float_denorm_mode_16_64 3
		.amdhsa_dx10_clamp 1
		.amdhsa_ieee_mode 1
		.amdhsa_fp16_overflow 0
		.amdhsa_tg_split 0
		.amdhsa_exception_fp_ieee_invalid_op 0
		.amdhsa_exception_fp_denorm_src 0
		.amdhsa_exception_fp_ieee_div_zero 0
		.amdhsa_exception_fp_ieee_overflow 0
		.amdhsa_exception_fp_ieee_underflow 0
		.amdhsa_exception_fp_ieee_inexact 0
		.amdhsa_exception_int_div_zero 0
	.end_amdhsa_kernel
	.section	.text._ZN7rocprim17ROCPRIM_400000_NS6detail17trampoline_kernelINS0_14default_configENS1_27scan_by_key_config_selectorIxxEEZZNS1_16scan_by_key_implILNS1_25lookback_scan_determinismE0ELb0ES3_N6thrust23THRUST_200600_302600_NS6detail15normal_iteratorINS9_10device_ptrIxEEEESE_SE_xNS9_4plusIvEENS9_8equal_toIxEExEE10hipError_tPvRmT2_T3_T4_T5_mT6_T7_P12ihipStream_tbENKUlT_T0_E_clISt17integral_constantIbLb0EESY_IbLb1EEEEDaSU_SV_EUlSU_E_NS1_11comp_targetILNS1_3genE10ELNS1_11target_archE1200ELNS1_3gpuE4ELNS1_3repE0EEENS1_30default_config_static_selectorELNS0_4arch9wavefront6targetE1EEEvT1_,"axG",@progbits,_ZN7rocprim17ROCPRIM_400000_NS6detail17trampoline_kernelINS0_14default_configENS1_27scan_by_key_config_selectorIxxEEZZNS1_16scan_by_key_implILNS1_25lookback_scan_determinismE0ELb0ES3_N6thrust23THRUST_200600_302600_NS6detail15normal_iteratorINS9_10device_ptrIxEEEESE_SE_xNS9_4plusIvEENS9_8equal_toIxEExEE10hipError_tPvRmT2_T3_T4_T5_mT6_T7_P12ihipStream_tbENKUlT_T0_E_clISt17integral_constantIbLb0EESY_IbLb1EEEEDaSU_SV_EUlSU_E_NS1_11comp_targetILNS1_3genE10ELNS1_11target_archE1200ELNS1_3gpuE4ELNS1_3repE0EEENS1_30default_config_static_selectorELNS0_4arch9wavefront6targetE1EEEvT1_,comdat
.Lfunc_end116:
	.size	_ZN7rocprim17ROCPRIM_400000_NS6detail17trampoline_kernelINS0_14default_configENS1_27scan_by_key_config_selectorIxxEEZZNS1_16scan_by_key_implILNS1_25lookback_scan_determinismE0ELb0ES3_N6thrust23THRUST_200600_302600_NS6detail15normal_iteratorINS9_10device_ptrIxEEEESE_SE_xNS9_4plusIvEENS9_8equal_toIxEExEE10hipError_tPvRmT2_T3_T4_T5_mT6_T7_P12ihipStream_tbENKUlT_T0_E_clISt17integral_constantIbLb0EESY_IbLb1EEEEDaSU_SV_EUlSU_E_NS1_11comp_targetILNS1_3genE10ELNS1_11target_archE1200ELNS1_3gpuE4ELNS1_3repE0EEENS1_30default_config_static_selectorELNS0_4arch9wavefront6targetE1EEEvT1_, .Lfunc_end116-_ZN7rocprim17ROCPRIM_400000_NS6detail17trampoline_kernelINS0_14default_configENS1_27scan_by_key_config_selectorIxxEEZZNS1_16scan_by_key_implILNS1_25lookback_scan_determinismE0ELb0ES3_N6thrust23THRUST_200600_302600_NS6detail15normal_iteratorINS9_10device_ptrIxEEEESE_SE_xNS9_4plusIvEENS9_8equal_toIxEExEE10hipError_tPvRmT2_T3_T4_T5_mT6_T7_P12ihipStream_tbENKUlT_T0_E_clISt17integral_constantIbLb0EESY_IbLb1EEEEDaSU_SV_EUlSU_E_NS1_11comp_targetILNS1_3genE10ELNS1_11target_archE1200ELNS1_3gpuE4ELNS1_3repE0EEENS1_30default_config_static_selectorELNS0_4arch9wavefront6targetE1EEEvT1_
                                        ; -- End function
	.section	.AMDGPU.csdata,"",@progbits
; Kernel info:
; codeLenInByte = 0
; NumSgprs: 6
; NumVgprs: 0
; NumAgprs: 0
; TotalNumVgprs: 0
; ScratchSize: 0
; MemoryBound: 0
; FloatMode: 240
; IeeeMode: 1
; LDSByteSize: 0 bytes/workgroup (compile time only)
; SGPRBlocks: 0
; VGPRBlocks: 0
; NumSGPRsForWavesPerEU: 6
; NumVGPRsForWavesPerEU: 1
; AccumOffset: 4
; Occupancy: 8
; WaveLimiterHint : 0
; COMPUTE_PGM_RSRC2:SCRATCH_EN: 0
; COMPUTE_PGM_RSRC2:USER_SGPR: 2
; COMPUTE_PGM_RSRC2:TRAP_HANDLER: 0
; COMPUTE_PGM_RSRC2:TGID_X_EN: 1
; COMPUTE_PGM_RSRC2:TGID_Y_EN: 0
; COMPUTE_PGM_RSRC2:TGID_Z_EN: 0
; COMPUTE_PGM_RSRC2:TIDIG_COMP_CNT: 0
; COMPUTE_PGM_RSRC3_GFX90A:ACCUM_OFFSET: 0
; COMPUTE_PGM_RSRC3_GFX90A:TG_SPLIT: 0
	.section	.text._ZN7rocprim17ROCPRIM_400000_NS6detail17trampoline_kernelINS0_14default_configENS1_27scan_by_key_config_selectorIxxEEZZNS1_16scan_by_key_implILNS1_25lookback_scan_determinismE0ELb0ES3_N6thrust23THRUST_200600_302600_NS6detail15normal_iteratorINS9_10device_ptrIxEEEESE_SE_xNS9_4plusIvEENS9_8equal_toIxEExEE10hipError_tPvRmT2_T3_T4_T5_mT6_T7_P12ihipStream_tbENKUlT_T0_E_clISt17integral_constantIbLb0EESY_IbLb1EEEEDaSU_SV_EUlSU_E_NS1_11comp_targetILNS1_3genE9ELNS1_11target_archE1100ELNS1_3gpuE3ELNS1_3repE0EEENS1_30default_config_static_selectorELNS0_4arch9wavefront6targetE1EEEvT1_,"axG",@progbits,_ZN7rocprim17ROCPRIM_400000_NS6detail17trampoline_kernelINS0_14default_configENS1_27scan_by_key_config_selectorIxxEEZZNS1_16scan_by_key_implILNS1_25lookback_scan_determinismE0ELb0ES3_N6thrust23THRUST_200600_302600_NS6detail15normal_iteratorINS9_10device_ptrIxEEEESE_SE_xNS9_4plusIvEENS9_8equal_toIxEExEE10hipError_tPvRmT2_T3_T4_T5_mT6_T7_P12ihipStream_tbENKUlT_T0_E_clISt17integral_constantIbLb0EESY_IbLb1EEEEDaSU_SV_EUlSU_E_NS1_11comp_targetILNS1_3genE9ELNS1_11target_archE1100ELNS1_3gpuE3ELNS1_3repE0EEENS1_30default_config_static_selectorELNS0_4arch9wavefront6targetE1EEEvT1_,comdat
	.protected	_ZN7rocprim17ROCPRIM_400000_NS6detail17trampoline_kernelINS0_14default_configENS1_27scan_by_key_config_selectorIxxEEZZNS1_16scan_by_key_implILNS1_25lookback_scan_determinismE0ELb0ES3_N6thrust23THRUST_200600_302600_NS6detail15normal_iteratorINS9_10device_ptrIxEEEESE_SE_xNS9_4plusIvEENS9_8equal_toIxEExEE10hipError_tPvRmT2_T3_T4_T5_mT6_T7_P12ihipStream_tbENKUlT_T0_E_clISt17integral_constantIbLb0EESY_IbLb1EEEEDaSU_SV_EUlSU_E_NS1_11comp_targetILNS1_3genE9ELNS1_11target_archE1100ELNS1_3gpuE3ELNS1_3repE0EEENS1_30default_config_static_selectorELNS0_4arch9wavefront6targetE1EEEvT1_ ; -- Begin function _ZN7rocprim17ROCPRIM_400000_NS6detail17trampoline_kernelINS0_14default_configENS1_27scan_by_key_config_selectorIxxEEZZNS1_16scan_by_key_implILNS1_25lookback_scan_determinismE0ELb0ES3_N6thrust23THRUST_200600_302600_NS6detail15normal_iteratorINS9_10device_ptrIxEEEESE_SE_xNS9_4plusIvEENS9_8equal_toIxEExEE10hipError_tPvRmT2_T3_T4_T5_mT6_T7_P12ihipStream_tbENKUlT_T0_E_clISt17integral_constantIbLb0EESY_IbLb1EEEEDaSU_SV_EUlSU_E_NS1_11comp_targetILNS1_3genE9ELNS1_11target_archE1100ELNS1_3gpuE3ELNS1_3repE0EEENS1_30default_config_static_selectorELNS0_4arch9wavefront6targetE1EEEvT1_
	.globl	_ZN7rocprim17ROCPRIM_400000_NS6detail17trampoline_kernelINS0_14default_configENS1_27scan_by_key_config_selectorIxxEEZZNS1_16scan_by_key_implILNS1_25lookback_scan_determinismE0ELb0ES3_N6thrust23THRUST_200600_302600_NS6detail15normal_iteratorINS9_10device_ptrIxEEEESE_SE_xNS9_4plusIvEENS9_8equal_toIxEExEE10hipError_tPvRmT2_T3_T4_T5_mT6_T7_P12ihipStream_tbENKUlT_T0_E_clISt17integral_constantIbLb0EESY_IbLb1EEEEDaSU_SV_EUlSU_E_NS1_11comp_targetILNS1_3genE9ELNS1_11target_archE1100ELNS1_3gpuE3ELNS1_3repE0EEENS1_30default_config_static_selectorELNS0_4arch9wavefront6targetE1EEEvT1_
	.p2align	8
	.type	_ZN7rocprim17ROCPRIM_400000_NS6detail17trampoline_kernelINS0_14default_configENS1_27scan_by_key_config_selectorIxxEEZZNS1_16scan_by_key_implILNS1_25lookback_scan_determinismE0ELb0ES3_N6thrust23THRUST_200600_302600_NS6detail15normal_iteratorINS9_10device_ptrIxEEEESE_SE_xNS9_4plusIvEENS9_8equal_toIxEExEE10hipError_tPvRmT2_T3_T4_T5_mT6_T7_P12ihipStream_tbENKUlT_T0_E_clISt17integral_constantIbLb0EESY_IbLb1EEEEDaSU_SV_EUlSU_E_NS1_11comp_targetILNS1_3genE9ELNS1_11target_archE1100ELNS1_3gpuE3ELNS1_3repE0EEENS1_30default_config_static_selectorELNS0_4arch9wavefront6targetE1EEEvT1_,@function
_ZN7rocprim17ROCPRIM_400000_NS6detail17trampoline_kernelINS0_14default_configENS1_27scan_by_key_config_selectorIxxEEZZNS1_16scan_by_key_implILNS1_25lookback_scan_determinismE0ELb0ES3_N6thrust23THRUST_200600_302600_NS6detail15normal_iteratorINS9_10device_ptrIxEEEESE_SE_xNS9_4plusIvEENS9_8equal_toIxEExEE10hipError_tPvRmT2_T3_T4_T5_mT6_T7_P12ihipStream_tbENKUlT_T0_E_clISt17integral_constantIbLb0EESY_IbLb1EEEEDaSU_SV_EUlSU_E_NS1_11comp_targetILNS1_3genE9ELNS1_11target_archE1100ELNS1_3gpuE3ELNS1_3repE0EEENS1_30default_config_static_selectorELNS0_4arch9wavefront6targetE1EEEvT1_: ; @_ZN7rocprim17ROCPRIM_400000_NS6detail17trampoline_kernelINS0_14default_configENS1_27scan_by_key_config_selectorIxxEEZZNS1_16scan_by_key_implILNS1_25lookback_scan_determinismE0ELb0ES3_N6thrust23THRUST_200600_302600_NS6detail15normal_iteratorINS9_10device_ptrIxEEEESE_SE_xNS9_4plusIvEENS9_8equal_toIxEExEE10hipError_tPvRmT2_T3_T4_T5_mT6_T7_P12ihipStream_tbENKUlT_T0_E_clISt17integral_constantIbLb0EESY_IbLb1EEEEDaSU_SV_EUlSU_E_NS1_11comp_targetILNS1_3genE9ELNS1_11target_archE1100ELNS1_3gpuE3ELNS1_3repE0EEENS1_30default_config_static_selectorELNS0_4arch9wavefront6targetE1EEEvT1_
; %bb.0:
	.section	.rodata,"a",@progbits
	.p2align	6, 0x0
	.amdhsa_kernel _ZN7rocprim17ROCPRIM_400000_NS6detail17trampoline_kernelINS0_14default_configENS1_27scan_by_key_config_selectorIxxEEZZNS1_16scan_by_key_implILNS1_25lookback_scan_determinismE0ELb0ES3_N6thrust23THRUST_200600_302600_NS6detail15normal_iteratorINS9_10device_ptrIxEEEESE_SE_xNS9_4plusIvEENS9_8equal_toIxEExEE10hipError_tPvRmT2_T3_T4_T5_mT6_T7_P12ihipStream_tbENKUlT_T0_E_clISt17integral_constantIbLb0EESY_IbLb1EEEEDaSU_SV_EUlSU_E_NS1_11comp_targetILNS1_3genE9ELNS1_11target_archE1100ELNS1_3gpuE3ELNS1_3repE0EEENS1_30default_config_static_selectorELNS0_4arch9wavefront6targetE1EEEvT1_
		.amdhsa_group_segment_fixed_size 0
		.amdhsa_private_segment_fixed_size 0
		.amdhsa_kernarg_size 136
		.amdhsa_user_sgpr_count 2
		.amdhsa_user_sgpr_dispatch_ptr 0
		.amdhsa_user_sgpr_queue_ptr 0
		.amdhsa_user_sgpr_kernarg_segment_ptr 1
		.amdhsa_user_sgpr_dispatch_id 0
		.amdhsa_user_sgpr_kernarg_preload_length 0
		.amdhsa_user_sgpr_kernarg_preload_offset 0
		.amdhsa_user_sgpr_private_segment_size 0
		.amdhsa_uses_dynamic_stack 0
		.amdhsa_enable_private_segment 0
		.amdhsa_system_sgpr_workgroup_id_x 1
		.amdhsa_system_sgpr_workgroup_id_y 0
		.amdhsa_system_sgpr_workgroup_id_z 0
		.amdhsa_system_sgpr_workgroup_info 0
		.amdhsa_system_vgpr_workitem_id 0
		.amdhsa_next_free_vgpr 1
		.amdhsa_next_free_sgpr 0
		.amdhsa_accum_offset 4
		.amdhsa_reserve_vcc 0
		.amdhsa_float_round_mode_32 0
		.amdhsa_float_round_mode_16_64 0
		.amdhsa_float_denorm_mode_32 3
		.amdhsa_float_denorm_mode_16_64 3
		.amdhsa_dx10_clamp 1
		.amdhsa_ieee_mode 1
		.amdhsa_fp16_overflow 0
		.amdhsa_tg_split 0
		.amdhsa_exception_fp_ieee_invalid_op 0
		.amdhsa_exception_fp_denorm_src 0
		.amdhsa_exception_fp_ieee_div_zero 0
		.amdhsa_exception_fp_ieee_overflow 0
		.amdhsa_exception_fp_ieee_underflow 0
		.amdhsa_exception_fp_ieee_inexact 0
		.amdhsa_exception_int_div_zero 0
	.end_amdhsa_kernel
	.section	.text._ZN7rocprim17ROCPRIM_400000_NS6detail17trampoline_kernelINS0_14default_configENS1_27scan_by_key_config_selectorIxxEEZZNS1_16scan_by_key_implILNS1_25lookback_scan_determinismE0ELb0ES3_N6thrust23THRUST_200600_302600_NS6detail15normal_iteratorINS9_10device_ptrIxEEEESE_SE_xNS9_4plusIvEENS9_8equal_toIxEExEE10hipError_tPvRmT2_T3_T4_T5_mT6_T7_P12ihipStream_tbENKUlT_T0_E_clISt17integral_constantIbLb0EESY_IbLb1EEEEDaSU_SV_EUlSU_E_NS1_11comp_targetILNS1_3genE9ELNS1_11target_archE1100ELNS1_3gpuE3ELNS1_3repE0EEENS1_30default_config_static_selectorELNS0_4arch9wavefront6targetE1EEEvT1_,"axG",@progbits,_ZN7rocprim17ROCPRIM_400000_NS6detail17trampoline_kernelINS0_14default_configENS1_27scan_by_key_config_selectorIxxEEZZNS1_16scan_by_key_implILNS1_25lookback_scan_determinismE0ELb0ES3_N6thrust23THRUST_200600_302600_NS6detail15normal_iteratorINS9_10device_ptrIxEEEESE_SE_xNS9_4plusIvEENS9_8equal_toIxEExEE10hipError_tPvRmT2_T3_T4_T5_mT6_T7_P12ihipStream_tbENKUlT_T0_E_clISt17integral_constantIbLb0EESY_IbLb1EEEEDaSU_SV_EUlSU_E_NS1_11comp_targetILNS1_3genE9ELNS1_11target_archE1100ELNS1_3gpuE3ELNS1_3repE0EEENS1_30default_config_static_selectorELNS0_4arch9wavefront6targetE1EEEvT1_,comdat
.Lfunc_end117:
	.size	_ZN7rocprim17ROCPRIM_400000_NS6detail17trampoline_kernelINS0_14default_configENS1_27scan_by_key_config_selectorIxxEEZZNS1_16scan_by_key_implILNS1_25lookback_scan_determinismE0ELb0ES3_N6thrust23THRUST_200600_302600_NS6detail15normal_iteratorINS9_10device_ptrIxEEEESE_SE_xNS9_4plusIvEENS9_8equal_toIxEExEE10hipError_tPvRmT2_T3_T4_T5_mT6_T7_P12ihipStream_tbENKUlT_T0_E_clISt17integral_constantIbLb0EESY_IbLb1EEEEDaSU_SV_EUlSU_E_NS1_11comp_targetILNS1_3genE9ELNS1_11target_archE1100ELNS1_3gpuE3ELNS1_3repE0EEENS1_30default_config_static_selectorELNS0_4arch9wavefront6targetE1EEEvT1_, .Lfunc_end117-_ZN7rocprim17ROCPRIM_400000_NS6detail17trampoline_kernelINS0_14default_configENS1_27scan_by_key_config_selectorIxxEEZZNS1_16scan_by_key_implILNS1_25lookback_scan_determinismE0ELb0ES3_N6thrust23THRUST_200600_302600_NS6detail15normal_iteratorINS9_10device_ptrIxEEEESE_SE_xNS9_4plusIvEENS9_8equal_toIxEExEE10hipError_tPvRmT2_T3_T4_T5_mT6_T7_P12ihipStream_tbENKUlT_T0_E_clISt17integral_constantIbLb0EESY_IbLb1EEEEDaSU_SV_EUlSU_E_NS1_11comp_targetILNS1_3genE9ELNS1_11target_archE1100ELNS1_3gpuE3ELNS1_3repE0EEENS1_30default_config_static_selectorELNS0_4arch9wavefront6targetE1EEEvT1_
                                        ; -- End function
	.section	.AMDGPU.csdata,"",@progbits
; Kernel info:
; codeLenInByte = 0
; NumSgprs: 6
; NumVgprs: 0
; NumAgprs: 0
; TotalNumVgprs: 0
; ScratchSize: 0
; MemoryBound: 0
; FloatMode: 240
; IeeeMode: 1
; LDSByteSize: 0 bytes/workgroup (compile time only)
; SGPRBlocks: 0
; VGPRBlocks: 0
; NumSGPRsForWavesPerEU: 6
; NumVGPRsForWavesPerEU: 1
; AccumOffset: 4
; Occupancy: 8
; WaveLimiterHint : 0
; COMPUTE_PGM_RSRC2:SCRATCH_EN: 0
; COMPUTE_PGM_RSRC2:USER_SGPR: 2
; COMPUTE_PGM_RSRC2:TRAP_HANDLER: 0
; COMPUTE_PGM_RSRC2:TGID_X_EN: 1
; COMPUTE_PGM_RSRC2:TGID_Y_EN: 0
; COMPUTE_PGM_RSRC2:TGID_Z_EN: 0
; COMPUTE_PGM_RSRC2:TIDIG_COMP_CNT: 0
; COMPUTE_PGM_RSRC3_GFX90A:ACCUM_OFFSET: 0
; COMPUTE_PGM_RSRC3_GFX90A:TG_SPLIT: 0
	.section	.text._ZN7rocprim17ROCPRIM_400000_NS6detail17trampoline_kernelINS0_14default_configENS1_27scan_by_key_config_selectorIxxEEZZNS1_16scan_by_key_implILNS1_25lookback_scan_determinismE0ELb0ES3_N6thrust23THRUST_200600_302600_NS6detail15normal_iteratorINS9_10device_ptrIxEEEESE_SE_xNS9_4plusIvEENS9_8equal_toIxEExEE10hipError_tPvRmT2_T3_T4_T5_mT6_T7_P12ihipStream_tbENKUlT_T0_E_clISt17integral_constantIbLb0EESY_IbLb1EEEEDaSU_SV_EUlSU_E_NS1_11comp_targetILNS1_3genE8ELNS1_11target_archE1030ELNS1_3gpuE2ELNS1_3repE0EEENS1_30default_config_static_selectorELNS0_4arch9wavefront6targetE1EEEvT1_,"axG",@progbits,_ZN7rocprim17ROCPRIM_400000_NS6detail17trampoline_kernelINS0_14default_configENS1_27scan_by_key_config_selectorIxxEEZZNS1_16scan_by_key_implILNS1_25lookback_scan_determinismE0ELb0ES3_N6thrust23THRUST_200600_302600_NS6detail15normal_iteratorINS9_10device_ptrIxEEEESE_SE_xNS9_4plusIvEENS9_8equal_toIxEExEE10hipError_tPvRmT2_T3_T4_T5_mT6_T7_P12ihipStream_tbENKUlT_T0_E_clISt17integral_constantIbLb0EESY_IbLb1EEEEDaSU_SV_EUlSU_E_NS1_11comp_targetILNS1_3genE8ELNS1_11target_archE1030ELNS1_3gpuE2ELNS1_3repE0EEENS1_30default_config_static_selectorELNS0_4arch9wavefront6targetE1EEEvT1_,comdat
	.protected	_ZN7rocprim17ROCPRIM_400000_NS6detail17trampoline_kernelINS0_14default_configENS1_27scan_by_key_config_selectorIxxEEZZNS1_16scan_by_key_implILNS1_25lookback_scan_determinismE0ELb0ES3_N6thrust23THRUST_200600_302600_NS6detail15normal_iteratorINS9_10device_ptrIxEEEESE_SE_xNS9_4plusIvEENS9_8equal_toIxEExEE10hipError_tPvRmT2_T3_T4_T5_mT6_T7_P12ihipStream_tbENKUlT_T0_E_clISt17integral_constantIbLb0EESY_IbLb1EEEEDaSU_SV_EUlSU_E_NS1_11comp_targetILNS1_3genE8ELNS1_11target_archE1030ELNS1_3gpuE2ELNS1_3repE0EEENS1_30default_config_static_selectorELNS0_4arch9wavefront6targetE1EEEvT1_ ; -- Begin function _ZN7rocprim17ROCPRIM_400000_NS6detail17trampoline_kernelINS0_14default_configENS1_27scan_by_key_config_selectorIxxEEZZNS1_16scan_by_key_implILNS1_25lookback_scan_determinismE0ELb0ES3_N6thrust23THRUST_200600_302600_NS6detail15normal_iteratorINS9_10device_ptrIxEEEESE_SE_xNS9_4plusIvEENS9_8equal_toIxEExEE10hipError_tPvRmT2_T3_T4_T5_mT6_T7_P12ihipStream_tbENKUlT_T0_E_clISt17integral_constantIbLb0EESY_IbLb1EEEEDaSU_SV_EUlSU_E_NS1_11comp_targetILNS1_3genE8ELNS1_11target_archE1030ELNS1_3gpuE2ELNS1_3repE0EEENS1_30default_config_static_selectorELNS0_4arch9wavefront6targetE1EEEvT1_
	.globl	_ZN7rocprim17ROCPRIM_400000_NS6detail17trampoline_kernelINS0_14default_configENS1_27scan_by_key_config_selectorIxxEEZZNS1_16scan_by_key_implILNS1_25lookback_scan_determinismE0ELb0ES3_N6thrust23THRUST_200600_302600_NS6detail15normal_iteratorINS9_10device_ptrIxEEEESE_SE_xNS9_4plusIvEENS9_8equal_toIxEExEE10hipError_tPvRmT2_T3_T4_T5_mT6_T7_P12ihipStream_tbENKUlT_T0_E_clISt17integral_constantIbLb0EESY_IbLb1EEEEDaSU_SV_EUlSU_E_NS1_11comp_targetILNS1_3genE8ELNS1_11target_archE1030ELNS1_3gpuE2ELNS1_3repE0EEENS1_30default_config_static_selectorELNS0_4arch9wavefront6targetE1EEEvT1_
	.p2align	8
	.type	_ZN7rocprim17ROCPRIM_400000_NS6detail17trampoline_kernelINS0_14default_configENS1_27scan_by_key_config_selectorIxxEEZZNS1_16scan_by_key_implILNS1_25lookback_scan_determinismE0ELb0ES3_N6thrust23THRUST_200600_302600_NS6detail15normal_iteratorINS9_10device_ptrIxEEEESE_SE_xNS9_4plusIvEENS9_8equal_toIxEExEE10hipError_tPvRmT2_T3_T4_T5_mT6_T7_P12ihipStream_tbENKUlT_T0_E_clISt17integral_constantIbLb0EESY_IbLb1EEEEDaSU_SV_EUlSU_E_NS1_11comp_targetILNS1_3genE8ELNS1_11target_archE1030ELNS1_3gpuE2ELNS1_3repE0EEENS1_30default_config_static_selectorELNS0_4arch9wavefront6targetE1EEEvT1_,@function
_ZN7rocprim17ROCPRIM_400000_NS6detail17trampoline_kernelINS0_14default_configENS1_27scan_by_key_config_selectorIxxEEZZNS1_16scan_by_key_implILNS1_25lookback_scan_determinismE0ELb0ES3_N6thrust23THRUST_200600_302600_NS6detail15normal_iteratorINS9_10device_ptrIxEEEESE_SE_xNS9_4plusIvEENS9_8equal_toIxEExEE10hipError_tPvRmT2_T3_T4_T5_mT6_T7_P12ihipStream_tbENKUlT_T0_E_clISt17integral_constantIbLb0EESY_IbLb1EEEEDaSU_SV_EUlSU_E_NS1_11comp_targetILNS1_3genE8ELNS1_11target_archE1030ELNS1_3gpuE2ELNS1_3repE0EEENS1_30default_config_static_selectorELNS0_4arch9wavefront6targetE1EEEvT1_: ; @_ZN7rocprim17ROCPRIM_400000_NS6detail17trampoline_kernelINS0_14default_configENS1_27scan_by_key_config_selectorIxxEEZZNS1_16scan_by_key_implILNS1_25lookback_scan_determinismE0ELb0ES3_N6thrust23THRUST_200600_302600_NS6detail15normal_iteratorINS9_10device_ptrIxEEEESE_SE_xNS9_4plusIvEENS9_8equal_toIxEExEE10hipError_tPvRmT2_T3_T4_T5_mT6_T7_P12ihipStream_tbENKUlT_T0_E_clISt17integral_constantIbLb0EESY_IbLb1EEEEDaSU_SV_EUlSU_E_NS1_11comp_targetILNS1_3genE8ELNS1_11target_archE1030ELNS1_3gpuE2ELNS1_3repE0EEENS1_30default_config_static_selectorELNS0_4arch9wavefront6targetE1EEEvT1_
; %bb.0:
	.section	.rodata,"a",@progbits
	.p2align	6, 0x0
	.amdhsa_kernel _ZN7rocprim17ROCPRIM_400000_NS6detail17trampoline_kernelINS0_14default_configENS1_27scan_by_key_config_selectorIxxEEZZNS1_16scan_by_key_implILNS1_25lookback_scan_determinismE0ELb0ES3_N6thrust23THRUST_200600_302600_NS6detail15normal_iteratorINS9_10device_ptrIxEEEESE_SE_xNS9_4plusIvEENS9_8equal_toIxEExEE10hipError_tPvRmT2_T3_T4_T5_mT6_T7_P12ihipStream_tbENKUlT_T0_E_clISt17integral_constantIbLb0EESY_IbLb1EEEEDaSU_SV_EUlSU_E_NS1_11comp_targetILNS1_3genE8ELNS1_11target_archE1030ELNS1_3gpuE2ELNS1_3repE0EEENS1_30default_config_static_selectorELNS0_4arch9wavefront6targetE1EEEvT1_
		.amdhsa_group_segment_fixed_size 0
		.amdhsa_private_segment_fixed_size 0
		.amdhsa_kernarg_size 136
		.amdhsa_user_sgpr_count 2
		.amdhsa_user_sgpr_dispatch_ptr 0
		.amdhsa_user_sgpr_queue_ptr 0
		.amdhsa_user_sgpr_kernarg_segment_ptr 1
		.amdhsa_user_sgpr_dispatch_id 0
		.amdhsa_user_sgpr_kernarg_preload_length 0
		.amdhsa_user_sgpr_kernarg_preload_offset 0
		.amdhsa_user_sgpr_private_segment_size 0
		.amdhsa_uses_dynamic_stack 0
		.amdhsa_enable_private_segment 0
		.amdhsa_system_sgpr_workgroup_id_x 1
		.amdhsa_system_sgpr_workgroup_id_y 0
		.amdhsa_system_sgpr_workgroup_id_z 0
		.amdhsa_system_sgpr_workgroup_info 0
		.amdhsa_system_vgpr_workitem_id 0
		.amdhsa_next_free_vgpr 1
		.amdhsa_next_free_sgpr 0
		.amdhsa_accum_offset 4
		.amdhsa_reserve_vcc 0
		.amdhsa_float_round_mode_32 0
		.amdhsa_float_round_mode_16_64 0
		.amdhsa_float_denorm_mode_32 3
		.amdhsa_float_denorm_mode_16_64 3
		.amdhsa_dx10_clamp 1
		.amdhsa_ieee_mode 1
		.amdhsa_fp16_overflow 0
		.amdhsa_tg_split 0
		.amdhsa_exception_fp_ieee_invalid_op 0
		.amdhsa_exception_fp_denorm_src 0
		.amdhsa_exception_fp_ieee_div_zero 0
		.amdhsa_exception_fp_ieee_overflow 0
		.amdhsa_exception_fp_ieee_underflow 0
		.amdhsa_exception_fp_ieee_inexact 0
		.amdhsa_exception_int_div_zero 0
	.end_amdhsa_kernel
	.section	.text._ZN7rocprim17ROCPRIM_400000_NS6detail17trampoline_kernelINS0_14default_configENS1_27scan_by_key_config_selectorIxxEEZZNS1_16scan_by_key_implILNS1_25lookback_scan_determinismE0ELb0ES3_N6thrust23THRUST_200600_302600_NS6detail15normal_iteratorINS9_10device_ptrIxEEEESE_SE_xNS9_4plusIvEENS9_8equal_toIxEExEE10hipError_tPvRmT2_T3_T4_T5_mT6_T7_P12ihipStream_tbENKUlT_T0_E_clISt17integral_constantIbLb0EESY_IbLb1EEEEDaSU_SV_EUlSU_E_NS1_11comp_targetILNS1_3genE8ELNS1_11target_archE1030ELNS1_3gpuE2ELNS1_3repE0EEENS1_30default_config_static_selectorELNS0_4arch9wavefront6targetE1EEEvT1_,"axG",@progbits,_ZN7rocprim17ROCPRIM_400000_NS6detail17trampoline_kernelINS0_14default_configENS1_27scan_by_key_config_selectorIxxEEZZNS1_16scan_by_key_implILNS1_25lookback_scan_determinismE0ELb0ES3_N6thrust23THRUST_200600_302600_NS6detail15normal_iteratorINS9_10device_ptrIxEEEESE_SE_xNS9_4plusIvEENS9_8equal_toIxEExEE10hipError_tPvRmT2_T3_T4_T5_mT6_T7_P12ihipStream_tbENKUlT_T0_E_clISt17integral_constantIbLb0EESY_IbLb1EEEEDaSU_SV_EUlSU_E_NS1_11comp_targetILNS1_3genE8ELNS1_11target_archE1030ELNS1_3gpuE2ELNS1_3repE0EEENS1_30default_config_static_selectorELNS0_4arch9wavefront6targetE1EEEvT1_,comdat
.Lfunc_end118:
	.size	_ZN7rocprim17ROCPRIM_400000_NS6detail17trampoline_kernelINS0_14default_configENS1_27scan_by_key_config_selectorIxxEEZZNS1_16scan_by_key_implILNS1_25lookback_scan_determinismE0ELb0ES3_N6thrust23THRUST_200600_302600_NS6detail15normal_iteratorINS9_10device_ptrIxEEEESE_SE_xNS9_4plusIvEENS9_8equal_toIxEExEE10hipError_tPvRmT2_T3_T4_T5_mT6_T7_P12ihipStream_tbENKUlT_T0_E_clISt17integral_constantIbLb0EESY_IbLb1EEEEDaSU_SV_EUlSU_E_NS1_11comp_targetILNS1_3genE8ELNS1_11target_archE1030ELNS1_3gpuE2ELNS1_3repE0EEENS1_30default_config_static_selectorELNS0_4arch9wavefront6targetE1EEEvT1_, .Lfunc_end118-_ZN7rocprim17ROCPRIM_400000_NS6detail17trampoline_kernelINS0_14default_configENS1_27scan_by_key_config_selectorIxxEEZZNS1_16scan_by_key_implILNS1_25lookback_scan_determinismE0ELb0ES3_N6thrust23THRUST_200600_302600_NS6detail15normal_iteratorINS9_10device_ptrIxEEEESE_SE_xNS9_4plusIvEENS9_8equal_toIxEExEE10hipError_tPvRmT2_T3_T4_T5_mT6_T7_P12ihipStream_tbENKUlT_T0_E_clISt17integral_constantIbLb0EESY_IbLb1EEEEDaSU_SV_EUlSU_E_NS1_11comp_targetILNS1_3genE8ELNS1_11target_archE1030ELNS1_3gpuE2ELNS1_3repE0EEENS1_30default_config_static_selectorELNS0_4arch9wavefront6targetE1EEEvT1_
                                        ; -- End function
	.section	.AMDGPU.csdata,"",@progbits
; Kernel info:
; codeLenInByte = 0
; NumSgprs: 6
; NumVgprs: 0
; NumAgprs: 0
; TotalNumVgprs: 0
; ScratchSize: 0
; MemoryBound: 0
; FloatMode: 240
; IeeeMode: 1
; LDSByteSize: 0 bytes/workgroup (compile time only)
; SGPRBlocks: 0
; VGPRBlocks: 0
; NumSGPRsForWavesPerEU: 6
; NumVGPRsForWavesPerEU: 1
; AccumOffset: 4
; Occupancy: 8
; WaveLimiterHint : 0
; COMPUTE_PGM_RSRC2:SCRATCH_EN: 0
; COMPUTE_PGM_RSRC2:USER_SGPR: 2
; COMPUTE_PGM_RSRC2:TRAP_HANDLER: 0
; COMPUTE_PGM_RSRC2:TGID_X_EN: 1
; COMPUTE_PGM_RSRC2:TGID_Y_EN: 0
; COMPUTE_PGM_RSRC2:TGID_Z_EN: 0
; COMPUTE_PGM_RSRC2:TIDIG_COMP_CNT: 0
; COMPUTE_PGM_RSRC3_GFX90A:ACCUM_OFFSET: 0
; COMPUTE_PGM_RSRC3_GFX90A:TG_SPLIT: 0
	.section	.text._ZN6thrust23THRUST_200600_302600_NS11hip_rocprim14__parallel_for6kernelILj256ENS1_20__uninitialized_fill7functorINS0_10device_ptrIiEEiEEmLj1EEEvT0_T1_SA_,"axG",@progbits,_ZN6thrust23THRUST_200600_302600_NS11hip_rocprim14__parallel_for6kernelILj256ENS1_20__uninitialized_fill7functorINS0_10device_ptrIiEEiEEmLj1EEEvT0_T1_SA_,comdat
	.protected	_ZN6thrust23THRUST_200600_302600_NS11hip_rocprim14__parallel_for6kernelILj256ENS1_20__uninitialized_fill7functorINS0_10device_ptrIiEEiEEmLj1EEEvT0_T1_SA_ ; -- Begin function _ZN6thrust23THRUST_200600_302600_NS11hip_rocprim14__parallel_for6kernelILj256ENS1_20__uninitialized_fill7functorINS0_10device_ptrIiEEiEEmLj1EEEvT0_T1_SA_
	.globl	_ZN6thrust23THRUST_200600_302600_NS11hip_rocprim14__parallel_for6kernelILj256ENS1_20__uninitialized_fill7functorINS0_10device_ptrIiEEiEEmLj1EEEvT0_T1_SA_
	.p2align	8
	.type	_ZN6thrust23THRUST_200600_302600_NS11hip_rocprim14__parallel_for6kernelILj256ENS1_20__uninitialized_fill7functorINS0_10device_ptrIiEEiEEmLj1EEEvT0_T1_SA_,@function
_ZN6thrust23THRUST_200600_302600_NS11hip_rocprim14__parallel_for6kernelILj256ENS1_20__uninitialized_fill7functorINS0_10device_ptrIiEEiEEmLj1EEEvT0_T1_SA_: ; @_ZN6thrust23THRUST_200600_302600_NS11hip_rocprim14__parallel_for6kernelILj256ENS1_20__uninitialized_fill7functorINS0_10device_ptrIiEEiEEmLj1EEEvT0_T1_SA_
; %bb.0:
	s_load_dwordx4 s[4:7], s[0:1], 0x10
	s_lshl_b32 s2, s2, 8
	v_mov_b64_e32 v[2:3], 0x100
	s_waitcnt lgkmcnt(0)
	s_add_u32 s2, s2, s6
	s_addc_u32 s3, 0, s7
	s_sub_u32 s4, s4, s2
	s_subb_u32 s5, s5, s3
	v_cmp_lt_u64_e32 vcc, s[4:5], v[2:3]
	s_cbranch_vccz .LBB119_2
; %bb.1:
	v_cmp_gt_u32_e32 vcc, s4, v0
	s_and_b64 s[4:5], vcc, exec
	s_cbranch_execz .LBB119_3
	s_branch .LBB119_4
.LBB119_2:
	s_mov_b64 s[4:5], 0
.LBB119_3:
	s_or_b64 s[4:5], s[4:5], exec
.LBB119_4:
	s_and_saveexec_b64 s[6:7], s[4:5]
	s_cbranch_execnz .LBB119_6
; %bb.5:
	s_endpgm
.LBB119_6:
	s_load_dwordx2 s[4:5], s[0:1], 0x0
	s_load_dword s6, s[0:1], 0x8
	s_lshl_b64 s[0:1], s[2:3], 2
	v_mov_b32_e32 v1, 0
	s_waitcnt lgkmcnt(0)
	s_add_u32 s0, s4, s0
	s_addc_u32 s1, s5, s1
	v_lshl_add_u64 v[0:1], v[0:1], 2, s[0:1]
	v_mov_b32_e32 v2, s6
	flat_store_dword v[0:1], v2
	s_endpgm
	.section	.rodata,"a",@progbits
	.p2align	6, 0x0
	.amdhsa_kernel _ZN6thrust23THRUST_200600_302600_NS11hip_rocprim14__parallel_for6kernelILj256ENS1_20__uninitialized_fill7functorINS0_10device_ptrIiEEiEEmLj1EEEvT0_T1_SA_
		.amdhsa_group_segment_fixed_size 0
		.amdhsa_private_segment_fixed_size 0
		.amdhsa_kernarg_size 32
		.amdhsa_user_sgpr_count 2
		.amdhsa_user_sgpr_dispatch_ptr 0
		.amdhsa_user_sgpr_queue_ptr 0
		.amdhsa_user_sgpr_kernarg_segment_ptr 1
		.amdhsa_user_sgpr_dispatch_id 0
		.amdhsa_user_sgpr_kernarg_preload_length 0
		.amdhsa_user_sgpr_kernarg_preload_offset 0
		.amdhsa_user_sgpr_private_segment_size 0
		.amdhsa_uses_dynamic_stack 0
		.amdhsa_enable_private_segment 0
		.amdhsa_system_sgpr_workgroup_id_x 1
		.amdhsa_system_sgpr_workgroup_id_y 0
		.amdhsa_system_sgpr_workgroup_id_z 0
		.amdhsa_system_sgpr_workgroup_info 0
		.amdhsa_system_vgpr_workitem_id 0
		.amdhsa_next_free_vgpr 4
		.amdhsa_next_free_sgpr 8
		.amdhsa_accum_offset 4
		.amdhsa_reserve_vcc 1
		.amdhsa_float_round_mode_32 0
		.amdhsa_float_round_mode_16_64 0
		.amdhsa_float_denorm_mode_32 3
		.amdhsa_float_denorm_mode_16_64 3
		.amdhsa_dx10_clamp 1
		.amdhsa_ieee_mode 1
		.amdhsa_fp16_overflow 0
		.amdhsa_tg_split 0
		.amdhsa_exception_fp_ieee_invalid_op 0
		.amdhsa_exception_fp_denorm_src 0
		.amdhsa_exception_fp_ieee_div_zero 0
		.amdhsa_exception_fp_ieee_overflow 0
		.amdhsa_exception_fp_ieee_underflow 0
		.amdhsa_exception_fp_ieee_inexact 0
		.amdhsa_exception_int_div_zero 0
	.end_amdhsa_kernel
	.section	.text._ZN6thrust23THRUST_200600_302600_NS11hip_rocprim14__parallel_for6kernelILj256ENS1_20__uninitialized_fill7functorINS0_10device_ptrIiEEiEEmLj1EEEvT0_T1_SA_,"axG",@progbits,_ZN6thrust23THRUST_200600_302600_NS11hip_rocprim14__parallel_for6kernelILj256ENS1_20__uninitialized_fill7functorINS0_10device_ptrIiEEiEEmLj1EEEvT0_T1_SA_,comdat
.Lfunc_end119:
	.size	_ZN6thrust23THRUST_200600_302600_NS11hip_rocprim14__parallel_for6kernelILj256ENS1_20__uninitialized_fill7functorINS0_10device_ptrIiEEiEEmLj1EEEvT0_T1_SA_, .Lfunc_end119-_ZN6thrust23THRUST_200600_302600_NS11hip_rocprim14__parallel_for6kernelILj256ENS1_20__uninitialized_fill7functorINS0_10device_ptrIiEEiEEmLj1EEEvT0_T1_SA_
                                        ; -- End function
	.section	.AMDGPU.csdata,"",@progbits
; Kernel info:
; codeLenInByte = 144
; NumSgprs: 14
; NumVgprs: 4
; NumAgprs: 0
; TotalNumVgprs: 4
; ScratchSize: 0
; MemoryBound: 0
; FloatMode: 240
; IeeeMode: 1
; LDSByteSize: 0 bytes/workgroup (compile time only)
; SGPRBlocks: 1
; VGPRBlocks: 0
; NumSGPRsForWavesPerEU: 14
; NumVGPRsForWavesPerEU: 4
; AccumOffset: 4
; Occupancy: 8
; WaveLimiterHint : 0
; COMPUTE_PGM_RSRC2:SCRATCH_EN: 0
; COMPUTE_PGM_RSRC2:USER_SGPR: 2
; COMPUTE_PGM_RSRC2:TRAP_HANDLER: 0
; COMPUTE_PGM_RSRC2:TGID_X_EN: 1
; COMPUTE_PGM_RSRC2:TGID_Y_EN: 0
; COMPUTE_PGM_RSRC2:TGID_Z_EN: 0
; COMPUTE_PGM_RSRC2:TIDIG_COMP_CNT: 0
; COMPUTE_PGM_RSRC3_GFX90A:ACCUM_OFFSET: 0
; COMPUTE_PGM_RSRC3_GFX90A:TG_SPLIT: 0
	.section	.text._ZN7rocprim17ROCPRIM_400000_NS6detail30init_device_scan_by_key_kernelINS1_19lookback_scan_stateINS0_5tupleIJibEEELb0ELb1EEEN6thrust23THRUST_200600_302600_NS6detail15normal_iteratorINS8_10device_ptrIiEEEEjNS1_16block_id_wrapperIjLb0EEEEEvT_jjPNSG_10value_typeET0_PNSt15iterator_traitsISJ_E10value_typeEmT1_T2_,"axG",@progbits,_ZN7rocprim17ROCPRIM_400000_NS6detail30init_device_scan_by_key_kernelINS1_19lookback_scan_stateINS0_5tupleIJibEEELb0ELb1EEEN6thrust23THRUST_200600_302600_NS6detail15normal_iteratorINS8_10device_ptrIiEEEEjNS1_16block_id_wrapperIjLb0EEEEEvT_jjPNSG_10value_typeET0_PNSt15iterator_traitsISJ_E10value_typeEmT1_T2_,comdat
	.protected	_ZN7rocprim17ROCPRIM_400000_NS6detail30init_device_scan_by_key_kernelINS1_19lookback_scan_stateINS0_5tupleIJibEEELb0ELb1EEEN6thrust23THRUST_200600_302600_NS6detail15normal_iteratorINS8_10device_ptrIiEEEEjNS1_16block_id_wrapperIjLb0EEEEEvT_jjPNSG_10value_typeET0_PNSt15iterator_traitsISJ_E10value_typeEmT1_T2_ ; -- Begin function _ZN7rocprim17ROCPRIM_400000_NS6detail30init_device_scan_by_key_kernelINS1_19lookback_scan_stateINS0_5tupleIJibEEELb0ELb1EEEN6thrust23THRUST_200600_302600_NS6detail15normal_iteratorINS8_10device_ptrIiEEEEjNS1_16block_id_wrapperIjLb0EEEEEvT_jjPNSG_10value_typeET0_PNSt15iterator_traitsISJ_E10value_typeEmT1_T2_
	.globl	_ZN7rocprim17ROCPRIM_400000_NS6detail30init_device_scan_by_key_kernelINS1_19lookback_scan_stateINS0_5tupleIJibEEELb0ELb1EEEN6thrust23THRUST_200600_302600_NS6detail15normal_iteratorINS8_10device_ptrIiEEEEjNS1_16block_id_wrapperIjLb0EEEEEvT_jjPNSG_10value_typeET0_PNSt15iterator_traitsISJ_E10value_typeEmT1_T2_
	.p2align	8
	.type	_ZN7rocprim17ROCPRIM_400000_NS6detail30init_device_scan_by_key_kernelINS1_19lookback_scan_stateINS0_5tupleIJibEEELb0ELb1EEEN6thrust23THRUST_200600_302600_NS6detail15normal_iteratorINS8_10device_ptrIiEEEEjNS1_16block_id_wrapperIjLb0EEEEEvT_jjPNSG_10value_typeET0_PNSt15iterator_traitsISJ_E10value_typeEmT1_T2_,@function
_ZN7rocprim17ROCPRIM_400000_NS6detail30init_device_scan_by_key_kernelINS1_19lookback_scan_stateINS0_5tupleIJibEEELb0ELb1EEEN6thrust23THRUST_200600_302600_NS6detail15normal_iteratorINS8_10device_ptrIiEEEEjNS1_16block_id_wrapperIjLb0EEEEEvT_jjPNSG_10value_typeET0_PNSt15iterator_traitsISJ_E10value_typeEmT1_T2_: ; @_ZN7rocprim17ROCPRIM_400000_NS6detail30init_device_scan_by_key_kernelINS1_19lookback_scan_stateINS0_5tupleIJibEEELb0ELb1EEEN6thrust23THRUST_200600_302600_NS6detail15normal_iteratorINS8_10device_ptrIiEEEEjNS1_16block_id_wrapperIjLb0EEEEEvT_jjPNSG_10value_typeET0_PNSt15iterator_traitsISJ_E10value_typeEmT1_T2_
; %bb.0:
	s_load_dword s3, s[0:1], 0x44
	s_load_dwordx8 s[4:11], s[0:1], 0x0
	s_load_dword s18, s[0:1], 0x38
	s_waitcnt lgkmcnt(0)
	s_and_b32 s19, s3, 0xffff
	s_mul_i32 s2, s2, s19
	s_cmp_eq_u64 s[8:9], 0
	v_add_u32_e32 v4, s2, v0
	s_cbranch_scc1 .LBB120_8
; %bb.1:
	s_cmp_lt_u32 s7, s6
	s_cselect_b32 s2, s7, 0
	s_mov_b32 s13, 0
	v_cmp_eq_u32_e32 vcc, s2, v4
	s_and_saveexec_b64 s[2:3], vcc
	s_cbranch_execz .LBB120_7
; %bb.2:
	s_add_i32 s12, s7, 64
	s_lshl_b64 s[12:13], s[12:13], 4
	s_add_u32 s16, s4, s12
	s_addc_u32 s17, s5, s13
	v_mov_b64_e32 v[0:1], s[16:17]
	;;#ASMSTART
	global_load_dwordx4 v[0:3], v[0:1] off sc1	
s_waitcnt vmcnt(0)
	;;#ASMEND
	v_mov_b32_e32 v7, 0
	v_and_b32_e32 v6, 0xff, v2
	s_mov_b64 s[14:15], 0
	v_cmp_eq_u64_e32 vcc, 0, v[6:7]
	s_and_saveexec_b64 s[12:13], vcc
	s_cbranch_execz .LBB120_6
; %bb.3:
	v_mov_b64_e32 v[8:9], s[16:17]
.LBB120_4:                              ; =>This Inner Loop Header: Depth=1
	;;#ASMSTART
	global_load_dwordx4 v[0:3], v[8:9] off sc1	
s_waitcnt vmcnt(0)
	;;#ASMEND
	s_nop 0
	v_and_b32_e32 v6, 0xff, v2
	v_cmp_ne_u64_e32 vcc, 0, v[6:7]
	s_or_b64 s[14:15], vcc, s[14:15]
	s_andn2_b64 exec, exec, s[14:15]
	s_cbranch_execnz .LBB120_4
; %bb.5:
	s_or_b64 exec, exec, s[14:15]
.LBB120_6:
	s_or_b64 exec, exec, s[12:13]
	v_mov_b32_e32 v2, 0
	global_store_dword v2, v0, s[8:9]
	global_store_byte v2, v1, s[8:9] offset:4
.LBB120_7:
	s_or_b64 exec, exec, s[2:3]
.LBB120_8:
	v_cmp_gt_u32_e32 vcc, s6, v4
	s_and_saveexec_b64 s[2:3], vcc
	s_cbranch_execz .LBB120_10
; %bb.9:
	v_add_u32_e32 v0, 64, v4
	v_mov_b32_e32 v1, 0
	v_lshl_add_u64 v[6:7], v[0:1], 4, s[4:5]
	v_mov_b32_e32 v0, v1
	v_mov_b32_e32 v2, v1
	;; [unrolled: 1-line block ×3, first 2 shown]
	global_store_dwordx4 v[6:7], v[0:3], off
.LBB120_10:
	s_or_b64 exec, exec, s[2:3]
	v_cmp_gt_u32_e32 vcc, 64, v4
	v_mov_b32_e32 v5, 0
	s_and_saveexec_b64 s[2:3], vcc
	s_cbranch_execz .LBB120_12
; %bb.11:
	v_lshl_add_u64 v[6:7], v[4:5], 4, s[4:5]
	v_mov_b32_e32 v2, 0xff
	v_mov_b32_e32 v0, v5
	;; [unrolled: 1-line block ×4, first 2 shown]
	global_store_dwordx4 v[6:7], v[0:3], off
.LBB120_12:
	s_or_b64 exec, exec, s[2:3]
	s_load_dwordx2 s[2:3], s[0:1], 0x28
	s_waitcnt lgkmcnt(0)
	v_cmp_gt_u64_e32 vcc, s[2:3], v[4:5]
	s_and_saveexec_b64 s[4:5], vcc
	s_cbranch_execz .LBB120_15
; %bb.13:
	s_load_dword s12, s[0:1], 0x30
	s_load_dwordx2 s[6:7], s[0:1], 0x20
	s_mov_b32 s5, 0
	s_mov_b32 s1, s5
	s_mul_i32 s0, s18, s19
	s_waitcnt lgkmcnt(0)
	s_add_i32 s4, s12, -1
	s_lshl_b64 s[4:5], s[4:5], 2
	s_add_u32 s4, s10, s4
	v_mad_u64_u32 v[0:1], s[8:9], s12, v4, 0
	s_addc_u32 s5, s11, s5
	v_lshl_add_u64 v[0:1], v[0:1], 2, s[4:5]
	s_mul_hi_u32 s5, s12, s0
	s_mul_i32 s4, s12, s0
	s_lshl_b64 s[4:5], s[4:5], 2
	v_lshl_add_u64 v[2:3], v[4:5], 2, s[6:7]
	s_lshl_b64 s[6:7], s[0:1], 2
	s_mov_b64 s[8:9], 0
.LBB120_14:                             ; =>This Inner Loop Header: Depth=1
	global_load_dword v6, v[0:1], off
	v_lshl_add_u64 v[4:5], v[4:5], 0, s[0:1]
	v_cmp_le_u64_e32 vcc, s[2:3], v[4:5]
	v_lshl_add_u64 v[0:1], v[0:1], 0, s[4:5]
	s_or_b64 s[8:9], vcc, s[8:9]
	s_waitcnt vmcnt(0)
	global_store_dword v[2:3], v6, off
	v_lshl_add_u64 v[2:3], v[2:3], 0, s[6:7]
	s_andn2_b64 exec, exec, s[8:9]
	s_cbranch_execnz .LBB120_14
.LBB120_15:
	s_endpgm
	.section	.rodata,"a",@progbits
	.p2align	6, 0x0
	.amdhsa_kernel _ZN7rocprim17ROCPRIM_400000_NS6detail30init_device_scan_by_key_kernelINS1_19lookback_scan_stateINS0_5tupleIJibEEELb0ELb1EEEN6thrust23THRUST_200600_302600_NS6detail15normal_iteratorINS8_10device_ptrIiEEEEjNS1_16block_id_wrapperIjLb0EEEEEvT_jjPNSG_10value_typeET0_PNSt15iterator_traitsISJ_E10value_typeEmT1_T2_
		.amdhsa_group_segment_fixed_size 0
		.amdhsa_private_segment_fixed_size 0
		.amdhsa_kernarg_size 312
		.amdhsa_user_sgpr_count 2
		.amdhsa_user_sgpr_dispatch_ptr 0
		.amdhsa_user_sgpr_queue_ptr 0
		.amdhsa_user_sgpr_kernarg_segment_ptr 1
		.amdhsa_user_sgpr_dispatch_id 0
		.amdhsa_user_sgpr_kernarg_preload_length 0
		.amdhsa_user_sgpr_kernarg_preload_offset 0
		.amdhsa_user_sgpr_private_segment_size 0
		.amdhsa_uses_dynamic_stack 0
		.amdhsa_enable_private_segment 0
		.amdhsa_system_sgpr_workgroup_id_x 1
		.amdhsa_system_sgpr_workgroup_id_y 0
		.amdhsa_system_sgpr_workgroup_id_z 0
		.amdhsa_system_sgpr_workgroup_info 0
		.amdhsa_system_vgpr_workitem_id 0
		.amdhsa_next_free_vgpr 10
		.amdhsa_next_free_sgpr 20
		.amdhsa_accum_offset 12
		.amdhsa_reserve_vcc 1
		.amdhsa_float_round_mode_32 0
		.amdhsa_float_round_mode_16_64 0
		.amdhsa_float_denorm_mode_32 3
		.amdhsa_float_denorm_mode_16_64 3
		.amdhsa_dx10_clamp 1
		.amdhsa_ieee_mode 1
		.amdhsa_fp16_overflow 0
		.amdhsa_tg_split 0
		.amdhsa_exception_fp_ieee_invalid_op 0
		.amdhsa_exception_fp_denorm_src 0
		.amdhsa_exception_fp_ieee_div_zero 0
		.amdhsa_exception_fp_ieee_overflow 0
		.amdhsa_exception_fp_ieee_underflow 0
		.amdhsa_exception_fp_ieee_inexact 0
		.amdhsa_exception_int_div_zero 0
	.end_amdhsa_kernel
	.section	.text._ZN7rocprim17ROCPRIM_400000_NS6detail30init_device_scan_by_key_kernelINS1_19lookback_scan_stateINS0_5tupleIJibEEELb0ELb1EEEN6thrust23THRUST_200600_302600_NS6detail15normal_iteratorINS8_10device_ptrIiEEEEjNS1_16block_id_wrapperIjLb0EEEEEvT_jjPNSG_10value_typeET0_PNSt15iterator_traitsISJ_E10value_typeEmT1_T2_,"axG",@progbits,_ZN7rocprim17ROCPRIM_400000_NS6detail30init_device_scan_by_key_kernelINS1_19lookback_scan_stateINS0_5tupleIJibEEELb0ELb1EEEN6thrust23THRUST_200600_302600_NS6detail15normal_iteratorINS8_10device_ptrIiEEEEjNS1_16block_id_wrapperIjLb0EEEEEvT_jjPNSG_10value_typeET0_PNSt15iterator_traitsISJ_E10value_typeEmT1_T2_,comdat
.Lfunc_end120:
	.size	_ZN7rocprim17ROCPRIM_400000_NS6detail30init_device_scan_by_key_kernelINS1_19lookback_scan_stateINS0_5tupleIJibEEELb0ELb1EEEN6thrust23THRUST_200600_302600_NS6detail15normal_iteratorINS8_10device_ptrIiEEEEjNS1_16block_id_wrapperIjLb0EEEEEvT_jjPNSG_10value_typeET0_PNSt15iterator_traitsISJ_E10value_typeEmT1_T2_, .Lfunc_end120-_ZN7rocprim17ROCPRIM_400000_NS6detail30init_device_scan_by_key_kernelINS1_19lookback_scan_stateINS0_5tupleIJibEEELb0ELb1EEEN6thrust23THRUST_200600_302600_NS6detail15normal_iteratorINS8_10device_ptrIiEEEEjNS1_16block_id_wrapperIjLb0EEEEEvT_jjPNSG_10value_typeET0_PNSt15iterator_traitsISJ_E10value_typeEmT1_T2_
                                        ; -- End function
	.section	.AMDGPU.csdata,"",@progbits
; Kernel info:
; codeLenInByte = 508
; NumSgprs: 26
; NumVgprs: 10
; NumAgprs: 0
; TotalNumVgprs: 10
; ScratchSize: 0
; MemoryBound: 0
; FloatMode: 240
; IeeeMode: 1
; LDSByteSize: 0 bytes/workgroup (compile time only)
; SGPRBlocks: 3
; VGPRBlocks: 1
; NumSGPRsForWavesPerEU: 26
; NumVGPRsForWavesPerEU: 10
; AccumOffset: 12
; Occupancy: 8
; WaveLimiterHint : 0
; COMPUTE_PGM_RSRC2:SCRATCH_EN: 0
; COMPUTE_PGM_RSRC2:USER_SGPR: 2
; COMPUTE_PGM_RSRC2:TRAP_HANDLER: 0
; COMPUTE_PGM_RSRC2:TGID_X_EN: 1
; COMPUTE_PGM_RSRC2:TGID_Y_EN: 0
; COMPUTE_PGM_RSRC2:TGID_Z_EN: 0
; COMPUTE_PGM_RSRC2:TIDIG_COMP_CNT: 0
; COMPUTE_PGM_RSRC3_GFX90A:ACCUM_OFFSET: 2
; COMPUTE_PGM_RSRC3_GFX90A:TG_SPLIT: 0
	.section	.text._ZN7rocprim17ROCPRIM_400000_NS6detail30init_device_scan_by_key_kernelINS1_19lookback_scan_stateINS0_5tupleIJibEEELb0ELb1EEENS1_16block_id_wrapperIjLb0EEEEEvT_jjPNS9_10value_typeET0_,"axG",@progbits,_ZN7rocprim17ROCPRIM_400000_NS6detail30init_device_scan_by_key_kernelINS1_19lookback_scan_stateINS0_5tupleIJibEEELb0ELb1EEENS1_16block_id_wrapperIjLb0EEEEEvT_jjPNS9_10value_typeET0_,comdat
	.protected	_ZN7rocprim17ROCPRIM_400000_NS6detail30init_device_scan_by_key_kernelINS1_19lookback_scan_stateINS0_5tupleIJibEEELb0ELb1EEENS1_16block_id_wrapperIjLb0EEEEEvT_jjPNS9_10value_typeET0_ ; -- Begin function _ZN7rocprim17ROCPRIM_400000_NS6detail30init_device_scan_by_key_kernelINS1_19lookback_scan_stateINS0_5tupleIJibEEELb0ELb1EEENS1_16block_id_wrapperIjLb0EEEEEvT_jjPNS9_10value_typeET0_
	.globl	_ZN7rocprim17ROCPRIM_400000_NS6detail30init_device_scan_by_key_kernelINS1_19lookback_scan_stateINS0_5tupleIJibEEELb0ELb1EEENS1_16block_id_wrapperIjLb0EEEEEvT_jjPNS9_10value_typeET0_
	.p2align	8
	.type	_ZN7rocprim17ROCPRIM_400000_NS6detail30init_device_scan_by_key_kernelINS1_19lookback_scan_stateINS0_5tupleIJibEEELb0ELb1EEENS1_16block_id_wrapperIjLb0EEEEEvT_jjPNS9_10value_typeET0_,@function
_ZN7rocprim17ROCPRIM_400000_NS6detail30init_device_scan_by_key_kernelINS1_19lookback_scan_stateINS0_5tupleIJibEEELb0ELb1EEENS1_16block_id_wrapperIjLb0EEEEEvT_jjPNS9_10value_typeET0_: ; @_ZN7rocprim17ROCPRIM_400000_NS6detail30init_device_scan_by_key_kernelINS1_19lookback_scan_stateINS0_5tupleIJibEEELb0ELb1EEENS1_16block_id_wrapperIjLb0EEEEEvT_jjPNS9_10value_typeET0_
; %bb.0:
	s_load_dword s3, s[0:1], 0x2c
	s_load_dwordx2 s[8:9], s[0:1], 0x10
	s_load_dwordx4 s[4:7], s[0:1], 0x0
	s_waitcnt lgkmcnt(0)
	s_and_b32 s0, s3, 0xffff
	s_mul_i32 s2, s2, s0
	s_cmp_eq_u64 s[8:9], 0
	v_add_u32_e32 v0, s2, v0
	s_cbranch_scc1 .LBB121_8
; %bb.1:
	s_cmp_lt_u32 s7, s6
	s_cselect_b32 s0, s7, 0
	s_mov_b32 s3, 0
	v_cmp_eq_u32_e32 vcc, s0, v0
	s_and_saveexec_b64 s[0:1], vcc
	s_cbranch_execz .LBB121_7
; %bb.2:
	s_add_i32 s2, s7, 64
	s_lshl_b64 s[2:3], s[2:3], 4
	s_add_u32 s12, s4, s2
	s_addc_u32 s13, s5, s3
	v_mov_b64_e32 v[2:3], s[12:13]
	;;#ASMSTART
	global_load_dwordx4 v[2:5], v[2:3] off sc1	
s_waitcnt vmcnt(0)
	;;#ASMEND
	v_mov_b32_e32 v7, 0
	v_and_b32_e32 v6, 0xff, v4
	s_mov_b64 s[10:11], 0
	v_cmp_eq_u64_e32 vcc, 0, v[6:7]
	s_and_saveexec_b64 s[2:3], vcc
	s_cbranch_execz .LBB121_6
; %bb.3:
	v_mov_b64_e32 v[8:9], s[12:13]
.LBB121_4:                              ; =>This Inner Loop Header: Depth=1
	;;#ASMSTART
	global_load_dwordx4 v[2:5], v[8:9] off sc1	
s_waitcnt vmcnt(0)
	;;#ASMEND
	s_nop 0
	v_and_b32_e32 v6, 0xff, v4
	v_cmp_ne_u64_e32 vcc, 0, v[6:7]
	s_or_b64 s[10:11], vcc, s[10:11]
	s_andn2_b64 exec, exec, s[10:11]
	s_cbranch_execnz .LBB121_4
; %bb.5:
	s_or_b64 exec, exec, s[10:11]
.LBB121_6:
	s_or_b64 exec, exec, s[2:3]
	v_mov_b32_e32 v1, 0
	global_store_dword v1, v2, s[8:9]
	global_store_byte v1, v3, s[8:9] offset:4
.LBB121_7:
	s_or_b64 exec, exec, s[0:1]
.LBB121_8:
	v_cmp_gt_u32_e32 vcc, s6, v0
	s_and_saveexec_b64 s[0:1], vcc
	s_cbranch_execnz .LBB121_11
; %bb.9:
	s_or_b64 exec, exec, s[0:1]
	v_cmp_gt_u32_e32 vcc, 64, v0
	s_and_saveexec_b64 s[0:1], vcc
	s_cbranch_execnz .LBB121_12
.LBB121_10:
	s_endpgm
.LBB121_11:
	v_add_u32_e32 v2, 64, v0
	v_mov_b32_e32 v3, 0
	v_lshl_add_u64 v[6:7], v[2:3], 4, s[4:5]
	v_mov_b32_e32 v2, v3
	v_mov_b32_e32 v4, v3
	;; [unrolled: 1-line block ×3, first 2 shown]
	global_store_dwordx4 v[6:7], v[2:5], off
	s_or_b64 exec, exec, s[0:1]
	v_cmp_gt_u32_e32 vcc, 64, v0
	s_and_saveexec_b64 s[0:1], vcc
	s_cbranch_execz .LBB121_10
.LBB121_12:
	v_mov_b32_e32 v1, 0
	v_lshl_add_u64 v[4:5], v[0:1], 4, s[4:5]
	v_mov_b32_e32 v2, 0xff
	v_mov_b32_e32 v0, v1
	;; [unrolled: 1-line block ×3, first 2 shown]
	global_store_dwordx4 v[4:5], v[0:3], off
	s_endpgm
	.section	.rodata,"a",@progbits
	.p2align	6, 0x0
	.amdhsa_kernel _ZN7rocprim17ROCPRIM_400000_NS6detail30init_device_scan_by_key_kernelINS1_19lookback_scan_stateINS0_5tupleIJibEEELb0ELb1EEENS1_16block_id_wrapperIjLb0EEEEEvT_jjPNS9_10value_typeET0_
		.amdhsa_group_segment_fixed_size 0
		.amdhsa_private_segment_fixed_size 0
		.amdhsa_kernarg_size 288
		.amdhsa_user_sgpr_count 2
		.amdhsa_user_sgpr_dispatch_ptr 0
		.amdhsa_user_sgpr_queue_ptr 0
		.amdhsa_user_sgpr_kernarg_segment_ptr 1
		.amdhsa_user_sgpr_dispatch_id 0
		.amdhsa_user_sgpr_kernarg_preload_length 0
		.amdhsa_user_sgpr_kernarg_preload_offset 0
		.amdhsa_user_sgpr_private_segment_size 0
		.amdhsa_uses_dynamic_stack 0
		.amdhsa_enable_private_segment 0
		.amdhsa_system_sgpr_workgroup_id_x 1
		.amdhsa_system_sgpr_workgroup_id_y 0
		.amdhsa_system_sgpr_workgroup_id_z 0
		.amdhsa_system_sgpr_workgroup_info 0
		.amdhsa_system_vgpr_workitem_id 0
		.amdhsa_next_free_vgpr 10
		.amdhsa_next_free_sgpr 14
		.amdhsa_accum_offset 12
		.amdhsa_reserve_vcc 1
		.amdhsa_float_round_mode_32 0
		.amdhsa_float_round_mode_16_64 0
		.amdhsa_float_denorm_mode_32 3
		.amdhsa_float_denorm_mode_16_64 3
		.amdhsa_dx10_clamp 1
		.amdhsa_ieee_mode 1
		.amdhsa_fp16_overflow 0
		.amdhsa_tg_split 0
		.amdhsa_exception_fp_ieee_invalid_op 0
		.amdhsa_exception_fp_denorm_src 0
		.amdhsa_exception_fp_ieee_div_zero 0
		.amdhsa_exception_fp_ieee_overflow 0
		.amdhsa_exception_fp_ieee_underflow 0
		.amdhsa_exception_fp_ieee_inexact 0
		.amdhsa_exception_int_div_zero 0
	.end_amdhsa_kernel
	.section	.text._ZN7rocprim17ROCPRIM_400000_NS6detail30init_device_scan_by_key_kernelINS1_19lookback_scan_stateINS0_5tupleIJibEEELb0ELb1EEENS1_16block_id_wrapperIjLb0EEEEEvT_jjPNS9_10value_typeET0_,"axG",@progbits,_ZN7rocprim17ROCPRIM_400000_NS6detail30init_device_scan_by_key_kernelINS1_19lookback_scan_stateINS0_5tupleIJibEEELb0ELb1EEENS1_16block_id_wrapperIjLb0EEEEEvT_jjPNS9_10value_typeET0_,comdat
.Lfunc_end121:
	.size	_ZN7rocprim17ROCPRIM_400000_NS6detail30init_device_scan_by_key_kernelINS1_19lookback_scan_stateINS0_5tupleIJibEEELb0ELb1EEENS1_16block_id_wrapperIjLb0EEEEEvT_jjPNS9_10value_typeET0_, .Lfunc_end121-_ZN7rocprim17ROCPRIM_400000_NS6detail30init_device_scan_by_key_kernelINS1_19lookback_scan_stateINS0_5tupleIJibEEELb0ELb1EEENS1_16block_id_wrapperIjLb0EEEEEvT_jjPNS9_10value_typeET0_
                                        ; -- End function
	.section	.AMDGPU.csdata,"",@progbits
; Kernel info:
; codeLenInByte = 344
; NumSgprs: 20
; NumVgprs: 10
; NumAgprs: 0
; TotalNumVgprs: 10
; ScratchSize: 0
; MemoryBound: 0
; FloatMode: 240
; IeeeMode: 1
; LDSByteSize: 0 bytes/workgroup (compile time only)
; SGPRBlocks: 2
; VGPRBlocks: 1
; NumSGPRsForWavesPerEU: 20
; NumVGPRsForWavesPerEU: 10
; AccumOffset: 12
; Occupancy: 8
; WaveLimiterHint : 0
; COMPUTE_PGM_RSRC2:SCRATCH_EN: 0
; COMPUTE_PGM_RSRC2:USER_SGPR: 2
; COMPUTE_PGM_RSRC2:TRAP_HANDLER: 0
; COMPUTE_PGM_RSRC2:TGID_X_EN: 1
; COMPUTE_PGM_RSRC2:TGID_Y_EN: 0
; COMPUTE_PGM_RSRC2:TGID_Z_EN: 0
; COMPUTE_PGM_RSRC2:TIDIG_COMP_CNT: 0
; COMPUTE_PGM_RSRC3_GFX90A:ACCUM_OFFSET: 2
; COMPUTE_PGM_RSRC3_GFX90A:TG_SPLIT: 0
	.section	.text._ZN7rocprim17ROCPRIM_400000_NS6detail17trampoline_kernelINS0_14default_configENS1_27scan_by_key_config_selectorIiiEEZZNS1_16scan_by_key_implILNS1_25lookback_scan_determinismE0ELb0ES3_N6thrust23THRUST_200600_302600_NS6detail15normal_iteratorINS9_10device_ptrIiEEEESE_SE_iNS9_4plusIvEENS9_8equal_toIvEEiEE10hipError_tPvRmT2_T3_T4_T5_mT6_T7_P12ihipStream_tbENKUlT_T0_E_clISt17integral_constantIbLb0EESZ_EEDaSU_SV_EUlSU_E_NS1_11comp_targetILNS1_3genE0ELNS1_11target_archE4294967295ELNS1_3gpuE0ELNS1_3repE0EEENS1_30default_config_static_selectorELNS0_4arch9wavefront6targetE1EEEvT1_,"axG",@progbits,_ZN7rocprim17ROCPRIM_400000_NS6detail17trampoline_kernelINS0_14default_configENS1_27scan_by_key_config_selectorIiiEEZZNS1_16scan_by_key_implILNS1_25lookback_scan_determinismE0ELb0ES3_N6thrust23THRUST_200600_302600_NS6detail15normal_iteratorINS9_10device_ptrIiEEEESE_SE_iNS9_4plusIvEENS9_8equal_toIvEEiEE10hipError_tPvRmT2_T3_T4_T5_mT6_T7_P12ihipStream_tbENKUlT_T0_E_clISt17integral_constantIbLb0EESZ_EEDaSU_SV_EUlSU_E_NS1_11comp_targetILNS1_3genE0ELNS1_11target_archE4294967295ELNS1_3gpuE0ELNS1_3repE0EEENS1_30default_config_static_selectorELNS0_4arch9wavefront6targetE1EEEvT1_,comdat
	.protected	_ZN7rocprim17ROCPRIM_400000_NS6detail17trampoline_kernelINS0_14default_configENS1_27scan_by_key_config_selectorIiiEEZZNS1_16scan_by_key_implILNS1_25lookback_scan_determinismE0ELb0ES3_N6thrust23THRUST_200600_302600_NS6detail15normal_iteratorINS9_10device_ptrIiEEEESE_SE_iNS9_4plusIvEENS9_8equal_toIvEEiEE10hipError_tPvRmT2_T3_T4_T5_mT6_T7_P12ihipStream_tbENKUlT_T0_E_clISt17integral_constantIbLb0EESZ_EEDaSU_SV_EUlSU_E_NS1_11comp_targetILNS1_3genE0ELNS1_11target_archE4294967295ELNS1_3gpuE0ELNS1_3repE0EEENS1_30default_config_static_selectorELNS0_4arch9wavefront6targetE1EEEvT1_ ; -- Begin function _ZN7rocprim17ROCPRIM_400000_NS6detail17trampoline_kernelINS0_14default_configENS1_27scan_by_key_config_selectorIiiEEZZNS1_16scan_by_key_implILNS1_25lookback_scan_determinismE0ELb0ES3_N6thrust23THRUST_200600_302600_NS6detail15normal_iteratorINS9_10device_ptrIiEEEESE_SE_iNS9_4plusIvEENS9_8equal_toIvEEiEE10hipError_tPvRmT2_T3_T4_T5_mT6_T7_P12ihipStream_tbENKUlT_T0_E_clISt17integral_constantIbLb0EESZ_EEDaSU_SV_EUlSU_E_NS1_11comp_targetILNS1_3genE0ELNS1_11target_archE4294967295ELNS1_3gpuE0ELNS1_3repE0EEENS1_30default_config_static_selectorELNS0_4arch9wavefront6targetE1EEEvT1_
	.globl	_ZN7rocprim17ROCPRIM_400000_NS6detail17trampoline_kernelINS0_14default_configENS1_27scan_by_key_config_selectorIiiEEZZNS1_16scan_by_key_implILNS1_25lookback_scan_determinismE0ELb0ES3_N6thrust23THRUST_200600_302600_NS6detail15normal_iteratorINS9_10device_ptrIiEEEESE_SE_iNS9_4plusIvEENS9_8equal_toIvEEiEE10hipError_tPvRmT2_T3_T4_T5_mT6_T7_P12ihipStream_tbENKUlT_T0_E_clISt17integral_constantIbLb0EESZ_EEDaSU_SV_EUlSU_E_NS1_11comp_targetILNS1_3genE0ELNS1_11target_archE4294967295ELNS1_3gpuE0ELNS1_3repE0EEENS1_30default_config_static_selectorELNS0_4arch9wavefront6targetE1EEEvT1_
	.p2align	8
	.type	_ZN7rocprim17ROCPRIM_400000_NS6detail17trampoline_kernelINS0_14default_configENS1_27scan_by_key_config_selectorIiiEEZZNS1_16scan_by_key_implILNS1_25lookback_scan_determinismE0ELb0ES3_N6thrust23THRUST_200600_302600_NS6detail15normal_iteratorINS9_10device_ptrIiEEEESE_SE_iNS9_4plusIvEENS9_8equal_toIvEEiEE10hipError_tPvRmT2_T3_T4_T5_mT6_T7_P12ihipStream_tbENKUlT_T0_E_clISt17integral_constantIbLb0EESZ_EEDaSU_SV_EUlSU_E_NS1_11comp_targetILNS1_3genE0ELNS1_11target_archE4294967295ELNS1_3gpuE0ELNS1_3repE0EEENS1_30default_config_static_selectorELNS0_4arch9wavefront6targetE1EEEvT1_,@function
_ZN7rocprim17ROCPRIM_400000_NS6detail17trampoline_kernelINS0_14default_configENS1_27scan_by_key_config_selectorIiiEEZZNS1_16scan_by_key_implILNS1_25lookback_scan_determinismE0ELb0ES3_N6thrust23THRUST_200600_302600_NS6detail15normal_iteratorINS9_10device_ptrIiEEEESE_SE_iNS9_4plusIvEENS9_8equal_toIvEEiEE10hipError_tPvRmT2_T3_T4_T5_mT6_T7_P12ihipStream_tbENKUlT_T0_E_clISt17integral_constantIbLb0EESZ_EEDaSU_SV_EUlSU_E_NS1_11comp_targetILNS1_3genE0ELNS1_11target_archE4294967295ELNS1_3gpuE0ELNS1_3repE0EEENS1_30default_config_static_selectorELNS0_4arch9wavefront6targetE1EEEvT1_: ; @_ZN7rocprim17ROCPRIM_400000_NS6detail17trampoline_kernelINS0_14default_configENS1_27scan_by_key_config_selectorIiiEEZZNS1_16scan_by_key_implILNS1_25lookback_scan_determinismE0ELb0ES3_N6thrust23THRUST_200600_302600_NS6detail15normal_iteratorINS9_10device_ptrIiEEEESE_SE_iNS9_4plusIvEENS9_8equal_toIvEEiEE10hipError_tPvRmT2_T3_T4_T5_mT6_T7_P12ihipStream_tbENKUlT_T0_E_clISt17integral_constantIbLb0EESZ_EEDaSU_SV_EUlSU_E_NS1_11comp_targetILNS1_3genE0ELNS1_11target_archE4294967295ELNS1_3gpuE0ELNS1_3repE0EEENS1_30default_config_static_selectorELNS0_4arch9wavefront6targetE1EEEvT1_
; %bb.0:
	.section	.rodata,"a",@progbits
	.p2align	6, 0x0
	.amdhsa_kernel _ZN7rocprim17ROCPRIM_400000_NS6detail17trampoline_kernelINS0_14default_configENS1_27scan_by_key_config_selectorIiiEEZZNS1_16scan_by_key_implILNS1_25lookback_scan_determinismE0ELb0ES3_N6thrust23THRUST_200600_302600_NS6detail15normal_iteratorINS9_10device_ptrIiEEEESE_SE_iNS9_4plusIvEENS9_8equal_toIvEEiEE10hipError_tPvRmT2_T3_T4_T5_mT6_T7_P12ihipStream_tbENKUlT_T0_E_clISt17integral_constantIbLb0EESZ_EEDaSU_SV_EUlSU_E_NS1_11comp_targetILNS1_3genE0ELNS1_11target_archE4294967295ELNS1_3gpuE0ELNS1_3repE0EEENS1_30default_config_static_selectorELNS0_4arch9wavefront6targetE1EEEvT1_
		.amdhsa_group_segment_fixed_size 0
		.amdhsa_private_segment_fixed_size 0
		.amdhsa_kernarg_size 112
		.amdhsa_user_sgpr_count 2
		.amdhsa_user_sgpr_dispatch_ptr 0
		.amdhsa_user_sgpr_queue_ptr 0
		.amdhsa_user_sgpr_kernarg_segment_ptr 1
		.amdhsa_user_sgpr_dispatch_id 0
		.amdhsa_user_sgpr_kernarg_preload_length 0
		.amdhsa_user_sgpr_kernarg_preload_offset 0
		.amdhsa_user_sgpr_private_segment_size 0
		.amdhsa_uses_dynamic_stack 0
		.amdhsa_enable_private_segment 0
		.amdhsa_system_sgpr_workgroup_id_x 1
		.amdhsa_system_sgpr_workgroup_id_y 0
		.amdhsa_system_sgpr_workgroup_id_z 0
		.amdhsa_system_sgpr_workgroup_info 0
		.amdhsa_system_vgpr_workitem_id 0
		.amdhsa_next_free_vgpr 1
		.amdhsa_next_free_sgpr 0
		.amdhsa_accum_offset 4
		.amdhsa_reserve_vcc 0
		.amdhsa_float_round_mode_32 0
		.amdhsa_float_round_mode_16_64 0
		.amdhsa_float_denorm_mode_32 3
		.amdhsa_float_denorm_mode_16_64 3
		.amdhsa_dx10_clamp 1
		.amdhsa_ieee_mode 1
		.amdhsa_fp16_overflow 0
		.amdhsa_tg_split 0
		.amdhsa_exception_fp_ieee_invalid_op 0
		.amdhsa_exception_fp_denorm_src 0
		.amdhsa_exception_fp_ieee_div_zero 0
		.amdhsa_exception_fp_ieee_overflow 0
		.amdhsa_exception_fp_ieee_underflow 0
		.amdhsa_exception_fp_ieee_inexact 0
		.amdhsa_exception_int_div_zero 0
	.end_amdhsa_kernel
	.section	.text._ZN7rocprim17ROCPRIM_400000_NS6detail17trampoline_kernelINS0_14default_configENS1_27scan_by_key_config_selectorIiiEEZZNS1_16scan_by_key_implILNS1_25lookback_scan_determinismE0ELb0ES3_N6thrust23THRUST_200600_302600_NS6detail15normal_iteratorINS9_10device_ptrIiEEEESE_SE_iNS9_4plusIvEENS9_8equal_toIvEEiEE10hipError_tPvRmT2_T3_T4_T5_mT6_T7_P12ihipStream_tbENKUlT_T0_E_clISt17integral_constantIbLb0EESZ_EEDaSU_SV_EUlSU_E_NS1_11comp_targetILNS1_3genE0ELNS1_11target_archE4294967295ELNS1_3gpuE0ELNS1_3repE0EEENS1_30default_config_static_selectorELNS0_4arch9wavefront6targetE1EEEvT1_,"axG",@progbits,_ZN7rocprim17ROCPRIM_400000_NS6detail17trampoline_kernelINS0_14default_configENS1_27scan_by_key_config_selectorIiiEEZZNS1_16scan_by_key_implILNS1_25lookback_scan_determinismE0ELb0ES3_N6thrust23THRUST_200600_302600_NS6detail15normal_iteratorINS9_10device_ptrIiEEEESE_SE_iNS9_4plusIvEENS9_8equal_toIvEEiEE10hipError_tPvRmT2_T3_T4_T5_mT6_T7_P12ihipStream_tbENKUlT_T0_E_clISt17integral_constantIbLb0EESZ_EEDaSU_SV_EUlSU_E_NS1_11comp_targetILNS1_3genE0ELNS1_11target_archE4294967295ELNS1_3gpuE0ELNS1_3repE0EEENS1_30default_config_static_selectorELNS0_4arch9wavefront6targetE1EEEvT1_,comdat
.Lfunc_end122:
	.size	_ZN7rocprim17ROCPRIM_400000_NS6detail17trampoline_kernelINS0_14default_configENS1_27scan_by_key_config_selectorIiiEEZZNS1_16scan_by_key_implILNS1_25lookback_scan_determinismE0ELb0ES3_N6thrust23THRUST_200600_302600_NS6detail15normal_iteratorINS9_10device_ptrIiEEEESE_SE_iNS9_4plusIvEENS9_8equal_toIvEEiEE10hipError_tPvRmT2_T3_T4_T5_mT6_T7_P12ihipStream_tbENKUlT_T0_E_clISt17integral_constantIbLb0EESZ_EEDaSU_SV_EUlSU_E_NS1_11comp_targetILNS1_3genE0ELNS1_11target_archE4294967295ELNS1_3gpuE0ELNS1_3repE0EEENS1_30default_config_static_selectorELNS0_4arch9wavefront6targetE1EEEvT1_, .Lfunc_end122-_ZN7rocprim17ROCPRIM_400000_NS6detail17trampoline_kernelINS0_14default_configENS1_27scan_by_key_config_selectorIiiEEZZNS1_16scan_by_key_implILNS1_25lookback_scan_determinismE0ELb0ES3_N6thrust23THRUST_200600_302600_NS6detail15normal_iteratorINS9_10device_ptrIiEEEESE_SE_iNS9_4plusIvEENS9_8equal_toIvEEiEE10hipError_tPvRmT2_T3_T4_T5_mT6_T7_P12ihipStream_tbENKUlT_T0_E_clISt17integral_constantIbLb0EESZ_EEDaSU_SV_EUlSU_E_NS1_11comp_targetILNS1_3genE0ELNS1_11target_archE4294967295ELNS1_3gpuE0ELNS1_3repE0EEENS1_30default_config_static_selectorELNS0_4arch9wavefront6targetE1EEEvT1_
                                        ; -- End function
	.section	.AMDGPU.csdata,"",@progbits
; Kernel info:
; codeLenInByte = 0
; NumSgprs: 6
; NumVgprs: 0
; NumAgprs: 0
; TotalNumVgprs: 0
; ScratchSize: 0
; MemoryBound: 0
; FloatMode: 240
; IeeeMode: 1
; LDSByteSize: 0 bytes/workgroup (compile time only)
; SGPRBlocks: 0
; VGPRBlocks: 0
; NumSGPRsForWavesPerEU: 6
; NumVGPRsForWavesPerEU: 1
; AccumOffset: 4
; Occupancy: 8
; WaveLimiterHint : 0
; COMPUTE_PGM_RSRC2:SCRATCH_EN: 0
; COMPUTE_PGM_RSRC2:USER_SGPR: 2
; COMPUTE_PGM_RSRC2:TRAP_HANDLER: 0
; COMPUTE_PGM_RSRC2:TGID_X_EN: 1
; COMPUTE_PGM_RSRC2:TGID_Y_EN: 0
; COMPUTE_PGM_RSRC2:TGID_Z_EN: 0
; COMPUTE_PGM_RSRC2:TIDIG_COMP_CNT: 0
; COMPUTE_PGM_RSRC3_GFX90A:ACCUM_OFFSET: 0
; COMPUTE_PGM_RSRC3_GFX90A:TG_SPLIT: 0
	.section	.text._ZN7rocprim17ROCPRIM_400000_NS6detail17trampoline_kernelINS0_14default_configENS1_27scan_by_key_config_selectorIiiEEZZNS1_16scan_by_key_implILNS1_25lookback_scan_determinismE0ELb0ES3_N6thrust23THRUST_200600_302600_NS6detail15normal_iteratorINS9_10device_ptrIiEEEESE_SE_iNS9_4plusIvEENS9_8equal_toIvEEiEE10hipError_tPvRmT2_T3_T4_T5_mT6_T7_P12ihipStream_tbENKUlT_T0_E_clISt17integral_constantIbLb0EESZ_EEDaSU_SV_EUlSU_E_NS1_11comp_targetILNS1_3genE10ELNS1_11target_archE1201ELNS1_3gpuE5ELNS1_3repE0EEENS1_30default_config_static_selectorELNS0_4arch9wavefront6targetE1EEEvT1_,"axG",@progbits,_ZN7rocprim17ROCPRIM_400000_NS6detail17trampoline_kernelINS0_14default_configENS1_27scan_by_key_config_selectorIiiEEZZNS1_16scan_by_key_implILNS1_25lookback_scan_determinismE0ELb0ES3_N6thrust23THRUST_200600_302600_NS6detail15normal_iteratorINS9_10device_ptrIiEEEESE_SE_iNS9_4plusIvEENS9_8equal_toIvEEiEE10hipError_tPvRmT2_T3_T4_T5_mT6_T7_P12ihipStream_tbENKUlT_T0_E_clISt17integral_constantIbLb0EESZ_EEDaSU_SV_EUlSU_E_NS1_11comp_targetILNS1_3genE10ELNS1_11target_archE1201ELNS1_3gpuE5ELNS1_3repE0EEENS1_30default_config_static_selectorELNS0_4arch9wavefront6targetE1EEEvT1_,comdat
	.protected	_ZN7rocprim17ROCPRIM_400000_NS6detail17trampoline_kernelINS0_14default_configENS1_27scan_by_key_config_selectorIiiEEZZNS1_16scan_by_key_implILNS1_25lookback_scan_determinismE0ELb0ES3_N6thrust23THRUST_200600_302600_NS6detail15normal_iteratorINS9_10device_ptrIiEEEESE_SE_iNS9_4plusIvEENS9_8equal_toIvEEiEE10hipError_tPvRmT2_T3_T4_T5_mT6_T7_P12ihipStream_tbENKUlT_T0_E_clISt17integral_constantIbLb0EESZ_EEDaSU_SV_EUlSU_E_NS1_11comp_targetILNS1_3genE10ELNS1_11target_archE1201ELNS1_3gpuE5ELNS1_3repE0EEENS1_30default_config_static_selectorELNS0_4arch9wavefront6targetE1EEEvT1_ ; -- Begin function _ZN7rocprim17ROCPRIM_400000_NS6detail17trampoline_kernelINS0_14default_configENS1_27scan_by_key_config_selectorIiiEEZZNS1_16scan_by_key_implILNS1_25lookback_scan_determinismE0ELb0ES3_N6thrust23THRUST_200600_302600_NS6detail15normal_iteratorINS9_10device_ptrIiEEEESE_SE_iNS9_4plusIvEENS9_8equal_toIvEEiEE10hipError_tPvRmT2_T3_T4_T5_mT6_T7_P12ihipStream_tbENKUlT_T0_E_clISt17integral_constantIbLb0EESZ_EEDaSU_SV_EUlSU_E_NS1_11comp_targetILNS1_3genE10ELNS1_11target_archE1201ELNS1_3gpuE5ELNS1_3repE0EEENS1_30default_config_static_selectorELNS0_4arch9wavefront6targetE1EEEvT1_
	.globl	_ZN7rocprim17ROCPRIM_400000_NS6detail17trampoline_kernelINS0_14default_configENS1_27scan_by_key_config_selectorIiiEEZZNS1_16scan_by_key_implILNS1_25lookback_scan_determinismE0ELb0ES3_N6thrust23THRUST_200600_302600_NS6detail15normal_iteratorINS9_10device_ptrIiEEEESE_SE_iNS9_4plusIvEENS9_8equal_toIvEEiEE10hipError_tPvRmT2_T3_T4_T5_mT6_T7_P12ihipStream_tbENKUlT_T0_E_clISt17integral_constantIbLb0EESZ_EEDaSU_SV_EUlSU_E_NS1_11comp_targetILNS1_3genE10ELNS1_11target_archE1201ELNS1_3gpuE5ELNS1_3repE0EEENS1_30default_config_static_selectorELNS0_4arch9wavefront6targetE1EEEvT1_
	.p2align	8
	.type	_ZN7rocprim17ROCPRIM_400000_NS6detail17trampoline_kernelINS0_14default_configENS1_27scan_by_key_config_selectorIiiEEZZNS1_16scan_by_key_implILNS1_25lookback_scan_determinismE0ELb0ES3_N6thrust23THRUST_200600_302600_NS6detail15normal_iteratorINS9_10device_ptrIiEEEESE_SE_iNS9_4plusIvEENS9_8equal_toIvEEiEE10hipError_tPvRmT2_T3_T4_T5_mT6_T7_P12ihipStream_tbENKUlT_T0_E_clISt17integral_constantIbLb0EESZ_EEDaSU_SV_EUlSU_E_NS1_11comp_targetILNS1_3genE10ELNS1_11target_archE1201ELNS1_3gpuE5ELNS1_3repE0EEENS1_30default_config_static_selectorELNS0_4arch9wavefront6targetE1EEEvT1_,@function
_ZN7rocprim17ROCPRIM_400000_NS6detail17trampoline_kernelINS0_14default_configENS1_27scan_by_key_config_selectorIiiEEZZNS1_16scan_by_key_implILNS1_25lookback_scan_determinismE0ELb0ES3_N6thrust23THRUST_200600_302600_NS6detail15normal_iteratorINS9_10device_ptrIiEEEESE_SE_iNS9_4plusIvEENS9_8equal_toIvEEiEE10hipError_tPvRmT2_T3_T4_T5_mT6_T7_P12ihipStream_tbENKUlT_T0_E_clISt17integral_constantIbLb0EESZ_EEDaSU_SV_EUlSU_E_NS1_11comp_targetILNS1_3genE10ELNS1_11target_archE1201ELNS1_3gpuE5ELNS1_3repE0EEENS1_30default_config_static_selectorELNS0_4arch9wavefront6targetE1EEEvT1_: ; @_ZN7rocprim17ROCPRIM_400000_NS6detail17trampoline_kernelINS0_14default_configENS1_27scan_by_key_config_selectorIiiEEZZNS1_16scan_by_key_implILNS1_25lookback_scan_determinismE0ELb0ES3_N6thrust23THRUST_200600_302600_NS6detail15normal_iteratorINS9_10device_ptrIiEEEESE_SE_iNS9_4plusIvEENS9_8equal_toIvEEiEE10hipError_tPvRmT2_T3_T4_T5_mT6_T7_P12ihipStream_tbENKUlT_T0_E_clISt17integral_constantIbLb0EESZ_EEDaSU_SV_EUlSU_E_NS1_11comp_targetILNS1_3genE10ELNS1_11target_archE1201ELNS1_3gpuE5ELNS1_3repE0EEENS1_30default_config_static_selectorELNS0_4arch9wavefront6targetE1EEEvT1_
; %bb.0:
	.section	.rodata,"a",@progbits
	.p2align	6, 0x0
	.amdhsa_kernel _ZN7rocprim17ROCPRIM_400000_NS6detail17trampoline_kernelINS0_14default_configENS1_27scan_by_key_config_selectorIiiEEZZNS1_16scan_by_key_implILNS1_25lookback_scan_determinismE0ELb0ES3_N6thrust23THRUST_200600_302600_NS6detail15normal_iteratorINS9_10device_ptrIiEEEESE_SE_iNS9_4plusIvEENS9_8equal_toIvEEiEE10hipError_tPvRmT2_T3_T4_T5_mT6_T7_P12ihipStream_tbENKUlT_T0_E_clISt17integral_constantIbLb0EESZ_EEDaSU_SV_EUlSU_E_NS1_11comp_targetILNS1_3genE10ELNS1_11target_archE1201ELNS1_3gpuE5ELNS1_3repE0EEENS1_30default_config_static_selectorELNS0_4arch9wavefront6targetE1EEEvT1_
		.amdhsa_group_segment_fixed_size 0
		.amdhsa_private_segment_fixed_size 0
		.amdhsa_kernarg_size 112
		.amdhsa_user_sgpr_count 2
		.amdhsa_user_sgpr_dispatch_ptr 0
		.amdhsa_user_sgpr_queue_ptr 0
		.amdhsa_user_sgpr_kernarg_segment_ptr 1
		.amdhsa_user_sgpr_dispatch_id 0
		.amdhsa_user_sgpr_kernarg_preload_length 0
		.amdhsa_user_sgpr_kernarg_preload_offset 0
		.amdhsa_user_sgpr_private_segment_size 0
		.amdhsa_uses_dynamic_stack 0
		.amdhsa_enable_private_segment 0
		.amdhsa_system_sgpr_workgroup_id_x 1
		.amdhsa_system_sgpr_workgroup_id_y 0
		.amdhsa_system_sgpr_workgroup_id_z 0
		.amdhsa_system_sgpr_workgroup_info 0
		.amdhsa_system_vgpr_workitem_id 0
		.amdhsa_next_free_vgpr 1
		.amdhsa_next_free_sgpr 0
		.amdhsa_accum_offset 4
		.amdhsa_reserve_vcc 0
		.amdhsa_float_round_mode_32 0
		.amdhsa_float_round_mode_16_64 0
		.amdhsa_float_denorm_mode_32 3
		.amdhsa_float_denorm_mode_16_64 3
		.amdhsa_dx10_clamp 1
		.amdhsa_ieee_mode 1
		.amdhsa_fp16_overflow 0
		.amdhsa_tg_split 0
		.amdhsa_exception_fp_ieee_invalid_op 0
		.amdhsa_exception_fp_denorm_src 0
		.amdhsa_exception_fp_ieee_div_zero 0
		.amdhsa_exception_fp_ieee_overflow 0
		.amdhsa_exception_fp_ieee_underflow 0
		.amdhsa_exception_fp_ieee_inexact 0
		.amdhsa_exception_int_div_zero 0
	.end_amdhsa_kernel
	.section	.text._ZN7rocprim17ROCPRIM_400000_NS6detail17trampoline_kernelINS0_14default_configENS1_27scan_by_key_config_selectorIiiEEZZNS1_16scan_by_key_implILNS1_25lookback_scan_determinismE0ELb0ES3_N6thrust23THRUST_200600_302600_NS6detail15normal_iteratorINS9_10device_ptrIiEEEESE_SE_iNS9_4plusIvEENS9_8equal_toIvEEiEE10hipError_tPvRmT2_T3_T4_T5_mT6_T7_P12ihipStream_tbENKUlT_T0_E_clISt17integral_constantIbLb0EESZ_EEDaSU_SV_EUlSU_E_NS1_11comp_targetILNS1_3genE10ELNS1_11target_archE1201ELNS1_3gpuE5ELNS1_3repE0EEENS1_30default_config_static_selectorELNS0_4arch9wavefront6targetE1EEEvT1_,"axG",@progbits,_ZN7rocprim17ROCPRIM_400000_NS6detail17trampoline_kernelINS0_14default_configENS1_27scan_by_key_config_selectorIiiEEZZNS1_16scan_by_key_implILNS1_25lookback_scan_determinismE0ELb0ES3_N6thrust23THRUST_200600_302600_NS6detail15normal_iteratorINS9_10device_ptrIiEEEESE_SE_iNS9_4plusIvEENS9_8equal_toIvEEiEE10hipError_tPvRmT2_T3_T4_T5_mT6_T7_P12ihipStream_tbENKUlT_T0_E_clISt17integral_constantIbLb0EESZ_EEDaSU_SV_EUlSU_E_NS1_11comp_targetILNS1_3genE10ELNS1_11target_archE1201ELNS1_3gpuE5ELNS1_3repE0EEENS1_30default_config_static_selectorELNS0_4arch9wavefront6targetE1EEEvT1_,comdat
.Lfunc_end123:
	.size	_ZN7rocprim17ROCPRIM_400000_NS6detail17trampoline_kernelINS0_14default_configENS1_27scan_by_key_config_selectorIiiEEZZNS1_16scan_by_key_implILNS1_25lookback_scan_determinismE0ELb0ES3_N6thrust23THRUST_200600_302600_NS6detail15normal_iteratorINS9_10device_ptrIiEEEESE_SE_iNS9_4plusIvEENS9_8equal_toIvEEiEE10hipError_tPvRmT2_T3_T4_T5_mT6_T7_P12ihipStream_tbENKUlT_T0_E_clISt17integral_constantIbLb0EESZ_EEDaSU_SV_EUlSU_E_NS1_11comp_targetILNS1_3genE10ELNS1_11target_archE1201ELNS1_3gpuE5ELNS1_3repE0EEENS1_30default_config_static_selectorELNS0_4arch9wavefront6targetE1EEEvT1_, .Lfunc_end123-_ZN7rocprim17ROCPRIM_400000_NS6detail17trampoline_kernelINS0_14default_configENS1_27scan_by_key_config_selectorIiiEEZZNS1_16scan_by_key_implILNS1_25lookback_scan_determinismE0ELb0ES3_N6thrust23THRUST_200600_302600_NS6detail15normal_iteratorINS9_10device_ptrIiEEEESE_SE_iNS9_4plusIvEENS9_8equal_toIvEEiEE10hipError_tPvRmT2_T3_T4_T5_mT6_T7_P12ihipStream_tbENKUlT_T0_E_clISt17integral_constantIbLb0EESZ_EEDaSU_SV_EUlSU_E_NS1_11comp_targetILNS1_3genE10ELNS1_11target_archE1201ELNS1_3gpuE5ELNS1_3repE0EEENS1_30default_config_static_selectorELNS0_4arch9wavefront6targetE1EEEvT1_
                                        ; -- End function
	.section	.AMDGPU.csdata,"",@progbits
; Kernel info:
; codeLenInByte = 0
; NumSgprs: 6
; NumVgprs: 0
; NumAgprs: 0
; TotalNumVgprs: 0
; ScratchSize: 0
; MemoryBound: 0
; FloatMode: 240
; IeeeMode: 1
; LDSByteSize: 0 bytes/workgroup (compile time only)
; SGPRBlocks: 0
; VGPRBlocks: 0
; NumSGPRsForWavesPerEU: 6
; NumVGPRsForWavesPerEU: 1
; AccumOffset: 4
; Occupancy: 8
; WaveLimiterHint : 0
; COMPUTE_PGM_RSRC2:SCRATCH_EN: 0
; COMPUTE_PGM_RSRC2:USER_SGPR: 2
; COMPUTE_PGM_RSRC2:TRAP_HANDLER: 0
; COMPUTE_PGM_RSRC2:TGID_X_EN: 1
; COMPUTE_PGM_RSRC2:TGID_Y_EN: 0
; COMPUTE_PGM_RSRC2:TGID_Z_EN: 0
; COMPUTE_PGM_RSRC2:TIDIG_COMP_CNT: 0
; COMPUTE_PGM_RSRC3_GFX90A:ACCUM_OFFSET: 0
; COMPUTE_PGM_RSRC3_GFX90A:TG_SPLIT: 0
	.section	.text._ZN7rocprim17ROCPRIM_400000_NS6detail17trampoline_kernelINS0_14default_configENS1_27scan_by_key_config_selectorIiiEEZZNS1_16scan_by_key_implILNS1_25lookback_scan_determinismE0ELb0ES3_N6thrust23THRUST_200600_302600_NS6detail15normal_iteratorINS9_10device_ptrIiEEEESE_SE_iNS9_4plusIvEENS9_8equal_toIvEEiEE10hipError_tPvRmT2_T3_T4_T5_mT6_T7_P12ihipStream_tbENKUlT_T0_E_clISt17integral_constantIbLb0EESZ_EEDaSU_SV_EUlSU_E_NS1_11comp_targetILNS1_3genE5ELNS1_11target_archE942ELNS1_3gpuE9ELNS1_3repE0EEENS1_30default_config_static_selectorELNS0_4arch9wavefront6targetE1EEEvT1_,"axG",@progbits,_ZN7rocprim17ROCPRIM_400000_NS6detail17trampoline_kernelINS0_14default_configENS1_27scan_by_key_config_selectorIiiEEZZNS1_16scan_by_key_implILNS1_25lookback_scan_determinismE0ELb0ES3_N6thrust23THRUST_200600_302600_NS6detail15normal_iteratorINS9_10device_ptrIiEEEESE_SE_iNS9_4plusIvEENS9_8equal_toIvEEiEE10hipError_tPvRmT2_T3_T4_T5_mT6_T7_P12ihipStream_tbENKUlT_T0_E_clISt17integral_constantIbLb0EESZ_EEDaSU_SV_EUlSU_E_NS1_11comp_targetILNS1_3genE5ELNS1_11target_archE942ELNS1_3gpuE9ELNS1_3repE0EEENS1_30default_config_static_selectorELNS0_4arch9wavefront6targetE1EEEvT1_,comdat
	.protected	_ZN7rocprim17ROCPRIM_400000_NS6detail17trampoline_kernelINS0_14default_configENS1_27scan_by_key_config_selectorIiiEEZZNS1_16scan_by_key_implILNS1_25lookback_scan_determinismE0ELb0ES3_N6thrust23THRUST_200600_302600_NS6detail15normal_iteratorINS9_10device_ptrIiEEEESE_SE_iNS9_4plusIvEENS9_8equal_toIvEEiEE10hipError_tPvRmT2_T3_T4_T5_mT6_T7_P12ihipStream_tbENKUlT_T0_E_clISt17integral_constantIbLb0EESZ_EEDaSU_SV_EUlSU_E_NS1_11comp_targetILNS1_3genE5ELNS1_11target_archE942ELNS1_3gpuE9ELNS1_3repE0EEENS1_30default_config_static_selectorELNS0_4arch9wavefront6targetE1EEEvT1_ ; -- Begin function _ZN7rocprim17ROCPRIM_400000_NS6detail17trampoline_kernelINS0_14default_configENS1_27scan_by_key_config_selectorIiiEEZZNS1_16scan_by_key_implILNS1_25lookback_scan_determinismE0ELb0ES3_N6thrust23THRUST_200600_302600_NS6detail15normal_iteratorINS9_10device_ptrIiEEEESE_SE_iNS9_4plusIvEENS9_8equal_toIvEEiEE10hipError_tPvRmT2_T3_T4_T5_mT6_T7_P12ihipStream_tbENKUlT_T0_E_clISt17integral_constantIbLb0EESZ_EEDaSU_SV_EUlSU_E_NS1_11comp_targetILNS1_3genE5ELNS1_11target_archE942ELNS1_3gpuE9ELNS1_3repE0EEENS1_30default_config_static_selectorELNS0_4arch9wavefront6targetE1EEEvT1_
	.globl	_ZN7rocprim17ROCPRIM_400000_NS6detail17trampoline_kernelINS0_14default_configENS1_27scan_by_key_config_selectorIiiEEZZNS1_16scan_by_key_implILNS1_25lookback_scan_determinismE0ELb0ES3_N6thrust23THRUST_200600_302600_NS6detail15normal_iteratorINS9_10device_ptrIiEEEESE_SE_iNS9_4plusIvEENS9_8equal_toIvEEiEE10hipError_tPvRmT2_T3_T4_T5_mT6_T7_P12ihipStream_tbENKUlT_T0_E_clISt17integral_constantIbLb0EESZ_EEDaSU_SV_EUlSU_E_NS1_11comp_targetILNS1_3genE5ELNS1_11target_archE942ELNS1_3gpuE9ELNS1_3repE0EEENS1_30default_config_static_selectorELNS0_4arch9wavefront6targetE1EEEvT1_
	.p2align	8
	.type	_ZN7rocprim17ROCPRIM_400000_NS6detail17trampoline_kernelINS0_14default_configENS1_27scan_by_key_config_selectorIiiEEZZNS1_16scan_by_key_implILNS1_25lookback_scan_determinismE0ELb0ES3_N6thrust23THRUST_200600_302600_NS6detail15normal_iteratorINS9_10device_ptrIiEEEESE_SE_iNS9_4plusIvEENS9_8equal_toIvEEiEE10hipError_tPvRmT2_T3_T4_T5_mT6_T7_P12ihipStream_tbENKUlT_T0_E_clISt17integral_constantIbLb0EESZ_EEDaSU_SV_EUlSU_E_NS1_11comp_targetILNS1_3genE5ELNS1_11target_archE942ELNS1_3gpuE9ELNS1_3repE0EEENS1_30default_config_static_selectorELNS0_4arch9wavefront6targetE1EEEvT1_,@function
_ZN7rocprim17ROCPRIM_400000_NS6detail17trampoline_kernelINS0_14default_configENS1_27scan_by_key_config_selectorIiiEEZZNS1_16scan_by_key_implILNS1_25lookback_scan_determinismE0ELb0ES3_N6thrust23THRUST_200600_302600_NS6detail15normal_iteratorINS9_10device_ptrIiEEEESE_SE_iNS9_4plusIvEENS9_8equal_toIvEEiEE10hipError_tPvRmT2_T3_T4_T5_mT6_T7_P12ihipStream_tbENKUlT_T0_E_clISt17integral_constantIbLb0EESZ_EEDaSU_SV_EUlSU_E_NS1_11comp_targetILNS1_3genE5ELNS1_11target_archE942ELNS1_3gpuE9ELNS1_3repE0EEENS1_30default_config_static_selectorELNS0_4arch9wavefront6targetE1EEEvT1_: ; @_ZN7rocprim17ROCPRIM_400000_NS6detail17trampoline_kernelINS0_14default_configENS1_27scan_by_key_config_selectorIiiEEZZNS1_16scan_by_key_implILNS1_25lookback_scan_determinismE0ELb0ES3_N6thrust23THRUST_200600_302600_NS6detail15normal_iteratorINS9_10device_ptrIiEEEESE_SE_iNS9_4plusIvEENS9_8equal_toIvEEiEE10hipError_tPvRmT2_T3_T4_T5_mT6_T7_P12ihipStream_tbENKUlT_T0_E_clISt17integral_constantIbLb0EESZ_EEDaSU_SV_EUlSU_E_NS1_11comp_targetILNS1_3genE5ELNS1_11target_archE942ELNS1_3gpuE9ELNS1_3repE0EEENS1_30default_config_static_selectorELNS0_4arch9wavefront6targetE1EEEvT1_
; %bb.0:
	s_load_dwordx8 s[52:59], s[0:1], 0x0
	s_load_dwordx4 s[68:71], s[0:1], 0x28
	s_load_dwordx2 s[74:75], s[0:1], 0x38
	s_load_dword s3, s[0:1], 0x40
	s_load_dwordx8 s[60:67], s[0:1], 0x48
	s_waitcnt lgkmcnt(0)
	s_lshl_b64 s[72:73], s[54:55], 2
	s_add_u32 s4, s52, s72
	s_addc_u32 s5, s53, s73
	s_add_u32 s6, s56, s72
	s_mul_i32 s0, s75, s3
	s_mul_hi_u32 s1, s74, s3
	s_addc_u32 s7, s57, s73
	s_add_i32 s8, s1, s0
	s_cmp_lg_u64 s[64:65], 0
	s_mul_i32 s0, s2, 0x1700
	s_mov_b32 s1, 0
	s_cselect_b64 s[64:65], -1, 0
	s_lshl_b64 s[56:57], s[0:1], 2
	s_add_u32 s54, s4, s56
	s_addc_u32 s55, s5, s57
	s_add_u32 s52, s6, s56
	s_mul_i32 s3, s74, s3
	s_addc_u32 s53, s7, s57
	s_add_u32 s76, s3, s2
	s_addc_u32 s77, s8, 0
	s_add_u32 s4, s60, -1
	s_addc_u32 s5, s61, -1
	v_mov_b64_e32 v[2:3], s[4:5]
	v_cmp_ge_u64_e64 s[0:1], s[76:77], v[2:3]
	s_mov_b64 s[10:11], 0
	s_mov_b64 s[6:7], -1
	s_and_b64 vcc, exec, s[0:1]
	s_mul_i32 s33, s4, 0xffffe900
	s_barrier
	s_cbranch_vccz .LBB124_122
; %bb.1:
	v_mov_b64_e32 v[2:3], s[54:55]
	flat_load_dword v1, v[2:3]
	s_add_i32 s3, s33, s70
	v_cmp_gt_u32_e64 s[50:51], s3, v0
	s_waitcnt vmcnt(0) lgkmcnt(0)
	v_mov_b32_e32 v4, v1
	s_and_saveexec_b64 s[4:5], s[50:51]
	s_cbranch_execz .LBB124_3
; %bb.2:
	v_lshlrev_b32_e32 v2, 2, v0
	v_mov_b32_e32 v3, 0
	v_lshl_add_u64 v[2:3], s[54:55], 0, v[2:3]
	flat_load_dword v4, v[2:3]
.LBB124_3:
	s_or_b64 exec, exec, s[4:5]
	v_or_b32_e32 v2, 0x100, v0
	v_cmp_gt_u32_e64 s[4:5], s3, v2
	v_mov_b32_e32 v5, v1
	s_and_saveexec_b64 s[6:7], s[4:5]
	s_cbranch_execz .LBB124_5
; %bb.4:
	v_lshlrev_b32_e32 v2, 2, v0
	v_mov_b32_e32 v3, 0
	v_lshl_add_u64 v[2:3], s[54:55], 0, v[2:3]
	flat_load_dword v5, v[2:3] offset:1024
.LBB124_5:
	s_or_b64 exec, exec, s[6:7]
	v_or_b32_e32 v2, 0x200, v0
	v_cmp_gt_u32_e64 s[6:7], s3, v2
	v_mov_b32_e32 v6, v1
	s_and_saveexec_b64 s[8:9], s[6:7]
	s_cbranch_execz .LBB124_7
; %bb.6:
	v_lshlrev_b32_e32 v2, 2, v0
	v_mov_b32_e32 v3, 0
	v_lshl_add_u64 v[2:3], s[54:55], 0, v[2:3]
	flat_load_dword v6, v[2:3] offset:2048
.LBB124_7:
	;; [unrolled: 12-line block ×3, first 2 shown]
	s_or_b64 exec, exec, s[10:11]
	v_or_b32_e32 v2, 0x400, v0
	v_cmp_gt_u32_e64 s[10:11], s3, v2
	v_lshlrev_b32_e32 v2, 2, v2
	v_mov_b32_e32 v3, v1
	s_and_saveexec_b64 s[12:13], s[10:11]
	s_cbranch_execz .LBB124_11
; %bb.10:
	v_mov_b32_e32 v3, 0
	v_lshl_add_u64 v[8:9], s[54:55], 0, v[2:3]
	flat_load_dword v3, v[8:9]
.LBB124_11:
	s_or_b64 exec, exec, s[12:13]
	v_or_b32_e32 v8, 0x500, v0
	v_cmp_gt_u32_e64 s[12:13], s3, v8
	v_lshlrev_b32_e32 v10, 2, v8
	v_mov_b32_e32 v8, v1
	s_and_saveexec_b64 s[14:15], s[12:13]
	s_cbranch_execz .LBB124_13
; %bb.12:
	v_mov_b32_e32 v11, 0
	v_lshl_add_u64 v[8:9], s[54:55], 0, v[10:11]
	flat_load_dword v8, v[8:9]
.LBB124_13:
	s_or_b64 exec, exec, s[14:15]
	v_or_b32_e32 v9, 0x600, v0
	v_cmp_gt_u32_e64 s[14:15], s3, v9
	v_lshlrev_b32_e32 v12, 2, v9
	v_mov_b32_e32 v9, v1
	s_and_saveexec_b64 s[16:17], s[14:15]
	s_cbranch_execz .LBB124_15
; %bb.14:
	v_mov_b32_e32 v13, 0
	v_lshl_add_u64 v[14:15], s[54:55], 0, v[12:13]
	flat_load_dword v9, v[14:15]
.LBB124_15:
	s_or_b64 exec, exec, s[16:17]
	v_or_b32_e32 v11, 0x700, v0
	v_cmp_gt_u32_e64 s[16:17], s3, v11
	v_lshlrev_b32_e32 v14, 2, v11
	v_mov_b32_e32 v11, v1
	s_and_saveexec_b64 s[18:19], s[16:17]
	s_cbranch_execz .LBB124_17
; %bb.16:
	v_mov_b32_e32 v15, 0
	v_lshl_add_u64 v[16:17], s[54:55], 0, v[14:15]
	flat_load_dword v11, v[16:17]
.LBB124_17:
	s_or_b64 exec, exec, s[18:19]
	v_or_b32_e32 v13, 0x800, v0
	v_cmp_gt_u32_e64 s[18:19], s3, v13
	v_lshlrev_b32_e32 v16, 2, v13
	v_mov_b32_e32 v13, v1
	s_and_saveexec_b64 s[20:21], s[18:19]
	s_cbranch_execz .LBB124_19
; %bb.18:
	v_mov_b32_e32 v17, 0
	v_lshl_add_u64 v[18:19], s[54:55], 0, v[16:17]
	flat_load_dword v13, v[18:19]
.LBB124_19:
	s_or_b64 exec, exec, s[20:21]
	v_or_b32_e32 v15, 0x900, v0
	v_cmp_gt_u32_e64 s[20:21], s3, v15
	v_lshlrev_b32_e32 v18, 2, v15
	v_mov_b32_e32 v15, v1
	s_and_saveexec_b64 s[22:23], s[20:21]
	s_cbranch_execz .LBB124_21
; %bb.20:
	v_mov_b32_e32 v19, 0
	v_lshl_add_u64 v[20:21], s[54:55], 0, v[18:19]
	flat_load_dword v15, v[20:21]
.LBB124_21:
	s_or_b64 exec, exec, s[22:23]
	v_or_b32_e32 v17, 0xa00, v0
	v_cmp_gt_u32_e64 s[22:23], s3, v17
	v_lshlrev_b32_e32 v20, 2, v17
	v_mov_b32_e32 v17, v1
	s_and_saveexec_b64 s[24:25], s[22:23]
	s_cbranch_execz .LBB124_23
; %bb.22:
	v_mov_b32_e32 v21, 0
	v_lshl_add_u64 v[22:23], s[54:55], 0, v[20:21]
	flat_load_dword v17, v[22:23]
.LBB124_23:
	s_or_b64 exec, exec, s[24:25]
	v_or_b32_e32 v19, 0xb00, v0
	v_cmp_gt_u32_e64 s[24:25], s3, v19
	v_lshlrev_b32_e32 v22, 2, v19
	v_mov_b32_e32 v19, v1
	s_and_saveexec_b64 s[26:27], s[24:25]
	s_cbranch_execz .LBB124_25
; %bb.24:
	v_mov_b32_e32 v23, 0
	v_lshl_add_u64 v[24:25], s[54:55], 0, v[22:23]
	flat_load_dword v19, v[24:25]
.LBB124_25:
	s_or_b64 exec, exec, s[26:27]
	v_or_b32_e32 v21, 0xc00, v0
	v_cmp_gt_u32_e64 s[26:27], s3, v21
	v_lshlrev_b32_e32 v24, 2, v21
	v_mov_b32_e32 v21, v1
	s_and_saveexec_b64 s[28:29], s[26:27]
	s_cbranch_execz .LBB124_27
; %bb.26:
	v_mov_b32_e32 v25, 0
	v_lshl_add_u64 v[26:27], s[54:55], 0, v[24:25]
	flat_load_dword v21, v[26:27]
.LBB124_27:
	s_or_b64 exec, exec, s[28:29]
	v_or_b32_e32 v23, 0xd00, v0
	v_cmp_gt_u32_e64 s[28:29], s3, v23
	v_lshlrev_b32_e32 v26, 2, v23
	v_mov_b32_e32 v23, v1
	s_and_saveexec_b64 s[30:31], s[28:29]
	s_cbranch_execz .LBB124_29
; %bb.28:
	v_mov_b32_e32 v27, 0
	v_lshl_add_u64 v[28:29], s[54:55], 0, v[26:27]
	flat_load_dword v23, v[28:29]
.LBB124_29:
	s_or_b64 exec, exec, s[30:31]
	v_or_b32_e32 v25, 0xe00, v0
	v_cmp_gt_u32_e64 s[30:31], s3, v25
	v_lshlrev_b32_e32 v28, 2, v25
	v_mov_b32_e32 v25, v1
	s_and_saveexec_b64 s[34:35], s[30:31]
	s_cbranch_execz .LBB124_31
; %bb.30:
	v_mov_b32_e32 v29, 0
	v_lshl_add_u64 v[30:31], s[54:55], 0, v[28:29]
	flat_load_dword v25, v[30:31]
.LBB124_31:
	s_or_b64 exec, exec, s[34:35]
	v_or_b32_e32 v27, 0xf00, v0
	v_cmp_gt_u32_e64 s[34:35], s3, v27
	v_lshlrev_b32_e32 v30, 2, v27
	v_mov_b32_e32 v27, v1
	s_and_saveexec_b64 s[36:37], s[34:35]
	s_cbranch_execz .LBB124_33
; %bb.32:
	v_mov_b32_e32 v31, 0
	v_lshl_add_u64 v[32:33], s[54:55], 0, v[30:31]
	flat_load_dword v27, v[32:33]
.LBB124_33:
	s_or_b64 exec, exec, s[36:37]
	v_or_b32_e32 v29, 0x1000, v0
	v_cmp_gt_u32_e64 s[36:37], s3, v29
	v_lshlrev_b32_e32 v32, 2, v29
	v_mov_b32_e32 v29, v1
	s_and_saveexec_b64 s[38:39], s[36:37]
	s_cbranch_execz .LBB124_35
; %bb.34:
	v_mov_b32_e32 v33, 0
	v_lshl_add_u64 v[34:35], s[54:55], 0, v[32:33]
	flat_load_dword v29, v[34:35]
.LBB124_35:
	s_or_b64 exec, exec, s[38:39]
	v_or_b32_e32 v31, 0x1100, v0
	v_cmp_gt_u32_e64 s[38:39], s3, v31
	v_lshlrev_b32_e32 v34, 2, v31
	v_mov_b32_e32 v31, v1
	s_and_saveexec_b64 s[40:41], s[38:39]
	s_cbranch_execz .LBB124_37
; %bb.36:
	v_mov_b32_e32 v35, 0
	v_lshl_add_u64 v[36:37], s[54:55], 0, v[34:35]
	flat_load_dword v31, v[36:37]
.LBB124_37:
	s_or_b64 exec, exec, s[40:41]
	v_or_b32_e32 v33, 0x1200, v0
	v_cmp_gt_u32_e64 s[40:41], s3, v33
	v_lshlrev_b32_e32 v36, 2, v33
	v_mov_b32_e32 v33, v1
	s_and_saveexec_b64 s[42:43], s[40:41]
	s_cbranch_execz .LBB124_39
; %bb.38:
	v_mov_b32_e32 v37, 0
	v_lshl_add_u64 v[38:39], s[54:55], 0, v[36:37]
	flat_load_dword v33, v[38:39]
.LBB124_39:
	s_or_b64 exec, exec, s[42:43]
	v_or_b32_e32 v35, 0x1300, v0
	v_cmp_gt_u32_e64 s[42:43], s3, v35
	v_lshlrev_b32_e32 v38, 2, v35
	v_mov_b32_e32 v35, v1
	s_and_saveexec_b64 s[44:45], s[42:43]
	s_cbranch_execz .LBB124_41
; %bb.40:
	v_mov_b32_e32 v39, 0
	v_lshl_add_u64 v[40:41], s[54:55], 0, v[38:39]
	flat_load_dword v35, v[40:41]
.LBB124_41:
	s_or_b64 exec, exec, s[44:45]
	v_or_b32_e32 v37, 0x1400, v0
	v_cmp_gt_u32_e64 s[44:45], s3, v37
	v_lshlrev_b32_e32 v40, 2, v37
	v_mov_b32_e32 v37, v1
	s_and_saveexec_b64 s[46:47], s[44:45]
	s_cbranch_execz .LBB124_43
; %bb.42:
	v_mov_b32_e32 v41, 0
	v_lshl_add_u64 v[42:43], s[54:55], 0, v[40:41]
	flat_load_dword v37, v[42:43]
.LBB124_43:
	s_or_b64 exec, exec, s[46:47]
	v_or_b32_e32 v39, 0x1500, v0
	v_cmp_gt_u32_e64 s[46:47], s3, v39
	v_lshlrev_b32_e32 v42, 2, v39
	v_mov_b32_e32 v39, v1
	s_and_saveexec_b64 s[48:49], s[46:47]
	s_cbranch_execz .LBB124_45
; %bb.44:
	v_mov_b32_e32 v43, 0
	v_lshl_add_u64 v[44:45], s[54:55], 0, v[42:43]
	flat_load_dword v39, v[44:45]
.LBB124_45:
	s_or_b64 exec, exec, s[48:49]
	v_or_b32_e32 v41, 0x1600, v0
	v_cmp_gt_u32_e64 s[48:49], s3, v41
	v_lshlrev_b32_e32 v46, 2, v41
	s_and_saveexec_b64 s[60:61], s[48:49]
	s_cbranch_execz .LBB124_47
; %bb.46:
	v_mov_b32_e32 v47, 0
	v_lshl_add_u64 v[44:45], s[54:55], 0, v[46:47]
	flat_load_dword v1, v[44:45]
.LBB124_47:
	s_or_b64 exec, exec, s[60:61]
	v_lshlrev_b32_e32 v44, 2, v0
	s_movk_i32 s60, 0x58
	s_waitcnt vmcnt(0) lgkmcnt(0)
	ds_write2st64_b32 v44, v4, v5 offset1:4
	ds_write2st64_b32 v44, v6, v7 offset0:8 offset1:12
	ds_write2st64_b32 v44, v3, v8 offset0:16 offset1:20
	;; [unrolled: 1-line block ×10, first 2 shown]
	ds_write_b32 v44, v1 offset:22528
	v_mad_u32_u24 v1, v0, s60, v44
	s_waitcnt lgkmcnt(0)
	s_barrier
	ds_read2_b32 v[68:69], v1 offset1:1
	ds_read2_b32 v[66:67], v1 offset0:2 offset1:3
	ds_read2_b32 v[64:65], v1 offset0:4 offset1:5
	;; [unrolled: 1-line block ×10, first 2 shown]
	ds_read_b32 v72, v1 offset:88
	s_cmp_eq_u64 s[76:77], 0
	s_mov_b64 s[60:61], s[54:55]
	s_cbranch_scc1 .LBB124_51
; %bb.48:
	s_andn2_b64 vcc, exec, s[64:65]
	s_cbranch_vccnz .LBB124_263
; %bb.49:
	s_lshl_b64 s[60:61], s[76:77], 2
	s_add_u32 s60, s66, s60
	s_addc_u32 s61, s67, s61
	s_add_u32 s60, s60, -4
	s_addc_u32 s61, s61, -1
	s_cbranch_execnz .LBB124_51
.LBB124_50:
	s_add_u32 s60, s54, -4
	s_addc_u32 s61, s55, -1
.LBB124_51:
	v_mov_b64_e32 v[48:49], s[60:61]
	flat_load_dword v70, v[48:49]
	s_movk_i32 s60, 0xffa8
	v_mad_i32_i24 v3, v0, s60, v1
	v_cmp_ne_u32_e32 vcc, 0, v0
	s_waitcnt lgkmcnt(0)
	ds_write_b32 v3, v72 offset:23552
	s_waitcnt lgkmcnt(0)
	s_barrier
	s_and_saveexec_b64 s[60:61], vcc
	s_cbranch_execz .LBB124_53
; %bb.52:
	v_mul_i32_i24_e32 v3, 0xffffffa8, v0
	v_add_u32_e32 v3, v1, v3
	s_waitcnt vmcnt(0)
	ds_read_b32 v70, v3 offset:23548
.LBB124_53:
	s_or_b64 exec, exec, s[60:61]
	v_mov_b32_e32 v45, 0
	s_waitcnt lgkmcnt(0)
	s_barrier
	s_waitcnt lgkmcnt(0)
                                        ; implicit-def: $vgpr48
	s_and_saveexec_b64 s[60:61], s[50:51]
	s_cbranch_execnz .LBB124_239
; %bb.54:
	s_or_b64 exec, exec, s[60:61]
                                        ; implicit-def: $vgpr49
	s_and_saveexec_b64 s[50:51], s[4:5]
	s_cbranch_execnz .LBB124_240
.LBB124_55:
	s_or_b64 exec, exec, s[50:51]
                                        ; implicit-def: $vgpr50
	s_and_saveexec_b64 s[4:5], s[6:7]
	s_cbranch_execnz .LBB124_241
.LBB124_56:
	s_or_b64 exec, exec, s[4:5]
                                        ; implicit-def: $vgpr45
	s_and_saveexec_b64 s[4:5], s[8:9]
	s_cbranch_execnz .LBB124_242
.LBB124_57:
	s_or_b64 exec, exec, s[4:5]
                                        ; implicit-def: $vgpr3
	s_and_saveexec_b64 s[4:5], s[10:11]
	s_cbranch_execnz .LBB124_243
.LBB124_58:
	s_or_b64 exec, exec, s[4:5]
                                        ; implicit-def: $vgpr2
	s_and_saveexec_b64 s[4:5], s[12:13]
	s_cbranch_execnz .LBB124_244
.LBB124_59:
	s_or_b64 exec, exec, s[4:5]
                                        ; implicit-def: $vgpr10
	s_and_saveexec_b64 s[4:5], s[14:15]
	s_cbranch_execnz .LBB124_245
.LBB124_60:
	s_or_b64 exec, exec, s[4:5]
                                        ; implicit-def: $vgpr11
	s_and_saveexec_b64 s[4:5], s[16:17]
	s_cbranch_execnz .LBB124_246
.LBB124_61:
	s_or_b64 exec, exec, s[4:5]
                                        ; implicit-def: $vgpr12
	s_and_saveexec_b64 s[4:5], s[18:19]
	s_cbranch_execnz .LBB124_247
.LBB124_62:
	s_or_b64 exec, exec, s[4:5]
                                        ; implicit-def: $vgpr13
	s_and_saveexec_b64 s[4:5], s[20:21]
	s_cbranch_execnz .LBB124_248
.LBB124_63:
	s_or_b64 exec, exec, s[4:5]
                                        ; implicit-def: $vgpr14
	s_and_saveexec_b64 s[4:5], s[22:23]
	s_cbranch_execnz .LBB124_249
.LBB124_64:
	s_or_b64 exec, exec, s[4:5]
                                        ; implicit-def: $vgpr15
	s_and_saveexec_b64 s[4:5], s[24:25]
	s_cbranch_execnz .LBB124_250
.LBB124_65:
	s_or_b64 exec, exec, s[4:5]
                                        ; implicit-def: $vgpr16
	s_and_saveexec_b64 s[4:5], s[26:27]
	s_cbranch_execnz .LBB124_251
.LBB124_66:
	s_or_b64 exec, exec, s[4:5]
                                        ; implicit-def: $vgpr17
	s_and_saveexec_b64 s[4:5], s[28:29]
	s_cbranch_execnz .LBB124_252
.LBB124_67:
	s_or_b64 exec, exec, s[4:5]
                                        ; implicit-def: $vgpr18
	s_and_saveexec_b64 s[4:5], s[30:31]
	s_cbranch_execnz .LBB124_253
.LBB124_68:
	s_or_b64 exec, exec, s[4:5]
                                        ; implicit-def: $vgpr19
	s_and_saveexec_b64 s[4:5], s[34:35]
	s_cbranch_execnz .LBB124_254
.LBB124_69:
	s_or_b64 exec, exec, s[4:5]
                                        ; implicit-def: $vgpr20
	s_and_saveexec_b64 s[4:5], s[36:37]
	s_cbranch_execnz .LBB124_255
.LBB124_70:
	s_or_b64 exec, exec, s[4:5]
                                        ; implicit-def: $vgpr21
	s_and_saveexec_b64 s[4:5], s[38:39]
	s_cbranch_execnz .LBB124_256
.LBB124_71:
	s_or_b64 exec, exec, s[4:5]
                                        ; implicit-def: $vgpr22
	s_and_saveexec_b64 s[4:5], s[40:41]
	s_cbranch_execnz .LBB124_257
.LBB124_72:
	s_or_b64 exec, exec, s[4:5]
                                        ; implicit-def: $vgpr23
	s_and_saveexec_b64 s[4:5], s[42:43]
	s_cbranch_execnz .LBB124_258
.LBB124_73:
	s_or_b64 exec, exec, s[4:5]
                                        ; implicit-def: $vgpr24
	s_and_saveexec_b64 s[4:5], s[44:45]
	s_cbranch_execnz .LBB124_259
.LBB124_74:
	s_or_b64 exec, exec, s[4:5]
                                        ; implicit-def: $vgpr25
	s_and_saveexec_b64 s[4:5], s[46:47]
	s_cbranch_execnz .LBB124_260
.LBB124_75:
	s_or_b64 exec, exec, s[4:5]
                                        ; implicit-def: $vgpr26
	s_and_saveexec_b64 s[4:5], s[48:49]
	s_cbranch_execz .LBB124_77
.LBB124_76:
	v_mov_b32_e32 v47, 0
	v_lshl_add_u64 v[26:27], s[52:53], 0, v[46:47]
	flat_load_dword v26, v[26:27]
.LBB124_77:
	s_or_b64 exec, exec, s[4:5]
	v_mul_u32_u24_e32 v73, 23, v0
	s_waitcnt vmcnt(0) lgkmcnt(0)
	ds_write2st64_b32 v44, v48, v49 offset1:4
	ds_write2st64_b32 v44, v50, v45 offset0:8 offset1:12
	ds_write2st64_b32 v44, v3, v2 offset0:16 offset1:20
	;; [unrolled: 1-line block ×10, first 2 shown]
	ds_write_b32 v44, v26 offset:22528
	v_mov_b64_e32 v[10:11], 0
	v_cmp_gt_u32_e32 vcc, s3, v73
	s_mov_b64 s[10:11], 0
	s_mov_b64 s[6:7], 0
	v_mov_b64_e32 v[12:13], v[10:11]
	v_mov_b64_e32 v[14:15], v[10:11]
	;; [unrolled: 1-line block ×21, first 2 shown]
	s_waitcnt lgkmcnt(0)
	s_barrier
	s_waitcnt lgkmcnt(0)
                                        ; implicit-def: $sgpr4_sgpr5
                                        ; implicit-def: $vgpr3
	s_and_saveexec_b64 s[8:9], vcc
	s_cbranch_execz .LBB124_121
; %bb.78:
	ds_read_b32 v10, v1
	v_add_u32_e32 v2, 1, v73
	v_cmp_ne_u32_e32 vcc, v70, v68
	v_mov_b64_e32 v[12:13], 0
	s_mov_b64 s[12:13], 0
	v_cndmask_b32_e64 v11, 0, 1, vcc
	v_cmp_gt_u32_e32 vcc, s3, v2
	s_mov_b64 s[4:5], 0
	v_mov_b64_e32 v[14:15], v[12:13]
	v_mov_b64_e32 v[16:17], v[12:13]
	;; [unrolled: 1-line block ×20, first 2 shown]
                                        ; implicit-def: $sgpr14_sgpr15
                                        ; implicit-def: $vgpr3
	s_and_saveexec_b64 s[10:11], vcc
	s_cbranch_execz .LBB124_120
; %bb.79:
	ds_read2_b32 v[70:71], v1 offset0:1 offset1:2
	v_add_u32_e32 v2, 2, v73
	v_cmp_ne_u32_e32 vcc, v68, v69
	v_mov_b64_e32 v[14:15], 0
	s_mov_b64 s[16:17], 0
	v_cndmask_b32_e64 v13, 0, 1, vcc
	v_cmp_gt_u32_e32 vcc, s3, v2
	s_waitcnt lgkmcnt(0)
	v_mov_b32_e32 v12, v70
	v_mov_b64_e32 v[16:17], v[14:15]
	v_mov_b64_e32 v[18:19], v[14:15]
	;; [unrolled: 1-line block ×19, first 2 shown]
                                        ; implicit-def: $sgpr14_sgpr15
                                        ; implicit-def: $vgpr3
	s_and_saveexec_b64 s[12:13], vcc
	s_cbranch_execz .LBB124_119
; %bb.80:
	v_add_u32_e32 v2, 3, v73
	v_cmp_ne_u32_e32 vcc, v69, v66
	v_mov_b64_e32 v[16:17], 0
	v_mov_b32_e32 v14, v71
	v_cndmask_b32_e64 v15, 0, 1, vcc
	v_cmp_gt_u32_e32 vcc, s3, v2
	v_mov_b64_e32 v[18:19], v[16:17]
	v_mov_b64_e32 v[20:21], v[16:17]
	;; [unrolled: 1-line block ×18, first 2 shown]
                                        ; implicit-def: $sgpr18_sgpr19
                                        ; implicit-def: $vgpr3
	s_and_saveexec_b64 s[14:15], vcc
	s_cbranch_execz .LBB124_118
; %bb.81:
	ds_read2_b32 v[68:69], v1 offset0:3 offset1:4
	v_add_u32_e32 v2, 4, v73
	v_cmp_ne_u32_e32 vcc, v66, v67
	v_mov_b64_e32 v[18:19], 0
	s_mov_b64 s[20:21], 0
	v_cndmask_b32_e64 v17, 0, 1, vcc
	v_cmp_gt_u32_e32 vcc, s3, v2
	s_waitcnt lgkmcnt(0)
	v_mov_b32_e32 v16, v68
	v_mov_b64_e32 v[20:21], v[18:19]
	v_mov_b64_e32 v[22:23], v[18:19]
	v_mov_b64_e32 v[24:25], v[18:19]
	v_mov_b64_e32 v[26:27], v[18:19]
	v_mov_b64_e32 v[28:29], v[18:19]
	v_mov_b64_e32 v[30:31], v[18:19]
	v_mov_b64_e32 v[32:33], v[18:19]
	v_mov_b64_e32 v[34:35], v[18:19]
	v_mov_b64_e32 v[36:37], v[18:19]
	v_mov_b64_e32 v[38:39], v[18:19]
	v_mov_b64_e32 v[40:41], v[18:19]
	v_mov_b64_e32 v[42:43], v[18:19]
	v_mov_b64_e32 v[44:45], v[18:19]
	v_mov_b64_e32 v[46:47], v[18:19]
	v_mov_b64_e32 v[48:49], v[18:19]
	v_mov_b64_e32 v[50:51], v[18:19]
	v_mov_b64_e32 v[52:53], v[18:19]
                                        ; implicit-def: $sgpr18_sgpr19
                                        ; implicit-def: $vgpr3
	s_and_saveexec_b64 s[16:17], vcc
	s_cbranch_execz .LBB124_117
; %bb.82:
	v_add_u32_e32 v2, 5, v73
	v_cmp_ne_u32_e32 vcc, v67, v64
	v_mov_b64_e32 v[20:21], 0
	v_mov_b32_e32 v18, v69
	v_cndmask_b32_e64 v19, 0, 1, vcc
	v_cmp_gt_u32_e32 vcc, s3, v2
	v_mov_b64_e32 v[22:23], v[20:21]
	v_mov_b64_e32 v[24:25], v[20:21]
	;; [unrolled: 1-line block ×16, first 2 shown]
                                        ; implicit-def: $sgpr22_sgpr23
                                        ; implicit-def: $vgpr3
	s_and_saveexec_b64 s[18:19], vcc
	s_cbranch_execz .LBB124_116
; %bb.83:
	ds_read2_b32 v[66:67], v1 offset0:5 offset1:6
	v_add_u32_e32 v2, 6, v73
	v_cmp_ne_u32_e32 vcc, v64, v65
	v_mov_b64_e32 v[22:23], 0
	s_mov_b64 s[24:25], 0
	v_cndmask_b32_e64 v21, 0, 1, vcc
	v_cmp_gt_u32_e32 vcc, s3, v2
	s_waitcnt lgkmcnt(0)
	v_mov_b32_e32 v20, v66
	v_mov_b64_e32 v[24:25], v[22:23]
	v_mov_b64_e32 v[26:27], v[22:23]
	;; [unrolled: 1-line block ×15, first 2 shown]
                                        ; implicit-def: $sgpr22_sgpr23
                                        ; implicit-def: $vgpr3
	s_and_saveexec_b64 s[20:21], vcc
	s_cbranch_execz .LBB124_115
; %bb.84:
	v_add_u32_e32 v2, 7, v73
	v_cmp_ne_u32_e32 vcc, v65, v62
	v_mov_b64_e32 v[24:25], 0
	v_mov_b32_e32 v22, v67
	v_cndmask_b32_e64 v23, 0, 1, vcc
	v_cmp_gt_u32_e32 vcc, s3, v2
	v_mov_b64_e32 v[26:27], v[24:25]
	v_mov_b64_e32 v[28:29], v[24:25]
	;; [unrolled: 1-line block ×14, first 2 shown]
                                        ; implicit-def: $sgpr26_sgpr27
                                        ; implicit-def: $vgpr3
	s_and_saveexec_b64 s[22:23], vcc
	s_cbranch_execz .LBB124_114
; %bb.85:
	ds_read2_b32 v[64:65], v1 offset0:7 offset1:8
	v_add_u32_e32 v2, 8, v73
	v_cmp_ne_u32_e32 vcc, v62, v63
	v_mov_b64_e32 v[26:27], 0
	s_mov_b64 s[28:29], 0
	v_cndmask_b32_e64 v25, 0, 1, vcc
	v_cmp_gt_u32_e32 vcc, s3, v2
	s_waitcnt lgkmcnt(0)
	v_mov_b32_e32 v24, v64
	v_mov_b64_e32 v[28:29], v[26:27]
	v_mov_b64_e32 v[30:31], v[26:27]
	;; [unrolled: 1-line block ×13, first 2 shown]
                                        ; implicit-def: $sgpr26_sgpr27
                                        ; implicit-def: $vgpr3
	s_and_saveexec_b64 s[24:25], vcc
	s_cbranch_execz .LBB124_113
; %bb.86:
	v_add_u32_e32 v2, 9, v73
	v_cmp_ne_u32_e32 vcc, v63, v60
	v_mov_b64_e32 v[28:29], 0
	v_mov_b32_e32 v26, v65
	v_cndmask_b32_e64 v27, 0, 1, vcc
	v_cmp_gt_u32_e32 vcc, s3, v2
	v_mov_b64_e32 v[30:31], v[28:29]
	v_mov_b64_e32 v[32:33], v[28:29]
	;; [unrolled: 1-line block ×12, first 2 shown]
                                        ; implicit-def: $sgpr30_sgpr31
                                        ; implicit-def: $vgpr3
	s_and_saveexec_b64 s[26:27], vcc
	s_cbranch_execz .LBB124_112
; %bb.87:
	ds_read2_b32 v[62:63], v1 offset0:9 offset1:10
	v_add_u32_e32 v2, 10, v73
	v_cmp_ne_u32_e32 vcc, v60, v61
	v_mov_b64_e32 v[30:31], 0
	s_mov_b64 s[34:35], 0
	v_cndmask_b32_e64 v29, 0, 1, vcc
	v_cmp_gt_u32_e32 vcc, s3, v2
	s_waitcnt lgkmcnt(0)
	v_mov_b32_e32 v28, v62
	v_mov_b64_e32 v[32:33], v[30:31]
	v_mov_b64_e32 v[34:35], v[30:31]
	;; [unrolled: 1-line block ×11, first 2 shown]
                                        ; implicit-def: $sgpr30_sgpr31
                                        ; implicit-def: $vgpr3
	s_and_saveexec_b64 s[28:29], vcc
	s_cbranch_execz .LBB124_111
; %bb.88:
	v_add_u32_e32 v2, 11, v73
	v_cmp_ne_u32_e32 vcc, v61, v58
	v_mov_b64_e32 v[32:33], 0
	v_mov_b32_e32 v30, v63
	v_cndmask_b32_e64 v31, 0, 1, vcc
	v_cmp_gt_u32_e32 vcc, s3, v2
	v_mov_b64_e32 v[34:35], v[32:33]
	v_mov_b64_e32 v[36:37], v[32:33]
	;; [unrolled: 1-line block ×10, first 2 shown]
                                        ; implicit-def: $sgpr36_sgpr37
                                        ; implicit-def: $vgpr3
	s_and_saveexec_b64 s[30:31], vcc
	s_cbranch_execz .LBB124_110
; %bb.89:
	ds_read2_b32 v[60:61], v1 offset0:11 offset1:12
	v_add_u32_e32 v2, 12, v73
	v_cmp_ne_u32_e32 vcc, v58, v59
	v_mov_b64_e32 v[34:35], 0
	s_mov_b64 s[38:39], 0
	v_cndmask_b32_e64 v33, 0, 1, vcc
	v_cmp_gt_u32_e32 vcc, s3, v2
	s_waitcnt lgkmcnt(0)
	v_mov_b32_e32 v32, v60
	v_mov_b64_e32 v[36:37], v[34:35]
	v_mov_b64_e32 v[38:39], v[34:35]
	;; [unrolled: 1-line block ×9, first 2 shown]
                                        ; implicit-def: $sgpr36_sgpr37
                                        ; implicit-def: $vgpr3
	s_and_saveexec_b64 s[34:35], vcc
	s_cbranch_execz .LBB124_109
; %bb.90:
	v_add_u32_e32 v2, 13, v73
	v_cmp_ne_u32_e32 vcc, v59, v56
	v_mov_b64_e32 v[36:37], 0
	v_mov_b32_e32 v34, v61
	v_cndmask_b32_e64 v35, 0, 1, vcc
	v_cmp_gt_u32_e32 vcc, s3, v2
	v_mov_b64_e32 v[38:39], v[36:37]
	v_mov_b64_e32 v[40:41], v[36:37]
	v_mov_b64_e32 v[42:43], v[36:37]
	v_mov_b64_e32 v[44:45], v[36:37]
	v_mov_b64_e32 v[46:47], v[36:37]
	v_mov_b64_e32 v[48:49], v[36:37]
	v_mov_b64_e32 v[50:51], v[36:37]
	v_mov_b64_e32 v[52:53], v[36:37]
                                        ; implicit-def: $sgpr40_sgpr41
                                        ; implicit-def: $vgpr3
	s_and_saveexec_b64 s[36:37], vcc
	s_cbranch_execz .LBB124_108
; %bb.91:
	ds_read2_b32 v[58:59], v1 offset0:13 offset1:14
	v_add_u32_e32 v2, 14, v73
	v_cmp_ne_u32_e32 vcc, v56, v57
	v_mov_b64_e32 v[38:39], 0
	s_mov_b64 s[42:43], 0
	v_cndmask_b32_e64 v37, 0, 1, vcc
	v_cmp_gt_u32_e32 vcc, s3, v2
	s_waitcnt lgkmcnt(0)
	v_mov_b32_e32 v36, v58
	v_mov_b64_e32 v[40:41], v[38:39]
	v_mov_b64_e32 v[42:43], v[38:39]
	;; [unrolled: 1-line block ×7, first 2 shown]
                                        ; implicit-def: $sgpr40_sgpr41
                                        ; implicit-def: $vgpr3
	s_and_saveexec_b64 s[38:39], vcc
	s_cbranch_execz .LBB124_107
; %bb.92:
	v_add_u32_e32 v2, 15, v73
	v_cmp_ne_u32_e32 vcc, v57, v54
	v_mov_b64_e32 v[40:41], 0
	v_mov_b32_e32 v38, v59
	v_cndmask_b32_e64 v39, 0, 1, vcc
	v_cmp_gt_u32_e32 vcc, s3, v2
	v_mov_b64_e32 v[42:43], v[40:41]
	v_mov_b64_e32 v[44:45], v[40:41]
	;; [unrolled: 1-line block ×6, first 2 shown]
                                        ; implicit-def: $sgpr44_sgpr45
                                        ; implicit-def: $vgpr3
	s_and_saveexec_b64 s[40:41], vcc
	s_cbranch_execz .LBB124_106
; %bb.93:
	ds_read2_b32 v[56:57], v1 offset0:15 offset1:16
	v_add_u32_e32 v2, 16, v73
	v_cmp_ne_u32_e32 vcc, v54, v55
	v_mov_b64_e32 v[42:43], 0
	s_mov_b64 s[46:47], 0
	v_cndmask_b32_e64 v41, 0, 1, vcc
	v_cmp_gt_u32_e32 vcc, s3, v2
	s_waitcnt lgkmcnt(0)
	v_mov_b32_e32 v40, v56
	v_mov_b64_e32 v[44:45], v[42:43]
	v_mov_b64_e32 v[46:47], v[42:43]
	;; [unrolled: 1-line block ×5, first 2 shown]
                                        ; implicit-def: $sgpr44_sgpr45
                                        ; implicit-def: $vgpr3
	s_and_saveexec_b64 s[42:43], vcc
	s_cbranch_execz .LBB124_105
; %bb.94:
	v_add_u32_e32 v2, 17, v73
	v_cmp_ne_u32_e32 vcc, v55, v8
	v_mov_b64_e32 v[44:45], 0
	v_mov_b32_e32 v42, v57
	v_cndmask_b32_e64 v43, 0, 1, vcc
	v_cmp_gt_u32_e32 vcc, s3, v2
	v_mov_b64_e32 v[46:47], v[44:45]
	v_mov_b64_e32 v[48:49], v[44:45]
	;; [unrolled: 1-line block ×4, first 2 shown]
                                        ; implicit-def: $sgpr48_sgpr49
                                        ; implicit-def: $vgpr3
	s_and_saveexec_b64 s[44:45], vcc
	s_cbranch_execz .LBB124_104
; %bb.95:
	ds_read2_b32 v[54:55], v1 offset0:17 offset1:18
	v_add_u32_e32 v2, 18, v73
	v_cmp_ne_u32_e32 vcc, v8, v9
	v_mov_b64_e32 v[46:47], 0
	s_mov_b64 s[50:51], 0
	v_cndmask_b32_e64 v45, 0, 1, vcc
	v_cmp_gt_u32_e32 vcc, s3, v2
	s_waitcnt lgkmcnt(0)
	v_mov_b32_e32 v44, v54
	v_mov_b64_e32 v[48:49], v[46:47]
	v_mov_b64_e32 v[50:51], v[46:47]
	;; [unrolled: 1-line block ×3, first 2 shown]
                                        ; implicit-def: $sgpr48_sgpr49
                                        ; implicit-def: $vgpr3
	s_and_saveexec_b64 s[46:47], vcc
	s_cbranch_execz .LBB124_103
; %bb.96:
	v_add_u32_e32 v2, 19, v73
	v_cmp_ne_u32_e32 vcc, v9, v6
	v_mov_b64_e32 v[48:49], 0
	v_mov_b32_e32 v46, v55
	v_cndmask_b32_e64 v47, 0, 1, vcc
	v_cmp_gt_u32_e32 vcc, s3, v2
	v_mov_b64_e32 v[50:51], v[48:49]
	v_mov_b64_e32 v[52:53], v[48:49]
                                        ; implicit-def: $sgpr60_sgpr61
                                        ; implicit-def: $vgpr3
	s_and_saveexec_b64 s[48:49], vcc
	s_cbranch_execz .LBB124_102
; %bb.97:
	ds_read2_b32 v[8:9], v1 offset0:19 offset1:20
	v_add_u32_e32 v2, 20, v73
	v_cmp_ne_u32_e32 vcc, v6, v7
	v_mov_b64_e32 v[50:51], 0
	s_mov_b64 s[60:61], 0
	v_cndmask_b32_e64 v49, 0, 1, vcc
	v_cmp_gt_u32_e32 vcc, s3, v2
	s_waitcnt lgkmcnt(0)
	v_mov_b32_e32 v48, v8
	v_mov_b64_e32 v[52:53], v[50:51]
                                        ; implicit-def: $sgpr78_sgpr79
                                        ; implicit-def: $vgpr3
	s_and_saveexec_b64 s[50:51], vcc
	s_cbranch_execz .LBB124_101
; %bb.98:
	v_add_u32_e32 v2, 21, v73
	v_cmp_ne_u32_e32 vcc, v7, v4
	v_mov_b32_e32 v50, v9
	v_mov_b64_e32 v[52:53], 0
	v_cndmask_b32_e64 v51, 0, 1, vcc
	v_cmp_gt_u32_e32 vcc, s3, v2
                                        ; implicit-def: $sgpr78_sgpr79
                                        ; implicit-def: $vgpr3
	s_and_saveexec_b64 s[4:5], vcc
	s_xor_b64 s[80:81], exec, s[4:5]
	s_cbranch_execz .LBB124_100
; %bb.99:
	ds_read2_b32 v[2:3], v1 offset0:21 offset1:22
	v_add_u32_e32 v1, 22, v73
	v_cmp_ne_u32_e64 s[4:5], v4, v5
	v_cmp_ne_u32_e32 vcc, v5, v72
	s_and_b64 s[78:79], vcc, exec
	v_cndmask_b32_e64 v53, 0, 1, s[4:5]
	v_cmp_gt_u32_e64 s[4:5], s3, v1
	s_waitcnt lgkmcnt(0)
	v_mov_b32_e32 v52, v2
	s_and_b64 s[60:61], s[4:5], exec
.LBB124_100:
	s_or_b64 exec, exec, s[80:81]
	s_and_b64 s[78:79], s[78:79], exec
	s_and_b64 s[4:5], s[60:61], exec
.LBB124_101:
	s_or_b64 exec, exec, s[50:51]
	s_and_b64 s[60:61], s[78:79], exec
	s_and_b64 s[50:51], s[4:5], exec
.LBB124_102:
	s_or_b64 exec, exec, s[48:49]
	s_and_b64 s[48:49], s[60:61], exec
	s_and_b64 s[4:5], s[50:51], exec
.LBB124_103:
	s_or_b64 exec, exec, s[46:47]
	s_and_b64 s[48:49], s[48:49], exec
	s_and_b64 s[46:47], s[4:5], exec
.LBB124_104:
	s_or_b64 exec, exec, s[44:45]
	s_and_b64 s[44:45], s[48:49], exec
	s_and_b64 s[4:5], s[46:47], exec
.LBB124_105:
	s_or_b64 exec, exec, s[42:43]
	s_and_b64 s[44:45], s[44:45], exec
	s_and_b64 s[42:43], s[4:5], exec
.LBB124_106:
	s_or_b64 exec, exec, s[40:41]
	s_and_b64 s[40:41], s[44:45], exec
	s_and_b64 s[4:5], s[42:43], exec
.LBB124_107:
	s_or_b64 exec, exec, s[38:39]
	s_and_b64 s[40:41], s[40:41], exec
	s_and_b64 s[38:39], s[4:5], exec
.LBB124_108:
	s_or_b64 exec, exec, s[36:37]
	s_and_b64 s[36:37], s[40:41], exec
	s_and_b64 s[4:5], s[38:39], exec
.LBB124_109:
	s_or_b64 exec, exec, s[34:35]
	s_and_b64 s[36:37], s[36:37], exec
	s_and_b64 s[34:35], s[4:5], exec
.LBB124_110:
	s_or_b64 exec, exec, s[30:31]
	s_and_b64 s[30:31], s[36:37], exec
	s_and_b64 s[4:5], s[34:35], exec
.LBB124_111:
	s_or_b64 exec, exec, s[28:29]
	s_and_b64 s[30:31], s[30:31], exec
	s_and_b64 s[28:29], s[4:5], exec
.LBB124_112:
	s_or_b64 exec, exec, s[26:27]
	s_and_b64 s[26:27], s[30:31], exec
	s_and_b64 s[4:5], s[28:29], exec
.LBB124_113:
	s_or_b64 exec, exec, s[24:25]
	s_and_b64 s[26:27], s[26:27], exec
	s_and_b64 s[24:25], s[4:5], exec
.LBB124_114:
	s_or_b64 exec, exec, s[22:23]
	s_and_b64 s[22:23], s[26:27], exec
	s_and_b64 s[4:5], s[24:25], exec
.LBB124_115:
	s_or_b64 exec, exec, s[20:21]
	s_and_b64 s[22:23], s[22:23], exec
	s_and_b64 s[20:21], s[4:5], exec
.LBB124_116:
	s_or_b64 exec, exec, s[18:19]
	s_and_b64 s[18:19], s[22:23], exec
	s_and_b64 s[4:5], s[20:21], exec
.LBB124_117:
	s_or_b64 exec, exec, s[16:17]
	s_and_b64 s[18:19], s[18:19], exec
	s_and_b64 s[16:17], s[4:5], exec
.LBB124_118:
	s_or_b64 exec, exec, s[14:15]
	s_and_b64 s[14:15], s[18:19], exec
	s_and_b64 s[4:5], s[16:17], exec
.LBB124_119:
	s_or_b64 exec, exec, s[12:13]
	s_and_b64 s[14:15], s[14:15], exec
	s_and_b64 s[12:13], s[4:5], exec
.LBB124_120:
	s_or_b64 exec, exec, s[10:11]
	s_and_b64 s[4:5], s[14:15], exec
	s_and_b64 s[10:11], s[12:13], exec
.LBB124_121:
	s_or_b64 exec, exec, s[8:9]
	s_mov_b64 s[8:9], 0
	s_and_b64 vcc, exec, s[6:7]
	v_lshlrev_b32_e32 v54, 2, v0
	s_cbranch_vccnz .LBB124_123
	s_branch .LBB124_131
.LBB124_122:
                                        ; implicit-def: $sgpr4_sgpr5
                                        ; implicit-def: $vgpr3
                                        ; implicit-def: $vgpr10_vgpr11
                                        ; implicit-def: $vgpr12_vgpr13
                                        ; implicit-def: $vgpr14_vgpr15
                                        ; implicit-def: $vgpr16_vgpr17
                                        ; implicit-def: $vgpr18_vgpr19
                                        ; implicit-def: $vgpr20_vgpr21
                                        ; implicit-def: $vgpr22_vgpr23
                                        ; implicit-def: $vgpr24_vgpr25
                                        ; implicit-def: $vgpr26_vgpr27
                                        ; implicit-def: $vgpr28_vgpr29
                                        ; implicit-def: $vgpr30_vgpr31
                                        ; implicit-def: $vgpr32_vgpr33
                                        ; implicit-def: $vgpr34_vgpr35
                                        ; implicit-def: $vgpr36_vgpr37
                                        ; implicit-def: $vgpr38_vgpr39
                                        ; implicit-def: $vgpr40_vgpr41
                                        ; implicit-def: $vgpr42_vgpr43
                                        ; implicit-def: $vgpr44_vgpr45
                                        ; implicit-def: $vgpr46_vgpr47
                                        ; implicit-def: $vgpr48_vgpr49
                                        ; implicit-def: $vgpr50_vgpr51
                                        ; implicit-def: $vgpr52_vgpr53
                                        ; implicit-def: $sgpr8_sgpr9
	s_and_b64 vcc, exec, s[6:7]
	v_lshlrev_b32_e32 v54, 2, v0
	s_cbranch_vccz .LBB124_131
.LBB124_123:
	v_mov_b32_e32 v55, 0
	v_lshl_add_u64 v[2:3], s[54:55], 0, v[54:55]
	v_add_co_u32_e32 v4, vcc, 0x1000, v2
	s_movk_i32 s3, 0x58
	s_nop 0
	v_addc_co_u32_e32 v5, vcc, 0, v3, vcc
	flat_load_dword v8, v[2:3]
	flat_load_dword v9, v[2:3] offset:1024
	s_waitcnt lgkmcnt(0)
	flat_load_dword v10, v[2:3] offset:2048
	flat_load_dword v11, v[2:3] offset:3072
	flat_load_dword v12, v[4:5]
	flat_load_dword v13, v[4:5] offset:1024
	flat_load_dword v14, v[4:5] offset:2048
	;; [unrolled: 1-line block ×3, first 2 shown]
	v_add_co_u32_e32 v4, vcc, 0x2000, v2
	v_mad_u32_u24 v1, v0, s3, v54
	s_nop 0
	v_addc_co_u32_e32 v5, vcc, 0, v3, vcc
	v_add_co_u32_e32 v6, vcc, 0x3000, v2
	s_cmp_eq_u64 s[76:77], 0
	s_nop 0
	v_addc_co_u32_e32 v7, vcc, 0, v3, vcc
	flat_load_dword v16, v[4:5]
	flat_load_dword v17, v[4:5] offset:1024
	flat_load_dword v18, v[4:5] offset:2048
	;; [unrolled: 1-line block ×3, first 2 shown]
	flat_load_dword v20, v[6:7]
	flat_load_dword v21, v[6:7] offset:1024
	flat_load_dword v22, v[6:7] offset:2048
	;; [unrolled: 1-line block ×3, first 2 shown]
	v_add_co_u32_e32 v4, vcc, 0x4000, v2
	s_nop 1
	v_addc_co_u32_e32 v5, vcc, 0, v3, vcc
	v_add_co_u32_e32 v2, vcc, 0x5000, v2
	s_nop 1
	v_addc_co_u32_e32 v3, vcc, 0, v3, vcc
	flat_load_dword v6, v[4:5]
	flat_load_dword v7, v[4:5] offset:1024
	flat_load_dword v24, v[4:5] offset:2048
	;; [unrolled: 1-line block ×3, first 2 shown]
	flat_load_dword v26, v[2:3]
	flat_load_dword v27, v[2:3] offset:1024
	flat_load_dword v28, v[2:3] offset:2048
	s_waitcnt vmcnt(0)
	ds_write2st64_b32 v54, v8, v9 offset1:4
	s_waitcnt lgkmcnt(0)
	ds_write2st64_b32 v54, v10, v11 offset0:8 offset1:12
	ds_write2st64_b32 v54, v12, v13 offset0:16 offset1:20
	;; [unrolled: 1-line block ×10, first 2 shown]
	ds_write_b32 v54, v28 offset:22528
	s_waitcnt lgkmcnt(0)
	s_barrier
	ds_read2_b32 v[2:3], v1 offset1:1
	ds_read2_b32 v[18:19], v1 offset0:2 offset1:3
	ds_read2_b32 v[22:23], v1 offset0:4 offset1:5
	ds_read2_b32 v[26:27], v1 offset0:6 offset1:7
	ds_read2_b32 v[30:31], v1 offset0:8 offset1:9
	ds_read2_b32 v[34:35], v1 offset0:10 offset1:11
	ds_read2_b32 v[38:39], v1 offset0:12 offset1:13
	ds_read2_b32 v[42:43], v1 offset0:14 offset1:15
	ds_read2_b32 v[8:9], v1 offset0:16 offset1:17
	ds_read2_b32 v[6:7], v1 offset0:18 offset1:19
	ds_read2_b32 v[4:5], v1 offset0:20 offset1:21
	ds_read_b32 v10, v1 offset:88
	s_cbranch_scc1 .LBB124_128
; %bb.124:
	s_andn2_b64 vcc, exec, s[64:65]
	s_cbranch_vccnz .LBB124_264
; %bb.125:
	s_lshl_b64 s[4:5], s[76:77], 2
	s_add_u32 s3, s66, s4
	s_addc_u32 s5, s67, s5
	s_add_u32 s4, s3, -4
	s_addc_u32 s5, s5, -1
	s_cbranch_execnz .LBB124_127
.LBB124_126:
	s_add_u32 s4, s54, -4
	s_addc_u32 s5, s55, -1
.LBB124_127:
	s_mov_b64 s[54:55], s[4:5]
.LBB124_128:
	v_mov_b64_e32 v[12:13], s[54:55]
	flat_load_dword v11, v[12:13]
	s_movk_i32 s3, 0xffa8
	v_mad_i32_i24 v12, v0, s3, v1
	v_cmp_ne_u32_e32 vcc, 0, v0
	s_waitcnt lgkmcnt(0)
	ds_write_b32 v12, v10 offset:23552
	s_waitcnt lgkmcnt(0)
	s_barrier
	s_and_saveexec_b64 s[4:5], vcc
	s_cbranch_execz .LBB124_130
; %bb.129:
	s_waitcnt vmcnt(0)
	v_mul_i32_i24_e32 v11, 0xffffffa8, v0
	v_add_u32_e32 v11, v1, v11
	ds_read_b32 v11, v11 offset:23548
.LBB124_130:
	s_or_b64 exec, exec, s[4:5]
	v_mov_b32_e32 v55, 0
	v_lshl_add_u64 v[12:13], s[52:53], 0, v[54:55]
	s_movk_i32 s3, 0x1000
	v_add_co_u32_e32 v14, vcc, s3, v12
	s_movk_i32 s3, 0x2000
	s_nop 0
	v_addc_co_u32_e32 v15, vcc, 0, v13, vcc
	s_waitcnt lgkmcnt(0)
	s_barrier
	flat_load_dword v20, v[12:13]
	flat_load_dword v21, v[12:13] offset:1024
	flat_load_dword v24, v[12:13] offset:2048
	;; [unrolled: 1-line block ×3, first 2 shown]
	flat_load_dword v28, v[14:15]
	flat_load_dword v29, v[14:15] offset:1024
	flat_load_dword v32, v[14:15] offset:2048
	;; [unrolled: 1-line block ×3, first 2 shown]
	v_add_co_u32_e32 v14, vcc, s3, v12
	s_movk_i32 s3, 0x3000
	s_nop 0
	v_addc_co_u32_e32 v15, vcc, 0, v13, vcc
	v_add_co_u32_e32 v16, vcc, s3, v12
	s_movk_i32 s3, 0x4000
	s_nop 0
	v_addc_co_u32_e32 v17, vcc, 0, v13, vcc
	flat_load_dword v36, v[14:15]
	flat_load_dword v37, v[14:15] offset:1024
	flat_load_dword v40, v[14:15] offset:2048
	;; [unrolled: 1-line block ×3, first 2 shown]
	flat_load_dword v44, v[16:17]
	flat_load_dword v45, v[16:17] offset:1024
	flat_load_dword v46, v[16:17] offset:2048
	;; [unrolled: 1-line block ×3, first 2 shown]
	v_add_co_u32_e32 v14, vcc, s3, v12
	s_movk_i32 s3, 0x5000
	s_nop 0
	v_addc_co_u32_e32 v15, vcc, 0, v13, vcc
	v_add_co_u32_e32 v12, vcc, s3, v12
	v_cmp_ne_u32_e64 s[4:5], v5, v10
	s_nop 0
	v_addc_co_u32_e32 v13, vcc, 0, v13, vcc
	flat_load_dword v16, v[14:15]
	flat_load_dword v17, v[14:15] offset:1024
	flat_load_dword v48, v[14:15] offset:2048
	;; [unrolled: 1-line block ×3, first 2 shown]
	flat_load_dword v50, v[12:13]
	flat_load_dword v51, v[12:13] offset:1024
	flat_load_dword v52, v[12:13] offset:2048
	s_waitcnt vmcnt(0)
	v_cmp_ne_u32_e32 vcc, v11, v2
	s_mov_b64 s[10:11], -1
                                        ; implicit-def: $sgpr8_sgpr9
	s_waitcnt lgkmcnt(0)
	ds_write2st64_b32 v54, v20, v21 offset1:4
	ds_write2st64_b32 v54, v24, v25 offset0:8 offset1:12
	ds_write2st64_b32 v54, v28, v29 offset0:16 offset1:20
	;; [unrolled: 1-line block ×10, first 2 shown]
	ds_write_b32 v54, v52 offset:22528
	v_cndmask_b32_e64 v11, 0, 1, vcc
	v_cmp_ne_u32_e32 vcc, v2, v3
	s_waitcnt lgkmcnt(0)
	s_barrier
	v_cndmask_b32_e64 v13, 0, 1, vcc
	v_cmp_ne_u32_e32 vcc, v3, v18
	ds_read2_b32 v[16:17], v1 offset1:1
	ds_read2_b32 v[20:21], v1 offset0:2 offset1:3
	ds_read2_b32 v[24:25], v1 offset0:4 offset1:5
	;; [unrolled: 1-line block ×10, first 2 shown]
	ds_read_b32 v3, v1 offset:88
	v_cndmask_b32_e64 v15, 0, 1, vcc
	v_cmp_ne_u32_e32 vcc, v18, v19
	s_waitcnt lgkmcnt(11)
	v_mov_b32_e32 v12, v17
	v_mov_b32_e32 v10, v16
	v_cndmask_b32_e64 v17, 0, 1, vcc
	v_cmp_ne_u32_e32 vcc, v19, v22
	s_waitcnt lgkmcnt(10)
	v_mov_b32_e32 v16, v21
	v_mov_b32_e32 v14, v20
	;; [unrolled: 5-line block ×5, first 2 shown]
	v_cndmask_b32_e64 v25, 0, 1, vcc
	v_cmp_ne_u32_e32 vcc, v27, v30
	s_waitcnt lgkmcnt(6)
	v_mov_b32_e32 v32, v37
	s_waitcnt lgkmcnt(2)
	v_mov_b32_e32 v48, v51
	v_cndmask_b32_e64 v27, 0, 1, vcc
	v_cmp_ne_u32_e32 vcc, v30, v31
	v_mov_b32_e32 v30, v36
	v_mov_b32_e32 v36, v41
	v_cndmask_b32_e64 v29, 0, 1, vcc
	v_cmp_ne_u32_e32 vcc, v31, v34
	s_waitcnt lgkmcnt(1)
	v_mov_b32_e32 v52, v57
	v_cndmask_b32_e64 v31, 0, 1, vcc
	v_cmp_ne_u32_e32 vcc, v34, v35
	v_mov_b32_e32 v34, v40
	v_mov_b32_e32 v40, v45
	v_cndmask_b32_e64 v33, 0, 1, vcc
	v_cmp_ne_u32_e32 vcc, v35, v38
	s_nop 1
	v_cndmask_b32_e64 v35, 0, 1, vcc
	v_cmp_ne_u32_e32 vcc, v38, v39
	v_mov_b32_e32 v38, v44
	v_mov_b32_e32 v44, v47
	v_cndmask_b32_e64 v37, 0, 1, vcc
	v_cmp_ne_u32_e32 vcc, v39, v42
	s_nop 1
	v_cndmask_b32_e64 v39, 0, 1, vcc
	v_cmp_ne_u32_e32 vcc, v42, v43
	v_mov_b32_e32 v42, v46
	v_mov_b32_e32 v46, v50
	v_cndmask_b32_e64 v41, 0, 1, vcc
	v_cmp_ne_u32_e32 vcc, v43, v8
	v_mov_b32_e32 v50, v56
	s_nop 0
	v_cndmask_b32_e64 v43, 0, 1, vcc
	v_cmp_ne_u32_e32 vcc, v8, v9
	s_nop 1
	v_cndmask_b32_e64 v45, 0, 1, vcc
	v_cmp_ne_u32_e32 vcc, v9, v6
	;; [unrolled: 3-line block ×5, first 2 shown]
	s_nop 1
	v_cndmask_b32_e64 v53, 0, 1, vcc
.LBB124_131:
	v_mov_b64_e32 v[56:57], s[8:9]
	s_and_saveexec_b64 s[6:7], s[10:11]
	s_cbranch_execz .LBB124_133
; %bb.132:
	v_cndmask_b32_e64 v57, 0, 1, s[4:5]
	s_waitcnt lgkmcnt(0)
	v_mov_b32_e32 v56, v3
.LBB124_133:
	s_or_b64 exec, exec, s[6:7]
	s_mov_b32 s46, 0
	s_cmp_lg_u32 s2, 0
	v_or_b32_e32 v55, v57, v53
	v_lshrrev_b32_e32 v1, 5, v0
	v_cmp_gt_u32_e32 vcc, 64, v0
	s_waitcnt lgkmcnt(0)
	s_barrier
	s_cbranch_scc0 .LBB124_168
; %bb.134:
	s_mov_b32 s47, 1
	v_cmp_gt_u64_e64 s[52:53], s[46:47], v[12:13]
	v_cmp_gt_u64_e64 s[4:5], s[46:47], v[14:15]
	v_cmp_gt_u64_e64 s[6:7], s[46:47], v[16:17]
	v_cndmask_b32_e64 v2, 0, v10, s[52:53]
	v_add_u32_e32 v2, v2, v12
	v_cndmask_b32_e64 v2, 0, v2, s[4:5]
	v_add_u32_e32 v2, v2, v14
	v_cndmask_b32_e64 v2, 0, v2, s[6:7]
	v_add_u32_e32 v2, v2, v16
	v_cmp_gt_u64_e64 s[8:9], s[46:47], v[18:19]
	v_cmp_gt_u64_e64 s[10:11], s[46:47], v[20:21]
	v_cmp_gt_u64_e64 s[12:13], s[46:47], v[22:23]
	v_cndmask_b32_e64 v2, 0, v2, s[8:9]
	v_add_u32_e32 v2, v2, v18
	v_cndmask_b32_e64 v2, 0, v2, s[10:11]
	v_add_u32_e32 v2, v2, v20
	v_cndmask_b32_e64 v2, 0, v2, s[12:13]
	v_add_u32_e32 v2, v2, v22
	;; [unrolled: 9-line block ×7, first 2 shown]
	v_cmp_gt_u64_e64 s[46:47], s[46:47], v[56:57]
	s_nop 1
	v_cndmask_b32_e64 v2, 0, v2, s[46:47]
	v_add_u32_e32 v62, v2, v56
	v_or3_b32 v2, v55, v51, v49
	v_or3_b32 v2, v2, v47, v45
	;; [unrolled: 1-line block ×10, first 2 shown]
	v_and_b32_e32 v2, 1, v2
	v_cmp_eq_u32_e64 s[48:49], 1, v2
	v_add_lshl_u32 v2, v1, v0, 3
	s_nop 0
	v_cndmask_b32_e64 v63, v11, 1, s[48:49]
	ds_write_b32 v2, v62
	ds_write_b8 v2, v63 offset:4
	s_waitcnt lgkmcnt(0)
	s_barrier
	s_and_saveexec_b64 s[50:51], vcc
	s_cbranch_execz .LBB124_146
; %bb.135:
	v_lshrrev_b32_e32 v2, 3, v0
	v_add_lshl_u32 v4, v2, v54, 3
	ds_read2_b32 v[6:7], v4 offset0:2 offset1:4
	ds_read_b64 v[2:3], v4
	ds_read_u8 v8, v4 offset:12
	ds_read_u8 v9, v4 offset:20
	ds_read_b32 v58, v4 offset:24
	ds_read_u8 v59, v4 offset:28
	v_mov_b32_e32 v60, 0
	s_waitcnt lgkmcnt(3)
	v_cmp_eq_u16_sdwa s[48:49], v8, v60 src0_sel:BYTE_0 src1_sel:DWORD
	v_and_b32_e32 v5, 1, v3
	s_nop 0
	v_cndmask_b32_e64 v61, 0, v2, s[48:49]
	v_add_u32_e32 v6, v61, v6
	s_waitcnt lgkmcnt(2)
	v_cmp_eq_u16_sdwa s[48:49], v9, v60 src0_sel:BYTE_0 src1_sel:DWORD
	s_nop 1
	v_cndmask_b32_e64 v6, 0, v6, s[48:49]
	v_add_u32_e32 v6, v6, v7
	s_waitcnt lgkmcnt(0)
	v_cmp_eq_u16_e64 s[48:49], 0, v59
	s_nop 1
	v_cndmask_b32_e64 v6, 0, v6, s[48:49]
	v_add_u32_e32 v7, v6, v58
	v_or_b32_e32 v6, v59, v9
	v_or_b32_e32 v6, v6, v8
	v_and_b32_e32 v6, 1, v6
	v_cmp_eq_u32_e64 s[48:49], 1, v6
	v_mbcnt_lo_u32_b32 v8, -1, 0
	v_and_b32_e32 v6, 0xffffff00, v3
	v_cndmask_b32_e64 v9, v5, 1, s[48:49]
	v_mbcnt_hi_u32_b32 v8, -1, v8
	v_and_b32_e32 v59, 15, v8
	v_or_b32_sdwa v58, v6, v9 dst_sel:DWORD dst_unused:UNUSED_PAD src0_sel:DWORD src1_sel:WORD_0
	v_mov_b32_dpp v60, v7 row_shr:1 row_mask:0xf bank_mask:0xf
	v_cmp_ne_u32_e64 s[48:49], 0, v59
	v_mov_b32_dpp v61, v58 row_shr:1 row_mask:0xf bank_mask:0xf
	s_and_saveexec_b64 s[54:55], s[48:49]
; %bb.136:
	v_and_b32_e32 v58, 1, v9
	v_and_b32_e32 v61, 1, v61
	v_cmp_eq_u32_e64 s[48:49], 1, v58
	s_nop 1
	v_cndmask_b32_e64 v61, v61, 1, s[48:49]
	v_cmp_eq_u16_e64 s[48:49], 0, v9
	v_or_b32_sdwa v58, v6, v61 dst_sel:DWORD dst_unused:UNUSED_PAD src0_sel:DWORD src1_sel:WORD_0
	s_nop 0
	v_cndmask_b32_e64 v9, 0, v60, s[48:49]
	v_add_u32_e32 v7, v9, v7
	v_mov_b32_e32 v9, v61
; %bb.137:
	s_or_b64 exec, exec, s[54:55]
	v_mov_b32_dpp v60, v7 row_shr:2 row_mask:0xf bank_mask:0xf
	v_mov_b32_dpp v61, v58 row_shr:2 row_mask:0xf bank_mask:0xf
	v_cmp_lt_u32_e64 s[48:49], 1, v59
	s_and_saveexec_b64 s[54:55], s[48:49]
; %bb.138:
	v_and_b32_e32 v58, 1, v9
	v_and_b32_e32 v61, 1, v61
	v_cmp_eq_u32_e64 s[48:49], 1, v58
	s_nop 1
	v_cndmask_b32_e64 v61, v61, 1, s[48:49]
	v_cmp_eq_u16_e64 s[48:49], 0, v9
	v_or_b32_sdwa v58, v6, v61 dst_sel:DWORD dst_unused:UNUSED_PAD src0_sel:DWORD src1_sel:WORD_0
	s_nop 0
	v_cndmask_b32_e64 v9, 0, v60, s[48:49]
	v_add_u32_e32 v7, v9, v7
	v_mov_b32_e32 v9, v61
; %bb.139:
	s_or_b64 exec, exec, s[54:55]
	v_mov_b32_dpp v60, v7 row_shr:4 row_mask:0xf bank_mask:0xf
	v_mov_b32_dpp v61, v58 row_shr:4 row_mask:0xf bank_mask:0xf
	v_cmp_lt_u32_e64 s[48:49], 3, v59
	;; [unrolled: 18-line block ×3, first 2 shown]
	s_and_saveexec_b64 s[54:55], s[48:49]
; %bb.142:
	v_and_b32_e32 v58, 1, v9
	v_and_b32_e32 v59, 1, v61
	v_cmp_eq_u32_e64 s[48:49], 1, v58
	s_nop 1
	v_cndmask_b32_e64 v59, v59, 1, s[48:49]
	v_cmp_eq_u16_e64 s[48:49], 0, v9
	v_or_b32_sdwa v58, v6, v59 dst_sel:DWORD dst_unused:UNUSED_PAD src0_sel:DWORD src1_sel:WORD_0
	s_nop 0
	v_cndmask_b32_e64 v9, 0, v60, s[48:49]
	v_add_u32_e32 v7, v9, v7
	v_mov_b32_e32 v9, v59
; %bb.143:
	s_or_b64 exec, exec, s[54:55]
	v_and_b32_e32 v61, 16, v8
	v_mov_b32_dpp v59, v7 row_bcast:15 row_mask:0xf bank_mask:0xf
	v_mov_b32_dpp v60, v58 row_bcast:15 row_mask:0xf bank_mask:0xf
	v_cmp_ne_u32_e64 s[48:49], 0, v61
	s_and_saveexec_b64 s[54:55], s[48:49]
; %bb.144:
	v_and_b32_e32 v58, 1, v9
	v_and_b32_e32 v60, 1, v60
	v_cmp_eq_u32_e64 s[48:49], 1, v58
	s_nop 1
	v_cndmask_b32_e64 v60, v60, 1, s[48:49]
	v_cmp_eq_u16_e64 s[48:49], 0, v9
	v_or_b32_sdwa v58, v6, v60 dst_sel:DWORD dst_unused:UNUSED_PAD src0_sel:DWORD src1_sel:WORD_0
	s_nop 0
	v_cndmask_b32_e64 v9, 0, v59, s[48:49]
	v_add_u32_e32 v7, v9, v7
	v_mov_b32_e32 v9, v60
; %bb.145:
	s_or_b64 exec, exec, s[54:55]
	v_mov_b32_dpp v58, v58 row_bcast:31 row_mask:0xf bank_mask:0xf
	v_and_b32_e32 v60, 1, v9
	v_and_b32_e32 v58, 1, v58
	v_cmp_eq_u32_e64 s[48:49], 1, v60
	v_mov_b32_e32 v60, 0
	v_cmp_eq_u16_sdwa s[54:55], v9, v60 src0_sel:BYTE_0 src1_sel:DWORD
	v_cndmask_b32_e64 v58, v58, 1, s[48:49]
	v_cmp_lt_u32_e64 s[48:49], 31, v8
	v_mov_b32_dpp v59, v7 row_bcast:31 row_mask:0xf bank_mask:0xf
	s_movk_i32 s3, 0xff
	v_cndmask_b32_e64 v9, v9, v58, s[48:49]
	s_and_b64 s[48:49], s[48:49], s[54:55]
	v_cndmask_b32_e64 v58, 0, v59, s[48:49]
	v_add_u32_e32 v7, v58, v7
	v_add_u32_e32 v58, -1, v8
	v_and_b32_e32 v59, 64, v8
	v_cmp_lt_i32_e64 s[48:49], v58, v59
	v_and_or_b32 v6, v9, s3, v6
	s_nop 0
	v_cndmask_b32_e64 v8, v58, v8, s[48:49]
	v_lshlrev_b32_e32 v8, 2, v8
	ds_bpermute_b32 v7, v8, v7
	ds_bpermute_b32 v6, v8, v6
	v_cmp_eq_u16_sdwa s[48:49], v3, v60 src0_sel:BYTE_0 src1_sel:DWORD
	; wave barrier
	s_waitcnt lgkmcnt(1)
	s_nop 0
	v_cndmask_b32_e64 v3, 0, v7, s[48:49]
	v_add_u32_e32 v2, v3, v2
	s_waitcnt lgkmcnt(0)
	v_and_b32_e32 v3, 1, v6
	v_cmp_eq_u32_e64 s[48:49], 1, v5
	s_nop 1
	v_cndmask_b32_e64 v3, v3, 1, s[48:49]
	v_cmp_eq_u32_e64 s[48:49], 0, v0
	s_nop 1
	v_cndmask_b32_e64 v5, v2, v62, s[48:49]
	v_cndmask_b32_e64 v6, v3, v63, s[48:49]
	ds_write_b32 v4, v5
	ds_write_b8 v4, v6 offset:4
	; wave barrier
	ds_read_u8 v7, v4 offset:12
	ds_read2_b32 v[2:3], v4 offset0:2 offset1:4
	ds_read_u8 v8, v4 offset:20
	ds_read_b32 v9, v4 offset:24
	ds_read_u8 v58, v4 offset:28
	s_waitcnt lgkmcnt(4)
	v_cmp_eq_u16_e64 s[48:49], 0, v7
	s_nop 1
	v_cndmask_b32_e64 v5, 0, v5, s[48:49]
	s_waitcnt lgkmcnt(3)
	v_add_u32_e32 v2, v5, v2
	v_and_b32_e32 v5, 1, v7
	v_cmp_eq_u32_e64 s[48:49], 1, v5
	s_nop 1
	v_cndmask_b32_e64 v5, v6, 1, s[48:49]
	s_waitcnt lgkmcnt(2)
	v_cmp_eq_u16_e64 s[48:49], 0, v8
	ds_write_b8 v4, v5 offset:12
	s_nop 0
	v_cndmask_b32_e64 v6, 0, v2, s[48:49]
	v_add_u32_e32 v3, v6, v3
	v_and_b32_e32 v6, 1, v8
	v_cmp_eq_u32_e64 s[48:49], 1, v6
	s_nop 1
	v_cndmask_b32_e64 v5, v5, 1, s[48:49]
	s_waitcnt lgkmcnt(1)
	v_cmp_eq_u16_e64 s[48:49], 0, v58
	ds_write2_b32 v4, v2, v3 offset0:2 offset1:4
	ds_write_b8 v4, v5 offset:20
	v_cndmask_b32_e64 v2, 0, v3, s[48:49]
	v_and_b32_e32 v3, 1, v58
	v_add_u32_e32 v2, v2, v9
	v_cmp_eq_u32_e64 s[48:49], 1, v3
	s_nop 1
	v_cndmask_b32_e64 v3, v5, 1, s[48:49]
	ds_write_b32 v4, v2 offset:24
	ds_write_b8 v4, v3 offset:28
.LBB124_146:
	s_or_b64 exec, exec, s[50:51]
	v_cmp_eq_u32_e64 s[48:49], 0, v0
	v_cmp_ne_u32_e64 s[50:51], 0, v0
	s_waitcnt lgkmcnt(0)
	s_barrier
	s_and_saveexec_b64 s[54:55], s[50:51]
	s_cbranch_execz .LBB124_148
; %bb.147:
	v_add_u32_e32 v2, -1, v0
	v_lshrrev_b32_e32 v3, 5, v2
	v_add_lshl_u32 v2, v3, v2, 3
	ds_read_b32 v62, v2
	ds_read_u8 v63, v2 offset:4
.LBB124_148:
	s_or_b64 exec, exec, s[54:55]
	s_and_saveexec_b64 s[60:61], vcc
	s_cbranch_execz .LBB124_167
; %bb.149:
	v_mov_b32_e32 v5, 0
	ds_read_b64 v[2:3], v5 offset:2096
	v_mbcnt_lo_u32_b32 v4, -1, 0
	v_mbcnt_hi_u32_b32 v73, -1, v4
	s_mov_b32 s65, 0
	v_cmp_eq_u32_e64 s[50:51], 0, v73
	s_waitcnt lgkmcnt(0)
	v_readfirstlane_b32 s3, v3
	s_and_saveexec_b64 s[54:55], s[50:51]
	s_cbranch_execz .LBB124_151
; %bb.150:
	s_add_i32 s64, s2, 64
	s_lshl_b64 s[66:67], s[64:65], 4
	s_add_u32 s66, s68, s66
	s_addc_u32 s67, s69, s67
	s_and_b32 s77, s3, 0xff000000
	s_mov_b32 s76, s65
	s_and_b32 s79, s3, 0xff0000
	s_mov_b32 s78, s65
	s_or_b64 s[76:77], s[78:79], s[76:77]
	s_and_b32 s79, s3, 0xff00
	s_or_b64 s[76:77], s[76:77], s[78:79]
	s_and_b32 s79, s3, 0xff
	s_or_b64 s[64:65], s[76:77], s[78:79]
	v_mov_b32_e32 v3, s65
	v_mov_b32_e32 v4, 1
	v_mov_b64_e32 v[6:7], s[66:67]
	;;#ASMSTART
	global_store_dwordx4 v[6:7], v[2:5] off sc1	
s_waitcnt vmcnt(0)
	;;#ASMEND
.LBB124_151:
	s_or_b64 exec, exec, s[54:55]
	v_xad_u32 v58, v73, -1, s2
	v_add_u32_e32 v4, 64, v58
	v_lshl_add_u64 v[60:61], v[4:5], 4, s[68:69]
	;;#ASMSTART
	global_load_dwordx4 v[6:9], v[60:61] off sc1	
s_waitcnt vmcnt(0)
	;;#ASMEND
	s_nop 0
	v_and_b32_e32 v3, 0xff0000, v6
	v_and_b32_e32 v4, 0xff000000, v6
	;; [unrolled: 1-line block ×3, first 2 shown]
	v_or_b32_sdwa v3, v6, v3 dst_sel:DWORD dst_unused:UNUSED_PAD src0_sel:WORD_0 src1_sel:DWORD
	v_or3_b32 v7, 0, 0, v7
	v_or3_b32 v6, v3, v4, 0
	v_cmp_eq_u16_sdwa s[64:65], v8, v5 src0_sel:BYTE_0 src1_sel:DWORD
	s_and_saveexec_b64 s[54:55], s[64:65]
	s_cbranch_execz .LBB124_155
; %bb.152:
	s_mov_b64 s[64:65], 0
	v_mov_b32_e32 v3, 0
.LBB124_153:                            ; =>This Inner Loop Header: Depth=1
	;;#ASMSTART
	global_load_dwordx4 v[6:9], v[60:61] off sc1	
s_waitcnt vmcnt(0)
	;;#ASMEND
	s_nop 0
	v_cmp_ne_u16_sdwa s[66:67], v8, v3 src0_sel:BYTE_0 src1_sel:DWORD
	s_or_b64 s[64:65], s[66:67], s[64:65]
	s_andn2_b64 exec, exec, s[64:65]
	s_cbranch_execnz .LBB124_153
; %bb.154:
	s_or_b64 exec, exec, s[64:65]
	v_and_b32_e32 v7, 0xff, v7
.LBB124_155:
	s_or_b64 exec, exec, s[54:55]
	v_mov_b32_e32 v3, 2
	v_cmp_eq_u16_sdwa s[54:55], v8, v3 src0_sel:BYTE_0 src1_sel:DWORD
	v_lshlrev_b64 v[4:5], v73, -1
	v_and_b32_e32 v64, 63, v73
	v_and_b32_e32 v9, s55, v5
	v_or_b32_e32 v9, 0x80000000, v9
	v_and_b32_e32 v59, s54, v4
	v_ffbl_b32_e32 v9, v9
	v_add_u32_e32 v9, 32, v9
	v_ffbl_b32_e32 v59, v59
	v_cmp_ne_u32_e32 vcc, 63, v64
	v_min_u32_e32 v9, v59, v9
	s_mov_b32 s64, 0
	v_addc_co_u32_e32 v59, vcc, 0, v73, vcc
	v_lshlrev_b32_e32 v65, 2, v59
	ds_bpermute_b32 v59, v65, v7
	ds_bpermute_b32 v60, v65, v6
	v_and_b32_e32 v61, 1, v7
	s_mov_b32 s65, 1
	v_cmp_eq_u32_e32 vcc, 1, v61
	s_waitcnt lgkmcnt(1)
	v_and_b32_e32 v59, 1, v59
	v_cmp_lt_u32_e64 s[54:55], v64, v9
	v_cndmask_b32_e64 v59, v59, 1, vcc
	v_cmp_gt_u64_e32 vcc, s[64:65], v[6:7]
	s_and_b64 vcc, s[54:55], vcc
	v_and_b32_e32 v61, 0xffff, v59
	v_cndmask_b32_e64 v68, v7, v59, s[54:55]
	s_waitcnt lgkmcnt(0)
	v_cndmask_b32_e32 v59, 0, v60, vcc
	v_cmp_gt_u32_e32 vcc, 62, v64
	v_cndmask_b32_e64 v7, v7, v61, s[54:55]
	v_add_u32_e32 v6, v59, v6
	v_cndmask_b32_e64 v60, 0, 1, vcc
	v_lshlrev_b32_e32 v60, 1, v60
	v_add_lshl_u32 v66, v60, v73, 2
	ds_bpermute_b32 v60, v66, v7
	ds_bpermute_b32 v61, v66, v6
	v_and_b32_e32 v59, 1, v68
	v_cmp_eq_u32_e32 vcc, 1, v59
	v_mov_b32_e32 v59, 0
	s_waitcnt lgkmcnt(1)
	v_and_b32_e32 v60, 1, v60
	v_add_u32_e32 v67, 2, v64
	v_cndmask_b32_e64 v60, v60, 1, vcc
	v_cmp_eq_u16_sdwa vcc, v68, v59 src0_sel:BYTE_0 src1_sel:DWORD
	v_and_b32_e32 v69, 0xffff, v60
	v_add_u32_e32 v77, 32, v64
	s_waitcnt lgkmcnt(0)
	v_cndmask_b32_e32 v61, 0, v61, vcc
	v_cmp_gt_u32_e32 vcc, v67, v9
	s_nop 1
	v_cndmask_b32_e32 v60, v60, v68, vcc
	v_cndmask_b32_e64 v61, v61, 0, vcc
	v_cndmask_b32_e32 v7, v69, v7, vcc
	v_cmp_gt_u32_e32 vcc, 60, v64
	v_add_u32_e32 v6, v61, v6
	v_and_b32_e32 v71, 1, v60
	v_cndmask_b32_e64 v68, 0, 1, vcc
	v_lshlrev_b32_e32 v68, 2, v68
	v_add_lshl_u32 v68, v68, v73, 2
	ds_bpermute_b32 v70, v68, v7
	ds_bpermute_b32 v61, v68, v6
	v_cmp_eq_u32_e32 vcc, 1, v71
	v_add_u32_e32 v69, 4, v64
	s_waitcnt lgkmcnt(1)
	v_and_b32_e32 v70, 1, v70
	v_cndmask_b32_e64 v70, v70, 1, vcc
	v_cmp_eq_u16_sdwa vcc, v60, v59 src0_sel:BYTE_0 src1_sel:DWORD
	v_and_b32_e32 v71, 0xffff, v70
	s_waitcnt lgkmcnt(0)
	v_cndmask_b32_e32 v61, 0, v61, vcc
	v_cmp_gt_u32_e32 vcc, v69, v9
	s_nop 1
	v_cndmask_b32_e32 v60, v70, v60, vcc
	v_cndmask_b32_e64 v61, v61, 0, vcc
	v_cndmask_b32_e32 v7, v71, v7, vcc
	v_cmp_gt_u32_e32 vcc, 56, v64
	v_add_u32_e32 v6, v61, v6
	v_and_b32_e32 v74, 1, v60
	v_cndmask_b32_e64 v70, 0, 1, vcc
	v_lshlrev_b32_e32 v70, 3, v70
	v_add_lshl_u32 v70, v70, v73, 2
	ds_bpermute_b32 v72, v70, v7
	ds_bpermute_b32 v61, v70, v6
	v_cmp_eq_u32_e32 vcc, 1, v74
	v_add_u32_e32 v71, 8, v64
	s_waitcnt lgkmcnt(1)
	v_and_b32_e32 v72, 1, v72
	v_cndmask_b32_e64 v72, v72, 1, vcc
	v_cmp_eq_u16_sdwa vcc, v60, v59 src0_sel:BYTE_0 src1_sel:DWORD
	v_and_b32_e32 v74, 0xffff, v72
	;; [unrolled: 22-line block ×3, first 2 shown]
	s_waitcnt lgkmcnt(0)
	v_cndmask_b32_e32 v61, 0, v61, vcc
	v_cmp_gt_u32_e32 vcc, v74, v9
	s_nop 1
	v_cndmask_b32_e32 v60, v75, v60, vcc
	v_cndmask_b32_e64 v61, v61, 0, vcc
	v_cndmask_b32_e32 v7, v76, v7, vcc
	v_cmp_gt_u32_e32 vcc, 32, v64
	v_add_u32_e32 v6, v61, v6
	s_nop 0
	v_cndmask_b32_e64 v75, 0, 1, vcc
	v_lshlrev_b32_e32 v75, 5, v75
	v_add_lshl_u32 v76, v75, v73, 2
	ds_bpermute_b32 v7, v76, v7
	ds_bpermute_b32 v61, v76, v6
	v_and_b32_e32 v73, 1, v60
	v_cmp_eq_u32_e32 vcc, 1, v73
	s_waitcnt lgkmcnt(1)
	v_and_b32_e32 v7, 1, v7
	v_cndmask_b32_e64 v7, v7, 1, vcc
	v_cmp_eq_u16_sdwa vcc, v60, v59 src0_sel:BYTE_0 src1_sel:DWORD
	s_waitcnt lgkmcnt(0)
	s_nop 0
	v_cndmask_b32_e32 v61, 0, v61, vcc
	v_cmp_gt_u32_e32 vcc, v77, v9
	s_nop 1
	v_cndmask_b32_e64 v9, v61, 0, vcc
	v_cndmask_b32_e32 v7, v7, v60, vcc
	v_add_u32_e32 v6, v9, v6
	s_branch .LBB124_157
.LBB124_156:                            ;   in Loop: Header=BB124_157 Depth=1
	s_or_b64 exec, exec, s[54:55]
	v_cmp_eq_u16_sdwa s[54:55], v8, v3 src0_sel:BYTE_0 src1_sel:DWORD
	ds_bpermute_b32 v61, v65, v7
	v_and_b32_e32 v78, 1, v7
	v_and_b32_e32 v9, s55, v5
	v_or_b32_e32 v9, 0x80000000, v9
	v_and_b32_e32 v60, s54, v4
	v_ffbl_b32_e32 v9, v9
	v_add_u32_e32 v9, 32, v9
	v_ffbl_b32_e32 v60, v60
	v_min_u32_e32 v9, v60, v9
	ds_bpermute_b32 v60, v65, v6
	s_waitcnt lgkmcnt(1)
	v_and_b32_e32 v61, 1, v61
	v_cmp_eq_u32_e32 vcc, 1, v78
	v_cmp_lt_u32_e64 s[54:55], v64, v9
	v_subrev_u32_e32 v58, 64, v58
	v_cndmask_b32_e64 v61, v61, 1, vcc
	v_cmp_gt_u64_e32 vcc, s[64:65], v[6:7]
	v_and_b32_e32 v78, 0xffff, v61
	v_cndmask_b32_e64 v61, v7, v61, s[54:55]
	v_cndmask_b32_e64 v7, v7, v78, s[54:55]
	s_and_b64 vcc, s[54:55], vcc
	ds_bpermute_b32 v78, v66, v7
	s_waitcnt lgkmcnt(1)
	v_cndmask_b32_e32 v60, 0, v60, vcc
	v_add_u32_e32 v6, v60, v6
	ds_bpermute_b32 v60, v66, v6
	v_and_b32_e32 v79, 1, v61
	s_waitcnt lgkmcnt(1)
	v_and_b32_e32 v78, 1, v78
	v_cmp_eq_u32_e32 vcc, 1, v79
	s_nop 1
	v_cndmask_b32_e64 v78, v78, 1, vcc
	v_cmp_eq_u16_sdwa vcc, v61, v59 src0_sel:BYTE_0 src1_sel:DWORD
	v_and_b32_e32 v79, 0xffff, v78
	s_waitcnt lgkmcnt(0)
	v_cndmask_b32_e32 v60, 0, v60, vcc
	v_cmp_gt_u32_e32 vcc, v67, v9
	s_nop 1
	v_cndmask_b32_e32 v7, v79, v7, vcc
	v_cndmask_b32_e32 v61, v78, v61, vcc
	ds_bpermute_b32 v78, v68, v7
	v_cndmask_b32_e64 v60, v60, 0, vcc
	v_add_u32_e32 v6, v60, v6
	ds_bpermute_b32 v60, v68, v6
	v_and_b32_e32 v79, 1, v61
	s_waitcnt lgkmcnt(1)
	v_and_b32_e32 v78, 1, v78
	v_cmp_eq_u32_e32 vcc, 1, v79
	s_nop 1
	v_cndmask_b32_e64 v78, v78, 1, vcc
	v_cmp_eq_u16_sdwa vcc, v61, v59 src0_sel:BYTE_0 src1_sel:DWORD
	v_and_b32_e32 v79, 0xffff, v78
	s_waitcnt lgkmcnt(0)
	v_cndmask_b32_e32 v60, 0, v60, vcc
	v_cmp_gt_u32_e32 vcc, v69, v9
	s_nop 1
	v_cndmask_b32_e32 v7, v79, v7, vcc
	v_cndmask_b32_e32 v61, v78, v61, vcc
	ds_bpermute_b32 v78, v70, v7
	v_cndmask_b32_e64 v60, v60, 0, vcc
	;; [unrolled: 18-line block ×3, first 2 shown]
	v_add_u32_e32 v6, v60, v6
	ds_bpermute_b32 v60, v72, v6
	v_and_b32_e32 v79, 1, v61
	s_waitcnt lgkmcnt(1)
	v_and_b32_e32 v78, 1, v78
	v_cmp_eq_u32_e32 vcc, 1, v79
	s_nop 1
	v_cndmask_b32_e64 v78, v78, 1, vcc
	v_cmp_eq_u16_sdwa vcc, v61, v59 src0_sel:BYTE_0 src1_sel:DWORD
	v_and_b32_e32 v79, 0xffff, v78
	s_waitcnt lgkmcnt(0)
	v_cndmask_b32_e32 v60, 0, v60, vcc
	v_cmp_gt_u32_e32 vcc, v74, v9
	s_nop 1
	v_cndmask_b32_e64 v60, v60, 0, vcc
	v_cndmask_b32_e32 v7, v79, v7, vcc
	ds_bpermute_b32 v7, v76, v7
	v_add_u32_e32 v6, v60, v6
	ds_bpermute_b32 v60, v76, v6
	v_cndmask_b32_e32 v61, v78, v61, vcc
	v_and_b32_e32 v78, 1, v61
	v_cmp_eq_u32_e32 vcc, 1, v78
	s_waitcnt lgkmcnt(1)
	s_nop 0
	v_cndmask_b32_e64 v7, v7, 1, vcc
	v_cmp_eq_u16_sdwa vcc, v61, v59 src0_sel:BYTE_0 src1_sel:DWORD
	s_waitcnt lgkmcnt(0)
	s_nop 0
	v_cndmask_b32_e32 v60, 0, v60, vcc
	v_cmp_gt_u32_e32 vcc, v77, v9
	s_nop 1
	v_cndmask_b32_e64 v9, v60, 0, vcc
	v_cndmask_b32_e32 v7, v7, v61, vcc
	v_add_u32_e32 v6, v9, v6
	v_cmp_eq_u16_sdwa vcc, v73, v59 src0_sel:BYTE_0 src1_sel:DWORD
	v_and_b32_e32 v9, 1, v73
	v_and_b32_e32 v7, 1, v7
	v_cndmask_b32_e32 v6, 0, v6, vcc
	v_cmp_eq_u32_e32 vcc, 1, v9
	v_add_u32_e32 v6, v6, v75
	s_nop 0
	v_cndmask_b32_e64 v7, v7, 1, vcc
.LBB124_157:                            ; =>This Loop Header: Depth=1
                                        ;     Child Loop BB124_160 Depth 2
	v_cmp_ne_u16_sdwa s[54:55], v8, v3 src0_sel:BYTE_0 src1_sel:DWORD
	v_mov_b32_e32 v73, v7
	v_mov_b32_e32 v75, v6
	v_cndmask_b32_e64 v7, 0, 1, s[54:55]
	;;#ASMSTART
	;;#ASMEND
	s_nop 0
	v_cmp_ne_u32_e32 vcc, 0, v7
	s_cmp_lg_u64 vcc, exec
	s_cbranch_scc1 .LBB124_162
; %bb.158:                              ;   in Loop: Header=BB124_157 Depth=1
	v_lshl_add_u64 v[60:61], v[58:59], 4, s[68:69]
	;;#ASMSTART
	global_load_dwordx4 v[6:9], v[60:61] off sc1	
s_waitcnt vmcnt(0)
	;;#ASMEND
	s_nop 0
	v_and_b32_e32 v9, 0xff0000, v6
	v_and_b32_e32 v78, 0xff000000, v6
	;; [unrolled: 1-line block ×3, first 2 shown]
	v_or_b32_sdwa v6, v6, v9 dst_sel:DWORD dst_unused:UNUSED_PAD src0_sel:WORD_0 src1_sel:DWORD
	v_or3_b32 v7, 0, 0, v7
	v_or3_b32 v6, v6, v78, 0
	v_cmp_eq_u16_sdwa s[66:67], v8, v59 src0_sel:BYTE_0 src1_sel:DWORD
	s_and_saveexec_b64 s[54:55], s[66:67]
	s_cbranch_execz .LBB124_156
; %bb.159:                              ;   in Loop: Header=BB124_157 Depth=1
	s_mov_b64 s[66:67], 0
.LBB124_160:                            ;   Parent Loop BB124_157 Depth=1
                                        ; =>  This Inner Loop Header: Depth=2
	;;#ASMSTART
	global_load_dwordx4 v[6:9], v[60:61] off sc1	
s_waitcnt vmcnt(0)
	;;#ASMEND
	s_nop 0
	v_cmp_ne_u16_sdwa s[76:77], v8, v59 src0_sel:BYTE_0 src1_sel:DWORD
	s_or_b64 s[66:67], s[76:77], s[66:67]
	s_andn2_b64 exec, exec, s[66:67]
	s_cbranch_execnz .LBB124_160
; %bb.161:                              ;   in Loop: Header=BB124_157 Depth=1
	s_or_b64 exec, exec, s[66:67]
	v_and_b32_e32 v7, 0xff, v7
	s_branch .LBB124_156
.LBB124_162:                            ;   in Loop: Header=BB124_157 Depth=1
                                        ; implicit-def: $vgpr7
                                        ; implicit-def: $vgpr6
                                        ; implicit-def: $vgpr8
	s_cbranch_execz .LBB124_157
; %bb.163:
	s_and_saveexec_b64 s[54:55], s[50:51]
	s_cbranch_execz .LBB124_165
; %bb.164:
	s_and_b32 s50, s3, 0xff
	s_cmp_eq_u32 s50, 0
	s_cselect_b64 vcc, -1, 0
	s_bitcmp1_b32 s3, 0
	s_mov_b32 s51, 0
	s_cselect_b64 s[64:65], -1, 0
	s_add_i32 s50, s2, 64
	s_lshl_b64 s[2:3], s[50:51], 4
	v_cndmask_b32_e32 v3, 0, v75, vcc
	s_add_u32 s2, s68, s2
	v_add_u32_e32 v2, v3, v2
	v_and_b32_e32 v3, 1, v73
	s_addc_u32 s3, s69, s3
	v_mov_b32_e32 v5, 0
	v_cndmask_b32_e64 v3, v3, 1, s[64:65]
	v_mov_b32_e32 v4, 2
	v_mov_b64_e32 v[6:7], s[2:3]
	;;#ASMSTART
	global_store_dwordx4 v[6:7], v[2:5] off sc1	
s_waitcnt vmcnt(0)
	;;#ASMEND
.LBB124_165:
	s_or_b64 exec, exec, s[54:55]
	s_and_b64 exec, exec, s[48:49]
	s_cbranch_execz .LBB124_167
; %bb.166:
	v_mov_b32_e32 v2, 0
	ds_write_b32 v2, v75
	ds_write_b8 v2, v73 offset:4
.LBB124_167:
	s_or_b64 exec, exec, s[60:61]
	s_mov_b32 s2, 0
	v_mov_b32_e32 v2, 0
	s_mov_b32 s3, 1
	s_waitcnt lgkmcnt(0)
	s_barrier
	ds_read_b32 v3, v2
	v_cmp_gt_u64_e32 vcc, s[2:3], v[10:11]
	v_and_b32_e32 v5, 1, v11
	v_and_b32_e32 v6, 1, v63
	v_cndmask_b32_e32 v4, 0, v62, vcc
	v_cmp_eq_u32_e32 vcc, 1, v5
	v_cndmask_b32_e64 v4, v4, 0, s[48:49]
	s_nop 0
	v_cndmask_b32_e64 v5, v6, 1, vcc
	v_cndmask_b32_e64 v5, v5, v11, s[48:49]
	v_cmp_eq_u16_sdwa vcc, v5, v2 src0_sel:BYTE_0 src1_sel:DWORD
	s_waitcnt lgkmcnt(0)
	s_nop 0
	v_cndmask_b32_e32 v2, 0, v3, vcc
	v_add3_u32 v80, v4, v10, v2
	v_cndmask_b32_e64 v2, 0, v80, s[52:53]
	v_add_u32_e32 v58, v2, v12
	v_cndmask_b32_e64 v2, 0, v58, s[4:5]
	v_add_u32_e32 v59, v2, v14
	;; [unrolled: 2-line block ×22, first 2 shown]
	s_branch .LBB124_188
.LBB124_168:
                                        ; implicit-def: $vgpr78
                                        ; implicit-def: $vgpr77
                                        ; implicit-def: $vgpr76
                                        ; implicit-def: $vgpr75
                                        ; implicit-def: $vgpr74
                                        ; implicit-def: $vgpr73
                                        ; implicit-def: $vgpr72
                                        ; implicit-def: $vgpr71
                                        ; implicit-def: $vgpr70
                                        ; implicit-def: $vgpr69
                                        ; implicit-def: $vgpr68
                                        ; implicit-def: $vgpr67
                                        ; implicit-def: $vgpr66
                                        ; implicit-def: $vgpr65
                                        ; implicit-def: $vgpr64
                                        ; implicit-def: $vgpr63
                                        ; implicit-def: $vgpr62
                                        ; implicit-def: $vgpr61
                                        ; implicit-def: $vgpr60
                                        ; implicit-def: $vgpr59
                                        ; implicit-def: $vgpr58
                                        ; implicit-def: $vgpr80
                                        ; implicit-def: $vgpr79
	s_cbranch_execz .LBB124_188
; %bb.169:
	s_cmp_lg_u64 s[74:75], 0
	s_cselect_b32 s5, s63, 0
	s_cselect_b32 s4, s62, 0
	s_cmp_lg_u64 s[4:5], 0
	s_cselect_b64 s[6:7], -1, 0
	v_cmp_eq_u32_e32 vcc, 0, v0
	s_mov_b32 s48, 0
	v_cmp_ne_u32_e64 s[2:3], 0, v0
	s_and_b64 s[8:9], vcc, s[6:7]
	s_and_saveexec_b64 s[6:7], s[8:9]
	s_cbranch_execz .LBB124_171
; %bb.170:
	v_mov_b32_e32 v2, 0
	global_load_dword v4, v2, s[4:5]
	global_load_ubyte v5, v2, s[4:5] offset:4
	s_mov_b32 s49, 1
	v_and_b32_e32 v3, 1, v11
	v_cmp_gt_u64_e64 s[4:5], s[48:49], v[10:11]
	s_waitcnt vmcnt(0)
	v_and_b32_e32 v5, 1, v5
	v_cndmask_b32_e64 v4, 0, v4, s[4:5]
	v_cmp_eq_u64_e64 s[4:5], 0, v[2:3]
	v_add_u32_e32 v10, v4, v10
	s_nop 0
	v_cndmask_b32_e64 v11, 1, v5, s[4:5]
.LBB124_171:
	s_or_b64 exec, exec, s[6:7]
	s_mov_b32 s49, 1
	v_cmp_gt_u64_e64 s[4:5], s[48:49], v[12:13]
	v_cmp_gt_u64_e64 s[6:7], s[48:49], v[14:15]
	v_cmp_gt_u64_e64 s[8:9], s[48:49], v[16:17]
	v_cndmask_b32_e64 v2, 0, v10, s[4:5]
	v_add_u32_e32 v58, v2, v12
	v_cndmask_b32_e64 v2, 0, v58, s[6:7]
	v_add_u32_e32 v59, v2, v14
	v_cndmask_b32_e64 v2, 0, v59, s[8:9]
	v_add_u32_e32 v60, v2, v16
	v_cmp_gt_u64_e64 s[10:11], s[48:49], v[18:19]
	v_cmp_gt_u64_e64 s[12:13], s[48:49], v[20:21]
	v_cmp_gt_u64_e64 s[14:15], s[48:49], v[22:23]
	v_cndmask_b32_e64 v2, 0, v60, s[10:11]
	v_add_u32_e32 v61, v2, v18
	v_cndmask_b32_e64 v2, 0, v61, s[12:13]
	v_add_u32_e32 v62, v2, v20
	v_cndmask_b32_e64 v2, 0, v62, s[14:15]
	v_add_u32_e32 v63, v2, v22
	;; [unrolled: 9-line block ×7, first 2 shown]
	v_cmp_gt_u64_e64 s[48:49], s[48:49], v[56:57]
	v_add_lshl_u32 v1, v1, v0, 3
	s_nop 0
	v_cndmask_b32_e64 v2, 0, v78, s[48:49]
	v_add_u32_e32 v79, v2, v56
	v_or3_b32 v2, v55, v51, v49
	v_or3_b32 v2, v2, v47, v45
	;; [unrolled: 1-line block ×10, first 2 shown]
	v_and_b32_e32 v2, 1, v2
	v_cmp_eq_u32_e64 s[50:51], 1, v2
	s_nop 1
	v_cndmask_b32_e64 v4, v11, 1, s[50:51]
	v_cmp_gt_u32_e64 s[50:51], 64, v0
	ds_write_b32 v1, v79
	ds_write_b8 v1, v4 offset:4
	s_waitcnt lgkmcnt(0)
	s_barrier
	s_and_saveexec_b64 s[52:53], s[50:51]
	s_cbranch_execz .LBB124_183
; %bb.172:
	v_lshrrev_b32_e32 v1, 3, v0
	v_add_lshl_u32 v1, v1, v54, 3
	ds_read2_b32 v[6:7], v1 offset0:2 offset1:4
	ds_read_b64 v[2:3], v1
	ds_read_u8 v8, v1 offset:12
	ds_read_u8 v9, v1 offset:20
	ds_read_b32 v13, v1 offset:24
	ds_read_u8 v15, v1 offset:28
	v_mov_b32_e32 v17, 0
	s_waitcnt lgkmcnt(3)
	v_cmp_eq_u16_sdwa s[50:51], v8, v17 src0_sel:BYTE_0 src1_sel:DWORD
	v_and_b32_e32 v5, 1, v3
	s_nop 0
	v_cndmask_b32_e64 v19, 0, v2, s[50:51]
	v_add_u32_e32 v6, v19, v6
	s_waitcnt lgkmcnt(2)
	v_cmp_eq_u16_sdwa s[50:51], v9, v17 src0_sel:BYTE_0 src1_sel:DWORD
	s_nop 1
	v_cndmask_b32_e64 v6, 0, v6, s[50:51]
	v_add_u32_e32 v6, v6, v7
	s_waitcnt lgkmcnt(0)
	v_cmp_eq_u16_e64 s[50:51], 0, v15
	s_nop 1
	v_cndmask_b32_e64 v6, 0, v6, s[50:51]
	v_add_u32_e32 v7, v6, v13
	v_or_b32_e32 v6, v15, v9
	v_or_b32_e32 v6, v6, v8
	v_and_b32_e32 v6, 1, v6
	v_cmp_eq_u32_e64 s[50:51], 1, v6
	v_mbcnt_lo_u32_b32 v8, -1, 0
	v_and_b32_e32 v6, 0xffffff00, v3
	v_cndmask_b32_e64 v9, v5, 1, s[50:51]
	v_mbcnt_hi_u32_b32 v8, -1, v8
	v_and_b32_e32 v15, 15, v8
	v_or_b32_sdwa v13, v6, v9 dst_sel:DWORD dst_unused:UNUSED_PAD src0_sel:DWORD src1_sel:WORD_0
	v_mov_b32_dpp v17, v7 row_shr:1 row_mask:0xf bank_mask:0xf
	v_cmp_ne_u32_e64 s[50:51], 0, v15
	v_mov_b32_dpp v19, v13 row_shr:1 row_mask:0xf bank_mask:0xf
	s_and_saveexec_b64 s[54:55], s[50:51]
; %bb.173:
	v_and_b32_e32 v13, 1, v9
	v_and_b32_e32 v19, 1, v19
	v_cmp_eq_u32_e64 s[50:51], 1, v13
	s_nop 1
	v_cndmask_b32_e64 v19, v19, 1, s[50:51]
	v_cmp_eq_u16_e64 s[50:51], 0, v9
	v_or_b32_sdwa v13, v6, v19 dst_sel:DWORD dst_unused:UNUSED_PAD src0_sel:DWORD src1_sel:WORD_0
	s_nop 0
	v_cndmask_b32_e64 v9, 0, v17, s[50:51]
	v_add_u32_e32 v7, v9, v7
	v_mov_b32_e32 v9, v19
; %bb.174:
	s_or_b64 exec, exec, s[54:55]
	v_mov_b32_dpp v17, v7 row_shr:2 row_mask:0xf bank_mask:0xf
	v_mov_b32_dpp v19, v13 row_shr:2 row_mask:0xf bank_mask:0xf
	v_cmp_lt_u32_e64 s[50:51], 1, v15
	s_and_saveexec_b64 s[54:55], s[50:51]
; %bb.175:
	v_and_b32_e32 v13, 1, v9
	v_and_b32_e32 v19, 1, v19
	v_cmp_eq_u32_e64 s[50:51], 1, v13
	s_nop 1
	v_cndmask_b32_e64 v19, v19, 1, s[50:51]
	v_cmp_eq_u16_e64 s[50:51], 0, v9
	v_or_b32_sdwa v13, v6, v19 dst_sel:DWORD dst_unused:UNUSED_PAD src0_sel:DWORD src1_sel:WORD_0
	s_nop 0
	v_cndmask_b32_e64 v9, 0, v17, s[50:51]
	v_add_u32_e32 v7, v9, v7
	v_mov_b32_e32 v9, v19
; %bb.176:
	s_or_b64 exec, exec, s[54:55]
	v_mov_b32_dpp v17, v7 row_shr:4 row_mask:0xf bank_mask:0xf
	v_mov_b32_dpp v19, v13 row_shr:4 row_mask:0xf bank_mask:0xf
	v_cmp_lt_u32_e64 s[50:51], 3, v15
	;; [unrolled: 18-line block ×3, first 2 shown]
	s_and_saveexec_b64 s[54:55], s[50:51]
; %bb.179:
	v_and_b32_e32 v13, 1, v9
	v_and_b32_e32 v15, 1, v19
	v_cmp_eq_u32_e64 s[50:51], 1, v13
	s_nop 1
	v_cndmask_b32_e64 v15, v15, 1, s[50:51]
	v_cmp_eq_u16_e64 s[50:51], 0, v9
	v_or_b32_sdwa v13, v6, v15 dst_sel:DWORD dst_unused:UNUSED_PAD src0_sel:DWORD src1_sel:WORD_0
	s_nop 0
	v_cndmask_b32_e64 v9, 0, v17, s[50:51]
	v_add_u32_e32 v7, v9, v7
	v_mov_b32_e32 v9, v15
; %bb.180:
	s_or_b64 exec, exec, s[54:55]
	v_and_b32_e32 v19, 16, v8
	v_mov_b32_dpp v15, v7 row_bcast:15 row_mask:0xf bank_mask:0xf
	v_mov_b32_dpp v17, v13 row_bcast:15 row_mask:0xf bank_mask:0xf
	v_cmp_ne_u32_e64 s[50:51], 0, v19
	s_and_saveexec_b64 s[54:55], s[50:51]
; %bb.181:
	v_and_b32_e32 v13, 1, v9
	v_and_b32_e32 v17, 1, v17
	v_cmp_eq_u32_e64 s[50:51], 1, v13
	s_nop 1
	v_cndmask_b32_e64 v17, v17, 1, s[50:51]
	v_cmp_eq_u16_e64 s[50:51], 0, v9
	v_or_b32_sdwa v13, v6, v17 dst_sel:DWORD dst_unused:UNUSED_PAD src0_sel:DWORD src1_sel:WORD_0
	s_nop 0
	v_cndmask_b32_e64 v9, 0, v15, s[50:51]
	v_add_u32_e32 v7, v9, v7
	v_mov_b32_e32 v9, v17
; %bb.182:
	s_or_b64 exec, exec, s[54:55]
	v_mov_b32_dpp v13, v13 row_bcast:31 row_mask:0xf bank_mask:0xf
	v_and_b32_e32 v17, 1, v9
	v_and_b32_e32 v13, 1, v13
	v_cmp_eq_u32_e64 s[50:51], 1, v17
	v_mov_b32_e32 v17, 0
	v_cmp_eq_u16_sdwa s[54:55], v9, v17 src0_sel:BYTE_0 src1_sel:DWORD
	v_cndmask_b32_e64 v13, v13, 1, s[50:51]
	v_cmp_lt_u32_e64 s[50:51], 31, v8
	v_mov_b32_dpp v15, v7 row_bcast:31 row_mask:0xf bank_mask:0xf
	s_movk_i32 s60, 0xff
	v_cndmask_b32_e64 v9, v9, v13, s[50:51]
	s_and_b64 s[50:51], s[50:51], s[54:55]
	v_cndmask_b32_e64 v13, 0, v15, s[50:51]
	v_add_u32_e32 v7, v13, v7
	v_add_u32_e32 v13, -1, v8
	v_and_b32_e32 v15, 64, v8
	v_cmp_lt_i32_e64 s[50:51], v13, v15
	v_and_or_b32 v6, v9, s60, v6
	s_nop 0
	v_cndmask_b32_e64 v8, v13, v8, s[50:51]
	v_lshlrev_b32_e32 v8, 2, v8
	ds_bpermute_b32 v7, v8, v7
	ds_bpermute_b32 v6, v8, v6
	v_cmp_eq_u16_sdwa s[50:51], v3, v17 src0_sel:BYTE_0 src1_sel:DWORD
	; wave barrier
	s_waitcnt lgkmcnt(1)
	s_nop 0
	v_cndmask_b32_e64 v3, 0, v7, s[50:51]
	v_add_u32_e32 v2, v3, v2
	s_waitcnt lgkmcnt(0)
	v_and_b32_e32 v3, 1, v6
	v_cmp_eq_u32_e64 s[50:51], 1, v5
	v_cndmask_b32_e32 v5, v2, v79, vcc
	s_nop 0
	v_cndmask_b32_e64 v3, v3, 1, s[50:51]
	v_cndmask_b32_e32 v4, v3, v4, vcc
	ds_write_b32 v1, v5
	ds_write_b8 v1, v4 offset:4
	; wave barrier
	ds_read_u8 v6, v1 offset:12
	ds_read2_b32 v[2:3], v1 offset0:2 offset1:4
	ds_read_u8 v7, v1 offset:20
	ds_read_b32 v8, v1 offset:24
	ds_read_u8 v9, v1 offset:28
	s_waitcnt lgkmcnt(4)
	v_cmp_eq_u16_e64 s[50:51], 0, v6
	s_nop 1
	v_cndmask_b32_e64 v5, 0, v5, s[50:51]
	s_waitcnt lgkmcnt(3)
	v_add_u32_e32 v2, v5, v2
	v_and_b32_e32 v5, 1, v6
	v_cmp_eq_u32_e64 s[50:51], 1, v5
	s_nop 1
	v_cndmask_b32_e64 v4, v4, 1, s[50:51]
	s_waitcnt lgkmcnt(2)
	v_cmp_eq_u16_e64 s[50:51], 0, v7
	ds_write_b8 v1, v4 offset:12
	s_nop 0
	v_cndmask_b32_e64 v5, 0, v2, s[50:51]
	v_add_u32_e32 v3, v5, v3
	v_and_b32_e32 v5, 1, v7
	v_cmp_eq_u32_e64 s[50:51], 1, v5
	s_nop 1
	v_cndmask_b32_e64 v4, v4, 1, s[50:51]
	s_waitcnt lgkmcnt(1)
	v_cmp_eq_u16_e64 s[50:51], 0, v9
	ds_write2_b32 v1, v2, v3 offset0:2 offset1:4
	ds_write_b8 v1, v4 offset:20
	v_cndmask_b32_e64 v2, 0, v3, s[50:51]
	v_and_b32_e32 v3, 1, v9
	v_add_u32_e32 v2, v2, v8
	v_cmp_eq_u32_e64 s[50:51], 1, v3
	s_nop 1
	v_cndmask_b32_e64 v3, v4, 1, s[50:51]
	ds_write_b32 v1, v2 offset:24
	ds_write_b8 v1, v3 offset:28
.LBB124_183:
	s_or_b64 exec, exec, s[52:53]
	v_mov_b32_e32 v1, v79
	s_waitcnt lgkmcnt(0)
	s_barrier
	s_and_saveexec_b64 s[50:51], s[2:3]
	s_cbranch_execnz .LBB124_261
; %bb.184:
	s_or_b64 exec, exec, s[50:51]
	s_and_saveexec_b64 s[50:51], s[2:3]
	s_cbranch_execnz .LBB124_262
.LBB124_185:
	s_or_b64 exec, exec, s[50:51]
	s_and_saveexec_b64 s[2:3], vcc
	s_cbranch_execz .LBB124_187
.LBB124_186:
	v_mov_b32_e32 v5, 0
	ds_read_b32 v2, v5 offset:2096
	ds_read_u8 v3, v5 offset:2100
	s_add_u32 s4, s68, 0x400
	s_addc_u32 s5, s69, 0
	v_mov_b32_e32 v4, 2
	v_mov_b64_e32 v[6:7], s[4:5]
	s_waitcnt lgkmcnt(0)
	;;#ASMSTART
	global_store_dwordx4 v[6:7], v[2:5] off sc1	
s_waitcnt vmcnt(0)
	;;#ASMEND
.LBB124_187:
	s_or_b64 exec, exec, s[2:3]
	v_mov_b32_e32 v80, v10
.LBB124_188:
	s_add_u32 s2, s58, s72
	s_addc_u32 s3, s59, s73
	s_add_u32 s2, s2, s56
	s_addc_u32 s3, s3, s57
	s_and_b64 vcc, exec, s[0:1]
	s_cbranch_vccz .LBB124_234
; %bb.189:
	s_movk_i32 s0, 0x5c
	v_mul_i32_i24_e32 v26, 0xffffffa8, v0
	s_waitcnt lgkmcnt(0)
	v_mul_u32_u24_e32 v1, 0x5c, v0
	v_mad_u32_u24 v2, v0, s0, v26
	s_barrier
	ds_write2_b32 v1, v80, v58 offset1:1
	ds_write2_b32 v1, v59, v60 offset0:2 offset1:3
	ds_write2_b32 v1, v61, v62 offset0:4 offset1:5
	;; [unrolled: 1-line block ×10, first 2 shown]
	ds_write_b32 v1, v79 offset:88
	s_waitcnt lgkmcnt(0)
	s_barrier
	ds_read2st64_b32 v[24:25], v2 offset0:4 offset1:8
	ds_read2st64_b32 v[22:23], v2 offset0:12 offset1:16
	;; [unrolled: 1-line block ×11, first 2 shown]
	s_add_i32 s33, s33, s70
	v_mov_b32_e32 v55, 0
	v_lshl_add_u64 v[4:5], s[2:3], 0, v[54:55]
	v_cmp_gt_u32_e32 vcc, s33, v0
	s_and_saveexec_b64 s[0:1], vcc
	s_cbranch_execz .LBB124_191
; %bb.190:
	v_add_u32_e32 v1, v1, v26
	ds_read_b32 v1, v1
	s_waitcnt lgkmcnt(0)
	flat_store_dword v[4:5], v1
.LBB124_191:
	s_or_b64 exec, exec, s[0:1]
	v_or_b32_e32 v1, 0x100, v0
	v_cmp_gt_u32_e32 vcc, s33, v1
	s_and_saveexec_b64 s[0:1], vcc
	s_cbranch_execz .LBB124_193
; %bb.192:
	s_waitcnt lgkmcnt(0)
	flat_store_dword v[4:5], v24 offset:1024
.LBB124_193:
	s_or_b64 exec, exec, s[0:1]
	v_or_b32_e32 v1, 0x200, v0
	v_cmp_gt_u32_e32 vcc, s33, v1
	s_and_saveexec_b64 s[0:1], vcc
	s_cbranch_execz .LBB124_195
; %bb.194:
	s_waitcnt lgkmcnt(0)
	flat_store_dword v[4:5], v25 offset:2048
.LBB124_195:
	;; [unrolled: 9-line block ×3, first 2 shown]
	s_or_b64 exec, exec, s[0:1]
	v_or_b32_e32 v1, 0x400, v0
	v_cmp_gt_u32_e32 vcc, s33, v1
	s_and_saveexec_b64 s[0:1], vcc
	s_cbranch_execz .LBB124_199
; %bb.198:
	s_waitcnt lgkmcnt(0)
	v_add_co_u32_e32 v24, vcc, 0x1000, v4
	s_nop 1
	v_addc_co_u32_e32 v25, vcc, 0, v5, vcc
	flat_store_dword v[24:25], v23
.LBB124_199:
	s_or_b64 exec, exec, s[0:1]
	v_or_b32_e32 v1, 0x500, v0
	v_cmp_gt_u32_e32 vcc, s33, v1
	s_and_saveexec_b64 s[0:1], vcc
	s_cbranch_execz .LBB124_201
; %bb.200:
	s_waitcnt lgkmcnt(0)
	v_add_co_u32_e32 v22, vcc, 0x1000, v4
	s_nop 1
	v_addc_co_u32_e32 v23, vcc, 0, v5, vcc
	flat_store_dword v[22:23], v20 offset:1024
.LBB124_201:
	s_or_b64 exec, exec, s[0:1]
	v_or_b32_e32 v1, 0x600, v0
	v_cmp_gt_u32_e32 vcc, s33, v1
	s_and_saveexec_b64 s[0:1], vcc
	s_cbranch_execz .LBB124_203
; %bb.202:
	s_waitcnt lgkmcnt(0)
	v_add_co_u32_e32 v22, vcc, 0x1000, v4
	s_nop 1
	v_addc_co_u32_e32 v23, vcc, 0, v5, vcc
	flat_store_dword v[22:23], v21 offset:2048
.LBB124_203:
	s_or_b64 exec, exec, s[0:1]
	v_or_b32_e32 v1, 0x700, v0
	v_cmp_gt_u32_e32 vcc, s33, v1
	s_and_saveexec_b64 s[0:1], vcc
	s_cbranch_execz .LBB124_205
; %bb.204:
	s_waitcnt lgkmcnt(0)
	v_add_co_u32_e32 v20, vcc, 0x1000, v4
	s_nop 1
	v_addc_co_u32_e32 v21, vcc, 0, v5, vcc
	flat_store_dword v[20:21], v18 offset:3072
.LBB124_205:
	s_or_b64 exec, exec, s[0:1]
	v_or_b32_e32 v1, 0x800, v0
	v_cmp_gt_u32_e32 vcc, s33, v1
	s_and_saveexec_b64 s[0:1], vcc
	s_cbranch_execz .LBB124_207
; %bb.206:
	s_waitcnt lgkmcnt(0)
	v_add_co_u32_e32 v20, vcc, 0x2000, v4
	s_nop 1
	v_addc_co_u32_e32 v21, vcc, 0, v5, vcc
	flat_store_dword v[20:21], v19
.LBB124_207:
	s_or_b64 exec, exec, s[0:1]
	v_or_b32_e32 v1, 0x900, v0
	v_cmp_gt_u32_e32 vcc, s33, v1
	s_and_saveexec_b64 s[0:1], vcc
	s_cbranch_execz .LBB124_209
; %bb.208:
	s_waitcnt lgkmcnt(0)
	v_add_co_u32_e32 v18, vcc, 0x2000, v4
	s_nop 1
	v_addc_co_u32_e32 v19, vcc, 0, v5, vcc
	flat_store_dword v[18:19], v16 offset:1024
.LBB124_209:
	s_or_b64 exec, exec, s[0:1]
	v_or_b32_e32 v1, 0xa00, v0
	v_cmp_gt_u32_e32 vcc, s33, v1
	s_and_saveexec_b64 s[0:1], vcc
	s_cbranch_execz .LBB124_211
; %bb.210:
	s_waitcnt lgkmcnt(0)
	v_add_co_u32_e32 v18, vcc, 0x2000, v4
	s_nop 1
	v_addc_co_u32_e32 v19, vcc, 0, v5, vcc
	flat_store_dword v[18:19], v17 offset:2048
.LBB124_211:
	s_or_b64 exec, exec, s[0:1]
	v_or_b32_e32 v1, 0xb00, v0
	v_cmp_gt_u32_e32 vcc, s33, v1
	s_and_saveexec_b64 s[0:1], vcc
	s_cbranch_execz .LBB124_213
; %bb.212:
	s_waitcnt lgkmcnt(0)
	v_add_co_u32_e32 v16, vcc, 0x2000, v4
	s_nop 1
	v_addc_co_u32_e32 v17, vcc, 0, v5, vcc
	flat_store_dword v[16:17], v14 offset:3072
.LBB124_213:
	;; [unrolled: 48-line block ×4, first 2 shown]
	s_or_b64 exec, exec, s[0:1]
	v_or_b32_e32 v1, 0x1400, v0
	v_cmp_gt_u32_e32 vcc, s33, v1
	s_and_saveexec_b64 s[0:1], vcc
	s_cbranch_execz .LBB124_231
; %bb.230:
	s_waitcnt lgkmcnt(0)
	v_add_co_u32_e32 v8, vcc, 0x5000, v4
	s_nop 1
	v_addc_co_u32_e32 v9, vcc, 0, v5, vcc
	flat_store_dword v[8:9], v7
.LBB124_231:
	s_or_b64 exec, exec, s[0:1]
	v_or_b32_e32 v1, 0x1500, v0
	v_cmp_gt_u32_e32 vcc, s33, v1
	s_and_saveexec_b64 s[0:1], vcc
	s_cbranch_execz .LBB124_233
; %bb.232:
	v_add_co_u32_e32 v4, vcc, 0x5000, v4
	s_nop 1
	v_addc_co_u32_e32 v5, vcc, 0, v5, vcc
	s_waitcnt lgkmcnt(0)
	flat_store_dword v[4:5], v2 offset:1024
.LBB124_233:
	s_or_b64 exec, exec, s[0:1]
	s_waitcnt lgkmcnt(0)
	v_or_b32_e32 v2, 0x1600, v0
	v_mov_b32_e32 v1, v55
	v_cmp_gt_u32_e64 s[0:1], s33, v2
	s_branch .LBB124_236
.LBB124_234:
	s_mov_b64 s[0:1], 0
                                        ; implicit-def: $vgpr3
	s_cbranch_execz .LBB124_236
; %bb.235:
	s_waitcnt lgkmcnt(0)
	v_mul_u32_u24_e32 v1, 0x5c, v0
	s_barrier
	s_movk_i32 s4, 0x5c
	ds_write2_b32 v1, v80, v58 offset1:1
	ds_write2_b32 v1, v59, v60 offset0:2 offset1:3
	ds_write2_b32 v1, v61, v62 offset0:4 offset1:5
	;; [unrolled: 1-line block ×10, first 2 shown]
	ds_write_b32 v1, v79 offset:88
	v_mov_b32_e32 v1, 0
	v_mul_i32_i24_e32 v2, 0xffffffa8, v0
	v_mad_u32_u24 v2, v0, s4, v2
	v_mov_b32_e32 v55, v1
	s_waitcnt lgkmcnt(0)
	s_barrier
	ds_read2st64_b32 v[4:5], v2 offset1:4
	ds_read2st64_b32 v[6:7], v2 offset0:8 offset1:12
	ds_read2st64_b32 v[8:9], v2 offset0:16 offset1:20
	;; [unrolled: 1-line block ×10, first 2 shown]
	ds_read_b32 v3, v2 offset:22528
	v_lshl_add_u64 v[26:27], s[2:3], 0, v[54:55]
	s_movk_i32 s4, 0x1000
	s_waitcnt lgkmcnt(0)
	flat_store_dword v[26:27], v4
	flat_store_dword v[26:27], v5 offset:1024
	flat_store_dword v[26:27], v6 offset:2048
	;; [unrolled: 1-line block ×3, first 2 shown]
	v_add_co_u32_e32 v4, vcc, s4, v26
	s_movk_i32 s4, 0x2000
	s_nop 0
	v_addc_co_u32_e32 v5, vcc, 0, v27, vcc
	flat_store_dword v[4:5], v8
	flat_store_dword v[4:5], v9 offset:1024
	flat_store_dword v[4:5], v10 offset:2048
	;; [unrolled: 1-line block ×3, first 2 shown]
	v_add_co_u32_e32 v4, vcc, s4, v26
	s_movk_i32 s4, 0x3000
	s_nop 0
	v_addc_co_u32_e32 v5, vcc, 0, v27, vcc
	flat_store_dword v[4:5], v12
	flat_store_dword v[4:5], v13 offset:1024
	flat_store_dword v[4:5], v14 offset:2048
	;; [unrolled: 1-line block ×3, first 2 shown]
	v_add_co_u32_e32 v4, vcc, s4, v26
	s_or_b64 s[0:1], s[0:1], exec
	s_nop 0
	v_addc_co_u32_e32 v5, vcc, 0, v27, vcc
	flat_store_dword v[4:5], v16
	flat_store_dword v[4:5], v17 offset:1024
	flat_store_dword v[4:5], v18 offset:2048
	;; [unrolled: 1-line block ×3, first 2 shown]
	v_add_co_u32_e32 v4, vcc, 0x4000, v26
	s_nop 1
	v_addc_co_u32_e32 v5, vcc, 0, v27, vcc
	flat_store_dword v[4:5], v20
	flat_store_dword v[4:5], v21 offset:1024
	flat_store_dword v[4:5], v22 offset:2048
	;; [unrolled: 1-line block ×3, first 2 shown]
	v_add_co_u32_e32 v4, vcc, 0x5000, v26
	s_nop 1
	v_addc_co_u32_e32 v5, vcc, 0, v27, vcc
	flat_store_dword v[4:5], v24
	flat_store_dword v[4:5], v25 offset:1024
.LBB124_236:
	s_and_saveexec_b64 s[4:5], s[0:1]
	s_cbranch_execnz .LBB124_238
; %bb.237:
	s_endpgm
.LBB124_238:
	s_waitcnt lgkmcnt(0)
	v_lshl_add_u64 v[0:1], v[0:1], 2, s[2:3]
	v_add_co_u32_e32 v0, vcc, 0x5000, v0
	s_nop 1
	v_addc_co_u32_e32 v1, vcc, 0, v1, vcc
	flat_store_dword v[0:1], v3 offset:2048
	s_endpgm
.LBB124_239:
	v_lshl_add_u64 v[48:49], s[52:53], 0, v[44:45]
	flat_load_dword v48, v[48:49]
	s_or_b64 exec, exec, s[60:61]
                                        ; implicit-def: $vgpr49
	s_and_saveexec_b64 s[50:51], s[4:5]
	s_cbranch_execz .LBB124_55
.LBB124_240:
	v_mov_b32_e32 v45, 0
	v_lshl_add_u64 v[50:51], s[52:53], 0, v[44:45]
	flat_load_dword v49, v[50:51] offset:1024
	s_or_b64 exec, exec, s[50:51]
                                        ; implicit-def: $vgpr50
	s_and_saveexec_b64 s[4:5], s[6:7]
	s_cbranch_execz .LBB124_56
.LBB124_241:
	v_mov_b32_e32 v45, 0
	v_lshl_add_u64 v[50:51], s[52:53], 0, v[44:45]
	flat_load_dword v50, v[50:51] offset:2048
	s_or_b64 exec, exec, s[4:5]
                                        ; implicit-def: $vgpr45
	s_and_saveexec_b64 s[4:5], s[8:9]
	s_cbranch_execz .LBB124_57
.LBB124_242:
	v_mov_b32_e32 v45, 0
	v_lshl_add_u64 v[52:53], s[52:53], 0, v[44:45]
	flat_load_dword v45, v[52:53] offset:3072
	s_or_b64 exec, exec, s[4:5]
                                        ; implicit-def: $vgpr3
	s_and_saveexec_b64 s[4:5], s[10:11]
	s_cbranch_execz .LBB124_58
.LBB124_243:
	v_mov_b32_e32 v3, 0
	v_lshl_add_u64 v[2:3], s[52:53], 0, v[2:3]
	flat_load_dword v3, v[2:3]
	s_or_b64 exec, exec, s[4:5]
                                        ; implicit-def: $vgpr2
	s_and_saveexec_b64 s[4:5], s[12:13]
	s_cbranch_execz .LBB124_59
.LBB124_244:
	v_mov_b32_e32 v11, 0
	v_lshl_add_u64 v[10:11], s[52:53], 0, v[10:11]
	flat_load_dword v2, v[10:11]
	s_or_b64 exec, exec, s[4:5]
                                        ; implicit-def: $vgpr10
	s_and_saveexec_b64 s[4:5], s[14:15]
	s_cbranch_execz .LBB124_60
.LBB124_245:
	v_mov_b32_e32 v13, 0
	v_lshl_add_u64 v[10:11], s[52:53], 0, v[12:13]
	flat_load_dword v10, v[10:11]
	s_or_b64 exec, exec, s[4:5]
                                        ; implicit-def: $vgpr11
	s_and_saveexec_b64 s[4:5], s[16:17]
	s_cbranch_execz .LBB124_61
.LBB124_246:
	v_mov_b32_e32 v15, 0
	v_lshl_add_u64 v[12:13], s[52:53], 0, v[14:15]
	flat_load_dword v11, v[12:13]
	s_or_b64 exec, exec, s[4:5]
                                        ; implicit-def: $vgpr12
	s_and_saveexec_b64 s[4:5], s[18:19]
	s_cbranch_execz .LBB124_62
.LBB124_247:
	v_mov_b32_e32 v17, 0
	v_lshl_add_u64 v[12:13], s[52:53], 0, v[16:17]
	flat_load_dword v12, v[12:13]
	s_or_b64 exec, exec, s[4:5]
                                        ; implicit-def: $vgpr13
	s_and_saveexec_b64 s[4:5], s[20:21]
	s_cbranch_execz .LBB124_63
.LBB124_248:
	v_mov_b32_e32 v19, 0
	v_lshl_add_u64 v[14:15], s[52:53], 0, v[18:19]
	flat_load_dword v13, v[14:15]
	s_or_b64 exec, exec, s[4:5]
                                        ; implicit-def: $vgpr14
	s_and_saveexec_b64 s[4:5], s[22:23]
	s_cbranch_execz .LBB124_64
.LBB124_249:
	v_mov_b32_e32 v21, 0
	v_lshl_add_u64 v[14:15], s[52:53], 0, v[20:21]
	flat_load_dword v14, v[14:15]
	s_or_b64 exec, exec, s[4:5]
                                        ; implicit-def: $vgpr15
	s_and_saveexec_b64 s[4:5], s[24:25]
	s_cbranch_execz .LBB124_65
.LBB124_250:
	v_mov_b32_e32 v23, 0
	v_lshl_add_u64 v[16:17], s[52:53], 0, v[22:23]
	flat_load_dword v15, v[16:17]
	s_or_b64 exec, exec, s[4:5]
                                        ; implicit-def: $vgpr16
	s_and_saveexec_b64 s[4:5], s[26:27]
	s_cbranch_execz .LBB124_66
.LBB124_251:
	v_mov_b32_e32 v25, 0
	v_lshl_add_u64 v[16:17], s[52:53], 0, v[24:25]
	flat_load_dword v16, v[16:17]
	s_or_b64 exec, exec, s[4:5]
                                        ; implicit-def: $vgpr17
	s_and_saveexec_b64 s[4:5], s[28:29]
	s_cbranch_execz .LBB124_67
.LBB124_252:
	v_mov_b32_e32 v27, 0
	v_lshl_add_u64 v[18:19], s[52:53], 0, v[26:27]
	flat_load_dword v17, v[18:19]
	s_or_b64 exec, exec, s[4:5]
                                        ; implicit-def: $vgpr18
	s_and_saveexec_b64 s[4:5], s[30:31]
	s_cbranch_execz .LBB124_68
.LBB124_253:
	v_mov_b32_e32 v29, 0
	v_lshl_add_u64 v[18:19], s[52:53], 0, v[28:29]
	flat_load_dword v18, v[18:19]
	s_or_b64 exec, exec, s[4:5]
                                        ; implicit-def: $vgpr19
	s_and_saveexec_b64 s[4:5], s[34:35]
	s_cbranch_execz .LBB124_69
.LBB124_254:
	v_mov_b32_e32 v31, 0
	v_lshl_add_u64 v[20:21], s[52:53], 0, v[30:31]
	flat_load_dword v19, v[20:21]
	s_or_b64 exec, exec, s[4:5]
                                        ; implicit-def: $vgpr20
	s_and_saveexec_b64 s[4:5], s[36:37]
	s_cbranch_execz .LBB124_70
.LBB124_255:
	v_mov_b32_e32 v33, 0
	v_lshl_add_u64 v[20:21], s[52:53], 0, v[32:33]
	flat_load_dword v20, v[20:21]
	s_or_b64 exec, exec, s[4:5]
                                        ; implicit-def: $vgpr21
	s_and_saveexec_b64 s[4:5], s[38:39]
	s_cbranch_execz .LBB124_71
.LBB124_256:
	v_mov_b32_e32 v35, 0
	v_lshl_add_u64 v[22:23], s[52:53], 0, v[34:35]
	flat_load_dword v21, v[22:23]
	s_or_b64 exec, exec, s[4:5]
                                        ; implicit-def: $vgpr22
	s_and_saveexec_b64 s[4:5], s[40:41]
	s_cbranch_execz .LBB124_72
.LBB124_257:
	v_mov_b32_e32 v37, 0
	v_lshl_add_u64 v[22:23], s[52:53], 0, v[36:37]
	flat_load_dword v22, v[22:23]
	s_or_b64 exec, exec, s[4:5]
                                        ; implicit-def: $vgpr23
	s_and_saveexec_b64 s[4:5], s[42:43]
	s_cbranch_execz .LBB124_73
.LBB124_258:
	v_mov_b32_e32 v39, 0
	v_lshl_add_u64 v[24:25], s[52:53], 0, v[38:39]
	flat_load_dword v23, v[24:25]
	s_or_b64 exec, exec, s[4:5]
                                        ; implicit-def: $vgpr24
	s_and_saveexec_b64 s[4:5], s[44:45]
	s_cbranch_execz .LBB124_74
.LBB124_259:
	v_mov_b32_e32 v41, 0
	v_lshl_add_u64 v[24:25], s[52:53], 0, v[40:41]
	flat_load_dword v24, v[24:25]
	s_or_b64 exec, exec, s[4:5]
                                        ; implicit-def: $vgpr25
	s_and_saveexec_b64 s[4:5], s[46:47]
	s_cbranch_execz .LBB124_75
.LBB124_260:
	v_mov_b32_e32 v43, 0
	v_lshl_add_u64 v[26:27], s[52:53], 0, v[42:43]
	flat_load_dword v25, v[26:27]
	s_or_b64 exec, exec, s[4:5]
                                        ; implicit-def: $vgpr26
	s_and_saveexec_b64 s[4:5], s[48:49]
	s_cbranch_execnz .LBB124_76
	s_branch .LBB124_77
.LBB124_261:
	v_add_u32_e32 v1, -1, v0
	v_lshrrev_b32_e32 v2, 5, v1
	v_add_lshl_u32 v1, v2, v1, 3
	ds_read_b32 v1, v1
	s_or_b64 exec, exec, s[50:51]
	s_and_saveexec_b64 s[50:51], s[2:3]
	s_cbranch_execz .LBB124_185
.LBB124_262:
	v_and_b32_e32 v3, 0xff, v11
	v_mov_b32_e32 v2, 0
	v_cmp_eq_u64_e64 s[2:3], 0, v[2:3]
	;;#ASMSTART
	;;#ASMEND
	s_waitcnt lgkmcnt(0)
	s_nop 0
	v_cndmask_b32_e64 v1, 0, v1, s[2:3]
	v_add_u32_e32 v10, v1, v10
	v_cndmask_b32_e64 v1, 0, v10, s[4:5]
	v_add_u32_e32 v58, v1, v12
	v_cndmask_b32_e64 v1, 0, v58, s[6:7]
	v_add_u32_e32 v59, v1, v14
	v_cndmask_b32_e64 v1, 0, v59, s[8:9]
	v_add_u32_e32 v60, v1, v16
	v_cndmask_b32_e64 v1, 0, v60, s[10:11]
	v_add_u32_e32 v61, v1, v18
	v_cndmask_b32_e64 v1, 0, v61, s[12:13]
	v_add_u32_e32 v62, v1, v20
	v_cndmask_b32_e64 v1, 0, v62, s[14:15]
	v_add_u32_e32 v63, v1, v22
	v_cndmask_b32_e64 v1, 0, v63, s[16:17]
	v_add_u32_e32 v64, v1, v24
	v_cndmask_b32_e64 v1, 0, v64, s[18:19]
	v_add_u32_e32 v65, v1, v26
	v_cndmask_b32_e64 v1, 0, v65, s[20:21]
	v_add_u32_e32 v66, v1, v28
	v_cndmask_b32_e64 v1, 0, v66, s[22:23]
	v_add_u32_e32 v67, v1, v30
	v_cndmask_b32_e64 v1, 0, v67, s[24:25]
	v_add_u32_e32 v68, v1, v32
	v_cndmask_b32_e64 v1, 0, v68, s[26:27]
	v_add_u32_e32 v69, v1, v34
	v_cndmask_b32_e64 v1, 0, v69, s[28:29]
	v_add_u32_e32 v70, v1, v36
	v_cndmask_b32_e64 v1, 0, v70, s[30:31]
	v_add_u32_e32 v71, v1, v38
	v_cndmask_b32_e64 v1, 0, v71, s[34:35]
	v_add_u32_e32 v72, v1, v40
	v_cndmask_b32_e64 v1, 0, v72, s[36:37]
	v_add_u32_e32 v73, v1, v42
	v_cndmask_b32_e64 v1, 0, v73, s[38:39]
	v_add_u32_e32 v74, v1, v44
	v_cndmask_b32_e64 v1, 0, v74, s[40:41]
	v_add_u32_e32 v75, v1, v46
	v_cndmask_b32_e64 v1, 0, v75, s[42:43]
	v_add_u32_e32 v76, v1, v48
	v_cndmask_b32_e64 v1, 0, v76, s[44:45]
	v_add_u32_e32 v77, v1, v50
	v_cndmask_b32_e64 v1, 0, v77, s[46:47]
	v_add_u32_e32 v78, v1, v52
	v_cndmask_b32_e64 v1, 0, v78, s[48:49]
	v_add_u32_e32 v79, v1, v56
	s_or_b64 exec, exec, s[50:51]
	s_and_saveexec_b64 s[2:3], vcc
	s_cbranch_execnz .LBB124_186
	s_branch .LBB124_187
.LBB124_263:
                                        ; implicit-def: $sgpr60_sgpr61
	s_branch .LBB124_50
.LBB124_264:
                                        ; implicit-def: $sgpr4_sgpr5
	s_branch .LBB124_126
	.section	.rodata,"a",@progbits
	.p2align	6, 0x0
	.amdhsa_kernel _ZN7rocprim17ROCPRIM_400000_NS6detail17trampoline_kernelINS0_14default_configENS1_27scan_by_key_config_selectorIiiEEZZNS1_16scan_by_key_implILNS1_25lookback_scan_determinismE0ELb0ES3_N6thrust23THRUST_200600_302600_NS6detail15normal_iteratorINS9_10device_ptrIiEEEESE_SE_iNS9_4plusIvEENS9_8equal_toIvEEiEE10hipError_tPvRmT2_T3_T4_T5_mT6_T7_P12ihipStream_tbENKUlT_T0_E_clISt17integral_constantIbLb0EESZ_EEDaSU_SV_EUlSU_E_NS1_11comp_targetILNS1_3genE5ELNS1_11target_archE942ELNS1_3gpuE9ELNS1_3repE0EEENS1_30default_config_static_selectorELNS0_4arch9wavefront6targetE1EEEvT1_
		.amdhsa_group_segment_fixed_size 25600
		.amdhsa_private_segment_fixed_size 0
		.amdhsa_kernarg_size 112
		.amdhsa_user_sgpr_count 2
		.amdhsa_user_sgpr_dispatch_ptr 0
		.amdhsa_user_sgpr_queue_ptr 0
		.amdhsa_user_sgpr_kernarg_segment_ptr 1
		.amdhsa_user_sgpr_dispatch_id 0
		.amdhsa_user_sgpr_kernarg_preload_length 0
		.amdhsa_user_sgpr_kernarg_preload_offset 0
		.amdhsa_user_sgpr_private_segment_size 0
		.amdhsa_uses_dynamic_stack 0
		.amdhsa_enable_private_segment 0
		.amdhsa_system_sgpr_workgroup_id_x 1
		.amdhsa_system_sgpr_workgroup_id_y 0
		.amdhsa_system_sgpr_workgroup_id_z 0
		.amdhsa_system_sgpr_workgroup_info 0
		.amdhsa_system_vgpr_workitem_id 0
		.amdhsa_next_free_vgpr 81
		.amdhsa_next_free_sgpr 82
		.amdhsa_accum_offset 84
		.amdhsa_reserve_vcc 1
		.amdhsa_float_round_mode_32 0
		.amdhsa_float_round_mode_16_64 0
		.amdhsa_float_denorm_mode_32 3
		.amdhsa_float_denorm_mode_16_64 3
		.amdhsa_dx10_clamp 1
		.amdhsa_ieee_mode 1
		.amdhsa_fp16_overflow 0
		.amdhsa_tg_split 0
		.amdhsa_exception_fp_ieee_invalid_op 0
		.amdhsa_exception_fp_denorm_src 0
		.amdhsa_exception_fp_ieee_div_zero 0
		.amdhsa_exception_fp_ieee_overflow 0
		.amdhsa_exception_fp_ieee_underflow 0
		.amdhsa_exception_fp_ieee_inexact 0
		.amdhsa_exception_int_div_zero 0
	.end_amdhsa_kernel
	.section	.text._ZN7rocprim17ROCPRIM_400000_NS6detail17trampoline_kernelINS0_14default_configENS1_27scan_by_key_config_selectorIiiEEZZNS1_16scan_by_key_implILNS1_25lookback_scan_determinismE0ELb0ES3_N6thrust23THRUST_200600_302600_NS6detail15normal_iteratorINS9_10device_ptrIiEEEESE_SE_iNS9_4plusIvEENS9_8equal_toIvEEiEE10hipError_tPvRmT2_T3_T4_T5_mT6_T7_P12ihipStream_tbENKUlT_T0_E_clISt17integral_constantIbLb0EESZ_EEDaSU_SV_EUlSU_E_NS1_11comp_targetILNS1_3genE5ELNS1_11target_archE942ELNS1_3gpuE9ELNS1_3repE0EEENS1_30default_config_static_selectorELNS0_4arch9wavefront6targetE1EEEvT1_,"axG",@progbits,_ZN7rocprim17ROCPRIM_400000_NS6detail17trampoline_kernelINS0_14default_configENS1_27scan_by_key_config_selectorIiiEEZZNS1_16scan_by_key_implILNS1_25lookback_scan_determinismE0ELb0ES3_N6thrust23THRUST_200600_302600_NS6detail15normal_iteratorINS9_10device_ptrIiEEEESE_SE_iNS9_4plusIvEENS9_8equal_toIvEEiEE10hipError_tPvRmT2_T3_T4_T5_mT6_T7_P12ihipStream_tbENKUlT_T0_E_clISt17integral_constantIbLb0EESZ_EEDaSU_SV_EUlSU_E_NS1_11comp_targetILNS1_3genE5ELNS1_11target_archE942ELNS1_3gpuE9ELNS1_3repE0EEENS1_30default_config_static_selectorELNS0_4arch9wavefront6targetE1EEEvT1_,comdat
.Lfunc_end124:
	.size	_ZN7rocprim17ROCPRIM_400000_NS6detail17trampoline_kernelINS0_14default_configENS1_27scan_by_key_config_selectorIiiEEZZNS1_16scan_by_key_implILNS1_25lookback_scan_determinismE0ELb0ES3_N6thrust23THRUST_200600_302600_NS6detail15normal_iteratorINS9_10device_ptrIiEEEESE_SE_iNS9_4plusIvEENS9_8equal_toIvEEiEE10hipError_tPvRmT2_T3_T4_T5_mT6_T7_P12ihipStream_tbENKUlT_T0_E_clISt17integral_constantIbLb0EESZ_EEDaSU_SV_EUlSU_E_NS1_11comp_targetILNS1_3genE5ELNS1_11target_archE942ELNS1_3gpuE9ELNS1_3repE0EEENS1_30default_config_static_selectorELNS0_4arch9wavefront6targetE1EEEvT1_, .Lfunc_end124-_ZN7rocprim17ROCPRIM_400000_NS6detail17trampoline_kernelINS0_14default_configENS1_27scan_by_key_config_selectorIiiEEZZNS1_16scan_by_key_implILNS1_25lookback_scan_determinismE0ELb0ES3_N6thrust23THRUST_200600_302600_NS6detail15normal_iteratorINS9_10device_ptrIiEEEESE_SE_iNS9_4plusIvEENS9_8equal_toIvEEiEE10hipError_tPvRmT2_T3_T4_T5_mT6_T7_P12ihipStream_tbENKUlT_T0_E_clISt17integral_constantIbLb0EESZ_EEDaSU_SV_EUlSU_E_NS1_11comp_targetILNS1_3genE5ELNS1_11target_archE942ELNS1_3gpuE9ELNS1_3repE0EEENS1_30default_config_static_selectorELNS0_4arch9wavefront6targetE1EEEvT1_
                                        ; -- End function
	.section	.AMDGPU.csdata,"",@progbits
; Kernel info:
; codeLenInByte = 15432
; NumSgprs: 88
; NumVgprs: 81
; NumAgprs: 0
; TotalNumVgprs: 81
; ScratchSize: 0
; MemoryBound: 0
; FloatMode: 240
; IeeeMode: 1
; LDSByteSize: 25600 bytes/workgroup (compile time only)
; SGPRBlocks: 10
; VGPRBlocks: 10
; NumSGPRsForWavesPerEU: 88
; NumVGPRsForWavesPerEU: 81
; AccumOffset: 84
; Occupancy: 2
; WaveLimiterHint : 1
; COMPUTE_PGM_RSRC2:SCRATCH_EN: 0
; COMPUTE_PGM_RSRC2:USER_SGPR: 2
; COMPUTE_PGM_RSRC2:TRAP_HANDLER: 0
; COMPUTE_PGM_RSRC2:TGID_X_EN: 1
; COMPUTE_PGM_RSRC2:TGID_Y_EN: 0
; COMPUTE_PGM_RSRC2:TGID_Z_EN: 0
; COMPUTE_PGM_RSRC2:TIDIG_COMP_CNT: 0
; COMPUTE_PGM_RSRC3_GFX90A:ACCUM_OFFSET: 20
; COMPUTE_PGM_RSRC3_GFX90A:TG_SPLIT: 0
	.section	.text._ZN7rocprim17ROCPRIM_400000_NS6detail17trampoline_kernelINS0_14default_configENS1_27scan_by_key_config_selectorIiiEEZZNS1_16scan_by_key_implILNS1_25lookback_scan_determinismE0ELb0ES3_N6thrust23THRUST_200600_302600_NS6detail15normal_iteratorINS9_10device_ptrIiEEEESE_SE_iNS9_4plusIvEENS9_8equal_toIvEEiEE10hipError_tPvRmT2_T3_T4_T5_mT6_T7_P12ihipStream_tbENKUlT_T0_E_clISt17integral_constantIbLb0EESZ_EEDaSU_SV_EUlSU_E_NS1_11comp_targetILNS1_3genE4ELNS1_11target_archE910ELNS1_3gpuE8ELNS1_3repE0EEENS1_30default_config_static_selectorELNS0_4arch9wavefront6targetE1EEEvT1_,"axG",@progbits,_ZN7rocprim17ROCPRIM_400000_NS6detail17trampoline_kernelINS0_14default_configENS1_27scan_by_key_config_selectorIiiEEZZNS1_16scan_by_key_implILNS1_25lookback_scan_determinismE0ELb0ES3_N6thrust23THRUST_200600_302600_NS6detail15normal_iteratorINS9_10device_ptrIiEEEESE_SE_iNS9_4plusIvEENS9_8equal_toIvEEiEE10hipError_tPvRmT2_T3_T4_T5_mT6_T7_P12ihipStream_tbENKUlT_T0_E_clISt17integral_constantIbLb0EESZ_EEDaSU_SV_EUlSU_E_NS1_11comp_targetILNS1_3genE4ELNS1_11target_archE910ELNS1_3gpuE8ELNS1_3repE0EEENS1_30default_config_static_selectorELNS0_4arch9wavefront6targetE1EEEvT1_,comdat
	.protected	_ZN7rocprim17ROCPRIM_400000_NS6detail17trampoline_kernelINS0_14default_configENS1_27scan_by_key_config_selectorIiiEEZZNS1_16scan_by_key_implILNS1_25lookback_scan_determinismE0ELb0ES3_N6thrust23THRUST_200600_302600_NS6detail15normal_iteratorINS9_10device_ptrIiEEEESE_SE_iNS9_4plusIvEENS9_8equal_toIvEEiEE10hipError_tPvRmT2_T3_T4_T5_mT6_T7_P12ihipStream_tbENKUlT_T0_E_clISt17integral_constantIbLb0EESZ_EEDaSU_SV_EUlSU_E_NS1_11comp_targetILNS1_3genE4ELNS1_11target_archE910ELNS1_3gpuE8ELNS1_3repE0EEENS1_30default_config_static_selectorELNS0_4arch9wavefront6targetE1EEEvT1_ ; -- Begin function _ZN7rocprim17ROCPRIM_400000_NS6detail17trampoline_kernelINS0_14default_configENS1_27scan_by_key_config_selectorIiiEEZZNS1_16scan_by_key_implILNS1_25lookback_scan_determinismE0ELb0ES3_N6thrust23THRUST_200600_302600_NS6detail15normal_iteratorINS9_10device_ptrIiEEEESE_SE_iNS9_4plusIvEENS9_8equal_toIvEEiEE10hipError_tPvRmT2_T3_T4_T5_mT6_T7_P12ihipStream_tbENKUlT_T0_E_clISt17integral_constantIbLb0EESZ_EEDaSU_SV_EUlSU_E_NS1_11comp_targetILNS1_3genE4ELNS1_11target_archE910ELNS1_3gpuE8ELNS1_3repE0EEENS1_30default_config_static_selectorELNS0_4arch9wavefront6targetE1EEEvT1_
	.globl	_ZN7rocprim17ROCPRIM_400000_NS6detail17trampoline_kernelINS0_14default_configENS1_27scan_by_key_config_selectorIiiEEZZNS1_16scan_by_key_implILNS1_25lookback_scan_determinismE0ELb0ES3_N6thrust23THRUST_200600_302600_NS6detail15normal_iteratorINS9_10device_ptrIiEEEESE_SE_iNS9_4plusIvEENS9_8equal_toIvEEiEE10hipError_tPvRmT2_T3_T4_T5_mT6_T7_P12ihipStream_tbENKUlT_T0_E_clISt17integral_constantIbLb0EESZ_EEDaSU_SV_EUlSU_E_NS1_11comp_targetILNS1_3genE4ELNS1_11target_archE910ELNS1_3gpuE8ELNS1_3repE0EEENS1_30default_config_static_selectorELNS0_4arch9wavefront6targetE1EEEvT1_
	.p2align	8
	.type	_ZN7rocprim17ROCPRIM_400000_NS6detail17trampoline_kernelINS0_14default_configENS1_27scan_by_key_config_selectorIiiEEZZNS1_16scan_by_key_implILNS1_25lookback_scan_determinismE0ELb0ES3_N6thrust23THRUST_200600_302600_NS6detail15normal_iteratorINS9_10device_ptrIiEEEESE_SE_iNS9_4plusIvEENS9_8equal_toIvEEiEE10hipError_tPvRmT2_T3_T4_T5_mT6_T7_P12ihipStream_tbENKUlT_T0_E_clISt17integral_constantIbLb0EESZ_EEDaSU_SV_EUlSU_E_NS1_11comp_targetILNS1_3genE4ELNS1_11target_archE910ELNS1_3gpuE8ELNS1_3repE0EEENS1_30default_config_static_selectorELNS0_4arch9wavefront6targetE1EEEvT1_,@function
_ZN7rocprim17ROCPRIM_400000_NS6detail17trampoline_kernelINS0_14default_configENS1_27scan_by_key_config_selectorIiiEEZZNS1_16scan_by_key_implILNS1_25lookback_scan_determinismE0ELb0ES3_N6thrust23THRUST_200600_302600_NS6detail15normal_iteratorINS9_10device_ptrIiEEEESE_SE_iNS9_4plusIvEENS9_8equal_toIvEEiEE10hipError_tPvRmT2_T3_T4_T5_mT6_T7_P12ihipStream_tbENKUlT_T0_E_clISt17integral_constantIbLb0EESZ_EEDaSU_SV_EUlSU_E_NS1_11comp_targetILNS1_3genE4ELNS1_11target_archE910ELNS1_3gpuE8ELNS1_3repE0EEENS1_30default_config_static_selectorELNS0_4arch9wavefront6targetE1EEEvT1_: ; @_ZN7rocprim17ROCPRIM_400000_NS6detail17trampoline_kernelINS0_14default_configENS1_27scan_by_key_config_selectorIiiEEZZNS1_16scan_by_key_implILNS1_25lookback_scan_determinismE0ELb0ES3_N6thrust23THRUST_200600_302600_NS6detail15normal_iteratorINS9_10device_ptrIiEEEESE_SE_iNS9_4plusIvEENS9_8equal_toIvEEiEE10hipError_tPvRmT2_T3_T4_T5_mT6_T7_P12ihipStream_tbENKUlT_T0_E_clISt17integral_constantIbLb0EESZ_EEDaSU_SV_EUlSU_E_NS1_11comp_targetILNS1_3genE4ELNS1_11target_archE910ELNS1_3gpuE8ELNS1_3repE0EEENS1_30default_config_static_selectorELNS0_4arch9wavefront6targetE1EEEvT1_
; %bb.0:
	.section	.rodata,"a",@progbits
	.p2align	6, 0x0
	.amdhsa_kernel _ZN7rocprim17ROCPRIM_400000_NS6detail17trampoline_kernelINS0_14default_configENS1_27scan_by_key_config_selectorIiiEEZZNS1_16scan_by_key_implILNS1_25lookback_scan_determinismE0ELb0ES3_N6thrust23THRUST_200600_302600_NS6detail15normal_iteratorINS9_10device_ptrIiEEEESE_SE_iNS9_4plusIvEENS9_8equal_toIvEEiEE10hipError_tPvRmT2_T3_T4_T5_mT6_T7_P12ihipStream_tbENKUlT_T0_E_clISt17integral_constantIbLb0EESZ_EEDaSU_SV_EUlSU_E_NS1_11comp_targetILNS1_3genE4ELNS1_11target_archE910ELNS1_3gpuE8ELNS1_3repE0EEENS1_30default_config_static_selectorELNS0_4arch9wavefront6targetE1EEEvT1_
		.amdhsa_group_segment_fixed_size 0
		.amdhsa_private_segment_fixed_size 0
		.amdhsa_kernarg_size 112
		.amdhsa_user_sgpr_count 2
		.amdhsa_user_sgpr_dispatch_ptr 0
		.amdhsa_user_sgpr_queue_ptr 0
		.amdhsa_user_sgpr_kernarg_segment_ptr 1
		.amdhsa_user_sgpr_dispatch_id 0
		.amdhsa_user_sgpr_kernarg_preload_length 0
		.amdhsa_user_sgpr_kernarg_preload_offset 0
		.amdhsa_user_sgpr_private_segment_size 0
		.amdhsa_uses_dynamic_stack 0
		.amdhsa_enable_private_segment 0
		.amdhsa_system_sgpr_workgroup_id_x 1
		.amdhsa_system_sgpr_workgroup_id_y 0
		.amdhsa_system_sgpr_workgroup_id_z 0
		.amdhsa_system_sgpr_workgroup_info 0
		.amdhsa_system_vgpr_workitem_id 0
		.amdhsa_next_free_vgpr 1
		.amdhsa_next_free_sgpr 0
		.amdhsa_accum_offset 4
		.amdhsa_reserve_vcc 0
		.amdhsa_float_round_mode_32 0
		.amdhsa_float_round_mode_16_64 0
		.amdhsa_float_denorm_mode_32 3
		.amdhsa_float_denorm_mode_16_64 3
		.amdhsa_dx10_clamp 1
		.amdhsa_ieee_mode 1
		.amdhsa_fp16_overflow 0
		.amdhsa_tg_split 0
		.amdhsa_exception_fp_ieee_invalid_op 0
		.amdhsa_exception_fp_denorm_src 0
		.amdhsa_exception_fp_ieee_div_zero 0
		.amdhsa_exception_fp_ieee_overflow 0
		.amdhsa_exception_fp_ieee_underflow 0
		.amdhsa_exception_fp_ieee_inexact 0
		.amdhsa_exception_int_div_zero 0
	.end_amdhsa_kernel
	.section	.text._ZN7rocprim17ROCPRIM_400000_NS6detail17trampoline_kernelINS0_14default_configENS1_27scan_by_key_config_selectorIiiEEZZNS1_16scan_by_key_implILNS1_25lookback_scan_determinismE0ELb0ES3_N6thrust23THRUST_200600_302600_NS6detail15normal_iteratorINS9_10device_ptrIiEEEESE_SE_iNS9_4plusIvEENS9_8equal_toIvEEiEE10hipError_tPvRmT2_T3_T4_T5_mT6_T7_P12ihipStream_tbENKUlT_T0_E_clISt17integral_constantIbLb0EESZ_EEDaSU_SV_EUlSU_E_NS1_11comp_targetILNS1_3genE4ELNS1_11target_archE910ELNS1_3gpuE8ELNS1_3repE0EEENS1_30default_config_static_selectorELNS0_4arch9wavefront6targetE1EEEvT1_,"axG",@progbits,_ZN7rocprim17ROCPRIM_400000_NS6detail17trampoline_kernelINS0_14default_configENS1_27scan_by_key_config_selectorIiiEEZZNS1_16scan_by_key_implILNS1_25lookback_scan_determinismE0ELb0ES3_N6thrust23THRUST_200600_302600_NS6detail15normal_iteratorINS9_10device_ptrIiEEEESE_SE_iNS9_4plusIvEENS9_8equal_toIvEEiEE10hipError_tPvRmT2_T3_T4_T5_mT6_T7_P12ihipStream_tbENKUlT_T0_E_clISt17integral_constantIbLb0EESZ_EEDaSU_SV_EUlSU_E_NS1_11comp_targetILNS1_3genE4ELNS1_11target_archE910ELNS1_3gpuE8ELNS1_3repE0EEENS1_30default_config_static_selectorELNS0_4arch9wavefront6targetE1EEEvT1_,comdat
.Lfunc_end125:
	.size	_ZN7rocprim17ROCPRIM_400000_NS6detail17trampoline_kernelINS0_14default_configENS1_27scan_by_key_config_selectorIiiEEZZNS1_16scan_by_key_implILNS1_25lookback_scan_determinismE0ELb0ES3_N6thrust23THRUST_200600_302600_NS6detail15normal_iteratorINS9_10device_ptrIiEEEESE_SE_iNS9_4plusIvEENS9_8equal_toIvEEiEE10hipError_tPvRmT2_T3_T4_T5_mT6_T7_P12ihipStream_tbENKUlT_T0_E_clISt17integral_constantIbLb0EESZ_EEDaSU_SV_EUlSU_E_NS1_11comp_targetILNS1_3genE4ELNS1_11target_archE910ELNS1_3gpuE8ELNS1_3repE0EEENS1_30default_config_static_selectorELNS0_4arch9wavefront6targetE1EEEvT1_, .Lfunc_end125-_ZN7rocprim17ROCPRIM_400000_NS6detail17trampoline_kernelINS0_14default_configENS1_27scan_by_key_config_selectorIiiEEZZNS1_16scan_by_key_implILNS1_25lookback_scan_determinismE0ELb0ES3_N6thrust23THRUST_200600_302600_NS6detail15normal_iteratorINS9_10device_ptrIiEEEESE_SE_iNS9_4plusIvEENS9_8equal_toIvEEiEE10hipError_tPvRmT2_T3_T4_T5_mT6_T7_P12ihipStream_tbENKUlT_T0_E_clISt17integral_constantIbLb0EESZ_EEDaSU_SV_EUlSU_E_NS1_11comp_targetILNS1_3genE4ELNS1_11target_archE910ELNS1_3gpuE8ELNS1_3repE0EEENS1_30default_config_static_selectorELNS0_4arch9wavefront6targetE1EEEvT1_
                                        ; -- End function
	.section	.AMDGPU.csdata,"",@progbits
; Kernel info:
; codeLenInByte = 0
; NumSgprs: 6
; NumVgprs: 0
; NumAgprs: 0
; TotalNumVgprs: 0
; ScratchSize: 0
; MemoryBound: 0
; FloatMode: 240
; IeeeMode: 1
; LDSByteSize: 0 bytes/workgroup (compile time only)
; SGPRBlocks: 0
; VGPRBlocks: 0
; NumSGPRsForWavesPerEU: 6
; NumVGPRsForWavesPerEU: 1
; AccumOffset: 4
; Occupancy: 8
; WaveLimiterHint : 0
; COMPUTE_PGM_RSRC2:SCRATCH_EN: 0
; COMPUTE_PGM_RSRC2:USER_SGPR: 2
; COMPUTE_PGM_RSRC2:TRAP_HANDLER: 0
; COMPUTE_PGM_RSRC2:TGID_X_EN: 1
; COMPUTE_PGM_RSRC2:TGID_Y_EN: 0
; COMPUTE_PGM_RSRC2:TGID_Z_EN: 0
; COMPUTE_PGM_RSRC2:TIDIG_COMP_CNT: 0
; COMPUTE_PGM_RSRC3_GFX90A:ACCUM_OFFSET: 0
; COMPUTE_PGM_RSRC3_GFX90A:TG_SPLIT: 0
	.section	.text._ZN7rocprim17ROCPRIM_400000_NS6detail17trampoline_kernelINS0_14default_configENS1_27scan_by_key_config_selectorIiiEEZZNS1_16scan_by_key_implILNS1_25lookback_scan_determinismE0ELb0ES3_N6thrust23THRUST_200600_302600_NS6detail15normal_iteratorINS9_10device_ptrIiEEEESE_SE_iNS9_4plusIvEENS9_8equal_toIvEEiEE10hipError_tPvRmT2_T3_T4_T5_mT6_T7_P12ihipStream_tbENKUlT_T0_E_clISt17integral_constantIbLb0EESZ_EEDaSU_SV_EUlSU_E_NS1_11comp_targetILNS1_3genE3ELNS1_11target_archE908ELNS1_3gpuE7ELNS1_3repE0EEENS1_30default_config_static_selectorELNS0_4arch9wavefront6targetE1EEEvT1_,"axG",@progbits,_ZN7rocprim17ROCPRIM_400000_NS6detail17trampoline_kernelINS0_14default_configENS1_27scan_by_key_config_selectorIiiEEZZNS1_16scan_by_key_implILNS1_25lookback_scan_determinismE0ELb0ES3_N6thrust23THRUST_200600_302600_NS6detail15normal_iteratorINS9_10device_ptrIiEEEESE_SE_iNS9_4plusIvEENS9_8equal_toIvEEiEE10hipError_tPvRmT2_T3_T4_T5_mT6_T7_P12ihipStream_tbENKUlT_T0_E_clISt17integral_constantIbLb0EESZ_EEDaSU_SV_EUlSU_E_NS1_11comp_targetILNS1_3genE3ELNS1_11target_archE908ELNS1_3gpuE7ELNS1_3repE0EEENS1_30default_config_static_selectorELNS0_4arch9wavefront6targetE1EEEvT1_,comdat
	.protected	_ZN7rocprim17ROCPRIM_400000_NS6detail17trampoline_kernelINS0_14default_configENS1_27scan_by_key_config_selectorIiiEEZZNS1_16scan_by_key_implILNS1_25lookback_scan_determinismE0ELb0ES3_N6thrust23THRUST_200600_302600_NS6detail15normal_iteratorINS9_10device_ptrIiEEEESE_SE_iNS9_4plusIvEENS9_8equal_toIvEEiEE10hipError_tPvRmT2_T3_T4_T5_mT6_T7_P12ihipStream_tbENKUlT_T0_E_clISt17integral_constantIbLb0EESZ_EEDaSU_SV_EUlSU_E_NS1_11comp_targetILNS1_3genE3ELNS1_11target_archE908ELNS1_3gpuE7ELNS1_3repE0EEENS1_30default_config_static_selectorELNS0_4arch9wavefront6targetE1EEEvT1_ ; -- Begin function _ZN7rocprim17ROCPRIM_400000_NS6detail17trampoline_kernelINS0_14default_configENS1_27scan_by_key_config_selectorIiiEEZZNS1_16scan_by_key_implILNS1_25lookback_scan_determinismE0ELb0ES3_N6thrust23THRUST_200600_302600_NS6detail15normal_iteratorINS9_10device_ptrIiEEEESE_SE_iNS9_4plusIvEENS9_8equal_toIvEEiEE10hipError_tPvRmT2_T3_T4_T5_mT6_T7_P12ihipStream_tbENKUlT_T0_E_clISt17integral_constantIbLb0EESZ_EEDaSU_SV_EUlSU_E_NS1_11comp_targetILNS1_3genE3ELNS1_11target_archE908ELNS1_3gpuE7ELNS1_3repE0EEENS1_30default_config_static_selectorELNS0_4arch9wavefront6targetE1EEEvT1_
	.globl	_ZN7rocprim17ROCPRIM_400000_NS6detail17trampoline_kernelINS0_14default_configENS1_27scan_by_key_config_selectorIiiEEZZNS1_16scan_by_key_implILNS1_25lookback_scan_determinismE0ELb0ES3_N6thrust23THRUST_200600_302600_NS6detail15normal_iteratorINS9_10device_ptrIiEEEESE_SE_iNS9_4plusIvEENS9_8equal_toIvEEiEE10hipError_tPvRmT2_T3_T4_T5_mT6_T7_P12ihipStream_tbENKUlT_T0_E_clISt17integral_constantIbLb0EESZ_EEDaSU_SV_EUlSU_E_NS1_11comp_targetILNS1_3genE3ELNS1_11target_archE908ELNS1_3gpuE7ELNS1_3repE0EEENS1_30default_config_static_selectorELNS0_4arch9wavefront6targetE1EEEvT1_
	.p2align	8
	.type	_ZN7rocprim17ROCPRIM_400000_NS6detail17trampoline_kernelINS0_14default_configENS1_27scan_by_key_config_selectorIiiEEZZNS1_16scan_by_key_implILNS1_25lookback_scan_determinismE0ELb0ES3_N6thrust23THRUST_200600_302600_NS6detail15normal_iteratorINS9_10device_ptrIiEEEESE_SE_iNS9_4plusIvEENS9_8equal_toIvEEiEE10hipError_tPvRmT2_T3_T4_T5_mT6_T7_P12ihipStream_tbENKUlT_T0_E_clISt17integral_constantIbLb0EESZ_EEDaSU_SV_EUlSU_E_NS1_11comp_targetILNS1_3genE3ELNS1_11target_archE908ELNS1_3gpuE7ELNS1_3repE0EEENS1_30default_config_static_selectorELNS0_4arch9wavefront6targetE1EEEvT1_,@function
_ZN7rocprim17ROCPRIM_400000_NS6detail17trampoline_kernelINS0_14default_configENS1_27scan_by_key_config_selectorIiiEEZZNS1_16scan_by_key_implILNS1_25lookback_scan_determinismE0ELb0ES3_N6thrust23THRUST_200600_302600_NS6detail15normal_iteratorINS9_10device_ptrIiEEEESE_SE_iNS9_4plusIvEENS9_8equal_toIvEEiEE10hipError_tPvRmT2_T3_T4_T5_mT6_T7_P12ihipStream_tbENKUlT_T0_E_clISt17integral_constantIbLb0EESZ_EEDaSU_SV_EUlSU_E_NS1_11comp_targetILNS1_3genE3ELNS1_11target_archE908ELNS1_3gpuE7ELNS1_3repE0EEENS1_30default_config_static_selectorELNS0_4arch9wavefront6targetE1EEEvT1_: ; @_ZN7rocprim17ROCPRIM_400000_NS6detail17trampoline_kernelINS0_14default_configENS1_27scan_by_key_config_selectorIiiEEZZNS1_16scan_by_key_implILNS1_25lookback_scan_determinismE0ELb0ES3_N6thrust23THRUST_200600_302600_NS6detail15normal_iteratorINS9_10device_ptrIiEEEESE_SE_iNS9_4plusIvEENS9_8equal_toIvEEiEE10hipError_tPvRmT2_T3_T4_T5_mT6_T7_P12ihipStream_tbENKUlT_T0_E_clISt17integral_constantIbLb0EESZ_EEDaSU_SV_EUlSU_E_NS1_11comp_targetILNS1_3genE3ELNS1_11target_archE908ELNS1_3gpuE7ELNS1_3repE0EEENS1_30default_config_static_selectorELNS0_4arch9wavefront6targetE1EEEvT1_
; %bb.0:
	.section	.rodata,"a",@progbits
	.p2align	6, 0x0
	.amdhsa_kernel _ZN7rocprim17ROCPRIM_400000_NS6detail17trampoline_kernelINS0_14default_configENS1_27scan_by_key_config_selectorIiiEEZZNS1_16scan_by_key_implILNS1_25lookback_scan_determinismE0ELb0ES3_N6thrust23THRUST_200600_302600_NS6detail15normal_iteratorINS9_10device_ptrIiEEEESE_SE_iNS9_4plusIvEENS9_8equal_toIvEEiEE10hipError_tPvRmT2_T3_T4_T5_mT6_T7_P12ihipStream_tbENKUlT_T0_E_clISt17integral_constantIbLb0EESZ_EEDaSU_SV_EUlSU_E_NS1_11comp_targetILNS1_3genE3ELNS1_11target_archE908ELNS1_3gpuE7ELNS1_3repE0EEENS1_30default_config_static_selectorELNS0_4arch9wavefront6targetE1EEEvT1_
		.amdhsa_group_segment_fixed_size 0
		.amdhsa_private_segment_fixed_size 0
		.amdhsa_kernarg_size 112
		.amdhsa_user_sgpr_count 2
		.amdhsa_user_sgpr_dispatch_ptr 0
		.amdhsa_user_sgpr_queue_ptr 0
		.amdhsa_user_sgpr_kernarg_segment_ptr 1
		.amdhsa_user_sgpr_dispatch_id 0
		.amdhsa_user_sgpr_kernarg_preload_length 0
		.amdhsa_user_sgpr_kernarg_preload_offset 0
		.amdhsa_user_sgpr_private_segment_size 0
		.amdhsa_uses_dynamic_stack 0
		.amdhsa_enable_private_segment 0
		.amdhsa_system_sgpr_workgroup_id_x 1
		.amdhsa_system_sgpr_workgroup_id_y 0
		.amdhsa_system_sgpr_workgroup_id_z 0
		.amdhsa_system_sgpr_workgroup_info 0
		.amdhsa_system_vgpr_workitem_id 0
		.amdhsa_next_free_vgpr 1
		.amdhsa_next_free_sgpr 0
		.amdhsa_accum_offset 4
		.amdhsa_reserve_vcc 0
		.amdhsa_float_round_mode_32 0
		.amdhsa_float_round_mode_16_64 0
		.amdhsa_float_denorm_mode_32 3
		.amdhsa_float_denorm_mode_16_64 3
		.amdhsa_dx10_clamp 1
		.amdhsa_ieee_mode 1
		.amdhsa_fp16_overflow 0
		.amdhsa_tg_split 0
		.amdhsa_exception_fp_ieee_invalid_op 0
		.amdhsa_exception_fp_denorm_src 0
		.amdhsa_exception_fp_ieee_div_zero 0
		.amdhsa_exception_fp_ieee_overflow 0
		.amdhsa_exception_fp_ieee_underflow 0
		.amdhsa_exception_fp_ieee_inexact 0
		.amdhsa_exception_int_div_zero 0
	.end_amdhsa_kernel
	.section	.text._ZN7rocprim17ROCPRIM_400000_NS6detail17trampoline_kernelINS0_14default_configENS1_27scan_by_key_config_selectorIiiEEZZNS1_16scan_by_key_implILNS1_25lookback_scan_determinismE0ELb0ES3_N6thrust23THRUST_200600_302600_NS6detail15normal_iteratorINS9_10device_ptrIiEEEESE_SE_iNS9_4plusIvEENS9_8equal_toIvEEiEE10hipError_tPvRmT2_T3_T4_T5_mT6_T7_P12ihipStream_tbENKUlT_T0_E_clISt17integral_constantIbLb0EESZ_EEDaSU_SV_EUlSU_E_NS1_11comp_targetILNS1_3genE3ELNS1_11target_archE908ELNS1_3gpuE7ELNS1_3repE0EEENS1_30default_config_static_selectorELNS0_4arch9wavefront6targetE1EEEvT1_,"axG",@progbits,_ZN7rocprim17ROCPRIM_400000_NS6detail17trampoline_kernelINS0_14default_configENS1_27scan_by_key_config_selectorIiiEEZZNS1_16scan_by_key_implILNS1_25lookback_scan_determinismE0ELb0ES3_N6thrust23THRUST_200600_302600_NS6detail15normal_iteratorINS9_10device_ptrIiEEEESE_SE_iNS9_4plusIvEENS9_8equal_toIvEEiEE10hipError_tPvRmT2_T3_T4_T5_mT6_T7_P12ihipStream_tbENKUlT_T0_E_clISt17integral_constantIbLb0EESZ_EEDaSU_SV_EUlSU_E_NS1_11comp_targetILNS1_3genE3ELNS1_11target_archE908ELNS1_3gpuE7ELNS1_3repE0EEENS1_30default_config_static_selectorELNS0_4arch9wavefront6targetE1EEEvT1_,comdat
.Lfunc_end126:
	.size	_ZN7rocprim17ROCPRIM_400000_NS6detail17trampoline_kernelINS0_14default_configENS1_27scan_by_key_config_selectorIiiEEZZNS1_16scan_by_key_implILNS1_25lookback_scan_determinismE0ELb0ES3_N6thrust23THRUST_200600_302600_NS6detail15normal_iteratorINS9_10device_ptrIiEEEESE_SE_iNS9_4plusIvEENS9_8equal_toIvEEiEE10hipError_tPvRmT2_T3_T4_T5_mT6_T7_P12ihipStream_tbENKUlT_T0_E_clISt17integral_constantIbLb0EESZ_EEDaSU_SV_EUlSU_E_NS1_11comp_targetILNS1_3genE3ELNS1_11target_archE908ELNS1_3gpuE7ELNS1_3repE0EEENS1_30default_config_static_selectorELNS0_4arch9wavefront6targetE1EEEvT1_, .Lfunc_end126-_ZN7rocprim17ROCPRIM_400000_NS6detail17trampoline_kernelINS0_14default_configENS1_27scan_by_key_config_selectorIiiEEZZNS1_16scan_by_key_implILNS1_25lookback_scan_determinismE0ELb0ES3_N6thrust23THRUST_200600_302600_NS6detail15normal_iteratorINS9_10device_ptrIiEEEESE_SE_iNS9_4plusIvEENS9_8equal_toIvEEiEE10hipError_tPvRmT2_T3_T4_T5_mT6_T7_P12ihipStream_tbENKUlT_T0_E_clISt17integral_constantIbLb0EESZ_EEDaSU_SV_EUlSU_E_NS1_11comp_targetILNS1_3genE3ELNS1_11target_archE908ELNS1_3gpuE7ELNS1_3repE0EEENS1_30default_config_static_selectorELNS0_4arch9wavefront6targetE1EEEvT1_
                                        ; -- End function
	.section	.AMDGPU.csdata,"",@progbits
; Kernel info:
; codeLenInByte = 0
; NumSgprs: 6
; NumVgprs: 0
; NumAgprs: 0
; TotalNumVgprs: 0
; ScratchSize: 0
; MemoryBound: 0
; FloatMode: 240
; IeeeMode: 1
; LDSByteSize: 0 bytes/workgroup (compile time only)
; SGPRBlocks: 0
; VGPRBlocks: 0
; NumSGPRsForWavesPerEU: 6
; NumVGPRsForWavesPerEU: 1
; AccumOffset: 4
; Occupancy: 8
; WaveLimiterHint : 0
; COMPUTE_PGM_RSRC2:SCRATCH_EN: 0
; COMPUTE_PGM_RSRC2:USER_SGPR: 2
; COMPUTE_PGM_RSRC2:TRAP_HANDLER: 0
; COMPUTE_PGM_RSRC2:TGID_X_EN: 1
; COMPUTE_PGM_RSRC2:TGID_Y_EN: 0
; COMPUTE_PGM_RSRC2:TGID_Z_EN: 0
; COMPUTE_PGM_RSRC2:TIDIG_COMP_CNT: 0
; COMPUTE_PGM_RSRC3_GFX90A:ACCUM_OFFSET: 0
; COMPUTE_PGM_RSRC3_GFX90A:TG_SPLIT: 0
	.section	.text._ZN7rocprim17ROCPRIM_400000_NS6detail17trampoline_kernelINS0_14default_configENS1_27scan_by_key_config_selectorIiiEEZZNS1_16scan_by_key_implILNS1_25lookback_scan_determinismE0ELb0ES3_N6thrust23THRUST_200600_302600_NS6detail15normal_iteratorINS9_10device_ptrIiEEEESE_SE_iNS9_4plusIvEENS9_8equal_toIvEEiEE10hipError_tPvRmT2_T3_T4_T5_mT6_T7_P12ihipStream_tbENKUlT_T0_E_clISt17integral_constantIbLb0EESZ_EEDaSU_SV_EUlSU_E_NS1_11comp_targetILNS1_3genE2ELNS1_11target_archE906ELNS1_3gpuE6ELNS1_3repE0EEENS1_30default_config_static_selectorELNS0_4arch9wavefront6targetE1EEEvT1_,"axG",@progbits,_ZN7rocprim17ROCPRIM_400000_NS6detail17trampoline_kernelINS0_14default_configENS1_27scan_by_key_config_selectorIiiEEZZNS1_16scan_by_key_implILNS1_25lookback_scan_determinismE0ELb0ES3_N6thrust23THRUST_200600_302600_NS6detail15normal_iteratorINS9_10device_ptrIiEEEESE_SE_iNS9_4plusIvEENS9_8equal_toIvEEiEE10hipError_tPvRmT2_T3_T4_T5_mT6_T7_P12ihipStream_tbENKUlT_T0_E_clISt17integral_constantIbLb0EESZ_EEDaSU_SV_EUlSU_E_NS1_11comp_targetILNS1_3genE2ELNS1_11target_archE906ELNS1_3gpuE6ELNS1_3repE0EEENS1_30default_config_static_selectorELNS0_4arch9wavefront6targetE1EEEvT1_,comdat
	.protected	_ZN7rocprim17ROCPRIM_400000_NS6detail17trampoline_kernelINS0_14default_configENS1_27scan_by_key_config_selectorIiiEEZZNS1_16scan_by_key_implILNS1_25lookback_scan_determinismE0ELb0ES3_N6thrust23THRUST_200600_302600_NS6detail15normal_iteratorINS9_10device_ptrIiEEEESE_SE_iNS9_4plusIvEENS9_8equal_toIvEEiEE10hipError_tPvRmT2_T3_T4_T5_mT6_T7_P12ihipStream_tbENKUlT_T0_E_clISt17integral_constantIbLb0EESZ_EEDaSU_SV_EUlSU_E_NS1_11comp_targetILNS1_3genE2ELNS1_11target_archE906ELNS1_3gpuE6ELNS1_3repE0EEENS1_30default_config_static_selectorELNS0_4arch9wavefront6targetE1EEEvT1_ ; -- Begin function _ZN7rocprim17ROCPRIM_400000_NS6detail17trampoline_kernelINS0_14default_configENS1_27scan_by_key_config_selectorIiiEEZZNS1_16scan_by_key_implILNS1_25lookback_scan_determinismE0ELb0ES3_N6thrust23THRUST_200600_302600_NS6detail15normal_iteratorINS9_10device_ptrIiEEEESE_SE_iNS9_4plusIvEENS9_8equal_toIvEEiEE10hipError_tPvRmT2_T3_T4_T5_mT6_T7_P12ihipStream_tbENKUlT_T0_E_clISt17integral_constantIbLb0EESZ_EEDaSU_SV_EUlSU_E_NS1_11comp_targetILNS1_3genE2ELNS1_11target_archE906ELNS1_3gpuE6ELNS1_3repE0EEENS1_30default_config_static_selectorELNS0_4arch9wavefront6targetE1EEEvT1_
	.globl	_ZN7rocprim17ROCPRIM_400000_NS6detail17trampoline_kernelINS0_14default_configENS1_27scan_by_key_config_selectorIiiEEZZNS1_16scan_by_key_implILNS1_25lookback_scan_determinismE0ELb0ES3_N6thrust23THRUST_200600_302600_NS6detail15normal_iteratorINS9_10device_ptrIiEEEESE_SE_iNS9_4plusIvEENS9_8equal_toIvEEiEE10hipError_tPvRmT2_T3_T4_T5_mT6_T7_P12ihipStream_tbENKUlT_T0_E_clISt17integral_constantIbLb0EESZ_EEDaSU_SV_EUlSU_E_NS1_11comp_targetILNS1_3genE2ELNS1_11target_archE906ELNS1_3gpuE6ELNS1_3repE0EEENS1_30default_config_static_selectorELNS0_4arch9wavefront6targetE1EEEvT1_
	.p2align	8
	.type	_ZN7rocprim17ROCPRIM_400000_NS6detail17trampoline_kernelINS0_14default_configENS1_27scan_by_key_config_selectorIiiEEZZNS1_16scan_by_key_implILNS1_25lookback_scan_determinismE0ELb0ES3_N6thrust23THRUST_200600_302600_NS6detail15normal_iteratorINS9_10device_ptrIiEEEESE_SE_iNS9_4plusIvEENS9_8equal_toIvEEiEE10hipError_tPvRmT2_T3_T4_T5_mT6_T7_P12ihipStream_tbENKUlT_T0_E_clISt17integral_constantIbLb0EESZ_EEDaSU_SV_EUlSU_E_NS1_11comp_targetILNS1_3genE2ELNS1_11target_archE906ELNS1_3gpuE6ELNS1_3repE0EEENS1_30default_config_static_selectorELNS0_4arch9wavefront6targetE1EEEvT1_,@function
_ZN7rocprim17ROCPRIM_400000_NS6detail17trampoline_kernelINS0_14default_configENS1_27scan_by_key_config_selectorIiiEEZZNS1_16scan_by_key_implILNS1_25lookback_scan_determinismE0ELb0ES3_N6thrust23THRUST_200600_302600_NS6detail15normal_iteratorINS9_10device_ptrIiEEEESE_SE_iNS9_4plusIvEENS9_8equal_toIvEEiEE10hipError_tPvRmT2_T3_T4_T5_mT6_T7_P12ihipStream_tbENKUlT_T0_E_clISt17integral_constantIbLb0EESZ_EEDaSU_SV_EUlSU_E_NS1_11comp_targetILNS1_3genE2ELNS1_11target_archE906ELNS1_3gpuE6ELNS1_3repE0EEENS1_30default_config_static_selectorELNS0_4arch9wavefront6targetE1EEEvT1_: ; @_ZN7rocprim17ROCPRIM_400000_NS6detail17trampoline_kernelINS0_14default_configENS1_27scan_by_key_config_selectorIiiEEZZNS1_16scan_by_key_implILNS1_25lookback_scan_determinismE0ELb0ES3_N6thrust23THRUST_200600_302600_NS6detail15normal_iteratorINS9_10device_ptrIiEEEESE_SE_iNS9_4plusIvEENS9_8equal_toIvEEiEE10hipError_tPvRmT2_T3_T4_T5_mT6_T7_P12ihipStream_tbENKUlT_T0_E_clISt17integral_constantIbLb0EESZ_EEDaSU_SV_EUlSU_E_NS1_11comp_targetILNS1_3genE2ELNS1_11target_archE906ELNS1_3gpuE6ELNS1_3repE0EEENS1_30default_config_static_selectorELNS0_4arch9wavefront6targetE1EEEvT1_
; %bb.0:
	.section	.rodata,"a",@progbits
	.p2align	6, 0x0
	.amdhsa_kernel _ZN7rocprim17ROCPRIM_400000_NS6detail17trampoline_kernelINS0_14default_configENS1_27scan_by_key_config_selectorIiiEEZZNS1_16scan_by_key_implILNS1_25lookback_scan_determinismE0ELb0ES3_N6thrust23THRUST_200600_302600_NS6detail15normal_iteratorINS9_10device_ptrIiEEEESE_SE_iNS9_4plusIvEENS9_8equal_toIvEEiEE10hipError_tPvRmT2_T3_T4_T5_mT6_T7_P12ihipStream_tbENKUlT_T0_E_clISt17integral_constantIbLb0EESZ_EEDaSU_SV_EUlSU_E_NS1_11comp_targetILNS1_3genE2ELNS1_11target_archE906ELNS1_3gpuE6ELNS1_3repE0EEENS1_30default_config_static_selectorELNS0_4arch9wavefront6targetE1EEEvT1_
		.amdhsa_group_segment_fixed_size 0
		.amdhsa_private_segment_fixed_size 0
		.amdhsa_kernarg_size 112
		.amdhsa_user_sgpr_count 2
		.amdhsa_user_sgpr_dispatch_ptr 0
		.amdhsa_user_sgpr_queue_ptr 0
		.amdhsa_user_sgpr_kernarg_segment_ptr 1
		.amdhsa_user_sgpr_dispatch_id 0
		.amdhsa_user_sgpr_kernarg_preload_length 0
		.amdhsa_user_sgpr_kernarg_preload_offset 0
		.amdhsa_user_sgpr_private_segment_size 0
		.amdhsa_uses_dynamic_stack 0
		.amdhsa_enable_private_segment 0
		.amdhsa_system_sgpr_workgroup_id_x 1
		.amdhsa_system_sgpr_workgroup_id_y 0
		.amdhsa_system_sgpr_workgroup_id_z 0
		.amdhsa_system_sgpr_workgroup_info 0
		.amdhsa_system_vgpr_workitem_id 0
		.amdhsa_next_free_vgpr 1
		.amdhsa_next_free_sgpr 0
		.amdhsa_accum_offset 4
		.amdhsa_reserve_vcc 0
		.amdhsa_float_round_mode_32 0
		.amdhsa_float_round_mode_16_64 0
		.amdhsa_float_denorm_mode_32 3
		.amdhsa_float_denorm_mode_16_64 3
		.amdhsa_dx10_clamp 1
		.amdhsa_ieee_mode 1
		.amdhsa_fp16_overflow 0
		.amdhsa_tg_split 0
		.amdhsa_exception_fp_ieee_invalid_op 0
		.amdhsa_exception_fp_denorm_src 0
		.amdhsa_exception_fp_ieee_div_zero 0
		.amdhsa_exception_fp_ieee_overflow 0
		.amdhsa_exception_fp_ieee_underflow 0
		.amdhsa_exception_fp_ieee_inexact 0
		.amdhsa_exception_int_div_zero 0
	.end_amdhsa_kernel
	.section	.text._ZN7rocprim17ROCPRIM_400000_NS6detail17trampoline_kernelINS0_14default_configENS1_27scan_by_key_config_selectorIiiEEZZNS1_16scan_by_key_implILNS1_25lookback_scan_determinismE0ELb0ES3_N6thrust23THRUST_200600_302600_NS6detail15normal_iteratorINS9_10device_ptrIiEEEESE_SE_iNS9_4plusIvEENS9_8equal_toIvEEiEE10hipError_tPvRmT2_T3_T4_T5_mT6_T7_P12ihipStream_tbENKUlT_T0_E_clISt17integral_constantIbLb0EESZ_EEDaSU_SV_EUlSU_E_NS1_11comp_targetILNS1_3genE2ELNS1_11target_archE906ELNS1_3gpuE6ELNS1_3repE0EEENS1_30default_config_static_selectorELNS0_4arch9wavefront6targetE1EEEvT1_,"axG",@progbits,_ZN7rocprim17ROCPRIM_400000_NS6detail17trampoline_kernelINS0_14default_configENS1_27scan_by_key_config_selectorIiiEEZZNS1_16scan_by_key_implILNS1_25lookback_scan_determinismE0ELb0ES3_N6thrust23THRUST_200600_302600_NS6detail15normal_iteratorINS9_10device_ptrIiEEEESE_SE_iNS9_4plusIvEENS9_8equal_toIvEEiEE10hipError_tPvRmT2_T3_T4_T5_mT6_T7_P12ihipStream_tbENKUlT_T0_E_clISt17integral_constantIbLb0EESZ_EEDaSU_SV_EUlSU_E_NS1_11comp_targetILNS1_3genE2ELNS1_11target_archE906ELNS1_3gpuE6ELNS1_3repE0EEENS1_30default_config_static_selectorELNS0_4arch9wavefront6targetE1EEEvT1_,comdat
.Lfunc_end127:
	.size	_ZN7rocprim17ROCPRIM_400000_NS6detail17trampoline_kernelINS0_14default_configENS1_27scan_by_key_config_selectorIiiEEZZNS1_16scan_by_key_implILNS1_25lookback_scan_determinismE0ELb0ES3_N6thrust23THRUST_200600_302600_NS6detail15normal_iteratorINS9_10device_ptrIiEEEESE_SE_iNS9_4plusIvEENS9_8equal_toIvEEiEE10hipError_tPvRmT2_T3_T4_T5_mT6_T7_P12ihipStream_tbENKUlT_T0_E_clISt17integral_constantIbLb0EESZ_EEDaSU_SV_EUlSU_E_NS1_11comp_targetILNS1_3genE2ELNS1_11target_archE906ELNS1_3gpuE6ELNS1_3repE0EEENS1_30default_config_static_selectorELNS0_4arch9wavefront6targetE1EEEvT1_, .Lfunc_end127-_ZN7rocprim17ROCPRIM_400000_NS6detail17trampoline_kernelINS0_14default_configENS1_27scan_by_key_config_selectorIiiEEZZNS1_16scan_by_key_implILNS1_25lookback_scan_determinismE0ELb0ES3_N6thrust23THRUST_200600_302600_NS6detail15normal_iteratorINS9_10device_ptrIiEEEESE_SE_iNS9_4plusIvEENS9_8equal_toIvEEiEE10hipError_tPvRmT2_T3_T4_T5_mT6_T7_P12ihipStream_tbENKUlT_T0_E_clISt17integral_constantIbLb0EESZ_EEDaSU_SV_EUlSU_E_NS1_11comp_targetILNS1_3genE2ELNS1_11target_archE906ELNS1_3gpuE6ELNS1_3repE0EEENS1_30default_config_static_selectorELNS0_4arch9wavefront6targetE1EEEvT1_
                                        ; -- End function
	.section	.AMDGPU.csdata,"",@progbits
; Kernel info:
; codeLenInByte = 0
; NumSgprs: 6
; NumVgprs: 0
; NumAgprs: 0
; TotalNumVgprs: 0
; ScratchSize: 0
; MemoryBound: 0
; FloatMode: 240
; IeeeMode: 1
; LDSByteSize: 0 bytes/workgroup (compile time only)
; SGPRBlocks: 0
; VGPRBlocks: 0
; NumSGPRsForWavesPerEU: 6
; NumVGPRsForWavesPerEU: 1
; AccumOffset: 4
; Occupancy: 8
; WaveLimiterHint : 0
; COMPUTE_PGM_RSRC2:SCRATCH_EN: 0
; COMPUTE_PGM_RSRC2:USER_SGPR: 2
; COMPUTE_PGM_RSRC2:TRAP_HANDLER: 0
; COMPUTE_PGM_RSRC2:TGID_X_EN: 1
; COMPUTE_PGM_RSRC2:TGID_Y_EN: 0
; COMPUTE_PGM_RSRC2:TGID_Z_EN: 0
; COMPUTE_PGM_RSRC2:TIDIG_COMP_CNT: 0
; COMPUTE_PGM_RSRC3_GFX90A:ACCUM_OFFSET: 0
; COMPUTE_PGM_RSRC3_GFX90A:TG_SPLIT: 0
	.section	.text._ZN7rocprim17ROCPRIM_400000_NS6detail17trampoline_kernelINS0_14default_configENS1_27scan_by_key_config_selectorIiiEEZZNS1_16scan_by_key_implILNS1_25lookback_scan_determinismE0ELb0ES3_N6thrust23THRUST_200600_302600_NS6detail15normal_iteratorINS9_10device_ptrIiEEEESE_SE_iNS9_4plusIvEENS9_8equal_toIvEEiEE10hipError_tPvRmT2_T3_T4_T5_mT6_T7_P12ihipStream_tbENKUlT_T0_E_clISt17integral_constantIbLb0EESZ_EEDaSU_SV_EUlSU_E_NS1_11comp_targetILNS1_3genE10ELNS1_11target_archE1200ELNS1_3gpuE4ELNS1_3repE0EEENS1_30default_config_static_selectorELNS0_4arch9wavefront6targetE1EEEvT1_,"axG",@progbits,_ZN7rocprim17ROCPRIM_400000_NS6detail17trampoline_kernelINS0_14default_configENS1_27scan_by_key_config_selectorIiiEEZZNS1_16scan_by_key_implILNS1_25lookback_scan_determinismE0ELb0ES3_N6thrust23THRUST_200600_302600_NS6detail15normal_iteratorINS9_10device_ptrIiEEEESE_SE_iNS9_4plusIvEENS9_8equal_toIvEEiEE10hipError_tPvRmT2_T3_T4_T5_mT6_T7_P12ihipStream_tbENKUlT_T0_E_clISt17integral_constantIbLb0EESZ_EEDaSU_SV_EUlSU_E_NS1_11comp_targetILNS1_3genE10ELNS1_11target_archE1200ELNS1_3gpuE4ELNS1_3repE0EEENS1_30default_config_static_selectorELNS0_4arch9wavefront6targetE1EEEvT1_,comdat
	.protected	_ZN7rocprim17ROCPRIM_400000_NS6detail17trampoline_kernelINS0_14default_configENS1_27scan_by_key_config_selectorIiiEEZZNS1_16scan_by_key_implILNS1_25lookback_scan_determinismE0ELb0ES3_N6thrust23THRUST_200600_302600_NS6detail15normal_iteratorINS9_10device_ptrIiEEEESE_SE_iNS9_4plusIvEENS9_8equal_toIvEEiEE10hipError_tPvRmT2_T3_T4_T5_mT6_T7_P12ihipStream_tbENKUlT_T0_E_clISt17integral_constantIbLb0EESZ_EEDaSU_SV_EUlSU_E_NS1_11comp_targetILNS1_3genE10ELNS1_11target_archE1200ELNS1_3gpuE4ELNS1_3repE0EEENS1_30default_config_static_selectorELNS0_4arch9wavefront6targetE1EEEvT1_ ; -- Begin function _ZN7rocprim17ROCPRIM_400000_NS6detail17trampoline_kernelINS0_14default_configENS1_27scan_by_key_config_selectorIiiEEZZNS1_16scan_by_key_implILNS1_25lookback_scan_determinismE0ELb0ES3_N6thrust23THRUST_200600_302600_NS6detail15normal_iteratorINS9_10device_ptrIiEEEESE_SE_iNS9_4plusIvEENS9_8equal_toIvEEiEE10hipError_tPvRmT2_T3_T4_T5_mT6_T7_P12ihipStream_tbENKUlT_T0_E_clISt17integral_constantIbLb0EESZ_EEDaSU_SV_EUlSU_E_NS1_11comp_targetILNS1_3genE10ELNS1_11target_archE1200ELNS1_3gpuE4ELNS1_3repE0EEENS1_30default_config_static_selectorELNS0_4arch9wavefront6targetE1EEEvT1_
	.globl	_ZN7rocprim17ROCPRIM_400000_NS6detail17trampoline_kernelINS0_14default_configENS1_27scan_by_key_config_selectorIiiEEZZNS1_16scan_by_key_implILNS1_25lookback_scan_determinismE0ELb0ES3_N6thrust23THRUST_200600_302600_NS6detail15normal_iteratorINS9_10device_ptrIiEEEESE_SE_iNS9_4plusIvEENS9_8equal_toIvEEiEE10hipError_tPvRmT2_T3_T4_T5_mT6_T7_P12ihipStream_tbENKUlT_T0_E_clISt17integral_constantIbLb0EESZ_EEDaSU_SV_EUlSU_E_NS1_11comp_targetILNS1_3genE10ELNS1_11target_archE1200ELNS1_3gpuE4ELNS1_3repE0EEENS1_30default_config_static_selectorELNS0_4arch9wavefront6targetE1EEEvT1_
	.p2align	8
	.type	_ZN7rocprim17ROCPRIM_400000_NS6detail17trampoline_kernelINS0_14default_configENS1_27scan_by_key_config_selectorIiiEEZZNS1_16scan_by_key_implILNS1_25lookback_scan_determinismE0ELb0ES3_N6thrust23THRUST_200600_302600_NS6detail15normal_iteratorINS9_10device_ptrIiEEEESE_SE_iNS9_4plusIvEENS9_8equal_toIvEEiEE10hipError_tPvRmT2_T3_T4_T5_mT6_T7_P12ihipStream_tbENKUlT_T0_E_clISt17integral_constantIbLb0EESZ_EEDaSU_SV_EUlSU_E_NS1_11comp_targetILNS1_3genE10ELNS1_11target_archE1200ELNS1_3gpuE4ELNS1_3repE0EEENS1_30default_config_static_selectorELNS0_4arch9wavefront6targetE1EEEvT1_,@function
_ZN7rocprim17ROCPRIM_400000_NS6detail17trampoline_kernelINS0_14default_configENS1_27scan_by_key_config_selectorIiiEEZZNS1_16scan_by_key_implILNS1_25lookback_scan_determinismE0ELb0ES3_N6thrust23THRUST_200600_302600_NS6detail15normal_iteratorINS9_10device_ptrIiEEEESE_SE_iNS9_4plusIvEENS9_8equal_toIvEEiEE10hipError_tPvRmT2_T3_T4_T5_mT6_T7_P12ihipStream_tbENKUlT_T0_E_clISt17integral_constantIbLb0EESZ_EEDaSU_SV_EUlSU_E_NS1_11comp_targetILNS1_3genE10ELNS1_11target_archE1200ELNS1_3gpuE4ELNS1_3repE0EEENS1_30default_config_static_selectorELNS0_4arch9wavefront6targetE1EEEvT1_: ; @_ZN7rocprim17ROCPRIM_400000_NS6detail17trampoline_kernelINS0_14default_configENS1_27scan_by_key_config_selectorIiiEEZZNS1_16scan_by_key_implILNS1_25lookback_scan_determinismE0ELb0ES3_N6thrust23THRUST_200600_302600_NS6detail15normal_iteratorINS9_10device_ptrIiEEEESE_SE_iNS9_4plusIvEENS9_8equal_toIvEEiEE10hipError_tPvRmT2_T3_T4_T5_mT6_T7_P12ihipStream_tbENKUlT_T0_E_clISt17integral_constantIbLb0EESZ_EEDaSU_SV_EUlSU_E_NS1_11comp_targetILNS1_3genE10ELNS1_11target_archE1200ELNS1_3gpuE4ELNS1_3repE0EEENS1_30default_config_static_selectorELNS0_4arch9wavefront6targetE1EEEvT1_
; %bb.0:
	.section	.rodata,"a",@progbits
	.p2align	6, 0x0
	.amdhsa_kernel _ZN7rocprim17ROCPRIM_400000_NS6detail17trampoline_kernelINS0_14default_configENS1_27scan_by_key_config_selectorIiiEEZZNS1_16scan_by_key_implILNS1_25lookback_scan_determinismE0ELb0ES3_N6thrust23THRUST_200600_302600_NS6detail15normal_iteratorINS9_10device_ptrIiEEEESE_SE_iNS9_4plusIvEENS9_8equal_toIvEEiEE10hipError_tPvRmT2_T3_T4_T5_mT6_T7_P12ihipStream_tbENKUlT_T0_E_clISt17integral_constantIbLb0EESZ_EEDaSU_SV_EUlSU_E_NS1_11comp_targetILNS1_3genE10ELNS1_11target_archE1200ELNS1_3gpuE4ELNS1_3repE0EEENS1_30default_config_static_selectorELNS0_4arch9wavefront6targetE1EEEvT1_
		.amdhsa_group_segment_fixed_size 0
		.amdhsa_private_segment_fixed_size 0
		.amdhsa_kernarg_size 112
		.amdhsa_user_sgpr_count 2
		.amdhsa_user_sgpr_dispatch_ptr 0
		.amdhsa_user_sgpr_queue_ptr 0
		.amdhsa_user_sgpr_kernarg_segment_ptr 1
		.amdhsa_user_sgpr_dispatch_id 0
		.amdhsa_user_sgpr_kernarg_preload_length 0
		.amdhsa_user_sgpr_kernarg_preload_offset 0
		.amdhsa_user_sgpr_private_segment_size 0
		.amdhsa_uses_dynamic_stack 0
		.amdhsa_enable_private_segment 0
		.amdhsa_system_sgpr_workgroup_id_x 1
		.amdhsa_system_sgpr_workgroup_id_y 0
		.amdhsa_system_sgpr_workgroup_id_z 0
		.amdhsa_system_sgpr_workgroup_info 0
		.amdhsa_system_vgpr_workitem_id 0
		.amdhsa_next_free_vgpr 1
		.amdhsa_next_free_sgpr 0
		.amdhsa_accum_offset 4
		.amdhsa_reserve_vcc 0
		.amdhsa_float_round_mode_32 0
		.amdhsa_float_round_mode_16_64 0
		.amdhsa_float_denorm_mode_32 3
		.amdhsa_float_denorm_mode_16_64 3
		.amdhsa_dx10_clamp 1
		.amdhsa_ieee_mode 1
		.amdhsa_fp16_overflow 0
		.amdhsa_tg_split 0
		.amdhsa_exception_fp_ieee_invalid_op 0
		.amdhsa_exception_fp_denorm_src 0
		.amdhsa_exception_fp_ieee_div_zero 0
		.amdhsa_exception_fp_ieee_overflow 0
		.amdhsa_exception_fp_ieee_underflow 0
		.amdhsa_exception_fp_ieee_inexact 0
		.amdhsa_exception_int_div_zero 0
	.end_amdhsa_kernel
	.section	.text._ZN7rocprim17ROCPRIM_400000_NS6detail17trampoline_kernelINS0_14default_configENS1_27scan_by_key_config_selectorIiiEEZZNS1_16scan_by_key_implILNS1_25lookback_scan_determinismE0ELb0ES3_N6thrust23THRUST_200600_302600_NS6detail15normal_iteratorINS9_10device_ptrIiEEEESE_SE_iNS9_4plusIvEENS9_8equal_toIvEEiEE10hipError_tPvRmT2_T3_T4_T5_mT6_T7_P12ihipStream_tbENKUlT_T0_E_clISt17integral_constantIbLb0EESZ_EEDaSU_SV_EUlSU_E_NS1_11comp_targetILNS1_3genE10ELNS1_11target_archE1200ELNS1_3gpuE4ELNS1_3repE0EEENS1_30default_config_static_selectorELNS0_4arch9wavefront6targetE1EEEvT1_,"axG",@progbits,_ZN7rocprim17ROCPRIM_400000_NS6detail17trampoline_kernelINS0_14default_configENS1_27scan_by_key_config_selectorIiiEEZZNS1_16scan_by_key_implILNS1_25lookback_scan_determinismE0ELb0ES3_N6thrust23THRUST_200600_302600_NS6detail15normal_iteratorINS9_10device_ptrIiEEEESE_SE_iNS9_4plusIvEENS9_8equal_toIvEEiEE10hipError_tPvRmT2_T3_T4_T5_mT6_T7_P12ihipStream_tbENKUlT_T0_E_clISt17integral_constantIbLb0EESZ_EEDaSU_SV_EUlSU_E_NS1_11comp_targetILNS1_3genE10ELNS1_11target_archE1200ELNS1_3gpuE4ELNS1_3repE0EEENS1_30default_config_static_selectorELNS0_4arch9wavefront6targetE1EEEvT1_,comdat
.Lfunc_end128:
	.size	_ZN7rocprim17ROCPRIM_400000_NS6detail17trampoline_kernelINS0_14default_configENS1_27scan_by_key_config_selectorIiiEEZZNS1_16scan_by_key_implILNS1_25lookback_scan_determinismE0ELb0ES3_N6thrust23THRUST_200600_302600_NS6detail15normal_iteratorINS9_10device_ptrIiEEEESE_SE_iNS9_4plusIvEENS9_8equal_toIvEEiEE10hipError_tPvRmT2_T3_T4_T5_mT6_T7_P12ihipStream_tbENKUlT_T0_E_clISt17integral_constantIbLb0EESZ_EEDaSU_SV_EUlSU_E_NS1_11comp_targetILNS1_3genE10ELNS1_11target_archE1200ELNS1_3gpuE4ELNS1_3repE0EEENS1_30default_config_static_selectorELNS0_4arch9wavefront6targetE1EEEvT1_, .Lfunc_end128-_ZN7rocprim17ROCPRIM_400000_NS6detail17trampoline_kernelINS0_14default_configENS1_27scan_by_key_config_selectorIiiEEZZNS1_16scan_by_key_implILNS1_25lookback_scan_determinismE0ELb0ES3_N6thrust23THRUST_200600_302600_NS6detail15normal_iteratorINS9_10device_ptrIiEEEESE_SE_iNS9_4plusIvEENS9_8equal_toIvEEiEE10hipError_tPvRmT2_T3_T4_T5_mT6_T7_P12ihipStream_tbENKUlT_T0_E_clISt17integral_constantIbLb0EESZ_EEDaSU_SV_EUlSU_E_NS1_11comp_targetILNS1_3genE10ELNS1_11target_archE1200ELNS1_3gpuE4ELNS1_3repE0EEENS1_30default_config_static_selectorELNS0_4arch9wavefront6targetE1EEEvT1_
                                        ; -- End function
	.section	.AMDGPU.csdata,"",@progbits
; Kernel info:
; codeLenInByte = 0
; NumSgprs: 6
; NumVgprs: 0
; NumAgprs: 0
; TotalNumVgprs: 0
; ScratchSize: 0
; MemoryBound: 0
; FloatMode: 240
; IeeeMode: 1
; LDSByteSize: 0 bytes/workgroup (compile time only)
; SGPRBlocks: 0
; VGPRBlocks: 0
; NumSGPRsForWavesPerEU: 6
; NumVGPRsForWavesPerEU: 1
; AccumOffset: 4
; Occupancy: 8
; WaveLimiterHint : 0
; COMPUTE_PGM_RSRC2:SCRATCH_EN: 0
; COMPUTE_PGM_RSRC2:USER_SGPR: 2
; COMPUTE_PGM_RSRC2:TRAP_HANDLER: 0
; COMPUTE_PGM_RSRC2:TGID_X_EN: 1
; COMPUTE_PGM_RSRC2:TGID_Y_EN: 0
; COMPUTE_PGM_RSRC2:TGID_Z_EN: 0
; COMPUTE_PGM_RSRC2:TIDIG_COMP_CNT: 0
; COMPUTE_PGM_RSRC3_GFX90A:ACCUM_OFFSET: 0
; COMPUTE_PGM_RSRC3_GFX90A:TG_SPLIT: 0
	.section	.text._ZN7rocprim17ROCPRIM_400000_NS6detail17trampoline_kernelINS0_14default_configENS1_27scan_by_key_config_selectorIiiEEZZNS1_16scan_by_key_implILNS1_25lookback_scan_determinismE0ELb0ES3_N6thrust23THRUST_200600_302600_NS6detail15normal_iteratorINS9_10device_ptrIiEEEESE_SE_iNS9_4plusIvEENS9_8equal_toIvEEiEE10hipError_tPvRmT2_T3_T4_T5_mT6_T7_P12ihipStream_tbENKUlT_T0_E_clISt17integral_constantIbLb0EESZ_EEDaSU_SV_EUlSU_E_NS1_11comp_targetILNS1_3genE9ELNS1_11target_archE1100ELNS1_3gpuE3ELNS1_3repE0EEENS1_30default_config_static_selectorELNS0_4arch9wavefront6targetE1EEEvT1_,"axG",@progbits,_ZN7rocprim17ROCPRIM_400000_NS6detail17trampoline_kernelINS0_14default_configENS1_27scan_by_key_config_selectorIiiEEZZNS1_16scan_by_key_implILNS1_25lookback_scan_determinismE0ELb0ES3_N6thrust23THRUST_200600_302600_NS6detail15normal_iteratorINS9_10device_ptrIiEEEESE_SE_iNS9_4plusIvEENS9_8equal_toIvEEiEE10hipError_tPvRmT2_T3_T4_T5_mT6_T7_P12ihipStream_tbENKUlT_T0_E_clISt17integral_constantIbLb0EESZ_EEDaSU_SV_EUlSU_E_NS1_11comp_targetILNS1_3genE9ELNS1_11target_archE1100ELNS1_3gpuE3ELNS1_3repE0EEENS1_30default_config_static_selectorELNS0_4arch9wavefront6targetE1EEEvT1_,comdat
	.protected	_ZN7rocprim17ROCPRIM_400000_NS6detail17trampoline_kernelINS0_14default_configENS1_27scan_by_key_config_selectorIiiEEZZNS1_16scan_by_key_implILNS1_25lookback_scan_determinismE0ELb0ES3_N6thrust23THRUST_200600_302600_NS6detail15normal_iteratorINS9_10device_ptrIiEEEESE_SE_iNS9_4plusIvEENS9_8equal_toIvEEiEE10hipError_tPvRmT2_T3_T4_T5_mT6_T7_P12ihipStream_tbENKUlT_T0_E_clISt17integral_constantIbLb0EESZ_EEDaSU_SV_EUlSU_E_NS1_11comp_targetILNS1_3genE9ELNS1_11target_archE1100ELNS1_3gpuE3ELNS1_3repE0EEENS1_30default_config_static_selectorELNS0_4arch9wavefront6targetE1EEEvT1_ ; -- Begin function _ZN7rocprim17ROCPRIM_400000_NS6detail17trampoline_kernelINS0_14default_configENS1_27scan_by_key_config_selectorIiiEEZZNS1_16scan_by_key_implILNS1_25lookback_scan_determinismE0ELb0ES3_N6thrust23THRUST_200600_302600_NS6detail15normal_iteratorINS9_10device_ptrIiEEEESE_SE_iNS9_4plusIvEENS9_8equal_toIvEEiEE10hipError_tPvRmT2_T3_T4_T5_mT6_T7_P12ihipStream_tbENKUlT_T0_E_clISt17integral_constantIbLb0EESZ_EEDaSU_SV_EUlSU_E_NS1_11comp_targetILNS1_3genE9ELNS1_11target_archE1100ELNS1_3gpuE3ELNS1_3repE0EEENS1_30default_config_static_selectorELNS0_4arch9wavefront6targetE1EEEvT1_
	.globl	_ZN7rocprim17ROCPRIM_400000_NS6detail17trampoline_kernelINS0_14default_configENS1_27scan_by_key_config_selectorIiiEEZZNS1_16scan_by_key_implILNS1_25lookback_scan_determinismE0ELb0ES3_N6thrust23THRUST_200600_302600_NS6detail15normal_iteratorINS9_10device_ptrIiEEEESE_SE_iNS9_4plusIvEENS9_8equal_toIvEEiEE10hipError_tPvRmT2_T3_T4_T5_mT6_T7_P12ihipStream_tbENKUlT_T0_E_clISt17integral_constantIbLb0EESZ_EEDaSU_SV_EUlSU_E_NS1_11comp_targetILNS1_3genE9ELNS1_11target_archE1100ELNS1_3gpuE3ELNS1_3repE0EEENS1_30default_config_static_selectorELNS0_4arch9wavefront6targetE1EEEvT1_
	.p2align	8
	.type	_ZN7rocprim17ROCPRIM_400000_NS6detail17trampoline_kernelINS0_14default_configENS1_27scan_by_key_config_selectorIiiEEZZNS1_16scan_by_key_implILNS1_25lookback_scan_determinismE0ELb0ES3_N6thrust23THRUST_200600_302600_NS6detail15normal_iteratorINS9_10device_ptrIiEEEESE_SE_iNS9_4plusIvEENS9_8equal_toIvEEiEE10hipError_tPvRmT2_T3_T4_T5_mT6_T7_P12ihipStream_tbENKUlT_T0_E_clISt17integral_constantIbLb0EESZ_EEDaSU_SV_EUlSU_E_NS1_11comp_targetILNS1_3genE9ELNS1_11target_archE1100ELNS1_3gpuE3ELNS1_3repE0EEENS1_30default_config_static_selectorELNS0_4arch9wavefront6targetE1EEEvT1_,@function
_ZN7rocprim17ROCPRIM_400000_NS6detail17trampoline_kernelINS0_14default_configENS1_27scan_by_key_config_selectorIiiEEZZNS1_16scan_by_key_implILNS1_25lookback_scan_determinismE0ELb0ES3_N6thrust23THRUST_200600_302600_NS6detail15normal_iteratorINS9_10device_ptrIiEEEESE_SE_iNS9_4plusIvEENS9_8equal_toIvEEiEE10hipError_tPvRmT2_T3_T4_T5_mT6_T7_P12ihipStream_tbENKUlT_T0_E_clISt17integral_constantIbLb0EESZ_EEDaSU_SV_EUlSU_E_NS1_11comp_targetILNS1_3genE9ELNS1_11target_archE1100ELNS1_3gpuE3ELNS1_3repE0EEENS1_30default_config_static_selectorELNS0_4arch9wavefront6targetE1EEEvT1_: ; @_ZN7rocprim17ROCPRIM_400000_NS6detail17trampoline_kernelINS0_14default_configENS1_27scan_by_key_config_selectorIiiEEZZNS1_16scan_by_key_implILNS1_25lookback_scan_determinismE0ELb0ES3_N6thrust23THRUST_200600_302600_NS6detail15normal_iteratorINS9_10device_ptrIiEEEESE_SE_iNS9_4plusIvEENS9_8equal_toIvEEiEE10hipError_tPvRmT2_T3_T4_T5_mT6_T7_P12ihipStream_tbENKUlT_T0_E_clISt17integral_constantIbLb0EESZ_EEDaSU_SV_EUlSU_E_NS1_11comp_targetILNS1_3genE9ELNS1_11target_archE1100ELNS1_3gpuE3ELNS1_3repE0EEENS1_30default_config_static_selectorELNS0_4arch9wavefront6targetE1EEEvT1_
; %bb.0:
	.section	.rodata,"a",@progbits
	.p2align	6, 0x0
	.amdhsa_kernel _ZN7rocprim17ROCPRIM_400000_NS6detail17trampoline_kernelINS0_14default_configENS1_27scan_by_key_config_selectorIiiEEZZNS1_16scan_by_key_implILNS1_25lookback_scan_determinismE0ELb0ES3_N6thrust23THRUST_200600_302600_NS6detail15normal_iteratorINS9_10device_ptrIiEEEESE_SE_iNS9_4plusIvEENS9_8equal_toIvEEiEE10hipError_tPvRmT2_T3_T4_T5_mT6_T7_P12ihipStream_tbENKUlT_T0_E_clISt17integral_constantIbLb0EESZ_EEDaSU_SV_EUlSU_E_NS1_11comp_targetILNS1_3genE9ELNS1_11target_archE1100ELNS1_3gpuE3ELNS1_3repE0EEENS1_30default_config_static_selectorELNS0_4arch9wavefront6targetE1EEEvT1_
		.amdhsa_group_segment_fixed_size 0
		.amdhsa_private_segment_fixed_size 0
		.amdhsa_kernarg_size 112
		.amdhsa_user_sgpr_count 2
		.amdhsa_user_sgpr_dispatch_ptr 0
		.amdhsa_user_sgpr_queue_ptr 0
		.amdhsa_user_sgpr_kernarg_segment_ptr 1
		.amdhsa_user_sgpr_dispatch_id 0
		.amdhsa_user_sgpr_kernarg_preload_length 0
		.amdhsa_user_sgpr_kernarg_preload_offset 0
		.amdhsa_user_sgpr_private_segment_size 0
		.amdhsa_uses_dynamic_stack 0
		.amdhsa_enable_private_segment 0
		.amdhsa_system_sgpr_workgroup_id_x 1
		.amdhsa_system_sgpr_workgroup_id_y 0
		.amdhsa_system_sgpr_workgroup_id_z 0
		.amdhsa_system_sgpr_workgroup_info 0
		.amdhsa_system_vgpr_workitem_id 0
		.amdhsa_next_free_vgpr 1
		.amdhsa_next_free_sgpr 0
		.amdhsa_accum_offset 4
		.amdhsa_reserve_vcc 0
		.amdhsa_float_round_mode_32 0
		.amdhsa_float_round_mode_16_64 0
		.amdhsa_float_denorm_mode_32 3
		.amdhsa_float_denorm_mode_16_64 3
		.amdhsa_dx10_clamp 1
		.amdhsa_ieee_mode 1
		.amdhsa_fp16_overflow 0
		.amdhsa_tg_split 0
		.amdhsa_exception_fp_ieee_invalid_op 0
		.amdhsa_exception_fp_denorm_src 0
		.amdhsa_exception_fp_ieee_div_zero 0
		.amdhsa_exception_fp_ieee_overflow 0
		.amdhsa_exception_fp_ieee_underflow 0
		.amdhsa_exception_fp_ieee_inexact 0
		.amdhsa_exception_int_div_zero 0
	.end_amdhsa_kernel
	.section	.text._ZN7rocprim17ROCPRIM_400000_NS6detail17trampoline_kernelINS0_14default_configENS1_27scan_by_key_config_selectorIiiEEZZNS1_16scan_by_key_implILNS1_25lookback_scan_determinismE0ELb0ES3_N6thrust23THRUST_200600_302600_NS6detail15normal_iteratorINS9_10device_ptrIiEEEESE_SE_iNS9_4plusIvEENS9_8equal_toIvEEiEE10hipError_tPvRmT2_T3_T4_T5_mT6_T7_P12ihipStream_tbENKUlT_T0_E_clISt17integral_constantIbLb0EESZ_EEDaSU_SV_EUlSU_E_NS1_11comp_targetILNS1_3genE9ELNS1_11target_archE1100ELNS1_3gpuE3ELNS1_3repE0EEENS1_30default_config_static_selectorELNS0_4arch9wavefront6targetE1EEEvT1_,"axG",@progbits,_ZN7rocprim17ROCPRIM_400000_NS6detail17trampoline_kernelINS0_14default_configENS1_27scan_by_key_config_selectorIiiEEZZNS1_16scan_by_key_implILNS1_25lookback_scan_determinismE0ELb0ES3_N6thrust23THRUST_200600_302600_NS6detail15normal_iteratorINS9_10device_ptrIiEEEESE_SE_iNS9_4plusIvEENS9_8equal_toIvEEiEE10hipError_tPvRmT2_T3_T4_T5_mT6_T7_P12ihipStream_tbENKUlT_T0_E_clISt17integral_constantIbLb0EESZ_EEDaSU_SV_EUlSU_E_NS1_11comp_targetILNS1_3genE9ELNS1_11target_archE1100ELNS1_3gpuE3ELNS1_3repE0EEENS1_30default_config_static_selectorELNS0_4arch9wavefront6targetE1EEEvT1_,comdat
.Lfunc_end129:
	.size	_ZN7rocprim17ROCPRIM_400000_NS6detail17trampoline_kernelINS0_14default_configENS1_27scan_by_key_config_selectorIiiEEZZNS1_16scan_by_key_implILNS1_25lookback_scan_determinismE0ELb0ES3_N6thrust23THRUST_200600_302600_NS6detail15normal_iteratorINS9_10device_ptrIiEEEESE_SE_iNS9_4plusIvEENS9_8equal_toIvEEiEE10hipError_tPvRmT2_T3_T4_T5_mT6_T7_P12ihipStream_tbENKUlT_T0_E_clISt17integral_constantIbLb0EESZ_EEDaSU_SV_EUlSU_E_NS1_11comp_targetILNS1_3genE9ELNS1_11target_archE1100ELNS1_3gpuE3ELNS1_3repE0EEENS1_30default_config_static_selectorELNS0_4arch9wavefront6targetE1EEEvT1_, .Lfunc_end129-_ZN7rocprim17ROCPRIM_400000_NS6detail17trampoline_kernelINS0_14default_configENS1_27scan_by_key_config_selectorIiiEEZZNS1_16scan_by_key_implILNS1_25lookback_scan_determinismE0ELb0ES3_N6thrust23THRUST_200600_302600_NS6detail15normal_iteratorINS9_10device_ptrIiEEEESE_SE_iNS9_4plusIvEENS9_8equal_toIvEEiEE10hipError_tPvRmT2_T3_T4_T5_mT6_T7_P12ihipStream_tbENKUlT_T0_E_clISt17integral_constantIbLb0EESZ_EEDaSU_SV_EUlSU_E_NS1_11comp_targetILNS1_3genE9ELNS1_11target_archE1100ELNS1_3gpuE3ELNS1_3repE0EEENS1_30default_config_static_selectorELNS0_4arch9wavefront6targetE1EEEvT1_
                                        ; -- End function
	.section	.AMDGPU.csdata,"",@progbits
; Kernel info:
; codeLenInByte = 0
; NumSgprs: 6
; NumVgprs: 0
; NumAgprs: 0
; TotalNumVgprs: 0
; ScratchSize: 0
; MemoryBound: 0
; FloatMode: 240
; IeeeMode: 1
; LDSByteSize: 0 bytes/workgroup (compile time only)
; SGPRBlocks: 0
; VGPRBlocks: 0
; NumSGPRsForWavesPerEU: 6
; NumVGPRsForWavesPerEU: 1
; AccumOffset: 4
; Occupancy: 8
; WaveLimiterHint : 0
; COMPUTE_PGM_RSRC2:SCRATCH_EN: 0
; COMPUTE_PGM_RSRC2:USER_SGPR: 2
; COMPUTE_PGM_RSRC2:TRAP_HANDLER: 0
; COMPUTE_PGM_RSRC2:TGID_X_EN: 1
; COMPUTE_PGM_RSRC2:TGID_Y_EN: 0
; COMPUTE_PGM_RSRC2:TGID_Z_EN: 0
; COMPUTE_PGM_RSRC2:TIDIG_COMP_CNT: 0
; COMPUTE_PGM_RSRC3_GFX90A:ACCUM_OFFSET: 0
; COMPUTE_PGM_RSRC3_GFX90A:TG_SPLIT: 0
	.section	.text._ZN7rocprim17ROCPRIM_400000_NS6detail17trampoline_kernelINS0_14default_configENS1_27scan_by_key_config_selectorIiiEEZZNS1_16scan_by_key_implILNS1_25lookback_scan_determinismE0ELb0ES3_N6thrust23THRUST_200600_302600_NS6detail15normal_iteratorINS9_10device_ptrIiEEEESE_SE_iNS9_4plusIvEENS9_8equal_toIvEEiEE10hipError_tPvRmT2_T3_T4_T5_mT6_T7_P12ihipStream_tbENKUlT_T0_E_clISt17integral_constantIbLb0EESZ_EEDaSU_SV_EUlSU_E_NS1_11comp_targetILNS1_3genE8ELNS1_11target_archE1030ELNS1_3gpuE2ELNS1_3repE0EEENS1_30default_config_static_selectorELNS0_4arch9wavefront6targetE1EEEvT1_,"axG",@progbits,_ZN7rocprim17ROCPRIM_400000_NS6detail17trampoline_kernelINS0_14default_configENS1_27scan_by_key_config_selectorIiiEEZZNS1_16scan_by_key_implILNS1_25lookback_scan_determinismE0ELb0ES3_N6thrust23THRUST_200600_302600_NS6detail15normal_iteratorINS9_10device_ptrIiEEEESE_SE_iNS9_4plusIvEENS9_8equal_toIvEEiEE10hipError_tPvRmT2_T3_T4_T5_mT6_T7_P12ihipStream_tbENKUlT_T0_E_clISt17integral_constantIbLb0EESZ_EEDaSU_SV_EUlSU_E_NS1_11comp_targetILNS1_3genE8ELNS1_11target_archE1030ELNS1_3gpuE2ELNS1_3repE0EEENS1_30default_config_static_selectorELNS0_4arch9wavefront6targetE1EEEvT1_,comdat
	.protected	_ZN7rocprim17ROCPRIM_400000_NS6detail17trampoline_kernelINS0_14default_configENS1_27scan_by_key_config_selectorIiiEEZZNS1_16scan_by_key_implILNS1_25lookback_scan_determinismE0ELb0ES3_N6thrust23THRUST_200600_302600_NS6detail15normal_iteratorINS9_10device_ptrIiEEEESE_SE_iNS9_4plusIvEENS9_8equal_toIvEEiEE10hipError_tPvRmT2_T3_T4_T5_mT6_T7_P12ihipStream_tbENKUlT_T0_E_clISt17integral_constantIbLb0EESZ_EEDaSU_SV_EUlSU_E_NS1_11comp_targetILNS1_3genE8ELNS1_11target_archE1030ELNS1_3gpuE2ELNS1_3repE0EEENS1_30default_config_static_selectorELNS0_4arch9wavefront6targetE1EEEvT1_ ; -- Begin function _ZN7rocprim17ROCPRIM_400000_NS6detail17trampoline_kernelINS0_14default_configENS1_27scan_by_key_config_selectorIiiEEZZNS1_16scan_by_key_implILNS1_25lookback_scan_determinismE0ELb0ES3_N6thrust23THRUST_200600_302600_NS6detail15normal_iteratorINS9_10device_ptrIiEEEESE_SE_iNS9_4plusIvEENS9_8equal_toIvEEiEE10hipError_tPvRmT2_T3_T4_T5_mT6_T7_P12ihipStream_tbENKUlT_T0_E_clISt17integral_constantIbLb0EESZ_EEDaSU_SV_EUlSU_E_NS1_11comp_targetILNS1_3genE8ELNS1_11target_archE1030ELNS1_3gpuE2ELNS1_3repE0EEENS1_30default_config_static_selectorELNS0_4arch9wavefront6targetE1EEEvT1_
	.globl	_ZN7rocprim17ROCPRIM_400000_NS6detail17trampoline_kernelINS0_14default_configENS1_27scan_by_key_config_selectorIiiEEZZNS1_16scan_by_key_implILNS1_25lookback_scan_determinismE0ELb0ES3_N6thrust23THRUST_200600_302600_NS6detail15normal_iteratorINS9_10device_ptrIiEEEESE_SE_iNS9_4plusIvEENS9_8equal_toIvEEiEE10hipError_tPvRmT2_T3_T4_T5_mT6_T7_P12ihipStream_tbENKUlT_T0_E_clISt17integral_constantIbLb0EESZ_EEDaSU_SV_EUlSU_E_NS1_11comp_targetILNS1_3genE8ELNS1_11target_archE1030ELNS1_3gpuE2ELNS1_3repE0EEENS1_30default_config_static_selectorELNS0_4arch9wavefront6targetE1EEEvT1_
	.p2align	8
	.type	_ZN7rocprim17ROCPRIM_400000_NS6detail17trampoline_kernelINS0_14default_configENS1_27scan_by_key_config_selectorIiiEEZZNS1_16scan_by_key_implILNS1_25lookback_scan_determinismE0ELb0ES3_N6thrust23THRUST_200600_302600_NS6detail15normal_iteratorINS9_10device_ptrIiEEEESE_SE_iNS9_4plusIvEENS9_8equal_toIvEEiEE10hipError_tPvRmT2_T3_T4_T5_mT6_T7_P12ihipStream_tbENKUlT_T0_E_clISt17integral_constantIbLb0EESZ_EEDaSU_SV_EUlSU_E_NS1_11comp_targetILNS1_3genE8ELNS1_11target_archE1030ELNS1_3gpuE2ELNS1_3repE0EEENS1_30default_config_static_selectorELNS0_4arch9wavefront6targetE1EEEvT1_,@function
_ZN7rocprim17ROCPRIM_400000_NS6detail17trampoline_kernelINS0_14default_configENS1_27scan_by_key_config_selectorIiiEEZZNS1_16scan_by_key_implILNS1_25lookback_scan_determinismE0ELb0ES3_N6thrust23THRUST_200600_302600_NS6detail15normal_iteratorINS9_10device_ptrIiEEEESE_SE_iNS9_4plusIvEENS9_8equal_toIvEEiEE10hipError_tPvRmT2_T3_T4_T5_mT6_T7_P12ihipStream_tbENKUlT_T0_E_clISt17integral_constantIbLb0EESZ_EEDaSU_SV_EUlSU_E_NS1_11comp_targetILNS1_3genE8ELNS1_11target_archE1030ELNS1_3gpuE2ELNS1_3repE0EEENS1_30default_config_static_selectorELNS0_4arch9wavefront6targetE1EEEvT1_: ; @_ZN7rocprim17ROCPRIM_400000_NS6detail17trampoline_kernelINS0_14default_configENS1_27scan_by_key_config_selectorIiiEEZZNS1_16scan_by_key_implILNS1_25lookback_scan_determinismE0ELb0ES3_N6thrust23THRUST_200600_302600_NS6detail15normal_iteratorINS9_10device_ptrIiEEEESE_SE_iNS9_4plusIvEENS9_8equal_toIvEEiEE10hipError_tPvRmT2_T3_T4_T5_mT6_T7_P12ihipStream_tbENKUlT_T0_E_clISt17integral_constantIbLb0EESZ_EEDaSU_SV_EUlSU_E_NS1_11comp_targetILNS1_3genE8ELNS1_11target_archE1030ELNS1_3gpuE2ELNS1_3repE0EEENS1_30default_config_static_selectorELNS0_4arch9wavefront6targetE1EEEvT1_
; %bb.0:
	.section	.rodata,"a",@progbits
	.p2align	6, 0x0
	.amdhsa_kernel _ZN7rocprim17ROCPRIM_400000_NS6detail17trampoline_kernelINS0_14default_configENS1_27scan_by_key_config_selectorIiiEEZZNS1_16scan_by_key_implILNS1_25lookback_scan_determinismE0ELb0ES3_N6thrust23THRUST_200600_302600_NS6detail15normal_iteratorINS9_10device_ptrIiEEEESE_SE_iNS9_4plusIvEENS9_8equal_toIvEEiEE10hipError_tPvRmT2_T3_T4_T5_mT6_T7_P12ihipStream_tbENKUlT_T0_E_clISt17integral_constantIbLb0EESZ_EEDaSU_SV_EUlSU_E_NS1_11comp_targetILNS1_3genE8ELNS1_11target_archE1030ELNS1_3gpuE2ELNS1_3repE0EEENS1_30default_config_static_selectorELNS0_4arch9wavefront6targetE1EEEvT1_
		.amdhsa_group_segment_fixed_size 0
		.amdhsa_private_segment_fixed_size 0
		.amdhsa_kernarg_size 112
		.amdhsa_user_sgpr_count 2
		.amdhsa_user_sgpr_dispatch_ptr 0
		.amdhsa_user_sgpr_queue_ptr 0
		.amdhsa_user_sgpr_kernarg_segment_ptr 1
		.amdhsa_user_sgpr_dispatch_id 0
		.amdhsa_user_sgpr_kernarg_preload_length 0
		.amdhsa_user_sgpr_kernarg_preload_offset 0
		.amdhsa_user_sgpr_private_segment_size 0
		.amdhsa_uses_dynamic_stack 0
		.amdhsa_enable_private_segment 0
		.amdhsa_system_sgpr_workgroup_id_x 1
		.amdhsa_system_sgpr_workgroup_id_y 0
		.amdhsa_system_sgpr_workgroup_id_z 0
		.amdhsa_system_sgpr_workgroup_info 0
		.amdhsa_system_vgpr_workitem_id 0
		.amdhsa_next_free_vgpr 1
		.amdhsa_next_free_sgpr 0
		.amdhsa_accum_offset 4
		.amdhsa_reserve_vcc 0
		.amdhsa_float_round_mode_32 0
		.amdhsa_float_round_mode_16_64 0
		.amdhsa_float_denorm_mode_32 3
		.amdhsa_float_denorm_mode_16_64 3
		.amdhsa_dx10_clamp 1
		.amdhsa_ieee_mode 1
		.amdhsa_fp16_overflow 0
		.amdhsa_tg_split 0
		.amdhsa_exception_fp_ieee_invalid_op 0
		.amdhsa_exception_fp_denorm_src 0
		.amdhsa_exception_fp_ieee_div_zero 0
		.amdhsa_exception_fp_ieee_overflow 0
		.amdhsa_exception_fp_ieee_underflow 0
		.amdhsa_exception_fp_ieee_inexact 0
		.amdhsa_exception_int_div_zero 0
	.end_amdhsa_kernel
	.section	.text._ZN7rocprim17ROCPRIM_400000_NS6detail17trampoline_kernelINS0_14default_configENS1_27scan_by_key_config_selectorIiiEEZZNS1_16scan_by_key_implILNS1_25lookback_scan_determinismE0ELb0ES3_N6thrust23THRUST_200600_302600_NS6detail15normal_iteratorINS9_10device_ptrIiEEEESE_SE_iNS9_4plusIvEENS9_8equal_toIvEEiEE10hipError_tPvRmT2_T3_T4_T5_mT6_T7_P12ihipStream_tbENKUlT_T0_E_clISt17integral_constantIbLb0EESZ_EEDaSU_SV_EUlSU_E_NS1_11comp_targetILNS1_3genE8ELNS1_11target_archE1030ELNS1_3gpuE2ELNS1_3repE0EEENS1_30default_config_static_selectorELNS0_4arch9wavefront6targetE1EEEvT1_,"axG",@progbits,_ZN7rocprim17ROCPRIM_400000_NS6detail17trampoline_kernelINS0_14default_configENS1_27scan_by_key_config_selectorIiiEEZZNS1_16scan_by_key_implILNS1_25lookback_scan_determinismE0ELb0ES3_N6thrust23THRUST_200600_302600_NS6detail15normal_iteratorINS9_10device_ptrIiEEEESE_SE_iNS9_4plusIvEENS9_8equal_toIvEEiEE10hipError_tPvRmT2_T3_T4_T5_mT6_T7_P12ihipStream_tbENKUlT_T0_E_clISt17integral_constantIbLb0EESZ_EEDaSU_SV_EUlSU_E_NS1_11comp_targetILNS1_3genE8ELNS1_11target_archE1030ELNS1_3gpuE2ELNS1_3repE0EEENS1_30default_config_static_selectorELNS0_4arch9wavefront6targetE1EEEvT1_,comdat
.Lfunc_end130:
	.size	_ZN7rocprim17ROCPRIM_400000_NS6detail17trampoline_kernelINS0_14default_configENS1_27scan_by_key_config_selectorIiiEEZZNS1_16scan_by_key_implILNS1_25lookback_scan_determinismE0ELb0ES3_N6thrust23THRUST_200600_302600_NS6detail15normal_iteratorINS9_10device_ptrIiEEEESE_SE_iNS9_4plusIvEENS9_8equal_toIvEEiEE10hipError_tPvRmT2_T3_T4_T5_mT6_T7_P12ihipStream_tbENKUlT_T0_E_clISt17integral_constantIbLb0EESZ_EEDaSU_SV_EUlSU_E_NS1_11comp_targetILNS1_3genE8ELNS1_11target_archE1030ELNS1_3gpuE2ELNS1_3repE0EEENS1_30default_config_static_selectorELNS0_4arch9wavefront6targetE1EEEvT1_, .Lfunc_end130-_ZN7rocprim17ROCPRIM_400000_NS6detail17trampoline_kernelINS0_14default_configENS1_27scan_by_key_config_selectorIiiEEZZNS1_16scan_by_key_implILNS1_25lookback_scan_determinismE0ELb0ES3_N6thrust23THRUST_200600_302600_NS6detail15normal_iteratorINS9_10device_ptrIiEEEESE_SE_iNS9_4plusIvEENS9_8equal_toIvEEiEE10hipError_tPvRmT2_T3_T4_T5_mT6_T7_P12ihipStream_tbENKUlT_T0_E_clISt17integral_constantIbLb0EESZ_EEDaSU_SV_EUlSU_E_NS1_11comp_targetILNS1_3genE8ELNS1_11target_archE1030ELNS1_3gpuE2ELNS1_3repE0EEENS1_30default_config_static_selectorELNS0_4arch9wavefront6targetE1EEEvT1_
                                        ; -- End function
	.section	.AMDGPU.csdata,"",@progbits
; Kernel info:
; codeLenInByte = 0
; NumSgprs: 6
; NumVgprs: 0
; NumAgprs: 0
; TotalNumVgprs: 0
; ScratchSize: 0
; MemoryBound: 0
; FloatMode: 240
; IeeeMode: 1
; LDSByteSize: 0 bytes/workgroup (compile time only)
; SGPRBlocks: 0
; VGPRBlocks: 0
; NumSGPRsForWavesPerEU: 6
; NumVGPRsForWavesPerEU: 1
; AccumOffset: 4
; Occupancy: 8
; WaveLimiterHint : 0
; COMPUTE_PGM_RSRC2:SCRATCH_EN: 0
; COMPUTE_PGM_RSRC2:USER_SGPR: 2
; COMPUTE_PGM_RSRC2:TRAP_HANDLER: 0
; COMPUTE_PGM_RSRC2:TGID_X_EN: 1
; COMPUTE_PGM_RSRC2:TGID_Y_EN: 0
; COMPUTE_PGM_RSRC2:TGID_Z_EN: 0
; COMPUTE_PGM_RSRC2:TIDIG_COMP_CNT: 0
; COMPUTE_PGM_RSRC3_GFX90A:ACCUM_OFFSET: 0
; COMPUTE_PGM_RSRC3_GFX90A:TG_SPLIT: 0
	.section	.text._ZN7rocprim17ROCPRIM_400000_NS6detail30init_device_scan_by_key_kernelINS1_19lookback_scan_stateINS0_5tupleIJibEEELb1ELb1EEEN6thrust23THRUST_200600_302600_NS6detail15normal_iteratorINS8_10device_ptrIiEEEEjNS1_16block_id_wrapperIjLb1EEEEEvT_jjPNSG_10value_typeET0_PNSt15iterator_traitsISJ_E10value_typeEmT1_T2_,"axG",@progbits,_ZN7rocprim17ROCPRIM_400000_NS6detail30init_device_scan_by_key_kernelINS1_19lookback_scan_stateINS0_5tupleIJibEEELb1ELb1EEEN6thrust23THRUST_200600_302600_NS6detail15normal_iteratorINS8_10device_ptrIiEEEEjNS1_16block_id_wrapperIjLb1EEEEEvT_jjPNSG_10value_typeET0_PNSt15iterator_traitsISJ_E10value_typeEmT1_T2_,comdat
	.protected	_ZN7rocprim17ROCPRIM_400000_NS6detail30init_device_scan_by_key_kernelINS1_19lookback_scan_stateINS0_5tupleIJibEEELb1ELb1EEEN6thrust23THRUST_200600_302600_NS6detail15normal_iteratorINS8_10device_ptrIiEEEEjNS1_16block_id_wrapperIjLb1EEEEEvT_jjPNSG_10value_typeET0_PNSt15iterator_traitsISJ_E10value_typeEmT1_T2_ ; -- Begin function _ZN7rocprim17ROCPRIM_400000_NS6detail30init_device_scan_by_key_kernelINS1_19lookback_scan_stateINS0_5tupleIJibEEELb1ELb1EEEN6thrust23THRUST_200600_302600_NS6detail15normal_iteratorINS8_10device_ptrIiEEEEjNS1_16block_id_wrapperIjLb1EEEEEvT_jjPNSG_10value_typeET0_PNSt15iterator_traitsISJ_E10value_typeEmT1_T2_
	.globl	_ZN7rocprim17ROCPRIM_400000_NS6detail30init_device_scan_by_key_kernelINS1_19lookback_scan_stateINS0_5tupleIJibEEELb1ELb1EEEN6thrust23THRUST_200600_302600_NS6detail15normal_iteratorINS8_10device_ptrIiEEEEjNS1_16block_id_wrapperIjLb1EEEEEvT_jjPNSG_10value_typeET0_PNSt15iterator_traitsISJ_E10value_typeEmT1_T2_
	.p2align	8
	.type	_ZN7rocprim17ROCPRIM_400000_NS6detail30init_device_scan_by_key_kernelINS1_19lookback_scan_stateINS0_5tupleIJibEEELb1ELb1EEEN6thrust23THRUST_200600_302600_NS6detail15normal_iteratorINS8_10device_ptrIiEEEEjNS1_16block_id_wrapperIjLb1EEEEEvT_jjPNSG_10value_typeET0_PNSt15iterator_traitsISJ_E10value_typeEmT1_T2_,@function
_ZN7rocprim17ROCPRIM_400000_NS6detail30init_device_scan_by_key_kernelINS1_19lookback_scan_stateINS0_5tupleIJibEEELb1ELb1EEEN6thrust23THRUST_200600_302600_NS6detail15normal_iteratorINS8_10device_ptrIiEEEEjNS1_16block_id_wrapperIjLb1EEEEEvT_jjPNSG_10value_typeET0_PNSt15iterator_traitsISJ_E10value_typeEmT1_T2_: ; @_ZN7rocprim17ROCPRIM_400000_NS6detail30init_device_scan_by_key_kernelINS1_19lookback_scan_stateINS0_5tupleIJibEEELb1ELb1EEEN6thrust23THRUST_200600_302600_NS6detail15normal_iteratorINS8_10device_ptrIiEEEEjNS1_16block_id_wrapperIjLb1EEEEEvT_jjPNSG_10value_typeET0_PNSt15iterator_traitsISJ_E10value_typeEmT1_T2_
; %bb.0:
	s_load_dword s3, s[0:1], 0x4c
	s_load_dwordx8 s[4:11], s[0:1], 0x0
	s_load_dword s18, s[0:1], 0x40
	s_waitcnt lgkmcnt(0)
	s_and_b32 s19, s3, 0xffff
	s_mul_i32 s2, s2, s19
	s_cmp_eq_u64 s[8:9], 0
	v_add_u32_e32 v4, s2, v0
	s_cbranch_scc1 .LBB131_10
; %bb.1:
	s_cmp_lt_u32 s7, s6
	s_cselect_b32 s2, s7, 0
	s_mov_b32 s13, 0
	v_cmp_eq_u32_e32 vcc, s2, v4
	s_and_saveexec_b64 s[2:3], vcc
	s_cbranch_execz .LBB131_9
; %bb.2:
	s_add_i32 s12, s7, 64
	s_lshl_b64 s[12:13], s[12:13], 4
	s_add_u32 s16, s4, s12
	s_addc_u32 s17, s5, s13
	v_mov_b64_e32 v[0:1], s[16:17]
	;;#ASMSTART
	global_load_dwordx4 v[0:3], v[0:1] off sc1	
s_waitcnt vmcnt(0)
	;;#ASMEND
	v_mov_b32_e32 v7, 0
	v_and_b32_e32 v6, 0xff, v2
	s_mov_b64 s[14:15], 0
	v_cmp_eq_u64_e32 vcc, 0, v[6:7]
	s_and_saveexec_b64 s[12:13], vcc
	s_cbranch_execz .LBB131_8
; %bb.3:
	s_mov_b32 s7, 1
	v_mov_b64_e32 v[8:9], s[16:17]
.LBB131_4:                              ; =>This Loop Header: Depth=1
                                        ;     Child Loop BB131_5 Depth 2
	s_max_u32 s16, s7, 1
.LBB131_5:                              ;   Parent Loop BB131_4 Depth=1
                                        ; =>  This Inner Loop Header: Depth=2
	s_add_i32 s16, s16, -1
	s_cmp_eq_u32 s16, 0
	s_sleep 1
	s_cbranch_scc0 .LBB131_5
; %bb.6:                                ;   in Loop: Header=BB131_4 Depth=1
	s_cmp_lt_u32 s7, 32
	s_cselect_b64 s[16:17], -1, 0
	s_cmp_lg_u64 s[16:17], 0
	;;#ASMSTART
	global_load_dwordx4 v[0:3], v[8:9] off sc1	
s_waitcnt vmcnt(0)
	;;#ASMEND
	s_addc_u32 s7, s7, 0
	v_and_b32_e32 v6, 0xff, v2
	v_cmp_ne_u64_e32 vcc, 0, v[6:7]
	s_or_b64 s[14:15], vcc, s[14:15]
	s_andn2_b64 exec, exec, s[14:15]
	s_cbranch_execnz .LBB131_4
; %bb.7:
	s_or_b64 exec, exec, s[14:15]
.LBB131_8:
	s_or_b64 exec, exec, s[12:13]
	v_mov_b32_e32 v2, 0
	global_store_dword v2, v0, s[8:9]
	global_store_byte v2, v1, s[8:9] offset:4
.LBB131_9:
	s_or_b64 exec, exec, s[2:3]
.LBB131_10:
	v_cmp_eq_u32_e32 vcc, 0, v4
	s_and_saveexec_b64 s[2:3], vcc
	s_cbranch_execz .LBB131_12
; %bb.11:
	s_load_dwordx2 s[8:9], s[0:1], 0x38
	v_mov_b32_e32 v0, 0
	s_waitcnt lgkmcnt(0)
	global_store_dword v0, v0, s[8:9]
.LBB131_12:
	s_or_b64 exec, exec, s[2:3]
	v_cmp_gt_u32_e32 vcc, s6, v4
	s_and_saveexec_b64 s[2:3], vcc
	s_cbranch_execz .LBB131_14
; %bb.13:
	v_add_u32_e32 v0, 64, v4
	v_mov_b32_e32 v1, 0
	v_lshl_add_u64 v[6:7], v[0:1], 4, s[4:5]
	v_mov_b32_e32 v0, v1
	v_mov_b32_e32 v2, v1
	;; [unrolled: 1-line block ×3, first 2 shown]
	global_store_dwordx4 v[6:7], v[0:3], off
.LBB131_14:
	s_or_b64 exec, exec, s[2:3]
	v_cmp_gt_u32_e32 vcc, 64, v4
	v_mov_b32_e32 v5, 0
	s_and_saveexec_b64 s[2:3], vcc
	s_cbranch_execz .LBB131_16
; %bb.15:
	v_lshl_add_u64 v[6:7], v[4:5], 4, s[4:5]
	v_mov_b32_e32 v2, 0xff
	v_mov_b32_e32 v0, v5
	;; [unrolled: 1-line block ×4, first 2 shown]
	global_store_dwordx4 v[6:7], v[0:3], off
.LBB131_16:
	s_or_b64 exec, exec, s[2:3]
	s_load_dwordx2 s[2:3], s[0:1], 0x28
	s_waitcnt lgkmcnt(0)
	v_cmp_gt_u64_e32 vcc, s[2:3], v[4:5]
	s_and_saveexec_b64 s[4:5], vcc
	s_cbranch_execz .LBB131_19
; %bb.17:
	s_load_dword s12, s[0:1], 0x30
	s_load_dwordx2 s[6:7], s[0:1], 0x20
	s_mov_b32 s5, 0
	s_mov_b32 s1, s5
	s_mul_i32 s0, s18, s19
	s_waitcnt lgkmcnt(0)
	s_add_i32 s4, s12, -1
	s_lshl_b64 s[4:5], s[4:5], 2
	s_add_u32 s4, s10, s4
	v_mad_u64_u32 v[0:1], s[8:9], s12, v4, 0
	s_addc_u32 s5, s11, s5
	v_lshl_add_u64 v[0:1], v[0:1], 2, s[4:5]
	s_mul_hi_u32 s5, s12, s0
	s_mul_i32 s4, s12, s0
	s_lshl_b64 s[4:5], s[4:5], 2
	v_lshl_add_u64 v[2:3], v[4:5], 2, s[6:7]
	s_lshl_b64 s[6:7], s[0:1], 2
	s_mov_b64 s[8:9], 0
.LBB131_18:                             ; =>This Inner Loop Header: Depth=1
	global_load_dword v6, v[0:1], off
	v_lshl_add_u64 v[4:5], v[4:5], 0, s[0:1]
	v_cmp_le_u64_e32 vcc, s[2:3], v[4:5]
	v_lshl_add_u64 v[0:1], v[0:1], 0, s[4:5]
	s_or_b64 s[8:9], vcc, s[8:9]
	s_waitcnt vmcnt(0)
	global_store_dword v[2:3], v6, off
	v_lshl_add_u64 v[2:3], v[2:3], 0, s[6:7]
	s_andn2_b64 exec, exec, s[8:9]
	s_cbranch_execnz .LBB131_18
.LBB131_19:
	s_endpgm
	.section	.rodata,"a",@progbits
	.p2align	6, 0x0
	.amdhsa_kernel _ZN7rocprim17ROCPRIM_400000_NS6detail30init_device_scan_by_key_kernelINS1_19lookback_scan_stateINS0_5tupleIJibEEELb1ELb1EEEN6thrust23THRUST_200600_302600_NS6detail15normal_iteratorINS8_10device_ptrIiEEEEjNS1_16block_id_wrapperIjLb1EEEEEvT_jjPNSG_10value_typeET0_PNSt15iterator_traitsISJ_E10value_typeEmT1_T2_
		.amdhsa_group_segment_fixed_size 0
		.amdhsa_private_segment_fixed_size 0
		.amdhsa_kernarg_size 320
		.amdhsa_user_sgpr_count 2
		.amdhsa_user_sgpr_dispatch_ptr 0
		.amdhsa_user_sgpr_queue_ptr 0
		.amdhsa_user_sgpr_kernarg_segment_ptr 1
		.amdhsa_user_sgpr_dispatch_id 0
		.amdhsa_user_sgpr_kernarg_preload_length 0
		.amdhsa_user_sgpr_kernarg_preload_offset 0
		.amdhsa_user_sgpr_private_segment_size 0
		.amdhsa_uses_dynamic_stack 0
		.amdhsa_enable_private_segment 0
		.amdhsa_system_sgpr_workgroup_id_x 1
		.amdhsa_system_sgpr_workgroup_id_y 0
		.amdhsa_system_sgpr_workgroup_id_z 0
		.amdhsa_system_sgpr_workgroup_info 0
		.amdhsa_system_vgpr_workitem_id 0
		.amdhsa_next_free_vgpr 10
		.amdhsa_next_free_sgpr 20
		.amdhsa_accum_offset 12
		.amdhsa_reserve_vcc 1
		.amdhsa_float_round_mode_32 0
		.amdhsa_float_round_mode_16_64 0
		.amdhsa_float_denorm_mode_32 3
		.amdhsa_float_denorm_mode_16_64 3
		.amdhsa_dx10_clamp 1
		.amdhsa_ieee_mode 1
		.amdhsa_fp16_overflow 0
		.amdhsa_tg_split 0
		.amdhsa_exception_fp_ieee_invalid_op 0
		.amdhsa_exception_fp_denorm_src 0
		.amdhsa_exception_fp_ieee_div_zero 0
		.amdhsa_exception_fp_ieee_overflow 0
		.amdhsa_exception_fp_ieee_underflow 0
		.amdhsa_exception_fp_ieee_inexact 0
		.amdhsa_exception_int_div_zero 0
	.end_amdhsa_kernel
	.section	.text._ZN7rocprim17ROCPRIM_400000_NS6detail30init_device_scan_by_key_kernelINS1_19lookback_scan_stateINS0_5tupleIJibEEELb1ELb1EEEN6thrust23THRUST_200600_302600_NS6detail15normal_iteratorINS8_10device_ptrIiEEEEjNS1_16block_id_wrapperIjLb1EEEEEvT_jjPNSG_10value_typeET0_PNSt15iterator_traitsISJ_E10value_typeEmT1_T2_,"axG",@progbits,_ZN7rocprim17ROCPRIM_400000_NS6detail30init_device_scan_by_key_kernelINS1_19lookback_scan_stateINS0_5tupleIJibEEELb1ELb1EEEN6thrust23THRUST_200600_302600_NS6detail15normal_iteratorINS8_10device_ptrIiEEEEjNS1_16block_id_wrapperIjLb1EEEEEvT_jjPNSG_10value_typeET0_PNSt15iterator_traitsISJ_E10value_typeEmT1_T2_,comdat
.Lfunc_end131:
	.size	_ZN7rocprim17ROCPRIM_400000_NS6detail30init_device_scan_by_key_kernelINS1_19lookback_scan_stateINS0_5tupleIJibEEELb1ELb1EEEN6thrust23THRUST_200600_302600_NS6detail15normal_iteratorINS8_10device_ptrIiEEEEjNS1_16block_id_wrapperIjLb1EEEEEvT_jjPNSG_10value_typeET0_PNSt15iterator_traitsISJ_E10value_typeEmT1_T2_, .Lfunc_end131-_ZN7rocprim17ROCPRIM_400000_NS6detail30init_device_scan_by_key_kernelINS1_19lookback_scan_stateINS0_5tupleIJibEEELb1ELb1EEEN6thrust23THRUST_200600_302600_NS6detail15normal_iteratorINS8_10device_ptrIiEEEEjNS1_16block_id_wrapperIjLb1EEEEEvT_jjPNSG_10value_typeET0_PNSt15iterator_traitsISJ_E10value_typeEmT1_T2_
                                        ; -- End function
	.section	.AMDGPU.csdata,"",@progbits
; Kernel info:
; codeLenInByte = 584
; NumSgprs: 26
; NumVgprs: 10
; NumAgprs: 0
; TotalNumVgprs: 10
; ScratchSize: 0
; MemoryBound: 0
; FloatMode: 240
; IeeeMode: 1
; LDSByteSize: 0 bytes/workgroup (compile time only)
; SGPRBlocks: 3
; VGPRBlocks: 1
; NumSGPRsForWavesPerEU: 26
; NumVGPRsForWavesPerEU: 10
; AccumOffset: 12
; Occupancy: 8
; WaveLimiterHint : 0
; COMPUTE_PGM_RSRC2:SCRATCH_EN: 0
; COMPUTE_PGM_RSRC2:USER_SGPR: 2
; COMPUTE_PGM_RSRC2:TRAP_HANDLER: 0
; COMPUTE_PGM_RSRC2:TGID_X_EN: 1
; COMPUTE_PGM_RSRC2:TGID_Y_EN: 0
; COMPUTE_PGM_RSRC2:TGID_Z_EN: 0
; COMPUTE_PGM_RSRC2:TIDIG_COMP_CNT: 0
; COMPUTE_PGM_RSRC3_GFX90A:ACCUM_OFFSET: 2
; COMPUTE_PGM_RSRC3_GFX90A:TG_SPLIT: 0
	.section	.text._ZN7rocprim17ROCPRIM_400000_NS6detail30init_device_scan_by_key_kernelINS1_19lookback_scan_stateINS0_5tupleIJibEEELb1ELb1EEENS1_16block_id_wrapperIjLb1EEEEEvT_jjPNS9_10value_typeET0_,"axG",@progbits,_ZN7rocprim17ROCPRIM_400000_NS6detail30init_device_scan_by_key_kernelINS1_19lookback_scan_stateINS0_5tupleIJibEEELb1ELb1EEENS1_16block_id_wrapperIjLb1EEEEEvT_jjPNS9_10value_typeET0_,comdat
	.protected	_ZN7rocprim17ROCPRIM_400000_NS6detail30init_device_scan_by_key_kernelINS1_19lookback_scan_stateINS0_5tupleIJibEEELb1ELb1EEENS1_16block_id_wrapperIjLb1EEEEEvT_jjPNS9_10value_typeET0_ ; -- Begin function _ZN7rocprim17ROCPRIM_400000_NS6detail30init_device_scan_by_key_kernelINS1_19lookback_scan_stateINS0_5tupleIJibEEELb1ELb1EEENS1_16block_id_wrapperIjLb1EEEEEvT_jjPNS9_10value_typeET0_
	.globl	_ZN7rocprim17ROCPRIM_400000_NS6detail30init_device_scan_by_key_kernelINS1_19lookback_scan_stateINS0_5tupleIJibEEELb1ELb1EEENS1_16block_id_wrapperIjLb1EEEEEvT_jjPNS9_10value_typeET0_
	.p2align	8
	.type	_ZN7rocprim17ROCPRIM_400000_NS6detail30init_device_scan_by_key_kernelINS1_19lookback_scan_stateINS0_5tupleIJibEEELb1ELb1EEENS1_16block_id_wrapperIjLb1EEEEEvT_jjPNS9_10value_typeET0_,@function
_ZN7rocprim17ROCPRIM_400000_NS6detail30init_device_scan_by_key_kernelINS1_19lookback_scan_stateINS0_5tupleIJibEEELb1ELb1EEENS1_16block_id_wrapperIjLb1EEEEEvT_jjPNS9_10value_typeET0_: ; @_ZN7rocprim17ROCPRIM_400000_NS6detail30init_device_scan_by_key_kernelINS1_19lookback_scan_stateINS0_5tupleIJibEEELb1ELb1EEENS1_16block_id_wrapperIjLb1EEEEEvT_jjPNS9_10value_typeET0_
; %bb.0:
	s_load_dword s3, s[0:1], 0x2c
	s_load_dwordx8 s[4:11], s[0:1], 0x0
	s_waitcnt lgkmcnt(0)
	s_and_b32 s0, s3, 0xffff
	s_mul_i32 s2, s2, s0
	s_cmp_eq_u64 s[8:9], 0
	v_add_u32_e32 v0, s2, v0
	s_cbranch_scc1 .LBB132_10
; %bb.1:
	s_cmp_lt_u32 s7, s6
	s_cselect_b32 s0, s7, 0
	s_mov_b32 s3, 0
	v_cmp_eq_u32_e32 vcc, s0, v0
	s_and_saveexec_b64 s[0:1], vcc
	s_cbranch_execz .LBB132_9
; %bb.2:
	s_add_i32 s2, s7, 64
	s_lshl_b64 s[2:3], s[2:3], 4
	s_add_u32 s14, s4, s2
	s_addc_u32 s15, s5, s3
	v_mov_b64_e32 v[2:3], s[14:15]
	;;#ASMSTART
	global_load_dwordx4 v[2:5], v[2:3] off sc1	
s_waitcnt vmcnt(0)
	;;#ASMEND
	v_mov_b32_e32 v7, 0
	v_and_b32_e32 v6, 0xff, v4
	s_mov_b64 s[12:13], 0
	v_cmp_eq_u64_e32 vcc, 0, v[6:7]
	s_and_saveexec_b64 s[2:3], vcc
	s_cbranch_execz .LBB132_8
; %bb.3:
	s_mov_b32 s7, 1
	v_mov_b64_e32 v[8:9], s[14:15]
.LBB132_4:                              ; =>This Loop Header: Depth=1
                                        ;     Child Loop BB132_5 Depth 2
	s_max_u32 s14, s7, 1
.LBB132_5:                              ;   Parent Loop BB132_4 Depth=1
                                        ; =>  This Inner Loop Header: Depth=2
	s_add_i32 s14, s14, -1
	s_cmp_eq_u32 s14, 0
	s_sleep 1
	s_cbranch_scc0 .LBB132_5
; %bb.6:                                ;   in Loop: Header=BB132_4 Depth=1
	s_cmp_lt_u32 s7, 32
	s_cselect_b64 s[14:15], -1, 0
	s_cmp_lg_u64 s[14:15], 0
	;;#ASMSTART
	global_load_dwordx4 v[2:5], v[8:9] off sc1	
s_waitcnt vmcnt(0)
	;;#ASMEND
	s_addc_u32 s7, s7, 0
	v_and_b32_e32 v6, 0xff, v4
	v_cmp_ne_u64_e32 vcc, 0, v[6:7]
	s_or_b64 s[12:13], vcc, s[12:13]
	s_andn2_b64 exec, exec, s[12:13]
	s_cbranch_execnz .LBB132_4
; %bb.7:
	s_or_b64 exec, exec, s[12:13]
.LBB132_8:
	s_or_b64 exec, exec, s[2:3]
	v_mov_b32_e32 v1, 0
	global_store_dword v1, v2, s[8:9]
	global_store_byte v1, v3, s[8:9] offset:4
.LBB132_9:
	s_or_b64 exec, exec, s[0:1]
.LBB132_10:
	v_cmp_eq_u32_e32 vcc, 0, v0
	s_and_saveexec_b64 s[0:1], vcc
	s_cbranch_execnz .LBB132_14
; %bb.11:
	s_or_b64 exec, exec, s[0:1]
	v_cmp_gt_u32_e32 vcc, s6, v0
	s_and_saveexec_b64 s[0:1], vcc
	s_cbranch_execnz .LBB132_15
.LBB132_12:
	s_or_b64 exec, exec, s[0:1]
	v_cmp_gt_u32_e32 vcc, 64, v0
	s_and_saveexec_b64 s[0:1], vcc
	s_cbranch_execnz .LBB132_16
.LBB132_13:
	s_endpgm
.LBB132_14:
	v_mov_b32_e32 v1, 0
	global_store_dword v1, v1, s[10:11]
	s_or_b64 exec, exec, s[0:1]
	v_cmp_gt_u32_e32 vcc, s6, v0
	s_and_saveexec_b64 s[0:1], vcc
	s_cbranch_execz .LBB132_12
.LBB132_15:
	v_add_u32_e32 v2, 64, v0
	v_mov_b32_e32 v3, 0
	v_lshl_add_u64 v[6:7], v[2:3], 4, s[4:5]
	v_mov_b32_e32 v2, v3
	v_mov_b32_e32 v4, v3
	v_mov_b32_e32 v5, v3
	global_store_dwordx4 v[6:7], v[2:5], off
	s_or_b64 exec, exec, s[0:1]
	v_cmp_gt_u32_e32 vcc, 64, v0
	s_and_saveexec_b64 s[0:1], vcc
	s_cbranch_execz .LBB132_13
.LBB132_16:
	v_mov_b32_e32 v1, 0
	v_lshl_add_u64 v[4:5], v[0:1], 4, s[4:5]
	v_mov_b32_e32 v2, 0xff
	v_mov_b32_e32 v0, v1
	;; [unrolled: 1-line block ×3, first 2 shown]
	global_store_dwordx4 v[4:5], v[0:3], off
	s_endpgm
	.section	.rodata,"a",@progbits
	.p2align	6, 0x0
	.amdhsa_kernel _ZN7rocprim17ROCPRIM_400000_NS6detail30init_device_scan_by_key_kernelINS1_19lookback_scan_stateINS0_5tupleIJibEEELb1ELb1EEENS1_16block_id_wrapperIjLb1EEEEEvT_jjPNS9_10value_typeET0_
		.amdhsa_group_segment_fixed_size 0
		.amdhsa_private_segment_fixed_size 0
		.amdhsa_kernarg_size 288
		.amdhsa_user_sgpr_count 2
		.amdhsa_user_sgpr_dispatch_ptr 0
		.amdhsa_user_sgpr_queue_ptr 0
		.amdhsa_user_sgpr_kernarg_segment_ptr 1
		.amdhsa_user_sgpr_dispatch_id 0
		.amdhsa_user_sgpr_kernarg_preload_length 0
		.amdhsa_user_sgpr_kernarg_preload_offset 0
		.amdhsa_user_sgpr_private_segment_size 0
		.amdhsa_uses_dynamic_stack 0
		.amdhsa_enable_private_segment 0
		.amdhsa_system_sgpr_workgroup_id_x 1
		.amdhsa_system_sgpr_workgroup_id_y 0
		.amdhsa_system_sgpr_workgroup_id_z 0
		.amdhsa_system_sgpr_workgroup_info 0
		.amdhsa_system_vgpr_workitem_id 0
		.amdhsa_next_free_vgpr 10
		.amdhsa_next_free_sgpr 16
		.amdhsa_accum_offset 12
		.amdhsa_reserve_vcc 1
		.amdhsa_float_round_mode_32 0
		.amdhsa_float_round_mode_16_64 0
		.amdhsa_float_denorm_mode_32 3
		.amdhsa_float_denorm_mode_16_64 3
		.amdhsa_dx10_clamp 1
		.amdhsa_ieee_mode 1
		.amdhsa_fp16_overflow 0
		.amdhsa_tg_split 0
		.amdhsa_exception_fp_ieee_invalid_op 0
		.amdhsa_exception_fp_denorm_src 0
		.amdhsa_exception_fp_ieee_div_zero 0
		.amdhsa_exception_fp_ieee_overflow 0
		.amdhsa_exception_fp_ieee_underflow 0
		.amdhsa_exception_fp_ieee_inexact 0
		.amdhsa_exception_int_div_zero 0
	.end_amdhsa_kernel
	.section	.text._ZN7rocprim17ROCPRIM_400000_NS6detail30init_device_scan_by_key_kernelINS1_19lookback_scan_stateINS0_5tupleIJibEEELb1ELb1EEENS1_16block_id_wrapperIjLb1EEEEEvT_jjPNS9_10value_typeET0_,"axG",@progbits,_ZN7rocprim17ROCPRIM_400000_NS6detail30init_device_scan_by_key_kernelINS1_19lookback_scan_stateINS0_5tupleIJibEEELb1ELb1EEENS1_16block_id_wrapperIjLb1EEEEEvT_jjPNS9_10value_typeET0_,comdat
.Lfunc_end132:
	.size	_ZN7rocprim17ROCPRIM_400000_NS6detail30init_device_scan_by_key_kernelINS1_19lookback_scan_stateINS0_5tupleIJibEEELb1ELb1EEENS1_16block_id_wrapperIjLb1EEEEEvT_jjPNS9_10value_typeET0_, .Lfunc_end132-_ZN7rocprim17ROCPRIM_400000_NS6detail30init_device_scan_by_key_kernelINS1_19lookback_scan_stateINS0_5tupleIJibEEELb1ELb1EEENS1_16block_id_wrapperIjLb1EEEEEvT_jjPNS9_10value_typeET0_
                                        ; -- End function
	.section	.AMDGPU.csdata,"",@progbits
; Kernel info:
; codeLenInByte = 416
; NumSgprs: 22
; NumVgprs: 10
; NumAgprs: 0
; TotalNumVgprs: 10
; ScratchSize: 0
; MemoryBound: 0
; FloatMode: 240
; IeeeMode: 1
; LDSByteSize: 0 bytes/workgroup (compile time only)
; SGPRBlocks: 2
; VGPRBlocks: 1
; NumSGPRsForWavesPerEU: 22
; NumVGPRsForWavesPerEU: 10
; AccumOffset: 12
; Occupancy: 8
; WaveLimiterHint : 0
; COMPUTE_PGM_RSRC2:SCRATCH_EN: 0
; COMPUTE_PGM_RSRC2:USER_SGPR: 2
; COMPUTE_PGM_RSRC2:TRAP_HANDLER: 0
; COMPUTE_PGM_RSRC2:TGID_X_EN: 1
; COMPUTE_PGM_RSRC2:TGID_Y_EN: 0
; COMPUTE_PGM_RSRC2:TGID_Z_EN: 0
; COMPUTE_PGM_RSRC2:TIDIG_COMP_CNT: 0
; COMPUTE_PGM_RSRC3_GFX90A:ACCUM_OFFSET: 2
; COMPUTE_PGM_RSRC3_GFX90A:TG_SPLIT: 0
	.section	.text._ZN7rocprim17ROCPRIM_400000_NS6detail17trampoline_kernelINS0_14default_configENS1_27scan_by_key_config_selectorIiiEEZZNS1_16scan_by_key_implILNS1_25lookback_scan_determinismE0ELb0ES3_N6thrust23THRUST_200600_302600_NS6detail15normal_iteratorINS9_10device_ptrIiEEEESE_SE_iNS9_4plusIvEENS9_8equal_toIvEEiEE10hipError_tPvRmT2_T3_T4_T5_mT6_T7_P12ihipStream_tbENKUlT_T0_E_clISt17integral_constantIbLb1EESZ_EEDaSU_SV_EUlSU_E_NS1_11comp_targetILNS1_3genE0ELNS1_11target_archE4294967295ELNS1_3gpuE0ELNS1_3repE0EEENS1_30default_config_static_selectorELNS0_4arch9wavefront6targetE1EEEvT1_,"axG",@progbits,_ZN7rocprim17ROCPRIM_400000_NS6detail17trampoline_kernelINS0_14default_configENS1_27scan_by_key_config_selectorIiiEEZZNS1_16scan_by_key_implILNS1_25lookback_scan_determinismE0ELb0ES3_N6thrust23THRUST_200600_302600_NS6detail15normal_iteratorINS9_10device_ptrIiEEEESE_SE_iNS9_4plusIvEENS9_8equal_toIvEEiEE10hipError_tPvRmT2_T3_T4_T5_mT6_T7_P12ihipStream_tbENKUlT_T0_E_clISt17integral_constantIbLb1EESZ_EEDaSU_SV_EUlSU_E_NS1_11comp_targetILNS1_3genE0ELNS1_11target_archE4294967295ELNS1_3gpuE0ELNS1_3repE0EEENS1_30default_config_static_selectorELNS0_4arch9wavefront6targetE1EEEvT1_,comdat
	.protected	_ZN7rocprim17ROCPRIM_400000_NS6detail17trampoline_kernelINS0_14default_configENS1_27scan_by_key_config_selectorIiiEEZZNS1_16scan_by_key_implILNS1_25lookback_scan_determinismE0ELb0ES3_N6thrust23THRUST_200600_302600_NS6detail15normal_iteratorINS9_10device_ptrIiEEEESE_SE_iNS9_4plusIvEENS9_8equal_toIvEEiEE10hipError_tPvRmT2_T3_T4_T5_mT6_T7_P12ihipStream_tbENKUlT_T0_E_clISt17integral_constantIbLb1EESZ_EEDaSU_SV_EUlSU_E_NS1_11comp_targetILNS1_3genE0ELNS1_11target_archE4294967295ELNS1_3gpuE0ELNS1_3repE0EEENS1_30default_config_static_selectorELNS0_4arch9wavefront6targetE1EEEvT1_ ; -- Begin function _ZN7rocprim17ROCPRIM_400000_NS6detail17trampoline_kernelINS0_14default_configENS1_27scan_by_key_config_selectorIiiEEZZNS1_16scan_by_key_implILNS1_25lookback_scan_determinismE0ELb0ES3_N6thrust23THRUST_200600_302600_NS6detail15normal_iteratorINS9_10device_ptrIiEEEESE_SE_iNS9_4plusIvEENS9_8equal_toIvEEiEE10hipError_tPvRmT2_T3_T4_T5_mT6_T7_P12ihipStream_tbENKUlT_T0_E_clISt17integral_constantIbLb1EESZ_EEDaSU_SV_EUlSU_E_NS1_11comp_targetILNS1_3genE0ELNS1_11target_archE4294967295ELNS1_3gpuE0ELNS1_3repE0EEENS1_30default_config_static_selectorELNS0_4arch9wavefront6targetE1EEEvT1_
	.globl	_ZN7rocprim17ROCPRIM_400000_NS6detail17trampoline_kernelINS0_14default_configENS1_27scan_by_key_config_selectorIiiEEZZNS1_16scan_by_key_implILNS1_25lookback_scan_determinismE0ELb0ES3_N6thrust23THRUST_200600_302600_NS6detail15normal_iteratorINS9_10device_ptrIiEEEESE_SE_iNS9_4plusIvEENS9_8equal_toIvEEiEE10hipError_tPvRmT2_T3_T4_T5_mT6_T7_P12ihipStream_tbENKUlT_T0_E_clISt17integral_constantIbLb1EESZ_EEDaSU_SV_EUlSU_E_NS1_11comp_targetILNS1_3genE0ELNS1_11target_archE4294967295ELNS1_3gpuE0ELNS1_3repE0EEENS1_30default_config_static_selectorELNS0_4arch9wavefront6targetE1EEEvT1_
	.p2align	8
	.type	_ZN7rocprim17ROCPRIM_400000_NS6detail17trampoline_kernelINS0_14default_configENS1_27scan_by_key_config_selectorIiiEEZZNS1_16scan_by_key_implILNS1_25lookback_scan_determinismE0ELb0ES3_N6thrust23THRUST_200600_302600_NS6detail15normal_iteratorINS9_10device_ptrIiEEEESE_SE_iNS9_4plusIvEENS9_8equal_toIvEEiEE10hipError_tPvRmT2_T3_T4_T5_mT6_T7_P12ihipStream_tbENKUlT_T0_E_clISt17integral_constantIbLb1EESZ_EEDaSU_SV_EUlSU_E_NS1_11comp_targetILNS1_3genE0ELNS1_11target_archE4294967295ELNS1_3gpuE0ELNS1_3repE0EEENS1_30default_config_static_selectorELNS0_4arch9wavefront6targetE1EEEvT1_,@function
_ZN7rocprim17ROCPRIM_400000_NS6detail17trampoline_kernelINS0_14default_configENS1_27scan_by_key_config_selectorIiiEEZZNS1_16scan_by_key_implILNS1_25lookback_scan_determinismE0ELb0ES3_N6thrust23THRUST_200600_302600_NS6detail15normal_iteratorINS9_10device_ptrIiEEEESE_SE_iNS9_4plusIvEENS9_8equal_toIvEEiEE10hipError_tPvRmT2_T3_T4_T5_mT6_T7_P12ihipStream_tbENKUlT_T0_E_clISt17integral_constantIbLb1EESZ_EEDaSU_SV_EUlSU_E_NS1_11comp_targetILNS1_3genE0ELNS1_11target_archE4294967295ELNS1_3gpuE0ELNS1_3repE0EEENS1_30default_config_static_selectorELNS0_4arch9wavefront6targetE1EEEvT1_: ; @_ZN7rocprim17ROCPRIM_400000_NS6detail17trampoline_kernelINS0_14default_configENS1_27scan_by_key_config_selectorIiiEEZZNS1_16scan_by_key_implILNS1_25lookback_scan_determinismE0ELb0ES3_N6thrust23THRUST_200600_302600_NS6detail15normal_iteratorINS9_10device_ptrIiEEEESE_SE_iNS9_4plusIvEENS9_8equal_toIvEEiEE10hipError_tPvRmT2_T3_T4_T5_mT6_T7_P12ihipStream_tbENKUlT_T0_E_clISt17integral_constantIbLb1EESZ_EEDaSU_SV_EUlSU_E_NS1_11comp_targetILNS1_3genE0ELNS1_11target_archE4294967295ELNS1_3gpuE0ELNS1_3repE0EEENS1_30default_config_static_selectorELNS0_4arch9wavefront6targetE1EEEvT1_
; %bb.0:
	.section	.rodata,"a",@progbits
	.p2align	6, 0x0
	.amdhsa_kernel _ZN7rocprim17ROCPRIM_400000_NS6detail17trampoline_kernelINS0_14default_configENS1_27scan_by_key_config_selectorIiiEEZZNS1_16scan_by_key_implILNS1_25lookback_scan_determinismE0ELb0ES3_N6thrust23THRUST_200600_302600_NS6detail15normal_iteratorINS9_10device_ptrIiEEEESE_SE_iNS9_4plusIvEENS9_8equal_toIvEEiEE10hipError_tPvRmT2_T3_T4_T5_mT6_T7_P12ihipStream_tbENKUlT_T0_E_clISt17integral_constantIbLb1EESZ_EEDaSU_SV_EUlSU_E_NS1_11comp_targetILNS1_3genE0ELNS1_11target_archE4294967295ELNS1_3gpuE0ELNS1_3repE0EEENS1_30default_config_static_selectorELNS0_4arch9wavefront6targetE1EEEvT1_
		.amdhsa_group_segment_fixed_size 0
		.amdhsa_private_segment_fixed_size 0
		.amdhsa_kernarg_size 112
		.amdhsa_user_sgpr_count 2
		.amdhsa_user_sgpr_dispatch_ptr 0
		.amdhsa_user_sgpr_queue_ptr 0
		.amdhsa_user_sgpr_kernarg_segment_ptr 1
		.amdhsa_user_sgpr_dispatch_id 0
		.amdhsa_user_sgpr_kernarg_preload_length 0
		.amdhsa_user_sgpr_kernarg_preload_offset 0
		.amdhsa_user_sgpr_private_segment_size 0
		.amdhsa_uses_dynamic_stack 0
		.amdhsa_enable_private_segment 0
		.amdhsa_system_sgpr_workgroup_id_x 1
		.amdhsa_system_sgpr_workgroup_id_y 0
		.amdhsa_system_sgpr_workgroup_id_z 0
		.amdhsa_system_sgpr_workgroup_info 0
		.amdhsa_system_vgpr_workitem_id 0
		.amdhsa_next_free_vgpr 1
		.amdhsa_next_free_sgpr 0
		.amdhsa_accum_offset 4
		.amdhsa_reserve_vcc 0
		.amdhsa_float_round_mode_32 0
		.amdhsa_float_round_mode_16_64 0
		.amdhsa_float_denorm_mode_32 3
		.amdhsa_float_denorm_mode_16_64 3
		.amdhsa_dx10_clamp 1
		.amdhsa_ieee_mode 1
		.amdhsa_fp16_overflow 0
		.amdhsa_tg_split 0
		.amdhsa_exception_fp_ieee_invalid_op 0
		.amdhsa_exception_fp_denorm_src 0
		.amdhsa_exception_fp_ieee_div_zero 0
		.amdhsa_exception_fp_ieee_overflow 0
		.amdhsa_exception_fp_ieee_underflow 0
		.amdhsa_exception_fp_ieee_inexact 0
		.amdhsa_exception_int_div_zero 0
	.end_amdhsa_kernel
	.section	.text._ZN7rocprim17ROCPRIM_400000_NS6detail17trampoline_kernelINS0_14default_configENS1_27scan_by_key_config_selectorIiiEEZZNS1_16scan_by_key_implILNS1_25lookback_scan_determinismE0ELb0ES3_N6thrust23THRUST_200600_302600_NS6detail15normal_iteratorINS9_10device_ptrIiEEEESE_SE_iNS9_4plusIvEENS9_8equal_toIvEEiEE10hipError_tPvRmT2_T3_T4_T5_mT6_T7_P12ihipStream_tbENKUlT_T0_E_clISt17integral_constantIbLb1EESZ_EEDaSU_SV_EUlSU_E_NS1_11comp_targetILNS1_3genE0ELNS1_11target_archE4294967295ELNS1_3gpuE0ELNS1_3repE0EEENS1_30default_config_static_selectorELNS0_4arch9wavefront6targetE1EEEvT1_,"axG",@progbits,_ZN7rocprim17ROCPRIM_400000_NS6detail17trampoline_kernelINS0_14default_configENS1_27scan_by_key_config_selectorIiiEEZZNS1_16scan_by_key_implILNS1_25lookback_scan_determinismE0ELb0ES3_N6thrust23THRUST_200600_302600_NS6detail15normal_iteratorINS9_10device_ptrIiEEEESE_SE_iNS9_4plusIvEENS9_8equal_toIvEEiEE10hipError_tPvRmT2_T3_T4_T5_mT6_T7_P12ihipStream_tbENKUlT_T0_E_clISt17integral_constantIbLb1EESZ_EEDaSU_SV_EUlSU_E_NS1_11comp_targetILNS1_3genE0ELNS1_11target_archE4294967295ELNS1_3gpuE0ELNS1_3repE0EEENS1_30default_config_static_selectorELNS0_4arch9wavefront6targetE1EEEvT1_,comdat
.Lfunc_end133:
	.size	_ZN7rocprim17ROCPRIM_400000_NS6detail17trampoline_kernelINS0_14default_configENS1_27scan_by_key_config_selectorIiiEEZZNS1_16scan_by_key_implILNS1_25lookback_scan_determinismE0ELb0ES3_N6thrust23THRUST_200600_302600_NS6detail15normal_iteratorINS9_10device_ptrIiEEEESE_SE_iNS9_4plusIvEENS9_8equal_toIvEEiEE10hipError_tPvRmT2_T3_T4_T5_mT6_T7_P12ihipStream_tbENKUlT_T0_E_clISt17integral_constantIbLb1EESZ_EEDaSU_SV_EUlSU_E_NS1_11comp_targetILNS1_3genE0ELNS1_11target_archE4294967295ELNS1_3gpuE0ELNS1_3repE0EEENS1_30default_config_static_selectorELNS0_4arch9wavefront6targetE1EEEvT1_, .Lfunc_end133-_ZN7rocprim17ROCPRIM_400000_NS6detail17trampoline_kernelINS0_14default_configENS1_27scan_by_key_config_selectorIiiEEZZNS1_16scan_by_key_implILNS1_25lookback_scan_determinismE0ELb0ES3_N6thrust23THRUST_200600_302600_NS6detail15normal_iteratorINS9_10device_ptrIiEEEESE_SE_iNS9_4plusIvEENS9_8equal_toIvEEiEE10hipError_tPvRmT2_T3_T4_T5_mT6_T7_P12ihipStream_tbENKUlT_T0_E_clISt17integral_constantIbLb1EESZ_EEDaSU_SV_EUlSU_E_NS1_11comp_targetILNS1_3genE0ELNS1_11target_archE4294967295ELNS1_3gpuE0ELNS1_3repE0EEENS1_30default_config_static_selectorELNS0_4arch9wavefront6targetE1EEEvT1_
                                        ; -- End function
	.section	.AMDGPU.csdata,"",@progbits
; Kernel info:
; codeLenInByte = 0
; NumSgprs: 6
; NumVgprs: 0
; NumAgprs: 0
; TotalNumVgprs: 0
; ScratchSize: 0
; MemoryBound: 0
; FloatMode: 240
; IeeeMode: 1
; LDSByteSize: 0 bytes/workgroup (compile time only)
; SGPRBlocks: 0
; VGPRBlocks: 0
; NumSGPRsForWavesPerEU: 6
; NumVGPRsForWavesPerEU: 1
; AccumOffset: 4
; Occupancy: 8
; WaveLimiterHint : 0
; COMPUTE_PGM_RSRC2:SCRATCH_EN: 0
; COMPUTE_PGM_RSRC2:USER_SGPR: 2
; COMPUTE_PGM_RSRC2:TRAP_HANDLER: 0
; COMPUTE_PGM_RSRC2:TGID_X_EN: 1
; COMPUTE_PGM_RSRC2:TGID_Y_EN: 0
; COMPUTE_PGM_RSRC2:TGID_Z_EN: 0
; COMPUTE_PGM_RSRC2:TIDIG_COMP_CNT: 0
; COMPUTE_PGM_RSRC3_GFX90A:ACCUM_OFFSET: 0
; COMPUTE_PGM_RSRC3_GFX90A:TG_SPLIT: 0
	.section	.text._ZN7rocprim17ROCPRIM_400000_NS6detail17trampoline_kernelINS0_14default_configENS1_27scan_by_key_config_selectorIiiEEZZNS1_16scan_by_key_implILNS1_25lookback_scan_determinismE0ELb0ES3_N6thrust23THRUST_200600_302600_NS6detail15normal_iteratorINS9_10device_ptrIiEEEESE_SE_iNS9_4plusIvEENS9_8equal_toIvEEiEE10hipError_tPvRmT2_T3_T4_T5_mT6_T7_P12ihipStream_tbENKUlT_T0_E_clISt17integral_constantIbLb1EESZ_EEDaSU_SV_EUlSU_E_NS1_11comp_targetILNS1_3genE10ELNS1_11target_archE1201ELNS1_3gpuE5ELNS1_3repE0EEENS1_30default_config_static_selectorELNS0_4arch9wavefront6targetE1EEEvT1_,"axG",@progbits,_ZN7rocprim17ROCPRIM_400000_NS6detail17trampoline_kernelINS0_14default_configENS1_27scan_by_key_config_selectorIiiEEZZNS1_16scan_by_key_implILNS1_25lookback_scan_determinismE0ELb0ES3_N6thrust23THRUST_200600_302600_NS6detail15normal_iteratorINS9_10device_ptrIiEEEESE_SE_iNS9_4plusIvEENS9_8equal_toIvEEiEE10hipError_tPvRmT2_T3_T4_T5_mT6_T7_P12ihipStream_tbENKUlT_T0_E_clISt17integral_constantIbLb1EESZ_EEDaSU_SV_EUlSU_E_NS1_11comp_targetILNS1_3genE10ELNS1_11target_archE1201ELNS1_3gpuE5ELNS1_3repE0EEENS1_30default_config_static_selectorELNS0_4arch9wavefront6targetE1EEEvT1_,comdat
	.protected	_ZN7rocprim17ROCPRIM_400000_NS6detail17trampoline_kernelINS0_14default_configENS1_27scan_by_key_config_selectorIiiEEZZNS1_16scan_by_key_implILNS1_25lookback_scan_determinismE0ELb0ES3_N6thrust23THRUST_200600_302600_NS6detail15normal_iteratorINS9_10device_ptrIiEEEESE_SE_iNS9_4plusIvEENS9_8equal_toIvEEiEE10hipError_tPvRmT2_T3_T4_T5_mT6_T7_P12ihipStream_tbENKUlT_T0_E_clISt17integral_constantIbLb1EESZ_EEDaSU_SV_EUlSU_E_NS1_11comp_targetILNS1_3genE10ELNS1_11target_archE1201ELNS1_3gpuE5ELNS1_3repE0EEENS1_30default_config_static_selectorELNS0_4arch9wavefront6targetE1EEEvT1_ ; -- Begin function _ZN7rocprim17ROCPRIM_400000_NS6detail17trampoline_kernelINS0_14default_configENS1_27scan_by_key_config_selectorIiiEEZZNS1_16scan_by_key_implILNS1_25lookback_scan_determinismE0ELb0ES3_N6thrust23THRUST_200600_302600_NS6detail15normal_iteratorINS9_10device_ptrIiEEEESE_SE_iNS9_4plusIvEENS9_8equal_toIvEEiEE10hipError_tPvRmT2_T3_T4_T5_mT6_T7_P12ihipStream_tbENKUlT_T0_E_clISt17integral_constantIbLb1EESZ_EEDaSU_SV_EUlSU_E_NS1_11comp_targetILNS1_3genE10ELNS1_11target_archE1201ELNS1_3gpuE5ELNS1_3repE0EEENS1_30default_config_static_selectorELNS0_4arch9wavefront6targetE1EEEvT1_
	.globl	_ZN7rocprim17ROCPRIM_400000_NS6detail17trampoline_kernelINS0_14default_configENS1_27scan_by_key_config_selectorIiiEEZZNS1_16scan_by_key_implILNS1_25lookback_scan_determinismE0ELb0ES3_N6thrust23THRUST_200600_302600_NS6detail15normal_iteratorINS9_10device_ptrIiEEEESE_SE_iNS9_4plusIvEENS9_8equal_toIvEEiEE10hipError_tPvRmT2_T3_T4_T5_mT6_T7_P12ihipStream_tbENKUlT_T0_E_clISt17integral_constantIbLb1EESZ_EEDaSU_SV_EUlSU_E_NS1_11comp_targetILNS1_3genE10ELNS1_11target_archE1201ELNS1_3gpuE5ELNS1_3repE0EEENS1_30default_config_static_selectorELNS0_4arch9wavefront6targetE1EEEvT1_
	.p2align	8
	.type	_ZN7rocprim17ROCPRIM_400000_NS6detail17trampoline_kernelINS0_14default_configENS1_27scan_by_key_config_selectorIiiEEZZNS1_16scan_by_key_implILNS1_25lookback_scan_determinismE0ELb0ES3_N6thrust23THRUST_200600_302600_NS6detail15normal_iteratorINS9_10device_ptrIiEEEESE_SE_iNS9_4plusIvEENS9_8equal_toIvEEiEE10hipError_tPvRmT2_T3_T4_T5_mT6_T7_P12ihipStream_tbENKUlT_T0_E_clISt17integral_constantIbLb1EESZ_EEDaSU_SV_EUlSU_E_NS1_11comp_targetILNS1_3genE10ELNS1_11target_archE1201ELNS1_3gpuE5ELNS1_3repE0EEENS1_30default_config_static_selectorELNS0_4arch9wavefront6targetE1EEEvT1_,@function
_ZN7rocprim17ROCPRIM_400000_NS6detail17trampoline_kernelINS0_14default_configENS1_27scan_by_key_config_selectorIiiEEZZNS1_16scan_by_key_implILNS1_25lookback_scan_determinismE0ELb0ES3_N6thrust23THRUST_200600_302600_NS6detail15normal_iteratorINS9_10device_ptrIiEEEESE_SE_iNS9_4plusIvEENS9_8equal_toIvEEiEE10hipError_tPvRmT2_T3_T4_T5_mT6_T7_P12ihipStream_tbENKUlT_T0_E_clISt17integral_constantIbLb1EESZ_EEDaSU_SV_EUlSU_E_NS1_11comp_targetILNS1_3genE10ELNS1_11target_archE1201ELNS1_3gpuE5ELNS1_3repE0EEENS1_30default_config_static_selectorELNS0_4arch9wavefront6targetE1EEEvT1_: ; @_ZN7rocprim17ROCPRIM_400000_NS6detail17trampoline_kernelINS0_14default_configENS1_27scan_by_key_config_selectorIiiEEZZNS1_16scan_by_key_implILNS1_25lookback_scan_determinismE0ELb0ES3_N6thrust23THRUST_200600_302600_NS6detail15normal_iteratorINS9_10device_ptrIiEEEESE_SE_iNS9_4plusIvEENS9_8equal_toIvEEiEE10hipError_tPvRmT2_T3_T4_T5_mT6_T7_P12ihipStream_tbENKUlT_T0_E_clISt17integral_constantIbLb1EESZ_EEDaSU_SV_EUlSU_E_NS1_11comp_targetILNS1_3genE10ELNS1_11target_archE1201ELNS1_3gpuE5ELNS1_3repE0EEENS1_30default_config_static_selectorELNS0_4arch9wavefront6targetE1EEEvT1_
; %bb.0:
	.section	.rodata,"a",@progbits
	.p2align	6, 0x0
	.amdhsa_kernel _ZN7rocprim17ROCPRIM_400000_NS6detail17trampoline_kernelINS0_14default_configENS1_27scan_by_key_config_selectorIiiEEZZNS1_16scan_by_key_implILNS1_25lookback_scan_determinismE0ELb0ES3_N6thrust23THRUST_200600_302600_NS6detail15normal_iteratorINS9_10device_ptrIiEEEESE_SE_iNS9_4plusIvEENS9_8equal_toIvEEiEE10hipError_tPvRmT2_T3_T4_T5_mT6_T7_P12ihipStream_tbENKUlT_T0_E_clISt17integral_constantIbLb1EESZ_EEDaSU_SV_EUlSU_E_NS1_11comp_targetILNS1_3genE10ELNS1_11target_archE1201ELNS1_3gpuE5ELNS1_3repE0EEENS1_30default_config_static_selectorELNS0_4arch9wavefront6targetE1EEEvT1_
		.amdhsa_group_segment_fixed_size 0
		.amdhsa_private_segment_fixed_size 0
		.amdhsa_kernarg_size 112
		.amdhsa_user_sgpr_count 2
		.amdhsa_user_sgpr_dispatch_ptr 0
		.amdhsa_user_sgpr_queue_ptr 0
		.amdhsa_user_sgpr_kernarg_segment_ptr 1
		.amdhsa_user_sgpr_dispatch_id 0
		.amdhsa_user_sgpr_kernarg_preload_length 0
		.amdhsa_user_sgpr_kernarg_preload_offset 0
		.amdhsa_user_sgpr_private_segment_size 0
		.amdhsa_uses_dynamic_stack 0
		.amdhsa_enable_private_segment 0
		.amdhsa_system_sgpr_workgroup_id_x 1
		.amdhsa_system_sgpr_workgroup_id_y 0
		.amdhsa_system_sgpr_workgroup_id_z 0
		.amdhsa_system_sgpr_workgroup_info 0
		.amdhsa_system_vgpr_workitem_id 0
		.amdhsa_next_free_vgpr 1
		.amdhsa_next_free_sgpr 0
		.amdhsa_accum_offset 4
		.amdhsa_reserve_vcc 0
		.amdhsa_float_round_mode_32 0
		.amdhsa_float_round_mode_16_64 0
		.amdhsa_float_denorm_mode_32 3
		.amdhsa_float_denorm_mode_16_64 3
		.amdhsa_dx10_clamp 1
		.amdhsa_ieee_mode 1
		.amdhsa_fp16_overflow 0
		.amdhsa_tg_split 0
		.amdhsa_exception_fp_ieee_invalid_op 0
		.amdhsa_exception_fp_denorm_src 0
		.amdhsa_exception_fp_ieee_div_zero 0
		.amdhsa_exception_fp_ieee_overflow 0
		.amdhsa_exception_fp_ieee_underflow 0
		.amdhsa_exception_fp_ieee_inexact 0
		.amdhsa_exception_int_div_zero 0
	.end_amdhsa_kernel
	.section	.text._ZN7rocprim17ROCPRIM_400000_NS6detail17trampoline_kernelINS0_14default_configENS1_27scan_by_key_config_selectorIiiEEZZNS1_16scan_by_key_implILNS1_25lookback_scan_determinismE0ELb0ES3_N6thrust23THRUST_200600_302600_NS6detail15normal_iteratorINS9_10device_ptrIiEEEESE_SE_iNS9_4plusIvEENS9_8equal_toIvEEiEE10hipError_tPvRmT2_T3_T4_T5_mT6_T7_P12ihipStream_tbENKUlT_T0_E_clISt17integral_constantIbLb1EESZ_EEDaSU_SV_EUlSU_E_NS1_11comp_targetILNS1_3genE10ELNS1_11target_archE1201ELNS1_3gpuE5ELNS1_3repE0EEENS1_30default_config_static_selectorELNS0_4arch9wavefront6targetE1EEEvT1_,"axG",@progbits,_ZN7rocprim17ROCPRIM_400000_NS6detail17trampoline_kernelINS0_14default_configENS1_27scan_by_key_config_selectorIiiEEZZNS1_16scan_by_key_implILNS1_25lookback_scan_determinismE0ELb0ES3_N6thrust23THRUST_200600_302600_NS6detail15normal_iteratorINS9_10device_ptrIiEEEESE_SE_iNS9_4plusIvEENS9_8equal_toIvEEiEE10hipError_tPvRmT2_T3_T4_T5_mT6_T7_P12ihipStream_tbENKUlT_T0_E_clISt17integral_constantIbLb1EESZ_EEDaSU_SV_EUlSU_E_NS1_11comp_targetILNS1_3genE10ELNS1_11target_archE1201ELNS1_3gpuE5ELNS1_3repE0EEENS1_30default_config_static_selectorELNS0_4arch9wavefront6targetE1EEEvT1_,comdat
.Lfunc_end134:
	.size	_ZN7rocprim17ROCPRIM_400000_NS6detail17trampoline_kernelINS0_14default_configENS1_27scan_by_key_config_selectorIiiEEZZNS1_16scan_by_key_implILNS1_25lookback_scan_determinismE0ELb0ES3_N6thrust23THRUST_200600_302600_NS6detail15normal_iteratorINS9_10device_ptrIiEEEESE_SE_iNS9_4plusIvEENS9_8equal_toIvEEiEE10hipError_tPvRmT2_T3_T4_T5_mT6_T7_P12ihipStream_tbENKUlT_T0_E_clISt17integral_constantIbLb1EESZ_EEDaSU_SV_EUlSU_E_NS1_11comp_targetILNS1_3genE10ELNS1_11target_archE1201ELNS1_3gpuE5ELNS1_3repE0EEENS1_30default_config_static_selectorELNS0_4arch9wavefront6targetE1EEEvT1_, .Lfunc_end134-_ZN7rocprim17ROCPRIM_400000_NS6detail17trampoline_kernelINS0_14default_configENS1_27scan_by_key_config_selectorIiiEEZZNS1_16scan_by_key_implILNS1_25lookback_scan_determinismE0ELb0ES3_N6thrust23THRUST_200600_302600_NS6detail15normal_iteratorINS9_10device_ptrIiEEEESE_SE_iNS9_4plusIvEENS9_8equal_toIvEEiEE10hipError_tPvRmT2_T3_T4_T5_mT6_T7_P12ihipStream_tbENKUlT_T0_E_clISt17integral_constantIbLb1EESZ_EEDaSU_SV_EUlSU_E_NS1_11comp_targetILNS1_3genE10ELNS1_11target_archE1201ELNS1_3gpuE5ELNS1_3repE0EEENS1_30default_config_static_selectorELNS0_4arch9wavefront6targetE1EEEvT1_
                                        ; -- End function
	.section	.AMDGPU.csdata,"",@progbits
; Kernel info:
; codeLenInByte = 0
; NumSgprs: 6
; NumVgprs: 0
; NumAgprs: 0
; TotalNumVgprs: 0
; ScratchSize: 0
; MemoryBound: 0
; FloatMode: 240
; IeeeMode: 1
; LDSByteSize: 0 bytes/workgroup (compile time only)
; SGPRBlocks: 0
; VGPRBlocks: 0
; NumSGPRsForWavesPerEU: 6
; NumVGPRsForWavesPerEU: 1
; AccumOffset: 4
; Occupancy: 8
; WaveLimiterHint : 0
; COMPUTE_PGM_RSRC2:SCRATCH_EN: 0
; COMPUTE_PGM_RSRC2:USER_SGPR: 2
; COMPUTE_PGM_RSRC2:TRAP_HANDLER: 0
; COMPUTE_PGM_RSRC2:TGID_X_EN: 1
; COMPUTE_PGM_RSRC2:TGID_Y_EN: 0
; COMPUTE_PGM_RSRC2:TGID_Z_EN: 0
; COMPUTE_PGM_RSRC2:TIDIG_COMP_CNT: 0
; COMPUTE_PGM_RSRC3_GFX90A:ACCUM_OFFSET: 0
; COMPUTE_PGM_RSRC3_GFX90A:TG_SPLIT: 0
	.section	.text._ZN7rocprim17ROCPRIM_400000_NS6detail17trampoline_kernelINS0_14default_configENS1_27scan_by_key_config_selectorIiiEEZZNS1_16scan_by_key_implILNS1_25lookback_scan_determinismE0ELb0ES3_N6thrust23THRUST_200600_302600_NS6detail15normal_iteratorINS9_10device_ptrIiEEEESE_SE_iNS9_4plusIvEENS9_8equal_toIvEEiEE10hipError_tPvRmT2_T3_T4_T5_mT6_T7_P12ihipStream_tbENKUlT_T0_E_clISt17integral_constantIbLb1EESZ_EEDaSU_SV_EUlSU_E_NS1_11comp_targetILNS1_3genE5ELNS1_11target_archE942ELNS1_3gpuE9ELNS1_3repE0EEENS1_30default_config_static_selectorELNS0_4arch9wavefront6targetE1EEEvT1_,"axG",@progbits,_ZN7rocprim17ROCPRIM_400000_NS6detail17trampoline_kernelINS0_14default_configENS1_27scan_by_key_config_selectorIiiEEZZNS1_16scan_by_key_implILNS1_25lookback_scan_determinismE0ELb0ES3_N6thrust23THRUST_200600_302600_NS6detail15normal_iteratorINS9_10device_ptrIiEEEESE_SE_iNS9_4plusIvEENS9_8equal_toIvEEiEE10hipError_tPvRmT2_T3_T4_T5_mT6_T7_P12ihipStream_tbENKUlT_T0_E_clISt17integral_constantIbLb1EESZ_EEDaSU_SV_EUlSU_E_NS1_11comp_targetILNS1_3genE5ELNS1_11target_archE942ELNS1_3gpuE9ELNS1_3repE0EEENS1_30default_config_static_selectorELNS0_4arch9wavefront6targetE1EEEvT1_,comdat
	.protected	_ZN7rocprim17ROCPRIM_400000_NS6detail17trampoline_kernelINS0_14default_configENS1_27scan_by_key_config_selectorIiiEEZZNS1_16scan_by_key_implILNS1_25lookback_scan_determinismE0ELb0ES3_N6thrust23THRUST_200600_302600_NS6detail15normal_iteratorINS9_10device_ptrIiEEEESE_SE_iNS9_4plusIvEENS9_8equal_toIvEEiEE10hipError_tPvRmT2_T3_T4_T5_mT6_T7_P12ihipStream_tbENKUlT_T0_E_clISt17integral_constantIbLb1EESZ_EEDaSU_SV_EUlSU_E_NS1_11comp_targetILNS1_3genE5ELNS1_11target_archE942ELNS1_3gpuE9ELNS1_3repE0EEENS1_30default_config_static_selectorELNS0_4arch9wavefront6targetE1EEEvT1_ ; -- Begin function _ZN7rocprim17ROCPRIM_400000_NS6detail17trampoline_kernelINS0_14default_configENS1_27scan_by_key_config_selectorIiiEEZZNS1_16scan_by_key_implILNS1_25lookback_scan_determinismE0ELb0ES3_N6thrust23THRUST_200600_302600_NS6detail15normal_iteratorINS9_10device_ptrIiEEEESE_SE_iNS9_4plusIvEENS9_8equal_toIvEEiEE10hipError_tPvRmT2_T3_T4_T5_mT6_T7_P12ihipStream_tbENKUlT_T0_E_clISt17integral_constantIbLb1EESZ_EEDaSU_SV_EUlSU_E_NS1_11comp_targetILNS1_3genE5ELNS1_11target_archE942ELNS1_3gpuE9ELNS1_3repE0EEENS1_30default_config_static_selectorELNS0_4arch9wavefront6targetE1EEEvT1_
	.globl	_ZN7rocprim17ROCPRIM_400000_NS6detail17trampoline_kernelINS0_14default_configENS1_27scan_by_key_config_selectorIiiEEZZNS1_16scan_by_key_implILNS1_25lookback_scan_determinismE0ELb0ES3_N6thrust23THRUST_200600_302600_NS6detail15normal_iteratorINS9_10device_ptrIiEEEESE_SE_iNS9_4plusIvEENS9_8equal_toIvEEiEE10hipError_tPvRmT2_T3_T4_T5_mT6_T7_P12ihipStream_tbENKUlT_T0_E_clISt17integral_constantIbLb1EESZ_EEDaSU_SV_EUlSU_E_NS1_11comp_targetILNS1_3genE5ELNS1_11target_archE942ELNS1_3gpuE9ELNS1_3repE0EEENS1_30default_config_static_selectorELNS0_4arch9wavefront6targetE1EEEvT1_
	.p2align	8
	.type	_ZN7rocprim17ROCPRIM_400000_NS6detail17trampoline_kernelINS0_14default_configENS1_27scan_by_key_config_selectorIiiEEZZNS1_16scan_by_key_implILNS1_25lookback_scan_determinismE0ELb0ES3_N6thrust23THRUST_200600_302600_NS6detail15normal_iteratorINS9_10device_ptrIiEEEESE_SE_iNS9_4plusIvEENS9_8equal_toIvEEiEE10hipError_tPvRmT2_T3_T4_T5_mT6_T7_P12ihipStream_tbENKUlT_T0_E_clISt17integral_constantIbLb1EESZ_EEDaSU_SV_EUlSU_E_NS1_11comp_targetILNS1_3genE5ELNS1_11target_archE942ELNS1_3gpuE9ELNS1_3repE0EEENS1_30default_config_static_selectorELNS0_4arch9wavefront6targetE1EEEvT1_,@function
_ZN7rocprim17ROCPRIM_400000_NS6detail17trampoline_kernelINS0_14default_configENS1_27scan_by_key_config_selectorIiiEEZZNS1_16scan_by_key_implILNS1_25lookback_scan_determinismE0ELb0ES3_N6thrust23THRUST_200600_302600_NS6detail15normal_iteratorINS9_10device_ptrIiEEEESE_SE_iNS9_4plusIvEENS9_8equal_toIvEEiEE10hipError_tPvRmT2_T3_T4_T5_mT6_T7_P12ihipStream_tbENKUlT_T0_E_clISt17integral_constantIbLb1EESZ_EEDaSU_SV_EUlSU_E_NS1_11comp_targetILNS1_3genE5ELNS1_11target_archE942ELNS1_3gpuE9ELNS1_3repE0EEENS1_30default_config_static_selectorELNS0_4arch9wavefront6targetE1EEEvT1_: ; @_ZN7rocprim17ROCPRIM_400000_NS6detail17trampoline_kernelINS0_14default_configENS1_27scan_by_key_config_selectorIiiEEZZNS1_16scan_by_key_implILNS1_25lookback_scan_determinismE0ELb0ES3_N6thrust23THRUST_200600_302600_NS6detail15normal_iteratorINS9_10device_ptrIiEEEESE_SE_iNS9_4plusIvEENS9_8equal_toIvEEiEE10hipError_tPvRmT2_T3_T4_T5_mT6_T7_P12ihipStream_tbENKUlT_T0_E_clISt17integral_constantIbLb1EESZ_EEDaSU_SV_EUlSU_E_NS1_11comp_targetILNS1_3genE5ELNS1_11target_archE942ELNS1_3gpuE9ELNS1_3repE0EEENS1_30default_config_static_selectorELNS0_4arch9wavefront6targetE1EEEvT1_
; %bb.0:
	s_load_dwordx4 s[72:75], s[0:1], 0x28
	s_load_dwordx2 s[76:77], s[0:1], 0x38
	v_cmp_ne_u32_e64 s[4:5], 0, v0
	v_cmp_eq_u32_e64 s[54:55], 0, v0
	s_and_saveexec_b64 s[2:3], s[54:55]
	s_cbranch_execz .LBB135_4
; %bb.1:
	s_mov_b64 s[8:9], exec
	v_mbcnt_lo_u32_b32 v1, s8, 0
	v_mbcnt_hi_u32_b32 v1, s9, v1
	v_cmp_eq_u32_e32 vcc, 0, v1
                                        ; implicit-def: $vgpr2
	s_and_saveexec_b64 s[6:7], vcc
	s_cbranch_execz .LBB135_3
; %bb.2:
	s_load_dwordx2 s[10:11], s[0:1], 0x68
	s_bcnt1_i32_b64 s8, s[8:9]
	v_mov_b32_e32 v2, 0
	v_mov_b32_e32 v3, s8
	s_waitcnt lgkmcnt(0)
	global_atomic_add v2, v2, v3, s[10:11] sc0
.LBB135_3:
	s_or_b64 exec, exec, s[6:7]
	s_waitcnt vmcnt(0)
	v_readfirstlane_b32 s6, v2
	v_mov_b32_e32 v2, 0
	s_nop 0
	v_add_u32_e32 v1, s6, v1
	ds_write_b32 v2, v1
.LBB135_4:
	s_or_b64 exec, exec, s[2:3]
	s_load_dwordx8 s[56:63], s[0:1], 0x0
	s_load_dword s2, s[0:1], 0x40
	s_load_dwordx8 s[64:71], s[0:1], 0x48
	v_mov_b32_e32 v1, 0
	s_waitcnt lgkmcnt(0)
	s_barrier
	ds_read_b32 v1, v1
	s_lshl_b64 s[58:59], s[58:59], 2
	s_add_u32 s3, s56, s58
	s_addc_u32 s6, s57, s59
	s_add_u32 s7, s60, s58
	s_mul_i32 s0, s77, s2
	s_mul_hi_u32 s1, s76, s2
	s_addc_u32 s8, s61, s59
	s_add_i32 s9, s1, s0
	s_waitcnt lgkmcnt(0)
	v_readfirstlane_b32 s75, v1
	s_cmp_lg_u64 s[68:69], 0
	s_mov_b32 s1, 0
	s_mul_i32 s0, s75, 0x1700
	s_cselect_b64 s[78:79], -1, 0
	s_lshl_b64 s[56:57], s[0:1], 2
	s_add_u32 s68, s3, s56
	s_addc_u32 s69, s6, s57
	s_add_u32 s60, s7, s56
	s_mul_i32 s2, s76, s2
	s_addc_u32 s61, s8, s57
	s_add_u32 s80, s2, s75
	s_addc_u32 s81, s9, 0
	s_add_u32 s0, s64, -1
	s_addc_u32 s1, s65, -1
	v_mov_b64_e32 v[2:3], s[0:1]
	v_cmp_ge_u64_e64 s[2:3], s[80:81], v[2:3]
	s_mov_b64 s[10:11], 0
	s_mov_b64 s[6:7], -1
	s_and_b64 vcc, exec, s[2:3]
	s_mul_i32 s33, s0, 0xffffe900
	s_barrier
	s_barrier
	s_cbranch_vccz .LBB135_126
; %bb.5:
	v_mov_b64_e32 v[2:3], s[68:69]
	flat_load_dword v1, v[2:3]
	s_add_i32 s84, s33, s74
	v_cmp_gt_u32_e64 s[6:7], s84, v0
	s_waitcnt vmcnt(0) lgkmcnt(0)
	v_mov_b32_e32 v3, v1
	s_and_saveexec_b64 s[0:1], s[6:7]
	s_cbranch_execz .LBB135_7
; %bb.6:
	v_lshlrev_b32_e32 v2, 2, v0
	v_mov_b32_e32 v3, 0
	v_lshl_add_u64 v[2:3], s[68:69], 0, v[2:3]
	flat_load_dword v3, v[2:3]
.LBB135_7:
	s_or_b64 exec, exec, s[0:1]
	v_or_b32_e32 v2, 0x100, v0
	v_cmp_gt_u32_e64 s[8:9], s84, v2
	v_mov_b32_e32 v4, v1
	s_and_saveexec_b64 s[0:1], s[8:9]
	s_cbranch_execz .LBB135_9
; %bb.8:
	v_lshlrev_b32_e32 v4, 2, v0
	v_mov_b32_e32 v5, 0
	v_lshl_add_u64 v[4:5], s[68:69], 0, v[4:5]
	flat_load_dword v4, v[4:5] offset:1024
.LBB135_9:
	s_or_b64 exec, exec, s[0:1]
	v_or_b32_e32 v2, 0x200, v0
	v_cmp_gt_u32_e64 s[10:11], s84, v2
	v_mov_b32_e32 v5, v1
	s_and_saveexec_b64 s[0:1], s[10:11]
	s_cbranch_execz .LBB135_11
; %bb.10:
	v_lshlrev_b32_e32 v6, 2, v0
	v_mov_b32_e32 v7, 0
	v_lshl_add_u64 v[6:7], s[68:69], 0, v[6:7]
	flat_load_dword v5, v[6:7] offset:2048
.LBB135_11:
	;; [unrolled: 12-line block ×3, first 2 shown]
	s_or_b64 exec, exec, s[0:1]
	v_or_b32_e32 v10, 0x400, v0
	v_cmp_gt_u32_e64 s[14:15], s84, v10
	v_mov_b32_e32 v7, v1
	s_and_saveexec_b64 s[0:1], s[14:15]
	s_cbranch_execz .LBB135_15
; %bb.14:
	v_lshlrev_b32_e32 v8, 2, v10
	v_mov_b32_e32 v9, 0
	v_lshl_add_u64 v[8:9], s[68:69], 0, v[8:9]
	flat_load_dword v7, v[8:9]
.LBB135_15:
	s_or_b64 exec, exec, s[0:1]
	v_or_b32_e32 v11, 0x500, v0
	v_cmp_gt_u32_e64 s[16:17], s84, v11
	v_mov_b32_e32 v8, v1
	s_and_saveexec_b64 s[0:1], s[16:17]
	s_cbranch_execz .LBB135_17
; %bb.16:
	v_lshlrev_b32_e32 v8, 2, v11
	v_mov_b32_e32 v9, 0
	v_lshl_add_u64 v[8:9], s[68:69], 0, v[8:9]
	flat_load_dword v8, v[8:9]
.LBB135_17:
	;; [unrolled: 12-line block ×18, first 2 shown]
	s_or_b64 exec, exec, s[0:1]
	v_or_b32_e32 v28, 0x1600, v0
	v_cmp_gt_u32_e64 s[52:53], s84, v28
	s_and_saveexec_b64 s[0:1], s[52:53]
	s_cbranch_execz .LBB135_51
; %bb.50:
	v_lshlrev_b32_e32 v44, 2, v28
	v_mov_b32_e32 v45, 0
	v_lshl_add_u64 v[44:45], s[68:69], 0, v[44:45]
	flat_load_dword v1, v[44:45]
.LBB135_51:
	s_or_b64 exec, exec, s[0:1]
	v_lshlrev_b32_e32 v2, 2, v0
	s_movk_i32 s0, 0x58
	s_waitcnt vmcnt(0) lgkmcnt(0)
	ds_write2st64_b32 v2, v3, v4 offset1:4
	ds_write2st64_b32 v2, v5, v6 offset0:8 offset1:12
	ds_write2st64_b32 v2, v7, v8 offset0:16 offset1:20
	;; [unrolled: 1-line block ×10, first 2 shown]
	ds_write_b32 v2, v1 offset:22528
	v_mad_u32_u24 v1, v0, s0, v2
	s_waitcnt lgkmcnt(0)
	s_barrier
	ds_read2_b32 v[68:69], v1 offset1:1
	ds_read2_b32 v[66:67], v1 offset0:2 offset1:3
	ds_read2_b32 v[64:65], v1 offset0:4 offset1:5
	;; [unrolled: 1-line block ×10, first 2 shown]
	ds_read_b32 v72, v1 offset:88
	s_cmp_eq_u64 s[80:81], 0
	s_mov_b64 s[0:1], s[68:69]
	s_cbranch_scc1 .LBB135_55
; %bb.52:
	s_andn2_b64 vcc, exec, s[78:79]
	s_cbranch_vccnz .LBB135_271
; %bb.53:
	s_lshl_b64 s[0:1], s[80:81], 2
	s_add_u32 s0, s70, s0
	s_addc_u32 s1, s71, s1
	s_add_u32 s0, s0, -4
	s_addc_u32 s1, s1, -1
	s_cbranch_execnz .LBB135_55
.LBB135_54:
	s_add_u32 s0, s68, -4
	s_addc_u32 s1, s69, -1
.LBB135_55:
	v_mov_b64_e32 v[30:31], s[0:1]
	flat_load_dword v70, v[30:31]
	s_movk_i32 s0, 0xffa8
	v_mad_i32_i24 v3, v0, s0, v1
	s_waitcnt lgkmcnt(0)
	ds_write_b32 v3, v72 offset:23552
	s_waitcnt lgkmcnt(0)
	s_barrier
	s_and_saveexec_b64 s[0:1], s[4:5]
	s_cbranch_execz .LBB135_57
; %bb.56:
	v_mul_i32_i24_e32 v3, 0xffffffa8, v0
	v_add_u32_e32 v3, v1, v3
	s_waitcnt vmcnt(0)
	ds_read_b32 v70, v3 offset:23548
.LBB135_57:
	s_or_b64 exec, exec, s[0:1]
	v_mov_b32_e32 v3, 0
	s_waitcnt lgkmcnt(0)
	s_barrier
	s_waitcnt lgkmcnt(0)
                                        ; implicit-def: $vgpr29
	s_and_saveexec_b64 s[0:1], s[6:7]
	s_cbranch_execnz .LBB135_247
; %bb.58:
	s_or_b64 exec, exec, s[0:1]
                                        ; implicit-def: $vgpr30
	s_and_saveexec_b64 s[0:1], s[8:9]
	s_cbranch_execnz .LBB135_248
.LBB135_59:
	s_or_b64 exec, exec, s[0:1]
                                        ; implicit-def: $vgpr31
	s_and_saveexec_b64 s[0:1], s[10:11]
	s_cbranch_execnz .LBB135_249
.LBB135_60:
	s_or_b64 exec, exec, s[0:1]
                                        ; implicit-def: $vgpr3
	s_and_saveexec_b64 s[0:1], s[12:13]
	s_cbranch_execnz .LBB135_250
.LBB135_61:
	s_or_b64 exec, exec, s[0:1]
                                        ; implicit-def: $vgpr32
	s_and_saveexec_b64 s[0:1], s[14:15]
	s_cbranch_execnz .LBB135_251
.LBB135_62:
	s_or_b64 exec, exec, s[0:1]
                                        ; implicit-def: $vgpr10
	s_and_saveexec_b64 s[0:1], s[16:17]
	s_cbranch_execnz .LBB135_252
.LBB135_63:
	s_or_b64 exec, exec, s[0:1]
                                        ; implicit-def: $vgpr11
	s_and_saveexec_b64 s[0:1], s[18:19]
	s_cbranch_execnz .LBB135_253
.LBB135_64:
	s_or_b64 exec, exec, s[0:1]
                                        ; implicit-def: $vgpr12
	s_and_saveexec_b64 s[0:1], s[20:21]
	s_cbranch_execnz .LBB135_254
.LBB135_65:
	s_or_b64 exec, exec, s[0:1]
                                        ; implicit-def: $vgpr13
	s_and_saveexec_b64 s[0:1], s[22:23]
	s_cbranch_execnz .LBB135_255
.LBB135_66:
	s_or_b64 exec, exec, s[0:1]
                                        ; implicit-def: $vgpr14
	s_and_saveexec_b64 s[0:1], s[24:25]
	s_cbranch_execnz .LBB135_256
.LBB135_67:
	s_or_b64 exec, exec, s[0:1]
                                        ; implicit-def: $vgpr15
	s_and_saveexec_b64 s[0:1], s[26:27]
	s_cbranch_execnz .LBB135_257
.LBB135_68:
	s_or_b64 exec, exec, s[0:1]
                                        ; implicit-def: $vgpr16
	s_and_saveexec_b64 s[0:1], s[28:29]
	s_cbranch_execnz .LBB135_258
.LBB135_69:
	s_or_b64 exec, exec, s[0:1]
                                        ; implicit-def: $vgpr17
	s_and_saveexec_b64 s[0:1], s[30:31]
	s_cbranch_execnz .LBB135_259
.LBB135_70:
	s_or_b64 exec, exec, s[0:1]
                                        ; implicit-def: $vgpr18
	s_and_saveexec_b64 s[0:1], s[34:35]
	s_cbranch_execnz .LBB135_260
.LBB135_71:
	s_or_b64 exec, exec, s[0:1]
                                        ; implicit-def: $vgpr19
	s_and_saveexec_b64 s[0:1], s[36:37]
	s_cbranch_execnz .LBB135_261
.LBB135_72:
	s_or_b64 exec, exec, s[0:1]
                                        ; implicit-def: $vgpr20
	s_and_saveexec_b64 s[0:1], s[38:39]
	s_cbranch_execnz .LBB135_262
.LBB135_73:
	s_or_b64 exec, exec, s[0:1]
                                        ; implicit-def: $vgpr21
	s_and_saveexec_b64 s[0:1], s[40:41]
	s_cbranch_execnz .LBB135_263
.LBB135_74:
	s_or_b64 exec, exec, s[0:1]
                                        ; implicit-def: $vgpr22
	s_and_saveexec_b64 s[0:1], s[42:43]
	s_cbranch_execnz .LBB135_264
.LBB135_75:
	s_or_b64 exec, exec, s[0:1]
                                        ; implicit-def: $vgpr23
	s_and_saveexec_b64 s[0:1], s[44:45]
	s_cbranch_execnz .LBB135_265
.LBB135_76:
	s_or_b64 exec, exec, s[0:1]
                                        ; implicit-def: $vgpr24
	s_and_saveexec_b64 s[0:1], s[46:47]
	s_cbranch_execnz .LBB135_266
.LBB135_77:
	s_or_b64 exec, exec, s[0:1]
                                        ; implicit-def: $vgpr25
	s_and_saveexec_b64 s[0:1], s[48:49]
	s_cbranch_execnz .LBB135_267
.LBB135_78:
	s_or_b64 exec, exec, s[0:1]
                                        ; implicit-def: $vgpr26
	s_and_saveexec_b64 s[0:1], s[50:51]
	s_cbranch_execnz .LBB135_268
.LBB135_79:
	s_or_b64 exec, exec, s[0:1]
                                        ; implicit-def: $vgpr27
	s_and_saveexec_b64 s[0:1], s[52:53]
	s_cbranch_execz .LBB135_81
.LBB135_80:
	v_lshlrev_b32_e32 v34, 2, v28
	v_mov_b32_e32 v35, 0
	v_lshl_add_u64 v[34:35], s[60:61], 0, v[34:35]
	flat_load_dword v27, v[34:35]
.LBB135_81:
	s_or_b64 exec, exec, s[0:1]
	v_mul_u32_u24_e32 v73, 23, v0
	s_waitcnt vmcnt(0) lgkmcnt(0)
	ds_write2st64_b32 v2, v29, v30 offset1:4
	ds_write2st64_b32 v2, v31, v3 offset0:8 offset1:12
	ds_write2st64_b32 v2, v32, v10 offset0:16 offset1:20
	ds_write2st64_b32 v2, v11, v12 offset0:24 offset1:28
	ds_write2st64_b32 v2, v13, v14 offset0:32 offset1:36
	ds_write2st64_b32 v2, v15, v16 offset0:40 offset1:44
	ds_write2st64_b32 v2, v17, v18 offset0:48 offset1:52
	ds_write2st64_b32 v2, v19, v20 offset0:56 offset1:60
	ds_write2st64_b32 v2, v21, v22 offset0:64 offset1:68
	ds_write2st64_b32 v2, v23, v24 offset0:72 offset1:76
	ds_write2st64_b32 v2, v25, v26 offset0:80 offset1:84
	ds_write_b32 v2, v27 offset:22528
	v_mov_b64_e32 v[10:11], 0
	v_cmp_gt_u32_e32 vcc, s84, v73
	s_mov_b64 s[10:11], 0
	s_mov_b64 s[6:7], 0
	v_mov_b64_e32 v[12:13], v[10:11]
	v_mov_b64_e32 v[14:15], v[10:11]
	;; [unrolled: 1-line block ×21, first 2 shown]
	s_waitcnt lgkmcnt(0)
	s_barrier
	s_waitcnt lgkmcnt(0)
                                        ; implicit-def: $sgpr0_sgpr1
                                        ; implicit-def: $vgpr3
	s_and_saveexec_b64 s[8:9], vcc
	s_cbranch_execz .LBB135_125
; %bb.82:
	ds_read_b32 v10, v1
	v_add_u32_e32 v2, 1, v73
	v_cmp_ne_u32_e32 vcc, v70, v68
	v_mov_b64_e32 v[12:13], 0
	s_mov_b64 s[12:13], 0
	v_cndmask_b32_e64 v11, 0, 1, vcc
	v_cmp_gt_u32_e32 vcc, s84, v2
	s_mov_b64 s[0:1], 0
	v_mov_b64_e32 v[14:15], v[12:13]
	v_mov_b64_e32 v[16:17], v[12:13]
	;; [unrolled: 1-line block ×20, first 2 shown]
                                        ; implicit-def: $sgpr14_sgpr15
                                        ; implicit-def: $vgpr3
	s_and_saveexec_b64 s[10:11], vcc
	s_cbranch_execz .LBB135_124
; %bb.83:
	ds_read2_b32 v[70:71], v1 offset0:1 offset1:2
	v_add_u32_e32 v2, 2, v73
	v_cmp_ne_u32_e32 vcc, v68, v69
	v_mov_b64_e32 v[14:15], 0
	s_mov_b64 s[16:17], 0
	v_cndmask_b32_e64 v13, 0, 1, vcc
	v_cmp_gt_u32_e32 vcc, s84, v2
	s_waitcnt lgkmcnt(0)
	v_mov_b32_e32 v12, v70
	v_mov_b64_e32 v[16:17], v[14:15]
	v_mov_b64_e32 v[18:19], v[14:15]
	;; [unrolled: 1-line block ×19, first 2 shown]
                                        ; implicit-def: $sgpr14_sgpr15
                                        ; implicit-def: $vgpr3
	s_and_saveexec_b64 s[12:13], vcc
	s_cbranch_execz .LBB135_123
; %bb.84:
	v_add_u32_e32 v2, 3, v73
	v_cmp_ne_u32_e32 vcc, v69, v66
	v_mov_b64_e32 v[16:17], 0
	v_mov_b32_e32 v14, v71
	v_cndmask_b32_e64 v15, 0, 1, vcc
	v_cmp_gt_u32_e32 vcc, s84, v2
	v_mov_b64_e32 v[18:19], v[16:17]
	v_mov_b64_e32 v[20:21], v[16:17]
	;; [unrolled: 1-line block ×18, first 2 shown]
                                        ; implicit-def: $sgpr18_sgpr19
                                        ; implicit-def: $vgpr3
	s_and_saveexec_b64 s[14:15], vcc
	s_cbranch_execz .LBB135_122
; %bb.85:
	ds_read2_b32 v[68:69], v1 offset0:3 offset1:4
	v_add_u32_e32 v2, 4, v73
	v_cmp_ne_u32_e32 vcc, v66, v67
	v_mov_b64_e32 v[18:19], 0
	s_mov_b64 s[20:21], 0
	v_cndmask_b32_e64 v17, 0, 1, vcc
	v_cmp_gt_u32_e32 vcc, s84, v2
	s_waitcnt lgkmcnt(0)
	v_mov_b32_e32 v16, v68
	v_mov_b64_e32 v[20:21], v[18:19]
	v_mov_b64_e32 v[22:23], v[18:19]
	;; [unrolled: 1-line block ×17, first 2 shown]
                                        ; implicit-def: $sgpr18_sgpr19
                                        ; implicit-def: $vgpr3
	s_and_saveexec_b64 s[16:17], vcc
	s_cbranch_execz .LBB135_121
; %bb.86:
	v_add_u32_e32 v2, 5, v73
	v_cmp_ne_u32_e32 vcc, v67, v64
	v_mov_b64_e32 v[20:21], 0
	v_mov_b32_e32 v18, v69
	v_cndmask_b32_e64 v19, 0, 1, vcc
	v_cmp_gt_u32_e32 vcc, s84, v2
	v_mov_b64_e32 v[22:23], v[20:21]
	v_mov_b64_e32 v[24:25], v[20:21]
	;; [unrolled: 1-line block ×16, first 2 shown]
                                        ; implicit-def: $sgpr22_sgpr23
                                        ; implicit-def: $vgpr3
	s_and_saveexec_b64 s[18:19], vcc
	s_cbranch_execz .LBB135_120
; %bb.87:
	ds_read2_b32 v[66:67], v1 offset0:5 offset1:6
	v_add_u32_e32 v2, 6, v73
	v_cmp_ne_u32_e32 vcc, v64, v65
	v_mov_b64_e32 v[22:23], 0
	s_mov_b64 s[24:25], 0
	v_cndmask_b32_e64 v21, 0, 1, vcc
	v_cmp_gt_u32_e32 vcc, s84, v2
	s_waitcnt lgkmcnt(0)
	v_mov_b32_e32 v20, v66
	v_mov_b64_e32 v[24:25], v[22:23]
	v_mov_b64_e32 v[26:27], v[22:23]
	;; [unrolled: 1-line block ×15, first 2 shown]
                                        ; implicit-def: $sgpr22_sgpr23
                                        ; implicit-def: $vgpr3
	s_and_saveexec_b64 s[20:21], vcc
	s_cbranch_execz .LBB135_119
; %bb.88:
	v_add_u32_e32 v2, 7, v73
	v_cmp_ne_u32_e32 vcc, v65, v62
	v_mov_b64_e32 v[24:25], 0
	v_mov_b32_e32 v22, v67
	v_cndmask_b32_e64 v23, 0, 1, vcc
	v_cmp_gt_u32_e32 vcc, s84, v2
	v_mov_b64_e32 v[26:27], v[24:25]
	v_mov_b64_e32 v[28:29], v[24:25]
	;; [unrolled: 1-line block ×14, first 2 shown]
                                        ; implicit-def: $sgpr26_sgpr27
                                        ; implicit-def: $vgpr3
	s_and_saveexec_b64 s[22:23], vcc
	s_cbranch_execz .LBB135_118
; %bb.89:
	ds_read2_b32 v[64:65], v1 offset0:7 offset1:8
	v_add_u32_e32 v2, 8, v73
	v_cmp_ne_u32_e32 vcc, v62, v63
	v_mov_b64_e32 v[26:27], 0
	s_mov_b64 s[28:29], 0
	v_cndmask_b32_e64 v25, 0, 1, vcc
	v_cmp_gt_u32_e32 vcc, s84, v2
	s_waitcnt lgkmcnt(0)
	v_mov_b32_e32 v24, v64
	v_mov_b64_e32 v[28:29], v[26:27]
	v_mov_b64_e32 v[30:31], v[26:27]
	;; [unrolled: 1-line block ×13, first 2 shown]
                                        ; implicit-def: $sgpr26_sgpr27
                                        ; implicit-def: $vgpr3
	s_and_saveexec_b64 s[24:25], vcc
	s_cbranch_execz .LBB135_117
; %bb.90:
	v_add_u32_e32 v2, 9, v73
	v_cmp_ne_u32_e32 vcc, v63, v60
	v_mov_b64_e32 v[28:29], 0
	v_mov_b32_e32 v26, v65
	v_cndmask_b32_e64 v27, 0, 1, vcc
	v_cmp_gt_u32_e32 vcc, s84, v2
	v_mov_b64_e32 v[30:31], v[28:29]
	v_mov_b64_e32 v[32:33], v[28:29]
	;; [unrolled: 1-line block ×12, first 2 shown]
                                        ; implicit-def: $sgpr30_sgpr31
                                        ; implicit-def: $vgpr3
	s_and_saveexec_b64 s[26:27], vcc
	s_cbranch_execz .LBB135_116
; %bb.91:
	ds_read2_b32 v[62:63], v1 offset0:9 offset1:10
	v_add_u32_e32 v2, 10, v73
	v_cmp_ne_u32_e32 vcc, v60, v61
	v_mov_b64_e32 v[30:31], 0
	s_mov_b64 s[34:35], 0
	v_cndmask_b32_e64 v29, 0, 1, vcc
	v_cmp_gt_u32_e32 vcc, s84, v2
	s_waitcnt lgkmcnt(0)
	v_mov_b32_e32 v28, v62
	v_mov_b64_e32 v[32:33], v[30:31]
	v_mov_b64_e32 v[34:35], v[30:31]
	;; [unrolled: 1-line block ×11, first 2 shown]
                                        ; implicit-def: $sgpr30_sgpr31
                                        ; implicit-def: $vgpr3
	s_and_saveexec_b64 s[28:29], vcc
	s_cbranch_execz .LBB135_115
; %bb.92:
	v_add_u32_e32 v2, 11, v73
	v_cmp_ne_u32_e32 vcc, v61, v58
	v_mov_b64_e32 v[32:33], 0
	v_mov_b32_e32 v30, v63
	v_cndmask_b32_e64 v31, 0, 1, vcc
	v_cmp_gt_u32_e32 vcc, s84, v2
	v_mov_b64_e32 v[34:35], v[32:33]
	v_mov_b64_e32 v[36:37], v[32:33]
	;; [unrolled: 1-line block ×10, first 2 shown]
                                        ; implicit-def: $sgpr36_sgpr37
                                        ; implicit-def: $vgpr3
	s_and_saveexec_b64 s[30:31], vcc
	s_cbranch_execz .LBB135_114
; %bb.93:
	ds_read2_b32 v[60:61], v1 offset0:11 offset1:12
	v_add_u32_e32 v2, 12, v73
	v_cmp_ne_u32_e32 vcc, v58, v59
	v_mov_b64_e32 v[34:35], 0
	s_mov_b64 s[38:39], 0
	v_cndmask_b32_e64 v33, 0, 1, vcc
	v_cmp_gt_u32_e32 vcc, s84, v2
	s_waitcnt lgkmcnt(0)
	v_mov_b32_e32 v32, v60
	v_mov_b64_e32 v[36:37], v[34:35]
	v_mov_b64_e32 v[38:39], v[34:35]
	;; [unrolled: 1-line block ×9, first 2 shown]
                                        ; implicit-def: $sgpr36_sgpr37
                                        ; implicit-def: $vgpr3
	s_and_saveexec_b64 s[34:35], vcc
	s_cbranch_execz .LBB135_113
; %bb.94:
	v_add_u32_e32 v2, 13, v73
	v_cmp_ne_u32_e32 vcc, v59, v56
	v_mov_b64_e32 v[36:37], 0
	v_mov_b32_e32 v34, v61
	v_cndmask_b32_e64 v35, 0, 1, vcc
	v_cmp_gt_u32_e32 vcc, s84, v2
	v_mov_b64_e32 v[38:39], v[36:37]
	v_mov_b64_e32 v[40:41], v[36:37]
	;; [unrolled: 1-line block ×8, first 2 shown]
                                        ; implicit-def: $sgpr40_sgpr41
                                        ; implicit-def: $vgpr3
	s_and_saveexec_b64 s[36:37], vcc
	s_cbranch_execz .LBB135_112
; %bb.95:
	ds_read2_b32 v[58:59], v1 offset0:13 offset1:14
	v_add_u32_e32 v2, 14, v73
	v_cmp_ne_u32_e32 vcc, v56, v57
	v_mov_b64_e32 v[38:39], 0
	s_mov_b64 s[42:43], 0
	v_cndmask_b32_e64 v37, 0, 1, vcc
	v_cmp_gt_u32_e32 vcc, s84, v2
	s_waitcnt lgkmcnt(0)
	v_mov_b32_e32 v36, v58
	v_mov_b64_e32 v[40:41], v[38:39]
	v_mov_b64_e32 v[42:43], v[38:39]
	;; [unrolled: 1-line block ×7, first 2 shown]
                                        ; implicit-def: $sgpr40_sgpr41
                                        ; implicit-def: $vgpr3
	s_and_saveexec_b64 s[38:39], vcc
	s_cbranch_execz .LBB135_111
; %bb.96:
	v_add_u32_e32 v2, 15, v73
	v_cmp_ne_u32_e32 vcc, v57, v54
	v_mov_b64_e32 v[40:41], 0
	v_mov_b32_e32 v38, v59
	v_cndmask_b32_e64 v39, 0, 1, vcc
	v_cmp_gt_u32_e32 vcc, s84, v2
	v_mov_b64_e32 v[42:43], v[40:41]
	v_mov_b64_e32 v[44:45], v[40:41]
	;; [unrolled: 1-line block ×6, first 2 shown]
                                        ; implicit-def: $sgpr44_sgpr45
                                        ; implicit-def: $vgpr3
	s_and_saveexec_b64 s[40:41], vcc
	s_cbranch_execz .LBB135_110
; %bb.97:
	ds_read2_b32 v[56:57], v1 offset0:15 offset1:16
	v_add_u32_e32 v2, 16, v73
	v_cmp_ne_u32_e32 vcc, v54, v55
	v_mov_b64_e32 v[42:43], 0
	s_mov_b64 s[46:47], 0
	v_cndmask_b32_e64 v41, 0, 1, vcc
	v_cmp_gt_u32_e32 vcc, s84, v2
	s_waitcnt lgkmcnt(0)
	v_mov_b32_e32 v40, v56
	v_mov_b64_e32 v[44:45], v[42:43]
	v_mov_b64_e32 v[46:47], v[42:43]
	;; [unrolled: 1-line block ×5, first 2 shown]
                                        ; implicit-def: $sgpr44_sgpr45
                                        ; implicit-def: $vgpr3
	s_and_saveexec_b64 s[42:43], vcc
	s_cbranch_execz .LBB135_109
; %bb.98:
	v_add_u32_e32 v2, 17, v73
	v_cmp_ne_u32_e32 vcc, v55, v8
	v_mov_b64_e32 v[44:45], 0
	v_mov_b32_e32 v42, v57
	v_cndmask_b32_e64 v43, 0, 1, vcc
	v_cmp_gt_u32_e32 vcc, s84, v2
	v_mov_b64_e32 v[46:47], v[44:45]
	v_mov_b64_e32 v[48:49], v[44:45]
	;; [unrolled: 1-line block ×4, first 2 shown]
                                        ; implicit-def: $sgpr48_sgpr49
                                        ; implicit-def: $vgpr3
	s_and_saveexec_b64 s[44:45], vcc
	s_cbranch_execz .LBB135_108
; %bb.99:
	ds_read2_b32 v[54:55], v1 offset0:17 offset1:18
	v_add_u32_e32 v2, 18, v73
	v_cmp_ne_u32_e32 vcc, v8, v9
	v_mov_b64_e32 v[46:47], 0
	s_mov_b64 s[50:51], 0
	v_cndmask_b32_e64 v45, 0, 1, vcc
	v_cmp_gt_u32_e32 vcc, s84, v2
	s_waitcnt lgkmcnt(0)
	v_mov_b32_e32 v44, v54
	v_mov_b64_e32 v[48:49], v[46:47]
	v_mov_b64_e32 v[50:51], v[46:47]
	;; [unrolled: 1-line block ×3, first 2 shown]
                                        ; implicit-def: $sgpr48_sgpr49
                                        ; implicit-def: $vgpr3
	s_and_saveexec_b64 s[46:47], vcc
	s_cbranch_execz .LBB135_107
; %bb.100:
	v_add_u32_e32 v2, 19, v73
	v_cmp_ne_u32_e32 vcc, v9, v6
	v_mov_b64_e32 v[48:49], 0
	v_mov_b32_e32 v46, v55
	v_cndmask_b32_e64 v47, 0, 1, vcc
	v_cmp_gt_u32_e32 vcc, s84, v2
	v_mov_b64_e32 v[50:51], v[48:49]
	v_mov_b64_e32 v[52:53], v[48:49]
                                        ; implicit-def: $sgpr52_sgpr53
                                        ; implicit-def: $vgpr3
	s_and_saveexec_b64 s[48:49], vcc
	s_cbranch_execz .LBB135_106
; %bb.101:
	ds_read2_b32 v[8:9], v1 offset0:19 offset1:20
	v_add_u32_e32 v2, 20, v73
	v_cmp_ne_u32_e32 vcc, v6, v7
	v_mov_b64_e32 v[50:51], 0
	s_mov_b64 s[52:53], 0
	v_cndmask_b32_e64 v49, 0, 1, vcc
	v_cmp_gt_u32_e32 vcc, s84, v2
	s_waitcnt lgkmcnt(0)
	v_mov_b32_e32 v48, v8
	v_mov_b64_e32 v[52:53], v[50:51]
                                        ; implicit-def: $sgpr64_sgpr65
                                        ; implicit-def: $vgpr3
	s_and_saveexec_b64 s[50:51], vcc
	s_cbranch_execz .LBB135_105
; %bb.102:
	v_add_u32_e32 v2, 21, v73
	v_cmp_ne_u32_e32 vcc, v7, v4
	v_mov_b32_e32 v50, v9
	v_mov_b64_e32 v[52:53], 0
	v_cndmask_b32_e64 v51, 0, 1, vcc
	v_cmp_gt_u32_e32 vcc, s84, v2
                                        ; implicit-def: $sgpr64_sgpr65
                                        ; implicit-def: $vgpr3
	s_and_saveexec_b64 s[0:1], vcc
	s_xor_b64 s[82:83], exec, s[0:1]
	s_cbranch_execz .LBB135_104
; %bb.103:
	ds_read2_b32 v[2:3], v1 offset0:21 offset1:22
	v_add_u32_e32 v1, 22, v73
	v_cmp_ne_u32_e64 s[0:1], v4, v5
	v_cmp_ne_u32_e32 vcc, v5, v72
	s_and_b64 s[64:65], vcc, exec
	v_cndmask_b32_e64 v53, 0, 1, s[0:1]
	v_cmp_gt_u32_e64 s[0:1], s84, v1
	s_waitcnt lgkmcnt(0)
	v_mov_b32_e32 v52, v2
	s_and_b64 s[52:53], s[0:1], exec
.LBB135_104:
	s_or_b64 exec, exec, s[82:83]
	s_and_b64 s[64:65], s[64:65], exec
	s_and_b64 s[0:1], s[52:53], exec
.LBB135_105:
	s_or_b64 exec, exec, s[50:51]
	s_and_b64 s[52:53], s[64:65], exec
	s_and_b64 s[50:51], s[0:1], exec
.LBB135_106:
	s_or_b64 exec, exec, s[48:49]
	s_and_b64 s[48:49], s[52:53], exec
	s_and_b64 s[0:1], s[50:51], exec
.LBB135_107:
	s_or_b64 exec, exec, s[46:47]
	s_and_b64 s[48:49], s[48:49], exec
	s_and_b64 s[46:47], s[0:1], exec
.LBB135_108:
	s_or_b64 exec, exec, s[44:45]
	s_and_b64 s[44:45], s[48:49], exec
	s_and_b64 s[0:1], s[46:47], exec
.LBB135_109:
	s_or_b64 exec, exec, s[42:43]
	s_and_b64 s[44:45], s[44:45], exec
	s_and_b64 s[42:43], s[0:1], exec
.LBB135_110:
	s_or_b64 exec, exec, s[40:41]
	s_and_b64 s[40:41], s[44:45], exec
	s_and_b64 s[0:1], s[42:43], exec
.LBB135_111:
	s_or_b64 exec, exec, s[38:39]
	s_and_b64 s[40:41], s[40:41], exec
	s_and_b64 s[38:39], s[0:1], exec
.LBB135_112:
	s_or_b64 exec, exec, s[36:37]
	s_and_b64 s[36:37], s[40:41], exec
	s_and_b64 s[0:1], s[38:39], exec
.LBB135_113:
	s_or_b64 exec, exec, s[34:35]
	s_and_b64 s[36:37], s[36:37], exec
	s_and_b64 s[34:35], s[0:1], exec
.LBB135_114:
	s_or_b64 exec, exec, s[30:31]
	s_and_b64 s[30:31], s[36:37], exec
	s_and_b64 s[0:1], s[34:35], exec
.LBB135_115:
	s_or_b64 exec, exec, s[28:29]
	s_and_b64 s[30:31], s[30:31], exec
	s_and_b64 s[28:29], s[0:1], exec
.LBB135_116:
	s_or_b64 exec, exec, s[26:27]
	s_and_b64 s[26:27], s[30:31], exec
	s_and_b64 s[0:1], s[28:29], exec
.LBB135_117:
	s_or_b64 exec, exec, s[24:25]
	s_and_b64 s[26:27], s[26:27], exec
	s_and_b64 s[24:25], s[0:1], exec
.LBB135_118:
	s_or_b64 exec, exec, s[22:23]
	s_and_b64 s[22:23], s[26:27], exec
	s_and_b64 s[0:1], s[24:25], exec
.LBB135_119:
	s_or_b64 exec, exec, s[20:21]
	s_and_b64 s[22:23], s[22:23], exec
	s_and_b64 s[20:21], s[0:1], exec
.LBB135_120:
	s_or_b64 exec, exec, s[18:19]
	s_and_b64 s[18:19], s[22:23], exec
	s_and_b64 s[0:1], s[20:21], exec
.LBB135_121:
	s_or_b64 exec, exec, s[16:17]
	s_and_b64 s[18:19], s[18:19], exec
	s_and_b64 s[16:17], s[0:1], exec
.LBB135_122:
	s_or_b64 exec, exec, s[14:15]
	s_and_b64 s[14:15], s[18:19], exec
	s_and_b64 s[0:1], s[16:17], exec
.LBB135_123:
	s_or_b64 exec, exec, s[12:13]
	s_and_b64 s[14:15], s[14:15], exec
	s_and_b64 s[12:13], s[0:1], exec
.LBB135_124:
	s_or_b64 exec, exec, s[10:11]
	s_and_b64 s[0:1], s[14:15], exec
	s_and_b64 s[10:11], s[12:13], exec
.LBB135_125:
	s_or_b64 exec, exec, s[8:9]
	s_mov_b64 s[8:9], 0
	s_and_b64 vcc, exec, s[6:7]
	v_lshlrev_b32_e32 v54, 2, v0
	s_cbranch_vccnz .LBB135_127
	s_branch .LBB135_135
.LBB135_126:
                                        ; implicit-def: $sgpr0_sgpr1
                                        ; implicit-def: $vgpr3
                                        ; implicit-def: $vgpr10_vgpr11
                                        ; implicit-def: $vgpr12_vgpr13
                                        ; implicit-def: $vgpr14_vgpr15
                                        ; implicit-def: $vgpr16_vgpr17
                                        ; implicit-def: $vgpr18_vgpr19
                                        ; implicit-def: $vgpr20_vgpr21
                                        ; implicit-def: $vgpr22_vgpr23
                                        ; implicit-def: $vgpr24_vgpr25
                                        ; implicit-def: $vgpr26_vgpr27
                                        ; implicit-def: $vgpr28_vgpr29
                                        ; implicit-def: $vgpr30_vgpr31
                                        ; implicit-def: $vgpr32_vgpr33
                                        ; implicit-def: $vgpr34_vgpr35
                                        ; implicit-def: $vgpr36_vgpr37
                                        ; implicit-def: $vgpr38_vgpr39
                                        ; implicit-def: $vgpr40_vgpr41
                                        ; implicit-def: $vgpr42_vgpr43
                                        ; implicit-def: $vgpr44_vgpr45
                                        ; implicit-def: $vgpr46_vgpr47
                                        ; implicit-def: $vgpr48_vgpr49
                                        ; implicit-def: $vgpr50_vgpr51
                                        ; implicit-def: $vgpr52_vgpr53
                                        ; implicit-def: $sgpr8_sgpr9
	s_and_b64 vcc, exec, s[6:7]
	v_lshlrev_b32_e32 v54, 2, v0
	s_cbranch_vccz .LBB135_135
.LBB135_127:
	v_mov_b32_e32 v55, 0
	v_lshl_add_u64 v[2:3], s[68:69], 0, v[54:55]
	v_add_co_u32_e32 v4, vcc, 0x1000, v2
	s_movk_i32 s0, 0x58
	s_nop 0
	v_addc_co_u32_e32 v5, vcc, 0, v3, vcc
	flat_load_dword v8, v[2:3]
	flat_load_dword v9, v[2:3] offset:1024
	s_waitcnt lgkmcnt(0)
	flat_load_dword v10, v[2:3] offset:2048
	flat_load_dword v11, v[2:3] offset:3072
	flat_load_dword v12, v[4:5]
	flat_load_dword v13, v[4:5] offset:1024
	flat_load_dword v14, v[4:5] offset:2048
	;; [unrolled: 1-line block ×3, first 2 shown]
	v_add_co_u32_e32 v4, vcc, 0x2000, v2
	v_mad_u32_u24 v1, v0, s0, v54
	s_nop 0
	v_addc_co_u32_e32 v5, vcc, 0, v3, vcc
	v_add_co_u32_e32 v6, vcc, 0x3000, v2
	s_cmp_eq_u64 s[80:81], 0
	s_nop 0
	v_addc_co_u32_e32 v7, vcc, 0, v3, vcc
	flat_load_dword v16, v[4:5]
	flat_load_dword v17, v[4:5] offset:1024
	flat_load_dword v18, v[4:5] offset:2048
	;; [unrolled: 1-line block ×3, first 2 shown]
	flat_load_dword v20, v[6:7]
	flat_load_dword v21, v[6:7] offset:1024
	flat_load_dword v22, v[6:7] offset:2048
	;; [unrolled: 1-line block ×3, first 2 shown]
	v_add_co_u32_e32 v4, vcc, 0x4000, v2
	s_nop 1
	v_addc_co_u32_e32 v5, vcc, 0, v3, vcc
	v_add_co_u32_e32 v2, vcc, 0x5000, v2
	s_nop 1
	v_addc_co_u32_e32 v3, vcc, 0, v3, vcc
	flat_load_dword v6, v[4:5]
	flat_load_dword v7, v[4:5] offset:1024
	flat_load_dword v24, v[4:5] offset:2048
	;; [unrolled: 1-line block ×3, first 2 shown]
	flat_load_dword v26, v[2:3]
	flat_load_dword v27, v[2:3] offset:1024
	flat_load_dword v28, v[2:3] offset:2048
	s_waitcnt vmcnt(0)
	ds_write2st64_b32 v54, v8, v9 offset1:4
	s_waitcnt lgkmcnt(0)
	ds_write2st64_b32 v54, v10, v11 offset0:8 offset1:12
	ds_write2st64_b32 v54, v12, v13 offset0:16 offset1:20
	;; [unrolled: 1-line block ×10, first 2 shown]
	ds_write_b32 v54, v28 offset:22528
	s_waitcnt lgkmcnt(0)
	s_barrier
	ds_read2_b32 v[2:3], v1 offset1:1
	ds_read2_b32 v[18:19], v1 offset0:2 offset1:3
	ds_read2_b32 v[22:23], v1 offset0:4 offset1:5
	;; [unrolled: 1-line block ×10, first 2 shown]
	ds_read_b32 v10, v1 offset:88
	s_cbranch_scc1 .LBB135_132
; %bb.128:
	s_andn2_b64 vcc, exec, s[78:79]
	s_cbranch_vccnz .LBB135_272
; %bb.129:
	s_lshl_b64 s[0:1], s[80:81], 2
	s_add_u32 s0, s70, s0
	s_addc_u32 s1, s71, s1
	s_add_u32 s0, s0, -4
	s_addc_u32 s1, s1, -1
	s_cbranch_execnz .LBB135_131
.LBB135_130:
	s_add_u32 s0, s68, -4
	s_addc_u32 s1, s69, -1
.LBB135_131:
	s_mov_b64 s[68:69], s[0:1]
.LBB135_132:
	v_mov_b64_e32 v[12:13], s[68:69]
	flat_load_dword v11, v[12:13]
	s_movk_i32 s0, 0xffa8
	v_mad_i32_i24 v12, v0, s0, v1
	s_waitcnt lgkmcnt(0)
	ds_write_b32 v12, v10 offset:23552
	s_waitcnt lgkmcnt(0)
	s_barrier
	s_and_saveexec_b64 s[0:1], s[4:5]
	s_cbranch_execz .LBB135_134
; %bb.133:
	s_waitcnt vmcnt(0)
	v_mul_i32_i24_e32 v11, 0xffffffa8, v0
	v_add_u32_e32 v11, v1, v11
	ds_read_b32 v11, v11 offset:23548
.LBB135_134:
	s_or_b64 exec, exec, s[0:1]
	v_mov_b32_e32 v55, 0
	v_lshl_add_u64 v[12:13], s[60:61], 0, v[54:55]
	s_movk_i32 s0, 0x1000
	v_add_co_u32_e32 v14, vcc, s0, v12
	s_movk_i32 s0, 0x2000
	s_nop 0
	v_addc_co_u32_e32 v15, vcc, 0, v13, vcc
	s_waitcnt lgkmcnt(0)
	s_barrier
	flat_load_dword v20, v[12:13]
	flat_load_dword v21, v[12:13] offset:1024
	flat_load_dword v24, v[12:13] offset:2048
	;; [unrolled: 1-line block ×3, first 2 shown]
	flat_load_dword v28, v[14:15]
	flat_load_dword v29, v[14:15] offset:1024
	flat_load_dword v32, v[14:15] offset:2048
	;; [unrolled: 1-line block ×3, first 2 shown]
	v_add_co_u32_e32 v14, vcc, s0, v12
	s_movk_i32 s0, 0x3000
	s_nop 0
	v_addc_co_u32_e32 v15, vcc, 0, v13, vcc
	v_add_co_u32_e32 v16, vcc, s0, v12
	s_movk_i32 s0, 0x4000
	s_nop 0
	v_addc_co_u32_e32 v17, vcc, 0, v13, vcc
	flat_load_dword v36, v[14:15]
	flat_load_dword v37, v[14:15] offset:1024
	flat_load_dword v40, v[14:15] offset:2048
	;; [unrolled: 1-line block ×3, first 2 shown]
	flat_load_dword v44, v[16:17]
	flat_load_dword v45, v[16:17] offset:1024
	flat_load_dword v46, v[16:17] offset:2048
	;; [unrolled: 1-line block ×3, first 2 shown]
	v_add_co_u32_e32 v14, vcc, s0, v12
	s_movk_i32 s0, 0x5000
	s_nop 0
	v_addc_co_u32_e32 v15, vcc, 0, v13, vcc
	v_add_co_u32_e32 v12, vcc, s0, v12
	v_cmp_ne_u32_e64 s[0:1], v5, v10
	s_nop 0
	v_addc_co_u32_e32 v13, vcc, 0, v13, vcc
	flat_load_dword v16, v[14:15]
	flat_load_dword v17, v[14:15] offset:1024
	flat_load_dword v48, v[14:15] offset:2048
	flat_load_dword v49, v[14:15] offset:3072
	flat_load_dword v50, v[12:13]
	flat_load_dword v51, v[12:13] offset:1024
	flat_load_dword v52, v[12:13] offset:2048
	s_waitcnt vmcnt(0)
	v_cmp_ne_u32_e32 vcc, v11, v2
	s_mov_b64 s[10:11], -1
                                        ; implicit-def: $sgpr8_sgpr9
	s_waitcnt lgkmcnt(0)
	ds_write2st64_b32 v54, v20, v21 offset1:4
	ds_write2st64_b32 v54, v24, v25 offset0:8 offset1:12
	ds_write2st64_b32 v54, v28, v29 offset0:16 offset1:20
	;; [unrolled: 1-line block ×10, first 2 shown]
	ds_write_b32 v54, v52 offset:22528
	v_cndmask_b32_e64 v11, 0, 1, vcc
	v_cmp_ne_u32_e32 vcc, v2, v3
	s_waitcnt lgkmcnt(0)
	s_barrier
	v_cndmask_b32_e64 v13, 0, 1, vcc
	v_cmp_ne_u32_e32 vcc, v3, v18
	ds_read2_b32 v[16:17], v1 offset1:1
	ds_read2_b32 v[20:21], v1 offset0:2 offset1:3
	ds_read2_b32 v[24:25], v1 offset0:4 offset1:5
	;; [unrolled: 1-line block ×10, first 2 shown]
	ds_read_b32 v3, v1 offset:88
	v_cndmask_b32_e64 v15, 0, 1, vcc
	v_cmp_ne_u32_e32 vcc, v18, v19
	s_waitcnt lgkmcnt(11)
	v_mov_b32_e32 v12, v17
	v_mov_b32_e32 v10, v16
	v_cndmask_b32_e64 v17, 0, 1, vcc
	v_cmp_ne_u32_e32 vcc, v19, v22
	s_waitcnt lgkmcnt(10)
	v_mov_b32_e32 v16, v21
	v_mov_b32_e32 v14, v20
	;; [unrolled: 5-line block ×5, first 2 shown]
	v_cndmask_b32_e64 v25, 0, 1, vcc
	v_cmp_ne_u32_e32 vcc, v27, v30
	s_waitcnt lgkmcnt(6)
	v_mov_b32_e32 v32, v37
	s_waitcnt lgkmcnt(2)
	v_mov_b32_e32 v48, v51
	v_cndmask_b32_e64 v27, 0, 1, vcc
	v_cmp_ne_u32_e32 vcc, v30, v31
	v_mov_b32_e32 v30, v36
	v_mov_b32_e32 v36, v41
	v_cndmask_b32_e64 v29, 0, 1, vcc
	v_cmp_ne_u32_e32 vcc, v31, v34
	s_waitcnt lgkmcnt(1)
	v_mov_b32_e32 v52, v57
	v_cndmask_b32_e64 v31, 0, 1, vcc
	v_cmp_ne_u32_e32 vcc, v34, v35
	v_mov_b32_e32 v34, v40
	v_mov_b32_e32 v40, v45
	v_cndmask_b32_e64 v33, 0, 1, vcc
	v_cmp_ne_u32_e32 vcc, v35, v38
	s_nop 1
	v_cndmask_b32_e64 v35, 0, 1, vcc
	v_cmp_ne_u32_e32 vcc, v38, v39
	v_mov_b32_e32 v38, v44
	v_mov_b32_e32 v44, v47
	v_cndmask_b32_e64 v37, 0, 1, vcc
	v_cmp_ne_u32_e32 vcc, v39, v42
	s_nop 1
	v_cndmask_b32_e64 v39, 0, 1, vcc
	v_cmp_ne_u32_e32 vcc, v42, v43
	v_mov_b32_e32 v42, v46
	v_mov_b32_e32 v46, v50
	v_cndmask_b32_e64 v41, 0, 1, vcc
	v_cmp_ne_u32_e32 vcc, v43, v8
	v_mov_b32_e32 v50, v56
	s_nop 0
	v_cndmask_b32_e64 v43, 0, 1, vcc
	v_cmp_ne_u32_e32 vcc, v8, v9
	s_nop 1
	v_cndmask_b32_e64 v45, 0, 1, vcc
	v_cmp_ne_u32_e32 vcc, v9, v6
	;; [unrolled: 3-line block ×5, first 2 shown]
	s_nop 1
	v_cndmask_b32_e64 v53, 0, 1, vcc
.LBB135_135:
	v_mov_b64_e32 v[56:57], s[8:9]
	s_and_saveexec_b64 s[6:7], s[10:11]
	s_cbranch_execz .LBB135_137
; %bb.136:
	v_cndmask_b32_e64 v57, 0, 1, s[0:1]
	s_waitcnt lgkmcnt(0)
	v_mov_b32_e32 v56, v3
.LBB135_137:
	s_or_b64 exec, exec, s[6:7]
	s_mov_b32 s0, 0
	s_cmp_lg_u32 s75, 0
	v_or_b32_e32 v55, v57, v53
	v_lshrrev_b32_e32 v1, 5, v0
	v_cmp_gt_u32_e32 vcc, 64, v0
	s_waitcnt lgkmcnt(0)
	s_barrier
	s_cbranch_scc0 .LBB135_176
; %bb.138:
	s_mov_b32 s1, 1
	v_cmp_gt_u64_e64 s[6:7], s[0:1], v[12:13]
	v_cmp_gt_u64_e64 s[8:9], s[0:1], v[14:15]
	v_cmp_gt_u64_e64 s[10:11], s[0:1], v[16:17]
	v_cndmask_b32_e64 v2, 0, v10, s[6:7]
	v_add_u32_e32 v2, v2, v12
	v_cndmask_b32_e64 v2, 0, v2, s[8:9]
	v_add_u32_e32 v2, v2, v14
	v_cndmask_b32_e64 v2, 0, v2, s[10:11]
	v_add_u32_e32 v2, v2, v16
	v_cmp_gt_u64_e64 s[12:13], s[0:1], v[18:19]
	v_cmp_gt_u64_e64 s[14:15], s[0:1], v[20:21]
	v_cmp_gt_u64_e64 s[16:17], s[0:1], v[22:23]
	v_cndmask_b32_e64 v2, 0, v2, s[12:13]
	v_add_u32_e32 v2, v2, v18
	v_cndmask_b32_e64 v2, 0, v2, s[14:15]
	v_add_u32_e32 v2, v2, v20
	v_cndmask_b32_e64 v2, 0, v2, s[16:17]
	v_add_u32_e32 v2, v2, v22
	;; [unrolled: 9-line block ×7, first 2 shown]
	v_cmp_gt_u64_e64 s[50:51], s[0:1], v[56:57]
	s_nop 1
	v_cndmask_b32_e64 v2, 0, v2, s[50:51]
	v_add_u32_e32 v62, v2, v56
	v_or3_b32 v2, v55, v51, v49
	v_or3_b32 v2, v2, v47, v45
	;; [unrolled: 1-line block ×10, first 2 shown]
	v_and_b32_e32 v2, 1, v2
	v_cmp_eq_u32_e64 s[0:1], 1, v2
	v_add_lshl_u32 v2, v1, v0, 3
	s_nop 0
	v_cndmask_b32_e64 v63, v11, 1, s[0:1]
	ds_write_b32 v2, v62
	ds_write_b8 v2, v63 offset:4
	s_waitcnt lgkmcnt(0)
	s_barrier
	s_and_saveexec_b64 s[52:53], vcc
	s_cbranch_execz .LBB135_150
; %bb.139:
	v_lshrrev_b32_e32 v2, 3, v0
	v_add_lshl_u32 v4, v2, v54, 3
	ds_read2_b32 v[6:7], v4 offset0:2 offset1:4
	ds_read_b64 v[2:3], v4
	ds_read_u8 v8, v4 offset:12
	ds_read_u8 v9, v4 offset:20
	ds_read_b32 v58, v4 offset:24
	ds_read_u8 v59, v4 offset:28
	v_mov_b32_e32 v60, 0
	s_waitcnt lgkmcnt(3)
	v_cmp_eq_u16_sdwa s[0:1], v8, v60 src0_sel:BYTE_0 src1_sel:DWORD
	v_and_b32_e32 v5, 1, v3
	s_nop 0
	v_cndmask_b32_e64 v61, 0, v2, s[0:1]
	v_add_u32_e32 v6, v61, v6
	s_waitcnt lgkmcnt(2)
	v_cmp_eq_u16_sdwa s[0:1], v9, v60 src0_sel:BYTE_0 src1_sel:DWORD
	s_nop 1
	v_cndmask_b32_e64 v6, 0, v6, s[0:1]
	v_add_u32_e32 v6, v6, v7
	s_waitcnt lgkmcnt(0)
	v_cmp_eq_u16_e64 s[0:1], 0, v59
	s_nop 1
	v_cndmask_b32_e64 v6, 0, v6, s[0:1]
	v_add_u32_e32 v7, v6, v58
	v_or_b32_e32 v6, v59, v9
	v_or_b32_e32 v6, v6, v8
	v_and_b32_e32 v6, 1, v6
	v_cmp_eq_u32_e64 s[0:1], 1, v6
	v_mbcnt_lo_u32_b32 v8, -1, 0
	v_and_b32_e32 v6, 0xffffff00, v3
	v_cndmask_b32_e64 v9, v5, 1, s[0:1]
	v_mbcnt_hi_u32_b32 v8, -1, v8
	v_and_b32_e32 v59, 15, v8
	v_or_b32_sdwa v58, v6, v9 dst_sel:DWORD dst_unused:UNUSED_PAD src0_sel:DWORD src1_sel:WORD_0
	v_mov_b32_dpp v60, v7 row_shr:1 row_mask:0xf bank_mask:0xf
	v_cmp_ne_u32_e64 s[0:1], 0, v59
	v_mov_b32_dpp v61, v58 row_shr:1 row_mask:0xf bank_mask:0xf
	s_and_saveexec_b64 s[60:61], s[0:1]
; %bb.140:
	v_and_b32_e32 v58, 1, v9
	v_and_b32_e32 v61, 1, v61
	v_cmp_eq_u32_e64 s[0:1], 1, v58
	s_nop 1
	v_cndmask_b32_e64 v61, v61, 1, s[0:1]
	v_cmp_eq_u16_e64 s[0:1], 0, v9
	v_or_b32_sdwa v58, v6, v61 dst_sel:DWORD dst_unused:UNUSED_PAD src0_sel:DWORD src1_sel:WORD_0
	s_nop 0
	v_cndmask_b32_e64 v9, 0, v60, s[0:1]
	v_add_u32_e32 v7, v9, v7
	v_mov_b32_e32 v9, v61
; %bb.141:
	s_or_b64 exec, exec, s[60:61]
	v_mov_b32_dpp v60, v7 row_shr:2 row_mask:0xf bank_mask:0xf
	v_mov_b32_dpp v61, v58 row_shr:2 row_mask:0xf bank_mask:0xf
	v_cmp_lt_u32_e64 s[0:1], 1, v59
	s_and_saveexec_b64 s[60:61], s[0:1]
; %bb.142:
	v_and_b32_e32 v58, 1, v9
	v_and_b32_e32 v61, 1, v61
	v_cmp_eq_u32_e64 s[0:1], 1, v58
	s_nop 1
	v_cndmask_b32_e64 v61, v61, 1, s[0:1]
	v_cmp_eq_u16_e64 s[0:1], 0, v9
	v_or_b32_sdwa v58, v6, v61 dst_sel:DWORD dst_unused:UNUSED_PAD src0_sel:DWORD src1_sel:WORD_0
	s_nop 0
	v_cndmask_b32_e64 v9, 0, v60, s[0:1]
	v_add_u32_e32 v7, v9, v7
	v_mov_b32_e32 v9, v61
; %bb.143:
	s_or_b64 exec, exec, s[60:61]
	v_mov_b32_dpp v60, v7 row_shr:4 row_mask:0xf bank_mask:0xf
	v_mov_b32_dpp v61, v58 row_shr:4 row_mask:0xf bank_mask:0xf
	v_cmp_lt_u32_e64 s[0:1], 3, v59
	s_and_saveexec_b64 s[60:61], s[0:1]
; %bb.144:
	v_and_b32_e32 v58, 1, v9
	v_and_b32_e32 v61, 1, v61
	v_cmp_eq_u32_e64 s[0:1], 1, v58
	s_nop 1
	v_cndmask_b32_e64 v61, v61, 1, s[0:1]
	v_cmp_eq_u16_e64 s[0:1], 0, v9
	v_or_b32_sdwa v58, v6, v61 dst_sel:DWORD dst_unused:UNUSED_PAD src0_sel:DWORD src1_sel:WORD_0
	s_nop 0
	v_cndmask_b32_e64 v9, 0, v60, s[0:1]
	v_add_u32_e32 v7, v9, v7
	v_mov_b32_e32 v9, v61
; %bb.145:
	s_or_b64 exec, exec, s[60:61]
	v_mov_b32_dpp v60, v7 row_shr:8 row_mask:0xf bank_mask:0xf
	v_mov_b32_dpp v61, v58 row_shr:8 row_mask:0xf bank_mask:0xf
	v_cmp_lt_u32_e64 s[0:1], 7, v59
	s_and_saveexec_b64 s[60:61], s[0:1]
; %bb.146:
	v_and_b32_e32 v58, 1, v9
	v_and_b32_e32 v59, 1, v61
	v_cmp_eq_u32_e64 s[0:1], 1, v58
	s_nop 1
	v_cndmask_b32_e64 v59, v59, 1, s[0:1]
	v_cmp_eq_u16_e64 s[0:1], 0, v9
	v_or_b32_sdwa v58, v6, v59 dst_sel:DWORD dst_unused:UNUSED_PAD src0_sel:DWORD src1_sel:WORD_0
	s_nop 0
	v_cndmask_b32_e64 v9, 0, v60, s[0:1]
	v_add_u32_e32 v7, v9, v7
	v_mov_b32_e32 v9, v59
; %bb.147:
	s_or_b64 exec, exec, s[60:61]
	v_and_b32_e32 v61, 16, v8
	v_mov_b32_dpp v59, v7 row_bcast:15 row_mask:0xf bank_mask:0xf
	v_mov_b32_dpp v60, v58 row_bcast:15 row_mask:0xf bank_mask:0xf
	v_cmp_ne_u32_e64 s[0:1], 0, v61
	s_and_saveexec_b64 s[60:61], s[0:1]
; %bb.148:
	v_and_b32_e32 v58, 1, v9
	v_and_b32_e32 v60, 1, v60
	v_cmp_eq_u32_e64 s[0:1], 1, v58
	s_nop 1
	v_cndmask_b32_e64 v60, v60, 1, s[0:1]
	v_cmp_eq_u16_e64 s[0:1], 0, v9
	v_or_b32_sdwa v58, v6, v60 dst_sel:DWORD dst_unused:UNUSED_PAD src0_sel:DWORD src1_sel:WORD_0
	s_nop 0
	v_cndmask_b32_e64 v9, 0, v59, s[0:1]
	v_add_u32_e32 v7, v9, v7
	v_mov_b32_e32 v9, v60
; %bb.149:
	s_or_b64 exec, exec, s[60:61]
	v_mov_b32_dpp v58, v58 row_bcast:31 row_mask:0xf bank_mask:0xf
	v_and_b32_e32 v60, 1, v9
	v_and_b32_e32 v58, 1, v58
	v_cmp_eq_u32_e64 s[0:1], 1, v60
	v_mov_b32_e32 v60, 0
	v_cmp_eq_u16_sdwa s[60:61], v9, v60 src0_sel:BYTE_0 src1_sel:DWORD
	v_cndmask_b32_e64 v58, v58, 1, s[0:1]
	v_cmp_lt_u32_e64 s[0:1], 31, v8
	v_mov_b32_dpp v59, v7 row_bcast:31 row_mask:0xf bank_mask:0xf
	s_movk_i32 s64, 0xff
	v_cndmask_b32_e64 v9, v9, v58, s[0:1]
	s_and_b64 s[0:1], s[0:1], s[60:61]
	v_cndmask_b32_e64 v58, 0, v59, s[0:1]
	v_add_u32_e32 v7, v58, v7
	v_add_u32_e32 v58, -1, v8
	v_and_b32_e32 v59, 64, v8
	v_cmp_lt_i32_e64 s[0:1], v58, v59
	v_and_or_b32 v6, v9, s64, v6
	s_nop 0
	v_cndmask_b32_e64 v8, v58, v8, s[0:1]
	v_lshlrev_b32_e32 v8, 2, v8
	ds_bpermute_b32 v7, v8, v7
	ds_bpermute_b32 v6, v8, v6
	v_cmp_eq_u16_sdwa s[0:1], v3, v60 src0_sel:BYTE_0 src1_sel:DWORD
	; wave barrier
	s_waitcnt lgkmcnt(1)
	s_nop 0
	v_cndmask_b32_e64 v3, 0, v7, s[0:1]
	v_add_u32_e32 v2, v3, v2
	s_waitcnt lgkmcnt(0)
	v_and_b32_e32 v3, 1, v6
	v_cmp_eq_u32_e64 s[0:1], 1, v5
	v_cndmask_b32_e64 v5, v2, v62, s[54:55]
	s_nop 0
	v_cndmask_b32_e64 v3, v3, 1, s[0:1]
	v_cndmask_b32_e64 v6, v3, v63, s[54:55]
	ds_write_b32 v4, v5
	ds_write_b8 v4, v6 offset:4
	; wave barrier
	ds_read_u8 v7, v4 offset:12
	ds_read2_b32 v[2:3], v4 offset0:2 offset1:4
	ds_read_u8 v8, v4 offset:20
	ds_read_b32 v9, v4 offset:24
	ds_read_u8 v58, v4 offset:28
	s_waitcnt lgkmcnt(4)
	v_cmp_eq_u16_e64 s[0:1], 0, v7
	s_nop 1
	v_cndmask_b32_e64 v5, 0, v5, s[0:1]
	s_waitcnt lgkmcnt(3)
	v_add_u32_e32 v2, v5, v2
	v_and_b32_e32 v5, 1, v7
	v_cmp_eq_u32_e64 s[0:1], 1, v5
	s_nop 1
	v_cndmask_b32_e64 v5, v6, 1, s[0:1]
	s_waitcnt lgkmcnt(2)
	v_cmp_eq_u16_e64 s[0:1], 0, v8
	ds_write_b8 v4, v5 offset:12
	s_nop 0
	v_cndmask_b32_e64 v6, 0, v2, s[0:1]
	v_add_u32_e32 v3, v6, v3
	v_and_b32_e32 v6, 1, v8
	v_cmp_eq_u32_e64 s[0:1], 1, v6
	s_nop 1
	v_cndmask_b32_e64 v5, v5, 1, s[0:1]
	s_waitcnt lgkmcnt(1)
	v_cmp_eq_u16_e64 s[0:1], 0, v58
	ds_write2_b32 v4, v2, v3 offset0:2 offset1:4
	ds_write_b8 v4, v5 offset:20
	v_cndmask_b32_e64 v2, 0, v3, s[0:1]
	v_and_b32_e32 v3, 1, v58
	v_add_u32_e32 v2, v2, v9
	v_cmp_eq_u32_e64 s[0:1], 1, v3
	s_nop 1
	v_cndmask_b32_e64 v3, v5, 1, s[0:1]
	ds_write_b32 v4, v2 offset:24
	ds_write_b8 v4, v3 offset:28
.LBB135_150:
	s_or_b64 exec, exec, s[52:53]
	s_waitcnt lgkmcnt(0)
	s_barrier
	s_and_saveexec_b64 s[0:1], s[4:5]
	s_cbranch_execz .LBB135_152
; %bb.151:
	v_add_u32_e32 v2, -1, v0
	v_lshrrev_b32_e32 v3, 5, v2
	v_add_lshl_u32 v2, v3, v2, 3
	ds_read_b32 v62, v2
	ds_read_u8 v63, v2 offset:4
.LBB135_152:
	s_or_b64 exec, exec, s[0:1]
	s_and_saveexec_b64 s[60:61], vcc
	s_cbranch_execz .LBB135_175
; %bb.153:
	v_mov_b32_e32 v5, 0
	ds_read_b64 v[2:3], v5 offset:2096
	v_mbcnt_lo_u32_b32 v4, -1, 0
	v_mbcnt_hi_u32_b32 v73, -1, v4
	s_mov_b32 s65, 0
	v_cmp_eq_u32_e64 s[52:53], 0, v73
	s_waitcnt lgkmcnt(0)
	v_readfirstlane_b32 s70, v3
	s_and_saveexec_b64 s[0:1], s[52:53]
	s_cbranch_execz .LBB135_155
; %bb.154:
	s_add_i32 s64, s75, 64
	s_lshl_b64 s[68:69], s[64:65], 4
	s_add_u32 s68, s72, s68
	s_addc_u32 s69, s73, s69
	s_and_b32 s79, s70, 0xff000000
	s_mov_b32 s78, s65
	s_and_b32 s81, s70, 0xff0000
	s_mov_b32 s80, s65
	s_or_b64 s[78:79], s[80:81], s[78:79]
	s_and_b32 s81, s70, 0xff00
	s_or_b64 s[78:79], s[78:79], s[80:81]
	s_and_b32 s81, s70, 0xff
	s_or_b64 s[64:65], s[78:79], s[80:81]
	v_mov_b32_e32 v3, s65
	v_mov_b32_e32 v4, 1
	v_mov_b64_e32 v[6:7], s[68:69]
	;;#ASMSTART
	global_store_dwordx4 v[6:7], v[2:5] off sc1	
s_waitcnt vmcnt(0)
	;;#ASMEND
.LBB135_155:
	s_or_b64 exec, exec, s[0:1]
	v_xad_u32 v58, v73, -1, s75
	v_add_u32_e32 v4, 64, v58
	v_lshl_add_u64 v[60:61], v[4:5], 4, s[72:73]
	;;#ASMSTART
	global_load_dwordx4 v[6:9], v[60:61] off sc1	
s_waitcnt vmcnt(0)
	;;#ASMEND
	s_nop 0
	v_and_b32_e32 v3, 0xff0000, v6
	v_and_b32_e32 v4, 0xff000000, v6
	;; [unrolled: 1-line block ×3, first 2 shown]
	v_or_b32_sdwa v3, v6, v3 dst_sel:DWORD dst_unused:UNUSED_PAD src0_sel:WORD_0 src1_sel:DWORD
	v_or3_b32 v7, 0, 0, v7
	v_or3_b32 v6, v3, v4, 0
	v_cmp_eq_u16_sdwa s[64:65], v8, v5 src0_sel:BYTE_0 src1_sel:DWORD
	s_and_saveexec_b64 s[0:1], s[64:65]
	s_cbranch_execz .LBB135_161
; %bb.156:
	s_mov_b32 s68, 1
	s_mov_b64 s[64:65], 0
	v_mov_b32_e32 v3, 0
.LBB135_157:                            ; =>This Loop Header: Depth=1
                                        ;     Child Loop BB135_158 Depth 2
	s_max_u32 s69, s68, 1
.LBB135_158:                            ;   Parent Loop BB135_157 Depth=1
                                        ; =>  This Inner Loop Header: Depth=2
	s_add_i32 s69, s69, -1
	s_cmp_eq_u32 s69, 0
	s_sleep 1
	s_cbranch_scc0 .LBB135_158
; %bb.159:                              ;   in Loop: Header=BB135_157 Depth=1
	s_cmp_lt_u32 s68, 32
	s_cselect_b64 s[78:79], -1, 0
	s_cmp_lg_u64 s[78:79], 0
	s_addc_u32 s68, s68, 0
	;;#ASMSTART
	global_load_dwordx4 v[6:9], v[60:61] off sc1	
s_waitcnt vmcnt(0)
	;;#ASMEND
	s_nop 0
	v_cmp_ne_u16_sdwa s[78:79], v8, v3 src0_sel:BYTE_0 src1_sel:DWORD
	s_or_b64 s[64:65], s[78:79], s[64:65]
	s_andn2_b64 exec, exec, s[64:65]
	s_cbranch_execnz .LBB135_157
; %bb.160:
	s_or_b64 exec, exec, s[64:65]
	v_and_b32_e32 v7, 0xff, v7
.LBB135_161:
	s_or_b64 exec, exec, s[0:1]
	v_mov_b32_e32 v3, 2
	v_cmp_eq_u16_sdwa s[0:1], v8, v3 src0_sel:BYTE_0 src1_sel:DWORD
	v_lshlrev_b64 v[4:5], v73, -1
	v_and_b32_e32 v64, 63, v73
	v_and_b32_e32 v9, s1, v5
	v_or_b32_e32 v9, 0x80000000, v9
	v_and_b32_e32 v59, s0, v4
	v_ffbl_b32_e32 v9, v9
	v_add_u32_e32 v9, 32, v9
	v_ffbl_b32_e32 v59, v59
	v_cmp_ne_u32_e32 vcc, 63, v64
	v_min_u32_e32 v9, v59, v9
	s_mov_b32 s64, 0
	v_addc_co_u32_e32 v59, vcc, 0, v73, vcc
	v_lshlrev_b32_e32 v65, 2, v59
	ds_bpermute_b32 v59, v65, v7
	ds_bpermute_b32 v60, v65, v6
	v_and_b32_e32 v61, 1, v7
	s_mov_b32 s65, 1
	v_cmp_eq_u32_e32 vcc, 1, v61
	s_waitcnt lgkmcnt(1)
	v_and_b32_e32 v59, 1, v59
	v_cmp_lt_u32_e64 s[0:1], v64, v9
	v_cndmask_b32_e64 v59, v59, 1, vcc
	v_cmp_gt_u64_e32 vcc, s[64:65], v[6:7]
	s_and_b64 vcc, s[0:1], vcc
	v_and_b32_e32 v61, 0xffff, v59
	v_cndmask_b32_e64 v68, v7, v59, s[0:1]
	s_waitcnt lgkmcnt(0)
	v_cndmask_b32_e32 v59, 0, v60, vcc
	v_cmp_gt_u32_e32 vcc, 62, v64
	v_cndmask_b32_e64 v7, v7, v61, s[0:1]
	v_add_u32_e32 v6, v59, v6
	v_cndmask_b32_e64 v60, 0, 1, vcc
	v_lshlrev_b32_e32 v60, 1, v60
	v_add_lshl_u32 v66, v60, v73, 2
	ds_bpermute_b32 v60, v66, v7
	ds_bpermute_b32 v61, v66, v6
	v_and_b32_e32 v59, 1, v68
	v_cmp_eq_u32_e32 vcc, 1, v59
	v_mov_b32_e32 v59, 0
	s_waitcnt lgkmcnt(1)
	v_and_b32_e32 v60, 1, v60
	v_add_u32_e32 v67, 2, v64
	v_cndmask_b32_e64 v60, v60, 1, vcc
	v_cmp_eq_u16_sdwa vcc, v68, v59 src0_sel:BYTE_0 src1_sel:DWORD
	v_and_b32_e32 v69, 0xffff, v60
	v_add_u32_e32 v77, 32, v64
	s_waitcnt lgkmcnt(0)
	v_cndmask_b32_e32 v61, 0, v61, vcc
	v_cmp_gt_u32_e32 vcc, v67, v9
	s_nop 1
	v_cndmask_b32_e32 v60, v60, v68, vcc
	v_cndmask_b32_e64 v61, v61, 0, vcc
	v_cndmask_b32_e32 v7, v69, v7, vcc
	v_cmp_gt_u32_e32 vcc, 60, v64
	v_add_u32_e32 v6, v61, v6
	v_and_b32_e32 v71, 1, v60
	v_cndmask_b32_e64 v68, 0, 1, vcc
	v_lshlrev_b32_e32 v68, 2, v68
	v_add_lshl_u32 v68, v68, v73, 2
	ds_bpermute_b32 v70, v68, v7
	ds_bpermute_b32 v61, v68, v6
	v_cmp_eq_u32_e32 vcc, 1, v71
	v_add_u32_e32 v69, 4, v64
	s_waitcnt lgkmcnt(1)
	v_and_b32_e32 v70, 1, v70
	v_cndmask_b32_e64 v70, v70, 1, vcc
	v_cmp_eq_u16_sdwa vcc, v60, v59 src0_sel:BYTE_0 src1_sel:DWORD
	v_and_b32_e32 v71, 0xffff, v70
	s_waitcnt lgkmcnt(0)
	v_cndmask_b32_e32 v61, 0, v61, vcc
	v_cmp_gt_u32_e32 vcc, v69, v9
	s_nop 1
	v_cndmask_b32_e32 v60, v70, v60, vcc
	v_cndmask_b32_e64 v61, v61, 0, vcc
	v_cndmask_b32_e32 v7, v71, v7, vcc
	v_cmp_gt_u32_e32 vcc, 56, v64
	v_add_u32_e32 v6, v61, v6
	v_and_b32_e32 v74, 1, v60
	v_cndmask_b32_e64 v70, 0, 1, vcc
	v_lshlrev_b32_e32 v70, 3, v70
	v_add_lshl_u32 v70, v70, v73, 2
	ds_bpermute_b32 v72, v70, v7
	ds_bpermute_b32 v61, v70, v6
	v_cmp_eq_u32_e32 vcc, 1, v74
	v_add_u32_e32 v71, 8, v64
	s_waitcnt lgkmcnt(1)
	v_and_b32_e32 v72, 1, v72
	v_cndmask_b32_e64 v72, v72, 1, vcc
	v_cmp_eq_u16_sdwa vcc, v60, v59 src0_sel:BYTE_0 src1_sel:DWORD
	v_and_b32_e32 v74, 0xffff, v72
	;; [unrolled: 22-line block ×3, first 2 shown]
	s_waitcnt lgkmcnt(0)
	v_cndmask_b32_e32 v61, 0, v61, vcc
	v_cmp_gt_u32_e32 vcc, v74, v9
	s_nop 1
	v_cndmask_b32_e32 v60, v75, v60, vcc
	v_cndmask_b32_e64 v61, v61, 0, vcc
	v_cndmask_b32_e32 v7, v76, v7, vcc
	v_cmp_gt_u32_e32 vcc, 32, v64
	v_add_u32_e32 v6, v61, v6
	s_nop 0
	v_cndmask_b32_e64 v75, 0, 1, vcc
	v_lshlrev_b32_e32 v75, 5, v75
	v_add_lshl_u32 v76, v75, v73, 2
	ds_bpermute_b32 v7, v76, v7
	ds_bpermute_b32 v61, v76, v6
	v_and_b32_e32 v73, 1, v60
	v_cmp_eq_u32_e32 vcc, 1, v73
	s_waitcnt lgkmcnt(1)
	v_and_b32_e32 v7, 1, v7
	v_cndmask_b32_e64 v7, v7, 1, vcc
	v_cmp_eq_u16_sdwa vcc, v60, v59 src0_sel:BYTE_0 src1_sel:DWORD
	s_waitcnt lgkmcnt(0)
	s_nop 0
	v_cndmask_b32_e32 v61, 0, v61, vcc
	v_cmp_gt_u32_e32 vcc, v77, v9
	s_nop 1
	v_cndmask_b32_e64 v9, v61, 0, vcc
	v_cndmask_b32_e32 v7, v7, v60, vcc
	v_add_u32_e32 v6, v9, v6
	s_branch .LBB135_163
.LBB135_162:                            ;   in Loop: Header=BB135_163 Depth=1
	s_or_b64 exec, exec, s[0:1]
	v_cmp_eq_u16_sdwa s[0:1], v8, v3 src0_sel:BYTE_0 src1_sel:DWORD
	ds_bpermute_b32 v61, v65, v7
	v_and_b32_e32 v78, 1, v7
	v_and_b32_e32 v9, s1, v5
	v_or_b32_e32 v9, 0x80000000, v9
	v_and_b32_e32 v60, s0, v4
	v_ffbl_b32_e32 v9, v9
	v_add_u32_e32 v9, 32, v9
	v_ffbl_b32_e32 v60, v60
	v_min_u32_e32 v9, v60, v9
	ds_bpermute_b32 v60, v65, v6
	s_waitcnt lgkmcnt(1)
	v_and_b32_e32 v61, 1, v61
	v_cmp_eq_u32_e32 vcc, 1, v78
	v_cmp_lt_u32_e64 s[0:1], v64, v9
	v_subrev_u32_e32 v58, 64, v58
	v_cndmask_b32_e64 v61, v61, 1, vcc
	v_cmp_gt_u64_e32 vcc, s[64:65], v[6:7]
	v_and_b32_e32 v78, 0xffff, v61
	v_cndmask_b32_e64 v61, v7, v61, s[0:1]
	v_cndmask_b32_e64 v7, v7, v78, s[0:1]
	s_and_b64 vcc, s[0:1], vcc
	ds_bpermute_b32 v78, v66, v7
	s_waitcnt lgkmcnt(1)
	v_cndmask_b32_e32 v60, 0, v60, vcc
	v_add_u32_e32 v6, v60, v6
	ds_bpermute_b32 v60, v66, v6
	v_and_b32_e32 v79, 1, v61
	s_waitcnt lgkmcnt(1)
	v_and_b32_e32 v78, 1, v78
	v_cmp_eq_u32_e32 vcc, 1, v79
	s_nop 1
	v_cndmask_b32_e64 v78, v78, 1, vcc
	v_cmp_eq_u16_sdwa vcc, v61, v59 src0_sel:BYTE_0 src1_sel:DWORD
	v_and_b32_e32 v79, 0xffff, v78
	s_waitcnt lgkmcnt(0)
	v_cndmask_b32_e32 v60, 0, v60, vcc
	v_cmp_gt_u32_e32 vcc, v67, v9
	s_nop 1
	v_cndmask_b32_e32 v7, v79, v7, vcc
	v_cndmask_b32_e32 v61, v78, v61, vcc
	ds_bpermute_b32 v78, v68, v7
	v_cndmask_b32_e64 v60, v60, 0, vcc
	v_add_u32_e32 v6, v60, v6
	ds_bpermute_b32 v60, v68, v6
	v_and_b32_e32 v79, 1, v61
	s_waitcnt lgkmcnt(1)
	v_and_b32_e32 v78, 1, v78
	v_cmp_eq_u32_e32 vcc, 1, v79
	s_nop 1
	v_cndmask_b32_e64 v78, v78, 1, vcc
	v_cmp_eq_u16_sdwa vcc, v61, v59 src0_sel:BYTE_0 src1_sel:DWORD
	v_and_b32_e32 v79, 0xffff, v78
	s_waitcnt lgkmcnt(0)
	v_cndmask_b32_e32 v60, 0, v60, vcc
	v_cmp_gt_u32_e32 vcc, v69, v9
	s_nop 1
	v_cndmask_b32_e32 v7, v79, v7, vcc
	v_cndmask_b32_e32 v61, v78, v61, vcc
	ds_bpermute_b32 v78, v70, v7
	v_cndmask_b32_e64 v60, v60, 0, vcc
	;; [unrolled: 18-line block ×3, first 2 shown]
	v_add_u32_e32 v6, v60, v6
	ds_bpermute_b32 v60, v72, v6
	v_and_b32_e32 v79, 1, v61
	s_waitcnt lgkmcnt(1)
	v_and_b32_e32 v78, 1, v78
	v_cmp_eq_u32_e32 vcc, 1, v79
	s_nop 1
	v_cndmask_b32_e64 v78, v78, 1, vcc
	v_cmp_eq_u16_sdwa vcc, v61, v59 src0_sel:BYTE_0 src1_sel:DWORD
	v_and_b32_e32 v79, 0xffff, v78
	s_waitcnt lgkmcnt(0)
	v_cndmask_b32_e32 v60, 0, v60, vcc
	v_cmp_gt_u32_e32 vcc, v74, v9
	s_nop 1
	v_cndmask_b32_e64 v60, v60, 0, vcc
	v_cndmask_b32_e32 v7, v79, v7, vcc
	ds_bpermute_b32 v7, v76, v7
	v_add_u32_e32 v6, v60, v6
	ds_bpermute_b32 v60, v76, v6
	v_cndmask_b32_e32 v61, v78, v61, vcc
	v_and_b32_e32 v78, 1, v61
	v_cmp_eq_u32_e32 vcc, 1, v78
	s_waitcnt lgkmcnt(1)
	s_nop 0
	v_cndmask_b32_e64 v7, v7, 1, vcc
	v_cmp_eq_u16_sdwa vcc, v61, v59 src0_sel:BYTE_0 src1_sel:DWORD
	s_waitcnt lgkmcnt(0)
	s_nop 0
	v_cndmask_b32_e32 v60, 0, v60, vcc
	v_cmp_gt_u32_e32 vcc, v77, v9
	s_nop 1
	v_cndmask_b32_e64 v9, v60, 0, vcc
	v_cndmask_b32_e32 v7, v7, v61, vcc
	v_add_u32_e32 v6, v9, v6
	v_cmp_eq_u16_sdwa vcc, v73, v59 src0_sel:BYTE_0 src1_sel:DWORD
	v_and_b32_e32 v9, 1, v73
	v_and_b32_e32 v7, 1, v7
	v_cndmask_b32_e32 v6, 0, v6, vcc
	v_cmp_eq_u32_e32 vcc, 1, v9
	v_add_u32_e32 v6, v6, v75
	s_nop 0
	v_cndmask_b32_e64 v7, v7, 1, vcc
.LBB135_163:                            ; =>This Loop Header: Depth=1
                                        ;     Child Loop BB135_166 Depth 2
                                        ;       Child Loop BB135_167 Depth 3
	v_cmp_ne_u16_sdwa s[0:1], v8, v3 src0_sel:BYTE_0 src1_sel:DWORD
	v_mov_b32_e32 v73, v7
	v_mov_b32_e32 v75, v6
	v_cndmask_b32_e64 v7, 0, 1, s[0:1]
	;;#ASMSTART
	;;#ASMEND
	s_nop 0
	v_cmp_ne_u32_e32 vcc, 0, v7
	s_cmp_lg_u64 vcc, exec
	s_cbranch_scc1 .LBB135_170
; %bb.164:                              ;   in Loop: Header=BB135_163 Depth=1
	v_lshl_add_u64 v[60:61], v[58:59], 4, s[72:73]
	;;#ASMSTART
	global_load_dwordx4 v[6:9], v[60:61] off sc1	
s_waitcnt vmcnt(0)
	;;#ASMEND
	s_nop 0
	v_and_b32_e32 v9, 0xff0000, v6
	v_and_b32_e32 v78, 0xff000000, v6
	;; [unrolled: 1-line block ×3, first 2 shown]
	v_or_b32_sdwa v6, v6, v9 dst_sel:DWORD dst_unused:UNUSED_PAD src0_sel:WORD_0 src1_sel:DWORD
	v_or3_b32 v7, 0, 0, v7
	v_or3_b32 v6, v6, v78, 0
	v_cmp_eq_u16_sdwa s[68:69], v8, v59 src0_sel:BYTE_0 src1_sel:DWORD
	s_and_saveexec_b64 s[0:1], s[68:69]
	s_cbranch_execz .LBB135_162
; %bb.165:                              ;   in Loop: Header=BB135_163 Depth=1
	s_mov_b32 s71, 1
	s_mov_b64 s[68:69], 0
.LBB135_166:                            ;   Parent Loop BB135_163 Depth=1
                                        ; =>  This Loop Header: Depth=2
                                        ;       Child Loop BB135_167 Depth 3
	s_max_u32 s78, s71, 1
.LBB135_167:                            ;   Parent Loop BB135_163 Depth=1
                                        ;     Parent Loop BB135_166 Depth=2
                                        ; =>    This Inner Loop Header: Depth=3
	s_add_i32 s78, s78, -1
	s_cmp_eq_u32 s78, 0
	s_sleep 1
	s_cbranch_scc0 .LBB135_167
; %bb.168:                              ;   in Loop: Header=BB135_166 Depth=2
	s_cmp_lt_u32 s71, 32
	s_cselect_b64 s[78:79], -1, 0
	s_cmp_lg_u64 s[78:79], 0
	s_addc_u32 s71, s71, 0
	;;#ASMSTART
	global_load_dwordx4 v[6:9], v[60:61] off sc1	
s_waitcnt vmcnt(0)
	;;#ASMEND
	s_nop 0
	v_cmp_ne_u16_sdwa s[78:79], v8, v59 src0_sel:BYTE_0 src1_sel:DWORD
	s_or_b64 s[68:69], s[78:79], s[68:69]
	s_andn2_b64 exec, exec, s[68:69]
	s_cbranch_execnz .LBB135_166
; %bb.169:                              ;   in Loop: Header=BB135_163 Depth=1
	s_or_b64 exec, exec, s[68:69]
	v_and_b32_e32 v7, 0xff, v7
	s_branch .LBB135_162
.LBB135_170:                            ;   in Loop: Header=BB135_163 Depth=1
                                        ; implicit-def: $vgpr7
                                        ; implicit-def: $vgpr6
                                        ; implicit-def: $vgpr8
	s_cbranch_execz .LBB135_163
; %bb.171:
	s_and_saveexec_b64 s[0:1], s[52:53]
	s_cbranch_execz .LBB135_173
; %bb.172:
	s_and_b32 s52, s70, 0xff
	s_cmp_eq_u32 s52, 0
	s_cselect_b64 vcc, -1, 0
	s_bitcmp1_b32 s70, 0
	s_mov_b32 s53, 0
	s_cselect_b64 s[64:65], -1, 0
	s_add_i32 s52, s75, 64
	s_lshl_b64 s[52:53], s[52:53], 4
	v_cndmask_b32_e32 v3, 0, v75, vcc
	s_add_u32 s52, s72, s52
	v_add_u32_e32 v2, v3, v2
	v_and_b32_e32 v3, 1, v73
	s_addc_u32 s53, s73, s53
	v_mov_b32_e32 v5, 0
	v_cndmask_b32_e64 v3, v3, 1, s[64:65]
	v_mov_b32_e32 v4, 2
	v_mov_b64_e32 v[6:7], s[52:53]
	;;#ASMSTART
	global_store_dwordx4 v[6:7], v[2:5] off sc1	
s_waitcnt vmcnt(0)
	;;#ASMEND
.LBB135_173:
	s_or_b64 exec, exec, s[0:1]
	s_and_b64 exec, exec, s[54:55]
	s_cbranch_execz .LBB135_175
; %bb.174:
	v_mov_b32_e32 v2, 0
	ds_write_b32 v2, v75
	ds_write_b8 v2, v73 offset:4
.LBB135_175:
	s_or_b64 exec, exec, s[60:61]
	s_mov_b32 s0, 0
	v_mov_b32_e32 v2, 0
	s_mov_b32 s1, 1
	s_waitcnt lgkmcnt(0)
	s_barrier
	ds_read_b32 v3, v2
	v_cmp_gt_u64_e32 vcc, s[0:1], v[10:11]
	v_and_b32_e32 v5, 1, v11
	v_and_b32_e32 v6, 1, v63
	v_cndmask_b32_e32 v4, 0, v62, vcc
	v_cmp_eq_u32_e32 vcc, 1, v5
	v_cndmask_b32_e64 v4, v4, 0, s[54:55]
	s_nop 0
	v_cndmask_b32_e64 v5, v6, 1, vcc
	v_cndmask_b32_e64 v5, v5, v11, s[54:55]
	v_cmp_eq_u16_sdwa vcc, v5, v2 src0_sel:BYTE_0 src1_sel:DWORD
	s_waitcnt lgkmcnt(0)
	s_nop 0
	v_cndmask_b32_e32 v2, 0, v3, vcc
	v_add3_u32 v80, v4, v10, v2
	v_cndmask_b32_e64 v2, 0, v80, s[6:7]
	v_add_u32_e32 v58, v2, v12
	v_cndmask_b32_e64 v2, 0, v58, s[8:9]
	v_add_u32_e32 v59, v2, v14
	;; [unrolled: 2-line block ×22, first 2 shown]
	s_branch .LBB135_196
.LBB135_176:
                                        ; implicit-def: $vgpr78
                                        ; implicit-def: $vgpr77
                                        ; implicit-def: $vgpr76
                                        ; implicit-def: $vgpr75
                                        ; implicit-def: $vgpr74
                                        ; implicit-def: $vgpr73
                                        ; implicit-def: $vgpr72
                                        ; implicit-def: $vgpr71
                                        ; implicit-def: $vgpr70
                                        ; implicit-def: $vgpr69
                                        ; implicit-def: $vgpr68
                                        ; implicit-def: $vgpr67
                                        ; implicit-def: $vgpr66
                                        ; implicit-def: $vgpr65
                                        ; implicit-def: $vgpr64
                                        ; implicit-def: $vgpr63
                                        ; implicit-def: $vgpr62
                                        ; implicit-def: $vgpr61
                                        ; implicit-def: $vgpr60
                                        ; implicit-def: $vgpr59
                                        ; implicit-def: $vgpr58
                                        ; implicit-def: $vgpr80
                                        ; implicit-def: $vgpr79
	s_cbranch_execz .LBB135_196
; %bb.177:
	s_cmp_lg_u64 s[76:77], 0
	s_cselect_b32 s9, s67, 0
	s_cselect_b32 s8, s66, 0
	s_cmp_lg_u64 s[8:9], 0
	s_cselect_b64 s[6:7], -1, 0
	s_mov_b32 s0, 0
	s_and_b64 s[10:11], s[54:55], s[6:7]
	s_and_saveexec_b64 s[6:7], s[10:11]
	s_cbranch_execz .LBB135_179
; %bb.178:
	v_mov_b32_e32 v2, 0
	global_load_dword v4, v2, s[8:9]
	global_load_ubyte v5, v2, s[8:9] offset:4
	s_mov_b32 s1, 1
	v_and_b32_e32 v3, 1, v11
	v_cmp_gt_u64_e32 vcc, s[0:1], v[10:11]
	s_waitcnt vmcnt(0)
	v_and_b32_e32 v5, 1, v5
	v_cndmask_b32_e32 v4, 0, v4, vcc
	v_cmp_eq_u64_e32 vcc, 0, v[2:3]
	v_add_u32_e32 v10, v4, v10
	s_nop 0
	v_cndmask_b32_e32 v11, 1, v5, vcc
.LBB135_179:
	s_or_b64 exec, exec, s[6:7]
	s_mov_b32 s1, 1
	v_cmp_gt_u64_e32 vcc, s[0:1], v[12:13]
	v_cmp_gt_u64_e64 s[6:7], s[0:1], v[14:15]
	v_cmp_gt_u64_e64 s[8:9], s[0:1], v[16:17]
	v_cndmask_b32_e32 v2, 0, v10, vcc
	v_add_u32_e32 v58, v2, v12
	v_cndmask_b32_e64 v2, 0, v58, s[6:7]
	v_add_u32_e32 v59, v2, v14
	v_cndmask_b32_e64 v2, 0, v59, s[8:9]
	v_add_u32_e32 v60, v2, v16
	v_cmp_gt_u64_e64 s[10:11], s[0:1], v[18:19]
	v_cmp_gt_u64_e64 s[12:13], s[0:1], v[20:21]
	v_cmp_gt_u64_e64 s[14:15], s[0:1], v[22:23]
	v_cndmask_b32_e64 v2, 0, v60, s[10:11]
	v_add_u32_e32 v61, v2, v18
	v_cndmask_b32_e64 v2, 0, v61, s[12:13]
	v_add_u32_e32 v62, v2, v20
	v_cndmask_b32_e64 v2, 0, v62, s[14:15]
	v_add_u32_e32 v63, v2, v22
	v_cmp_gt_u64_e64 s[16:17], s[0:1], v[24:25]
	v_cmp_gt_u64_e64 s[18:19], s[0:1], v[26:27]
	v_cmp_gt_u64_e64 s[20:21], s[0:1], v[28:29]
	v_cndmask_b32_e64 v2, 0, v63, s[16:17]
	;; [unrolled: 9-line block ×6, first 2 shown]
	v_add_u32_e32 v76, v2, v48
	v_cndmask_b32_e64 v2, 0, v76, s[44:45]
	v_add_u32_e32 v77, v2, v50
	v_cndmask_b32_e64 v2, 0, v77, s[46:47]
	v_add_u32_e32 v78, v2, v52
	v_cmp_gt_u64_e64 s[48:49], s[0:1], v[56:57]
	v_add_lshl_u32 v1, v1, v0, 3
	s_nop 0
	v_cndmask_b32_e64 v2, 0, v78, s[48:49]
	v_add_u32_e32 v79, v2, v56
	v_or3_b32 v2, v55, v51, v49
	v_or3_b32 v2, v2, v47, v45
	;; [unrolled: 1-line block ×10, first 2 shown]
	v_and_b32_e32 v2, 1, v2
	v_cmp_eq_u32_e64 s[0:1], 1, v2
	s_nop 1
	v_cndmask_b32_e64 v4, v11, 1, s[0:1]
	v_cmp_gt_u32_e64 s[0:1], 64, v0
	ds_write_b32 v1, v79
	ds_write_b8 v1, v4 offset:4
	s_waitcnt lgkmcnt(0)
	s_barrier
	s_and_saveexec_b64 s[50:51], s[0:1]
	s_cbranch_execz .LBB135_191
; %bb.180:
	v_lshrrev_b32_e32 v1, 3, v0
	v_add_lshl_u32 v1, v1, v54, 3
	ds_read2_b32 v[6:7], v1 offset0:2 offset1:4
	ds_read_b64 v[2:3], v1
	ds_read_u8 v8, v1 offset:12
	ds_read_u8 v9, v1 offset:20
	ds_read_b32 v13, v1 offset:24
	ds_read_u8 v15, v1 offset:28
	v_mov_b32_e32 v17, 0
	s_waitcnt lgkmcnt(3)
	v_cmp_eq_u16_sdwa s[0:1], v8, v17 src0_sel:BYTE_0 src1_sel:DWORD
	v_and_b32_e32 v5, 1, v3
	s_nop 0
	v_cndmask_b32_e64 v19, 0, v2, s[0:1]
	v_add_u32_e32 v6, v19, v6
	s_waitcnt lgkmcnt(2)
	v_cmp_eq_u16_sdwa s[0:1], v9, v17 src0_sel:BYTE_0 src1_sel:DWORD
	s_nop 1
	v_cndmask_b32_e64 v6, 0, v6, s[0:1]
	v_add_u32_e32 v6, v6, v7
	s_waitcnt lgkmcnt(0)
	v_cmp_eq_u16_e64 s[0:1], 0, v15
	s_nop 1
	v_cndmask_b32_e64 v6, 0, v6, s[0:1]
	v_add_u32_e32 v7, v6, v13
	v_or_b32_e32 v6, v15, v9
	v_or_b32_e32 v6, v6, v8
	v_and_b32_e32 v6, 1, v6
	v_cmp_eq_u32_e64 s[0:1], 1, v6
	v_mbcnt_lo_u32_b32 v8, -1, 0
	v_and_b32_e32 v6, 0xffffff00, v3
	v_cndmask_b32_e64 v9, v5, 1, s[0:1]
	v_mbcnt_hi_u32_b32 v8, -1, v8
	v_and_b32_e32 v15, 15, v8
	v_or_b32_sdwa v13, v6, v9 dst_sel:DWORD dst_unused:UNUSED_PAD src0_sel:DWORD src1_sel:WORD_0
	v_mov_b32_dpp v17, v7 row_shr:1 row_mask:0xf bank_mask:0xf
	v_cmp_ne_u32_e64 s[0:1], 0, v15
	v_mov_b32_dpp v19, v13 row_shr:1 row_mask:0xf bank_mask:0xf
	s_and_saveexec_b64 s[52:53], s[0:1]
; %bb.181:
	v_and_b32_e32 v13, 1, v9
	v_and_b32_e32 v19, 1, v19
	v_cmp_eq_u32_e64 s[0:1], 1, v13
	s_nop 1
	v_cndmask_b32_e64 v19, v19, 1, s[0:1]
	v_cmp_eq_u16_e64 s[0:1], 0, v9
	v_or_b32_sdwa v13, v6, v19 dst_sel:DWORD dst_unused:UNUSED_PAD src0_sel:DWORD src1_sel:WORD_0
	s_nop 0
	v_cndmask_b32_e64 v9, 0, v17, s[0:1]
	v_add_u32_e32 v7, v9, v7
	v_mov_b32_e32 v9, v19
; %bb.182:
	s_or_b64 exec, exec, s[52:53]
	v_mov_b32_dpp v17, v7 row_shr:2 row_mask:0xf bank_mask:0xf
	v_mov_b32_dpp v19, v13 row_shr:2 row_mask:0xf bank_mask:0xf
	v_cmp_lt_u32_e64 s[0:1], 1, v15
	s_and_saveexec_b64 s[52:53], s[0:1]
; %bb.183:
	v_and_b32_e32 v13, 1, v9
	v_and_b32_e32 v19, 1, v19
	v_cmp_eq_u32_e64 s[0:1], 1, v13
	s_nop 1
	v_cndmask_b32_e64 v19, v19, 1, s[0:1]
	v_cmp_eq_u16_e64 s[0:1], 0, v9
	v_or_b32_sdwa v13, v6, v19 dst_sel:DWORD dst_unused:UNUSED_PAD src0_sel:DWORD src1_sel:WORD_0
	s_nop 0
	v_cndmask_b32_e64 v9, 0, v17, s[0:1]
	v_add_u32_e32 v7, v9, v7
	v_mov_b32_e32 v9, v19
; %bb.184:
	s_or_b64 exec, exec, s[52:53]
	v_mov_b32_dpp v17, v7 row_shr:4 row_mask:0xf bank_mask:0xf
	v_mov_b32_dpp v19, v13 row_shr:4 row_mask:0xf bank_mask:0xf
	v_cmp_lt_u32_e64 s[0:1], 3, v15
	;; [unrolled: 18-line block ×3, first 2 shown]
	s_and_saveexec_b64 s[52:53], s[0:1]
; %bb.187:
	v_and_b32_e32 v13, 1, v9
	v_and_b32_e32 v15, 1, v19
	v_cmp_eq_u32_e64 s[0:1], 1, v13
	s_nop 1
	v_cndmask_b32_e64 v15, v15, 1, s[0:1]
	v_cmp_eq_u16_e64 s[0:1], 0, v9
	v_or_b32_sdwa v13, v6, v15 dst_sel:DWORD dst_unused:UNUSED_PAD src0_sel:DWORD src1_sel:WORD_0
	s_nop 0
	v_cndmask_b32_e64 v9, 0, v17, s[0:1]
	v_add_u32_e32 v7, v9, v7
	v_mov_b32_e32 v9, v15
; %bb.188:
	s_or_b64 exec, exec, s[52:53]
	v_and_b32_e32 v19, 16, v8
	v_mov_b32_dpp v15, v7 row_bcast:15 row_mask:0xf bank_mask:0xf
	v_mov_b32_dpp v17, v13 row_bcast:15 row_mask:0xf bank_mask:0xf
	v_cmp_ne_u32_e64 s[0:1], 0, v19
	s_and_saveexec_b64 s[52:53], s[0:1]
; %bb.189:
	v_and_b32_e32 v13, 1, v9
	v_and_b32_e32 v17, 1, v17
	v_cmp_eq_u32_e64 s[0:1], 1, v13
	s_nop 1
	v_cndmask_b32_e64 v17, v17, 1, s[0:1]
	v_cmp_eq_u16_e64 s[0:1], 0, v9
	v_or_b32_sdwa v13, v6, v17 dst_sel:DWORD dst_unused:UNUSED_PAD src0_sel:DWORD src1_sel:WORD_0
	s_nop 0
	v_cndmask_b32_e64 v9, 0, v15, s[0:1]
	v_add_u32_e32 v7, v9, v7
	v_mov_b32_e32 v9, v17
; %bb.190:
	s_or_b64 exec, exec, s[52:53]
	v_mov_b32_dpp v13, v13 row_bcast:31 row_mask:0xf bank_mask:0xf
	v_and_b32_e32 v17, 1, v9
	v_and_b32_e32 v13, 1, v13
	v_cmp_eq_u32_e64 s[0:1], 1, v17
	v_mov_b32_e32 v17, 0
	v_cmp_eq_u16_sdwa s[52:53], v9, v17 src0_sel:BYTE_0 src1_sel:DWORD
	v_cndmask_b32_e64 v13, v13, 1, s[0:1]
	v_cmp_lt_u32_e64 s[0:1], 31, v8
	v_mov_b32_dpp v15, v7 row_bcast:31 row_mask:0xf bank_mask:0xf
	s_movk_i32 s60, 0xff
	v_cndmask_b32_e64 v9, v9, v13, s[0:1]
	s_and_b64 s[0:1], s[0:1], s[52:53]
	v_cndmask_b32_e64 v13, 0, v15, s[0:1]
	v_add_u32_e32 v7, v13, v7
	v_add_u32_e32 v13, -1, v8
	v_and_b32_e32 v15, 64, v8
	v_cmp_lt_i32_e64 s[0:1], v13, v15
	v_and_or_b32 v6, v9, s60, v6
	s_nop 0
	v_cndmask_b32_e64 v8, v13, v8, s[0:1]
	v_lshlrev_b32_e32 v8, 2, v8
	ds_bpermute_b32 v7, v8, v7
	ds_bpermute_b32 v6, v8, v6
	v_cmp_eq_u16_sdwa s[0:1], v3, v17 src0_sel:BYTE_0 src1_sel:DWORD
	; wave barrier
	s_waitcnt lgkmcnt(1)
	s_nop 0
	v_cndmask_b32_e64 v3, 0, v7, s[0:1]
	v_add_u32_e32 v2, v3, v2
	s_waitcnt lgkmcnt(0)
	v_and_b32_e32 v3, 1, v6
	v_cmp_eq_u32_e64 s[0:1], 1, v5
	v_cndmask_b32_e64 v5, v2, v79, s[54:55]
	s_nop 0
	v_cndmask_b32_e64 v3, v3, 1, s[0:1]
	v_cndmask_b32_e64 v4, v3, v4, s[54:55]
	ds_write_b32 v1, v5
	ds_write_b8 v1, v4 offset:4
	; wave barrier
	ds_read_u8 v6, v1 offset:12
	ds_read2_b32 v[2:3], v1 offset0:2 offset1:4
	ds_read_u8 v7, v1 offset:20
	ds_read_b32 v8, v1 offset:24
	ds_read_u8 v9, v1 offset:28
	s_waitcnt lgkmcnt(4)
	v_cmp_eq_u16_e64 s[0:1], 0, v6
	s_nop 1
	v_cndmask_b32_e64 v5, 0, v5, s[0:1]
	s_waitcnt lgkmcnt(3)
	v_add_u32_e32 v2, v5, v2
	v_and_b32_e32 v5, 1, v6
	v_cmp_eq_u32_e64 s[0:1], 1, v5
	s_nop 1
	v_cndmask_b32_e64 v4, v4, 1, s[0:1]
	s_waitcnt lgkmcnt(2)
	v_cmp_eq_u16_e64 s[0:1], 0, v7
	ds_write_b8 v1, v4 offset:12
	s_nop 0
	v_cndmask_b32_e64 v5, 0, v2, s[0:1]
	v_add_u32_e32 v3, v5, v3
	v_and_b32_e32 v5, 1, v7
	v_cmp_eq_u32_e64 s[0:1], 1, v5
	s_nop 1
	v_cndmask_b32_e64 v4, v4, 1, s[0:1]
	s_waitcnt lgkmcnt(1)
	v_cmp_eq_u16_e64 s[0:1], 0, v9
	ds_write2_b32 v1, v2, v3 offset0:2 offset1:4
	ds_write_b8 v1, v4 offset:20
	v_cndmask_b32_e64 v2, 0, v3, s[0:1]
	v_and_b32_e32 v3, 1, v9
	v_add_u32_e32 v2, v2, v8
	v_cmp_eq_u32_e64 s[0:1], 1, v3
	s_nop 1
	v_cndmask_b32_e64 v3, v4, 1, s[0:1]
	ds_write_b32 v1, v2 offset:24
	ds_write_b8 v1, v3 offset:28
.LBB135_191:
	s_or_b64 exec, exec, s[50:51]
	v_mov_b32_e32 v1, v79
	s_waitcnt lgkmcnt(0)
	s_barrier
	s_and_saveexec_b64 s[0:1], s[4:5]
	s_cbranch_execnz .LBB135_269
; %bb.192:
	s_or_b64 exec, exec, s[0:1]
	s_and_saveexec_b64 s[50:51], s[4:5]
	s_cbranch_execnz .LBB135_270
.LBB135_193:
	s_or_b64 exec, exec, s[50:51]
	s_and_saveexec_b64 s[0:1], s[54:55]
	s_cbranch_execz .LBB135_195
.LBB135_194:
	v_mov_b32_e32 v5, 0
	ds_read_b32 v2, v5 offset:2096
	ds_read_u8 v3, v5 offset:2100
	s_add_u32 s4, s72, 0x400
	s_addc_u32 s5, s73, 0
	v_mov_b32_e32 v4, 2
	v_mov_b64_e32 v[6:7], s[4:5]
	s_waitcnt lgkmcnt(0)
	;;#ASMSTART
	global_store_dwordx4 v[6:7], v[2:5] off sc1	
s_waitcnt vmcnt(0)
	;;#ASMEND
.LBB135_195:
	s_or_b64 exec, exec, s[0:1]
	v_mov_b32_e32 v80, v10
.LBB135_196:
	s_add_u32 s0, s62, s58
	s_addc_u32 s1, s63, s59
	s_add_u32 s0, s0, s56
	s_addc_u32 s1, s1, s57
	s_and_b64 vcc, exec, s[2:3]
	s_cbranch_vccz .LBB135_242
; %bb.197:
	s_movk_i32 s2, 0x5c
	v_mul_i32_i24_e32 v26, 0xffffffa8, v0
	s_waitcnt lgkmcnt(0)
	v_mul_u32_u24_e32 v1, 0x5c, v0
	v_mad_u32_u24 v2, v0, s2, v26
	s_barrier
	ds_write2_b32 v1, v80, v58 offset1:1
	ds_write2_b32 v1, v59, v60 offset0:2 offset1:3
	ds_write2_b32 v1, v61, v62 offset0:4 offset1:5
	;; [unrolled: 1-line block ×10, first 2 shown]
	ds_write_b32 v1, v79 offset:88
	s_waitcnt lgkmcnt(0)
	s_barrier
	ds_read2st64_b32 v[24:25], v2 offset0:4 offset1:8
	ds_read2st64_b32 v[22:23], v2 offset0:12 offset1:16
	;; [unrolled: 1-line block ×11, first 2 shown]
	s_add_i32 s33, s33, s74
	v_mov_b32_e32 v55, 0
	v_lshl_add_u64 v[4:5], s[0:1], 0, v[54:55]
	v_cmp_gt_u32_e32 vcc, s33, v0
	s_and_saveexec_b64 s[2:3], vcc
	s_cbranch_execz .LBB135_199
; %bb.198:
	v_add_u32_e32 v1, v1, v26
	ds_read_b32 v1, v1
	s_waitcnt lgkmcnt(0)
	flat_store_dword v[4:5], v1
.LBB135_199:
	s_or_b64 exec, exec, s[2:3]
	v_or_b32_e32 v1, 0x100, v0
	v_cmp_gt_u32_e32 vcc, s33, v1
	s_and_saveexec_b64 s[2:3], vcc
	s_cbranch_execz .LBB135_201
; %bb.200:
	s_waitcnt lgkmcnt(0)
	flat_store_dword v[4:5], v24 offset:1024
.LBB135_201:
	s_or_b64 exec, exec, s[2:3]
	v_or_b32_e32 v1, 0x200, v0
	v_cmp_gt_u32_e32 vcc, s33, v1
	s_and_saveexec_b64 s[2:3], vcc
	s_cbranch_execz .LBB135_203
; %bb.202:
	s_waitcnt lgkmcnt(0)
	flat_store_dword v[4:5], v25 offset:2048
.LBB135_203:
	;; [unrolled: 9-line block ×3, first 2 shown]
	s_or_b64 exec, exec, s[2:3]
	v_or_b32_e32 v1, 0x400, v0
	v_cmp_gt_u32_e32 vcc, s33, v1
	s_and_saveexec_b64 s[2:3], vcc
	s_cbranch_execz .LBB135_207
; %bb.206:
	s_waitcnt lgkmcnt(0)
	v_add_co_u32_e32 v24, vcc, 0x1000, v4
	s_nop 1
	v_addc_co_u32_e32 v25, vcc, 0, v5, vcc
	flat_store_dword v[24:25], v23
.LBB135_207:
	s_or_b64 exec, exec, s[2:3]
	v_or_b32_e32 v1, 0x500, v0
	v_cmp_gt_u32_e32 vcc, s33, v1
	s_and_saveexec_b64 s[2:3], vcc
	s_cbranch_execz .LBB135_209
; %bb.208:
	s_waitcnt lgkmcnt(0)
	v_add_co_u32_e32 v22, vcc, 0x1000, v4
	s_nop 1
	v_addc_co_u32_e32 v23, vcc, 0, v5, vcc
	flat_store_dword v[22:23], v20 offset:1024
.LBB135_209:
	s_or_b64 exec, exec, s[2:3]
	v_or_b32_e32 v1, 0x600, v0
	v_cmp_gt_u32_e32 vcc, s33, v1
	s_and_saveexec_b64 s[2:3], vcc
	s_cbranch_execz .LBB135_211
; %bb.210:
	s_waitcnt lgkmcnt(0)
	v_add_co_u32_e32 v22, vcc, 0x1000, v4
	s_nop 1
	v_addc_co_u32_e32 v23, vcc, 0, v5, vcc
	flat_store_dword v[22:23], v21 offset:2048
.LBB135_211:
	s_or_b64 exec, exec, s[2:3]
	v_or_b32_e32 v1, 0x700, v0
	v_cmp_gt_u32_e32 vcc, s33, v1
	s_and_saveexec_b64 s[2:3], vcc
	s_cbranch_execz .LBB135_213
; %bb.212:
	s_waitcnt lgkmcnt(0)
	v_add_co_u32_e32 v20, vcc, 0x1000, v4
	s_nop 1
	v_addc_co_u32_e32 v21, vcc, 0, v5, vcc
	flat_store_dword v[20:21], v18 offset:3072
.LBB135_213:
	s_or_b64 exec, exec, s[2:3]
	v_or_b32_e32 v1, 0x800, v0
	v_cmp_gt_u32_e32 vcc, s33, v1
	s_and_saveexec_b64 s[2:3], vcc
	s_cbranch_execz .LBB135_215
; %bb.214:
	s_waitcnt lgkmcnt(0)
	v_add_co_u32_e32 v20, vcc, 0x2000, v4
	s_nop 1
	v_addc_co_u32_e32 v21, vcc, 0, v5, vcc
	flat_store_dword v[20:21], v19
.LBB135_215:
	s_or_b64 exec, exec, s[2:3]
	v_or_b32_e32 v1, 0x900, v0
	v_cmp_gt_u32_e32 vcc, s33, v1
	s_and_saveexec_b64 s[2:3], vcc
	s_cbranch_execz .LBB135_217
; %bb.216:
	s_waitcnt lgkmcnt(0)
	v_add_co_u32_e32 v18, vcc, 0x2000, v4
	s_nop 1
	v_addc_co_u32_e32 v19, vcc, 0, v5, vcc
	flat_store_dword v[18:19], v16 offset:1024
.LBB135_217:
	s_or_b64 exec, exec, s[2:3]
	v_or_b32_e32 v1, 0xa00, v0
	v_cmp_gt_u32_e32 vcc, s33, v1
	s_and_saveexec_b64 s[2:3], vcc
	s_cbranch_execz .LBB135_219
; %bb.218:
	s_waitcnt lgkmcnt(0)
	v_add_co_u32_e32 v18, vcc, 0x2000, v4
	s_nop 1
	v_addc_co_u32_e32 v19, vcc, 0, v5, vcc
	flat_store_dword v[18:19], v17 offset:2048
.LBB135_219:
	s_or_b64 exec, exec, s[2:3]
	v_or_b32_e32 v1, 0xb00, v0
	v_cmp_gt_u32_e32 vcc, s33, v1
	s_and_saveexec_b64 s[2:3], vcc
	s_cbranch_execz .LBB135_221
; %bb.220:
	s_waitcnt lgkmcnt(0)
	v_add_co_u32_e32 v16, vcc, 0x2000, v4
	s_nop 1
	v_addc_co_u32_e32 v17, vcc, 0, v5, vcc
	flat_store_dword v[16:17], v14 offset:3072
.LBB135_221:
	;; [unrolled: 48-line block ×4, first 2 shown]
	s_or_b64 exec, exec, s[2:3]
	v_or_b32_e32 v1, 0x1400, v0
	v_cmp_gt_u32_e32 vcc, s33, v1
	s_and_saveexec_b64 s[2:3], vcc
	s_cbranch_execz .LBB135_239
; %bb.238:
	s_waitcnt lgkmcnt(0)
	v_add_co_u32_e32 v8, vcc, 0x5000, v4
	s_nop 1
	v_addc_co_u32_e32 v9, vcc, 0, v5, vcc
	flat_store_dword v[8:9], v7
.LBB135_239:
	s_or_b64 exec, exec, s[2:3]
	v_or_b32_e32 v1, 0x1500, v0
	v_cmp_gt_u32_e32 vcc, s33, v1
	s_and_saveexec_b64 s[2:3], vcc
	s_cbranch_execz .LBB135_241
; %bb.240:
	v_add_co_u32_e32 v4, vcc, 0x5000, v4
	s_nop 1
	v_addc_co_u32_e32 v5, vcc, 0, v5, vcc
	s_waitcnt lgkmcnt(0)
	flat_store_dword v[4:5], v2 offset:1024
.LBB135_241:
	s_or_b64 exec, exec, s[2:3]
	s_waitcnt lgkmcnt(0)
	v_or_b32_e32 v2, 0x1600, v0
	v_mov_b32_e32 v1, v55
	v_cmp_gt_u32_e64 s[2:3], s33, v2
	s_branch .LBB135_244
.LBB135_242:
	s_mov_b64 s[2:3], 0
                                        ; implicit-def: $vgpr3
	s_cbranch_execz .LBB135_244
; %bb.243:
	s_waitcnt lgkmcnt(0)
	v_mul_u32_u24_e32 v1, 0x5c, v0
	s_barrier
	s_movk_i32 s4, 0x5c
	ds_write2_b32 v1, v80, v58 offset1:1
	ds_write2_b32 v1, v59, v60 offset0:2 offset1:3
	ds_write2_b32 v1, v61, v62 offset0:4 offset1:5
	ds_write2_b32 v1, v63, v64 offset0:6 offset1:7
	ds_write2_b32 v1, v65, v66 offset0:8 offset1:9
	ds_write2_b32 v1, v67, v68 offset0:10 offset1:11
	ds_write2_b32 v1, v69, v70 offset0:12 offset1:13
	ds_write2_b32 v1, v71, v72 offset0:14 offset1:15
	ds_write2_b32 v1, v73, v74 offset0:16 offset1:17
	ds_write2_b32 v1, v75, v76 offset0:18 offset1:19
	ds_write2_b32 v1, v77, v78 offset0:20 offset1:21
	ds_write_b32 v1, v79 offset:88
	v_mov_b32_e32 v1, 0
	v_mul_i32_i24_e32 v2, 0xffffffa8, v0
	v_mad_u32_u24 v2, v0, s4, v2
	v_mov_b32_e32 v55, v1
	s_waitcnt lgkmcnt(0)
	s_barrier
	ds_read2st64_b32 v[4:5], v2 offset1:4
	ds_read2st64_b32 v[6:7], v2 offset0:8 offset1:12
	ds_read2st64_b32 v[8:9], v2 offset0:16 offset1:20
	;; [unrolled: 1-line block ×10, first 2 shown]
	ds_read_b32 v3, v2 offset:22528
	v_lshl_add_u64 v[26:27], s[0:1], 0, v[54:55]
	s_movk_i32 s4, 0x1000
	s_waitcnt lgkmcnt(0)
	flat_store_dword v[26:27], v4
	flat_store_dword v[26:27], v5 offset:1024
	flat_store_dword v[26:27], v6 offset:2048
	;; [unrolled: 1-line block ×3, first 2 shown]
	v_add_co_u32_e32 v4, vcc, s4, v26
	s_movk_i32 s4, 0x2000
	s_nop 0
	v_addc_co_u32_e32 v5, vcc, 0, v27, vcc
	flat_store_dword v[4:5], v8
	flat_store_dword v[4:5], v9 offset:1024
	flat_store_dword v[4:5], v10 offset:2048
	;; [unrolled: 1-line block ×3, first 2 shown]
	v_add_co_u32_e32 v4, vcc, s4, v26
	s_movk_i32 s4, 0x3000
	s_nop 0
	v_addc_co_u32_e32 v5, vcc, 0, v27, vcc
	flat_store_dword v[4:5], v12
	flat_store_dword v[4:5], v13 offset:1024
	flat_store_dword v[4:5], v14 offset:2048
	flat_store_dword v[4:5], v15 offset:3072
	v_add_co_u32_e32 v4, vcc, s4, v26
	s_or_b64 s[2:3], s[2:3], exec
	s_nop 0
	v_addc_co_u32_e32 v5, vcc, 0, v27, vcc
	flat_store_dword v[4:5], v16
	flat_store_dword v[4:5], v17 offset:1024
	flat_store_dword v[4:5], v18 offset:2048
	;; [unrolled: 1-line block ×3, first 2 shown]
	v_add_co_u32_e32 v4, vcc, 0x4000, v26
	s_nop 1
	v_addc_co_u32_e32 v5, vcc, 0, v27, vcc
	flat_store_dword v[4:5], v20
	flat_store_dword v[4:5], v21 offset:1024
	flat_store_dword v[4:5], v22 offset:2048
	;; [unrolled: 1-line block ×3, first 2 shown]
	v_add_co_u32_e32 v4, vcc, 0x5000, v26
	s_nop 1
	v_addc_co_u32_e32 v5, vcc, 0, v27, vcc
	flat_store_dword v[4:5], v24
	flat_store_dword v[4:5], v25 offset:1024
.LBB135_244:
	s_and_saveexec_b64 s[4:5], s[2:3]
	s_cbranch_execnz .LBB135_246
; %bb.245:
	s_endpgm
.LBB135_246:
	s_waitcnt lgkmcnt(0)
	v_lshl_add_u64 v[0:1], v[0:1], 2, s[0:1]
	v_add_co_u32_e32 v0, vcc, 0x5000, v0
	s_nop 1
	v_addc_co_u32_e32 v1, vcc, 0, v1, vcc
	flat_store_dword v[0:1], v3 offset:2048
	s_endpgm
.LBB135_247:
	v_lshl_add_u64 v[30:31], s[60:61], 0, v[2:3]
	flat_load_dword v29, v[30:31]
	s_or_b64 exec, exec, s[0:1]
                                        ; implicit-def: $vgpr30
	s_and_saveexec_b64 s[0:1], s[8:9]
	s_cbranch_execz .LBB135_59
.LBB135_248:
	v_mov_b32_e32 v3, 0
	v_lshl_add_u64 v[30:31], s[60:61], 0, v[2:3]
	flat_load_dword v30, v[30:31] offset:1024
	s_or_b64 exec, exec, s[0:1]
                                        ; implicit-def: $vgpr31
	s_and_saveexec_b64 s[0:1], s[10:11]
	s_cbranch_execz .LBB135_60
.LBB135_249:
	v_mov_b32_e32 v3, 0
	v_lshl_add_u64 v[32:33], s[60:61], 0, v[2:3]
	flat_load_dword v31, v[32:33] offset:2048
	s_or_b64 exec, exec, s[0:1]
                                        ; implicit-def: $vgpr3
	s_and_saveexec_b64 s[0:1], s[12:13]
	s_cbranch_execz .LBB135_61
.LBB135_250:
	v_mov_b32_e32 v3, 0
	v_lshl_add_u64 v[32:33], s[60:61], 0, v[2:3]
	flat_load_dword v3, v[32:33] offset:3072
	s_or_b64 exec, exec, s[0:1]
                                        ; implicit-def: $vgpr32
	s_and_saveexec_b64 s[0:1], s[14:15]
	s_cbranch_execz .LBB135_62
.LBB135_251:
	v_lshlrev_b32_e32 v32, 2, v10
	v_mov_b32_e32 v33, 0
	v_lshl_add_u64 v[32:33], s[60:61], 0, v[32:33]
	flat_load_dword v32, v[32:33]
	s_or_b64 exec, exec, s[0:1]
                                        ; implicit-def: $vgpr10
	s_and_saveexec_b64 s[0:1], s[16:17]
	s_cbranch_execz .LBB135_63
.LBB135_252:
	v_lshlrev_b32_e32 v10, 2, v11
	v_mov_b32_e32 v11, 0
	v_lshl_add_u64 v[10:11], s[60:61], 0, v[10:11]
	flat_load_dword v10, v[10:11]
	s_or_b64 exec, exec, s[0:1]
                                        ; implicit-def: $vgpr11
	s_and_saveexec_b64 s[0:1], s[18:19]
	s_cbranch_execz .LBB135_64
.LBB135_253:
	v_lshlrev_b32_e32 v34, 2, v12
	v_mov_b32_e32 v35, 0
	v_lshl_add_u64 v[34:35], s[60:61], 0, v[34:35]
	flat_load_dword v11, v[34:35]
	s_or_b64 exec, exec, s[0:1]
                                        ; implicit-def: $vgpr12
	s_and_saveexec_b64 s[0:1], s[20:21]
	s_cbranch_execz .LBB135_65
.LBB135_254:
	v_lshlrev_b32_e32 v12, 2, v13
	v_mov_b32_e32 v13, 0
	v_lshl_add_u64 v[12:13], s[60:61], 0, v[12:13]
	flat_load_dword v12, v[12:13]
	s_or_b64 exec, exec, s[0:1]
                                        ; implicit-def: $vgpr13
	s_and_saveexec_b64 s[0:1], s[22:23]
	s_cbranch_execz .LBB135_66
.LBB135_255:
	v_lshlrev_b32_e32 v34, 2, v14
	v_mov_b32_e32 v35, 0
	v_lshl_add_u64 v[34:35], s[60:61], 0, v[34:35]
	flat_load_dword v13, v[34:35]
	s_or_b64 exec, exec, s[0:1]
                                        ; implicit-def: $vgpr14
	s_and_saveexec_b64 s[0:1], s[24:25]
	s_cbranch_execz .LBB135_67
.LBB135_256:
	v_lshlrev_b32_e32 v14, 2, v15
	v_mov_b32_e32 v15, 0
	v_lshl_add_u64 v[14:15], s[60:61], 0, v[14:15]
	flat_load_dword v14, v[14:15]
	s_or_b64 exec, exec, s[0:1]
                                        ; implicit-def: $vgpr15
	s_and_saveexec_b64 s[0:1], s[26:27]
	s_cbranch_execz .LBB135_68
.LBB135_257:
	v_lshlrev_b32_e32 v34, 2, v16
	v_mov_b32_e32 v35, 0
	v_lshl_add_u64 v[34:35], s[60:61], 0, v[34:35]
	flat_load_dword v15, v[34:35]
	s_or_b64 exec, exec, s[0:1]
                                        ; implicit-def: $vgpr16
	s_and_saveexec_b64 s[0:1], s[28:29]
	s_cbranch_execz .LBB135_69
.LBB135_258:
	v_lshlrev_b32_e32 v16, 2, v17
	v_mov_b32_e32 v17, 0
	v_lshl_add_u64 v[16:17], s[60:61], 0, v[16:17]
	flat_load_dword v16, v[16:17]
	s_or_b64 exec, exec, s[0:1]
                                        ; implicit-def: $vgpr17
	s_and_saveexec_b64 s[0:1], s[30:31]
	s_cbranch_execz .LBB135_70
.LBB135_259:
	v_lshlrev_b32_e32 v34, 2, v18
	v_mov_b32_e32 v35, 0
	v_lshl_add_u64 v[34:35], s[60:61], 0, v[34:35]
	flat_load_dword v17, v[34:35]
	s_or_b64 exec, exec, s[0:1]
                                        ; implicit-def: $vgpr18
	s_and_saveexec_b64 s[0:1], s[34:35]
	s_cbranch_execz .LBB135_71
.LBB135_260:
	v_lshlrev_b32_e32 v18, 2, v19
	v_mov_b32_e32 v19, 0
	v_lshl_add_u64 v[18:19], s[60:61], 0, v[18:19]
	flat_load_dword v18, v[18:19]
	s_or_b64 exec, exec, s[0:1]
                                        ; implicit-def: $vgpr19
	s_and_saveexec_b64 s[0:1], s[36:37]
	s_cbranch_execz .LBB135_72
.LBB135_261:
	v_lshlrev_b32_e32 v34, 2, v20
	v_mov_b32_e32 v35, 0
	v_lshl_add_u64 v[34:35], s[60:61], 0, v[34:35]
	flat_load_dword v19, v[34:35]
	s_or_b64 exec, exec, s[0:1]
                                        ; implicit-def: $vgpr20
	s_and_saveexec_b64 s[0:1], s[38:39]
	s_cbranch_execz .LBB135_73
.LBB135_262:
	v_lshlrev_b32_e32 v20, 2, v21
	v_mov_b32_e32 v21, 0
	v_lshl_add_u64 v[20:21], s[60:61], 0, v[20:21]
	flat_load_dword v20, v[20:21]
	s_or_b64 exec, exec, s[0:1]
                                        ; implicit-def: $vgpr21
	s_and_saveexec_b64 s[0:1], s[40:41]
	s_cbranch_execz .LBB135_74
.LBB135_263:
	v_lshlrev_b32_e32 v34, 2, v22
	v_mov_b32_e32 v35, 0
	v_lshl_add_u64 v[34:35], s[60:61], 0, v[34:35]
	flat_load_dword v21, v[34:35]
	s_or_b64 exec, exec, s[0:1]
                                        ; implicit-def: $vgpr22
	s_and_saveexec_b64 s[0:1], s[42:43]
	s_cbranch_execz .LBB135_75
.LBB135_264:
	v_lshlrev_b32_e32 v22, 2, v23
	v_mov_b32_e32 v23, 0
	v_lshl_add_u64 v[22:23], s[60:61], 0, v[22:23]
	flat_load_dword v22, v[22:23]
	s_or_b64 exec, exec, s[0:1]
                                        ; implicit-def: $vgpr23
	s_and_saveexec_b64 s[0:1], s[44:45]
	s_cbranch_execz .LBB135_76
.LBB135_265:
	v_lshlrev_b32_e32 v34, 2, v24
	v_mov_b32_e32 v35, 0
	v_lshl_add_u64 v[34:35], s[60:61], 0, v[34:35]
	flat_load_dword v23, v[34:35]
	s_or_b64 exec, exec, s[0:1]
                                        ; implicit-def: $vgpr24
	s_and_saveexec_b64 s[0:1], s[46:47]
	s_cbranch_execz .LBB135_77
.LBB135_266:
	v_lshlrev_b32_e32 v24, 2, v25
	v_mov_b32_e32 v25, 0
	v_lshl_add_u64 v[24:25], s[60:61], 0, v[24:25]
	flat_load_dword v24, v[24:25]
	s_or_b64 exec, exec, s[0:1]
                                        ; implicit-def: $vgpr25
	s_and_saveexec_b64 s[0:1], s[48:49]
	s_cbranch_execz .LBB135_78
.LBB135_267:
	v_lshlrev_b32_e32 v34, 2, v26
	v_mov_b32_e32 v35, 0
	v_lshl_add_u64 v[34:35], s[60:61], 0, v[34:35]
	flat_load_dword v25, v[34:35]
	s_or_b64 exec, exec, s[0:1]
                                        ; implicit-def: $vgpr26
	s_and_saveexec_b64 s[0:1], s[50:51]
	s_cbranch_execz .LBB135_79
.LBB135_268:
	v_lshlrev_b32_e32 v26, 2, v27
	v_mov_b32_e32 v27, 0
	v_lshl_add_u64 v[26:27], s[60:61], 0, v[26:27]
	flat_load_dword v26, v[26:27]
	s_or_b64 exec, exec, s[0:1]
                                        ; implicit-def: $vgpr27
	s_and_saveexec_b64 s[0:1], s[52:53]
	s_cbranch_execnz .LBB135_80
	s_branch .LBB135_81
.LBB135_269:
	v_add_u32_e32 v1, -1, v0
	v_lshrrev_b32_e32 v2, 5, v1
	v_add_lshl_u32 v1, v2, v1, 3
	ds_read_b32 v1, v1
	s_or_b64 exec, exec, s[0:1]
	s_and_saveexec_b64 s[50:51], s[4:5]
	s_cbranch_execz .LBB135_193
.LBB135_270:
	v_and_b32_e32 v3, 0xff, v11
	v_mov_b32_e32 v2, 0
	v_cmp_eq_u64_e64 s[0:1], 0, v[2:3]
	;;#ASMSTART
	;;#ASMEND
	s_waitcnt lgkmcnt(0)
	s_nop 0
	v_cndmask_b32_e64 v1, 0, v1, s[0:1]
	v_add_u32_e32 v10, v1, v10
	v_cndmask_b32_e32 v1, 0, v10, vcc
	v_add_u32_e32 v58, v1, v12
	v_cndmask_b32_e64 v1, 0, v58, s[6:7]
	v_add_u32_e32 v59, v1, v14
	v_cndmask_b32_e64 v1, 0, v59, s[8:9]
	;; [unrolled: 2-line block ×21, first 2 shown]
	v_add_u32_e32 v79, v1, v56
	s_or_b64 exec, exec, s[50:51]
	s_and_saveexec_b64 s[0:1], s[54:55]
	s_cbranch_execnz .LBB135_194
	s_branch .LBB135_195
.LBB135_271:
                                        ; implicit-def: $sgpr0_sgpr1
	s_branch .LBB135_54
.LBB135_272:
                                        ; implicit-def: $sgpr0_sgpr1
	s_branch .LBB135_130
	.section	.rodata,"a",@progbits
	.p2align	6, 0x0
	.amdhsa_kernel _ZN7rocprim17ROCPRIM_400000_NS6detail17trampoline_kernelINS0_14default_configENS1_27scan_by_key_config_selectorIiiEEZZNS1_16scan_by_key_implILNS1_25lookback_scan_determinismE0ELb0ES3_N6thrust23THRUST_200600_302600_NS6detail15normal_iteratorINS9_10device_ptrIiEEEESE_SE_iNS9_4plusIvEENS9_8equal_toIvEEiEE10hipError_tPvRmT2_T3_T4_T5_mT6_T7_P12ihipStream_tbENKUlT_T0_E_clISt17integral_constantIbLb1EESZ_EEDaSU_SV_EUlSU_E_NS1_11comp_targetILNS1_3genE5ELNS1_11target_archE942ELNS1_3gpuE9ELNS1_3repE0EEENS1_30default_config_static_selectorELNS0_4arch9wavefront6targetE1EEEvT1_
		.amdhsa_group_segment_fixed_size 25600
		.amdhsa_private_segment_fixed_size 0
		.amdhsa_kernarg_size 112
		.amdhsa_user_sgpr_count 2
		.amdhsa_user_sgpr_dispatch_ptr 0
		.amdhsa_user_sgpr_queue_ptr 0
		.amdhsa_user_sgpr_kernarg_segment_ptr 1
		.amdhsa_user_sgpr_dispatch_id 0
		.amdhsa_user_sgpr_kernarg_preload_length 0
		.amdhsa_user_sgpr_kernarg_preload_offset 0
		.amdhsa_user_sgpr_private_segment_size 0
		.amdhsa_uses_dynamic_stack 0
		.amdhsa_enable_private_segment 0
		.amdhsa_system_sgpr_workgroup_id_x 1
		.amdhsa_system_sgpr_workgroup_id_y 0
		.amdhsa_system_sgpr_workgroup_id_z 0
		.amdhsa_system_sgpr_workgroup_info 0
		.amdhsa_system_vgpr_workitem_id 0
		.amdhsa_next_free_vgpr 81
		.amdhsa_next_free_sgpr 85
		.amdhsa_accum_offset 84
		.amdhsa_reserve_vcc 1
		.amdhsa_float_round_mode_32 0
		.amdhsa_float_round_mode_16_64 0
		.amdhsa_float_denorm_mode_32 3
		.amdhsa_float_denorm_mode_16_64 3
		.amdhsa_dx10_clamp 1
		.amdhsa_ieee_mode 1
		.amdhsa_fp16_overflow 0
		.amdhsa_tg_split 0
		.amdhsa_exception_fp_ieee_invalid_op 0
		.amdhsa_exception_fp_denorm_src 0
		.amdhsa_exception_fp_ieee_div_zero 0
		.amdhsa_exception_fp_ieee_overflow 0
		.amdhsa_exception_fp_ieee_underflow 0
		.amdhsa_exception_fp_ieee_inexact 0
		.amdhsa_exception_int_div_zero 0
	.end_amdhsa_kernel
	.section	.text._ZN7rocprim17ROCPRIM_400000_NS6detail17trampoline_kernelINS0_14default_configENS1_27scan_by_key_config_selectorIiiEEZZNS1_16scan_by_key_implILNS1_25lookback_scan_determinismE0ELb0ES3_N6thrust23THRUST_200600_302600_NS6detail15normal_iteratorINS9_10device_ptrIiEEEESE_SE_iNS9_4plusIvEENS9_8equal_toIvEEiEE10hipError_tPvRmT2_T3_T4_T5_mT6_T7_P12ihipStream_tbENKUlT_T0_E_clISt17integral_constantIbLb1EESZ_EEDaSU_SV_EUlSU_E_NS1_11comp_targetILNS1_3genE5ELNS1_11target_archE942ELNS1_3gpuE9ELNS1_3repE0EEENS1_30default_config_static_selectorELNS0_4arch9wavefront6targetE1EEEvT1_,"axG",@progbits,_ZN7rocprim17ROCPRIM_400000_NS6detail17trampoline_kernelINS0_14default_configENS1_27scan_by_key_config_selectorIiiEEZZNS1_16scan_by_key_implILNS1_25lookback_scan_determinismE0ELb0ES3_N6thrust23THRUST_200600_302600_NS6detail15normal_iteratorINS9_10device_ptrIiEEEESE_SE_iNS9_4plusIvEENS9_8equal_toIvEEiEE10hipError_tPvRmT2_T3_T4_T5_mT6_T7_P12ihipStream_tbENKUlT_T0_E_clISt17integral_constantIbLb1EESZ_EEDaSU_SV_EUlSU_E_NS1_11comp_targetILNS1_3genE5ELNS1_11target_archE942ELNS1_3gpuE9ELNS1_3repE0EEENS1_30default_config_static_selectorELNS0_4arch9wavefront6targetE1EEEvT1_,comdat
.Lfunc_end135:
	.size	_ZN7rocprim17ROCPRIM_400000_NS6detail17trampoline_kernelINS0_14default_configENS1_27scan_by_key_config_selectorIiiEEZZNS1_16scan_by_key_implILNS1_25lookback_scan_determinismE0ELb0ES3_N6thrust23THRUST_200600_302600_NS6detail15normal_iteratorINS9_10device_ptrIiEEEESE_SE_iNS9_4plusIvEENS9_8equal_toIvEEiEE10hipError_tPvRmT2_T3_T4_T5_mT6_T7_P12ihipStream_tbENKUlT_T0_E_clISt17integral_constantIbLb1EESZ_EEDaSU_SV_EUlSU_E_NS1_11comp_targetILNS1_3genE5ELNS1_11target_archE942ELNS1_3gpuE9ELNS1_3repE0EEENS1_30default_config_static_selectorELNS0_4arch9wavefront6targetE1EEEvT1_, .Lfunc_end135-_ZN7rocprim17ROCPRIM_400000_NS6detail17trampoline_kernelINS0_14default_configENS1_27scan_by_key_config_selectorIiiEEZZNS1_16scan_by_key_implILNS1_25lookback_scan_determinismE0ELb0ES3_N6thrust23THRUST_200600_302600_NS6detail15normal_iteratorINS9_10device_ptrIiEEEESE_SE_iNS9_4plusIvEENS9_8equal_toIvEEiEE10hipError_tPvRmT2_T3_T4_T5_mT6_T7_P12ihipStream_tbENKUlT_T0_E_clISt17integral_constantIbLb1EESZ_EEDaSU_SV_EUlSU_E_NS1_11comp_targetILNS1_3genE5ELNS1_11target_archE942ELNS1_3gpuE9ELNS1_3repE0EEENS1_30default_config_static_selectorELNS0_4arch9wavefront6targetE1EEEvT1_
                                        ; -- End function
	.section	.AMDGPU.csdata,"",@progbits
; Kernel info:
; codeLenInByte = 15672
; NumSgprs: 91
; NumVgprs: 81
; NumAgprs: 0
; TotalNumVgprs: 81
; ScratchSize: 0
; MemoryBound: 0
; FloatMode: 240
; IeeeMode: 1
; LDSByteSize: 25600 bytes/workgroup (compile time only)
; SGPRBlocks: 11
; VGPRBlocks: 10
; NumSGPRsForWavesPerEU: 91
; NumVGPRsForWavesPerEU: 81
; AccumOffset: 84
; Occupancy: 2
; WaveLimiterHint : 1
; COMPUTE_PGM_RSRC2:SCRATCH_EN: 0
; COMPUTE_PGM_RSRC2:USER_SGPR: 2
; COMPUTE_PGM_RSRC2:TRAP_HANDLER: 0
; COMPUTE_PGM_RSRC2:TGID_X_EN: 1
; COMPUTE_PGM_RSRC2:TGID_Y_EN: 0
; COMPUTE_PGM_RSRC2:TGID_Z_EN: 0
; COMPUTE_PGM_RSRC2:TIDIG_COMP_CNT: 0
; COMPUTE_PGM_RSRC3_GFX90A:ACCUM_OFFSET: 20
; COMPUTE_PGM_RSRC3_GFX90A:TG_SPLIT: 0
	.section	.text._ZN7rocprim17ROCPRIM_400000_NS6detail17trampoline_kernelINS0_14default_configENS1_27scan_by_key_config_selectorIiiEEZZNS1_16scan_by_key_implILNS1_25lookback_scan_determinismE0ELb0ES3_N6thrust23THRUST_200600_302600_NS6detail15normal_iteratorINS9_10device_ptrIiEEEESE_SE_iNS9_4plusIvEENS9_8equal_toIvEEiEE10hipError_tPvRmT2_T3_T4_T5_mT6_T7_P12ihipStream_tbENKUlT_T0_E_clISt17integral_constantIbLb1EESZ_EEDaSU_SV_EUlSU_E_NS1_11comp_targetILNS1_3genE4ELNS1_11target_archE910ELNS1_3gpuE8ELNS1_3repE0EEENS1_30default_config_static_selectorELNS0_4arch9wavefront6targetE1EEEvT1_,"axG",@progbits,_ZN7rocprim17ROCPRIM_400000_NS6detail17trampoline_kernelINS0_14default_configENS1_27scan_by_key_config_selectorIiiEEZZNS1_16scan_by_key_implILNS1_25lookback_scan_determinismE0ELb0ES3_N6thrust23THRUST_200600_302600_NS6detail15normal_iteratorINS9_10device_ptrIiEEEESE_SE_iNS9_4plusIvEENS9_8equal_toIvEEiEE10hipError_tPvRmT2_T3_T4_T5_mT6_T7_P12ihipStream_tbENKUlT_T0_E_clISt17integral_constantIbLb1EESZ_EEDaSU_SV_EUlSU_E_NS1_11comp_targetILNS1_3genE4ELNS1_11target_archE910ELNS1_3gpuE8ELNS1_3repE0EEENS1_30default_config_static_selectorELNS0_4arch9wavefront6targetE1EEEvT1_,comdat
	.protected	_ZN7rocprim17ROCPRIM_400000_NS6detail17trampoline_kernelINS0_14default_configENS1_27scan_by_key_config_selectorIiiEEZZNS1_16scan_by_key_implILNS1_25lookback_scan_determinismE0ELb0ES3_N6thrust23THRUST_200600_302600_NS6detail15normal_iteratorINS9_10device_ptrIiEEEESE_SE_iNS9_4plusIvEENS9_8equal_toIvEEiEE10hipError_tPvRmT2_T3_T4_T5_mT6_T7_P12ihipStream_tbENKUlT_T0_E_clISt17integral_constantIbLb1EESZ_EEDaSU_SV_EUlSU_E_NS1_11comp_targetILNS1_3genE4ELNS1_11target_archE910ELNS1_3gpuE8ELNS1_3repE0EEENS1_30default_config_static_selectorELNS0_4arch9wavefront6targetE1EEEvT1_ ; -- Begin function _ZN7rocprim17ROCPRIM_400000_NS6detail17trampoline_kernelINS0_14default_configENS1_27scan_by_key_config_selectorIiiEEZZNS1_16scan_by_key_implILNS1_25lookback_scan_determinismE0ELb0ES3_N6thrust23THRUST_200600_302600_NS6detail15normal_iteratorINS9_10device_ptrIiEEEESE_SE_iNS9_4plusIvEENS9_8equal_toIvEEiEE10hipError_tPvRmT2_T3_T4_T5_mT6_T7_P12ihipStream_tbENKUlT_T0_E_clISt17integral_constantIbLb1EESZ_EEDaSU_SV_EUlSU_E_NS1_11comp_targetILNS1_3genE4ELNS1_11target_archE910ELNS1_3gpuE8ELNS1_3repE0EEENS1_30default_config_static_selectorELNS0_4arch9wavefront6targetE1EEEvT1_
	.globl	_ZN7rocprim17ROCPRIM_400000_NS6detail17trampoline_kernelINS0_14default_configENS1_27scan_by_key_config_selectorIiiEEZZNS1_16scan_by_key_implILNS1_25lookback_scan_determinismE0ELb0ES3_N6thrust23THRUST_200600_302600_NS6detail15normal_iteratorINS9_10device_ptrIiEEEESE_SE_iNS9_4plusIvEENS9_8equal_toIvEEiEE10hipError_tPvRmT2_T3_T4_T5_mT6_T7_P12ihipStream_tbENKUlT_T0_E_clISt17integral_constantIbLb1EESZ_EEDaSU_SV_EUlSU_E_NS1_11comp_targetILNS1_3genE4ELNS1_11target_archE910ELNS1_3gpuE8ELNS1_3repE0EEENS1_30default_config_static_selectorELNS0_4arch9wavefront6targetE1EEEvT1_
	.p2align	8
	.type	_ZN7rocprim17ROCPRIM_400000_NS6detail17trampoline_kernelINS0_14default_configENS1_27scan_by_key_config_selectorIiiEEZZNS1_16scan_by_key_implILNS1_25lookback_scan_determinismE0ELb0ES3_N6thrust23THRUST_200600_302600_NS6detail15normal_iteratorINS9_10device_ptrIiEEEESE_SE_iNS9_4plusIvEENS9_8equal_toIvEEiEE10hipError_tPvRmT2_T3_T4_T5_mT6_T7_P12ihipStream_tbENKUlT_T0_E_clISt17integral_constantIbLb1EESZ_EEDaSU_SV_EUlSU_E_NS1_11comp_targetILNS1_3genE4ELNS1_11target_archE910ELNS1_3gpuE8ELNS1_3repE0EEENS1_30default_config_static_selectorELNS0_4arch9wavefront6targetE1EEEvT1_,@function
_ZN7rocprim17ROCPRIM_400000_NS6detail17trampoline_kernelINS0_14default_configENS1_27scan_by_key_config_selectorIiiEEZZNS1_16scan_by_key_implILNS1_25lookback_scan_determinismE0ELb0ES3_N6thrust23THRUST_200600_302600_NS6detail15normal_iteratorINS9_10device_ptrIiEEEESE_SE_iNS9_4plusIvEENS9_8equal_toIvEEiEE10hipError_tPvRmT2_T3_T4_T5_mT6_T7_P12ihipStream_tbENKUlT_T0_E_clISt17integral_constantIbLb1EESZ_EEDaSU_SV_EUlSU_E_NS1_11comp_targetILNS1_3genE4ELNS1_11target_archE910ELNS1_3gpuE8ELNS1_3repE0EEENS1_30default_config_static_selectorELNS0_4arch9wavefront6targetE1EEEvT1_: ; @_ZN7rocprim17ROCPRIM_400000_NS6detail17trampoline_kernelINS0_14default_configENS1_27scan_by_key_config_selectorIiiEEZZNS1_16scan_by_key_implILNS1_25lookback_scan_determinismE0ELb0ES3_N6thrust23THRUST_200600_302600_NS6detail15normal_iteratorINS9_10device_ptrIiEEEESE_SE_iNS9_4plusIvEENS9_8equal_toIvEEiEE10hipError_tPvRmT2_T3_T4_T5_mT6_T7_P12ihipStream_tbENKUlT_T0_E_clISt17integral_constantIbLb1EESZ_EEDaSU_SV_EUlSU_E_NS1_11comp_targetILNS1_3genE4ELNS1_11target_archE910ELNS1_3gpuE8ELNS1_3repE0EEENS1_30default_config_static_selectorELNS0_4arch9wavefront6targetE1EEEvT1_
; %bb.0:
	.section	.rodata,"a",@progbits
	.p2align	6, 0x0
	.amdhsa_kernel _ZN7rocprim17ROCPRIM_400000_NS6detail17trampoline_kernelINS0_14default_configENS1_27scan_by_key_config_selectorIiiEEZZNS1_16scan_by_key_implILNS1_25lookback_scan_determinismE0ELb0ES3_N6thrust23THRUST_200600_302600_NS6detail15normal_iteratorINS9_10device_ptrIiEEEESE_SE_iNS9_4plusIvEENS9_8equal_toIvEEiEE10hipError_tPvRmT2_T3_T4_T5_mT6_T7_P12ihipStream_tbENKUlT_T0_E_clISt17integral_constantIbLb1EESZ_EEDaSU_SV_EUlSU_E_NS1_11comp_targetILNS1_3genE4ELNS1_11target_archE910ELNS1_3gpuE8ELNS1_3repE0EEENS1_30default_config_static_selectorELNS0_4arch9wavefront6targetE1EEEvT1_
		.amdhsa_group_segment_fixed_size 0
		.amdhsa_private_segment_fixed_size 0
		.amdhsa_kernarg_size 112
		.amdhsa_user_sgpr_count 2
		.amdhsa_user_sgpr_dispatch_ptr 0
		.amdhsa_user_sgpr_queue_ptr 0
		.amdhsa_user_sgpr_kernarg_segment_ptr 1
		.amdhsa_user_sgpr_dispatch_id 0
		.amdhsa_user_sgpr_kernarg_preload_length 0
		.amdhsa_user_sgpr_kernarg_preload_offset 0
		.amdhsa_user_sgpr_private_segment_size 0
		.amdhsa_uses_dynamic_stack 0
		.amdhsa_enable_private_segment 0
		.amdhsa_system_sgpr_workgroup_id_x 1
		.amdhsa_system_sgpr_workgroup_id_y 0
		.amdhsa_system_sgpr_workgroup_id_z 0
		.amdhsa_system_sgpr_workgroup_info 0
		.amdhsa_system_vgpr_workitem_id 0
		.amdhsa_next_free_vgpr 1
		.amdhsa_next_free_sgpr 0
		.amdhsa_accum_offset 4
		.amdhsa_reserve_vcc 0
		.amdhsa_float_round_mode_32 0
		.amdhsa_float_round_mode_16_64 0
		.amdhsa_float_denorm_mode_32 3
		.amdhsa_float_denorm_mode_16_64 3
		.amdhsa_dx10_clamp 1
		.amdhsa_ieee_mode 1
		.amdhsa_fp16_overflow 0
		.amdhsa_tg_split 0
		.amdhsa_exception_fp_ieee_invalid_op 0
		.amdhsa_exception_fp_denorm_src 0
		.amdhsa_exception_fp_ieee_div_zero 0
		.amdhsa_exception_fp_ieee_overflow 0
		.amdhsa_exception_fp_ieee_underflow 0
		.amdhsa_exception_fp_ieee_inexact 0
		.amdhsa_exception_int_div_zero 0
	.end_amdhsa_kernel
	.section	.text._ZN7rocprim17ROCPRIM_400000_NS6detail17trampoline_kernelINS0_14default_configENS1_27scan_by_key_config_selectorIiiEEZZNS1_16scan_by_key_implILNS1_25lookback_scan_determinismE0ELb0ES3_N6thrust23THRUST_200600_302600_NS6detail15normal_iteratorINS9_10device_ptrIiEEEESE_SE_iNS9_4plusIvEENS9_8equal_toIvEEiEE10hipError_tPvRmT2_T3_T4_T5_mT6_T7_P12ihipStream_tbENKUlT_T0_E_clISt17integral_constantIbLb1EESZ_EEDaSU_SV_EUlSU_E_NS1_11comp_targetILNS1_3genE4ELNS1_11target_archE910ELNS1_3gpuE8ELNS1_3repE0EEENS1_30default_config_static_selectorELNS0_4arch9wavefront6targetE1EEEvT1_,"axG",@progbits,_ZN7rocprim17ROCPRIM_400000_NS6detail17trampoline_kernelINS0_14default_configENS1_27scan_by_key_config_selectorIiiEEZZNS1_16scan_by_key_implILNS1_25lookback_scan_determinismE0ELb0ES3_N6thrust23THRUST_200600_302600_NS6detail15normal_iteratorINS9_10device_ptrIiEEEESE_SE_iNS9_4plusIvEENS9_8equal_toIvEEiEE10hipError_tPvRmT2_T3_T4_T5_mT6_T7_P12ihipStream_tbENKUlT_T0_E_clISt17integral_constantIbLb1EESZ_EEDaSU_SV_EUlSU_E_NS1_11comp_targetILNS1_3genE4ELNS1_11target_archE910ELNS1_3gpuE8ELNS1_3repE0EEENS1_30default_config_static_selectorELNS0_4arch9wavefront6targetE1EEEvT1_,comdat
.Lfunc_end136:
	.size	_ZN7rocprim17ROCPRIM_400000_NS6detail17trampoline_kernelINS0_14default_configENS1_27scan_by_key_config_selectorIiiEEZZNS1_16scan_by_key_implILNS1_25lookback_scan_determinismE0ELb0ES3_N6thrust23THRUST_200600_302600_NS6detail15normal_iteratorINS9_10device_ptrIiEEEESE_SE_iNS9_4plusIvEENS9_8equal_toIvEEiEE10hipError_tPvRmT2_T3_T4_T5_mT6_T7_P12ihipStream_tbENKUlT_T0_E_clISt17integral_constantIbLb1EESZ_EEDaSU_SV_EUlSU_E_NS1_11comp_targetILNS1_3genE4ELNS1_11target_archE910ELNS1_3gpuE8ELNS1_3repE0EEENS1_30default_config_static_selectorELNS0_4arch9wavefront6targetE1EEEvT1_, .Lfunc_end136-_ZN7rocprim17ROCPRIM_400000_NS6detail17trampoline_kernelINS0_14default_configENS1_27scan_by_key_config_selectorIiiEEZZNS1_16scan_by_key_implILNS1_25lookback_scan_determinismE0ELb0ES3_N6thrust23THRUST_200600_302600_NS6detail15normal_iteratorINS9_10device_ptrIiEEEESE_SE_iNS9_4plusIvEENS9_8equal_toIvEEiEE10hipError_tPvRmT2_T3_T4_T5_mT6_T7_P12ihipStream_tbENKUlT_T0_E_clISt17integral_constantIbLb1EESZ_EEDaSU_SV_EUlSU_E_NS1_11comp_targetILNS1_3genE4ELNS1_11target_archE910ELNS1_3gpuE8ELNS1_3repE0EEENS1_30default_config_static_selectorELNS0_4arch9wavefront6targetE1EEEvT1_
                                        ; -- End function
	.section	.AMDGPU.csdata,"",@progbits
; Kernel info:
; codeLenInByte = 0
; NumSgprs: 6
; NumVgprs: 0
; NumAgprs: 0
; TotalNumVgprs: 0
; ScratchSize: 0
; MemoryBound: 0
; FloatMode: 240
; IeeeMode: 1
; LDSByteSize: 0 bytes/workgroup (compile time only)
; SGPRBlocks: 0
; VGPRBlocks: 0
; NumSGPRsForWavesPerEU: 6
; NumVGPRsForWavesPerEU: 1
; AccumOffset: 4
; Occupancy: 8
; WaveLimiterHint : 0
; COMPUTE_PGM_RSRC2:SCRATCH_EN: 0
; COMPUTE_PGM_RSRC2:USER_SGPR: 2
; COMPUTE_PGM_RSRC2:TRAP_HANDLER: 0
; COMPUTE_PGM_RSRC2:TGID_X_EN: 1
; COMPUTE_PGM_RSRC2:TGID_Y_EN: 0
; COMPUTE_PGM_RSRC2:TGID_Z_EN: 0
; COMPUTE_PGM_RSRC2:TIDIG_COMP_CNT: 0
; COMPUTE_PGM_RSRC3_GFX90A:ACCUM_OFFSET: 0
; COMPUTE_PGM_RSRC3_GFX90A:TG_SPLIT: 0
	.section	.text._ZN7rocprim17ROCPRIM_400000_NS6detail17trampoline_kernelINS0_14default_configENS1_27scan_by_key_config_selectorIiiEEZZNS1_16scan_by_key_implILNS1_25lookback_scan_determinismE0ELb0ES3_N6thrust23THRUST_200600_302600_NS6detail15normal_iteratorINS9_10device_ptrIiEEEESE_SE_iNS9_4plusIvEENS9_8equal_toIvEEiEE10hipError_tPvRmT2_T3_T4_T5_mT6_T7_P12ihipStream_tbENKUlT_T0_E_clISt17integral_constantIbLb1EESZ_EEDaSU_SV_EUlSU_E_NS1_11comp_targetILNS1_3genE3ELNS1_11target_archE908ELNS1_3gpuE7ELNS1_3repE0EEENS1_30default_config_static_selectorELNS0_4arch9wavefront6targetE1EEEvT1_,"axG",@progbits,_ZN7rocprim17ROCPRIM_400000_NS6detail17trampoline_kernelINS0_14default_configENS1_27scan_by_key_config_selectorIiiEEZZNS1_16scan_by_key_implILNS1_25lookback_scan_determinismE0ELb0ES3_N6thrust23THRUST_200600_302600_NS6detail15normal_iteratorINS9_10device_ptrIiEEEESE_SE_iNS9_4plusIvEENS9_8equal_toIvEEiEE10hipError_tPvRmT2_T3_T4_T5_mT6_T7_P12ihipStream_tbENKUlT_T0_E_clISt17integral_constantIbLb1EESZ_EEDaSU_SV_EUlSU_E_NS1_11comp_targetILNS1_3genE3ELNS1_11target_archE908ELNS1_3gpuE7ELNS1_3repE0EEENS1_30default_config_static_selectorELNS0_4arch9wavefront6targetE1EEEvT1_,comdat
	.protected	_ZN7rocprim17ROCPRIM_400000_NS6detail17trampoline_kernelINS0_14default_configENS1_27scan_by_key_config_selectorIiiEEZZNS1_16scan_by_key_implILNS1_25lookback_scan_determinismE0ELb0ES3_N6thrust23THRUST_200600_302600_NS6detail15normal_iteratorINS9_10device_ptrIiEEEESE_SE_iNS9_4plusIvEENS9_8equal_toIvEEiEE10hipError_tPvRmT2_T3_T4_T5_mT6_T7_P12ihipStream_tbENKUlT_T0_E_clISt17integral_constantIbLb1EESZ_EEDaSU_SV_EUlSU_E_NS1_11comp_targetILNS1_3genE3ELNS1_11target_archE908ELNS1_3gpuE7ELNS1_3repE0EEENS1_30default_config_static_selectorELNS0_4arch9wavefront6targetE1EEEvT1_ ; -- Begin function _ZN7rocprim17ROCPRIM_400000_NS6detail17trampoline_kernelINS0_14default_configENS1_27scan_by_key_config_selectorIiiEEZZNS1_16scan_by_key_implILNS1_25lookback_scan_determinismE0ELb0ES3_N6thrust23THRUST_200600_302600_NS6detail15normal_iteratorINS9_10device_ptrIiEEEESE_SE_iNS9_4plusIvEENS9_8equal_toIvEEiEE10hipError_tPvRmT2_T3_T4_T5_mT6_T7_P12ihipStream_tbENKUlT_T0_E_clISt17integral_constantIbLb1EESZ_EEDaSU_SV_EUlSU_E_NS1_11comp_targetILNS1_3genE3ELNS1_11target_archE908ELNS1_3gpuE7ELNS1_3repE0EEENS1_30default_config_static_selectorELNS0_4arch9wavefront6targetE1EEEvT1_
	.globl	_ZN7rocprim17ROCPRIM_400000_NS6detail17trampoline_kernelINS0_14default_configENS1_27scan_by_key_config_selectorIiiEEZZNS1_16scan_by_key_implILNS1_25lookback_scan_determinismE0ELb0ES3_N6thrust23THRUST_200600_302600_NS6detail15normal_iteratorINS9_10device_ptrIiEEEESE_SE_iNS9_4plusIvEENS9_8equal_toIvEEiEE10hipError_tPvRmT2_T3_T4_T5_mT6_T7_P12ihipStream_tbENKUlT_T0_E_clISt17integral_constantIbLb1EESZ_EEDaSU_SV_EUlSU_E_NS1_11comp_targetILNS1_3genE3ELNS1_11target_archE908ELNS1_3gpuE7ELNS1_3repE0EEENS1_30default_config_static_selectorELNS0_4arch9wavefront6targetE1EEEvT1_
	.p2align	8
	.type	_ZN7rocprim17ROCPRIM_400000_NS6detail17trampoline_kernelINS0_14default_configENS1_27scan_by_key_config_selectorIiiEEZZNS1_16scan_by_key_implILNS1_25lookback_scan_determinismE0ELb0ES3_N6thrust23THRUST_200600_302600_NS6detail15normal_iteratorINS9_10device_ptrIiEEEESE_SE_iNS9_4plusIvEENS9_8equal_toIvEEiEE10hipError_tPvRmT2_T3_T4_T5_mT6_T7_P12ihipStream_tbENKUlT_T0_E_clISt17integral_constantIbLb1EESZ_EEDaSU_SV_EUlSU_E_NS1_11comp_targetILNS1_3genE3ELNS1_11target_archE908ELNS1_3gpuE7ELNS1_3repE0EEENS1_30default_config_static_selectorELNS0_4arch9wavefront6targetE1EEEvT1_,@function
_ZN7rocprim17ROCPRIM_400000_NS6detail17trampoline_kernelINS0_14default_configENS1_27scan_by_key_config_selectorIiiEEZZNS1_16scan_by_key_implILNS1_25lookback_scan_determinismE0ELb0ES3_N6thrust23THRUST_200600_302600_NS6detail15normal_iteratorINS9_10device_ptrIiEEEESE_SE_iNS9_4plusIvEENS9_8equal_toIvEEiEE10hipError_tPvRmT2_T3_T4_T5_mT6_T7_P12ihipStream_tbENKUlT_T0_E_clISt17integral_constantIbLb1EESZ_EEDaSU_SV_EUlSU_E_NS1_11comp_targetILNS1_3genE3ELNS1_11target_archE908ELNS1_3gpuE7ELNS1_3repE0EEENS1_30default_config_static_selectorELNS0_4arch9wavefront6targetE1EEEvT1_: ; @_ZN7rocprim17ROCPRIM_400000_NS6detail17trampoline_kernelINS0_14default_configENS1_27scan_by_key_config_selectorIiiEEZZNS1_16scan_by_key_implILNS1_25lookback_scan_determinismE0ELb0ES3_N6thrust23THRUST_200600_302600_NS6detail15normal_iteratorINS9_10device_ptrIiEEEESE_SE_iNS9_4plusIvEENS9_8equal_toIvEEiEE10hipError_tPvRmT2_T3_T4_T5_mT6_T7_P12ihipStream_tbENKUlT_T0_E_clISt17integral_constantIbLb1EESZ_EEDaSU_SV_EUlSU_E_NS1_11comp_targetILNS1_3genE3ELNS1_11target_archE908ELNS1_3gpuE7ELNS1_3repE0EEENS1_30default_config_static_selectorELNS0_4arch9wavefront6targetE1EEEvT1_
; %bb.0:
	.section	.rodata,"a",@progbits
	.p2align	6, 0x0
	.amdhsa_kernel _ZN7rocprim17ROCPRIM_400000_NS6detail17trampoline_kernelINS0_14default_configENS1_27scan_by_key_config_selectorIiiEEZZNS1_16scan_by_key_implILNS1_25lookback_scan_determinismE0ELb0ES3_N6thrust23THRUST_200600_302600_NS6detail15normal_iteratorINS9_10device_ptrIiEEEESE_SE_iNS9_4plusIvEENS9_8equal_toIvEEiEE10hipError_tPvRmT2_T3_T4_T5_mT6_T7_P12ihipStream_tbENKUlT_T0_E_clISt17integral_constantIbLb1EESZ_EEDaSU_SV_EUlSU_E_NS1_11comp_targetILNS1_3genE3ELNS1_11target_archE908ELNS1_3gpuE7ELNS1_3repE0EEENS1_30default_config_static_selectorELNS0_4arch9wavefront6targetE1EEEvT1_
		.amdhsa_group_segment_fixed_size 0
		.amdhsa_private_segment_fixed_size 0
		.amdhsa_kernarg_size 112
		.amdhsa_user_sgpr_count 2
		.amdhsa_user_sgpr_dispatch_ptr 0
		.amdhsa_user_sgpr_queue_ptr 0
		.amdhsa_user_sgpr_kernarg_segment_ptr 1
		.amdhsa_user_sgpr_dispatch_id 0
		.amdhsa_user_sgpr_kernarg_preload_length 0
		.amdhsa_user_sgpr_kernarg_preload_offset 0
		.amdhsa_user_sgpr_private_segment_size 0
		.amdhsa_uses_dynamic_stack 0
		.amdhsa_enable_private_segment 0
		.amdhsa_system_sgpr_workgroup_id_x 1
		.amdhsa_system_sgpr_workgroup_id_y 0
		.amdhsa_system_sgpr_workgroup_id_z 0
		.amdhsa_system_sgpr_workgroup_info 0
		.amdhsa_system_vgpr_workitem_id 0
		.amdhsa_next_free_vgpr 1
		.amdhsa_next_free_sgpr 0
		.amdhsa_accum_offset 4
		.amdhsa_reserve_vcc 0
		.amdhsa_float_round_mode_32 0
		.amdhsa_float_round_mode_16_64 0
		.amdhsa_float_denorm_mode_32 3
		.amdhsa_float_denorm_mode_16_64 3
		.amdhsa_dx10_clamp 1
		.amdhsa_ieee_mode 1
		.amdhsa_fp16_overflow 0
		.amdhsa_tg_split 0
		.amdhsa_exception_fp_ieee_invalid_op 0
		.amdhsa_exception_fp_denorm_src 0
		.amdhsa_exception_fp_ieee_div_zero 0
		.amdhsa_exception_fp_ieee_overflow 0
		.amdhsa_exception_fp_ieee_underflow 0
		.amdhsa_exception_fp_ieee_inexact 0
		.amdhsa_exception_int_div_zero 0
	.end_amdhsa_kernel
	.section	.text._ZN7rocprim17ROCPRIM_400000_NS6detail17trampoline_kernelINS0_14default_configENS1_27scan_by_key_config_selectorIiiEEZZNS1_16scan_by_key_implILNS1_25lookback_scan_determinismE0ELb0ES3_N6thrust23THRUST_200600_302600_NS6detail15normal_iteratorINS9_10device_ptrIiEEEESE_SE_iNS9_4plusIvEENS9_8equal_toIvEEiEE10hipError_tPvRmT2_T3_T4_T5_mT6_T7_P12ihipStream_tbENKUlT_T0_E_clISt17integral_constantIbLb1EESZ_EEDaSU_SV_EUlSU_E_NS1_11comp_targetILNS1_3genE3ELNS1_11target_archE908ELNS1_3gpuE7ELNS1_3repE0EEENS1_30default_config_static_selectorELNS0_4arch9wavefront6targetE1EEEvT1_,"axG",@progbits,_ZN7rocprim17ROCPRIM_400000_NS6detail17trampoline_kernelINS0_14default_configENS1_27scan_by_key_config_selectorIiiEEZZNS1_16scan_by_key_implILNS1_25lookback_scan_determinismE0ELb0ES3_N6thrust23THRUST_200600_302600_NS6detail15normal_iteratorINS9_10device_ptrIiEEEESE_SE_iNS9_4plusIvEENS9_8equal_toIvEEiEE10hipError_tPvRmT2_T3_T4_T5_mT6_T7_P12ihipStream_tbENKUlT_T0_E_clISt17integral_constantIbLb1EESZ_EEDaSU_SV_EUlSU_E_NS1_11comp_targetILNS1_3genE3ELNS1_11target_archE908ELNS1_3gpuE7ELNS1_3repE0EEENS1_30default_config_static_selectorELNS0_4arch9wavefront6targetE1EEEvT1_,comdat
.Lfunc_end137:
	.size	_ZN7rocprim17ROCPRIM_400000_NS6detail17trampoline_kernelINS0_14default_configENS1_27scan_by_key_config_selectorIiiEEZZNS1_16scan_by_key_implILNS1_25lookback_scan_determinismE0ELb0ES3_N6thrust23THRUST_200600_302600_NS6detail15normal_iteratorINS9_10device_ptrIiEEEESE_SE_iNS9_4plusIvEENS9_8equal_toIvEEiEE10hipError_tPvRmT2_T3_T4_T5_mT6_T7_P12ihipStream_tbENKUlT_T0_E_clISt17integral_constantIbLb1EESZ_EEDaSU_SV_EUlSU_E_NS1_11comp_targetILNS1_3genE3ELNS1_11target_archE908ELNS1_3gpuE7ELNS1_3repE0EEENS1_30default_config_static_selectorELNS0_4arch9wavefront6targetE1EEEvT1_, .Lfunc_end137-_ZN7rocprim17ROCPRIM_400000_NS6detail17trampoline_kernelINS0_14default_configENS1_27scan_by_key_config_selectorIiiEEZZNS1_16scan_by_key_implILNS1_25lookback_scan_determinismE0ELb0ES3_N6thrust23THRUST_200600_302600_NS6detail15normal_iteratorINS9_10device_ptrIiEEEESE_SE_iNS9_4plusIvEENS9_8equal_toIvEEiEE10hipError_tPvRmT2_T3_T4_T5_mT6_T7_P12ihipStream_tbENKUlT_T0_E_clISt17integral_constantIbLb1EESZ_EEDaSU_SV_EUlSU_E_NS1_11comp_targetILNS1_3genE3ELNS1_11target_archE908ELNS1_3gpuE7ELNS1_3repE0EEENS1_30default_config_static_selectorELNS0_4arch9wavefront6targetE1EEEvT1_
                                        ; -- End function
	.section	.AMDGPU.csdata,"",@progbits
; Kernel info:
; codeLenInByte = 0
; NumSgprs: 6
; NumVgprs: 0
; NumAgprs: 0
; TotalNumVgprs: 0
; ScratchSize: 0
; MemoryBound: 0
; FloatMode: 240
; IeeeMode: 1
; LDSByteSize: 0 bytes/workgroup (compile time only)
; SGPRBlocks: 0
; VGPRBlocks: 0
; NumSGPRsForWavesPerEU: 6
; NumVGPRsForWavesPerEU: 1
; AccumOffset: 4
; Occupancy: 8
; WaveLimiterHint : 0
; COMPUTE_PGM_RSRC2:SCRATCH_EN: 0
; COMPUTE_PGM_RSRC2:USER_SGPR: 2
; COMPUTE_PGM_RSRC2:TRAP_HANDLER: 0
; COMPUTE_PGM_RSRC2:TGID_X_EN: 1
; COMPUTE_PGM_RSRC2:TGID_Y_EN: 0
; COMPUTE_PGM_RSRC2:TGID_Z_EN: 0
; COMPUTE_PGM_RSRC2:TIDIG_COMP_CNT: 0
; COMPUTE_PGM_RSRC3_GFX90A:ACCUM_OFFSET: 0
; COMPUTE_PGM_RSRC3_GFX90A:TG_SPLIT: 0
	.section	.text._ZN7rocprim17ROCPRIM_400000_NS6detail17trampoline_kernelINS0_14default_configENS1_27scan_by_key_config_selectorIiiEEZZNS1_16scan_by_key_implILNS1_25lookback_scan_determinismE0ELb0ES3_N6thrust23THRUST_200600_302600_NS6detail15normal_iteratorINS9_10device_ptrIiEEEESE_SE_iNS9_4plusIvEENS9_8equal_toIvEEiEE10hipError_tPvRmT2_T3_T4_T5_mT6_T7_P12ihipStream_tbENKUlT_T0_E_clISt17integral_constantIbLb1EESZ_EEDaSU_SV_EUlSU_E_NS1_11comp_targetILNS1_3genE2ELNS1_11target_archE906ELNS1_3gpuE6ELNS1_3repE0EEENS1_30default_config_static_selectorELNS0_4arch9wavefront6targetE1EEEvT1_,"axG",@progbits,_ZN7rocprim17ROCPRIM_400000_NS6detail17trampoline_kernelINS0_14default_configENS1_27scan_by_key_config_selectorIiiEEZZNS1_16scan_by_key_implILNS1_25lookback_scan_determinismE0ELb0ES3_N6thrust23THRUST_200600_302600_NS6detail15normal_iteratorINS9_10device_ptrIiEEEESE_SE_iNS9_4plusIvEENS9_8equal_toIvEEiEE10hipError_tPvRmT2_T3_T4_T5_mT6_T7_P12ihipStream_tbENKUlT_T0_E_clISt17integral_constantIbLb1EESZ_EEDaSU_SV_EUlSU_E_NS1_11comp_targetILNS1_3genE2ELNS1_11target_archE906ELNS1_3gpuE6ELNS1_3repE0EEENS1_30default_config_static_selectorELNS0_4arch9wavefront6targetE1EEEvT1_,comdat
	.protected	_ZN7rocprim17ROCPRIM_400000_NS6detail17trampoline_kernelINS0_14default_configENS1_27scan_by_key_config_selectorIiiEEZZNS1_16scan_by_key_implILNS1_25lookback_scan_determinismE0ELb0ES3_N6thrust23THRUST_200600_302600_NS6detail15normal_iteratorINS9_10device_ptrIiEEEESE_SE_iNS9_4plusIvEENS9_8equal_toIvEEiEE10hipError_tPvRmT2_T3_T4_T5_mT6_T7_P12ihipStream_tbENKUlT_T0_E_clISt17integral_constantIbLb1EESZ_EEDaSU_SV_EUlSU_E_NS1_11comp_targetILNS1_3genE2ELNS1_11target_archE906ELNS1_3gpuE6ELNS1_3repE0EEENS1_30default_config_static_selectorELNS0_4arch9wavefront6targetE1EEEvT1_ ; -- Begin function _ZN7rocprim17ROCPRIM_400000_NS6detail17trampoline_kernelINS0_14default_configENS1_27scan_by_key_config_selectorIiiEEZZNS1_16scan_by_key_implILNS1_25lookback_scan_determinismE0ELb0ES3_N6thrust23THRUST_200600_302600_NS6detail15normal_iteratorINS9_10device_ptrIiEEEESE_SE_iNS9_4plusIvEENS9_8equal_toIvEEiEE10hipError_tPvRmT2_T3_T4_T5_mT6_T7_P12ihipStream_tbENKUlT_T0_E_clISt17integral_constantIbLb1EESZ_EEDaSU_SV_EUlSU_E_NS1_11comp_targetILNS1_3genE2ELNS1_11target_archE906ELNS1_3gpuE6ELNS1_3repE0EEENS1_30default_config_static_selectorELNS0_4arch9wavefront6targetE1EEEvT1_
	.globl	_ZN7rocprim17ROCPRIM_400000_NS6detail17trampoline_kernelINS0_14default_configENS1_27scan_by_key_config_selectorIiiEEZZNS1_16scan_by_key_implILNS1_25lookback_scan_determinismE0ELb0ES3_N6thrust23THRUST_200600_302600_NS6detail15normal_iteratorINS9_10device_ptrIiEEEESE_SE_iNS9_4plusIvEENS9_8equal_toIvEEiEE10hipError_tPvRmT2_T3_T4_T5_mT6_T7_P12ihipStream_tbENKUlT_T0_E_clISt17integral_constantIbLb1EESZ_EEDaSU_SV_EUlSU_E_NS1_11comp_targetILNS1_3genE2ELNS1_11target_archE906ELNS1_3gpuE6ELNS1_3repE0EEENS1_30default_config_static_selectorELNS0_4arch9wavefront6targetE1EEEvT1_
	.p2align	8
	.type	_ZN7rocprim17ROCPRIM_400000_NS6detail17trampoline_kernelINS0_14default_configENS1_27scan_by_key_config_selectorIiiEEZZNS1_16scan_by_key_implILNS1_25lookback_scan_determinismE0ELb0ES3_N6thrust23THRUST_200600_302600_NS6detail15normal_iteratorINS9_10device_ptrIiEEEESE_SE_iNS9_4plusIvEENS9_8equal_toIvEEiEE10hipError_tPvRmT2_T3_T4_T5_mT6_T7_P12ihipStream_tbENKUlT_T0_E_clISt17integral_constantIbLb1EESZ_EEDaSU_SV_EUlSU_E_NS1_11comp_targetILNS1_3genE2ELNS1_11target_archE906ELNS1_3gpuE6ELNS1_3repE0EEENS1_30default_config_static_selectorELNS0_4arch9wavefront6targetE1EEEvT1_,@function
_ZN7rocprim17ROCPRIM_400000_NS6detail17trampoline_kernelINS0_14default_configENS1_27scan_by_key_config_selectorIiiEEZZNS1_16scan_by_key_implILNS1_25lookback_scan_determinismE0ELb0ES3_N6thrust23THRUST_200600_302600_NS6detail15normal_iteratorINS9_10device_ptrIiEEEESE_SE_iNS9_4plusIvEENS9_8equal_toIvEEiEE10hipError_tPvRmT2_T3_T4_T5_mT6_T7_P12ihipStream_tbENKUlT_T0_E_clISt17integral_constantIbLb1EESZ_EEDaSU_SV_EUlSU_E_NS1_11comp_targetILNS1_3genE2ELNS1_11target_archE906ELNS1_3gpuE6ELNS1_3repE0EEENS1_30default_config_static_selectorELNS0_4arch9wavefront6targetE1EEEvT1_: ; @_ZN7rocprim17ROCPRIM_400000_NS6detail17trampoline_kernelINS0_14default_configENS1_27scan_by_key_config_selectorIiiEEZZNS1_16scan_by_key_implILNS1_25lookback_scan_determinismE0ELb0ES3_N6thrust23THRUST_200600_302600_NS6detail15normal_iteratorINS9_10device_ptrIiEEEESE_SE_iNS9_4plusIvEENS9_8equal_toIvEEiEE10hipError_tPvRmT2_T3_T4_T5_mT6_T7_P12ihipStream_tbENKUlT_T0_E_clISt17integral_constantIbLb1EESZ_EEDaSU_SV_EUlSU_E_NS1_11comp_targetILNS1_3genE2ELNS1_11target_archE906ELNS1_3gpuE6ELNS1_3repE0EEENS1_30default_config_static_selectorELNS0_4arch9wavefront6targetE1EEEvT1_
; %bb.0:
	.section	.rodata,"a",@progbits
	.p2align	6, 0x0
	.amdhsa_kernel _ZN7rocprim17ROCPRIM_400000_NS6detail17trampoline_kernelINS0_14default_configENS1_27scan_by_key_config_selectorIiiEEZZNS1_16scan_by_key_implILNS1_25lookback_scan_determinismE0ELb0ES3_N6thrust23THRUST_200600_302600_NS6detail15normal_iteratorINS9_10device_ptrIiEEEESE_SE_iNS9_4plusIvEENS9_8equal_toIvEEiEE10hipError_tPvRmT2_T3_T4_T5_mT6_T7_P12ihipStream_tbENKUlT_T0_E_clISt17integral_constantIbLb1EESZ_EEDaSU_SV_EUlSU_E_NS1_11comp_targetILNS1_3genE2ELNS1_11target_archE906ELNS1_3gpuE6ELNS1_3repE0EEENS1_30default_config_static_selectorELNS0_4arch9wavefront6targetE1EEEvT1_
		.amdhsa_group_segment_fixed_size 0
		.amdhsa_private_segment_fixed_size 0
		.amdhsa_kernarg_size 112
		.amdhsa_user_sgpr_count 2
		.amdhsa_user_sgpr_dispatch_ptr 0
		.amdhsa_user_sgpr_queue_ptr 0
		.amdhsa_user_sgpr_kernarg_segment_ptr 1
		.amdhsa_user_sgpr_dispatch_id 0
		.amdhsa_user_sgpr_kernarg_preload_length 0
		.amdhsa_user_sgpr_kernarg_preload_offset 0
		.amdhsa_user_sgpr_private_segment_size 0
		.amdhsa_uses_dynamic_stack 0
		.amdhsa_enable_private_segment 0
		.amdhsa_system_sgpr_workgroup_id_x 1
		.amdhsa_system_sgpr_workgroup_id_y 0
		.amdhsa_system_sgpr_workgroup_id_z 0
		.amdhsa_system_sgpr_workgroup_info 0
		.amdhsa_system_vgpr_workitem_id 0
		.amdhsa_next_free_vgpr 1
		.amdhsa_next_free_sgpr 0
		.amdhsa_accum_offset 4
		.amdhsa_reserve_vcc 0
		.amdhsa_float_round_mode_32 0
		.amdhsa_float_round_mode_16_64 0
		.amdhsa_float_denorm_mode_32 3
		.amdhsa_float_denorm_mode_16_64 3
		.amdhsa_dx10_clamp 1
		.amdhsa_ieee_mode 1
		.amdhsa_fp16_overflow 0
		.amdhsa_tg_split 0
		.amdhsa_exception_fp_ieee_invalid_op 0
		.amdhsa_exception_fp_denorm_src 0
		.amdhsa_exception_fp_ieee_div_zero 0
		.amdhsa_exception_fp_ieee_overflow 0
		.amdhsa_exception_fp_ieee_underflow 0
		.amdhsa_exception_fp_ieee_inexact 0
		.amdhsa_exception_int_div_zero 0
	.end_amdhsa_kernel
	.section	.text._ZN7rocprim17ROCPRIM_400000_NS6detail17trampoline_kernelINS0_14default_configENS1_27scan_by_key_config_selectorIiiEEZZNS1_16scan_by_key_implILNS1_25lookback_scan_determinismE0ELb0ES3_N6thrust23THRUST_200600_302600_NS6detail15normal_iteratorINS9_10device_ptrIiEEEESE_SE_iNS9_4plusIvEENS9_8equal_toIvEEiEE10hipError_tPvRmT2_T3_T4_T5_mT6_T7_P12ihipStream_tbENKUlT_T0_E_clISt17integral_constantIbLb1EESZ_EEDaSU_SV_EUlSU_E_NS1_11comp_targetILNS1_3genE2ELNS1_11target_archE906ELNS1_3gpuE6ELNS1_3repE0EEENS1_30default_config_static_selectorELNS0_4arch9wavefront6targetE1EEEvT1_,"axG",@progbits,_ZN7rocprim17ROCPRIM_400000_NS6detail17trampoline_kernelINS0_14default_configENS1_27scan_by_key_config_selectorIiiEEZZNS1_16scan_by_key_implILNS1_25lookback_scan_determinismE0ELb0ES3_N6thrust23THRUST_200600_302600_NS6detail15normal_iteratorINS9_10device_ptrIiEEEESE_SE_iNS9_4plusIvEENS9_8equal_toIvEEiEE10hipError_tPvRmT2_T3_T4_T5_mT6_T7_P12ihipStream_tbENKUlT_T0_E_clISt17integral_constantIbLb1EESZ_EEDaSU_SV_EUlSU_E_NS1_11comp_targetILNS1_3genE2ELNS1_11target_archE906ELNS1_3gpuE6ELNS1_3repE0EEENS1_30default_config_static_selectorELNS0_4arch9wavefront6targetE1EEEvT1_,comdat
.Lfunc_end138:
	.size	_ZN7rocprim17ROCPRIM_400000_NS6detail17trampoline_kernelINS0_14default_configENS1_27scan_by_key_config_selectorIiiEEZZNS1_16scan_by_key_implILNS1_25lookback_scan_determinismE0ELb0ES3_N6thrust23THRUST_200600_302600_NS6detail15normal_iteratorINS9_10device_ptrIiEEEESE_SE_iNS9_4plusIvEENS9_8equal_toIvEEiEE10hipError_tPvRmT2_T3_T4_T5_mT6_T7_P12ihipStream_tbENKUlT_T0_E_clISt17integral_constantIbLb1EESZ_EEDaSU_SV_EUlSU_E_NS1_11comp_targetILNS1_3genE2ELNS1_11target_archE906ELNS1_3gpuE6ELNS1_3repE0EEENS1_30default_config_static_selectorELNS0_4arch9wavefront6targetE1EEEvT1_, .Lfunc_end138-_ZN7rocprim17ROCPRIM_400000_NS6detail17trampoline_kernelINS0_14default_configENS1_27scan_by_key_config_selectorIiiEEZZNS1_16scan_by_key_implILNS1_25lookback_scan_determinismE0ELb0ES3_N6thrust23THRUST_200600_302600_NS6detail15normal_iteratorINS9_10device_ptrIiEEEESE_SE_iNS9_4plusIvEENS9_8equal_toIvEEiEE10hipError_tPvRmT2_T3_T4_T5_mT6_T7_P12ihipStream_tbENKUlT_T0_E_clISt17integral_constantIbLb1EESZ_EEDaSU_SV_EUlSU_E_NS1_11comp_targetILNS1_3genE2ELNS1_11target_archE906ELNS1_3gpuE6ELNS1_3repE0EEENS1_30default_config_static_selectorELNS0_4arch9wavefront6targetE1EEEvT1_
                                        ; -- End function
	.section	.AMDGPU.csdata,"",@progbits
; Kernel info:
; codeLenInByte = 0
; NumSgprs: 6
; NumVgprs: 0
; NumAgprs: 0
; TotalNumVgprs: 0
; ScratchSize: 0
; MemoryBound: 0
; FloatMode: 240
; IeeeMode: 1
; LDSByteSize: 0 bytes/workgroup (compile time only)
; SGPRBlocks: 0
; VGPRBlocks: 0
; NumSGPRsForWavesPerEU: 6
; NumVGPRsForWavesPerEU: 1
; AccumOffset: 4
; Occupancy: 8
; WaveLimiterHint : 0
; COMPUTE_PGM_RSRC2:SCRATCH_EN: 0
; COMPUTE_PGM_RSRC2:USER_SGPR: 2
; COMPUTE_PGM_RSRC2:TRAP_HANDLER: 0
; COMPUTE_PGM_RSRC2:TGID_X_EN: 1
; COMPUTE_PGM_RSRC2:TGID_Y_EN: 0
; COMPUTE_PGM_RSRC2:TGID_Z_EN: 0
; COMPUTE_PGM_RSRC2:TIDIG_COMP_CNT: 0
; COMPUTE_PGM_RSRC3_GFX90A:ACCUM_OFFSET: 0
; COMPUTE_PGM_RSRC3_GFX90A:TG_SPLIT: 0
	.section	.text._ZN7rocprim17ROCPRIM_400000_NS6detail17trampoline_kernelINS0_14default_configENS1_27scan_by_key_config_selectorIiiEEZZNS1_16scan_by_key_implILNS1_25lookback_scan_determinismE0ELb0ES3_N6thrust23THRUST_200600_302600_NS6detail15normal_iteratorINS9_10device_ptrIiEEEESE_SE_iNS9_4plusIvEENS9_8equal_toIvEEiEE10hipError_tPvRmT2_T3_T4_T5_mT6_T7_P12ihipStream_tbENKUlT_T0_E_clISt17integral_constantIbLb1EESZ_EEDaSU_SV_EUlSU_E_NS1_11comp_targetILNS1_3genE10ELNS1_11target_archE1200ELNS1_3gpuE4ELNS1_3repE0EEENS1_30default_config_static_selectorELNS0_4arch9wavefront6targetE1EEEvT1_,"axG",@progbits,_ZN7rocprim17ROCPRIM_400000_NS6detail17trampoline_kernelINS0_14default_configENS1_27scan_by_key_config_selectorIiiEEZZNS1_16scan_by_key_implILNS1_25lookback_scan_determinismE0ELb0ES3_N6thrust23THRUST_200600_302600_NS6detail15normal_iteratorINS9_10device_ptrIiEEEESE_SE_iNS9_4plusIvEENS9_8equal_toIvEEiEE10hipError_tPvRmT2_T3_T4_T5_mT6_T7_P12ihipStream_tbENKUlT_T0_E_clISt17integral_constantIbLb1EESZ_EEDaSU_SV_EUlSU_E_NS1_11comp_targetILNS1_3genE10ELNS1_11target_archE1200ELNS1_3gpuE4ELNS1_3repE0EEENS1_30default_config_static_selectorELNS0_4arch9wavefront6targetE1EEEvT1_,comdat
	.protected	_ZN7rocprim17ROCPRIM_400000_NS6detail17trampoline_kernelINS0_14default_configENS1_27scan_by_key_config_selectorIiiEEZZNS1_16scan_by_key_implILNS1_25lookback_scan_determinismE0ELb0ES3_N6thrust23THRUST_200600_302600_NS6detail15normal_iteratorINS9_10device_ptrIiEEEESE_SE_iNS9_4plusIvEENS9_8equal_toIvEEiEE10hipError_tPvRmT2_T3_T4_T5_mT6_T7_P12ihipStream_tbENKUlT_T0_E_clISt17integral_constantIbLb1EESZ_EEDaSU_SV_EUlSU_E_NS1_11comp_targetILNS1_3genE10ELNS1_11target_archE1200ELNS1_3gpuE4ELNS1_3repE0EEENS1_30default_config_static_selectorELNS0_4arch9wavefront6targetE1EEEvT1_ ; -- Begin function _ZN7rocprim17ROCPRIM_400000_NS6detail17trampoline_kernelINS0_14default_configENS1_27scan_by_key_config_selectorIiiEEZZNS1_16scan_by_key_implILNS1_25lookback_scan_determinismE0ELb0ES3_N6thrust23THRUST_200600_302600_NS6detail15normal_iteratorINS9_10device_ptrIiEEEESE_SE_iNS9_4plusIvEENS9_8equal_toIvEEiEE10hipError_tPvRmT2_T3_T4_T5_mT6_T7_P12ihipStream_tbENKUlT_T0_E_clISt17integral_constantIbLb1EESZ_EEDaSU_SV_EUlSU_E_NS1_11comp_targetILNS1_3genE10ELNS1_11target_archE1200ELNS1_3gpuE4ELNS1_3repE0EEENS1_30default_config_static_selectorELNS0_4arch9wavefront6targetE1EEEvT1_
	.globl	_ZN7rocprim17ROCPRIM_400000_NS6detail17trampoline_kernelINS0_14default_configENS1_27scan_by_key_config_selectorIiiEEZZNS1_16scan_by_key_implILNS1_25lookback_scan_determinismE0ELb0ES3_N6thrust23THRUST_200600_302600_NS6detail15normal_iteratorINS9_10device_ptrIiEEEESE_SE_iNS9_4plusIvEENS9_8equal_toIvEEiEE10hipError_tPvRmT2_T3_T4_T5_mT6_T7_P12ihipStream_tbENKUlT_T0_E_clISt17integral_constantIbLb1EESZ_EEDaSU_SV_EUlSU_E_NS1_11comp_targetILNS1_3genE10ELNS1_11target_archE1200ELNS1_3gpuE4ELNS1_3repE0EEENS1_30default_config_static_selectorELNS0_4arch9wavefront6targetE1EEEvT1_
	.p2align	8
	.type	_ZN7rocprim17ROCPRIM_400000_NS6detail17trampoline_kernelINS0_14default_configENS1_27scan_by_key_config_selectorIiiEEZZNS1_16scan_by_key_implILNS1_25lookback_scan_determinismE0ELb0ES3_N6thrust23THRUST_200600_302600_NS6detail15normal_iteratorINS9_10device_ptrIiEEEESE_SE_iNS9_4plusIvEENS9_8equal_toIvEEiEE10hipError_tPvRmT2_T3_T4_T5_mT6_T7_P12ihipStream_tbENKUlT_T0_E_clISt17integral_constantIbLb1EESZ_EEDaSU_SV_EUlSU_E_NS1_11comp_targetILNS1_3genE10ELNS1_11target_archE1200ELNS1_3gpuE4ELNS1_3repE0EEENS1_30default_config_static_selectorELNS0_4arch9wavefront6targetE1EEEvT1_,@function
_ZN7rocprim17ROCPRIM_400000_NS6detail17trampoline_kernelINS0_14default_configENS1_27scan_by_key_config_selectorIiiEEZZNS1_16scan_by_key_implILNS1_25lookback_scan_determinismE0ELb0ES3_N6thrust23THRUST_200600_302600_NS6detail15normal_iteratorINS9_10device_ptrIiEEEESE_SE_iNS9_4plusIvEENS9_8equal_toIvEEiEE10hipError_tPvRmT2_T3_T4_T5_mT6_T7_P12ihipStream_tbENKUlT_T0_E_clISt17integral_constantIbLb1EESZ_EEDaSU_SV_EUlSU_E_NS1_11comp_targetILNS1_3genE10ELNS1_11target_archE1200ELNS1_3gpuE4ELNS1_3repE0EEENS1_30default_config_static_selectorELNS0_4arch9wavefront6targetE1EEEvT1_: ; @_ZN7rocprim17ROCPRIM_400000_NS6detail17trampoline_kernelINS0_14default_configENS1_27scan_by_key_config_selectorIiiEEZZNS1_16scan_by_key_implILNS1_25lookback_scan_determinismE0ELb0ES3_N6thrust23THRUST_200600_302600_NS6detail15normal_iteratorINS9_10device_ptrIiEEEESE_SE_iNS9_4plusIvEENS9_8equal_toIvEEiEE10hipError_tPvRmT2_T3_T4_T5_mT6_T7_P12ihipStream_tbENKUlT_T0_E_clISt17integral_constantIbLb1EESZ_EEDaSU_SV_EUlSU_E_NS1_11comp_targetILNS1_3genE10ELNS1_11target_archE1200ELNS1_3gpuE4ELNS1_3repE0EEENS1_30default_config_static_selectorELNS0_4arch9wavefront6targetE1EEEvT1_
; %bb.0:
	.section	.rodata,"a",@progbits
	.p2align	6, 0x0
	.amdhsa_kernel _ZN7rocprim17ROCPRIM_400000_NS6detail17trampoline_kernelINS0_14default_configENS1_27scan_by_key_config_selectorIiiEEZZNS1_16scan_by_key_implILNS1_25lookback_scan_determinismE0ELb0ES3_N6thrust23THRUST_200600_302600_NS6detail15normal_iteratorINS9_10device_ptrIiEEEESE_SE_iNS9_4plusIvEENS9_8equal_toIvEEiEE10hipError_tPvRmT2_T3_T4_T5_mT6_T7_P12ihipStream_tbENKUlT_T0_E_clISt17integral_constantIbLb1EESZ_EEDaSU_SV_EUlSU_E_NS1_11comp_targetILNS1_3genE10ELNS1_11target_archE1200ELNS1_3gpuE4ELNS1_3repE0EEENS1_30default_config_static_selectorELNS0_4arch9wavefront6targetE1EEEvT1_
		.amdhsa_group_segment_fixed_size 0
		.amdhsa_private_segment_fixed_size 0
		.amdhsa_kernarg_size 112
		.amdhsa_user_sgpr_count 2
		.amdhsa_user_sgpr_dispatch_ptr 0
		.amdhsa_user_sgpr_queue_ptr 0
		.amdhsa_user_sgpr_kernarg_segment_ptr 1
		.amdhsa_user_sgpr_dispatch_id 0
		.amdhsa_user_sgpr_kernarg_preload_length 0
		.amdhsa_user_sgpr_kernarg_preload_offset 0
		.amdhsa_user_sgpr_private_segment_size 0
		.amdhsa_uses_dynamic_stack 0
		.amdhsa_enable_private_segment 0
		.amdhsa_system_sgpr_workgroup_id_x 1
		.amdhsa_system_sgpr_workgroup_id_y 0
		.amdhsa_system_sgpr_workgroup_id_z 0
		.amdhsa_system_sgpr_workgroup_info 0
		.amdhsa_system_vgpr_workitem_id 0
		.amdhsa_next_free_vgpr 1
		.amdhsa_next_free_sgpr 0
		.amdhsa_accum_offset 4
		.amdhsa_reserve_vcc 0
		.amdhsa_float_round_mode_32 0
		.amdhsa_float_round_mode_16_64 0
		.amdhsa_float_denorm_mode_32 3
		.amdhsa_float_denorm_mode_16_64 3
		.amdhsa_dx10_clamp 1
		.amdhsa_ieee_mode 1
		.amdhsa_fp16_overflow 0
		.amdhsa_tg_split 0
		.amdhsa_exception_fp_ieee_invalid_op 0
		.amdhsa_exception_fp_denorm_src 0
		.amdhsa_exception_fp_ieee_div_zero 0
		.amdhsa_exception_fp_ieee_overflow 0
		.amdhsa_exception_fp_ieee_underflow 0
		.amdhsa_exception_fp_ieee_inexact 0
		.amdhsa_exception_int_div_zero 0
	.end_amdhsa_kernel
	.section	.text._ZN7rocprim17ROCPRIM_400000_NS6detail17trampoline_kernelINS0_14default_configENS1_27scan_by_key_config_selectorIiiEEZZNS1_16scan_by_key_implILNS1_25lookback_scan_determinismE0ELb0ES3_N6thrust23THRUST_200600_302600_NS6detail15normal_iteratorINS9_10device_ptrIiEEEESE_SE_iNS9_4plusIvEENS9_8equal_toIvEEiEE10hipError_tPvRmT2_T3_T4_T5_mT6_T7_P12ihipStream_tbENKUlT_T0_E_clISt17integral_constantIbLb1EESZ_EEDaSU_SV_EUlSU_E_NS1_11comp_targetILNS1_3genE10ELNS1_11target_archE1200ELNS1_3gpuE4ELNS1_3repE0EEENS1_30default_config_static_selectorELNS0_4arch9wavefront6targetE1EEEvT1_,"axG",@progbits,_ZN7rocprim17ROCPRIM_400000_NS6detail17trampoline_kernelINS0_14default_configENS1_27scan_by_key_config_selectorIiiEEZZNS1_16scan_by_key_implILNS1_25lookback_scan_determinismE0ELb0ES3_N6thrust23THRUST_200600_302600_NS6detail15normal_iteratorINS9_10device_ptrIiEEEESE_SE_iNS9_4plusIvEENS9_8equal_toIvEEiEE10hipError_tPvRmT2_T3_T4_T5_mT6_T7_P12ihipStream_tbENKUlT_T0_E_clISt17integral_constantIbLb1EESZ_EEDaSU_SV_EUlSU_E_NS1_11comp_targetILNS1_3genE10ELNS1_11target_archE1200ELNS1_3gpuE4ELNS1_3repE0EEENS1_30default_config_static_selectorELNS0_4arch9wavefront6targetE1EEEvT1_,comdat
.Lfunc_end139:
	.size	_ZN7rocprim17ROCPRIM_400000_NS6detail17trampoline_kernelINS0_14default_configENS1_27scan_by_key_config_selectorIiiEEZZNS1_16scan_by_key_implILNS1_25lookback_scan_determinismE0ELb0ES3_N6thrust23THRUST_200600_302600_NS6detail15normal_iteratorINS9_10device_ptrIiEEEESE_SE_iNS9_4plusIvEENS9_8equal_toIvEEiEE10hipError_tPvRmT2_T3_T4_T5_mT6_T7_P12ihipStream_tbENKUlT_T0_E_clISt17integral_constantIbLb1EESZ_EEDaSU_SV_EUlSU_E_NS1_11comp_targetILNS1_3genE10ELNS1_11target_archE1200ELNS1_3gpuE4ELNS1_3repE0EEENS1_30default_config_static_selectorELNS0_4arch9wavefront6targetE1EEEvT1_, .Lfunc_end139-_ZN7rocprim17ROCPRIM_400000_NS6detail17trampoline_kernelINS0_14default_configENS1_27scan_by_key_config_selectorIiiEEZZNS1_16scan_by_key_implILNS1_25lookback_scan_determinismE0ELb0ES3_N6thrust23THRUST_200600_302600_NS6detail15normal_iteratorINS9_10device_ptrIiEEEESE_SE_iNS9_4plusIvEENS9_8equal_toIvEEiEE10hipError_tPvRmT2_T3_T4_T5_mT6_T7_P12ihipStream_tbENKUlT_T0_E_clISt17integral_constantIbLb1EESZ_EEDaSU_SV_EUlSU_E_NS1_11comp_targetILNS1_3genE10ELNS1_11target_archE1200ELNS1_3gpuE4ELNS1_3repE0EEENS1_30default_config_static_selectorELNS0_4arch9wavefront6targetE1EEEvT1_
                                        ; -- End function
	.section	.AMDGPU.csdata,"",@progbits
; Kernel info:
; codeLenInByte = 0
; NumSgprs: 6
; NumVgprs: 0
; NumAgprs: 0
; TotalNumVgprs: 0
; ScratchSize: 0
; MemoryBound: 0
; FloatMode: 240
; IeeeMode: 1
; LDSByteSize: 0 bytes/workgroup (compile time only)
; SGPRBlocks: 0
; VGPRBlocks: 0
; NumSGPRsForWavesPerEU: 6
; NumVGPRsForWavesPerEU: 1
; AccumOffset: 4
; Occupancy: 8
; WaveLimiterHint : 0
; COMPUTE_PGM_RSRC2:SCRATCH_EN: 0
; COMPUTE_PGM_RSRC2:USER_SGPR: 2
; COMPUTE_PGM_RSRC2:TRAP_HANDLER: 0
; COMPUTE_PGM_RSRC2:TGID_X_EN: 1
; COMPUTE_PGM_RSRC2:TGID_Y_EN: 0
; COMPUTE_PGM_RSRC2:TGID_Z_EN: 0
; COMPUTE_PGM_RSRC2:TIDIG_COMP_CNT: 0
; COMPUTE_PGM_RSRC3_GFX90A:ACCUM_OFFSET: 0
; COMPUTE_PGM_RSRC3_GFX90A:TG_SPLIT: 0
	.section	.text._ZN7rocprim17ROCPRIM_400000_NS6detail17trampoline_kernelINS0_14default_configENS1_27scan_by_key_config_selectorIiiEEZZNS1_16scan_by_key_implILNS1_25lookback_scan_determinismE0ELb0ES3_N6thrust23THRUST_200600_302600_NS6detail15normal_iteratorINS9_10device_ptrIiEEEESE_SE_iNS9_4plusIvEENS9_8equal_toIvEEiEE10hipError_tPvRmT2_T3_T4_T5_mT6_T7_P12ihipStream_tbENKUlT_T0_E_clISt17integral_constantIbLb1EESZ_EEDaSU_SV_EUlSU_E_NS1_11comp_targetILNS1_3genE9ELNS1_11target_archE1100ELNS1_3gpuE3ELNS1_3repE0EEENS1_30default_config_static_selectorELNS0_4arch9wavefront6targetE1EEEvT1_,"axG",@progbits,_ZN7rocprim17ROCPRIM_400000_NS6detail17trampoline_kernelINS0_14default_configENS1_27scan_by_key_config_selectorIiiEEZZNS1_16scan_by_key_implILNS1_25lookback_scan_determinismE0ELb0ES3_N6thrust23THRUST_200600_302600_NS6detail15normal_iteratorINS9_10device_ptrIiEEEESE_SE_iNS9_4plusIvEENS9_8equal_toIvEEiEE10hipError_tPvRmT2_T3_T4_T5_mT6_T7_P12ihipStream_tbENKUlT_T0_E_clISt17integral_constantIbLb1EESZ_EEDaSU_SV_EUlSU_E_NS1_11comp_targetILNS1_3genE9ELNS1_11target_archE1100ELNS1_3gpuE3ELNS1_3repE0EEENS1_30default_config_static_selectorELNS0_4arch9wavefront6targetE1EEEvT1_,comdat
	.protected	_ZN7rocprim17ROCPRIM_400000_NS6detail17trampoline_kernelINS0_14default_configENS1_27scan_by_key_config_selectorIiiEEZZNS1_16scan_by_key_implILNS1_25lookback_scan_determinismE0ELb0ES3_N6thrust23THRUST_200600_302600_NS6detail15normal_iteratorINS9_10device_ptrIiEEEESE_SE_iNS9_4plusIvEENS9_8equal_toIvEEiEE10hipError_tPvRmT2_T3_T4_T5_mT6_T7_P12ihipStream_tbENKUlT_T0_E_clISt17integral_constantIbLb1EESZ_EEDaSU_SV_EUlSU_E_NS1_11comp_targetILNS1_3genE9ELNS1_11target_archE1100ELNS1_3gpuE3ELNS1_3repE0EEENS1_30default_config_static_selectorELNS0_4arch9wavefront6targetE1EEEvT1_ ; -- Begin function _ZN7rocprim17ROCPRIM_400000_NS6detail17trampoline_kernelINS0_14default_configENS1_27scan_by_key_config_selectorIiiEEZZNS1_16scan_by_key_implILNS1_25lookback_scan_determinismE0ELb0ES3_N6thrust23THRUST_200600_302600_NS6detail15normal_iteratorINS9_10device_ptrIiEEEESE_SE_iNS9_4plusIvEENS9_8equal_toIvEEiEE10hipError_tPvRmT2_T3_T4_T5_mT6_T7_P12ihipStream_tbENKUlT_T0_E_clISt17integral_constantIbLb1EESZ_EEDaSU_SV_EUlSU_E_NS1_11comp_targetILNS1_3genE9ELNS1_11target_archE1100ELNS1_3gpuE3ELNS1_3repE0EEENS1_30default_config_static_selectorELNS0_4arch9wavefront6targetE1EEEvT1_
	.globl	_ZN7rocprim17ROCPRIM_400000_NS6detail17trampoline_kernelINS0_14default_configENS1_27scan_by_key_config_selectorIiiEEZZNS1_16scan_by_key_implILNS1_25lookback_scan_determinismE0ELb0ES3_N6thrust23THRUST_200600_302600_NS6detail15normal_iteratorINS9_10device_ptrIiEEEESE_SE_iNS9_4plusIvEENS9_8equal_toIvEEiEE10hipError_tPvRmT2_T3_T4_T5_mT6_T7_P12ihipStream_tbENKUlT_T0_E_clISt17integral_constantIbLb1EESZ_EEDaSU_SV_EUlSU_E_NS1_11comp_targetILNS1_3genE9ELNS1_11target_archE1100ELNS1_3gpuE3ELNS1_3repE0EEENS1_30default_config_static_selectorELNS0_4arch9wavefront6targetE1EEEvT1_
	.p2align	8
	.type	_ZN7rocprim17ROCPRIM_400000_NS6detail17trampoline_kernelINS0_14default_configENS1_27scan_by_key_config_selectorIiiEEZZNS1_16scan_by_key_implILNS1_25lookback_scan_determinismE0ELb0ES3_N6thrust23THRUST_200600_302600_NS6detail15normal_iteratorINS9_10device_ptrIiEEEESE_SE_iNS9_4plusIvEENS9_8equal_toIvEEiEE10hipError_tPvRmT2_T3_T4_T5_mT6_T7_P12ihipStream_tbENKUlT_T0_E_clISt17integral_constantIbLb1EESZ_EEDaSU_SV_EUlSU_E_NS1_11comp_targetILNS1_3genE9ELNS1_11target_archE1100ELNS1_3gpuE3ELNS1_3repE0EEENS1_30default_config_static_selectorELNS0_4arch9wavefront6targetE1EEEvT1_,@function
_ZN7rocprim17ROCPRIM_400000_NS6detail17trampoline_kernelINS0_14default_configENS1_27scan_by_key_config_selectorIiiEEZZNS1_16scan_by_key_implILNS1_25lookback_scan_determinismE0ELb0ES3_N6thrust23THRUST_200600_302600_NS6detail15normal_iteratorINS9_10device_ptrIiEEEESE_SE_iNS9_4plusIvEENS9_8equal_toIvEEiEE10hipError_tPvRmT2_T3_T4_T5_mT6_T7_P12ihipStream_tbENKUlT_T0_E_clISt17integral_constantIbLb1EESZ_EEDaSU_SV_EUlSU_E_NS1_11comp_targetILNS1_3genE9ELNS1_11target_archE1100ELNS1_3gpuE3ELNS1_3repE0EEENS1_30default_config_static_selectorELNS0_4arch9wavefront6targetE1EEEvT1_: ; @_ZN7rocprim17ROCPRIM_400000_NS6detail17trampoline_kernelINS0_14default_configENS1_27scan_by_key_config_selectorIiiEEZZNS1_16scan_by_key_implILNS1_25lookback_scan_determinismE0ELb0ES3_N6thrust23THRUST_200600_302600_NS6detail15normal_iteratorINS9_10device_ptrIiEEEESE_SE_iNS9_4plusIvEENS9_8equal_toIvEEiEE10hipError_tPvRmT2_T3_T4_T5_mT6_T7_P12ihipStream_tbENKUlT_T0_E_clISt17integral_constantIbLb1EESZ_EEDaSU_SV_EUlSU_E_NS1_11comp_targetILNS1_3genE9ELNS1_11target_archE1100ELNS1_3gpuE3ELNS1_3repE0EEENS1_30default_config_static_selectorELNS0_4arch9wavefront6targetE1EEEvT1_
; %bb.0:
	.section	.rodata,"a",@progbits
	.p2align	6, 0x0
	.amdhsa_kernel _ZN7rocprim17ROCPRIM_400000_NS6detail17trampoline_kernelINS0_14default_configENS1_27scan_by_key_config_selectorIiiEEZZNS1_16scan_by_key_implILNS1_25lookback_scan_determinismE0ELb0ES3_N6thrust23THRUST_200600_302600_NS6detail15normal_iteratorINS9_10device_ptrIiEEEESE_SE_iNS9_4plusIvEENS9_8equal_toIvEEiEE10hipError_tPvRmT2_T3_T4_T5_mT6_T7_P12ihipStream_tbENKUlT_T0_E_clISt17integral_constantIbLb1EESZ_EEDaSU_SV_EUlSU_E_NS1_11comp_targetILNS1_3genE9ELNS1_11target_archE1100ELNS1_3gpuE3ELNS1_3repE0EEENS1_30default_config_static_selectorELNS0_4arch9wavefront6targetE1EEEvT1_
		.amdhsa_group_segment_fixed_size 0
		.amdhsa_private_segment_fixed_size 0
		.amdhsa_kernarg_size 112
		.amdhsa_user_sgpr_count 2
		.amdhsa_user_sgpr_dispatch_ptr 0
		.amdhsa_user_sgpr_queue_ptr 0
		.amdhsa_user_sgpr_kernarg_segment_ptr 1
		.amdhsa_user_sgpr_dispatch_id 0
		.amdhsa_user_sgpr_kernarg_preload_length 0
		.amdhsa_user_sgpr_kernarg_preload_offset 0
		.amdhsa_user_sgpr_private_segment_size 0
		.amdhsa_uses_dynamic_stack 0
		.amdhsa_enable_private_segment 0
		.amdhsa_system_sgpr_workgroup_id_x 1
		.amdhsa_system_sgpr_workgroup_id_y 0
		.amdhsa_system_sgpr_workgroup_id_z 0
		.amdhsa_system_sgpr_workgroup_info 0
		.amdhsa_system_vgpr_workitem_id 0
		.amdhsa_next_free_vgpr 1
		.amdhsa_next_free_sgpr 0
		.amdhsa_accum_offset 4
		.amdhsa_reserve_vcc 0
		.amdhsa_float_round_mode_32 0
		.amdhsa_float_round_mode_16_64 0
		.amdhsa_float_denorm_mode_32 3
		.amdhsa_float_denorm_mode_16_64 3
		.amdhsa_dx10_clamp 1
		.amdhsa_ieee_mode 1
		.amdhsa_fp16_overflow 0
		.amdhsa_tg_split 0
		.amdhsa_exception_fp_ieee_invalid_op 0
		.amdhsa_exception_fp_denorm_src 0
		.amdhsa_exception_fp_ieee_div_zero 0
		.amdhsa_exception_fp_ieee_overflow 0
		.amdhsa_exception_fp_ieee_underflow 0
		.amdhsa_exception_fp_ieee_inexact 0
		.amdhsa_exception_int_div_zero 0
	.end_amdhsa_kernel
	.section	.text._ZN7rocprim17ROCPRIM_400000_NS6detail17trampoline_kernelINS0_14default_configENS1_27scan_by_key_config_selectorIiiEEZZNS1_16scan_by_key_implILNS1_25lookback_scan_determinismE0ELb0ES3_N6thrust23THRUST_200600_302600_NS6detail15normal_iteratorINS9_10device_ptrIiEEEESE_SE_iNS9_4plusIvEENS9_8equal_toIvEEiEE10hipError_tPvRmT2_T3_T4_T5_mT6_T7_P12ihipStream_tbENKUlT_T0_E_clISt17integral_constantIbLb1EESZ_EEDaSU_SV_EUlSU_E_NS1_11comp_targetILNS1_3genE9ELNS1_11target_archE1100ELNS1_3gpuE3ELNS1_3repE0EEENS1_30default_config_static_selectorELNS0_4arch9wavefront6targetE1EEEvT1_,"axG",@progbits,_ZN7rocprim17ROCPRIM_400000_NS6detail17trampoline_kernelINS0_14default_configENS1_27scan_by_key_config_selectorIiiEEZZNS1_16scan_by_key_implILNS1_25lookback_scan_determinismE0ELb0ES3_N6thrust23THRUST_200600_302600_NS6detail15normal_iteratorINS9_10device_ptrIiEEEESE_SE_iNS9_4plusIvEENS9_8equal_toIvEEiEE10hipError_tPvRmT2_T3_T4_T5_mT6_T7_P12ihipStream_tbENKUlT_T0_E_clISt17integral_constantIbLb1EESZ_EEDaSU_SV_EUlSU_E_NS1_11comp_targetILNS1_3genE9ELNS1_11target_archE1100ELNS1_3gpuE3ELNS1_3repE0EEENS1_30default_config_static_selectorELNS0_4arch9wavefront6targetE1EEEvT1_,comdat
.Lfunc_end140:
	.size	_ZN7rocprim17ROCPRIM_400000_NS6detail17trampoline_kernelINS0_14default_configENS1_27scan_by_key_config_selectorIiiEEZZNS1_16scan_by_key_implILNS1_25lookback_scan_determinismE0ELb0ES3_N6thrust23THRUST_200600_302600_NS6detail15normal_iteratorINS9_10device_ptrIiEEEESE_SE_iNS9_4plusIvEENS9_8equal_toIvEEiEE10hipError_tPvRmT2_T3_T4_T5_mT6_T7_P12ihipStream_tbENKUlT_T0_E_clISt17integral_constantIbLb1EESZ_EEDaSU_SV_EUlSU_E_NS1_11comp_targetILNS1_3genE9ELNS1_11target_archE1100ELNS1_3gpuE3ELNS1_3repE0EEENS1_30default_config_static_selectorELNS0_4arch9wavefront6targetE1EEEvT1_, .Lfunc_end140-_ZN7rocprim17ROCPRIM_400000_NS6detail17trampoline_kernelINS0_14default_configENS1_27scan_by_key_config_selectorIiiEEZZNS1_16scan_by_key_implILNS1_25lookback_scan_determinismE0ELb0ES3_N6thrust23THRUST_200600_302600_NS6detail15normal_iteratorINS9_10device_ptrIiEEEESE_SE_iNS9_4plusIvEENS9_8equal_toIvEEiEE10hipError_tPvRmT2_T3_T4_T5_mT6_T7_P12ihipStream_tbENKUlT_T0_E_clISt17integral_constantIbLb1EESZ_EEDaSU_SV_EUlSU_E_NS1_11comp_targetILNS1_3genE9ELNS1_11target_archE1100ELNS1_3gpuE3ELNS1_3repE0EEENS1_30default_config_static_selectorELNS0_4arch9wavefront6targetE1EEEvT1_
                                        ; -- End function
	.section	.AMDGPU.csdata,"",@progbits
; Kernel info:
; codeLenInByte = 0
; NumSgprs: 6
; NumVgprs: 0
; NumAgprs: 0
; TotalNumVgprs: 0
; ScratchSize: 0
; MemoryBound: 0
; FloatMode: 240
; IeeeMode: 1
; LDSByteSize: 0 bytes/workgroup (compile time only)
; SGPRBlocks: 0
; VGPRBlocks: 0
; NumSGPRsForWavesPerEU: 6
; NumVGPRsForWavesPerEU: 1
; AccumOffset: 4
; Occupancy: 8
; WaveLimiterHint : 0
; COMPUTE_PGM_RSRC2:SCRATCH_EN: 0
; COMPUTE_PGM_RSRC2:USER_SGPR: 2
; COMPUTE_PGM_RSRC2:TRAP_HANDLER: 0
; COMPUTE_PGM_RSRC2:TGID_X_EN: 1
; COMPUTE_PGM_RSRC2:TGID_Y_EN: 0
; COMPUTE_PGM_RSRC2:TGID_Z_EN: 0
; COMPUTE_PGM_RSRC2:TIDIG_COMP_CNT: 0
; COMPUTE_PGM_RSRC3_GFX90A:ACCUM_OFFSET: 0
; COMPUTE_PGM_RSRC3_GFX90A:TG_SPLIT: 0
	.section	.text._ZN7rocprim17ROCPRIM_400000_NS6detail17trampoline_kernelINS0_14default_configENS1_27scan_by_key_config_selectorIiiEEZZNS1_16scan_by_key_implILNS1_25lookback_scan_determinismE0ELb0ES3_N6thrust23THRUST_200600_302600_NS6detail15normal_iteratorINS9_10device_ptrIiEEEESE_SE_iNS9_4plusIvEENS9_8equal_toIvEEiEE10hipError_tPvRmT2_T3_T4_T5_mT6_T7_P12ihipStream_tbENKUlT_T0_E_clISt17integral_constantIbLb1EESZ_EEDaSU_SV_EUlSU_E_NS1_11comp_targetILNS1_3genE8ELNS1_11target_archE1030ELNS1_3gpuE2ELNS1_3repE0EEENS1_30default_config_static_selectorELNS0_4arch9wavefront6targetE1EEEvT1_,"axG",@progbits,_ZN7rocprim17ROCPRIM_400000_NS6detail17trampoline_kernelINS0_14default_configENS1_27scan_by_key_config_selectorIiiEEZZNS1_16scan_by_key_implILNS1_25lookback_scan_determinismE0ELb0ES3_N6thrust23THRUST_200600_302600_NS6detail15normal_iteratorINS9_10device_ptrIiEEEESE_SE_iNS9_4plusIvEENS9_8equal_toIvEEiEE10hipError_tPvRmT2_T3_T4_T5_mT6_T7_P12ihipStream_tbENKUlT_T0_E_clISt17integral_constantIbLb1EESZ_EEDaSU_SV_EUlSU_E_NS1_11comp_targetILNS1_3genE8ELNS1_11target_archE1030ELNS1_3gpuE2ELNS1_3repE0EEENS1_30default_config_static_selectorELNS0_4arch9wavefront6targetE1EEEvT1_,comdat
	.protected	_ZN7rocprim17ROCPRIM_400000_NS6detail17trampoline_kernelINS0_14default_configENS1_27scan_by_key_config_selectorIiiEEZZNS1_16scan_by_key_implILNS1_25lookback_scan_determinismE0ELb0ES3_N6thrust23THRUST_200600_302600_NS6detail15normal_iteratorINS9_10device_ptrIiEEEESE_SE_iNS9_4plusIvEENS9_8equal_toIvEEiEE10hipError_tPvRmT2_T3_T4_T5_mT6_T7_P12ihipStream_tbENKUlT_T0_E_clISt17integral_constantIbLb1EESZ_EEDaSU_SV_EUlSU_E_NS1_11comp_targetILNS1_3genE8ELNS1_11target_archE1030ELNS1_3gpuE2ELNS1_3repE0EEENS1_30default_config_static_selectorELNS0_4arch9wavefront6targetE1EEEvT1_ ; -- Begin function _ZN7rocprim17ROCPRIM_400000_NS6detail17trampoline_kernelINS0_14default_configENS1_27scan_by_key_config_selectorIiiEEZZNS1_16scan_by_key_implILNS1_25lookback_scan_determinismE0ELb0ES3_N6thrust23THRUST_200600_302600_NS6detail15normal_iteratorINS9_10device_ptrIiEEEESE_SE_iNS9_4plusIvEENS9_8equal_toIvEEiEE10hipError_tPvRmT2_T3_T4_T5_mT6_T7_P12ihipStream_tbENKUlT_T0_E_clISt17integral_constantIbLb1EESZ_EEDaSU_SV_EUlSU_E_NS1_11comp_targetILNS1_3genE8ELNS1_11target_archE1030ELNS1_3gpuE2ELNS1_3repE0EEENS1_30default_config_static_selectorELNS0_4arch9wavefront6targetE1EEEvT1_
	.globl	_ZN7rocprim17ROCPRIM_400000_NS6detail17trampoline_kernelINS0_14default_configENS1_27scan_by_key_config_selectorIiiEEZZNS1_16scan_by_key_implILNS1_25lookback_scan_determinismE0ELb0ES3_N6thrust23THRUST_200600_302600_NS6detail15normal_iteratorINS9_10device_ptrIiEEEESE_SE_iNS9_4plusIvEENS9_8equal_toIvEEiEE10hipError_tPvRmT2_T3_T4_T5_mT6_T7_P12ihipStream_tbENKUlT_T0_E_clISt17integral_constantIbLb1EESZ_EEDaSU_SV_EUlSU_E_NS1_11comp_targetILNS1_3genE8ELNS1_11target_archE1030ELNS1_3gpuE2ELNS1_3repE0EEENS1_30default_config_static_selectorELNS0_4arch9wavefront6targetE1EEEvT1_
	.p2align	8
	.type	_ZN7rocprim17ROCPRIM_400000_NS6detail17trampoline_kernelINS0_14default_configENS1_27scan_by_key_config_selectorIiiEEZZNS1_16scan_by_key_implILNS1_25lookback_scan_determinismE0ELb0ES3_N6thrust23THRUST_200600_302600_NS6detail15normal_iteratorINS9_10device_ptrIiEEEESE_SE_iNS9_4plusIvEENS9_8equal_toIvEEiEE10hipError_tPvRmT2_T3_T4_T5_mT6_T7_P12ihipStream_tbENKUlT_T0_E_clISt17integral_constantIbLb1EESZ_EEDaSU_SV_EUlSU_E_NS1_11comp_targetILNS1_3genE8ELNS1_11target_archE1030ELNS1_3gpuE2ELNS1_3repE0EEENS1_30default_config_static_selectorELNS0_4arch9wavefront6targetE1EEEvT1_,@function
_ZN7rocprim17ROCPRIM_400000_NS6detail17trampoline_kernelINS0_14default_configENS1_27scan_by_key_config_selectorIiiEEZZNS1_16scan_by_key_implILNS1_25lookback_scan_determinismE0ELb0ES3_N6thrust23THRUST_200600_302600_NS6detail15normal_iteratorINS9_10device_ptrIiEEEESE_SE_iNS9_4plusIvEENS9_8equal_toIvEEiEE10hipError_tPvRmT2_T3_T4_T5_mT6_T7_P12ihipStream_tbENKUlT_T0_E_clISt17integral_constantIbLb1EESZ_EEDaSU_SV_EUlSU_E_NS1_11comp_targetILNS1_3genE8ELNS1_11target_archE1030ELNS1_3gpuE2ELNS1_3repE0EEENS1_30default_config_static_selectorELNS0_4arch9wavefront6targetE1EEEvT1_: ; @_ZN7rocprim17ROCPRIM_400000_NS6detail17trampoline_kernelINS0_14default_configENS1_27scan_by_key_config_selectorIiiEEZZNS1_16scan_by_key_implILNS1_25lookback_scan_determinismE0ELb0ES3_N6thrust23THRUST_200600_302600_NS6detail15normal_iteratorINS9_10device_ptrIiEEEESE_SE_iNS9_4plusIvEENS9_8equal_toIvEEiEE10hipError_tPvRmT2_T3_T4_T5_mT6_T7_P12ihipStream_tbENKUlT_T0_E_clISt17integral_constantIbLb1EESZ_EEDaSU_SV_EUlSU_E_NS1_11comp_targetILNS1_3genE8ELNS1_11target_archE1030ELNS1_3gpuE2ELNS1_3repE0EEENS1_30default_config_static_selectorELNS0_4arch9wavefront6targetE1EEEvT1_
; %bb.0:
	.section	.rodata,"a",@progbits
	.p2align	6, 0x0
	.amdhsa_kernel _ZN7rocprim17ROCPRIM_400000_NS6detail17trampoline_kernelINS0_14default_configENS1_27scan_by_key_config_selectorIiiEEZZNS1_16scan_by_key_implILNS1_25lookback_scan_determinismE0ELb0ES3_N6thrust23THRUST_200600_302600_NS6detail15normal_iteratorINS9_10device_ptrIiEEEESE_SE_iNS9_4plusIvEENS9_8equal_toIvEEiEE10hipError_tPvRmT2_T3_T4_T5_mT6_T7_P12ihipStream_tbENKUlT_T0_E_clISt17integral_constantIbLb1EESZ_EEDaSU_SV_EUlSU_E_NS1_11comp_targetILNS1_3genE8ELNS1_11target_archE1030ELNS1_3gpuE2ELNS1_3repE0EEENS1_30default_config_static_selectorELNS0_4arch9wavefront6targetE1EEEvT1_
		.amdhsa_group_segment_fixed_size 0
		.amdhsa_private_segment_fixed_size 0
		.amdhsa_kernarg_size 112
		.amdhsa_user_sgpr_count 2
		.amdhsa_user_sgpr_dispatch_ptr 0
		.amdhsa_user_sgpr_queue_ptr 0
		.amdhsa_user_sgpr_kernarg_segment_ptr 1
		.amdhsa_user_sgpr_dispatch_id 0
		.amdhsa_user_sgpr_kernarg_preload_length 0
		.amdhsa_user_sgpr_kernarg_preload_offset 0
		.amdhsa_user_sgpr_private_segment_size 0
		.amdhsa_uses_dynamic_stack 0
		.amdhsa_enable_private_segment 0
		.amdhsa_system_sgpr_workgroup_id_x 1
		.amdhsa_system_sgpr_workgroup_id_y 0
		.amdhsa_system_sgpr_workgroup_id_z 0
		.amdhsa_system_sgpr_workgroup_info 0
		.amdhsa_system_vgpr_workitem_id 0
		.amdhsa_next_free_vgpr 1
		.amdhsa_next_free_sgpr 0
		.amdhsa_accum_offset 4
		.amdhsa_reserve_vcc 0
		.amdhsa_float_round_mode_32 0
		.amdhsa_float_round_mode_16_64 0
		.amdhsa_float_denorm_mode_32 3
		.amdhsa_float_denorm_mode_16_64 3
		.amdhsa_dx10_clamp 1
		.amdhsa_ieee_mode 1
		.amdhsa_fp16_overflow 0
		.amdhsa_tg_split 0
		.amdhsa_exception_fp_ieee_invalid_op 0
		.amdhsa_exception_fp_denorm_src 0
		.amdhsa_exception_fp_ieee_div_zero 0
		.amdhsa_exception_fp_ieee_overflow 0
		.amdhsa_exception_fp_ieee_underflow 0
		.amdhsa_exception_fp_ieee_inexact 0
		.amdhsa_exception_int_div_zero 0
	.end_amdhsa_kernel
	.section	.text._ZN7rocprim17ROCPRIM_400000_NS6detail17trampoline_kernelINS0_14default_configENS1_27scan_by_key_config_selectorIiiEEZZNS1_16scan_by_key_implILNS1_25lookback_scan_determinismE0ELb0ES3_N6thrust23THRUST_200600_302600_NS6detail15normal_iteratorINS9_10device_ptrIiEEEESE_SE_iNS9_4plusIvEENS9_8equal_toIvEEiEE10hipError_tPvRmT2_T3_T4_T5_mT6_T7_P12ihipStream_tbENKUlT_T0_E_clISt17integral_constantIbLb1EESZ_EEDaSU_SV_EUlSU_E_NS1_11comp_targetILNS1_3genE8ELNS1_11target_archE1030ELNS1_3gpuE2ELNS1_3repE0EEENS1_30default_config_static_selectorELNS0_4arch9wavefront6targetE1EEEvT1_,"axG",@progbits,_ZN7rocprim17ROCPRIM_400000_NS6detail17trampoline_kernelINS0_14default_configENS1_27scan_by_key_config_selectorIiiEEZZNS1_16scan_by_key_implILNS1_25lookback_scan_determinismE0ELb0ES3_N6thrust23THRUST_200600_302600_NS6detail15normal_iteratorINS9_10device_ptrIiEEEESE_SE_iNS9_4plusIvEENS9_8equal_toIvEEiEE10hipError_tPvRmT2_T3_T4_T5_mT6_T7_P12ihipStream_tbENKUlT_T0_E_clISt17integral_constantIbLb1EESZ_EEDaSU_SV_EUlSU_E_NS1_11comp_targetILNS1_3genE8ELNS1_11target_archE1030ELNS1_3gpuE2ELNS1_3repE0EEENS1_30default_config_static_selectorELNS0_4arch9wavefront6targetE1EEEvT1_,comdat
.Lfunc_end141:
	.size	_ZN7rocprim17ROCPRIM_400000_NS6detail17trampoline_kernelINS0_14default_configENS1_27scan_by_key_config_selectorIiiEEZZNS1_16scan_by_key_implILNS1_25lookback_scan_determinismE0ELb0ES3_N6thrust23THRUST_200600_302600_NS6detail15normal_iteratorINS9_10device_ptrIiEEEESE_SE_iNS9_4plusIvEENS9_8equal_toIvEEiEE10hipError_tPvRmT2_T3_T4_T5_mT6_T7_P12ihipStream_tbENKUlT_T0_E_clISt17integral_constantIbLb1EESZ_EEDaSU_SV_EUlSU_E_NS1_11comp_targetILNS1_3genE8ELNS1_11target_archE1030ELNS1_3gpuE2ELNS1_3repE0EEENS1_30default_config_static_selectorELNS0_4arch9wavefront6targetE1EEEvT1_, .Lfunc_end141-_ZN7rocprim17ROCPRIM_400000_NS6detail17trampoline_kernelINS0_14default_configENS1_27scan_by_key_config_selectorIiiEEZZNS1_16scan_by_key_implILNS1_25lookback_scan_determinismE0ELb0ES3_N6thrust23THRUST_200600_302600_NS6detail15normal_iteratorINS9_10device_ptrIiEEEESE_SE_iNS9_4plusIvEENS9_8equal_toIvEEiEE10hipError_tPvRmT2_T3_T4_T5_mT6_T7_P12ihipStream_tbENKUlT_T0_E_clISt17integral_constantIbLb1EESZ_EEDaSU_SV_EUlSU_E_NS1_11comp_targetILNS1_3genE8ELNS1_11target_archE1030ELNS1_3gpuE2ELNS1_3repE0EEENS1_30default_config_static_selectorELNS0_4arch9wavefront6targetE1EEEvT1_
                                        ; -- End function
	.section	.AMDGPU.csdata,"",@progbits
; Kernel info:
; codeLenInByte = 0
; NumSgprs: 6
; NumVgprs: 0
; NumAgprs: 0
; TotalNumVgprs: 0
; ScratchSize: 0
; MemoryBound: 0
; FloatMode: 240
; IeeeMode: 1
; LDSByteSize: 0 bytes/workgroup (compile time only)
; SGPRBlocks: 0
; VGPRBlocks: 0
; NumSGPRsForWavesPerEU: 6
; NumVGPRsForWavesPerEU: 1
; AccumOffset: 4
; Occupancy: 8
; WaveLimiterHint : 0
; COMPUTE_PGM_RSRC2:SCRATCH_EN: 0
; COMPUTE_PGM_RSRC2:USER_SGPR: 2
; COMPUTE_PGM_RSRC2:TRAP_HANDLER: 0
; COMPUTE_PGM_RSRC2:TGID_X_EN: 1
; COMPUTE_PGM_RSRC2:TGID_Y_EN: 0
; COMPUTE_PGM_RSRC2:TGID_Z_EN: 0
; COMPUTE_PGM_RSRC2:TIDIG_COMP_CNT: 0
; COMPUTE_PGM_RSRC3_GFX90A:ACCUM_OFFSET: 0
; COMPUTE_PGM_RSRC3_GFX90A:TG_SPLIT: 0
	.section	.text._ZN7rocprim17ROCPRIM_400000_NS6detail30init_device_scan_by_key_kernelINS1_19lookback_scan_stateINS0_5tupleIJibEEELb1ELb1EEEN6thrust23THRUST_200600_302600_NS6detail15normal_iteratorINS8_10device_ptrIiEEEEjNS1_16block_id_wrapperIjLb0EEEEEvT_jjPNSG_10value_typeET0_PNSt15iterator_traitsISJ_E10value_typeEmT1_T2_,"axG",@progbits,_ZN7rocprim17ROCPRIM_400000_NS6detail30init_device_scan_by_key_kernelINS1_19lookback_scan_stateINS0_5tupleIJibEEELb1ELb1EEEN6thrust23THRUST_200600_302600_NS6detail15normal_iteratorINS8_10device_ptrIiEEEEjNS1_16block_id_wrapperIjLb0EEEEEvT_jjPNSG_10value_typeET0_PNSt15iterator_traitsISJ_E10value_typeEmT1_T2_,comdat
	.protected	_ZN7rocprim17ROCPRIM_400000_NS6detail30init_device_scan_by_key_kernelINS1_19lookback_scan_stateINS0_5tupleIJibEEELb1ELb1EEEN6thrust23THRUST_200600_302600_NS6detail15normal_iteratorINS8_10device_ptrIiEEEEjNS1_16block_id_wrapperIjLb0EEEEEvT_jjPNSG_10value_typeET0_PNSt15iterator_traitsISJ_E10value_typeEmT1_T2_ ; -- Begin function _ZN7rocprim17ROCPRIM_400000_NS6detail30init_device_scan_by_key_kernelINS1_19lookback_scan_stateINS0_5tupleIJibEEELb1ELb1EEEN6thrust23THRUST_200600_302600_NS6detail15normal_iteratorINS8_10device_ptrIiEEEEjNS1_16block_id_wrapperIjLb0EEEEEvT_jjPNSG_10value_typeET0_PNSt15iterator_traitsISJ_E10value_typeEmT1_T2_
	.globl	_ZN7rocprim17ROCPRIM_400000_NS6detail30init_device_scan_by_key_kernelINS1_19lookback_scan_stateINS0_5tupleIJibEEELb1ELb1EEEN6thrust23THRUST_200600_302600_NS6detail15normal_iteratorINS8_10device_ptrIiEEEEjNS1_16block_id_wrapperIjLb0EEEEEvT_jjPNSG_10value_typeET0_PNSt15iterator_traitsISJ_E10value_typeEmT1_T2_
	.p2align	8
	.type	_ZN7rocprim17ROCPRIM_400000_NS6detail30init_device_scan_by_key_kernelINS1_19lookback_scan_stateINS0_5tupleIJibEEELb1ELb1EEEN6thrust23THRUST_200600_302600_NS6detail15normal_iteratorINS8_10device_ptrIiEEEEjNS1_16block_id_wrapperIjLb0EEEEEvT_jjPNSG_10value_typeET0_PNSt15iterator_traitsISJ_E10value_typeEmT1_T2_,@function
_ZN7rocprim17ROCPRIM_400000_NS6detail30init_device_scan_by_key_kernelINS1_19lookback_scan_stateINS0_5tupleIJibEEELb1ELb1EEEN6thrust23THRUST_200600_302600_NS6detail15normal_iteratorINS8_10device_ptrIiEEEEjNS1_16block_id_wrapperIjLb0EEEEEvT_jjPNSG_10value_typeET0_PNSt15iterator_traitsISJ_E10value_typeEmT1_T2_: ; @_ZN7rocprim17ROCPRIM_400000_NS6detail30init_device_scan_by_key_kernelINS1_19lookback_scan_stateINS0_5tupleIJibEEELb1ELb1EEEN6thrust23THRUST_200600_302600_NS6detail15normal_iteratorINS8_10device_ptrIiEEEEjNS1_16block_id_wrapperIjLb0EEEEEvT_jjPNSG_10value_typeET0_PNSt15iterator_traitsISJ_E10value_typeEmT1_T2_
; %bb.0:
	s_load_dword s3, s[0:1], 0x44
	s_load_dwordx8 s[4:11], s[0:1], 0x0
	s_load_dword s18, s[0:1], 0x38
	s_waitcnt lgkmcnt(0)
	s_and_b32 s19, s3, 0xffff
	s_mul_i32 s2, s2, s19
	s_cmp_eq_u64 s[8:9], 0
	v_add_u32_e32 v4, s2, v0
	s_cbranch_scc1 .LBB142_10
; %bb.1:
	s_cmp_lt_u32 s7, s6
	s_cselect_b32 s2, s7, 0
	s_mov_b32 s13, 0
	v_cmp_eq_u32_e32 vcc, s2, v4
	s_and_saveexec_b64 s[2:3], vcc
	s_cbranch_execz .LBB142_9
; %bb.2:
	s_add_i32 s12, s7, 64
	s_lshl_b64 s[12:13], s[12:13], 4
	s_add_u32 s16, s4, s12
	s_addc_u32 s17, s5, s13
	v_mov_b64_e32 v[0:1], s[16:17]
	;;#ASMSTART
	global_load_dwordx4 v[0:3], v[0:1] off sc1	
s_waitcnt vmcnt(0)
	;;#ASMEND
	v_mov_b32_e32 v7, 0
	v_and_b32_e32 v6, 0xff, v2
	s_mov_b64 s[14:15], 0
	v_cmp_eq_u64_e32 vcc, 0, v[6:7]
	s_and_saveexec_b64 s[12:13], vcc
	s_cbranch_execz .LBB142_8
; %bb.3:
	s_mov_b32 s7, 1
	v_mov_b64_e32 v[8:9], s[16:17]
.LBB142_4:                              ; =>This Loop Header: Depth=1
                                        ;     Child Loop BB142_5 Depth 2
	s_max_u32 s16, s7, 1
.LBB142_5:                              ;   Parent Loop BB142_4 Depth=1
                                        ; =>  This Inner Loop Header: Depth=2
	s_add_i32 s16, s16, -1
	s_cmp_eq_u32 s16, 0
	s_sleep 1
	s_cbranch_scc0 .LBB142_5
; %bb.6:                                ;   in Loop: Header=BB142_4 Depth=1
	s_cmp_lt_u32 s7, 32
	s_cselect_b64 s[16:17], -1, 0
	s_cmp_lg_u64 s[16:17], 0
	;;#ASMSTART
	global_load_dwordx4 v[0:3], v[8:9] off sc1	
s_waitcnt vmcnt(0)
	;;#ASMEND
	s_addc_u32 s7, s7, 0
	v_and_b32_e32 v6, 0xff, v2
	v_cmp_ne_u64_e32 vcc, 0, v[6:7]
	s_or_b64 s[14:15], vcc, s[14:15]
	s_andn2_b64 exec, exec, s[14:15]
	s_cbranch_execnz .LBB142_4
; %bb.7:
	s_or_b64 exec, exec, s[14:15]
.LBB142_8:
	s_or_b64 exec, exec, s[12:13]
	v_mov_b32_e32 v2, 0
	global_store_dword v2, v0, s[8:9]
	global_store_byte v2, v1, s[8:9] offset:4
.LBB142_9:
	s_or_b64 exec, exec, s[2:3]
.LBB142_10:
	v_cmp_gt_u32_e32 vcc, s6, v4
	s_and_saveexec_b64 s[2:3], vcc
	s_cbranch_execz .LBB142_12
; %bb.11:
	v_add_u32_e32 v0, 64, v4
	v_mov_b32_e32 v1, 0
	v_lshl_add_u64 v[6:7], v[0:1], 4, s[4:5]
	v_mov_b32_e32 v0, v1
	v_mov_b32_e32 v2, v1
	;; [unrolled: 1-line block ×3, first 2 shown]
	global_store_dwordx4 v[6:7], v[0:3], off
.LBB142_12:
	s_or_b64 exec, exec, s[2:3]
	v_cmp_gt_u32_e32 vcc, 64, v4
	v_mov_b32_e32 v5, 0
	s_and_saveexec_b64 s[2:3], vcc
	s_cbranch_execz .LBB142_14
; %bb.13:
	v_lshl_add_u64 v[6:7], v[4:5], 4, s[4:5]
	v_mov_b32_e32 v2, 0xff
	v_mov_b32_e32 v0, v5
	;; [unrolled: 1-line block ×4, first 2 shown]
	global_store_dwordx4 v[6:7], v[0:3], off
.LBB142_14:
	s_or_b64 exec, exec, s[2:3]
	s_load_dwordx2 s[2:3], s[0:1], 0x28
	s_waitcnt lgkmcnt(0)
	v_cmp_gt_u64_e32 vcc, s[2:3], v[4:5]
	s_and_saveexec_b64 s[4:5], vcc
	s_cbranch_execz .LBB142_17
; %bb.15:
	s_load_dword s12, s[0:1], 0x30
	s_load_dwordx2 s[6:7], s[0:1], 0x20
	s_mov_b32 s5, 0
	s_mov_b32 s1, s5
	s_mul_i32 s0, s18, s19
	s_waitcnt lgkmcnt(0)
	s_add_i32 s4, s12, -1
	s_lshl_b64 s[4:5], s[4:5], 2
	s_add_u32 s4, s10, s4
	v_mad_u64_u32 v[0:1], s[8:9], s12, v4, 0
	s_addc_u32 s5, s11, s5
	v_lshl_add_u64 v[0:1], v[0:1], 2, s[4:5]
	s_mul_hi_u32 s5, s12, s0
	s_mul_i32 s4, s12, s0
	s_lshl_b64 s[4:5], s[4:5], 2
	v_lshl_add_u64 v[2:3], v[4:5], 2, s[6:7]
	s_lshl_b64 s[6:7], s[0:1], 2
	s_mov_b64 s[8:9], 0
.LBB142_16:                             ; =>This Inner Loop Header: Depth=1
	global_load_dword v6, v[0:1], off
	v_lshl_add_u64 v[4:5], v[4:5], 0, s[0:1]
	v_cmp_le_u64_e32 vcc, s[2:3], v[4:5]
	v_lshl_add_u64 v[0:1], v[0:1], 0, s[4:5]
	s_or_b64 s[8:9], vcc, s[8:9]
	s_waitcnt vmcnt(0)
	global_store_dword v[2:3], v6, off
	v_lshl_add_u64 v[2:3], v[2:3], 0, s[6:7]
	s_andn2_b64 exec, exec, s[8:9]
	s_cbranch_execnz .LBB142_16
.LBB142_17:
	s_endpgm
	.section	.rodata,"a",@progbits
	.p2align	6, 0x0
	.amdhsa_kernel _ZN7rocprim17ROCPRIM_400000_NS6detail30init_device_scan_by_key_kernelINS1_19lookback_scan_stateINS0_5tupleIJibEEELb1ELb1EEEN6thrust23THRUST_200600_302600_NS6detail15normal_iteratorINS8_10device_ptrIiEEEEjNS1_16block_id_wrapperIjLb0EEEEEvT_jjPNSG_10value_typeET0_PNSt15iterator_traitsISJ_E10value_typeEmT1_T2_
		.amdhsa_group_segment_fixed_size 0
		.amdhsa_private_segment_fixed_size 0
		.amdhsa_kernarg_size 312
		.amdhsa_user_sgpr_count 2
		.amdhsa_user_sgpr_dispatch_ptr 0
		.amdhsa_user_sgpr_queue_ptr 0
		.amdhsa_user_sgpr_kernarg_segment_ptr 1
		.amdhsa_user_sgpr_dispatch_id 0
		.amdhsa_user_sgpr_kernarg_preload_length 0
		.amdhsa_user_sgpr_kernarg_preload_offset 0
		.amdhsa_user_sgpr_private_segment_size 0
		.amdhsa_uses_dynamic_stack 0
		.amdhsa_enable_private_segment 0
		.amdhsa_system_sgpr_workgroup_id_x 1
		.amdhsa_system_sgpr_workgroup_id_y 0
		.amdhsa_system_sgpr_workgroup_id_z 0
		.amdhsa_system_sgpr_workgroup_info 0
		.amdhsa_system_vgpr_workitem_id 0
		.amdhsa_next_free_vgpr 10
		.amdhsa_next_free_sgpr 20
		.amdhsa_accum_offset 12
		.amdhsa_reserve_vcc 1
		.amdhsa_float_round_mode_32 0
		.amdhsa_float_round_mode_16_64 0
		.amdhsa_float_denorm_mode_32 3
		.amdhsa_float_denorm_mode_16_64 3
		.amdhsa_dx10_clamp 1
		.amdhsa_ieee_mode 1
		.amdhsa_fp16_overflow 0
		.amdhsa_tg_split 0
		.amdhsa_exception_fp_ieee_invalid_op 0
		.amdhsa_exception_fp_denorm_src 0
		.amdhsa_exception_fp_ieee_div_zero 0
		.amdhsa_exception_fp_ieee_overflow 0
		.amdhsa_exception_fp_ieee_underflow 0
		.amdhsa_exception_fp_ieee_inexact 0
		.amdhsa_exception_int_div_zero 0
	.end_amdhsa_kernel
	.section	.text._ZN7rocprim17ROCPRIM_400000_NS6detail30init_device_scan_by_key_kernelINS1_19lookback_scan_stateINS0_5tupleIJibEEELb1ELb1EEEN6thrust23THRUST_200600_302600_NS6detail15normal_iteratorINS8_10device_ptrIiEEEEjNS1_16block_id_wrapperIjLb0EEEEEvT_jjPNSG_10value_typeET0_PNSt15iterator_traitsISJ_E10value_typeEmT1_T2_,"axG",@progbits,_ZN7rocprim17ROCPRIM_400000_NS6detail30init_device_scan_by_key_kernelINS1_19lookback_scan_stateINS0_5tupleIJibEEELb1ELb1EEEN6thrust23THRUST_200600_302600_NS6detail15normal_iteratorINS8_10device_ptrIiEEEEjNS1_16block_id_wrapperIjLb0EEEEEvT_jjPNSG_10value_typeET0_PNSt15iterator_traitsISJ_E10value_typeEmT1_T2_,comdat
.Lfunc_end142:
	.size	_ZN7rocprim17ROCPRIM_400000_NS6detail30init_device_scan_by_key_kernelINS1_19lookback_scan_stateINS0_5tupleIJibEEELb1ELb1EEEN6thrust23THRUST_200600_302600_NS6detail15normal_iteratorINS8_10device_ptrIiEEEEjNS1_16block_id_wrapperIjLb0EEEEEvT_jjPNSG_10value_typeET0_PNSt15iterator_traitsISJ_E10value_typeEmT1_T2_, .Lfunc_end142-_ZN7rocprim17ROCPRIM_400000_NS6detail30init_device_scan_by_key_kernelINS1_19lookback_scan_stateINS0_5tupleIJibEEELb1ELb1EEEN6thrust23THRUST_200600_302600_NS6detail15normal_iteratorINS8_10device_ptrIiEEEEjNS1_16block_id_wrapperIjLb0EEEEEvT_jjPNSG_10value_typeET0_PNSt15iterator_traitsISJ_E10value_typeEmT1_T2_
                                        ; -- End function
	.section	.AMDGPU.csdata,"",@progbits
; Kernel info:
; codeLenInByte = 544
; NumSgprs: 26
; NumVgprs: 10
; NumAgprs: 0
; TotalNumVgprs: 10
; ScratchSize: 0
; MemoryBound: 0
; FloatMode: 240
; IeeeMode: 1
; LDSByteSize: 0 bytes/workgroup (compile time only)
; SGPRBlocks: 3
; VGPRBlocks: 1
; NumSGPRsForWavesPerEU: 26
; NumVGPRsForWavesPerEU: 10
; AccumOffset: 12
; Occupancy: 8
; WaveLimiterHint : 0
; COMPUTE_PGM_RSRC2:SCRATCH_EN: 0
; COMPUTE_PGM_RSRC2:USER_SGPR: 2
; COMPUTE_PGM_RSRC2:TRAP_HANDLER: 0
; COMPUTE_PGM_RSRC2:TGID_X_EN: 1
; COMPUTE_PGM_RSRC2:TGID_Y_EN: 0
; COMPUTE_PGM_RSRC2:TGID_Z_EN: 0
; COMPUTE_PGM_RSRC2:TIDIG_COMP_CNT: 0
; COMPUTE_PGM_RSRC3_GFX90A:ACCUM_OFFSET: 2
; COMPUTE_PGM_RSRC3_GFX90A:TG_SPLIT: 0
	.section	.text._ZN7rocprim17ROCPRIM_400000_NS6detail30init_device_scan_by_key_kernelINS1_19lookback_scan_stateINS0_5tupleIJibEEELb1ELb1EEENS1_16block_id_wrapperIjLb0EEEEEvT_jjPNS9_10value_typeET0_,"axG",@progbits,_ZN7rocprim17ROCPRIM_400000_NS6detail30init_device_scan_by_key_kernelINS1_19lookback_scan_stateINS0_5tupleIJibEEELb1ELb1EEENS1_16block_id_wrapperIjLb0EEEEEvT_jjPNS9_10value_typeET0_,comdat
	.protected	_ZN7rocprim17ROCPRIM_400000_NS6detail30init_device_scan_by_key_kernelINS1_19lookback_scan_stateINS0_5tupleIJibEEELb1ELb1EEENS1_16block_id_wrapperIjLb0EEEEEvT_jjPNS9_10value_typeET0_ ; -- Begin function _ZN7rocprim17ROCPRIM_400000_NS6detail30init_device_scan_by_key_kernelINS1_19lookback_scan_stateINS0_5tupleIJibEEELb1ELb1EEENS1_16block_id_wrapperIjLb0EEEEEvT_jjPNS9_10value_typeET0_
	.globl	_ZN7rocprim17ROCPRIM_400000_NS6detail30init_device_scan_by_key_kernelINS1_19lookback_scan_stateINS0_5tupleIJibEEELb1ELb1EEENS1_16block_id_wrapperIjLb0EEEEEvT_jjPNS9_10value_typeET0_
	.p2align	8
	.type	_ZN7rocprim17ROCPRIM_400000_NS6detail30init_device_scan_by_key_kernelINS1_19lookback_scan_stateINS0_5tupleIJibEEELb1ELb1EEENS1_16block_id_wrapperIjLb0EEEEEvT_jjPNS9_10value_typeET0_,@function
_ZN7rocprim17ROCPRIM_400000_NS6detail30init_device_scan_by_key_kernelINS1_19lookback_scan_stateINS0_5tupleIJibEEELb1ELb1EEENS1_16block_id_wrapperIjLb0EEEEEvT_jjPNS9_10value_typeET0_: ; @_ZN7rocprim17ROCPRIM_400000_NS6detail30init_device_scan_by_key_kernelINS1_19lookback_scan_stateINS0_5tupleIJibEEELb1ELb1EEENS1_16block_id_wrapperIjLb0EEEEEvT_jjPNS9_10value_typeET0_
; %bb.0:
	s_load_dword s3, s[0:1], 0x2c
	s_load_dwordx2 s[8:9], s[0:1], 0x10
	s_load_dwordx4 s[4:7], s[0:1], 0x0
	s_waitcnt lgkmcnt(0)
	s_and_b32 s0, s3, 0xffff
	s_mul_i32 s2, s2, s0
	s_cmp_eq_u64 s[8:9], 0
	v_add_u32_e32 v0, s2, v0
	s_cbranch_scc1 .LBB143_10
; %bb.1:
	s_cmp_lt_u32 s7, s6
	s_cselect_b32 s0, s7, 0
	s_mov_b32 s3, 0
	v_cmp_eq_u32_e32 vcc, s0, v0
	s_and_saveexec_b64 s[0:1], vcc
	s_cbranch_execz .LBB143_9
; %bb.2:
	s_add_i32 s2, s7, 64
	s_lshl_b64 s[2:3], s[2:3], 4
	s_add_u32 s12, s4, s2
	s_addc_u32 s13, s5, s3
	v_mov_b64_e32 v[2:3], s[12:13]
	;;#ASMSTART
	global_load_dwordx4 v[2:5], v[2:3] off sc1	
s_waitcnt vmcnt(0)
	;;#ASMEND
	v_mov_b32_e32 v7, 0
	v_and_b32_e32 v6, 0xff, v4
	s_mov_b64 s[10:11], 0
	v_cmp_eq_u64_e32 vcc, 0, v[6:7]
	s_and_saveexec_b64 s[2:3], vcc
	s_cbranch_execz .LBB143_8
; %bb.3:
	s_mov_b32 s7, 1
	v_mov_b64_e32 v[8:9], s[12:13]
.LBB143_4:                              ; =>This Loop Header: Depth=1
                                        ;     Child Loop BB143_5 Depth 2
	s_max_u32 s12, s7, 1
.LBB143_5:                              ;   Parent Loop BB143_4 Depth=1
                                        ; =>  This Inner Loop Header: Depth=2
	s_add_i32 s12, s12, -1
	s_cmp_eq_u32 s12, 0
	s_sleep 1
	s_cbranch_scc0 .LBB143_5
; %bb.6:                                ;   in Loop: Header=BB143_4 Depth=1
	s_cmp_lt_u32 s7, 32
	s_cselect_b64 s[12:13], -1, 0
	s_cmp_lg_u64 s[12:13], 0
	;;#ASMSTART
	global_load_dwordx4 v[2:5], v[8:9] off sc1	
s_waitcnt vmcnt(0)
	;;#ASMEND
	s_addc_u32 s7, s7, 0
	v_and_b32_e32 v6, 0xff, v4
	v_cmp_ne_u64_e32 vcc, 0, v[6:7]
	s_or_b64 s[10:11], vcc, s[10:11]
	s_andn2_b64 exec, exec, s[10:11]
	s_cbranch_execnz .LBB143_4
; %bb.7:
	s_or_b64 exec, exec, s[10:11]
.LBB143_8:
	s_or_b64 exec, exec, s[2:3]
	v_mov_b32_e32 v1, 0
	global_store_dword v1, v2, s[8:9]
	global_store_byte v1, v3, s[8:9] offset:4
.LBB143_9:
	s_or_b64 exec, exec, s[0:1]
.LBB143_10:
	v_cmp_gt_u32_e32 vcc, s6, v0
	s_and_saveexec_b64 s[0:1], vcc
	s_cbranch_execnz .LBB143_13
; %bb.11:
	s_or_b64 exec, exec, s[0:1]
	v_cmp_gt_u32_e32 vcc, 64, v0
	s_and_saveexec_b64 s[0:1], vcc
	s_cbranch_execnz .LBB143_14
.LBB143_12:
	s_endpgm
.LBB143_13:
	v_add_u32_e32 v2, 64, v0
	v_mov_b32_e32 v3, 0
	v_lshl_add_u64 v[6:7], v[2:3], 4, s[4:5]
	v_mov_b32_e32 v2, v3
	v_mov_b32_e32 v4, v3
	;; [unrolled: 1-line block ×3, first 2 shown]
	global_store_dwordx4 v[6:7], v[2:5], off
	s_or_b64 exec, exec, s[0:1]
	v_cmp_gt_u32_e32 vcc, 64, v0
	s_and_saveexec_b64 s[0:1], vcc
	s_cbranch_execz .LBB143_12
.LBB143_14:
	v_mov_b32_e32 v1, 0
	v_lshl_add_u64 v[4:5], v[0:1], 4, s[4:5]
	v_mov_b32_e32 v2, 0xff
	v_mov_b32_e32 v0, v1
	;; [unrolled: 1-line block ×3, first 2 shown]
	global_store_dwordx4 v[4:5], v[0:3], off
	s_endpgm
	.section	.rodata,"a",@progbits
	.p2align	6, 0x0
	.amdhsa_kernel _ZN7rocprim17ROCPRIM_400000_NS6detail30init_device_scan_by_key_kernelINS1_19lookback_scan_stateINS0_5tupleIJibEEELb1ELb1EEENS1_16block_id_wrapperIjLb0EEEEEvT_jjPNS9_10value_typeET0_
		.amdhsa_group_segment_fixed_size 0
		.amdhsa_private_segment_fixed_size 0
		.amdhsa_kernarg_size 288
		.amdhsa_user_sgpr_count 2
		.amdhsa_user_sgpr_dispatch_ptr 0
		.amdhsa_user_sgpr_queue_ptr 0
		.amdhsa_user_sgpr_kernarg_segment_ptr 1
		.amdhsa_user_sgpr_dispatch_id 0
		.amdhsa_user_sgpr_kernarg_preload_length 0
		.amdhsa_user_sgpr_kernarg_preload_offset 0
		.amdhsa_user_sgpr_private_segment_size 0
		.amdhsa_uses_dynamic_stack 0
		.amdhsa_enable_private_segment 0
		.amdhsa_system_sgpr_workgroup_id_x 1
		.amdhsa_system_sgpr_workgroup_id_y 0
		.amdhsa_system_sgpr_workgroup_id_z 0
		.amdhsa_system_sgpr_workgroup_info 0
		.amdhsa_system_vgpr_workitem_id 0
		.amdhsa_next_free_vgpr 10
		.amdhsa_next_free_sgpr 14
		.amdhsa_accum_offset 12
		.amdhsa_reserve_vcc 1
		.amdhsa_float_round_mode_32 0
		.amdhsa_float_round_mode_16_64 0
		.amdhsa_float_denorm_mode_32 3
		.amdhsa_float_denorm_mode_16_64 3
		.amdhsa_dx10_clamp 1
		.amdhsa_ieee_mode 1
		.amdhsa_fp16_overflow 0
		.amdhsa_tg_split 0
		.amdhsa_exception_fp_ieee_invalid_op 0
		.amdhsa_exception_fp_denorm_src 0
		.amdhsa_exception_fp_ieee_div_zero 0
		.amdhsa_exception_fp_ieee_overflow 0
		.amdhsa_exception_fp_ieee_underflow 0
		.amdhsa_exception_fp_ieee_inexact 0
		.amdhsa_exception_int_div_zero 0
	.end_amdhsa_kernel
	.section	.text._ZN7rocprim17ROCPRIM_400000_NS6detail30init_device_scan_by_key_kernelINS1_19lookback_scan_stateINS0_5tupleIJibEEELb1ELb1EEENS1_16block_id_wrapperIjLb0EEEEEvT_jjPNS9_10value_typeET0_,"axG",@progbits,_ZN7rocprim17ROCPRIM_400000_NS6detail30init_device_scan_by_key_kernelINS1_19lookback_scan_stateINS0_5tupleIJibEEELb1ELb1EEENS1_16block_id_wrapperIjLb0EEEEEvT_jjPNS9_10value_typeET0_,comdat
.Lfunc_end143:
	.size	_ZN7rocprim17ROCPRIM_400000_NS6detail30init_device_scan_by_key_kernelINS1_19lookback_scan_stateINS0_5tupleIJibEEELb1ELb1EEENS1_16block_id_wrapperIjLb0EEEEEvT_jjPNS9_10value_typeET0_, .Lfunc_end143-_ZN7rocprim17ROCPRIM_400000_NS6detail30init_device_scan_by_key_kernelINS1_19lookback_scan_stateINS0_5tupleIJibEEELb1ELb1EEENS1_16block_id_wrapperIjLb0EEEEEvT_jjPNS9_10value_typeET0_
                                        ; -- End function
	.section	.AMDGPU.csdata,"",@progbits
; Kernel info:
; codeLenInByte = 380
; NumSgprs: 20
; NumVgprs: 10
; NumAgprs: 0
; TotalNumVgprs: 10
; ScratchSize: 0
; MemoryBound: 0
; FloatMode: 240
; IeeeMode: 1
; LDSByteSize: 0 bytes/workgroup (compile time only)
; SGPRBlocks: 2
; VGPRBlocks: 1
; NumSGPRsForWavesPerEU: 20
; NumVGPRsForWavesPerEU: 10
; AccumOffset: 12
; Occupancy: 8
; WaveLimiterHint : 0
; COMPUTE_PGM_RSRC2:SCRATCH_EN: 0
; COMPUTE_PGM_RSRC2:USER_SGPR: 2
; COMPUTE_PGM_RSRC2:TRAP_HANDLER: 0
; COMPUTE_PGM_RSRC2:TGID_X_EN: 1
; COMPUTE_PGM_RSRC2:TGID_Y_EN: 0
; COMPUTE_PGM_RSRC2:TGID_Z_EN: 0
; COMPUTE_PGM_RSRC2:TIDIG_COMP_CNT: 0
; COMPUTE_PGM_RSRC3_GFX90A:ACCUM_OFFSET: 2
; COMPUTE_PGM_RSRC3_GFX90A:TG_SPLIT: 0
	.section	.text._ZN7rocprim17ROCPRIM_400000_NS6detail17trampoline_kernelINS0_14default_configENS1_27scan_by_key_config_selectorIiiEEZZNS1_16scan_by_key_implILNS1_25lookback_scan_determinismE0ELb0ES3_N6thrust23THRUST_200600_302600_NS6detail15normal_iteratorINS9_10device_ptrIiEEEESE_SE_iNS9_4plusIvEENS9_8equal_toIvEEiEE10hipError_tPvRmT2_T3_T4_T5_mT6_T7_P12ihipStream_tbENKUlT_T0_E_clISt17integral_constantIbLb1EESY_IbLb0EEEEDaSU_SV_EUlSU_E_NS1_11comp_targetILNS1_3genE0ELNS1_11target_archE4294967295ELNS1_3gpuE0ELNS1_3repE0EEENS1_30default_config_static_selectorELNS0_4arch9wavefront6targetE1EEEvT1_,"axG",@progbits,_ZN7rocprim17ROCPRIM_400000_NS6detail17trampoline_kernelINS0_14default_configENS1_27scan_by_key_config_selectorIiiEEZZNS1_16scan_by_key_implILNS1_25lookback_scan_determinismE0ELb0ES3_N6thrust23THRUST_200600_302600_NS6detail15normal_iteratorINS9_10device_ptrIiEEEESE_SE_iNS9_4plusIvEENS9_8equal_toIvEEiEE10hipError_tPvRmT2_T3_T4_T5_mT6_T7_P12ihipStream_tbENKUlT_T0_E_clISt17integral_constantIbLb1EESY_IbLb0EEEEDaSU_SV_EUlSU_E_NS1_11comp_targetILNS1_3genE0ELNS1_11target_archE4294967295ELNS1_3gpuE0ELNS1_3repE0EEENS1_30default_config_static_selectorELNS0_4arch9wavefront6targetE1EEEvT1_,comdat
	.protected	_ZN7rocprim17ROCPRIM_400000_NS6detail17trampoline_kernelINS0_14default_configENS1_27scan_by_key_config_selectorIiiEEZZNS1_16scan_by_key_implILNS1_25lookback_scan_determinismE0ELb0ES3_N6thrust23THRUST_200600_302600_NS6detail15normal_iteratorINS9_10device_ptrIiEEEESE_SE_iNS9_4plusIvEENS9_8equal_toIvEEiEE10hipError_tPvRmT2_T3_T4_T5_mT6_T7_P12ihipStream_tbENKUlT_T0_E_clISt17integral_constantIbLb1EESY_IbLb0EEEEDaSU_SV_EUlSU_E_NS1_11comp_targetILNS1_3genE0ELNS1_11target_archE4294967295ELNS1_3gpuE0ELNS1_3repE0EEENS1_30default_config_static_selectorELNS0_4arch9wavefront6targetE1EEEvT1_ ; -- Begin function _ZN7rocprim17ROCPRIM_400000_NS6detail17trampoline_kernelINS0_14default_configENS1_27scan_by_key_config_selectorIiiEEZZNS1_16scan_by_key_implILNS1_25lookback_scan_determinismE0ELb0ES3_N6thrust23THRUST_200600_302600_NS6detail15normal_iteratorINS9_10device_ptrIiEEEESE_SE_iNS9_4plusIvEENS9_8equal_toIvEEiEE10hipError_tPvRmT2_T3_T4_T5_mT6_T7_P12ihipStream_tbENKUlT_T0_E_clISt17integral_constantIbLb1EESY_IbLb0EEEEDaSU_SV_EUlSU_E_NS1_11comp_targetILNS1_3genE0ELNS1_11target_archE4294967295ELNS1_3gpuE0ELNS1_3repE0EEENS1_30default_config_static_selectorELNS0_4arch9wavefront6targetE1EEEvT1_
	.globl	_ZN7rocprim17ROCPRIM_400000_NS6detail17trampoline_kernelINS0_14default_configENS1_27scan_by_key_config_selectorIiiEEZZNS1_16scan_by_key_implILNS1_25lookback_scan_determinismE0ELb0ES3_N6thrust23THRUST_200600_302600_NS6detail15normal_iteratorINS9_10device_ptrIiEEEESE_SE_iNS9_4plusIvEENS9_8equal_toIvEEiEE10hipError_tPvRmT2_T3_T4_T5_mT6_T7_P12ihipStream_tbENKUlT_T0_E_clISt17integral_constantIbLb1EESY_IbLb0EEEEDaSU_SV_EUlSU_E_NS1_11comp_targetILNS1_3genE0ELNS1_11target_archE4294967295ELNS1_3gpuE0ELNS1_3repE0EEENS1_30default_config_static_selectorELNS0_4arch9wavefront6targetE1EEEvT1_
	.p2align	8
	.type	_ZN7rocprim17ROCPRIM_400000_NS6detail17trampoline_kernelINS0_14default_configENS1_27scan_by_key_config_selectorIiiEEZZNS1_16scan_by_key_implILNS1_25lookback_scan_determinismE0ELb0ES3_N6thrust23THRUST_200600_302600_NS6detail15normal_iteratorINS9_10device_ptrIiEEEESE_SE_iNS9_4plusIvEENS9_8equal_toIvEEiEE10hipError_tPvRmT2_T3_T4_T5_mT6_T7_P12ihipStream_tbENKUlT_T0_E_clISt17integral_constantIbLb1EESY_IbLb0EEEEDaSU_SV_EUlSU_E_NS1_11comp_targetILNS1_3genE0ELNS1_11target_archE4294967295ELNS1_3gpuE0ELNS1_3repE0EEENS1_30default_config_static_selectorELNS0_4arch9wavefront6targetE1EEEvT1_,@function
_ZN7rocprim17ROCPRIM_400000_NS6detail17trampoline_kernelINS0_14default_configENS1_27scan_by_key_config_selectorIiiEEZZNS1_16scan_by_key_implILNS1_25lookback_scan_determinismE0ELb0ES3_N6thrust23THRUST_200600_302600_NS6detail15normal_iteratorINS9_10device_ptrIiEEEESE_SE_iNS9_4plusIvEENS9_8equal_toIvEEiEE10hipError_tPvRmT2_T3_T4_T5_mT6_T7_P12ihipStream_tbENKUlT_T0_E_clISt17integral_constantIbLb1EESY_IbLb0EEEEDaSU_SV_EUlSU_E_NS1_11comp_targetILNS1_3genE0ELNS1_11target_archE4294967295ELNS1_3gpuE0ELNS1_3repE0EEENS1_30default_config_static_selectorELNS0_4arch9wavefront6targetE1EEEvT1_: ; @_ZN7rocprim17ROCPRIM_400000_NS6detail17trampoline_kernelINS0_14default_configENS1_27scan_by_key_config_selectorIiiEEZZNS1_16scan_by_key_implILNS1_25lookback_scan_determinismE0ELb0ES3_N6thrust23THRUST_200600_302600_NS6detail15normal_iteratorINS9_10device_ptrIiEEEESE_SE_iNS9_4plusIvEENS9_8equal_toIvEEiEE10hipError_tPvRmT2_T3_T4_T5_mT6_T7_P12ihipStream_tbENKUlT_T0_E_clISt17integral_constantIbLb1EESY_IbLb0EEEEDaSU_SV_EUlSU_E_NS1_11comp_targetILNS1_3genE0ELNS1_11target_archE4294967295ELNS1_3gpuE0ELNS1_3repE0EEENS1_30default_config_static_selectorELNS0_4arch9wavefront6targetE1EEEvT1_
; %bb.0:
	.section	.rodata,"a",@progbits
	.p2align	6, 0x0
	.amdhsa_kernel _ZN7rocprim17ROCPRIM_400000_NS6detail17trampoline_kernelINS0_14default_configENS1_27scan_by_key_config_selectorIiiEEZZNS1_16scan_by_key_implILNS1_25lookback_scan_determinismE0ELb0ES3_N6thrust23THRUST_200600_302600_NS6detail15normal_iteratorINS9_10device_ptrIiEEEESE_SE_iNS9_4plusIvEENS9_8equal_toIvEEiEE10hipError_tPvRmT2_T3_T4_T5_mT6_T7_P12ihipStream_tbENKUlT_T0_E_clISt17integral_constantIbLb1EESY_IbLb0EEEEDaSU_SV_EUlSU_E_NS1_11comp_targetILNS1_3genE0ELNS1_11target_archE4294967295ELNS1_3gpuE0ELNS1_3repE0EEENS1_30default_config_static_selectorELNS0_4arch9wavefront6targetE1EEEvT1_
		.amdhsa_group_segment_fixed_size 0
		.amdhsa_private_segment_fixed_size 0
		.amdhsa_kernarg_size 112
		.amdhsa_user_sgpr_count 2
		.amdhsa_user_sgpr_dispatch_ptr 0
		.amdhsa_user_sgpr_queue_ptr 0
		.amdhsa_user_sgpr_kernarg_segment_ptr 1
		.amdhsa_user_sgpr_dispatch_id 0
		.amdhsa_user_sgpr_kernarg_preload_length 0
		.amdhsa_user_sgpr_kernarg_preload_offset 0
		.amdhsa_user_sgpr_private_segment_size 0
		.amdhsa_uses_dynamic_stack 0
		.amdhsa_enable_private_segment 0
		.amdhsa_system_sgpr_workgroup_id_x 1
		.amdhsa_system_sgpr_workgroup_id_y 0
		.amdhsa_system_sgpr_workgroup_id_z 0
		.amdhsa_system_sgpr_workgroup_info 0
		.amdhsa_system_vgpr_workitem_id 0
		.amdhsa_next_free_vgpr 1
		.amdhsa_next_free_sgpr 0
		.amdhsa_accum_offset 4
		.amdhsa_reserve_vcc 0
		.amdhsa_float_round_mode_32 0
		.amdhsa_float_round_mode_16_64 0
		.amdhsa_float_denorm_mode_32 3
		.amdhsa_float_denorm_mode_16_64 3
		.amdhsa_dx10_clamp 1
		.amdhsa_ieee_mode 1
		.amdhsa_fp16_overflow 0
		.amdhsa_tg_split 0
		.amdhsa_exception_fp_ieee_invalid_op 0
		.amdhsa_exception_fp_denorm_src 0
		.amdhsa_exception_fp_ieee_div_zero 0
		.amdhsa_exception_fp_ieee_overflow 0
		.amdhsa_exception_fp_ieee_underflow 0
		.amdhsa_exception_fp_ieee_inexact 0
		.amdhsa_exception_int_div_zero 0
	.end_amdhsa_kernel
	.section	.text._ZN7rocprim17ROCPRIM_400000_NS6detail17trampoline_kernelINS0_14default_configENS1_27scan_by_key_config_selectorIiiEEZZNS1_16scan_by_key_implILNS1_25lookback_scan_determinismE0ELb0ES3_N6thrust23THRUST_200600_302600_NS6detail15normal_iteratorINS9_10device_ptrIiEEEESE_SE_iNS9_4plusIvEENS9_8equal_toIvEEiEE10hipError_tPvRmT2_T3_T4_T5_mT6_T7_P12ihipStream_tbENKUlT_T0_E_clISt17integral_constantIbLb1EESY_IbLb0EEEEDaSU_SV_EUlSU_E_NS1_11comp_targetILNS1_3genE0ELNS1_11target_archE4294967295ELNS1_3gpuE0ELNS1_3repE0EEENS1_30default_config_static_selectorELNS0_4arch9wavefront6targetE1EEEvT1_,"axG",@progbits,_ZN7rocprim17ROCPRIM_400000_NS6detail17trampoline_kernelINS0_14default_configENS1_27scan_by_key_config_selectorIiiEEZZNS1_16scan_by_key_implILNS1_25lookback_scan_determinismE0ELb0ES3_N6thrust23THRUST_200600_302600_NS6detail15normal_iteratorINS9_10device_ptrIiEEEESE_SE_iNS9_4plusIvEENS9_8equal_toIvEEiEE10hipError_tPvRmT2_T3_T4_T5_mT6_T7_P12ihipStream_tbENKUlT_T0_E_clISt17integral_constantIbLb1EESY_IbLb0EEEEDaSU_SV_EUlSU_E_NS1_11comp_targetILNS1_3genE0ELNS1_11target_archE4294967295ELNS1_3gpuE0ELNS1_3repE0EEENS1_30default_config_static_selectorELNS0_4arch9wavefront6targetE1EEEvT1_,comdat
.Lfunc_end144:
	.size	_ZN7rocprim17ROCPRIM_400000_NS6detail17trampoline_kernelINS0_14default_configENS1_27scan_by_key_config_selectorIiiEEZZNS1_16scan_by_key_implILNS1_25lookback_scan_determinismE0ELb0ES3_N6thrust23THRUST_200600_302600_NS6detail15normal_iteratorINS9_10device_ptrIiEEEESE_SE_iNS9_4plusIvEENS9_8equal_toIvEEiEE10hipError_tPvRmT2_T3_T4_T5_mT6_T7_P12ihipStream_tbENKUlT_T0_E_clISt17integral_constantIbLb1EESY_IbLb0EEEEDaSU_SV_EUlSU_E_NS1_11comp_targetILNS1_3genE0ELNS1_11target_archE4294967295ELNS1_3gpuE0ELNS1_3repE0EEENS1_30default_config_static_selectorELNS0_4arch9wavefront6targetE1EEEvT1_, .Lfunc_end144-_ZN7rocprim17ROCPRIM_400000_NS6detail17trampoline_kernelINS0_14default_configENS1_27scan_by_key_config_selectorIiiEEZZNS1_16scan_by_key_implILNS1_25lookback_scan_determinismE0ELb0ES3_N6thrust23THRUST_200600_302600_NS6detail15normal_iteratorINS9_10device_ptrIiEEEESE_SE_iNS9_4plusIvEENS9_8equal_toIvEEiEE10hipError_tPvRmT2_T3_T4_T5_mT6_T7_P12ihipStream_tbENKUlT_T0_E_clISt17integral_constantIbLb1EESY_IbLb0EEEEDaSU_SV_EUlSU_E_NS1_11comp_targetILNS1_3genE0ELNS1_11target_archE4294967295ELNS1_3gpuE0ELNS1_3repE0EEENS1_30default_config_static_selectorELNS0_4arch9wavefront6targetE1EEEvT1_
                                        ; -- End function
	.section	.AMDGPU.csdata,"",@progbits
; Kernel info:
; codeLenInByte = 0
; NumSgprs: 6
; NumVgprs: 0
; NumAgprs: 0
; TotalNumVgprs: 0
; ScratchSize: 0
; MemoryBound: 0
; FloatMode: 240
; IeeeMode: 1
; LDSByteSize: 0 bytes/workgroup (compile time only)
; SGPRBlocks: 0
; VGPRBlocks: 0
; NumSGPRsForWavesPerEU: 6
; NumVGPRsForWavesPerEU: 1
; AccumOffset: 4
; Occupancy: 8
; WaveLimiterHint : 0
; COMPUTE_PGM_RSRC2:SCRATCH_EN: 0
; COMPUTE_PGM_RSRC2:USER_SGPR: 2
; COMPUTE_PGM_RSRC2:TRAP_HANDLER: 0
; COMPUTE_PGM_RSRC2:TGID_X_EN: 1
; COMPUTE_PGM_RSRC2:TGID_Y_EN: 0
; COMPUTE_PGM_RSRC2:TGID_Z_EN: 0
; COMPUTE_PGM_RSRC2:TIDIG_COMP_CNT: 0
; COMPUTE_PGM_RSRC3_GFX90A:ACCUM_OFFSET: 0
; COMPUTE_PGM_RSRC3_GFX90A:TG_SPLIT: 0
	.section	.text._ZN7rocprim17ROCPRIM_400000_NS6detail17trampoline_kernelINS0_14default_configENS1_27scan_by_key_config_selectorIiiEEZZNS1_16scan_by_key_implILNS1_25lookback_scan_determinismE0ELb0ES3_N6thrust23THRUST_200600_302600_NS6detail15normal_iteratorINS9_10device_ptrIiEEEESE_SE_iNS9_4plusIvEENS9_8equal_toIvEEiEE10hipError_tPvRmT2_T3_T4_T5_mT6_T7_P12ihipStream_tbENKUlT_T0_E_clISt17integral_constantIbLb1EESY_IbLb0EEEEDaSU_SV_EUlSU_E_NS1_11comp_targetILNS1_3genE10ELNS1_11target_archE1201ELNS1_3gpuE5ELNS1_3repE0EEENS1_30default_config_static_selectorELNS0_4arch9wavefront6targetE1EEEvT1_,"axG",@progbits,_ZN7rocprim17ROCPRIM_400000_NS6detail17trampoline_kernelINS0_14default_configENS1_27scan_by_key_config_selectorIiiEEZZNS1_16scan_by_key_implILNS1_25lookback_scan_determinismE0ELb0ES3_N6thrust23THRUST_200600_302600_NS6detail15normal_iteratorINS9_10device_ptrIiEEEESE_SE_iNS9_4plusIvEENS9_8equal_toIvEEiEE10hipError_tPvRmT2_T3_T4_T5_mT6_T7_P12ihipStream_tbENKUlT_T0_E_clISt17integral_constantIbLb1EESY_IbLb0EEEEDaSU_SV_EUlSU_E_NS1_11comp_targetILNS1_3genE10ELNS1_11target_archE1201ELNS1_3gpuE5ELNS1_3repE0EEENS1_30default_config_static_selectorELNS0_4arch9wavefront6targetE1EEEvT1_,comdat
	.protected	_ZN7rocprim17ROCPRIM_400000_NS6detail17trampoline_kernelINS0_14default_configENS1_27scan_by_key_config_selectorIiiEEZZNS1_16scan_by_key_implILNS1_25lookback_scan_determinismE0ELb0ES3_N6thrust23THRUST_200600_302600_NS6detail15normal_iteratorINS9_10device_ptrIiEEEESE_SE_iNS9_4plusIvEENS9_8equal_toIvEEiEE10hipError_tPvRmT2_T3_T4_T5_mT6_T7_P12ihipStream_tbENKUlT_T0_E_clISt17integral_constantIbLb1EESY_IbLb0EEEEDaSU_SV_EUlSU_E_NS1_11comp_targetILNS1_3genE10ELNS1_11target_archE1201ELNS1_3gpuE5ELNS1_3repE0EEENS1_30default_config_static_selectorELNS0_4arch9wavefront6targetE1EEEvT1_ ; -- Begin function _ZN7rocprim17ROCPRIM_400000_NS6detail17trampoline_kernelINS0_14default_configENS1_27scan_by_key_config_selectorIiiEEZZNS1_16scan_by_key_implILNS1_25lookback_scan_determinismE0ELb0ES3_N6thrust23THRUST_200600_302600_NS6detail15normal_iteratorINS9_10device_ptrIiEEEESE_SE_iNS9_4plusIvEENS9_8equal_toIvEEiEE10hipError_tPvRmT2_T3_T4_T5_mT6_T7_P12ihipStream_tbENKUlT_T0_E_clISt17integral_constantIbLb1EESY_IbLb0EEEEDaSU_SV_EUlSU_E_NS1_11comp_targetILNS1_3genE10ELNS1_11target_archE1201ELNS1_3gpuE5ELNS1_3repE0EEENS1_30default_config_static_selectorELNS0_4arch9wavefront6targetE1EEEvT1_
	.globl	_ZN7rocprim17ROCPRIM_400000_NS6detail17trampoline_kernelINS0_14default_configENS1_27scan_by_key_config_selectorIiiEEZZNS1_16scan_by_key_implILNS1_25lookback_scan_determinismE0ELb0ES3_N6thrust23THRUST_200600_302600_NS6detail15normal_iteratorINS9_10device_ptrIiEEEESE_SE_iNS9_4plusIvEENS9_8equal_toIvEEiEE10hipError_tPvRmT2_T3_T4_T5_mT6_T7_P12ihipStream_tbENKUlT_T0_E_clISt17integral_constantIbLb1EESY_IbLb0EEEEDaSU_SV_EUlSU_E_NS1_11comp_targetILNS1_3genE10ELNS1_11target_archE1201ELNS1_3gpuE5ELNS1_3repE0EEENS1_30default_config_static_selectorELNS0_4arch9wavefront6targetE1EEEvT1_
	.p2align	8
	.type	_ZN7rocprim17ROCPRIM_400000_NS6detail17trampoline_kernelINS0_14default_configENS1_27scan_by_key_config_selectorIiiEEZZNS1_16scan_by_key_implILNS1_25lookback_scan_determinismE0ELb0ES3_N6thrust23THRUST_200600_302600_NS6detail15normal_iteratorINS9_10device_ptrIiEEEESE_SE_iNS9_4plusIvEENS9_8equal_toIvEEiEE10hipError_tPvRmT2_T3_T4_T5_mT6_T7_P12ihipStream_tbENKUlT_T0_E_clISt17integral_constantIbLb1EESY_IbLb0EEEEDaSU_SV_EUlSU_E_NS1_11comp_targetILNS1_3genE10ELNS1_11target_archE1201ELNS1_3gpuE5ELNS1_3repE0EEENS1_30default_config_static_selectorELNS0_4arch9wavefront6targetE1EEEvT1_,@function
_ZN7rocprim17ROCPRIM_400000_NS6detail17trampoline_kernelINS0_14default_configENS1_27scan_by_key_config_selectorIiiEEZZNS1_16scan_by_key_implILNS1_25lookback_scan_determinismE0ELb0ES3_N6thrust23THRUST_200600_302600_NS6detail15normal_iteratorINS9_10device_ptrIiEEEESE_SE_iNS9_4plusIvEENS9_8equal_toIvEEiEE10hipError_tPvRmT2_T3_T4_T5_mT6_T7_P12ihipStream_tbENKUlT_T0_E_clISt17integral_constantIbLb1EESY_IbLb0EEEEDaSU_SV_EUlSU_E_NS1_11comp_targetILNS1_3genE10ELNS1_11target_archE1201ELNS1_3gpuE5ELNS1_3repE0EEENS1_30default_config_static_selectorELNS0_4arch9wavefront6targetE1EEEvT1_: ; @_ZN7rocprim17ROCPRIM_400000_NS6detail17trampoline_kernelINS0_14default_configENS1_27scan_by_key_config_selectorIiiEEZZNS1_16scan_by_key_implILNS1_25lookback_scan_determinismE0ELb0ES3_N6thrust23THRUST_200600_302600_NS6detail15normal_iteratorINS9_10device_ptrIiEEEESE_SE_iNS9_4plusIvEENS9_8equal_toIvEEiEE10hipError_tPvRmT2_T3_T4_T5_mT6_T7_P12ihipStream_tbENKUlT_T0_E_clISt17integral_constantIbLb1EESY_IbLb0EEEEDaSU_SV_EUlSU_E_NS1_11comp_targetILNS1_3genE10ELNS1_11target_archE1201ELNS1_3gpuE5ELNS1_3repE0EEENS1_30default_config_static_selectorELNS0_4arch9wavefront6targetE1EEEvT1_
; %bb.0:
	.section	.rodata,"a",@progbits
	.p2align	6, 0x0
	.amdhsa_kernel _ZN7rocprim17ROCPRIM_400000_NS6detail17trampoline_kernelINS0_14default_configENS1_27scan_by_key_config_selectorIiiEEZZNS1_16scan_by_key_implILNS1_25lookback_scan_determinismE0ELb0ES3_N6thrust23THRUST_200600_302600_NS6detail15normal_iteratorINS9_10device_ptrIiEEEESE_SE_iNS9_4plusIvEENS9_8equal_toIvEEiEE10hipError_tPvRmT2_T3_T4_T5_mT6_T7_P12ihipStream_tbENKUlT_T0_E_clISt17integral_constantIbLb1EESY_IbLb0EEEEDaSU_SV_EUlSU_E_NS1_11comp_targetILNS1_3genE10ELNS1_11target_archE1201ELNS1_3gpuE5ELNS1_3repE0EEENS1_30default_config_static_selectorELNS0_4arch9wavefront6targetE1EEEvT1_
		.amdhsa_group_segment_fixed_size 0
		.amdhsa_private_segment_fixed_size 0
		.amdhsa_kernarg_size 112
		.amdhsa_user_sgpr_count 2
		.amdhsa_user_sgpr_dispatch_ptr 0
		.amdhsa_user_sgpr_queue_ptr 0
		.amdhsa_user_sgpr_kernarg_segment_ptr 1
		.amdhsa_user_sgpr_dispatch_id 0
		.amdhsa_user_sgpr_kernarg_preload_length 0
		.amdhsa_user_sgpr_kernarg_preload_offset 0
		.amdhsa_user_sgpr_private_segment_size 0
		.amdhsa_uses_dynamic_stack 0
		.amdhsa_enable_private_segment 0
		.amdhsa_system_sgpr_workgroup_id_x 1
		.amdhsa_system_sgpr_workgroup_id_y 0
		.amdhsa_system_sgpr_workgroup_id_z 0
		.amdhsa_system_sgpr_workgroup_info 0
		.amdhsa_system_vgpr_workitem_id 0
		.amdhsa_next_free_vgpr 1
		.amdhsa_next_free_sgpr 0
		.amdhsa_accum_offset 4
		.amdhsa_reserve_vcc 0
		.amdhsa_float_round_mode_32 0
		.amdhsa_float_round_mode_16_64 0
		.amdhsa_float_denorm_mode_32 3
		.amdhsa_float_denorm_mode_16_64 3
		.amdhsa_dx10_clamp 1
		.amdhsa_ieee_mode 1
		.amdhsa_fp16_overflow 0
		.amdhsa_tg_split 0
		.amdhsa_exception_fp_ieee_invalid_op 0
		.amdhsa_exception_fp_denorm_src 0
		.amdhsa_exception_fp_ieee_div_zero 0
		.amdhsa_exception_fp_ieee_overflow 0
		.amdhsa_exception_fp_ieee_underflow 0
		.amdhsa_exception_fp_ieee_inexact 0
		.amdhsa_exception_int_div_zero 0
	.end_amdhsa_kernel
	.section	.text._ZN7rocprim17ROCPRIM_400000_NS6detail17trampoline_kernelINS0_14default_configENS1_27scan_by_key_config_selectorIiiEEZZNS1_16scan_by_key_implILNS1_25lookback_scan_determinismE0ELb0ES3_N6thrust23THRUST_200600_302600_NS6detail15normal_iteratorINS9_10device_ptrIiEEEESE_SE_iNS9_4plusIvEENS9_8equal_toIvEEiEE10hipError_tPvRmT2_T3_T4_T5_mT6_T7_P12ihipStream_tbENKUlT_T0_E_clISt17integral_constantIbLb1EESY_IbLb0EEEEDaSU_SV_EUlSU_E_NS1_11comp_targetILNS1_3genE10ELNS1_11target_archE1201ELNS1_3gpuE5ELNS1_3repE0EEENS1_30default_config_static_selectorELNS0_4arch9wavefront6targetE1EEEvT1_,"axG",@progbits,_ZN7rocprim17ROCPRIM_400000_NS6detail17trampoline_kernelINS0_14default_configENS1_27scan_by_key_config_selectorIiiEEZZNS1_16scan_by_key_implILNS1_25lookback_scan_determinismE0ELb0ES3_N6thrust23THRUST_200600_302600_NS6detail15normal_iteratorINS9_10device_ptrIiEEEESE_SE_iNS9_4plusIvEENS9_8equal_toIvEEiEE10hipError_tPvRmT2_T3_T4_T5_mT6_T7_P12ihipStream_tbENKUlT_T0_E_clISt17integral_constantIbLb1EESY_IbLb0EEEEDaSU_SV_EUlSU_E_NS1_11comp_targetILNS1_3genE10ELNS1_11target_archE1201ELNS1_3gpuE5ELNS1_3repE0EEENS1_30default_config_static_selectorELNS0_4arch9wavefront6targetE1EEEvT1_,comdat
.Lfunc_end145:
	.size	_ZN7rocprim17ROCPRIM_400000_NS6detail17trampoline_kernelINS0_14default_configENS1_27scan_by_key_config_selectorIiiEEZZNS1_16scan_by_key_implILNS1_25lookback_scan_determinismE0ELb0ES3_N6thrust23THRUST_200600_302600_NS6detail15normal_iteratorINS9_10device_ptrIiEEEESE_SE_iNS9_4plusIvEENS9_8equal_toIvEEiEE10hipError_tPvRmT2_T3_T4_T5_mT6_T7_P12ihipStream_tbENKUlT_T0_E_clISt17integral_constantIbLb1EESY_IbLb0EEEEDaSU_SV_EUlSU_E_NS1_11comp_targetILNS1_3genE10ELNS1_11target_archE1201ELNS1_3gpuE5ELNS1_3repE0EEENS1_30default_config_static_selectorELNS0_4arch9wavefront6targetE1EEEvT1_, .Lfunc_end145-_ZN7rocprim17ROCPRIM_400000_NS6detail17trampoline_kernelINS0_14default_configENS1_27scan_by_key_config_selectorIiiEEZZNS1_16scan_by_key_implILNS1_25lookback_scan_determinismE0ELb0ES3_N6thrust23THRUST_200600_302600_NS6detail15normal_iteratorINS9_10device_ptrIiEEEESE_SE_iNS9_4plusIvEENS9_8equal_toIvEEiEE10hipError_tPvRmT2_T3_T4_T5_mT6_T7_P12ihipStream_tbENKUlT_T0_E_clISt17integral_constantIbLb1EESY_IbLb0EEEEDaSU_SV_EUlSU_E_NS1_11comp_targetILNS1_3genE10ELNS1_11target_archE1201ELNS1_3gpuE5ELNS1_3repE0EEENS1_30default_config_static_selectorELNS0_4arch9wavefront6targetE1EEEvT1_
                                        ; -- End function
	.section	.AMDGPU.csdata,"",@progbits
; Kernel info:
; codeLenInByte = 0
; NumSgprs: 6
; NumVgprs: 0
; NumAgprs: 0
; TotalNumVgprs: 0
; ScratchSize: 0
; MemoryBound: 0
; FloatMode: 240
; IeeeMode: 1
; LDSByteSize: 0 bytes/workgroup (compile time only)
; SGPRBlocks: 0
; VGPRBlocks: 0
; NumSGPRsForWavesPerEU: 6
; NumVGPRsForWavesPerEU: 1
; AccumOffset: 4
; Occupancy: 8
; WaveLimiterHint : 0
; COMPUTE_PGM_RSRC2:SCRATCH_EN: 0
; COMPUTE_PGM_RSRC2:USER_SGPR: 2
; COMPUTE_PGM_RSRC2:TRAP_HANDLER: 0
; COMPUTE_PGM_RSRC2:TGID_X_EN: 1
; COMPUTE_PGM_RSRC2:TGID_Y_EN: 0
; COMPUTE_PGM_RSRC2:TGID_Z_EN: 0
; COMPUTE_PGM_RSRC2:TIDIG_COMP_CNT: 0
; COMPUTE_PGM_RSRC3_GFX90A:ACCUM_OFFSET: 0
; COMPUTE_PGM_RSRC3_GFX90A:TG_SPLIT: 0
	.section	.text._ZN7rocprim17ROCPRIM_400000_NS6detail17trampoline_kernelINS0_14default_configENS1_27scan_by_key_config_selectorIiiEEZZNS1_16scan_by_key_implILNS1_25lookback_scan_determinismE0ELb0ES3_N6thrust23THRUST_200600_302600_NS6detail15normal_iteratorINS9_10device_ptrIiEEEESE_SE_iNS9_4plusIvEENS9_8equal_toIvEEiEE10hipError_tPvRmT2_T3_T4_T5_mT6_T7_P12ihipStream_tbENKUlT_T0_E_clISt17integral_constantIbLb1EESY_IbLb0EEEEDaSU_SV_EUlSU_E_NS1_11comp_targetILNS1_3genE5ELNS1_11target_archE942ELNS1_3gpuE9ELNS1_3repE0EEENS1_30default_config_static_selectorELNS0_4arch9wavefront6targetE1EEEvT1_,"axG",@progbits,_ZN7rocprim17ROCPRIM_400000_NS6detail17trampoline_kernelINS0_14default_configENS1_27scan_by_key_config_selectorIiiEEZZNS1_16scan_by_key_implILNS1_25lookback_scan_determinismE0ELb0ES3_N6thrust23THRUST_200600_302600_NS6detail15normal_iteratorINS9_10device_ptrIiEEEESE_SE_iNS9_4plusIvEENS9_8equal_toIvEEiEE10hipError_tPvRmT2_T3_T4_T5_mT6_T7_P12ihipStream_tbENKUlT_T0_E_clISt17integral_constantIbLb1EESY_IbLb0EEEEDaSU_SV_EUlSU_E_NS1_11comp_targetILNS1_3genE5ELNS1_11target_archE942ELNS1_3gpuE9ELNS1_3repE0EEENS1_30default_config_static_selectorELNS0_4arch9wavefront6targetE1EEEvT1_,comdat
	.protected	_ZN7rocprim17ROCPRIM_400000_NS6detail17trampoline_kernelINS0_14default_configENS1_27scan_by_key_config_selectorIiiEEZZNS1_16scan_by_key_implILNS1_25lookback_scan_determinismE0ELb0ES3_N6thrust23THRUST_200600_302600_NS6detail15normal_iteratorINS9_10device_ptrIiEEEESE_SE_iNS9_4plusIvEENS9_8equal_toIvEEiEE10hipError_tPvRmT2_T3_T4_T5_mT6_T7_P12ihipStream_tbENKUlT_T0_E_clISt17integral_constantIbLb1EESY_IbLb0EEEEDaSU_SV_EUlSU_E_NS1_11comp_targetILNS1_3genE5ELNS1_11target_archE942ELNS1_3gpuE9ELNS1_3repE0EEENS1_30default_config_static_selectorELNS0_4arch9wavefront6targetE1EEEvT1_ ; -- Begin function _ZN7rocprim17ROCPRIM_400000_NS6detail17trampoline_kernelINS0_14default_configENS1_27scan_by_key_config_selectorIiiEEZZNS1_16scan_by_key_implILNS1_25lookback_scan_determinismE0ELb0ES3_N6thrust23THRUST_200600_302600_NS6detail15normal_iteratorINS9_10device_ptrIiEEEESE_SE_iNS9_4plusIvEENS9_8equal_toIvEEiEE10hipError_tPvRmT2_T3_T4_T5_mT6_T7_P12ihipStream_tbENKUlT_T0_E_clISt17integral_constantIbLb1EESY_IbLb0EEEEDaSU_SV_EUlSU_E_NS1_11comp_targetILNS1_3genE5ELNS1_11target_archE942ELNS1_3gpuE9ELNS1_3repE0EEENS1_30default_config_static_selectorELNS0_4arch9wavefront6targetE1EEEvT1_
	.globl	_ZN7rocprim17ROCPRIM_400000_NS6detail17trampoline_kernelINS0_14default_configENS1_27scan_by_key_config_selectorIiiEEZZNS1_16scan_by_key_implILNS1_25lookback_scan_determinismE0ELb0ES3_N6thrust23THRUST_200600_302600_NS6detail15normal_iteratorINS9_10device_ptrIiEEEESE_SE_iNS9_4plusIvEENS9_8equal_toIvEEiEE10hipError_tPvRmT2_T3_T4_T5_mT6_T7_P12ihipStream_tbENKUlT_T0_E_clISt17integral_constantIbLb1EESY_IbLb0EEEEDaSU_SV_EUlSU_E_NS1_11comp_targetILNS1_3genE5ELNS1_11target_archE942ELNS1_3gpuE9ELNS1_3repE0EEENS1_30default_config_static_selectorELNS0_4arch9wavefront6targetE1EEEvT1_
	.p2align	8
	.type	_ZN7rocprim17ROCPRIM_400000_NS6detail17trampoline_kernelINS0_14default_configENS1_27scan_by_key_config_selectorIiiEEZZNS1_16scan_by_key_implILNS1_25lookback_scan_determinismE0ELb0ES3_N6thrust23THRUST_200600_302600_NS6detail15normal_iteratorINS9_10device_ptrIiEEEESE_SE_iNS9_4plusIvEENS9_8equal_toIvEEiEE10hipError_tPvRmT2_T3_T4_T5_mT6_T7_P12ihipStream_tbENKUlT_T0_E_clISt17integral_constantIbLb1EESY_IbLb0EEEEDaSU_SV_EUlSU_E_NS1_11comp_targetILNS1_3genE5ELNS1_11target_archE942ELNS1_3gpuE9ELNS1_3repE0EEENS1_30default_config_static_selectorELNS0_4arch9wavefront6targetE1EEEvT1_,@function
_ZN7rocprim17ROCPRIM_400000_NS6detail17trampoline_kernelINS0_14default_configENS1_27scan_by_key_config_selectorIiiEEZZNS1_16scan_by_key_implILNS1_25lookback_scan_determinismE0ELb0ES3_N6thrust23THRUST_200600_302600_NS6detail15normal_iteratorINS9_10device_ptrIiEEEESE_SE_iNS9_4plusIvEENS9_8equal_toIvEEiEE10hipError_tPvRmT2_T3_T4_T5_mT6_T7_P12ihipStream_tbENKUlT_T0_E_clISt17integral_constantIbLb1EESY_IbLb0EEEEDaSU_SV_EUlSU_E_NS1_11comp_targetILNS1_3genE5ELNS1_11target_archE942ELNS1_3gpuE9ELNS1_3repE0EEENS1_30default_config_static_selectorELNS0_4arch9wavefront6targetE1EEEvT1_: ; @_ZN7rocprim17ROCPRIM_400000_NS6detail17trampoline_kernelINS0_14default_configENS1_27scan_by_key_config_selectorIiiEEZZNS1_16scan_by_key_implILNS1_25lookback_scan_determinismE0ELb0ES3_N6thrust23THRUST_200600_302600_NS6detail15normal_iteratorINS9_10device_ptrIiEEEESE_SE_iNS9_4plusIvEENS9_8equal_toIvEEiEE10hipError_tPvRmT2_T3_T4_T5_mT6_T7_P12ihipStream_tbENKUlT_T0_E_clISt17integral_constantIbLb1EESY_IbLb0EEEEDaSU_SV_EUlSU_E_NS1_11comp_targetILNS1_3genE5ELNS1_11target_archE942ELNS1_3gpuE9ELNS1_3repE0EEENS1_30default_config_static_selectorELNS0_4arch9wavefront6targetE1EEEvT1_
; %bb.0:
	s_load_dwordx8 s[52:59], s[0:1], 0x0
	s_load_dwordx4 s[68:71], s[0:1], 0x28
	s_load_dwordx2 s[74:75], s[0:1], 0x38
	s_load_dword s3, s[0:1], 0x40
	s_load_dwordx8 s[60:67], s[0:1], 0x48
	s_waitcnt lgkmcnt(0)
	s_lshl_b64 s[72:73], s[54:55], 2
	s_add_u32 s4, s52, s72
	s_addc_u32 s5, s53, s73
	s_add_u32 s6, s56, s72
	s_mul_i32 s0, s75, s3
	s_mul_hi_u32 s1, s74, s3
	s_addc_u32 s7, s57, s73
	s_add_i32 s8, s1, s0
	s_cmp_lg_u64 s[64:65], 0
	s_mul_i32 s0, s2, 0x1700
	s_mov_b32 s1, 0
	s_cselect_b64 s[64:65], -1, 0
	s_lshl_b64 s[56:57], s[0:1], 2
	s_add_u32 s54, s4, s56
	s_addc_u32 s55, s5, s57
	s_add_u32 s52, s6, s56
	s_mul_i32 s3, s74, s3
	s_addc_u32 s53, s7, s57
	s_add_u32 s76, s3, s2
	s_addc_u32 s77, s8, 0
	s_add_u32 s4, s60, -1
	s_addc_u32 s5, s61, -1
	v_mov_b64_e32 v[2:3], s[4:5]
	v_cmp_ge_u64_e64 s[0:1], s[76:77], v[2:3]
	s_mov_b64 s[10:11], 0
	s_mov_b64 s[6:7], -1
	s_and_b64 vcc, exec, s[0:1]
	s_mul_i32 s33, s4, 0xffffe900
	s_barrier
	s_cbranch_vccz .LBB146_122
; %bb.1:
	v_mov_b64_e32 v[2:3], s[54:55]
	flat_load_dword v1, v[2:3]
	s_add_i32 s3, s33, s70
	v_cmp_gt_u32_e64 s[50:51], s3, v0
	s_waitcnt vmcnt(0) lgkmcnt(0)
	v_mov_b32_e32 v3, v1
	s_and_saveexec_b64 s[4:5], s[50:51]
	s_cbranch_execz .LBB146_3
; %bb.2:
	v_lshlrev_b32_e32 v2, 2, v0
	v_mov_b32_e32 v3, 0
	v_lshl_add_u64 v[2:3], s[54:55], 0, v[2:3]
	flat_load_dword v3, v[2:3]
.LBB146_3:
	s_or_b64 exec, exec, s[4:5]
	v_or_b32_e32 v2, 0x100, v0
	v_cmp_gt_u32_e64 s[4:5], s3, v2
	v_mov_b32_e32 v4, v1
	s_and_saveexec_b64 s[6:7], s[4:5]
	s_cbranch_execz .LBB146_5
; %bb.4:
	v_lshlrev_b32_e32 v4, 2, v0
	v_mov_b32_e32 v5, 0
	v_lshl_add_u64 v[4:5], s[54:55], 0, v[4:5]
	flat_load_dword v4, v[4:5] offset:1024
.LBB146_5:
	s_or_b64 exec, exec, s[6:7]
	v_or_b32_e32 v2, 0x200, v0
	v_cmp_gt_u32_e64 s[6:7], s3, v2
	v_mov_b32_e32 v5, v1
	s_and_saveexec_b64 s[8:9], s[6:7]
	s_cbranch_execz .LBB146_7
; %bb.6:
	v_lshlrev_b32_e32 v6, 2, v0
	v_mov_b32_e32 v7, 0
	v_lshl_add_u64 v[6:7], s[54:55], 0, v[6:7]
	flat_load_dword v5, v[6:7] offset:2048
.LBB146_7:
	;; [unrolled: 12-line block ×3, first 2 shown]
	s_or_b64 exec, exec, s[10:11]
	v_or_b32_e32 v10, 0x400, v0
	v_cmp_gt_u32_e64 s[10:11], s3, v10
	v_mov_b32_e32 v7, v1
	s_and_saveexec_b64 s[12:13], s[10:11]
	s_cbranch_execz .LBB146_11
; %bb.10:
	v_lshlrev_b32_e32 v8, 2, v10
	v_mov_b32_e32 v9, 0
	v_lshl_add_u64 v[8:9], s[54:55], 0, v[8:9]
	flat_load_dword v7, v[8:9]
.LBB146_11:
	s_or_b64 exec, exec, s[12:13]
	v_or_b32_e32 v11, 0x500, v0
	v_cmp_gt_u32_e64 s[12:13], s3, v11
	v_mov_b32_e32 v8, v1
	s_and_saveexec_b64 s[14:15], s[12:13]
	s_cbranch_execz .LBB146_13
; %bb.12:
	v_lshlrev_b32_e32 v8, 2, v11
	v_mov_b32_e32 v9, 0
	v_lshl_add_u64 v[8:9], s[54:55], 0, v[8:9]
	flat_load_dword v8, v[8:9]
.LBB146_13:
	;; [unrolled: 12-line block ×18, first 2 shown]
	s_or_b64 exec, exec, s[48:49]
	v_or_b32_e32 v28, 0x1600, v0
	v_cmp_gt_u32_e64 s[48:49], s3, v28
	s_and_saveexec_b64 s[60:61], s[48:49]
	s_cbranch_execz .LBB146_47
; %bb.46:
	v_lshlrev_b32_e32 v44, 2, v28
	v_mov_b32_e32 v45, 0
	v_lshl_add_u64 v[44:45], s[54:55], 0, v[44:45]
	flat_load_dword v1, v[44:45]
.LBB146_47:
	s_or_b64 exec, exec, s[60:61]
	v_lshlrev_b32_e32 v2, 2, v0
	s_movk_i32 s60, 0x58
	s_waitcnt vmcnt(0) lgkmcnt(0)
	ds_write2st64_b32 v2, v3, v4 offset1:4
	ds_write2st64_b32 v2, v5, v6 offset0:8 offset1:12
	ds_write2st64_b32 v2, v7, v8 offset0:16 offset1:20
	;; [unrolled: 1-line block ×10, first 2 shown]
	ds_write_b32 v2, v1 offset:22528
	v_mad_u32_u24 v1, v0, s60, v2
	s_waitcnt lgkmcnt(0)
	s_barrier
	ds_read2_b32 v[68:69], v1 offset1:1
	ds_read2_b32 v[66:67], v1 offset0:2 offset1:3
	ds_read2_b32 v[64:65], v1 offset0:4 offset1:5
	;; [unrolled: 1-line block ×10, first 2 shown]
	ds_read_b32 v72, v1 offset:88
	s_cmp_eq_u64 s[76:77], 0
	s_mov_b64 s[60:61], s[54:55]
	s_cbranch_scc1 .LBB146_51
; %bb.48:
	s_andn2_b64 vcc, exec, s[64:65]
	s_cbranch_vccnz .LBB146_267
; %bb.49:
	s_lshl_b64 s[60:61], s[76:77], 2
	s_add_u32 s60, s66, s60
	s_addc_u32 s61, s67, s61
	s_add_u32 s60, s60, -4
	s_addc_u32 s61, s61, -1
	s_cbranch_execnz .LBB146_51
.LBB146_50:
	s_add_u32 s60, s54, -4
	s_addc_u32 s61, s55, -1
.LBB146_51:
	v_mov_b64_e32 v[30:31], s[60:61]
	flat_load_dword v70, v[30:31]
	s_movk_i32 s60, 0xffa8
	v_mad_i32_i24 v3, v0, s60, v1
	v_cmp_ne_u32_e32 vcc, 0, v0
	s_waitcnt lgkmcnt(0)
	ds_write_b32 v3, v72 offset:23552
	s_waitcnt lgkmcnt(0)
	s_barrier
	s_and_saveexec_b64 s[60:61], vcc
	s_cbranch_execz .LBB146_53
; %bb.52:
	v_mul_i32_i24_e32 v3, 0xffffffa8, v0
	v_add_u32_e32 v3, v1, v3
	s_waitcnt vmcnt(0)
	ds_read_b32 v70, v3 offset:23548
.LBB146_53:
	s_or_b64 exec, exec, s[60:61]
	v_mov_b32_e32 v3, 0
	s_waitcnt lgkmcnt(0)
	s_barrier
	s_waitcnt lgkmcnt(0)
                                        ; implicit-def: $vgpr29
	s_and_saveexec_b64 s[60:61], s[50:51]
	s_cbranch_execnz .LBB146_243
; %bb.54:
	s_or_b64 exec, exec, s[60:61]
                                        ; implicit-def: $vgpr30
	s_and_saveexec_b64 s[50:51], s[4:5]
	s_cbranch_execnz .LBB146_244
.LBB146_55:
	s_or_b64 exec, exec, s[50:51]
                                        ; implicit-def: $vgpr31
	s_and_saveexec_b64 s[4:5], s[6:7]
	s_cbranch_execnz .LBB146_245
.LBB146_56:
	s_or_b64 exec, exec, s[4:5]
                                        ; implicit-def: $vgpr3
	s_and_saveexec_b64 s[4:5], s[8:9]
	s_cbranch_execnz .LBB146_246
.LBB146_57:
	s_or_b64 exec, exec, s[4:5]
                                        ; implicit-def: $vgpr32
	s_and_saveexec_b64 s[4:5], s[10:11]
	s_cbranch_execnz .LBB146_247
.LBB146_58:
	s_or_b64 exec, exec, s[4:5]
                                        ; implicit-def: $vgpr10
	s_and_saveexec_b64 s[4:5], s[12:13]
	s_cbranch_execnz .LBB146_248
.LBB146_59:
	s_or_b64 exec, exec, s[4:5]
                                        ; implicit-def: $vgpr11
	s_and_saveexec_b64 s[4:5], s[14:15]
	s_cbranch_execnz .LBB146_249
.LBB146_60:
	s_or_b64 exec, exec, s[4:5]
                                        ; implicit-def: $vgpr12
	s_and_saveexec_b64 s[4:5], s[16:17]
	s_cbranch_execnz .LBB146_250
.LBB146_61:
	s_or_b64 exec, exec, s[4:5]
                                        ; implicit-def: $vgpr13
	s_and_saveexec_b64 s[4:5], s[18:19]
	s_cbranch_execnz .LBB146_251
.LBB146_62:
	s_or_b64 exec, exec, s[4:5]
                                        ; implicit-def: $vgpr14
	s_and_saveexec_b64 s[4:5], s[20:21]
	s_cbranch_execnz .LBB146_252
.LBB146_63:
	s_or_b64 exec, exec, s[4:5]
                                        ; implicit-def: $vgpr15
	s_and_saveexec_b64 s[4:5], s[22:23]
	s_cbranch_execnz .LBB146_253
.LBB146_64:
	s_or_b64 exec, exec, s[4:5]
                                        ; implicit-def: $vgpr16
	s_and_saveexec_b64 s[4:5], s[24:25]
	s_cbranch_execnz .LBB146_254
.LBB146_65:
	s_or_b64 exec, exec, s[4:5]
                                        ; implicit-def: $vgpr17
	s_and_saveexec_b64 s[4:5], s[26:27]
	s_cbranch_execnz .LBB146_255
.LBB146_66:
	s_or_b64 exec, exec, s[4:5]
                                        ; implicit-def: $vgpr18
	s_and_saveexec_b64 s[4:5], s[28:29]
	s_cbranch_execnz .LBB146_256
.LBB146_67:
	s_or_b64 exec, exec, s[4:5]
                                        ; implicit-def: $vgpr19
	s_and_saveexec_b64 s[4:5], s[30:31]
	s_cbranch_execnz .LBB146_257
.LBB146_68:
	s_or_b64 exec, exec, s[4:5]
                                        ; implicit-def: $vgpr20
	s_and_saveexec_b64 s[4:5], s[34:35]
	s_cbranch_execnz .LBB146_258
.LBB146_69:
	s_or_b64 exec, exec, s[4:5]
                                        ; implicit-def: $vgpr21
	s_and_saveexec_b64 s[4:5], s[36:37]
	s_cbranch_execnz .LBB146_259
.LBB146_70:
	s_or_b64 exec, exec, s[4:5]
                                        ; implicit-def: $vgpr22
	s_and_saveexec_b64 s[4:5], s[38:39]
	s_cbranch_execnz .LBB146_260
.LBB146_71:
	s_or_b64 exec, exec, s[4:5]
                                        ; implicit-def: $vgpr23
	s_and_saveexec_b64 s[4:5], s[40:41]
	s_cbranch_execnz .LBB146_261
.LBB146_72:
	s_or_b64 exec, exec, s[4:5]
                                        ; implicit-def: $vgpr24
	s_and_saveexec_b64 s[4:5], s[42:43]
	s_cbranch_execnz .LBB146_262
.LBB146_73:
	s_or_b64 exec, exec, s[4:5]
                                        ; implicit-def: $vgpr25
	s_and_saveexec_b64 s[4:5], s[44:45]
	s_cbranch_execnz .LBB146_263
.LBB146_74:
	s_or_b64 exec, exec, s[4:5]
                                        ; implicit-def: $vgpr26
	s_and_saveexec_b64 s[4:5], s[46:47]
	s_cbranch_execnz .LBB146_264
.LBB146_75:
	s_or_b64 exec, exec, s[4:5]
                                        ; implicit-def: $vgpr27
	s_and_saveexec_b64 s[4:5], s[48:49]
	s_cbranch_execz .LBB146_77
.LBB146_76:
	v_lshlrev_b32_e32 v34, 2, v28
	v_mov_b32_e32 v35, 0
	v_lshl_add_u64 v[34:35], s[52:53], 0, v[34:35]
	flat_load_dword v27, v[34:35]
.LBB146_77:
	s_or_b64 exec, exec, s[4:5]
	v_mul_u32_u24_e32 v73, 23, v0
	s_waitcnt vmcnt(0) lgkmcnt(0)
	ds_write2st64_b32 v2, v29, v30 offset1:4
	ds_write2st64_b32 v2, v31, v3 offset0:8 offset1:12
	ds_write2st64_b32 v2, v32, v10 offset0:16 offset1:20
	;; [unrolled: 1-line block ×10, first 2 shown]
	ds_write_b32 v2, v27 offset:22528
	v_mov_b64_e32 v[10:11], 0
	v_cmp_gt_u32_e32 vcc, s3, v73
	s_mov_b64 s[10:11], 0
	s_mov_b64 s[6:7], 0
	v_mov_b64_e32 v[12:13], v[10:11]
	v_mov_b64_e32 v[14:15], v[10:11]
	;; [unrolled: 1-line block ×21, first 2 shown]
	s_waitcnt lgkmcnt(0)
	s_barrier
	s_waitcnt lgkmcnt(0)
                                        ; implicit-def: $sgpr4_sgpr5
                                        ; implicit-def: $vgpr3
	s_and_saveexec_b64 s[8:9], vcc
	s_cbranch_execz .LBB146_121
; %bb.78:
	ds_read_b32 v10, v1
	v_add_u32_e32 v2, 1, v73
	v_cmp_ne_u32_e32 vcc, v70, v68
	v_mov_b64_e32 v[12:13], 0
	s_mov_b64 s[12:13], 0
	v_cndmask_b32_e64 v11, 0, 1, vcc
	v_cmp_gt_u32_e32 vcc, s3, v2
	s_mov_b64 s[4:5], 0
	v_mov_b64_e32 v[14:15], v[12:13]
	v_mov_b64_e32 v[16:17], v[12:13]
	;; [unrolled: 1-line block ×20, first 2 shown]
                                        ; implicit-def: $sgpr14_sgpr15
                                        ; implicit-def: $vgpr3
	s_and_saveexec_b64 s[10:11], vcc
	s_cbranch_execz .LBB146_120
; %bb.79:
	ds_read2_b32 v[70:71], v1 offset0:1 offset1:2
	v_add_u32_e32 v2, 2, v73
	v_cmp_ne_u32_e32 vcc, v68, v69
	v_mov_b64_e32 v[14:15], 0
	s_mov_b64 s[16:17], 0
	v_cndmask_b32_e64 v13, 0, 1, vcc
	v_cmp_gt_u32_e32 vcc, s3, v2
	s_waitcnt lgkmcnt(0)
	v_mov_b32_e32 v12, v70
	v_mov_b64_e32 v[16:17], v[14:15]
	v_mov_b64_e32 v[18:19], v[14:15]
	v_mov_b64_e32 v[20:21], v[14:15]
	v_mov_b64_e32 v[22:23], v[14:15]
	v_mov_b64_e32 v[24:25], v[14:15]
	v_mov_b64_e32 v[26:27], v[14:15]
	v_mov_b64_e32 v[28:29], v[14:15]
	v_mov_b64_e32 v[30:31], v[14:15]
	v_mov_b64_e32 v[32:33], v[14:15]
	v_mov_b64_e32 v[34:35], v[14:15]
	v_mov_b64_e32 v[36:37], v[14:15]
	v_mov_b64_e32 v[38:39], v[14:15]
	v_mov_b64_e32 v[40:41], v[14:15]
	v_mov_b64_e32 v[42:43], v[14:15]
	v_mov_b64_e32 v[44:45], v[14:15]
	v_mov_b64_e32 v[46:47], v[14:15]
	v_mov_b64_e32 v[48:49], v[14:15]
	v_mov_b64_e32 v[50:51], v[14:15]
	v_mov_b64_e32 v[52:53], v[14:15]
                                        ; implicit-def: $sgpr14_sgpr15
                                        ; implicit-def: $vgpr3
	s_and_saveexec_b64 s[12:13], vcc
	s_cbranch_execz .LBB146_119
; %bb.80:
	v_add_u32_e32 v2, 3, v73
	v_cmp_ne_u32_e32 vcc, v69, v66
	v_mov_b64_e32 v[16:17], 0
	v_mov_b32_e32 v14, v71
	v_cndmask_b32_e64 v15, 0, 1, vcc
	v_cmp_gt_u32_e32 vcc, s3, v2
	v_mov_b64_e32 v[18:19], v[16:17]
	v_mov_b64_e32 v[20:21], v[16:17]
	;; [unrolled: 1-line block ×18, first 2 shown]
                                        ; implicit-def: $sgpr18_sgpr19
                                        ; implicit-def: $vgpr3
	s_and_saveexec_b64 s[14:15], vcc
	s_cbranch_execz .LBB146_118
; %bb.81:
	ds_read2_b32 v[68:69], v1 offset0:3 offset1:4
	v_add_u32_e32 v2, 4, v73
	v_cmp_ne_u32_e32 vcc, v66, v67
	v_mov_b64_e32 v[18:19], 0
	s_mov_b64 s[20:21], 0
	v_cndmask_b32_e64 v17, 0, 1, vcc
	v_cmp_gt_u32_e32 vcc, s3, v2
	s_waitcnt lgkmcnt(0)
	v_mov_b32_e32 v16, v68
	v_mov_b64_e32 v[20:21], v[18:19]
	v_mov_b64_e32 v[22:23], v[18:19]
	;; [unrolled: 1-line block ×17, first 2 shown]
                                        ; implicit-def: $sgpr18_sgpr19
                                        ; implicit-def: $vgpr3
	s_and_saveexec_b64 s[16:17], vcc
	s_cbranch_execz .LBB146_117
; %bb.82:
	v_add_u32_e32 v2, 5, v73
	v_cmp_ne_u32_e32 vcc, v67, v64
	v_mov_b64_e32 v[20:21], 0
	v_mov_b32_e32 v18, v69
	v_cndmask_b32_e64 v19, 0, 1, vcc
	v_cmp_gt_u32_e32 vcc, s3, v2
	v_mov_b64_e32 v[22:23], v[20:21]
	v_mov_b64_e32 v[24:25], v[20:21]
	;; [unrolled: 1-line block ×16, first 2 shown]
                                        ; implicit-def: $sgpr22_sgpr23
                                        ; implicit-def: $vgpr3
	s_and_saveexec_b64 s[18:19], vcc
	s_cbranch_execz .LBB146_116
; %bb.83:
	ds_read2_b32 v[66:67], v1 offset0:5 offset1:6
	v_add_u32_e32 v2, 6, v73
	v_cmp_ne_u32_e32 vcc, v64, v65
	v_mov_b64_e32 v[22:23], 0
	s_mov_b64 s[24:25], 0
	v_cndmask_b32_e64 v21, 0, 1, vcc
	v_cmp_gt_u32_e32 vcc, s3, v2
	s_waitcnt lgkmcnt(0)
	v_mov_b32_e32 v20, v66
	v_mov_b64_e32 v[24:25], v[22:23]
	v_mov_b64_e32 v[26:27], v[22:23]
	;; [unrolled: 1-line block ×15, first 2 shown]
                                        ; implicit-def: $sgpr22_sgpr23
                                        ; implicit-def: $vgpr3
	s_and_saveexec_b64 s[20:21], vcc
	s_cbranch_execz .LBB146_115
; %bb.84:
	v_add_u32_e32 v2, 7, v73
	v_cmp_ne_u32_e32 vcc, v65, v62
	v_mov_b64_e32 v[24:25], 0
	v_mov_b32_e32 v22, v67
	v_cndmask_b32_e64 v23, 0, 1, vcc
	v_cmp_gt_u32_e32 vcc, s3, v2
	v_mov_b64_e32 v[26:27], v[24:25]
	v_mov_b64_e32 v[28:29], v[24:25]
	;; [unrolled: 1-line block ×14, first 2 shown]
                                        ; implicit-def: $sgpr26_sgpr27
                                        ; implicit-def: $vgpr3
	s_and_saveexec_b64 s[22:23], vcc
	s_cbranch_execz .LBB146_114
; %bb.85:
	ds_read2_b32 v[64:65], v1 offset0:7 offset1:8
	v_add_u32_e32 v2, 8, v73
	v_cmp_ne_u32_e32 vcc, v62, v63
	v_mov_b64_e32 v[26:27], 0
	s_mov_b64 s[28:29], 0
	v_cndmask_b32_e64 v25, 0, 1, vcc
	v_cmp_gt_u32_e32 vcc, s3, v2
	s_waitcnt lgkmcnt(0)
	v_mov_b32_e32 v24, v64
	v_mov_b64_e32 v[28:29], v[26:27]
	v_mov_b64_e32 v[30:31], v[26:27]
	;; [unrolled: 1-line block ×13, first 2 shown]
                                        ; implicit-def: $sgpr26_sgpr27
                                        ; implicit-def: $vgpr3
	s_and_saveexec_b64 s[24:25], vcc
	s_cbranch_execz .LBB146_113
; %bb.86:
	v_add_u32_e32 v2, 9, v73
	v_cmp_ne_u32_e32 vcc, v63, v60
	v_mov_b64_e32 v[28:29], 0
	v_mov_b32_e32 v26, v65
	v_cndmask_b32_e64 v27, 0, 1, vcc
	v_cmp_gt_u32_e32 vcc, s3, v2
	v_mov_b64_e32 v[30:31], v[28:29]
	v_mov_b64_e32 v[32:33], v[28:29]
	;; [unrolled: 1-line block ×12, first 2 shown]
                                        ; implicit-def: $sgpr30_sgpr31
                                        ; implicit-def: $vgpr3
	s_and_saveexec_b64 s[26:27], vcc
	s_cbranch_execz .LBB146_112
; %bb.87:
	ds_read2_b32 v[62:63], v1 offset0:9 offset1:10
	v_add_u32_e32 v2, 10, v73
	v_cmp_ne_u32_e32 vcc, v60, v61
	v_mov_b64_e32 v[30:31], 0
	s_mov_b64 s[34:35], 0
	v_cndmask_b32_e64 v29, 0, 1, vcc
	v_cmp_gt_u32_e32 vcc, s3, v2
	s_waitcnt lgkmcnt(0)
	v_mov_b32_e32 v28, v62
	v_mov_b64_e32 v[32:33], v[30:31]
	v_mov_b64_e32 v[34:35], v[30:31]
	;; [unrolled: 1-line block ×11, first 2 shown]
                                        ; implicit-def: $sgpr30_sgpr31
                                        ; implicit-def: $vgpr3
	s_and_saveexec_b64 s[28:29], vcc
	s_cbranch_execz .LBB146_111
; %bb.88:
	v_add_u32_e32 v2, 11, v73
	v_cmp_ne_u32_e32 vcc, v61, v58
	v_mov_b64_e32 v[32:33], 0
	v_mov_b32_e32 v30, v63
	v_cndmask_b32_e64 v31, 0, 1, vcc
	v_cmp_gt_u32_e32 vcc, s3, v2
	v_mov_b64_e32 v[34:35], v[32:33]
	v_mov_b64_e32 v[36:37], v[32:33]
	v_mov_b64_e32 v[38:39], v[32:33]
	v_mov_b64_e32 v[40:41], v[32:33]
	v_mov_b64_e32 v[42:43], v[32:33]
	v_mov_b64_e32 v[44:45], v[32:33]
	v_mov_b64_e32 v[46:47], v[32:33]
	v_mov_b64_e32 v[48:49], v[32:33]
	v_mov_b64_e32 v[50:51], v[32:33]
	v_mov_b64_e32 v[52:53], v[32:33]
                                        ; implicit-def: $sgpr36_sgpr37
                                        ; implicit-def: $vgpr3
	s_and_saveexec_b64 s[30:31], vcc
	s_cbranch_execz .LBB146_110
; %bb.89:
	ds_read2_b32 v[60:61], v1 offset0:11 offset1:12
	v_add_u32_e32 v2, 12, v73
	v_cmp_ne_u32_e32 vcc, v58, v59
	v_mov_b64_e32 v[34:35], 0
	s_mov_b64 s[38:39], 0
	v_cndmask_b32_e64 v33, 0, 1, vcc
	v_cmp_gt_u32_e32 vcc, s3, v2
	s_waitcnt lgkmcnt(0)
	v_mov_b32_e32 v32, v60
	v_mov_b64_e32 v[36:37], v[34:35]
	v_mov_b64_e32 v[38:39], v[34:35]
	;; [unrolled: 1-line block ×9, first 2 shown]
                                        ; implicit-def: $sgpr36_sgpr37
                                        ; implicit-def: $vgpr3
	s_and_saveexec_b64 s[34:35], vcc
	s_cbranch_execz .LBB146_109
; %bb.90:
	v_add_u32_e32 v2, 13, v73
	v_cmp_ne_u32_e32 vcc, v59, v56
	v_mov_b64_e32 v[36:37], 0
	v_mov_b32_e32 v34, v61
	v_cndmask_b32_e64 v35, 0, 1, vcc
	v_cmp_gt_u32_e32 vcc, s3, v2
	v_mov_b64_e32 v[38:39], v[36:37]
	v_mov_b64_e32 v[40:41], v[36:37]
	;; [unrolled: 1-line block ×8, first 2 shown]
                                        ; implicit-def: $sgpr40_sgpr41
                                        ; implicit-def: $vgpr3
	s_and_saveexec_b64 s[36:37], vcc
	s_cbranch_execz .LBB146_108
; %bb.91:
	ds_read2_b32 v[58:59], v1 offset0:13 offset1:14
	v_add_u32_e32 v2, 14, v73
	v_cmp_ne_u32_e32 vcc, v56, v57
	v_mov_b64_e32 v[38:39], 0
	s_mov_b64 s[42:43], 0
	v_cndmask_b32_e64 v37, 0, 1, vcc
	v_cmp_gt_u32_e32 vcc, s3, v2
	s_waitcnt lgkmcnt(0)
	v_mov_b32_e32 v36, v58
	v_mov_b64_e32 v[40:41], v[38:39]
	v_mov_b64_e32 v[42:43], v[38:39]
	;; [unrolled: 1-line block ×7, first 2 shown]
                                        ; implicit-def: $sgpr40_sgpr41
                                        ; implicit-def: $vgpr3
	s_and_saveexec_b64 s[38:39], vcc
	s_cbranch_execz .LBB146_107
; %bb.92:
	v_add_u32_e32 v2, 15, v73
	v_cmp_ne_u32_e32 vcc, v57, v54
	v_mov_b64_e32 v[40:41], 0
	v_mov_b32_e32 v38, v59
	v_cndmask_b32_e64 v39, 0, 1, vcc
	v_cmp_gt_u32_e32 vcc, s3, v2
	v_mov_b64_e32 v[42:43], v[40:41]
	v_mov_b64_e32 v[44:45], v[40:41]
	;; [unrolled: 1-line block ×6, first 2 shown]
                                        ; implicit-def: $sgpr44_sgpr45
                                        ; implicit-def: $vgpr3
	s_and_saveexec_b64 s[40:41], vcc
	s_cbranch_execz .LBB146_106
; %bb.93:
	ds_read2_b32 v[56:57], v1 offset0:15 offset1:16
	v_add_u32_e32 v2, 16, v73
	v_cmp_ne_u32_e32 vcc, v54, v55
	v_mov_b64_e32 v[42:43], 0
	s_mov_b64 s[46:47], 0
	v_cndmask_b32_e64 v41, 0, 1, vcc
	v_cmp_gt_u32_e32 vcc, s3, v2
	s_waitcnt lgkmcnt(0)
	v_mov_b32_e32 v40, v56
	v_mov_b64_e32 v[44:45], v[42:43]
	v_mov_b64_e32 v[46:47], v[42:43]
	;; [unrolled: 1-line block ×5, first 2 shown]
                                        ; implicit-def: $sgpr44_sgpr45
                                        ; implicit-def: $vgpr3
	s_and_saveexec_b64 s[42:43], vcc
	s_cbranch_execz .LBB146_105
; %bb.94:
	v_add_u32_e32 v2, 17, v73
	v_cmp_ne_u32_e32 vcc, v55, v8
	v_mov_b64_e32 v[44:45], 0
	v_mov_b32_e32 v42, v57
	v_cndmask_b32_e64 v43, 0, 1, vcc
	v_cmp_gt_u32_e32 vcc, s3, v2
	v_mov_b64_e32 v[46:47], v[44:45]
	v_mov_b64_e32 v[48:49], v[44:45]
	;; [unrolled: 1-line block ×4, first 2 shown]
                                        ; implicit-def: $sgpr48_sgpr49
                                        ; implicit-def: $vgpr3
	s_and_saveexec_b64 s[44:45], vcc
	s_cbranch_execz .LBB146_104
; %bb.95:
	ds_read2_b32 v[54:55], v1 offset0:17 offset1:18
	v_add_u32_e32 v2, 18, v73
	v_cmp_ne_u32_e32 vcc, v8, v9
	v_mov_b64_e32 v[46:47], 0
	s_mov_b64 s[50:51], 0
	v_cndmask_b32_e64 v45, 0, 1, vcc
	v_cmp_gt_u32_e32 vcc, s3, v2
	s_waitcnt lgkmcnt(0)
	v_mov_b32_e32 v44, v54
	v_mov_b64_e32 v[48:49], v[46:47]
	v_mov_b64_e32 v[50:51], v[46:47]
	;; [unrolled: 1-line block ×3, first 2 shown]
                                        ; implicit-def: $sgpr48_sgpr49
                                        ; implicit-def: $vgpr3
	s_and_saveexec_b64 s[46:47], vcc
	s_cbranch_execz .LBB146_103
; %bb.96:
	v_add_u32_e32 v2, 19, v73
	v_cmp_ne_u32_e32 vcc, v9, v6
	v_mov_b64_e32 v[48:49], 0
	v_mov_b32_e32 v46, v55
	v_cndmask_b32_e64 v47, 0, 1, vcc
	v_cmp_gt_u32_e32 vcc, s3, v2
	v_mov_b64_e32 v[50:51], v[48:49]
	v_mov_b64_e32 v[52:53], v[48:49]
                                        ; implicit-def: $sgpr60_sgpr61
                                        ; implicit-def: $vgpr3
	s_and_saveexec_b64 s[48:49], vcc
	s_cbranch_execz .LBB146_102
; %bb.97:
	ds_read2_b32 v[8:9], v1 offset0:19 offset1:20
	v_add_u32_e32 v2, 20, v73
	v_cmp_ne_u32_e32 vcc, v6, v7
	v_mov_b64_e32 v[50:51], 0
	s_mov_b64 s[60:61], 0
	v_cndmask_b32_e64 v49, 0, 1, vcc
	v_cmp_gt_u32_e32 vcc, s3, v2
	s_waitcnt lgkmcnt(0)
	v_mov_b32_e32 v48, v8
	v_mov_b64_e32 v[52:53], v[50:51]
                                        ; implicit-def: $sgpr78_sgpr79
                                        ; implicit-def: $vgpr3
	s_and_saveexec_b64 s[50:51], vcc
	s_cbranch_execz .LBB146_101
; %bb.98:
	v_add_u32_e32 v2, 21, v73
	v_cmp_ne_u32_e32 vcc, v7, v4
	v_mov_b32_e32 v50, v9
	v_mov_b64_e32 v[52:53], 0
	v_cndmask_b32_e64 v51, 0, 1, vcc
	v_cmp_gt_u32_e32 vcc, s3, v2
                                        ; implicit-def: $sgpr78_sgpr79
                                        ; implicit-def: $vgpr3
	s_and_saveexec_b64 s[4:5], vcc
	s_xor_b64 s[80:81], exec, s[4:5]
	s_cbranch_execz .LBB146_100
; %bb.99:
	ds_read2_b32 v[2:3], v1 offset0:21 offset1:22
	v_add_u32_e32 v1, 22, v73
	v_cmp_ne_u32_e64 s[4:5], v4, v5
	v_cmp_ne_u32_e32 vcc, v5, v72
	s_and_b64 s[78:79], vcc, exec
	v_cndmask_b32_e64 v53, 0, 1, s[4:5]
	v_cmp_gt_u32_e64 s[4:5], s3, v1
	s_waitcnt lgkmcnt(0)
	v_mov_b32_e32 v52, v2
	s_and_b64 s[60:61], s[4:5], exec
.LBB146_100:
	s_or_b64 exec, exec, s[80:81]
	s_and_b64 s[78:79], s[78:79], exec
	s_and_b64 s[4:5], s[60:61], exec
.LBB146_101:
	s_or_b64 exec, exec, s[50:51]
	s_and_b64 s[60:61], s[78:79], exec
	s_and_b64 s[50:51], s[4:5], exec
.LBB146_102:
	s_or_b64 exec, exec, s[48:49]
	s_and_b64 s[48:49], s[60:61], exec
	s_and_b64 s[4:5], s[50:51], exec
.LBB146_103:
	s_or_b64 exec, exec, s[46:47]
	s_and_b64 s[48:49], s[48:49], exec
	s_and_b64 s[46:47], s[4:5], exec
.LBB146_104:
	s_or_b64 exec, exec, s[44:45]
	s_and_b64 s[44:45], s[48:49], exec
	s_and_b64 s[4:5], s[46:47], exec
.LBB146_105:
	s_or_b64 exec, exec, s[42:43]
	s_and_b64 s[44:45], s[44:45], exec
	s_and_b64 s[42:43], s[4:5], exec
.LBB146_106:
	s_or_b64 exec, exec, s[40:41]
	s_and_b64 s[40:41], s[44:45], exec
	s_and_b64 s[4:5], s[42:43], exec
.LBB146_107:
	s_or_b64 exec, exec, s[38:39]
	s_and_b64 s[40:41], s[40:41], exec
	s_and_b64 s[38:39], s[4:5], exec
.LBB146_108:
	s_or_b64 exec, exec, s[36:37]
	s_and_b64 s[36:37], s[40:41], exec
	s_and_b64 s[4:5], s[38:39], exec
.LBB146_109:
	s_or_b64 exec, exec, s[34:35]
	s_and_b64 s[36:37], s[36:37], exec
	s_and_b64 s[34:35], s[4:5], exec
.LBB146_110:
	s_or_b64 exec, exec, s[30:31]
	s_and_b64 s[30:31], s[36:37], exec
	s_and_b64 s[4:5], s[34:35], exec
.LBB146_111:
	s_or_b64 exec, exec, s[28:29]
	s_and_b64 s[30:31], s[30:31], exec
	s_and_b64 s[28:29], s[4:5], exec
.LBB146_112:
	s_or_b64 exec, exec, s[26:27]
	s_and_b64 s[26:27], s[30:31], exec
	s_and_b64 s[4:5], s[28:29], exec
.LBB146_113:
	s_or_b64 exec, exec, s[24:25]
	s_and_b64 s[26:27], s[26:27], exec
	s_and_b64 s[24:25], s[4:5], exec
.LBB146_114:
	s_or_b64 exec, exec, s[22:23]
	s_and_b64 s[22:23], s[26:27], exec
	s_and_b64 s[4:5], s[24:25], exec
.LBB146_115:
	s_or_b64 exec, exec, s[20:21]
	s_and_b64 s[22:23], s[22:23], exec
	s_and_b64 s[20:21], s[4:5], exec
.LBB146_116:
	s_or_b64 exec, exec, s[18:19]
	s_and_b64 s[18:19], s[22:23], exec
	s_and_b64 s[4:5], s[20:21], exec
.LBB146_117:
	s_or_b64 exec, exec, s[16:17]
	s_and_b64 s[18:19], s[18:19], exec
	s_and_b64 s[16:17], s[4:5], exec
.LBB146_118:
	s_or_b64 exec, exec, s[14:15]
	s_and_b64 s[14:15], s[18:19], exec
	s_and_b64 s[4:5], s[16:17], exec
.LBB146_119:
	s_or_b64 exec, exec, s[12:13]
	s_and_b64 s[14:15], s[14:15], exec
	s_and_b64 s[12:13], s[4:5], exec
.LBB146_120:
	s_or_b64 exec, exec, s[10:11]
	s_and_b64 s[4:5], s[14:15], exec
	s_and_b64 s[10:11], s[12:13], exec
.LBB146_121:
	s_or_b64 exec, exec, s[8:9]
	s_mov_b64 s[8:9], 0
	s_and_b64 vcc, exec, s[6:7]
	v_lshlrev_b32_e32 v54, 2, v0
	s_cbranch_vccnz .LBB146_123
	s_branch .LBB146_131
.LBB146_122:
                                        ; implicit-def: $sgpr4_sgpr5
                                        ; implicit-def: $vgpr3
                                        ; implicit-def: $vgpr10_vgpr11
                                        ; implicit-def: $vgpr12_vgpr13
                                        ; implicit-def: $vgpr14_vgpr15
                                        ; implicit-def: $vgpr16_vgpr17
                                        ; implicit-def: $vgpr18_vgpr19
                                        ; implicit-def: $vgpr20_vgpr21
                                        ; implicit-def: $vgpr22_vgpr23
                                        ; implicit-def: $vgpr24_vgpr25
                                        ; implicit-def: $vgpr26_vgpr27
                                        ; implicit-def: $vgpr28_vgpr29
                                        ; implicit-def: $vgpr30_vgpr31
                                        ; implicit-def: $vgpr32_vgpr33
                                        ; implicit-def: $vgpr34_vgpr35
                                        ; implicit-def: $vgpr36_vgpr37
                                        ; implicit-def: $vgpr38_vgpr39
                                        ; implicit-def: $vgpr40_vgpr41
                                        ; implicit-def: $vgpr42_vgpr43
                                        ; implicit-def: $vgpr44_vgpr45
                                        ; implicit-def: $vgpr46_vgpr47
                                        ; implicit-def: $vgpr48_vgpr49
                                        ; implicit-def: $vgpr50_vgpr51
                                        ; implicit-def: $vgpr52_vgpr53
                                        ; implicit-def: $sgpr8_sgpr9
	s_and_b64 vcc, exec, s[6:7]
	v_lshlrev_b32_e32 v54, 2, v0
	s_cbranch_vccz .LBB146_131
.LBB146_123:
	v_mov_b32_e32 v55, 0
	v_lshl_add_u64 v[2:3], s[54:55], 0, v[54:55]
	v_add_co_u32_e32 v4, vcc, 0x1000, v2
	s_movk_i32 s3, 0x58
	s_nop 0
	v_addc_co_u32_e32 v5, vcc, 0, v3, vcc
	flat_load_dword v8, v[2:3]
	flat_load_dword v9, v[2:3] offset:1024
	s_waitcnt lgkmcnt(0)
	flat_load_dword v10, v[2:3] offset:2048
	flat_load_dword v11, v[2:3] offset:3072
	flat_load_dword v12, v[4:5]
	flat_load_dword v13, v[4:5] offset:1024
	flat_load_dword v14, v[4:5] offset:2048
	;; [unrolled: 1-line block ×3, first 2 shown]
	v_add_co_u32_e32 v4, vcc, 0x2000, v2
	v_mad_u32_u24 v1, v0, s3, v54
	s_nop 0
	v_addc_co_u32_e32 v5, vcc, 0, v3, vcc
	v_add_co_u32_e32 v6, vcc, 0x3000, v2
	s_cmp_eq_u64 s[76:77], 0
	s_nop 0
	v_addc_co_u32_e32 v7, vcc, 0, v3, vcc
	flat_load_dword v16, v[4:5]
	flat_load_dword v17, v[4:5] offset:1024
	flat_load_dword v18, v[4:5] offset:2048
	;; [unrolled: 1-line block ×3, first 2 shown]
	flat_load_dword v20, v[6:7]
	flat_load_dword v21, v[6:7] offset:1024
	flat_load_dword v22, v[6:7] offset:2048
	flat_load_dword v23, v[6:7] offset:3072
	v_add_co_u32_e32 v4, vcc, 0x4000, v2
	s_nop 1
	v_addc_co_u32_e32 v5, vcc, 0, v3, vcc
	v_add_co_u32_e32 v2, vcc, 0x5000, v2
	s_nop 1
	v_addc_co_u32_e32 v3, vcc, 0, v3, vcc
	flat_load_dword v6, v[4:5]
	flat_load_dword v7, v[4:5] offset:1024
	flat_load_dword v24, v[4:5] offset:2048
	;; [unrolled: 1-line block ×3, first 2 shown]
	flat_load_dword v26, v[2:3]
	flat_load_dword v27, v[2:3] offset:1024
	flat_load_dword v28, v[2:3] offset:2048
	s_waitcnt vmcnt(0)
	ds_write2st64_b32 v54, v8, v9 offset1:4
	s_waitcnt lgkmcnt(0)
	ds_write2st64_b32 v54, v10, v11 offset0:8 offset1:12
	ds_write2st64_b32 v54, v12, v13 offset0:16 offset1:20
	;; [unrolled: 1-line block ×10, first 2 shown]
	ds_write_b32 v54, v28 offset:22528
	s_waitcnt lgkmcnt(0)
	s_barrier
	ds_read2_b32 v[2:3], v1 offset1:1
	ds_read2_b32 v[18:19], v1 offset0:2 offset1:3
	ds_read2_b32 v[22:23], v1 offset0:4 offset1:5
	;; [unrolled: 1-line block ×10, first 2 shown]
	ds_read_b32 v10, v1 offset:88
	s_cbranch_scc1 .LBB146_128
; %bb.124:
	s_andn2_b64 vcc, exec, s[64:65]
	s_cbranch_vccnz .LBB146_268
; %bb.125:
	s_lshl_b64 s[4:5], s[76:77], 2
	s_add_u32 s3, s66, s4
	s_addc_u32 s5, s67, s5
	s_add_u32 s4, s3, -4
	s_addc_u32 s5, s5, -1
	s_cbranch_execnz .LBB146_127
.LBB146_126:
	s_add_u32 s4, s54, -4
	s_addc_u32 s5, s55, -1
.LBB146_127:
	s_mov_b64 s[54:55], s[4:5]
.LBB146_128:
	v_mov_b64_e32 v[12:13], s[54:55]
	flat_load_dword v11, v[12:13]
	s_movk_i32 s3, 0xffa8
	v_mad_i32_i24 v12, v0, s3, v1
	v_cmp_ne_u32_e32 vcc, 0, v0
	s_waitcnt lgkmcnt(0)
	ds_write_b32 v12, v10 offset:23552
	s_waitcnt lgkmcnt(0)
	s_barrier
	s_and_saveexec_b64 s[4:5], vcc
	s_cbranch_execz .LBB146_130
; %bb.129:
	s_waitcnt vmcnt(0)
	v_mul_i32_i24_e32 v11, 0xffffffa8, v0
	v_add_u32_e32 v11, v1, v11
	ds_read_b32 v11, v11 offset:23548
.LBB146_130:
	s_or_b64 exec, exec, s[4:5]
	v_mov_b32_e32 v55, 0
	v_lshl_add_u64 v[12:13], s[52:53], 0, v[54:55]
	s_movk_i32 s3, 0x1000
	v_add_co_u32_e32 v14, vcc, s3, v12
	s_movk_i32 s3, 0x2000
	s_nop 0
	v_addc_co_u32_e32 v15, vcc, 0, v13, vcc
	s_waitcnt lgkmcnt(0)
	s_barrier
	flat_load_dword v20, v[12:13]
	flat_load_dword v21, v[12:13] offset:1024
	flat_load_dword v24, v[12:13] offset:2048
	;; [unrolled: 1-line block ×3, first 2 shown]
	flat_load_dword v28, v[14:15]
	flat_load_dword v29, v[14:15] offset:1024
	flat_load_dword v32, v[14:15] offset:2048
	;; [unrolled: 1-line block ×3, first 2 shown]
	v_add_co_u32_e32 v14, vcc, s3, v12
	s_movk_i32 s3, 0x3000
	s_nop 0
	v_addc_co_u32_e32 v15, vcc, 0, v13, vcc
	v_add_co_u32_e32 v16, vcc, s3, v12
	s_movk_i32 s3, 0x4000
	s_nop 0
	v_addc_co_u32_e32 v17, vcc, 0, v13, vcc
	flat_load_dword v36, v[14:15]
	flat_load_dword v37, v[14:15] offset:1024
	flat_load_dword v40, v[14:15] offset:2048
	flat_load_dword v41, v[14:15] offset:3072
	flat_load_dword v44, v[16:17]
	flat_load_dword v45, v[16:17] offset:1024
	flat_load_dword v46, v[16:17] offset:2048
	;; [unrolled: 1-line block ×3, first 2 shown]
	v_add_co_u32_e32 v14, vcc, s3, v12
	s_movk_i32 s3, 0x5000
	s_nop 0
	v_addc_co_u32_e32 v15, vcc, 0, v13, vcc
	v_add_co_u32_e32 v12, vcc, s3, v12
	v_cmp_ne_u32_e64 s[4:5], v5, v10
	s_nop 0
	v_addc_co_u32_e32 v13, vcc, 0, v13, vcc
	flat_load_dword v16, v[14:15]
	flat_load_dword v17, v[14:15] offset:1024
	flat_load_dword v48, v[14:15] offset:2048
	;; [unrolled: 1-line block ×3, first 2 shown]
	flat_load_dword v50, v[12:13]
	flat_load_dword v51, v[12:13] offset:1024
	flat_load_dword v52, v[12:13] offset:2048
	s_waitcnt vmcnt(0)
	v_cmp_ne_u32_e32 vcc, v11, v2
	s_mov_b64 s[10:11], -1
                                        ; implicit-def: $sgpr8_sgpr9
	s_waitcnt lgkmcnt(0)
	ds_write2st64_b32 v54, v20, v21 offset1:4
	ds_write2st64_b32 v54, v24, v25 offset0:8 offset1:12
	ds_write2st64_b32 v54, v28, v29 offset0:16 offset1:20
	;; [unrolled: 1-line block ×10, first 2 shown]
	ds_write_b32 v54, v52 offset:22528
	v_cndmask_b32_e64 v11, 0, 1, vcc
	v_cmp_ne_u32_e32 vcc, v2, v3
	s_waitcnt lgkmcnt(0)
	s_barrier
	v_cndmask_b32_e64 v13, 0, 1, vcc
	v_cmp_ne_u32_e32 vcc, v3, v18
	ds_read2_b32 v[16:17], v1 offset1:1
	ds_read2_b32 v[20:21], v1 offset0:2 offset1:3
	ds_read2_b32 v[24:25], v1 offset0:4 offset1:5
	;; [unrolled: 1-line block ×10, first 2 shown]
	ds_read_b32 v3, v1 offset:88
	v_cndmask_b32_e64 v15, 0, 1, vcc
	v_cmp_ne_u32_e32 vcc, v18, v19
	s_waitcnt lgkmcnt(11)
	v_mov_b32_e32 v12, v17
	v_mov_b32_e32 v10, v16
	v_cndmask_b32_e64 v17, 0, 1, vcc
	v_cmp_ne_u32_e32 vcc, v19, v22
	s_waitcnt lgkmcnt(10)
	v_mov_b32_e32 v16, v21
	v_mov_b32_e32 v14, v20
	v_cndmask_b32_e64 v19, 0, 1, vcc
	v_cmp_ne_u32_e32 vcc, v22, v23
	s_waitcnt lgkmcnt(9)
	v_mov_b32_e32 v20, v25
	v_mov_b32_e32 v18, v24
	v_cndmask_b32_e64 v21, 0, 1, vcc
	v_cmp_ne_u32_e32 vcc, v23, v26
	s_waitcnt lgkmcnt(8)
	v_mov_b32_e32 v24, v29
	v_mov_b32_e32 v22, v28
	v_cndmask_b32_e64 v23, 0, 1, vcc
	v_cmp_ne_u32_e32 vcc, v26, v27
	s_waitcnt lgkmcnt(7)
	v_mov_b32_e32 v28, v33
	v_mov_b32_e32 v26, v32
	v_cndmask_b32_e64 v25, 0, 1, vcc
	v_cmp_ne_u32_e32 vcc, v27, v30
	s_waitcnt lgkmcnt(6)
	v_mov_b32_e32 v32, v37
	s_waitcnt lgkmcnt(2)
	v_mov_b32_e32 v48, v51
	v_cndmask_b32_e64 v27, 0, 1, vcc
	v_cmp_ne_u32_e32 vcc, v30, v31
	v_mov_b32_e32 v30, v36
	v_mov_b32_e32 v36, v41
	v_cndmask_b32_e64 v29, 0, 1, vcc
	v_cmp_ne_u32_e32 vcc, v31, v34
	s_waitcnt lgkmcnt(1)
	v_mov_b32_e32 v52, v57
	v_cndmask_b32_e64 v31, 0, 1, vcc
	v_cmp_ne_u32_e32 vcc, v34, v35
	v_mov_b32_e32 v34, v40
	v_mov_b32_e32 v40, v45
	v_cndmask_b32_e64 v33, 0, 1, vcc
	v_cmp_ne_u32_e32 vcc, v35, v38
	s_nop 1
	v_cndmask_b32_e64 v35, 0, 1, vcc
	v_cmp_ne_u32_e32 vcc, v38, v39
	v_mov_b32_e32 v38, v44
	v_mov_b32_e32 v44, v47
	v_cndmask_b32_e64 v37, 0, 1, vcc
	v_cmp_ne_u32_e32 vcc, v39, v42
	s_nop 1
	v_cndmask_b32_e64 v39, 0, 1, vcc
	v_cmp_ne_u32_e32 vcc, v42, v43
	v_mov_b32_e32 v42, v46
	v_mov_b32_e32 v46, v50
	v_cndmask_b32_e64 v41, 0, 1, vcc
	v_cmp_ne_u32_e32 vcc, v43, v8
	v_mov_b32_e32 v50, v56
	s_nop 0
	v_cndmask_b32_e64 v43, 0, 1, vcc
	v_cmp_ne_u32_e32 vcc, v8, v9
	s_nop 1
	v_cndmask_b32_e64 v45, 0, 1, vcc
	v_cmp_ne_u32_e32 vcc, v9, v6
	;; [unrolled: 3-line block ×5, first 2 shown]
	s_nop 1
	v_cndmask_b32_e64 v53, 0, 1, vcc
.LBB146_131:
	v_mov_b64_e32 v[56:57], s[8:9]
	s_and_saveexec_b64 s[6:7], s[10:11]
	s_cbranch_execz .LBB146_133
; %bb.132:
	v_cndmask_b32_e64 v57, 0, 1, s[4:5]
	s_waitcnt lgkmcnt(0)
	v_mov_b32_e32 v56, v3
.LBB146_133:
	s_or_b64 exec, exec, s[6:7]
	s_mov_b32 s46, 0
	s_cmp_lg_u32 s2, 0
	v_or_b32_e32 v55, v57, v53
	v_lshrrev_b32_e32 v1, 5, v0
	v_cmp_gt_u32_e32 vcc, 64, v0
	s_waitcnt lgkmcnt(0)
	s_barrier
	s_cbranch_scc0 .LBB146_172
; %bb.134:
	s_mov_b32 s47, 1
	v_cmp_gt_u64_e64 s[52:53], s[46:47], v[12:13]
	v_cmp_gt_u64_e64 s[4:5], s[46:47], v[14:15]
	v_cmp_gt_u64_e64 s[6:7], s[46:47], v[16:17]
	v_cndmask_b32_e64 v2, 0, v10, s[52:53]
	v_add_u32_e32 v2, v2, v12
	v_cndmask_b32_e64 v2, 0, v2, s[4:5]
	v_add_u32_e32 v2, v2, v14
	v_cndmask_b32_e64 v2, 0, v2, s[6:7]
	v_add_u32_e32 v2, v2, v16
	v_cmp_gt_u64_e64 s[8:9], s[46:47], v[18:19]
	v_cmp_gt_u64_e64 s[10:11], s[46:47], v[20:21]
	v_cmp_gt_u64_e64 s[12:13], s[46:47], v[22:23]
	v_cndmask_b32_e64 v2, 0, v2, s[8:9]
	v_add_u32_e32 v2, v2, v18
	v_cndmask_b32_e64 v2, 0, v2, s[10:11]
	v_add_u32_e32 v2, v2, v20
	v_cndmask_b32_e64 v2, 0, v2, s[12:13]
	v_add_u32_e32 v2, v2, v22
	;; [unrolled: 9-line block ×7, first 2 shown]
	v_cmp_gt_u64_e64 s[46:47], s[46:47], v[56:57]
	s_nop 1
	v_cndmask_b32_e64 v2, 0, v2, s[46:47]
	v_add_u32_e32 v62, v2, v56
	v_or3_b32 v2, v55, v51, v49
	v_or3_b32 v2, v2, v47, v45
	;; [unrolled: 1-line block ×10, first 2 shown]
	v_and_b32_e32 v2, 1, v2
	v_cmp_eq_u32_e64 s[48:49], 1, v2
	v_add_lshl_u32 v2, v1, v0, 3
	s_nop 0
	v_cndmask_b32_e64 v63, v11, 1, s[48:49]
	ds_write_b32 v2, v62
	ds_write_b8 v2, v63 offset:4
	s_waitcnt lgkmcnt(0)
	s_barrier
	s_and_saveexec_b64 s[50:51], vcc
	s_cbranch_execz .LBB146_146
; %bb.135:
	v_lshrrev_b32_e32 v2, 3, v0
	v_add_lshl_u32 v4, v2, v54, 3
	ds_read2_b32 v[6:7], v4 offset0:2 offset1:4
	ds_read_b64 v[2:3], v4
	ds_read_u8 v8, v4 offset:12
	ds_read_u8 v9, v4 offset:20
	ds_read_b32 v58, v4 offset:24
	ds_read_u8 v59, v4 offset:28
	v_mov_b32_e32 v60, 0
	s_waitcnt lgkmcnt(3)
	v_cmp_eq_u16_sdwa s[48:49], v8, v60 src0_sel:BYTE_0 src1_sel:DWORD
	v_and_b32_e32 v5, 1, v3
	s_nop 0
	v_cndmask_b32_e64 v61, 0, v2, s[48:49]
	v_add_u32_e32 v6, v61, v6
	s_waitcnt lgkmcnt(2)
	v_cmp_eq_u16_sdwa s[48:49], v9, v60 src0_sel:BYTE_0 src1_sel:DWORD
	s_nop 1
	v_cndmask_b32_e64 v6, 0, v6, s[48:49]
	v_add_u32_e32 v6, v6, v7
	s_waitcnt lgkmcnt(0)
	v_cmp_eq_u16_e64 s[48:49], 0, v59
	s_nop 1
	v_cndmask_b32_e64 v6, 0, v6, s[48:49]
	v_add_u32_e32 v7, v6, v58
	v_or_b32_e32 v6, v59, v9
	v_or_b32_e32 v6, v6, v8
	v_and_b32_e32 v6, 1, v6
	v_cmp_eq_u32_e64 s[48:49], 1, v6
	v_mbcnt_lo_u32_b32 v8, -1, 0
	v_and_b32_e32 v6, 0xffffff00, v3
	v_cndmask_b32_e64 v9, v5, 1, s[48:49]
	v_mbcnt_hi_u32_b32 v8, -1, v8
	v_and_b32_e32 v59, 15, v8
	v_or_b32_sdwa v58, v6, v9 dst_sel:DWORD dst_unused:UNUSED_PAD src0_sel:DWORD src1_sel:WORD_0
	v_mov_b32_dpp v60, v7 row_shr:1 row_mask:0xf bank_mask:0xf
	v_cmp_ne_u32_e64 s[48:49], 0, v59
	v_mov_b32_dpp v61, v58 row_shr:1 row_mask:0xf bank_mask:0xf
	s_and_saveexec_b64 s[54:55], s[48:49]
; %bb.136:
	v_and_b32_e32 v58, 1, v9
	v_and_b32_e32 v61, 1, v61
	v_cmp_eq_u32_e64 s[48:49], 1, v58
	s_nop 1
	v_cndmask_b32_e64 v61, v61, 1, s[48:49]
	v_cmp_eq_u16_e64 s[48:49], 0, v9
	v_or_b32_sdwa v58, v6, v61 dst_sel:DWORD dst_unused:UNUSED_PAD src0_sel:DWORD src1_sel:WORD_0
	s_nop 0
	v_cndmask_b32_e64 v9, 0, v60, s[48:49]
	v_add_u32_e32 v7, v9, v7
	v_mov_b32_e32 v9, v61
; %bb.137:
	s_or_b64 exec, exec, s[54:55]
	v_mov_b32_dpp v60, v7 row_shr:2 row_mask:0xf bank_mask:0xf
	v_mov_b32_dpp v61, v58 row_shr:2 row_mask:0xf bank_mask:0xf
	v_cmp_lt_u32_e64 s[48:49], 1, v59
	s_and_saveexec_b64 s[54:55], s[48:49]
; %bb.138:
	v_and_b32_e32 v58, 1, v9
	v_and_b32_e32 v61, 1, v61
	v_cmp_eq_u32_e64 s[48:49], 1, v58
	s_nop 1
	v_cndmask_b32_e64 v61, v61, 1, s[48:49]
	v_cmp_eq_u16_e64 s[48:49], 0, v9
	v_or_b32_sdwa v58, v6, v61 dst_sel:DWORD dst_unused:UNUSED_PAD src0_sel:DWORD src1_sel:WORD_0
	s_nop 0
	v_cndmask_b32_e64 v9, 0, v60, s[48:49]
	v_add_u32_e32 v7, v9, v7
	v_mov_b32_e32 v9, v61
; %bb.139:
	s_or_b64 exec, exec, s[54:55]
	v_mov_b32_dpp v60, v7 row_shr:4 row_mask:0xf bank_mask:0xf
	v_mov_b32_dpp v61, v58 row_shr:4 row_mask:0xf bank_mask:0xf
	v_cmp_lt_u32_e64 s[48:49], 3, v59
	s_and_saveexec_b64 s[54:55], s[48:49]
; %bb.140:
	v_and_b32_e32 v58, 1, v9
	v_and_b32_e32 v61, 1, v61
	v_cmp_eq_u32_e64 s[48:49], 1, v58
	s_nop 1
	v_cndmask_b32_e64 v61, v61, 1, s[48:49]
	v_cmp_eq_u16_e64 s[48:49], 0, v9
	v_or_b32_sdwa v58, v6, v61 dst_sel:DWORD dst_unused:UNUSED_PAD src0_sel:DWORD src1_sel:WORD_0
	s_nop 0
	v_cndmask_b32_e64 v9, 0, v60, s[48:49]
	v_add_u32_e32 v7, v9, v7
	v_mov_b32_e32 v9, v61
; %bb.141:
	s_or_b64 exec, exec, s[54:55]
	v_mov_b32_dpp v60, v7 row_shr:8 row_mask:0xf bank_mask:0xf
	v_mov_b32_dpp v61, v58 row_shr:8 row_mask:0xf bank_mask:0xf
	v_cmp_lt_u32_e64 s[48:49], 7, v59
	s_and_saveexec_b64 s[54:55], s[48:49]
; %bb.142:
	v_and_b32_e32 v58, 1, v9
	v_and_b32_e32 v59, 1, v61
	v_cmp_eq_u32_e64 s[48:49], 1, v58
	s_nop 1
	v_cndmask_b32_e64 v59, v59, 1, s[48:49]
	v_cmp_eq_u16_e64 s[48:49], 0, v9
	v_or_b32_sdwa v58, v6, v59 dst_sel:DWORD dst_unused:UNUSED_PAD src0_sel:DWORD src1_sel:WORD_0
	s_nop 0
	v_cndmask_b32_e64 v9, 0, v60, s[48:49]
	v_add_u32_e32 v7, v9, v7
	v_mov_b32_e32 v9, v59
; %bb.143:
	s_or_b64 exec, exec, s[54:55]
	v_and_b32_e32 v61, 16, v8
	v_mov_b32_dpp v59, v7 row_bcast:15 row_mask:0xf bank_mask:0xf
	v_mov_b32_dpp v60, v58 row_bcast:15 row_mask:0xf bank_mask:0xf
	v_cmp_ne_u32_e64 s[48:49], 0, v61
	s_and_saveexec_b64 s[54:55], s[48:49]
; %bb.144:
	v_and_b32_e32 v58, 1, v9
	v_and_b32_e32 v60, 1, v60
	v_cmp_eq_u32_e64 s[48:49], 1, v58
	s_nop 1
	v_cndmask_b32_e64 v60, v60, 1, s[48:49]
	v_cmp_eq_u16_e64 s[48:49], 0, v9
	v_or_b32_sdwa v58, v6, v60 dst_sel:DWORD dst_unused:UNUSED_PAD src0_sel:DWORD src1_sel:WORD_0
	s_nop 0
	v_cndmask_b32_e64 v9, 0, v59, s[48:49]
	v_add_u32_e32 v7, v9, v7
	v_mov_b32_e32 v9, v60
; %bb.145:
	s_or_b64 exec, exec, s[54:55]
	v_mov_b32_dpp v58, v58 row_bcast:31 row_mask:0xf bank_mask:0xf
	v_and_b32_e32 v60, 1, v9
	v_and_b32_e32 v58, 1, v58
	v_cmp_eq_u32_e64 s[48:49], 1, v60
	v_mov_b32_e32 v60, 0
	v_cmp_eq_u16_sdwa s[54:55], v9, v60 src0_sel:BYTE_0 src1_sel:DWORD
	v_cndmask_b32_e64 v58, v58, 1, s[48:49]
	v_cmp_lt_u32_e64 s[48:49], 31, v8
	v_mov_b32_dpp v59, v7 row_bcast:31 row_mask:0xf bank_mask:0xf
	s_movk_i32 s3, 0xff
	v_cndmask_b32_e64 v9, v9, v58, s[48:49]
	s_and_b64 s[48:49], s[48:49], s[54:55]
	v_cndmask_b32_e64 v58, 0, v59, s[48:49]
	v_add_u32_e32 v7, v58, v7
	v_add_u32_e32 v58, -1, v8
	v_and_b32_e32 v59, 64, v8
	v_cmp_lt_i32_e64 s[48:49], v58, v59
	v_and_or_b32 v6, v9, s3, v6
	s_nop 0
	v_cndmask_b32_e64 v8, v58, v8, s[48:49]
	v_lshlrev_b32_e32 v8, 2, v8
	ds_bpermute_b32 v7, v8, v7
	ds_bpermute_b32 v6, v8, v6
	v_cmp_eq_u16_sdwa s[48:49], v3, v60 src0_sel:BYTE_0 src1_sel:DWORD
	; wave barrier
	s_waitcnt lgkmcnt(1)
	s_nop 0
	v_cndmask_b32_e64 v3, 0, v7, s[48:49]
	v_add_u32_e32 v2, v3, v2
	s_waitcnt lgkmcnt(0)
	v_and_b32_e32 v3, 1, v6
	v_cmp_eq_u32_e64 s[48:49], 1, v5
	s_nop 1
	v_cndmask_b32_e64 v3, v3, 1, s[48:49]
	v_cmp_eq_u32_e64 s[48:49], 0, v0
	s_nop 1
	v_cndmask_b32_e64 v5, v2, v62, s[48:49]
	v_cndmask_b32_e64 v6, v3, v63, s[48:49]
	ds_write_b32 v4, v5
	ds_write_b8 v4, v6 offset:4
	; wave barrier
	ds_read_u8 v7, v4 offset:12
	ds_read2_b32 v[2:3], v4 offset0:2 offset1:4
	ds_read_u8 v8, v4 offset:20
	ds_read_b32 v9, v4 offset:24
	ds_read_u8 v58, v4 offset:28
	s_waitcnt lgkmcnt(4)
	v_cmp_eq_u16_e64 s[48:49], 0, v7
	s_nop 1
	v_cndmask_b32_e64 v5, 0, v5, s[48:49]
	s_waitcnt lgkmcnt(3)
	v_add_u32_e32 v2, v5, v2
	v_and_b32_e32 v5, 1, v7
	v_cmp_eq_u32_e64 s[48:49], 1, v5
	s_nop 1
	v_cndmask_b32_e64 v5, v6, 1, s[48:49]
	s_waitcnt lgkmcnt(2)
	v_cmp_eq_u16_e64 s[48:49], 0, v8
	ds_write_b8 v4, v5 offset:12
	s_nop 0
	v_cndmask_b32_e64 v6, 0, v2, s[48:49]
	v_add_u32_e32 v3, v6, v3
	v_and_b32_e32 v6, 1, v8
	v_cmp_eq_u32_e64 s[48:49], 1, v6
	s_nop 1
	v_cndmask_b32_e64 v5, v5, 1, s[48:49]
	s_waitcnt lgkmcnt(1)
	v_cmp_eq_u16_e64 s[48:49], 0, v58
	ds_write2_b32 v4, v2, v3 offset0:2 offset1:4
	ds_write_b8 v4, v5 offset:20
	v_cndmask_b32_e64 v2, 0, v3, s[48:49]
	v_and_b32_e32 v3, 1, v58
	v_add_u32_e32 v2, v2, v9
	v_cmp_eq_u32_e64 s[48:49], 1, v3
	s_nop 1
	v_cndmask_b32_e64 v3, v5, 1, s[48:49]
	ds_write_b32 v4, v2 offset:24
	ds_write_b8 v4, v3 offset:28
.LBB146_146:
	s_or_b64 exec, exec, s[50:51]
	v_cmp_eq_u32_e64 s[48:49], 0, v0
	v_cmp_ne_u32_e64 s[50:51], 0, v0
	s_waitcnt lgkmcnt(0)
	s_barrier
	s_and_saveexec_b64 s[54:55], s[50:51]
	s_cbranch_execz .LBB146_148
; %bb.147:
	v_add_u32_e32 v2, -1, v0
	v_lshrrev_b32_e32 v3, 5, v2
	v_add_lshl_u32 v2, v3, v2, 3
	ds_read_b32 v62, v2
	ds_read_u8 v63, v2 offset:4
.LBB146_148:
	s_or_b64 exec, exec, s[54:55]
	s_and_saveexec_b64 s[60:61], vcc
	s_cbranch_execz .LBB146_171
; %bb.149:
	v_mov_b32_e32 v5, 0
	ds_read_b64 v[2:3], v5 offset:2096
	v_mbcnt_lo_u32_b32 v4, -1, 0
	v_mbcnt_hi_u32_b32 v73, -1, v4
	s_mov_b32 s65, 0
	v_cmp_eq_u32_e64 s[50:51], 0, v73
	s_waitcnt lgkmcnt(0)
	v_readfirstlane_b32 s3, v3
	s_and_saveexec_b64 s[54:55], s[50:51]
	s_cbranch_execz .LBB146_151
; %bb.150:
	s_add_i32 s64, s2, 64
	s_lshl_b64 s[66:67], s[64:65], 4
	s_add_u32 s66, s68, s66
	s_addc_u32 s67, s69, s67
	s_and_b32 s77, s3, 0xff000000
	s_mov_b32 s76, s65
	s_and_b32 s79, s3, 0xff0000
	s_mov_b32 s78, s65
	s_or_b64 s[76:77], s[78:79], s[76:77]
	s_and_b32 s79, s3, 0xff00
	s_or_b64 s[76:77], s[76:77], s[78:79]
	s_and_b32 s79, s3, 0xff
	s_or_b64 s[64:65], s[76:77], s[78:79]
	v_mov_b32_e32 v3, s65
	v_mov_b32_e32 v4, 1
	v_mov_b64_e32 v[6:7], s[66:67]
	;;#ASMSTART
	global_store_dwordx4 v[6:7], v[2:5] off sc1	
s_waitcnt vmcnt(0)
	;;#ASMEND
.LBB146_151:
	s_or_b64 exec, exec, s[54:55]
	v_xad_u32 v58, v73, -1, s2
	v_add_u32_e32 v4, 64, v58
	v_lshl_add_u64 v[60:61], v[4:5], 4, s[68:69]
	;;#ASMSTART
	global_load_dwordx4 v[6:9], v[60:61] off sc1	
s_waitcnt vmcnt(0)
	;;#ASMEND
	s_nop 0
	v_and_b32_e32 v3, 0xff0000, v6
	v_and_b32_e32 v4, 0xff000000, v6
	;; [unrolled: 1-line block ×3, first 2 shown]
	v_or_b32_sdwa v3, v6, v3 dst_sel:DWORD dst_unused:UNUSED_PAD src0_sel:WORD_0 src1_sel:DWORD
	v_or3_b32 v7, 0, 0, v7
	v_or3_b32 v6, v3, v4, 0
	v_cmp_eq_u16_sdwa s[64:65], v8, v5 src0_sel:BYTE_0 src1_sel:DWORD
	s_and_saveexec_b64 s[54:55], s[64:65]
	s_cbranch_execz .LBB146_157
; %bb.152:
	s_mov_b32 s66, 1
	s_mov_b64 s[64:65], 0
	v_mov_b32_e32 v3, 0
.LBB146_153:                            ; =>This Loop Header: Depth=1
                                        ;     Child Loop BB146_154 Depth 2
	s_max_u32 s67, s66, 1
.LBB146_154:                            ;   Parent Loop BB146_153 Depth=1
                                        ; =>  This Inner Loop Header: Depth=2
	s_add_i32 s67, s67, -1
	s_cmp_eq_u32 s67, 0
	s_sleep 1
	s_cbranch_scc0 .LBB146_154
; %bb.155:                              ;   in Loop: Header=BB146_153 Depth=1
	s_cmp_lt_u32 s66, 32
	s_cselect_b64 s[76:77], -1, 0
	s_cmp_lg_u64 s[76:77], 0
	s_addc_u32 s66, s66, 0
	;;#ASMSTART
	global_load_dwordx4 v[6:9], v[60:61] off sc1	
s_waitcnt vmcnt(0)
	;;#ASMEND
	s_nop 0
	v_cmp_ne_u16_sdwa s[76:77], v8, v3 src0_sel:BYTE_0 src1_sel:DWORD
	s_or_b64 s[64:65], s[76:77], s[64:65]
	s_andn2_b64 exec, exec, s[64:65]
	s_cbranch_execnz .LBB146_153
; %bb.156:
	s_or_b64 exec, exec, s[64:65]
	v_and_b32_e32 v7, 0xff, v7
.LBB146_157:
	s_or_b64 exec, exec, s[54:55]
	v_mov_b32_e32 v3, 2
	v_cmp_eq_u16_sdwa s[54:55], v8, v3 src0_sel:BYTE_0 src1_sel:DWORD
	v_lshlrev_b64 v[4:5], v73, -1
	v_and_b32_e32 v64, 63, v73
	v_and_b32_e32 v9, s55, v5
	v_or_b32_e32 v9, 0x80000000, v9
	v_and_b32_e32 v59, s54, v4
	v_ffbl_b32_e32 v9, v9
	v_add_u32_e32 v9, 32, v9
	v_ffbl_b32_e32 v59, v59
	v_cmp_ne_u32_e32 vcc, 63, v64
	v_min_u32_e32 v9, v59, v9
	s_mov_b32 s64, 0
	v_addc_co_u32_e32 v59, vcc, 0, v73, vcc
	v_lshlrev_b32_e32 v65, 2, v59
	ds_bpermute_b32 v59, v65, v7
	ds_bpermute_b32 v60, v65, v6
	v_and_b32_e32 v61, 1, v7
	s_mov_b32 s65, 1
	v_cmp_eq_u32_e32 vcc, 1, v61
	s_waitcnt lgkmcnt(1)
	v_and_b32_e32 v59, 1, v59
	v_cmp_lt_u32_e64 s[54:55], v64, v9
	v_cndmask_b32_e64 v59, v59, 1, vcc
	v_cmp_gt_u64_e32 vcc, s[64:65], v[6:7]
	s_and_b64 vcc, s[54:55], vcc
	v_and_b32_e32 v61, 0xffff, v59
	v_cndmask_b32_e64 v68, v7, v59, s[54:55]
	s_waitcnt lgkmcnt(0)
	v_cndmask_b32_e32 v59, 0, v60, vcc
	v_cmp_gt_u32_e32 vcc, 62, v64
	v_cndmask_b32_e64 v7, v7, v61, s[54:55]
	v_add_u32_e32 v6, v59, v6
	v_cndmask_b32_e64 v60, 0, 1, vcc
	v_lshlrev_b32_e32 v60, 1, v60
	v_add_lshl_u32 v66, v60, v73, 2
	ds_bpermute_b32 v60, v66, v7
	ds_bpermute_b32 v61, v66, v6
	v_and_b32_e32 v59, 1, v68
	v_cmp_eq_u32_e32 vcc, 1, v59
	v_mov_b32_e32 v59, 0
	s_waitcnt lgkmcnt(1)
	v_and_b32_e32 v60, 1, v60
	v_add_u32_e32 v67, 2, v64
	v_cndmask_b32_e64 v60, v60, 1, vcc
	v_cmp_eq_u16_sdwa vcc, v68, v59 src0_sel:BYTE_0 src1_sel:DWORD
	v_and_b32_e32 v69, 0xffff, v60
	v_add_u32_e32 v77, 32, v64
	s_waitcnt lgkmcnt(0)
	v_cndmask_b32_e32 v61, 0, v61, vcc
	v_cmp_gt_u32_e32 vcc, v67, v9
	s_nop 1
	v_cndmask_b32_e32 v60, v60, v68, vcc
	v_cndmask_b32_e64 v61, v61, 0, vcc
	v_cndmask_b32_e32 v7, v69, v7, vcc
	v_cmp_gt_u32_e32 vcc, 60, v64
	v_add_u32_e32 v6, v61, v6
	v_and_b32_e32 v71, 1, v60
	v_cndmask_b32_e64 v68, 0, 1, vcc
	v_lshlrev_b32_e32 v68, 2, v68
	v_add_lshl_u32 v68, v68, v73, 2
	ds_bpermute_b32 v70, v68, v7
	ds_bpermute_b32 v61, v68, v6
	v_cmp_eq_u32_e32 vcc, 1, v71
	v_add_u32_e32 v69, 4, v64
	s_waitcnt lgkmcnt(1)
	v_and_b32_e32 v70, 1, v70
	v_cndmask_b32_e64 v70, v70, 1, vcc
	v_cmp_eq_u16_sdwa vcc, v60, v59 src0_sel:BYTE_0 src1_sel:DWORD
	v_and_b32_e32 v71, 0xffff, v70
	s_waitcnt lgkmcnt(0)
	v_cndmask_b32_e32 v61, 0, v61, vcc
	v_cmp_gt_u32_e32 vcc, v69, v9
	s_nop 1
	v_cndmask_b32_e32 v60, v70, v60, vcc
	v_cndmask_b32_e64 v61, v61, 0, vcc
	v_cndmask_b32_e32 v7, v71, v7, vcc
	v_cmp_gt_u32_e32 vcc, 56, v64
	v_add_u32_e32 v6, v61, v6
	v_and_b32_e32 v74, 1, v60
	v_cndmask_b32_e64 v70, 0, 1, vcc
	v_lshlrev_b32_e32 v70, 3, v70
	v_add_lshl_u32 v70, v70, v73, 2
	ds_bpermute_b32 v72, v70, v7
	ds_bpermute_b32 v61, v70, v6
	v_cmp_eq_u32_e32 vcc, 1, v74
	v_add_u32_e32 v71, 8, v64
	s_waitcnt lgkmcnt(1)
	v_and_b32_e32 v72, 1, v72
	v_cndmask_b32_e64 v72, v72, 1, vcc
	v_cmp_eq_u16_sdwa vcc, v60, v59 src0_sel:BYTE_0 src1_sel:DWORD
	v_and_b32_e32 v74, 0xffff, v72
	;; [unrolled: 22-line block ×3, first 2 shown]
	s_waitcnt lgkmcnt(0)
	v_cndmask_b32_e32 v61, 0, v61, vcc
	v_cmp_gt_u32_e32 vcc, v74, v9
	s_nop 1
	v_cndmask_b32_e32 v60, v75, v60, vcc
	v_cndmask_b32_e64 v61, v61, 0, vcc
	v_cndmask_b32_e32 v7, v76, v7, vcc
	v_cmp_gt_u32_e32 vcc, 32, v64
	v_add_u32_e32 v6, v61, v6
	s_nop 0
	v_cndmask_b32_e64 v75, 0, 1, vcc
	v_lshlrev_b32_e32 v75, 5, v75
	v_add_lshl_u32 v76, v75, v73, 2
	ds_bpermute_b32 v7, v76, v7
	ds_bpermute_b32 v61, v76, v6
	v_and_b32_e32 v73, 1, v60
	v_cmp_eq_u32_e32 vcc, 1, v73
	s_waitcnt lgkmcnt(1)
	v_and_b32_e32 v7, 1, v7
	v_cndmask_b32_e64 v7, v7, 1, vcc
	v_cmp_eq_u16_sdwa vcc, v60, v59 src0_sel:BYTE_0 src1_sel:DWORD
	s_waitcnt lgkmcnt(0)
	s_nop 0
	v_cndmask_b32_e32 v61, 0, v61, vcc
	v_cmp_gt_u32_e32 vcc, v77, v9
	s_nop 1
	v_cndmask_b32_e64 v9, v61, 0, vcc
	v_cndmask_b32_e32 v7, v7, v60, vcc
	v_add_u32_e32 v6, v9, v6
	s_branch .LBB146_159
.LBB146_158:                            ;   in Loop: Header=BB146_159 Depth=1
	s_or_b64 exec, exec, s[54:55]
	v_cmp_eq_u16_sdwa s[54:55], v8, v3 src0_sel:BYTE_0 src1_sel:DWORD
	ds_bpermute_b32 v61, v65, v7
	v_and_b32_e32 v78, 1, v7
	v_and_b32_e32 v9, s55, v5
	v_or_b32_e32 v9, 0x80000000, v9
	v_and_b32_e32 v60, s54, v4
	v_ffbl_b32_e32 v9, v9
	v_add_u32_e32 v9, 32, v9
	v_ffbl_b32_e32 v60, v60
	v_min_u32_e32 v9, v60, v9
	ds_bpermute_b32 v60, v65, v6
	s_waitcnt lgkmcnt(1)
	v_and_b32_e32 v61, 1, v61
	v_cmp_eq_u32_e32 vcc, 1, v78
	v_cmp_lt_u32_e64 s[54:55], v64, v9
	v_subrev_u32_e32 v58, 64, v58
	v_cndmask_b32_e64 v61, v61, 1, vcc
	v_cmp_gt_u64_e32 vcc, s[64:65], v[6:7]
	v_and_b32_e32 v78, 0xffff, v61
	v_cndmask_b32_e64 v61, v7, v61, s[54:55]
	v_cndmask_b32_e64 v7, v7, v78, s[54:55]
	s_and_b64 vcc, s[54:55], vcc
	ds_bpermute_b32 v78, v66, v7
	s_waitcnt lgkmcnt(1)
	v_cndmask_b32_e32 v60, 0, v60, vcc
	v_add_u32_e32 v6, v60, v6
	ds_bpermute_b32 v60, v66, v6
	v_and_b32_e32 v79, 1, v61
	s_waitcnt lgkmcnt(1)
	v_and_b32_e32 v78, 1, v78
	v_cmp_eq_u32_e32 vcc, 1, v79
	s_nop 1
	v_cndmask_b32_e64 v78, v78, 1, vcc
	v_cmp_eq_u16_sdwa vcc, v61, v59 src0_sel:BYTE_0 src1_sel:DWORD
	v_and_b32_e32 v79, 0xffff, v78
	s_waitcnt lgkmcnt(0)
	v_cndmask_b32_e32 v60, 0, v60, vcc
	v_cmp_gt_u32_e32 vcc, v67, v9
	s_nop 1
	v_cndmask_b32_e32 v7, v79, v7, vcc
	v_cndmask_b32_e32 v61, v78, v61, vcc
	ds_bpermute_b32 v78, v68, v7
	v_cndmask_b32_e64 v60, v60, 0, vcc
	v_add_u32_e32 v6, v60, v6
	ds_bpermute_b32 v60, v68, v6
	v_and_b32_e32 v79, 1, v61
	s_waitcnt lgkmcnt(1)
	v_and_b32_e32 v78, 1, v78
	v_cmp_eq_u32_e32 vcc, 1, v79
	s_nop 1
	v_cndmask_b32_e64 v78, v78, 1, vcc
	v_cmp_eq_u16_sdwa vcc, v61, v59 src0_sel:BYTE_0 src1_sel:DWORD
	v_and_b32_e32 v79, 0xffff, v78
	s_waitcnt lgkmcnt(0)
	v_cndmask_b32_e32 v60, 0, v60, vcc
	v_cmp_gt_u32_e32 vcc, v69, v9
	s_nop 1
	v_cndmask_b32_e32 v7, v79, v7, vcc
	v_cndmask_b32_e32 v61, v78, v61, vcc
	ds_bpermute_b32 v78, v70, v7
	v_cndmask_b32_e64 v60, v60, 0, vcc
	;; [unrolled: 18-line block ×3, first 2 shown]
	v_add_u32_e32 v6, v60, v6
	ds_bpermute_b32 v60, v72, v6
	v_and_b32_e32 v79, 1, v61
	s_waitcnt lgkmcnt(1)
	v_and_b32_e32 v78, 1, v78
	v_cmp_eq_u32_e32 vcc, 1, v79
	s_nop 1
	v_cndmask_b32_e64 v78, v78, 1, vcc
	v_cmp_eq_u16_sdwa vcc, v61, v59 src0_sel:BYTE_0 src1_sel:DWORD
	v_and_b32_e32 v79, 0xffff, v78
	s_waitcnt lgkmcnt(0)
	v_cndmask_b32_e32 v60, 0, v60, vcc
	v_cmp_gt_u32_e32 vcc, v74, v9
	s_nop 1
	v_cndmask_b32_e64 v60, v60, 0, vcc
	v_cndmask_b32_e32 v7, v79, v7, vcc
	ds_bpermute_b32 v7, v76, v7
	v_add_u32_e32 v6, v60, v6
	ds_bpermute_b32 v60, v76, v6
	v_cndmask_b32_e32 v61, v78, v61, vcc
	v_and_b32_e32 v78, 1, v61
	v_cmp_eq_u32_e32 vcc, 1, v78
	s_waitcnt lgkmcnt(1)
	s_nop 0
	v_cndmask_b32_e64 v7, v7, 1, vcc
	v_cmp_eq_u16_sdwa vcc, v61, v59 src0_sel:BYTE_0 src1_sel:DWORD
	s_waitcnt lgkmcnt(0)
	s_nop 0
	v_cndmask_b32_e32 v60, 0, v60, vcc
	v_cmp_gt_u32_e32 vcc, v77, v9
	s_nop 1
	v_cndmask_b32_e64 v9, v60, 0, vcc
	v_cndmask_b32_e32 v7, v7, v61, vcc
	v_add_u32_e32 v6, v9, v6
	v_cmp_eq_u16_sdwa vcc, v73, v59 src0_sel:BYTE_0 src1_sel:DWORD
	v_and_b32_e32 v9, 1, v73
	v_and_b32_e32 v7, 1, v7
	v_cndmask_b32_e32 v6, 0, v6, vcc
	v_cmp_eq_u32_e32 vcc, 1, v9
	v_add_u32_e32 v6, v6, v75
	s_nop 0
	v_cndmask_b32_e64 v7, v7, 1, vcc
.LBB146_159:                            ; =>This Loop Header: Depth=1
                                        ;     Child Loop BB146_162 Depth 2
                                        ;       Child Loop BB146_163 Depth 3
	v_cmp_ne_u16_sdwa s[54:55], v8, v3 src0_sel:BYTE_0 src1_sel:DWORD
	v_mov_b32_e32 v73, v7
	v_mov_b32_e32 v75, v6
	v_cndmask_b32_e64 v7, 0, 1, s[54:55]
	;;#ASMSTART
	;;#ASMEND
	s_nop 0
	v_cmp_ne_u32_e32 vcc, 0, v7
	s_cmp_lg_u64 vcc, exec
	s_cbranch_scc1 .LBB146_166
; %bb.160:                              ;   in Loop: Header=BB146_159 Depth=1
	v_lshl_add_u64 v[60:61], v[58:59], 4, s[68:69]
	;;#ASMSTART
	global_load_dwordx4 v[6:9], v[60:61] off sc1	
s_waitcnt vmcnt(0)
	;;#ASMEND
	s_nop 0
	v_and_b32_e32 v9, 0xff0000, v6
	v_and_b32_e32 v78, 0xff000000, v6
	;; [unrolled: 1-line block ×3, first 2 shown]
	v_or_b32_sdwa v6, v6, v9 dst_sel:DWORD dst_unused:UNUSED_PAD src0_sel:WORD_0 src1_sel:DWORD
	v_or3_b32 v7, 0, 0, v7
	v_or3_b32 v6, v6, v78, 0
	v_cmp_eq_u16_sdwa s[66:67], v8, v59 src0_sel:BYTE_0 src1_sel:DWORD
	s_and_saveexec_b64 s[54:55], s[66:67]
	s_cbranch_execz .LBB146_158
; %bb.161:                              ;   in Loop: Header=BB146_159 Depth=1
	s_mov_b32 s71, 1
	s_mov_b64 s[66:67], 0
.LBB146_162:                            ;   Parent Loop BB146_159 Depth=1
                                        ; =>  This Loop Header: Depth=2
                                        ;       Child Loop BB146_163 Depth 3
	s_max_u32 s76, s71, 1
.LBB146_163:                            ;   Parent Loop BB146_159 Depth=1
                                        ;     Parent Loop BB146_162 Depth=2
                                        ; =>    This Inner Loop Header: Depth=3
	s_add_i32 s76, s76, -1
	s_cmp_eq_u32 s76, 0
	s_sleep 1
	s_cbranch_scc0 .LBB146_163
; %bb.164:                              ;   in Loop: Header=BB146_162 Depth=2
	s_cmp_lt_u32 s71, 32
	s_cselect_b64 s[76:77], -1, 0
	s_cmp_lg_u64 s[76:77], 0
	s_addc_u32 s71, s71, 0
	;;#ASMSTART
	global_load_dwordx4 v[6:9], v[60:61] off sc1	
s_waitcnt vmcnt(0)
	;;#ASMEND
	s_nop 0
	v_cmp_ne_u16_sdwa s[76:77], v8, v59 src0_sel:BYTE_0 src1_sel:DWORD
	s_or_b64 s[66:67], s[76:77], s[66:67]
	s_andn2_b64 exec, exec, s[66:67]
	s_cbranch_execnz .LBB146_162
; %bb.165:                              ;   in Loop: Header=BB146_159 Depth=1
	s_or_b64 exec, exec, s[66:67]
	v_and_b32_e32 v7, 0xff, v7
	s_branch .LBB146_158
.LBB146_166:                            ;   in Loop: Header=BB146_159 Depth=1
                                        ; implicit-def: $vgpr7
                                        ; implicit-def: $vgpr6
                                        ; implicit-def: $vgpr8
	s_cbranch_execz .LBB146_159
; %bb.167:
	s_and_saveexec_b64 s[54:55], s[50:51]
	s_cbranch_execz .LBB146_169
; %bb.168:
	s_and_b32 s50, s3, 0xff
	s_cmp_eq_u32 s50, 0
	s_cselect_b64 vcc, -1, 0
	s_bitcmp1_b32 s3, 0
	s_mov_b32 s51, 0
	s_cselect_b64 s[64:65], -1, 0
	s_add_i32 s50, s2, 64
	s_lshl_b64 s[2:3], s[50:51], 4
	v_cndmask_b32_e32 v3, 0, v75, vcc
	s_add_u32 s2, s68, s2
	v_add_u32_e32 v2, v3, v2
	v_and_b32_e32 v3, 1, v73
	s_addc_u32 s3, s69, s3
	v_mov_b32_e32 v5, 0
	v_cndmask_b32_e64 v3, v3, 1, s[64:65]
	v_mov_b32_e32 v4, 2
	v_mov_b64_e32 v[6:7], s[2:3]
	;;#ASMSTART
	global_store_dwordx4 v[6:7], v[2:5] off sc1	
s_waitcnt vmcnt(0)
	;;#ASMEND
.LBB146_169:
	s_or_b64 exec, exec, s[54:55]
	s_and_b64 exec, exec, s[48:49]
	s_cbranch_execz .LBB146_171
; %bb.170:
	v_mov_b32_e32 v2, 0
	ds_write_b32 v2, v75
	ds_write_b8 v2, v73 offset:4
.LBB146_171:
	s_or_b64 exec, exec, s[60:61]
	s_mov_b32 s2, 0
	v_mov_b32_e32 v2, 0
	s_mov_b32 s3, 1
	s_waitcnt lgkmcnt(0)
	s_barrier
	ds_read_b32 v3, v2
	v_cmp_gt_u64_e32 vcc, s[2:3], v[10:11]
	v_and_b32_e32 v5, 1, v11
	v_and_b32_e32 v6, 1, v63
	v_cndmask_b32_e32 v4, 0, v62, vcc
	v_cmp_eq_u32_e32 vcc, 1, v5
	v_cndmask_b32_e64 v4, v4, 0, s[48:49]
	s_nop 0
	v_cndmask_b32_e64 v5, v6, 1, vcc
	v_cndmask_b32_e64 v5, v5, v11, s[48:49]
	v_cmp_eq_u16_sdwa vcc, v5, v2 src0_sel:BYTE_0 src1_sel:DWORD
	s_waitcnt lgkmcnt(0)
	s_nop 0
	v_cndmask_b32_e32 v2, 0, v3, vcc
	v_add3_u32 v80, v4, v10, v2
	v_cndmask_b32_e64 v2, 0, v80, s[52:53]
	v_add_u32_e32 v58, v2, v12
	v_cndmask_b32_e64 v2, 0, v58, s[4:5]
	v_add_u32_e32 v59, v2, v14
	;; [unrolled: 2-line block ×22, first 2 shown]
	s_branch .LBB146_192
.LBB146_172:
                                        ; implicit-def: $vgpr78
                                        ; implicit-def: $vgpr77
                                        ; implicit-def: $vgpr76
                                        ; implicit-def: $vgpr75
                                        ; implicit-def: $vgpr74
                                        ; implicit-def: $vgpr73
                                        ; implicit-def: $vgpr72
                                        ; implicit-def: $vgpr71
                                        ; implicit-def: $vgpr70
                                        ; implicit-def: $vgpr69
                                        ; implicit-def: $vgpr68
                                        ; implicit-def: $vgpr67
                                        ; implicit-def: $vgpr66
                                        ; implicit-def: $vgpr65
                                        ; implicit-def: $vgpr64
                                        ; implicit-def: $vgpr63
                                        ; implicit-def: $vgpr62
                                        ; implicit-def: $vgpr61
                                        ; implicit-def: $vgpr60
                                        ; implicit-def: $vgpr59
                                        ; implicit-def: $vgpr58
                                        ; implicit-def: $vgpr80
                                        ; implicit-def: $vgpr79
	s_cbranch_execz .LBB146_192
; %bb.173:
	s_cmp_lg_u64 s[74:75], 0
	s_cselect_b32 s5, s63, 0
	s_cselect_b32 s4, s62, 0
	s_cmp_lg_u64 s[4:5], 0
	s_cselect_b64 s[6:7], -1, 0
	v_cmp_eq_u32_e32 vcc, 0, v0
	s_mov_b32 s48, 0
	v_cmp_ne_u32_e64 s[2:3], 0, v0
	s_and_b64 s[8:9], vcc, s[6:7]
	s_and_saveexec_b64 s[6:7], s[8:9]
	s_cbranch_execz .LBB146_175
; %bb.174:
	v_mov_b32_e32 v2, 0
	global_load_dword v4, v2, s[4:5]
	global_load_ubyte v5, v2, s[4:5] offset:4
	s_mov_b32 s49, 1
	v_and_b32_e32 v3, 1, v11
	v_cmp_gt_u64_e64 s[4:5], s[48:49], v[10:11]
	s_waitcnt vmcnt(0)
	v_and_b32_e32 v5, 1, v5
	v_cndmask_b32_e64 v4, 0, v4, s[4:5]
	v_cmp_eq_u64_e64 s[4:5], 0, v[2:3]
	v_add_u32_e32 v10, v4, v10
	s_nop 0
	v_cndmask_b32_e64 v11, 1, v5, s[4:5]
.LBB146_175:
	s_or_b64 exec, exec, s[6:7]
	s_mov_b32 s49, 1
	v_cmp_gt_u64_e64 s[4:5], s[48:49], v[12:13]
	v_cmp_gt_u64_e64 s[6:7], s[48:49], v[14:15]
	v_cmp_gt_u64_e64 s[8:9], s[48:49], v[16:17]
	v_cndmask_b32_e64 v2, 0, v10, s[4:5]
	v_add_u32_e32 v58, v2, v12
	v_cndmask_b32_e64 v2, 0, v58, s[6:7]
	v_add_u32_e32 v59, v2, v14
	v_cndmask_b32_e64 v2, 0, v59, s[8:9]
	v_add_u32_e32 v60, v2, v16
	v_cmp_gt_u64_e64 s[10:11], s[48:49], v[18:19]
	v_cmp_gt_u64_e64 s[12:13], s[48:49], v[20:21]
	v_cmp_gt_u64_e64 s[14:15], s[48:49], v[22:23]
	v_cndmask_b32_e64 v2, 0, v60, s[10:11]
	v_add_u32_e32 v61, v2, v18
	v_cndmask_b32_e64 v2, 0, v61, s[12:13]
	v_add_u32_e32 v62, v2, v20
	v_cndmask_b32_e64 v2, 0, v62, s[14:15]
	v_add_u32_e32 v63, v2, v22
	;; [unrolled: 9-line block ×7, first 2 shown]
	v_cmp_gt_u64_e64 s[48:49], s[48:49], v[56:57]
	v_add_lshl_u32 v1, v1, v0, 3
	s_nop 0
	v_cndmask_b32_e64 v2, 0, v78, s[48:49]
	v_add_u32_e32 v79, v2, v56
	v_or3_b32 v2, v55, v51, v49
	v_or3_b32 v2, v2, v47, v45
	v_or3_b32 v2, v2, v43, v41
	v_or3_b32 v2, v2, v39, v37
	v_or3_b32 v2, v2, v35, v33
	v_or3_b32 v2, v2, v31, v29
	v_or3_b32 v2, v2, v27, v25
	v_or3_b32 v2, v2, v23, v21
	v_or3_b32 v2, v2, v19, v17
	v_or3_b32 v2, v2, v15, v13
	v_and_b32_e32 v2, 1, v2
	v_cmp_eq_u32_e64 s[50:51], 1, v2
	s_nop 1
	v_cndmask_b32_e64 v4, v11, 1, s[50:51]
	v_cmp_gt_u32_e64 s[50:51], 64, v0
	ds_write_b32 v1, v79
	ds_write_b8 v1, v4 offset:4
	s_waitcnt lgkmcnt(0)
	s_barrier
	s_and_saveexec_b64 s[52:53], s[50:51]
	s_cbranch_execz .LBB146_187
; %bb.176:
	v_lshrrev_b32_e32 v1, 3, v0
	v_add_lshl_u32 v1, v1, v54, 3
	ds_read2_b32 v[6:7], v1 offset0:2 offset1:4
	ds_read_b64 v[2:3], v1
	ds_read_u8 v8, v1 offset:12
	ds_read_u8 v9, v1 offset:20
	ds_read_b32 v13, v1 offset:24
	ds_read_u8 v15, v1 offset:28
	v_mov_b32_e32 v17, 0
	s_waitcnt lgkmcnt(3)
	v_cmp_eq_u16_sdwa s[50:51], v8, v17 src0_sel:BYTE_0 src1_sel:DWORD
	v_and_b32_e32 v5, 1, v3
	s_nop 0
	v_cndmask_b32_e64 v19, 0, v2, s[50:51]
	v_add_u32_e32 v6, v19, v6
	s_waitcnt lgkmcnt(2)
	v_cmp_eq_u16_sdwa s[50:51], v9, v17 src0_sel:BYTE_0 src1_sel:DWORD
	s_nop 1
	v_cndmask_b32_e64 v6, 0, v6, s[50:51]
	v_add_u32_e32 v6, v6, v7
	s_waitcnt lgkmcnt(0)
	v_cmp_eq_u16_e64 s[50:51], 0, v15
	s_nop 1
	v_cndmask_b32_e64 v6, 0, v6, s[50:51]
	v_add_u32_e32 v7, v6, v13
	v_or_b32_e32 v6, v15, v9
	v_or_b32_e32 v6, v6, v8
	v_and_b32_e32 v6, 1, v6
	v_cmp_eq_u32_e64 s[50:51], 1, v6
	v_mbcnt_lo_u32_b32 v8, -1, 0
	v_and_b32_e32 v6, 0xffffff00, v3
	v_cndmask_b32_e64 v9, v5, 1, s[50:51]
	v_mbcnt_hi_u32_b32 v8, -1, v8
	v_and_b32_e32 v15, 15, v8
	v_or_b32_sdwa v13, v6, v9 dst_sel:DWORD dst_unused:UNUSED_PAD src0_sel:DWORD src1_sel:WORD_0
	v_mov_b32_dpp v17, v7 row_shr:1 row_mask:0xf bank_mask:0xf
	v_cmp_ne_u32_e64 s[50:51], 0, v15
	v_mov_b32_dpp v19, v13 row_shr:1 row_mask:0xf bank_mask:0xf
	s_and_saveexec_b64 s[54:55], s[50:51]
; %bb.177:
	v_and_b32_e32 v13, 1, v9
	v_and_b32_e32 v19, 1, v19
	v_cmp_eq_u32_e64 s[50:51], 1, v13
	s_nop 1
	v_cndmask_b32_e64 v19, v19, 1, s[50:51]
	v_cmp_eq_u16_e64 s[50:51], 0, v9
	v_or_b32_sdwa v13, v6, v19 dst_sel:DWORD dst_unused:UNUSED_PAD src0_sel:DWORD src1_sel:WORD_0
	s_nop 0
	v_cndmask_b32_e64 v9, 0, v17, s[50:51]
	v_add_u32_e32 v7, v9, v7
	v_mov_b32_e32 v9, v19
; %bb.178:
	s_or_b64 exec, exec, s[54:55]
	v_mov_b32_dpp v17, v7 row_shr:2 row_mask:0xf bank_mask:0xf
	v_mov_b32_dpp v19, v13 row_shr:2 row_mask:0xf bank_mask:0xf
	v_cmp_lt_u32_e64 s[50:51], 1, v15
	s_and_saveexec_b64 s[54:55], s[50:51]
; %bb.179:
	v_and_b32_e32 v13, 1, v9
	v_and_b32_e32 v19, 1, v19
	v_cmp_eq_u32_e64 s[50:51], 1, v13
	s_nop 1
	v_cndmask_b32_e64 v19, v19, 1, s[50:51]
	v_cmp_eq_u16_e64 s[50:51], 0, v9
	v_or_b32_sdwa v13, v6, v19 dst_sel:DWORD dst_unused:UNUSED_PAD src0_sel:DWORD src1_sel:WORD_0
	s_nop 0
	v_cndmask_b32_e64 v9, 0, v17, s[50:51]
	v_add_u32_e32 v7, v9, v7
	v_mov_b32_e32 v9, v19
; %bb.180:
	s_or_b64 exec, exec, s[54:55]
	v_mov_b32_dpp v17, v7 row_shr:4 row_mask:0xf bank_mask:0xf
	v_mov_b32_dpp v19, v13 row_shr:4 row_mask:0xf bank_mask:0xf
	v_cmp_lt_u32_e64 s[50:51], 3, v15
	;; [unrolled: 18-line block ×3, first 2 shown]
	s_and_saveexec_b64 s[54:55], s[50:51]
; %bb.183:
	v_and_b32_e32 v13, 1, v9
	v_and_b32_e32 v15, 1, v19
	v_cmp_eq_u32_e64 s[50:51], 1, v13
	s_nop 1
	v_cndmask_b32_e64 v15, v15, 1, s[50:51]
	v_cmp_eq_u16_e64 s[50:51], 0, v9
	v_or_b32_sdwa v13, v6, v15 dst_sel:DWORD dst_unused:UNUSED_PAD src0_sel:DWORD src1_sel:WORD_0
	s_nop 0
	v_cndmask_b32_e64 v9, 0, v17, s[50:51]
	v_add_u32_e32 v7, v9, v7
	v_mov_b32_e32 v9, v15
; %bb.184:
	s_or_b64 exec, exec, s[54:55]
	v_and_b32_e32 v19, 16, v8
	v_mov_b32_dpp v15, v7 row_bcast:15 row_mask:0xf bank_mask:0xf
	v_mov_b32_dpp v17, v13 row_bcast:15 row_mask:0xf bank_mask:0xf
	v_cmp_ne_u32_e64 s[50:51], 0, v19
	s_and_saveexec_b64 s[54:55], s[50:51]
; %bb.185:
	v_and_b32_e32 v13, 1, v9
	v_and_b32_e32 v17, 1, v17
	v_cmp_eq_u32_e64 s[50:51], 1, v13
	s_nop 1
	v_cndmask_b32_e64 v17, v17, 1, s[50:51]
	v_cmp_eq_u16_e64 s[50:51], 0, v9
	v_or_b32_sdwa v13, v6, v17 dst_sel:DWORD dst_unused:UNUSED_PAD src0_sel:DWORD src1_sel:WORD_0
	s_nop 0
	v_cndmask_b32_e64 v9, 0, v15, s[50:51]
	v_add_u32_e32 v7, v9, v7
	v_mov_b32_e32 v9, v17
; %bb.186:
	s_or_b64 exec, exec, s[54:55]
	v_mov_b32_dpp v13, v13 row_bcast:31 row_mask:0xf bank_mask:0xf
	v_and_b32_e32 v17, 1, v9
	v_and_b32_e32 v13, 1, v13
	v_cmp_eq_u32_e64 s[50:51], 1, v17
	v_mov_b32_e32 v17, 0
	v_cmp_eq_u16_sdwa s[54:55], v9, v17 src0_sel:BYTE_0 src1_sel:DWORD
	v_cndmask_b32_e64 v13, v13, 1, s[50:51]
	v_cmp_lt_u32_e64 s[50:51], 31, v8
	v_mov_b32_dpp v15, v7 row_bcast:31 row_mask:0xf bank_mask:0xf
	s_movk_i32 s60, 0xff
	v_cndmask_b32_e64 v9, v9, v13, s[50:51]
	s_and_b64 s[50:51], s[50:51], s[54:55]
	v_cndmask_b32_e64 v13, 0, v15, s[50:51]
	v_add_u32_e32 v7, v13, v7
	v_add_u32_e32 v13, -1, v8
	v_and_b32_e32 v15, 64, v8
	v_cmp_lt_i32_e64 s[50:51], v13, v15
	v_and_or_b32 v6, v9, s60, v6
	s_nop 0
	v_cndmask_b32_e64 v8, v13, v8, s[50:51]
	v_lshlrev_b32_e32 v8, 2, v8
	ds_bpermute_b32 v7, v8, v7
	ds_bpermute_b32 v6, v8, v6
	v_cmp_eq_u16_sdwa s[50:51], v3, v17 src0_sel:BYTE_0 src1_sel:DWORD
	; wave barrier
	s_waitcnt lgkmcnt(1)
	s_nop 0
	v_cndmask_b32_e64 v3, 0, v7, s[50:51]
	v_add_u32_e32 v2, v3, v2
	s_waitcnt lgkmcnt(0)
	v_and_b32_e32 v3, 1, v6
	v_cmp_eq_u32_e64 s[50:51], 1, v5
	v_cndmask_b32_e32 v5, v2, v79, vcc
	s_nop 0
	v_cndmask_b32_e64 v3, v3, 1, s[50:51]
	v_cndmask_b32_e32 v4, v3, v4, vcc
	ds_write_b32 v1, v5
	ds_write_b8 v1, v4 offset:4
	; wave barrier
	ds_read_u8 v6, v1 offset:12
	ds_read2_b32 v[2:3], v1 offset0:2 offset1:4
	ds_read_u8 v7, v1 offset:20
	ds_read_b32 v8, v1 offset:24
	ds_read_u8 v9, v1 offset:28
	s_waitcnt lgkmcnt(4)
	v_cmp_eq_u16_e64 s[50:51], 0, v6
	s_nop 1
	v_cndmask_b32_e64 v5, 0, v5, s[50:51]
	s_waitcnt lgkmcnt(3)
	v_add_u32_e32 v2, v5, v2
	v_and_b32_e32 v5, 1, v6
	v_cmp_eq_u32_e64 s[50:51], 1, v5
	s_nop 1
	v_cndmask_b32_e64 v4, v4, 1, s[50:51]
	s_waitcnt lgkmcnt(2)
	v_cmp_eq_u16_e64 s[50:51], 0, v7
	ds_write_b8 v1, v4 offset:12
	s_nop 0
	v_cndmask_b32_e64 v5, 0, v2, s[50:51]
	v_add_u32_e32 v3, v5, v3
	v_and_b32_e32 v5, 1, v7
	v_cmp_eq_u32_e64 s[50:51], 1, v5
	s_nop 1
	v_cndmask_b32_e64 v4, v4, 1, s[50:51]
	s_waitcnt lgkmcnt(1)
	v_cmp_eq_u16_e64 s[50:51], 0, v9
	ds_write2_b32 v1, v2, v3 offset0:2 offset1:4
	ds_write_b8 v1, v4 offset:20
	v_cndmask_b32_e64 v2, 0, v3, s[50:51]
	v_and_b32_e32 v3, 1, v9
	v_add_u32_e32 v2, v2, v8
	v_cmp_eq_u32_e64 s[50:51], 1, v3
	s_nop 1
	v_cndmask_b32_e64 v3, v4, 1, s[50:51]
	ds_write_b32 v1, v2 offset:24
	ds_write_b8 v1, v3 offset:28
.LBB146_187:
	s_or_b64 exec, exec, s[52:53]
	v_mov_b32_e32 v1, v79
	s_waitcnt lgkmcnt(0)
	s_barrier
	s_and_saveexec_b64 s[50:51], s[2:3]
	s_cbranch_execnz .LBB146_265
; %bb.188:
	s_or_b64 exec, exec, s[50:51]
	s_and_saveexec_b64 s[50:51], s[2:3]
	s_cbranch_execnz .LBB146_266
.LBB146_189:
	s_or_b64 exec, exec, s[50:51]
	s_and_saveexec_b64 s[2:3], vcc
	s_cbranch_execz .LBB146_191
.LBB146_190:
	v_mov_b32_e32 v5, 0
	ds_read_b32 v2, v5 offset:2096
	ds_read_u8 v3, v5 offset:2100
	s_add_u32 s4, s68, 0x400
	s_addc_u32 s5, s69, 0
	v_mov_b32_e32 v4, 2
	v_mov_b64_e32 v[6:7], s[4:5]
	s_waitcnt lgkmcnt(0)
	;;#ASMSTART
	global_store_dwordx4 v[6:7], v[2:5] off sc1	
s_waitcnt vmcnt(0)
	;;#ASMEND
.LBB146_191:
	s_or_b64 exec, exec, s[2:3]
	v_mov_b32_e32 v80, v10
.LBB146_192:
	s_add_u32 s2, s58, s72
	s_addc_u32 s3, s59, s73
	s_add_u32 s2, s2, s56
	s_addc_u32 s3, s3, s57
	s_and_b64 vcc, exec, s[0:1]
	s_cbranch_vccz .LBB146_238
; %bb.193:
	s_movk_i32 s0, 0x5c
	v_mul_i32_i24_e32 v26, 0xffffffa8, v0
	s_waitcnt lgkmcnt(0)
	v_mul_u32_u24_e32 v1, 0x5c, v0
	v_mad_u32_u24 v2, v0, s0, v26
	s_barrier
	ds_write2_b32 v1, v80, v58 offset1:1
	ds_write2_b32 v1, v59, v60 offset0:2 offset1:3
	ds_write2_b32 v1, v61, v62 offset0:4 offset1:5
	ds_write2_b32 v1, v63, v64 offset0:6 offset1:7
	ds_write2_b32 v1, v65, v66 offset0:8 offset1:9
	ds_write2_b32 v1, v67, v68 offset0:10 offset1:11
	ds_write2_b32 v1, v69, v70 offset0:12 offset1:13
	ds_write2_b32 v1, v71, v72 offset0:14 offset1:15
	ds_write2_b32 v1, v73, v74 offset0:16 offset1:17
	ds_write2_b32 v1, v75, v76 offset0:18 offset1:19
	ds_write2_b32 v1, v77, v78 offset0:20 offset1:21
	ds_write_b32 v1, v79 offset:88
	s_waitcnt lgkmcnt(0)
	s_barrier
	ds_read2st64_b32 v[24:25], v2 offset0:4 offset1:8
	ds_read2st64_b32 v[22:23], v2 offset0:12 offset1:16
	;; [unrolled: 1-line block ×11, first 2 shown]
	s_add_i32 s33, s33, s70
	v_mov_b32_e32 v55, 0
	v_lshl_add_u64 v[4:5], s[2:3], 0, v[54:55]
	v_cmp_gt_u32_e32 vcc, s33, v0
	s_and_saveexec_b64 s[0:1], vcc
	s_cbranch_execz .LBB146_195
; %bb.194:
	v_add_u32_e32 v1, v1, v26
	ds_read_b32 v1, v1
	s_waitcnt lgkmcnt(0)
	flat_store_dword v[4:5], v1
.LBB146_195:
	s_or_b64 exec, exec, s[0:1]
	v_or_b32_e32 v1, 0x100, v0
	v_cmp_gt_u32_e32 vcc, s33, v1
	s_and_saveexec_b64 s[0:1], vcc
	s_cbranch_execz .LBB146_197
; %bb.196:
	s_waitcnt lgkmcnt(0)
	flat_store_dword v[4:5], v24 offset:1024
.LBB146_197:
	s_or_b64 exec, exec, s[0:1]
	v_or_b32_e32 v1, 0x200, v0
	v_cmp_gt_u32_e32 vcc, s33, v1
	s_and_saveexec_b64 s[0:1], vcc
	s_cbranch_execz .LBB146_199
; %bb.198:
	s_waitcnt lgkmcnt(0)
	flat_store_dword v[4:5], v25 offset:2048
.LBB146_199:
	;; [unrolled: 9-line block ×3, first 2 shown]
	s_or_b64 exec, exec, s[0:1]
	v_or_b32_e32 v1, 0x400, v0
	v_cmp_gt_u32_e32 vcc, s33, v1
	s_and_saveexec_b64 s[0:1], vcc
	s_cbranch_execz .LBB146_203
; %bb.202:
	s_waitcnt lgkmcnt(0)
	v_add_co_u32_e32 v24, vcc, 0x1000, v4
	s_nop 1
	v_addc_co_u32_e32 v25, vcc, 0, v5, vcc
	flat_store_dword v[24:25], v23
.LBB146_203:
	s_or_b64 exec, exec, s[0:1]
	v_or_b32_e32 v1, 0x500, v0
	v_cmp_gt_u32_e32 vcc, s33, v1
	s_and_saveexec_b64 s[0:1], vcc
	s_cbranch_execz .LBB146_205
; %bb.204:
	s_waitcnt lgkmcnt(0)
	v_add_co_u32_e32 v22, vcc, 0x1000, v4
	s_nop 1
	v_addc_co_u32_e32 v23, vcc, 0, v5, vcc
	flat_store_dword v[22:23], v20 offset:1024
.LBB146_205:
	s_or_b64 exec, exec, s[0:1]
	v_or_b32_e32 v1, 0x600, v0
	v_cmp_gt_u32_e32 vcc, s33, v1
	s_and_saveexec_b64 s[0:1], vcc
	s_cbranch_execz .LBB146_207
; %bb.206:
	s_waitcnt lgkmcnt(0)
	v_add_co_u32_e32 v22, vcc, 0x1000, v4
	s_nop 1
	v_addc_co_u32_e32 v23, vcc, 0, v5, vcc
	flat_store_dword v[22:23], v21 offset:2048
.LBB146_207:
	s_or_b64 exec, exec, s[0:1]
	v_or_b32_e32 v1, 0x700, v0
	v_cmp_gt_u32_e32 vcc, s33, v1
	s_and_saveexec_b64 s[0:1], vcc
	s_cbranch_execz .LBB146_209
; %bb.208:
	s_waitcnt lgkmcnt(0)
	v_add_co_u32_e32 v20, vcc, 0x1000, v4
	s_nop 1
	v_addc_co_u32_e32 v21, vcc, 0, v5, vcc
	flat_store_dword v[20:21], v18 offset:3072
.LBB146_209:
	s_or_b64 exec, exec, s[0:1]
	v_or_b32_e32 v1, 0x800, v0
	v_cmp_gt_u32_e32 vcc, s33, v1
	s_and_saveexec_b64 s[0:1], vcc
	s_cbranch_execz .LBB146_211
; %bb.210:
	s_waitcnt lgkmcnt(0)
	v_add_co_u32_e32 v20, vcc, 0x2000, v4
	s_nop 1
	v_addc_co_u32_e32 v21, vcc, 0, v5, vcc
	flat_store_dword v[20:21], v19
.LBB146_211:
	s_or_b64 exec, exec, s[0:1]
	v_or_b32_e32 v1, 0x900, v0
	v_cmp_gt_u32_e32 vcc, s33, v1
	s_and_saveexec_b64 s[0:1], vcc
	s_cbranch_execz .LBB146_213
; %bb.212:
	s_waitcnt lgkmcnt(0)
	v_add_co_u32_e32 v18, vcc, 0x2000, v4
	s_nop 1
	v_addc_co_u32_e32 v19, vcc, 0, v5, vcc
	flat_store_dword v[18:19], v16 offset:1024
.LBB146_213:
	s_or_b64 exec, exec, s[0:1]
	v_or_b32_e32 v1, 0xa00, v0
	v_cmp_gt_u32_e32 vcc, s33, v1
	s_and_saveexec_b64 s[0:1], vcc
	s_cbranch_execz .LBB146_215
; %bb.214:
	s_waitcnt lgkmcnt(0)
	v_add_co_u32_e32 v18, vcc, 0x2000, v4
	s_nop 1
	v_addc_co_u32_e32 v19, vcc, 0, v5, vcc
	flat_store_dword v[18:19], v17 offset:2048
.LBB146_215:
	s_or_b64 exec, exec, s[0:1]
	v_or_b32_e32 v1, 0xb00, v0
	v_cmp_gt_u32_e32 vcc, s33, v1
	s_and_saveexec_b64 s[0:1], vcc
	s_cbranch_execz .LBB146_217
; %bb.216:
	s_waitcnt lgkmcnt(0)
	v_add_co_u32_e32 v16, vcc, 0x2000, v4
	s_nop 1
	v_addc_co_u32_e32 v17, vcc, 0, v5, vcc
	flat_store_dword v[16:17], v14 offset:3072
.LBB146_217:
	;; [unrolled: 48-line block ×4, first 2 shown]
	s_or_b64 exec, exec, s[0:1]
	v_or_b32_e32 v1, 0x1400, v0
	v_cmp_gt_u32_e32 vcc, s33, v1
	s_and_saveexec_b64 s[0:1], vcc
	s_cbranch_execz .LBB146_235
; %bb.234:
	s_waitcnt lgkmcnt(0)
	v_add_co_u32_e32 v8, vcc, 0x5000, v4
	s_nop 1
	v_addc_co_u32_e32 v9, vcc, 0, v5, vcc
	flat_store_dword v[8:9], v7
.LBB146_235:
	s_or_b64 exec, exec, s[0:1]
	v_or_b32_e32 v1, 0x1500, v0
	v_cmp_gt_u32_e32 vcc, s33, v1
	s_and_saveexec_b64 s[0:1], vcc
	s_cbranch_execz .LBB146_237
; %bb.236:
	v_add_co_u32_e32 v4, vcc, 0x5000, v4
	s_nop 1
	v_addc_co_u32_e32 v5, vcc, 0, v5, vcc
	s_waitcnt lgkmcnt(0)
	flat_store_dword v[4:5], v2 offset:1024
.LBB146_237:
	s_or_b64 exec, exec, s[0:1]
	s_waitcnt lgkmcnt(0)
	v_or_b32_e32 v2, 0x1600, v0
	v_mov_b32_e32 v1, v55
	v_cmp_gt_u32_e64 s[0:1], s33, v2
	s_branch .LBB146_240
.LBB146_238:
	s_mov_b64 s[0:1], 0
                                        ; implicit-def: $vgpr3
	s_cbranch_execz .LBB146_240
; %bb.239:
	s_waitcnt lgkmcnt(0)
	v_mul_u32_u24_e32 v1, 0x5c, v0
	s_barrier
	s_movk_i32 s4, 0x5c
	ds_write2_b32 v1, v80, v58 offset1:1
	ds_write2_b32 v1, v59, v60 offset0:2 offset1:3
	ds_write2_b32 v1, v61, v62 offset0:4 offset1:5
	;; [unrolled: 1-line block ×10, first 2 shown]
	ds_write_b32 v1, v79 offset:88
	v_mov_b32_e32 v1, 0
	v_mul_i32_i24_e32 v2, 0xffffffa8, v0
	v_mad_u32_u24 v2, v0, s4, v2
	v_mov_b32_e32 v55, v1
	s_waitcnt lgkmcnt(0)
	s_barrier
	ds_read2st64_b32 v[4:5], v2 offset1:4
	ds_read2st64_b32 v[6:7], v2 offset0:8 offset1:12
	ds_read2st64_b32 v[8:9], v2 offset0:16 offset1:20
	;; [unrolled: 1-line block ×10, first 2 shown]
	ds_read_b32 v3, v2 offset:22528
	v_lshl_add_u64 v[26:27], s[2:3], 0, v[54:55]
	s_movk_i32 s4, 0x1000
	s_waitcnt lgkmcnt(0)
	flat_store_dword v[26:27], v4
	flat_store_dword v[26:27], v5 offset:1024
	flat_store_dword v[26:27], v6 offset:2048
	;; [unrolled: 1-line block ×3, first 2 shown]
	v_add_co_u32_e32 v4, vcc, s4, v26
	s_movk_i32 s4, 0x2000
	s_nop 0
	v_addc_co_u32_e32 v5, vcc, 0, v27, vcc
	flat_store_dword v[4:5], v8
	flat_store_dword v[4:5], v9 offset:1024
	flat_store_dword v[4:5], v10 offset:2048
	;; [unrolled: 1-line block ×3, first 2 shown]
	v_add_co_u32_e32 v4, vcc, s4, v26
	s_movk_i32 s4, 0x3000
	s_nop 0
	v_addc_co_u32_e32 v5, vcc, 0, v27, vcc
	flat_store_dword v[4:5], v12
	flat_store_dword v[4:5], v13 offset:1024
	flat_store_dword v[4:5], v14 offset:2048
	;; [unrolled: 1-line block ×3, first 2 shown]
	v_add_co_u32_e32 v4, vcc, s4, v26
	s_or_b64 s[0:1], s[0:1], exec
	s_nop 0
	v_addc_co_u32_e32 v5, vcc, 0, v27, vcc
	flat_store_dword v[4:5], v16
	flat_store_dword v[4:5], v17 offset:1024
	flat_store_dword v[4:5], v18 offset:2048
	;; [unrolled: 1-line block ×3, first 2 shown]
	v_add_co_u32_e32 v4, vcc, 0x4000, v26
	s_nop 1
	v_addc_co_u32_e32 v5, vcc, 0, v27, vcc
	flat_store_dword v[4:5], v20
	flat_store_dword v[4:5], v21 offset:1024
	flat_store_dword v[4:5], v22 offset:2048
	;; [unrolled: 1-line block ×3, first 2 shown]
	v_add_co_u32_e32 v4, vcc, 0x5000, v26
	s_nop 1
	v_addc_co_u32_e32 v5, vcc, 0, v27, vcc
	flat_store_dword v[4:5], v24
	flat_store_dword v[4:5], v25 offset:1024
.LBB146_240:
	s_and_saveexec_b64 s[4:5], s[0:1]
	s_cbranch_execnz .LBB146_242
; %bb.241:
	s_endpgm
.LBB146_242:
	s_waitcnt lgkmcnt(0)
	v_lshl_add_u64 v[0:1], v[0:1], 2, s[2:3]
	v_add_co_u32_e32 v0, vcc, 0x5000, v0
	s_nop 1
	v_addc_co_u32_e32 v1, vcc, 0, v1, vcc
	flat_store_dword v[0:1], v3 offset:2048
	s_endpgm
.LBB146_243:
	v_lshl_add_u64 v[30:31], s[52:53], 0, v[2:3]
	flat_load_dword v29, v[30:31]
	s_or_b64 exec, exec, s[60:61]
                                        ; implicit-def: $vgpr30
	s_and_saveexec_b64 s[50:51], s[4:5]
	s_cbranch_execz .LBB146_55
.LBB146_244:
	v_mov_b32_e32 v3, 0
	v_lshl_add_u64 v[30:31], s[52:53], 0, v[2:3]
	flat_load_dword v30, v[30:31] offset:1024
	s_or_b64 exec, exec, s[50:51]
                                        ; implicit-def: $vgpr31
	s_and_saveexec_b64 s[4:5], s[6:7]
	s_cbranch_execz .LBB146_56
.LBB146_245:
	v_mov_b32_e32 v3, 0
	v_lshl_add_u64 v[32:33], s[52:53], 0, v[2:3]
	flat_load_dword v31, v[32:33] offset:2048
	s_or_b64 exec, exec, s[4:5]
                                        ; implicit-def: $vgpr3
	s_and_saveexec_b64 s[4:5], s[8:9]
	s_cbranch_execz .LBB146_57
.LBB146_246:
	v_mov_b32_e32 v3, 0
	v_lshl_add_u64 v[32:33], s[52:53], 0, v[2:3]
	flat_load_dword v3, v[32:33] offset:3072
	s_or_b64 exec, exec, s[4:5]
                                        ; implicit-def: $vgpr32
	s_and_saveexec_b64 s[4:5], s[10:11]
	s_cbranch_execz .LBB146_58
.LBB146_247:
	v_lshlrev_b32_e32 v32, 2, v10
	v_mov_b32_e32 v33, 0
	v_lshl_add_u64 v[32:33], s[52:53], 0, v[32:33]
	flat_load_dword v32, v[32:33]
	s_or_b64 exec, exec, s[4:5]
                                        ; implicit-def: $vgpr10
	s_and_saveexec_b64 s[4:5], s[12:13]
	s_cbranch_execz .LBB146_59
.LBB146_248:
	v_lshlrev_b32_e32 v10, 2, v11
	v_mov_b32_e32 v11, 0
	v_lshl_add_u64 v[10:11], s[52:53], 0, v[10:11]
	flat_load_dword v10, v[10:11]
	s_or_b64 exec, exec, s[4:5]
                                        ; implicit-def: $vgpr11
	s_and_saveexec_b64 s[4:5], s[14:15]
	s_cbranch_execz .LBB146_60
.LBB146_249:
	v_lshlrev_b32_e32 v34, 2, v12
	v_mov_b32_e32 v35, 0
	v_lshl_add_u64 v[34:35], s[52:53], 0, v[34:35]
	flat_load_dword v11, v[34:35]
	s_or_b64 exec, exec, s[4:5]
                                        ; implicit-def: $vgpr12
	s_and_saveexec_b64 s[4:5], s[16:17]
	s_cbranch_execz .LBB146_61
.LBB146_250:
	v_lshlrev_b32_e32 v12, 2, v13
	v_mov_b32_e32 v13, 0
	v_lshl_add_u64 v[12:13], s[52:53], 0, v[12:13]
	flat_load_dword v12, v[12:13]
	s_or_b64 exec, exec, s[4:5]
                                        ; implicit-def: $vgpr13
	s_and_saveexec_b64 s[4:5], s[18:19]
	s_cbranch_execz .LBB146_62
.LBB146_251:
	v_lshlrev_b32_e32 v34, 2, v14
	v_mov_b32_e32 v35, 0
	v_lshl_add_u64 v[34:35], s[52:53], 0, v[34:35]
	flat_load_dword v13, v[34:35]
	s_or_b64 exec, exec, s[4:5]
                                        ; implicit-def: $vgpr14
	s_and_saveexec_b64 s[4:5], s[20:21]
	s_cbranch_execz .LBB146_63
.LBB146_252:
	v_lshlrev_b32_e32 v14, 2, v15
	v_mov_b32_e32 v15, 0
	v_lshl_add_u64 v[14:15], s[52:53], 0, v[14:15]
	flat_load_dword v14, v[14:15]
	s_or_b64 exec, exec, s[4:5]
                                        ; implicit-def: $vgpr15
	s_and_saveexec_b64 s[4:5], s[22:23]
	s_cbranch_execz .LBB146_64
.LBB146_253:
	v_lshlrev_b32_e32 v34, 2, v16
	v_mov_b32_e32 v35, 0
	v_lshl_add_u64 v[34:35], s[52:53], 0, v[34:35]
	flat_load_dword v15, v[34:35]
	s_or_b64 exec, exec, s[4:5]
                                        ; implicit-def: $vgpr16
	s_and_saveexec_b64 s[4:5], s[24:25]
	s_cbranch_execz .LBB146_65
.LBB146_254:
	v_lshlrev_b32_e32 v16, 2, v17
	v_mov_b32_e32 v17, 0
	v_lshl_add_u64 v[16:17], s[52:53], 0, v[16:17]
	flat_load_dword v16, v[16:17]
	s_or_b64 exec, exec, s[4:5]
                                        ; implicit-def: $vgpr17
	s_and_saveexec_b64 s[4:5], s[26:27]
	s_cbranch_execz .LBB146_66
.LBB146_255:
	v_lshlrev_b32_e32 v34, 2, v18
	v_mov_b32_e32 v35, 0
	v_lshl_add_u64 v[34:35], s[52:53], 0, v[34:35]
	flat_load_dword v17, v[34:35]
	s_or_b64 exec, exec, s[4:5]
                                        ; implicit-def: $vgpr18
	s_and_saveexec_b64 s[4:5], s[28:29]
	s_cbranch_execz .LBB146_67
.LBB146_256:
	v_lshlrev_b32_e32 v18, 2, v19
	v_mov_b32_e32 v19, 0
	v_lshl_add_u64 v[18:19], s[52:53], 0, v[18:19]
	flat_load_dword v18, v[18:19]
	s_or_b64 exec, exec, s[4:5]
                                        ; implicit-def: $vgpr19
	s_and_saveexec_b64 s[4:5], s[30:31]
	s_cbranch_execz .LBB146_68
.LBB146_257:
	v_lshlrev_b32_e32 v34, 2, v20
	v_mov_b32_e32 v35, 0
	v_lshl_add_u64 v[34:35], s[52:53], 0, v[34:35]
	flat_load_dword v19, v[34:35]
	s_or_b64 exec, exec, s[4:5]
                                        ; implicit-def: $vgpr20
	s_and_saveexec_b64 s[4:5], s[34:35]
	s_cbranch_execz .LBB146_69
.LBB146_258:
	v_lshlrev_b32_e32 v20, 2, v21
	v_mov_b32_e32 v21, 0
	v_lshl_add_u64 v[20:21], s[52:53], 0, v[20:21]
	flat_load_dword v20, v[20:21]
	s_or_b64 exec, exec, s[4:5]
                                        ; implicit-def: $vgpr21
	s_and_saveexec_b64 s[4:5], s[36:37]
	s_cbranch_execz .LBB146_70
.LBB146_259:
	v_lshlrev_b32_e32 v34, 2, v22
	v_mov_b32_e32 v35, 0
	v_lshl_add_u64 v[34:35], s[52:53], 0, v[34:35]
	flat_load_dword v21, v[34:35]
	s_or_b64 exec, exec, s[4:5]
                                        ; implicit-def: $vgpr22
	s_and_saveexec_b64 s[4:5], s[38:39]
	s_cbranch_execz .LBB146_71
.LBB146_260:
	v_lshlrev_b32_e32 v22, 2, v23
	v_mov_b32_e32 v23, 0
	v_lshl_add_u64 v[22:23], s[52:53], 0, v[22:23]
	flat_load_dword v22, v[22:23]
	s_or_b64 exec, exec, s[4:5]
                                        ; implicit-def: $vgpr23
	s_and_saveexec_b64 s[4:5], s[40:41]
	s_cbranch_execz .LBB146_72
.LBB146_261:
	v_lshlrev_b32_e32 v34, 2, v24
	v_mov_b32_e32 v35, 0
	v_lshl_add_u64 v[34:35], s[52:53], 0, v[34:35]
	flat_load_dword v23, v[34:35]
	s_or_b64 exec, exec, s[4:5]
                                        ; implicit-def: $vgpr24
	s_and_saveexec_b64 s[4:5], s[42:43]
	s_cbranch_execz .LBB146_73
.LBB146_262:
	v_lshlrev_b32_e32 v24, 2, v25
	v_mov_b32_e32 v25, 0
	v_lshl_add_u64 v[24:25], s[52:53], 0, v[24:25]
	flat_load_dword v24, v[24:25]
	s_or_b64 exec, exec, s[4:5]
                                        ; implicit-def: $vgpr25
	s_and_saveexec_b64 s[4:5], s[44:45]
	s_cbranch_execz .LBB146_74
.LBB146_263:
	v_lshlrev_b32_e32 v34, 2, v26
	v_mov_b32_e32 v35, 0
	v_lshl_add_u64 v[34:35], s[52:53], 0, v[34:35]
	flat_load_dword v25, v[34:35]
	s_or_b64 exec, exec, s[4:5]
                                        ; implicit-def: $vgpr26
	s_and_saveexec_b64 s[4:5], s[46:47]
	s_cbranch_execz .LBB146_75
.LBB146_264:
	v_lshlrev_b32_e32 v26, 2, v27
	v_mov_b32_e32 v27, 0
	v_lshl_add_u64 v[26:27], s[52:53], 0, v[26:27]
	flat_load_dword v26, v[26:27]
	s_or_b64 exec, exec, s[4:5]
                                        ; implicit-def: $vgpr27
	s_and_saveexec_b64 s[4:5], s[48:49]
	s_cbranch_execnz .LBB146_76
	s_branch .LBB146_77
.LBB146_265:
	v_add_u32_e32 v1, -1, v0
	v_lshrrev_b32_e32 v2, 5, v1
	v_add_lshl_u32 v1, v2, v1, 3
	ds_read_b32 v1, v1
	s_or_b64 exec, exec, s[50:51]
	s_and_saveexec_b64 s[50:51], s[2:3]
	s_cbranch_execz .LBB146_189
.LBB146_266:
	v_and_b32_e32 v3, 0xff, v11
	v_mov_b32_e32 v2, 0
	v_cmp_eq_u64_e64 s[2:3], 0, v[2:3]
	;;#ASMSTART
	;;#ASMEND
	s_waitcnt lgkmcnt(0)
	s_nop 0
	v_cndmask_b32_e64 v1, 0, v1, s[2:3]
	v_add_u32_e32 v10, v1, v10
	v_cndmask_b32_e64 v1, 0, v10, s[4:5]
	v_add_u32_e32 v58, v1, v12
	;; [unrolled: 2-line block ×23, first 2 shown]
	s_or_b64 exec, exec, s[50:51]
	s_and_saveexec_b64 s[2:3], vcc
	s_cbranch_execnz .LBB146_190
	s_branch .LBB146_191
.LBB146_267:
                                        ; implicit-def: $sgpr60_sgpr61
	s_branch .LBB146_50
.LBB146_268:
                                        ; implicit-def: $sgpr4_sgpr5
	s_branch .LBB146_126
	.section	.rodata,"a",@progbits
	.p2align	6, 0x0
	.amdhsa_kernel _ZN7rocprim17ROCPRIM_400000_NS6detail17trampoline_kernelINS0_14default_configENS1_27scan_by_key_config_selectorIiiEEZZNS1_16scan_by_key_implILNS1_25lookback_scan_determinismE0ELb0ES3_N6thrust23THRUST_200600_302600_NS6detail15normal_iteratorINS9_10device_ptrIiEEEESE_SE_iNS9_4plusIvEENS9_8equal_toIvEEiEE10hipError_tPvRmT2_T3_T4_T5_mT6_T7_P12ihipStream_tbENKUlT_T0_E_clISt17integral_constantIbLb1EESY_IbLb0EEEEDaSU_SV_EUlSU_E_NS1_11comp_targetILNS1_3genE5ELNS1_11target_archE942ELNS1_3gpuE9ELNS1_3repE0EEENS1_30default_config_static_selectorELNS0_4arch9wavefront6targetE1EEEvT1_
		.amdhsa_group_segment_fixed_size 25600
		.amdhsa_private_segment_fixed_size 0
		.amdhsa_kernarg_size 112
		.amdhsa_user_sgpr_count 2
		.amdhsa_user_sgpr_dispatch_ptr 0
		.amdhsa_user_sgpr_queue_ptr 0
		.amdhsa_user_sgpr_kernarg_segment_ptr 1
		.amdhsa_user_sgpr_dispatch_id 0
		.amdhsa_user_sgpr_kernarg_preload_length 0
		.amdhsa_user_sgpr_kernarg_preload_offset 0
		.amdhsa_user_sgpr_private_segment_size 0
		.amdhsa_uses_dynamic_stack 0
		.amdhsa_enable_private_segment 0
		.amdhsa_system_sgpr_workgroup_id_x 1
		.amdhsa_system_sgpr_workgroup_id_y 0
		.amdhsa_system_sgpr_workgroup_id_z 0
		.amdhsa_system_sgpr_workgroup_info 0
		.amdhsa_system_vgpr_workitem_id 0
		.amdhsa_next_free_vgpr 81
		.amdhsa_next_free_sgpr 82
		.amdhsa_accum_offset 84
		.amdhsa_reserve_vcc 1
		.amdhsa_float_round_mode_32 0
		.amdhsa_float_round_mode_16_64 0
		.amdhsa_float_denorm_mode_32 3
		.amdhsa_float_denorm_mode_16_64 3
		.amdhsa_dx10_clamp 1
		.amdhsa_ieee_mode 1
		.amdhsa_fp16_overflow 0
		.amdhsa_tg_split 0
		.amdhsa_exception_fp_ieee_invalid_op 0
		.amdhsa_exception_fp_denorm_src 0
		.amdhsa_exception_fp_ieee_div_zero 0
		.amdhsa_exception_fp_ieee_overflow 0
		.amdhsa_exception_fp_ieee_underflow 0
		.amdhsa_exception_fp_ieee_inexact 0
		.amdhsa_exception_int_div_zero 0
	.end_amdhsa_kernel
	.section	.text._ZN7rocprim17ROCPRIM_400000_NS6detail17trampoline_kernelINS0_14default_configENS1_27scan_by_key_config_selectorIiiEEZZNS1_16scan_by_key_implILNS1_25lookback_scan_determinismE0ELb0ES3_N6thrust23THRUST_200600_302600_NS6detail15normal_iteratorINS9_10device_ptrIiEEEESE_SE_iNS9_4plusIvEENS9_8equal_toIvEEiEE10hipError_tPvRmT2_T3_T4_T5_mT6_T7_P12ihipStream_tbENKUlT_T0_E_clISt17integral_constantIbLb1EESY_IbLb0EEEEDaSU_SV_EUlSU_E_NS1_11comp_targetILNS1_3genE5ELNS1_11target_archE942ELNS1_3gpuE9ELNS1_3repE0EEENS1_30default_config_static_selectorELNS0_4arch9wavefront6targetE1EEEvT1_,"axG",@progbits,_ZN7rocprim17ROCPRIM_400000_NS6detail17trampoline_kernelINS0_14default_configENS1_27scan_by_key_config_selectorIiiEEZZNS1_16scan_by_key_implILNS1_25lookback_scan_determinismE0ELb0ES3_N6thrust23THRUST_200600_302600_NS6detail15normal_iteratorINS9_10device_ptrIiEEEESE_SE_iNS9_4plusIvEENS9_8equal_toIvEEiEE10hipError_tPvRmT2_T3_T4_T5_mT6_T7_P12ihipStream_tbENKUlT_T0_E_clISt17integral_constantIbLb1EESY_IbLb0EEEEDaSU_SV_EUlSU_E_NS1_11comp_targetILNS1_3genE5ELNS1_11target_archE942ELNS1_3gpuE9ELNS1_3repE0EEENS1_30default_config_static_selectorELNS0_4arch9wavefront6targetE1EEEvT1_,comdat
.Lfunc_end146:
	.size	_ZN7rocprim17ROCPRIM_400000_NS6detail17trampoline_kernelINS0_14default_configENS1_27scan_by_key_config_selectorIiiEEZZNS1_16scan_by_key_implILNS1_25lookback_scan_determinismE0ELb0ES3_N6thrust23THRUST_200600_302600_NS6detail15normal_iteratorINS9_10device_ptrIiEEEESE_SE_iNS9_4plusIvEENS9_8equal_toIvEEiEE10hipError_tPvRmT2_T3_T4_T5_mT6_T7_P12ihipStream_tbENKUlT_T0_E_clISt17integral_constantIbLb1EESY_IbLb0EEEEDaSU_SV_EUlSU_E_NS1_11comp_targetILNS1_3genE5ELNS1_11target_archE942ELNS1_3gpuE9ELNS1_3repE0EEENS1_30default_config_static_selectorELNS0_4arch9wavefront6targetE1EEEvT1_, .Lfunc_end146-_ZN7rocprim17ROCPRIM_400000_NS6detail17trampoline_kernelINS0_14default_configENS1_27scan_by_key_config_selectorIiiEEZZNS1_16scan_by_key_implILNS1_25lookback_scan_determinismE0ELb0ES3_N6thrust23THRUST_200600_302600_NS6detail15normal_iteratorINS9_10device_ptrIiEEEESE_SE_iNS9_4plusIvEENS9_8equal_toIvEEiEE10hipError_tPvRmT2_T3_T4_T5_mT6_T7_P12ihipStream_tbENKUlT_T0_E_clISt17integral_constantIbLb1EESY_IbLb0EEEEDaSU_SV_EUlSU_E_NS1_11comp_targetILNS1_3genE5ELNS1_11target_archE942ELNS1_3gpuE9ELNS1_3repE0EEENS1_30default_config_static_selectorELNS0_4arch9wavefront6targetE1EEEvT1_
                                        ; -- End function
	.section	.AMDGPU.csdata,"",@progbits
; Kernel info:
; codeLenInByte = 15588
; NumSgprs: 88
; NumVgprs: 81
; NumAgprs: 0
; TotalNumVgprs: 81
; ScratchSize: 0
; MemoryBound: 0
; FloatMode: 240
; IeeeMode: 1
; LDSByteSize: 25600 bytes/workgroup (compile time only)
; SGPRBlocks: 10
; VGPRBlocks: 10
; NumSGPRsForWavesPerEU: 88
; NumVGPRsForWavesPerEU: 81
; AccumOffset: 84
; Occupancy: 2
; WaveLimiterHint : 1
; COMPUTE_PGM_RSRC2:SCRATCH_EN: 0
; COMPUTE_PGM_RSRC2:USER_SGPR: 2
; COMPUTE_PGM_RSRC2:TRAP_HANDLER: 0
; COMPUTE_PGM_RSRC2:TGID_X_EN: 1
; COMPUTE_PGM_RSRC2:TGID_Y_EN: 0
; COMPUTE_PGM_RSRC2:TGID_Z_EN: 0
; COMPUTE_PGM_RSRC2:TIDIG_COMP_CNT: 0
; COMPUTE_PGM_RSRC3_GFX90A:ACCUM_OFFSET: 20
; COMPUTE_PGM_RSRC3_GFX90A:TG_SPLIT: 0
	.section	.text._ZN7rocprim17ROCPRIM_400000_NS6detail17trampoline_kernelINS0_14default_configENS1_27scan_by_key_config_selectorIiiEEZZNS1_16scan_by_key_implILNS1_25lookback_scan_determinismE0ELb0ES3_N6thrust23THRUST_200600_302600_NS6detail15normal_iteratorINS9_10device_ptrIiEEEESE_SE_iNS9_4plusIvEENS9_8equal_toIvEEiEE10hipError_tPvRmT2_T3_T4_T5_mT6_T7_P12ihipStream_tbENKUlT_T0_E_clISt17integral_constantIbLb1EESY_IbLb0EEEEDaSU_SV_EUlSU_E_NS1_11comp_targetILNS1_3genE4ELNS1_11target_archE910ELNS1_3gpuE8ELNS1_3repE0EEENS1_30default_config_static_selectorELNS0_4arch9wavefront6targetE1EEEvT1_,"axG",@progbits,_ZN7rocprim17ROCPRIM_400000_NS6detail17trampoline_kernelINS0_14default_configENS1_27scan_by_key_config_selectorIiiEEZZNS1_16scan_by_key_implILNS1_25lookback_scan_determinismE0ELb0ES3_N6thrust23THRUST_200600_302600_NS6detail15normal_iteratorINS9_10device_ptrIiEEEESE_SE_iNS9_4plusIvEENS9_8equal_toIvEEiEE10hipError_tPvRmT2_T3_T4_T5_mT6_T7_P12ihipStream_tbENKUlT_T0_E_clISt17integral_constantIbLb1EESY_IbLb0EEEEDaSU_SV_EUlSU_E_NS1_11comp_targetILNS1_3genE4ELNS1_11target_archE910ELNS1_3gpuE8ELNS1_3repE0EEENS1_30default_config_static_selectorELNS0_4arch9wavefront6targetE1EEEvT1_,comdat
	.protected	_ZN7rocprim17ROCPRIM_400000_NS6detail17trampoline_kernelINS0_14default_configENS1_27scan_by_key_config_selectorIiiEEZZNS1_16scan_by_key_implILNS1_25lookback_scan_determinismE0ELb0ES3_N6thrust23THRUST_200600_302600_NS6detail15normal_iteratorINS9_10device_ptrIiEEEESE_SE_iNS9_4plusIvEENS9_8equal_toIvEEiEE10hipError_tPvRmT2_T3_T4_T5_mT6_T7_P12ihipStream_tbENKUlT_T0_E_clISt17integral_constantIbLb1EESY_IbLb0EEEEDaSU_SV_EUlSU_E_NS1_11comp_targetILNS1_3genE4ELNS1_11target_archE910ELNS1_3gpuE8ELNS1_3repE0EEENS1_30default_config_static_selectorELNS0_4arch9wavefront6targetE1EEEvT1_ ; -- Begin function _ZN7rocprim17ROCPRIM_400000_NS6detail17trampoline_kernelINS0_14default_configENS1_27scan_by_key_config_selectorIiiEEZZNS1_16scan_by_key_implILNS1_25lookback_scan_determinismE0ELb0ES3_N6thrust23THRUST_200600_302600_NS6detail15normal_iteratorINS9_10device_ptrIiEEEESE_SE_iNS9_4plusIvEENS9_8equal_toIvEEiEE10hipError_tPvRmT2_T3_T4_T5_mT6_T7_P12ihipStream_tbENKUlT_T0_E_clISt17integral_constantIbLb1EESY_IbLb0EEEEDaSU_SV_EUlSU_E_NS1_11comp_targetILNS1_3genE4ELNS1_11target_archE910ELNS1_3gpuE8ELNS1_3repE0EEENS1_30default_config_static_selectorELNS0_4arch9wavefront6targetE1EEEvT1_
	.globl	_ZN7rocprim17ROCPRIM_400000_NS6detail17trampoline_kernelINS0_14default_configENS1_27scan_by_key_config_selectorIiiEEZZNS1_16scan_by_key_implILNS1_25lookback_scan_determinismE0ELb0ES3_N6thrust23THRUST_200600_302600_NS6detail15normal_iteratorINS9_10device_ptrIiEEEESE_SE_iNS9_4plusIvEENS9_8equal_toIvEEiEE10hipError_tPvRmT2_T3_T4_T5_mT6_T7_P12ihipStream_tbENKUlT_T0_E_clISt17integral_constantIbLb1EESY_IbLb0EEEEDaSU_SV_EUlSU_E_NS1_11comp_targetILNS1_3genE4ELNS1_11target_archE910ELNS1_3gpuE8ELNS1_3repE0EEENS1_30default_config_static_selectorELNS0_4arch9wavefront6targetE1EEEvT1_
	.p2align	8
	.type	_ZN7rocprim17ROCPRIM_400000_NS6detail17trampoline_kernelINS0_14default_configENS1_27scan_by_key_config_selectorIiiEEZZNS1_16scan_by_key_implILNS1_25lookback_scan_determinismE0ELb0ES3_N6thrust23THRUST_200600_302600_NS6detail15normal_iteratorINS9_10device_ptrIiEEEESE_SE_iNS9_4plusIvEENS9_8equal_toIvEEiEE10hipError_tPvRmT2_T3_T4_T5_mT6_T7_P12ihipStream_tbENKUlT_T0_E_clISt17integral_constantIbLb1EESY_IbLb0EEEEDaSU_SV_EUlSU_E_NS1_11comp_targetILNS1_3genE4ELNS1_11target_archE910ELNS1_3gpuE8ELNS1_3repE0EEENS1_30default_config_static_selectorELNS0_4arch9wavefront6targetE1EEEvT1_,@function
_ZN7rocprim17ROCPRIM_400000_NS6detail17trampoline_kernelINS0_14default_configENS1_27scan_by_key_config_selectorIiiEEZZNS1_16scan_by_key_implILNS1_25lookback_scan_determinismE0ELb0ES3_N6thrust23THRUST_200600_302600_NS6detail15normal_iteratorINS9_10device_ptrIiEEEESE_SE_iNS9_4plusIvEENS9_8equal_toIvEEiEE10hipError_tPvRmT2_T3_T4_T5_mT6_T7_P12ihipStream_tbENKUlT_T0_E_clISt17integral_constantIbLb1EESY_IbLb0EEEEDaSU_SV_EUlSU_E_NS1_11comp_targetILNS1_3genE4ELNS1_11target_archE910ELNS1_3gpuE8ELNS1_3repE0EEENS1_30default_config_static_selectorELNS0_4arch9wavefront6targetE1EEEvT1_: ; @_ZN7rocprim17ROCPRIM_400000_NS6detail17trampoline_kernelINS0_14default_configENS1_27scan_by_key_config_selectorIiiEEZZNS1_16scan_by_key_implILNS1_25lookback_scan_determinismE0ELb0ES3_N6thrust23THRUST_200600_302600_NS6detail15normal_iteratorINS9_10device_ptrIiEEEESE_SE_iNS9_4plusIvEENS9_8equal_toIvEEiEE10hipError_tPvRmT2_T3_T4_T5_mT6_T7_P12ihipStream_tbENKUlT_T0_E_clISt17integral_constantIbLb1EESY_IbLb0EEEEDaSU_SV_EUlSU_E_NS1_11comp_targetILNS1_3genE4ELNS1_11target_archE910ELNS1_3gpuE8ELNS1_3repE0EEENS1_30default_config_static_selectorELNS0_4arch9wavefront6targetE1EEEvT1_
; %bb.0:
	.section	.rodata,"a",@progbits
	.p2align	6, 0x0
	.amdhsa_kernel _ZN7rocprim17ROCPRIM_400000_NS6detail17trampoline_kernelINS0_14default_configENS1_27scan_by_key_config_selectorIiiEEZZNS1_16scan_by_key_implILNS1_25lookback_scan_determinismE0ELb0ES3_N6thrust23THRUST_200600_302600_NS6detail15normal_iteratorINS9_10device_ptrIiEEEESE_SE_iNS9_4plusIvEENS9_8equal_toIvEEiEE10hipError_tPvRmT2_T3_T4_T5_mT6_T7_P12ihipStream_tbENKUlT_T0_E_clISt17integral_constantIbLb1EESY_IbLb0EEEEDaSU_SV_EUlSU_E_NS1_11comp_targetILNS1_3genE4ELNS1_11target_archE910ELNS1_3gpuE8ELNS1_3repE0EEENS1_30default_config_static_selectorELNS0_4arch9wavefront6targetE1EEEvT1_
		.amdhsa_group_segment_fixed_size 0
		.amdhsa_private_segment_fixed_size 0
		.amdhsa_kernarg_size 112
		.amdhsa_user_sgpr_count 2
		.amdhsa_user_sgpr_dispatch_ptr 0
		.amdhsa_user_sgpr_queue_ptr 0
		.amdhsa_user_sgpr_kernarg_segment_ptr 1
		.amdhsa_user_sgpr_dispatch_id 0
		.amdhsa_user_sgpr_kernarg_preload_length 0
		.amdhsa_user_sgpr_kernarg_preload_offset 0
		.amdhsa_user_sgpr_private_segment_size 0
		.amdhsa_uses_dynamic_stack 0
		.amdhsa_enable_private_segment 0
		.amdhsa_system_sgpr_workgroup_id_x 1
		.amdhsa_system_sgpr_workgroup_id_y 0
		.amdhsa_system_sgpr_workgroup_id_z 0
		.amdhsa_system_sgpr_workgroup_info 0
		.amdhsa_system_vgpr_workitem_id 0
		.amdhsa_next_free_vgpr 1
		.amdhsa_next_free_sgpr 0
		.amdhsa_accum_offset 4
		.amdhsa_reserve_vcc 0
		.amdhsa_float_round_mode_32 0
		.amdhsa_float_round_mode_16_64 0
		.amdhsa_float_denorm_mode_32 3
		.amdhsa_float_denorm_mode_16_64 3
		.amdhsa_dx10_clamp 1
		.amdhsa_ieee_mode 1
		.amdhsa_fp16_overflow 0
		.amdhsa_tg_split 0
		.amdhsa_exception_fp_ieee_invalid_op 0
		.amdhsa_exception_fp_denorm_src 0
		.amdhsa_exception_fp_ieee_div_zero 0
		.amdhsa_exception_fp_ieee_overflow 0
		.amdhsa_exception_fp_ieee_underflow 0
		.amdhsa_exception_fp_ieee_inexact 0
		.amdhsa_exception_int_div_zero 0
	.end_amdhsa_kernel
	.section	.text._ZN7rocprim17ROCPRIM_400000_NS6detail17trampoline_kernelINS0_14default_configENS1_27scan_by_key_config_selectorIiiEEZZNS1_16scan_by_key_implILNS1_25lookback_scan_determinismE0ELb0ES3_N6thrust23THRUST_200600_302600_NS6detail15normal_iteratorINS9_10device_ptrIiEEEESE_SE_iNS9_4plusIvEENS9_8equal_toIvEEiEE10hipError_tPvRmT2_T3_T4_T5_mT6_T7_P12ihipStream_tbENKUlT_T0_E_clISt17integral_constantIbLb1EESY_IbLb0EEEEDaSU_SV_EUlSU_E_NS1_11comp_targetILNS1_3genE4ELNS1_11target_archE910ELNS1_3gpuE8ELNS1_3repE0EEENS1_30default_config_static_selectorELNS0_4arch9wavefront6targetE1EEEvT1_,"axG",@progbits,_ZN7rocprim17ROCPRIM_400000_NS6detail17trampoline_kernelINS0_14default_configENS1_27scan_by_key_config_selectorIiiEEZZNS1_16scan_by_key_implILNS1_25lookback_scan_determinismE0ELb0ES3_N6thrust23THRUST_200600_302600_NS6detail15normal_iteratorINS9_10device_ptrIiEEEESE_SE_iNS9_4plusIvEENS9_8equal_toIvEEiEE10hipError_tPvRmT2_T3_T4_T5_mT6_T7_P12ihipStream_tbENKUlT_T0_E_clISt17integral_constantIbLb1EESY_IbLb0EEEEDaSU_SV_EUlSU_E_NS1_11comp_targetILNS1_3genE4ELNS1_11target_archE910ELNS1_3gpuE8ELNS1_3repE0EEENS1_30default_config_static_selectorELNS0_4arch9wavefront6targetE1EEEvT1_,comdat
.Lfunc_end147:
	.size	_ZN7rocprim17ROCPRIM_400000_NS6detail17trampoline_kernelINS0_14default_configENS1_27scan_by_key_config_selectorIiiEEZZNS1_16scan_by_key_implILNS1_25lookback_scan_determinismE0ELb0ES3_N6thrust23THRUST_200600_302600_NS6detail15normal_iteratorINS9_10device_ptrIiEEEESE_SE_iNS9_4plusIvEENS9_8equal_toIvEEiEE10hipError_tPvRmT2_T3_T4_T5_mT6_T7_P12ihipStream_tbENKUlT_T0_E_clISt17integral_constantIbLb1EESY_IbLb0EEEEDaSU_SV_EUlSU_E_NS1_11comp_targetILNS1_3genE4ELNS1_11target_archE910ELNS1_3gpuE8ELNS1_3repE0EEENS1_30default_config_static_selectorELNS0_4arch9wavefront6targetE1EEEvT1_, .Lfunc_end147-_ZN7rocprim17ROCPRIM_400000_NS6detail17trampoline_kernelINS0_14default_configENS1_27scan_by_key_config_selectorIiiEEZZNS1_16scan_by_key_implILNS1_25lookback_scan_determinismE0ELb0ES3_N6thrust23THRUST_200600_302600_NS6detail15normal_iteratorINS9_10device_ptrIiEEEESE_SE_iNS9_4plusIvEENS9_8equal_toIvEEiEE10hipError_tPvRmT2_T3_T4_T5_mT6_T7_P12ihipStream_tbENKUlT_T0_E_clISt17integral_constantIbLb1EESY_IbLb0EEEEDaSU_SV_EUlSU_E_NS1_11comp_targetILNS1_3genE4ELNS1_11target_archE910ELNS1_3gpuE8ELNS1_3repE0EEENS1_30default_config_static_selectorELNS0_4arch9wavefront6targetE1EEEvT1_
                                        ; -- End function
	.section	.AMDGPU.csdata,"",@progbits
; Kernel info:
; codeLenInByte = 0
; NumSgprs: 6
; NumVgprs: 0
; NumAgprs: 0
; TotalNumVgprs: 0
; ScratchSize: 0
; MemoryBound: 0
; FloatMode: 240
; IeeeMode: 1
; LDSByteSize: 0 bytes/workgroup (compile time only)
; SGPRBlocks: 0
; VGPRBlocks: 0
; NumSGPRsForWavesPerEU: 6
; NumVGPRsForWavesPerEU: 1
; AccumOffset: 4
; Occupancy: 8
; WaveLimiterHint : 0
; COMPUTE_PGM_RSRC2:SCRATCH_EN: 0
; COMPUTE_PGM_RSRC2:USER_SGPR: 2
; COMPUTE_PGM_RSRC2:TRAP_HANDLER: 0
; COMPUTE_PGM_RSRC2:TGID_X_EN: 1
; COMPUTE_PGM_RSRC2:TGID_Y_EN: 0
; COMPUTE_PGM_RSRC2:TGID_Z_EN: 0
; COMPUTE_PGM_RSRC2:TIDIG_COMP_CNT: 0
; COMPUTE_PGM_RSRC3_GFX90A:ACCUM_OFFSET: 0
; COMPUTE_PGM_RSRC3_GFX90A:TG_SPLIT: 0
	.section	.text._ZN7rocprim17ROCPRIM_400000_NS6detail17trampoline_kernelINS0_14default_configENS1_27scan_by_key_config_selectorIiiEEZZNS1_16scan_by_key_implILNS1_25lookback_scan_determinismE0ELb0ES3_N6thrust23THRUST_200600_302600_NS6detail15normal_iteratorINS9_10device_ptrIiEEEESE_SE_iNS9_4plusIvEENS9_8equal_toIvEEiEE10hipError_tPvRmT2_T3_T4_T5_mT6_T7_P12ihipStream_tbENKUlT_T0_E_clISt17integral_constantIbLb1EESY_IbLb0EEEEDaSU_SV_EUlSU_E_NS1_11comp_targetILNS1_3genE3ELNS1_11target_archE908ELNS1_3gpuE7ELNS1_3repE0EEENS1_30default_config_static_selectorELNS0_4arch9wavefront6targetE1EEEvT1_,"axG",@progbits,_ZN7rocprim17ROCPRIM_400000_NS6detail17trampoline_kernelINS0_14default_configENS1_27scan_by_key_config_selectorIiiEEZZNS1_16scan_by_key_implILNS1_25lookback_scan_determinismE0ELb0ES3_N6thrust23THRUST_200600_302600_NS6detail15normal_iteratorINS9_10device_ptrIiEEEESE_SE_iNS9_4plusIvEENS9_8equal_toIvEEiEE10hipError_tPvRmT2_T3_T4_T5_mT6_T7_P12ihipStream_tbENKUlT_T0_E_clISt17integral_constantIbLb1EESY_IbLb0EEEEDaSU_SV_EUlSU_E_NS1_11comp_targetILNS1_3genE3ELNS1_11target_archE908ELNS1_3gpuE7ELNS1_3repE0EEENS1_30default_config_static_selectorELNS0_4arch9wavefront6targetE1EEEvT1_,comdat
	.protected	_ZN7rocprim17ROCPRIM_400000_NS6detail17trampoline_kernelINS0_14default_configENS1_27scan_by_key_config_selectorIiiEEZZNS1_16scan_by_key_implILNS1_25lookback_scan_determinismE0ELb0ES3_N6thrust23THRUST_200600_302600_NS6detail15normal_iteratorINS9_10device_ptrIiEEEESE_SE_iNS9_4plusIvEENS9_8equal_toIvEEiEE10hipError_tPvRmT2_T3_T4_T5_mT6_T7_P12ihipStream_tbENKUlT_T0_E_clISt17integral_constantIbLb1EESY_IbLb0EEEEDaSU_SV_EUlSU_E_NS1_11comp_targetILNS1_3genE3ELNS1_11target_archE908ELNS1_3gpuE7ELNS1_3repE0EEENS1_30default_config_static_selectorELNS0_4arch9wavefront6targetE1EEEvT1_ ; -- Begin function _ZN7rocprim17ROCPRIM_400000_NS6detail17trampoline_kernelINS0_14default_configENS1_27scan_by_key_config_selectorIiiEEZZNS1_16scan_by_key_implILNS1_25lookback_scan_determinismE0ELb0ES3_N6thrust23THRUST_200600_302600_NS6detail15normal_iteratorINS9_10device_ptrIiEEEESE_SE_iNS9_4plusIvEENS9_8equal_toIvEEiEE10hipError_tPvRmT2_T3_T4_T5_mT6_T7_P12ihipStream_tbENKUlT_T0_E_clISt17integral_constantIbLb1EESY_IbLb0EEEEDaSU_SV_EUlSU_E_NS1_11comp_targetILNS1_3genE3ELNS1_11target_archE908ELNS1_3gpuE7ELNS1_3repE0EEENS1_30default_config_static_selectorELNS0_4arch9wavefront6targetE1EEEvT1_
	.globl	_ZN7rocprim17ROCPRIM_400000_NS6detail17trampoline_kernelINS0_14default_configENS1_27scan_by_key_config_selectorIiiEEZZNS1_16scan_by_key_implILNS1_25lookback_scan_determinismE0ELb0ES3_N6thrust23THRUST_200600_302600_NS6detail15normal_iteratorINS9_10device_ptrIiEEEESE_SE_iNS9_4plusIvEENS9_8equal_toIvEEiEE10hipError_tPvRmT2_T3_T4_T5_mT6_T7_P12ihipStream_tbENKUlT_T0_E_clISt17integral_constantIbLb1EESY_IbLb0EEEEDaSU_SV_EUlSU_E_NS1_11comp_targetILNS1_3genE3ELNS1_11target_archE908ELNS1_3gpuE7ELNS1_3repE0EEENS1_30default_config_static_selectorELNS0_4arch9wavefront6targetE1EEEvT1_
	.p2align	8
	.type	_ZN7rocprim17ROCPRIM_400000_NS6detail17trampoline_kernelINS0_14default_configENS1_27scan_by_key_config_selectorIiiEEZZNS1_16scan_by_key_implILNS1_25lookback_scan_determinismE0ELb0ES3_N6thrust23THRUST_200600_302600_NS6detail15normal_iteratorINS9_10device_ptrIiEEEESE_SE_iNS9_4plusIvEENS9_8equal_toIvEEiEE10hipError_tPvRmT2_T3_T4_T5_mT6_T7_P12ihipStream_tbENKUlT_T0_E_clISt17integral_constantIbLb1EESY_IbLb0EEEEDaSU_SV_EUlSU_E_NS1_11comp_targetILNS1_3genE3ELNS1_11target_archE908ELNS1_3gpuE7ELNS1_3repE0EEENS1_30default_config_static_selectorELNS0_4arch9wavefront6targetE1EEEvT1_,@function
_ZN7rocprim17ROCPRIM_400000_NS6detail17trampoline_kernelINS0_14default_configENS1_27scan_by_key_config_selectorIiiEEZZNS1_16scan_by_key_implILNS1_25lookback_scan_determinismE0ELb0ES3_N6thrust23THRUST_200600_302600_NS6detail15normal_iteratorINS9_10device_ptrIiEEEESE_SE_iNS9_4plusIvEENS9_8equal_toIvEEiEE10hipError_tPvRmT2_T3_T4_T5_mT6_T7_P12ihipStream_tbENKUlT_T0_E_clISt17integral_constantIbLb1EESY_IbLb0EEEEDaSU_SV_EUlSU_E_NS1_11comp_targetILNS1_3genE3ELNS1_11target_archE908ELNS1_3gpuE7ELNS1_3repE0EEENS1_30default_config_static_selectorELNS0_4arch9wavefront6targetE1EEEvT1_: ; @_ZN7rocprim17ROCPRIM_400000_NS6detail17trampoline_kernelINS0_14default_configENS1_27scan_by_key_config_selectorIiiEEZZNS1_16scan_by_key_implILNS1_25lookback_scan_determinismE0ELb0ES3_N6thrust23THRUST_200600_302600_NS6detail15normal_iteratorINS9_10device_ptrIiEEEESE_SE_iNS9_4plusIvEENS9_8equal_toIvEEiEE10hipError_tPvRmT2_T3_T4_T5_mT6_T7_P12ihipStream_tbENKUlT_T0_E_clISt17integral_constantIbLb1EESY_IbLb0EEEEDaSU_SV_EUlSU_E_NS1_11comp_targetILNS1_3genE3ELNS1_11target_archE908ELNS1_3gpuE7ELNS1_3repE0EEENS1_30default_config_static_selectorELNS0_4arch9wavefront6targetE1EEEvT1_
; %bb.0:
	.section	.rodata,"a",@progbits
	.p2align	6, 0x0
	.amdhsa_kernel _ZN7rocprim17ROCPRIM_400000_NS6detail17trampoline_kernelINS0_14default_configENS1_27scan_by_key_config_selectorIiiEEZZNS1_16scan_by_key_implILNS1_25lookback_scan_determinismE0ELb0ES3_N6thrust23THRUST_200600_302600_NS6detail15normal_iteratorINS9_10device_ptrIiEEEESE_SE_iNS9_4plusIvEENS9_8equal_toIvEEiEE10hipError_tPvRmT2_T3_T4_T5_mT6_T7_P12ihipStream_tbENKUlT_T0_E_clISt17integral_constantIbLb1EESY_IbLb0EEEEDaSU_SV_EUlSU_E_NS1_11comp_targetILNS1_3genE3ELNS1_11target_archE908ELNS1_3gpuE7ELNS1_3repE0EEENS1_30default_config_static_selectorELNS0_4arch9wavefront6targetE1EEEvT1_
		.amdhsa_group_segment_fixed_size 0
		.amdhsa_private_segment_fixed_size 0
		.amdhsa_kernarg_size 112
		.amdhsa_user_sgpr_count 2
		.amdhsa_user_sgpr_dispatch_ptr 0
		.amdhsa_user_sgpr_queue_ptr 0
		.amdhsa_user_sgpr_kernarg_segment_ptr 1
		.amdhsa_user_sgpr_dispatch_id 0
		.amdhsa_user_sgpr_kernarg_preload_length 0
		.amdhsa_user_sgpr_kernarg_preload_offset 0
		.amdhsa_user_sgpr_private_segment_size 0
		.amdhsa_uses_dynamic_stack 0
		.amdhsa_enable_private_segment 0
		.amdhsa_system_sgpr_workgroup_id_x 1
		.amdhsa_system_sgpr_workgroup_id_y 0
		.amdhsa_system_sgpr_workgroup_id_z 0
		.amdhsa_system_sgpr_workgroup_info 0
		.amdhsa_system_vgpr_workitem_id 0
		.amdhsa_next_free_vgpr 1
		.amdhsa_next_free_sgpr 0
		.amdhsa_accum_offset 4
		.amdhsa_reserve_vcc 0
		.amdhsa_float_round_mode_32 0
		.amdhsa_float_round_mode_16_64 0
		.amdhsa_float_denorm_mode_32 3
		.amdhsa_float_denorm_mode_16_64 3
		.amdhsa_dx10_clamp 1
		.amdhsa_ieee_mode 1
		.amdhsa_fp16_overflow 0
		.amdhsa_tg_split 0
		.amdhsa_exception_fp_ieee_invalid_op 0
		.amdhsa_exception_fp_denorm_src 0
		.amdhsa_exception_fp_ieee_div_zero 0
		.amdhsa_exception_fp_ieee_overflow 0
		.amdhsa_exception_fp_ieee_underflow 0
		.amdhsa_exception_fp_ieee_inexact 0
		.amdhsa_exception_int_div_zero 0
	.end_amdhsa_kernel
	.section	.text._ZN7rocprim17ROCPRIM_400000_NS6detail17trampoline_kernelINS0_14default_configENS1_27scan_by_key_config_selectorIiiEEZZNS1_16scan_by_key_implILNS1_25lookback_scan_determinismE0ELb0ES3_N6thrust23THRUST_200600_302600_NS6detail15normal_iteratorINS9_10device_ptrIiEEEESE_SE_iNS9_4plusIvEENS9_8equal_toIvEEiEE10hipError_tPvRmT2_T3_T4_T5_mT6_T7_P12ihipStream_tbENKUlT_T0_E_clISt17integral_constantIbLb1EESY_IbLb0EEEEDaSU_SV_EUlSU_E_NS1_11comp_targetILNS1_3genE3ELNS1_11target_archE908ELNS1_3gpuE7ELNS1_3repE0EEENS1_30default_config_static_selectorELNS0_4arch9wavefront6targetE1EEEvT1_,"axG",@progbits,_ZN7rocprim17ROCPRIM_400000_NS6detail17trampoline_kernelINS0_14default_configENS1_27scan_by_key_config_selectorIiiEEZZNS1_16scan_by_key_implILNS1_25lookback_scan_determinismE0ELb0ES3_N6thrust23THRUST_200600_302600_NS6detail15normal_iteratorINS9_10device_ptrIiEEEESE_SE_iNS9_4plusIvEENS9_8equal_toIvEEiEE10hipError_tPvRmT2_T3_T4_T5_mT6_T7_P12ihipStream_tbENKUlT_T0_E_clISt17integral_constantIbLb1EESY_IbLb0EEEEDaSU_SV_EUlSU_E_NS1_11comp_targetILNS1_3genE3ELNS1_11target_archE908ELNS1_3gpuE7ELNS1_3repE0EEENS1_30default_config_static_selectorELNS0_4arch9wavefront6targetE1EEEvT1_,comdat
.Lfunc_end148:
	.size	_ZN7rocprim17ROCPRIM_400000_NS6detail17trampoline_kernelINS0_14default_configENS1_27scan_by_key_config_selectorIiiEEZZNS1_16scan_by_key_implILNS1_25lookback_scan_determinismE0ELb0ES3_N6thrust23THRUST_200600_302600_NS6detail15normal_iteratorINS9_10device_ptrIiEEEESE_SE_iNS9_4plusIvEENS9_8equal_toIvEEiEE10hipError_tPvRmT2_T3_T4_T5_mT6_T7_P12ihipStream_tbENKUlT_T0_E_clISt17integral_constantIbLb1EESY_IbLb0EEEEDaSU_SV_EUlSU_E_NS1_11comp_targetILNS1_3genE3ELNS1_11target_archE908ELNS1_3gpuE7ELNS1_3repE0EEENS1_30default_config_static_selectorELNS0_4arch9wavefront6targetE1EEEvT1_, .Lfunc_end148-_ZN7rocprim17ROCPRIM_400000_NS6detail17trampoline_kernelINS0_14default_configENS1_27scan_by_key_config_selectorIiiEEZZNS1_16scan_by_key_implILNS1_25lookback_scan_determinismE0ELb0ES3_N6thrust23THRUST_200600_302600_NS6detail15normal_iteratorINS9_10device_ptrIiEEEESE_SE_iNS9_4plusIvEENS9_8equal_toIvEEiEE10hipError_tPvRmT2_T3_T4_T5_mT6_T7_P12ihipStream_tbENKUlT_T0_E_clISt17integral_constantIbLb1EESY_IbLb0EEEEDaSU_SV_EUlSU_E_NS1_11comp_targetILNS1_3genE3ELNS1_11target_archE908ELNS1_3gpuE7ELNS1_3repE0EEENS1_30default_config_static_selectorELNS0_4arch9wavefront6targetE1EEEvT1_
                                        ; -- End function
	.section	.AMDGPU.csdata,"",@progbits
; Kernel info:
; codeLenInByte = 0
; NumSgprs: 6
; NumVgprs: 0
; NumAgprs: 0
; TotalNumVgprs: 0
; ScratchSize: 0
; MemoryBound: 0
; FloatMode: 240
; IeeeMode: 1
; LDSByteSize: 0 bytes/workgroup (compile time only)
; SGPRBlocks: 0
; VGPRBlocks: 0
; NumSGPRsForWavesPerEU: 6
; NumVGPRsForWavesPerEU: 1
; AccumOffset: 4
; Occupancy: 8
; WaveLimiterHint : 0
; COMPUTE_PGM_RSRC2:SCRATCH_EN: 0
; COMPUTE_PGM_RSRC2:USER_SGPR: 2
; COMPUTE_PGM_RSRC2:TRAP_HANDLER: 0
; COMPUTE_PGM_RSRC2:TGID_X_EN: 1
; COMPUTE_PGM_RSRC2:TGID_Y_EN: 0
; COMPUTE_PGM_RSRC2:TGID_Z_EN: 0
; COMPUTE_PGM_RSRC2:TIDIG_COMP_CNT: 0
; COMPUTE_PGM_RSRC3_GFX90A:ACCUM_OFFSET: 0
; COMPUTE_PGM_RSRC3_GFX90A:TG_SPLIT: 0
	.section	.text._ZN7rocprim17ROCPRIM_400000_NS6detail17trampoline_kernelINS0_14default_configENS1_27scan_by_key_config_selectorIiiEEZZNS1_16scan_by_key_implILNS1_25lookback_scan_determinismE0ELb0ES3_N6thrust23THRUST_200600_302600_NS6detail15normal_iteratorINS9_10device_ptrIiEEEESE_SE_iNS9_4plusIvEENS9_8equal_toIvEEiEE10hipError_tPvRmT2_T3_T4_T5_mT6_T7_P12ihipStream_tbENKUlT_T0_E_clISt17integral_constantIbLb1EESY_IbLb0EEEEDaSU_SV_EUlSU_E_NS1_11comp_targetILNS1_3genE2ELNS1_11target_archE906ELNS1_3gpuE6ELNS1_3repE0EEENS1_30default_config_static_selectorELNS0_4arch9wavefront6targetE1EEEvT1_,"axG",@progbits,_ZN7rocprim17ROCPRIM_400000_NS6detail17trampoline_kernelINS0_14default_configENS1_27scan_by_key_config_selectorIiiEEZZNS1_16scan_by_key_implILNS1_25lookback_scan_determinismE0ELb0ES3_N6thrust23THRUST_200600_302600_NS6detail15normal_iteratorINS9_10device_ptrIiEEEESE_SE_iNS9_4plusIvEENS9_8equal_toIvEEiEE10hipError_tPvRmT2_T3_T4_T5_mT6_T7_P12ihipStream_tbENKUlT_T0_E_clISt17integral_constantIbLb1EESY_IbLb0EEEEDaSU_SV_EUlSU_E_NS1_11comp_targetILNS1_3genE2ELNS1_11target_archE906ELNS1_3gpuE6ELNS1_3repE0EEENS1_30default_config_static_selectorELNS0_4arch9wavefront6targetE1EEEvT1_,comdat
	.protected	_ZN7rocprim17ROCPRIM_400000_NS6detail17trampoline_kernelINS0_14default_configENS1_27scan_by_key_config_selectorIiiEEZZNS1_16scan_by_key_implILNS1_25lookback_scan_determinismE0ELb0ES3_N6thrust23THRUST_200600_302600_NS6detail15normal_iteratorINS9_10device_ptrIiEEEESE_SE_iNS9_4plusIvEENS9_8equal_toIvEEiEE10hipError_tPvRmT2_T3_T4_T5_mT6_T7_P12ihipStream_tbENKUlT_T0_E_clISt17integral_constantIbLb1EESY_IbLb0EEEEDaSU_SV_EUlSU_E_NS1_11comp_targetILNS1_3genE2ELNS1_11target_archE906ELNS1_3gpuE6ELNS1_3repE0EEENS1_30default_config_static_selectorELNS0_4arch9wavefront6targetE1EEEvT1_ ; -- Begin function _ZN7rocprim17ROCPRIM_400000_NS6detail17trampoline_kernelINS0_14default_configENS1_27scan_by_key_config_selectorIiiEEZZNS1_16scan_by_key_implILNS1_25lookback_scan_determinismE0ELb0ES3_N6thrust23THRUST_200600_302600_NS6detail15normal_iteratorINS9_10device_ptrIiEEEESE_SE_iNS9_4plusIvEENS9_8equal_toIvEEiEE10hipError_tPvRmT2_T3_T4_T5_mT6_T7_P12ihipStream_tbENKUlT_T0_E_clISt17integral_constantIbLb1EESY_IbLb0EEEEDaSU_SV_EUlSU_E_NS1_11comp_targetILNS1_3genE2ELNS1_11target_archE906ELNS1_3gpuE6ELNS1_3repE0EEENS1_30default_config_static_selectorELNS0_4arch9wavefront6targetE1EEEvT1_
	.globl	_ZN7rocprim17ROCPRIM_400000_NS6detail17trampoline_kernelINS0_14default_configENS1_27scan_by_key_config_selectorIiiEEZZNS1_16scan_by_key_implILNS1_25lookback_scan_determinismE0ELb0ES3_N6thrust23THRUST_200600_302600_NS6detail15normal_iteratorINS9_10device_ptrIiEEEESE_SE_iNS9_4plusIvEENS9_8equal_toIvEEiEE10hipError_tPvRmT2_T3_T4_T5_mT6_T7_P12ihipStream_tbENKUlT_T0_E_clISt17integral_constantIbLb1EESY_IbLb0EEEEDaSU_SV_EUlSU_E_NS1_11comp_targetILNS1_3genE2ELNS1_11target_archE906ELNS1_3gpuE6ELNS1_3repE0EEENS1_30default_config_static_selectorELNS0_4arch9wavefront6targetE1EEEvT1_
	.p2align	8
	.type	_ZN7rocprim17ROCPRIM_400000_NS6detail17trampoline_kernelINS0_14default_configENS1_27scan_by_key_config_selectorIiiEEZZNS1_16scan_by_key_implILNS1_25lookback_scan_determinismE0ELb0ES3_N6thrust23THRUST_200600_302600_NS6detail15normal_iteratorINS9_10device_ptrIiEEEESE_SE_iNS9_4plusIvEENS9_8equal_toIvEEiEE10hipError_tPvRmT2_T3_T4_T5_mT6_T7_P12ihipStream_tbENKUlT_T0_E_clISt17integral_constantIbLb1EESY_IbLb0EEEEDaSU_SV_EUlSU_E_NS1_11comp_targetILNS1_3genE2ELNS1_11target_archE906ELNS1_3gpuE6ELNS1_3repE0EEENS1_30default_config_static_selectorELNS0_4arch9wavefront6targetE1EEEvT1_,@function
_ZN7rocprim17ROCPRIM_400000_NS6detail17trampoline_kernelINS0_14default_configENS1_27scan_by_key_config_selectorIiiEEZZNS1_16scan_by_key_implILNS1_25lookback_scan_determinismE0ELb0ES3_N6thrust23THRUST_200600_302600_NS6detail15normal_iteratorINS9_10device_ptrIiEEEESE_SE_iNS9_4plusIvEENS9_8equal_toIvEEiEE10hipError_tPvRmT2_T3_T4_T5_mT6_T7_P12ihipStream_tbENKUlT_T0_E_clISt17integral_constantIbLb1EESY_IbLb0EEEEDaSU_SV_EUlSU_E_NS1_11comp_targetILNS1_3genE2ELNS1_11target_archE906ELNS1_3gpuE6ELNS1_3repE0EEENS1_30default_config_static_selectorELNS0_4arch9wavefront6targetE1EEEvT1_: ; @_ZN7rocprim17ROCPRIM_400000_NS6detail17trampoline_kernelINS0_14default_configENS1_27scan_by_key_config_selectorIiiEEZZNS1_16scan_by_key_implILNS1_25lookback_scan_determinismE0ELb0ES3_N6thrust23THRUST_200600_302600_NS6detail15normal_iteratorINS9_10device_ptrIiEEEESE_SE_iNS9_4plusIvEENS9_8equal_toIvEEiEE10hipError_tPvRmT2_T3_T4_T5_mT6_T7_P12ihipStream_tbENKUlT_T0_E_clISt17integral_constantIbLb1EESY_IbLb0EEEEDaSU_SV_EUlSU_E_NS1_11comp_targetILNS1_3genE2ELNS1_11target_archE906ELNS1_3gpuE6ELNS1_3repE0EEENS1_30default_config_static_selectorELNS0_4arch9wavefront6targetE1EEEvT1_
; %bb.0:
	.section	.rodata,"a",@progbits
	.p2align	6, 0x0
	.amdhsa_kernel _ZN7rocprim17ROCPRIM_400000_NS6detail17trampoline_kernelINS0_14default_configENS1_27scan_by_key_config_selectorIiiEEZZNS1_16scan_by_key_implILNS1_25lookback_scan_determinismE0ELb0ES3_N6thrust23THRUST_200600_302600_NS6detail15normal_iteratorINS9_10device_ptrIiEEEESE_SE_iNS9_4plusIvEENS9_8equal_toIvEEiEE10hipError_tPvRmT2_T3_T4_T5_mT6_T7_P12ihipStream_tbENKUlT_T0_E_clISt17integral_constantIbLb1EESY_IbLb0EEEEDaSU_SV_EUlSU_E_NS1_11comp_targetILNS1_3genE2ELNS1_11target_archE906ELNS1_3gpuE6ELNS1_3repE0EEENS1_30default_config_static_selectorELNS0_4arch9wavefront6targetE1EEEvT1_
		.amdhsa_group_segment_fixed_size 0
		.amdhsa_private_segment_fixed_size 0
		.amdhsa_kernarg_size 112
		.amdhsa_user_sgpr_count 2
		.amdhsa_user_sgpr_dispatch_ptr 0
		.amdhsa_user_sgpr_queue_ptr 0
		.amdhsa_user_sgpr_kernarg_segment_ptr 1
		.amdhsa_user_sgpr_dispatch_id 0
		.amdhsa_user_sgpr_kernarg_preload_length 0
		.amdhsa_user_sgpr_kernarg_preload_offset 0
		.amdhsa_user_sgpr_private_segment_size 0
		.amdhsa_uses_dynamic_stack 0
		.amdhsa_enable_private_segment 0
		.amdhsa_system_sgpr_workgroup_id_x 1
		.amdhsa_system_sgpr_workgroup_id_y 0
		.amdhsa_system_sgpr_workgroup_id_z 0
		.amdhsa_system_sgpr_workgroup_info 0
		.amdhsa_system_vgpr_workitem_id 0
		.amdhsa_next_free_vgpr 1
		.amdhsa_next_free_sgpr 0
		.amdhsa_accum_offset 4
		.amdhsa_reserve_vcc 0
		.amdhsa_float_round_mode_32 0
		.amdhsa_float_round_mode_16_64 0
		.amdhsa_float_denorm_mode_32 3
		.amdhsa_float_denorm_mode_16_64 3
		.amdhsa_dx10_clamp 1
		.amdhsa_ieee_mode 1
		.amdhsa_fp16_overflow 0
		.amdhsa_tg_split 0
		.amdhsa_exception_fp_ieee_invalid_op 0
		.amdhsa_exception_fp_denorm_src 0
		.amdhsa_exception_fp_ieee_div_zero 0
		.amdhsa_exception_fp_ieee_overflow 0
		.amdhsa_exception_fp_ieee_underflow 0
		.amdhsa_exception_fp_ieee_inexact 0
		.amdhsa_exception_int_div_zero 0
	.end_amdhsa_kernel
	.section	.text._ZN7rocprim17ROCPRIM_400000_NS6detail17trampoline_kernelINS0_14default_configENS1_27scan_by_key_config_selectorIiiEEZZNS1_16scan_by_key_implILNS1_25lookback_scan_determinismE0ELb0ES3_N6thrust23THRUST_200600_302600_NS6detail15normal_iteratorINS9_10device_ptrIiEEEESE_SE_iNS9_4plusIvEENS9_8equal_toIvEEiEE10hipError_tPvRmT2_T3_T4_T5_mT6_T7_P12ihipStream_tbENKUlT_T0_E_clISt17integral_constantIbLb1EESY_IbLb0EEEEDaSU_SV_EUlSU_E_NS1_11comp_targetILNS1_3genE2ELNS1_11target_archE906ELNS1_3gpuE6ELNS1_3repE0EEENS1_30default_config_static_selectorELNS0_4arch9wavefront6targetE1EEEvT1_,"axG",@progbits,_ZN7rocprim17ROCPRIM_400000_NS6detail17trampoline_kernelINS0_14default_configENS1_27scan_by_key_config_selectorIiiEEZZNS1_16scan_by_key_implILNS1_25lookback_scan_determinismE0ELb0ES3_N6thrust23THRUST_200600_302600_NS6detail15normal_iteratorINS9_10device_ptrIiEEEESE_SE_iNS9_4plusIvEENS9_8equal_toIvEEiEE10hipError_tPvRmT2_T3_T4_T5_mT6_T7_P12ihipStream_tbENKUlT_T0_E_clISt17integral_constantIbLb1EESY_IbLb0EEEEDaSU_SV_EUlSU_E_NS1_11comp_targetILNS1_3genE2ELNS1_11target_archE906ELNS1_3gpuE6ELNS1_3repE0EEENS1_30default_config_static_selectorELNS0_4arch9wavefront6targetE1EEEvT1_,comdat
.Lfunc_end149:
	.size	_ZN7rocprim17ROCPRIM_400000_NS6detail17trampoline_kernelINS0_14default_configENS1_27scan_by_key_config_selectorIiiEEZZNS1_16scan_by_key_implILNS1_25lookback_scan_determinismE0ELb0ES3_N6thrust23THRUST_200600_302600_NS6detail15normal_iteratorINS9_10device_ptrIiEEEESE_SE_iNS9_4plusIvEENS9_8equal_toIvEEiEE10hipError_tPvRmT2_T3_T4_T5_mT6_T7_P12ihipStream_tbENKUlT_T0_E_clISt17integral_constantIbLb1EESY_IbLb0EEEEDaSU_SV_EUlSU_E_NS1_11comp_targetILNS1_3genE2ELNS1_11target_archE906ELNS1_3gpuE6ELNS1_3repE0EEENS1_30default_config_static_selectorELNS0_4arch9wavefront6targetE1EEEvT1_, .Lfunc_end149-_ZN7rocprim17ROCPRIM_400000_NS6detail17trampoline_kernelINS0_14default_configENS1_27scan_by_key_config_selectorIiiEEZZNS1_16scan_by_key_implILNS1_25lookback_scan_determinismE0ELb0ES3_N6thrust23THRUST_200600_302600_NS6detail15normal_iteratorINS9_10device_ptrIiEEEESE_SE_iNS9_4plusIvEENS9_8equal_toIvEEiEE10hipError_tPvRmT2_T3_T4_T5_mT6_T7_P12ihipStream_tbENKUlT_T0_E_clISt17integral_constantIbLb1EESY_IbLb0EEEEDaSU_SV_EUlSU_E_NS1_11comp_targetILNS1_3genE2ELNS1_11target_archE906ELNS1_3gpuE6ELNS1_3repE0EEENS1_30default_config_static_selectorELNS0_4arch9wavefront6targetE1EEEvT1_
                                        ; -- End function
	.section	.AMDGPU.csdata,"",@progbits
; Kernel info:
; codeLenInByte = 0
; NumSgprs: 6
; NumVgprs: 0
; NumAgprs: 0
; TotalNumVgprs: 0
; ScratchSize: 0
; MemoryBound: 0
; FloatMode: 240
; IeeeMode: 1
; LDSByteSize: 0 bytes/workgroup (compile time only)
; SGPRBlocks: 0
; VGPRBlocks: 0
; NumSGPRsForWavesPerEU: 6
; NumVGPRsForWavesPerEU: 1
; AccumOffset: 4
; Occupancy: 8
; WaveLimiterHint : 0
; COMPUTE_PGM_RSRC2:SCRATCH_EN: 0
; COMPUTE_PGM_RSRC2:USER_SGPR: 2
; COMPUTE_PGM_RSRC2:TRAP_HANDLER: 0
; COMPUTE_PGM_RSRC2:TGID_X_EN: 1
; COMPUTE_PGM_RSRC2:TGID_Y_EN: 0
; COMPUTE_PGM_RSRC2:TGID_Z_EN: 0
; COMPUTE_PGM_RSRC2:TIDIG_COMP_CNT: 0
; COMPUTE_PGM_RSRC3_GFX90A:ACCUM_OFFSET: 0
; COMPUTE_PGM_RSRC3_GFX90A:TG_SPLIT: 0
	.section	.text._ZN7rocprim17ROCPRIM_400000_NS6detail17trampoline_kernelINS0_14default_configENS1_27scan_by_key_config_selectorIiiEEZZNS1_16scan_by_key_implILNS1_25lookback_scan_determinismE0ELb0ES3_N6thrust23THRUST_200600_302600_NS6detail15normal_iteratorINS9_10device_ptrIiEEEESE_SE_iNS9_4plusIvEENS9_8equal_toIvEEiEE10hipError_tPvRmT2_T3_T4_T5_mT6_T7_P12ihipStream_tbENKUlT_T0_E_clISt17integral_constantIbLb1EESY_IbLb0EEEEDaSU_SV_EUlSU_E_NS1_11comp_targetILNS1_3genE10ELNS1_11target_archE1200ELNS1_3gpuE4ELNS1_3repE0EEENS1_30default_config_static_selectorELNS0_4arch9wavefront6targetE1EEEvT1_,"axG",@progbits,_ZN7rocprim17ROCPRIM_400000_NS6detail17trampoline_kernelINS0_14default_configENS1_27scan_by_key_config_selectorIiiEEZZNS1_16scan_by_key_implILNS1_25lookback_scan_determinismE0ELb0ES3_N6thrust23THRUST_200600_302600_NS6detail15normal_iteratorINS9_10device_ptrIiEEEESE_SE_iNS9_4plusIvEENS9_8equal_toIvEEiEE10hipError_tPvRmT2_T3_T4_T5_mT6_T7_P12ihipStream_tbENKUlT_T0_E_clISt17integral_constantIbLb1EESY_IbLb0EEEEDaSU_SV_EUlSU_E_NS1_11comp_targetILNS1_3genE10ELNS1_11target_archE1200ELNS1_3gpuE4ELNS1_3repE0EEENS1_30default_config_static_selectorELNS0_4arch9wavefront6targetE1EEEvT1_,comdat
	.protected	_ZN7rocprim17ROCPRIM_400000_NS6detail17trampoline_kernelINS0_14default_configENS1_27scan_by_key_config_selectorIiiEEZZNS1_16scan_by_key_implILNS1_25lookback_scan_determinismE0ELb0ES3_N6thrust23THRUST_200600_302600_NS6detail15normal_iteratorINS9_10device_ptrIiEEEESE_SE_iNS9_4plusIvEENS9_8equal_toIvEEiEE10hipError_tPvRmT2_T3_T4_T5_mT6_T7_P12ihipStream_tbENKUlT_T0_E_clISt17integral_constantIbLb1EESY_IbLb0EEEEDaSU_SV_EUlSU_E_NS1_11comp_targetILNS1_3genE10ELNS1_11target_archE1200ELNS1_3gpuE4ELNS1_3repE0EEENS1_30default_config_static_selectorELNS0_4arch9wavefront6targetE1EEEvT1_ ; -- Begin function _ZN7rocprim17ROCPRIM_400000_NS6detail17trampoline_kernelINS0_14default_configENS1_27scan_by_key_config_selectorIiiEEZZNS1_16scan_by_key_implILNS1_25lookback_scan_determinismE0ELb0ES3_N6thrust23THRUST_200600_302600_NS6detail15normal_iteratorINS9_10device_ptrIiEEEESE_SE_iNS9_4plusIvEENS9_8equal_toIvEEiEE10hipError_tPvRmT2_T3_T4_T5_mT6_T7_P12ihipStream_tbENKUlT_T0_E_clISt17integral_constantIbLb1EESY_IbLb0EEEEDaSU_SV_EUlSU_E_NS1_11comp_targetILNS1_3genE10ELNS1_11target_archE1200ELNS1_3gpuE4ELNS1_3repE0EEENS1_30default_config_static_selectorELNS0_4arch9wavefront6targetE1EEEvT1_
	.globl	_ZN7rocprim17ROCPRIM_400000_NS6detail17trampoline_kernelINS0_14default_configENS1_27scan_by_key_config_selectorIiiEEZZNS1_16scan_by_key_implILNS1_25lookback_scan_determinismE0ELb0ES3_N6thrust23THRUST_200600_302600_NS6detail15normal_iteratorINS9_10device_ptrIiEEEESE_SE_iNS9_4plusIvEENS9_8equal_toIvEEiEE10hipError_tPvRmT2_T3_T4_T5_mT6_T7_P12ihipStream_tbENKUlT_T0_E_clISt17integral_constantIbLb1EESY_IbLb0EEEEDaSU_SV_EUlSU_E_NS1_11comp_targetILNS1_3genE10ELNS1_11target_archE1200ELNS1_3gpuE4ELNS1_3repE0EEENS1_30default_config_static_selectorELNS0_4arch9wavefront6targetE1EEEvT1_
	.p2align	8
	.type	_ZN7rocprim17ROCPRIM_400000_NS6detail17trampoline_kernelINS0_14default_configENS1_27scan_by_key_config_selectorIiiEEZZNS1_16scan_by_key_implILNS1_25lookback_scan_determinismE0ELb0ES3_N6thrust23THRUST_200600_302600_NS6detail15normal_iteratorINS9_10device_ptrIiEEEESE_SE_iNS9_4plusIvEENS9_8equal_toIvEEiEE10hipError_tPvRmT2_T3_T4_T5_mT6_T7_P12ihipStream_tbENKUlT_T0_E_clISt17integral_constantIbLb1EESY_IbLb0EEEEDaSU_SV_EUlSU_E_NS1_11comp_targetILNS1_3genE10ELNS1_11target_archE1200ELNS1_3gpuE4ELNS1_3repE0EEENS1_30default_config_static_selectorELNS0_4arch9wavefront6targetE1EEEvT1_,@function
_ZN7rocprim17ROCPRIM_400000_NS6detail17trampoline_kernelINS0_14default_configENS1_27scan_by_key_config_selectorIiiEEZZNS1_16scan_by_key_implILNS1_25lookback_scan_determinismE0ELb0ES3_N6thrust23THRUST_200600_302600_NS6detail15normal_iteratorINS9_10device_ptrIiEEEESE_SE_iNS9_4plusIvEENS9_8equal_toIvEEiEE10hipError_tPvRmT2_T3_T4_T5_mT6_T7_P12ihipStream_tbENKUlT_T0_E_clISt17integral_constantIbLb1EESY_IbLb0EEEEDaSU_SV_EUlSU_E_NS1_11comp_targetILNS1_3genE10ELNS1_11target_archE1200ELNS1_3gpuE4ELNS1_3repE0EEENS1_30default_config_static_selectorELNS0_4arch9wavefront6targetE1EEEvT1_: ; @_ZN7rocprim17ROCPRIM_400000_NS6detail17trampoline_kernelINS0_14default_configENS1_27scan_by_key_config_selectorIiiEEZZNS1_16scan_by_key_implILNS1_25lookback_scan_determinismE0ELb0ES3_N6thrust23THRUST_200600_302600_NS6detail15normal_iteratorINS9_10device_ptrIiEEEESE_SE_iNS9_4plusIvEENS9_8equal_toIvEEiEE10hipError_tPvRmT2_T3_T4_T5_mT6_T7_P12ihipStream_tbENKUlT_T0_E_clISt17integral_constantIbLb1EESY_IbLb0EEEEDaSU_SV_EUlSU_E_NS1_11comp_targetILNS1_3genE10ELNS1_11target_archE1200ELNS1_3gpuE4ELNS1_3repE0EEENS1_30default_config_static_selectorELNS0_4arch9wavefront6targetE1EEEvT1_
; %bb.0:
	.section	.rodata,"a",@progbits
	.p2align	6, 0x0
	.amdhsa_kernel _ZN7rocprim17ROCPRIM_400000_NS6detail17trampoline_kernelINS0_14default_configENS1_27scan_by_key_config_selectorIiiEEZZNS1_16scan_by_key_implILNS1_25lookback_scan_determinismE0ELb0ES3_N6thrust23THRUST_200600_302600_NS6detail15normal_iteratorINS9_10device_ptrIiEEEESE_SE_iNS9_4plusIvEENS9_8equal_toIvEEiEE10hipError_tPvRmT2_T3_T4_T5_mT6_T7_P12ihipStream_tbENKUlT_T0_E_clISt17integral_constantIbLb1EESY_IbLb0EEEEDaSU_SV_EUlSU_E_NS1_11comp_targetILNS1_3genE10ELNS1_11target_archE1200ELNS1_3gpuE4ELNS1_3repE0EEENS1_30default_config_static_selectorELNS0_4arch9wavefront6targetE1EEEvT1_
		.amdhsa_group_segment_fixed_size 0
		.amdhsa_private_segment_fixed_size 0
		.amdhsa_kernarg_size 112
		.amdhsa_user_sgpr_count 2
		.amdhsa_user_sgpr_dispatch_ptr 0
		.amdhsa_user_sgpr_queue_ptr 0
		.amdhsa_user_sgpr_kernarg_segment_ptr 1
		.amdhsa_user_sgpr_dispatch_id 0
		.amdhsa_user_sgpr_kernarg_preload_length 0
		.amdhsa_user_sgpr_kernarg_preload_offset 0
		.amdhsa_user_sgpr_private_segment_size 0
		.amdhsa_uses_dynamic_stack 0
		.amdhsa_enable_private_segment 0
		.amdhsa_system_sgpr_workgroup_id_x 1
		.amdhsa_system_sgpr_workgroup_id_y 0
		.amdhsa_system_sgpr_workgroup_id_z 0
		.amdhsa_system_sgpr_workgroup_info 0
		.amdhsa_system_vgpr_workitem_id 0
		.amdhsa_next_free_vgpr 1
		.amdhsa_next_free_sgpr 0
		.amdhsa_accum_offset 4
		.amdhsa_reserve_vcc 0
		.amdhsa_float_round_mode_32 0
		.amdhsa_float_round_mode_16_64 0
		.amdhsa_float_denorm_mode_32 3
		.amdhsa_float_denorm_mode_16_64 3
		.amdhsa_dx10_clamp 1
		.amdhsa_ieee_mode 1
		.amdhsa_fp16_overflow 0
		.amdhsa_tg_split 0
		.amdhsa_exception_fp_ieee_invalid_op 0
		.amdhsa_exception_fp_denorm_src 0
		.amdhsa_exception_fp_ieee_div_zero 0
		.amdhsa_exception_fp_ieee_overflow 0
		.amdhsa_exception_fp_ieee_underflow 0
		.amdhsa_exception_fp_ieee_inexact 0
		.amdhsa_exception_int_div_zero 0
	.end_amdhsa_kernel
	.section	.text._ZN7rocprim17ROCPRIM_400000_NS6detail17trampoline_kernelINS0_14default_configENS1_27scan_by_key_config_selectorIiiEEZZNS1_16scan_by_key_implILNS1_25lookback_scan_determinismE0ELb0ES3_N6thrust23THRUST_200600_302600_NS6detail15normal_iteratorINS9_10device_ptrIiEEEESE_SE_iNS9_4plusIvEENS9_8equal_toIvEEiEE10hipError_tPvRmT2_T3_T4_T5_mT6_T7_P12ihipStream_tbENKUlT_T0_E_clISt17integral_constantIbLb1EESY_IbLb0EEEEDaSU_SV_EUlSU_E_NS1_11comp_targetILNS1_3genE10ELNS1_11target_archE1200ELNS1_3gpuE4ELNS1_3repE0EEENS1_30default_config_static_selectorELNS0_4arch9wavefront6targetE1EEEvT1_,"axG",@progbits,_ZN7rocprim17ROCPRIM_400000_NS6detail17trampoline_kernelINS0_14default_configENS1_27scan_by_key_config_selectorIiiEEZZNS1_16scan_by_key_implILNS1_25lookback_scan_determinismE0ELb0ES3_N6thrust23THRUST_200600_302600_NS6detail15normal_iteratorINS9_10device_ptrIiEEEESE_SE_iNS9_4plusIvEENS9_8equal_toIvEEiEE10hipError_tPvRmT2_T3_T4_T5_mT6_T7_P12ihipStream_tbENKUlT_T0_E_clISt17integral_constantIbLb1EESY_IbLb0EEEEDaSU_SV_EUlSU_E_NS1_11comp_targetILNS1_3genE10ELNS1_11target_archE1200ELNS1_3gpuE4ELNS1_3repE0EEENS1_30default_config_static_selectorELNS0_4arch9wavefront6targetE1EEEvT1_,comdat
.Lfunc_end150:
	.size	_ZN7rocprim17ROCPRIM_400000_NS6detail17trampoline_kernelINS0_14default_configENS1_27scan_by_key_config_selectorIiiEEZZNS1_16scan_by_key_implILNS1_25lookback_scan_determinismE0ELb0ES3_N6thrust23THRUST_200600_302600_NS6detail15normal_iteratorINS9_10device_ptrIiEEEESE_SE_iNS9_4plusIvEENS9_8equal_toIvEEiEE10hipError_tPvRmT2_T3_T4_T5_mT6_T7_P12ihipStream_tbENKUlT_T0_E_clISt17integral_constantIbLb1EESY_IbLb0EEEEDaSU_SV_EUlSU_E_NS1_11comp_targetILNS1_3genE10ELNS1_11target_archE1200ELNS1_3gpuE4ELNS1_3repE0EEENS1_30default_config_static_selectorELNS0_4arch9wavefront6targetE1EEEvT1_, .Lfunc_end150-_ZN7rocprim17ROCPRIM_400000_NS6detail17trampoline_kernelINS0_14default_configENS1_27scan_by_key_config_selectorIiiEEZZNS1_16scan_by_key_implILNS1_25lookback_scan_determinismE0ELb0ES3_N6thrust23THRUST_200600_302600_NS6detail15normal_iteratorINS9_10device_ptrIiEEEESE_SE_iNS9_4plusIvEENS9_8equal_toIvEEiEE10hipError_tPvRmT2_T3_T4_T5_mT6_T7_P12ihipStream_tbENKUlT_T0_E_clISt17integral_constantIbLb1EESY_IbLb0EEEEDaSU_SV_EUlSU_E_NS1_11comp_targetILNS1_3genE10ELNS1_11target_archE1200ELNS1_3gpuE4ELNS1_3repE0EEENS1_30default_config_static_selectorELNS0_4arch9wavefront6targetE1EEEvT1_
                                        ; -- End function
	.section	.AMDGPU.csdata,"",@progbits
; Kernel info:
; codeLenInByte = 0
; NumSgprs: 6
; NumVgprs: 0
; NumAgprs: 0
; TotalNumVgprs: 0
; ScratchSize: 0
; MemoryBound: 0
; FloatMode: 240
; IeeeMode: 1
; LDSByteSize: 0 bytes/workgroup (compile time only)
; SGPRBlocks: 0
; VGPRBlocks: 0
; NumSGPRsForWavesPerEU: 6
; NumVGPRsForWavesPerEU: 1
; AccumOffset: 4
; Occupancy: 8
; WaveLimiterHint : 0
; COMPUTE_PGM_RSRC2:SCRATCH_EN: 0
; COMPUTE_PGM_RSRC2:USER_SGPR: 2
; COMPUTE_PGM_RSRC2:TRAP_HANDLER: 0
; COMPUTE_PGM_RSRC2:TGID_X_EN: 1
; COMPUTE_PGM_RSRC2:TGID_Y_EN: 0
; COMPUTE_PGM_RSRC2:TGID_Z_EN: 0
; COMPUTE_PGM_RSRC2:TIDIG_COMP_CNT: 0
; COMPUTE_PGM_RSRC3_GFX90A:ACCUM_OFFSET: 0
; COMPUTE_PGM_RSRC3_GFX90A:TG_SPLIT: 0
	.section	.text._ZN7rocprim17ROCPRIM_400000_NS6detail17trampoline_kernelINS0_14default_configENS1_27scan_by_key_config_selectorIiiEEZZNS1_16scan_by_key_implILNS1_25lookback_scan_determinismE0ELb0ES3_N6thrust23THRUST_200600_302600_NS6detail15normal_iteratorINS9_10device_ptrIiEEEESE_SE_iNS9_4plusIvEENS9_8equal_toIvEEiEE10hipError_tPvRmT2_T3_T4_T5_mT6_T7_P12ihipStream_tbENKUlT_T0_E_clISt17integral_constantIbLb1EESY_IbLb0EEEEDaSU_SV_EUlSU_E_NS1_11comp_targetILNS1_3genE9ELNS1_11target_archE1100ELNS1_3gpuE3ELNS1_3repE0EEENS1_30default_config_static_selectorELNS0_4arch9wavefront6targetE1EEEvT1_,"axG",@progbits,_ZN7rocprim17ROCPRIM_400000_NS6detail17trampoline_kernelINS0_14default_configENS1_27scan_by_key_config_selectorIiiEEZZNS1_16scan_by_key_implILNS1_25lookback_scan_determinismE0ELb0ES3_N6thrust23THRUST_200600_302600_NS6detail15normal_iteratorINS9_10device_ptrIiEEEESE_SE_iNS9_4plusIvEENS9_8equal_toIvEEiEE10hipError_tPvRmT2_T3_T4_T5_mT6_T7_P12ihipStream_tbENKUlT_T0_E_clISt17integral_constantIbLb1EESY_IbLb0EEEEDaSU_SV_EUlSU_E_NS1_11comp_targetILNS1_3genE9ELNS1_11target_archE1100ELNS1_3gpuE3ELNS1_3repE0EEENS1_30default_config_static_selectorELNS0_4arch9wavefront6targetE1EEEvT1_,comdat
	.protected	_ZN7rocprim17ROCPRIM_400000_NS6detail17trampoline_kernelINS0_14default_configENS1_27scan_by_key_config_selectorIiiEEZZNS1_16scan_by_key_implILNS1_25lookback_scan_determinismE0ELb0ES3_N6thrust23THRUST_200600_302600_NS6detail15normal_iteratorINS9_10device_ptrIiEEEESE_SE_iNS9_4plusIvEENS9_8equal_toIvEEiEE10hipError_tPvRmT2_T3_T4_T5_mT6_T7_P12ihipStream_tbENKUlT_T0_E_clISt17integral_constantIbLb1EESY_IbLb0EEEEDaSU_SV_EUlSU_E_NS1_11comp_targetILNS1_3genE9ELNS1_11target_archE1100ELNS1_3gpuE3ELNS1_3repE0EEENS1_30default_config_static_selectorELNS0_4arch9wavefront6targetE1EEEvT1_ ; -- Begin function _ZN7rocprim17ROCPRIM_400000_NS6detail17trampoline_kernelINS0_14default_configENS1_27scan_by_key_config_selectorIiiEEZZNS1_16scan_by_key_implILNS1_25lookback_scan_determinismE0ELb0ES3_N6thrust23THRUST_200600_302600_NS6detail15normal_iteratorINS9_10device_ptrIiEEEESE_SE_iNS9_4plusIvEENS9_8equal_toIvEEiEE10hipError_tPvRmT2_T3_T4_T5_mT6_T7_P12ihipStream_tbENKUlT_T0_E_clISt17integral_constantIbLb1EESY_IbLb0EEEEDaSU_SV_EUlSU_E_NS1_11comp_targetILNS1_3genE9ELNS1_11target_archE1100ELNS1_3gpuE3ELNS1_3repE0EEENS1_30default_config_static_selectorELNS0_4arch9wavefront6targetE1EEEvT1_
	.globl	_ZN7rocprim17ROCPRIM_400000_NS6detail17trampoline_kernelINS0_14default_configENS1_27scan_by_key_config_selectorIiiEEZZNS1_16scan_by_key_implILNS1_25lookback_scan_determinismE0ELb0ES3_N6thrust23THRUST_200600_302600_NS6detail15normal_iteratorINS9_10device_ptrIiEEEESE_SE_iNS9_4plusIvEENS9_8equal_toIvEEiEE10hipError_tPvRmT2_T3_T4_T5_mT6_T7_P12ihipStream_tbENKUlT_T0_E_clISt17integral_constantIbLb1EESY_IbLb0EEEEDaSU_SV_EUlSU_E_NS1_11comp_targetILNS1_3genE9ELNS1_11target_archE1100ELNS1_3gpuE3ELNS1_3repE0EEENS1_30default_config_static_selectorELNS0_4arch9wavefront6targetE1EEEvT1_
	.p2align	8
	.type	_ZN7rocprim17ROCPRIM_400000_NS6detail17trampoline_kernelINS0_14default_configENS1_27scan_by_key_config_selectorIiiEEZZNS1_16scan_by_key_implILNS1_25lookback_scan_determinismE0ELb0ES3_N6thrust23THRUST_200600_302600_NS6detail15normal_iteratorINS9_10device_ptrIiEEEESE_SE_iNS9_4plusIvEENS9_8equal_toIvEEiEE10hipError_tPvRmT2_T3_T4_T5_mT6_T7_P12ihipStream_tbENKUlT_T0_E_clISt17integral_constantIbLb1EESY_IbLb0EEEEDaSU_SV_EUlSU_E_NS1_11comp_targetILNS1_3genE9ELNS1_11target_archE1100ELNS1_3gpuE3ELNS1_3repE0EEENS1_30default_config_static_selectorELNS0_4arch9wavefront6targetE1EEEvT1_,@function
_ZN7rocprim17ROCPRIM_400000_NS6detail17trampoline_kernelINS0_14default_configENS1_27scan_by_key_config_selectorIiiEEZZNS1_16scan_by_key_implILNS1_25lookback_scan_determinismE0ELb0ES3_N6thrust23THRUST_200600_302600_NS6detail15normal_iteratorINS9_10device_ptrIiEEEESE_SE_iNS9_4plusIvEENS9_8equal_toIvEEiEE10hipError_tPvRmT2_T3_T4_T5_mT6_T7_P12ihipStream_tbENKUlT_T0_E_clISt17integral_constantIbLb1EESY_IbLb0EEEEDaSU_SV_EUlSU_E_NS1_11comp_targetILNS1_3genE9ELNS1_11target_archE1100ELNS1_3gpuE3ELNS1_3repE0EEENS1_30default_config_static_selectorELNS0_4arch9wavefront6targetE1EEEvT1_: ; @_ZN7rocprim17ROCPRIM_400000_NS6detail17trampoline_kernelINS0_14default_configENS1_27scan_by_key_config_selectorIiiEEZZNS1_16scan_by_key_implILNS1_25lookback_scan_determinismE0ELb0ES3_N6thrust23THRUST_200600_302600_NS6detail15normal_iteratorINS9_10device_ptrIiEEEESE_SE_iNS9_4plusIvEENS9_8equal_toIvEEiEE10hipError_tPvRmT2_T3_T4_T5_mT6_T7_P12ihipStream_tbENKUlT_T0_E_clISt17integral_constantIbLb1EESY_IbLb0EEEEDaSU_SV_EUlSU_E_NS1_11comp_targetILNS1_3genE9ELNS1_11target_archE1100ELNS1_3gpuE3ELNS1_3repE0EEENS1_30default_config_static_selectorELNS0_4arch9wavefront6targetE1EEEvT1_
; %bb.0:
	.section	.rodata,"a",@progbits
	.p2align	6, 0x0
	.amdhsa_kernel _ZN7rocprim17ROCPRIM_400000_NS6detail17trampoline_kernelINS0_14default_configENS1_27scan_by_key_config_selectorIiiEEZZNS1_16scan_by_key_implILNS1_25lookback_scan_determinismE0ELb0ES3_N6thrust23THRUST_200600_302600_NS6detail15normal_iteratorINS9_10device_ptrIiEEEESE_SE_iNS9_4plusIvEENS9_8equal_toIvEEiEE10hipError_tPvRmT2_T3_T4_T5_mT6_T7_P12ihipStream_tbENKUlT_T0_E_clISt17integral_constantIbLb1EESY_IbLb0EEEEDaSU_SV_EUlSU_E_NS1_11comp_targetILNS1_3genE9ELNS1_11target_archE1100ELNS1_3gpuE3ELNS1_3repE0EEENS1_30default_config_static_selectorELNS0_4arch9wavefront6targetE1EEEvT1_
		.amdhsa_group_segment_fixed_size 0
		.amdhsa_private_segment_fixed_size 0
		.amdhsa_kernarg_size 112
		.amdhsa_user_sgpr_count 2
		.amdhsa_user_sgpr_dispatch_ptr 0
		.amdhsa_user_sgpr_queue_ptr 0
		.amdhsa_user_sgpr_kernarg_segment_ptr 1
		.amdhsa_user_sgpr_dispatch_id 0
		.amdhsa_user_sgpr_kernarg_preload_length 0
		.amdhsa_user_sgpr_kernarg_preload_offset 0
		.amdhsa_user_sgpr_private_segment_size 0
		.amdhsa_uses_dynamic_stack 0
		.amdhsa_enable_private_segment 0
		.amdhsa_system_sgpr_workgroup_id_x 1
		.amdhsa_system_sgpr_workgroup_id_y 0
		.amdhsa_system_sgpr_workgroup_id_z 0
		.amdhsa_system_sgpr_workgroup_info 0
		.amdhsa_system_vgpr_workitem_id 0
		.amdhsa_next_free_vgpr 1
		.amdhsa_next_free_sgpr 0
		.amdhsa_accum_offset 4
		.amdhsa_reserve_vcc 0
		.amdhsa_float_round_mode_32 0
		.amdhsa_float_round_mode_16_64 0
		.amdhsa_float_denorm_mode_32 3
		.amdhsa_float_denorm_mode_16_64 3
		.amdhsa_dx10_clamp 1
		.amdhsa_ieee_mode 1
		.amdhsa_fp16_overflow 0
		.amdhsa_tg_split 0
		.amdhsa_exception_fp_ieee_invalid_op 0
		.amdhsa_exception_fp_denorm_src 0
		.amdhsa_exception_fp_ieee_div_zero 0
		.amdhsa_exception_fp_ieee_overflow 0
		.amdhsa_exception_fp_ieee_underflow 0
		.amdhsa_exception_fp_ieee_inexact 0
		.amdhsa_exception_int_div_zero 0
	.end_amdhsa_kernel
	.section	.text._ZN7rocprim17ROCPRIM_400000_NS6detail17trampoline_kernelINS0_14default_configENS1_27scan_by_key_config_selectorIiiEEZZNS1_16scan_by_key_implILNS1_25lookback_scan_determinismE0ELb0ES3_N6thrust23THRUST_200600_302600_NS6detail15normal_iteratorINS9_10device_ptrIiEEEESE_SE_iNS9_4plusIvEENS9_8equal_toIvEEiEE10hipError_tPvRmT2_T3_T4_T5_mT6_T7_P12ihipStream_tbENKUlT_T0_E_clISt17integral_constantIbLb1EESY_IbLb0EEEEDaSU_SV_EUlSU_E_NS1_11comp_targetILNS1_3genE9ELNS1_11target_archE1100ELNS1_3gpuE3ELNS1_3repE0EEENS1_30default_config_static_selectorELNS0_4arch9wavefront6targetE1EEEvT1_,"axG",@progbits,_ZN7rocprim17ROCPRIM_400000_NS6detail17trampoline_kernelINS0_14default_configENS1_27scan_by_key_config_selectorIiiEEZZNS1_16scan_by_key_implILNS1_25lookback_scan_determinismE0ELb0ES3_N6thrust23THRUST_200600_302600_NS6detail15normal_iteratorINS9_10device_ptrIiEEEESE_SE_iNS9_4plusIvEENS9_8equal_toIvEEiEE10hipError_tPvRmT2_T3_T4_T5_mT6_T7_P12ihipStream_tbENKUlT_T0_E_clISt17integral_constantIbLb1EESY_IbLb0EEEEDaSU_SV_EUlSU_E_NS1_11comp_targetILNS1_3genE9ELNS1_11target_archE1100ELNS1_3gpuE3ELNS1_3repE0EEENS1_30default_config_static_selectorELNS0_4arch9wavefront6targetE1EEEvT1_,comdat
.Lfunc_end151:
	.size	_ZN7rocprim17ROCPRIM_400000_NS6detail17trampoline_kernelINS0_14default_configENS1_27scan_by_key_config_selectorIiiEEZZNS1_16scan_by_key_implILNS1_25lookback_scan_determinismE0ELb0ES3_N6thrust23THRUST_200600_302600_NS6detail15normal_iteratorINS9_10device_ptrIiEEEESE_SE_iNS9_4plusIvEENS9_8equal_toIvEEiEE10hipError_tPvRmT2_T3_T4_T5_mT6_T7_P12ihipStream_tbENKUlT_T0_E_clISt17integral_constantIbLb1EESY_IbLb0EEEEDaSU_SV_EUlSU_E_NS1_11comp_targetILNS1_3genE9ELNS1_11target_archE1100ELNS1_3gpuE3ELNS1_3repE0EEENS1_30default_config_static_selectorELNS0_4arch9wavefront6targetE1EEEvT1_, .Lfunc_end151-_ZN7rocprim17ROCPRIM_400000_NS6detail17trampoline_kernelINS0_14default_configENS1_27scan_by_key_config_selectorIiiEEZZNS1_16scan_by_key_implILNS1_25lookback_scan_determinismE0ELb0ES3_N6thrust23THRUST_200600_302600_NS6detail15normal_iteratorINS9_10device_ptrIiEEEESE_SE_iNS9_4plusIvEENS9_8equal_toIvEEiEE10hipError_tPvRmT2_T3_T4_T5_mT6_T7_P12ihipStream_tbENKUlT_T0_E_clISt17integral_constantIbLb1EESY_IbLb0EEEEDaSU_SV_EUlSU_E_NS1_11comp_targetILNS1_3genE9ELNS1_11target_archE1100ELNS1_3gpuE3ELNS1_3repE0EEENS1_30default_config_static_selectorELNS0_4arch9wavefront6targetE1EEEvT1_
                                        ; -- End function
	.section	.AMDGPU.csdata,"",@progbits
; Kernel info:
; codeLenInByte = 0
; NumSgprs: 6
; NumVgprs: 0
; NumAgprs: 0
; TotalNumVgprs: 0
; ScratchSize: 0
; MemoryBound: 0
; FloatMode: 240
; IeeeMode: 1
; LDSByteSize: 0 bytes/workgroup (compile time only)
; SGPRBlocks: 0
; VGPRBlocks: 0
; NumSGPRsForWavesPerEU: 6
; NumVGPRsForWavesPerEU: 1
; AccumOffset: 4
; Occupancy: 8
; WaveLimiterHint : 0
; COMPUTE_PGM_RSRC2:SCRATCH_EN: 0
; COMPUTE_PGM_RSRC2:USER_SGPR: 2
; COMPUTE_PGM_RSRC2:TRAP_HANDLER: 0
; COMPUTE_PGM_RSRC2:TGID_X_EN: 1
; COMPUTE_PGM_RSRC2:TGID_Y_EN: 0
; COMPUTE_PGM_RSRC2:TGID_Z_EN: 0
; COMPUTE_PGM_RSRC2:TIDIG_COMP_CNT: 0
; COMPUTE_PGM_RSRC3_GFX90A:ACCUM_OFFSET: 0
; COMPUTE_PGM_RSRC3_GFX90A:TG_SPLIT: 0
	.section	.text._ZN7rocprim17ROCPRIM_400000_NS6detail17trampoline_kernelINS0_14default_configENS1_27scan_by_key_config_selectorIiiEEZZNS1_16scan_by_key_implILNS1_25lookback_scan_determinismE0ELb0ES3_N6thrust23THRUST_200600_302600_NS6detail15normal_iteratorINS9_10device_ptrIiEEEESE_SE_iNS9_4plusIvEENS9_8equal_toIvEEiEE10hipError_tPvRmT2_T3_T4_T5_mT6_T7_P12ihipStream_tbENKUlT_T0_E_clISt17integral_constantIbLb1EESY_IbLb0EEEEDaSU_SV_EUlSU_E_NS1_11comp_targetILNS1_3genE8ELNS1_11target_archE1030ELNS1_3gpuE2ELNS1_3repE0EEENS1_30default_config_static_selectorELNS0_4arch9wavefront6targetE1EEEvT1_,"axG",@progbits,_ZN7rocprim17ROCPRIM_400000_NS6detail17trampoline_kernelINS0_14default_configENS1_27scan_by_key_config_selectorIiiEEZZNS1_16scan_by_key_implILNS1_25lookback_scan_determinismE0ELb0ES3_N6thrust23THRUST_200600_302600_NS6detail15normal_iteratorINS9_10device_ptrIiEEEESE_SE_iNS9_4plusIvEENS9_8equal_toIvEEiEE10hipError_tPvRmT2_T3_T4_T5_mT6_T7_P12ihipStream_tbENKUlT_T0_E_clISt17integral_constantIbLb1EESY_IbLb0EEEEDaSU_SV_EUlSU_E_NS1_11comp_targetILNS1_3genE8ELNS1_11target_archE1030ELNS1_3gpuE2ELNS1_3repE0EEENS1_30default_config_static_selectorELNS0_4arch9wavefront6targetE1EEEvT1_,comdat
	.protected	_ZN7rocprim17ROCPRIM_400000_NS6detail17trampoline_kernelINS0_14default_configENS1_27scan_by_key_config_selectorIiiEEZZNS1_16scan_by_key_implILNS1_25lookback_scan_determinismE0ELb0ES3_N6thrust23THRUST_200600_302600_NS6detail15normal_iteratorINS9_10device_ptrIiEEEESE_SE_iNS9_4plusIvEENS9_8equal_toIvEEiEE10hipError_tPvRmT2_T3_T4_T5_mT6_T7_P12ihipStream_tbENKUlT_T0_E_clISt17integral_constantIbLb1EESY_IbLb0EEEEDaSU_SV_EUlSU_E_NS1_11comp_targetILNS1_3genE8ELNS1_11target_archE1030ELNS1_3gpuE2ELNS1_3repE0EEENS1_30default_config_static_selectorELNS0_4arch9wavefront6targetE1EEEvT1_ ; -- Begin function _ZN7rocprim17ROCPRIM_400000_NS6detail17trampoline_kernelINS0_14default_configENS1_27scan_by_key_config_selectorIiiEEZZNS1_16scan_by_key_implILNS1_25lookback_scan_determinismE0ELb0ES3_N6thrust23THRUST_200600_302600_NS6detail15normal_iteratorINS9_10device_ptrIiEEEESE_SE_iNS9_4plusIvEENS9_8equal_toIvEEiEE10hipError_tPvRmT2_T3_T4_T5_mT6_T7_P12ihipStream_tbENKUlT_T0_E_clISt17integral_constantIbLb1EESY_IbLb0EEEEDaSU_SV_EUlSU_E_NS1_11comp_targetILNS1_3genE8ELNS1_11target_archE1030ELNS1_3gpuE2ELNS1_3repE0EEENS1_30default_config_static_selectorELNS0_4arch9wavefront6targetE1EEEvT1_
	.globl	_ZN7rocprim17ROCPRIM_400000_NS6detail17trampoline_kernelINS0_14default_configENS1_27scan_by_key_config_selectorIiiEEZZNS1_16scan_by_key_implILNS1_25lookback_scan_determinismE0ELb0ES3_N6thrust23THRUST_200600_302600_NS6detail15normal_iteratorINS9_10device_ptrIiEEEESE_SE_iNS9_4plusIvEENS9_8equal_toIvEEiEE10hipError_tPvRmT2_T3_T4_T5_mT6_T7_P12ihipStream_tbENKUlT_T0_E_clISt17integral_constantIbLb1EESY_IbLb0EEEEDaSU_SV_EUlSU_E_NS1_11comp_targetILNS1_3genE8ELNS1_11target_archE1030ELNS1_3gpuE2ELNS1_3repE0EEENS1_30default_config_static_selectorELNS0_4arch9wavefront6targetE1EEEvT1_
	.p2align	8
	.type	_ZN7rocprim17ROCPRIM_400000_NS6detail17trampoline_kernelINS0_14default_configENS1_27scan_by_key_config_selectorIiiEEZZNS1_16scan_by_key_implILNS1_25lookback_scan_determinismE0ELb0ES3_N6thrust23THRUST_200600_302600_NS6detail15normal_iteratorINS9_10device_ptrIiEEEESE_SE_iNS9_4plusIvEENS9_8equal_toIvEEiEE10hipError_tPvRmT2_T3_T4_T5_mT6_T7_P12ihipStream_tbENKUlT_T0_E_clISt17integral_constantIbLb1EESY_IbLb0EEEEDaSU_SV_EUlSU_E_NS1_11comp_targetILNS1_3genE8ELNS1_11target_archE1030ELNS1_3gpuE2ELNS1_3repE0EEENS1_30default_config_static_selectorELNS0_4arch9wavefront6targetE1EEEvT1_,@function
_ZN7rocprim17ROCPRIM_400000_NS6detail17trampoline_kernelINS0_14default_configENS1_27scan_by_key_config_selectorIiiEEZZNS1_16scan_by_key_implILNS1_25lookback_scan_determinismE0ELb0ES3_N6thrust23THRUST_200600_302600_NS6detail15normal_iteratorINS9_10device_ptrIiEEEESE_SE_iNS9_4plusIvEENS9_8equal_toIvEEiEE10hipError_tPvRmT2_T3_T4_T5_mT6_T7_P12ihipStream_tbENKUlT_T0_E_clISt17integral_constantIbLb1EESY_IbLb0EEEEDaSU_SV_EUlSU_E_NS1_11comp_targetILNS1_3genE8ELNS1_11target_archE1030ELNS1_3gpuE2ELNS1_3repE0EEENS1_30default_config_static_selectorELNS0_4arch9wavefront6targetE1EEEvT1_: ; @_ZN7rocprim17ROCPRIM_400000_NS6detail17trampoline_kernelINS0_14default_configENS1_27scan_by_key_config_selectorIiiEEZZNS1_16scan_by_key_implILNS1_25lookback_scan_determinismE0ELb0ES3_N6thrust23THRUST_200600_302600_NS6detail15normal_iteratorINS9_10device_ptrIiEEEESE_SE_iNS9_4plusIvEENS9_8equal_toIvEEiEE10hipError_tPvRmT2_T3_T4_T5_mT6_T7_P12ihipStream_tbENKUlT_T0_E_clISt17integral_constantIbLb1EESY_IbLb0EEEEDaSU_SV_EUlSU_E_NS1_11comp_targetILNS1_3genE8ELNS1_11target_archE1030ELNS1_3gpuE2ELNS1_3repE0EEENS1_30default_config_static_selectorELNS0_4arch9wavefront6targetE1EEEvT1_
; %bb.0:
	.section	.rodata,"a",@progbits
	.p2align	6, 0x0
	.amdhsa_kernel _ZN7rocprim17ROCPRIM_400000_NS6detail17trampoline_kernelINS0_14default_configENS1_27scan_by_key_config_selectorIiiEEZZNS1_16scan_by_key_implILNS1_25lookback_scan_determinismE0ELb0ES3_N6thrust23THRUST_200600_302600_NS6detail15normal_iteratorINS9_10device_ptrIiEEEESE_SE_iNS9_4plusIvEENS9_8equal_toIvEEiEE10hipError_tPvRmT2_T3_T4_T5_mT6_T7_P12ihipStream_tbENKUlT_T0_E_clISt17integral_constantIbLb1EESY_IbLb0EEEEDaSU_SV_EUlSU_E_NS1_11comp_targetILNS1_3genE8ELNS1_11target_archE1030ELNS1_3gpuE2ELNS1_3repE0EEENS1_30default_config_static_selectorELNS0_4arch9wavefront6targetE1EEEvT1_
		.amdhsa_group_segment_fixed_size 0
		.amdhsa_private_segment_fixed_size 0
		.amdhsa_kernarg_size 112
		.amdhsa_user_sgpr_count 2
		.amdhsa_user_sgpr_dispatch_ptr 0
		.amdhsa_user_sgpr_queue_ptr 0
		.amdhsa_user_sgpr_kernarg_segment_ptr 1
		.amdhsa_user_sgpr_dispatch_id 0
		.amdhsa_user_sgpr_kernarg_preload_length 0
		.amdhsa_user_sgpr_kernarg_preload_offset 0
		.amdhsa_user_sgpr_private_segment_size 0
		.amdhsa_uses_dynamic_stack 0
		.amdhsa_enable_private_segment 0
		.amdhsa_system_sgpr_workgroup_id_x 1
		.amdhsa_system_sgpr_workgroup_id_y 0
		.amdhsa_system_sgpr_workgroup_id_z 0
		.amdhsa_system_sgpr_workgroup_info 0
		.amdhsa_system_vgpr_workitem_id 0
		.amdhsa_next_free_vgpr 1
		.amdhsa_next_free_sgpr 0
		.amdhsa_accum_offset 4
		.amdhsa_reserve_vcc 0
		.amdhsa_float_round_mode_32 0
		.amdhsa_float_round_mode_16_64 0
		.amdhsa_float_denorm_mode_32 3
		.amdhsa_float_denorm_mode_16_64 3
		.amdhsa_dx10_clamp 1
		.amdhsa_ieee_mode 1
		.amdhsa_fp16_overflow 0
		.amdhsa_tg_split 0
		.amdhsa_exception_fp_ieee_invalid_op 0
		.amdhsa_exception_fp_denorm_src 0
		.amdhsa_exception_fp_ieee_div_zero 0
		.amdhsa_exception_fp_ieee_overflow 0
		.amdhsa_exception_fp_ieee_underflow 0
		.amdhsa_exception_fp_ieee_inexact 0
		.amdhsa_exception_int_div_zero 0
	.end_amdhsa_kernel
	.section	.text._ZN7rocprim17ROCPRIM_400000_NS6detail17trampoline_kernelINS0_14default_configENS1_27scan_by_key_config_selectorIiiEEZZNS1_16scan_by_key_implILNS1_25lookback_scan_determinismE0ELb0ES3_N6thrust23THRUST_200600_302600_NS6detail15normal_iteratorINS9_10device_ptrIiEEEESE_SE_iNS9_4plusIvEENS9_8equal_toIvEEiEE10hipError_tPvRmT2_T3_T4_T5_mT6_T7_P12ihipStream_tbENKUlT_T0_E_clISt17integral_constantIbLb1EESY_IbLb0EEEEDaSU_SV_EUlSU_E_NS1_11comp_targetILNS1_3genE8ELNS1_11target_archE1030ELNS1_3gpuE2ELNS1_3repE0EEENS1_30default_config_static_selectorELNS0_4arch9wavefront6targetE1EEEvT1_,"axG",@progbits,_ZN7rocprim17ROCPRIM_400000_NS6detail17trampoline_kernelINS0_14default_configENS1_27scan_by_key_config_selectorIiiEEZZNS1_16scan_by_key_implILNS1_25lookback_scan_determinismE0ELb0ES3_N6thrust23THRUST_200600_302600_NS6detail15normal_iteratorINS9_10device_ptrIiEEEESE_SE_iNS9_4plusIvEENS9_8equal_toIvEEiEE10hipError_tPvRmT2_T3_T4_T5_mT6_T7_P12ihipStream_tbENKUlT_T0_E_clISt17integral_constantIbLb1EESY_IbLb0EEEEDaSU_SV_EUlSU_E_NS1_11comp_targetILNS1_3genE8ELNS1_11target_archE1030ELNS1_3gpuE2ELNS1_3repE0EEENS1_30default_config_static_selectorELNS0_4arch9wavefront6targetE1EEEvT1_,comdat
.Lfunc_end152:
	.size	_ZN7rocprim17ROCPRIM_400000_NS6detail17trampoline_kernelINS0_14default_configENS1_27scan_by_key_config_selectorIiiEEZZNS1_16scan_by_key_implILNS1_25lookback_scan_determinismE0ELb0ES3_N6thrust23THRUST_200600_302600_NS6detail15normal_iteratorINS9_10device_ptrIiEEEESE_SE_iNS9_4plusIvEENS9_8equal_toIvEEiEE10hipError_tPvRmT2_T3_T4_T5_mT6_T7_P12ihipStream_tbENKUlT_T0_E_clISt17integral_constantIbLb1EESY_IbLb0EEEEDaSU_SV_EUlSU_E_NS1_11comp_targetILNS1_3genE8ELNS1_11target_archE1030ELNS1_3gpuE2ELNS1_3repE0EEENS1_30default_config_static_selectorELNS0_4arch9wavefront6targetE1EEEvT1_, .Lfunc_end152-_ZN7rocprim17ROCPRIM_400000_NS6detail17trampoline_kernelINS0_14default_configENS1_27scan_by_key_config_selectorIiiEEZZNS1_16scan_by_key_implILNS1_25lookback_scan_determinismE0ELb0ES3_N6thrust23THRUST_200600_302600_NS6detail15normal_iteratorINS9_10device_ptrIiEEEESE_SE_iNS9_4plusIvEENS9_8equal_toIvEEiEE10hipError_tPvRmT2_T3_T4_T5_mT6_T7_P12ihipStream_tbENKUlT_T0_E_clISt17integral_constantIbLb1EESY_IbLb0EEEEDaSU_SV_EUlSU_E_NS1_11comp_targetILNS1_3genE8ELNS1_11target_archE1030ELNS1_3gpuE2ELNS1_3repE0EEENS1_30default_config_static_selectorELNS0_4arch9wavefront6targetE1EEEvT1_
                                        ; -- End function
	.section	.AMDGPU.csdata,"",@progbits
; Kernel info:
; codeLenInByte = 0
; NumSgprs: 6
; NumVgprs: 0
; NumAgprs: 0
; TotalNumVgprs: 0
; ScratchSize: 0
; MemoryBound: 0
; FloatMode: 240
; IeeeMode: 1
; LDSByteSize: 0 bytes/workgroup (compile time only)
; SGPRBlocks: 0
; VGPRBlocks: 0
; NumSGPRsForWavesPerEU: 6
; NumVGPRsForWavesPerEU: 1
; AccumOffset: 4
; Occupancy: 8
; WaveLimiterHint : 0
; COMPUTE_PGM_RSRC2:SCRATCH_EN: 0
; COMPUTE_PGM_RSRC2:USER_SGPR: 2
; COMPUTE_PGM_RSRC2:TRAP_HANDLER: 0
; COMPUTE_PGM_RSRC2:TGID_X_EN: 1
; COMPUTE_PGM_RSRC2:TGID_Y_EN: 0
; COMPUTE_PGM_RSRC2:TGID_Z_EN: 0
; COMPUTE_PGM_RSRC2:TIDIG_COMP_CNT: 0
; COMPUTE_PGM_RSRC3_GFX90A:ACCUM_OFFSET: 0
; COMPUTE_PGM_RSRC3_GFX90A:TG_SPLIT: 0
	.section	.text._ZN7rocprim17ROCPRIM_400000_NS6detail30init_device_scan_by_key_kernelINS1_19lookback_scan_stateINS0_5tupleIJibEEELb0ELb1EEEN6thrust23THRUST_200600_302600_NS6detail15normal_iteratorINS8_10device_ptrIiEEEEjNS1_16block_id_wrapperIjLb1EEEEEvT_jjPNSG_10value_typeET0_PNSt15iterator_traitsISJ_E10value_typeEmT1_T2_,"axG",@progbits,_ZN7rocprim17ROCPRIM_400000_NS6detail30init_device_scan_by_key_kernelINS1_19lookback_scan_stateINS0_5tupleIJibEEELb0ELb1EEEN6thrust23THRUST_200600_302600_NS6detail15normal_iteratorINS8_10device_ptrIiEEEEjNS1_16block_id_wrapperIjLb1EEEEEvT_jjPNSG_10value_typeET0_PNSt15iterator_traitsISJ_E10value_typeEmT1_T2_,comdat
	.protected	_ZN7rocprim17ROCPRIM_400000_NS6detail30init_device_scan_by_key_kernelINS1_19lookback_scan_stateINS0_5tupleIJibEEELb0ELb1EEEN6thrust23THRUST_200600_302600_NS6detail15normal_iteratorINS8_10device_ptrIiEEEEjNS1_16block_id_wrapperIjLb1EEEEEvT_jjPNSG_10value_typeET0_PNSt15iterator_traitsISJ_E10value_typeEmT1_T2_ ; -- Begin function _ZN7rocprim17ROCPRIM_400000_NS6detail30init_device_scan_by_key_kernelINS1_19lookback_scan_stateINS0_5tupleIJibEEELb0ELb1EEEN6thrust23THRUST_200600_302600_NS6detail15normal_iteratorINS8_10device_ptrIiEEEEjNS1_16block_id_wrapperIjLb1EEEEEvT_jjPNSG_10value_typeET0_PNSt15iterator_traitsISJ_E10value_typeEmT1_T2_
	.globl	_ZN7rocprim17ROCPRIM_400000_NS6detail30init_device_scan_by_key_kernelINS1_19lookback_scan_stateINS0_5tupleIJibEEELb0ELb1EEEN6thrust23THRUST_200600_302600_NS6detail15normal_iteratorINS8_10device_ptrIiEEEEjNS1_16block_id_wrapperIjLb1EEEEEvT_jjPNSG_10value_typeET0_PNSt15iterator_traitsISJ_E10value_typeEmT1_T2_
	.p2align	8
	.type	_ZN7rocprim17ROCPRIM_400000_NS6detail30init_device_scan_by_key_kernelINS1_19lookback_scan_stateINS0_5tupleIJibEEELb0ELb1EEEN6thrust23THRUST_200600_302600_NS6detail15normal_iteratorINS8_10device_ptrIiEEEEjNS1_16block_id_wrapperIjLb1EEEEEvT_jjPNSG_10value_typeET0_PNSt15iterator_traitsISJ_E10value_typeEmT1_T2_,@function
_ZN7rocprim17ROCPRIM_400000_NS6detail30init_device_scan_by_key_kernelINS1_19lookback_scan_stateINS0_5tupleIJibEEELb0ELb1EEEN6thrust23THRUST_200600_302600_NS6detail15normal_iteratorINS8_10device_ptrIiEEEEjNS1_16block_id_wrapperIjLb1EEEEEvT_jjPNSG_10value_typeET0_PNSt15iterator_traitsISJ_E10value_typeEmT1_T2_: ; @_ZN7rocprim17ROCPRIM_400000_NS6detail30init_device_scan_by_key_kernelINS1_19lookback_scan_stateINS0_5tupleIJibEEELb0ELb1EEEN6thrust23THRUST_200600_302600_NS6detail15normal_iteratorINS8_10device_ptrIiEEEEjNS1_16block_id_wrapperIjLb1EEEEEvT_jjPNSG_10value_typeET0_PNSt15iterator_traitsISJ_E10value_typeEmT1_T2_
; %bb.0:
	s_load_dword s3, s[0:1], 0x4c
	s_load_dwordx8 s[4:11], s[0:1], 0x0
	s_load_dword s18, s[0:1], 0x40
	s_waitcnt lgkmcnt(0)
	s_and_b32 s19, s3, 0xffff
	s_mul_i32 s2, s2, s19
	s_cmp_eq_u64 s[8:9], 0
	v_add_u32_e32 v4, s2, v0
	s_cbranch_scc1 .LBB153_8
; %bb.1:
	s_cmp_lt_u32 s7, s6
	s_cselect_b32 s2, s7, 0
	s_mov_b32 s13, 0
	v_cmp_eq_u32_e32 vcc, s2, v4
	s_and_saveexec_b64 s[2:3], vcc
	s_cbranch_execz .LBB153_7
; %bb.2:
	s_add_i32 s12, s7, 64
	s_lshl_b64 s[12:13], s[12:13], 4
	s_add_u32 s16, s4, s12
	s_addc_u32 s17, s5, s13
	v_mov_b64_e32 v[0:1], s[16:17]
	;;#ASMSTART
	global_load_dwordx4 v[0:3], v[0:1] off sc1	
s_waitcnt vmcnt(0)
	;;#ASMEND
	v_mov_b32_e32 v7, 0
	v_and_b32_e32 v6, 0xff, v2
	s_mov_b64 s[14:15], 0
	v_cmp_eq_u64_e32 vcc, 0, v[6:7]
	s_and_saveexec_b64 s[12:13], vcc
	s_cbranch_execz .LBB153_6
; %bb.3:
	v_mov_b64_e32 v[8:9], s[16:17]
.LBB153_4:                              ; =>This Inner Loop Header: Depth=1
	;;#ASMSTART
	global_load_dwordx4 v[0:3], v[8:9] off sc1	
s_waitcnt vmcnt(0)
	;;#ASMEND
	s_nop 0
	v_and_b32_e32 v6, 0xff, v2
	v_cmp_ne_u64_e32 vcc, 0, v[6:7]
	s_or_b64 s[14:15], vcc, s[14:15]
	s_andn2_b64 exec, exec, s[14:15]
	s_cbranch_execnz .LBB153_4
; %bb.5:
	s_or_b64 exec, exec, s[14:15]
.LBB153_6:
	s_or_b64 exec, exec, s[12:13]
	v_mov_b32_e32 v2, 0
	global_store_dword v2, v0, s[8:9]
	global_store_byte v2, v1, s[8:9] offset:4
.LBB153_7:
	s_or_b64 exec, exec, s[2:3]
.LBB153_8:
	v_cmp_eq_u32_e32 vcc, 0, v4
	s_and_saveexec_b64 s[2:3], vcc
	s_cbranch_execz .LBB153_10
; %bb.9:
	s_load_dwordx2 s[8:9], s[0:1], 0x38
	v_mov_b32_e32 v0, 0
	s_waitcnt lgkmcnt(0)
	global_store_dword v0, v0, s[8:9]
.LBB153_10:
	s_or_b64 exec, exec, s[2:3]
	v_cmp_gt_u32_e32 vcc, s6, v4
	s_and_saveexec_b64 s[2:3], vcc
	s_cbranch_execz .LBB153_12
; %bb.11:
	v_add_u32_e32 v0, 64, v4
	v_mov_b32_e32 v1, 0
	v_lshl_add_u64 v[6:7], v[0:1], 4, s[4:5]
	v_mov_b32_e32 v0, v1
	v_mov_b32_e32 v2, v1
	;; [unrolled: 1-line block ×3, first 2 shown]
	global_store_dwordx4 v[6:7], v[0:3], off
.LBB153_12:
	s_or_b64 exec, exec, s[2:3]
	v_cmp_gt_u32_e32 vcc, 64, v4
	v_mov_b32_e32 v5, 0
	s_and_saveexec_b64 s[2:3], vcc
	s_cbranch_execz .LBB153_14
; %bb.13:
	v_lshl_add_u64 v[6:7], v[4:5], 4, s[4:5]
	v_mov_b32_e32 v2, 0xff
	v_mov_b32_e32 v0, v5
	;; [unrolled: 1-line block ×4, first 2 shown]
	global_store_dwordx4 v[6:7], v[0:3], off
.LBB153_14:
	s_or_b64 exec, exec, s[2:3]
	s_load_dwordx2 s[2:3], s[0:1], 0x28
	s_waitcnt lgkmcnt(0)
	v_cmp_gt_u64_e32 vcc, s[2:3], v[4:5]
	s_and_saveexec_b64 s[4:5], vcc
	s_cbranch_execz .LBB153_17
; %bb.15:
	s_load_dword s12, s[0:1], 0x30
	s_load_dwordx2 s[6:7], s[0:1], 0x20
	s_mov_b32 s5, 0
	s_mov_b32 s1, s5
	s_mul_i32 s0, s18, s19
	s_waitcnt lgkmcnt(0)
	s_add_i32 s4, s12, -1
	s_lshl_b64 s[4:5], s[4:5], 2
	s_add_u32 s4, s10, s4
	v_mad_u64_u32 v[0:1], s[8:9], s12, v4, 0
	s_addc_u32 s5, s11, s5
	v_lshl_add_u64 v[0:1], v[0:1], 2, s[4:5]
	s_mul_hi_u32 s5, s12, s0
	s_mul_i32 s4, s12, s0
	s_lshl_b64 s[4:5], s[4:5], 2
	v_lshl_add_u64 v[2:3], v[4:5], 2, s[6:7]
	s_lshl_b64 s[6:7], s[0:1], 2
	s_mov_b64 s[8:9], 0
.LBB153_16:                             ; =>This Inner Loop Header: Depth=1
	global_load_dword v6, v[0:1], off
	v_lshl_add_u64 v[4:5], v[4:5], 0, s[0:1]
	v_cmp_le_u64_e32 vcc, s[2:3], v[4:5]
	v_lshl_add_u64 v[0:1], v[0:1], 0, s[4:5]
	s_or_b64 s[8:9], vcc, s[8:9]
	s_waitcnt vmcnt(0)
	global_store_dword v[2:3], v6, off
	v_lshl_add_u64 v[2:3], v[2:3], 0, s[6:7]
	s_andn2_b64 exec, exec, s[8:9]
	s_cbranch_execnz .LBB153_16
.LBB153_17:
	s_endpgm
	.section	.rodata,"a",@progbits
	.p2align	6, 0x0
	.amdhsa_kernel _ZN7rocprim17ROCPRIM_400000_NS6detail30init_device_scan_by_key_kernelINS1_19lookback_scan_stateINS0_5tupleIJibEEELb0ELb1EEEN6thrust23THRUST_200600_302600_NS6detail15normal_iteratorINS8_10device_ptrIiEEEEjNS1_16block_id_wrapperIjLb1EEEEEvT_jjPNSG_10value_typeET0_PNSt15iterator_traitsISJ_E10value_typeEmT1_T2_
		.amdhsa_group_segment_fixed_size 0
		.amdhsa_private_segment_fixed_size 0
		.amdhsa_kernarg_size 320
		.amdhsa_user_sgpr_count 2
		.amdhsa_user_sgpr_dispatch_ptr 0
		.amdhsa_user_sgpr_queue_ptr 0
		.amdhsa_user_sgpr_kernarg_segment_ptr 1
		.amdhsa_user_sgpr_dispatch_id 0
		.amdhsa_user_sgpr_kernarg_preload_length 0
		.amdhsa_user_sgpr_kernarg_preload_offset 0
		.amdhsa_user_sgpr_private_segment_size 0
		.amdhsa_uses_dynamic_stack 0
		.amdhsa_enable_private_segment 0
		.amdhsa_system_sgpr_workgroup_id_x 1
		.amdhsa_system_sgpr_workgroup_id_y 0
		.amdhsa_system_sgpr_workgroup_id_z 0
		.amdhsa_system_sgpr_workgroup_info 0
		.amdhsa_system_vgpr_workitem_id 0
		.amdhsa_next_free_vgpr 10
		.amdhsa_next_free_sgpr 20
		.amdhsa_accum_offset 12
		.amdhsa_reserve_vcc 1
		.amdhsa_float_round_mode_32 0
		.amdhsa_float_round_mode_16_64 0
		.amdhsa_float_denorm_mode_32 3
		.amdhsa_float_denorm_mode_16_64 3
		.amdhsa_dx10_clamp 1
		.amdhsa_ieee_mode 1
		.amdhsa_fp16_overflow 0
		.amdhsa_tg_split 0
		.amdhsa_exception_fp_ieee_invalid_op 0
		.amdhsa_exception_fp_denorm_src 0
		.amdhsa_exception_fp_ieee_div_zero 0
		.amdhsa_exception_fp_ieee_overflow 0
		.amdhsa_exception_fp_ieee_underflow 0
		.amdhsa_exception_fp_ieee_inexact 0
		.amdhsa_exception_int_div_zero 0
	.end_amdhsa_kernel
	.section	.text._ZN7rocprim17ROCPRIM_400000_NS6detail30init_device_scan_by_key_kernelINS1_19lookback_scan_stateINS0_5tupleIJibEEELb0ELb1EEEN6thrust23THRUST_200600_302600_NS6detail15normal_iteratorINS8_10device_ptrIiEEEEjNS1_16block_id_wrapperIjLb1EEEEEvT_jjPNSG_10value_typeET0_PNSt15iterator_traitsISJ_E10value_typeEmT1_T2_,"axG",@progbits,_ZN7rocprim17ROCPRIM_400000_NS6detail30init_device_scan_by_key_kernelINS1_19lookback_scan_stateINS0_5tupleIJibEEELb0ELb1EEEN6thrust23THRUST_200600_302600_NS6detail15normal_iteratorINS8_10device_ptrIiEEEEjNS1_16block_id_wrapperIjLb1EEEEEvT_jjPNSG_10value_typeET0_PNSt15iterator_traitsISJ_E10value_typeEmT1_T2_,comdat
.Lfunc_end153:
	.size	_ZN7rocprim17ROCPRIM_400000_NS6detail30init_device_scan_by_key_kernelINS1_19lookback_scan_stateINS0_5tupleIJibEEELb0ELb1EEEN6thrust23THRUST_200600_302600_NS6detail15normal_iteratorINS8_10device_ptrIiEEEEjNS1_16block_id_wrapperIjLb1EEEEEvT_jjPNSG_10value_typeET0_PNSt15iterator_traitsISJ_E10value_typeEmT1_T2_, .Lfunc_end153-_ZN7rocprim17ROCPRIM_400000_NS6detail30init_device_scan_by_key_kernelINS1_19lookback_scan_stateINS0_5tupleIJibEEELb0ELb1EEEN6thrust23THRUST_200600_302600_NS6detail15normal_iteratorINS8_10device_ptrIiEEEEjNS1_16block_id_wrapperIjLb1EEEEEvT_jjPNSG_10value_typeET0_PNSt15iterator_traitsISJ_E10value_typeEmT1_T2_
                                        ; -- End function
	.section	.AMDGPU.csdata,"",@progbits
; Kernel info:
; codeLenInByte = 548
; NumSgprs: 26
; NumVgprs: 10
; NumAgprs: 0
; TotalNumVgprs: 10
; ScratchSize: 0
; MemoryBound: 0
; FloatMode: 240
; IeeeMode: 1
; LDSByteSize: 0 bytes/workgroup (compile time only)
; SGPRBlocks: 3
; VGPRBlocks: 1
; NumSGPRsForWavesPerEU: 26
; NumVGPRsForWavesPerEU: 10
; AccumOffset: 12
; Occupancy: 8
; WaveLimiterHint : 0
; COMPUTE_PGM_RSRC2:SCRATCH_EN: 0
; COMPUTE_PGM_RSRC2:USER_SGPR: 2
; COMPUTE_PGM_RSRC2:TRAP_HANDLER: 0
; COMPUTE_PGM_RSRC2:TGID_X_EN: 1
; COMPUTE_PGM_RSRC2:TGID_Y_EN: 0
; COMPUTE_PGM_RSRC2:TGID_Z_EN: 0
; COMPUTE_PGM_RSRC2:TIDIG_COMP_CNT: 0
; COMPUTE_PGM_RSRC3_GFX90A:ACCUM_OFFSET: 2
; COMPUTE_PGM_RSRC3_GFX90A:TG_SPLIT: 0
	.section	.text._ZN7rocprim17ROCPRIM_400000_NS6detail30init_device_scan_by_key_kernelINS1_19lookback_scan_stateINS0_5tupleIJibEEELb0ELb1EEENS1_16block_id_wrapperIjLb1EEEEEvT_jjPNS9_10value_typeET0_,"axG",@progbits,_ZN7rocprim17ROCPRIM_400000_NS6detail30init_device_scan_by_key_kernelINS1_19lookback_scan_stateINS0_5tupleIJibEEELb0ELb1EEENS1_16block_id_wrapperIjLb1EEEEEvT_jjPNS9_10value_typeET0_,comdat
	.protected	_ZN7rocprim17ROCPRIM_400000_NS6detail30init_device_scan_by_key_kernelINS1_19lookback_scan_stateINS0_5tupleIJibEEELb0ELb1EEENS1_16block_id_wrapperIjLb1EEEEEvT_jjPNS9_10value_typeET0_ ; -- Begin function _ZN7rocprim17ROCPRIM_400000_NS6detail30init_device_scan_by_key_kernelINS1_19lookback_scan_stateINS0_5tupleIJibEEELb0ELb1EEENS1_16block_id_wrapperIjLb1EEEEEvT_jjPNS9_10value_typeET0_
	.globl	_ZN7rocprim17ROCPRIM_400000_NS6detail30init_device_scan_by_key_kernelINS1_19lookback_scan_stateINS0_5tupleIJibEEELb0ELb1EEENS1_16block_id_wrapperIjLb1EEEEEvT_jjPNS9_10value_typeET0_
	.p2align	8
	.type	_ZN7rocprim17ROCPRIM_400000_NS6detail30init_device_scan_by_key_kernelINS1_19lookback_scan_stateINS0_5tupleIJibEEELb0ELb1EEENS1_16block_id_wrapperIjLb1EEEEEvT_jjPNS9_10value_typeET0_,@function
_ZN7rocprim17ROCPRIM_400000_NS6detail30init_device_scan_by_key_kernelINS1_19lookback_scan_stateINS0_5tupleIJibEEELb0ELb1EEENS1_16block_id_wrapperIjLb1EEEEEvT_jjPNS9_10value_typeET0_: ; @_ZN7rocprim17ROCPRIM_400000_NS6detail30init_device_scan_by_key_kernelINS1_19lookback_scan_stateINS0_5tupleIJibEEELb0ELb1EEENS1_16block_id_wrapperIjLb1EEEEEvT_jjPNS9_10value_typeET0_
; %bb.0:
	s_load_dword s3, s[0:1], 0x2c
	s_load_dwordx8 s[4:11], s[0:1], 0x0
	s_waitcnt lgkmcnt(0)
	s_and_b32 s0, s3, 0xffff
	s_mul_i32 s2, s2, s0
	s_cmp_eq_u64 s[8:9], 0
	v_add_u32_e32 v0, s2, v0
	s_cbranch_scc1 .LBB154_8
; %bb.1:
	s_cmp_lt_u32 s7, s6
	s_cselect_b32 s0, s7, 0
	s_mov_b32 s3, 0
	v_cmp_eq_u32_e32 vcc, s0, v0
	s_and_saveexec_b64 s[0:1], vcc
	s_cbranch_execz .LBB154_7
; %bb.2:
	s_add_i32 s2, s7, 64
	s_lshl_b64 s[2:3], s[2:3], 4
	s_add_u32 s14, s4, s2
	s_addc_u32 s15, s5, s3
	v_mov_b64_e32 v[2:3], s[14:15]
	;;#ASMSTART
	global_load_dwordx4 v[2:5], v[2:3] off sc1	
s_waitcnt vmcnt(0)
	;;#ASMEND
	v_mov_b32_e32 v7, 0
	v_and_b32_e32 v6, 0xff, v4
	s_mov_b64 s[12:13], 0
	v_cmp_eq_u64_e32 vcc, 0, v[6:7]
	s_and_saveexec_b64 s[2:3], vcc
	s_cbranch_execz .LBB154_6
; %bb.3:
	v_mov_b64_e32 v[8:9], s[14:15]
.LBB154_4:                              ; =>This Inner Loop Header: Depth=1
	;;#ASMSTART
	global_load_dwordx4 v[2:5], v[8:9] off sc1	
s_waitcnt vmcnt(0)
	;;#ASMEND
	s_nop 0
	v_and_b32_e32 v6, 0xff, v4
	v_cmp_ne_u64_e32 vcc, 0, v[6:7]
	s_or_b64 s[12:13], vcc, s[12:13]
	s_andn2_b64 exec, exec, s[12:13]
	s_cbranch_execnz .LBB154_4
; %bb.5:
	s_or_b64 exec, exec, s[12:13]
.LBB154_6:
	s_or_b64 exec, exec, s[2:3]
	v_mov_b32_e32 v1, 0
	global_store_dword v1, v2, s[8:9]
	global_store_byte v1, v3, s[8:9] offset:4
.LBB154_7:
	s_or_b64 exec, exec, s[0:1]
.LBB154_8:
	v_cmp_eq_u32_e32 vcc, 0, v0
	s_and_saveexec_b64 s[0:1], vcc
	s_cbranch_execnz .LBB154_12
; %bb.9:
	s_or_b64 exec, exec, s[0:1]
	v_cmp_gt_u32_e32 vcc, s6, v0
	s_and_saveexec_b64 s[0:1], vcc
	s_cbranch_execnz .LBB154_13
.LBB154_10:
	s_or_b64 exec, exec, s[0:1]
	v_cmp_gt_u32_e32 vcc, 64, v0
	s_and_saveexec_b64 s[0:1], vcc
	s_cbranch_execnz .LBB154_14
.LBB154_11:
	s_endpgm
.LBB154_12:
	v_mov_b32_e32 v1, 0
	global_store_dword v1, v1, s[10:11]
	s_or_b64 exec, exec, s[0:1]
	v_cmp_gt_u32_e32 vcc, s6, v0
	s_and_saveexec_b64 s[0:1], vcc
	s_cbranch_execz .LBB154_10
.LBB154_13:
	v_add_u32_e32 v2, 64, v0
	v_mov_b32_e32 v3, 0
	v_lshl_add_u64 v[6:7], v[2:3], 4, s[4:5]
	v_mov_b32_e32 v2, v3
	v_mov_b32_e32 v4, v3
	;; [unrolled: 1-line block ×3, first 2 shown]
	global_store_dwordx4 v[6:7], v[2:5], off
	s_or_b64 exec, exec, s[0:1]
	v_cmp_gt_u32_e32 vcc, 64, v0
	s_and_saveexec_b64 s[0:1], vcc
	s_cbranch_execz .LBB154_11
.LBB154_14:
	v_mov_b32_e32 v1, 0
	v_lshl_add_u64 v[4:5], v[0:1], 4, s[4:5]
	v_mov_b32_e32 v2, 0xff
	v_mov_b32_e32 v0, v1
	;; [unrolled: 1-line block ×3, first 2 shown]
	global_store_dwordx4 v[4:5], v[0:3], off
	s_endpgm
	.section	.rodata,"a",@progbits
	.p2align	6, 0x0
	.amdhsa_kernel _ZN7rocprim17ROCPRIM_400000_NS6detail30init_device_scan_by_key_kernelINS1_19lookback_scan_stateINS0_5tupleIJibEEELb0ELb1EEENS1_16block_id_wrapperIjLb1EEEEEvT_jjPNS9_10value_typeET0_
		.amdhsa_group_segment_fixed_size 0
		.amdhsa_private_segment_fixed_size 0
		.amdhsa_kernarg_size 288
		.amdhsa_user_sgpr_count 2
		.amdhsa_user_sgpr_dispatch_ptr 0
		.amdhsa_user_sgpr_queue_ptr 0
		.amdhsa_user_sgpr_kernarg_segment_ptr 1
		.amdhsa_user_sgpr_dispatch_id 0
		.amdhsa_user_sgpr_kernarg_preload_length 0
		.amdhsa_user_sgpr_kernarg_preload_offset 0
		.amdhsa_user_sgpr_private_segment_size 0
		.amdhsa_uses_dynamic_stack 0
		.amdhsa_enable_private_segment 0
		.amdhsa_system_sgpr_workgroup_id_x 1
		.amdhsa_system_sgpr_workgroup_id_y 0
		.amdhsa_system_sgpr_workgroup_id_z 0
		.amdhsa_system_sgpr_workgroup_info 0
		.amdhsa_system_vgpr_workitem_id 0
		.amdhsa_next_free_vgpr 10
		.amdhsa_next_free_sgpr 16
		.amdhsa_accum_offset 12
		.amdhsa_reserve_vcc 1
		.amdhsa_float_round_mode_32 0
		.amdhsa_float_round_mode_16_64 0
		.amdhsa_float_denorm_mode_32 3
		.amdhsa_float_denorm_mode_16_64 3
		.amdhsa_dx10_clamp 1
		.amdhsa_ieee_mode 1
		.amdhsa_fp16_overflow 0
		.amdhsa_tg_split 0
		.amdhsa_exception_fp_ieee_invalid_op 0
		.amdhsa_exception_fp_denorm_src 0
		.amdhsa_exception_fp_ieee_div_zero 0
		.amdhsa_exception_fp_ieee_overflow 0
		.amdhsa_exception_fp_ieee_underflow 0
		.amdhsa_exception_fp_ieee_inexact 0
		.amdhsa_exception_int_div_zero 0
	.end_amdhsa_kernel
	.section	.text._ZN7rocprim17ROCPRIM_400000_NS6detail30init_device_scan_by_key_kernelINS1_19lookback_scan_stateINS0_5tupleIJibEEELb0ELb1EEENS1_16block_id_wrapperIjLb1EEEEEvT_jjPNS9_10value_typeET0_,"axG",@progbits,_ZN7rocprim17ROCPRIM_400000_NS6detail30init_device_scan_by_key_kernelINS1_19lookback_scan_stateINS0_5tupleIJibEEELb0ELb1EEENS1_16block_id_wrapperIjLb1EEEEEvT_jjPNS9_10value_typeET0_,comdat
.Lfunc_end154:
	.size	_ZN7rocprim17ROCPRIM_400000_NS6detail30init_device_scan_by_key_kernelINS1_19lookback_scan_stateINS0_5tupleIJibEEELb0ELb1EEENS1_16block_id_wrapperIjLb1EEEEEvT_jjPNS9_10value_typeET0_, .Lfunc_end154-_ZN7rocprim17ROCPRIM_400000_NS6detail30init_device_scan_by_key_kernelINS1_19lookback_scan_stateINS0_5tupleIJibEEELb0ELb1EEENS1_16block_id_wrapperIjLb1EEEEEvT_jjPNS9_10value_typeET0_
                                        ; -- End function
	.section	.AMDGPU.csdata,"",@progbits
; Kernel info:
; codeLenInByte = 380
; NumSgprs: 22
; NumVgprs: 10
; NumAgprs: 0
; TotalNumVgprs: 10
; ScratchSize: 0
; MemoryBound: 0
; FloatMode: 240
; IeeeMode: 1
; LDSByteSize: 0 bytes/workgroup (compile time only)
; SGPRBlocks: 2
; VGPRBlocks: 1
; NumSGPRsForWavesPerEU: 22
; NumVGPRsForWavesPerEU: 10
; AccumOffset: 12
; Occupancy: 8
; WaveLimiterHint : 0
; COMPUTE_PGM_RSRC2:SCRATCH_EN: 0
; COMPUTE_PGM_RSRC2:USER_SGPR: 2
; COMPUTE_PGM_RSRC2:TRAP_HANDLER: 0
; COMPUTE_PGM_RSRC2:TGID_X_EN: 1
; COMPUTE_PGM_RSRC2:TGID_Y_EN: 0
; COMPUTE_PGM_RSRC2:TGID_Z_EN: 0
; COMPUTE_PGM_RSRC2:TIDIG_COMP_CNT: 0
; COMPUTE_PGM_RSRC3_GFX90A:ACCUM_OFFSET: 2
; COMPUTE_PGM_RSRC3_GFX90A:TG_SPLIT: 0
	.section	.text._ZN7rocprim17ROCPRIM_400000_NS6detail17trampoline_kernelINS0_14default_configENS1_27scan_by_key_config_selectorIiiEEZZNS1_16scan_by_key_implILNS1_25lookback_scan_determinismE0ELb0ES3_N6thrust23THRUST_200600_302600_NS6detail15normal_iteratorINS9_10device_ptrIiEEEESE_SE_iNS9_4plusIvEENS9_8equal_toIvEEiEE10hipError_tPvRmT2_T3_T4_T5_mT6_T7_P12ihipStream_tbENKUlT_T0_E_clISt17integral_constantIbLb0EESY_IbLb1EEEEDaSU_SV_EUlSU_E_NS1_11comp_targetILNS1_3genE0ELNS1_11target_archE4294967295ELNS1_3gpuE0ELNS1_3repE0EEENS1_30default_config_static_selectorELNS0_4arch9wavefront6targetE1EEEvT1_,"axG",@progbits,_ZN7rocprim17ROCPRIM_400000_NS6detail17trampoline_kernelINS0_14default_configENS1_27scan_by_key_config_selectorIiiEEZZNS1_16scan_by_key_implILNS1_25lookback_scan_determinismE0ELb0ES3_N6thrust23THRUST_200600_302600_NS6detail15normal_iteratorINS9_10device_ptrIiEEEESE_SE_iNS9_4plusIvEENS9_8equal_toIvEEiEE10hipError_tPvRmT2_T3_T4_T5_mT6_T7_P12ihipStream_tbENKUlT_T0_E_clISt17integral_constantIbLb0EESY_IbLb1EEEEDaSU_SV_EUlSU_E_NS1_11comp_targetILNS1_3genE0ELNS1_11target_archE4294967295ELNS1_3gpuE0ELNS1_3repE0EEENS1_30default_config_static_selectorELNS0_4arch9wavefront6targetE1EEEvT1_,comdat
	.protected	_ZN7rocprim17ROCPRIM_400000_NS6detail17trampoline_kernelINS0_14default_configENS1_27scan_by_key_config_selectorIiiEEZZNS1_16scan_by_key_implILNS1_25lookback_scan_determinismE0ELb0ES3_N6thrust23THRUST_200600_302600_NS6detail15normal_iteratorINS9_10device_ptrIiEEEESE_SE_iNS9_4plusIvEENS9_8equal_toIvEEiEE10hipError_tPvRmT2_T3_T4_T5_mT6_T7_P12ihipStream_tbENKUlT_T0_E_clISt17integral_constantIbLb0EESY_IbLb1EEEEDaSU_SV_EUlSU_E_NS1_11comp_targetILNS1_3genE0ELNS1_11target_archE4294967295ELNS1_3gpuE0ELNS1_3repE0EEENS1_30default_config_static_selectorELNS0_4arch9wavefront6targetE1EEEvT1_ ; -- Begin function _ZN7rocprim17ROCPRIM_400000_NS6detail17trampoline_kernelINS0_14default_configENS1_27scan_by_key_config_selectorIiiEEZZNS1_16scan_by_key_implILNS1_25lookback_scan_determinismE0ELb0ES3_N6thrust23THRUST_200600_302600_NS6detail15normal_iteratorINS9_10device_ptrIiEEEESE_SE_iNS9_4plusIvEENS9_8equal_toIvEEiEE10hipError_tPvRmT2_T3_T4_T5_mT6_T7_P12ihipStream_tbENKUlT_T0_E_clISt17integral_constantIbLb0EESY_IbLb1EEEEDaSU_SV_EUlSU_E_NS1_11comp_targetILNS1_3genE0ELNS1_11target_archE4294967295ELNS1_3gpuE0ELNS1_3repE0EEENS1_30default_config_static_selectorELNS0_4arch9wavefront6targetE1EEEvT1_
	.globl	_ZN7rocprim17ROCPRIM_400000_NS6detail17trampoline_kernelINS0_14default_configENS1_27scan_by_key_config_selectorIiiEEZZNS1_16scan_by_key_implILNS1_25lookback_scan_determinismE0ELb0ES3_N6thrust23THRUST_200600_302600_NS6detail15normal_iteratorINS9_10device_ptrIiEEEESE_SE_iNS9_4plusIvEENS9_8equal_toIvEEiEE10hipError_tPvRmT2_T3_T4_T5_mT6_T7_P12ihipStream_tbENKUlT_T0_E_clISt17integral_constantIbLb0EESY_IbLb1EEEEDaSU_SV_EUlSU_E_NS1_11comp_targetILNS1_3genE0ELNS1_11target_archE4294967295ELNS1_3gpuE0ELNS1_3repE0EEENS1_30default_config_static_selectorELNS0_4arch9wavefront6targetE1EEEvT1_
	.p2align	8
	.type	_ZN7rocprim17ROCPRIM_400000_NS6detail17trampoline_kernelINS0_14default_configENS1_27scan_by_key_config_selectorIiiEEZZNS1_16scan_by_key_implILNS1_25lookback_scan_determinismE0ELb0ES3_N6thrust23THRUST_200600_302600_NS6detail15normal_iteratorINS9_10device_ptrIiEEEESE_SE_iNS9_4plusIvEENS9_8equal_toIvEEiEE10hipError_tPvRmT2_T3_T4_T5_mT6_T7_P12ihipStream_tbENKUlT_T0_E_clISt17integral_constantIbLb0EESY_IbLb1EEEEDaSU_SV_EUlSU_E_NS1_11comp_targetILNS1_3genE0ELNS1_11target_archE4294967295ELNS1_3gpuE0ELNS1_3repE0EEENS1_30default_config_static_selectorELNS0_4arch9wavefront6targetE1EEEvT1_,@function
_ZN7rocprim17ROCPRIM_400000_NS6detail17trampoline_kernelINS0_14default_configENS1_27scan_by_key_config_selectorIiiEEZZNS1_16scan_by_key_implILNS1_25lookback_scan_determinismE0ELb0ES3_N6thrust23THRUST_200600_302600_NS6detail15normal_iteratorINS9_10device_ptrIiEEEESE_SE_iNS9_4plusIvEENS9_8equal_toIvEEiEE10hipError_tPvRmT2_T3_T4_T5_mT6_T7_P12ihipStream_tbENKUlT_T0_E_clISt17integral_constantIbLb0EESY_IbLb1EEEEDaSU_SV_EUlSU_E_NS1_11comp_targetILNS1_3genE0ELNS1_11target_archE4294967295ELNS1_3gpuE0ELNS1_3repE0EEENS1_30default_config_static_selectorELNS0_4arch9wavefront6targetE1EEEvT1_: ; @_ZN7rocprim17ROCPRIM_400000_NS6detail17trampoline_kernelINS0_14default_configENS1_27scan_by_key_config_selectorIiiEEZZNS1_16scan_by_key_implILNS1_25lookback_scan_determinismE0ELb0ES3_N6thrust23THRUST_200600_302600_NS6detail15normal_iteratorINS9_10device_ptrIiEEEESE_SE_iNS9_4plusIvEENS9_8equal_toIvEEiEE10hipError_tPvRmT2_T3_T4_T5_mT6_T7_P12ihipStream_tbENKUlT_T0_E_clISt17integral_constantIbLb0EESY_IbLb1EEEEDaSU_SV_EUlSU_E_NS1_11comp_targetILNS1_3genE0ELNS1_11target_archE4294967295ELNS1_3gpuE0ELNS1_3repE0EEENS1_30default_config_static_selectorELNS0_4arch9wavefront6targetE1EEEvT1_
; %bb.0:
	.section	.rodata,"a",@progbits
	.p2align	6, 0x0
	.amdhsa_kernel _ZN7rocprim17ROCPRIM_400000_NS6detail17trampoline_kernelINS0_14default_configENS1_27scan_by_key_config_selectorIiiEEZZNS1_16scan_by_key_implILNS1_25lookback_scan_determinismE0ELb0ES3_N6thrust23THRUST_200600_302600_NS6detail15normal_iteratorINS9_10device_ptrIiEEEESE_SE_iNS9_4plusIvEENS9_8equal_toIvEEiEE10hipError_tPvRmT2_T3_T4_T5_mT6_T7_P12ihipStream_tbENKUlT_T0_E_clISt17integral_constantIbLb0EESY_IbLb1EEEEDaSU_SV_EUlSU_E_NS1_11comp_targetILNS1_3genE0ELNS1_11target_archE4294967295ELNS1_3gpuE0ELNS1_3repE0EEENS1_30default_config_static_selectorELNS0_4arch9wavefront6targetE1EEEvT1_
		.amdhsa_group_segment_fixed_size 0
		.amdhsa_private_segment_fixed_size 0
		.amdhsa_kernarg_size 112
		.amdhsa_user_sgpr_count 2
		.amdhsa_user_sgpr_dispatch_ptr 0
		.amdhsa_user_sgpr_queue_ptr 0
		.amdhsa_user_sgpr_kernarg_segment_ptr 1
		.amdhsa_user_sgpr_dispatch_id 0
		.amdhsa_user_sgpr_kernarg_preload_length 0
		.amdhsa_user_sgpr_kernarg_preload_offset 0
		.amdhsa_user_sgpr_private_segment_size 0
		.amdhsa_uses_dynamic_stack 0
		.amdhsa_enable_private_segment 0
		.amdhsa_system_sgpr_workgroup_id_x 1
		.amdhsa_system_sgpr_workgroup_id_y 0
		.amdhsa_system_sgpr_workgroup_id_z 0
		.amdhsa_system_sgpr_workgroup_info 0
		.amdhsa_system_vgpr_workitem_id 0
		.amdhsa_next_free_vgpr 1
		.amdhsa_next_free_sgpr 0
		.amdhsa_accum_offset 4
		.amdhsa_reserve_vcc 0
		.amdhsa_float_round_mode_32 0
		.amdhsa_float_round_mode_16_64 0
		.amdhsa_float_denorm_mode_32 3
		.amdhsa_float_denorm_mode_16_64 3
		.amdhsa_dx10_clamp 1
		.amdhsa_ieee_mode 1
		.amdhsa_fp16_overflow 0
		.amdhsa_tg_split 0
		.amdhsa_exception_fp_ieee_invalid_op 0
		.amdhsa_exception_fp_denorm_src 0
		.amdhsa_exception_fp_ieee_div_zero 0
		.amdhsa_exception_fp_ieee_overflow 0
		.amdhsa_exception_fp_ieee_underflow 0
		.amdhsa_exception_fp_ieee_inexact 0
		.amdhsa_exception_int_div_zero 0
	.end_amdhsa_kernel
	.section	.text._ZN7rocprim17ROCPRIM_400000_NS6detail17trampoline_kernelINS0_14default_configENS1_27scan_by_key_config_selectorIiiEEZZNS1_16scan_by_key_implILNS1_25lookback_scan_determinismE0ELb0ES3_N6thrust23THRUST_200600_302600_NS6detail15normal_iteratorINS9_10device_ptrIiEEEESE_SE_iNS9_4plusIvEENS9_8equal_toIvEEiEE10hipError_tPvRmT2_T3_T4_T5_mT6_T7_P12ihipStream_tbENKUlT_T0_E_clISt17integral_constantIbLb0EESY_IbLb1EEEEDaSU_SV_EUlSU_E_NS1_11comp_targetILNS1_3genE0ELNS1_11target_archE4294967295ELNS1_3gpuE0ELNS1_3repE0EEENS1_30default_config_static_selectorELNS0_4arch9wavefront6targetE1EEEvT1_,"axG",@progbits,_ZN7rocprim17ROCPRIM_400000_NS6detail17trampoline_kernelINS0_14default_configENS1_27scan_by_key_config_selectorIiiEEZZNS1_16scan_by_key_implILNS1_25lookback_scan_determinismE0ELb0ES3_N6thrust23THRUST_200600_302600_NS6detail15normal_iteratorINS9_10device_ptrIiEEEESE_SE_iNS9_4plusIvEENS9_8equal_toIvEEiEE10hipError_tPvRmT2_T3_T4_T5_mT6_T7_P12ihipStream_tbENKUlT_T0_E_clISt17integral_constantIbLb0EESY_IbLb1EEEEDaSU_SV_EUlSU_E_NS1_11comp_targetILNS1_3genE0ELNS1_11target_archE4294967295ELNS1_3gpuE0ELNS1_3repE0EEENS1_30default_config_static_selectorELNS0_4arch9wavefront6targetE1EEEvT1_,comdat
.Lfunc_end155:
	.size	_ZN7rocprim17ROCPRIM_400000_NS6detail17trampoline_kernelINS0_14default_configENS1_27scan_by_key_config_selectorIiiEEZZNS1_16scan_by_key_implILNS1_25lookback_scan_determinismE0ELb0ES3_N6thrust23THRUST_200600_302600_NS6detail15normal_iteratorINS9_10device_ptrIiEEEESE_SE_iNS9_4plusIvEENS9_8equal_toIvEEiEE10hipError_tPvRmT2_T3_T4_T5_mT6_T7_P12ihipStream_tbENKUlT_T0_E_clISt17integral_constantIbLb0EESY_IbLb1EEEEDaSU_SV_EUlSU_E_NS1_11comp_targetILNS1_3genE0ELNS1_11target_archE4294967295ELNS1_3gpuE0ELNS1_3repE0EEENS1_30default_config_static_selectorELNS0_4arch9wavefront6targetE1EEEvT1_, .Lfunc_end155-_ZN7rocprim17ROCPRIM_400000_NS6detail17trampoline_kernelINS0_14default_configENS1_27scan_by_key_config_selectorIiiEEZZNS1_16scan_by_key_implILNS1_25lookback_scan_determinismE0ELb0ES3_N6thrust23THRUST_200600_302600_NS6detail15normal_iteratorINS9_10device_ptrIiEEEESE_SE_iNS9_4plusIvEENS9_8equal_toIvEEiEE10hipError_tPvRmT2_T3_T4_T5_mT6_T7_P12ihipStream_tbENKUlT_T0_E_clISt17integral_constantIbLb0EESY_IbLb1EEEEDaSU_SV_EUlSU_E_NS1_11comp_targetILNS1_3genE0ELNS1_11target_archE4294967295ELNS1_3gpuE0ELNS1_3repE0EEENS1_30default_config_static_selectorELNS0_4arch9wavefront6targetE1EEEvT1_
                                        ; -- End function
	.section	.AMDGPU.csdata,"",@progbits
; Kernel info:
; codeLenInByte = 0
; NumSgprs: 6
; NumVgprs: 0
; NumAgprs: 0
; TotalNumVgprs: 0
; ScratchSize: 0
; MemoryBound: 0
; FloatMode: 240
; IeeeMode: 1
; LDSByteSize: 0 bytes/workgroup (compile time only)
; SGPRBlocks: 0
; VGPRBlocks: 0
; NumSGPRsForWavesPerEU: 6
; NumVGPRsForWavesPerEU: 1
; AccumOffset: 4
; Occupancy: 8
; WaveLimiterHint : 0
; COMPUTE_PGM_RSRC2:SCRATCH_EN: 0
; COMPUTE_PGM_RSRC2:USER_SGPR: 2
; COMPUTE_PGM_RSRC2:TRAP_HANDLER: 0
; COMPUTE_PGM_RSRC2:TGID_X_EN: 1
; COMPUTE_PGM_RSRC2:TGID_Y_EN: 0
; COMPUTE_PGM_RSRC2:TGID_Z_EN: 0
; COMPUTE_PGM_RSRC2:TIDIG_COMP_CNT: 0
; COMPUTE_PGM_RSRC3_GFX90A:ACCUM_OFFSET: 0
; COMPUTE_PGM_RSRC3_GFX90A:TG_SPLIT: 0
	.section	.text._ZN7rocprim17ROCPRIM_400000_NS6detail17trampoline_kernelINS0_14default_configENS1_27scan_by_key_config_selectorIiiEEZZNS1_16scan_by_key_implILNS1_25lookback_scan_determinismE0ELb0ES3_N6thrust23THRUST_200600_302600_NS6detail15normal_iteratorINS9_10device_ptrIiEEEESE_SE_iNS9_4plusIvEENS9_8equal_toIvEEiEE10hipError_tPvRmT2_T3_T4_T5_mT6_T7_P12ihipStream_tbENKUlT_T0_E_clISt17integral_constantIbLb0EESY_IbLb1EEEEDaSU_SV_EUlSU_E_NS1_11comp_targetILNS1_3genE10ELNS1_11target_archE1201ELNS1_3gpuE5ELNS1_3repE0EEENS1_30default_config_static_selectorELNS0_4arch9wavefront6targetE1EEEvT1_,"axG",@progbits,_ZN7rocprim17ROCPRIM_400000_NS6detail17trampoline_kernelINS0_14default_configENS1_27scan_by_key_config_selectorIiiEEZZNS1_16scan_by_key_implILNS1_25lookback_scan_determinismE0ELb0ES3_N6thrust23THRUST_200600_302600_NS6detail15normal_iteratorINS9_10device_ptrIiEEEESE_SE_iNS9_4plusIvEENS9_8equal_toIvEEiEE10hipError_tPvRmT2_T3_T4_T5_mT6_T7_P12ihipStream_tbENKUlT_T0_E_clISt17integral_constantIbLb0EESY_IbLb1EEEEDaSU_SV_EUlSU_E_NS1_11comp_targetILNS1_3genE10ELNS1_11target_archE1201ELNS1_3gpuE5ELNS1_3repE0EEENS1_30default_config_static_selectorELNS0_4arch9wavefront6targetE1EEEvT1_,comdat
	.protected	_ZN7rocprim17ROCPRIM_400000_NS6detail17trampoline_kernelINS0_14default_configENS1_27scan_by_key_config_selectorIiiEEZZNS1_16scan_by_key_implILNS1_25lookback_scan_determinismE0ELb0ES3_N6thrust23THRUST_200600_302600_NS6detail15normal_iteratorINS9_10device_ptrIiEEEESE_SE_iNS9_4plusIvEENS9_8equal_toIvEEiEE10hipError_tPvRmT2_T3_T4_T5_mT6_T7_P12ihipStream_tbENKUlT_T0_E_clISt17integral_constantIbLb0EESY_IbLb1EEEEDaSU_SV_EUlSU_E_NS1_11comp_targetILNS1_3genE10ELNS1_11target_archE1201ELNS1_3gpuE5ELNS1_3repE0EEENS1_30default_config_static_selectorELNS0_4arch9wavefront6targetE1EEEvT1_ ; -- Begin function _ZN7rocprim17ROCPRIM_400000_NS6detail17trampoline_kernelINS0_14default_configENS1_27scan_by_key_config_selectorIiiEEZZNS1_16scan_by_key_implILNS1_25lookback_scan_determinismE0ELb0ES3_N6thrust23THRUST_200600_302600_NS6detail15normal_iteratorINS9_10device_ptrIiEEEESE_SE_iNS9_4plusIvEENS9_8equal_toIvEEiEE10hipError_tPvRmT2_T3_T4_T5_mT6_T7_P12ihipStream_tbENKUlT_T0_E_clISt17integral_constantIbLb0EESY_IbLb1EEEEDaSU_SV_EUlSU_E_NS1_11comp_targetILNS1_3genE10ELNS1_11target_archE1201ELNS1_3gpuE5ELNS1_3repE0EEENS1_30default_config_static_selectorELNS0_4arch9wavefront6targetE1EEEvT1_
	.globl	_ZN7rocprim17ROCPRIM_400000_NS6detail17trampoline_kernelINS0_14default_configENS1_27scan_by_key_config_selectorIiiEEZZNS1_16scan_by_key_implILNS1_25lookback_scan_determinismE0ELb0ES3_N6thrust23THRUST_200600_302600_NS6detail15normal_iteratorINS9_10device_ptrIiEEEESE_SE_iNS9_4plusIvEENS9_8equal_toIvEEiEE10hipError_tPvRmT2_T3_T4_T5_mT6_T7_P12ihipStream_tbENKUlT_T0_E_clISt17integral_constantIbLb0EESY_IbLb1EEEEDaSU_SV_EUlSU_E_NS1_11comp_targetILNS1_3genE10ELNS1_11target_archE1201ELNS1_3gpuE5ELNS1_3repE0EEENS1_30default_config_static_selectorELNS0_4arch9wavefront6targetE1EEEvT1_
	.p2align	8
	.type	_ZN7rocprim17ROCPRIM_400000_NS6detail17trampoline_kernelINS0_14default_configENS1_27scan_by_key_config_selectorIiiEEZZNS1_16scan_by_key_implILNS1_25lookback_scan_determinismE0ELb0ES3_N6thrust23THRUST_200600_302600_NS6detail15normal_iteratorINS9_10device_ptrIiEEEESE_SE_iNS9_4plusIvEENS9_8equal_toIvEEiEE10hipError_tPvRmT2_T3_T4_T5_mT6_T7_P12ihipStream_tbENKUlT_T0_E_clISt17integral_constantIbLb0EESY_IbLb1EEEEDaSU_SV_EUlSU_E_NS1_11comp_targetILNS1_3genE10ELNS1_11target_archE1201ELNS1_3gpuE5ELNS1_3repE0EEENS1_30default_config_static_selectorELNS0_4arch9wavefront6targetE1EEEvT1_,@function
_ZN7rocprim17ROCPRIM_400000_NS6detail17trampoline_kernelINS0_14default_configENS1_27scan_by_key_config_selectorIiiEEZZNS1_16scan_by_key_implILNS1_25lookback_scan_determinismE0ELb0ES3_N6thrust23THRUST_200600_302600_NS6detail15normal_iteratorINS9_10device_ptrIiEEEESE_SE_iNS9_4plusIvEENS9_8equal_toIvEEiEE10hipError_tPvRmT2_T3_T4_T5_mT6_T7_P12ihipStream_tbENKUlT_T0_E_clISt17integral_constantIbLb0EESY_IbLb1EEEEDaSU_SV_EUlSU_E_NS1_11comp_targetILNS1_3genE10ELNS1_11target_archE1201ELNS1_3gpuE5ELNS1_3repE0EEENS1_30default_config_static_selectorELNS0_4arch9wavefront6targetE1EEEvT1_: ; @_ZN7rocprim17ROCPRIM_400000_NS6detail17trampoline_kernelINS0_14default_configENS1_27scan_by_key_config_selectorIiiEEZZNS1_16scan_by_key_implILNS1_25lookback_scan_determinismE0ELb0ES3_N6thrust23THRUST_200600_302600_NS6detail15normal_iteratorINS9_10device_ptrIiEEEESE_SE_iNS9_4plusIvEENS9_8equal_toIvEEiEE10hipError_tPvRmT2_T3_T4_T5_mT6_T7_P12ihipStream_tbENKUlT_T0_E_clISt17integral_constantIbLb0EESY_IbLb1EEEEDaSU_SV_EUlSU_E_NS1_11comp_targetILNS1_3genE10ELNS1_11target_archE1201ELNS1_3gpuE5ELNS1_3repE0EEENS1_30default_config_static_selectorELNS0_4arch9wavefront6targetE1EEEvT1_
; %bb.0:
	.section	.rodata,"a",@progbits
	.p2align	6, 0x0
	.amdhsa_kernel _ZN7rocprim17ROCPRIM_400000_NS6detail17trampoline_kernelINS0_14default_configENS1_27scan_by_key_config_selectorIiiEEZZNS1_16scan_by_key_implILNS1_25lookback_scan_determinismE0ELb0ES3_N6thrust23THRUST_200600_302600_NS6detail15normal_iteratorINS9_10device_ptrIiEEEESE_SE_iNS9_4plusIvEENS9_8equal_toIvEEiEE10hipError_tPvRmT2_T3_T4_T5_mT6_T7_P12ihipStream_tbENKUlT_T0_E_clISt17integral_constantIbLb0EESY_IbLb1EEEEDaSU_SV_EUlSU_E_NS1_11comp_targetILNS1_3genE10ELNS1_11target_archE1201ELNS1_3gpuE5ELNS1_3repE0EEENS1_30default_config_static_selectorELNS0_4arch9wavefront6targetE1EEEvT1_
		.amdhsa_group_segment_fixed_size 0
		.amdhsa_private_segment_fixed_size 0
		.amdhsa_kernarg_size 112
		.amdhsa_user_sgpr_count 2
		.amdhsa_user_sgpr_dispatch_ptr 0
		.amdhsa_user_sgpr_queue_ptr 0
		.amdhsa_user_sgpr_kernarg_segment_ptr 1
		.amdhsa_user_sgpr_dispatch_id 0
		.amdhsa_user_sgpr_kernarg_preload_length 0
		.amdhsa_user_sgpr_kernarg_preload_offset 0
		.amdhsa_user_sgpr_private_segment_size 0
		.amdhsa_uses_dynamic_stack 0
		.amdhsa_enable_private_segment 0
		.amdhsa_system_sgpr_workgroup_id_x 1
		.amdhsa_system_sgpr_workgroup_id_y 0
		.amdhsa_system_sgpr_workgroup_id_z 0
		.amdhsa_system_sgpr_workgroup_info 0
		.amdhsa_system_vgpr_workitem_id 0
		.amdhsa_next_free_vgpr 1
		.amdhsa_next_free_sgpr 0
		.amdhsa_accum_offset 4
		.amdhsa_reserve_vcc 0
		.amdhsa_float_round_mode_32 0
		.amdhsa_float_round_mode_16_64 0
		.amdhsa_float_denorm_mode_32 3
		.amdhsa_float_denorm_mode_16_64 3
		.amdhsa_dx10_clamp 1
		.amdhsa_ieee_mode 1
		.amdhsa_fp16_overflow 0
		.amdhsa_tg_split 0
		.amdhsa_exception_fp_ieee_invalid_op 0
		.amdhsa_exception_fp_denorm_src 0
		.amdhsa_exception_fp_ieee_div_zero 0
		.amdhsa_exception_fp_ieee_overflow 0
		.amdhsa_exception_fp_ieee_underflow 0
		.amdhsa_exception_fp_ieee_inexact 0
		.amdhsa_exception_int_div_zero 0
	.end_amdhsa_kernel
	.section	.text._ZN7rocprim17ROCPRIM_400000_NS6detail17trampoline_kernelINS0_14default_configENS1_27scan_by_key_config_selectorIiiEEZZNS1_16scan_by_key_implILNS1_25lookback_scan_determinismE0ELb0ES3_N6thrust23THRUST_200600_302600_NS6detail15normal_iteratorINS9_10device_ptrIiEEEESE_SE_iNS9_4plusIvEENS9_8equal_toIvEEiEE10hipError_tPvRmT2_T3_T4_T5_mT6_T7_P12ihipStream_tbENKUlT_T0_E_clISt17integral_constantIbLb0EESY_IbLb1EEEEDaSU_SV_EUlSU_E_NS1_11comp_targetILNS1_3genE10ELNS1_11target_archE1201ELNS1_3gpuE5ELNS1_3repE0EEENS1_30default_config_static_selectorELNS0_4arch9wavefront6targetE1EEEvT1_,"axG",@progbits,_ZN7rocprim17ROCPRIM_400000_NS6detail17trampoline_kernelINS0_14default_configENS1_27scan_by_key_config_selectorIiiEEZZNS1_16scan_by_key_implILNS1_25lookback_scan_determinismE0ELb0ES3_N6thrust23THRUST_200600_302600_NS6detail15normal_iteratorINS9_10device_ptrIiEEEESE_SE_iNS9_4plusIvEENS9_8equal_toIvEEiEE10hipError_tPvRmT2_T3_T4_T5_mT6_T7_P12ihipStream_tbENKUlT_T0_E_clISt17integral_constantIbLb0EESY_IbLb1EEEEDaSU_SV_EUlSU_E_NS1_11comp_targetILNS1_3genE10ELNS1_11target_archE1201ELNS1_3gpuE5ELNS1_3repE0EEENS1_30default_config_static_selectorELNS0_4arch9wavefront6targetE1EEEvT1_,comdat
.Lfunc_end156:
	.size	_ZN7rocprim17ROCPRIM_400000_NS6detail17trampoline_kernelINS0_14default_configENS1_27scan_by_key_config_selectorIiiEEZZNS1_16scan_by_key_implILNS1_25lookback_scan_determinismE0ELb0ES3_N6thrust23THRUST_200600_302600_NS6detail15normal_iteratorINS9_10device_ptrIiEEEESE_SE_iNS9_4plusIvEENS9_8equal_toIvEEiEE10hipError_tPvRmT2_T3_T4_T5_mT6_T7_P12ihipStream_tbENKUlT_T0_E_clISt17integral_constantIbLb0EESY_IbLb1EEEEDaSU_SV_EUlSU_E_NS1_11comp_targetILNS1_3genE10ELNS1_11target_archE1201ELNS1_3gpuE5ELNS1_3repE0EEENS1_30default_config_static_selectorELNS0_4arch9wavefront6targetE1EEEvT1_, .Lfunc_end156-_ZN7rocprim17ROCPRIM_400000_NS6detail17trampoline_kernelINS0_14default_configENS1_27scan_by_key_config_selectorIiiEEZZNS1_16scan_by_key_implILNS1_25lookback_scan_determinismE0ELb0ES3_N6thrust23THRUST_200600_302600_NS6detail15normal_iteratorINS9_10device_ptrIiEEEESE_SE_iNS9_4plusIvEENS9_8equal_toIvEEiEE10hipError_tPvRmT2_T3_T4_T5_mT6_T7_P12ihipStream_tbENKUlT_T0_E_clISt17integral_constantIbLb0EESY_IbLb1EEEEDaSU_SV_EUlSU_E_NS1_11comp_targetILNS1_3genE10ELNS1_11target_archE1201ELNS1_3gpuE5ELNS1_3repE0EEENS1_30default_config_static_selectorELNS0_4arch9wavefront6targetE1EEEvT1_
                                        ; -- End function
	.section	.AMDGPU.csdata,"",@progbits
; Kernel info:
; codeLenInByte = 0
; NumSgprs: 6
; NumVgprs: 0
; NumAgprs: 0
; TotalNumVgprs: 0
; ScratchSize: 0
; MemoryBound: 0
; FloatMode: 240
; IeeeMode: 1
; LDSByteSize: 0 bytes/workgroup (compile time only)
; SGPRBlocks: 0
; VGPRBlocks: 0
; NumSGPRsForWavesPerEU: 6
; NumVGPRsForWavesPerEU: 1
; AccumOffset: 4
; Occupancy: 8
; WaveLimiterHint : 0
; COMPUTE_PGM_RSRC2:SCRATCH_EN: 0
; COMPUTE_PGM_RSRC2:USER_SGPR: 2
; COMPUTE_PGM_RSRC2:TRAP_HANDLER: 0
; COMPUTE_PGM_RSRC2:TGID_X_EN: 1
; COMPUTE_PGM_RSRC2:TGID_Y_EN: 0
; COMPUTE_PGM_RSRC2:TGID_Z_EN: 0
; COMPUTE_PGM_RSRC2:TIDIG_COMP_CNT: 0
; COMPUTE_PGM_RSRC3_GFX90A:ACCUM_OFFSET: 0
; COMPUTE_PGM_RSRC3_GFX90A:TG_SPLIT: 0
	.section	.text._ZN7rocprim17ROCPRIM_400000_NS6detail17trampoline_kernelINS0_14default_configENS1_27scan_by_key_config_selectorIiiEEZZNS1_16scan_by_key_implILNS1_25lookback_scan_determinismE0ELb0ES3_N6thrust23THRUST_200600_302600_NS6detail15normal_iteratorINS9_10device_ptrIiEEEESE_SE_iNS9_4plusIvEENS9_8equal_toIvEEiEE10hipError_tPvRmT2_T3_T4_T5_mT6_T7_P12ihipStream_tbENKUlT_T0_E_clISt17integral_constantIbLb0EESY_IbLb1EEEEDaSU_SV_EUlSU_E_NS1_11comp_targetILNS1_3genE5ELNS1_11target_archE942ELNS1_3gpuE9ELNS1_3repE0EEENS1_30default_config_static_selectorELNS0_4arch9wavefront6targetE1EEEvT1_,"axG",@progbits,_ZN7rocprim17ROCPRIM_400000_NS6detail17trampoline_kernelINS0_14default_configENS1_27scan_by_key_config_selectorIiiEEZZNS1_16scan_by_key_implILNS1_25lookback_scan_determinismE0ELb0ES3_N6thrust23THRUST_200600_302600_NS6detail15normal_iteratorINS9_10device_ptrIiEEEESE_SE_iNS9_4plusIvEENS9_8equal_toIvEEiEE10hipError_tPvRmT2_T3_T4_T5_mT6_T7_P12ihipStream_tbENKUlT_T0_E_clISt17integral_constantIbLb0EESY_IbLb1EEEEDaSU_SV_EUlSU_E_NS1_11comp_targetILNS1_3genE5ELNS1_11target_archE942ELNS1_3gpuE9ELNS1_3repE0EEENS1_30default_config_static_selectorELNS0_4arch9wavefront6targetE1EEEvT1_,comdat
	.protected	_ZN7rocprim17ROCPRIM_400000_NS6detail17trampoline_kernelINS0_14default_configENS1_27scan_by_key_config_selectorIiiEEZZNS1_16scan_by_key_implILNS1_25lookback_scan_determinismE0ELb0ES3_N6thrust23THRUST_200600_302600_NS6detail15normal_iteratorINS9_10device_ptrIiEEEESE_SE_iNS9_4plusIvEENS9_8equal_toIvEEiEE10hipError_tPvRmT2_T3_T4_T5_mT6_T7_P12ihipStream_tbENKUlT_T0_E_clISt17integral_constantIbLb0EESY_IbLb1EEEEDaSU_SV_EUlSU_E_NS1_11comp_targetILNS1_3genE5ELNS1_11target_archE942ELNS1_3gpuE9ELNS1_3repE0EEENS1_30default_config_static_selectorELNS0_4arch9wavefront6targetE1EEEvT1_ ; -- Begin function _ZN7rocprim17ROCPRIM_400000_NS6detail17trampoline_kernelINS0_14default_configENS1_27scan_by_key_config_selectorIiiEEZZNS1_16scan_by_key_implILNS1_25lookback_scan_determinismE0ELb0ES3_N6thrust23THRUST_200600_302600_NS6detail15normal_iteratorINS9_10device_ptrIiEEEESE_SE_iNS9_4plusIvEENS9_8equal_toIvEEiEE10hipError_tPvRmT2_T3_T4_T5_mT6_T7_P12ihipStream_tbENKUlT_T0_E_clISt17integral_constantIbLb0EESY_IbLb1EEEEDaSU_SV_EUlSU_E_NS1_11comp_targetILNS1_3genE5ELNS1_11target_archE942ELNS1_3gpuE9ELNS1_3repE0EEENS1_30default_config_static_selectorELNS0_4arch9wavefront6targetE1EEEvT1_
	.globl	_ZN7rocprim17ROCPRIM_400000_NS6detail17trampoline_kernelINS0_14default_configENS1_27scan_by_key_config_selectorIiiEEZZNS1_16scan_by_key_implILNS1_25lookback_scan_determinismE0ELb0ES3_N6thrust23THRUST_200600_302600_NS6detail15normal_iteratorINS9_10device_ptrIiEEEESE_SE_iNS9_4plusIvEENS9_8equal_toIvEEiEE10hipError_tPvRmT2_T3_T4_T5_mT6_T7_P12ihipStream_tbENKUlT_T0_E_clISt17integral_constantIbLb0EESY_IbLb1EEEEDaSU_SV_EUlSU_E_NS1_11comp_targetILNS1_3genE5ELNS1_11target_archE942ELNS1_3gpuE9ELNS1_3repE0EEENS1_30default_config_static_selectorELNS0_4arch9wavefront6targetE1EEEvT1_
	.p2align	8
	.type	_ZN7rocprim17ROCPRIM_400000_NS6detail17trampoline_kernelINS0_14default_configENS1_27scan_by_key_config_selectorIiiEEZZNS1_16scan_by_key_implILNS1_25lookback_scan_determinismE0ELb0ES3_N6thrust23THRUST_200600_302600_NS6detail15normal_iteratorINS9_10device_ptrIiEEEESE_SE_iNS9_4plusIvEENS9_8equal_toIvEEiEE10hipError_tPvRmT2_T3_T4_T5_mT6_T7_P12ihipStream_tbENKUlT_T0_E_clISt17integral_constantIbLb0EESY_IbLb1EEEEDaSU_SV_EUlSU_E_NS1_11comp_targetILNS1_3genE5ELNS1_11target_archE942ELNS1_3gpuE9ELNS1_3repE0EEENS1_30default_config_static_selectorELNS0_4arch9wavefront6targetE1EEEvT1_,@function
_ZN7rocprim17ROCPRIM_400000_NS6detail17trampoline_kernelINS0_14default_configENS1_27scan_by_key_config_selectorIiiEEZZNS1_16scan_by_key_implILNS1_25lookback_scan_determinismE0ELb0ES3_N6thrust23THRUST_200600_302600_NS6detail15normal_iteratorINS9_10device_ptrIiEEEESE_SE_iNS9_4plusIvEENS9_8equal_toIvEEiEE10hipError_tPvRmT2_T3_T4_T5_mT6_T7_P12ihipStream_tbENKUlT_T0_E_clISt17integral_constantIbLb0EESY_IbLb1EEEEDaSU_SV_EUlSU_E_NS1_11comp_targetILNS1_3genE5ELNS1_11target_archE942ELNS1_3gpuE9ELNS1_3repE0EEENS1_30default_config_static_selectorELNS0_4arch9wavefront6targetE1EEEvT1_: ; @_ZN7rocprim17ROCPRIM_400000_NS6detail17trampoline_kernelINS0_14default_configENS1_27scan_by_key_config_selectorIiiEEZZNS1_16scan_by_key_implILNS1_25lookback_scan_determinismE0ELb0ES3_N6thrust23THRUST_200600_302600_NS6detail15normal_iteratorINS9_10device_ptrIiEEEESE_SE_iNS9_4plusIvEENS9_8equal_toIvEEiEE10hipError_tPvRmT2_T3_T4_T5_mT6_T7_P12ihipStream_tbENKUlT_T0_E_clISt17integral_constantIbLb0EESY_IbLb1EEEEDaSU_SV_EUlSU_E_NS1_11comp_targetILNS1_3genE5ELNS1_11target_archE942ELNS1_3gpuE9ELNS1_3repE0EEENS1_30default_config_static_selectorELNS0_4arch9wavefront6targetE1EEEvT1_
; %bb.0:
	s_load_dwordx4 s[72:75], s[0:1], 0x28
	s_load_dwordx2 s[76:77], s[0:1], 0x38
	v_cmp_ne_u32_e64 s[4:5], 0, v0
	v_cmp_eq_u32_e64 s[54:55], 0, v0
	s_and_saveexec_b64 s[2:3], s[54:55]
	s_cbranch_execz .LBB157_4
; %bb.1:
	s_mov_b64 s[8:9], exec
	v_mbcnt_lo_u32_b32 v1, s8, 0
	v_mbcnt_hi_u32_b32 v1, s9, v1
	v_cmp_eq_u32_e32 vcc, 0, v1
                                        ; implicit-def: $vgpr2
	s_and_saveexec_b64 s[6:7], vcc
	s_cbranch_execz .LBB157_3
; %bb.2:
	s_load_dwordx2 s[10:11], s[0:1], 0x68
	s_bcnt1_i32_b64 s8, s[8:9]
	v_mov_b32_e32 v2, 0
	v_mov_b32_e32 v3, s8
	s_waitcnt lgkmcnt(0)
	global_atomic_add v2, v2, v3, s[10:11] sc0
.LBB157_3:
	s_or_b64 exec, exec, s[6:7]
	s_waitcnt vmcnt(0)
	v_readfirstlane_b32 s6, v2
	v_mov_b32_e32 v2, 0
	s_nop 0
	v_add_u32_e32 v1, s6, v1
	ds_write_b32 v2, v1
.LBB157_4:
	s_or_b64 exec, exec, s[2:3]
	s_load_dwordx8 s[56:63], s[0:1], 0x0
	s_load_dword s2, s[0:1], 0x40
	s_load_dwordx8 s[64:71], s[0:1], 0x48
	v_mov_b32_e32 v1, 0
	s_waitcnt lgkmcnt(0)
	s_barrier
	ds_read_b32 v1, v1
	s_lshl_b64 s[58:59], s[58:59], 2
	s_add_u32 s3, s56, s58
	s_addc_u32 s6, s57, s59
	s_add_u32 s7, s60, s58
	s_mul_i32 s0, s77, s2
	s_mul_hi_u32 s1, s76, s2
	s_addc_u32 s8, s61, s59
	s_add_i32 s9, s1, s0
	s_waitcnt lgkmcnt(0)
	v_readfirstlane_b32 s75, v1
	s_cmp_lg_u64 s[68:69], 0
	s_mov_b32 s1, 0
	s_mul_i32 s0, s75, 0x1700
	s_cselect_b64 s[78:79], -1, 0
	s_lshl_b64 s[56:57], s[0:1], 2
	s_add_u32 s68, s3, s56
	s_addc_u32 s69, s6, s57
	s_add_u32 s60, s7, s56
	s_mul_i32 s2, s76, s2
	s_addc_u32 s61, s8, s57
	s_add_u32 s80, s2, s75
	s_addc_u32 s81, s9, 0
	s_add_u32 s0, s64, -1
	s_addc_u32 s1, s65, -1
	v_mov_b64_e32 v[2:3], s[0:1]
	v_cmp_ge_u64_e64 s[2:3], s[80:81], v[2:3]
	s_mov_b64 s[10:11], 0
	s_mov_b64 s[6:7], -1
	s_and_b64 vcc, exec, s[2:3]
	s_mul_i32 s33, s0, 0xffffe900
	s_barrier
	s_barrier
	s_cbranch_vccz .LBB157_126
; %bb.5:
	v_mov_b64_e32 v[2:3], s[68:69]
	flat_load_dword v1, v[2:3]
	s_add_i32 s84, s33, s74
	v_cmp_gt_u32_e64 s[6:7], s84, v0
	s_waitcnt vmcnt(0) lgkmcnt(0)
	v_mov_b32_e32 v4, v1
	s_and_saveexec_b64 s[0:1], s[6:7]
	s_cbranch_execz .LBB157_7
; %bb.6:
	v_lshlrev_b32_e32 v2, 2, v0
	v_mov_b32_e32 v3, 0
	v_lshl_add_u64 v[2:3], s[68:69], 0, v[2:3]
	flat_load_dword v4, v[2:3]
.LBB157_7:
	s_or_b64 exec, exec, s[0:1]
	v_or_b32_e32 v2, 0x100, v0
	v_cmp_gt_u32_e64 s[8:9], s84, v2
	v_mov_b32_e32 v5, v1
	s_and_saveexec_b64 s[0:1], s[8:9]
	s_cbranch_execz .LBB157_9
; %bb.8:
	v_lshlrev_b32_e32 v2, 2, v0
	v_mov_b32_e32 v3, 0
	v_lshl_add_u64 v[2:3], s[68:69], 0, v[2:3]
	flat_load_dword v5, v[2:3] offset:1024
.LBB157_9:
	s_or_b64 exec, exec, s[0:1]
	v_or_b32_e32 v2, 0x200, v0
	v_cmp_gt_u32_e64 s[10:11], s84, v2
	v_mov_b32_e32 v6, v1
	s_and_saveexec_b64 s[0:1], s[10:11]
	s_cbranch_execz .LBB157_11
; %bb.10:
	v_lshlrev_b32_e32 v2, 2, v0
	v_mov_b32_e32 v3, 0
	v_lshl_add_u64 v[2:3], s[68:69], 0, v[2:3]
	flat_load_dword v6, v[2:3] offset:2048
.LBB157_11:
	;; [unrolled: 12-line block ×3, first 2 shown]
	s_or_b64 exec, exec, s[0:1]
	v_or_b32_e32 v2, 0x400, v0
	v_cmp_gt_u32_e64 s[14:15], s84, v2
	v_lshlrev_b32_e32 v2, 2, v2
	v_mov_b32_e32 v3, v1
	s_and_saveexec_b64 s[0:1], s[14:15]
	s_cbranch_execz .LBB157_15
; %bb.14:
	v_mov_b32_e32 v3, 0
	v_lshl_add_u64 v[8:9], s[68:69], 0, v[2:3]
	flat_load_dword v3, v[8:9]
.LBB157_15:
	s_or_b64 exec, exec, s[0:1]
	v_or_b32_e32 v8, 0x500, v0
	v_cmp_gt_u32_e64 s[16:17], s84, v8
	v_lshlrev_b32_e32 v10, 2, v8
	v_mov_b32_e32 v8, v1
	s_and_saveexec_b64 s[0:1], s[16:17]
	s_cbranch_execz .LBB157_17
; %bb.16:
	v_mov_b32_e32 v11, 0
	v_lshl_add_u64 v[8:9], s[68:69], 0, v[10:11]
	flat_load_dword v8, v[8:9]
.LBB157_17:
	;; [unrolled: 12-line block ×18, first 2 shown]
	s_or_b64 exec, exec, s[0:1]
	v_or_b32_e32 v41, 0x1600, v0
	v_cmp_gt_u32_e64 s[52:53], s84, v41
	v_lshlrev_b32_e32 v46, 2, v41
	s_and_saveexec_b64 s[0:1], s[52:53]
	s_cbranch_execz .LBB157_51
; %bb.50:
	v_mov_b32_e32 v47, 0
	v_lshl_add_u64 v[44:45], s[68:69], 0, v[46:47]
	flat_load_dword v1, v[44:45]
.LBB157_51:
	s_or_b64 exec, exec, s[0:1]
	v_lshlrev_b32_e32 v44, 2, v0
	s_movk_i32 s0, 0x58
	s_waitcnt vmcnt(0) lgkmcnt(0)
	ds_write2st64_b32 v44, v4, v5 offset1:4
	ds_write2st64_b32 v44, v6, v7 offset0:8 offset1:12
	ds_write2st64_b32 v44, v3, v8 offset0:16 offset1:20
	;; [unrolled: 1-line block ×10, first 2 shown]
	ds_write_b32 v44, v1 offset:22528
	v_mad_u32_u24 v1, v0, s0, v44
	s_waitcnt lgkmcnt(0)
	s_barrier
	ds_read2_b32 v[68:69], v1 offset1:1
	ds_read2_b32 v[66:67], v1 offset0:2 offset1:3
	ds_read2_b32 v[64:65], v1 offset0:4 offset1:5
	ds_read2_b32 v[62:63], v1 offset0:6 offset1:7
	ds_read2_b32 v[60:61], v1 offset0:8 offset1:9
	ds_read2_b32 v[58:59], v1 offset0:10 offset1:11
	ds_read2_b32 v[56:57], v1 offset0:12 offset1:13
	ds_read2_b32 v[54:55], v1 offset0:14 offset1:15
	ds_read2_b32 v[8:9], v1 offset0:16 offset1:17
	ds_read2_b32 v[6:7], v1 offset0:18 offset1:19
	ds_read2_b32 v[4:5], v1 offset0:20 offset1:21
	ds_read_b32 v72, v1 offset:88
	s_cmp_eq_u64 s[80:81], 0
	s_mov_b64 s[0:1], s[68:69]
	s_cbranch_scc1 .LBB157_55
; %bb.52:
	s_andn2_b64 vcc, exec, s[78:79]
	s_cbranch_vccnz .LBB157_267
; %bb.53:
	s_lshl_b64 s[0:1], s[80:81], 2
	s_add_u32 s0, s70, s0
	s_addc_u32 s1, s71, s1
	s_add_u32 s0, s0, -4
	s_addc_u32 s1, s1, -1
	s_cbranch_execnz .LBB157_55
.LBB157_54:
	s_add_u32 s0, s68, -4
	s_addc_u32 s1, s69, -1
.LBB157_55:
	v_mov_b64_e32 v[48:49], s[0:1]
	flat_load_dword v70, v[48:49]
	s_movk_i32 s0, 0xffa8
	v_mad_i32_i24 v3, v0, s0, v1
	s_waitcnt lgkmcnt(0)
	ds_write_b32 v3, v72 offset:23552
	s_waitcnt lgkmcnt(0)
	s_barrier
	s_and_saveexec_b64 s[0:1], s[4:5]
	s_cbranch_execz .LBB157_57
; %bb.56:
	v_mul_i32_i24_e32 v3, 0xffffffa8, v0
	v_add_u32_e32 v3, v1, v3
	s_waitcnt vmcnt(0)
	ds_read_b32 v70, v3 offset:23548
.LBB157_57:
	s_or_b64 exec, exec, s[0:1]
	v_mov_b32_e32 v45, 0
	s_waitcnt lgkmcnt(0)
	s_barrier
	s_waitcnt lgkmcnt(0)
                                        ; implicit-def: $vgpr48
	s_and_saveexec_b64 s[0:1], s[6:7]
	s_cbranch_execnz .LBB157_243
; %bb.58:
	s_or_b64 exec, exec, s[0:1]
                                        ; implicit-def: $vgpr49
	s_and_saveexec_b64 s[0:1], s[8:9]
	s_cbranch_execnz .LBB157_244
.LBB157_59:
	s_or_b64 exec, exec, s[0:1]
                                        ; implicit-def: $vgpr50
	s_and_saveexec_b64 s[0:1], s[10:11]
	s_cbranch_execnz .LBB157_245
.LBB157_60:
	s_or_b64 exec, exec, s[0:1]
                                        ; implicit-def: $vgpr45
	s_and_saveexec_b64 s[0:1], s[12:13]
	s_cbranch_execnz .LBB157_246
.LBB157_61:
	s_or_b64 exec, exec, s[0:1]
                                        ; implicit-def: $vgpr3
	s_and_saveexec_b64 s[0:1], s[14:15]
	s_cbranch_execnz .LBB157_247
.LBB157_62:
	s_or_b64 exec, exec, s[0:1]
                                        ; implicit-def: $vgpr2
	s_and_saveexec_b64 s[0:1], s[16:17]
	s_cbranch_execnz .LBB157_248
.LBB157_63:
	s_or_b64 exec, exec, s[0:1]
                                        ; implicit-def: $vgpr10
	s_and_saveexec_b64 s[0:1], s[18:19]
	s_cbranch_execnz .LBB157_249
.LBB157_64:
	s_or_b64 exec, exec, s[0:1]
                                        ; implicit-def: $vgpr11
	s_and_saveexec_b64 s[0:1], s[20:21]
	s_cbranch_execnz .LBB157_250
.LBB157_65:
	s_or_b64 exec, exec, s[0:1]
                                        ; implicit-def: $vgpr12
	s_and_saveexec_b64 s[0:1], s[22:23]
	s_cbranch_execnz .LBB157_251
.LBB157_66:
	s_or_b64 exec, exec, s[0:1]
                                        ; implicit-def: $vgpr13
	s_and_saveexec_b64 s[0:1], s[24:25]
	s_cbranch_execnz .LBB157_252
.LBB157_67:
	s_or_b64 exec, exec, s[0:1]
                                        ; implicit-def: $vgpr14
	s_and_saveexec_b64 s[0:1], s[26:27]
	s_cbranch_execnz .LBB157_253
.LBB157_68:
	s_or_b64 exec, exec, s[0:1]
                                        ; implicit-def: $vgpr15
	s_and_saveexec_b64 s[0:1], s[28:29]
	s_cbranch_execnz .LBB157_254
.LBB157_69:
	s_or_b64 exec, exec, s[0:1]
                                        ; implicit-def: $vgpr16
	s_and_saveexec_b64 s[0:1], s[30:31]
	s_cbranch_execnz .LBB157_255
.LBB157_70:
	s_or_b64 exec, exec, s[0:1]
                                        ; implicit-def: $vgpr17
	s_and_saveexec_b64 s[0:1], s[34:35]
	s_cbranch_execnz .LBB157_256
.LBB157_71:
	s_or_b64 exec, exec, s[0:1]
                                        ; implicit-def: $vgpr18
	s_and_saveexec_b64 s[0:1], s[36:37]
	s_cbranch_execnz .LBB157_257
.LBB157_72:
	s_or_b64 exec, exec, s[0:1]
                                        ; implicit-def: $vgpr19
	s_and_saveexec_b64 s[0:1], s[38:39]
	s_cbranch_execnz .LBB157_258
.LBB157_73:
	s_or_b64 exec, exec, s[0:1]
                                        ; implicit-def: $vgpr20
	s_and_saveexec_b64 s[0:1], s[40:41]
	s_cbranch_execnz .LBB157_259
.LBB157_74:
	s_or_b64 exec, exec, s[0:1]
                                        ; implicit-def: $vgpr21
	s_and_saveexec_b64 s[0:1], s[42:43]
	s_cbranch_execnz .LBB157_260
.LBB157_75:
	s_or_b64 exec, exec, s[0:1]
                                        ; implicit-def: $vgpr22
	s_and_saveexec_b64 s[0:1], s[44:45]
	s_cbranch_execnz .LBB157_261
.LBB157_76:
	s_or_b64 exec, exec, s[0:1]
                                        ; implicit-def: $vgpr23
	s_and_saveexec_b64 s[0:1], s[46:47]
	s_cbranch_execnz .LBB157_262
.LBB157_77:
	s_or_b64 exec, exec, s[0:1]
                                        ; implicit-def: $vgpr24
	s_and_saveexec_b64 s[0:1], s[48:49]
	s_cbranch_execnz .LBB157_263
.LBB157_78:
	s_or_b64 exec, exec, s[0:1]
                                        ; implicit-def: $vgpr25
	s_and_saveexec_b64 s[0:1], s[50:51]
	s_cbranch_execnz .LBB157_264
.LBB157_79:
	s_or_b64 exec, exec, s[0:1]
                                        ; implicit-def: $vgpr26
	s_and_saveexec_b64 s[0:1], s[52:53]
	s_cbranch_execz .LBB157_81
.LBB157_80:
	v_mov_b32_e32 v47, 0
	v_lshl_add_u64 v[26:27], s[60:61], 0, v[46:47]
	flat_load_dword v26, v[26:27]
.LBB157_81:
	s_or_b64 exec, exec, s[0:1]
	v_mul_u32_u24_e32 v73, 23, v0
	s_waitcnt vmcnt(0) lgkmcnt(0)
	ds_write2st64_b32 v44, v48, v49 offset1:4
	ds_write2st64_b32 v44, v50, v45 offset0:8 offset1:12
	ds_write2st64_b32 v44, v3, v2 offset0:16 offset1:20
	;; [unrolled: 1-line block ×10, first 2 shown]
	ds_write_b32 v44, v26 offset:22528
	v_mov_b64_e32 v[10:11], 0
	v_cmp_gt_u32_e32 vcc, s84, v73
	s_mov_b64 s[10:11], 0
	s_mov_b64 s[6:7], 0
	v_mov_b64_e32 v[12:13], v[10:11]
	v_mov_b64_e32 v[14:15], v[10:11]
	;; [unrolled: 1-line block ×21, first 2 shown]
	s_waitcnt lgkmcnt(0)
	s_barrier
	s_waitcnt lgkmcnt(0)
                                        ; implicit-def: $sgpr0_sgpr1
                                        ; implicit-def: $vgpr3
	s_and_saveexec_b64 s[8:9], vcc
	s_cbranch_execz .LBB157_125
; %bb.82:
	ds_read_b32 v10, v1
	v_add_u32_e32 v2, 1, v73
	v_cmp_ne_u32_e32 vcc, v70, v68
	v_mov_b64_e32 v[12:13], 0
	s_mov_b64 s[12:13], 0
	v_cndmask_b32_e64 v11, 0, 1, vcc
	v_cmp_gt_u32_e32 vcc, s84, v2
	s_mov_b64 s[0:1], 0
	v_mov_b64_e32 v[14:15], v[12:13]
	v_mov_b64_e32 v[16:17], v[12:13]
	v_mov_b64_e32 v[18:19], v[12:13]
	v_mov_b64_e32 v[20:21], v[12:13]
	v_mov_b64_e32 v[22:23], v[12:13]
	v_mov_b64_e32 v[24:25], v[12:13]
	v_mov_b64_e32 v[26:27], v[12:13]
	v_mov_b64_e32 v[28:29], v[12:13]
	v_mov_b64_e32 v[30:31], v[12:13]
	v_mov_b64_e32 v[32:33], v[12:13]
	v_mov_b64_e32 v[34:35], v[12:13]
	v_mov_b64_e32 v[36:37], v[12:13]
	v_mov_b64_e32 v[38:39], v[12:13]
	v_mov_b64_e32 v[40:41], v[12:13]
	v_mov_b64_e32 v[42:43], v[12:13]
	v_mov_b64_e32 v[44:45], v[12:13]
	v_mov_b64_e32 v[46:47], v[12:13]
	v_mov_b64_e32 v[48:49], v[12:13]
	v_mov_b64_e32 v[50:51], v[12:13]
	v_mov_b64_e32 v[52:53], v[12:13]
                                        ; implicit-def: $sgpr14_sgpr15
                                        ; implicit-def: $vgpr3
	s_and_saveexec_b64 s[10:11], vcc
	s_cbranch_execz .LBB157_124
; %bb.83:
	ds_read2_b32 v[70:71], v1 offset0:1 offset1:2
	v_add_u32_e32 v2, 2, v73
	v_cmp_ne_u32_e32 vcc, v68, v69
	v_mov_b64_e32 v[14:15], 0
	s_mov_b64 s[16:17], 0
	v_cndmask_b32_e64 v13, 0, 1, vcc
	v_cmp_gt_u32_e32 vcc, s84, v2
	s_waitcnt lgkmcnt(0)
	v_mov_b32_e32 v12, v70
	v_mov_b64_e32 v[16:17], v[14:15]
	v_mov_b64_e32 v[18:19], v[14:15]
	v_mov_b64_e32 v[20:21], v[14:15]
	v_mov_b64_e32 v[22:23], v[14:15]
	v_mov_b64_e32 v[24:25], v[14:15]
	v_mov_b64_e32 v[26:27], v[14:15]
	v_mov_b64_e32 v[28:29], v[14:15]
	v_mov_b64_e32 v[30:31], v[14:15]
	v_mov_b64_e32 v[32:33], v[14:15]
	v_mov_b64_e32 v[34:35], v[14:15]
	v_mov_b64_e32 v[36:37], v[14:15]
	v_mov_b64_e32 v[38:39], v[14:15]
	v_mov_b64_e32 v[40:41], v[14:15]
	v_mov_b64_e32 v[42:43], v[14:15]
	v_mov_b64_e32 v[44:45], v[14:15]
	v_mov_b64_e32 v[46:47], v[14:15]
	v_mov_b64_e32 v[48:49], v[14:15]
	v_mov_b64_e32 v[50:51], v[14:15]
	v_mov_b64_e32 v[52:53], v[14:15]
                                        ; implicit-def: $sgpr14_sgpr15
                                        ; implicit-def: $vgpr3
	s_and_saveexec_b64 s[12:13], vcc
	s_cbranch_execz .LBB157_123
; %bb.84:
	v_add_u32_e32 v2, 3, v73
	v_cmp_ne_u32_e32 vcc, v69, v66
	v_mov_b64_e32 v[16:17], 0
	v_mov_b32_e32 v14, v71
	v_cndmask_b32_e64 v15, 0, 1, vcc
	v_cmp_gt_u32_e32 vcc, s84, v2
	v_mov_b64_e32 v[18:19], v[16:17]
	v_mov_b64_e32 v[20:21], v[16:17]
	;; [unrolled: 1-line block ×18, first 2 shown]
                                        ; implicit-def: $sgpr18_sgpr19
                                        ; implicit-def: $vgpr3
	s_and_saveexec_b64 s[14:15], vcc
	s_cbranch_execz .LBB157_122
; %bb.85:
	ds_read2_b32 v[68:69], v1 offset0:3 offset1:4
	v_add_u32_e32 v2, 4, v73
	v_cmp_ne_u32_e32 vcc, v66, v67
	v_mov_b64_e32 v[18:19], 0
	s_mov_b64 s[20:21], 0
	v_cndmask_b32_e64 v17, 0, 1, vcc
	v_cmp_gt_u32_e32 vcc, s84, v2
	s_waitcnt lgkmcnt(0)
	v_mov_b32_e32 v16, v68
	v_mov_b64_e32 v[20:21], v[18:19]
	v_mov_b64_e32 v[22:23], v[18:19]
	;; [unrolled: 1-line block ×17, first 2 shown]
                                        ; implicit-def: $sgpr18_sgpr19
                                        ; implicit-def: $vgpr3
	s_and_saveexec_b64 s[16:17], vcc
	s_cbranch_execz .LBB157_121
; %bb.86:
	v_add_u32_e32 v2, 5, v73
	v_cmp_ne_u32_e32 vcc, v67, v64
	v_mov_b64_e32 v[20:21], 0
	v_mov_b32_e32 v18, v69
	v_cndmask_b32_e64 v19, 0, 1, vcc
	v_cmp_gt_u32_e32 vcc, s84, v2
	v_mov_b64_e32 v[22:23], v[20:21]
	v_mov_b64_e32 v[24:25], v[20:21]
	;; [unrolled: 1-line block ×16, first 2 shown]
                                        ; implicit-def: $sgpr22_sgpr23
                                        ; implicit-def: $vgpr3
	s_and_saveexec_b64 s[18:19], vcc
	s_cbranch_execz .LBB157_120
; %bb.87:
	ds_read2_b32 v[66:67], v1 offset0:5 offset1:6
	v_add_u32_e32 v2, 6, v73
	v_cmp_ne_u32_e32 vcc, v64, v65
	v_mov_b64_e32 v[22:23], 0
	s_mov_b64 s[24:25], 0
	v_cndmask_b32_e64 v21, 0, 1, vcc
	v_cmp_gt_u32_e32 vcc, s84, v2
	s_waitcnt lgkmcnt(0)
	v_mov_b32_e32 v20, v66
	v_mov_b64_e32 v[24:25], v[22:23]
	v_mov_b64_e32 v[26:27], v[22:23]
	;; [unrolled: 1-line block ×15, first 2 shown]
                                        ; implicit-def: $sgpr22_sgpr23
                                        ; implicit-def: $vgpr3
	s_and_saveexec_b64 s[20:21], vcc
	s_cbranch_execz .LBB157_119
; %bb.88:
	v_add_u32_e32 v2, 7, v73
	v_cmp_ne_u32_e32 vcc, v65, v62
	v_mov_b64_e32 v[24:25], 0
	v_mov_b32_e32 v22, v67
	v_cndmask_b32_e64 v23, 0, 1, vcc
	v_cmp_gt_u32_e32 vcc, s84, v2
	v_mov_b64_e32 v[26:27], v[24:25]
	v_mov_b64_e32 v[28:29], v[24:25]
	;; [unrolled: 1-line block ×14, first 2 shown]
                                        ; implicit-def: $sgpr26_sgpr27
                                        ; implicit-def: $vgpr3
	s_and_saveexec_b64 s[22:23], vcc
	s_cbranch_execz .LBB157_118
; %bb.89:
	ds_read2_b32 v[64:65], v1 offset0:7 offset1:8
	v_add_u32_e32 v2, 8, v73
	v_cmp_ne_u32_e32 vcc, v62, v63
	v_mov_b64_e32 v[26:27], 0
	s_mov_b64 s[28:29], 0
	v_cndmask_b32_e64 v25, 0, 1, vcc
	v_cmp_gt_u32_e32 vcc, s84, v2
	s_waitcnt lgkmcnt(0)
	v_mov_b32_e32 v24, v64
	v_mov_b64_e32 v[28:29], v[26:27]
	v_mov_b64_e32 v[30:31], v[26:27]
	;; [unrolled: 1-line block ×13, first 2 shown]
                                        ; implicit-def: $sgpr26_sgpr27
                                        ; implicit-def: $vgpr3
	s_and_saveexec_b64 s[24:25], vcc
	s_cbranch_execz .LBB157_117
; %bb.90:
	v_add_u32_e32 v2, 9, v73
	v_cmp_ne_u32_e32 vcc, v63, v60
	v_mov_b64_e32 v[28:29], 0
	v_mov_b32_e32 v26, v65
	v_cndmask_b32_e64 v27, 0, 1, vcc
	v_cmp_gt_u32_e32 vcc, s84, v2
	v_mov_b64_e32 v[30:31], v[28:29]
	v_mov_b64_e32 v[32:33], v[28:29]
	;; [unrolled: 1-line block ×12, first 2 shown]
                                        ; implicit-def: $sgpr30_sgpr31
                                        ; implicit-def: $vgpr3
	s_and_saveexec_b64 s[26:27], vcc
	s_cbranch_execz .LBB157_116
; %bb.91:
	ds_read2_b32 v[62:63], v1 offset0:9 offset1:10
	v_add_u32_e32 v2, 10, v73
	v_cmp_ne_u32_e32 vcc, v60, v61
	v_mov_b64_e32 v[30:31], 0
	s_mov_b64 s[34:35], 0
	v_cndmask_b32_e64 v29, 0, 1, vcc
	v_cmp_gt_u32_e32 vcc, s84, v2
	s_waitcnt lgkmcnt(0)
	v_mov_b32_e32 v28, v62
	v_mov_b64_e32 v[32:33], v[30:31]
	v_mov_b64_e32 v[34:35], v[30:31]
	;; [unrolled: 1-line block ×11, first 2 shown]
                                        ; implicit-def: $sgpr30_sgpr31
                                        ; implicit-def: $vgpr3
	s_and_saveexec_b64 s[28:29], vcc
	s_cbranch_execz .LBB157_115
; %bb.92:
	v_add_u32_e32 v2, 11, v73
	v_cmp_ne_u32_e32 vcc, v61, v58
	v_mov_b64_e32 v[32:33], 0
	v_mov_b32_e32 v30, v63
	v_cndmask_b32_e64 v31, 0, 1, vcc
	v_cmp_gt_u32_e32 vcc, s84, v2
	v_mov_b64_e32 v[34:35], v[32:33]
	v_mov_b64_e32 v[36:37], v[32:33]
	;; [unrolled: 1-line block ×10, first 2 shown]
                                        ; implicit-def: $sgpr36_sgpr37
                                        ; implicit-def: $vgpr3
	s_and_saveexec_b64 s[30:31], vcc
	s_cbranch_execz .LBB157_114
; %bb.93:
	ds_read2_b32 v[60:61], v1 offset0:11 offset1:12
	v_add_u32_e32 v2, 12, v73
	v_cmp_ne_u32_e32 vcc, v58, v59
	v_mov_b64_e32 v[34:35], 0
	s_mov_b64 s[38:39], 0
	v_cndmask_b32_e64 v33, 0, 1, vcc
	v_cmp_gt_u32_e32 vcc, s84, v2
	s_waitcnt lgkmcnt(0)
	v_mov_b32_e32 v32, v60
	v_mov_b64_e32 v[36:37], v[34:35]
	v_mov_b64_e32 v[38:39], v[34:35]
	;; [unrolled: 1-line block ×9, first 2 shown]
                                        ; implicit-def: $sgpr36_sgpr37
                                        ; implicit-def: $vgpr3
	s_and_saveexec_b64 s[34:35], vcc
	s_cbranch_execz .LBB157_113
; %bb.94:
	v_add_u32_e32 v2, 13, v73
	v_cmp_ne_u32_e32 vcc, v59, v56
	v_mov_b64_e32 v[36:37], 0
	v_mov_b32_e32 v34, v61
	v_cndmask_b32_e64 v35, 0, 1, vcc
	v_cmp_gt_u32_e32 vcc, s84, v2
	v_mov_b64_e32 v[38:39], v[36:37]
	v_mov_b64_e32 v[40:41], v[36:37]
	;; [unrolled: 1-line block ×8, first 2 shown]
                                        ; implicit-def: $sgpr40_sgpr41
                                        ; implicit-def: $vgpr3
	s_and_saveexec_b64 s[36:37], vcc
	s_cbranch_execz .LBB157_112
; %bb.95:
	ds_read2_b32 v[58:59], v1 offset0:13 offset1:14
	v_add_u32_e32 v2, 14, v73
	v_cmp_ne_u32_e32 vcc, v56, v57
	v_mov_b64_e32 v[38:39], 0
	s_mov_b64 s[42:43], 0
	v_cndmask_b32_e64 v37, 0, 1, vcc
	v_cmp_gt_u32_e32 vcc, s84, v2
	s_waitcnt lgkmcnt(0)
	v_mov_b32_e32 v36, v58
	v_mov_b64_e32 v[40:41], v[38:39]
	v_mov_b64_e32 v[42:43], v[38:39]
	;; [unrolled: 1-line block ×7, first 2 shown]
                                        ; implicit-def: $sgpr40_sgpr41
                                        ; implicit-def: $vgpr3
	s_and_saveexec_b64 s[38:39], vcc
	s_cbranch_execz .LBB157_111
; %bb.96:
	v_add_u32_e32 v2, 15, v73
	v_cmp_ne_u32_e32 vcc, v57, v54
	v_mov_b64_e32 v[40:41], 0
	v_mov_b32_e32 v38, v59
	v_cndmask_b32_e64 v39, 0, 1, vcc
	v_cmp_gt_u32_e32 vcc, s84, v2
	v_mov_b64_e32 v[42:43], v[40:41]
	v_mov_b64_e32 v[44:45], v[40:41]
	;; [unrolled: 1-line block ×6, first 2 shown]
                                        ; implicit-def: $sgpr44_sgpr45
                                        ; implicit-def: $vgpr3
	s_and_saveexec_b64 s[40:41], vcc
	s_cbranch_execz .LBB157_110
; %bb.97:
	ds_read2_b32 v[56:57], v1 offset0:15 offset1:16
	v_add_u32_e32 v2, 16, v73
	v_cmp_ne_u32_e32 vcc, v54, v55
	v_mov_b64_e32 v[42:43], 0
	s_mov_b64 s[46:47], 0
	v_cndmask_b32_e64 v41, 0, 1, vcc
	v_cmp_gt_u32_e32 vcc, s84, v2
	s_waitcnt lgkmcnt(0)
	v_mov_b32_e32 v40, v56
	v_mov_b64_e32 v[44:45], v[42:43]
	v_mov_b64_e32 v[46:47], v[42:43]
	;; [unrolled: 1-line block ×5, first 2 shown]
                                        ; implicit-def: $sgpr44_sgpr45
                                        ; implicit-def: $vgpr3
	s_and_saveexec_b64 s[42:43], vcc
	s_cbranch_execz .LBB157_109
; %bb.98:
	v_add_u32_e32 v2, 17, v73
	v_cmp_ne_u32_e32 vcc, v55, v8
	v_mov_b64_e32 v[44:45], 0
	v_mov_b32_e32 v42, v57
	v_cndmask_b32_e64 v43, 0, 1, vcc
	v_cmp_gt_u32_e32 vcc, s84, v2
	v_mov_b64_e32 v[46:47], v[44:45]
	v_mov_b64_e32 v[48:49], v[44:45]
	;; [unrolled: 1-line block ×4, first 2 shown]
                                        ; implicit-def: $sgpr48_sgpr49
                                        ; implicit-def: $vgpr3
	s_and_saveexec_b64 s[44:45], vcc
	s_cbranch_execz .LBB157_108
; %bb.99:
	ds_read2_b32 v[54:55], v1 offset0:17 offset1:18
	v_add_u32_e32 v2, 18, v73
	v_cmp_ne_u32_e32 vcc, v8, v9
	v_mov_b64_e32 v[46:47], 0
	s_mov_b64 s[50:51], 0
	v_cndmask_b32_e64 v45, 0, 1, vcc
	v_cmp_gt_u32_e32 vcc, s84, v2
	s_waitcnt lgkmcnt(0)
	v_mov_b32_e32 v44, v54
	v_mov_b64_e32 v[48:49], v[46:47]
	v_mov_b64_e32 v[50:51], v[46:47]
	;; [unrolled: 1-line block ×3, first 2 shown]
                                        ; implicit-def: $sgpr48_sgpr49
                                        ; implicit-def: $vgpr3
	s_and_saveexec_b64 s[46:47], vcc
	s_cbranch_execz .LBB157_107
; %bb.100:
	v_add_u32_e32 v2, 19, v73
	v_cmp_ne_u32_e32 vcc, v9, v6
	v_mov_b64_e32 v[48:49], 0
	v_mov_b32_e32 v46, v55
	v_cndmask_b32_e64 v47, 0, 1, vcc
	v_cmp_gt_u32_e32 vcc, s84, v2
	v_mov_b64_e32 v[50:51], v[48:49]
	v_mov_b64_e32 v[52:53], v[48:49]
                                        ; implicit-def: $sgpr52_sgpr53
                                        ; implicit-def: $vgpr3
	s_and_saveexec_b64 s[48:49], vcc
	s_cbranch_execz .LBB157_106
; %bb.101:
	ds_read2_b32 v[8:9], v1 offset0:19 offset1:20
	v_add_u32_e32 v2, 20, v73
	v_cmp_ne_u32_e32 vcc, v6, v7
	v_mov_b64_e32 v[50:51], 0
	s_mov_b64 s[52:53], 0
	v_cndmask_b32_e64 v49, 0, 1, vcc
	v_cmp_gt_u32_e32 vcc, s84, v2
	s_waitcnt lgkmcnt(0)
	v_mov_b32_e32 v48, v8
	v_mov_b64_e32 v[52:53], v[50:51]
                                        ; implicit-def: $sgpr64_sgpr65
                                        ; implicit-def: $vgpr3
	s_and_saveexec_b64 s[50:51], vcc
	s_cbranch_execz .LBB157_105
; %bb.102:
	v_add_u32_e32 v2, 21, v73
	v_cmp_ne_u32_e32 vcc, v7, v4
	v_mov_b32_e32 v50, v9
	v_mov_b64_e32 v[52:53], 0
	v_cndmask_b32_e64 v51, 0, 1, vcc
	v_cmp_gt_u32_e32 vcc, s84, v2
                                        ; implicit-def: $sgpr64_sgpr65
                                        ; implicit-def: $vgpr3
	s_and_saveexec_b64 s[0:1], vcc
	s_xor_b64 s[82:83], exec, s[0:1]
	s_cbranch_execz .LBB157_104
; %bb.103:
	ds_read2_b32 v[2:3], v1 offset0:21 offset1:22
	v_add_u32_e32 v1, 22, v73
	v_cmp_ne_u32_e64 s[0:1], v4, v5
	v_cmp_ne_u32_e32 vcc, v5, v72
	s_and_b64 s[64:65], vcc, exec
	v_cndmask_b32_e64 v53, 0, 1, s[0:1]
	v_cmp_gt_u32_e64 s[0:1], s84, v1
	s_waitcnt lgkmcnt(0)
	v_mov_b32_e32 v52, v2
	s_and_b64 s[52:53], s[0:1], exec
.LBB157_104:
	s_or_b64 exec, exec, s[82:83]
	s_and_b64 s[64:65], s[64:65], exec
	s_and_b64 s[0:1], s[52:53], exec
.LBB157_105:
	s_or_b64 exec, exec, s[50:51]
	s_and_b64 s[52:53], s[64:65], exec
	s_and_b64 s[50:51], s[0:1], exec
.LBB157_106:
	s_or_b64 exec, exec, s[48:49]
	s_and_b64 s[48:49], s[52:53], exec
	s_and_b64 s[0:1], s[50:51], exec
.LBB157_107:
	s_or_b64 exec, exec, s[46:47]
	s_and_b64 s[48:49], s[48:49], exec
	s_and_b64 s[46:47], s[0:1], exec
.LBB157_108:
	s_or_b64 exec, exec, s[44:45]
	s_and_b64 s[44:45], s[48:49], exec
	s_and_b64 s[0:1], s[46:47], exec
.LBB157_109:
	s_or_b64 exec, exec, s[42:43]
	s_and_b64 s[44:45], s[44:45], exec
	s_and_b64 s[42:43], s[0:1], exec
.LBB157_110:
	s_or_b64 exec, exec, s[40:41]
	s_and_b64 s[40:41], s[44:45], exec
	s_and_b64 s[0:1], s[42:43], exec
.LBB157_111:
	s_or_b64 exec, exec, s[38:39]
	s_and_b64 s[40:41], s[40:41], exec
	s_and_b64 s[38:39], s[0:1], exec
.LBB157_112:
	s_or_b64 exec, exec, s[36:37]
	s_and_b64 s[36:37], s[40:41], exec
	s_and_b64 s[0:1], s[38:39], exec
.LBB157_113:
	s_or_b64 exec, exec, s[34:35]
	s_and_b64 s[36:37], s[36:37], exec
	s_and_b64 s[34:35], s[0:1], exec
.LBB157_114:
	s_or_b64 exec, exec, s[30:31]
	s_and_b64 s[30:31], s[36:37], exec
	s_and_b64 s[0:1], s[34:35], exec
.LBB157_115:
	s_or_b64 exec, exec, s[28:29]
	s_and_b64 s[30:31], s[30:31], exec
	s_and_b64 s[28:29], s[0:1], exec
.LBB157_116:
	s_or_b64 exec, exec, s[26:27]
	s_and_b64 s[26:27], s[30:31], exec
	s_and_b64 s[0:1], s[28:29], exec
.LBB157_117:
	s_or_b64 exec, exec, s[24:25]
	s_and_b64 s[26:27], s[26:27], exec
	s_and_b64 s[24:25], s[0:1], exec
.LBB157_118:
	s_or_b64 exec, exec, s[22:23]
	s_and_b64 s[22:23], s[26:27], exec
	s_and_b64 s[0:1], s[24:25], exec
.LBB157_119:
	s_or_b64 exec, exec, s[20:21]
	s_and_b64 s[22:23], s[22:23], exec
	s_and_b64 s[20:21], s[0:1], exec
.LBB157_120:
	s_or_b64 exec, exec, s[18:19]
	s_and_b64 s[18:19], s[22:23], exec
	s_and_b64 s[0:1], s[20:21], exec
.LBB157_121:
	s_or_b64 exec, exec, s[16:17]
	s_and_b64 s[18:19], s[18:19], exec
	s_and_b64 s[16:17], s[0:1], exec
.LBB157_122:
	s_or_b64 exec, exec, s[14:15]
	s_and_b64 s[14:15], s[18:19], exec
	s_and_b64 s[0:1], s[16:17], exec
.LBB157_123:
	s_or_b64 exec, exec, s[12:13]
	s_and_b64 s[14:15], s[14:15], exec
	s_and_b64 s[12:13], s[0:1], exec
.LBB157_124:
	s_or_b64 exec, exec, s[10:11]
	s_and_b64 s[0:1], s[14:15], exec
	s_and_b64 s[10:11], s[12:13], exec
.LBB157_125:
	s_or_b64 exec, exec, s[8:9]
	s_mov_b64 s[8:9], 0
	s_and_b64 vcc, exec, s[6:7]
	v_lshlrev_b32_e32 v54, 2, v0
	s_cbranch_vccnz .LBB157_127
	s_branch .LBB157_135
.LBB157_126:
                                        ; implicit-def: $sgpr0_sgpr1
                                        ; implicit-def: $vgpr3
                                        ; implicit-def: $vgpr10_vgpr11
                                        ; implicit-def: $vgpr12_vgpr13
                                        ; implicit-def: $vgpr14_vgpr15
                                        ; implicit-def: $vgpr16_vgpr17
                                        ; implicit-def: $vgpr18_vgpr19
                                        ; implicit-def: $vgpr20_vgpr21
                                        ; implicit-def: $vgpr22_vgpr23
                                        ; implicit-def: $vgpr24_vgpr25
                                        ; implicit-def: $vgpr26_vgpr27
                                        ; implicit-def: $vgpr28_vgpr29
                                        ; implicit-def: $vgpr30_vgpr31
                                        ; implicit-def: $vgpr32_vgpr33
                                        ; implicit-def: $vgpr34_vgpr35
                                        ; implicit-def: $vgpr36_vgpr37
                                        ; implicit-def: $vgpr38_vgpr39
                                        ; implicit-def: $vgpr40_vgpr41
                                        ; implicit-def: $vgpr42_vgpr43
                                        ; implicit-def: $vgpr44_vgpr45
                                        ; implicit-def: $vgpr46_vgpr47
                                        ; implicit-def: $vgpr48_vgpr49
                                        ; implicit-def: $vgpr50_vgpr51
                                        ; implicit-def: $vgpr52_vgpr53
                                        ; implicit-def: $sgpr8_sgpr9
	s_and_b64 vcc, exec, s[6:7]
	v_lshlrev_b32_e32 v54, 2, v0
	s_cbranch_vccz .LBB157_135
.LBB157_127:
	v_mov_b32_e32 v55, 0
	v_lshl_add_u64 v[2:3], s[68:69], 0, v[54:55]
	v_add_co_u32_e32 v4, vcc, 0x1000, v2
	s_movk_i32 s0, 0x58
	s_nop 0
	v_addc_co_u32_e32 v5, vcc, 0, v3, vcc
	flat_load_dword v8, v[2:3]
	flat_load_dword v9, v[2:3] offset:1024
	s_waitcnt lgkmcnt(0)
	flat_load_dword v10, v[2:3] offset:2048
	flat_load_dword v11, v[2:3] offset:3072
	flat_load_dword v12, v[4:5]
	flat_load_dword v13, v[4:5] offset:1024
	flat_load_dword v14, v[4:5] offset:2048
	;; [unrolled: 1-line block ×3, first 2 shown]
	v_add_co_u32_e32 v4, vcc, 0x2000, v2
	v_mad_u32_u24 v1, v0, s0, v54
	s_nop 0
	v_addc_co_u32_e32 v5, vcc, 0, v3, vcc
	v_add_co_u32_e32 v6, vcc, 0x3000, v2
	s_cmp_eq_u64 s[80:81], 0
	s_nop 0
	v_addc_co_u32_e32 v7, vcc, 0, v3, vcc
	flat_load_dword v16, v[4:5]
	flat_load_dword v17, v[4:5] offset:1024
	flat_load_dword v18, v[4:5] offset:2048
	flat_load_dword v19, v[4:5] offset:3072
	flat_load_dword v20, v[6:7]
	flat_load_dword v21, v[6:7] offset:1024
	flat_load_dword v22, v[6:7] offset:2048
	;; [unrolled: 1-line block ×3, first 2 shown]
	v_add_co_u32_e32 v4, vcc, 0x4000, v2
	s_nop 1
	v_addc_co_u32_e32 v5, vcc, 0, v3, vcc
	v_add_co_u32_e32 v2, vcc, 0x5000, v2
	s_nop 1
	v_addc_co_u32_e32 v3, vcc, 0, v3, vcc
	flat_load_dword v6, v[4:5]
	flat_load_dword v7, v[4:5] offset:1024
	flat_load_dword v24, v[4:5] offset:2048
	;; [unrolled: 1-line block ×3, first 2 shown]
	flat_load_dword v26, v[2:3]
	flat_load_dword v27, v[2:3] offset:1024
	flat_load_dword v28, v[2:3] offset:2048
	s_waitcnt vmcnt(0)
	ds_write2st64_b32 v54, v8, v9 offset1:4
	s_waitcnt lgkmcnt(0)
	ds_write2st64_b32 v54, v10, v11 offset0:8 offset1:12
	ds_write2st64_b32 v54, v12, v13 offset0:16 offset1:20
	;; [unrolled: 1-line block ×10, first 2 shown]
	ds_write_b32 v54, v28 offset:22528
	s_waitcnt lgkmcnt(0)
	s_barrier
	ds_read2_b32 v[2:3], v1 offset1:1
	ds_read2_b32 v[18:19], v1 offset0:2 offset1:3
	ds_read2_b32 v[22:23], v1 offset0:4 offset1:5
	;; [unrolled: 1-line block ×10, first 2 shown]
	ds_read_b32 v10, v1 offset:88
	s_cbranch_scc1 .LBB157_132
; %bb.128:
	s_andn2_b64 vcc, exec, s[78:79]
	s_cbranch_vccnz .LBB157_268
; %bb.129:
	s_lshl_b64 s[0:1], s[80:81], 2
	s_add_u32 s0, s70, s0
	s_addc_u32 s1, s71, s1
	s_add_u32 s0, s0, -4
	s_addc_u32 s1, s1, -1
	s_cbranch_execnz .LBB157_131
.LBB157_130:
	s_add_u32 s0, s68, -4
	s_addc_u32 s1, s69, -1
.LBB157_131:
	s_mov_b64 s[68:69], s[0:1]
.LBB157_132:
	v_mov_b64_e32 v[12:13], s[68:69]
	flat_load_dword v11, v[12:13]
	s_movk_i32 s0, 0xffa8
	v_mad_i32_i24 v12, v0, s0, v1
	s_waitcnt lgkmcnt(0)
	ds_write_b32 v12, v10 offset:23552
	s_waitcnt lgkmcnt(0)
	s_barrier
	s_and_saveexec_b64 s[0:1], s[4:5]
	s_cbranch_execz .LBB157_134
; %bb.133:
	s_waitcnt vmcnt(0)
	v_mul_i32_i24_e32 v11, 0xffffffa8, v0
	v_add_u32_e32 v11, v1, v11
	ds_read_b32 v11, v11 offset:23548
.LBB157_134:
	s_or_b64 exec, exec, s[0:1]
	v_mov_b32_e32 v55, 0
	v_lshl_add_u64 v[12:13], s[60:61], 0, v[54:55]
	s_movk_i32 s0, 0x1000
	v_add_co_u32_e32 v14, vcc, s0, v12
	s_movk_i32 s0, 0x2000
	s_nop 0
	v_addc_co_u32_e32 v15, vcc, 0, v13, vcc
	s_waitcnt lgkmcnt(0)
	s_barrier
	flat_load_dword v20, v[12:13]
	flat_load_dword v21, v[12:13] offset:1024
	flat_load_dword v24, v[12:13] offset:2048
	;; [unrolled: 1-line block ×3, first 2 shown]
	flat_load_dword v28, v[14:15]
	flat_load_dword v29, v[14:15] offset:1024
	flat_load_dword v32, v[14:15] offset:2048
	flat_load_dword v33, v[14:15] offset:3072
	v_add_co_u32_e32 v14, vcc, s0, v12
	s_movk_i32 s0, 0x3000
	s_nop 0
	v_addc_co_u32_e32 v15, vcc, 0, v13, vcc
	v_add_co_u32_e32 v16, vcc, s0, v12
	s_movk_i32 s0, 0x4000
	s_nop 0
	v_addc_co_u32_e32 v17, vcc, 0, v13, vcc
	flat_load_dword v36, v[14:15]
	flat_load_dword v37, v[14:15] offset:1024
	flat_load_dword v40, v[14:15] offset:2048
	;; [unrolled: 1-line block ×3, first 2 shown]
	flat_load_dword v44, v[16:17]
	flat_load_dword v45, v[16:17] offset:1024
	flat_load_dword v46, v[16:17] offset:2048
	;; [unrolled: 1-line block ×3, first 2 shown]
	v_add_co_u32_e32 v14, vcc, s0, v12
	s_movk_i32 s0, 0x5000
	s_nop 0
	v_addc_co_u32_e32 v15, vcc, 0, v13, vcc
	v_add_co_u32_e32 v12, vcc, s0, v12
	v_cmp_ne_u32_e64 s[0:1], v5, v10
	s_nop 0
	v_addc_co_u32_e32 v13, vcc, 0, v13, vcc
	flat_load_dword v16, v[14:15]
	flat_load_dword v17, v[14:15] offset:1024
	flat_load_dword v48, v[14:15] offset:2048
	;; [unrolled: 1-line block ×3, first 2 shown]
	flat_load_dword v50, v[12:13]
	flat_load_dword v51, v[12:13] offset:1024
	flat_load_dword v52, v[12:13] offset:2048
	s_waitcnt vmcnt(0)
	v_cmp_ne_u32_e32 vcc, v11, v2
	s_mov_b64 s[10:11], -1
                                        ; implicit-def: $sgpr8_sgpr9
	s_waitcnt lgkmcnt(0)
	ds_write2st64_b32 v54, v20, v21 offset1:4
	ds_write2st64_b32 v54, v24, v25 offset0:8 offset1:12
	ds_write2st64_b32 v54, v28, v29 offset0:16 offset1:20
	;; [unrolled: 1-line block ×10, first 2 shown]
	ds_write_b32 v54, v52 offset:22528
	v_cndmask_b32_e64 v11, 0, 1, vcc
	v_cmp_ne_u32_e32 vcc, v2, v3
	s_waitcnt lgkmcnt(0)
	s_barrier
	v_cndmask_b32_e64 v13, 0, 1, vcc
	v_cmp_ne_u32_e32 vcc, v3, v18
	ds_read2_b32 v[16:17], v1 offset1:1
	ds_read2_b32 v[20:21], v1 offset0:2 offset1:3
	ds_read2_b32 v[24:25], v1 offset0:4 offset1:5
	;; [unrolled: 1-line block ×10, first 2 shown]
	ds_read_b32 v3, v1 offset:88
	v_cndmask_b32_e64 v15, 0, 1, vcc
	v_cmp_ne_u32_e32 vcc, v18, v19
	s_waitcnt lgkmcnt(11)
	v_mov_b32_e32 v12, v17
	v_mov_b32_e32 v10, v16
	v_cndmask_b32_e64 v17, 0, 1, vcc
	v_cmp_ne_u32_e32 vcc, v19, v22
	s_waitcnt lgkmcnt(10)
	v_mov_b32_e32 v16, v21
	v_mov_b32_e32 v14, v20
	;; [unrolled: 5-line block ×5, first 2 shown]
	v_cndmask_b32_e64 v25, 0, 1, vcc
	v_cmp_ne_u32_e32 vcc, v27, v30
	s_waitcnt lgkmcnt(6)
	v_mov_b32_e32 v32, v37
	s_waitcnt lgkmcnt(2)
	v_mov_b32_e32 v48, v51
	v_cndmask_b32_e64 v27, 0, 1, vcc
	v_cmp_ne_u32_e32 vcc, v30, v31
	v_mov_b32_e32 v30, v36
	v_mov_b32_e32 v36, v41
	v_cndmask_b32_e64 v29, 0, 1, vcc
	v_cmp_ne_u32_e32 vcc, v31, v34
	s_waitcnt lgkmcnt(1)
	v_mov_b32_e32 v52, v57
	v_cndmask_b32_e64 v31, 0, 1, vcc
	v_cmp_ne_u32_e32 vcc, v34, v35
	v_mov_b32_e32 v34, v40
	v_mov_b32_e32 v40, v45
	v_cndmask_b32_e64 v33, 0, 1, vcc
	v_cmp_ne_u32_e32 vcc, v35, v38
	s_nop 1
	v_cndmask_b32_e64 v35, 0, 1, vcc
	v_cmp_ne_u32_e32 vcc, v38, v39
	v_mov_b32_e32 v38, v44
	v_mov_b32_e32 v44, v47
	v_cndmask_b32_e64 v37, 0, 1, vcc
	v_cmp_ne_u32_e32 vcc, v39, v42
	s_nop 1
	v_cndmask_b32_e64 v39, 0, 1, vcc
	v_cmp_ne_u32_e32 vcc, v42, v43
	v_mov_b32_e32 v42, v46
	v_mov_b32_e32 v46, v50
	v_cndmask_b32_e64 v41, 0, 1, vcc
	v_cmp_ne_u32_e32 vcc, v43, v8
	v_mov_b32_e32 v50, v56
	s_nop 0
	v_cndmask_b32_e64 v43, 0, 1, vcc
	v_cmp_ne_u32_e32 vcc, v8, v9
	s_nop 1
	v_cndmask_b32_e64 v45, 0, 1, vcc
	v_cmp_ne_u32_e32 vcc, v9, v6
	;; [unrolled: 3-line block ×5, first 2 shown]
	s_nop 1
	v_cndmask_b32_e64 v53, 0, 1, vcc
.LBB157_135:
	v_mov_b64_e32 v[56:57], s[8:9]
	s_and_saveexec_b64 s[6:7], s[10:11]
	s_cbranch_execz .LBB157_137
; %bb.136:
	v_cndmask_b32_e64 v57, 0, 1, s[0:1]
	s_waitcnt lgkmcnt(0)
	v_mov_b32_e32 v56, v3
.LBB157_137:
	s_or_b64 exec, exec, s[6:7]
	s_mov_b32 s0, 0
	s_cmp_lg_u32 s75, 0
	v_or_b32_e32 v55, v57, v53
	v_lshrrev_b32_e32 v1, 5, v0
	v_cmp_gt_u32_e32 vcc, 64, v0
	s_waitcnt lgkmcnt(0)
	s_barrier
	s_cbranch_scc0 .LBB157_172
; %bb.138:
	s_mov_b32 s1, 1
	v_cmp_gt_u64_e64 s[6:7], s[0:1], v[12:13]
	v_cmp_gt_u64_e64 s[8:9], s[0:1], v[14:15]
	v_cmp_gt_u64_e64 s[10:11], s[0:1], v[16:17]
	v_cndmask_b32_e64 v2, 0, v10, s[6:7]
	v_add_u32_e32 v2, v2, v12
	v_cndmask_b32_e64 v2, 0, v2, s[8:9]
	v_add_u32_e32 v2, v2, v14
	v_cndmask_b32_e64 v2, 0, v2, s[10:11]
	v_add_u32_e32 v2, v2, v16
	v_cmp_gt_u64_e64 s[12:13], s[0:1], v[18:19]
	v_cmp_gt_u64_e64 s[14:15], s[0:1], v[20:21]
	v_cmp_gt_u64_e64 s[16:17], s[0:1], v[22:23]
	v_cndmask_b32_e64 v2, 0, v2, s[12:13]
	v_add_u32_e32 v2, v2, v18
	v_cndmask_b32_e64 v2, 0, v2, s[14:15]
	v_add_u32_e32 v2, v2, v20
	v_cndmask_b32_e64 v2, 0, v2, s[16:17]
	v_add_u32_e32 v2, v2, v22
	;; [unrolled: 9-line block ×7, first 2 shown]
	v_cmp_gt_u64_e64 s[50:51], s[0:1], v[56:57]
	s_nop 1
	v_cndmask_b32_e64 v2, 0, v2, s[50:51]
	v_add_u32_e32 v62, v2, v56
	v_or3_b32 v2, v55, v51, v49
	v_or3_b32 v2, v2, v47, v45
	;; [unrolled: 1-line block ×10, first 2 shown]
	v_and_b32_e32 v2, 1, v2
	v_cmp_eq_u32_e64 s[0:1], 1, v2
	v_add_lshl_u32 v2, v1, v0, 3
	s_nop 0
	v_cndmask_b32_e64 v63, v11, 1, s[0:1]
	ds_write_b32 v2, v62
	ds_write_b8 v2, v63 offset:4
	s_waitcnt lgkmcnt(0)
	s_barrier
	s_and_saveexec_b64 s[52:53], vcc
	s_cbranch_execz .LBB157_150
; %bb.139:
	v_lshrrev_b32_e32 v2, 3, v0
	v_add_lshl_u32 v4, v2, v54, 3
	ds_read2_b32 v[6:7], v4 offset0:2 offset1:4
	ds_read_b64 v[2:3], v4
	ds_read_u8 v8, v4 offset:12
	ds_read_u8 v9, v4 offset:20
	ds_read_b32 v58, v4 offset:24
	ds_read_u8 v59, v4 offset:28
	v_mov_b32_e32 v60, 0
	s_waitcnt lgkmcnt(3)
	v_cmp_eq_u16_sdwa s[0:1], v8, v60 src0_sel:BYTE_0 src1_sel:DWORD
	v_and_b32_e32 v5, 1, v3
	s_nop 0
	v_cndmask_b32_e64 v61, 0, v2, s[0:1]
	v_add_u32_e32 v6, v61, v6
	s_waitcnt lgkmcnt(2)
	v_cmp_eq_u16_sdwa s[0:1], v9, v60 src0_sel:BYTE_0 src1_sel:DWORD
	s_nop 1
	v_cndmask_b32_e64 v6, 0, v6, s[0:1]
	v_add_u32_e32 v6, v6, v7
	s_waitcnt lgkmcnt(0)
	v_cmp_eq_u16_e64 s[0:1], 0, v59
	s_nop 1
	v_cndmask_b32_e64 v6, 0, v6, s[0:1]
	v_add_u32_e32 v7, v6, v58
	v_or_b32_e32 v6, v59, v9
	v_or_b32_e32 v6, v6, v8
	v_and_b32_e32 v6, 1, v6
	v_cmp_eq_u32_e64 s[0:1], 1, v6
	v_mbcnt_lo_u32_b32 v8, -1, 0
	v_and_b32_e32 v6, 0xffffff00, v3
	v_cndmask_b32_e64 v9, v5, 1, s[0:1]
	v_mbcnt_hi_u32_b32 v8, -1, v8
	v_and_b32_e32 v59, 15, v8
	v_or_b32_sdwa v58, v6, v9 dst_sel:DWORD dst_unused:UNUSED_PAD src0_sel:DWORD src1_sel:WORD_0
	v_mov_b32_dpp v60, v7 row_shr:1 row_mask:0xf bank_mask:0xf
	v_cmp_ne_u32_e64 s[0:1], 0, v59
	v_mov_b32_dpp v61, v58 row_shr:1 row_mask:0xf bank_mask:0xf
	s_and_saveexec_b64 s[60:61], s[0:1]
; %bb.140:
	v_and_b32_e32 v58, 1, v9
	v_and_b32_e32 v61, 1, v61
	v_cmp_eq_u32_e64 s[0:1], 1, v58
	s_nop 1
	v_cndmask_b32_e64 v61, v61, 1, s[0:1]
	v_cmp_eq_u16_e64 s[0:1], 0, v9
	v_or_b32_sdwa v58, v6, v61 dst_sel:DWORD dst_unused:UNUSED_PAD src0_sel:DWORD src1_sel:WORD_0
	s_nop 0
	v_cndmask_b32_e64 v9, 0, v60, s[0:1]
	v_add_u32_e32 v7, v9, v7
	v_mov_b32_e32 v9, v61
; %bb.141:
	s_or_b64 exec, exec, s[60:61]
	v_mov_b32_dpp v60, v7 row_shr:2 row_mask:0xf bank_mask:0xf
	v_mov_b32_dpp v61, v58 row_shr:2 row_mask:0xf bank_mask:0xf
	v_cmp_lt_u32_e64 s[0:1], 1, v59
	s_and_saveexec_b64 s[60:61], s[0:1]
; %bb.142:
	v_and_b32_e32 v58, 1, v9
	v_and_b32_e32 v61, 1, v61
	v_cmp_eq_u32_e64 s[0:1], 1, v58
	s_nop 1
	v_cndmask_b32_e64 v61, v61, 1, s[0:1]
	v_cmp_eq_u16_e64 s[0:1], 0, v9
	v_or_b32_sdwa v58, v6, v61 dst_sel:DWORD dst_unused:UNUSED_PAD src0_sel:DWORD src1_sel:WORD_0
	s_nop 0
	v_cndmask_b32_e64 v9, 0, v60, s[0:1]
	v_add_u32_e32 v7, v9, v7
	v_mov_b32_e32 v9, v61
; %bb.143:
	s_or_b64 exec, exec, s[60:61]
	v_mov_b32_dpp v60, v7 row_shr:4 row_mask:0xf bank_mask:0xf
	v_mov_b32_dpp v61, v58 row_shr:4 row_mask:0xf bank_mask:0xf
	v_cmp_lt_u32_e64 s[0:1], 3, v59
	;; [unrolled: 18-line block ×3, first 2 shown]
	s_and_saveexec_b64 s[60:61], s[0:1]
; %bb.146:
	v_and_b32_e32 v58, 1, v9
	v_and_b32_e32 v59, 1, v61
	v_cmp_eq_u32_e64 s[0:1], 1, v58
	s_nop 1
	v_cndmask_b32_e64 v59, v59, 1, s[0:1]
	v_cmp_eq_u16_e64 s[0:1], 0, v9
	v_or_b32_sdwa v58, v6, v59 dst_sel:DWORD dst_unused:UNUSED_PAD src0_sel:DWORD src1_sel:WORD_0
	s_nop 0
	v_cndmask_b32_e64 v9, 0, v60, s[0:1]
	v_add_u32_e32 v7, v9, v7
	v_mov_b32_e32 v9, v59
; %bb.147:
	s_or_b64 exec, exec, s[60:61]
	v_and_b32_e32 v61, 16, v8
	v_mov_b32_dpp v59, v7 row_bcast:15 row_mask:0xf bank_mask:0xf
	v_mov_b32_dpp v60, v58 row_bcast:15 row_mask:0xf bank_mask:0xf
	v_cmp_ne_u32_e64 s[0:1], 0, v61
	s_and_saveexec_b64 s[60:61], s[0:1]
; %bb.148:
	v_and_b32_e32 v58, 1, v9
	v_and_b32_e32 v60, 1, v60
	v_cmp_eq_u32_e64 s[0:1], 1, v58
	s_nop 1
	v_cndmask_b32_e64 v60, v60, 1, s[0:1]
	v_cmp_eq_u16_e64 s[0:1], 0, v9
	v_or_b32_sdwa v58, v6, v60 dst_sel:DWORD dst_unused:UNUSED_PAD src0_sel:DWORD src1_sel:WORD_0
	s_nop 0
	v_cndmask_b32_e64 v9, 0, v59, s[0:1]
	v_add_u32_e32 v7, v9, v7
	v_mov_b32_e32 v9, v60
; %bb.149:
	s_or_b64 exec, exec, s[60:61]
	v_mov_b32_dpp v58, v58 row_bcast:31 row_mask:0xf bank_mask:0xf
	v_and_b32_e32 v60, 1, v9
	v_and_b32_e32 v58, 1, v58
	v_cmp_eq_u32_e64 s[0:1], 1, v60
	v_mov_b32_e32 v60, 0
	v_cmp_eq_u16_sdwa s[60:61], v9, v60 src0_sel:BYTE_0 src1_sel:DWORD
	v_cndmask_b32_e64 v58, v58, 1, s[0:1]
	v_cmp_lt_u32_e64 s[0:1], 31, v8
	v_mov_b32_dpp v59, v7 row_bcast:31 row_mask:0xf bank_mask:0xf
	s_movk_i32 s64, 0xff
	v_cndmask_b32_e64 v9, v9, v58, s[0:1]
	s_and_b64 s[0:1], s[0:1], s[60:61]
	v_cndmask_b32_e64 v58, 0, v59, s[0:1]
	v_add_u32_e32 v7, v58, v7
	v_add_u32_e32 v58, -1, v8
	v_and_b32_e32 v59, 64, v8
	v_cmp_lt_i32_e64 s[0:1], v58, v59
	v_and_or_b32 v6, v9, s64, v6
	s_nop 0
	v_cndmask_b32_e64 v8, v58, v8, s[0:1]
	v_lshlrev_b32_e32 v8, 2, v8
	ds_bpermute_b32 v7, v8, v7
	ds_bpermute_b32 v6, v8, v6
	v_cmp_eq_u16_sdwa s[0:1], v3, v60 src0_sel:BYTE_0 src1_sel:DWORD
	; wave barrier
	s_waitcnt lgkmcnt(1)
	s_nop 0
	v_cndmask_b32_e64 v3, 0, v7, s[0:1]
	v_add_u32_e32 v2, v3, v2
	s_waitcnt lgkmcnt(0)
	v_and_b32_e32 v3, 1, v6
	v_cmp_eq_u32_e64 s[0:1], 1, v5
	v_cndmask_b32_e64 v5, v2, v62, s[54:55]
	s_nop 0
	v_cndmask_b32_e64 v3, v3, 1, s[0:1]
	v_cndmask_b32_e64 v6, v3, v63, s[54:55]
	ds_write_b32 v4, v5
	ds_write_b8 v4, v6 offset:4
	; wave barrier
	ds_read_u8 v7, v4 offset:12
	ds_read2_b32 v[2:3], v4 offset0:2 offset1:4
	ds_read_u8 v8, v4 offset:20
	ds_read_b32 v9, v4 offset:24
	ds_read_u8 v58, v4 offset:28
	s_waitcnt lgkmcnt(4)
	v_cmp_eq_u16_e64 s[0:1], 0, v7
	s_nop 1
	v_cndmask_b32_e64 v5, 0, v5, s[0:1]
	s_waitcnt lgkmcnt(3)
	v_add_u32_e32 v2, v5, v2
	v_and_b32_e32 v5, 1, v7
	v_cmp_eq_u32_e64 s[0:1], 1, v5
	s_nop 1
	v_cndmask_b32_e64 v5, v6, 1, s[0:1]
	s_waitcnt lgkmcnt(2)
	v_cmp_eq_u16_e64 s[0:1], 0, v8
	ds_write_b8 v4, v5 offset:12
	s_nop 0
	v_cndmask_b32_e64 v6, 0, v2, s[0:1]
	v_add_u32_e32 v3, v6, v3
	v_and_b32_e32 v6, 1, v8
	v_cmp_eq_u32_e64 s[0:1], 1, v6
	s_nop 1
	v_cndmask_b32_e64 v5, v5, 1, s[0:1]
	s_waitcnt lgkmcnt(1)
	v_cmp_eq_u16_e64 s[0:1], 0, v58
	ds_write2_b32 v4, v2, v3 offset0:2 offset1:4
	ds_write_b8 v4, v5 offset:20
	v_cndmask_b32_e64 v2, 0, v3, s[0:1]
	v_and_b32_e32 v3, 1, v58
	v_add_u32_e32 v2, v2, v9
	v_cmp_eq_u32_e64 s[0:1], 1, v3
	s_nop 1
	v_cndmask_b32_e64 v3, v5, 1, s[0:1]
	ds_write_b32 v4, v2 offset:24
	ds_write_b8 v4, v3 offset:28
.LBB157_150:
	s_or_b64 exec, exec, s[52:53]
	s_waitcnt lgkmcnt(0)
	s_barrier
	s_and_saveexec_b64 s[0:1], s[4:5]
	s_cbranch_execz .LBB157_152
; %bb.151:
	v_add_u32_e32 v2, -1, v0
	v_lshrrev_b32_e32 v3, 5, v2
	v_add_lshl_u32 v2, v3, v2, 3
	ds_read_b32 v62, v2
	ds_read_u8 v63, v2 offset:4
.LBB157_152:
	s_or_b64 exec, exec, s[0:1]
	s_and_saveexec_b64 s[60:61], vcc
	s_cbranch_execz .LBB157_171
; %bb.153:
	v_mov_b32_e32 v5, 0
	ds_read_b64 v[2:3], v5 offset:2096
	v_mbcnt_lo_u32_b32 v4, -1, 0
	v_mbcnt_hi_u32_b32 v73, -1, v4
	s_mov_b32 s65, 0
	v_cmp_eq_u32_e64 s[52:53], 0, v73
	s_waitcnt lgkmcnt(0)
	v_readfirstlane_b32 s70, v3
	s_and_saveexec_b64 s[0:1], s[52:53]
	s_cbranch_execz .LBB157_155
; %bb.154:
	s_add_i32 s64, s75, 64
	s_lshl_b64 s[68:69], s[64:65], 4
	s_add_u32 s68, s72, s68
	s_addc_u32 s69, s73, s69
	s_and_b32 s79, s70, 0xff000000
	s_mov_b32 s78, s65
	s_and_b32 s81, s70, 0xff0000
	s_mov_b32 s80, s65
	s_or_b64 s[78:79], s[80:81], s[78:79]
	s_and_b32 s81, s70, 0xff00
	s_or_b64 s[78:79], s[78:79], s[80:81]
	s_and_b32 s81, s70, 0xff
	s_or_b64 s[64:65], s[78:79], s[80:81]
	v_mov_b32_e32 v3, s65
	v_mov_b32_e32 v4, 1
	v_mov_b64_e32 v[6:7], s[68:69]
	;;#ASMSTART
	global_store_dwordx4 v[6:7], v[2:5] off sc1	
s_waitcnt vmcnt(0)
	;;#ASMEND
.LBB157_155:
	s_or_b64 exec, exec, s[0:1]
	v_xad_u32 v58, v73, -1, s75
	v_add_u32_e32 v4, 64, v58
	v_lshl_add_u64 v[60:61], v[4:5], 4, s[72:73]
	;;#ASMSTART
	global_load_dwordx4 v[6:9], v[60:61] off sc1	
s_waitcnt vmcnt(0)
	;;#ASMEND
	s_nop 0
	v_and_b32_e32 v3, 0xff0000, v6
	v_and_b32_e32 v4, 0xff000000, v6
	;; [unrolled: 1-line block ×3, first 2 shown]
	v_or_b32_sdwa v3, v6, v3 dst_sel:DWORD dst_unused:UNUSED_PAD src0_sel:WORD_0 src1_sel:DWORD
	v_or3_b32 v7, 0, 0, v7
	v_or3_b32 v6, v3, v4, 0
	v_cmp_eq_u16_sdwa s[64:65], v8, v5 src0_sel:BYTE_0 src1_sel:DWORD
	s_and_saveexec_b64 s[0:1], s[64:65]
	s_cbranch_execz .LBB157_159
; %bb.156:
	s_mov_b64 s[64:65], 0
	v_mov_b32_e32 v3, 0
.LBB157_157:                            ; =>This Inner Loop Header: Depth=1
	;;#ASMSTART
	global_load_dwordx4 v[6:9], v[60:61] off sc1	
s_waitcnt vmcnt(0)
	;;#ASMEND
	s_nop 0
	v_cmp_ne_u16_sdwa s[68:69], v8, v3 src0_sel:BYTE_0 src1_sel:DWORD
	s_or_b64 s[64:65], s[68:69], s[64:65]
	s_andn2_b64 exec, exec, s[64:65]
	s_cbranch_execnz .LBB157_157
; %bb.158:
	s_or_b64 exec, exec, s[64:65]
	v_and_b32_e32 v7, 0xff, v7
.LBB157_159:
	s_or_b64 exec, exec, s[0:1]
	v_mov_b32_e32 v3, 2
	v_cmp_eq_u16_sdwa s[0:1], v8, v3 src0_sel:BYTE_0 src1_sel:DWORD
	v_lshlrev_b64 v[4:5], v73, -1
	v_and_b32_e32 v64, 63, v73
	v_and_b32_e32 v9, s1, v5
	v_or_b32_e32 v9, 0x80000000, v9
	v_and_b32_e32 v59, s0, v4
	v_ffbl_b32_e32 v9, v9
	v_add_u32_e32 v9, 32, v9
	v_ffbl_b32_e32 v59, v59
	v_cmp_ne_u32_e32 vcc, 63, v64
	v_min_u32_e32 v9, v59, v9
	s_mov_b32 s64, 0
	v_addc_co_u32_e32 v59, vcc, 0, v73, vcc
	v_lshlrev_b32_e32 v65, 2, v59
	ds_bpermute_b32 v59, v65, v7
	ds_bpermute_b32 v60, v65, v6
	v_and_b32_e32 v61, 1, v7
	s_mov_b32 s65, 1
	v_cmp_eq_u32_e32 vcc, 1, v61
	s_waitcnt lgkmcnt(1)
	v_and_b32_e32 v59, 1, v59
	v_cmp_lt_u32_e64 s[0:1], v64, v9
	v_cndmask_b32_e64 v59, v59, 1, vcc
	v_cmp_gt_u64_e32 vcc, s[64:65], v[6:7]
	s_and_b64 vcc, s[0:1], vcc
	v_and_b32_e32 v61, 0xffff, v59
	v_cndmask_b32_e64 v68, v7, v59, s[0:1]
	s_waitcnt lgkmcnt(0)
	v_cndmask_b32_e32 v59, 0, v60, vcc
	v_cmp_gt_u32_e32 vcc, 62, v64
	v_cndmask_b32_e64 v7, v7, v61, s[0:1]
	v_add_u32_e32 v6, v59, v6
	v_cndmask_b32_e64 v60, 0, 1, vcc
	v_lshlrev_b32_e32 v60, 1, v60
	v_add_lshl_u32 v66, v60, v73, 2
	ds_bpermute_b32 v60, v66, v7
	ds_bpermute_b32 v61, v66, v6
	v_and_b32_e32 v59, 1, v68
	v_cmp_eq_u32_e32 vcc, 1, v59
	v_mov_b32_e32 v59, 0
	s_waitcnt lgkmcnt(1)
	v_and_b32_e32 v60, 1, v60
	v_add_u32_e32 v67, 2, v64
	v_cndmask_b32_e64 v60, v60, 1, vcc
	v_cmp_eq_u16_sdwa vcc, v68, v59 src0_sel:BYTE_0 src1_sel:DWORD
	v_and_b32_e32 v69, 0xffff, v60
	v_add_u32_e32 v77, 32, v64
	s_waitcnt lgkmcnt(0)
	v_cndmask_b32_e32 v61, 0, v61, vcc
	v_cmp_gt_u32_e32 vcc, v67, v9
	s_nop 1
	v_cndmask_b32_e32 v60, v60, v68, vcc
	v_cndmask_b32_e64 v61, v61, 0, vcc
	v_cndmask_b32_e32 v7, v69, v7, vcc
	v_cmp_gt_u32_e32 vcc, 60, v64
	v_add_u32_e32 v6, v61, v6
	v_and_b32_e32 v71, 1, v60
	v_cndmask_b32_e64 v68, 0, 1, vcc
	v_lshlrev_b32_e32 v68, 2, v68
	v_add_lshl_u32 v68, v68, v73, 2
	ds_bpermute_b32 v70, v68, v7
	ds_bpermute_b32 v61, v68, v6
	v_cmp_eq_u32_e32 vcc, 1, v71
	v_add_u32_e32 v69, 4, v64
	s_waitcnt lgkmcnt(1)
	v_and_b32_e32 v70, 1, v70
	v_cndmask_b32_e64 v70, v70, 1, vcc
	v_cmp_eq_u16_sdwa vcc, v60, v59 src0_sel:BYTE_0 src1_sel:DWORD
	v_and_b32_e32 v71, 0xffff, v70
	s_waitcnt lgkmcnt(0)
	v_cndmask_b32_e32 v61, 0, v61, vcc
	v_cmp_gt_u32_e32 vcc, v69, v9
	s_nop 1
	v_cndmask_b32_e32 v60, v70, v60, vcc
	v_cndmask_b32_e64 v61, v61, 0, vcc
	v_cndmask_b32_e32 v7, v71, v7, vcc
	v_cmp_gt_u32_e32 vcc, 56, v64
	v_add_u32_e32 v6, v61, v6
	v_and_b32_e32 v74, 1, v60
	v_cndmask_b32_e64 v70, 0, 1, vcc
	v_lshlrev_b32_e32 v70, 3, v70
	v_add_lshl_u32 v70, v70, v73, 2
	ds_bpermute_b32 v72, v70, v7
	ds_bpermute_b32 v61, v70, v6
	v_cmp_eq_u32_e32 vcc, 1, v74
	v_add_u32_e32 v71, 8, v64
	s_waitcnt lgkmcnt(1)
	v_and_b32_e32 v72, 1, v72
	v_cndmask_b32_e64 v72, v72, 1, vcc
	v_cmp_eq_u16_sdwa vcc, v60, v59 src0_sel:BYTE_0 src1_sel:DWORD
	v_and_b32_e32 v74, 0xffff, v72
	s_waitcnt lgkmcnt(0)
	v_cndmask_b32_e32 v61, 0, v61, vcc
	v_cmp_gt_u32_e32 vcc, v71, v9
	s_nop 1
	v_cndmask_b32_e32 v60, v72, v60, vcc
	v_cndmask_b32_e64 v61, v61, 0, vcc
	v_cndmask_b32_e32 v7, v74, v7, vcc
	v_cmp_gt_u32_e32 vcc, 48, v64
	v_add_u32_e32 v6, v61, v6
	v_and_b32_e32 v76, 1, v60
	v_cndmask_b32_e64 v72, 0, 1, vcc
	v_lshlrev_b32_e32 v72, 4, v72
	v_add_lshl_u32 v72, v72, v73, 2
	ds_bpermute_b32 v75, v72, v7
	ds_bpermute_b32 v61, v72, v6
	v_cmp_eq_u32_e32 vcc, 1, v76
	v_add_u32_e32 v74, 16, v64
	s_waitcnt lgkmcnt(1)
	v_and_b32_e32 v75, 1, v75
	v_cndmask_b32_e64 v75, v75, 1, vcc
	v_cmp_eq_u16_sdwa vcc, v60, v59 src0_sel:BYTE_0 src1_sel:DWORD
	v_and_b32_e32 v76, 0xffff, v75
	s_waitcnt lgkmcnt(0)
	v_cndmask_b32_e32 v61, 0, v61, vcc
	v_cmp_gt_u32_e32 vcc, v74, v9
	s_nop 1
	v_cndmask_b32_e32 v60, v75, v60, vcc
	v_cndmask_b32_e64 v61, v61, 0, vcc
	v_cndmask_b32_e32 v7, v76, v7, vcc
	v_cmp_gt_u32_e32 vcc, 32, v64
	v_add_u32_e32 v6, v61, v6
	s_nop 0
	v_cndmask_b32_e64 v75, 0, 1, vcc
	v_lshlrev_b32_e32 v75, 5, v75
	v_add_lshl_u32 v76, v75, v73, 2
	ds_bpermute_b32 v7, v76, v7
	ds_bpermute_b32 v61, v76, v6
	v_and_b32_e32 v73, 1, v60
	v_cmp_eq_u32_e32 vcc, 1, v73
	s_waitcnt lgkmcnt(1)
	v_and_b32_e32 v7, 1, v7
	v_cndmask_b32_e64 v7, v7, 1, vcc
	v_cmp_eq_u16_sdwa vcc, v60, v59 src0_sel:BYTE_0 src1_sel:DWORD
	s_waitcnt lgkmcnt(0)
	s_nop 0
	v_cndmask_b32_e32 v61, 0, v61, vcc
	v_cmp_gt_u32_e32 vcc, v77, v9
	s_nop 1
	v_cndmask_b32_e64 v9, v61, 0, vcc
	v_cndmask_b32_e32 v7, v7, v60, vcc
	v_add_u32_e32 v6, v9, v6
	s_branch .LBB157_161
.LBB157_160:                            ;   in Loop: Header=BB157_161 Depth=1
	s_or_b64 exec, exec, s[0:1]
	v_cmp_eq_u16_sdwa s[0:1], v8, v3 src0_sel:BYTE_0 src1_sel:DWORD
	ds_bpermute_b32 v61, v65, v7
	v_and_b32_e32 v78, 1, v7
	v_and_b32_e32 v9, s1, v5
	v_or_b32_e32 v9, 0x80000000, v9
	v_and_b32_e32 v60, s0, v4
	v_ffbl_b32_e32 v9, v9
	v_add_u32_e32 v9, 32, v9
	v_ffbl_b32_e32 v60, v60
	v_min_u32_e32 v9, v60, v9
	ds_bpermute_b32 v60, v65, v6
	s_waitcnt lgkmcnt(1)
	v_and_b32_e32 v61, 1, v61
	v_cmp_eq_u32_e32 vcc, 1, v78
	v_cmp_lt_u32_e64 s[0:1], v64, v9
	v_subrev_u32_e32 v58, 64, v58
	v_cndmask_b32_e64 v61, v61, 1, vcc
	v_cmp_gt_u64_e32 vcc, s[64:65], v[6:7]
	v_and_b32_e32 v78, 0xffff, v61
	v_cndmask_b32_e64 v61, v7, v61, s[0:1]
	v_cndmask_b32_e64 v7, v7, v78, s[0:1]
	s_and_b64 vcc, s[0:1], vcc
	ds_bpermute_b32 v78, v66, v7
	s_waitcnt lgkmcnt(1)
	v_cndmask_b32_e32 v60, 0, v60, vcc
	v_add_u32_e32 v6, v60, v6
	ds_bpermute_b32 v60, v66, v6
	v_and_b32_e32 v79, 1, v61
	s_waitcnt lgkmcnt(1)
	v_and_b32_e32 v78, 1, v78
	v_cmp_eq_u32_e32 vcc, 1, v79
	s_nop 1
	v_cndmask_b32_e64 v78, v78, 1, vcc
	v_cmp_eq_u16_sdwa vcc, v61, v59 src0_sel:BYTE_0 src1_sel:DWORD
	v_and_b32_e32 v79, 0xffff, v78
	s_waitcnt lgkmcnt(0)
	v_cndmask_b32_e32 v60, 0, v60, vcc
	v_cmp_gt_u32_e32 vcc, v67, v9
	s_nop 1
	v_cndmask_b32_e32 v7, v79, v7, vcc
	v_cndmask_b32_e32 v61, v78, v61, vcc
	ds_bpermute_b32 v78, v68, v7
	v_cndmask_b32_e64 v60, v60, 0, vcc
	v_add_u32_e32 v6, v60, v6
	ds_bpermute_b32 v60, v68, v6
	v_and_b32_e32 v79, 1, v61
	s_waitcnt lgkmcnt(1)
	v_and_b32_e32 v78, 1, v78
	v_cmp_eq_u32_e32 vcc, 1, v79
	s_nop 1
	v_cndmask_b32_e64 v78, v78, 1, vcc
	v_cmp_eq_u16_sdwa vcc, v61, v59 src0_sel:BYTE_0 src1_sel:DWORD
	v_and_b32_e32 v79, 0xffff, v78
	s_waitcnt lgkmcnt(0)
	v_cndmask_b32_e32 v60, 0, v60, vcc
	v_cmp_gt_u32_e32 vcc, v69, v9
	s_nop 1
	v_cndmask_b32_e32 v7, v79, v7, vcc
	v_cndmask_b32_e32 v61, v78, v61, vcc
	ds_bpermute_b32 v78, v70, v7
	v_cndmask_b32_e64 v60, v60, 0, vcc
	;; [unrolled: 18-line block ×3, first 2 shown]
	v_add_u32_e32 v6, v60, v6
	ds_bpermute_b32 v60, v72, v6
	v_and_b32_e32 v79, 1, v61
	s_waitcnt lgkmcnt(1)
	v_and_b32_e32 v78, 1, v78
	v_cmp_eq_u32_e32 vcc, 1, v79
	s_nop 1
	v_cndmask_b32_e64 v78, v78, 1, vcc
	v_cmp_eq_u16_sdwa vcc, v61, v59 src0_sel:BYTE_0 src1_sel:DWORD
	v_and_b32_e32 v79, 0xffff, v78
	s_waitcnt lgkmcnt(0)
	v_cndmask_b32_e32 v60, 0, v60, vcc
	v_cmp_gt_u32_e32 vcc, v74, v9
	s_nop 1
	v_cndmask_b32_e64 v60, v60, 0, vcc
	v_cndmask_b32_e32 v7, v79, v7, vcc
	ds_bpermute_b32 v7, v76, v7
	v_add_u32_e32 v6, v60, v6
	ds_bpermute_b32 v60, v76, v6
	v_cndmask_b32_e32 v61, v78, v61, vcc
	v_and_b32_e32 v78, 1, v61
	v_cmp_eq_u32_e32 vcc, 1, v78
	s_waitcnt lgkmcnt(1)
	s_nop 0
	v_cndmask_b32_e64 v7, v7, 1, vcc
	v_cmp_eq_u16_sdwa vcc, v61, v59 src0_sel:BYTE_0 src1_sel:DWORD
	s_waitcnt lgkmcnt(0)
	s_nop 0
	v_cndmask_b32_e32 v60, 0, v60, vcc
	v_cmp_gt_u32_e32 vcc, v77, v9
	s_nop 1
	v_cndmask_b32_e64 v9, v60, 0, vcc
	v_cndmask_b32_e32 v7, v7, v61, vcc
	v_add_u32_e32 v6, v9, v6
	v_cmp_eq_u16_sdwa vcc, v73, v59 src0_sel:BYTE_0 src1_sel:DWORD
	v_and_b32_e32 v9, 1, v73
	v_and_b32_e32 v7, 1, v7
	v_cndmask_b32_e32 v6, 0, v6, vcc
	v_cmp_eq_u32_e32 vcc, 1, v9
	v_add_u32_e32 v6, v6, v75
	s_nop 0
	v_cndmask_b32_e64 v7, v7, 1, vcc
.LBB157_161:                            ; =>This Loop Header: Depth=1
                                        ;     Child Loop BB157_164 Depth 2
	v_cmp_ne_u16_sdwa s[0:1], v8, v3 src0_sel:BYTE_0 src1_sel:DWORD
	v_mov_b32_e32 v73, v7
	v_mov_b32_e32 v75, v6
	v_cndmask_b32_e64 v7, 0, 1, s[0:1]
	;;#ASMSTART
	;;#ASMEND
	s_nop 0
	v_cmp_ne_u32_e32 vcc, 0, v7
	s_cmp_lg_u64 vcc, exec
	s_cbranch_scc1 .LBB157_166
; %bb.162:                              ;   in Loop: Header=BB157_161 Depth=1
	v_lshl_add_u64 v[60:61], v[58:59], 4, s[72:73]
	;;#ASMSTART
	global_load_dwordx4 v[6:9], v[60:61] off sc1	
s_waitcnt vmcnt(0)
	;;#ASMEND
	s_nop 0
	v_and_b32_e32 v9, 0xff0000, v6
	v_and_b32_e32 v78, 0xff000000, v6
	;; [unrolled: 1-line block ×3, first 2 shown]
	v_or_b32_sdwa v6, v6, v9 dst_sel:DWORD dst_unused:UNUSED_PAD src0_sel:WORD_0 src1_sel:DWORD
	v_or3_b32 v7, 0, 0, v7
	v_or3_b32 v6, v6, v78, 0
	v_cmp_eq_u16_sdwa s[68:69], v8, v59 src0_sel:BYTE_0 src1_sel:DWORD
	s_and_saveexec_b64 s[0:1], s[68:69]
	s_cbranch_execz .LBB157_160
; %bb.163:                              ;   in Loop: Header=BB157_161 Depth=1
	s_mov_b64 s[68:69], 0
.LBB157_164:                            ;   Parent Loop BB157_161 Depth=1
                                        ; =>  This Inner Loop Header: Depth=2
	;;#ASMSTART
	global_load_dwordx4 v[6:9], v[60:61] off sc1	
s_waitcnt vmcnt(0)
	;;#ASMEND
	s_nop 0
	v_cmp_ne_u16_sdwa s[78:79], v8, v59 src0_sel:BYTE_0 src1_sel:DWORD
	s_or_b64 s[68:69], s[78:79], s[68:69]
	s_andn2_b64 exec, exec, s[68:69]
	s_cbranch_execnz .LBB157_164
; %bb.165:                              ;   in Loop: Header=BB157_161 Depth=1
	s_or_b64 exec, exec, s[68:69]
	v_and_b32_e32 v7, 0xff, v7
	s_branch .LBB157_160
.LBB157_166:                            ;   in Loop: Header=BB157_161 Depth=1
                                        ; implicit-def: $vgpr7
                                        ; implicit-def: $vgpr6
                                        ; implicit-def: $vgpr8
	s_cbranch_execz .LBB157_161
; %bb.167:
	s_and_saveexec_b64 s[0:1], s[52:53]
	s_cbranch_execz .LBB157_169
; %bb.168:
	s_and_b32 s52, s70, 0xff
	s_cmp_eq_u32 s52, 0
	s_cselect_b64 vcc, -1, 0
	s_bitcmp1_b32 s70, 0
	s_mov_b32 s53, 0
	s_cselect_b64 s[64:65], -1, 0
	s_add_i32 s52, s75, 64
	s_lshl_b64 s[52:53], s[52:53], 4
	v_cndmask_b32_e32 v3, 0, v75, vcc
	s_add_u32 s52, s72, s52
	v_add_u32_e32 v2, v3, v2
	v_and_b32_e32 v3, 1, v73
	s_addc_u32 s53, s73, s53
	v_mov_b32_e32 v5, 0
	v_cndmask_b32_e64 v3, v3, 1, s[64:65]
	v_mov_b32_e32 v4, 2
	v_mov_b64_e32 v[6:7], s[52:53]
	;;#ASMSTART
	global_store_dwordx4 v[6:7], v[2:5] off sc1	
s_waitcnt vmcnt(0)
	;;#ASMEND
.LBB157_169:
	s_or_b64 exec, exec, s[0:1]
	s_and_b64 exec, exec, s[54:55]
	s_cbranch_execz .LBB157_171
; %bb.170:
	v_mov_b32_e32 v2, 0
	ds_write_b32 v2, v75
	ds_write_b8 v2, v73 offset:4
.LBB157_171:
	s_or_b64 exec, exec, s[60:61]
	s_mov_b32 s0, 0
	v_mov_b32_e32 v2, 0
	s_mov_b32 s1, 1
	s_waitcnt lgkmcnt(0)
	s_barrier
	ds_read_b32 v3, v2
	v_cmp_gt_u64_e32 vcc, s[0:1], v[10:11]
	v_and_b32_e32 v5, 1, v11
	v_and_b32_e32 v6, 1, v63
	v_cndmask_b32_e32 v4, 0, v62, vcc
	v_cmp_eq_u32_e32 vcc, 1, v5
	v_cndmask_b32_e64 v4, v4, 0, s[54:55]
	s_nop 0
	v_cndmask_b32_e64 v5, v6, 1, vcc
	v_cndmask_b32_e64 v5, v5, v11, s[54:55]
	v_cmp_eq_u16_sdwa vcc, v5, v2 src0_sel:BYTE_0 src1_sel:DWORD
	s_waitcnt lgkmcnt(0)
	s_nop 0
	v_cndmask_b32_e32 v2, 0, v3, vcc
	v_add3_u32 v80, v4, v10, v2
	v_cndmask_b32_e64 v2, 0, v80, s[6:7]
	v_add_u32_e32 v58, v2, v12
	v_cndmask_b32_e64 v2, 0, v58, s[8:9]
	v_add_u32_e32 v59, v2, v14
	;; [unrolled: 2-line block ×22, first 2 shown]
	s_branch .LBB157_192
.LBB157_172:
                                        ; implicit-def: $vgpr78
                                        ; implicit-def: $vgpr77
                                        ; implicit-def: $vgpr76
                                        ; implicit-def: $vgpr75
                                        ; implicit-def: $vgpr74
                                        ; implicit-def: $vgpr73
                                        ; implicit-def: $vgpr72
                                        ; implicit-def: $vgpr71
                                        ; implicit-def: $vgpr70
                                        ; implicit-def: $vgpr69
                                        ; implicit-def: $vgpr68
                                        ; implicit-def: $vgpr67
                                        ; implicit-def: $vgpr66
                                        ; implicit-def: $vgpr65
                                        ; implicit-def: $vgpr64
                                        ; implicit-def: $vgpr63
                                        ; implicit-def: $vgpr62
                                        ; implicit-def: $vgpr61
                                        ; implicit-def: $vgpr60
                                        ; implicit-def: $vgpr59
                                        ; implicit-def: $vgpr58
                                        ; implicit-def: $vgpr80
                                        ; implicit-def: $vgpr79
	s_cbranch_execz .LBB157_192
; %bb.173:
	s_cmp_lg_u64 s[76:77], 0
	s_cselect_b32 s9, s67, 0
	s_cselect_b32 s8, s66, 0
	s_cmp_lg_u64 s[8:9], 0
	s_cselect_b64 s[6:7], -1, 0
	s_mov_b32 s0, 0
	s_and_b64 s[10:11], s[54:55], s[6:7]
	s_and_saveexec_b64 s[6:7], s[10:11]
	s_cbranch_execz .LBB157_175
; %bb.174:
	v_mov_b32_e32 v2, 0
	global_load_dword v4, v2, s[8:9]
	global_load_ubyte v5, v2, s[8:9] offset:4
	s_mov_b32 s1, 1
	v_and_b32_e32 v3, 1, v11
	v_cmp_gt_u64_e32 vcc, s[0:1], v[10:11]
	s_waitcnt vmcnt(0)
	v_and_b32_e32 v5, 1, v5
	v_cndmask_b32_e32 v4, 0, v4, vcc
	v_cmp_eq_u64_e32 vcc, 0, v[2:3]
	v_add_u32_e32 v10, v4, v10
	s_nop 0
	v_cndmask_b32_e32 v11, 1, v5, vcc
.LBB157_175:
	s_or_b64 exec, exec, s[6:7]
	s_mov_b32 s1, 1
	v_cmp_gt_u64_e32 vcc, s[0:1], v[12:13]
	v_cmp_gt_u64_e64 s[6:7], s[0:1], v[14:15]
	v_cmp_gt_u64_e64 s[8:9], s[0:1], v[16:17]
	v_cndmask_b32_e32 v2, 0, v10, vcc
	v_add_u32_e32 v58, v2, v12
	v_cndmask_b32_e64 v2, 0, v58, s[6:7]
	v_add_u32_e32 v59, v2, v14
	v_cndmask_b32_e64 v2, 0, v59, s[8:9]
	v_add_u32_e32 v60, v2, v16
	v_cmp_gt_u64_e64 s[10:11], s[0:1], v[18:19]
	v_cmp_gt_u64_e64 s[12:13], s[0:1], v[20:21]
	v_cmp_gt_u64_e64 s[14:15], s[0:1], v[22:23]
	v_cndmask_b32_e64 v2, 0, v60, s[10:11]
	v_add_u32_e32 v61, v2, v18
	v_cndmask_b32_e64 v2, 0, v61, s[12:13]
	v_add_u32_e32 v62, v2, v20
	v_cndmask_b32_e64 v2, 0, v62, s[14:15]
	v_add_u32_e32 v63, v2, v22
	v_cmp_gt_u64_e64 s[16:17], s[0:1], v[24:25]
	v_cmp_gt_u64_e64 s[18:19], s[0:1], v[26:27]
	v_cmp_gt_u64_e64 s[20:21], s[0:1], v[28:29]
	v_cndmask_b32_e64 v2, 0, v63, s[16:17]
	v_add_u32_e32 v64, v2, v24
	v_cndmask_b32_e64 v2, 0, v64, s[18:19]
	v_add_u32_e32 v65, v2, v26
	v_cndmask_b32_e64 v2, 0, v65, s[20:21]
	v_add_u32_e32 v66, v2, v28
	v_cmp_gt_u64_e64 s[22:23], s[0:1], v[30:31]
	v_cmp_gt_u64_e64 s[24:25], s[0:1], v[32:33]
	v_cmp_gt_u64_e64 s[26:27], s[0:1], v[34:35]
	v_cndmask_b32_e64 v2, 0, v66, s[22:23]
	v_add_u32_e32 v67, v2, v30
	v_cndmask_b32_e64 v2, 0, v67, s[24:25]
	v_add_u32_e32 v68, v2, v32
	v_cndmask_b32_e64 v2, 0, v68, s[26:27]
	v_add_u32_e32 v69, v2, v34
	v_cmp_gt_u64_e64 s[28:29], s[0:1], v[36:37]
	v_cmp_gt_u64_e64 s[30:31], s[0:1], v[38:39]
	v_cmp_gt_u64_e64 s[34:35], s[0:1], v[40:41]
	v_cndmask_b32_e64 v2, 0, v69, s[28:29]
	v_add_u32_e32 v70, v2, v36
	v_cndmask_b32_e64 v2, 0, v70, s[30:31]
	v_add_u32_e32 v71, v2, v38
	v_cndmask_b32_e64 v2, 0, v71, s[34:35]
	v_add_u32_e32 v72, v2, v40
	v_cmp_gt_u64_e64 s[36:37], s[0:1], v[42:43]
	v_cmp_gt_u64_e64 s[38:39], s[0:1], v[44:45]
	v_cmp_gt_u64_e64 s[40:41], s[0:1], v[46:47]
	v_cndmask_b32_e64 v2, 0, v72, s[36:37]
	v_add_u32_e32 v73, v2, v42
	v_cndmask_b32_e64 v2, 0, v73, s[38:39]
	v_add_u32_e32 v74, v2, v44
	v_cndmask_b32_e64 v2, 0, v74, s[40:41]
	v_add_u32_e32 v75, v2, v46
	v_cmp_gt_u64_e64 s[42:43], s[0:1], v[48:49]
	v_cmp_gt_u64_e64 s[44:45], s[0:1], v[50:51]
	v_cmp_gt_u64_e64 s[46:47], s[0:1], v[52:53]
	v_cndmask_b32_e64 v2, 0, v75, s[42:43]
	v_add_u32_e32 v76, v2, v48
	v_cndmask_b32_e64 v2, 0, v76, s[44:45]
	v_add_u32_e32 v77, v2, v50
	v_cndmask_b32_e64 v2, 0, v77, s[46:47]
	v_add_u32_e32 v78, v2, v52
	v_cmp_gt_u64_e64 s[48:49], s[0:1], v[56:57]
	v_add_lshl_u32 v1, v1, v0, 3
	s_nop 0
	v_cndmask_b32_e64 v2, 0, v78, s[48:49]
	v_add_u32_e32 v79, v2, v56
	v_or3_b32 v2, v55, v51, v49
	v_or3_b32 v2, v2, v47, v45
	;; [unrolled: 1-line block ×10, first 2 shown]
	v_and_b32_e32 v2, 1, v2
	v_cmp_eq_u32_e64 s[0:1], 1, v2
	s_nop 1
	v_cndmask_b32_e64 v4, v11, 1, s[0:1]
	v_cmp_gt_u32_e64 s[0:1], 64, v0
	ds_write_b32 v1, v79
	ds_write_b8 v1, v4 offset:4
	s_waitcnt lgkmcnt(0)
	s_barrier
	s_and_saveexec_b64 s[50:51], s[0:1]
	s_cbranch_execz .LBB157_187
; %bb.176:
	v_lshrrev_b32_e32 v1, 3, v0
	v_add_lshl_u32 v1, v1, v54, 3
	ds_read2_b32 v[6:7], v1 offset0:2 offset1:4
	ds_read_b64 v[2:3], v1
	ds_read_u8 v8, v1 offset:12
	ds_read_u8 v9, v1 offset:20
	ds_read_b32 v13, v1 offset:24
	ds_read_u8 v15, v1 offset:28
	v_mov_b32_e32 v17, 0
	s_waitcnt lgkmcnt(3)
	v_cmp_eq_u16_sdwa s[0:1], v8, v17 src0_sel:BYTE_0 src1_sel:DWORD
	v_and_b32_e32 v5, 1, v3
	s_nop 0
	v_cndmask_b32_e64 v19, 0, v2, s[0:1]
	v_add_u32_e32 v6, v19, v6
	s_waitcnt lgkmcnt(2)
	v_cmp_eq_u16_sdwa s[0:1], v9, v17 src0_sel:BYTE_0 src1_sel:DWORD
	s_nop 1
	v_cndmask_b32_e64 v6, 0, v6, s[0:1]
	v_add_u32_e32 v6, v6, v7
	s_waitcnt lgkmcnt(0)
	v_cmp_eq_u16_e64 s[0:1], 0, v15
	s_nop 1
	v_cndmask_b32_e64 v6, 0, v6, s[0:1]
	v_add_u32_e32 v7, v6, v13
	v_or_b32_e32 v6, v15, v9
	v_or_b32_e32 v6, v6, v8
	v_and_b32_e32 v6, 1, v6
	v_cmp_eq_u32_e64 s[0:1], 1, v6
	v_mbcnt_lo_u32_b32 v8, -1, 0
	v_and_b32_e32 v6, 0xffffff00, v3
	v_cndmask_b32_e64 v9, v5, 1, s[0:1]
	v_mbcnt_hi_u32_b32 v8, -1, v8
	v_and_b32_e32 v15, 15, v8
	v_or_b32_sdwa v13, v6, v9 dst_sel:DWORD dst_unused:UNUSED_PAD src0_sel:DWORD src1_sel:WORD_0
	v_mov_b32_dpp v17, v7 row_shr:1 row_mask:0xf bank_mask:0xf
	v_cmp_ne_u32_e64 s[0:1], 0, v15
	v_mov_b32_dpp v19, v13 row_shr:1 row_mask:0xf bank_mask:0xf
	s_and_saveexec_b64 s[52:53], s[0:1]
; %bb.177:
	v_and_b32_e32 v13, 1, v9
	v_and_b32_e32 v19, 1, v19
	v_cmp_eq_u32_e64 s[0:1], 1, v13
	s_nop 1
	v_cndmask_b32_e64 v19, v19, 1, s[0:1]
	v_cmp_eq_u16_e64 s[0:1], 0, v9
	v_or_b32_sdwa v13, v6, v19 dst_sel:DWORD dst_unused:UNUSED_PAD src0_sel:DWORD src1_sel:WORD_0
	s_nop 0
	v_cndmask_b32_e64 v9, 0, v17, s[0:1]
	v_add_u32_e32 v7, v9, v7
	v_mov_b32_e32 v9, v19
; %bb.178:
	s_or_b64 exec, exec, s[52:53]
	v_mov_b32_dpp v17, v7 row_shr:2 row_mask:0xf bank_mask:0xf
	v_mov_b32_dpp v19, v13 row_shr:2 row_mask:0xf bank_mask:0xf
	v_cmp_lt_u32_e64 s[0:1], 1, v15
	s_and_saveexec_b64 s[52:53], s[0:1]
; %bb.179:
	v_and_b32_e32 v13, 1, v9
	v_and_b32_e32 v19, 1, v19
	v_cmp_eq_u32_e64 s[0:1], 1, v13
	s_nop 1
	v_cndmask_b32_e64 v19, v19, 1, s[0:1]
	v_cmp_eq_u16_e64 s[0:1], 0, v9
	v_or_b32_sdwa v13, v6, v19 dst_sel:DWORD dst_unused:UNUSED_PAD src0_sel:DWORD src1_sel:WORD_0
	s_nop 0
	v_cndmask_b32_e64 v9, 0, v17, s[0:1]
	v_add_u32_e32 v7, v9, v7
	v_mov_b32_e32 v9, v19
; %bb.180:
	s_or_b64 exec, exec, s[52:53]
	v_mov_b32_dpp v17, v7 row_shr:4 row_mask:0xf bank_mask:0xf
	v_mov_b32_dpp v19, v13 row_shr:4 row_mask:0xf bank_mask:0xf
	v_cmp_lt_u32_e64 s[0:1], 3, v15
	;; [unrolled: 18-line block ×3, first 2 shown]
	s_and_saveexec_b64 s[52:53], s[0:1]
; %bb.183:
	v_and_b32_e32 v13, 1, v9
	v_and_b32_e32 v15, 1, v19
	v_cmp_eq_u32_e64 s[0:1], 1, v13
	s_nop 1
	v_cndmask_b32_e64 v15, v15, 1, s[0:1]
	v_cmp_eq_u16_e64 s[0:1], 0, v9
	v_or_b32_sdwa v13, v6, v15 dst_sel:DWORD dst_unused:UNUSED_PAD src0_sel:DWORD src1_sel:WORD_0
	s_nop 0
	v_cndmask_b32_e64 v9, 0, v17, s[0:1]
	v_add_u32_e32 v7, v9, v7
	v_mov_b32_e32 v9, v15
; %bb.184:
	s_or_b64 exec, exec, s[52:53]
	v_and_b32_e32 v19, 16, v8
	v_mov_b32_dpp v15, v7 row_bcast:15 row_mask:0xf bank_mask:0xf
	v_mov_b32_dpp v17, v13 row_bcast:15 row_mask:0xf bank_mask:0xf
	v_cmp_ne_u32_e64 s[0:1], 0, v19
	s_and_saveexec_b64 s[52:53], s[0:1]
; %bb.185:
	v_and_b32_e32 v13, 1, v9
	v_and_b32_e32 v17, 1, v17
	v_cmp_eq_u32_e64 s[0:1], 1, v13
	s_nop 1
	v_cndmask_b32_e64 v17, v17, 1, s[0:1]
	v_cmp_eq_u16_e64 s[0:1], 0, v9
	v_or_b32_sdwa v13, v6, v17 dst_sel:DWORD dst_unused:UNUSED_PAD src0_sel:DWORD src1_sel:WORD_0
	s_nop 0
	v_cndmask_b32_e64 v9, 0, v15, s[0:1]
	v_add_u32_e32 v7, v9, v7
	v_mov_b32_e32 v9, v17
; %bb.186:
	s_or_b64 exec, exec, s[52:53]
	v_mov_b32_dpp v13, v13 row_bcast:31 row_mask:0xf bank_mask:0xf
	v_and_b32_e32 v17, 1, v9
	v_and_b32_e32 v13, 1, v13
	v_cmp_eq_u32_e64 s[0:1], 1, v17
	v_mov_b32_e32 v17, 0
	v_cmp_eq_u16_sdwa s[52:53], v9, v17 src0_sel:BYTE_0 src1_sel:DWORD
	v_cndmask_b32_e64 v13, v13, 1, s[0:1]
	v_cmp_lt_u32_e64 s[0:1], 31, v8
	v_mov_b32_dpp v15, v7 row_bcast:31 row_mask:0xf bank_mask:0xf
	s_movk_i32 s60, 0xff
	v_cndmask_b32_e64 v9, v9, v13, s[0:1]
	s_and_b64 s[0:1], s[0:1], s[52:53]
	v_cndmask_b32_e64 v13, 0, v15, s[0:1]
	v_add_u32_e32 v7, v13, v7
	v_add_u32_e32 v13, -1, v8
	v_and_b32_e32 v15, 64, v8
	v_cmp_lt_i32_e64 s[0:1], v13, v15
	v_and_or_b32 v6, v9, s60, v6
	s_nop 0
	v_cndmask_b32_e64 v8, v13, v8, s[0:1]
	v_lshlrev_b32_e32 v8, 2, v8
	ds_bpermute_b32 v7, v8, v7
	ds_bpermute_b32 v6, v8, v6
	v_cmp_eq_u16_sdwa s[0:1], v3, v17 src0_sel:BYTE_0 src1_sel:DWORD
	; wave barrier
	s_waitcnt lgkmcnt(1)
	s_nop 0
	v_cndmask_b32_e64 v3, 0, v7, s[0:1]
	v_add_u32_e32 v2, v3, v2
	s_waitcnt lgkmcnt(0)
	v_and_b32_e32 v3, 1, v6
	v_cmp_eq_u32_e64 s[0:1], 1, v5
	v_cndmask_b32_e64 v5, v2, v79, s[54:55]
	s_nop 0
	v_cndmask_b32_e64 v3, v3, 1, s[0:1]
	v_cndmask_b32_e64 v4, v3, v4, s[54:55]
	ds_write_b32 v1, v5
	ds_write_b8 v1, v4 offset:4
	; wave barrier
	ds_read_u8 v6, v1 offset:12
	ds_read2_b32 v[2:3], v1 offset0:2 offset1:4
	ds_read_u8 v7, v1 offset:20
	ds_read_b32 v8, v1 offset:24
	ds_read_u8 v9, v1 offset:28
	s_waitcnt lgkmcnt(4)
	v_cmp_eq_u16_e64 s[0:1], 0, v6
	s_nop 1
	v_cndmask_b32_e64 v5, 0, v5, s[0:1]
	s_waitcnt lgkmcnt(3)
	v_add_u32_e32 v2, v5, v2
	v_and_b32_e32 v5, 1, v6
	v_cmp_eq_u32_e64 s[0:1], 1, v5
	s_nop 1
	v_cndmask_b32_e64 v4, v4, 1, s[0:1]
	s_waitcnt lgkmcnt(2)
	v_cmp_eq_u16_e64 s[0:1], 0, v7
	ds_write_b8 v1, v4 offset:12
	s_nop 0
	v_cndmask_b32_e64 v5, 0, v2, s[0:1]
	v_add_u32_e32 v3, v5, v3
	v_and_b32_e32 v5, 1, v7
	v_cmp_eq_u32_e64 s[0:1], 1, v5
	s_nop 1
	v_cndmask_b32_e64 v4, v4, 1, s[0:1]
	s_waitcnt lgkmcnt(1)
	v_cmp_eq_u16_e64 s[0:1], 0, v9
	ds_write2_b32 v1, v2, v3 offset0:2 offset1:4
	ds_write_b8 v1, v4 offset:20
	v_cndmask_b32_e64 v2, 0, v3, s[0:1]
	v_and_b32_e32 v3, 1, v9
	v_add_u32_e32 v2, v2, v8
	v_cmp_eq_u32_e64 s[0:1], 1, v3
	s_nop 1
	v_cndmask_b32_e64 v3, v4, 1, s[0:1]
	ds_write_b32 v1, v2 offset:24
	ds_write_b8 v1, v3 offset:28
.LBB157_187:
	s_or_b64 exec, exec, s[50:51]
	v_mov_b32_e32 v1, v79
	s_waitcnt lgkmcnt(0)
	s_barrier
	s_and_saveexec_b64 s[0:1], s[4:5]
	s_cbranch_execnz .LBB157_265
; %bb.188:
	s_or_b64 exec, exec, s[0:1]
	s_and_saveexec_b64 s[50:51], s[4:5]
	s_cbranch_execnz .LBB157_266
.LBB157_189:
	s_or_b64 exec, exec, s[50:51]
	s_and_saveexec_b64 s[0:1], s[54:55]
	s_cbranch_execz .LBB157_191
.LBB157_190:
	v_mov_b32_e32 v5, 0
	ds_read_b32 v2, v5 offset:2096
	ds_read_u8 v3, v5 offset:2100
	s_add_u32 s4, s72, 0x400
	s_addc_u32 s5, s73, 0
	v_mov_b32_e32 v4, 2
	v_mov_b64_e32 v[6:7], s[4:5]
	s_waitcnt lgkmcnt(0)
	;;#ASMSTART
	global_store_dwordx4 v[6:7], v[2:5] off sc1	
s_waitcnt vmcnt(0)
	;;#ASMEND
.LBB157_191:
	s_or_b64 exec, exec, s[0:1]
	v_mov_b32_e32 v80, v10
.LBB157_192:
	s_add_u32 s0, s62, s58
	s_addc_u32 s1, s63, s59
	s_add_u32 s0, s0, s56
	s_addc_u32 s1, s1, s57
	s_and_b64 vcc, exec, s[2:3]
	s_cbranch_vccz .LBB157_238
; %bb.193:
	s_movk_i32 s2, 0x5c
	v_mul_i32_i24_e32 v26, 0xffffffa8, v0
	s_waitcnt lgkmcnt(0)
	v_mul_u32_u24_e32 v1, 0x5c, v0
	v_mad_u32_u24 v2, v0, s2, v26
	s_barrier
	ds_write2_b32 v1, v80, v58 offset1:1
	ds_write2_b32 v1, v59, v60 offset0:2 offset1:3
	ds_write2_b32 v1, v61, v62 offset0:4 offset1:5
	;; [unrolled: 1-line block ×10, first 2 shown]
	ds_write_b32 v1, v79 offset:88
	s_waitcnt lgkmcnt(0)
	s_barrier
	ds_read2st64_b32 v[24:25], v2 offset0:4 offset1:8
	ds_read2st64_b32 v[22:23], v2 offset0:12 offset1:16
	;; [unrolled: 1-line block ×11, first 2 shown]
	s_add_i32 s33, s33, s74
	v_mov_b32_e32 v55, 0
	v_lshl_add_u64 v[4:5], s[0:1], 0, v[54:55]
	v_cmp_gt_u32_e32 vcc, s33, v0
	s_and_saveexec_b64 s[2:3], vcc
	s_cbranch_execz .LBB157_195
; %bb.194:
	v_add_u32_e32 v1, v1, v26
	ds_read_b32 v1, v1
	s_waitcnt lgkmcnt(0)
	flat_store_dword v[4:5], v1
.LBB157_195:
	s_or_b64 exec, exec, s[2:3]
	v_or_b32_e32 v1, 0x100, v0
	v_cmp_gt_u32_e32 vcc, s33, v1
	s_and_saveexec_b64 s[2:3], vcc
	s_cbranch_execz .LBB157_197
; %bb.196:
	s_waitcnt lgkmcnt(0)
	flat_store_dword v[4:5], v24 offset:1024
.LBB157_197:
	s_or_b64 exec, exec, s[2:3]
	v_or_b32_e32 v1, 0x200, v0
	v_cmp_gt_u32_e32 vcc, s33, v1
	s_and_saveexec_b64 s[2:3], vcc
	s_cbranch_execz .LBB157_199
; %bb.198:
	s_waitcnt lgkmcnt(0)
	flat_store_dword v[4:5], v25 offset:2048
.LBB157_199:
	;; [unrolled: 9-line block ×3, first 2 shown]
	s_or_b64 exec, exec, s[2:3]
	v_or_b32_e32 v1, 0x400, v0
	v_cmp_gt_u32_e32 vcc, s33, v1
	s_and_saveexec_b64 s[2:3], vcc
	s_cbranch_execz .LBB157_203
; %bb.202:
	s_waitcnt lgkmcnt(0)
	v_add_co_u32_e32 v24, vcc, 0x1000, v4
	s_nop 1
	v_addc_co_u32_e32 v25, vcc, 0, v5, vcc
	flat_store_dword v[24:25], v23
.LBB157_203:
	s_or_b64 exec, exec, s[2:3]
	v_or_b32_e32 v1, 0x500, v0
	v_cmp_gt_u32_e32 vcc, s33, v1
	s_and_saveexec_b64 s[2:3], vcc
	s_cbranch_execz .LBB157_205
; %bb.204:
	s_waitcnt lgkmcnt(0)
	v_add_co_u32_e32 v22, vcc, 0x1000, v4
	s_nop 1
	v_addc_co_u32_e32 v23, vcc, 0, v5, vcc
	flat_store_dword v[22:23], v20 offset:1024
.LBB157_205:
	s_or_b64 exec, exec, s[2:3]
	v_or_b32_e32 v1, 0x600, v0
	v_cmp_gt_u32_e32 vcc, s33, v1
	s_and_saveexec_b64 s[2:3], vcc
	s_cbranch_execz .LBB157_207
; %bb.206:
	s_waitcnt lgkmcnt(0)
	v_add_co_u32_e32 v22, vcc, 0x1000, v4
	s_nop 1
	v_addc_co_u32_e32 v23, vcc, 0, v5, vcc
	flat_store_dword v[22:23], v21 offset:2048
.LBB157_207:
	s_or_b64 exec, exec, s[2:3]
	v_or_b32_e32 v1, 0x700, v0
	v_cmp_gt_u32_e32 vcc, s33, v1
	s_and_saveexec_b64 s[2:3], vcc
	s_cbranch_execz .LBB157_209
; %bb.208:
	s_waitcnt lgkmcnt(0)
	v_add_co_u32_e32 v20, vcc, 0x1000, v4
	s_nop 1
	v_addc_co_u32_e32 v21, vcc, 0, v5, vcc
	flat_store_dword v[20:21], v18 offset:3072
.LBB157_209:
	s_or_b64 exec, exec, s[2:3]
	v_or_b32_e32 v1, 0x800, v0
	v_cmp_gt_u32_e32 vcc, s33, v1
	s_and_saveexec_b64 s[2:3], vcc
	s_cbranch_execz .LBB157_211
; %bb.210:
	s_waitcnt lgkmcnt(0)
	v_add_co_u32_e32 v20, vcc, 0x2000, v4
	s_nop 1
	v_addc_co_u32_e32 v21, vcc, 0, v5, vcc
	flat_store_dword v[20:21], v19
.LBB157_211:
	s_or_b64 exec, exec, s[2:3]
	v_or_b32_e32 v1, 0x900, v0
	v_cmp_gt_u32_e32 vcc, s33, v1
	s_and_saveexec_b64 s[2:3], vcc
	s_cbranch_execz .LBB157_213
; %bb.212:
	s_waitcnt lgkmcnt(0)
	v_add_co_u32_e32 v18, vcc, 0x2000, v4
	s_nop 1
	v_addc_co_u32_e32 v19, vcc, 0, v5, vcc
	flat_store_dword v[18:19], v16 offset:1024
.LBB157_213:
	s_or_b64 exec, exec, s[2:3]
	v_or_b32_e32 v1, 0xa00, v0
	v_cmp_gt_u32_e32 vcc, s33, v1
	s_and_saveexec_b64 s[2:3], vcc
	s_cbranch_execz .LBB157_215
; %bb.214:
	s_waitcnt lgkmcnt(0)
	v_add_co_u32_e32 v18, vcc, 0x2000, v4
	s_nop 1
	v_addc_co_u32_e32 v19, vcc, 0, v5, vcc
	flat_store_dword v[18:19], v17 offset:2048
.LBB157_215:
	s_or_b64 exec, exec, s[2:3]
	v_or_b32_e32 v1, 0xb00, v0
	v_cmp_gt_u32_e32 vcc, s33, v1
	s_and_saveexec_b64 s[2:3], vcc
	s_cbranch_execz .LBB157_217
; %bb.216:
	s_waitcnt lgkmcnt(0)
	v_add_co_u32_e32 v16, vcc, 0x2000, v4
	s_nop 1
	v_addc_co_u32_e32 v17, vcc, 0, v5, vcc
	flat_store_dword v[16:17], v14 offset:3072
.LBB157_217:
	;; [unrolled: 48-line block ×4, first 2 shown]
	s_or_b64 exec, exec, s[2:3]
	v_or_b32_e32 v1, 0x1400, v0
	v_cmp_gt_u32_e32 vcc, s33, v1
	s_and_saveexec_b64 s[2:3], vcc
	s_cbranch_execz .LBB157_235
; %bb.234:
	s_waitcnt lgkmcnt(0)
	v_add_co_u32_e32 v8, vcc, 0x5000, v4
	s_nop 1
	v_addc_co_u32_e32 v9, vcc, 0, v5, vcc
	flat_store_dword v[8:9], v7
.LBB157_235:
	s_or_b64 exec, exec, s[2:3]
	v_or_b32_e32 v1, 0x1500, v0
	v_cmp_gt_u32_e32 vcc, s33, v1
	s_and_saveexec_b64 s[2:3], vcc
	s_cbranch_execz .LBB157_237
; %bb.236:
	v_add_co_u32_e32 v4, vcc, 0x5000, v4
	s_nop 1
	v_addc_co_u32_e32 v5, vcc, 0, v5, vcc
	s_waitcnt lgkmcnt(0)
	flat_store_dword v[4:5], v2 offset:1024
.LBB157_237:
	s_or_b64 exec, exec, s[2:3]
	s_waitcnt lgkmcnt(0)
	v_or_b32_e32 v2, 0x1600, v0
	v_mov_b32_e32 v1, v55
	v_cmp_gt_u32_e64 s[2:3], s33, v2
	s_branch .LBB157_240
.LBB157_238:
	s_mov_b64 s[2:3], 0
                                        ; implicit-def: $vgpr3
	s_cbranch_execz .LBB157_240
; %bb.239:
	s_waitcnt lgkmcnt(0)
	v_mul_u32_u24_e32 v1, 0x5c, v0
	s_barrier
	s_movk_i32 s4, 0x5c
	ds_write2_b32 v1, v80, v58 offset1:1
	ds_write2_b32 v1, v59, v60 offset0:2 offset1:3
	ds_write2_b32 v1, v61, v62 offset0:4 offset1:5
	;; [unrolled: 1-line block ×10, first 2 shown]
	ds_write_b32 v1, v79 offset:88
	v_mov_b32_e32 v1, 0
	v_mul_i32_i24_e32 v2, 0xffffffa8, v0
	v_mad_u32_u24 v2, v0, s4, v2
	v_mov_b32_e32 v55, v1
	s_waitcnt lgkmcnt(0)
	s_barrier
	ds_read2st64_b32 v[4:5], v2 offset1:4
	ds_read2st64_b32 v[6:7], v2 offset0:8 offset1:12
	ds_read2st64_b32 v[8:9], v2 offset0:16 offset1:20
	ds_read2st64_b32 v[10:11], v2 offset0:24 offset1:28
	ds_read2st64_b32 v[12:13], v2 offset0:32 offset1:36
	ds_read2st64_b32 v[14:15], v2 offset0:40 offset1:44
	ds_read2st64_b32 v[16:17], v2 offset0:48 offset1:52
	ds_read2st64_b32 v[18:19], v2 offset0:56 offset1:60
	ds_read2st64_b32 v[20:21], v2 offset0:64 offset1:68
	ds_read2st64_b32 v[22:23], v2 offset0:72 offset1:76
	ds_read2st64_b32 v[24:25], v2 offset0:80 offset1:84
	ds_read_b32 v3, v2 offset:22528
	v_lshl_add_u64 v[26:27], s[0:1], 0, v[54:55]
	s_movk_i32 s4, 0x1000
	s_waitcnt lgkmcnt(0)
	flat_store_dword v[26:27], v4
	flat_store_dword v[26:27], v5 offset:1024
	flat_store_dword v[26:27], v6 offset:2048
	;; [unrolled: 1-line block ×3, first 2 shown]
	v_add_co_u32_e32 v4, vcc, s4, v26
	s_movk_i32 s4, 0x2000
	s_nop 0
	v_addc_co_u32_e32 v5, vcc, 0, v27, vcc
	flat_store_dword v[4:5], v8
	flat_store_dword v[4:5], v9 offset:1024
	flat_store_dword v[4:5], v10 offset:2048
	;; [unrolled: 1-line block ×3, first 2 shown]
	v_add_co_u32_e32 v4, vcc, s4, v26
	s_movk_i32 s4, 0x3000
	s_nop 0
	v_addc_co_u32_e32 v5, vcc, 0, v27, vcc
	flat_store_dword v[4:5], v12
	flat_store_dword v[4:5], v13 offset:1024
	flat_store_dword v[4:5], v14 offset:2048
	flat_store_dword v[4:5], v15 offset:3072
	v_add_co_u32_e32 v4, vcc, s4, v26
	s_or_b64 s[2:3], s[2:3], exec
	s_nop 0
	v_addc_co_u32_e32 v5, vcc, 0, v27, vcc
	flat_store_dword v[4:5], v16
	flat_store_dword v[4:5], v17 offset:1024
	flat_store_dword v[4:5], v18 offset:2048
	;; [unrolled: 1-line block ×3, first 2 shown]
	v_add_co_u32_e32 v4, vcc, 0x4000, v26
	s_nop 1
	v_addc_co_u32_e32 v5, vcc, 0, v27, vcc
	flat_store_dword v[4:5], v20
	flat_store_dword v[4:5], v21 offset:1024
	flat_store_dword v[4:5], v22 offset:2048
	;; [unrolled: 1-line block ×3, first 2 shown]
	v_add_co_u32_e32 v4, vcc, 0x5000, v26
	s_nop 1
	v_addc_co_u32_e32 v5, vcc, 0, v27, vcc
	flat_store_dword v[4:5], v24
	flat_store_dword v[4:5], v25 offset:1024
.LBB157_240:
	s_and_saveexec_b64 s[4:5], s[2:3]
	s_cbranch_execnz .LBB157_242
; %bb.241:
	s_endpgm
.LBB157_242:
	s_waitcnt lgkmcnt(0)
	v_lshl_add_u64 v[0:1], v[0:1], 2, s[0:1]
	v_add_co_u32_e32 v0, vcc, 0x5000, v0
	s_nop 1
	v_addc_co_u32_e32 v1, vcc, 0, v1, vcc
	flat_store_dword v[0:1], v3 offset:2048
	s_endpgm
.LBB157_243:
	v_lshl_add_u64 v[48:49], s[60:61], 0, v[44:45]
	flat_load_dword v48, v[48:49]
	s_or_b64 exec, exec, s[0:1]
                                        ; implicit-def: $vgpr49
	s_and_saveexec_b64 s[0:1], s[8:9]
	s_cbranch_execz .LBB157_59
.LBB157_244:
	v_mov_b32_e32 v45, 0
	v_lshl_add_u64 v[50:51], s[60:61], 0, v[44:45]
	flat_load_dword v49, v[50:51] offset:1024
	s_or_b64 exec, exec, s[0:1]
                                        ; implicit-def: $vgpr50
	s_and_saveexec_b64 s[0:1], s[10:11]
	s_cbranch_execz .LBB157_60
.LBB157_245:
	v_mov_b32_e32 v45, 0
	v_lshl_add_u64 v[50:51], s[60:61], 0, v[44:45]
	flat_load_dword v50, v[50:51] offset:2048
	s_or_b64 exec, exec, s[0:1]
                                        ; implicit-def: $vgpr45
	s_and_saveexec_b64 s[0:1], s[12:13]
	s_cbranch_execz .LBB157_61
.LBB157_246:
	v_mov_b32_e32 v45, 0
	v_lshl_add_u64 v[52:53], s[60:61], 0, v[44:45]
	flat_load_dword v45, v[52:53] offset:3072
	s_or_b64 exec, exec, s[0:1]
                                        ; implicit-def: $vgpr3
	s_and_saveexec_b64 s[0:1], s[14:15]
	s_cbranch_execz .LBB157_62
.LBB157_247:
	v_mov_b32_e32 v3, 0
	v_lshl_add_u64 v[2:3], s[60:61], 0, v[2:3]
	flat_load_dword v3, v[2:3]
	s_or_b64 exec, exec, s[0:1]
                                        ; implicit-def: $vgpr2
	s_and_saveexec_b64 s[0:1], s[16:17]
	s_cbranch_execz .LBB157_63
.LBB157_248:
	v_mov_b32_e32 v11, 0
	v_lshl_add_u64 v[10:11], s[60:61], 0, v[10:11]
	flat_load_dword v2, v[10:11]
	s_or_b64 exec, exec, s[0:1]
                                        ; implicit-def: $vgpr10
	s_and_saveexec_b64 s[0:1], s[18:19]
	s_cbranch_execz .LBB157_64
.LBB157_249:
	v_mov_b32_e32 v13, 0
	v_lshl_add_u64 v[10:11], s[60:61], 0, v[12:13]
	flat_load_dword v10, v[10:11]
	s_or_b64 exec, exec, s[0:1]
                                        ; implicit-def: $vgpr11
	s_and_saveexec_b64 s[0:1], s[20:21]
	s_cbranch_execz .LBB157_65
.LBB157_250:
	v_mov_b32_e32 v15, 0
	v_lshl_add_u64 v[12:13], s[60:61], 0, v[14:15]
	flat_load_dword v11, v[12:13]
	s_or_b64 exec, exec, s[0:1]
                                        ; implicit-def: $vgpr12
	s_and_saveexec_b64 s[0:1], s[22:23]
	s_cbranch_execz .LBB157_66
.LBB157_251:
	v_mov_b32_e32 v17, 0
	v_lshl_add_u64 v[12:13], s[60:61], 0, v[16:17]
	flat_load_dword v12, v[12:13]
	s_or_b64 exec, exec, s[0:1]
                                        ; implicit-def: $vgpr13
	s_and_saveexec_b64 s[0:1], s[24:25]
	s_cbranch_execz .LBB157_67
.LBB157_252:
	v_mov_b32_e32 v19, 0
	v_lshl_add_u64 v[14:15], s[60:61], 0, v[18:19]
	flat_load_dword v13, v[14:15]
	s_or_b64 exec, exec, s[0:1]
                                        ; implicit-def: $vgpr14
	s_and_saveexec_b64 s[0:1], s[26:27]
	s_cbranch_execz .LBB157_68
.LBB157_253:
	v_mov_b32_e32 v21, 0
	v_lshl_add_u64 v[14:15], s[60:61], 0, v[20:21]
	flat_load_dword v14, v[14:15]
	s_or_b64 exec, exec, s[0:1]
                                        ; implicit-def: $vgpr15
	s_and_saveexec_b64 s[0:1], s[28:29]
	s_cbranch_execz .LBB157_69
.LBB157_254:
	v_mov_b32_e32 v23, 0
	v_lshl_add_u64 v[16:17], s[60:61], 0, v[22:23]
	flat_load_dword v15, v[16:17]
	s_or_b64 exec, exec, s[0:1]
                                        ; implicit-def: $vgpr16
	s_and_saveexec_b64 s[0:1], s[30:31]
	s_cbranch_execz .LBB157_70
.LBB157_255:
	v_mov_b32_e32 v25, 0
	v_lshl_add_u64 v[16:17], s[60:61], 0, v[24:25]
	flat_load_dword v16, v[16:17]
	s_or_b64 exec, exec, s[0:1]
                                        ; implicit-def: $vgpr17
	s_and_saveexec_b64 s[0:1], s[34:35]
	s_cbranch_execz .LBB157_71
.LBB157_256:
	v_mov_b32_e32 v27, 0
	v_lshl_add_u64 v[18:19], s[60:61], 0, v[26:27]
	flat_load_dword v17, v[18:19]
	s_or_b64 exec, exec, s[0:1]
                                        ; implicit-def: $vgpr18
	s_and_saveexec_b64 s[0:1], s[36:37]
	s_cbranch_execz .LBB157_72
.LBB157_257:
	v_mov_b32_e32 v29, 0
	v_lshl_add_u64 v[18:19], s[60:61], 0, v[28:29]
	flat_load_dword v18, v[18:19]
	s_or_b64 exec, exec, s[0:1]
                                        ; implicit-def: $vgpr19
	s_and_saveexec_b64 s[0:1], s[38:39]
	s_cbranch_execz .LBB157_73
.LBB157_258:
	v_mov_b32_e32 v31, 0
	v_lshl_add_u64 v[20:21], s[60:61], 0, v[30:31]
	flat_load_dword v19, v[20:21]
	s_or_b64 exec, exec, s[0:1]
                                        ; implicit-def: $vgpr20
	s_and_saveexec_b64 s[0:1], s[40:41]
	s_cbranch_execz .LBB157_74
.LBB157_259:
	v_mov_b32_e32 v33, 0
	v_lshl_add_u64 v[20:21], s[60:61], 0, v[32:33]
	flat_load_dword v20, v[20:21]
	s_or_b64 exec, exec, s[0:1]
                                        ; implicit-def: $vgpr21
	s_and_saveexec_b64 s[0:1], s[42:43]
	s_cbranch_execz .LBB157_75
.LBB157_260:
	v_mov_b32_e32 v35, 0
	v_lshl_add_u64 v[22:23], s[60:61], 0, v[34:35]
	flat_load_dword v21, v[22:23]
	s_or_b64 exec, exec, s[0:1]
                                        ; implicit-def: $vgpr22
	s_and_saveexec_b64 s[0:1], s[44:45]
	s_cbranch_execz .LBB157_76
.LBB157_261:
	v_mov_b32_e32 v37, 0
	v_lshl_add_u64 v[22:23], s[60:61], 0, v[36:37]
	flat_load_dword v22, v[22:23]
	s_or_b64 exec, exec, s[0:1]
                                        ; implicit-def: $vgpr23
	s_and_saveexec_b64 s[0:1], s[46:47]
	s_cbranch_execz .LBB157_77
.LBB157_262:
	v_mov_b32_e32 v39, 0
	v_lshl_add_u64 v[24:25], s[60:61], 0, v[38:39]
	flat_load_dword v23, v[24:25]
	s_or_b64 exec, exec, s[0:1]
                                        ; implicit-def: $vgpr24
	s_and_saveexec_b64 s[0:1], s[48:49]
	s_cbranch_execz .LBB157_78
.LBB157_263:
	v_mov_b32_e32 v41, 0
	v_lshl_add_u64 v[24:25], s[60:61], 0, v[40:41]
	flat_load_dword v24, v[24:25]
	s_or_b64 exec, exec, s[0:1]
                                        ; implicit-def: $vgpr25
	s_and_saveexec_b64 s[0:1], s[50:51]
	s_cbranch_execz .LBB157_79
.LBB157_264:
	v_mov_b32_e32 v43, 0
	v_lshl_add_u64 v[26:27], s[60:61], 0, v[42:43]
	flat_load_dword v25, v[26:27]
	s_or_b64 exec, exec, s[0:1]
                                        ; implicit-def: $vgpr26
	s_and_saveexec_b64 s[0:1], s[52:53]
	s_cbranch_execnz .LBB157_80
	s_branch .LBB157_81
.LBB157_265:
	v_add_u32_e32 v1, -1, v0
	v_lshrrev_b32_e32 v2, 5, v1
	v_add_lshl_u32 v1, v2, v1, 3
	ds_read_b32 v1, v1
	s_or_b64 exec, exec, s[0:1]
	s_and_saveexec_b64 s[50:51], s[4:5]
	s_cbranch_execz .LBB157_189
.LBB157_266:
	v_and_b32_e32 v3, 0xff, v11
	v_mov_b32_e32 v2, 0
	v_cmp_eq_u64_e64 s[0:1], 0, v[2:3]
	;;#ASMSTART
	;;#ASMEND
	s_waitcnt lgkmcnt(0)
	s_nop 0
	v_cndmask_b32_e64 v1, 0, v1, s[0:1]
	v_add_u32_e32 v10, v1, v10
	v_cndmask_b32_e32 v1, 0, v10, vcc
	v_add_u32_e32 v58, v1, v12
	v_cndmask_b32_e64 v1, 0, v58, s[6:7]
	v_add_u32_e32 v59, v1, v14
	v_cndmask_b32_e64 v1, 0, v59, s[8:9]
	;; [unrolled: 2-line block ×21, first 2 shown]
	v_add_u32_e32 v79, v1, v56
	s_or_b64 exec, exec, s[50:51]
	s_and_saveexec_b64 s[0:1], s[54:55]
	s_cbranch_execnz .LBB157_190
	s_branch .LBB157_191
.LBB157_267:
                                        ; implicit-def: $sgpr0_sgpr1
	s_branch .LBB157_54
.LBB157_268:
                                        ; implicit-def: $sgpr0_sgpr1
	s_branch .LBB157_130
	.section	.rodata,"a",@progbits
	.p2align	6, 0x0
	.amdhsa_kernel _ZN7rocprim17ROCPRIM_400000_NS6detail17trampoline_kernelINS0_14default_configENS1_27scan_by_key_config_selectorIiiEEZZNS1_16scan_by_key_implILNS1_25lookback_scan_determinismE0ELb0ES3_N6thrust23THRUST_200600_302600_NS6detail15normal_iteratorINS9_10device_ptrIiEEEESE_SE_iNS9_4plusIvEENS9_8equal_toIvEEiEE10hipError_tPvRmT2_T3_T4_T5_mT6_T7_P12ihipStream_tbENKUlT_T0_E_clISt17integral_constantIbLb0EESY_IbLb1EEEEDaSU_SV_EUlSU_E_NS1_11comp_targetILNS1_3genE5ELNS1_11target_archE942ELNS1_3gpuE9ELNS1_3repE0EEENS1_30default_config_static_selectorELNS0_4arch9wavefront6targetE1EEEvT1_
		.amdhsa_group_segment_fixed_size 25600
		.amdhsa_private_segment_fixed_size 0
		.amdhsa_kernarg_size 112
		.amdhsa_user_sgpr_count 2
		.amdhsa_user_sgpr_dispatch_ptr 0
		.amdhsa_user_sgpr_queue_ptr 0
		.amdhsa_user_sgpr_kernarg_segment_ptr 1
		.amdhsa_user_sgpr_dispatch_id 0
		.amdhsa_user_sgpr_kernarg_preload_length 0
		.amdhsa_user_sgpr_kernarg_preload_offset 0
		.amdhsa_user_sgpr_private_segment_size 0
		.amdhsa_uses_dynamic_stack 0
		.amdhsa_enable_private_segment 0
		.amdhsa_system_sgpr_workgroup_id_x 1
		.amdhsa_system_sgpr_workgroup_id_y 0
		.amdhsa_system_sgpr_workgroup_id_z 0
		.amdhsa_system_sgpr_workgroup_info 0
		.amdhsa_system_vgpr_workitem_id 0
		.amdhsa_next_free_vgpr 81
		.amdhsa_next_free_sgpr 85
		.amdhsa_accum_offset 84
		.amdhsa_reserve_vcc 1
		.amdhsa_float_round_mode_32 0
		.amdhsa_float_round_mode_16_64 0
		.amdhsa_float_denorm_mode_32 3
		.amdhsa_float_denorm_mode_16_64 3
		.amdhsa_dx10_clamp 1
		.amdhsa_ieee_mode 1
		.amdhsa_fp16_overflow 0
		.amdhsa_tg_split 0
		.amdhsa_exception_fp_ieee_invalid_op 0
		.amdhsa_exception_fp_denorm_src 0
		.amdhsa_exception_fp_ieee_div_zero 0
		.amdhsa_exception_fp_ieee_overflow 0
		.amdhsa_exception_fp_ieee_underflow 0
		.amdhsa_exception_fp_ieee_inexact 0
		.amdhsa_exception_int_div_zero 0
	.end_amdhsa_kernel
	.section	.text._ZN7rocprim17ROCPRIM_400000_NS6detail17trampoline_kernelINS0_14default_configENS1_27scan_by_key_config_selectorIiiEEZZNS1_16scan_by_key_implILNS1_25lookback_scan_determinismE0ELb0ES3_N6thrust23THRUST_200600_302600_NS6detail15normal_iteratorINS9_10device_ptrIiEEEESE_SE_iNS9_4plusIvEENS9_8equal_toIvEEiEE10hipError_tPvRmT2_T3_T4_T5_mT6_T7_P12ihipStream_tbENKUlT_T0_E_clISt17integral_constantIbLb0EESY_IbLb1EEEEDaSU_SV_EUlSU_E_NS1_11comp_targetILNS1_3genE5ELNS1_11target_archE942ELNS1_3gpuE9ELNS1_3repE0EEENS1_30default_config_static_selectorELNS0_4arch9wavefront6targetE1EEEvT1_,"axG",@progbits,_ZN7rocprim17ROCPRIM_400000_NS6detail17trampoline_kernelINS0_14default_configENS1_27scan_by_key_config_selectorIiiEEZZNS1_16scan_by_key_implILNS1_25lookback_scan_determinismE0ELb0ES3_N6thrust23THRUST_200600_302600_NS6detail15normal_iteratorINS9_10device_ptrIiEEEESE_SE_iNS9_4plusIvEENS9_8equal_toIvEEiEE10hipError_tPvRmT2_T3_T4_T5_mT6_T7_P12ihipStream_tbENKUlT_T0_E_clISt17integral_constantIbLb0EESY_IbLb1EEEEDaSU_SV_EUlSU_E_NS1_11comp_targetILNS1_3genE5ELNS1_11target_archE942ELNS1_3gpuE9ELNS1_3repE0EEENS1_30default_config_static_selectorELNS0_4arch9wavefront6targetE1EEEvT1_,comdat
.Lfunc_end157:
	.size	_ZN7rocprim17ROCPRIM_400000_NS6detail17trampoline_kernelINS0_14default_configENS1_27scan_by_key_config_selectorIiiEEZZNS1_16scan_by_key_implILNS1_25lookback_scan_determinismE0ELb0ES3_N6thrust23THRUST_200600_302600_NS6detail15normal_iteratorINS9_10device_ptrIiEEEESE_SE_iNS9_4plusIvEENS9_8equal_toIvEEiEE10hipError_tPvRmT2_T3_T4_T5_mT6_T7_P12ihipStream_tbENKUlT_T0_E_clISt17integral_constantIbLb0EESY_IbLb1EEEEDaSU_SV_EUlSU_E_NS1_11comp_targetILNS1_3genE5ELNS1_11target_archE942ELNS1_3gpuE9ELNS1_3repE0EEENS1_30default_config_static_selectorELNS0_4arch9wavefront6targetE1EEEvT1_, .Lfunc_end157-_ZN7rocprim17ROCPRIM_400000_NS6detail17trampoline_kernelINS0_14default_configENS1_27scan_by_key_config_selectorIiiEEZZNS1_16scan_by_key_implILNS1_25lookback_scan_determinismE0ELb0ES3_N6thrust23THRUST_200600_302600_NS6detail15normal_iteratorINS9_10device_ptrIiEEEESE_SE_iNS9_4plusIvEENS9_8equal_toIvEEiEE10hipError_tPvRmT2_T3_T4_T5_mT6_T7_P12ihipStream_tbENKUlT_T0_E_clISt17integral_constantIbLb0EESY_IbLb1EEEEDaSU_SV_EUlSU_E_NS1_11comp_targetILNS1_3genE5ELNS1_11target_archE942ELNS1_3gpuE9ELNS1_3repE0EEENS1_30default_config_static_selectorELNS0_4arch9wavefront6targetE1EEEvT1_
                                        ; -- End function
	.section	.AMDGPU.csdata,"",@progbits
; Kernel info:
; codeLenInByte = 15516
; NumSgprs: 91
; NumVgprs: 81
; NumAgprs: 0
; TotalNumVgprs: 81
; ScratchSize: 0
; MemoryBound: 0
; FloatMode: 240
; IeeeMode: 1
; LDSByteSize: 25600 bytes/workgroup (compile time only)
; SGPRBlocks: 11
; VGPRBlocks: 10
; NumSGPRsForWavesPerEU: 91
; NumVGPRsForWavesPerEU: 81
; AccumOffset: 84
; Occupancy: 2
; WaveLimiterHint : 1
; COMPUTE_PGM_RSRC2:SCRATCH_EN: 0
; COMPUTE_PGM_RSRC2:USER_SGPR: 2
; COMPUTE_PGM_RSRC2:TRAP_HANDLER: 0
; COMPUTE_PGM_RSRC2:TGID_X_EN: 1
; COMPUTE_PGM_RSRC2:TGID_Y_EN: 0
; COMPUTE_PGM_RSRC2:TGID_Z_EN: 0
; COMPUTE_PGM_RSRC2:TIDIG_COMP_CNT: 0
; COMPUTE_PGM_RSRC3_GFX90A:ACCUM_OFFSET: 20
; COMPUTE_PGM_RSRC3_GFX90A:TG_SPLIT: 0
	.section	.text._ZN7rocprim17ROCPRIM_400000_NS6detail17trampoline_kernelINS0_14default_configENS1_27scan_by_key_config_selectorIiiEEZZNS1_16scan_by_key_implILNS1_25lookback_scan_determinismE0ELb0ES3_N6thrust23THRUST_200600_302600_NS6detail15normal_iteratorINS9_10device_ptrIiEEEESE_SE_iNS9_4plusIvEENS9_8equal_toIvEEiEE10hipError_tPvRmT2_T3_T4_T5_mT6_T7_P12ihipStream_tbENKUlT_T0_E_clISt17integral_constantIbLb0EESY_IbLb1EEEEDaSU_SV_EUlSU_E_NS1_11comp_targetILNS1_3genE4ELNS1_11target_archE910ELNS1_3gpuE8ELNS1_3repE0EEENS1_30default_config_static_selectorELNS0_4arch9wavefront6targetE1EEEvT1_,"axG",@progbits,_ZN7rocprim17ROCPRIM_400000_NS6detail17trampoline_kernelINS0_14default_configENS1_27scan_by_key_config_selectorIiiEEZZNS1_16scan_by_key_implILNS1_25lookback_scan_determinismE0ELb0ES3_N6thrust23THRUST_200600_302600_NS6detail15normal_iteratorINS9_10device_ptrIiEEEESE_SE_iNS9_4plusIvEENS9_8equal_toIvEEiEE10hipError_tPvRmT2_T3_T4_T5_mT6_T7_P12ihipStream_tbENKUlT_T0_E_clISt17integral_constantIbLb0EESY_IbLb1EEEEDaSU_SV_EUlSU_E_NS1_11comp_targetILNS1_3genE4ELNS1_11target_archE910ELNS1_3gpuE8ELNS1_3repE0EEENS1_30default_config_static_selectorELNS0_4arch9wavefront6targetE1EEEvT1_,comdat
	.protected	_ZN7rocprim17ROCPRIM_400000_NS6detail17trampoline_kernelINS0_14default_configENS1_27scan_by_key_config_selectorIiiEEZZNS1_16scan_by_key_implILNS1_25lookback_scan_determinismE0ELb0ES3_N6thrust23THRUST_200600_302600_NS6detail15normal_iteratorINS9_10device_ptrIiEEEESE_SE_iNS9_4plusIvEENS9_8equal_toIvEEiEE10hipError_tPvRmT2_T3_T4_T5_mT6_T7_P12ihipStream_tbENKUlT_T0_E_clISt17integral_constantIbLb0EESY_IbLb1EEEEDaSU_SV_EUlSU_E_NS1_11comp_targetILNS1_3genE4ELNS1_11target_archE910ELNS1_3gpuE8ELNS1_3repE0EEENS1_30default_config_static_selectorELNS0_4arch9wavefront6targetE1EEEvT1_ ; -- Begin function _ZN7rocprim17ROCPRIM_400000_NS6detail17trampoline_kernelINS0_14default_configENS1_27scan_by_key_config_selectorIiiEEZZNS1_16scan_by_key_implILNS1_25lookback_scan_determinismE0ELb0ES3_N6thrust23THRUST_200600_302600_NS6detail15normal_iteratorINS9_10device_ptrIiEEEESE_SE_iNS9_4plusIvEENS9_8equal_toIvEEiEE10hipError_tPvRmT2_T3_T4_T5_mT6_T7_P12ihipStream_tbENKUlT_T0_E_clISt17integral_constantIbLb0EESY_IbLb1EEEEDaSU_SV_EUlSU_E_NS1_11comp_targetILNS1_3genE4ELNS1_11target_archE910ELNS1_3gpuE8ELNS1_3repE0EEENS1_30default_config_static_selectorELNS0_4arch9wavefront6targetE1EEEvT1_
	.globl	_ZN7rocprim17ROCPRIM_400000_NS6detail17trampoline_kernelINS0_14default_configENS1_27scan_by_key_config_selectorIiiEEZZNS1_16scan_by_key_implILNS1_25lookback_scan_determinismE0ELb0ES3_N6thrust23THRUST_200600_302600_NS6detail15normal_iteratorINS9_10device_ptrIiEEEESE_SE_iNS9_4plusIvEENS9_8equal_toIvEEiEE10hipError_tPvRmT2_T3_T4_T5_mT6_T7_P12ihipStream_tbENKUlT_T0_E_clISt17integral_constantIbLb0EESY_IbLb1EEEEDaSU_SV_EUlSU_E_NS1_11comp_targetILNS1_3genE4ELNS1_11target_archE910ELNS1_3gpuE8ELNS1_3repE0EEENS1_30default_config_static_selectorELNS0_4arch9wavefront6targetE1EEEvT1_
	.p2align	8
	.type	_ZN7rocprim17ROCPRIM_400000_NS6detail17trampoline_kernelINS0_14default_configENS1_27scan_by_key_config_selectorIiiEEZZNS1_16scan_by_key_implILNS1_25lookback_scan_determinismE0ELb0ES3_N6thrust23THRUST_200600_302600_NS6detail15normal_iteratorINS9_10device_ptrIiEEEESE_SE_iNS9_4plusIvEENS9_8equal_toIvEEiEE10hipError_tPvRmT2_T3_T4_T5_mT6_T7_P12ihipStream_tbENKUlT_T0_E_clISt17integral_constantIbLb0EESY_IbLb1EEEEDaSU_SV_EUlSU_E_NS1_11comp_targetILNS1_3genE4ELNS1_11target_archE910ELNS1_3gpuE8ELNS1_3repE0EEENS1_30default_config_static_selectorELNS0_4arch9wavefront6targetE1EEEvT1_,@function
_ZN7rocprim17ROCPRIM_400000_NS6detail17trampoline_kernelINS0_14default_configENS1_27scan_by_key_config_selectorIiiEEZZNS1_16scan_by_key_implILNS1_25lookback_scan_determinismE0ELb0ES3_N6thrust23THRUST_200600_302600_NS6detail15normal_iteratorINS9_10device_ptrIiEEEESE_SE_iNS9_4plusIvEENS9_8equal_toIvEEiEE10hipError_tPvRmT2_T3_T4_T5_mT6_T7_P12ihipStream_tbENKUlT_T0_E_clISt17integral_constantIbLb0EESY_IbLb1EEEEDaSU_SV_EUlSU_E_NS1_11comp_targetILNS1_3genE4ELNS1_11target_archE910ELNS1_3gpuE8ELNS1_3repE0EEENS1_30default_config_static_selectorELNS0_4arch9wavefront6targetE1EEEvT1_: ; @_ZN7rocprim17ROCPRIM_400000_NS6detail17trampoline_kernelINS0_14default_configENS1_27scan_by_key_config_selectorIiiEEZZNS1_16scan_by_key_implILNS1_25lookback_scan_determinismE0ELb0ES3_N6thrust23THRUST_200600_302600_NS6detail15normal_iteratorINS9_10device_ptrIiEEEESE_SE_iNS9_4plusIvEENS9_8equal_toIvEEiEE10hipError_tPvRmT2_T3_T4_T5_mT6_T7_P12ihipStream_tbENKUlT_T0_E_clISt17integral_constantIbLb0EESY_IbLb1EEEEDaSU_SV_EUlSU_E_NS1_11comp_targetILNS1_3genE4ELNS1_11target_archE910ELNS1_3gpuE8ELNS1_3repE0EEENS1_30default_config_static_selectorELNS0_4arch9wavefront6targetE1EEEvT1_
; %bb.0:
	.section	.rodata,"a",@progbits
	.p2align	6, 0x0
	.amdhsa_kernel _ZN7rocprim17ROCPRIM_400000_NS6detail17trampoline_kernelINS0_14default_configENS1_27scan_by_key_config_selectorIiiEEZZNS1_16scan_by_key_implILNS1_25lookback_scan_determinismE0ELb0ES3_N6thrust23THRUST_200600_302600_NS6detail15normal_iteratorINS9_10device_ptrIiEEEESE_SE_iNS9_4plusIvEENS9_8equal_toIvEEiEE10hipError_tPvRmT2_T3_T4_T5_mT6_T7_P12ihipStream_tbENKUlT_T0_E_clISt17integral_constantIbLb0EESY_IbLb1EEEEDaSU_SV_EUlSU_E_NS1_11comp_targetILNS1_3genE4ELNS1_11target_archE910ELNS1_3gpuE8ELNS1_3repE0EEENS1_30default_config_static_selectorELNS0_4arch9wavefront6targetE1EEEvT1_
		.amdhsa_group_segment_fixed_size 0
		.amdhsa_private_segment_fixed_size 0
		.amdhsa_kernarg_size 112
		.amdhsa_user_sgpr_count 2
		.amdhsa_user_sgpr_dispatch_ptr 0
		.amdhsa_user_sgpr_queue_ptr 0
		.amdhsa_user_sgpr_kernarg_segment_ptr 1
		.amdhsa_user_sgpr_dispatch_id 0
		.amdhsa_user_sgpr_kernarg_preload_length 0
		.amdhsa_user_sgpr_kernarg_preload_offset 0
		.amdhsa_user_sgpr_private_segment_size 0
		.amdhsa_uses_dynamic_stack 0
		.amdhsa_enable_private_segment 0
		.amdhsa_system_sgpr_workgroup_id_x 1
		.amdhsa_system_sgpr_workgroup_id_y 0
		.amdhsa_system_sgpr_workgroup_id_z 0
		.amdhsa_system_sgpr_workgroup_info 0
		.amdhsa_system_vgpr_workitem_id 0
		.amdhsa_next_free_vgpr 1
		.amdhsa_next_free_sgpr 0
		.amdhsa_accum_offset 4
		.amdhsa_reserve_vcc 0
		.amdhsa_float_round_mode_32 0
		.amdhsa_float_round_mode_16_64 0
		.amdhsa_float_denorm_mode_32 3
		.amdhsa_float_denorm_mode_16_64 3
		.amdhsa_dx10_clamp 1
		.amdhsa_ieee_mode 1
		.amdhsa_fp16_overflow 0
		.amdhsa_tg_split 0
		.amdhsa_exception_fp_ieee_invalid_op 0
		.amdhsa_exception_fp_denorm_src 0
		.amdhsa_exception_fp_ieee_div_zero 0
		.amdhsa_exception_fp_ieee_overflow 0
		.amdhsa_exception_fp_ieee_underflow 0
		.amdhsa_exception_fp_ieee_inexact 0
		.amdhsa_exception_int_div_zero 0
	.end_amdhsa_kernel
	.section	.text._ZN7rocprim17ROCPRIM_400000_NS6detail17trampoline_kernelINS0_14default_configENS1_27scan_by_key_config_selectorIiiEEZZNS1_16scan_by_key_implILNS1_25lookback_scan_determinismE0ELb0ES3_N6thrust23THRUST_200600_302600_NS6detail15normal_iteratorINS9_10device_ptrIiEEEESE_SE_iNS9_4plusIvEENS9_8equal_toIvEEiEE10hipError_tPvRmT2_T3_T4_T5_mT6_T7_P12ihipStream_tbENKUlT_T0_E_clISt17integral_constantIbLb0EESY_IbLb1EEEEDaSU_SV_EUlSU_E_NS1_11comp_targetILNS1_3genE4ELNS1_11target_archE910ELNS1_3gpuE8ELNS1_3repE0EEENS1_30default_config_static_selectorELNS0_4arch9wavefront6targetE1EEEvT1_,"axG",@progbits,_ZN7rocprim17ROCPRIM_400000_NS6detail17trampoline_kernelINS0_14default_configENS1_27scan_by_key_config_selectorIiiEEZZNS1_16scan_by_key_implILNS1_25lookback_scan_determinismE0ELb0ES3_N6thrust23THRUST_200600_302600_NS6detail15normal_iteratorINS9_10device_ptrIiEEEESE_SE_iNS9_4plusIvEENS9_8equal_toIvEEiEE10hipError_tPvRmT2_T3_T4_T5_mT6_T7_P12ihipStream_tbENKUlT_T0_E_clISt17integral_constantIbLb0EESY_IbLb1EEEEDaSU_SV_EUlSU_E_NS1_11comp_targetILNS1_3genE4ELNS1_11target_archE910ELNS1_3gpuE8ELNS1_3repE0EEENS1_30default_config_static_selectorELNS0_4arch9wavefront6targetE1EEEvT1_,comdat
.Lfunc_end158:
	.size	_ZN7rocprim17ROCPRIM_400000_NS6detail17trampoline_kernelINS0_14default_configENS1_27scan_by_key_config_selectorIiiEEZZNS1_16scan_by_key_implILNS1_25lookback_scan_determinismE0ELb0ES3_N6thrust23THRUST_200600_302600_NS6detail15normal_iteratorINS9_10device_ptrIiEEEESE_SE_iNS9_4plusIvEENS9_8equal_toIvEEiEE10hipError_tPvRmT2_T3_T4_T5_mT6_T7_P12ihipStream_tbENKUlT_T0_E_clISt17integral_constantIbLb0EESY_IbLb1EEEEDaSU_SV_EUlSU_E_NS1_11comp_targetILNS1_3genE4ELNS1_11target_archE910ELNS1_3gpuE8ELNS1_3repE0EEENS1_30default_config_static_selectorELNS0_4arch9wavefront6targetE1EEEvT1_, .Lfunc_end158-_ZN7rocprim17ROCPRIM_400000_NS6detail17trampoline_kernelINS0_14default_configENS1_27scan_by_key_config_selectorIiiEEZZNS1_16scan_by_key_implILNS1_25lookback_scan_determinismE0ELb0ES3_N6thrust23THRUST_200600_302600_NS6detail15normal_iteratorINS9_10device_ptrIiEEEESE_SE_iNS9_4plusIvEENS9_8equal_toIvEEiEE10hipError_tPvRmT2_T3_T4_T5_mT6_T7_P12ihipStream_tbENKUlT_T0_E_clISt17integral_constantIbLb0EESY_IbLb1EEEEDaSU_SV_EUlSU_E_NS1_11comp_targetILNS1_3genE4ELNS1_11target_archE910ELNS1_3gpuE8ELNS1_3repE0EEENS1_30default_config_static_selectorELNS0_4arch9wavefront6targetE1EEEvT1_
                                        ; -- End function
	.section	.AMDGPU.csdata,"",@progbits
; Kernel info:
; codeLenInByte = 0
; NumSgprs: 6
; NumVgprs: 0
; NumAgprs: 0
; TotalNumVgprs: 0
; ScratchSize: 0
; MemoryBound: 0
; FloatMode: 240
; IeeeMode: 1
; LDSByteSize: 0 bytes/workgroup (compile time only)
; SGPRBlocks: 0
; VGPRBlocks: 0
; NumSGPRsForWavesPerEU: 6
; NumVGPRsForWavesPerEU: 1
; AccumOffset: 4
; Occupancy: 8
; WaveLimiterHint : 0
; COMPUTE_PGM_RSRC2:SCRATCH_EN: 0
; COMPUTE_PGM_RSRC2:USER_SGPR: 2
; COMPUTE_PGM_RSRC2:TRAP_HANDLER: 0
; COMPUTE_PGM_RSRC2:TGID_X_EN: 1
; COMPUTE_PGM_RSRC2:TGID_Y_EN: 0
; COMPUTE_PGM_RSRC2:TGID_Z_EN: 0
; COMPUTE_PGM_RSRC2:TIDIG_COMP_CNT: 0
; COMPUTE_PGM_RSRC3_GFX90A:ACCUM_OFFSET: 0
; COMPUTE_PGM_RSRC3_GFX90A:TG_SPLIT: 0
	.section	.text._ZN7rocprim17ROCPRIM_400000_NS6detail17trampoline_kernelINS0_14default_configENS1_27scan_by_key_config_selectorIiiEEZZNS1_16scan_by_key_implILNS1_25lookback_scan_determinismE0ELb0ES3_N6thrust23THRUST_200600_302600_NS6detail15normal_iteratorINS9_10device_ptrIiEEEESE_SE_iNS9_4plusIvEENS9_8equal_toIvEEiEE10hipError_tPvRmT2_T3_T4_T5_mT6_T7_P12ihipStream_tbENKUlT_T0_E_clISt17integral_constantIbLb0EESY_IbLb1EEEEDaSU_SV_EUlSU_E_NS1_11comp_targetILNS1_3genE3ELNS1_11target_archE908ELNS1_3gpuE7ELNS1_3repE0EEENS1_30default_config_static_selectorELNS0_4arch9wavefront6targetE1EEEvT1_,"axG",@progbits,_ZN7rocprim17ROCPRIM_400000_NS6detail17trampoline_kernelINS0_14default_configENS1_27scan_by_key_config_selectorIiiEEZZNS1_16scan_by_key_implILNS1_25lookback_scan_determinismE0ELb0ES3_N6thrust23THRUST_200600_302600_NS6detail15normal_iteratorINS9_10device_ptrIiEEEESE_SE_iNS9_4plusIvEENS9_8equal_toIvEEiEE10hipError_tPvRmT2_T3_T4_T5_mT6_T7_P12ihipStream_tbENKUlT_T0_E_clISt17integral_constantIbLb0EESY_IbLb1EEEEDaSU_SV_EUlSU_E_NS1_11comp_targetILNS1_3genE3ELNS1_11target_archE908ELNS1_3gpuE7ELNS1_3repE0EEENS1_30default_config_static_selectorELNS0_4arch9wavefront6targetE1EEEvT1_,comdat
	.protected	_ZN7rocprim17ROCPRIM_400000_NS6detail17trampoline_kernelINS0_14default_configENS1_27scan_by_key_config_selectorIiiEEZZNS1_16scan_by_key_implILNS1_25lookback_scan_determinismE0ELb0ES3_N6thrust23THRUST_200600_302600_NS6detail15normal_iteratorINS9_10device_ptrIiEEEESE_SE_iNS9_4plusIvEENS9_8equal_toIvEEiEE10hipError_tPvRmT2_T3_T4_T5_mT6_T7_P12ihipStream_tbENKUlT_T0_E_clISt17integral_constantIbLb0EESY_IbLb1EEEEDaSU_SV_EUlSU_E_NS1_11comp_targetILNS1_3genE3ELNS1_11target_archE908ELNS1_3gpuE7ELNS1_3repE0EEENS1_30default_config_static_selectorELNS0_4arch9wavefront6targetE1EEEvT1_ ; -- Begin function _ZN7rocprim17ROCPRIM_400000_NS6detail17trampoline_kernelINS0_14default_configENS1_27scan_by_key_config_selectorIiiEEZZNS1_16scan_by_key_implILNS1_25lookback_scan_determinismE0ELb0ES3_N6thrust23THRUST_200600_302600_NS6detail15normal_iteratorINS9_10device_ptrIiEEEESE_SE_iNS9_4plusIvEENS9_8equal_toIvEEiEE10hipError_tPvRmT2_T3_T4_T5_mT6_T7_P12ihipStream_tbENKUlT_T0_E_clISt17integral_constantIbLb0EESY_IbLb1EEEEDaSU_SV_EUlSU_E_NS1_11comp_targetILNS1_3genE3ELNS1_11target_archE908ELNS1_3gpuE7ELNS1_3repE0EEENS1_30default_config_static_selectorELNS0_4arch9wavefront6targetE1EEEvT1_
	.globl	_ZN7rocprim17ROCPRIM_400000_NS6detail17trampoline_kernelINS0_14default_configENS1_27scan_by_key_config_selectorIiiEEZZNS1_16scan_by_key_implILNS1_25lookback_scan_determinismE0ELb0ES3_N6thrust23THRUST_200600_302600_NS6detail15normal_iteratorINS9_10device_ptrIiEEEESE_SE_iNS9_4plusIvEENS9_8equal_toIvEEiEE10hipError_tPvRmT2_T3_T4_T5_mT6_T7_P12ihipStream_tbENKUlT_T0_E_clISt17integral_constantIbLb0EESY_IbLb1EEEEDaSU_SV_EUlSU_E_NS1_11comp_targetILNS1_3genE3ELNS1_11target_archE908ELNS1_3gpuE7ELNS1_3repE0EEENS1_30default_config_static_selectorELNS0_4arch9wavefront6targetE1EEEvT1_
	.p2align	8
	.type	_ZN7rocprim17ROCPRIM_400000_NS6detail17trampoline_kernelINS0_14default_configENS1_27scan_by_key_config_selectorIiiEEZZNS1_16scan_by_key_implILNS1_25lookback_scan_determinismE0ELb0ES3_N6thrust23THRUST_200600_302600_NS6detail15normal_iteratorINS9_10device_ptrIiEEEESE_SE_iNS9_4plusIvEENS9_8equal_toIvEEiEE10hipError_tPvRmT2_T3_T4_T5_mT6_T7_P12ihipStream_tbENKUlT_T0_E_clISt17integral_constantIbLb0EESY_IbLb1EEEEDaSU_SV_EUlSU_E_NS1_11comp_targetILNS1_3genE3ELNS1_11target_archE908ELNS1_3gpuE7ELNS1_3repE0EEENS1_30default_config_static_selectorELNS0_4arch9wavefront6targetE1EEEvT1_,@function
_ZN7rocprim17ROCPRIM_400000_NS6detail17trampoline_kernelINS0_14default_configENS1_27scan_by_key_config_selectorIiiEEZZNS1_16scan_by_key_implILNS1_25lookback_scan_determinismE0ELb0ES3_N6thrust23THRUST_200600_302600_NS6detail15normal_iteratorINS9_10device_ptrIiEEEESE_SE_iNS9_4plusIvEENS9_8equal_toIvEEiEE10hipError_tPvRmT2_T3_T4_T5_mT6_T7_P12ihipStream_tbENKUlT_T0_E_clISt17integral_constantIbLb0EESY_IbLb1EEEEDaSU_SV_EUlSU_E_NS1_11comp_targetILNS1_3genE3ELNS1_11target_archE908ELNS1_3gpuE7ELNS1_3repE0EEENS1_30default_config_static_selectorELNS0_4arch9wavefront6targetE1EEEvT1_: ; @_ZN7rocprim17ROCPRIM_400000_NS6detail17trampoline_kernelINS0_14default_configENS1_27scan_by_key_config_selectorIiiEEZZNS1_16scan_by_key_implILNS1_25lookback_scan_determinismE0ELb0ES3_N6thrust23THRUST_200600_302600_NS6detail15normal_iteratorINS9_10device_ptrIiEEEESE_SE_iNS9_4plusIvEENS9_8equal_toIvEEiEE10hipError_tPvRmT2_T3_T4_T5_mT6_T7_P12ihipStream_tbENKUlT_T0_E_clISt17integral_constantIbLb0EESY_IbLb1EEEEDaSU_SV_EUlSU_E_NS1_11comp_targetILNS1_3genE3ELNS1_11target_archE908ELNS1_3gpuE7ELNS1_3repE0EEENS1_30default_config_static_selectorELNS0_4arch9wavefront6targetE1EEEvT1_
; %bb.0:
	.section	.rodata,"a",@progbits
	.p2align	6, 0x0
	.amdhsa_kernel _ZN7rocprim17ROCPRIM_400000_NS6detail17trampoline_kernelINS0_14default_configENS1_27scan_by_key_config_selectorIiiEEZZNS1_16scan_by_key_implILNS1_25lookback_scan_determinismE0ELb0ES3_N6thrust23THRUST_200600_302600_NS6detail15normal_iteratorINS9_10device_ptrIiEEEESE_SE_iNS9_4plusIvEENS9_8equal_toIvEEiEE10hipError_tPvRmT2_T3_T4_T5_mT6_T7_P12ihipStream_tbENKUlT_T0_E_clISt17integral_constantIbLb0EESY_IbLb1EEEEDaSU_SV_EUlSU_E_NS1_11comp_targetILNS1_3genE3ELNS1_11target_archE908ELNS1_3gpuE7ELNS1_3repE0EEENS1_30default_config_static_selectorELNS0_4arch9wavefront6targetE1EEEvT1_
		.amdhsa_group_segment_fixed_size 0
		.amdhsa_private_segment_fixed_size 0
		.amdhsa_kernarg_size 112
		.amdhsa_user_sgpr_count 2
		.amdhsa_user_sgpr_dispatch_ptr 0
		.amdhsa_user_sgpr_queue_ptr 0
		.amdhsa_user_sgpr_kernarg_segment_ptr 1
		.amdhsa_user_sgpr_dispatch_id 0
		.amdhsa_user_sgpr_kernarg_preload_length 0
		.amdhsa_user_sgpr_kernarg_preload_offset 0
		.amdhsa_user_sgpr_private_segment_size 0
		.amdhsa_uses_dynamic_stack 0
		.amdhsa_enable_private_segment 0
		.amdhsa_system_sgpr_workgroup_id_x 1
		.amdhsa_system_sgpr_workgroup_id_y 0
		.amdhsa_system_sgpr_workgroup_id_z 0
		.amdhsa_system_sgpr_workgroup_info 0
		.amdhsa_system_vgpr_workitem_id 0
		.amdhsa_next_free_vgpr 1
		.amdhsa_next_free_sgpr 0
		.amdhsa_accum_offset 4
		.amdhsa_reserve_vcc 0
		.amdhsa_float_round_mode_32 0
		.amdhsa_float_round_mode_16_64 0
		.amdhsa_float_denorm_mode_32 3
		.amdhsa_float_denorm_mode_16_64 3
		.amdhsa_dx10_clamp 1
		.amdhsa_ieee_mode 1
		.amdhsa_fp16_overflow 0
		.amdhsa_tg_split 0
		.amdhsa_exception_fp_ieee_invalid_op 0
		.amdhsa_exception_fp_denorm_src 0
		.amdhsa_exception_fp_ieee_div_zero 0
		.amdhsa_exception_fp_ieee_overflow 0
		.amdhsa_exception_fp_ieee_underflow 0
		.amdhsa_exception_fp_ieee_inexact 0
		.amdhsa_exception_int_div_zero 0
	.end_amdhsa_kernel
	.section	.text._ZN7rocprim17ROCPRIM_400000_NS6detail17trampoline_kernelINS0_14default_configENS1_27scan_by_key_config_selectorIiiEEZZNS1_16scan_by_key_implILNS1_25lookback_scan_determinismE0ELb0ES3_N6thrust23THRUST_200600_302600_NS6detail15normal_iteratorINS9_10device_ptrIiEEEESE_SE_iNS9_4plusIvEENS9_8equal_toIvEEiEE10hipError_tPvRmT2_T3_T4_T5_mT6_T7_P12ihipStream_tbENKUlT_T0_E_clISt17integral_constantIbLb0EESY_IbLb1EEEEDaSU_SV_EUlSU_E_NS1_11comp_targetILNS1_3genE3ELNS1_11target_archE908ELNS1_3gpuE7ELNS1_3repE0EEENS1_30default_config_static_selectorELNS0_4arch9wavefront6targetE1EEEvT1_,"axG",@progbits,_ZN7rocprim17ROCPRIM_400000_NS6detail17trampoline_kernelINS0_14default_configENS1_27scan_by_key_config_selectorIiiEEZZNS1_16scan_by_key_implILNS1_25lookback_scan_determinismE0ELb0ES3_N6thrust23THRUST_200600_302600_NS6detail15normal_iteratorINS9_10device_ptrIiEEEESE_SE_iNS9_4plusIvEENS9_8equal_toIvEEiEE10hipError_tPvRmT2_T3_T4_T5_mT6_T7_P12ihipStream_tbENKUlT_T0_E_clISt17integral_constantIbLb0EESY_IbLb1EEEEDaSU_SV_EUlSU_E_NS1_11comp_targetILNS1_3genE3ELNS1_11target_archE908ELNS1_3gpuE7ELNS1_3repE0EEENS1_30default_config_static_selectorELNS0_4arch9wavefront6targetE1EEEvT1_,comdat
.Lfunc_end159:
	.size	_ZN7rocprim17ROCPRIM_400000_NS6detail17trampoline_kernelINS0_14default_configENS1_27scan_by_key_config_selectorIiiEEZZNS1_16scan_by_key_implILNS1_25lookback_scan_determinismE0ELb0ES3_N6thrust23THRUST_200600_302600_NS6detail15normal_iteratorINS9_10device_ptrIiEEEESE_SE_iNS9_4plusIvEENS9_8equal_toIvEEiEE10hipError_tPvRmT2_T3_T4_T5_mT6_T7_P12ihipStream_tbENKUlT_T0_E_clISt17integral_constantIbLb0EESY_IbLb1EEEEDaSU_SV_EUlSU_E_NS1_11comp_targetILNS1_3genE3ELNS1_11target_archE908ELNS1_3gpuE7ELNS1_3repE0EEENS1_30default_config_static_selectorELNS0_4arch9wavefront6targetE1EEEvT1_, .Lfunc_end159-_ZN7rocprim17ROCPRIM_400000_NS6detail17trampoline_kernelINS0_14default_configENS1_27scan_by_key_config_selectorIiiEEZZNS1_16scan_by_key_implILNS1_25lookback_scan_determinismE0ELb0ES3_N6thrust23THRUST_200600_302600_NS6detail15normal_iteratorINS9_10device_ptrIiEEEESE_SE_iNS9_4plusIvEENS9_8equal_toIvEEiEE10hipError_tPvRmT2_T3_T4_T5_mT6_T7_P12ihipStream_tbENKUlT_T0_E_clISt17integral_constantIbLb0EESY_IbLb1EEEEDaSU_SV_EUlSU_E_NS1_11comp_targetILNS1_3genE3ELNS1_11target_archE908ELNS1_3gpuE7ELNS1_3repE0EEENS1_30default_config_static_selectorELNS0_4arch9wavefront6targetE1EEEvT1_
                                        ; -- End function
	.section	.AMDGPU.csdata,"",@progbits
; Kernel info:
; codeLenInByte = 0
; NumSgprs: 6
; NumVgprs: 0
; NumAgprs: 0
; TotalNumVgprs: 0
; ScratchSize: 0
; MemoryBound: 0
; FloatMode: 240
; IeeeMode: 1
; LDSByteSize: 0 bytes/workgroup (compile time only)
; SGPRBlocks: 0
; VGPRBlocks: 0
; NumSGPRsForWavesPerEU: 6
; NumVGPRsForWavesPerEU: 1
; AccumOffset: 4
; Occupancy: 8
; WaveLimiterHint : 0
; COMPUTE_PGM_RSRC2:SCRATCH_EN: 0
; COMPUTE_PGM_RSRC2:USER_SGPR: 2
; COMPUTE_PGM_RSRC2:TRAP_HANDLER: 0
; COMPUTE_PGM_RSRC2:TGID_X_EN: 1
; COMPUTE_PGM_RSRC2:TGID_Y_EN: 0
; COMPUTE_PGM_RSRC2:TGID_Z_EN: 0
; COMPUTE_PGM_RSRC2:TIDIG_COMP_CNT: 0
; COMPUTE_PGM_RSRC3_GFX90A:ACCUM_OFFSET: 0
; COMPUTE_PGM_RSRC3_GFX90A:TG_SPLIT: 0
	.section	.text._ZN7rocprim17ROCPRIM_400000_NS6detail17trampoline_kernelINS0_14default_configENS1_27scan_by_key_config_selectorIiiEEZZNS1_16scan_by_key_implILNS1_25lookback_scan_determinismE0ELb0ES3_N6thrust23THRUST_200600_302600_NS6detail15normal_iteratorINS9_10device_ptrIiEEEESE_SE_iNS9_4plusIvEENS9_8equal_toIvEEiEE10hipError_tPvRmT2_T3_T4_T5_mT6_T7_P12ihipStream_tbENKUlT_T0_E_clISt17integral_constantIbLb0EESY_IbLb1EEEEDaSU_SV_EUlSU_E_NS1_11comp_targetILNS1_3genE2ELNS1_11target_archE906ELNS1_3gpuE6ELNS1_3repE0EEENS1_30default_config_static_selectorELNS0_4arch9wavefront6targetE1EEEvT1_,"axG",@progbits,_ZN7rocprim17ROCPRIM_400000_NS6detail17trampoline_kernelINS0_14default_configENS1_27scan_by_key_config_selectorIiiEEZZNS1_16scan_by_key_implILNS1_25lookback_scan_determinismE0ELb0ES3_N6thrust23THRUST_200600_302600_NS6detail15normal_iteratorINS9_10device_ptrIiEEEESE_SE_iNS9_4plusIvEENS9_8equal_toIvEEiEE10hipError_tPvRmT2_T3_T4_T5_mT6_T7_P12ihipStream_tbENKUlT_T0_E_clISt17integral_constantIbLb0EESY_IbLb1EEEEDaSU_SV_EUlSU_E_NS1_11comp_targetILNS1_3genE2ELNS1_11target_archE906ELNS1_3gpuE6ELNS1_3repE0EEENS1_30default_config_static_selectorELNS0_4arch9wavefront6targetE1EEEvT1_,comdat
	.protected	_ZN7rocprim17ROCPRIM_400000_NS6detail17trampoline_kernelINS0_14default_configENS1_27scan_by_key_config_selectorIiiEEZZNS1_16scan_by_key_implILNS1_25lookback_scan_determinismE0ELb0ES3_N6thrust23THRUST_200600_302600_NS6detail15normal_iteratorINS9_10device_ptrIiEEEESE_SE_iNS9_4plusIvEENS9_8equal_toIvEEiEE10hipError_tPvRmT2_T3_T4_T5_mT6_T7_P12ihipStream_tbENKUlT_T0_E_clISt17integral_constantIbLb0EESY_IbLb1EEEEDaSU_SV_EUlSU_E_NS1_11comp_targetILNS1_3genE2ELNS1_11target_archE906ELNS1_3gpuE6ELNS1_3repE0EEENS1_30default_config_static_selectorELNS0_4arch9wavefront6targetE1EEEvT1_ ; -- Begin function _ZN7rocprim17ROCPRIM_400000_NS6detail17trampoline_kernelINS0_14default_configENS1_27scan_by_key_config_selectorIiiEEZZNS1_16scan_by_key_implILNS1_25lookback_scan_determinismE0ELb0ES3_N6thrust23THRUST_200600_302600_NS6detail15normal_iteratorINS9_10device_ptrIiEEEESE_SE_iNS9_4plusIvEENS9_8equal_toIvEEiEE10hipError_tPvRmT2_T3_T4_T5_mT6_T7_P12ihipStream_tbENKUlT_T0_E_clISt17integral_constantIbLb0EESY_IbLb1EEEEDaSU_SV_EUlSU_E_NS1_11comp_targetILNS1_3genE2ELNS1_11target_archE906ELNS1_3gpuE6ELNS1_3repE0EEENS1_30default_config_static_selectorELNS0_4arch9wavefront6targetE1EEEvT1_
	.globl	_ZN7rocprim17ROCPRIM_400000_NS6detail17trampoline_kernelINS0_14default_configENS1_27scan_by_key_config_selectorIiiEEZZNS1_16scan_by_key_implILNS1_25lookback_scan_determinismE0ELb0ES3_N6thrust23THRUST_200600_302600_NS6detail15normal_iteratorINS9_10device_ptrIiEEEESE_SE_iNS9_4plusIvEENS9_8equal_toIvEEiEE10hipError_tPvRmT2_T3_T4_T5_mT6_T7_P12ihipStream_tbENKUlT_T0_E_clISt17integral_constantIbLb0EESY_IbLb1EEEEDaSU_SV_EUlSU_E_NS1_11comp_targetILNS1_3genE2ELNS1_11target_archE906ELNS1_3gpuE6ELNS1_3repE0EEENS1_30default_config_static_selectorELNS0_4arch9wavefront6targetE1EEEvT1_
	.p2align	8
	.type	_ZN7rocprim17ROCPRIM_400000_NS6detail17trampoline_kernelINS0_14default_configENS1_27scan_by_key_config_selectorIiiEEZZNS1_16scan_by_key_implILNS1_25lookback_scan_determinismE0ELb0ES3_N6thrust23THRUST_200600_302600_NS6detail15normal_iteratorINS9_10device_ptrIiEEEESE_SE_iNS9_4plusIvEENS9_8equal_toIvEEiEE10hipError_tPvRmT2_T3_T4_T5_mT6_T7_P12ihipStream_tbENKUlT_T0_E_clISt17integral_constantIbLb0EESY_IbLb1EEEEDaSU_SV_EUlSU_E_NS1_11comp_targetILNS1_3genE2ELNS1_11target_archE906ELNS1_3gpuE6ELNS1_3repE0EEENS1_30default_config_static_selectorELNS0_4arch9wavefront6targetE1EEEvT1_,@function
_ZN7rocprim17ROCPRIM_400000_NS6detail17trampoline_kernelINS0_14default_configENS1_27scan_by_key_config_selectorIiiEEZZNS1_16scan_by_key_implILNS1_25lookback_scan_determinismE0ELb0ES3_N6thrust23THRUST_200600_302600_NS6detail15normal_iteratorINS9_10device_ptrIiEEEESE_SE_iNS9_4plusIvEENS9_8equal_toIvEEiEE10hipError_tPvRmT2_T3_T4_T5_mT6_T7_P12ihipStream_tbENKUlT_T0_E_clISt17integral_constantIbLb0EESY_IbLb1EEEEDaSU_SV_EUlSU_E_NS1_11comp_targetILNS1_3genE2ELNS1_11target_archE906ELNS1_3gpuE6ELNS1_3repE0EEENS1_30default_config_static_selectorELNS0_4arch9wavefront6targetE1EEEvT1_: ; @_ZN7rocprim17ROCPRIM_400000_NS6detail17trampoline_kernelINS0_14default_configENS1_27scan_by_key_config_selectorIiiEEZZNS1_16scan_by_key_implILNS1_25lookback_scan_determinismE0ELb0ES3_N6thrust23THRUST_200600_302600_NS6detail15normal_iteratorINS9_10device_ptrIiEEEESE_SE_iNS9_4plusIvEENS9_8equal_toIvEEiEE10hipError_tPvRmT2_T3_T4_T5_mT6_T7_P12ihipStream_tbENKUlT_T0_E_clISt17integral_constantIbLb0EESY_IbLb1EEEEDaSU_SV_EUlSU_E_NS1_11comp_targetILNS1_3genE2ELNS1_11target_archE906ELNS1_3gpuE6ELNS1_3repE0EEENS1_30default_config_static_selectorELNS0_4arch9wavefront6targetE1EEEvT1_
; %bb.0:
	.section	.rodata,"a",@progbits
	.p2align	6, 0x0
	.amdhsa_kernel _ZN7rocprim17ROCPRIM_400000_NS6detail17trampoline_kernelINS0_14default_configENS1_27scan_by_key_config_selectorIiiEEZZNS1_16scan_by_key_implILNS1_25lookback_scan_determinismE0ELb0ES3_N6thrust23THRUST_200600_302600_NS6detail15normal_iteratorINS9_10device_ptrIiEEEESE_SE_iNS9_4plusIvEENS9_8equal_toIvEEiEE10hipError_tPvRmT2_T3_T4_T5_mT6_T7_P12ihipStream_tbENKUlT_T0_E_clISt17integral_constantIbLb0EESY_IbLb1EEEEDaSU_SV_EUlSU_E_NS1_11comp_targetILNS1_3genE2ELNS1_11target_archE906ELNS1_3gpuE6ELNS1_3repE0EEENS1_30default_config_static_selectorELNS0_4arch9wavefront6targetE1EEEvT1_
		.amdhsa_group_segment_fixed_size 0
		.amdhsa_private_segment_fixed_size 0
		.amdhsa_kernarg_size 112
		.amdhsa_user_sgpr_count 2
		.amdhsa_user_sgpr_dispatch_ptr 0
		.amdhsa_user_sgpr_queue_ptr 0
		.amdhsa_user_sgpr_kernarg_segment_ptr 1
		.amdhsa_user_sgpr_dispatch_id 0
		.amdhsa_user_sgpr_kernarg_preload_length 0
		.amdhsa_user_sgpr_kernarg_preload_offset 0
		.amdhsa_user_sgpr_private_segment_size 0
		.amdhsa_uses_dynamic_stack 0
		.amdhsa_enable_private_segment 0
		.amdhsa_system_sgpr_workgroup_id_x 1
		.amdhsa_system_sgpr_workgroup_id_y 0
		.amdhsa_system_sgpr_workgroup_id_z 0
		.amdhsa_system_sgpr_workgroup_info 0
		.amdhsa_system_vgpr_workitem_id 0
		.amdhsa_next_free_vgpr 1
		.amdhsa_next_free_sgpr 0
		.amdhsa_accum_offset 4
		.amdhsa_reserve_vcc 0
		.amdhsa_float_round_mode_32 0
		.amdhsa_float_round_mode_16_64 0
		.amdhsa_float_denorm_mode_32 3
		.amdhsa_float_denorm_mode_16_64 3
		.amdhsa_dx10_clamp 1
		.amdhsa_ieee_mode 1
		.amdhsa_fp16_overflow 0
		.amdhsa_tg_split 0
		.amdhsa_exception_fp_ieee_invalid_op 0
		.amdhsa_exception_fp_denorm_src 0
		.amdhsa_exception_fp_ieee_div_zero 0
		.amdhsa_exception_fp_ieee_overflow 0
		.amdhsa_exception_fp_ieee_underflow 0
		.amdhsa_exception_fp_ieee_inexact 0
		.amdhsa_exception_int_div_zero 0
	.end_amdhsa_kernel
	.section	.text._ZN7rocprim17ROCPRIM_400000_NS6detail17trampoline_kernelINS0_14default_configENS1_27scan_by_key_config_selectorIiiEEZZNS1_16scan_by_key_implILNS1_25lookback_scan_determinismE0ELb0ES3_N6thrust23THRUST_200600_302600_NS6detail15normal_iteratorINS9_10device_ptrIiEEEESE_SE_iNS9_4plusIvEENS9_8equal_toIvEEiEE10hipError_tPvRmT2_T3_T4_T5_mT6_T7_P12ihipStream_tbENKUlT_T0_E_clISt17integral_constantIbLb0EESY_IbLb1EEEEDaSU_SV_EUlSU_E_NS1_11comp_targetILNS1_3genE2ELNS1_11target_archE906ELNS1_3gpuE6ELNS1_3repE0EEENS1_30default_config_static_selectorELNS0_4arch9wavefront6targetE1EEEvT1_,"axG",@progbits,_ZN7rocprim17ROCPRIM_400000_NS6detail17trampoline_kernelINS0_14default_configENS1_27scan_by_key_config_selectorIiiEEZZNS1_16scan_by_key_implILNS1_25lookback_scan_determinismE0ELb0ES3_N6thrust23THRUST_200600_302600_NS6detail15normal_iteratorINS9_10device_ptrIiEEEESE_SE_iNS9_4plusIvEENS9_8equal_toIvEEiEE10hipError_tPvRmT2_T3_T4_T5_mT6_T7_P12ihipStream_tbENKUlT_T0_E_clISt17integral_constantIbLb0EESY_IbLb1EEEEDaSU_SV_EUlSU_E_NS1_11comp_targetILNS1_3genE2ELNS1_11target_archE906ELNS1_3gpuE6ELNS1_3repE0EEENS1_30default_config_static_selectorELNS0_4arch9wavefront6targetE1EEEvT1_,comdat
.Lfunc_end160:
	.size	_ZN7rocprim17ROCPRIM_400000_NS6detail17trampoline_kernelINS0_14default_configENS1_27scan_by_key_config_selectorIiiEEZZNS1_16scan_by_key_implILNS1_25lookback_scan_determinismE0ELb0ES3_N6thrust23THRUST_200600_302600_NS6detail15normal_iteratorINS9_10device_ptrIiEEEESE_SE_iNS9_4plusIvEENS9_8equal_toIvEEiEE10hipError_tPvRmT2_T3_T4_T5_mT6_T7_P12ihipStream_tbENKUlT_T0_E_clISt17integral_constantIbLb0EESY_IbLb1EEEEDaSU_SV_EUlSU_E_NS1_11comp_targetILNS1_3genE2ELNS1_11target_archE906ELNS1_3gpuE6ELNS1_3repE0EEENS1_30default_config_static_selectorELNS0_4arch9wavefront6targetE1EEEvT1_, .Lfunc_end160-_ZN7rocprim17ROCPRIM_400000_NS6detail17trampoline_kernelINS0_14default_configENS1_27scan_by_key_config_selectorIiiEEZZNS1_16scan_by_key_implILNS1_25lookback_scan_determinismE0ELb0ES3_N6thrust23THRUST_200600_302600_NS6detail15normal_iteratorINS9_10device_ptrIiEEEESE_SE_iNS9_4plusIvEENS9_8equal_toIvEEiEE10hipError_tPvRmT2_T3_T4_T5_mT6_T7_P12ihipStream_tbENKUlT_T0_E_clISt17integral_constantIbLb0EESY_IbLb1EEEEDaSU_SV_EUlSU_E_NS1_11comp_targetILNS1_3genE2ELNS1_11target_archE906ELNS1_3gpuE6ELNS1_3repE0EEENS1_30default_config_static_selectorELNS0_4arch9wavefront6targetE1EEEvT1_
                                        ; -- End function
	.section	.AMDGPU.csdata,"",@progbits
; Kernel info:
; codeLenInByte = 0
; NumSgprs: 6
; NumVgprs: 0
; NumAgprs: 0
; TotalNumVgprs: 0
; ScratchSize: 0
; MemoryBound: 0
; FloatMode: 240
; IeeeMode: 1
; LDSByteSize: 0 bytes/workgroup (compile time only)
; SGPRBlocks: 0
; VGPRBlocks: 0
; NumSGPRsForWavesPerEU: 6
; NumVGPRsForWavesPerEU: 1
; AccumOffset: 4
; Occupancy: 8
; WaveLimiterHint : 0
; COMPUTE_PGM_RSRC2:SCRATCH_EN: 0
; COMPUTE_PGM_RSRC2:USER_SGPR: 2
; COMPUTE_PGM_RSRC2:TRAP_HANDLER: 0
; COMPUTE_PGM_RSRC2:TGID_X_EN: 1
; COMPUTE_PGM_RSRC2:TGID_Y_EN: 0
; COMPUTE_PGM_RSRC2:TGID_Z_EN: 0
; COMPUTE_PGM_RSRC2:TIDIG_COMP_CNT: 0
; COMPUTE_PGM_RSRC3_GFX90A:ACCUM_OFFSET: 0
; COMPUTE_PGM_RSRC3_GFX90A:TG_SPLIT: 0
	.section	.text._ZN7rocprim17ROCPRIM_400000_NS6detail17trampoline_kernelINS0_14default_configENS1_27scan_by_key_config_selectorIiiEEZZNS1_16scan_by_key_implILNS1_25lookback_scan_determinismE0ELb0ES3_N6thrust23THRUST_200600_302600_NS6detail15normal_iteratorINS9_10device_ptrIiEEEESE_SE_iNS9_4plusIvEENS9_8equal_toIvEEiEE10hipError_tPvRmT2_T3_T4_T5_mT6_T7_P12ihipStream_tbENKUlT_T0_E_clISt17integral_constantIbLb0EESY_IbLb1EEEEDaSU_SV_EUlSU_E_NS1_11comp_targetILNS1_3genE10ELNS1_11target_archE1200ELNS1_3gpuE4ELNS1_3repE0EEENS1_30default_config_static_selectorELNS0_4arch9wavefront6targetE1EEEvT1_,"axG",@progbits,_ZN7rocprim17ROCPRIM_400000_NS6detail17trampoline_kernelINS0_14default_configENS1_27scan_by_key_config_selectorIiiEEZZNS1_16scan_by_key_implILNS1_25lookback_scan_determinismE0ELb0ES3_N6thrust23THRUST_200600_302600_NS6detail15normal_iteratorINS9_10device_ptrIiEEEESE_SE_iNS9_4plusIvEENS9_8equal_toIvEEiEE10hipError_tPvRmT2_T3_T4_T5_mT6_T7_P12ihipStream_tbENKUlT_T0_E_clISt17integral_constantIbLb0EESY_IbLb1EEEEDaSU_SV_EUlSU_E_NS1_11comp_targetILNS1_3genE10ELNS1_11target_archE1200ELNS1_3gpuE4ELNS1_3repE0EEENS1_30default_config_static_selectorELNS0_4arch9wavefront6targetE1EEEvT1_,comdat
	.protected	_ZN7rocprim17ROCPRIM_400000_NS6detail17trampoline_kernelINS0_14default_configENS1_27scan_by_key_config_selectorIiiEEZZNS1_16scan_by_key_implILNS1_25lookback_scan_determinismE0ELb0ES3_N6thrust23THRUST_200600_302600_NS6detail15normal_iteratorINS9_10device_ptrIiEEEESE_SE_iNS9_4plusIvEENS9_8equal_toIvEEiEE10hipError_tPvRmT2_T3_T4_T5_mT6_T7_P12ihipStream_tbENKUlT_T0_E_clISt17integral_constantIbLb0EESY_IbLb1EEEEDaSU_SV_EUlSU_E_NS1_11comp_targetILNS1_3genE10ELNS1_11target_archE1200ELNS1_3gpuE4ELNS1_3repE0EEENS1_30default_config_static_selectorELNS0_4arch9wavefront6targetE1EEEvT1_ ; -- Begin function _ZN7rocprim17ROCPRIM_400000_NS6detail17trampoline_kernelINS0_14default_configENS1_27scan_by_key_config_selectorIiiEEZZNS1_16scan_by_key_implILNS1_25lookback_scan_determinismE0ELb0ES3_N6thrust23THRUST_200600_302600_NS6detail15normal_iteratorINS9_10device_ptrIiEEEESE_SE_iNS9_4plusIvEENS9_8equal_toIvEEiEE10hipError_tPvRmT2_T3_T4_T5_mT6_T7_P12ihipStream_tbENKUlT_T0_E_clISt17integral_constantIbLb0EESY_IbLb1EEEEDaSU_SV_EUlSU_E_NS1_11comp_targetILNS1_3genE10ELNS1_11target_archE1200ELNS1_3gpuE4ELNS1_3repE0EEENS1_30default_config_static_selectorELNS0_4arch9wavefront6targetE1EEEvT1_
	.globl	_ZN7rocprim17ROCPRIM_400000_NS6detail17trampoline_kernelINS0_14default_configENS1_27scan_by_key_config_selectorIiiEEZZNS1_16scan_by_key_implILNS1_25lookback_scan_determinismE0ELb0ES3_N6thrust23THRUST_200600_302600_NS6detail15normal_iteratorINS9_10device_ptrIiEEEESE_SE_iNS9_4plusIvEENS9_8equal_toIvEEiEE10hipError_tPvRmT2_T3_T4_T5_mT6_T7_P12ihipStream_tbENKUlT_T0_E_clISt17integral_constantIbLb0EESY_IbLb1EEEEDaSU_SV_EUlSU_E_NS1_11comp_targetILNS1_3genE10ELNS1_11target_archE1200ELNS1_3gpuE4ELNS1_3repE0EEENS1_30default_config_static_selectorELNS0_4arch9wavefront6targetE1EEEvT1_
	.p2align	8
	.type	_ZN7rocprim17ROCPRIM_400000_NS6detail17trampoline_kernelINS0_14default_configENS1_27scan_by_key_config_selectorIiiEEZZNS1_16scan_by_key_implILNS1_25lookback_scan_determinismE0ELb0ES3_N6thrust23THRUST_200600_302600_NS6detail15normal_iteratorINS9_10device_ptrIiEEEESE_SE_iNS9_4plusIvEENS9_8equal_toIvEEiEE10hipError_tPvRmT2_T3_T4_T5_mT6_T7_P12ihipStream_tbENKUlT_T0_E_clISt17integral_constantIbLb0EESY_IbLb1EEEEDaSU_SV_EUlSU_E_NS1_11comp_targetILNS1_3genE10ELNS1_11target_archE1200ELNS1_3gpuE4ELNS1_3repE0EEENS1_30default_config_static_selectorELNS0_4arch9wavefront6targetE1EEEvT1_,@function
_ZN7rocprim17ROCPRIM_400000_NS6detail17trampoline_kernelINS0_14default_configENS1_27scan_by_key_config_selectorIiiEEZZNS1_16scan_by_key_implILNS1_25lookback_scan_determinismE0ELb0ES3_N6thrust23THRUST_200600_302600_NS6detail15normal_iteratorINS9_10device_ptrIiEEEESE_SE_iNS9_4plusIvEENS9_8equal_toIvEEiEE10hipError_tPvRmT2_T3_T4_T5_mT6_T7_P12ihipStream_tbENKUlT_T0_E_clISt17integral_constantIbLb0EESY_IbLb1EEEEDaSU_SV_EUlSU_E_NS1_11comp_targetILNS1_3genE10ELNS1_11target_archE1200ELNS1_3gpuE4ELNS1_3repE0EEENS1_30default_config_static_selectorELNS0_4arch9wavefront6targetE1EEEvT1_: ; @_ZN7rocprim17ROCPRIM_400000_NS6detail17trampoline_kernelINS0_14default_configENS1_27scan_by_key_config_selectorIiiEEZZNS1_16scan_by_key_implILNS1_25lookback_scan_determinismE0ELb0ES3_N6thrust23THRUST_200600_302600_NS6detail15normal_iteratorINS9_10device_ptrIiEEEESE_SE_iNS9_4plusIvEENS9_8equal_toIvEEiEE10hipError_tPvRmT2_T3_T4_T5_mT6_T7_P12ihipStream_tbENKUlT_T0_E_clISt17integral_constantIbLb0EESY_IbLb1EEEEDaSU_SV_EUlSU_E_NS1_11comp_targetILNS1_3genE10ELNS1_11target_archE1200ELNS1_3gpuE4ELNS1_3repE0EEENS1_30default_config_static_selectorELNS0_4arch9wavefront6targetE1EEEvT1_
; %bb.0:
	.section	.rodata,"a",@progbits
	.p2align	6, 0x0
	.amdhsa_kernel _ZN7rocprim17ROCPRIM_400000_NS6detail17trampoline_kernelINS0_14default_configENS1_27scan_by_key_config_selectorIiiEEZZNS1_16scan_by_key_implILNS1_25lookback_scan_determinismE0ELb0ES3_N6thrust23THRUST_200600_302600_NS6detail15normal_iteratorINS9_10device_ptrIiEEEESE_SE_iNS9_4plusIvEENS9_8equal_toIvEEiEE10hipError_tPvRmT2_T3_T4_T5_mT6_T7_P12ihipStream_tbENKUlT_T0_E_clISt17integral_constantIbLb0EESY_IbLb1EEEEDaSU_SV_EUlSU_E_NS1_11comp_targetILNS1_3genE10ELNS1_11target_archE1200ELNS1_3gpuE4ELNS1_3repE0EEENS1_30default_config_static_selectorELNS0_4arch9wavefront6targetE1EEEvT1_
		.amdhsa_group_segment_fixed_size 0
		.amdhsa_private_segment_fixed_size 0
		.amdhsa_kernarg_size 112
		.amdhsa_user_sgpr_count 2
		.amdhsa_user_sgpr_dispatch_ptr 0
		.amdhsa_user_sgpr_queue_ptr 0
		.amdhsa_user_sgpr_kernarg_segment_ptr 1
		.amdhsa_user_sgpr_dispatch_id 0
		.amdhsa_user_sgpr_kernarg_preload_length 0
		.amdhsa_user_sgpr_kernarg_preload_offset 0
		.amdhsa_user_sgpr_private_segment_size 0
		.amdhsa_uses_dynamic_stack 0
		.amdhsa_enable_private_segment 0
		.amdhsa_system_sgpr_workgroup_id_x 1
		.amdhsa_system_sgpr_workgroup_id_y 0
		.amdhsa_system_sgpr_workgroup_id_z 0
		.amdhsa_system_sgpr_workgroup_info 0
		.amdhsa_system_vgpr_workitem_id 0
		.amdhsa_next_free_vgpr 1
		.amdhsa_next_free_sgpr 0
		.amdhsa_accum_offset 4
		.amdhsa_reserve_vcc 0
		.amdhsa_float_round_mode_32 0
		.amdhsa_float_round_mode_16_64 0
		.amdhsa_float_denorm_mode_32 3
		.amdhsa_float_denorm_mode_16_64 3
		.amdhsa_dx10_clamp 1
		.amdhsa_ieee_mode 1
		.amdhsa_fp16_overflow 0
		.amdhsa_tg_split 0
		.amdhsa_exception_fp_ieee_invalid_op 0
		.amdhsa_exception_fp_denorm_src 0
		.amdhsa_exception_fp_ieee_div_zero 0
		.amdhsa_exception_fp_ieee_overflow 0
		.amdhsa_exception_fp_ieee_underflow 0
		.amdhsa_exception_fp_ieee_inexact 0
		.amdhsa_exception_int_div_zero 0
	.end_amdhsa_kernel
	.section	.text._ZN7rocprim17ROCPRIM_400000_NS6detail17trampoline_kernelINS0_14default_configENS1_27scan_by_key_config_selectorIiiEEZZNS1_16scan_by_key_implILNS1_25lookback_scan_determinismE0ELb0ES3_N6thrust23THRUST_200600_302600_NS6detail15normal_iteratorINS9_10device_ptrIiEEEESE_SE_iNS9_4plusIvEENS9_8equal_toIvEEiEE10hipError_tPvRmT2_T3_T4_T5_mT6_T7_P12ihipStream_tbENKUlT_T0_E_clISt17integral_constantIbLb0EESY_IbLb1EEEEDaSU_SV_EUlSU_E_NS1_11comp_targetILNS1_3genE10ELNS1_11target_archE1200ELNS1_3gpuE4ELNS1_3repE0EEENS1_30default_config_static_selectorELNS0_4arch9wavefront6targetE1EEEvT1_,"axG",@progbits,_ZN7rocprim17ROCPRIM_400000_NS6detail17trampoline_kernelINS0_14default_configENS1_27scan_by_key_config_selectorIiiEEZZNS1_16scan_by_key_implILNS1_25lookback_scan_determinismE0ELb0ES3_N6thrust23THRUST_200600_302600_NS6detail15normal_iteratorINS9_10device_ptrIiEEEESE_SE_iNS9_4plusIvEENS9_8equal_toIvEEiEE10hipError_tPvRmT2_T3_T4_T5_mT6_T7_P12ihipStream_tbENKUlT_T0_E_clISt17integral_constantIbLb0EESY_IbLb1EEEEDaSU_SV_EUlSU_E_NS1_11comp_targetILNS1_3genE10ELNS1_11target_archE1200ELNS1_3gpuE4ELNS1_3repE0EEENS1_30default_config_static_selectorELNS0_4arch9wavefront6targetE1EEEvT1_,comdat
.Lfunc_end161:
	.size	_ZN7rocprim17ROCPRIM_400000_NS6detail17trampoline_kernelINS0_14default_configENS1_27scan_by_key_config_selectorIiiEEZZNS1_16scan_by_key_implILNS1_25lookback_scan_determinismE0ELb0ES3_N6thrust23THRUST_200600_302600_NS6detail15normal_iteratorINS9_10device_ptrIiEEEESE_SE_iNS9_4plusIvEENS9_8equal_toIvEEiEE10hipError_tPvRmT2_T3_T4_T5_mT6_T7_P12ihipStream_tbENKUlT_T0_E_clISt17integral_constantIbLb0EESY_IbLb1EEEEDaSU_SV_EUlSU_E_NS1_11comp_targetILNS1_3genE10ELNS1_11target_archE1200ELNS1_3gpuE4ELNS1_3repE0EEENS1_30default_config_static_selectorELNS0_4arch9wavefront6targetE1EEEvT1_, .Lfunc_end161-_ZN7rocprim17ROCPRIM_400000_NS6detail17trampoline_kernelINS0_14default_configENS1_27scan_by_key_config_selectorIiiEEZZNS1_16scan_by_key_implILNS1_25lookback_scan_determinismE0ELb0ES3_N6thrust23THRUST_200600_302600_NS6detail15normal_iteratorINS9_10device_ptrIiEEEESE_SE_iNS9_4plusIvEENS9_8equal_toIvEEiEE10hipError_tPvRmT2_T3_T4_T5_mT6_T7_P12ihipStream_tbENKUlT_T0_E_clISt17integral_constantIbLb0EESY_IbLb1EEEEDaSU_SV_EUlSU_E_NS1_11comp_targetILNS1_3genE10ELNS1_11target_archE1200ELNS1_3gpuE4ELNS1_3repE0EEENS1_30default_config_static_selectorELNS0_4arch9wavefront6targetE1EEEvT1_
                                        ; -- End function
	.section	.AMDGPU.csdata,"",@progbits
; Kernel info:
; codeLenInByte = 0
; NumSgprs: 6
; NumVgprs: 0
; NumAgprs: 0
; TotalNumVgprs: 0
; ScratchSize: 0
; MemoryBound: 0
; FloatMode: 240
; IeeeMode: 1
; LDSByteSize: 0 bytes/workgroup (compile time only)
; SGPRBlocks: 0
; VGPRBlocks: 0
; NumSGPRsForWavesPerEU: 6
; NumVGPRsForWavesPerEU: 1
; AccumOffset: 4
; Occupancy: 8
; WaveLimiterHint : 0
; COMPUTE_PGM_RSRC2:SCRATCH_EN: 0
; COMPUTE_PGM_RSRC2:USER_SGPR: 2
; COMPUTE_PGM_RSRC2:TRAP_HANDLER: 0
; COMPUTE_PGM_RSRC2:TGID_X_EN: 1
; COMPUTE_PGM_RSRC2:TGID_Y_EN: 0
; COMPUTE_PGM_RSRC2:TGID_Z_EN: 0
; COMPUTE_PGM_RSRC2:TIDIG_COMP_CNT: 0
; COMPUTE_PGM_RSRC3_GFX90A:ACCUM_OFFSET: 0
; COMPUTE_PGM_RSRC3_GFX90A:TG_SPLIT: 0
	.section	.text._ZN7rocprim17ROCPRIM_400000_NS6detail17trampoline_kernelINS0_14default_configENS1_27scan_by_key_config_selectorIiiEEZZNS1_16scan_by_key_implILNS1_25lookback_scan_determinismE0ELb0ES3_N6thrust23THRUST_200600_302600_NS6detail15normal_iteratorINS9_10device_ptrIiEEEESE_SE_iNS9_4plusIvEENS9_8equal_toIvEEiEE10hipError_tPvRmT2_T3_T4_T5_mT6_T7_P12ihipStream_tbENKUlT_T0_E_clISt17integral_constantIbLb0EESY_IbLb1EEEEDaSU_SV_EUlSU_E_NS1_11comp_targetILNS1_3genE9ELNS1_11target_archE1100ELNS1_3gpuE3ELNS1_3repE0EEENS1_30default_config_static_selectorELNS0_4arch9wavefront6targetE1EEEvT1_,"axG",@progbits,_ZN7rocprim17ROCPRIM_400000_NS6detail17trampoline_kernelINS0_14default_configENS1_27scan_by_key_config_selectorIiiEEZZNS1_16scan_by_key_implILNS1_25lookback_scan_determinismE0ELb0ES3_N6thrust23THRUST_200600_302600_NS6detail15normal_iteratorINS9_10device_ptrIiEEEESE_SE_iNS9_4plusIvEENS9_8equal_toIvEEiEE10hipError_tPvRmT2_T3_T4_T5_mT6_T7_P12ihipStream_tbENKUlT_T0_E_clISt17integral_constantIbLb0EESY_IbLb1EEEEDaSU_SV_EUlSU_E_NS1_11comp_targetILNS1_3genE9ELNS1_11target_archE1100ELNS1_3gpuE3ELNS1_3repE0EEENS1_30default_config_static_selectorELNS0_4arch9wavefront6targetE1EEEvT1_,comdat
	.protected	_ZN7rocprim17ROCPRIM_400000_NS6detail17trampoline_kernelINS0_14default_configENS1_27scan_by_key_config_selectorIiiEEZZNS1_16scan_by_key_implILNS1_25lookback_scan_determinismE0ELb0ES3_N6thrust23THRUST_200600_302600_NS6detail15normal_iteratorINS9_10device_ptrIiEEEESE_SE_iNS9_4plusIvEENS9_8equal_toIvEEiEE10hipError_tPvRmT2_T3_T4_T5_mT6_T7_P12ihipStream_tbENKUlT_T0_E_clISt17integral_constantIbLb0EESY_IbLb1EEEEDaSU_SV_EUlSU_E_NS1_11comp_targetILNS1_3genE9ELNS1_11target_archE1100ELNS1_3gpuE3ELNS1_3repE0EEENS1_30default_config_static_selectorELNS0_4arch9wavefront6targetE1EEEvT1_ ; -- Begin function _ZN7rocprim17ROCPRIM_400000_NS6detail17trampoline_kernelINS0_14default_configENS1_27scan_by_key_config_selectorIiiEEZZNS1_16scan_by_key_implILNS1_25lookback_scan_determinismE0ELb0ES3_N6thrust23THRUST_200600_302600_NS6detail15normal_iteratorINS9_10device_ptrIiEEEESE_SE_iNS9_4plusIvEENS9_8equal_toIvEEiEE10hipError_tPvRmT2_T3_T4_T5_mT6_T7_P12ihipStream_tbENKUlT_T0_E_clISt17integral_constantIbLb0EESY_IbLb1EEEEDaSU_SV_EUlSU_E_NS1_11comp_targetILNS1_3genE9ELNS1_11target_archE1100ELNS1_3gpuE3ELNS1_3repE0EEENS1_30default_config_static_selectorELNS0_4arch9wavefront6targetE1EEEvT1_
	.globl	_ZN7rocprim17ROCPRIM_400000_NS6detail17trampoline_kernelINS0_14default_configENS1_27scan_by_key_config_selectorIiiEEZZNS1_16scan_by_key_implILNS1_25lookback_scan_determinismE0ELb0ES3_N6thrust23THRUST_200600_302600_NS6detail15normal_iteratorINS9_10device_ptrIiEEEESE_SE_iNS9_4plusIvEENS9_8equal_toIvEEiEE10hipError_tPvRmT2_T3_T4_T5_mT6_T7_P12ihipStream_tbENKUlT_T0_E_clISt17integral_constantIbLb0EESY_IbLb1EEEEDaSU_SV_EUlSU_E_NS1_11comp_targetILNS1_3genE9ELNS1_11target_archE1100ELNS1_3gpuE3ELNS1_3repE0EEENS1_30default_config_static_selectorELNS0_4arch9wavefront6targetE1EEEvT1_
	.p2align	8
	.type	_ZN7rocprim17ROCPRIM_400000_NS6detail17trampoline_kernelINS0_14default_configENS1_27scan_by_key_config_selectorIiiEEZZNS1_16scan_by_key_implILNS1_25lookback_scan_determinismE0ELb0ES3_N6thrust23THRUST_200600_302600_NS6detail15normal_iteratorINS9_10device_ptrIiEEEESE_SE_iNS9_4plusIvEENS9_8equal_toIvEEiEE10hipError_tPvRmT2_T3_T4_T5_mT6_T7_P12ihipStream_tbENKUlT_T0_E_clISt17integral_constantIbLb0EESY_IbLb1EEEEDaSU_SV_EUlSU_E_NS1_11comp_targetILNS1_3genE9ELNS1_11target_archE1100ELNS1_3gpuE3ELNS1_3repE0EEENS1_30default_config_static_selectorELNS0_4arch9wavefront6targetE1EEEvT1_,@function
_ZN7rocprim17ROCPRIM_400000_NS6detail17trampoline_kernelINS0_14default_configENS1_27scan_by_key_config_selectorIiiEEZZNS1_16scan_by_key_implILNS1_25lookback_scan_determinismE0ELb0ES3_N6thrust23THRUST_200600_302600_NS6detail15normal_iteratorINS9_10device_ptrIiEEEESE_SE_iNS9_4plusIvEENS9_8equal_toIvEEiEE10hipError_tPvRmT2_T3_T4_T5_mT6_T7_P12ihipStream_tbENKUlT_T0_E_clISt17integral_constantIbLb0EESY_IbLb1EEEEDaSU_SV_EUlSU_E_NS1_11comp_targetILNS1_3genE9ELNS1_11target_archE1100ELNS1_3gpuE3ELNS1_3repE0EEENS1_30default_config_static_selectorELNS0_4arch9wavefront6targetE1EEEvT1_: ; @_ZN7rocprim17ROCPRIM_400000_NS6detail17trampoline_kernelINS0_14default_configENS1_27scan_by_key_config_selectorIiiEEZZNS1_16scan_by_key_implILNS1_25lookback_scan_determinismE0ELb0ES3_N6thrust23THRUST_200600_302600_NS6detail15normal_iteratorINS9_10device_ptrIiEEEESE_SE_iNS9_4plusIvEENS9_8equal_toIvEEiEE10hipError_tPvRmT2_T3_T4_T5_mT6_T7_P12ihipStream_tbENKUlT_T0_E_clISt17integral_constantIbLb0EESY_IbLb1EEEEDaSU_SV_EUlSU_E_NS1_11comp_targetILNS1_3genE9ELNS1_11target_archE1100ELNS1_3gpuE3ELNS1_3repE0EEENS1_30default_config_static_selectorELNS0_4arch9wavefront6targetE1EEEvT1_
; %bb.0:
	.section	.rodata,"a",@progbits
	.p2align	6, 0x0
	.amdhsa_kernel _ZN7rocprim17ROCPRIM_400000_NS6detail17trampoline_kernelINS0_14default_configENS1_27scan_by_key_config_selectorIiiEEZZNS1_16scan_by_key_implILNS1_25lookback_scan_determinismE0ELb0ES3_N6thrust23THRUST_200600_302600_NS6detail15normal_iteratorINS9_10device_ptrIiEEEESE_SE_iNS9_4plusIvEENS9_8equal_toIvEEiEE10hipError_tPvRmT2_T3_T4_T5_mT6_T7_P12ihipStream_tbENKUlT_T0_E_clISt17integral_constantIbLb0EESY_IbLb1EEEEDaSU_SV_EUlSU_E_NS1_11comp_targetILNS1_3genE9ELNS1_11target_archE1100ELNS1_3gpuE3ELNS1_3repE0EEENS1_30default_config_static_selectorELNS0_4arch9wavefront6targetE1EEEvT1_
		.amdhsa_group_segment_fixed_size 0
		.amdhsa_private_segment_fixed_size 0
		.amdhsa_kernarg_size 112
		.amdhsa_user_sgpr_count 2
		.amdhsa_user_sgpr_dispatch_ptr 0
		.amdhsa_user_sgpr_queue_ptr 0
		.amdhsa_user_sgpr_kernarg_segment_ptr 1
		.amdhsa_user_sgpr_dispatch_id 0
		.amdhsa_user_sgpr_kernarg_preload_length 0
		.amdhsa_user_sgpr_kernarg_preload_offset 0
		.amdhsa_user_sgpr_private_segment_size 0
		.amdhsa_uses_dynamic_stack 0
		.amdhsa_enable_private_segment 0
		.amdhsa_system_sgpr_workgroup_id_x 1
		.amdhsa_system_sgpr_workgroup_id_y 0
		.amdhsa_system_sgpr_workgroup_id_z 0
		.amdhsa_system_sgpr_workgroup_info 0
		.amdhsa_system_vgpr_workitem_id 0
		.amdhsa_next_free_vgpr 1
		.amdhsa_next_free_sgpr 0
		.amdhsa_accum_offset 4
		.amdhsa_reserve_vcc 0
		.amdhsa_float_round_mode_32 0
		.amdhsa_float_round_mode_16_64 0
		.amdhsa_float_denorm_mode_32 3
		.amdhsa_float_denorm_mode_16_64 3
		.amdhsa_dx10_clamp 1
		.amdhsa_ieee_mode 1
		.amdhsa_fp16_overflow 0
		.amdhsa_tg_split 0
		.amdhsa_exception_fp_ieee_invalid_op 0
		.amdhsa_exception_fp_denorm_src 0
		.amdhsa_exception_fp_ieee_div_zero 0
		.amdhsa_exception_fp_ieee_overflow 0
		.amdhsa_exception_fp_ieee_underflow 0
		.amdhsa_exception_fp_ieee_inexact 0
		.amdhsa_exception_int_div_zero 0
	.end_amdhsa_kernel
	.section	.text._ZN7rocprim17ROCPRIM_400000_NS6detail17trampoline_kernelINS0_14default_configENS1_27scan_by_key_config_selectorIiiEEZZNS1_16scan_by_key_implILNS1_25lookback_scan_determinismE0ELb0ES3_N6thrust23THRUST_200600_302600_NS6detail15normal_iteratorINS9_10device_ptrIiEEEESE_SE_iNS9_4plusIvEENS9_8equal_toIvEEiEE10hipError_tPvRmT2_T3_T4_T5_mT6_T7_P12ihipStream_tbENKUlT_T0_E_clISt17integral_constantIbLb0EESY_IbLb1EEEEDaSU_SV_EUlSU_E_NS1_11comp_targetILNS1_3genE9ELNS1_11target_archE1100ELNS1_3gpuE3ELNS1_3repE0EEENS1_30default_config_static_selectorELNS0_4arch9wavefront6targetE1EEEvT1_,"axG",@progbits,_ZN7rocprim17ROCPRIM_400000_NS6detail17trampoline_kernelINS0_14default_configENS1_27scan_by_key_config_selectorIiiEEZZNS1_16scan_by_key_implILNS1_25lookback_scan_determinismE0ELb0ES3_N6thrust23THRUST_200600_302600_NS6detail15normal_iteratorINS9_10device_ptrIiEEEESE_SE_iNS9_4plusIvEENS9_8equal_toIvEEiEE10hipError_tPvRmT2_T3_T4_T5_mT6_T7_P12ihipStream_tbENKUlT_T0_E_clISt17integral_constantIbLb0EESY_IbLb1EEEEDaSU_SV_EUlSU_E_NS1_11comp_targetILNS1_3genE9ELNS1_11target_archE1100ELNS1_3gpuE3ELNS1_3repE0EEENS1_30default_config_static_selectorELNS0_4arch9wavefront6targetE1EEEvT1_,comdat
.Lfunc_end162:
	.size	_ZN7rocprim17ROCPRIM_400000_NS6detail17trampoline_kernelINS0_14default_configENS1_27scan_by_key_config_selectorIiiEEZZNS1_16scan_by_key_implILNS1_25lookback_scan_determinismE0ELb0ES3_N6thrust23THRUST_200600_302600_NS6detail15normal_iteratorINS9_10device_ptrIiEEEESE_SE_iNS9_4plusIvEENS9_8equal_toIvEEiEE10hipError_tPvRmT2_T3_T4_T5_mT6_T7_P12ihipStream_tbENKUlT_T0_E_clISt17integral_constantIbLb0EESY_IbLb1EEEEDaSU_SV_EUlSU_E_NS1_11comp_targetILNS1_3genE9ELNS1_11target_archE1100ELNS1_3gpuE3ELNS1_3repE0EEENS1_30default_config_static_selectorELNS0_4arch9wavefront6targetE1EEEvT1_, .Lfunc_end162-_ZN7rocprim17ROCPRIM_400000_NS6detail17trampoline_kernelINS0_14default_configENS1_27scan_by_key_config_selectorIiiEEZZNS1_16scan_by_key_implILNS1_25lookback_scan_determinismE0ELb0ES3_N6thrust23THRUST_200600_302600_NS6detail15normal_iteratorINS9_10device_ptrIiEEEESE_SE_iNS9_4plusIvEENS9_8equal_toIvEEiEE10hipError_tPvRmT2_T3_T4_T5_mT6_T7_P12ihipStream_tbENKUlT_T0_E_clISt17integral_constantIbLb0EESY_IbLb1EEEEDaSU_SV_EUlSU_E_NS1_11comp_targetILNS1_3genE9ELNS1_11target_archE1100ELNS1_3gpuE3ELNS1_3repE0EEENS1_30default_config_static_selectorELNS0_4arch9wavefront6targetE1EEEvT1_
                                        ; -- End function
	.section	.AMDGPU.csdata,"",@progbits
; Kernel info:
; codeLenInByte = 0
; NumSgprs: 6
; NumVgprs: 0
; NumAgprs: 0
; TotalNumVgprs: 0
; ScratchSize: 0
; MemoryBound: 0
; FloatMode: 240
; IeeeMode: 1
; LDSByteSize: 0 bytes/workgroup (compile time only)
; SGPRBlocks: 0
; VGPRBlocks: 0
; NumSGPRsForWavesPerEU: 6
; NumVGPRsForWavesPerEU: 1
; AccumOffset: 4
; Occupancy: 8
; WaveLimiterHint : 0
; COMPUTE_PGM_RSRC2:SCRATCH_EN: 0
; COMPUTE_PGM_RSRC2:USER_SGPR: 2
; COMPUTE_PGM_RSRC2:TRAP_HANDLER: 0
; COMPUTE_PGM_RSRC2:TGID_X_EN: 1
; COMPUTE_PGM_RSRC2:TGID_Y_EN: 0
; COMPUTE_PGM_RSRC2:TGID_Z_EN: 0
; COMPUTE_PGM_RSRC2:TIDIG_COMP_CNT: 0
; COMPUTE_PGM_RSRC3_GFX90A:ACCUM_OFFSET: 0
; COMPUTE_PGM_RSRC3_GFX90A:TG_SPLIT: 0
	.section	.text._ZN7rocprim17ROCPRIM_400000_NS6detail17trampoline_kernelINS0_14default_configENS1_27scan_by_key_config_selectorIiiEEZZNS1_16scan_by_key_implILNS1_25lookback_scan_determinismE0ELb0ES3_N6thrust23THRUST_200600_302600_NS6detail15normal_iteratorINS9_10device_ptrIiEEEESE_SE_iNS9_4plusIvEENS9_8equal_toIvEEiEE10hipError_tPvRmT2_T3_T4_T5_mT6_T7_P12ihipStream_tbENKUlT_T0_E_clISt17integral_constantIbLb0EESY_IbLb1EEEEDaSU_SV_EUlSU_E_NS1_11comp_targetILNS1_3genE8ELNS1_11target_archE1030ELNS1_3gpuE2ELNS1_3repE0EEENS1_30default_config_static_selectorELNS0_4arch9wavefront6targetE1EEEvT1_,"axG",@progbits,_ZN7rocprim17ROCPRIM_400000_NS6detail17trampoline_kernelINS0_14default_configENS1_27scan_by_key_config_selectorIiiEEZZNS1_16scan_by_key_implILNS1_25lookback_scan_determinismE0ELb0ES3_N6thrust23THRUST_200600_302600_NS6detail15normal_iteratorINS9_10device_ptrIiEEEESE_SE_iNS9_4plusIvEENS9_8equal_toIvEEiEE10hipError_tPvRmT2_T3_T4_T5_mT6_T7_P12ihipStream_tbENKUlT_T0_E_clISt17integral_constantIbLb0EESY_IbLb1EEEEDaSU_SV_EUlSU_E_NS1_11comp_targetILNS1_3genE8ELNS1_11target_archE1030ELNS1_3gpuE2ELNS1_3repE0EEENS1_30default_config_static_selectorELNS0_4arch9wavefront6targetE1EEEvT1_,comdat
	.protected	_ZN7rocprim17ROCPRIM_400000_NS6detail17trampoline_kernelINS0_14default_configENS1_27scan_by_key_config_selectorIiiEEZZNS1_16scan_by_key_implILNS1_25lookback_scan_determinismE0ELb0ES3_N6thrust23THRUST_200600_302600_NS6detail15normal_iteratorINS9_10device_ptrIiEEEESE_SE_iNS9_4plusIvEENS9_8equal_toIvEEiEE10hipError_tPvRmT2_T3_T4_T5_mT6_T7_P12ihipStream_tbENKUlT_T0_E_clISt17integral_constantIbLb0EESY_IbLb1EEEEDaSU_SV_EUlSU_E_NS1_11comp_targetILNS1_3genE8ELNS1_11target_archE1030ELNS1_3gpuE2ELNS1_3repE0EEENS1_30default_config_static_selectorELNS0_4arch9wavefront6targetE1EEEvT1_ ; -- Begin function _ZN7rocprim17ROCPRIM_400000_NS6detail17trampoline_kernelINS0_14default_configENS1_27scan_by_key_config_selectorIiiEEZZNS1_16scan_by_key_implILNS1_25lookback_scan_determinismE0ELb0ES3_N6thrust23THRUST_200600_302600_NS6detail15normal_iteratorINS9_10device_ptrIiEEEESE_SE_iNS9_4plusIvEENS9_8equal_toIvEEiEE10hipError_tPvRmT2_T3_T4_T5_mT6_T7_P12ihipStream_tbENKUlT_T0_E_clISt17integral_constantIbLb0EESY_IbLb1EEEEDaSU_SV_EUlSU_E_NS1_11comp_targetILNS1_3genE8ELNS1_11target_archE1030ELNS1_3gpuE2ELNS1_3repE0EEENS1_30default_config_static_selectorELNS0_4arch9wavefront6targetE1EEEvT1_
	.globl	_ZN7rocprim17ROCPRIM_400000_NS6detail17trampoline_kernelINS0_14default_configENS1_27scan_by_key_config_selectorIiiEEZZNS1_16scan_by_key_implILNS1_25lookback_scan_determinismE0ELb0ES3_N6thrust23THRUST_200600_302600_NS6detail15normal_iteratorINS9_10device_ptrIiEEEESE_SE_iNS9_4plusIvEENS9_8equal_toIvEEiEE10hipError_tPvRmT2_T3_T4_T5_mT6_T7_P12ihipStream_tbENKUlT_T0_E_clISt17integral_constantIbLb0EESY_IbLb1EEEEDaSU_SV_EUlSU_E_NS1_11comp_targetILNS1_3genE8ELNS1_11target_archE1030ELNS1_3gpuE2ELNS1_3repE0EEENS1_30default_config_static_selectorELNS0_4arch9wavefront6targetE1EEEvT1_
	.p2align	8
	.type	_ZN7rocprim17ROCPRIM_400000_NS6detail17trampoline_kernelINS0_14default_configENS1_27scan_by_key_config_selectorIiiEEZZNS1_16scan_by_key_implILNS1_25lookback_scan_determinismE0ELb0ES3_N6thrust23THRUST_200600_302600_NS6detail15normal_iteratorINS9_10device_ptrIiEEEESE_SE_iNS9_4plusIvEENS9_8equal_toIvEEiEE10hipError_tPvRmT2_T3_T4_T5_mT6_T7_P12ihipStream_tbENKUlT_T0_E_clISt17integral_constantIbLb0EESY_IbLb1EEEEDaSU_SV_EUlSU_E_NS1_11comp_targetILNS1_3genE8ELNS1_11target_archE1030ELNS1_3gpuE2ELNS1_3repE0EEENS1_30default_config_static_selectorELNS0_4arch9wavefront6targetE1EEEvT1_,@function
_ZN7rocprim17ROCPRIM_400000_NS6detail17trampoline_kernelINS0_14default_configENS1_27scan_by_key_config_selectorIiiEEZZNS1_16scan_by_key_implILNS1_25lookback_scan_determinismE0ELb0ES3_N6thrust23THRUST_200600_302600_NS6detail15normal_iteratorINS9_10device_ptrIiEEEESE_SE_iNS9_4plusIvEENS9_8equal_toIvEEiEE10hipError_tPvRmT2_T3_T4_T5_mT6_T7_P12ihipStream_tbENKUlT_T0_E_clISt17integral_constantIbLb0EESY_IbLb1EEEEDaSU_SV_EUlSU_E_NS1_11comp_targetILNS1_3genE8ELNS1_11target_archE1030ELNS1_3gpuE2ELNS1_3repE0EEENS1_30default_config_static_selectorELNS0_4arch9wavefront6targetE1EEEvT1_: ; @_ZN7rocprim17ROCPRIM_400000_NS6detail17trampoline_kernelINS0_14default_configENS1_27scan_by_key_config_selectorIiiEEZZNS1_16scan_by_key_implILNS1_25lookback_scan_determinismE0ELb0ES3_N6thrust23THRUST_200600_302600_NS6detail15normal_iteratorINS9_10device_ptrIiEEEESE_SE_iNS9_4plusIvEENS9_8equal_toIvEEiEE10hipError_tPvRmT2_T3_T4_T5_mT6_T7_P12ihipStream_tbENKUlT_T0_E_clISt17integral_constantIbLb0EESY_IbLb1EEEEDaSU_SV_EUlSU_E_NS1_11comp_targetILNS1_3genE8ELNS1_11target_archE1030ELNS1_3gpuE2ELNS1_3repE0EEENS1_30default_config_static_selectorELNS0_4arch9wavefront6targetE1EEEvT1_
; %bb.0:
	.section	.rodata,"a",@progbits
	.p2align	6, 0x0
	.amdhsa_kernel _ZN7rocprim17ROCPRIM_400000_NS6detail17trampoline_kernelINS0_14default_configENS1_27scan_by_key_config_selectorIiiEEZZNS1_16scan_by_key_implILNS1_25lookback_scan_determinismE0ELb0ES3_N6thrust23THRUST_200600_302600_NS6detail15normal_iteratorINS9_10device_ptrIiEEEESE_SE_iNS9_4plusIvEENS9_8equal_toIvEEiEE10hipError_tPvRmT2_T3_T4_T5_mT6_T7_P12ihipStream_tbENKUlT_T0_E_clISt17integral_constantIbLb0EESY_IbLb1EEEEDaSU_SV_EUlSU_E_NS1_11comp_targetILNS1_3genE8ELNS1_11target_archE1030ELNS1_3gpuE2ELNS1_3repE0EEENS1_30default_config_static_selectorELNS0_4arch9wavefront6targetE1EEEvT1_
		.amdhsa_group_segment_fixed_size 0
		.amdhsa_private_segment_fixed_size 0
		.amdhsa_kernarg_size 112
		.amdhsa_user_sgpr_count 2
		.amdhsa_user_sgpr_dispatch_ptr 0
		.amdhsa_user_sgpr_queue_ptr 0
		.amdhsa_user_sgpr_kernarg_segment_ptr 1
		.amdhsa_user_sgpr_dispatch_id 0
		.amdhsa_user_sgpr_kernarg_preload_length 0
		.amdhsa_user_sgpr_kernarg_preload_offset 0
		.amdhsa_user_sgpr_private_segment_size 0
		.amdhsa_uses_dynamic_stack 0
		.amdhsa_enable_private_segment 0
		.amdhsa_system_sgpr_workgroup_id_x 1
		.amdhsa_system_sgpr_workgroup_id_y 0
		.amdhsa_system_sgpr_workgroup_id_z 0
		.amdhsa_system_sgpr_workgroup_info 0
		.amdhsa_system_vgpr_workitem_id 0
		.amdhsa_next_free_vgpr 1
		.amdhsa_next_free_sgpr 0
		.amdhsa_accum_offset 4
		.amdhsa_reserve_vcc 0
		.amdhsa_float_round_mode_32 0
		.amdhsa_float_round_mode_16_64 0
		.amdhsa_float_denorm_mode_32 3
		.amdhsa_float_denorm_mode_16_64 3
		.amdhsa_dx10_clamp 1
		.amdhsa_ieee_mode 1
		.amdhsa_fp16_overflow 0
		.amdhsa_tg_split 0
		.amdhsa_exception_fp_ieee_invalid_op 0
		.amdhsa_exception_fp_denorm_src 0
		.amdhsa_exception_fp_ieee_div_zero 0
		.amdhsa_exception_fp_ieee_overflow 0
		.amdhsa_exception_fp_ieee_underflow 0
		.amdhsa_exception_fp_ieee_inexact 0
		.amdhsa_exception_int_div_zero 0
	.end_amdhsa_kernel
	.section	.text._ZN7rocprim17ROCPRIM_400000_NS6detail17trampoline_kernelINS0_14default_configENS1_27scan_by_key_config_selectorIiiEEZZNS1_16scan_by_key_implILNS1_25lookback_scan_determinismE0ELb0ES3_N6thrust23THRUST_200600_302600_NS6detail15normal_iteratorINS9_10device_ptrIiEEEESE_SE_iNS9_4plusIvEENS9_8equal_toIvEEiEE10hipError_tPvRmT2_T3_T4_T5_mT6_T7_P12ihipStream_tbENKUlT_T0_E_clISt17integral_constantIbLb0EESY_IbLb1EEEEDaSU_SV_EUlSU_E_NS1_11comp_targetILNS1_3genE8ELNS1_11target_archE1030ELNS1_3gpuE2ELNS1_3repE0EEENS1_30default_config_static_selectorELNS0_4arch9wavefront6targetE1EEEvT1_,"axG",@progbits,_ZN7rocprim17ROCPRIM_400000_NS6detail17trampoline_kernelINS0_14default_configENS1_27scan_by_key_config_selectorIiiEEZZNS1_16scan_by_key_implILNS1_25lookback_scan_determinismE0ELb0ES3_N6thrust23THRUST_200600_302600_NS6detail15normal_iteratorINS9_10device_ptrIiEEEESE_SE_iNS9_4plusIvEENS9_8equal_toIvEEiEE10hipError_tPvRmT2_T3_T4_T5_mT6_T7_P12ihipStream_tbENKUlT_T0_E_clISt17integral_constantIbLb0EESY_IbLb1EEEEDaSU_SV_EUlSU_E_NS1_11comp_targetILNS1_3genE8ELNS1_11target_archE1030ELNS1_3gpuE2ELNS1_3repE0EEENS1_30default_config_static_selectorELNS0_4arch9wavefront6targetE1EEEvT1_,comdat
.Lfunc_end163:
	.size	_ZN7rocprim17ROCPRIM_400000_NS6detail17trampoline_kernelINS0_14default_configENS1_27scan_by_key_config_selectorIiiEEZZNS1_16scan_by_key_implILNS1_25lookback_scan_determinismE0ELb0ES3_N6thrust23THRUST_200600_302600_NS6detail15normal_iteratorINS9_10device_ptrIiEEEESE_SE_iNS9_4plusIvEENS9_8equal_toIvEEiEE10hipError_tPvRmT2_T3_T4_T5_mT6_T7_P12ihipStream_tbENKUlT_T0_E_clISt17integral_constantIbLb0EESY_IbLb1EEEEDaSU_SV_EUlSU_E_NS1_11comp_targetILNS1_3genE8ELNS1_11target_archE1030ELNS1_3gpuE2ELNS1_3repE0EEENS1_30default_config_static_selectorELNS0_4arch9wavefront6targetE1EEEvT1_, .Lfunc_end163-_ZN7rocprim17ROCPRIM_400000_NS6detail17trampoline_kernelINS0_14default_configENS1_27scan_by_key_config_selectorIiiEEZZNS1_16scan_by_key_implILNS1_25lookback_scan_determinismE0ELb0ES3_N6thrust23THRUST_200600_302600_NS6detail15normal_iteratorINS9_10device_ptrIiEEEESE_SE_iNS9_4plusIvEENS9_8equal_toIvEEiEE10hipError_tPvRmT2_T3_T4_T5_mT6_T7_P12ihipStream_tbENKUlT_T0_E_clISt17integral_constantIbLb0EESY_IbLb1EEEEDaSU_SV_EUlSU_E_NS1_11comp_targetILNS1_3genE8ELNS1_11target_archE1030ELNS1_3gpuE2ELNS1_3repE0EEENS1_30default_config_static_selectorELNS0_4arch9wavefront6targetE1EEEvT1_
                                        ; -- End function
	.section	.AMDGPU.csdata,"",@progbits
; Kernel info:
; codeLenInByte = 0
; NumSgprs: 6
; NumVgprs: 0
; NumAgprs: 0
; TotalNumVgprs: 0
; ScratchSize: 0
; MemoryBound: 0
; FloatMode: 240
; IeeeMode: 1
; LDSByteSize: 0 bytes/workgroup (compile time only)
; SGPRBlocks: 0
; VGPRBlocks: 0
; NumSGPRsForWavesPerEU: 6
; NumVGPRsForWavesPerEU: 1
; AccumOffset: 4
; Occupancy: 8
; WaveLimiterHint : 0
; COMPUTE_PGM_RSRC2:SCRATCH_EN: 0
; COMPUTE_PGM_RSRC2:USER_SGPR: 2
; COMPUTE_PGM_RSRC2:TRAP_HANDLER: 0
; COMPUTE_PGM_RSRC2:TGID_X_EN: 1
; COMPUTE_PGM_RSRC2:TGID_Y_EN: 0
; COMPUTE_PGM_RSRC2:TGID_Z_EN: 0
; COMPUTE_PGM_RSRC2:TIDIG_COMP_CNT: 0
; COMPUTE_PGM_RSRC3_GFX90A:ACCUM_OFFSET: 0
; COMPUTE_PGM_RSRC3_GFX90A:TG_SPLIT: 0
	.section	.text._ZN7rocprim17ROCPRIM_400000_NS6detail17trampoline_kernelINS0_14default_configENS1_27scan_by_key_config_selectorIiiEEZZNS1_16scan_by_key_implILNS1_25lookback_scan_determinismE0ELb0ES3_N6thrust23THRUST_200600_302600_NS6detail15normal_iteratorINS9_10device_ptrIiEEEESE_SE_iNS9_10multipliesIiEENS9_8equal_toIiEEiEE10hipError_tPvRmT2_T3_T4_T5_mT6_T7_P12ihipStream_tbENKUlT_T0_E_clISt17integral_constantIbLb0EESZ_EEDaSU_SV_EUlSU_E_NS1_11comp_targetILNS1_3genE0ELNS1_11target_archE4294967295ELNS1_3gpuE0ELNS1_3repE0EEENS1_30default_config_static_selectorELNS0_4arch9wavefront6targetE1EEEvT1_,"axG",@progbits,_ZN7rocprim17ROCPRIM_400000_NS6detail17trampoline_kernelINS0_14default_configENS1_27scan_by_key_config_selectorIiiEEZZNS1_16scan_by_key_implILNS1_25lookback_scan_determinismE0ELb0ES3_N6thrust23THRUST_200600_302600_NS6detail15normal_iteratorINS9_10device_ptrIiEEEESE_SE_iNS9_10multipliesIiEENS9_8equal_toIiEEiEE10hipError_tPvRmT2_T3_T4_T5_mT6_T7_P12ihipStream_tbENKUlT_T0_E_clISt17integral_constantIbLb0EESZ_EEDaSU_SV_EUlSU_E_NS1_11comp_targetILNS1_3genE0ELNS1_11target_archE4294967295ELNS1_3gpuE0ELNS1_3repE0EEENS1_30default_config_static_selectorELNS0_4arch9wavefront6targetE1EEEvT1_,comdat
	.protected	_ZN7rocprim17ROCPRIM_400000_NS6detail17trampoline_kernelINS0_14default_configENS1_27scan_by_key_config_selectorIiiEEZZNS1_16scan_by_key_implILNS1_25lookback_scan_determinismE0ELb0ES3_N6thrust23THRUST_200600_302600_NS6detail15normal_iteratorINS9_10device_ptrIiEEEESE_SE_iNS9_10multipliesIiEENS9_8equal_toIiEEiEE10hipError_tPvRmT2_T3_T4_T5_mT6_T7_P12ihipStream_tbENKUlT_T0_E_clISt17integral_constantIbLb0EESZ_EEDaSU_SV_EUlSU_E_NS1_11comp_targetILNS1_3genE0ELNS1_11target_archE4294967295ELNS1_3gpuE0ELNS1_3repE0EEENS1_30default_config_static_selectorELNS0_4arch9wavefront6targetE1EEEvT1_ ; -- Begin function _ZN7rocprim17ROCPRIM_400000_NS6detail17trampoline_kernelINS0_14default_configENS1_27scan_by_key_config_selectorIiiEEZZNS1_16scan_by_key_implILNS1_25lookback_scan_determinismE0ELb0ES3_N6thrust23THRUST_200600_302600_NS6detail15normal_iteratorINS9_10device_ptrIiEEEESE_SE_iNS9_10multipliesIiEENS9_8equal_toIiEEiEE10hipError_tPvRmT2_T3_T4_T5_mT6_T7_P12ihipStream_tbENKUlT_T0_E_clISt17integral_constantIbLb0EESZ_EEDaSU_SV_EUlSU_E_NS1_11comp_targetILNS1_3genE0ELNS1_11target_archE4294967295ELNS1_3gpuE0ELNS1_3repE0EEENS1_30default_config_static_selectorELNS0_4arch9wavefront6targetE1EEEvT1_
	.globl	_ZN7rocprim17ROCPRIM_400000_NS6detail17trampoline_kernelINS0_14default_configENS1_27scan_by_key_config_selectorIiiEEZZNS1_16scan_by_key_implILNS1_25lookback_scan_determinismE0ELb0ES3_N6thrust23THRUST_200600_302600_NS6detail15normal_iteratorINS9_10device_ptrIiEEEESE_SE_iNS9_10multipliesIiEENS9_8equal_toIiEEiEE10hipError_tPvRmT2_T3_T4_T5_mT6_T7_P12ihipStream_tbENKUlT_T0_E_clISt17integral_constantIbLb0EESZ_EEDaSU_SV_EUlSU_E_NS1_11comp_targetILNS1_3genE0ELNS1_11target_archE4294967295ELNS1_3gpuE0ELNS1_3repE0EEENS1_30default_config_static_selectorELNS0_4arch9wavefront6targetE1EEEvT1_
	.p2align	8
	.type	_ZN7rocprim17ROCPRIM_400000_NS6detail17trampoline_kernelINS0_14default_configENS1_27scan_by_key_config_selectorIiiEEZZNS1_16scan_by_key_implILNS1_25lookback_scan_determinismE0ELb0ES3_N6thrust23THRUST_200600_302600_NS6detail15normal_iteratorINS9_10device_ptrIiEEEESE_SE_iNS9_10multipliesIiEENS9_8equal_toIiEEiEE10hipError_tPvRmT2_T3_T4_T5_mT6_T7_P12ihipStream_tbENKUlT_T0_E_clISt17integral_constantIbLb0EESZ_EEDaSU_SV_EUlSU_E_NS1_11comp_targetILNS1_3genE0ELNS1_11target_archE4294967295ELNS1_3gpuE0ELNS1_3repE0EEENS1_30default_config_static_selectorELNS0_4arch9wavefront6targetE1EEEvT1_,@function
_ZN7rocprim17ROCPRIM_400000_NS6detail17trampoline_kernelINS0_14default_configENS1_27scan_by_key_config_selectorIiiEEZZNS1_16scan_by_key_implILNS1_25lookback_scan_determinismE0ELb0ES3_N6thrust23THRUST_200600_302600_NS6detail15normal_iteratorINS9_10device_ptrIiEEEESE_SE_iNS9_10multipliesIiEENS9_8equal_toIiEEiEE10hipError_tPvRmT2_T3_T4_T5_mT6_T7_P12ihipStream_tbENKUlT_T0_E_clISt17integral_constantIbLb0EESZ_EEDaSU_SV_EUlSU_E_NS1_11comp_targetILNS1_3genE0ELNS1_11target_archE4294967295ELNS1_3gpuE0ELNS1_3repE0EEENS1_30default_config_static_selectorELNS0_4arch9wavefront6targetE1EEEvT1_: ; @_ZN7rocprim17ROCPRIM_400000_NS6detail17trampoline_kernelINS0_14default_configENS1_27scan_by_key_config_selectorIiiEEZZNS1_16scan_by_key_implILNS1_25lookback_scan_determinismE0ELb0ES3_N6thrust23THRUST_200600_302600_NS6detail15normal_iteratorINS9_10device_ptrIiEEEESE_SE_iNS9_10multipliesIiEENS9_8equal_toIiEEiEE10hipError_tPvRmT2_T3_T4_T5_mT6_T7_P12ihipStream_tbENKUlT_T0_E_clISt17integral_constantIbLb0EESZ_EEDaSU_SV_EUlSU_E_NS1_11comp_targetILNS1_3genE0ELNS1_11target_archE4294967295ELNS1_3gpuE0ELNS1_3repE0EEENS1_30default_config_static_selectorELNS0_4arch9wavefront6targetE1EEEvT1_
; %bb.0:
	.section	.rodata,"a",@progbits
	.p2align	6, 0x0
	.amdhsa_kernel _ZN7rocprim17ROCPRIM_400000_NS6detail17trampoline_kernelINS0_14default_configENS1_27scan_by_key_config_selectorIiiEEZZNS1_16scan_by_key_implILNS1_25lookback_scan_determinismE0ELb0ES3_N6thrust23THRUST_200600_302600_NS6detail15normal_iteratorINS9_10device_ptrIiEEEESE_SE_iNS9_10multipliesIiEENS9_8equal_toIiEEiEE10hipError_tPvRmT2_T3_T4_T5_mT6_T7_P12ihipStream_tbENKUlT_T0_E_clISt17integral_constantIbLb0EESZ_EEDaSU_SV_EUlSU_E_NS1_11comp_targetILNS1_3genE0ELNS1_11target_archE4294967295ELNS1_3gpuE0ELNS1_3repE0EEENS1_30default_config_static_selectorELNS0_4arch9wavefront6targetE1EEEvT1_
		.amdhsa_group_segment_fixed_size 0
		.amdhsa_private_segment_fixed_size 0
		.amdhsa_kernarg_size 112
		.amdhsa_user_sgpr_count 2
		.amdhsa_user_sgpr_dispatch_ptr 0
		.amdhsa_user_sgpr_queue_ptr 0
		.amdhsa_user_sgpr_kernarg_segment_ptr 1
		.amdhsa_user_sgpr_dispatch_id 0
		.amdhsa_user_sgpr_kernarg_preload_length 0
		.amdhsa_user_sgpr_kernarg_preload_offset 0
		.amdhsa_user_sgpr_private_segment_size 0
		.amdhsa_uses_dynamic_stack 0
		.amdhsa_enable_private_segment 0
		.amdhsa_system_sgpr_workgroup_id_x 1
		.amdhsa_system_sgpr_workgroup_id_y 0
		.amdhsa_system_sgpr_workgroup_id_z 0
		.amdhsa_system_sgpr_workgroup_info 0
		.amdhsa_system_vgpr_workitem_id 0
		.amdhsa_next_free_vgpr 1
		.amdhsa_next_free_sgpr 0
		.amdhsa_accum_offset 4
		.amdhsa_reserve_vcc 0
		.amdhsa_float_round_mode_32 0
		.amdhsa_float_round_mode_16_64 0
		.amdhsa_float_denorm_mode_32 3
		.amdhsa_float_denorm_mode_16_64 3
		.amdhsa_dx10_clamp 1
		.amdhsa_ieee_mode 1
		.amdhsa_fp16_overflow 0
		.amdhsa_tg_split 0
		.amdhsa_exception_fp_ieee_invalid_op 0
		.amdhsa_exception_fp_denorm_src 0
		.amdhsa_exception_fp_ieee_div_zero 0
		.amdhsa_exception_fp_ieee_overflow 0
		.amdhsa_exception_fp_ieee_underflow 0
		.amdhsa_exception_fp_ieee_inexact 0
		.amdhsa_exception_int_div_zero 0
	.end_amdhsa_kernel
	.section	.text._ZN7rocprim17ROCPRIM_400000_NS6detail17trampoline_kernelINS0_14default_configENS1_27scan_by_key_config_selectorIiiEEZZNS1_16scan_by_key_implILNS1_25lookback_scan_determinismE0ELb0ES3_N6thrust23THRUST_200600_302600_NS6detail15normal_iteratorINS9_10device_ptrIiEEEESE_SE_iNS9_10multipliesIiEENS9_8equal_toIiEEiEE10hipError_tPvRmT2_T3_T4_T5_mT6_T7_P12ihipStream_tbENKUlT_T0_E_clISt17integral_constantIbLb0EESZ_EEDaSU_SV_EUlSU_E_NS1_11comp_targetILNS1_3genE0ELNS1_11target_archE4294967295ELNS1_3gpuE0ELNS1_3repE0EEENS1_30default_config_static_selectorELNS0_4arch9wavefront6targetE1EEEvT1_,"axG",@progbits,_ZN7rocprim17ROCPRIM_400000_NS6detail17trampoline_kernelINS0_14default_configENS1_27scan_by_key_config_selectorIiiEEZZNS1_16scan_by_key_implILNS1_25lookback_scan_determinismE0ELb0ES3_N6thrust23THRUST_200600_302600_NS6detail15normal_iteratorINS9_10device_ptrIiEEEESE_SE_iNS9_10multipliesIiEENS9_8equal_toIiEEiEE10hipError_tPvRmT2_T3_T4_T5_mT6_T7_P12ihipStream_tbENKUlT_T0_E_clISt17integral_constantIbLb0EESZ_EEDaSU_SV_EUlSU_E_NS1_11comp_targetILNS1_3genE0ELNS1_11target_archE4294967295ELNS1_3gpuE0ELNS1_3repE0EEENS1_30default_config_static_selectorELNS0_4arch9wavefront6targetE1EEEvT1_,comdat
.Lfunc_end164:
	.size	_ZN7rocprim17ROCPRIM_400000_NS6detail17trampoline_kernelINS0_14default_configENS1_27scan_by_key_config_selectorIiiEEZZNS1_16scan_by_key_implILNS1_25lookback_scan_determinismE0ELb0ES3_N6thrust23THRUST_200600_302600_NS6detail15normal_iteratorINS9_10device_ptrIiEEEESE_SE_iNS9_10multipliesIiEENS9_8equal_toIiEEiEE10hipError_tPvRmT2_T3_T4_T5_mT6_T7_P12ihipStream_tbENKUlT_T0_E_clISt17integral_constantIbLb0EESZ_EEDaSU_SV_EUlSU_E_NS1_11comp_targetILNS1_3genE0ELNS1_11target_archE4294967295ELNS1_3gpuE0ELNS1_3repE0EEENS1_30default_config_static_selectorELNS0_4arch9wavefront6targetE1EEEvT1_, .Lfunc_end164-_ZN7rocprim17ROCPRIM_400000_NS6detail17trampoline_kernelINS0_14default_configENS1_27scan_by_key_config_selectorIiiEEZZNS1_16scan_by_key_implILNS1_25lookback_scan_determinismE0ELb0ES3_N6thrust23THRUST_200600_302600_NS6detail15normal_iteratorINS9_10device_ptrIiEEEESE_SE_iNS9_10multipliesIiEENS9_8equal_toIiEEiEE10hipError_tPvRmT2_T3_T4_T5_mT6_T7_P12ihipStream_tbENKUlT_T0_E_clISt17integral_constantIbLb0EESZ_EEDaSU_SV_EUlSU_E_NS1_11comp_targetILNS1_3genE0ELNS1_11target_archE4294967295ELNS1_3gpuE0ELNS1_3repE0EEENS1_30default_config_static_selectorELNS0_4arch9wavefront6targetE1EEEvT1_
                                        ; -- End function
	.section	.AMDGPU.csdata,"",@progbits
; Kernel info:
; codeLenInByte = 0
; NumSgprs: 6
; NumVgprs: 0
; NumAgprs: 0
; TotalNumVgprs: 0
; ScratchSize: 0
; MemoryBound: 0
; FloatMode: 240
; IeeeMode: 1
; LDSByteSize: 0 bytes/workgroup (compile time only)
; SGPRBlocks: 0
; VGPRBlocks: 0
; NumSGPRsForWavesPerEU: 6
; NumVGPRsForWavesPerEU: 1
; AccumOffset: 4
; Occupancy: 8
; WaveLimiterHint : 0
; COMPUTE_PGM_RSRC2:SCRATCH_EN: 0
; COMPUTE_PGM_RSRC2:USER_SGPR: 2
; COMPUTE_PGM_RSRC2:TRAP_HANDLER: 0
; COMPUTE_PGM_RSRC2:TGID_X_EN: 1
; COMPUTE_PGM_RSRC2:TGID_Y_EN: 0
; COMPUTE_PGM_RSRC2:TGID_Z_EN: 0
; COMPUTE_PGM_RSRC2:TIDIG_COMP_CNT: 0
; COMPUTE_PGM_RSRC3_GFX90A:ACCUM_OFFSET: 0
; COMPUTE_PGM_RSRC3_GFX90A:TG_SPLIT: 0
	.section	.text._ZN7rocprim17ROCPRIM_400000_NS6detail17trampoline_kernelINS0_14default_configENS1_27scan_by_key_config_selectorIiiEEZZNS1_16scan_by_key_implILNS1_25lookback_scan_determinismE0ELb0ES3_N6thrust23THRUST_200600_302600_NS6detail15normal_iteratorINS9_10device_ptrIiEEEESE_SE_iNS9_10multipliesIiEENS9_8equal_toIiEEiEE10hipError_tPvRmT2_T3_T4_T5_mT6_T7_P12ihipStream_tbENKUlT_T0_E_clISt17integral_constantIbLb0EESZ_EEDaSU_SV_EUlSU_E_NS1_11comp_targetILNS1_3genE10ELNS1_11target_archE1201ELNS1_3gpuE5ELNS1_3repE0EEENS1_30default_config_static_selectorELNS0_4arch9wavefront6targetE1EEEvT1_,"axG",@progbits,_ZN7rocprim17ROCPRIM_400000_NS6detail17trampoline_kernelINS0_14default_configENS1_27scan_by_key_config_selectorIiiEEZZNS1_16scan_by_key_implILNS1_25lookback_scan_determinismE0ELb0ES3_N6thrust23THRUST_200600_302600_NS6detail15normal_iteratorINS9_10device_ptrIiEEEESE_SE_iNS9_10multipliesIiEENS9_8equal_toIiEEiEE10hipError_tPvRmT2_T3_T4_T5_mT6_T7_P12ihipStream_tbENKUlT_T0_E_clISt17integral_constantIbLb0EESZ_EEDaSU_SV_EUlSU_E_NS1_11comp_targetILNS1_3genE10ELNS1_11target_archE1201ELNS1_3gpuE5ELNS1_3repE0EEENS1_30default_config_static_selectorELNS0_4arch9wavefront6targetE1EEEvT1_,comdat
	.protected	_ZN7rocprim17ROCPRIM_400000_NS6detail17trampoline_kernelINS0_14default_configENS1_27scan_by_key_config_selectorIiiEEZZNS1_16scan_by_key_implILNS1_25lookback_scan_determinismE0ELb0ES3_N6thrust23THRUST_200600_302600_NS6detail15normal_iteratorINS9_10device_ptrIiEEEESE_SE_iNS9_10multipliesIiEENS9_8equal_toIiEEiEE10hipError_tPvRmT2_T3_T4_T5_mT6_T7_P12ihipStream_tbENKUlT_T0_E_clISt17integral_constantIbLb0EESZ_EEDaSU_SV_EUlSU_E_NS1_11comp_targetILNS1_3genE10ELNS1_11target_archE1201ELNS1_3gpuE5ELNS1_3repE0EEENS1_30default_config_static_selectorELNS0_4arch9wavefront6targetE1EEEvT1_ ; -- Begin function _ZN7rocprim17ROCPRIM_400000_NS6detail17trampoline_kernelINS0_14default_configENS1_27scan_by_key_config_selectorIiiEEZZNS1_16scan_by_key_implILNS1_25lookback_scan_determinismE0ELb0ES3_N6thrust23THRUST_200600_302600_NS6detail15normal_iteratorINS9_10device_ptrIiEEEESE_SE_iNS9_10multipliesIiEENS9_8equal_toIiEEiEE10hipError_tPvRmT2_T3_T4_T5_mT6_T7_P12ihipStream_tbENKUlT_T0_E_clISt17integral_constantIbLb0EESZ_EEDaSU_SV_EUlSU_E_NS1_11comp_targetILNS1_3genE10ELNS1_11target_archE1201ELNS1_3gpuE5ELNS1_3repE0EEENS1_30default_config_static_selectorELNS0_4arch9wavefront6targetE1EEEvT1_
	.globl	_ZN7rocprim17ROCPRIM_400000_NS6detail17trampoline_kernelINS0_14default_configENS1_27scan_by_key_config_selectorIiiEEZZNS1_16scan_by_key_implILNS1_25lookback_scan_determinismE0ELb0ES3_N6thrust23THRUST_200600_302600_NS6detail15normal_iteratorINS9_10device_ptrIiEEEESE_SE_iNS9_10multipliesIiEENS9_8equal_toIiEEiEE10hipError_tPvRmT2_T3_T4_T5_mT6_T7_P12ihipStream_tbENKUlT_T0_E_clISt17integral_constantIbLb0EESZ_EEDaSU_SV_EUlSU_E_NS1_11comp_targetILNS1_3genE10ELNS1_11target_archE1201ELNS1_3gpuE5ELNS1_3repE0EEENS1_30default_config_static_selectorELNS0_4arch9wavefront6targetE1EEEvT1_
	.p2align	8
	.type	_ZN7rocprim17ROCPRIM_400000_NS6detail17trampoline_kernelINS0_14default_configENS1_27scan_by_key_config_selectorIiiEEZZNS1_16scan_by_key_implILNS1_25lookback_scan_determinismE0ELb0ES3_N6thrust23THRUST_200600_302600_NS6detail15normal_iteratorINS9_10device_ptrIiEEEESE_SE_iNS9_10multipliesIiEENS9_8equal_toIiEEiEE10hipError_tPvRmT2_T3_T4_T5_mT6_T7_P12ihipStream_tbENKUlT_T0_E_clISt17integral_constantIbLb0EESZ_EEDaSU_SV_EUlSU_E_NS1_11comp_targetILNS1_3genE10ELNS1_11target_archE1201ELNS1_3gpuE5ELNS1_3repE0EEENS1_30default_config_static_selectorELNS0_4arch9wavefront6targetE1EEEvT1_,@function
_ZN7rocprim17ROCPRIM_400000_NS6detail17trampoline_kernelINS0_14default_configENS1_27scan_by_key_config_selectorIiiEEZZNS1_16scan_by_key_implILNS1_25lookback_scan_determinismE0ELb0ES3_N6thrust23THRUST_200600_302600_NS6detail15normal_iteratorINS9_10device_ptrIiEEEESE_SE_iNS9_10multipliesIiEENS9_8equal_toIiEEiEE10hipError_tPvRmT2_T3_T4_T5_mT6_T7_P12ihipStream_tbENKUlT_T0_E_clISt17integral_constantIbLb0EESZ_EEDaSU_SV_EUlSU_E_NS1_11comp_targetILNS1_3genE10ELNS1_11target_archE1201ELNS1_3gpuE5ELNS1_3repE0EEENS1_30default_config_static_selectorELNS0_4arch9wavefront6targetE1EEEvT1_: ; @_ZN7rocprim17ROCPRIM_400000_NS6detail17trampoline_kernelINS0_14default_configENS1_27scan_by_key_config_selectorIiiEEZZNS1_16scan_by_key_implILNS1_25lookback_scan_determinismE0ELb0ES3_N6thrust23THRUST_200600_302600_NS6detail15normal_iteratorINS9_10device_ptrIiEEEESE_SE_iNS9_10multipliesIiEENS9_8equal_toIiEEiEE10hipError_tPvRmT2_T3_T4_T5_mT6_T7_P12ihipStream_tbENKUlT_T0_E_clISt17integral_constantIbLb0EESZ_EEDaSU_SV_EUlSU_E_NS1_11comp_targetILNS1_3genE10ELNS1_11target_archE1201ELNS1_3gpuE5ELNS1_3repE0EEENS1_30default_config_static_selectorELNS0_4arch9wavefront6targetE1EEEvT1_
; %bb.0:
	.section	.rodata,"a",@progbits
	.p2align	6, 0x0
	.amdhsa_kernel _ZN7rocprim17ROCPRIM_400000_NS6detail17trampoline_kernelINS0_14default_configENS1_27scan_by_key_config_selectorIiiEEZZNS1_16scan_by_key_implILNS1_25lookback_scan_determinismE0ELb0ES3_N6thrust23THRUST_200600_302600_NS6detail15normal_iteratorINS9_10device_ptrIiEEEESE_SE_iNS9_10multipliesIiEENS9_8equal_toIiEEiEE10hipError_tPvRmT2_T3_T4_T5_mT6_T7_P12ihipStream_tbENKUlT_T0_E_clISt17integral_constantIbLb0EESZ_EEDaSU_SV_EUlSU_E_NS1_11comp_targetILNS1_3genE10ELNS1_11target_archE1201ELNS1_3gpuE5ELNS1_3repE0EEENS1_30default_config_static_selectorELNS0_4arch9wavefront6targetE1EEEvT1_
		.amdhsa_group_segment_fixed_size 0
		.amdhsa_private_segment_fixed_size 0
		.amdhsa_kernarg_size 112
		.amdhsa_user_sgpr_count 2
		.amdhsa_user_sgpr_dispatch_ptr 0
		.amdhsa_user_sgpr_queue_ptr 0
		.amdhsa_user_sgpr_kernarg_segment_ptr 1
		.amdhsa_user_sgpr_dispatch_id 0
		.amdhsa_user_sgpr_kernarg_preload_length 0
		.amdhsa_user_sgpr_kernarg_preload_offset 0
		.amdhsa_user_sgpr_private_segment_size 0
		.amdhsa_uses_dynamic_stack 0
		.amdhsa_enable_private_segment 0
		.amdhsa_system_sgpr_workgroup_id_x 1
		.amdhsa_system_sgpr_workgroup_id_y 0
		.amdhsa_system_sgpr_workgroup_id_z 0
		.amdhsa_system_sgpr_workgroup_info 0
		.amdhsa_system_vgpr_workitem_id 0
		.amdhsa_next_free_vgpr 1
		.amdhsa_next_free_sgpr 0
		.amdhsa_accum_offset 4
		.amdhsa_reserve_vcc 0
		.amdhsa_float_round_mode_32 0
		.amdhsa_float_round_mode_16_64 0
		.amdhsa_float_denorm_mode_32 3
		.amdhsa_float_denorm_mode_16_64 3
		.amdhsa_dx10_clamp 1
		.amdhsa_ieee_mode 1
		.amdhsa_fp16_overflow 0
		.amdhsa_tg_split 0
		.amdhsa_exception_fp_ieee_invalid_op 0
		.amdhsa_exception_fp_denorm_src 0
		.amdhsa_exception_fp_ieee_div_zero 0
		.amdhsa_exception_fp_ieee_overflow 0
		.amdhsa_exception_fp_ieee_underflow 0
		.amdhsa_exception_fp_ieee_inexact 0
		.amdhsa_exception_int_div_zero 0
	.end_amdhsa_kernel
	.section	.text._ZN7rocprim17ROCPRIM_400000_NS6detail17trampoline_kernelINS0_14default_configENS1_27scan_by_key_config_selectorIiiEEZZNS1_16scan_by_key_implILNS1_25lookback_scan_determinismE0ELb0ES3_N6thrust23THRUST_200600_302600_NS6detail15normal_iteratorINS9_10device_ptrIiEEEESE_SE_iNS9_10multipliesIiEENS9_8equal_toIiEEiEE10hipError_tPvRmT2_T3_T4_T5_mT6_T7_P12ihipStream_tbENKUlT_T0_E_clISt17integral_constantIbLb0EESZ_EEDaSU_SV_EUlSU_E_NS1_11comp_targetILNS1_3genE10ELNS1_11target_archE1201ELNS1_3gpuE5ELNS1_3repE0EEENS1_30default_config_static_selectorELNS0_4arch9wavefront6targetE1EEEvT1_,"axG",@progbits,_ZN7rocprim17ROCPRIM_400000_NS6detail17trampoline_kernelINS0_14default_configENS1_27scan_by_key_config_selectorIiiEEZZNS1_16scan_by_key_implILNS1_25lookback_scan_determinismE0ELb0ES3_N6thrust23THRUST_200600_302600_NS6detail15normal_iteratorINS9_10device_ptrIiEEEESE_SE_iNS9_10multipliesIiEENS9_8equal_toIiEEiEE10hipError_tPvRmT2_T3_T4_T5_mT6_T7_P12ihipStream_tbENKUlT_T0_E_clISt17integral_constantIbLb0EESZ_EEDaSU_SV_EUlSU_E_NS1_11comp_targetILNS1_3genE10ELNS1_11target_archE1201ELNS1_3gpuE5ELNS1_3repE0EEENS1_30default_config_static_selectorELNS0_4arch9wavefront6targetE1EEEvT1_,comdat
.Lfunc_end165:
	.size	_ZN7rocprim17ROCPRIM_400000_NS6detail17trampoline_kernelINS0_14default_configENS1_27scan_by_key_config_selectorIiiEEZZNS1_16scan_by_key_implILNS1_25lookback_scan_determinismE0ELb0ES3_N6thrust23THRUST_200600_302600_NS6detail15normal_iteratorINS9_10device_ptrIiEEEESE_SE_iNS9_10multipliesIiEENS9_8equal_toIiEEiEE10hipError_tPvRmT2_T3_T4_T5_mT6_T7_P12ihipStream_tbENKUlT_T0_E_clISt17integral_constantIbLb0EESZ_EEDaSU_SV_EUlSU_E_NS1_11comp_targetILNS1_3genE10ELNS1_11target_archE1201ELNS1_3gpuE5ELNS1_3repE0EEENS1_30default_config_static_selectorELNS0_4arch9wavefront6targetE1EEEvT1_, .Lfunc_end165-_ZN7rocprim17ROCPRIM_400000_NS6detail17trampoline_kernelINS0_14default_configENS1_27scan_by_key_config_selectorIiiEEZZNS1_16scan_by_key_implILNS1_25lookback_scan_determinismE0ELb0ES3_N6thrust23THRUST_200600_302600_NS6detail15normal_iteratorINS9_10device_ptrIiEEEESE_SE_iNS9_10multipliesIiEENS9_8equal_toIiEEiEE10hipError_tPvRmT2_T3_T4_T5_mT6_T7_P12ihipStream_tbENKUlT_T0_E_clISt17integral_constantIbLb0EESZ_EEDaSU_SV_EUlSU_E_NS1_11comp_targetILNS1_3genE10ELNS1_11target_archE1201ELNS1_3gpuE5ELNS1_3repE0EEENS1_30default_config_static_selectorELNS0_4arch9wavefront6targetE1EEEvT1_
                                        ; -- End function
	.section	.AMDGPU.csdata,"",@progbits
; Kernel info:
; codeLenInByte = 0
; NumSgprs: 6
; NumVgprs: 0
; NumAgprs: 0
; TotalNumVgprs: 0
; ScratchSize: 0
; MemoryBound: 0
; FloatMode: 240
; IeeeMode: 1
; LDSByteSize: 0 bytes/workgroup (compile time only)
; SGPRBlocks: 0
; VGPRBlocks: 0
; NumSGPRsForWavesPerEU: 6
; NumVGPRsForWavesPerEU: 1
; AccumOffset: 4
; Occupancy: 8
; WaveLimiterHint : 0
; COMPUTE_PGM_RSRC2:SCRATCH_EN: 0
; COMPUTE_PGM_RSRC2:USER_SGPR: 2
; COMPUTE_PGM_RSRC2:TRAP_HANDLER: 0
; COMPUTE_PGM_RSRC2:TGID_X_EN: 1
; COMPUTE_PGM_RSRC2:TGID_Y_EN: 0
; COMPUTE_PGM_RSRC2:TGID_Z_EN: 0
; COMPUTE_PGM_RSRC2:TIDIG_COMP_CNT: 0
; COMPUTE_PGM_RSRC3_GFX90A:ACCUM_OFFSET: 0
; COMPUTE_PGM_RSRC3_GFX90A:TG_SPLIT: 0
	.section	.text._ZN7rocprim17ROCPRIM_400000_NS6detail17trampoline_kernelINS0_14default_configENS1_27scan_by_key_config_selectorIiiEEZZNS1_16scan_by_key_implILNS1_25lookback_scan_determinismE0ELb0ES3_N6thrust23THRUST_200600_302600_NS6detail15normal_iteratorINS9_10device_ptrIiEEEESE_SE_iNS9_10multipliesIiEENS9_8equal_toIiEEiEE10hipError_tPvRmT2_T3_T4_T5_mT6_T7_P12ihipStream_tbENKUlT_T0_E_clISt17integral_constantIbLb0EESZ_EEDaSU_SV_EUlSU_E_NS1_11comp_targetILNS1_3genE5ELNS1_11target_archE942ELNS1_3gpuE9ELNS1_3repE0EEENS1_30default_config_static_selectorELNS0_4arch9wavefront6targetE1EEEvT1_,"axG",@progbits,_ZN7rocprim17ROCPRIM_400000_NS6detail17trampoline_kernelINS0_14default_configENS1_27scan_by_key_config_selectorIiiEEZZNS1_16scan_by_key_implILNS1_25lookback_scan_determinismE0ELb0ES3_N6thrust23THRUST_200600_302600_NS6detail15normal_iteratorINS9_10device_ptrIiEEEESE_SE_iNS9_10multipliesIiEENS9_8equal_toIiEEiEE10hipError_tPvRmT2_T3_T4_T5_mT6_T7_P12ihipStream_tbENKUlT_T0_E_clISt17integral_constantIbLb0EESZ_EEDaSU_SV_EUlSU_E_NS1_11comp_targetILNS1_3genE5ELNS1_11target_archE942ELNS1_3gpuE9ELNS1_3repE0EEENS1_30default_config_static_selectorELNS0_4arch9wavefront6targetE1EEEvT1_,comdat
	.protected	_ZN7rocprim17ROCPRIM_400000_NS6detail17trampoline_kernelINS0_14default_configENS1_27scan_by_key_config_selectorIiiEEZZNS1_16scan_by_key_implILNS1_25lookback_scan_determinismE0ELb0ES3_N6thrust23THRUST_200600_302600_NS6detail15normal_iteratorINS9_10device_ptrIiEEEESE_SE_iNS9_10multipliesIiEENS9_8equal_toIiEEiEE10hipError_tPvRmT2_T3_T4_T5_mT6_T7_P12ihipStream_tbENKUlT_T0_E_clISt17integral_constantIbLb0EESZ_EEDaSU_SV_EUlSU_E_NS1_11comp_targetILNS1_3genE5ELNS1_11target_archE942ELNS1_3gpuE9ELNS1_3repE0EEENS1_30default_config_static_selectorELNS0_4arch9wavefront6targetE1EEEvT1_ ; -- Begin function _ZN7rocprim17ROCPRIM_400000_NS6detail17trampoline_kernelINS0_14default_configENS1_27scan_by_key_config_selectorIiiEEZZNS1_16scan_by_key_implILNS1_25lookback_scan_determinismE0ELb0ES3_N6thrust23THRUST_200600_302600_NS6detail15normal_iteratorINS9_10device_ptrIiEEEESE_SE_iNS9_10multipliesIiEENS9_8equal_toIiEEiEE10hipError_tPvRmT2_T3_T4_T5_mT6_T7_P12ihipStream_tbENKUlT_T0_E_clISt17integral_constantIbLb0EESZ_EEDaSU_SV_EUlSU_E_NS1_11comp_targetILNS1_3genE5ELNS1_11target_archE942ELNS1_3gpuE9ELNS1_3repE0EEENS1_30default_config_static_selectorELNS0_4arch9wavefront6targetE1EEEvT1_
	.globl	_ZN7rocprim17ROCPRIM_400000_NS6detail17trampoline_kernelINS0_14default_configENS1_27scan_by_key_config_selectorIiiEEZZNS1_16scan_by_key_implILNS1_25lookback_scan_determinismE0ELb0ES3_N6thrust23THRUST_200600_302600_NS6detail15normal_iteratorINS9_10device_ptrIiEEEESE_SE_iNS9_10multipliesIiEENS9_8equal_toIiEEiEE10hipError_tPvRmT2_T3_T4_T5_mT6_T7_P12ihipStream_tbENKUlT_T0_E_clISt17integral_constantIbLb0EESZ_EEDaSU_SV_EUlSU_E_NS1_11comp_targetILNS1_3genE5ELNS1_11target_archE942ELNS1_3gpuE9ELNS1_3repE0EEENS1_30default_config_static_selectorELNS0_4arch9wavefront6targetE1EEEvT1_
	.p2align	8
	.type	_ZN7rocprim17ROCPRIM_400000_NS6detail17trampoline_kernelINS0_14default_configENS1_27scan_by_key_config_selectorIiiEEZZNS1_16scan_by_key_implILNS1_25lookback_scan_determinismE0ELb0ES3_N6thrust23THRUST_200600_302600_NS6detail15normal_iteratorINS9_10device_ptrIiEEEESE_SE_iNS9_10multipliesIiEENS9_8equal_toIiEEiEE10hipError_tPvRmT2_T3_T4_T5_mT6_T7_P12ihipStream_tbENKUlT_T0_E_clISt17integral_constantIbLb0EESZ_EEDaSU_SV_EUlSU_E_NS1_11comp_targetILNS1_3genE5ELNS1_11target_archE942ELNS1_3gpuE9ELNS1_3repE0EEENS1_30default_config_static_selectorELNS0_4arch9wavefront6targetE1EEEvT1_,@function
_ZN7rocprim17ROCPRIM_400000_NS6detail17trampoline_kernelINS0_14default_configENS1_27scan_by_key_config_selectorIiiEEZZNS1_16scan_by_key_implILNS1_25lookback_scan_determinismE0ELb0ES3_N6thrust23THRUST_200600_302600_NS6detail15normal_iteratorINS9_10device_ptrIiEEEESE_SE_iNS9_10multipliesIiEENS9_8equal_toIiEEiEE10hipError_tPvRmT2_T3_T4_T5_mT6_T7_P12ihipStream_tbENKUlT_T0_E_clISt17integral_constantIbLb0EESZ_EEDaSU_SV_EUlSU_E_NS1_11comp_targetILNS1_3genE5ELNS1_11target_archE942ELNS1_3gpuE9ELNS1_3repE0EEENS1_30default_config_static_selectorELNS0_4arch9wavefront6targetE1EEEvT1_: ; @_ZN7rocprim17ROCPRIM_400000_NS6detail17trampoline_kernelINS0_14default_configENS1_27scan_by_key_config_selectorIiiEEZZNS1_16scan_by_key_implILNS1_25lookback_scan_determinismE0ELb0ES3_N6thrust23THRUST_200600_302600_NS6detail15normal_iteratorINS9_10device_ptrIiEEEESE_SE_iNS9_10multipliesIiEENS9_8equal_toIiEEiEE10hipError_tPvRmT2_T3_T4_T5_mT6_T7_P12ihipStream_tbENKUlT_T0_E_clISt17integral_constantIbLb0EESZ_EEDaSU_SV_EUlSU_E_NS1_11comp_targetILNS1_3genE5ELNS1_11target_archE942ELNS1_3gpuE9ELNS1_3repE0EEENS1_30default_config_static_selectorELNS0_4arch9wavefront6targetE1EEEvT1_
; %bb.0:
	s_load_dwordx8 s[52:59], s[0:1], 0x0
	s_load_dwordx4 s[68:71], s[0:1], 0x28
	s_load_dwordx2 s[74:75], s[0:1], 0x38
	s_load_dword s3, s[0:1], 0x40
	s_load_dwordx8 s[60:67], s[0:1], 0x48
	s_waitcnt lgkmcnt(0)
	s_lshl_b64 s[72:73], s[54:55], 2
	s_add_u32 s4, s52, s72
	s_addc_u32 s5, s53, s73
	s_add_u32 s6, s56, s72
	s_mul_i32 s0, s75, s3
	s_mul_hi_u32 s1, s74, s3
	s_addc_u32 s7, s57, s73
	s_add_i32 s8, s1, s0
	s_cmp_lg_u64 s[64:65], 0
	s_mul_i32 s0, s2, 0x1700
	s_mov_b32 s1, 0
	s_cselect_b64 s[64:65], -1, 0
	s_lshl_b64 s[56:57], s[0:1], 2
	s_add_u32 s54, s4, s56
	s_addc_u32 s55, s5, s57
	s_add_u32 s52, s6, s56
	s_mul_i32 s3, s74, s3
	s_addc_u32 s53, s7, s57
	s_add_u32 s76, s3, s2
	s_addc_u32 s77, s8, 0
	s_add_u32 s4, s60, -1
	s_addc_u32 s5, s61, -1
	v_mov_b64_e32 v[2:3], s[4:5]
	v_cmp_ge_u64_e64 s[0:1], s[76:77], v[2:3]
	s_mov_b64 s[10:11], 0
	s_mov_b64 s[6:7], -1
	s_and_b64 vcc, exec, s[0:1]
	s_mul_i32 s33, s4, 0xffffe900
	s_barrier
	s_cbranch_vccz .LBB166_122
; %bb.1:
	v_mov_b64_e32 v[2:3], s[54:55]
	flat_load_dword v1, v[2:3]
	s_add_i32 s3, s33, s70
	v_cmp_gt_u32_e64 s[50:51], s3, v0
	s_waitcnt vmcnt(0) lgkmcnt(0)
	v_mov_b32_e32 v4, v1
	s_and_saveexec_b64 s[4:5], s[50:51]
	s_cbranch_execz .LBB166_3
; %bb.2:
	v_lshlrev_b32_e32 v2, 2, v0
	v_mov_b32_e32 v3, 0
	v_lshl_add_u64 v[2:3], s[54:55], 0, v[2:3]
	flat_load_dword v4, v[2:3]
.LBB166_3:
	s_or_b64 exec, exec, s[4:5]
	v_or_b32_e32 v2, 0x100, v0
	v_cmp_gt_u32_e64 s[4:5], s3, v2
	v_mov_b32_e32 v5, v1
	s_and_saveexec_b64 s[6:7], s[4:5]
	s_cbranch_execz .LBB166_5
; %bb.4:
	v_lshlrev_b32_e32 v2, 2, v0
	v_mov_b32_e32 v3, 0
	v_lshl_add_u64 v[2:3], s[54:55], 0, v[2:3]
	flat_load_dword v5, v[2:3] offset:1024
.LBB166_5:
	s_or_b64 exec, exec, s[6:7]
	v_or_b32_e32 v2, 0x200, v0
	v_cmp_gt_u32_e64 s[6:7], s3, v2
	v_mov_b32_e32 v6, v1
	s_and_saveexec_b64 s[8:9], s[6:7]
	s_cbranch_execz .LBB166_7
; %bb.6:
	v_lshlrev_b32_e32 v2, 2, v0
	v_mov_b32_e32 v3, 0
	v_lshl_add_u64 v[2:3], s[54:55], 0, v[2:3]
	flat_load_dword v6, v[2:3] offset:2048
.LBB166_7:
	;; [unrolled: 12-line block ×3, first 2 shown]
	s_or_b64 exec, exec, s[10:11]
	v_or_b32_e32 v2, 0x400, v0
	v_cmp_gt_u32_e64 s[10:11], s3, v2
	v_lshlrev_b32_e32 v2, 2, v2
	v_mov_b32_e32 v3, v1
	s_and_saveexec_b64 s[12:13], s[10:11]
	s_cbranch_execz .LBB166_11
; %bb.10:
	v_mov_b32_e32 v3, 0
	v_lshl_add_u64 v[8:9], s[54:55], 0, v[2:3]
	flat_load_dword v3, v[8:9]
.LBB166_11:
	s_or_b64 exec, exec, s[12:13]
	v_or_b32_e32 v8, 0x500, v0
	v_cmp_gt_u32_e64 s[12:13], s3, v8
	v_lshlrev_b32_e32 v10, 2, v8
	v_mov_b32_e32 v8, v1
	s_and_saveexec_b64 s[14:15], s[12:13]
	s_cbranch_execz .LBB166_13
; %bb.12:
	v_mov_b32_e32 v11, 0
	v_lshl_add_u64 v[8:9], s[54:55], 0, v[10:11]
	flat_load_dword v8, v[8:9]
.LBB166_13:
	;; [unrolled: 12-line block ×18, first 2 shown]
	s_or_b64 exec, exec, s[48:49]
	v_or_b32_e32 v41, 0x1600, v0
	v_cmp_gt_u32_e64 s[48:49], s3, v41
	v_lshlrev_b32_e32 v46, 2, v41
	s_and_saveexec_b64 s[60:61], s[48:49]
	s_cbranch_execz .LBB166_47
; %bb.46:
	v_mov_b32_e32 v47, 0
	v_lshl_add_u64 v[44:45], s[54:55], 0, v[46:47]
	flat_load_dword v1, v[44:45]
.LBB166_47:
	s_or_b64 exec, exec, s[60:61]
	v_lshlrev_b32_e32 v44, 2, v0
	s_movk_i32 s60, 0x58
	s_waitcnt vmcnt(0) lgkmcnt(0)
	ds_write2st64_b32 v44, v4, v5 offset1:4
	ds_write2st64_b32 v44, v6, v7 offset0:8 offset1:12
	ds_write2st64_b32 v44, v3, v8 offset0:16 offset1:20
	;; [unrolled: 1-line block ×10, first 2 shown]
	ds_write_b32 v44, v1 offset:22528
	v_mad_u32_u24 v1, v0, s60, v44
	s_waitcnt lgkmcnt(0)
	s_barrier
	ds_read2_b32 v[68:69], v1 offset1:1
	ds_read2_b32 v[66:67], v1 offset0:2 offset1:3
	ds_read2_b32 v[64:65], v1 offset0:4 offset1:5
	ds_read2_b32 v[62:63], v1 offset0:6 offset1:7
	ds_read2_b32 v[60:61], v1 offset0:8 offset1:9
	ds_read2_b32 v[58:59], v1 offset0:10 offset1:11
	ds_read2_b32 v[56:57], v1 offset0:12 offset1:13
	ds_read2_b32 v[54:55], v1 offset0:14 offset1:15
	ds_read2_b32 v[8:9], v1 offset0:16 offset1:17
	ds_read2_b32 v[6:7], v1 offset0:18 offset1:19
	ds_read2_b32 v[4:5], v1 offset0:20 offset1:21
	ds_read_b32 v72, v1 offset:88
	s_cmp_eq_u64 s[76:77], 0
	s_mov_b64 s[60:61], s[54:55]
	s_cbranch_scc1 .LBB166_51
; %bb.48:
	s_andn2_b64 vcc, exec, s[64:65]
	s_cbranch_vccnz .LBB166_293
; %bb.49:
	s_lshl_b64 s[60:61], s[76:77], 2
	s_add_u32 s60, s66, s60
	s_addc_u32 s61, s67, s61
	s_add_u32 s60, s60, -4
	s_addc_u32 s61, s61, -1
	s_cbranch_execnz .LBB166_51
.LBB166_50:
	s_add_u32 s60, s54, -4
	s_addc_u32 s61, s55, -1
.LBB166_51:
	v_mov_b64_e32 v[48:49], s[60:61]
	flat_load_dword v70, v[48:49]
	s_movk_i32 s60, 0xffa8
	v_mad_i32_i24 v3, v0, s60, v1
	v_cmp_ne_u32_e32 vcc, 0, v0
	s_waitcnt lgkmcnt(0)
	ds_write_b32 v3, v72 offset:23552
	s_waitcnt lgkmcnt(0)
	s_barrier
	s_and_saveexec_b64 s[60:61], vcc
	s_cbranch_execz .LBB166_53
; %bb.52:
	v_mul_i32_i24_e32 v3, 0xffffffa8, v0
	v_add_u32_e32 v3, v1, v3
	s_waitcnt vmcnt(0)
	ds_read_b32 v70, v3 offset:23548
.LBB166_53:
	s_or_b64 exec, exec, s[60:61]
	v_mov_b32_e32 v45, 0
	s_waitcnt lgkmcnt(0)
	s_barrier
	s_waitcnt lgkmcnt(0)
                                        ; implicit-def: $vgpr48
	s_and_saveexec_b64 s[60:61], s[50:51]
	s_cbranch_execnz .LBB166_269
; %bb.54:
	s_or_b64 exec, exec, s[60:61]
                                        ; implicit-def: $vgpr49
	s_and_saveexec_b64 s[50:51], s[4:5]
	s_cbranch_execnz .LBB166_270
.LBB166_55:
	s_or_b64 exec, exec, s[50:51]
                                        ; implicit-def: $vgpr50
	s_and_saveexec_b64 s[4:5], s[6:7]
	s_cbranch_execnz .LBB166_271
.LBB166_56:
	s_or_b64 exec, exec, s[4:5]
                                        ; implicit-def: $vgpr45
	s_and_saveexec_b64 s[4:5], s[8:9]
	s_cbranch_execnz .LBB166_272
.LBB166_57:
	s_or_b64 exec, exec, s[4:5]
                                        ; implicit-def: $vgpr3
	s_and_saveexec_b64 s[4:5], s[10:11]
	s_cbranch_execnz .LBB166_273
.LBB166_58:
	s_or_b64 exec, exec, s[4:5]
                                        ; implicit-def: $vgpr2
	s_and_saveexec_b64 s[4:5], s[12:13]
	s_cbranch_execnz .LBB166_274
.LBB166_59:
	s_or_b64 exec, exec, s[4:5]
                                        ; implicit-def: $vgpr10
	s_and_saveexec_b64 s[4:5], s[14:15]
	s_cbranch_execnz .LBB166_275
.LBB166_60:
	s_or_b64 exec, exec, s[4:5]
                                        ; implicit-def: $vgpr11
	s_and_saveexec_b64 s[4:5], s[16:17]
	s_cbranch_execnz .LBB166_276
.LBB166_61:
	s_or_b64 exec, exec, s[4:5]
                                        ; implicit-def: $vgpr12
	s_and_saveexec_b64 s[4:5], s[18:19]
	s_cbranch_execnz .LBB166_277
.LBB166_62:
	s_or_b64 exec, exec, s[4:5]
                                        ; implicit-def: $vgpr13
	s_and_saveexec_b64 s[4:5], s[20:21]
	s_cbranch_execnz .LBB166_278
.LBB166_63:
	s_or_b64 exec, exec, s[4:5]
                                        ; implicit-def: $vgpr14
	s_and_saveexec_b64 s[4:5], s[22:23]
	s_cbranch_execnz .LBB166_279
.LBB166_64:
	s_or_b64 exec, exec, s[4:5]
                                        ; implicit-def: $vgpr15
	s_and_saveexec_b64 s[4:5], s[24:25]
	s_cbranch_execnz .LBB166_280
.LBB166_65:
	s_or_b64 exec, exec, s[4:5]
                                        ; implicit-def: $vgpr16
	s_and_saveexec_b64 s[4:5], s[26:27]
	s_cbranch_execnz .LBB166_281
.LBB166_66:
	s_or_b64 exec, exec, s[4:5]
                                        ; implicit-def: $vgpr17
	s_and_saveexec_b64 s[4:5], s[28:29]
	s_cbranch_execnz .LBB166_282
.LBB166_67:
	s_or_b64 exec, exec, s[4:5]
                                        ; implicit-def: $vgpr18
	s_and_saveexec_b64 s[4:5], s[30:31]
	s_cbranch_execnz .LBB166_283
.LBB166_68:
	s_or_b64 exec, exec, s[4:5]
                                        ; implicit-def: $vgpr19
	s_and_saveexec_b64 s[4:5], s[34:35]
	s_cbranch_execnz .LBB166_284
.LBB166_69:
	s_or_b64 exec, exec, s[4:5]
                                        ; implicit-def: $vgpr20
	s_and_saveexec_b64 s[4:5], s[36:37]
	s_cbranch_execnz .LBB166_285
.LBB166_70:
	s_or_b64 exec, exec, s[4:5]
                                        ; implicit-def: $vgpr21
	s_and_saveexec_b64 s[4:5], s[38:39]
	s_cbranch_execnz .LBB166_286
.LBB166_71:
	s_or_b64 exec, exec, s[4:5]
                                        ; implicit-def: $vgpr22
	s_and_saveexec_b64 s[4:5], s[40:41]
	s_cbranch_execnz .LBB166_287
.LBB166_72:
	s_or_b64 exec, exec, s[4:5]
                                        ; implicit-def: $vgpr23
	s_and_saveexec_b64 s[4:5], s[42:43]
	s_cbranch_execnz .LBB166_288
.LBB166_73:
	s_or_b64 exec, exec, s[4:5]
                                        ; implicit-def: $vgpr24
	s_and_saveexec_b64 s[4:5], s[44:45]
	s_cbranch_execnz .LBB166_289
.LBB166_74:
	s_or_b64 exec, exec, s[4:5]
                                        ; implicit-def: $vgpr25
	s_and_saveexec_b64 s[4:5], s[46:47]
	s_cbranch_execnz .LBB166_290
.LBB166_75:
	s_or_b64 exec, exec, s[4:5]
                                        ; implicit-def: $vgpr26
	s_and_saveexec_b64 s[4:5], s[48:49]
	s_cbranch_execz .LBB166_77
.LBB166_76:
	v_mov_b32_e32 v47, 0
	v_lshl_add_u64 v[26:27], s[52:53], 0, v[46:47]
	flat_load_dword v26, v[26:27]
.LBB166_77:
	s_or_b64 exec, exec, s[4:5]
	v_mul_u32_u24_e32 v73, 23, v0
	s_waitcnt vmcnt(0) lgkmcnt(0)
	ds_write2st64_b32 v44, v48, v49 offset1:4
	ds_write2st64_b32 v44, v50, v45 offset0:8 offset1:12
	ds_write2st64_b32 v44, v3, v2 offset0:16 offset1:20
	;; [unrolled: 1-line block ×10, first 2 shown]
	ds_write_b32 v44, v26 offset:22528
	v_mov_b64_e32 v[10:11], 0
	v_cmp_gt_u32_e32 vcc, s3, v73
	s_mov_b64 s[10:11], 0
	s_mov_b64 s[6:7], 0
	v_mov_b64_e32 v[12:13], v[10:11]
	v_mov_b64_e32 v[14:15], v[10:11]
	;; [unrolled: 1-line block ×21, first 2 shown]
	s_waitcnt lgkmcnt(0)
	s_barrier
	s_waitcnt lgkmcnt(0)
                                        ; implicit-def: $sgpr4_sgpr5
                                        ; implicit-def: $vgpr3
	s_and_saveexec_b64 s[8:9], vcc
	s_cbranch_execz .LBB166_121
; %bb.78:
	ds_read_b32 v10, v1
	v_add_u32_e32 v2, 1, v73
	v_cmp_ne_u32_e32 vcc, v70, v68
	v_mov_b64_e32 v[12:13], 0
	s_mov_b64 s[12:13], 0
	v_cndmask_b32_e64 v11, 0, 1, vcc
	v_cmp_gt_u32_e32 vcc, s3, v2
	s_mov_b64 s[4:5], 0
	v_mov_b64_e32 v[14:15], v[12:13]
	v_mov_b64_e32 v[16:17], v[12:13]
	;; [unrolled: 1-line block ×20, first 2 shown]
                                        ; implicit-def: $sgpr14_sgpr15
                                        ; implicit-def: $vgpr3
	s_and_saveexec_b64 s[10:11], vcc
	s_cbranch_execz .LBB166_120
; %bb.79:
	ds_read2_b32 v[70:71], v1 offset0:1 offset1:2
	v_add_u32_e32 v2, 2, v73
	v_cmp_ne_u32_e32 vcc, v68, v69
	v_mov_b64_e32 v[14:15], 0
	s_mov_b64 s[16:17], 0
	v_cndmask_b32_e64 v13, 0, 1, vcc
	v_cmp_gt_u32_e32 vcc, s3, v2
	s_waitcnt lgkmcnt(0)
	v_mov_b32_e32 v12, v70
	v_mov_b64_e32 v[16:17], v[14:15]
	v_mov_b64_e32 v[18:19], v[14:15]
	v_mov_b64_e32 v[20:21], v[14:15]
	v_mov_b64_e32 v[22:23], v[14:15]
	v_mov_b64_e32 v[24:25], v[14:15]
	v_mov_b64_e32 v[26:27], v[14:15]
	v_mov_b64_e32 v[28:29], v[14:15]
	v_mov_b64_e32 v[30:31], v[14:15]
	v_mov_b64_e32 v[32:33], v[14:15]
	v_mov_b64_e32 v[34:35], v[14:15]
	v_mov_b64_e32 v[36:37], v[14:15]
	v_mov_b64_e32 v[38:39], v[14:15]
	v_mov_b64_e32 v[40:41], v[14:15]
	v_mov_b64_e32 v[42:43], v[14:15]
	v_mov_b64_e32 v[44:45], v[14:15]
	v_mov_b64_e32 v[46:47], v[14:15]
	v_mov_b64_e32 v[48:49], v[14:15]
	v_mov_b64_e32 v[50:51], v[14:15]
	v_mov_b64_e32 v[52:53], v[14:15]
                                        ; implicit-def: $sgpr14_sgpr15
                                        ; implicit-def: $vgpr3
	s_and_saveexec_b64 s[12:13], vcc
	s_cbranch_execz .LBB166_119
; %bb.80:
	v_add_u32_e32 v2, 3, v73
	v_cmp_ne_u32_e32 vcc, v69, v66
	v_mov_b64_e32 v[16:17], 0
	v_mov_b32_e32 v14, v71
	v_cndmask_b32_e64 v15, 0, 1, vcc
	v_cmp_gt_u32_e32 vcc, s3, v2
	v_mov_b64_e32 v[18:19], v[16:17]
	v_mov_b64_e32 v[20:21], v[16:17]
	;; [unrolled: 1-line block ×18, first 2 shown]
                                        ; implicit-def: $sgpr18_sgpr19
                                        ; implicit-def: $vgpr3
	s_and_saveexec_b64 s[14:15], vcc
	s_cbranch_execz .LBB166_118
; %bb.81:
	ds_read2_b32 v[68:69], v1 offset0:3 offset1:4
	v_add_u32_e32 v2, 4, v73
	v_cmp_ne_u32_e32 vcc, v66, v67
	v_mov_b64_e32 v[18:19], 0
	s_mov_b64 s[20:21], 0
	v_cndmask_b32_e64 v17, 0, 1, vcc
	v_cmp_gt_u32_e32 vcc, s3, v2
	s_waitcnt lgkmcnt(0)
	v_mov_b32_e32 v16, v68
	v_mov_b64_e32 v[20:21], v[18:19]
	v_mov_b64_e32 v[22:23], v[18:19]
	;; [unrolled: 1-line block ×17, first 2 shown]
                                        ; implicit-def: $sgpr18_sgpr19
                                        ; implicit-def: $vgpr3
	s_and_saveexec_b64 s[16:17], vcc
	s_cbranch_execz .LBB166_117
; %bb.82:
	v_add_u32_e32 v2, 5, v73
	v_cmp_ne_u32_e32 vcc, v67, v64
	v_mov_b64_e32 v[20:21], 0
	v_mov_b32_e32 v18, v69
	v_cndmask_b32_e64 v19, 0, 1, vcc
	v_cmp_gt_u32_e32 vcc, s3, v2
	v_mov_b64_e32 v[22:23], v[20:21]
	v_mov_b64_e32 v[24:25], v[20:21]
	;; [unrolled: 1-line block ×16, first 2 shown]
                                        ; implicit-def: $sgpr22_sgpr23
                                        ; implicit-def: $vgpr3
	s_and_saveexec_b64 s[18:19], vcc
	s_cbranch_execz .LBB166_116
; %bb.83:
	ds_read2_b32 v[66:67], v1 offset0:5 offset1:6
	v_add_u32_e32 v2, 6, v73
	v_cmp_ne_u32_e32 vcc, v64, v65
	v_mov_b64_e32 v[22:23], 0
	s_mov_b64 s[24:25], 0
	v_cndmask_b32_e64 v21, 0, 1, vcc
	v_cmp_gt_u32_e32 vcc, s3, v2
	s_waitcnt lgkmcnt(0)
	v_mov_b32_e32 v20, v66
	v_mov_b64_e32 v[24:25], v[22:23]
	v_mov_b64_e32 v[26:27], v[22:23]
	;; [unrolled: 1-line block ×15, first 2 shown]
                                        ; implicit-def: $sgpr22_sgpr23
                                        ; implicit-def: $vgpr3
	s_and_saveexec_b64 s[20:21], vcc
	s_cbranch_execz .LBB166_115
; %bb.84:
	v_add_u32_e32 v2, 7, v73
	v_cmp_ne_u32_e32 vcc, v65, v62
	v_mov_b64_e32 v[24:25], 0
	v_mov_b32_e32 v22, v67
	v_cndmask_b32_e64 v23, 0, 1, vcc
	v_cmp_gt_u32_e32 vcc, s3, v2
	v_mov_b64_e32 v[26:27], v[24:25]
	v_mov_b64_e32 v[28:29], v[24:25]
	;; [unrolled: 1-line block ×14, first 2 shown]
                                        ; implicit-def: $sgpr26_sgpr27
                                        ; implicit-def: $vgpr3
	s_and_saveexec_b64 s[22:23], vcc
	s_cbranch_execz .LBB166_114
; %bb.85:
	ds_read2_b32 v[64:65], v1 offset0:7 offset1:8
	v_add_u32_e32 v2, 8, v73
	v_cmp_ne_u32_e32 vcc, v62, v63
	v_mov_b64_e32 v[26:27], 0
	s_mov_b64 s[28:29], 0
	v_cndmask_b32_e64 v25, 0, 1, vcc
	v_cmp_gt_u32_e32 vcc, s3, v2
	s_waitcnt lgkmcnt(0)
	v_mov_b32_e32 v24, v64
	v_mov_b64_e32 v[28:29], v[26:27]
	v_mov_b64_e32 v[30:31], v[26:27]
	;; [unrolled: 1-line block ×13, first 2 shown]
                                        ; implicit-def: $sgpr26_sgpr27
                                        ; implicit-def: $vgpr3
	s_and_saveexec_b64 s[24:25], vcc
	s_cbranch_execz .LBB166_113
; %bb.86:
	v_add_u32_e32 v2, 9, v73
	v_cmp_ne_u32_e32 vcc, v63, v60
	v_mov_b64_e32 v[28:29], 0
	v_mov_b32_e32 v26, v65
	v_cndmask_b32_e64 v27, 0, 1, vcc
	v_cmp_gt_u32_e32 vcc, s3, v2
	v_mov_b64_e32 v[30:31], v[28:29]
	v_mov_b64_e32 v[32:33], v[28:29]
	;; [unrolled: 1-line block ×12, first 2 shown]
                                        ; implicit-def: $sgpr30_sgpr31
                                        ; implicit-def: $vgpr3
	s_and_saveexec_b64 s[26:27], vcc
	s_cbranch_execz .LBB166_112
; %bb.87:
	ds_read2_b32 v[62:63], v1 offset0:9 offset1:10
	v_add_u32_e32 v2, 10, v73
	v_cmp_ne_u32_e32 vcc, v60, v61
	v_mov_b64_e32 v[30:31], 0
	s_mov_b64 s[34:35], 0
	v_cndmask_b32_e64 v29, 0, 1, vcc
	v_cmp_gt_u32_e32 vcc, s3, v2
	s_waitcnt lgkmcnt(0)
	v_mov_b32_e32 v28, v62
	v_mov_b64_e32 v[32:33], v[30:31]
	v_mov_b64_e32 v[34:35], v[30:31]
	;; [unrolled: 1-line block ×11, first 2 shown]
                                        ; implicit-def: $sgpr30_sgpr31
                                        ; implicit-def: $vgpr3
	s_and_saveexec_b64 s[28:29], vcc
	s_cbranch_execz .LBB166_111
; %bb.88:
	v_add_u32_e32 v2, 11, v73
	v_cmp_ne_u32_e32 vcc, v61, v58
	v_mov_b64_e32 v[32:33], 0
	v_mov_b32_e32 v30, v63
	v_cndmask_b32_e64 v31, 0, 1, vcc
	v_cmp_gt_u32_e32 vcc, s3, v2
	v_mov_b64_e32 v[34:35], v[32:33]
	v_mov_b64_e32 v[36:37], v[32:33]
	;; [unrolled: 1-line block ×10, first 2 shown]
                                        ; implicit-def: $sgpr36_sgpr37
                                        ; implicit-def: $vgpr3
	s_and_saveexec_b64 s[30:31], vcc
	s_cbranch_execz .LBB166_110
; %bb.89:
	ds_read2_b32 v[60:61], v1 offset0:11 offset1:12
	v_add_u32_e32 v2, 12, v73
	v_cmp_ne_u32_e32 vcc, v58, v59
	v_mov_b64_e32 v[34:35], 0
	s_mov_b64 s[38:39], 0
	v_cndmask_b32_e64 v33, 0, 1, vcc
	v_cmp_gt_u32_e32 vcc, s3, v2
	s_waitcnt lgkmcnt(0)
	v_mov_b32_e32 v32, v60
	v_mov_b64_e32 v[36:37], v[34:35]
	v_mov_b64_e32 v[38:39], v[34:35]
	;; [unrolled: 1-line block ×9, first 2 shown]
                                        ; implicit-def: $sgpr36_sgpr37
                                        ; implicit-def: $vgpr3
	s_and_saveexec_b64 s[34:35], vcc
	s_cbranch_execz .LBB166_109
; %bb.90:
	v_add_u32_e32 v2, 13, v73
	v_cmp_ne_u32_e32 vcc, v59, v56
	v_mov_b64_e32 v[36:37], 0
	v_mov_b32_e32 v34, v61
	v_cndmask_b32_e64 v35, 0, 1, vcc
	v_cmp_gt_u32_e32 vcc, s3, v2
	v_mov_b64_e32 v[38:39], v[36:37]
	v_mov_b64_e32 v[40:41], v[36:37]
	;; [unrolled: 1-line block ×8, first 2 shown]
                                        ; implicit-def: $sgpr40_sgpr41
                                        ; implicit-def: $vgpr3
	s_and_saveexec_b64 s[36:37], vcc
	s_cbranch_execz .LBB166_108
; %bb.91:
	ds_read2_b32 v[58:59], v1 offset0:13 offset1:14
	v_add_u32_e32 v2, 14, v73
	v_cmp_ne_u32_e32 vcc, v56, v57
	v_mov_b64_e32 v[38:39], 0
	s_mov_b64 s[42:43], 0
	v_cndmask_b32_e64 v37, 0, 1, vcc
	v_cmp_gt_u32_e32 vcc, s3, v2
	s_waitcnt lgkmcnt(0)
	v_mov_b32_e32 v36, v58
	v_mov_b64_e32 v[40:41], v[38:39]
	v_mov_b64_e32 v[42:43], v[38:39]
	;; [unrolled: 1-line block ×7, first 2 shown]
                                        ; implicit-def: $sgpr40_sgpr41
                                        ; implicit-def: $vgpr3
	s_and_saveexec_b64 s[38:39], vcc
	s_cbranch_execz .LBB166_107
; %bb.92:
	v_add_u32_e32 v2, 15, v73
	v_cmp_ne_u32_e32 vcc, v57, v54
	v_mov_b64_e32 v[40:41], 0
	v_mov_b32_e32 v38, v59
	v_cndmask_b32_e64 v39, 0, 1, vcc
	v_cmp_gt_u32_e32 vcc, s3, v2
	v_mov_b64_e32 v[42:43], v[40:41]
	v_mov_b64_e32 v[44:45], v[40:41]
	;; [unrolled: 1-line block ×6, first 2 shown]
                                        ; implicit-def: $sgpr44_sgpr45
                                        ; implicit-def: $vgpr3
	s_and_saveexec_b64 s[40:41], vcc
	s_cbranch_execz .LBB166_106
; %bb.93:
	ds_read2_b32 v[56:57], v1 offset0:15 offset1:16
	v_add_u32_e32 v2, 16, v73
	v_cmp_ne_u32_e32 vcc, v54, v55
	v_mov_b64_e32 v[42:43], 0
	s_mov_b64 s[46:47], 0
	v_cndmask_b32_e64 v41, 0, 1, vcc
	v_cmp_gt_u32_e32 vcc, s3, v2
	s_waitcnt lgkmcnt(0)
	v_mov_b32_e32 v40, v56
	v_mov_b64_e32 v[44:45], v[42:43]
	v_mov_b64_e32 v[46:47], v[42:43]
	;; [unrolled: 1-line block ×5, first 2 shown]
                                        ; implicit-def: $sgpr44_sgpr45
                                        ; implicit-def: $vgpr3
	s_and_saveexec_b64 s[42:43], vcc
	s_cbranch_execz .LBB166_105
; %bb.94:
	v_add_u32_e32 v2, 17, v73
	v_cmp_ne_u32_e32 vcc, v55, v8
	v_mov_b64_e32 v[44:45], 0
	v_mov_b32_e32 v42, v57
	v_cndmask_b32_e64 v43, 0, 1, vcc
	v_cmp_gt_u32_e32 vcc, s3, v2
	v_mov_b64_e32 v[46:47], v[44:45]
	v_mov_b64_e32 v[48:49], v[44:45]
	;; [unrolled: 1-line block ×4, first 2 shown]
                                        ; implicit-def: $sgpr48_sgpr49
                                        ; implicit-def: $vgpr3
	s_and_saveexec_b64 s[44:45], vcc
	s_cbranch_execz .LBB166_104
; %bb.95:
	ds_read2_b32 v[54:55], v1 offset0:17 offset1:18
	v_add_u32_e32 v2, 18, v73
	v_cmp_ne_u32_e32 vcc, v8, v9
	v_mov_b64_e32 v[46:47], 0
	s_mov_b64 s[50:51], 0
	v_cndmask_b32_e64 v45, 0, 1, vcc
	v_cmp_gt_u32_e32 vcc, s3, v2
	s_waitcnt lgkmcnt(0)
	v_mov_b32_e32 v44, v54
	v_mov_b64_e32 v[48:49], v[46:47]
	v_mov_b64_e32 v[50:51], v[46:47]
	;; [unrolled: 1-line block ×3, first 2 shown]
                                        ; implicit-def: $sgpr48_sgpr49
                                        ; implicit-def: $vgpr3
	s_and_saveexec_b64 s[46:47], vcc
	s_cbranch_execz .LBB166_103
; %bb.96:
	v_add_u32_e32 v2, 19, v73
	v_cmp_ne_u32_e32 vcc, v9, v6
	v_mov_b64_e32 v[48:49], 0
	v_mov_b32_e32 v46, v55
	v_cndmask_b32_e64 v47, 0, 1, vcc
	v_cmp_gt_u32_e32 vcc, s3, v2
	v_mov_b64_e32 v[50:51], v[48:49]
	v_mov_b64_e32 v[52:53], v[48:49]
                                        ; implicit-def: $sgpr60_sgpr61
                                        ; implicit-def: $vgpr3
	s_and_saveexec_b64 s[48:49], vcc
	s_cbranch_execz .LBB166_102
; %bb.97:
	ds_read2_b32 v[8:9], v1 offset0:19 offset1:20
	v_add_u32_e32 v2, 20, v73
	v_cmp_ne_u32_e32 vcc, v6, v7
	v_mov_b64_e32 v[50:51], 0
	s_mov_b64 s[60:61], 0
	v_cndmask_b32_e64 v49, 0, 1, vcc
	v_cmp_gt_u32_e32 vcc, s3, v2
	s_waitcnt lgkmcnt(0)
	v_mov_b32_e32 v48, v8
	v_mov_b64_e32 v[52:53], v[50:51]
                                        ; implicit-def: $sgpr78_sgpr79
                                        ; implicit-def: $vgpr3
	s_and_saveexec_b64 s[50:51], vcc
	s_cbranch_execz .LBB166_101
; %bb.98:
	v_add_u32_e32 v2, 21, v73
	v_cmp_ne_u32_e32 vcc, v7, v4
	v_mov_b32_e32 v50, v9
	v_mov_b64_e32 v[52:53], 0
	v_cndmask_b32_e64 v51, 0, 1, vcc
	v_cmp_gt_u32_e32 vcc, s3, v2
                                        ; implicit-def: $sgpr78_sgpr79
                                        ; implicit-def: $vgpr3
	s_and_saveexec_b64 s[4:5], vcc
	s_xor_b64 s[80:81], exec, s[4:5]
	s_cbranch_execz .LBB166_100
; %bb.99:
	ds_read2_b32 v[2:3], v1 offset0:21 offset1:22
	v_add_u32_e32 v1, 22, v73
	v_cmp_ne_u32_e64 s[4:5], v4, v5
	v_cmp_ne_u32_e32 vcc, v5, v72
	s_and_b64 s[78:79], vcc, exec
	v_cndmask_b32_e64 v53, 0, 1, s[4:5]
	v_cmp_gt_u32_e64 s[4:5], s3, v1
	s_waitcnt lgkmcnt(0)
	v_mov_b32_e32 v52, v2
	s_and_b64 s[60:61], s[4:5], exec
.LBB166_100:
	s_or_b64 exec, exec, s[80:81]
	s_and_b64 s[78:79], s[78:79], exec
	s_and_b64 s[4:5], s[60:61], exec
.LBB166_101:
	s_or_b64 exec, exec, s[50:51]
	s_and_b64 s[60:61], s[78:79], exec
	s_and_b64 s[50:51], s[4:5], exec
.LBB166_102:
	s_or_b64 exec, exec, s[48:49]
	s_and_b64 s[48:49], s[60:61], exec
	s_and_b64 s[4:5], s[50:51], exec
.LBB166_103:
	s_or_b64 exec, exec, s[46:47]
	s_and_b64 s[48:49], s[48:49], exec
	s_and_b64 s[46:47], s[4:5], exec
.LBB166_104:
	s_or_b64 exec, exec, s[44:45]
	s_and_b64 s[44:45], s[48:49], exec
	s_and_b64 s[4:5], s[46:47], exec
.LBB166_105:
	s_or_b64 exec, exec, s[42:43]
	s_and_b64 s[44:45], s[44:45], exec
	s_and_b64 s[42:43], s[4:5], exec
.LBB166_106:
	s_or_b64 exec, exec, s[40:41]
	s_and_b64 s[40:41], s[44:45], exec
	s_and_b64 s[4:5], s[42:43], exec
.LBB166_107:
	s_or_b64 exec, exec, s[38:39]
	s_and_b64 s[40:41], s[40:41], exec
	s_and_b64 s[38:39], s[4:5], exec
.LBB166_108:
	s_or_b64 exec, exec, s[36:37]
	s_and_b64 s[36:37], s[40:41], exec
	s_and_b64 s[4:5], s[38:39], exec
.LBB166_109:
	s_or_b64 exec, exec, s[34:35]
	s_and_b64 s[36:37], s[36:37], exec
	s_and_b64 s[34:35], s[4:5], exec
.LBB166_110:
	s_or_b64 exec, exec, s[30:31]
	s_and_b64 s[30:31], s[36:37], exec
	s_and_b64 s[4:5], s[34:35], exec
.LBB166_111:
	s_or_b64 exec, exec, s[28:29]
	s_and_b64 s[30:31], s[30:31], exec
	s_and_b64 s[28:29], s[4:5], exec
.LBB166_112:
	s_or_b64 exec, exec, s[26:27]
	s_and_b64 s[26:27], s[30:31], exec
	s_and_b64 s[4:5], s[28:29], exec
.LBB166_113:
	s_or_b64 exec, exec, s[24:25]
	s_and_b64 s[26:27], s[26:27], exec
	s_and_b64 s[24:25], s[4:5], exec
.LBB166_114:
	s_or_b64 exec, exec, s[22:23]
	s_and_b64 s[22:23], s[26:27], exec
	s_and_b64 s[4:5], s[24:25], exec
.LBB166_115:
	s_or_b64 exec, exec, s[20:21]
	s_and_b64 s[22:23], s[22:23], exec
	s_and_b64 s[20:21], s[4:5], exec
.LBB166_116:
	s_or_b64 exec, exec, s[18:19]
	s_and_b64 s[18:19], s[22:23], exec
	s_and_b64 s[4:5], s[20:21], exec
.LBB166_117:
	s_or_b64 exec, exec, s[16:17]
	s_and_b64 s[18:19], s[18:19], exec
	s_and_b64 s[16:17], s[4:5], exec
.LBB166_118:
	s_or_b64 exec, exec, s[14:15]
	s_and_b64 s[14:15], s[18:19], exec
	s_and_b64 s[4:5], s[16:17], exec
.LBB166_119:
	s_or_b64 exec, exec, s[12:13]
	s_and_b64 s[14:15], s[14:15], exec
	s_and_b64 s[12:13], s[4:5], exec
.LBB166_120:
	s_or_b64 exec, exec, s[10:11]
	s_and_b64 s[4:5], s[14:15], exec
	s_and_b64 s[10:11], s[12:13], exec
.LBB166_121:
	s_or_b64 exec, exec, s[8:9]
	s_mov_b64 s[8:9], 0
	s_and_b64 vcc, exec, s[6:7]
	v_lshlrev_b32_e32 v54, 2, v0
	s_cbranch_vccnz .LBB166_123
	s_branch .LBB166_131
.LBB166_122:
                                        ; implicit-def: $sgpr4_sgpr5
                                        ; implicit-def: $vgpr3
                                        ; implicit-def: $vgpr10_vgpr11
                                        ; implicit-def: $vgpr12_vgpr13
                                        ; implicit-def: $vgpr14_vgpr15
                                        ; implicit-def: $vgpr16_vgpr17
                                        ; implicit-def: $vgpr18_vgpr19
                                        ; implicit-def: $vgpr20_vgpr21
                                        ; implicit-def: $vgpr22_vgpr23
                                        ; implicit-def: $vgpr24_vgpr25
                                        ; implicit-def: $vgpr26_vgpr27
                                        ; implicit-def: $vgpr28_vgpr29
                                        ; implicit-def: $vgpr30_vgpr31
                                        ; implicit-def: $vgpr32_vgpr33
                                        ; implicit-def: $vgpr34_vgpr35
                                        ; implicit-def: $vgpr36_vgpr37
                                        ; implicit-def: $vgpr38_vgpr39
                                        ; implicit-def: $vgpr40_vgpr41
                                        ; implicit-def: $vgpr42_vgpr43
                                        ; implicit-def: $vgpr44_vgpr45
                                        ; implicit-def: $vgpr46_vgpr47
                                        ; implicit-def: $vgpr48_vgpr49
                                        ; implicit-def: $vgpr50_vgpr51
                                        ; implicit-def: $vgpr52_vgpr53
                                        ; implicit-def: $sgpr8_sgpr9
	s_and_b64 vcc, exec, s[6:7]
	v_lshlrev_b32_e32 v54, 2, v0
	s_cbranch_vccz .LBB166_131
.LBB166_123:
	v_mov_b32_e32 v55, 0
	v_lshl_add_u64 v[2:3], s[54:55], 0, v[54:55]
	v_add_co_u32_e32 v4, vcc, 0x1000, v2
	s_movk_i32 s3, 0x58
	s_nop 0
	v_addc_co_u32_e32 v5, vcc, 0, v3, vcc
	flat_load_dword v8, v[2:3]
	flat_load_dword v9, v[2:3] offset:1024
	s_waitcnt lgkmcnt(0)
	flat_load_dword v10, v[2:3] offset:2048
	flat_load_dword v11, v[2:3] offset:3072
	flat_load_dword v12, v[4:5]
	flat_load_dword v13, v[4:5] offset:1024
	flat_load_dword v14, v[4:5] offset:2048
	;; [unrolled: 1-line block ×3, first 2 shown]
	v_add_co_u32_e32 v4, vcc, 0x2000, v2
	v_mad_u32_u24 v1, v0, s3, v54
	s_nop 0
	v_addc_co_u32_e32 v5, vcc, 0, v3, vcc
	v_add_co_u32_e32 v6, vcc, 0x3000, v2
	s_cmp_eq_u64 s[76:77], 0
	s_nop 0
	v_addc_co_u32_e32 v7, vcc, 0, v3, vcc
	flat_load_dword v16, v[4:5]
	flat_load_dword v17, v[4:5] offset:1024
	flat_load_dword v18, v[4:5] offset:2048
	;; [unrolled: 1-line block ×3, first 2 shown]
	flat_load_dword v20, v[6:7]
	flat_load_dword v21, v[6:7] offset:1024
	flat_load_dword v22, v[6:7] offset:2048
	;; [unrolled: 1-line block ×3, first 2 shown]
	v_add_co_u32_e32 v4, vcc, 0x4000, v2
	s_nop 1
	v_addc_co_u32_e32 v5, vcc, 0, v3, vcc
	v_add_co_u32_e32 v2, vcc, 0x5000, v2
	s_nop 1
	v_addc_co_u32_e32 v3, vcc, 0, v3, vcc
	flat_load_dword v6, v[4:5]
	flat_load_dword v7, v[4:5] offset:1024
	flat_load_dword v24, v[4:5] offset:2048
	;; [unrolled: 1-line block ×3, first 2 shown]
	flat_load_dword v26, v[2:3]
	flat_load_dword v27, v[2:3] offset:1024
	flat_load_dword v28, v[2:3] offset:2048
	s_waitcnt vmcnt(0)
	ds_write2st64_b32 v54, v8, v9 offset1:4
	s_waitcnt lgkmcnt(0)
	ds_write2st64_b32 v54, v10, v11 offset0:8 offset1:12
	ds_write2st64_b32 v54, v12, v13 offset0:16 offset1:20
	ds_write2st64_b32 v54, v14, v15 offset0:24 offset1:28
	ds_write2st64_b32 v54, v16, v17 offset0:32 offset1:36
	ds_write2st64_b32 v54, v18, v19 offset0:40 offset1:44
	ds_write2st64_b32 v54, v20, v21 offset0:48 offset1:52
	ds_write2st64_b32 v54, v22, v23 offset0:56 offset1:60
	ds_write2st64_b32 v54, v6, v7 offset0:64 offset1:68
	ds_write2st64_b32 v54, v24, v25 offset0:72 offset1:76
	ds_write2st64_b32 v54, v26, v27 offset0:80 offset1:84
	ds_write_b32 v54, v28 offset:22528
	s_waitcnt lgkmcnt(0)
	s_barrier
	ds_read2_b32 v[2:3], v1 offset1:1
	ds_read2_b32 v[18:19], v1 offset0:2 offset1:3
	ds_read2_b32 v[22:23], v1 offset0:4 offset1:5
	;; [unrolled: 1-line block ×10, first 2 shown]
	ds_read_b32 v10, v1 offset:88
	s_cbranch_scc1 .LBB166_128
; %bb.124:
	s_andn2_b64 vcc, exec, s[64:65]
	s_cbranch_vccnz .LBB166_294
; %bb.125:
	s_lshl_b64 s[4:5], s[76:77], 2
	s_add_u32 s3, s66, s4
	s_addc_u32 s5, s67, s5
	s_add_u32 s4, s3, -4
	s_addc_u32 s5, s5, -1
	s_cbranch_execnz .LBB166_127
.LBB166_126:
	s_add_u32 s4, s54, -4
	s_addc_u32 s5, s55, -1
.LBB166_127:
	s_mov_b64 s[54:55], s[4:5]
.LBB166_128:
	v_mov_b64_e32 v[12:13], s[54:55]
	flat_load_dword v11, v[12:13]
	s_movk_i32 s3, 0xffa8
	v_mad_i32_i24 v12, v0, s3, v1
	v_cmp_ne_u32_e32 vcc, 0, v0
	s_waitcnt lgkmcnt(0)
	ds_write_b32 v12, v10 offset:23552
	s_waitcnt lgkmcnt(0)
	s_barrier
	s_and_saveexec_b64 s[4:5], vcc
	s_cbranch_execz .LBB166_130
; %bb.129:
	s_waitcnt vmcnt(0)
	v_mul_i32_i24_e32 v11, 0xffffffa8, v0
	v_add_u32_e32 v11, v1, v11
	ds_read_b32 v11, v11 offset:23548
.LBB166_130:
	s_or_b64 exec, exec, s[4:5]
	v_mov_b32_e32 v55, 0
	v_lshl_add_u64 v[12:13], s[52:53], 0, v[54:55]
	s_movk_i32 s3, 0x1000
	v_add_co_u32_e32 v14, vcc, s3, v12
	s_movk_i32 s3, 0x2000
	s_nop 0
	v_addc_co_u32_e32 v15, vcc, 0, v13, vcc
	s_waitcnt lgkmcnt(0)
	s_barrier
	flat_load_dword v20, v[12:13]
	flat_load_dword v21, v[12:13] offset:1024
	flat_load_dword v24, v[12:13] offset:2048
	;; [unrolled: 1-line block ×3, first 2 shown]
	flat_load_dword v28, v[14:15]
	flat_load_dword v29, v[14:15] offset:1024
	flat_load_dword v32, v[14:15] offset:2048
	;; [unrolled: 1-line block ×3, first 2 shown]
	v_add_co_u32_e32 v14, vcc, s3, v12
	s_movk_i32 s3, 0x3000
	s_nop 0
	v_addc_co_u32_e32 v15, vcc, 0, v13, vcc
	v_add_co_u32_e32 v16, vcc, s3, v12
	s_movk_i32 s3, 0x4000
	s_nop 0
	v_addc_co_u32_e32 v17, vcc, 0, v13, vcc
	flat_load_dword v36, v[14:15]
	flat_load_dword v37, v[14:15] offset:1024
	flat_load_dword v40, v[14:15] offset:2048
	;; [unrolled: 1-line block ×3, first 2 shown]
	flat_load_dword v44, v[16:17]
	flat_load_dword v45, v[16:17] offset:1024
	flat_load_dword v46, v[16:17] offset:2048
	;; [unrolled: 1-line block ×3, first 2 shown]
	v_add_co_u32_e32 v14, vcc, s3, v12
	s_movk_i32 s3, 0x5000
	s_nop 0
	v_addc_co_u32_e32 v15, vcc, 0, v13, vcc
	v_add_co_u32_e32 v12, vcc, s3, v12
	v_cmp_ne_u32_e64 s[4:5], v5, v10
	s_nop 0
	v_addc_co_u32_e32 v13, vcc, 0, v13, vcc
	flat_load_dword v16, v[14:15]
	flat_load_dword v17, v[14:15] offset:1024
	flat_load_dword v48, v[14:15] offset:2048
	;; [unrolled: 1-line block ×3, first 2 shown]
	flat_load_dword v50, v[12:13]
	flat_load_dword v51, v[12:13] offset:1024
	flat_load_dword v52, v[12:13] offset:2048
	s_waitcnt vmcnt(0)
	v_cmp_ne_u32_e32 vcc, v11, v2
	s_mov_b64 s[10:11], -1
                                        ; implicit-def: $sgpr8_sgpr9
	s_waitcnt lgkmcnt(0)
	ds_write2st64_b32 v54, v20, v21 offset1:4
	ds_write2st64_b32 v54, v24, v25 offset0:8 offset1:12
	ds_write2st64_b32 v54, v28, v29 offset0:16 offset1:20
	;; [unrolled: 1-line block ×10, first 2 shown]
	ds_write_b32 v54, v52 offset:22528
	v_cndmask_b32_e64 v11, 0, 1, vcc
	v_cmp_ne_u32_e32 vcc, v2, v3
	s_waitcnt lgkmcnt(0)
	s_barrier
	v_cndmask_b32_e64 v13, 0, 1, vcc
	v_cmp_ne_u32_e32 vcc, v3, v18
	ds_read2_b32 v[16:17], v1 offset1:1
	ds_read2_b32 v[20:21], v1 offset0:2 offset1:3
	ds_read2_b32 v[24:25], v1 offset0:4 offset1:5
	;; [unrolled: 1-line block ×10, first 2 shown]
	ds_read_b32 v3, v1 offset:88
	v_cndmask_b32_e64 v15, 0, 1, vcc
	v_cmp_ne_u32_e32 vcc, v18, v19
	s_waitcnt lgkmcnt(11)
	v_mov_b32_e32 v12, v17
	v_mov_b32_e32 v10, v16
	v_cndmask_b32_e64 v17, 0, 1, vcc
	v_cmp_ne_u32_e32 vcc, v19, v22
	s_waitcnt lgkmcnt(10)
	v_mov_b32_e32 v16, v21
	v_mov_b32_e32 v14, v20
	;; [unrolled: 5-line block ×5, first 2 shown]
	v_cndmask_b32_e64 v25, 0, 1, vcc
	v_cmp_ne_u32_e32 vcc, v27, v30
	s_waitcnt lgkmcnt(6)
	v_mov_b32_e32 v32, v37
	s_waitcnt lgkmcnt(2)
	v_mov_b32_e32 v48, v51
	v_cndmask_b32_e64 v27, 0, 1, vcc
	v_cmp_ne_u32_e32 vcc, v30, v31
	v_mov_b32_e32 v30, v36
	v_mov_b32_e32 v36, v41
	v_cndmask_b32_e64 v29, 0, 1, vcc
	v_cmp_ne_u32_e32 vcc, v31, v34
	s_waitcnt lgkmcnt(1)
	v_mov_b32_e32 v52, v57
	v_cndmask_b32_e64 v31, 0, 1, vcc
	v_cmp_ne_u32_e32 vcc, v34, v35
	v_mov_b32_e32 v34, v40
	v_mov_b32_e32 v40, v45
	v_cndmask_b32_e64 v33, 0, 1, vcc
	v_cmp_ne_u32_e32 vcc, v35, v38
	s_nop 1
	v_cndmask_b32_e64 v35, 0, 1, vcc
	v_cmp_ne_u32_e32 vcc, v38, v39
	v_mov_b32_e32 v38, v44
	v_mov_b32_e32 v44, v47
	v_cndmask_b32_e64 v37, 0, 1, vcc
	v_cmp_ne_u32_e32 vcc, v39, v42
	s_nop 1
	v_cndmask_b32_e64 v39, 0, 1, vcc
	v_cmp_ne_u32_e32 vcc, v42, v43
	v_mov_b32_e32 v42, v46
	v_mov_b32_e32 v46, v50
	v_cndmask_b32_e64 v41, 0, 1, vcc
	v_cmp_ne_u32_e32 vcc, v43, v8
	v_mov_b32_e32 v50, v56
	s_nop 0
	v_cndmask_b32_e64 v43, 0, 1, vcc
	v_cmp_ne_u32_e32 vcc, v8, v9
	s_nop 1
	v_cndmask_b32_e64 v45, 0, 1, vcc
	v_cmp_ne_u32_e32 vcc, v9, v6
	;; [unrolled: 3-line block ×5, first 2 shown]
	s_nop 1
	v_cndmask_b32_e64 v53, 0, 1, vcc
.LBB166_131:
	v_mov_b64_e32 v[56:57], s[8:9]
	s_and_saveexec_b64 s[6:7], s[10:11]
	s_cbranch_execz .LBB166_133
; %bb.132:
	v_cndmask_b32_e64 v57, 0, 1, s[4:5]
	s_waitcnt lgkmcnt(0)
	v_mov_b32_e32 v56, v3
.LBB166_133:
	s_or_b64 exec, exec, s[6:7]
	s_mov_b32 s46, 0
	s_cmp_lg_u32 s2, 0
	v_or_b32_e32 v55, v57, v53
	v_lshrrev_b32_e32 v1, 5, v0
	v_cmp_gt_u32_e32 vcc, 64, v0
	s_waitcnt lgkmcnt(0)
	s_barrier
	s_cbranch_scc0 .LBB166_196
; %bb.134:
	s_mov_b32 s47, 1
	v_cmp_gt_u64_e64 s[54:55], s[46:47], v[12:13]
	v_cmp_gt_u64_e64 s[4:5], s[46:47], v[14:15]
	v_cmp_gt_u64_e64 s[6:7], s[46:47], v[16:17]
	v_cndmask_b32_e64 v2, 1, v10, s[54:55]
	v_mul_lo_u32 v2, v2, v12
	v_cndmask_b32_e64 v2, 1, v2, s[4:5]
	v_mul_lo_u32 v2, v2, v14
	v_cndmask_b32_e64 v2, 1, v2, s[6:7]
	v_mul_lo_u32 v2, v2, v16
	v_cmp_gt_u64_e64 s[8:9], s[46:47], v[18:19]
	v_cmp_gt_u64_e64 s[10:11], s[46:47], v[20:21]
	v_cmp_gt_u64_e64 s[12:13], s[46:47], v[22:23]
	v_cndmask_b32_e64 v2, 1, v2, s[8:9]
	v_mul_lo_u32 v2, v2, v18
	v_cndmask_b32_e64 v2, 1, v2, s[10:11]
	v_mul_lo_u32 v2, v2, v20
	v_cndmask_b32_e64 v2, 1, v2, s[12:13]
	v_mul_lo_u32 v2, v2, v22
	v_cmp_gt_u64_e64 s[14:15], s[46:47], v[24:25]
	v_cmp_gt_u64_e64 s[16:17], s[46:47], v[26:27]
	v_cmp_gt_u64_e64 s[18:19], s[46:47], v[28:29]
	v_cndmask_b32_e64 v2, 1, v2, s[14:15]
	v_mul_lo_u32 v2, v2, v24
	v_cndmask_b32_e64 v2, 1, v2, s[16:17]
	v_mul_lo_u32 v2, v2, v26
	v_cndmask_b32_e64 v2, 1, v2, s[18:19]
	v_mul_lo_u32 v2, v2, v28
	v_cmp_gt_u64_e64 s[20:21], s[46:47], v[30:31]
	v_cmp_gt_u64_e64 s[22:23], s[46:47], v[32:33]
	v_cmp_gt_u64_e64 s[24:25], s[46:47], v[34:35]
	v_cndmask_b32_e64 v2, 1, v2, s[20:21]
	v_mul_lo_u32 v2, v2, v30
	v_cndmask_b32_e64 v2, 1, v2, s[22:23]
	v_mul_lo_u32 v2, v2, v32
	v_cndmask_b32_e64 v2, 1, v2, s[24:25]
	v_mul_lo_u32 v2, v2, v34
	v_cmp_gt_u64_e64 s[26:27], s[46:47], v[36:37]
	v_cmp_gt_u64_e64 s[28:29], s[46:47], v[38:39]
	v_cmp_gt_u64_e64 s[30:31], s[46:47], v[40:41]
	v_cndmask_b32_e64 v2, 1, v2, s[26:27]
	v_mul_lo_u32 v2, v2, v36
	v_cndmask_b32_e64 v2, 1, v2, s[28:29]
	v_mul_lo_u32 v2, v2, v38
	v_cndmask_b32_e64 v2, 1, v2, s[30:31]
	v_mul_lo_u32 v2, v2, v40
	v_cmp_gt_u64_e64 s[34:35], s[46:47], v[42:43]
	v_cmp_gt_u64_e64 s[36:37], s[46:47], v[44:45]
	v_cmp_gt_u64_e64 s[38:39], s[46:47], v[46:47]
	v_cndmask_b32_e64 v2, 1, v2, s[34:35]
	v_mul_lo_u32 v2, v2, v42
	v_cndmask_b32_e64 v2, 1, v2, s[36:37]
	v_mul_lo_u32 v2, v2, v44
	v_cndmask_b32_e64 v2, 1, v2, s[38:39]
	v_mul_lo_u32 v2, v2, v46
	v_cmp_gt_u64_e64 s[40:41], s[46:47], v[48:49]
	v_cmp_gt_u64_e64 s[42:43], s[46:47], v[50:51]
	v_cmp_gt_u64_e64 s[44:45], s[46:47], v[52:53]
	v_cndmask_b32_e64 v2, 1, v2, s[40:41]
	v_mul_lo_u32 v2, v2, v48
	v_cndmask_b32_e64 v2, 1, v2, s[42:43]
	v_mul_lo_u32 v2, v2, v50
	v_cndmask_b32_e64 v2, 1, v2, s[44:45]
	v_mul_lo_u32 v2, v2, v52
	v_cmp_gt_u64_e64 s[46:47], s[46:47], v[56:57]
	v_mov_b32_e32 v6, 0
	s_nop 0
	v_cndmask_b32_e64 v2, 1, v2, s[46:47]
	v_mul_lo_u32 v59, v2, v56
	v_or3_b32 v2, v55, v51, v49
	v_or3_b32 v2, v2, v47, v45
	;; [unrolled: 1-line block ×10, first 2 shown]
	v_and_b32_e32 v2, 1, v2
	v_cmp_eq_u32_e64 s[48:49], 1, v2
	v_add_lshl_u32 v2, v1, v0, 3
	s_nop 0
	v_cndmask_b32_e64 v64, v11, 1, s[48:49]
	ds_write_b32 v2, v59
	ds_write_b8 v2, v64 offset:4
	s_waitcnt lgkmcnt(0)
	s_barrier
	s_and_saveexec_b64 s[50:51], vcc
	s_cbranch_execz .LBB166_148
; %bb.135:
	v_lshrrev_b32_e32 v2, 3, v0
	v_add_lshl_u32 v4, v2, v54, 3
	ds_read2_b32 v[8:9], v4 offset0:2 offset1:4
	ds_read_b64 v[2:3], v4
	ds_read_u8 v7, v4 offset:12
	ds_read_u8 v58, v4 offset:20
	ds_read_b32 v60, v4 offset:24
	ds_read_u8 v61, v4 offset:28
	s_waitcnt lgkmcnt(4)
	v_and_b32_e32 v5, 1, v3
	s_waitcnt lgkmcnt(3)
	v_cmp_eq_u16_sdwa s[48:49], v7, v6 src0_sel:BYTE_0 src1_sel:DWORD
	s_nop 1
	v_cndmask_b32_e64 v62, 1, v2, s[48:49]
	v_mul_lo_u32 v8, v62, v8
	s_waitcnt lgkmcnt(2)
	v_cmp_eq_u16_sdwa s[48:49], v58, v6 src0_sel:BYTE_0 src1_sel:DWORD
	s_nop 1
	v_cndmask_b32_e64 v6, 1, v8, s[48:49]
	s_waitcnt lgkmcnt(0)
	v_or_b32_e32 v8, v61, v58
	v_or_b32_e32 v7, v8, v7
	v_mul_lo_u32 v6, v6, v9
	v_cmp_eq_u16_e64 s[48:49], 0, v61
	v_and_b32_e32 v7, 1, v7
	v_mbcnt_lo_u32_b32 v8, -1, 0
	v_cndmask_b32_e64 v6, 1, v6, s[48:49]
	v_cmp_eq_u32_e64 s[48:49], 1, v7
	v_and_b32_e32 v7, 0xffffff00, v3
	v_mbcnt_hi_u32_b32 v8, -1, v8
	v_cndmask_b32_e64 v9, v5, 1, s[48:49]
	v_mul_lo_u32 v6, v6, v60
	v_and_b32_e32 v60, 15, v8
	v_or_b32_sdwa v58, v7, v9 dst_sel:DWORD dst_unused:UNUSED_PAD src0_sel:DWORD src1_sel:WORD_0
	v_mov_b32_dpp v62, v6 row_shr:1 row_mask:0xf bank_mask:0xf
	v_cmp_ne_u32_e64 s[48:49], 0, v60
	v_mov_b32_dpp v61, v58 row_shr:1 row_mask:0xf bank_mask:0xf
	s_and_saveexec_b64 s[52:53], s[48:49]
; %bb.136:
	v_cmp_eq_u16_e64 s[48:49], 0, v9
	v_and_b32_e32 v9, 1, v9
	s_nop 0
	v_cndmask_b32_e64 v58, 1, v62, s[48:49]
	v_mul_lo_u32 v6, v58, v6
	v_and_b32_e32 v58, 1, v61
	v_cmp_eq_u32_e64 s[48:49], 1, v9
	s_nop 1
	v_cndmask_b32_e64 v9, v58, 1, s[48:49]
	v_or_b32_sdwa v58, v7, v9 dst_sel:DWORD dst_unused:UNUSED_PAD src0_sel:DWORD src1_sel:WORD_0
; %bb.137:
	s_or_b64 exec, exec, s[52:53]
	v_mov_b32_dpp v62, v6 row_shr:2 row_mask:0xf bank_mask:0xf
	v_mov_b32_dpp v61, v58 row_shr:2 row_mask:0xf bank_mask:0xf
	v_cmp_lt_u32_e64 s[48:49], 1, v60
	s_and_saveexec_b64 s[52:53], s[48:49]
; %bb.138:
	v_cmp_eq_u16_e64 s[48:49], 0, v9
	v_and_b32_e32 v9, 1, v9
	s_nop 0
	v_cndmask_b32_e64 v58, 1, v62, s[48:49]
	v_mul_lo_u32 v6, v58, v6
	v_and_b32_e32 v58, 1, v61
	v_cmp_eq_u32_e64 s[48:49], 1, v9
	s_nop 1
	v_cndmask_b32_e64 v9, v58, 1, s[48:49]
	v_or_b32_sdwa v58, v7, v9 dst_sel:DWORD dst_unused:UNUSED_PAD src0_sel:DWORD src1_sel:WORD_0
; %bb.139:
	s_or_b64 exec, exec, s[52:53]
	v_mov_b32_dpp v62, v6 row_shr:4 row_mask:0xf bank_mask:0xf
	v_mov_b32_dpp v61, v58 row_shr:4 row_mask:0xf bank_mask:0xf
	v_cmp_lt_u32_e64 s[48:49], 3, v60
	;; [unrolled: 17-line block ×3, first 2 shown]
	s_and_saveexec_b64 s[52:53], s[48:49]
; %bb.142:
	v_cmp_eq_u16_e64 s[48:49], 0, v9
	v_and_b32_e32 v9, 1, v9
	s_nop 0
	v_cndmask_b32_e64 v58, 1, v62, s[48:49]
	v_mul_lo_u32 v6, v58, v6
	v_and_b32_e32 v58, 1, v61
	v_cmp_eq_u32_e64 s[48:49], 1, v9
	s_nop 1
	v_cndmask_b32_e64 v9, v58, 1, s[48:49]
	v_or_b32_sdwa v58, v7, v9 dst_sel:DWORD dst_unused:UNUSED_PAD src0_sel:DWORD src1_sel:WORD_0
; %bb.143:
	s_or_b64 exec, exec, s[52:53]
	v_and_b32_e32 v62, 16, v8
	v_mov_b32_dpp v61, v6 row_bcast:15 row_mask:0xf bank_mask:0xf
	v_mov_b32_dpp v60, v58 row_bcast:15 row_mask:0xf bank_mask:0xf
	v_cmp_ne_u32_e64 s[48:49], 0, v62
	s_and_saveexec_b64 s[52:53], s[48:49]
; %bb.144:
	v_cmp_eq_u16_e64 s[48:49], 0, v9
	v_and_b32_e32 v9, 1, v9
	s_nop 0
	v_cndmask_b32_e64 v58, 1, v61, s[48:49]
	v_mul_lo_u32 v6, v58, v6
	v_and_b32_e32 v58, 1, v60
	v_cmp_eq_u32_e64 s[48:49], 1, v9
	s_nop 1
	v_cndmask_b32_e64 v9, v58, 1, s[48:49]
	v_or_b32_sdwa v58, v7, v9 dst_sel:DWORD dst_unused:UNUSED_PAD src0_sel:DWORD src1_sel:WORD_0
; %bb.145:
	s_or_b64 exec, exec, s[52:53]
	v_mov_b32_dpp v60, v6 row_bcast:31 row_mask:0xf bank_mask:0xf
	v_mov_b32_dpp v58, v58 row_bcast:31 row_mask:0xf bank_mask:0xf
	v_cmp_lt_u32_e64 s[48:49], 31, v8
	s_and_saveexec_b64 s[52:53], s[48:49]
; %bb.146:
	v_cmp_eq_u16_e64 s[48:49], 0, v9
	v_and_b32_e32 v9, 1, v9
	v_and_b32_e32 v58, 1, v58
	v_cndmask_b32_e64 v60, 1, v60, s[48:49]
	v_cmp_eq_u32_e64 s[48:49], 1, v9
	v_mul_lo_u32 v6, v60, v6
	s_nop 0
	v_cndmask_b32_e64 v9, v58, 1, s[48:49]
; %bb.147:
	s_or_b64 exec, exec, s[52:53]
	v_add_u32_e32 v58, -1, v8
	v_and_b32_e32 v60, 64, v8
	v_cmp_lt_i32_e64 s[48:49], v58, v60
	v_or_b32_sdwa v7, v7, v9 dst_sel:DWORD dst_unused:UNUSED_PAD src0_sel:DWORD src1_sel:WORD_0
	s_nop 0
	v_cndmask_b32_e64 v8, v58, v8, s[48:49]
	v_lshlrev_b32_e32 v8, 2, v8
	ds_bpermute_b32 v6, v8, v6
	ds_bpermute_b32 v7, v8, v7
	v_mov_b32_e32 v8, 0
	v_cmp_eq_u16_sdwa s[48:49], v3, v8 src0_sel:BYTE_0 src1_sel:DWORD
	; wave barrier
	s_waitcnt lgkmcnt(1)
	s_nop 0
	v_cndmask_b32_e64 v3, 1, v6, s[48:49]
	v_mul_lo_u32 v2, v3, v2
	s_waitcnt lgkmcnt(0)
	v_and_b32_e32 v3, 1, v7
	v_cmp_eq_u32_e64 s[48:49], 1, v5
	s_nop 1
	v_cndmask_b32_e64 v3, v3, 1, s[48:49]
	v_cmp_eq_u32_e64 s[48:49], 0, v0
	s_nop 1
	v_cndmask_b32_e64 v5, v2, v59, s[48:49]
	v_cndmask_b32_e64 v6, v3, v64, s[48:49]
	ds_write_b32 v4, v5
	ds_write_b8 v4, v6 offset:4
	; wave barrier
	ds_read_u8 v7, v4 offset:12
	ds_read2_b32 v[2:3], v4 offset0:2 offset1:4
	ds_read_u8 v8, v4 offset:20
	ds_read_b32 v9, v4 offset:24
	ds_read_u8 v58, v4 offset:28
	s_waitcnt lgkmcnt(4)
	v_cmp_eq_u16_e64 s[48:49], 0, v7
	s_nop 1
	v_cndmask_b32_e64 v5, 1, v5, s[48:49]
	s_waitcnt lgkmcnt(3)
	v_mul_lo_u32 v2, v5, v2
	v_and_b32_e32 v5, 1, v7
	v_cmp_eq_u32_e64 s[48:49], 1, v5
	s_nop 1
	v_cndmask_b32_e64 v5, v6, 1, s[48:49]
	s_waitcnt lgkmcnt(2)
	v_cmp_eq_u16_e64 s[48:49], 0, v8
	ds_write_b8 v4, v5 offset:12
	s_nop 0
	v_cndmask_b32_e64 v6, 1, v2, s[48:49]
	v_mul_lo_u32 v3, v6, v3
	v_and_b32_e32 v6, 1, v8
	v_cmp_eq_u32_e64 s[48:49], 1, v6
	s_nop 1
	v_cndmask_b32_e64 v5, v5, 1, s[48:49]
	s_waitcnt lgkmcnt(1)
	v_cmp_eq_u16_e64 s[48:49], 0, v58
	ds_write2_b32 v4, v2, v3 offset0:2 offset1:4
	ds_write_b8 v4, v5 offset:20
	v_cndmask_b32_e64 v2, 1, v3, s[48:49]
	v_and_b32_e32 v3, 1, v58
	v_mul_lo_u32 v2, v2, v9
	v_cmp_eq_u32_e64 s[48:49], 1, v3
	s_nop 1
	v_cndmask_b32_e64 v3, v5, 1, s[48:49]
	ds_write_b32 v4, v2 offset:24
	ds_write_b8 v4, v3 offset:28
.LBB166_148:
	s_or_b64 exec, exec, s[50:51]
	v_mov_b32_e32 v58, v11
	v_cmp_eq_u32_e64 s[50:51], 0, v0
	v_cmp_ne_u32_e64 s[48:49], 0, v0
	s_waitcnt lgkmcnt(0)
	s_barrier
	s_and_saveexec_b64 s[52:53], s[48:49]
	s_cbranch_execz .LBB166_150
; %bb.149:
	v_add_u32_e32 v2, -1, v0
	v_lshrrev_b32_e32 v3, 5, v2
	v_add_lshl_u32 v2, v3, v2, 3
	ds_read_b32 v59, v2
	ds_read_u8 v64, v2 offset:4
.LBB166_150:
	s_or_b64 exec, exec, s[52:53]
	s_and_saveexec_b64 s[60:61], vcc
	s_cbranch_execz .LBB166_193
; %bb.151:
	v_mov_b32_e32 v5, 0
	ds_read_b64 v[2:3], v5 offset:2096
	v_mbcnt_lo_u32_b32 v4, -1, 0
	v_mbcnt_hi_u32_b32 v61, -1, v4
	s_mov_b32 s67, 0
	v_cmp_eq_u32_e64 s[52:53], 0, v61
	s_waitcnt lgkmcnt(0)
	v_readfirstlane_b32 s3, v3
	s_and_saveexec_b64 s[64:65], s[52:53]
	s_cbranch_execz .LBB166_153
; %bb.152:
	s_add_i32 s66, s2, 64
	s_lshl_b64 s[76:77], s[66:67], 4
	s_add_u32 s76, s68, s76
	s_addc_u32 s77, s69, s77
	s_and_b32 s79, s3, 0xff000000
	s_mov_b32 s78, s67
	s_and_b32 s81, s3, 0xff0000
	s_mov_b32 s80, s67
	s_or_b64 s[78:79], s[80:81], s[78:79]
	s_and_b32 s81, s3, 0xff00
	s_or_b64 s[78:79], s[78:79], s[80:81]
	s_and_b32 s81, s3, 0xff
	s_or_b64 s[66:67], s[78:79], s[80:81]
	v_mov_b32_e32 v3, s67
	v_mov_b32_e32 v4, 1
	v_mov_b64_e32 v[6:7], s[76:77]
	;;#ASMSTART
	global_store_dwordx4 v[6:7], v[2:5] off sc1	
s_waitcnt vmcnt(0)
	;;#ASMEND
.LBB166_153:
	s_or_b64 exec, exec, s[64:65]
	v_xad_u32 v60, v61, -1, s2
	v_add_u32_e32 v4, 64, v60
	v_lshl_add_u64 v[62:63], v[4:5], 4, s[68:69]
	;;#ASMSTART
	global_load_dwordx4 v[6:9], v[62:63] off sc1	
s_waitcnt vmcnt(0)
	;;#ASMEND
	s_nop 0
	v_and_b32_e32 v3, 0xff0000, v6
	v_and_b32_e32 v4, 0xff000000, v6
	;; [unrolled: 1-line block ×3, first 2 shown]
	v_or_b32_sdwa v3, v6, v3 dst_sel:DWORD dst_unused:UNUSED_PAD src0_sel:WORD_0 src1_sel:DWORD
	v_or3_b32 v7, 0, 0, v7
	v_or3_b32 v6, v3, v4, 0
	v_cmp_eq_u16_sdwa s[66:67], v8, v5 src0_sel:BYTE_0 src1_sel:DWORD
	s_and_saveexec_b64 s[64:65], s[66:67]
	s_cbranch_execz .LBB166_157
; %bb.154:
	s_mov_b64 s[66:67], 0
	v_mov_b32_e32 v3, 0
.LBB166_155:                            ; =>This Inner Loop Header: Depth=1
	;;#ASMSTART
	global_load_dwordx4 v[6:9], v[62:63] off sc1	
s_waitcnt vmcnt(0)
	;;#ASMEND
	s_nop 0
	v_cmp_ne_u16_sdwa s[76:77], v8, v3 src0_sel:BYTE_0 src1_sel:DWORD
	s_or_b64 s[66:67], s[76:77], s[66:67]
	s_andn2_b64 exec, exec, s[66:67]
	s_cbranch_execnz .LBB166_155
; %bb.156:
	s_or_b64 exec, exec, s[66:67]
	v_and_b32_e32 v7, 0xff, v7
.LBB166_157:
	s_or_b64 exec, exec, s[64:65]
	v_mov_b32_e32 v3, 2
	v_cmp_eq_u16_sdwa s[64:65], v8, v3 src0_sel:BYTE_0 src1_sel:DWORD
	v_lshlrev_b64 v[4:5], v61, -1
	s_mov_b32 s66, 0
	v_and_b32_e32 v3, s65, v5
	v_or_b32_e32 v3, 0x80000000, v3
	v_ffbl_b32_e32 v3, v3
	v_add_u32_e32 v62, 32, v3
	v_and_b32_e32 v3, 63, v61
	v_cmp_ne_u32_e32 vcc, 63, v3
	v_and_b32_e32 v9, s64, v4
	v_ffbl_b32_e32 v9, v9
	v_addc_co_u32_e32 v63, vcc, 0, v61, vcc
	v_lshlrev_b32_e32 v65, 2, v63
	ds_bpermute_b32 v66, v65, v6
	ds_bpermute_b32 v63, v65, v7
	v_min_u32_e32 v9, v9, v62
	v_cmp_lt_u32_e32 vcc, v3, v9
	v_mov_b32_e32 v62, v7
	s_and_saveexec_b64 s[64:65], vcc
	s_cbranch_execz .LBB166_159
; %bb.158:
	s_mov_b32 s67, 1
	v_cmp_gt_u64_e32 vcc, s[66:67], v[6:7]
	v_and_b32_e32 v7, 1, v7
	s_waitcnt lgkmcnt(1)
	v_cndmask_b32_e32 v62, 1, v66, vcc
	v_mul_lo_u32 v6, v62, v6
	s_waitcnt lgkmcnt(0)
	v_and_b32_e32 v62, 1, v63
	v_cmp_eq_u32_e32 vcc, 1, v7
	s_nop 1
	v_cndmask_b32_e64 v7, v62, 1, vcc
	v_and_b32_e32 v62, 0xffff, v7
.LBB166_159:
	s_or_b64 exec, exec, s[64:65]
	v_cmp_gt_u32_e32 vcc, 62, v3
	v_add_u32_e32 v67, 2, v3
	s_waitcnt lgkmcnt(0)
	v_cndmask_b32_e64 v63, 0, 1, vcc
	v_lshlrev_b32_e32 v63, 1, v63
	v_add_lshl_u32 v66, v63, v61, 2
	ds_bpermute_b32 v68, v66, v6
	ds_bpermute_b32 v63, v66, v62
	v_cmp_le_u32_e32 vcc, v67, v9
	s_and_saveexec_b64 s[64:65], vcc
	s_cbranch_execz .LBB166_161
; %bb.160:
	v_cmp_eq_u16_e32 vcc, 0, v7
	v_and_b32_e32 v7, 1, v7
	s_waitcnt lgkmcnt(1)
	v_cndmask_b32_e32 v62, 1, v68, vcc
	v_mul_lo_u32 v6, v62, v6
	s_waitcnt lgkmcnt(0)
	v_and_b32_e32 v62, 1, v63
	v_cmp_eq_u32_e32 vcc, 1, v7
	s_nop 1
	v_cndmask_b32_e64 v7, v62, 1, vcc
	v_and_b32_e32 v62, 0xffff, v7
.LBB166_161:
	s_or_b64 exec, exec, s[64:65]
	v_cmp_gt_u32_e32 vcc, 60, v3
	v_add_u32_e32 v69, 4, v3
	s_waitcnt lgkmcnt(0)
	v_cndmask_b32_e64 v63, 0, 1, vcc
	v_lshlrev_b32_e32 v63, 2, v63
	v_add_lshl_u32 v68, v63, v61, 2
	ds_bpermute_b32 v70, v68, v6
	ds_bpermute_b32 v63, v68, v62
	v_cmp_le_u32_e32 vcc, v69, v9
	s_and_saveexec_b64 s[64:65], vcc
	s_cbranch_execz .LBB166_163
; %bb.162:
	v_cmp_eq_u16_e32 vcc, 0, v7
	v_and_b32_e32 v7, 1, v7
	s_waitcnt lgkmcnt(1)
	v_cndmask_b32_e32 v62, 1, v70, vcc
	v_mul_lo_u32 v6, v62, v6
	s_waitcnt lgkmcnt(0)
	v_and_b32_e32 v62, 1, v63
	v_cmp_eq_u32_e32 vcc, 1, v7
	s_nop 1
	v_cndmask_b32_e64 v7, v62, 1, vcc
	v_and_b32_e32 v62, 0xffff, v7
.LBB166_163:
	;; [unrolled: 25-line block ×4, first 2 shown]
	s_or_b64 exec, exec, s[64:65]
	v_cmp_gt_u32_e32 vcc, 32, v3
	v_add_u32_e32 v76, 32, v3
	s_waitcnt lgkmcnt(0)
	v_cndmask_b32_e64 v63, 0, 1, vcc
	v_lshlrev_b32_e32 v63, 5, v63
	v_add_lshl_u32 v75, v63, v61, 2
	ds_bpermute_b32 v63, v75, v6
	ds_bpermute_b32 v61, v75, v62
	v_cmp_le_u32_e32 vcc, v76, v9
	s_and_saveexec_b64 s[64:65], vcc
	s_cbranch_execz .LBB166_169
; %bb.168:
	v_cmp_eq_u16_e32 vcc, 0, v7
	v_and_b32_e32 v7, 1, v7
	s_waitcnt lgkmcnt(1)
	v_cndmask_b32_e32 v9, 1, v63, vcc
	v_mul_lo_u32 v6, v9, v6
	s_waitcnt lgkmcnt(0)
	v_and_b32_e32 v9, 1, v61
	v_cmp_eq_u32_e32 vcc, 1, v7
	s_nop 1
	v_cndmask_b32_e64 v7, v9, 1, vcc
.LBB166_169:
	s_or_b64 exec, exec, s[64:65]
	s_mov_b32 s64, 0
	s_mov_b32 s65, 1
	s_waitcnt lgkmcnt(0)
	v_mov_b32_e32 v61, 0
	v_mov_b32_e32 v78, 2
	s_branch .LBB166_171
.LBB166_170:                            ;   in Loop: Header=BB166_171 Depth=1
	s_or_b64 exec, exec, s[66:67]
	v_cmp_eq_u16_sdwa vcc, v74, v61 src0_sel:BYTE_0 src1_sel:DWORD
	v_and_b32_e32 v9, 1, v74
	v_and_b32_e32 v7, 1, v7
	v_cndmask_b32_e32 v6, 1, v6, vcc
	v_cmp_eq_u32_e32 vcc, 1, v9
	v_subrev_u32_e32 v60, 64, v60
	v_mul_lo_u32 v6, v6, v77
	v_cndmask_b32_e64 v7, v7, 1, vcc
.LBB166_171:                            ; =>This Loop Header: Depth=1
                                        ;     Child Loop BB166_174 Depth 2
	v_cmp_ne_u16_sdwa s[66:67], v8, v78 src0_sel:BYTE_0 src1_sel:DWORD
	v_mov_b32_e32 v74, v7
	v_mov_b32_e32 v77, v6
	v_cndmask_b32_e64 v7, 0, 1, s[66:67]
	;;#ASMSTART
	;;#ASMEND
	s_nop 0
	v_cmp_ne_u32_e32 vcc, 0, v7
	s_cmp_lg_u64 vcc, exec
	s_cbranch_scc1 .LBB166_188
; %bb.172:                              ;   in Loop: Header=BB166_171 Depth=1
	s_waitcnt lgkmcnt(0)
	v_lshl_add_u64 v[62:63], v[60:61], 4, s[68:69]
	;;#ASMSTART
	global_load_dwordx4 v[6:9], v[62:63] off sc1	
s_waitcnt vmcnt(0)
	;;#ASMEND
	s_nop 0
	v_and_b32_e32 v9, 0xff0000, v6
	v_and_b32_e32 v79, 0xff000000, v6
	;; [unrolled: 1-line block ×3, first 2 shown]
	v_or_b32_sdwa v6, v6, v9 dst_sel:DWORD dst_unused:UNUSED_PAD src0_sel:WORD_0 src1_sel:DWORD
	v_or3_b32 v7, 0, 0, v7
	v_or3_b32 v6, v6, v79, 0
	v_cmp_eq_u16_sdwa s[76:77], v8, v61 src0_sel:BYTE_0 src1_sel:DWORD
	s_and_saveexec_b64 s[66:67], s[76:77]
	s_cbranch_execz .LBB166_176
; %bb.173:                              ;   in Loop: Header=BB166_171 Depth=1
	s_mov_b64 s[76:77], 0
.LBB166_174:                            ;   Parent Loop BB166_171 Depth=1
                                        ; =>  This Inner Loop Header: Depth=2
	;;#ASMSTART
	global_load_dwordx4 v[6:9], v[62:63] off sc1	
s_waitcnt vmcnt(0)
	;;#ASMEND
	s_nop 0
	v_cmp_ne_u16_sdwa s[78:79], v8, v61 src0_sel:BYTE_0 src1_sel:DWORD
	s_or_b64 s[76:77], s[78:79], s[76:77]
	s_andn2_b64 exec, exec, s[76:77]
	s_cbranch_execnz .LBB166_174
; %bb.175:                              ;   in Loop: Header=BB166_171 Depth=1
	s_or_b64 exec, exec, s[76:77]
	v_and_b32_e32 v7, 0xff, v7
.LBB166_176:                            ;   in Loop: Header=BB166_171 Depth=1
	s_or_b64 exec, exec, s[66:67]
	v_cmp_eq_u16_sdwa s[66:67], v8, v78 src0_sel:BYTE_0 src1_sel:DWORD
	ds_bpermute_b32 v79, v65, v6
	ds_bpermute_b32 v63, v65, v7
	v_and_b32_e32 v9, s67, v5
	v_or_b32_e32 v9, 0x80000000, v9
	v_and_b32_e32 v62, s66, v4
	v_ffbl_b32_e32 v9, v9
	v_add_u32_e32 v9, 32, v9
	v_ffbl_b32_e32 v62, v62
	v_min_u32_e32 v9, v62, v9
	v_cmp_lt_u32_e32 vcc, v3, v9
	v_mov_b32_e32 v62, v7
	s_and_saveexec_b64 s[66:67], vcc
	s_cbranch_execz .LBB166_178
; %bb.177:                              ;   in Loop: Header=BB166_171 Depth=1
	v_cmp_gt_u64_e32 vcc, s[64:65], v[6:7]
	v_and_b32_e32 v7, 1, v7
	s_waitcnt lgkmcnt(1)
	v_cndmask_b32_e32 v62, 1, v79, vcc
	v_mul_lo_u32 v6, v62, v6
	s_waitcnt lgkmcnt(0)
	v_and_b32_e32 v62, 1, v63
	v_cmp_eq_u32_e32 vcc, 1, v7
	s_nop 1
	v_cndmask_b32_e64 v7, v62, 1, vcc
	v_and_b32_e32 v62, 0xffff, v7
.LBB166_178:                            ;   in Loop: Header=BB166_171 Depth=1
	s_or_b64 exec, exec, s[66:67]
	s_waitcnt lgkmcnt(1)
	ds_bpermute_b32 v79, v66, v6
	s_waitcnt lgkmcnt(1)
	ds_bpermute_b32 v63, v66, v62
	v_cmp_le_u32_e32 vcc, v67, v9
	s_and_saveexec_b64 s[66:67], vcc
	s_cbranch_execz .LBB166_180
; %bb.179:                              ;   in Loop: Header=BB166_171 Depth=1
	v_cmp_eq_u16_e32 vcc, 0, v7
	v_and_b32_e32 v7, 1, v7
	s_waitcnt lgkmcnt(1)
	v_cndmask_b32_e32 v62, 1, v79, vcc
	v_mul_lo_u32 v6, v62, v6
	s_waitcnt lgkmcnt(0)
	v_and_b32_e32 v62, 1, v63
	v_cmp_eq_u32_e32 vcc, 1, v7
	s_nop 1
	v_cndmask_b32_e64 v7, v62, 1, vcc
	v_and_b32_e32 v62, 0xffff, v7
.LBB166_180:                            ;   in Loop: Header=BB166_171 Depth=1
	s_or_b64 exec, exec, s[66:67]
	s_waitcnt lgkmcnt(1)
	ds_bpermute_b32 v79, v68, v6
	s_waitcnt lgkmcnt(1)
	ds_bpermute_b32 v63, v68, v62
	v_cmp_le_u32_e32 vcc, v69, v9
	s_and_saveexec_b64 s[66:67], vcc
	s_cbranch_execz .LBB166_182
; %bb.181:                              ;   in Loop: Header=BB166_171 Depth=1
	v_cmp_eq_u16_e32 vcc, 0, v7
	v_and_b32_e32 v7, 1, v7
	s_waitcnt lgkmcnt(1)
	v_cndmask_b32_e32 v62, 1, v79, vcc
	v_mul_lo_u32 v6, v62, v6
	s_waitcnt lgkmcnt(0)
	v_and_b32_e32 v62, 1, v63
	v_cmp_eq_u32_e32 vcc, 1, v7
	s_nop 1
	v_cndmask_b32_e64 v7, v62, 1, vcc
	v_and_b32_e32 v62, 0xffff, v7
.LBB166_182:                            ;   in Loop: Header=BB166_171 Depth=1
	s_or_b64 exec, exec, s[66:67]
	s_waitcnt lgkmcnt(1)
	ds_bpermute_b32 v79, v70, v6
	s_waitcnt lgkmcnt(1)
	ds_bpermute_b32 v63, v70, v62
	v_cmp_le_u32_e32 vcc, v71, v9
	s_and_saveexec_b64 s[66:67], vcc
	s_cbranch_execz .LBB166_184
; %bb.183:                              ;   in Loop: Header=BB166_171 Depth=1
	v_cmp_eq_u16_e32 vcc, 0, v7
	v_and_b32_e32 v7, 1, v7
	s_waitcnt lgkmcnt(1)
	v_cndmask_b32_e32 v62, 1, v79, vcc
	v_mul_lo_u32 v6, v62, v6
	s_waitcnt lgkmcnt(0)
	v_and_b32_e32 v62, 1, v63
	v_cmp_eq_u32_e32 vcc, 1, v7
	s_nop 1
	v_cndmask_b32_e64 v7, v62, 1, vcc
	v_and_b32_e32 v62, 0xffff, v7
.LBB166_184:                            ;   in Loop: Header=BB166_171 Depth=1
	s_or_b64 exec, exec, s[66:67]
	s_waitcnt lgkmcnt(1)
	ds_bpermute_b32 v79, v72, v6
	s_waitcnt lgkmcnt(1)
	ds_bpermute_b32 v63, v72, v62
	v_cmp_le_u32_e32 vcc, v73, v9
	s_and_saveexec_b64 s[66:67], vcc
	s_cbranch_execz .LBB166_186
; %bb.185:                              ;   in Loop: Header=BB166_171 Depth=1
	v_cmp_eq_u16_e32 vcc, 0, v7
	v_and_b32_e32 v7, 1, v7
	s_waitcnt lgkmcnt(1)
	v_cndmask_b32_e32 v62, 1, v79, vcc
	v_mul_lo_u32 v6, v62, v6
	s_waitcnt lgkmcnt(0)
	v_and_b32_e32 v62, 1, v63
	v_cmp_eq_u32_e32 vcc, 1, v7
	s_nop 1
	v_cndmask_b32_e64 v7, v62, 1, vcc
	v_and_b32_e32 v62, 0xffff, v7
.LBB166_186:                            ;   in Loop: Header=BB166_171 Depth=1
	s_or_b64 exec, exec, s[66:67]
	s_waitcnt lgkmcnt(0)
	ds_bpermute_b32 v63, v75, v6
	ds_bpermute_b32 v62, v75, v62
	v_cmp_le_u32_e32 vcc, v76, v9
	s_and_saveexec_b64 s[66:67], vcc
	s_cbranch_execz .LBB166_170
; %bb.187:                              ;   in Loop: Header=BB166_171 Depth=1
	v_cmp_eq_u16_e32 vcc, 0, v7
	v_and_b32_e32 v7, 1, v7
	s_waitcnt lgkmcnt(1)
	v_cndmask_b32_e32 v9, 1, v63, vcc
	v_cmp_eq_u32_e32 vcc, 1, v7
	v_mul_lo_u32 v6, v9, v6
	s_waitcnt lgkmcnt(0)
	v_cndmask_b32_e64 v7, v62, 1, vcc
	s_branch .LBB166_170
.LBB166_188:                            ;   in Loop: Header=BB166_171 Depth=1
                                        ; implicit-def: $vgpr7
	s_cbranch_execz .LBB166_171
; %bb.189:
	s_and_saveexec_b64 s[64:65], s[52:53]
	s_cbranch_execz .LBB166_191
; %bb.190:
	s_and_b32 s52, s3, 0xff
	s_cmp_eq_u32 s52, 0
	s_cselect_b64 vcc, -1, 0
	s_bitcmp1_b32 s3, 0
	s_mov_b32 s53, 0
	s_cselect_b64 s[66:67], -1, 0
	s_add_i32 s52, s2, 64
	s_lshl_b64 s[2:3], s[52:53], 4
	v_cndmask_b32_e32 v3, 1, v77, vcc
	s_add_u32 s2, s68, s2
	v_mul_lo_u32 v2, v3, v2
	v_and_b32_e32 v3, 1, v74
	s_addc_u32 s3, s69, s3
	v_cndmask_b32_e64 v3, v3, 1, s[66:67]
	v_mov_b32_e32 v4, 2
	v_mov_b32_e32 v5, 0
	v_mov_b64_e32 v[6:7], s[2:3]
	;;#ASMSTART
	global_store_dwordx4 v[6:7], v[2:5] off sc1	
s_waitcnt vmcnt(0)
	;;#ASMEND
.LBB166_191:
	s_or_b64 exec, exec, s[64:65]
	s_and_b64 exec, exec, s[50:51]
	s_cbranch_execz .LBB166_193
; %bb.192:
	v_mov_b32_e32 v2, 0
	ds_write_b32 v2, v77
	ds_write_b8 v2, v74 offset:4
.LBB166_193:
	s_or_b64 exec, exec, s[60:61]
	v_mov_b32_e32 v2, 0
	s_waitcnt lgkmcnt(0)
	s_barrier
	ds_read_b32 v3, v2
	v_mov_b32_e32 v4, v10
	s_and_saveexec_b64 s[2:3], s[48:49]
; %bb.194:
	v_and_b32_e32 v4, 1, v11
	s_mov_b32 s48, 0
	s_mov_b32 s49, 1
	v_and_b32_e32 v5, 1, v64
	v_cmp_eq_u32_e32 vcc, 1, v4
	s_nop 1
	v_cndmask_b32_e64 v58, v5, 1, vcc
	v_cmp_gt_u64_e32 vcc, s[48:49], v[10:11]
	s_nop 1
	v_cndmask_b32_e32 v4, 1, v59, vcc
	v_mul_lo_u32 v4, v4, v10
; %bb.195:
	s_or_b64 exec, exec, s[2:3]
	v_cmp_eq_u16_sdwa vcc, v58, v2 src0_sel:BYTE_0 src1_sel:DWORD
	s_waitcnt lgkmcnt(0)
	s_nop 0
	v_cndmask_b32_e32 v2, 1, v3, vcc
	v_mul_lo_u32 v80, v2, v4
	v_cndmask_b32_e64 v2, 1, v80, s[54:55]
	v_mul_lo_u32 v58, v2, v12
	v_cndmask_b32_e64 v2, 1, v58, s[4:5]
	v_mul_lo_u32 v59, v2, v14
	v_cndmask_b32_e64 v2, 1, v59, s[6:7]
	v_mul_lo_u32 v60, v2, v16
	v_cndmask_b32_e64 v2, 1, v60, s[8:9]
	v_mul_lo_u32 v61, v2, v18
	v_cndmask_b32_e64 v2, 1, v61, s[10:11]
	v_mul_lo_u32 v62, v2, v20
	v_cndmask_b32_e64 v2, 1, v62, s[12:13]
	v_mul_lo_u32 v63, v2, v22
	v_cndmask_b32_e64 v2, 1, v63, s[14:15]
	v_mul_lo_u32 v64, v2, v24
	v_cndmask_b32_e64 v2, 1, v64, s[16:17]
	v_mul_lo_u32 v65, v2, v26
	v_cndmask_b32_e64 v2, 1, v65, s[18:19]
	v_mul_lo_u32 v66, v2, v28
	v_cndmask_b32_e64 v2, 1, v66, s[20:21]
	v_mul_lo_u32 v67, v2, v30
	v_cndmask_b32_e64 v2, 1, v67, s[22:23]
	v_mul_lo_u32 v68, v2, v32
	v_cndmask_b32_e64 v2, 1, v68, s[24:25]
	v_mul_lo_u32 v69, v2, v34
	v_cndmask_b32_e64 v2, 1, v69, s[26:27]
	v_mul_lo_u32 v70, v2, v36
	v_cndmask_b32_e64 v2, 1, v70, s[28:29]
	v_mul_lo_u32 v71, v2, v38
	v_cndmask_b32_e64 v2, 1, v71, s[30:31]
	v_mul_lo_u32 v72, v2, v40
	v_cndmask_b32_e64 v2, 1, v72, s[34:35]
	v_mul_lo_u32 v73, v2, v42
	v_cndmask_b32_e64 v2, 1, v73, s[36:37]
	v_mul_lo_u32 v74, v2, v44
	v_cndmask_b32_e64 v2, 1, v74, s[38:39]
	v_mul_lo_u32 v75, v2, v46
	v_cndmask_b32_e64 v2, 1, v75, s[40:41]
	v_mul_lo_u32 v76, v2, v48
	v_cndmask_b32_e64 v2, 1, v76, s[42:43]
	v_mul_lo_u32 v77, v2, v50
	v_cndmask_b32_e64 v2, 1, v77, s[44:45]
	v_mul_lo_u32 v78, v2, v52
	v_cndmask_b32_e64 v2, 1, v78, s[46:47]
	v_mul_lo_u32 v79, v2, v56
	s_branch .LBB166_218
.LBB166_196:
                                        ; implicit-def: $vgpr78
                                        ; implicit-def: $vgpr77
                                        ; implicit-def: $vgpr76
                                        ; implicit-def: $vgpr75
                                        ; implicit-def: $vgpr74
                                        ; implicit-def: $vgpr73
                                        ; implicit-def: $vgpr72
                                        ; implicit-def: $vgpr71
                                        ; implicit-def: $vgpr70
                                        ; implicit-def: $vgpr69
                                        ; implicit-def: $vgpr68
                                        ; implicit-def: $vgpr67
                                        ; implicit-def: $vgpr66
                                        ; implicit-def: $vgpr65
                                        ; implicit-def: $vgpr64
                                        ; implicit-def: $vgpr63
                                        ; implicit-def: $vgpr62
                                        ; implicit-def: $vgpr61
                                        ; implicit-def: $vgpr60
                                        ; implicit-def: $vgpr59
                                        ; implicit-def: $vgpr58
                                        ; implicit-def: $vgpr80
                                        ; implicit-def: $vgpr79
	s_cbranch_execz .LBB166_218
; %bb.197:
	s_cmp_lg_u64 s[74:75], 0
	s_cselect_b32 s5, s63, 0
	s_cselect_b32 s4, s62, 0
	s_cmp_lg_u64 s[4:5], 0
	s_cselect_b64 s[6:7], -1, 0
	v_cmp_eq_u32_e32 vcc, 0, v0
	s_mov_b32 s48, 0
	v_cmp_ne_u32_e64 s[2:3], 0, v0
	s_and_b64 s[8:9], vcc, s[6:7]
	s_and_saveexec_b64 s[6:7], s[8:9]
	s_cbranch_execz .LBB166_199
; %bb.198:
	v_mov_b32_e32 v2, 0
	global_load_dword v4, v2, s[4:5]
	global_load_ubyte v5, v2, s[4:5] offset:4
	s_mov_b32 s49, 1
	v_and_b32_e32 v3, 1, v11
	v_cmp_gt_u64_e64 s[4:5], s[48:49], v[10:11]
	s_waitcnt vmcnt(0)
	v_and_b32_e32 v5, 1, v5
	v_cndmask_b32_e64 v4, 1, v4, s[4:5]
	v_cmp_eq_u64_e64 s[4:5], 0, v[2:3]
	v_mul_lo_u32 v10, v4, v10
	s_nop 0
	v_cndmask_b32_e64 v11, 1, v5, s[4:5]
.LBB166_199:
	s_or_b64 exec, exec, s[6:7]
	s_mov_b32 s49, 1
	v_cmp_gt_u64_e64 s[4:5], s[48:49], v[12:13]
	v_cmp_gt_u64_e64 s[6:7], s[48:49], v[14:15]
	v_cmp_gt_u64_e64 s[8:9], s[48:49], v[16:17]
	v_cndmask_b32_e64 v2, 1, v10, s[4:5]
	v_mul_lo_u32 v58, v2, v12
	v_cndmask_b32_e64 v2, 1, v58, s[6:7]
	v_mul_lo_u32 v59, v2, v14
	v_cndmask_b32_e64 v2, 1, v59, s[8:9]
	v_mul_lo_u32 v60, v2, v16
	v_cmp_gt_u64_e64 s[10:11], s[48:49], v[18:19]
	v_cmp_gt_u64_e64 s[12:13], s[48:49], v[20:21]
	v_cmp_gt_u64_e64 s[14:15], s[48:49], v[22:23]
	v_cndmask_b32_e64 v2, 1, v60, s[10:11]
	v_mul_lo_u32 v61, v2, v18
	v_cndmask_b32_e64 v2, 1, v61, s[12:13]
	v_mul_lo_u32 v62, v2, v20
	v_cndmask_b32_e64 v2, 1, v62, s[14:15]
	v_mul_lo_u32 v63, v2, v22
	;; [unrolled: 9-line block ×7, first 2 shown]
	v_cmp_gt_u64_e64 s[48:49], s[48:49], v[56:57]
	v_add_lshl_u32 v1, v1, v0, 3
	s_nop 0
	v_cndmask_b32_e64 v2, 1, v78, s[48:49]
	v_mul_lo_u32 v79, v2, v56
	v_or3_b32 v2, v55, v51, v49
	v_or3_b32 v2, v2, v47, v45
	;; [unrolled: 1-line block ×10, first 2 shown]
	v_and_b32_e32 v2, 1, v2
	v_cmp_eq_u32_e64 s[50:51], 1, v2
	s_nop 1
	v_cndmask_b32_e64 v4, v11, 1, s[50:51]
	v_cmp_gt_u32_e64 s[50:51], 64, v0
	ds_write_b32 v1, v79
	ds_write_b8 v1, v4 offset:4
	s_waitcnt lgkmcnt(0)
	s_barrier
	s_and_saveexec_b64 s[52:53], s[50:51]
	s_cbranch_execz .LBB166_213
; %bb.200:
	v_lshrrev_b32_e32 v1, 3, v0
	v_add_lshl_u32 v1, v1, v54, 3
	ds_read2_b32 v[6:7], v1 offset0:2 offset1:4
	ds_read_b64 v[2:3], v1
	ds_read_u8 v8, v1 offset:12
	ds_read_u8 v9, v1 offset:20
	ds_read_b32 v13, v1 offset:24
	ds_read_u8 v15, v1 offset:28
	v_mov_b32_e32 v17, 0
	s_waitcnt lgkmcnt(3)
	v_cmp_eq_u16_sdwa s[50:51], v8, v17 src0_sel:BYTE_0 src1_sel:DWORD
	v_and_b32_e32 v5, 1, v3
	s_nop 0
	v_cndmask_b32_e64 v19, 1, v2, s[50:51]
	v_mul_lo_u32 v6, v19, v6
	s_waitcnt lgkmcnt(2)
	v_cmp_eq_u16_sdwa s[50:51], v9, v17 src0_sel:BYTE_0 src1_sel:DWORD
	s_nop 1
	v_cndmask_b32_e64 v6, 1, v6, s[50:51]
	v_mul_lo_u32 v6, v6, v7
	s_waitcnt lgkmcnt(0)
	v_or_b32_e32 v7, v15, v9
	v_or_b32_e32 v7, v7, v8
	v_cmp_eq_u16_e64 s[50:51], 0, v15
	v_and_b32_e32 v7, 1, v7
	v_mbcnt_lo_u32_b32 v8, -1, 0
	v_cndmask_b32_e64 v6, 1, v6, s[50:51]
	v_cmp_eq_u32_e64 s[50:51], 1, v7
	v_and_b32_e32 v7, 0xffffff00, v3
	v_mbcnt_hi_u32_b32 v8, -1, v8
	v_cndmask_b32_e64 v9, v5, 1, s[50:51]
	v_mul_lo_u32 v6, v6, v13
	v_and_b32_e32 v15, 15, v8
	v_or_b32_sdwa v13, v7, v9 dst_sel:DWORD dst_unused:UNUSED_PAD src0_sel:DWORD src1_sel:WORD_0
	v_mov_b32_dpp v19, v6 row_shr:1 row_mask:0xf bank_mask:0xf
	v_cmp_ne_u32_e64 s[50:51], 0, v15
	v_mov_b32_dpp v17, v13 row_shr:1 row_mask:0xf bank_mask:0xf
	s_and_saveexec_b64 s[54:55], s[50:51]
; %bb.201:
	v_cmp_eq_u16_e64 s[50:51], 0, v9
	v_and_b32_e32 v9, 1, v9
	s_nop 0
	v_cndmask_b32_e64 v13, 1, v19, s[50:51]
	v_mul_lo_u32 v6, v13, v6
	v_and_b32_e32 v13, 1, v17
	v_cmp_eq_u32_e64 s[50:51], 1, v9
	s_nop 1
	v_cndmask_b32_e64 v9, v13, 1, s[50:51]
	v_or_b32_sdwa v13, v7, v9 dst_sel:DWORD dst_unused:UNUSED_PAD src0_sel:DWORD src1_sel:WORD_0
; %bb.202:
	s_or_b64 exec, exec, s[54:55]
	v_mov_b32_dpp v19, v6 row_shr:2 row_mask:0xf bank_mask:0xf
	v_mov_b32_dpp v17, v13 row_shr:2 row_mask:0xf bank_mask:0xf
	v_cmp_lt_u32_e64 s[50:51], 1, v15
	s_and_saveexec_b64 s[54:55], s[50:51]
; %bb.203:
	v_cmp_eq_u16_e64 s[50:51], 0, v9
	v_and_b32_e32 v9, 1, v9
	s_nop 0
	v_cndmask_b32_e64 v13, 1, v19, s[50:51]
	v_mul_lo_u32 v6, v13, v6
	v_and_b32_e32 v13, 1, v17
	v_cmp_eq_u32_e64 s[50:51], 1, v9
	s_nop 1
	v_cndmask_b32_e64 v9, v13, 1, s[50:51]
	v_or_b32_sdwa v13, v7, v9 dst_sel:DWORD dst_unused:UNUSED_PAD src0_sel:DWORD src1_sel:WORD_0
; %bb.204:
	s_or_b64 exec, exec, s[54:55]
	v_mov_b32_dpp v19, v6 row_shr:4 row_mask:0xf bank_mask:0xf
	v_mov_b32_dpp v17, v13 row_shr:4 row_mask:0xf bank_mask:0xf
	v_cmp_lt_u32_e64 s[50:51], 3, v15
	;; [unrolled: 17-line block ×3, first 2 shown]
	s_and_saveexec_b64 s[54:55], s[50:51]
; %bb.207:
	v_cmp_eq_u16_e64 s[50:51], 0, v9
	v_and_b32_e32 v9, 1, v9
	s_nop 0
	v_cndmask_b32_e64 v13, 1, v19, s[50:51]
	v_mul_lo_u32 v6, v13, v6
	v_and_b32_e32 v13, 1, v17
	v_cmp_eq_u32_e64 s[50:51], 1, v9
	s_nop 1
	v_cndmask_b32_e64 v9, v13, 1, s[50:51]
	v_or_b32_sdwa v13, v7, v9 dst_sel:DWORD dst_unused:UNUSED_PAD src0_sel:DWORD src1_sel:WORD_0
; %bb.208:
	s_or_b64 exec, exec, s[54:55]
	v_and_b32_e32 v19, 16, v8
	v_mov_b32_dpp v17, v6 row_bcast:15 row_mask:0xf bank_mask:0xf
	v_mov_b32_dpp v15, v13 row_bcast:15 row_mask:0xf bank_mask:0xf
	v_cmp_ne_u32_e64 s[50:51], 0, v19
	s_and_saveexec_b64 s[54:55], s[50:51]
; %bb.209:
	v_cmp_eq_u16_e64 s[50:51], 0, v9
	v_and_b32_e32 v9, 1, v9
	s_nop 0
	v_cndmask_b32_e64 v13, 1, v17, s[50:51]
	v_mul_lo_u32 v6, v13, v6
	v_and_b32_e32 v13, 1, v15
	v_cmp_eq_u32_e64 s[50:51], 1, v9
	s_nop 1
	v_cndmask_b32_e64 v9, v13, 1, s[50:51]
	v_or_b32_sdwa v13, v7, v9 dst_sel:DWORD dst_unused:UNUSED_PAD src0_sel:DWORD src1_sel:WORD_0
; %bb.210:
	s_or_b64 exec, exec, s[54:55]
	v_mov_b32_dpp v15, v6 row_bcast:31 row_mask:0xf bank_mask:0xf
	v_mov_b32_dpp v13, v13 row_bcast:31 row_mask:0xf bank_mask:0xf
	v_cmp_lt_u32_e64 s[50:51], 31, v8
	s_and_saveexec_b64 s[54:55], s[50:51]
; %bb.211:
	v_cmp_eq_u16_e64 s[50:51], 0, v9
	v_and_b32_e32 v9, 1, v9
	v_and_b32_e32 v13, 1, v13
	v_cndmask_b32_e64 v15, 1, v15, s[50:51]
	v_cmp_eq_u32_e64 s[50:51], 1, v9
	v_mul_lo_u32 v6, v15, v6
	s_nop 0
	v_cndmask_b32_e64 v9, v13, 1, s[50:51]
; %bb.212:
	s_or_b64 exec, exec, s[54:55]
	v_add_u32_e32 v13, -1, v8
	v_and_b32_e32 v15, 64, v8
	v_cmp_lt_i32_e64 s[50:51], v13, v15
	v_or_b32_sdwa v7, v7, v9 dst_sel:DWORD dst_unused:UNUSED_PAD src0_sel:DWORD src1_sel:WORD_0
	s_nop 0
	v_cndmask_b32_e64 v8, v13, v8, s[50:51]
	v_lshlrev_b32_e32 v8, 2, v8
	ds_bpermute_b32 v6, v8, v6
	ds_bpermute_b32 v7, v8, v7
	v_mov_b32_e32 v8, 0
	v_cmp_eq_u16_sdwa s[50:51], v3, v8 src0_sel:BYTE_0 src1_sel:DWORD
	; wave barrier
	s_waitcnt lgkmcnt(1)
	s_nop 0
	v_cndmask_b32_e64 v3, 1, v6, s[50:51]
	v_mul_lo_u32 v2, v3, v2
	s_waitcnt lgkmcnt(0)
	v_and_b32_e32 v3, 1, v7
	v_cmp_eq_u32_e64 s[50:51], 1, v5
	v_cndmask_b32_e32 v5, v2, v79, vcc
	s_nop 0
	v_cndmask_b32_e64 v3, v3, 1, s[50:51]
	v_cndmask_b32_e32 v4, v3, v4, vcc
	ds_write_b32 v1, v5
	ds_write_b8 v1, v4 offset:4
	; wave barrier
	ds_read_u8 v6, v1 offset:12
	ds_read2_b32 v[2:3], v1 offset0:2 offset1:4
	ds_read_u8 v7, v1 offset:20
	ds_read_b32 v8, v1 offset:24
	ds_read_u8 v9, v1 offset:28
	s_waitcnt lgkmcnt(4)
	v_cmp_eq_u16_e64 s[50:51], 0, v6
	s_nop 1
	v_cndmask_b32_e64 v5, 1, v5, s[50:51]
	s_waitcnt lgkmcnt(3)
	v_mul_lo_u32 v2, v5, v2
	v_and_b32_e32 v5, 1, v6
	v_cmp_eq_u32_e64 s[50:51], 1, v5
	s_nop 1
	v_cndmask_b32_e64 v4, v4, 1, s[50:51]
	s_waitcnt lgkmcnt(2)
	v_cmp_eq_u16_e64 s[50:51], 0, v7
	ds_write_b8 v1, v4 offset:12
	s_nop 0
	v_cndmask_b32_e64 v5, 1, v2, s[50:51]
	v_mul_lo_u32 v3, v5, v3
	v_and_b32_e32 v5, 1, v7
	v_cmp_eq_u32_e64 s[50:51], 1, v5
	s_nop 1
	v_cndmask_b32_e64 v4, v4, 1, s[50:51]
	s_waitcnt lgkmcnt(1)
	v_cmp_eq_u16_e64 s[50:51], 0, v9
	ds_write2_b32 v1, v2, v3 offset0:2 offset1:4
	ds_write_b8 v1, v4 offset:20
	v_cndmask_b32_e64 v2, 1, v3, s[50:51]
	v_and_b32_e32 v3, 1, v9
	v_mul_lo_u32 v2, v2, v8
	v_cmp_eq_u32_e64 s[50:51], 1, v3
	s_nop 1
	v_cndmask_b32_e64 v3, v4, 1, s[50:51]
	ds_write_b32 v1, v2 offset:24
	ds_write_b8 v1, v3 offset:28
.LBB166_213:
	s_or_b64 exec, exec, s[52:53]
	v_mov_b32_e32 v1, v79
	s_waitcnt lgkmcnt(0)
	s_barrier
	s_and_saveexec_b64 s[50:51], s[2:3]
	s_cbranch_execnz .LBB166_291
; %bb.214:
	s_or_b64 exec, exec, s[50:51]
	s_and_saveexec_b64 s[50:51], s[2:3]
	s_cbranch_execnz .LBB166_292
.LBB166_215:
	s_or_b64 exec, exec, s[50:51]
	s_and_saveexec_b64 s[2:3], vcc
	s_cbranch_execz .LBB166_217
.LBB166_216:
	v_mov_b32_e32 v5, 0
	ds_read_b32 v2, v5 offset:2096
	ds_read_u8 v3, v5 offset:2100
	s_add_u32 s4, s68, 0x400
	s_addc_u32 s5, s69, 0
	v_mov_b32_e32 v4, 2
	v_mov_b64_e32 v[6:7], s[4:5]
	s_waitcnt lgkmcnt(0)
	;;#ASMSTART
	global_store_dwordx4 v[6:7], v[2:5] off sc1	
s_waitcnt vmcnt(0)
	;;#ASMEND
.LBB166_217:
	s_or_b64 exec, exec, s[2:3]
	v_mov_b32_e32 v80, v10
.LBB166_218:
	s_add_u32 s2, s58, s72
	s_addc_u32 s3, s59, s73
	s_add_u32 s2, s2, s56
	s_addc_u32 s3, s3, s57
	s_and_b64 vcc, exec, s[0:1]
	s_cbranch_vccz .LBB166_264
; %bb.219:
	s_movk_i32 s0, 0x5c
	v_mul_i32_i24_e32 v26, 0xffffffa8, v0
	s_waitcnt lgkmcnt(0)
	v_mul_u32_u24_e32 v1, 0x5c, v0
	v_mad_u32_u24 v2, v0, s0, v26
	s_barrier
	ds_write2_b32 v1, v80, v58 offset1:1
	ds_write2_b32 v1, v59, v60 offset0:2 offset1:3
	ds_write2_b32 v1, v61, v62 offset0:4 offset1:5
	;; [unrolled: 1-line block ×10, first 2 shown]
	ds_write_b32 v1, v79 offset:88
	s_waitcnt lgkmcnt(0)
	s_barrier
	ds_read2st64_b32 v[24:25], v2 offset0:4 offset1:8
	ds_read2st64_b32 v[22:23], v2 offset0:12 offset1:16
	;; [unrolled: 1-line block ×11, first 2 shown]
	s_add_i32 s33, s33, s70
	v_mov_b32_e32 v55, 0
	v_lshl_add_u64 v[4:5], s[2:3], 0, v[54:55]
	v_cmp_gt_u32_e32 vcc, s33, v0
	s_and_saveexec_b64 s[0:1], vcc
	s_cbranch_execz .LBB166_221
; %bb.220:
	v_add_u32_e32 v1, v1, v26
	ds_read_b32 v1, v1
	s_waitcnt lgkmcnt(0)
	flat_store_dword v[4:5], v1
.LBB166_221:
	s_or_b64 exec, exec, s[0:1]
	v_or_b32_e32 v1, 0x100, v0
	v_cmp_gt_u32_e32 vcc, s33, v1
	s_and_saveexec_b64 s[0:1], vcc
	s_cbranch_execz .LBB166_223
; %bb.222:
	s_waitcnt lgkmcnt(0)
	flat_store_dword v[4:5], v24 offset:1024
.LBB166_223:
	s_or_b64 exec, exec, s[0:1]
	v_or_b32_e32 v1, 0x200, v0
	v_cmp_gt_u32_e32 vcc, s33, v1
	s_and_saveexec_b64 s[0:1], vcc
	s_cbranch_execz .LBB166_225
; %bb.224:
	s_waitcnt lgkmcnt(0)
	flat_store_dword v[4:5], v25 offset:2048
.LBB166_225:
	;; [unrolled: 9-line block ×3, first 2 shown]
	s_or_b64 exec, exec, s[0:1]
	v_or_b32_e32 v1, 0x400, v0
	v_cmp_gt_u32_e32 vcc, s33, v1
	s_and_saveexec_b64 s[0:1], vcc
	s_cbranch_execz .LBB166_229
; %bb.228:
	s_waitcnt lgkmcnt(0)
	v_add_co_u32_e32 v24, vcc, 0x1000, v4
	s_nop 1
	v_addc_co_u32_e32 v25, vcc, 0, v5, vcc
	flat_store_dword v[24:25], v23
.LBB166_229:
	s_or_b64 exec, exec, s[0:1]
	v_or_b32_e32 v1, 0x500, v0
	v_cmp_gt_u32_e32 vcc, s33, v1
	s_and_saveexec_b64 s[0:1], vcc
	s_cbranch_execz .LBB166_231
; %bb.230:
	s_waitcnt lgkmcnt(0)
	v_add_co_u32_e32 v22, vcc, 0x1000, v4
	s_nop 1
	v_addc_co_u32_e32 v23, vcc, 0, v5, vcc
	flat_store_dword v[22:23], v20 offset:1024
.LBB166_231:
	s_or_b64 exec, exec, s[0:1]
	v_or_b32_e32 v1, 0x600, v0
	v_cmp_gt_u32_e32 vcc, s33, v1
	s_and_saveexec_b64 s[0:1], vcc
	s_cbranch_execz .LBB166_233
; %bb.232:
	s_waitcnt lgkmcnt(0)
	v_add_co_u32_e32 v22, vcc, 0x1000, v4
	s_nop 1
	v_addc_co_u32_e32 v23, vcc, 0, v5, vcc
	flat_store_dword v[22:23], v21 offset:2048
.LBB166_233:
	s_or_b64 exec, exec, s[0:1]
	v_or_b32_e32 v1, 0x700, v0
	v_cmp_gt_u32_e32 vcc, s33, v1
	s_and_saveexec_b64 s[0:1], vcc
	s_cbranch_execz .LBB166_235
; %bb.234:
	s_waitcnt lgkmcnt(0)
	v_add_co_u32_e32 v20, vcc, 0x1000, v4
	s_nop 1
	v_addc_co_u32_e32 v21, vcc, 0, v5, vcc
	flat_store_dword v[20:21], v18 offset:3072
.LBB166_235:
	s_or_b64 exec, exec, s[0:1]
	v_or_b32_e32 v1, 0x800, v0
	v_cmp_gt_u32_e32 vcc, s33, v1
	s_and_saveexec_b64 s[0:1], vcc
	s_cbranch_execz .LBB166_237
; %bb.236:
	s_waitcnt lgkmcnt(0)
	v_add_co_u32_e32 v20, vcc, 0x2000, v4
	s_nop 1
	v_addc_co_u32_e32 v21, vcc, 0, v5, vcc
	flat_store_dword v[20:21], v19
.LBB166_237:
	s_or_b64 exec, exec, s[0:1]
	v_or_b32_e32 v1, 0x900, v0
	v_cmp_gt_u32_e32 vcc, s33, v1
	s_and_saveexec_b64 s[0:1], vcc
	s_cbranch_execz .LBB166_239
; %bb.238:
	s_waitcnt lgkmcnt(0)
	v_add_co_u32_e32 v18, vcc, 0x2000, v4
	s_nop 1
	v_addc_co_u32_e32 v19, vcc, 0, v5, vcc
	flat_store_dword v[18:19], v16 offset:1024
.LBB166_239:
	s_or_b64 exec, exec, s[0:1]
	v_or_b32_e32 v1, 0xa00, v0
	v_cmp_gt_u32_e32 vcc, s33, v1
	s_and_saveexec_b64 s[0:1], vcc
	s_cbranch_execz .LBB166_241
; %bb.240:
	s_waitcnt lgkmcnt(0)
	v_add_co_u32_e32 v18, vcc, 0x2000, v4
	s_nop 1
	v_addc_co_u32_e32 v19, vcc, 0, v5, vcc
	flat_store_dword v[18:19], v17 offset:2048
.LBB166_241:
	s_or_b64 exec, exec, s[0:1]
	v_or_b32_e32 v1, 0xb00, v0
	v_cmp_gt_u32_e32 vcc, s33, v1
	s_and_saveexec_b64 s[0:1], vcc
	s_cbranch_execz .LBB166_243
; %bb.242:
	s_waitcnt lgkmcnt(0)
	v_add_co_u32_e32 v16, vcc, 0x2000, v4
	s_nop 1
	v_addc_co_u32_e32 v17, vcc, 0, v5, vcc
	flat_store_dword v[16:17], v14 offset:3072
.LBB166_243:
	;; [unrolled: 48-line block ×4, first 2 shown]
	s_or_b64 exec, exec, s[0:1]
	v_or_b32_e32 v1, 0x1400, v0
	v_cmp_gt_u32_e32 vcc, s33, v1
	s_and_saveexec_b64 s[0:1], vcc
	s_cbranch_execz .LBB166_261
; %bb.260:
	s_waitcnt lgkmcnt(0)
	v_add_co_u32_e32 v8, vcc, 0x5000, v4
	s_nop 1
	v_addc_co_u32_e32 v9, vcc, 0, v5, vcc
	flat_store_dword v[8:9], v7
.LBB166_261:
	s_or_b64 exec, exec, s[0:1]
	v_or_b32_e32 v1, 0x1500, v0
	v_cmp_gt_u32_e32 vcc, s33, v1
	s_and_saveexec_b64 s[0:1], vcc
	s_cbranch_execz .LBB166_263
; %bb.262:
	v_add_co_u32_e32 v4, vcc, 0x5000, v4
	s_nop 1
	v_addc_co_u32_e32 v5, vcc, 0, v5, vcc
	s_waitcnt lgkmcnt(0)
	flat_store_dword v[4:5], v2 offset:1024
.LBB166_263:
	s_or_b64 exec, exec, s[0:1]
	s_waitcnt lgkmcnt(0)
	v_or_b32_e32 v2, 0x1600, v0
	v_mov_b32_e32 v1, v55
	v_cmp_gt_u32_e64 s[0:1], s33, v2
	s_branch .LBB166_266
.LBB166_264:
	s_mov_b64 s[0:1], 0
                                        ; implicit-def: $vgpr3
	s_cbranch_execz .LBB166_266
; %bb.265:
	s_waitcnt lgkmcnt(0)
	v_mul_u32_u24_e32 v1, 0x5c, v0
	s_barrier
	s_movk_i32 s4, 0x5c
	ds_write2_b32 v1, v80, v58 offset1:1
	ds_write2_b32 v1, v59, v60 offset0:2 offset1:3
	ds_write2_b32 v1, v61, v62 offset0:4 offset1:5
	;; [unrolled: 1-line block ×10, first 2 shown]
	ds_write_b32 v1, v79 offset:88
	v_mov_b32_e32 v1, 0
	v_mul_i32_i24_e32 v2, 0xffffffa8, v0
	v_mad_u32_u24 v2, v0, s4, v2
	v_mov_b32_e32 v55, v1
	s_waitcnt lgkmcnt(0)
	s_barrier
	ds_read2st64_b32 v[4:5], v2 offset1:4
	ds_read2st64_b32 v[6:7], v2 offset0:8 offset1:12
	ds_read2st64_b32 v[8:9], v2 offset0:16 offset1:20
	;; [unrolled: 1-line block ×10, first 2 shown]
	ds_read_b32 v3, v2 offset:22528
	v_lshl_add_u64 v[26:27], s[2:3], 0, v[54:55]
	s_movk_i32 s4, 0x1000
	s_waitcnt lgkmcnt(0)
	flat_store_dword v[26:27], v4
	flat_store_dword v[26:27], v5 offset:1024
	flat_store_dword v[26:27], v6 offset:2048
	;; [unrolled: 1-line block ×3, first 2 shown]
	v_add_co_u32_e32 v4, vcc, s4, v26
	s_movk_i32 s4, 0x2000
	s_nop 0
	v_addc_co_u32_e32 v5, vcc, 0, v27, vcc
	flat_store_dword v[4:5], v8
	flat_store_dword v[4:5], v9 offset:1024
	flat_store_dword v[4:5], v10 offset:2048
	;; [unrolled: 1-line block ×3, first 2 shown]
	v_add_co_u32_e32 v4, vcc, s4, v26
	s_movk_i32 s4, 0x3000
	s_nop 0
	v_addc_co_u32_e32 v5, vcc, 0, v27, vcc
	flat_store_dword v[4:5], v12
	flat_store_dword v[4:5], v13 offset:1024
	flat_store_dword v[4:5], v14 offset:2048
	;; [unrolled: 1-line block ×3, first 2 shown]
	v_add_co_u32_e32 v4, vcc, s4, v26
	s_or_b64 s[0:1], s[0:1], exec
	s_nop 0
	v_addc_co_u32_e32 v5, vcc, 0, v27, vcc
	flat_store_dword v[4:5], v16
	flat_store_dword v[4:5], v17 offset:1024
	flat_store_dword v[4:5], v18 offset:2048
	;; [unrolled: 1-line block ×3, first 2 shown]
	v_add_co_u32_e32 v4, vcc, 0x4000, v26
	s_nop 1
	v_addc_co_u32_e32 v5, vcc, 0, v27, vcc
	flat_store_dword v[4:5], v20
	flat_store_dword v[4:5], v21 offset:1024
	flat_store_dword v[4:5], v22 offset:2048
	;; [unrolled: 1-line block ×3, first 2 shown]
	v_add_co_u32_e32 v4, vcc, 0x5000, v26
	s_nop 1
	v_addc_co_u32_e32 v5, vcc, 0, v27, vcc
	flat_store_dword v[4:5], v24
	flat_store_dword v[4:5], v25 offset:1024
.LBB166_266:
	s_and_saveexec_b64 s[4:5], s[0:1]
	s_cbranch_execnz .LBB166_268
; %bb.267:
	s_endpgm
.LBB166_268:
	s_waitcnt lgkmcnt(0)
	v_lshl_add_u64 v[0:1], v[0:1], 2, s[2:3]
	v_add_co_u32_e32 v0, vcc, 0x5000, v0
	s_nop 1
	v_addc_co_u32_e32 v1, vcc, 0, v1, vcc
	flat_store_dword v[0:1], v3 offset:2048
	s_endpgm
.LBB166_269:
	v_lshl_add_u64 v[48:49], s[52:53], 0, v[44:45]
	flat_load_dword v48, v[48:49]
	s_or_b64 exec, exec, s[60:61]
                                        ; implicit-def: $vgpr49
	s_and_saveexec_b64 s[50:51], s[4:5]
	s_cbranch_execz .LBB166_55
.LBB166_270:
	v_mov_b32_e32 v45, 0
	v_lshl_add_u64 v[50:51], s[52:53], 0, v[44:45]
	flat_load_dword v49, v[50:51] offset:1024
	s_or_b64 exec, exec, s[50:51]
                                        ; implicit-def: $vgpr50
	s_and_saveexec_b64 s[4:5], s[6:7]
	s_cbranch_execz .LBB166_56
.LBB166_271:
	v_mov_b32_e32 v45, 0
	v_lshl_add_u64 v[50:51], s[52:53], 0, v[44:45]
	flat_load_dword v50, v[50:51] offset:2048
	s_or_b64 exec, exec, s[4:5]
                                        ; implicit-def: $vgpr45
	s_and_saveexec_b64 s[4:5], s[8:9]
	s_cbranch_execz .LBB166_57
.LBB166_272:
	v_mov_b32_e32 v45, 0
	v_lshl_add_u64 v[52:53], s[52:53], 0, v[44:45]
	flat_load_dword v45, v[52:53] offset:3072
	s_or_b64 exec, exec, s[4:5]
                                        ; implicit-def: $vgpr3
	s_and_saveexec_b64 s[4:5], s[10:11]
	s_cbranch_execz .LBB166_58
.LBB166_273:
	v_mov_b32_e32 v3, 0
	v_lshl_add_u64 v[2:3], s[52:53], 0, v[2:3]
	flat_load_dword v3, v[2:3]
	s_or_b64 exec, exec, s[4:5]
                                        ; implicit-def: $vgpr2
	s_and_saveexec_b64 s[4:5], s[12:13]
	s_cbranch_execz .LBB166_59
.LBB166_274:
	v_mov_b32_e32 v11, 0
	v_lshl_add_u64 v[10:11], s[52:53], 0, v[10:11]
	flat_load_dword v2, v[10:11]
	s_or_b64 exec, exec, s[4:5]
                                        ; implicit-def: $vgpr10
	s_and_saveexec_b64 s[4:5], s[14:15]
	s_cbranch_execz .LBB166_60
.LBB166_275:
	v_mov_b32_e32 v13, 0
	v_lshl_add_u64 v[10:11], s[52:53], 0, v[12:13]
	flat_load_dword v10, v[10:11]
	s_or_b64 exec, exec, s[4:5]
                                        ; implicit-def: $vgpr11
	s_and_saveexec_b64 s[4:5], s[16:17]
	s_cbranch_execz .LBB166_61
.LBB166_276:
	v_mov_b32_e32 v15, 0
	v_lshl_add_u64 v[12:13], s[52:53], 0, v[14:15]
	flat_load_dword v11, v[12:13]
	s_or_b64 exec, exec, s[4:5]
                                        ; implicit-def: $vgpr12
	s_and_saveexec_b64 s[4:5], s[18:19]
	s_cbranch_execz .LBB166_62
.LBB166_277:
	v_mov_b32_e32 v17, 0
	v_lshl_add_u64 v[12:13], s[52:53], 0, v[16:17]
	flat_load_dword v12, v[12:13]
	s_or_b64 exec, exec, s[4:5]
                                        ; implicit-def: $vgpr13
	s_and_saveexec_b64 s[4:5], s[20:21]
	s_cbranch_execz .LBB166_63
.LBB166_278:
	v_mov_b32_e32 v19, 0
	v_lshl_add_u64 v[14:15], s[52:53], 0, v[18:19]
	flat_load_dword v13, v[14:15]
	s_or_b64 exec, exec, s[4:5]
                                        ; implicit-def: $vgpr14
	s_and_saveexec_b64 s[4:5], s[22:23]
	s_cbranch_execz .LBB166_64
.LBB166_279:
	v_mov_b32_e32 v21, 0
	v_lshl_add_u64 v[14:15], s[52:53], 0, v[20:21]
	flat_load_dword v14, v[14:15]
	s_or_b64 exec, exec, s[4:5]
                                        ; implicit-def: $vgpr15
	s_and_saveexec_b64 s[4:5], s[24:25]
	s_cbranch_execz .LBB166_65
.LBB166_280:
	v_mov_b32_e32 v23, 0
	v_lshl_add_u64 v[16:17], s[52:53], 0, v[22:23]
	flat_load_dword v15, v[16:17]
	s_or_b64 exec, exec, s[4:5]
                                        ; implicit-def: $vgpr16
	s_and_saveexec_b64 s[4:5], s[26:27]
	s_cbranch_execz .LBB166_66
.LBB166_281:
	v_mov_b32_e32 v25, 0
	v_lshl_add_u64 v[16:17], s[52:53], 0, v[24:25]
	flat_load_dword v16, v[16:17]
	s_or_b64 exec, exec, s[4:5]
                                        ; implicit-def: $vgpr17
	s_and_saveexec_b64 s[4:5], s[28:29]
	s_cbranch_execz .LBB166_67
.LBB166_282:
	v_mov_b32_e32 v27, 0
	v_lshl_add_u64 v[18:19], s[52:53], 0, v[26:27]
	flat_load_dword v17, v[18:19]
	s_or_b64 exec, exec, s[4:5]
                                        ; implicit-def: $vgpr18
	s_and_saveexec_b64 s[4:5], s[30:31]
	s_cbranch_execz .LBB166_68
.LBB166_283:
	v_mov_b32_e32 v29, 0
	v_lshl_add_u64 v[18:19], s[52:53], 0, v[28:29]
	flat_load_dword v18, v[18:19]
	s_or_b64 exec, exec, s[4:5]
                                        ; implicit-def: $vgpr19
	s_and_saveexec_b64 s[4:5], s[34:35]
	s_cbranch_execz .LBB166_69
.LBB166_284:
	v_mov_b32_e32 v31, 0
	v_lshl_add_u64 v[20:21], s[52:53], 0, v[30:31]
	flat_load_dword v19, v[20:21]
	s_or_b64 exec, exec, s[4:5]
                                        ; implicit-def: $vgpr20
	s_and_saveexec_b64 s[4:5], s[36:37]
	s_cbranch_execz .LBB166_70
.LBB166_285:
	v_mov_b32_e32 v33, 0
	v_lshl_add_u64 v[20:21], s[52:53], 0, v[32:33]
	flat_load_dword v20, v[20:21]
	s_or_b64 exec, exec, s[4:5]
                                        ; implicit-def: $vgpr21
	s_and_saveexec_b64 s[4:5], s[38:39]
	s_cbranch_execz .LBB166_71
.LBB166_286:
	v_mov_b32_e32 v35, 0
	v_lshl_add_u64 v[22:23], s[52:53], 0, v[34:35]
	flat_load_dword v21, v[22:23]
	s_or_b64 exec, exec, s[4:5]
                                        ; implicit-def: $vgpr22
	s_and_saveexec_b64 s[4:5], s[40:41]
	s_cbranch_execz .LBB166_72
.LBB166_287:
	v_mov_b32_e32 v37, 0
	v_lshl_add_u64 v[22:23], s[52:53], 0, v[36:37]
	flat_load_dword v22, v[22:23]
	s_or_b64 exec, exec, s[4:5]
                                        ; implicit-def: $vgpr23
	s_and_saveexec_b64 s[4:5], s[42:43]
	s_cbranch_execz .LBB166_73
.LBB166_288:
	v_mov_b32_e32 v39, 0
	v_lshl_add_u64 v[24:25], s[52:53], 0, v[38:39]
	flat_load_dword v23, v[24:25]
	s_or_b64 exec, exec, s[4:5]
                                        ; implicit-def: $vgpr24
	s_and_saveexec_b64 s[4:5], s[44:45]
	s_cbranch_execz .LBB166_74
.LBB166_289:
	v_mov_b32_e32 v41, 0
	v_lshl_add_u64 v[24:25], s[52:53], 0, v[40:41]
	flat_load_dword v24, v[24:25]
	s_or_b64 exec, exec, s[4:5]
                                        ; implicit-def: $vgpr25
	s_and_saveexec_b64 s[4:5], s[46:47]
	s_cbranch_execz .LBB166_75
.LBB166_290:
	v_mov_b32_e32 v43, 0
	v_lshl_add_u64 v[26:27], s[52:53], 0, v[42:43]
	flat_load_dword v25, v[26:27]
	s_or_b64 exec, exec, s[4:5]
                                        ; implicit-def: $vgpr26
	s_and_saveexec_b64 s[4:5], s[48:49]
	s_cbranch_execnz .LBB166_76
	s_branch .LBB166_77
.LBB166_291:
	v_add_u32_e32 v1, -1, v0
	v_lshrrev_b32_e32 v2, 5, v1
	v_add_lshl_u32 v1, v2, v1, 3
	ds_read_b32 v1, v1
	s_or_b64 exec, exec, s[50:51]
	s_and_saveexec_b64 s[50:51], s[2:3]
	s_cbranch_execz .LBB166_215
.LBB166_292:
	v_and_b32_e32 v3, 0xff, v11
	v_mov_b32_e32 v2, 0
	v_cmp_eq_u64_e64 s[2:3], 0, v[2:3]
	;;#ASMSTART
	;;#ASMEND
	s_waitcnt lgkmcnt(0)
	s_nop 0
	v_cndmask_b32_e64 v1, 1, v1, s[2:3]
	v_mul_lo_u32 v10, v1, v10
	v_cndmask_b32_e64 v1, 1, v10, s[4:5]
	v_mul_lo_u32 v58, v1, v12
	;; [unrolled: 2-line block ×23, first 2 shown]
	s_or_b64 exec, exec, s[50:51]
	s_and_saveexec_b64 s[2:3], vcc
	s_cbranch_execnz .LBB166_216
	s_branch .LBB166_217
.LBB166_293:
                                        ; implicit-def: $sgpr60_sgpr61
	s_branch .LBB166_50
.LBB166_294:
                                        ; implicit-def: $sgpr4_sgpr5
	s_branch .LBB166_126
	.section	.rodata,"a",@progbits
	.p2align	6, 0x0
	.amdhsa_kernel _ZN7rocprim17ROCPRIM_400000_NS6detail17trampoline_kernelINS0_14default_configENS1_27scan_by_key_config_selectorIiiEEZZNS1_16scan_by_key_implILNS1_25lookback_scan_determinismE0ELb0ES3_N6thrust23THRUST_200600_302600_NS6detail15normal_iteratorINS9_10device_ptrIiEEEESE_SE_iNS9_10multipliesIiEENS9_8equal_toIiEEiEE10hipError_tPvRmT2_T3_T4_T5_mT6_T7_P12ihipStream_tbENKUlT_T0_E_clISt17integral_constantIbLb0EESZ_EEDaSU_SV_EUlSU_E_NS1_11comp_targetILNS1_3genE5ELNS1_11target_archE942ELNS1_3gpuE9ELNS1_3repE0EEENS1_30default_config_static_selectorELNS0_4arch9wavefront6targetE1EEEvT1_
		.amdhsa_group_segment_fixed_size 25600
		.amdhsa_private_segment_fixed_size 0
		.amdhsa_kernarg_size 112
		.amdhsa_user_sgpr_count 2
		.amdhsa_user_sgpr_dispatch_ptr 0
		.amdhsa_user_sgpr_queue_ptr 0
		.amdhsa_user_sgpr_kernarg_segment_ptr 1
		.amdhsa_user_sgpr_dispatch_id 0
		.amdhsa_user_sgpr_kernarg_preload_length 0
		.amdhsa_user_sgpr_kernarg_preload_offset 0
		.amdhsa_user_sgpr_private_segment_size 0
		.amdhsa_uses_dynamic_stack 0
		.amdhsa_enable_private_segment 0
		.amdhsa_system_sgpr_workgroup_id_x 1
		.amdhsa_system_sgpr_workgroup_id_y 0
		.amdhsa_system_sgpr_workgroup_id_z 0
		.amdhsa_system_sgpr_workgroup_info 0
		.amdhsa_system_vgpr_workitem_id 0
		.amdhsa_next_free_vgpr 81
		.amdhsa_next_free_sgpr 82
		.amdhsa_accum_offset 84
		.amdhsa_reserve_vcc 1
		.amdhsa_float_round_mode_32 0
		.amdhsa_float_round_mode_16_64 0
		.amdhsa_float_denorm_mode_32 3
		.amdhsa_float_denorm_mode_16_64 3
		.amdhsa_dx10_clamp 1
		.amdhsa_ieee_mode 1
		.amdhsa_fp16_overflow 0
		.amdhsa_tg_split 0
		.amdhsa_exception_fp_ieee_invalid_op 0
		.amdhsa_exception_fp_denorm_src 0
		.amdhsa_exception_fp_ieee_div_zero 0
		.amdhsa_exception_fp_ieee_overflow 0
		.amdhsa_exception_fp_ieee_underflow 0
		.amdhsa_exception_fp_ieee_inexact 0
		.amdhsa_exception_int_div_zero 0
	.end_amdhsa_kernel
	.section	.text._ZN7rocprim17ROCPRIM_400000_NS6detail17trampoline_kernelINS0_14default_configENS1_27scan_by_key_config_selectorIiiEEZZNS1_16scan_by_key_implILNS1_25lookback_scan_determinismE0ELb0ES3_N6thrust23THRUST_200600_302600_NS6detail15normal_iteratorINS9_10device_ptrIiEEEESE_SE_iNS9_10multipliesIiEENS9_8equal_toIiEEiEE10hipError_tPvRmT2_T3_T4_T5_mT6_T7_P12ihipStream_tbENKUlT_T0_E_clISt17integral_constantIbLb0EESZ_EEDaSU_SV_EUlSU_E_NS1_11comp_targetILNS1_3genE5ELNS1_11target_archE942ELNS1_3gpuE9ELNS1_3repE0EEENS1_30default_config_static_selectorELNS0_4arch9wavefront6targetE1EEEvT1_,"axG",@progbits,_ZN7rocprim17ROCPRIM_400000_NS6detail17trampoline_kernelINS0_14default_configENS1_27scan_by_key_config_selectorIiiEEZZNS1_16scan_by_key_implILNS1_25lookback_scan_determinismE0ELb0ES3_N6thrust23THRUST_200600_302600_NS6detail15normal_iteratorINS9_10device_ptrIiEEEESE_SE_iNS9_10multipliesIiEENS9_8equal_toIiEEiEE10hipError_tPvRmT2_T3_T4_T5_mT6_T7_P12ihipStream_tbENKUlT_T0_E_clISt17integral_constantIbLb0EESZ_EEDaSU_SV_EUlSU_E_NS1_11comp_targetILNS1_3genE5ELNS1_11target_archE942ELNS1_3gpuE9ELNS1_3repE0EEENS1_30default_config_static_selectorELNS0_4arch9wavefront6targetE1EEEvT1_,comdat
.Lfunc_end166:
	.size	_ZN7rocprim17ROCPRIM_400000_NS6detail17trampoline_kernelINS0_14default_configENS1_27scan_by_key_config_selectorIiiEEZZNS1_16scan_by_key_implILNS1_25lookback_scan_determinismE0ELb0ES3_N6thrust23THRUST_200600_302600_NS6detail15normal_iteratorINS9_10device_ptrIiEEEESE_SE_iNS9_10multipliesIiEENS9_8equal_toIiEEiEE10hipError_tPvRmT2_T3_T4_T5_mT6_T7_P12ihipStream_tbENKUlT_T0_E_clISt17integral_constantIbLb0EESZ_EEDaSU_SV_EUlSU_E_NS1_11comp_targetILNS1_3genE5ELNS1_11target_archE942ELNS1_3gpuE9ELNS1_3repE0EEENS1_30default_config_static_selectorELNS0_4arch9wavefront6targetE1EEEvT1_, .Lfunc_end166-_ZN7rocprim17ROCPRIM_400000_NS6detail17trampoline_kernelINS0_14default_configENS1_27scan_by_key_config_selectorIiiEEZZNS1_16scan_by_key_implILNS1_25lookback_scan_determinismE0ELb0ES3_N6thrust23THRUST_200600_302600_NS6detail15normal_iteratorINS9_10device_ptrIiEEEESE_SE_iNS9_10multipliesIiEENS9_8equal_toIiEEiEE10hipError_tPvRmT2_T3_T4_T5_mT6_T7_P12ihipStream_tbENKUlT_T0_E_clISt17integral_constantIbLb0EESZ_EEDaSU_SV_EUlSU_E_NS1_11comp_targetILNS1_3genE5ELNS1_11target_archE942ELNS1_3gpuE9ELNS1_3repE0EEENS1_30default_config_static_selectorELNS0_4arch9wavefront6targetE1EEEvT1_
                                        ; -- End function
	.section	.AMDGPU.csdata,"",@progbits
; Kernel info:
; codeLenInByte = 15868
; NumSgprs: 88
; NumVgprs: 81
; NumAgprs: 0
; TotalNumVgprs: 81
; ScratchSize: 0
; MemoryBound: 0
; FloatMode: 240
; IeeeMode: 1
; LDSByteSize: 25600 bytes/workgroup (compile time only)
; SGPRBlocks: 10
; VGPRBlocks: 10
; NumSGPRsForWavesPerEU: 88
; NumVGPRsForWavesPerEU: 81
; AccumOffset: 84
; Occupancy: 2
; WaveLimiterHint : 1
; COMPUTE_PGM_RSRC2:SCRATCH_EN: 0
; COMPUTE_PGM_RSRC2:USER_SGPR: 2
; COMPUTE_PGM_RSRC2:TRAP_HANDLER: 0
; COMPUTE_PGM_RSRC2:TGID_X_EN: 1
; COMPUTE_PGM_RSRC2:TGID_Y_EN: 0
; COMPUTE_PGM_RSRC2:TGID_Z_EN: 0
; COMPUTE_PGM_RSRC2:TIDIG_COMP_CNT: 0
; COMPUTE_PGM_RSRC3_GFX90A:ACCUM_OFFSET: 20
; COMPUTE_PGM_RSRC3_GFX90A:TG_SPLIT: 0
	.section	.text._ZN7rocprim17ROCPRIM_400000_NS6detail17trampoline_kernelINS0_14default_configENS1_27scan_by_key_config_selectorIiiEEZZNS1_16scan_by_key_implILNS1_25lookback_scan_determinismE0ELb0ES3_N6thrust23THRUST_200600_302600_NS6detail15normal_iteratorINS9_10device_ptrIiEEEESE_SE_iNS9_10multipliesIiEENS9_8equal_toIiEEiEE10hipError_tPvRmT2_T3_T4_T5_mT6_T7_P12ihipStream_tbENKUlT_T0_E_clISt17integral_constantIbLb0EESZ_EEDaSU_SV_EUlSU_E_NS1_11comp_targetILNS1_3genE4ELNS1_11target_archE910ELNS1_3gpuE8ELNS1_3repE0EEENS1_30default_config_static_selectorELNS0_4arch9wavefront6targetE1EEEvT1_,"axG",@progbits,_ZN7rocprim17ROCPRIM_400000_NS6detail17trampoline_kernelINS0_14default_configENS1_27scan_by_key_config_selectorIiiEEZZNS1_16scan_by_key_implILNS1_25lookback_scan_determinismE0ELb0ES3_N6thrust23THRUST_200600_302600_NS6detail15normal_iteratorINS9_10device_ptrIiEEEESE_SE_iNS9_10multipliesIiEENS9_8equal_toIiEEiEE10hipError_tPvRmT2_T3_T4_T5_mT6_T7_P12ihipStream_tbENKUlT_T0_E_clISt17integral_constantIbLb0EESZ_EEDaSU_SV_EUlSU_E_NS1_11comp_targetILNS1_3genE4ELNS1_11target_archE910ELNS1_3gpuE8ELNS1_3repE0EEENS1_30default_config_static_selectorELNS0_4arch9wavefront6targetE1EEEvT1_,comdat
	.protected	_ZN7rocprim17ROCPRIM_400000_NS6detail17trampoline_kernelINS0_14default_configENS1_27scan_by_key_config_selectorIiiEEZZNS1_16scan_by_key_implILNS1_25lookback_scan_determinismE0ELb0ES3_N6thrust23THRUST_200600_302600_NS6detail15normal_iteratorINS9_10device_ptrIiEEEESE_SE_iNS9_10multipliesIiEENS9_8equal_toIiEEiEE10hipError_tPvRmT2_T3_T4_T5_mT6_T7_P12ihipStream_tbENKUlT_T0_E_clISt17integral_constantIbLb0EESZ_EEDaSU_SV_EUlSU_E_NS1_11comp_targetILNS1_3genE4ELNS1_11target_archE910ELNS1_3gpuE8ELNS1_3repE0EEENS1_30default_config_static_selectorELNS0_4arch9wavefront6targetE1EEEvT1_ ; -- Begin function _ZN7rocprim17ROCPRIM_400000_NS6detail17trampoline_kernelINS0_14default_configENS1_27scan_by_key_config_selectorIiiEEZZNS1_16scan_by_key_implILNS1_25lookback_scan_determinismE0ELb0ES3_N6thrust23THRUST_200600_302600_NS6detail15normal_iteratorINS9_10device_ptrIiEEEESE_SE_iNS9_10multipliesIiEENS9_8equal_toIiEEiEE10hipError_tPvRmT2_T3_T4_T5_mT6_T7_P12ihipStream_tbENKUlT_T0_E_clISt17integral_constantIbLb0EESZ_EEDaSU_SV_EUlSU_E_NS1_11comp_targetILNS1_3genE4ELNS1_11target_archE910ELNS1_3gpuE8ELNS1_3repE0EEENS1_30default_config_static_selectorELNS0_4arch9wavefront6targetE1EEEvT1_
	.globl	_ZN7rocprim17ROCPRIM_400000_NS6detail17trampoline_kernelINS0_14default_configENS1_27scan_by_key_config_selectorIiiEEZZNS1_16scan_by_key_implILNS1_25lookback_scan_determinismE0ELb0ES3_N6thrust23THRUST_200600_302600_NS6detail15normal_iteratorINS9_10device_ptrIiEEEESE_SE_iNS9_10multipliesIiEENS9_8equal_toIiEEiEE10hipError_tPvRmT2_T3_T4_T5_mT6_T7_P12ihipStream_tbENKUlT_T0_E_clISt17integral_constantIbLb0EESZ_EEDaSU_SV_EUlSU_E_NS1_11comp_targetILNS1_3genE4ELNS1_11target_archE910ELNS1_3gpuE8ELNS1_3repE0EEENS1_30default_config_static_selectorELNS0_4arch9wavefront6targetE1EEEvT1_
	.p2align	8
	.type	_ZN7rocprim17ROCPRIM_400000_NS6detail17trampoline_kernelINS0_14default_configENS1_27scan_by_key_config_selectorIiiEEZZNS1_16scan_by_key_implILNS1_25lookback_scan_determinismE0ELb0ES3_N6thrust23THRUST_200600_302600_NS6detail15normal_iteratorINS9_10device_ptrIiEEEESE_SE_iNS9_10multipliesIiEENS9_8equal_toIiEEiEE10hipError_tPvRmT2_T3_T4_T5_mT6_T7_P12ihipStream_tbENKUlT_T0_E_clISt17integral_constantIbLb0EESZ_EEDaSU_SV_EUlSU_E_NS1_11comp_targetILNS1_3genE4ELNS1_11target_archE910ELNS1_3gpuE8ELNS1_3repE0EEENS1_30default_config_static_selectorELNS0_4arch9wavefront6targetE1EEEvT1_,@function
_ZN7rocprim17ROCPRIM_400000_NS6detail17trampoline_kernelINS0_14default_configENS1_27scan_by_key_config_selectorIiiEEZZNS1_16scan_by_key_implILNS1_25lookback_scan_determinismE0ELb0ES3_N6thrust23THRUST_200600_302600_NS6detail15normal_iteratorINS9_10device_ptrIiEEEESE_SE_iNS9_10multipliesIiEENS9_8equal_toIiEEiEE10hipError_tPvRmT2_T3_T4_T5_mT6_T7_P12ihipStream_tbENKUlT_T0_E_clISt17integral_constantIbLb0EESZ_EEDaSU_SV_EUlSU_E_NS1_11comp_targetILNS1_3genE4ELNS1_11target_archE910ELNS1_3gpuE8ELNS1_3repE0EEENS1_30default_config_static_selectorELNS0_4arch9wavefront6targetE1EEEvT1_: ; @_ZN7rocprim17ROCPRIM_400000_NS6detail17trampoline_kernelINS0_14default_configENS1_27scan_by_key_config_selectorIiiEEZZNS1_16scan_by_key_implILNS1_25lookback_scan_determinismE0ELb0ES3_N6thrust23THRUST_200600_302600_NS6detail15normal_iteratorINS9_10device_ptrIiEEEESE_SE_iNS9_10multipliesIiEENS9_8equal_toIiEEiEE10hipError_tPvRmT2_T3_T4_T5_mT6_T7_P12ihipStream_tbENKUlT_T0_E_clISt17integral_constantIbLb0EESZ_EEDaSU_SV_EUlSU_E_NS1_11comp_targetILNS1_3genE4ELNS1_11target_archE910ELNS1_3gpuE8ELNS1_3repE0EEENS1_30default_config_static_selectorELNS0_4arch9wavefront6targetE1EEEvT1_
; %bb.0:
	.section	.rodata,"a",@progbits
	.p2align	6, 0x0
	.amdhsa_kernel _ZN7rocprim17ROCPRIM_400000_NS6detail17trampoline_kernelINS0_14default_configENS1_27scan_by_key_config_selectorIiiEEZZNS1_16scan_by_key_implILNS1_25lookback_scan_determinismE0ELb0ES3_N6thrust23THRUST_200600_302600_NS6detail15normal_iteratorINS9_10device_ptrIiEEEESE_SE_iNS9_10multipliesIiEENS9_8equal_toIiEEiEE10hipError_tPvRmT2_T3_T4_T5_mT6_T7_P12ihipStream_tbENKUlT_T0_E_clISt17integral_constantIbLb0EESZ_EEDaSU_SV_EUlSU_E_NS1_11comp_targetILNS1_3genE4ELNS1_11target_archE910ELNS1_3gpuE8ELNS1_3repE0EEENS1_30default_config_static_selectorELNS0_4arch9wavefront6targetE1EEEvT1_
		.amdhsa_group_segment_fixed_size 0
		.amdhsa_private_segment_fixed_size 0
		.amdhsa_kernarg_size 112
		.amdhsa_user_sgpr_count 2
		.amdhsa_user_sgpr_dispatch_ptr 0
		.amdhsa_user_sgpr_queue_ptr 0
		.amdhsa_user_sgpr_kernarg_segment_ptr 1
		.amdhsa_user_sgpr_dispatch_id 0
		.amdhsa_user_sgpr_kernarg_preload_length 0
		.amdhsa_user_sgpr_kernarg_preload_offset 0
		.amdhsa_user_sgpr_private_segment_size 0
		.amdhsa_uses_dynamic_stack 0
		.amdhsa_enable_private_segment 0
		.amdhsa_system_sgpr_workgroup_id_x 1
		.amdhsa_system_sgpr_workgroup_id_y 0
		.amdhsa_system_sgpr_workgroup_id_z 0
		.amdhsa_system_sgpr_workgroup_info 0
		.amdhsa_system_vgpr_workitem_id 0
		.amdhsa_next_free_vgpr 1
		.amdhsa_next_free_sgpr 0
		.amdhsa_accum_offset 4
		.amdhsa_reserve_vcc 0
		.amdhsa_float_round_mode_32 0
		.amdhsa_float_round_mode_16_64 0
		.amdhsa_float_denorm_mode_32 3
		.amdhsa_float_denorm_mode_16_64 3
		.amdhsa_dx10_clamp 1
		.amdhsa_ieee_mode 1
		.amdhsa_fp16_overflow 0
		.amdhsa_tg_split 0
		.amdhsa_exception_fp_ieee_invalid_op 0
		.amdhsa_exception_fp_denorm_src 0
		.amdhsa_exception_fp_ieee_div_zero 0
		.amdhsa_exception_fp_ieee_overflow 0
		.amdhsa_exception_fp_ieee_underflow 0
		.amdhsa_exception_fp_ieee_inexact 0
		.amdhsa_exception_int_div_zero 0
	.end_amdhsa_kernel
	.section	.text._ZN7rocprim17ROCPRIM_400000_NS6detail17trampoline_kernelINS0_14default_configENS1_27scan_by_key_config_selectorIiiEEZZNS1_16scan_by_key_implILNS1_25lookback_scan_determinismE0ELb0ES3_N6thrust23THRUST_200600_302600_NS6detail15normal_iteratorINS9_10device_ptrIiEEEESE_SE_iNS9_10multipliesIiEENS9_8equal_toIiEEiEE10hipError_tPvRmT2_T3_T4_T5_mT6_T7_P12ihipStream_tbENKUlT_T0_E_clISt17integral_constantIbLb0EESZ_EEDaSU_SV_EUlSU_E_NS1_11comp_targetILNS1_3genE4ELNS1_11target_archE910ELNS1_3gpuE8ELNS1_3repE0EEENS1_30default_config_static_selectorELNS0_4arch9wavefront6targetE1EEEvT1_,"axG",@progbits,_ZN7rocprim17ROCPRIM_400000_NS6detail17trampoline_kernelINS0_14default_configENS1_27scan_by_key_config_selectorIiiEEZZNS1_16scan_by_key_implILNS1_25lookback_scan_determinismE0ELb0ES3_N6thrust23THRUST_200600_302600_NS6detail15normal_iteratorINS9_10device_ptrIiEEEESE_SE_iNS9_10multipliesIiEENS9_8equal_toIiEEiEE10hipError_tPvRmT2_T3_T4_T5_mT6_T7_P12ihipStream_tbENKUlT_T0_E_clISt17integral_constantIbLb0EESZ_EEDaSU_SV_EUlSU_E_NS1_11comp_targetILNS1_3genE4ELNS1_11target_archE910ELNS1_3gpuE8ELNS1_3repE0EEENS1_30default_config_static_selectorELNS0_4arch9wavefront6targetE1EEEvT1_,comdat
.Lfunc_end167:
	.size	_ZN7rocprim17ROCPRIM_400000_NS6detail17trampoline_kernelINS0_14default_configENS1_27scan_by_key_config_selectorIiiEEZZNS1_16scan_by_key_implILNS1_25lookback_scan_determinismE0ELb0ES3_N6thrust23THRUST_200600_302600_NS6detail15normal_iteratorINS9_10device_ptrIiEEEESE_SE_iNS9_10multipliesIiEENS9_8equal_toIiEEiEE10hipError_tPvRmT2_T3_T4_T5_mT6_T7_P12ihipStream_tbENKUlT_T0_E_clISt17integral_constantIbLb0EESZ_EEDaSU_SV_EUlSU_E_NS1_11comp_targetILNS1_3genE4ELNS1_11target_archE910ELNS1_3gpuE8ELNS1_3repE0EEENS1_30default_config_static_selectorELNS0_4arch9wavefront6targetE1EEEvT1_, .Lfunc_end167-_ZN7rocprim17ROCPRIM_400000_NS6detail17trampoline_kernelINS0_14default_configENS1_27scan_by_key_config_selectorIiiEEZZNS1_16scan_by_key_implILNS1_25lookback_scan_determinismE0ELb0ES3_N6thrust23THRUST_200600_302600_NS6detail15normal_iteratorINS9_10device_ptrIiEEEESE_SE_iNS9_10multipliesIiEENS9_8equal_toIiEEiEE10hipError_tPvRmT2_T3_T4_T5_mT6_T7_P12ihipStream_tbENKUlT_T0_E_clISt17integral_constantIbLb0EESZ_EEDaSU_SV_EUlSU_E_NS1_11comp_targetILNS1_3genE4ELNS1_11target_archE910ELNS1_3gpuE8ELNS1_3repE0EEENS1_30default_config_static_selectorELNS0_4arch9wavefront6targetE1EEEvT1_
                                        ; -- End function
	.section	.AMDGPU.csdata,"",@progbits
; Kernel info:
; codeLenInByte = 0
; NumSgprs: 6
; NumVgprs: 0
; NumAgprs: 0
; TotalNumVgprs: 0
; ScratchSize: 0
; MemoryBound: 0
; FloatMode: 240
; IeeeMode: 1
; LDSByteSize: 0 bytes/workgroup (compile time only)
; SGPRBlocks: 0
; VGPRBlocks: 0
; NumSGPRsForWavesPerEU: 6
; NumVGPRsForWavesPerEU: 1
; AccumOffset: 4
; Occupancy: 8
; WaveLimiterHint : 0
; COMPUTE_PGM_RSRC2:SCRATCH_EN: 0
; COMPUTE_PGM_RSRC2:USER_SGPR: 2
; COMPUTE_PGM_RSRC2:TRAP_HANDLER: 0
; COMPUTE_PGM_RSRC2:TGID_X_EN: 1
; COMPUTE_PGM_RSRC2:TGID_Y_EN: 0
; COMPUTE_PGM_RSRC2:TGID_Z_EN: 0
; COMPUTE_PGM_RSRC2:TIDIG_COMP_CNT: 0
; COMPUTE_PGM_RSRC3_GFX90A:ACCUM_OFFSET: 0
; COMPUTE_PGM_RSRC3_GFX90A:TG_SPLIT: 0
	.section	.text._ZN7rocprim17ROCPRIM_400000_NS6detail17trampoline_kernelINS0_14default_configENS1_27scan_by_key_config_selectorIiiEEZZNS1_16scan_by_key_implILNS1_25lookback_scan_determinismE0ELb0ES3_N6thrust23THRUST_200600_302600_NS6detail15normal_iteratorINS9_10device_ptrIiEEEESE_SE_iNS9_10multipliesIiEENS9_8equal_toIiEEiEE10hipError_tPvRmT2_T3_T4_T5_mT6_T7_P12ihipStream_tbENKUlT_T0_E_clISt17integral_constantIbLb0EESZ_EEDaSU_SV_EUlSU_E_NS1_11comp_targetILNS1_3genE3ELNS1_11target_archE908ELNS1_3gpuE7ELNS1_3repE0EEENS1_30default_config_static_selectorELNS0_4arch9wavefront6targetE1EEEvT1_,"axG",@progbits,_ZN7rocprim17ROCPRIM_400000_NS6detail17trampoline_kernelINS0_14default_configENS1_27scan_by_key_config_selectorIiiEEZZNS1_16scan_by_key_implILNS1_25lookback_scan_determinismE0ELb0ES3_N6thrust23THRUST_200600_302600_NS6detail15normal_iteratorINS9_10device_ptrIiEEEESE_SE_iNS9_10multipliesIiEENS9_8equal_toIiEEiEE10hipError_tPvRmT2_T3_T4_T5_mT6_T7_P12ihipStream_tbENKUlT_T0_E_clISt17integral_constantIbLb0EESZ_EEDaSU_SV_EUlSU_E_NS1_11comp_targetILNS1_3genE3ELNS1_11target_archE908ELNS1_3gpuE7ELNS1_3repE0EEENS1_30default_config_static_selectorELNS0_4arch9wavefront6targetE1EEEvT1_,comdat
	.protected	_ZN7rocprim17ROCPRIM_400000_NS6detail17trampoline_kernelINS0_14default_configENS1_27scan_by_key_config_selectorIiiEEZZNS1_16scan_by_key_implILNS1_25lookback_scan_determinismE0ELb0ES3_N6thrust23THRUST_200600_302600_NS6detail15normal_iteratorINS9_10device_ptrIiEEEESE_SE_iNS9_10multipliesIiEENS9_8equal_toIiEEiEE10hipError_tPvRmT2_T3_T4_T5_mT6_T7_P12ihipStream_tbENKUlT_T0_E_clISt17integral_constantIbLb0EESZ_EEDaSU_SV_EUlSU_E_NS1_11comp_targetILNS1_3genE3ELNS1_11target_archE908ELNS1_3gpuE7ELNS1_3repE0EEENS1_30default_config_static_selectorELNS0_4arch9wavefront6targetE1EEEvT1_ ; -- Begin function _ZN7rocprim17ROCPRIM_400000_NS6detail17trampoline_kernelINS0_14default_configENS1_27scan_by_key_config_selectorIiiEEZZNS1_16scan_by_key_implILNS1_25lookback_scan_determinismE0ELb0ES3_N6thrust23THRUST_200600_302600_NS6detail15normal_iteratorINS9_10device_ptrIiEEEESE_SE_iNS9_10multipliesIiEENS9_8equal_toIiEEiEE10hipError_tPvRmT2_T3_T4_T5_mT6_T7_P12ihipStream_tbENKUlT_T0_E_clISt17integral_constantIbLb0EESZ_EEDaSU_SV_EUlSU_E_NS1_11comp_targetILNS1_3genE3ELNS1_11target_archE908ELNS1_3gpuE7ELNS1_3repE0EEENS1_30default_config_static_selectorELNS0_4arch9wavefront6targetE1EEEvT1_
	.globl	_ZN7rocprim17ROCPRIM_400000_NS6detail17trampoline_kernelINS0_14default_configENS1_27scan_by_key_config_selectorIiiEEZZNS1_16scan_by_key_implILNS1_25lookback_scan_determinismE0ELb0ES3_N6thrust23THRUST_200600_302600_NS6detail15normal_iteratorINS9_10device_ptrIiEEEESE_SE_iNS9_10multipliesIiEENS9_8equal_toIiEEiEE10hipError_tPvRmT2_T3_T4_T5_mT6_T7_P12ihipStream_tbENKUlT_T0_E_clISt17integral_constantIbLb0EESZ_EEDaSU_SV_EUlSU_E_NS1_11comp_targetILNS1_3genE3ELNS1_11target_archE908ELNS1_3gpuE7ELNS1_3repE0EEENS1_30default_config_static_selectorELNS0_4arch9wavefront6targetE1EEEvT1_
	.p2align	8
	.type	_ZN7rocprim17ROCPRIM_400000_NS6detail17trampoline_kernelINS0_14default_configENS1_27scan_by_key_config_selectorIiiEEZZNS1_16scan_by_key_implILNS1_25lookback_scan_determinismE0ELb0ES3_N6thrust23THRUST_200600_302600_NS6detail15normal_iteratorINS9_10device_ptrIiEEEESE_SE_iNS9_10multipliesIiEENS9_8equal_toIiEEiEE10hipError_tPvRmT2_T3_T4_T5_mT6_T7_P12ihipStream_tbENKUlT_T0_E_clISt17integral_constantIbLb0EESZ_EEDaSU_SV_EUlSU_E_NS1_11comp_targetILNS1_3genE3ELNS1_11target_archE908ELNS1_3gpuE7ELNS1_3repE0EEENS1_30default_config_static_selectorELNS0_4arch9wavefront6targetE1EEEvT1_,@function
_ZN7rocprim17ROCPRIM_400000_NS6detail17trampoline_kernelINS0_14default_configENS1_27scan_by_key_config_selectorIiiEEZZNS1_16scan_by_key_implILNS1_25lookback_scan_determinismE0ELb0ES3_N6thrust23THRUST_200600_302600_NS6detail15normal_iteratorINS9_10device_ptrIiEEEESE_SE_iNS9_10multipliesIiEENS9_8equal_toIiEEiEE10hipError_tPvRmT2_T3_T4_T5_mT6_T7_P12ihipStream_tbENKUlT_T0_E_clISt17integral_constantIbLb0EESZ_EEDaSU_SV_EUlSU_E_NS1_11comp_targetILNS1_3genE3ELNS1_11target_archE908ELNS1_3gpuE7ELNS1_3repE0EEENS1_30default_config_static_selectorELNS0_4arch9wavefront6targetE1EEEvT1_: ; @_ZN7rocprim17ROCPRIM_400000_NS6detail17trampoline_kernelINS0_14default_configENS1_27scan_by_key_config_selectorIiiEEZZNS1_16scan_by_key_implILNS1_25lookback_scan_determinismE0ELb0ES3_N6thrust23THRUST_200600_302600_NS6detail15normal_iteratorINS9_10device_ptrIiEEEESE_SE_iNS9_10multipliesIiEENS9_8equal_toIiEEiEE10hipError_tPvRmT2_T3_T4_T5_mT6_T7_P12ihipStream_tbENKUlT_T0_E_clISt17integral_constantIbLb0EESZ_EEDaSU_SV_EUlSU_E_NS1_11comp_targetILNS1_3genE3ELNS1_11target_archE908ELNS1_3gpuE7ELNS1_3repE0EEENS1_30default_config_static_selectorELNS0_4arch9wavefront6targetE1EEEvT1_
; %bb.0:
	.section	.rodata,"a",@progbits
	.p2align	6, 0x0
	.amdhsa_kernel _ZN7rocprim17ROCPRIM_400000_NS6detail17trampoline_kernelINS0_14default_configENS1_27scan_by_key_config_selectorIiiEEZZNS1_16scan_by_key_implILNS1_25lookback_scan_determinismE0ELb0ES3_N6thrust23THRUST_200600_302600_NS6detail15normal_iteratorINS9_10device_ptrIiEEEESE_SE_iNS9_10multipliesIiEENS9_8equal_toIiEEiEE10hipError_tPvRmT2_T3_T4_T5_mT6_T7_P12ihipStream_tbENKUlT_T0_E_clISt17integral_constantIbLb0EESZ_EEDaSU_SV_EUlSU_E_NS1_11comp_targetILNS1_3genE3ELNS1_11target_archE908ELNS1_3gpuE7ELNS1_3repE0EEENS1_30default_config_static_selectorELNS0_4arch9wavefront6targetE1EEEvT1_
		.amdhsa_group_segment_fixed_size 0
		.amdhsa_private_segment_fixed_size 0
		.amdhsa_kernarg_size 112
		.amdhsa_user_sgpr_count 2
		.amdhsa_user_sgpr_dispatch_ptr 0
		.amdhsa_user_sgpr_queue_ptr 0
		.amdhsa_user_sgpr_kernarg_segment_ptr 1
		.amdhsa_user_sgpr_dispatch_id 0
		.amdhsa_user_sgpr_kernarg_preload_length 0
		.amdhsa_user_sgpr_kernarg_preload_offset 0
		.amdhsa_user_sgpr_private_segment_size 0
		.amdhsa_uses_dynamic_stack 0
		.amdhsa_enable_private_segment 0
		.amdhsa_system_sgpr_workgroup_id_x 1
		.amdhsa_system_sgpr_workgroup_id_y 0
		.amdhsa_system_sgpr_workgroup_id_z 0
		.amdhsa_system_sgpr_workgroup_info 0
		.amdhsa_system_vgpr_workitem_id 0
		.amdhsa_next_free_vgpr 1
		.amdhsa_next_free_sgpr 0
		.amdhsa_accum_offset 4
		.amdhsa_reserve_vcc 0
		.amdhsa_float_round_mode_32 0
		.amdhsa_float_round_mode_16_64 0
		.amdhsa_float_denorm_mode_32 3
		.amdhsa_float_denorm_mode_16_64 3
		.amdhsa_dx10_clamp 1
		.amdhsa_ieee_mode 1
		.amdhsa_fp16_overflow 0
		.amdhsa_tg_split 0
		.amdhsa_exception_fp_ieee_invalid_op 0
		.amdhsa_exception_fp_denorm_src 0
		.amdhsa_exception_fp_ieee_div_zero 0
		.amdhsa_exception_fp_ieee_overflow 0
		.amdhsa_exception_fp_ieee_underflow 0
		.amdhsa_exception_fp_ieee_inexact 0
		.amdhsa_exception_int_div_zero 0
	.end_amdhsa_kernel
	.section	.text._ZN7rocprim17ROCPRIM_400000_NS6detail17trampoline_kernelINS0_14default_configENS1_27scan_by_key_config_selectorIiiEEZZNS1_16scan_by_key_implILNS1_25lookback_scan_determinismE0ELb0ES3_N6thrust23THRUST_200600_302600_NS6detail15normal_iteratorINS9_10device_ptrIiEEEESE_SE_iNS9_10multipliesIiEENS9_8equal_toIiEEiEE10hipError_tPvRmT2_T3_T4_T5_mT6_T7_P12ihipStream_tbENKUlT_T0_E_clISt17integral_constantIbLb0EESZ_EEDaSU_SV_EUlSU_E_NS1_11comp_targetILNS1_3genE3ELNS1_11target_archE908ELNS1_3gpuE7ELNS1_3repE0EEENS1_30default_config_static_selectorELNS0_4arch9wavefront6targetE1EEEvT1_,"axG",@progbits,_ZN7rocprim17ROCPRIM_400000_NS6detail17trampoline_kernelINS0_14default_configENS1_27scan_by_key_config_selectorIiiEEZZNS1_16scan_by_key_implILNS1_25lookback_scan_determinismE0ELb0ES3_N6thrust23THRUST_200600_302600_NS6detail15normal_iteratorINS9_10device_ptrIiEEEESE_SE_iNS9_10multipliesIiEENS9_8equal_toIiEEiEE10hipError_tPvRmT2_T3_T4_T5_mT6_T7_P12ihipStream_tbENKUlT_T0_E_clISt17integral_constantIbLb0EESZ_EEDaSU_SV_EUlSU_E_NS1_11comp_targetILNS1_3genE3ELNS1_11target_archE908ELNS1_3gpuE7ELNS1_3repE0EEENS1_30default_config_static_selectorELNS0_4arch9wavefront6targetE1EEEvT1_,comdat
.Lfunc_end168:
	.size	_ZN7rocprim17ROCPRIM_400000_NS6detail17trampoline_kernelINS0_14default_configENS1_27scan_by_key_config_selectorIiiEEZZNS1_16scan_by_key_implILNS1_25lookback_scan_determinismE0ELb0ES3_N6thrust23THRUST_200600_302600_NS6detail15normal_iteratorINS9_10device_ptrIiEEEESE_SE_iNS9_10multipliesIiEENS9_8equal_toIiEEiEE10hipError_tPvRmT2_T3_T4_T5_mT6_T7_P12ihipStream_tbENKUlT_T0_E_clISt17integral_constantIbLb0EESZ_EEDaSU_SV_EUlSU_E_NS1_11comp_targetILNS1_3genE3ELNS1_11target_archE908ELNS1_3gpuE7ELNS1_3repE0EEENS1_30default_config_static_selectorELNS0_4arch9wavefront6targetE1EEEvT1_, .Lfunc_end168-_ZN7rocprim17ROCPRIM_400000_NS6detail17trampoline_kernelINS0_14default_configENS1_27scan_by_key_config_selectorIiiEEZZNS1_16scan_by_key_implILNS1_25lookback_scan_determinismE0ELb0ES3_N6thrust23THRUST_200600_302600_NS6detail15normal_iteratorINS9_10device_ptrIiEEEESE_SE_iNS9_10multipliesIiEENS9_8equal_toIiEEiEE10hipError_tPvRmT2_T3_T4_T5_mT6_T7_P12ihipStream_tbENKUlT_T0_E_clISt17integral_constantIbLb0EESZ_EEDaSU_SV_EUlSU_E_NS1_11comp_targetILNS1_3genE3ELNS1_11target_archE908ELNS1_3gpuE7ELNS1_3repE0EEENS1_30default_config_static_selectorELNS0_4arch9wavefront6targetE1EEEvT1_
                                        ; -- End function
	.section	.AMDGPU.csdata,"",@progbits
; Kernel info:
; codeLenInByte = 0
; NumSgprs: 6
; NumVgprs: 0
; NumAgprs: 0
; TotalNumVgprs: 0
; ScratchSize: 0
; MemoryBound: 0
; FloatMode: 240
; IeeeMode: 1
; LDSByteSize: 0 bytes/workgroup (compile time only)
; SGPRBlocks: 0
; VGPRBlocks: 0
; NumSGPRsForWavesPerEU: 6
; NumVGPRsForWavesPerEU: 1
; AccumOffset: 4
; Occupancy: 8
; WaveLimiterHint : 0
; COMPUTE_PGM_RSRC2:SCRATCH_EN: 0
; COMPUTE_PGM_RSRC2:USER_SGPR: 2
; COMPUTE_PGM_RSRC2:TRAP_HANDLER: 0
; COMPUTE_PGM_RSRC2:TGID_X_EN: 1
; COMPUTE_PGM_RSRC2:TGID_Y_EN: 0
; COMPUTE_PGM_RSRC2:TGID_Z_EN: 0
; COMPUTE_PGM_RSRC2:TIDIG_COMP_CNT: 0
; COMPUTE_PGM_RSRC3_GFX90A:ACCUM_OFFSET: 0
; COMPUTE_PGM_RSRC3_GFX90A:TG_SPLIT: 0
	.section	.text._ZN7rocprim17ROCPRIM_400000_NS6detail17trampoline_kernelINS0_14default_configENS1_27scan_by_key_config_selectorIiiEEZZNS1_16scan_by_key_implILNS1_25lookback_scan_determinismE0ELb0ES3_N6thrust23THRUST_200600_302600_NS6detail15normal_iteratorINS9_10device_ptrIiEEEESE_SE_iNS9_10multipliesIiEENS9_8equal_toIiEEiEE10hipError_tPvRmT2_T3_T4_T5_mT6_T7_P12ihipStream_tbENKUlT_T0_E_clISt17integral_constantIbLb0EESZ_EEDaSU_SV_EUlSU_E_NS1_11comp_targetILNS1_3genE2ELNS1_11target_archE906ELNS1_3gpuE6ELNS1_3repE0EEENS1_30default_config_static_selectorELNS0_4arch9wavefront6targetE1EEEvT1_,"axG",@progbits,_ZN7rocprim17ROCPRIM_400000_NS6detail17trampoline_kernelINS0_14default_configENS1_27scan_by_key_config_selectorIiiEEZZNS1_16scan_by_key_implILNS1_25lookback_scan_determinismE0ELb0ES3_N6thrust23THRUST_200600_302600_NS6detail15normal_iteratorINS9_10device_ptrIiEEEESE_SE_iNS9_10multipliesIiEENS9_8equal_toIiEEiEE10hipError_tPvRmT2_T3_T4_T5_mT6_T7_P12ihipStream_tbENKUlT_T0_E_clISt17integral_constantIbLb0EESZ_EEDaSU_SV_EUlSU_E_NS1_11comp_targetILNS1_3genE2ELNS1_11target_archE906ELNS1_3gpuE6ELNS1_3repE0EEENS1_30default_config_static_selectorELNS0_4arch9wavefront6targetE1EEEvT1_,comdat
	.protected	_ZN7rocprim17ROCPRIM_400000_NS6detail17trampoline_kernelINS0_14default_configENS1_27scan_by_key_config_selectorIiiEEZZNS1_16scan_by_key_implILNS1_25lookback_scan_determinismE0ELb0ES3_N6thrust23THRUST_200600_302600_NS6detail15normal_iteratorINS9_10device_ptrIiEEEESE_SE_iNS9_10multipliesIiEENS9_8equal_toIiEEiEE10hipError_tPvRmT2_T3_T4_T5_mT6_T7_P12ihipStream_tbENKUlT_T0_E_clISt17integral_constantIbLb0EESZ_EEDaSU_SV_EUlSU_E_NS1_11comp_targetILNS1_3genE2ELNS1_11target_archE906ELNS1_3gpuE6ELNS1_3repE0EEENS1_30default_config_static_selectorELNS0_4arch9wavefront6targetE1EEEvT1_ ; -- Begin function _ZN7rocprim17ROCPRIM_400000_NS6detail17trampoline_kernelINS0_14default_configENS1_27scan_by_key_config_selectorIiiEEZZNS1_16scan_by_key_implILNS1_25lookback_scan_determinismE0ELb0ES3_N6thrust23THRUST_200600_302600_NS6detail15normal_iteratorINS9_10device_ptrIiEEEESE_SE_iNS9_10multipliesIiEENS9_8equal_toIiEEiEE10hipError_tPvRmT2_T3_T4_T5_mT6_T7_P12ihipStream_tbENKUlT_T0_E_clISt17integral_constantIbLb0EESZ_EEDaSU_SV_EUlSU_E_NS1_11comp_targetILNS1_3genE2ELNS1_11target_archE906ELNS1_3gpuE6ELNS1_3repE0EEENS1_30default_config_static_selectorELNS0_4arch9wavefront6targetE1EEEvT1_
	.globl	_ZN7rocprim17ROCPRIM_400000_NS6detail17trampoline_kernelINS0_14default_configENS1_27scan_by_key_config_selectorIiiEEZZNS1_16scan_by_key_implILNS1_25lookback_scan_determinismE0ELb0ES3_N6thrust23THRUST_200600_302600_NS6detail15normal_iteratorINS9_10device_ptrIiEEEESE_SE_iNS9_10multipliesIiEENS9_8equal_toIiEEiEE10hipError_tPvRmT2_T3_T4_T5_mT6_T7_P12ihipStream_tbENKUlT_T0_E_clISt17integral_constantIbLb0EESZ_EEDaSU_SV_EUlSU_E_NS1_11comp_targetILNS1_3genE2ELNS1_11target_archE906ELNS1_3gpuE6ELNS1_3repE0EEENS1_30default_config_static_selectorELNS0_4arch9wavefront6targetE1EEEvT1_
	.p2align	8
	.type	_ZN7rocprim17ROCPRIM_400000_NS6detail17trampoline_kernelINS0_14default_configENS1_27scan_by_key_config_selectorIiiEEZZNS1_16scan_by_key_implILNS1_25lookback_scan_determinismE0ELb0ES3_N6thrust23THRUST_200600_302600_NS6detail15normal_iteratorINS9_10device_ptrIiEEEESE_SE_iNS9_10multipliesIiEENS9_8equal_toIiEEiEE10hipError_tPvRmT2_T3_T4_T5_mT6_T7_P12ihipStream_tbENKUlT_T0_E_clISt17integral_constantIbLb0EESZ_EEDaSU_SV_EUlSU_E_NS1_11comp_targetILNS1_3genE2ELNS1_11target_archE906ELNS1_3gpuE6ELNS1_3repE0EEENS1_30default_config_static_selectorELNS0_4arch9wavefront6targetE1EEEvT1_,@function
_ZN7rocprim17ROCPRIM_400000_NS6detail17trampoline_kernelINS0_14default_configENS1_27scan_by_key_config_selectorIiiEEZZNS1_16scan_by_key_implILNS1_25lookback_scan_determinismE0ELb0ES3_N6thrust23THRUST_200600_302600_NS6detail15normal_iteratorINS9_10device_ptrIiEEEESE_SE_iNS9_10multipliesIiEENS9_8equal_toIiEEiEE10hipError_tPvRmT2_T3_T4_T5_mT6_T7_P12ihipStream_tbENKUlT_T0_E_clISt17integral_constantIbLb0EESZ_EEDaSU_SV_EUlSU_E_NS1_11comp_targetILNS1_3genE2ELNS1_11target_archE906ELNS1_3gpuE6ELNS1_3repE0EEENS1_30default_config_static_selectorELNS0_4arch9wavefront6targetE1EEEvT1_: ; @_ZN7rocprim17ROCPRIM_400000_NS6detail17trampoline_kernelINS0_14default_configENS1_27scan_by_key_config_selectorIiiEEZZNS1_16scan_by_key_implILNS1_25lookback_scan_determinismE0ELb0ES3_N6thrust23THRUST_200600_302600_NS6detail15normal_iteratorINS9_10device_ptrIiEEEESE_SE_iNS9_10multipliesIiEENS9_8equal_toIiEEiEE10hipError_tPvRmT2_T3_T4_T5_mT6_T7_P12ihipStream_tbENKUlT_T0_E_clISt17integral_constantIbLb0EESZ_EEDaSU_SV_EUlSU_E_NS1_11comp_targetILNS1_3genE2ELNS1_11target_archE906ELNS1_3gpuE6ELNS1_3repE0EEENS1_30default_config_static_selectorELNS0_4arch9wavefront6targetE1EEEvT1_
; %bb.0:
	.section	.rodata,"a",@progbits
	.p2align	6, 0x0
	.amdhsa_kernel _ZN7rocprim17ROCPRIM_400000_NS6detail17trampoline_kernelINS0_14default_configENS1_27scan_by_key_config_selectorIiiEEZZNS1_16scan_by_key_implILNS1_25lookback_scan_determinismE0ELb0ES3_N6thrust23THRUST_200600_302600_NS6detail15normal_iteratorINS9_10device_ptrIiEEEESE_SE_iNS9_10multipliesIiEENS9_8equal_toIiEEiEE10hipError_tPvRmT2_T3_T4_T5_mT6_T7_P12ihipStream_tbENKUlT_T0_E_clISt17integral_constantIbLb0EESZ_EEDaSU_SV_EUlSU_E_NS1_11comp_targetILNS1_3genE2ELNS1_11target_archE906ELNS1_3gpuE6ELNS1_3repE0EEENS1_30default_config_static_selectorELNS0_4arch9wavefront6targetE1EEEvT1_
		.amdhsa_group_segment_fixed_size 0
		.amdhsa_private_segment_fixed_size 0
		.amdhsa_kernarg_size 112
		.amdhsa_user_sgpr_count 2
		.amdhsa_user_sgpr_dispatch_ptr 0
		.amdhsa_user_sgpr_queue_ptr 0
		.amdhsa_user_sgpr_kernarg_segment_ptr 1
		.amdhsa_user_sgpr_dispatch_id 0
		.amdhsa_user_sgpr_kernarg_preload_length 0
		.amdhsa_user_sgpr_kernarg_preload_offset 0
		.amdhsa_user_sgpr_private_segment_size 0
		.amdhsa_uses_dynamic_stack 0
		.amdhsa_enable_private_segment 0
		.amdhsa_system_sgpr_workgroup_id_x 1
		.amdhsa_system_sgpr_workgroup_id_y 0
		.amdhsa_system_sgpr_workgroup_id_z 0
		.amdhsa_system_sgpr_workgroup_info 0
		.amdhsa_system_vgpr_workitem_id 0
		.amdhsa_next_free_vgpr 1
		.amdhsa_next_free_sgpr 0
		.amdhsa_accum_offset 4
		.amdhsa_reserve_vcc 0
		.amdhsa_float_round_mode_32 0
		.amdhsa_float_round_mode_16_64 0
		.amdhsa_float_denorm_mode_32 3
		.amdhsa_float_denorm_mode_16_64 3
		.amdhsa_dx10_clamp 1
		.amdhsa_ieee_mode 1
		.amdhsa_fp16_overflow 0
		.amdhsa_tg_split 0
		.amdhsa_exception_fp_ieee_invalid_op 0
		.amdhsa_exception_fp_denorm_src 0
		.amdhsa_exception_fp_ieee_div_zero 0
		.amdhsa_exception_fp_ieee_overflow 0
		.amdhsa_exception_fp_ieee_underflow 0
		.amdhsa_exception_fp_ieee_inexact 0
		.amdhsa_exception_int_div_zero 0
	.end_amdhsa_kernel
	.section	.text._ZN7rocprim17ROCPRIM_400000_NS6detail17trampoline_kernelINS0_14default_configENS1_27scan_by_key_config_selectorIiiEEZZNS1_16scan_by_key_implILNS1_25lookback_scan_determinismE0ELb0ES3_N6thrust23THRUST_200600_302600_NS6detail15normal_iteratorINS9_10device_ptrIiEEEESE_SE_iNS9_10multipliesIiEENS9_8equal_toIiEEiEE10hipError_tPvRmT2_T3_T4_T5_mT6_T7_P12ihipStream_tbENKUlT_T0_E_clISt17integral_constantIbLb0EESZ_EEDaSU_SV_EUlSU_E_NS1_11comp_targetILNS1_3genE2ELNS1_11target_archE906ELNS1_3gpuE6ELNS1_3repE0EEENS1_30default_config_static_selectorELNS0_4arch9wavefront6targetE1EEEvT1_,"axG",@progbits,_ZN7rocprim17ROCPRIM_400000_NS6detail17trampoline_kernelINS0_14default_configENS1_27scan_by_key_config_selectorIiiEEZZNS1_16scan_by_key_implILNS1_25lookback_scan_determinismE0ELb0ES3_N6thrust23THRUST_200600_302600_NS6detail15normal_iteratorINS9_10device_ptrIiEEEESE_SE_iNS9_10multipliesIiEENS9_8equal_toIiEEiEE10hipError_tPvRmT2_T3_T4_T5_mT6_T7_P12ihipStream_tbENKUlT_T0_E_clISt17integral_constantIbLb0EESZ_EEDaSU_SV_EUlSU_E_NS1_11comp_targetILNS1_3genE2ELNS1_11target_archE906ELNS1_3gpuE6ELNS1_3repE0EEENS1_30default_config_static_selectorELNS0_4arch9wavefront6targetE1EEEvT1_,comdat
.Lfunc_end169:
	.size	_ZN7rocprim17ROCPRIM_400000_NS6detail17trampoline_kernelINS0_14default_configENS1_27scan_by_key_config_selectorIiiEEZZNS1_16scan_by_key_implILNS1_25lookback_scan_determinismE0ELb0ES3_N6thrust23THRUST_200600_302600_NS6detail15normal_iteratorINS9_10device_ptrIiEEEESE_SE_iNS9_10multipliesIiEENS9_8equal_toIiEEiEE10hipError_tPvRmT2_T3_T4_T5_mT6_T7_P12ihipStream_tbENKUlT_T0_E_clISt17integral_constantIbLb0EESZ_EEDaSU_SV_EUlSU_E_NS1_11comp_targetILNS1_3genE2ELNS1_11target_archE906ELNS1_3gpuE6ELNS1_3repE0EEENS1_30default_config_static_selectorELNS0_4arch9wavefront6targetE1EEEvT1_, .Lfunc_end169-_ZN7rocprim17ROCPRIM_400000_NS6detail17trampoline_kernelINS0_14default_configENS1_27scan_by_key_config_selectorIiiEEZZNS1_16scan_by_key_implILNS1_25lookback_scan_determinismE0ELb0ES3_N6thrust23THRUST_200600_302600_NS6detail15normal_iteratorINS9_10device_ptrIiEEEESE_SE_iNS9_10multipliesIiEENS9_8equal_toIiEEiEE10hipError_tPvRmT2_T3_T4_T5_mT6_T7_P12ihipStream_tbENKUlT_T0_E_clISt17integral_constantIbLb0EESZ_EEDaSU_SV_EUlSU_E_NS1_11comp_targetILNS1_3genE2ELNS1_11target_archE906ELNS1_3gpuE6ELNS1_3repE0EEENS1_30default_config_static_selectorELNS0_4arch9wavefront6targetE1EEEvT1_
                                        ; -- End function
	.section	.AMDGPU.csdata,"",@progbits
; Kernel info:
; codeLenInByte = 0
; NumSgprs: 6
; NumVgprs: 0
; NumAgprs: 0
; TotalNumVgprs: 0
; ScratchSize: 0
; MemoryBound: 0
; FloatMode: 240
; IeeeMode: 1
; LDSByteSize: 0 bytes/workgroup (compile time only)
; SGPRBlocks: 0
; VGPRBlocks: 0
; NumSGPRsForWavesPerEU: 6
; NumVGPRsForWavesPerEU: 1
; AccumOffset: 4
; Occupancy: 8
; WaveLimiterHint : 0
; COMPUTE_PGM_RSRC2:SCRATCH_EN: 0
; COMPUTE_PGM_RSRC2:USER_SGPR: 2
; COMPUTE_PGM_RSRC2:TRAP_HANDLER: 0
; COMPUTE_PGM_RSRC2:TGID_X_EN: 1
; COMPUTE_PGM_RSRC2:TGID_Y_EN: 0
; COMPUTE_PGM_RSRC2:TGID_Z_EN: 0
; COMPUTE_PGM_RSRC2:TIDIG_COMP_CNT: 0
; COMPUTE_PGM_RSRC3_GFX90A:ACCUM_OFFSET: 0
; COMPUTE_PGM_RSRC3_GFX90A:TG_SPLIT: 0
	.section	.text._ZN7rocprim17ROCPRIM_400000_NS6detail17trampoline_kernelINS0_14default_configENS1_27scan_by_key_config_selectorIiiEEZZNS1_16scan_by_key_implILNS1_25lookback_scan_determinismE0ELb0ES3_N6thrust23THRUST_200600_302600_NS6detail15normal_iteratorINS9_10device_ptrIiEEEESE_SE_iNS9_10multipliesIiEENS9_8equal_toIiEEiEE10hipError_tPvRmT2_T3_T4_T5_mT6_T7_P12ihipStream_tbENKUlT_T0_E_clISt17integral_constantIbLb0EESZ_EEDaSU_SV_EUlSU_E_NS1_11comp_targetILNS1_3genE10ELNS1_11target_archE1200ELNS1_3gpuE4ELNS1_3repE0EEENS1_30default_config_static_selectorELNS0_4arch9wavefront6targetE1EEEvT1_,"axG",@progbits,_ZN7rocprim17ROCPRIM_400000_NS6detail17trampoline_kernelINS0_14default_configENS1_27scan_by_key_config_selectorIiiEEZZNS1_16scan_by_key_implILNS1_25lookback_scan_determinismE0ELb0ES3_N6thrust23THRUST_200600_302600_NS6detail15normal_iteratorINS9_10device_ptrIiEEEESE_SE_iNS9_10multipliesIiEENS9_8equal_toIiEEiEE10hipError_tPvRmT2_T3_T4_T5_mT6_T7_P12ihipStream_tbENKUlT_T0_E_clISt17integral_constantIbLb0EESZ_EEDaSU_SV_EUlSU_E_NS1_11comp_targetILNS1_3genE10ELNS1_11target_archE1200ELNS1_3gpuE4ELNS1_3repE0EEENS1_30default_config_static_selectorELNS0_4arch9wavefront6targetE1EEEvT1_,comdat
	.protected	_ZN7rocprim17ROCPRIM_400000_NS6detail17trampoline_kernelINS0_14default_configENS1_27scan_by_key_config_selectorIiiEEZZNS1_16scan_by_key_implILNS1_25lookback_scan_determinismE0ELb0ES3_N6thrust23THRUST_200600_302600_NS6detail15normal_iteratorINS9_10device_ptrIiEEEESE_SE_iNS9_10multipliesIiEENS9_8equal_toIiEEiEE10hipError_tPvRmT2_T3_T4_T5_mT6_T7_P12ihipStream_tbENKUlT_T0_E_clISt17integral_constantIbLb0EESZ_EEDaSU_SV_EUlSU_E_NS1_11comp_targetILNS1_3genE10ELNS1_11target_archE1200ELNS1_3gpuE4ELNS1_3repE0EEENS1_30default_config_static_selectorELNS0_4arch9wavefront6targetE1EEEvT1_ ; -- Begin function _ZN7rocprim17ROCPRIM_400000_NS6detail17trampoline_kernelINS0_14default_configENS1_27scan_by_key_config_selectorIiiEEZZNS1_16scan_by_key_implILNS1_25lookback_scan_determinismE0ELb0ES3_N6thrust23THRUST_200600_302600_NS6detail15normal_iteratorINS9_10device_ptrIiEEEESE_SE_iNS9_10multipliesIiEENS9_8equal_toIiEEiEE10hipError_tPvRmT2_T3_T4_T5_mT6_T7_P12ihipStream_tbENKUlT_T0_E_clISt17integral_constantIbLb0EESZ_EEDaSU_SV_EUlSU_E_NS1_11comp_targetILNS1_3genE10ELNS1_11target_archE1200ELNS1_3gpuE4ELNS1_3repE0EEENS1_30default_config_static_selectorELNS0_4arch9wavefront6targetE1EEEvT1_
	.globl	_ZN7rocprim17ROCPRIM_400000_NS6detail17trampoline_kernelINS0_14default_configENS1_27scan_by_key_config_selectorIiiEEZZNS1_16scan_by_key_implILNS1_25lookback_scan_determinismE0ELb0ES3_N6thrust23THRUST_200600_302600_NS6detail15normal_iteratorINS9_10device_ptrIiEEEESE_SE_iNS9_10multipliesIiEENS9_8equal_toIiEEiEE10hipError_tPvRmT2_T3_T4_T5_mT6_T7_P12ihipStream_tbENKUlT_T0_E_clISt17integral_constantIbLb0EESZ_EEDaSU_SV_EUlSU_E_NS1_11comp_targetILNS1_3genE10ELNS1_11target_archE1200ELNS1_3gpuE4ELNS1_3repE0EEENS1_30default_config_static_selectorELNS0_4arch9wavefront6targetE1EEEvT1_
	.p2align	8
	.type	_ZN7rocprim17ROCPRIM_400000_NS6detail17trampoline_kernelINS0_14default_configENS1_27scan_by_key_config_selectorIiiEEZZNS1_16scan_by_key_implILNS1_25lookback_scan_determinismE0ELb0ES3_N6thrust23THRUST_200600_302600_NS6detail15normal_iteratorINS9_10device_ptrIiEEEESE_SE_iNS9_10multipliesIiEENS9_8equal_toIiEEiEE10hipError_tPvRmT2_T3_T4_T5_mT6_T7_P12ihipStream_tbENKUlT_T0_E_clISt17integral_constantIbLb0EESZ_EEDaSU_SV_EUlSU_E_NS1_11comp_targetILNS1_3genE10ELNS1_11target_archE1200ELNS1_3gpuE4ELNS1_3repE0EEENS1_30default_config_static_selectorELNS0_4arch9wavefront6targetE1EEEvT1_,@function
_ZN7rocprim17ROCPRIM_400000_NS6detail17trampoline_kernelINS0_14default_configENS1_27scan_by_key_config_selectorIiiEEZZNS1_16scan_by_key_implILNS1_25lookback_scan_determinismE0ELb0ES3_N6thrust23THRUST_200600_302600_NS6detail15normal_iteratorINS9_10device_ptrIiEEEESE_SE_iNS9_10multipliesIiEENS9_8equal_toIiEEiEE10hipError_tPvRmT2_T3_T4_T5_mT6_T7_P12ihipStream_tbENKUlT_T0_E_clISt17integral_constantIbLb0EESZ_EEDaSU_SV_EUlSU_E_NS1_11comp_targetILNS1_3genE10ELNS1_11target_archE1200ELNS1_3gpuE4ELNS1_3repE0EEENS1_30default_config_static_selectorELNS0_4arch9wavefront6targetE1EEEvT1_: ; @_ZN7rocprim17ROCPRIM_400000_NS6detail17trampoline_kernelINS0_14default_configENS1_27scan_by_key_config_selectorIiiEEZZNS1_16scan_by_key_implILNS1_25lookback_scan_determinismE0ELb0ES3_N6thrust23THRUST_200600_302600_NS6detail15normal_iteratorINS9_10device_ptrIiEEEESE_SE_iNS9_10multipliesIiEENS9_8equal_toIiEEiEE10hipError_tPvRmT2_T3_T4_T5_mT6_T7_P12ihipStream_tbENKUlT_T0_E_clISt17integral_constantIbLb0EESZ_EEDaSU_SV_EUlSU_E_NS1_11comp_targetILNS1_3genE10ELNS1_11target_archE1200ELNS1_3gpuE4ELNS1_3repE0EEENS1_30default_config_static_selectorELNS0_4arch9wavefront6targetE1EEEvT1_
; %bb.0:
	.section	.rodata,"a",@progbits
	.p2align	6, 0x0
	.amdhsa_kernel _ZN7rocprim17ROCPRIM_400000_NS6detail17trampoline_kernelINS0_14default_configENS1_27scan_by_key_config_selectorIiiEEZZNS1_16scan_by_key_implILNS1_25lookback_scan_determinismE0ELb0ES3_N6thrust23THRUST_200600_302600_NS6detail15normal_iteratorINS9_10device_ptrIiEEEESE_SE_iNS9_10multipliesIiEENS9_8equal_toIiEEiEE10hipError_tPvRmT2_T3_T4_T5_mT6_T7_P12ihipStream_tbENKUlT_T0_E_clISt17integral_constantIbLb0EESZ_EEDaSU_SV_EUlSU_E_NS1_11comp_targetILNS1_3genE10ELNS1_11target_archE1200ELNS1_3gpuE4ELNS1_3repE0EEENS1_30default_config_static_selectorELNS0_4arch9wavefront6targetE1EEEvT1_
		.amdhsa_group_segment_fixed_size 0
		.amdhsa_private_segment_fixed_size 0
		.amdhsa_kernarg_size 112
		.amdhsa_user_sgpr_count 2
		.amdhsa_user_sgpr_dispatch_ptr 0
		.amdhsa_user_sgpr_queue_ptr 0
		.amdhsa_user_sgpr_kernarg_segment_ptr 1
		.amdhsa_user_sgpr_dispatch_id 0
		.amdhsa_user_sgpr_kernarg_preload_length 0
		.amdhsa_user_sgpr_kernarg_preload_offset 0
		.amdhsa_user_sgpr_private_segment_size 0
		.amdhsa_uses_dynamic_stack 0
		.amdhsa_enable_private_segment 0
		.amdhsa_system_sgpr_workgroup_id_x 1
		.amdhsa_system_sgpr_workgroup_id_y 0
		.amdhsa_system_sgpr_workgroup_id_z 0
		.amdhsa_system_sgpr_workgroup_info 0
		.amdhsa_system_vgpr_workitem_id 0
		.amdhsa_next_free_vgpr 1
		.amdhsa_next_free_sgpr 0
		.amdhsa_accum_offset 4
		.amdhsa_reserve_vcc 0
		.amdhsa_float_round_mode_32 0
		.amdhsa_float_round_mode_16_64 0
		.amdhsa_float_denorm_mode_32 3
		.amdhsa_float_denorm_mode_16_64 3
		.amdhsa_dx10_clamp 1
		.amdhsa_ieee_mode 1
		.amdhsa_fp16_overflow 0
		.amdhsa_tg_split 0
		.amdhsa_exception_fp_ieee_invalid_op 0
		.amdhsa_exception_fp_denorm_src 0
		.amdhsa_exception_fp_ieee_div_zero 0
		.amdhsa_exception_fp_ieee_overflow 0
		.amdhsa_exception_fp_ieee_underflow 0
		.amdhsa_exception_fp_ieee_inexact 0
		.amdhsa_exception_int_div_zero 0
	.end_amdhsa_kernel
	.section	.text._ZN7rocprim17ROCPRIM_400000_NS6detail17trampoline_kernelINS0_14default_configENS1_27scan_by_key_config_selectorIiiEEZZNS1_16scan_by_key_implILNS1_25lookback_scan_determinismE0ELb0ES3_N6thrust23THRUST_200600_302600_NS6detail15normal_iteratorINS9_10device_ptrIiEEEESE_SE_iNS9_10multipliesIiEENS9_8equal_toIiEEiEE10hipError_tPvRmT2_T3_T4_T5_mT6_T7_P12ihipStream_tbENKUlT_T0_E_clISt17integral_constantIbLb0EESZ_EEDaSU_SV_EUlSU_E_NS1_11comp_targetILNS1_3genE10ELNS1_11target_archE1200ELNS1_3gpuE4ELNS1_3repE0EEENS1_30default_config_static_selectorELNS0_4arch9wavefront6targetE1EEEvT1_,"axG",@progbits,_ZN7rocprim17ROCPRIM_400000_NS6detail17trampoline_kernelINS0_14default_configENS1_27scan_by_key_config_selectorIiiEEZZNS1_16scan_by_key_implILNS1_25lookback_scan_determinismE0ELb0ES3_N6thrust23THRUST_200600_302600_NS6detail15normal_iteratorINS9_10device_ptrIiEEEESE_SE_iNS9_10multipliesIiEENS9_8equal_toIiEEiEE10hipError_tPvRmT2_T3_T4_T5_mT6_T7_P12ihipStream_tbENKUlT_T0_E_clISt17integral_constantIbLb0EESZ_EEDaSU_SV_EUlSU_E_NS1_11comp_targetILNS1_3genE10ELNS1_11target_archE1200ELNS1_3gpuE4ELNS1_3repE0EEENS1_30default_config_static_selectorELNS0_4arch9wavefront6targetE1EEEvT1_,comdat
.Lfunc_end170:
	.size	_ZN7rocprim17ROCPRIM_400000_NS6detail17trampoline_kernelINS0_14default_configENS1_27scan_by_key_config_selectorIiiEEZZNS1_16scan_by_key_implILNS1_25lookback_scan_determinismE0ELb0ES3_N6thrust23THRUST_200600_302600_NS6detail15normal_iteratorINS9_10device_ptrIiEEEESE_SE_iNS9_10multipliesIiEENS9_8equal_toIiEEiEE10hipError_tPvRmT2_T3_T4_T5_mT6_T7_P12ihipStream_tbENKUlT_T0_E_clISt17integral_constantIbLb0EESZ_EEDaSU_SV_EUlSU_E_NS1_11comp_targetILNS1_3genE10ELNS1_11target_archE1200ELNS1_3gpuE4ELNS1_3repE0EEENS1_30default_config_static_selectorELNS0_4arch9wavefront6targetE1EEEvT1_, .Lfunc_end170-_ZN7rocprim17ROCPRIM_400000_NS6detail17trampoline_kernelINS0_14default_configENS1_27scan_by_key_config_selectorIiiEEZZNS1_16scan_by_key_implILNS1_25lookback_scan_determinismE0ELb0ES3_N6thrust23THRUST_200600_302600_NS6detail15normal_iteratorINS9_10device_ptrIiEEEESE_SE_iNS9_10multipliesIiEENS9_8equal_toIiEEiEE10hipError_tPvRmT2_T3_T4_T5_mT6_T7_P12ihipStream_tbENKUlT_T0_E_clISt17integral_constantIbLb0EESZ_EEDaSU_SV_EUlSU_E_NS1_11comp_targetILNS1_3genE10ELNS1_11target_archE1200ELNS1_3gpuE4ELNS1_3repE0EEENS1_30default_config_static_selectorELNS0_4arch9wavefront6targetE1EEEvT1_
                                        ; -- End function
	.section	.AMDGPU.csdata,"",@progbits
; Kernel info:
; codeLenInByte = 0
; NumSgprs: 6
; NumVgprs: 0
; NumAgprs: 0
; TotalNumVgprs: 0
; ScratchSize: 0
; MemoryBound: 0
; FloatMode: 240
; IeeeMode: 1
; LDSByteSize: 0 bytes/workgroup (compile time only)
; SGPRBlocks: 0
; VGPRBlocks: 0
; NumSGPRsForWavesPerEU: 6
; NumVGPRsForWavesPerEU: 1
; AccumOffset: 4
; Occupancy: 8
; WaveLimiterHint : 0
; COMPUTE_PGM_RSRC2:SCRATCH_EN: 0
; COMPUTE_PGM_RSRC2:USER_SGPR: 2
; COMPUTE_PGM_RSRC2:TRAP_HANDLER: 0
; COMPUTE_PGM_RSRC2:TGID_X_EN: 1
; COMPUTE_PGM_RSRC2:TGID_Y_EN: 0
; COMPUTE_PGM_RSRC2:TGID_Z_EN: 0
; COMPUTE_PGM_RSRC2:TIDIG_COMP_CNT: 0
; COMPUTE_PGM_RSRC3_GFX90A:ACCUM_OFFSET: 0
; COMPUTE_PGM_RSRC3_GFX90A:TG_SPLIT: 0
	.section	.text._ZN7rocprim17ROCPRIM_400000_NS6detail17trampoline_kernelINS0_14default_configENS1_27scan_by_key_config_selectorIiiEEZZNS1_16scan_by_key_implILNS1_25lookback_scan_determinismE0ELb0ES3_N6thrust23THRUST_200600_302600_NS6detail15normal_iteratorINS9_10device_ptrIiEEEESE_SE_iNS9_10multipliesIiEENS9_8equal_toIiEEiEE10hipError_tPvRmT2_T3_T4_T5_mT6_T7_P12ihipStream_tbENKUlT_T0_E_clISt17integral_constantIbLb0EESZ_EEDaSU_SV_EUlSU_E_NS1_11comp_targetILNS1_3genE9ELNS1_11target_archE1100ELNS1_3gpuE3ELNS1_3repE0EEENS1_30default_config_static_selectorELNS0_4arch9wavefront6targetE1EEEvT1_,"axG",@progbits,_ZN7rocprim17ROCPRIM_400000_NS6detail17trampoline_kernelINS0_14default_configENS1_27scan_by_key_config_selectorIiiEEZZNS1_16scan_by_key_implILNS1_25lookback_scan_determinismE0ELb0ES3_N6thrust23THRUST_200600_302600_NS6detail15normal_iteratorINS9_10device_ptrIiEEEESE_SE_iNS9_10multipliesIiEENS9_8equal_toIiEEiEE10hipError_tPvRmT2_T3_T4_T5_mT6_T7_P12ihipStream_tbENKUlT_T0_E_clISt17integral_constantIbLb0EESZ_EEDaSU_SV_EUlSU_E_NS1_11comp_targetILNS1_3genE9ELNS1_11target_archE1100ELNS1_3gpuE3ELNS1_3repE0EEENS1_30default_config_static_selectorELNS0_4arch9wavefront6targetE1EEEvT1_,comdat
	.protected	_ZN7rocprim17ROCPRIM_400000_NS6detail17trampoline_kernelINS0_14default_configENS1_27scan_by_key_config_selectorIiiEEZZNS1_16scan_by_key_implILNS1_25lookback_scan_determinismE0ELb0ES3_N6thrust23THRUST_200600_302600_NS6detail15normal_iteratorINS9_10device_ptrIiEEEESE_SE_iNS9_10multipliesIiEENS9_8equal_toIiEEiEE10hipError_tPvRmT2_T3_T4_T5_mT6_T7_P12ihipStream_tbENKUlT_T0_E_clISt17integral_constantIbLb0EESZ_EEDaSU_SV_EUlSU_E_NS1_11comp_targetILNS1_3genE9ELNS1_11target_archE1100ELNS1_3gpuE3ELNS1_3repE0EEENS1_30default_config_static_selectorELNS0_4arch9wavefront6targetE1EEEvT1_ ; -- Begin function _ZN7rocprim17ROCPRIM_400000_NS6detail17trampoline_kernelINS0_14default_configENS1_27scan_by_key_config_selectorIiiEEZZNS1_16scan_by_key_implILNS1_25lookback_scan_determinismE0ELb0ES3_N6thrust23THRUST_200600_302600_NS6detail15normal_iteratorINS9_10device_ptrIiEEEESE_SE_iNS9_10multipliesIiEENS9_8equal_toIiEEiEE10hipError_tPvRmT2_T3_T4_T5_mT6_T7_P12ihipStream_tbENKUlT_T0_E_clISt17integral_constantIbLb0EESZ_EEDaSU_SV_EUlSU_E_NS1_11comp_targetILNS1_3genE9ELNS1_11target_archE1100ELNS1_3gpuE3ELNS1_3repE0EEENS1_30default_config_static_selectorELNS0_4arch9wavefront6targetE1EEEvT1_
	.globl	_ZN7rocprim17ROCPRIM_400000_NS6detail17trampoline_kernelINS0_14default_configENS1_27scan_by_key_config_selectorIiiEEZZNS1_16scan_by_key_implILNS1_25lookback_scan_determinismE0ELb0ES3_N6thrust23THRUST_200600_302600_NS6detail15normal_iteratorINS9_10device_ptrIiEEEESE_SE_iNS9_10multipliesIiEENS9_8equal_toIiEEiEE10hipError_tPvRmT2_T3_T4_T5_mT6_T7_P12ihipStream_tbENKUlT_T0_E_clISt17integral_constantIbLb0EESZ_EEDaSU_SV_EUlSU_E_NS1_11comp_targetILNS1_3genE9ELNS1_11target_archE1100ELNS1_3gpuE3ELNS1_3repE0EEENS1_30default_config_static_selectorELNS0_4arch9wavefront6targetE1EEEvT1_
	.p2align	8
	.type	_ZN7rocprim17ROCPRIM_400000_NS6detail17trampoline_kernelINS0_14default_configENS1_27scan_by_key_config_selectorIiiEEZZNS1_16scan_by_key_implILNS1_25lookback_scan_determinismE0ELb0ES3_N6thrust23THRUST_200600_302600_NS6detail15normal_iteratorINS9_10device_ptrIiEEEESE_SE_iNS9_10multipliesIiEENS9_8equal_toIiEEiEE10hipError_tPvRmT2_T3_T4_T5_mT6_T7_P12ihipStream_tbENKUlT_T0_E_clISt17integral_constantIbLb0EESZ_EEDaSU_SV_EUlSU_E_NS1_11comp_targetILNS1_3genE9ELNS1_11target_archE1100ELNS1_3gpuE3ELNS1_3repE0EEENS1_30default_config_static_selectorELNS0_4arch9wavefront6targetE1EEEvT1_,@function
_ZN7rocprim17ROCPRIM_400000_NS6detail17trampoline_kernelINS0_14default_configENS1_27scan_by_key_config_selectorIiiEEZZNS1_16scan_by_key_implILNS1_25lookback_scan_determinismE0ELb0ES3_N6thrust23THRUST_200600_302600_NS6detail15normal_iteratorINS9_10device_ptrIiEEEESE_SE_iNS9_10multipliesIiEENS9_8equal_toIiEEiEE10hipError_tPvRmT2_T3_T4_T5_mT6_T7_P12ihipStream_tbENKUlT_T0_E_clISt17integral_constantIbLb0EESZ_EEDaSU_SV_EUlSU_E_NS1_11comp_targetILNS1_3genE9ELNS1_11target_archE1100ELNS1_3gpuE3ELNS1_3repE0EEENS1_30default_config_static_selectorELNS0_4arch9wavefront6targetE1EEEvT1_: ; @_ZN7rocprim17ROCPRIM_400000_NS6detail17trampoline_kernelINS0_14default_configENS1_27scan_by_key_config_selectorIiiEEZZNS1_16scan_by_key_implILNS1_25lookback_scan_determinismE0ELb0ES3_N6thrust23THRUST_200600_302600_NS6detail15normal_iteratorINS9_10device_ptrIiEEEESE_SE_iNS9_10multipliesIiEENS9_8equal_toIiEEiEE10hipError_tPvRmT2_T3_T4_T5_mT6_T7_P12ihipStream_tbENKUlT_T0_E_clISt17integral_constantIbLb0EESZ_EEDaSU_SV_EUlSU_E_NS1_11comp_targetILNS1_3genE9ELNS1_11target_archE1100ELNS1_3gpuE3ELNS1_3repE0EEENS1_30default_config_static_selectorELNS0_4arch9wavefront6targetE1EEEvT1_
; %bb.0:
	.section	.rodata,"a",@progbits
	.p2align	6, 0x0
	.amdhsa_kernel _ZN7rocprim17ROCPRIM_400000_NS6detail17trampoline_kernelINS0_14default_configENS1_27scan_by_key_config_selectorIiiEEZZNS1_16scan_by_key_implILNS1_25lookback_scan_determinismE0ELb0ES3_N6thrust23THRUST_200600_302600_NS6detail15normal_iteratorINS9_10device_ptrIiEEEESE_SE_iNS9_10multipliesIiEENS9_8equal_toIiEEiEE10hipError_tPvRmT2_T3_T4_T5_mT6_T7_P12ihipStream_tbENKUlT_T0_E_clISt17integral_constantIbLb0EESZ_EEDaSU_SV_EUlSU_E_NS1_11comp_targetILNS1_3genE9ELNS1_11target_archE1100ELNS1_3gpuE3ELNS1_3repE0EEENS1_30default_config_static_selectorELNS0_4arch9wavefront6targetE1EEEvT1_
		.amdhsa_group_segment_fixed_size 0
		.amdhsa_private_segment_fixed_size 0
		.amdhsa_kernarg_size 112
		.amdhsa_user_sgpr_count 2
		.amdhsa_user_sgpr_dispatch_ptr 0
		.amdhsa_user_sgpr_queue_ptr 0
		.amdhsa_user_sgpr_kernarg_segment_ptr 1
		.amdhsa_user_sgpr_dispatch_id 0
		.amdhsa_user_sgpr_kernarg_preload_length 0
		.amdhsa_user_sgpr_kernarg_preload_offset 0
		.amdhsa_user_sgpr_private_segment_size 0
		.amdhsa_uses_dynamic_stack 0
		.amdhsa_enable_private_segment 0
		.amdhsa_system_sgpr_workgroup_id_x 1
		.amdhsa_system_sgpr_workgroup_id_y 0
		.amdhsa_system_sgpr_workgroup_id_z 0
		.amdhsa_system_sgpr_workgroup_info 0
		.amdhsa_system_vgpr_workitem_id 0
		.amdhsa_next_free_vgpr 1
		.amdhsa_next_free_sgpr 0
		.amdhsa_accum_offset 4
		.amdhsa_reserve_vcc 0
		.amdhsa_float_round_mode_32 0
		.amdhsa_float_round_mode_16_64 0
		.amdhsa_float_denorm_mode_32 3
		.amdhsa_float_denorm_mode_16_64 3
		.amdhsa_dx10_clamp 1
		.amdhsa_ieee_mode 1
		.amdhsa_fp16_overflow 0
		.amdhsa_tg_split 0
		.amdhsa_exception_fp_ieee_invalid_op 0
		.amdhsa_exception_fp_denorm_src 0
		.amdhsa_exception_fp_ieee_div_zero 0
		.amdhsa_exception_fp_ieee_overflow 0
		.amdhsa_exception_fp_ieee_underflow 0
		.amdhsa_exception_fp_ieee_inexact 0
		.amdhsa_exception_int_div_zero 0
	.end_amdhsa_kernel
	.section	.text._ZN7rocprim17ROCPRIM_400000_NS6detail17trampoline_kernelINS0_14default_configENS1_27scan_by_key_config_selectorIiiEEZZNS1_16scan_by_key_implILNS1_25lookback_scan_determinismE0ELb0ES3_N6thrust23THRUST_200600_302600_NS6detail15normal_iteratorINS9_10device_ptrIiEEEESE_SE_iNS9_10multipliesIiEENS9_8equal_toIiEEiEE10hipError_tPvRmT2_T3_T4_T5_mT6_T7_P12ihipStream_tbENKUlT_T0_E_clISt17integral_constantIbLb0EESZ_EEDaSU_SV_EUlSU_E_NS1_11comp_targetILNS1_3genE9ELNS1_11target_archE1100ELNS1_3gpuE3ELNS1_3repE0EEENS1_30default_config_static_selectorELNS0_4arch9wavefront6targetE1EEEvT1_,"axG",@progbits,_ZN7rocprim17ROCPRIM_400000_NS6detail17trampoline_kernelINS0_14default_configENS1_27scan_by_key_config_selectorIiiEEZZNS1_16scan_by_key_implILNS1_25lookback_scan_determinismE0ELb0ES3_N6thrust23THRUST_200600_302600_NS6detail15normal_iteratorINS9_10device_ptrIiEEEESE_SE_iNS9_10multipliesIiEENS9_8equal_toIiEEiEE10hipError_tPvRmT2_T3_T4_T5_mT6_T7_P12ihipStream_tbENKUlT_T0_E_clISt17integral_constantIbLb0EESZ_EEDaSU_SV_EUlSU_E_NS1_11comp_targetILNS1_3genE9ELNS1_11target_archE1100ELNS1_3gpuE3ELNS1_3repE0EEENS1_30default_config_static_selectorELNS0_4arch9wavefront6targetE1EEEvT1_,comdat
.Lfunc_end171:
	.size	_ZN7rocprim17ROCPRIM_400000_NS6detail17trampoline_kernelINS0_14default_configENS1_27scan_by_key_config_selectorIiiEEZZNS1_16scan_by_key_implILNS1_25lookback_scan_determinismE0ELb0ES3_N6thrust23THRUST_200600_302600_NS6detail15normal_iteratorINS9_10device_ptrIiEEEESE_SE_iNS9_10multipliesIiEENS9_8equal_toIiEEiEE10hipError_tPvRmT2_T3_T4_T5_mT6_T7_P12ihipStream_tbENKUlT_T0_E_clISt17integral_constantIbLb0EESZ_EEDaSU_SV_EUlSU_E_NS1_11comp_targetILNS1_3genE9ELNS1_11target_archE1100ELNS1_3gpuE3ELNS1_3repE0EEENS1_30default_config_static_selectorELNS0_4arch9wavefront6targetE1EEEvT1_, .Lfunc_end171-_ZN7rocprim17ROCPRIM_400000_NS6detail17trampoline_kernelINS0_14default_configENS1_27scan_by_key_config_selectorIiiEEZZNS1_16scan_by_key_implILNS1_25lookback_scan_determinismE0ELb0ES3_N6thrust23THRUST_200600_302600_NS6detail15normal_iteratorINS9_10device_ptrIiEEEESE_SE_iNS9_10multipliesIiEENS9_8equal_toIiEEiEE10hipError_tPvRmT2_T3_T4_T5_mT6_T7_P12ihipStream_tbENKUlT_T0_E_clISt17integral_constantIbLb0EESZ_EEDaSU_SV_EUlSU_E_NS1_11comp_targetILNS1_3genE9ELNS1_11target_archE1100ELNS1_3gpuE3ELNS1_3repE0EEENS1_30default_config_static_selectorELNS0_4arch9wavefront6targetE1EEEvT1_
                                        ; -- End function
	.section	.AMDGPU.csdata,"",@progbits
; Kernel info:
; codeLenInByte = 0
; NumSgprs: 6
; NumVgprs: 0
; NumAgprs: 0
; TotalNumVgprs: 0
; ScratchSize: 0
; MemoryBound: 0
; FloatMode: 240
; IeeeMode: 1
; LDSByteSize: 0 bytes/workgroup (compile time only)
; SGPRBlocks: 0
; VGPRBlocks: 0
; NumSGPRsForWavesPerEU: 6
; NumVGPRsForWavesPerEU: 1
; AccumOffset: 4
; Occupancy: 8
; WaveLimiterHint : 0
; COMPUTE_PGM_RSRC2:SCRATCH_EN: 0
; COMPUTE_PGM_RSRC2:USER_SGPR: 2
; COMPUTE_PGM_RSRC2:TRAP_HANDLER: 0
; COMPUTE_PGM_RSRC2:TGID_X_EN: 1
; COMPUTE_PGM_RSRC2:TGID_Y_EN: 0
; COMPUTE_PGM_RSRC2:TGID_Z_EN: 0
; COMPUTE_PGM_RSRC2:TIDIG_COMP_CNT: 0
; COMPUTE_PGM_RSRC3_GFX90A:ACCUM_OFFSET: 0
; COMPUTE_PGM_RSRC3_GFX90A:TG_SPLIT: 0
	.section	.text._ZN7rocprim17ROCPRIM_400000_NS6detail17trampoline_kernelINS0_14default_configENS1_27scan_by_key_config_selectorIiiEEZZNS1_16scan_by_key_implILNS1_25lookback_scan_determinismE0ELb0ES3_N6thrust23THRUST_200600_302600_NS6detail15normal_iteratorINS9_10device_ptrIiEEEESE_SE_iNS9_10multipliesIiEENS9_8equal_toIiEEiEE10hipError_tPvRmT2_T3_T4_T5_mT6_T7_P12ihipStream_tbENKUlT_T0_E_clISt17integral_constantIbLb0EESZ_EEDaSU_SV_EUlSU_E_NS1_11comp_targetILNS1_3genE8ELNS1_11target_archE1030ELNS1_3gpuE2ELNS1_3repE0EEENS1_30default_config_static_selectorELNS0_4arch9wavefront6targetE1EEEvT1_,"axG",@progbits,_ZN7rocprim17ROCPRIM_400000_NS6detail17trampoline_kernelINS0_14default_configENS1_27scan_by_key_config_selectorIiiEEZZNS1_16scan_by_key_implILNS1_25lookback_scan_determinismE0ELb0ES3_N6thrust23THRUST_200600_302600_NS6detail15normal_iteratorINS9_10device_ptrIiEEEESE_SE_iNS9_10multipliesIiEENS9_8equal_toIiEEiEE10hipError_tPvRmT2_T3_T4_T5_mT6_T7_P12ihipStream_tbENKUlT_T0_E_clISt17integral_constantIbLb0EESZ_EEDaSU_SV_EUlSU_E_NS1_11comp_targetILNS1_3genE8ELNS1_11target_archE1030ELNS1_3gpuE2ELNS1_3repE0EEENS1_30default_config_static_selectorELNS0_4arch9wavefront6targetE1EEEvT1_,comdat
	.protected	_ZN7rocprim17ROCPRIM_400000_NS6detail17trampoline_kernelINS0_14default_configENS1_27scan_by_key_config_selectorIiiEEZZNS1_16scan_by_key_implILNS1_25lookback_scan_determinismE0ELb0ES3_N6thrust23THRUST_200600_302600_NS6detail15normal_iteratorINS9_10device_ptrIiEEEESE_SE_iNS9_10multipliesIiEENS9_8equal_toIiEEiEE10hipError_tPvRmT2_T3_T4_T5_mT6_T7_P12ihipStream_tbENKUlT_T0_E_clISt17integral_constantIbLb0EESZ_EEDaSU_SV_EUlSU_E_NS1_11comp_targetILNS1_3genE8ELNS1_11target_archE1030ELNS1_3gpuE2ELNS1_3repE0EEENS1_30default_config_static_selectorELNS0_4arch9wavefront6targetE1EEEvT1_ ; -- Begin function _ZN7rocprim17ROCPRIM_400000_NS6detail17trampoline_kernelINS0_14default_configENS1_27scan_by_key_config_selectorIiiEEZZNS1_16scan_by_key_implILNS1_25lookback_scan_determinismE0ELb0ES3_N6thrust23THRUST_200600_302600_NS6detail15normal_iteratorINS9_10device_ptrIiEEEESE_SE_iNS9_10multipliesIiEENS9_8equal_toIiEEiEE10hipError_tPvRmT2_T3_T4_T5_mT6_T7_P12ihipStream_tbENKUlT_T0_E_clISt17integral_constantIbLb0EESZ_EEDaSU_SV_EUlSU_E_NS1_11comp_targetILNS1_3genE8ELNS1_11target_archE1030ELNS1_3gpuE2ELNS1_3repE0EEENS1_30default_config_static_selectorELNS0_4arch9wavefront6targetE1EEEvT1_
	.globl	_ZN7rocprim17ROCPRIM_400000_NS6detail17trampoline_kernelINS0_14default_configENS1_27scan_by_key_config_selectorIiiEEZZNS1_16scan_by_key_implILNS1_25lookback_scan_determinismE0ELb0ES3_N6thrust23THRUST_200600_302600_NS6detail15normal_iteratorINS9_10device_ptrIiEEEESE_SE_iNS9_10multipliesIiEENS9_8equal_toIiEEiEE10hipError_tPvRmT2_T3_T4_T5_mT6_T7_P12ihipStream_tbENKUlT_T0_E_clISt17integral_constantIbLb0EESZ_EEDaSU_SV_EUlSU_E_NS1_11comp_targetILNS1_3genE8ELNS1_11target_archE1030ELNS1_3gpuE2ELNS1_3repE0EEENS1_30default_config_static_selectorELNS0_4arch9wavefront6targetE1EEEvT1_
	.p2align	8
	.type	_ZN7rocprim17ROCPRIM_400000_NS6detail17trampoline_kernelINS0_14default_configENS1_27scan_by_key_config_selectorIiiEEZZNS1_16scan_by_key_implILNS1_25lookback_scan_determinismE0ELb0ES3_N6thrust23THRUST_200600_302600_NS6detail15normal_iteratorINS9_10device_ptrIiEEEESE_SE_iNS9_10multipliesIiEENS9_8equal_toIiEEiEE10hipError_tPvRmT2_T3_T4_T5_mT6_T7_P12ihipStream_tbENKUlT_T0_E_clISt17integral_constantIbLb0EESZ_EEDaSU_SV_EUlSU_E_NS1_11comp_targetILNS1_3genE8ELNS1_11target_archE1030ELNS1_3gpuE2ELNS1_3repE0EEENS1_30default_config_static_selectorELNS0_4arch9wavefront6targetE1EEEvT1_,@function
_ZN7rocprim17ROCPRIM_400000_NS6detail17trampoline_kernelINS0_14default_configENS1_27scan_by_key_config_selectorIiiEEZZNS1_16scan_by_key_implILNS1_25lookback_scan_determinismE0ELb0ES3_N6thrust23THRUST_200600_302600_NS6detail15normal_iteratorINS9_10device_ptrIiEEEESE_SE_iNS9_10multipliesIiEENS9_8equal_toIiEEiEE10hipError_tPvRmT2_T3_T4_T5_mT6_T7_P12ihipStream_tbENKUlT_T0_E_clISt17integral_constantIbLb0EESZ_EEDaSU_SV_EUlSU_E_NS1_11comp_targetILNS1_3genE8ELNS1_11target_archE1030ELNS1_3gpuE2ELNS1_3repE0EEENS1_30default_config_static_selectorELNS0_4arch9wavefront6targetE1EEEvT1_: ; @_ZN7rocprim17ROCPRIM_400000_NS6detail17trampoline_kernelINS0_14default_configENS1_27scan_by_key_config_selectorIiiEEZZNS1_16scan_by_key_implILNS1_25lookback_scan_determinismE0ELb0ES3_N6thrust23THRUST_200600_302600_NS6detail15normal_iteratorINS9_10device_ptrIiEEEESE_SE_iNS9_10multipliesIiEENS9_8equal_toIiEEiEE10hipError_tPvRmT2_T3_T4_T5_mT6_T7_P12ihipStream_tbENKUlT_T0_E_clISt17integral_constantIbLb0EESZ_EEDaSU_SV_EUlSU_E_NS1_11comp_targetILNS1_3genE8ELNS1_11target_archE1030ELNS1_3gpuE2ELNS1_3repE0EEENS1_30default_config_static_selectorELNS0_4arch9wavefront6targetE1EEEvT1_
; %bb.0:
	.section	.rodata,"a",@progbits
	.p2align	6, 0x0
	.amdhsa_kernel _ZN7rocprim17ROCPRIM_400000_NS6detail17trampoline_kernelINS0_14default_configENS1_27scan_by_key_config_selectorIiiEEZZNS1_16scan_by_key_implILNS1_25lookback_scan_determinismE0ELb0ES3_N6thrust23THRUST_200600_302600_NS6detail15normal_iteratorINS9_10device_ptrIiEEEESE_SE_iNS9_10multipliesIiEENS9_8equal_toIiEEiEE10hipError_tPvRmT2_T3_T4_T5_mT6_T7_P12ihipStream_tbENKUlT_T0_E_clISt17integral_constantIbLb0EESZ_EEDaSU_SV_EUlSU_E_NS1_11comp_targetILNS1_3genE8ELNS1_11target_archE1030ELNS1_3gpuE2ELNS1_3repE0EEENS1_30default_config_static_selectorELNS0_4arch9wavefront6targetE1EEEvT1_
		.amdhsa_group_segment_fixed_size 0
		.amdhsa_private_segment_fixed_size 0
		.amdhsa_kernarg_size 112
		.amdhsa_user_sgpr_count 2
		.amdhsa_user_sgpr_dispatch_ptr 0
		.amdhsa_user_sgpr_queue_ptr 0
		.amdhsa_user_sgpr_kernarg_segment_ptr 1
		.amdhsa_user_sgpr_dispatch_id 0
		.amdhsa_user_sgpr_kernarg_preload_length 0
		.amdhsa_user_sgpr_kernarg_preload_offset 0
		.amdhsa_user_sgpr_private_segment_size 0
		.amdhsa_uses_dynamic_stack 0
		.amdhsa_enable_private_segment 0
		.amdhsa_system_sgpr_workgroup_id_x 1
		.amdhsa_system_sgpr_workgroup_id_y 0
		.amdhsa_system_sgpr_workgroup_id_z 0
		.amdhsa_system_sgpr_workgroup_info 0
		.amdhsa_system_vgpr_workitem_id 0
		.amdhsa_next_free_vgpr 1
		.amdhsa_next_free_sgpr 0
		.amdhsa_accum_offset 4
		.amdhsa_reserve_vcc 0
		.amdhsa_float_round_mode_32 0
		.amdhsa_float_round_mode_16_64 0
		.amdhsa_float_denorm_mode_32 3
		.amdhsa_float_denorm_mode_16_64 3
		.amdhsa_dx10_clamp 1
		.amdhsa_ieee_mode 1
		.amdhsa_fp16_overflow 0
		.amdhsa_tg_split 0
		.amdhsa_exception_fp_ieee_invalid_op 0
		.amdhsa_exception_fp_denorm_src 0
		.amdhsa_exception_fp_ieee_div_zero 0
		.amdhsa_exception_fp_ieee_overflow 0
		.amdhsa_exception_fp_ieee_underflow 0
		.amdhsa_exception_fp_ieee_inexact 0
		.amdhsa_exception_int_div_zero 0
	.end_amdhsa_kernel
	.section	.text._ZN7rocprim17ROCPRIM_400000_NS6detail17trampoline_kernelINS0_14default_configENS1_27scan_by_key_config_selectorIiiEEZZNS1_16scan_by_key_implILNS1_25lookback_scan_determinismE0ELb0ES3_N6thrust23THRUST_200600_302600_NS6detail15normal_iteratorINS9_10device_ptrIiEEEESE_SE_iNS9_10multipliesIiEENS9_8equal_toIiEEiEE10hipError_tPvRmT2_T3_T4_T5_mT6_T7_P12ihipStream_tbENKUlT_T0_E_clISt17integral_constantIbLb0EESZ_EEDaSU_SV_EUlSU_E_NS1_11comp_targetILNS1_3genE8ELNS1_11target_archE1030ELNS1_3gpuE2ELNS1_3repE0EEENS1_30default_config_static_selectorELNS0_4arch9wavefront6targetE1EEEvT1_,"axG",@progbits,_ZN7rocprim17ROCPRIM_400000_NS6detail17trampoline_kernelINS0_14default_configENS1_27scan_by_key_config_selectorIiiEEZZNS1_16scan_by_key_implILNS1_25lookback_scan_determinismE0ELb0ES3_N6thrust23THRUST_200600_302600_NS6detail15normal_iteratorINS9_10device_ptrIiEEEESE_SE_iNS9_10multipliesIiEENS9_8equal_toIiEEiEE10hipError_tPvRmT2_T3_T4_T5_mT6_T7_P12ihipStream_tbENKUlT_T0_E_clISt17integral_constantIbLb0EESZ_EEDaSU_SV_EUlSU_E_NS1_11comp_targetILNS1_3genE8ELNS1_11target_archE1030ELNS1_3gpuE2ELNS1_3repE0EEENS1_30default_config_static_selectorELNS0_4arch9wavefront6targetE1EEEvT1_,comdat
.Lfunc_end172:
	.size	_ZN7rocprim17ROCPRIM_400000_NS6detail17trampoline_kernelINS0_14default_configENS1_27scan_by_key_config_selectorIiiEEZZNS1_16scan_by_key_implILNS1_25lookback_scan_determinismE0ELb0ES3_N6thrust23THRUST_200600_302600_NS6detail15normal_iteratorINS9_10device_ptrIiEEEESE_SE_iNS9_10multipliesIiEENS9_8equal_toIiEEiEE10hipError_tPvRmT2_T3_T4_T5_mT6_T7_P12ihipStream_tbENKUlT_T0_E_clISt17integral_constantIbLb0EESZ_EEDaSU_SV_EUlSU_E_NS1_11comp_targetILNS1_3genE8ELNS1_11target_archE1030ELNS1_3gpuE2ELNS1_3repE0EEENS1_30default_config_static_selectorELNS0_4arch9wavefront6targetE1EEEvT1_, .Lfunc_end172-_ZN7rocprim17ROCPRIM_400000_NS6detail17trampoline_kernelINS0_14default_configENS1_27scan_by_key_config_selectorIiiEEZZNS1_16scan_by_key_implILNS1_25lookback_scan_determinismE0ELb0ES3_N6thrust23THRUST_200600_302600_NS6detail15normal_iteratorINS9_10device_ptrIiEEEESE_SE_iNS9_10multipliesIiEENS9_8equal_toIiEEiEE10hipError_tPvRmT2_T3_T4_T5_mT6_T7_P12ihipStream_tbENKUlT_T0_E_clISt17integral_constantIbLb0EESZ_EEDaSU_SV_EUlSU_E_NS1_11comp_targetILNS1_3genE8ELNS1_11target_archE1030ELNS1_3gpuE2ELNS1_3repE0EEENS1_30default_config_static_selectorELNS0_4arch9wavefront6targetE1EEEvT1_
                                        ; -- End function
	.section	.AMDGPU.csdata,"",@progbits
; Kernel info:
; codeLenInByte = 0
; NumSgprs: 6
; NumVgprs: 0
; NumAgprs: 0
; TotalNumVgprs: 0
; ScratchSize: 0
; MemoryBound: 0
; FloatMode: 240
; IeeeMode: 1
; LDSByteSize: 0 bytes/workgroup (compile time only)
; SGPRBlocks: 0
; VGPRBlocks: 0
; NumSGPRsForWavesPerEU: 6
; NumVGPRsForWavesPerEU: 1
; AccumOffset: 4
; Occupancy: 8
; WaveLimiterHint : 0
; COMPUTE_PGM_RSRC2:SCRATCH_EN: 0
; COMPUTE_PGM_RSRC2:USER_SGPR: 2
; COMPUTE_PGM_RSRC2:TRAP_HANDLER: 0
; COMPUTE_PGM_RSRC2:TGID_X_EN: 1
; COMPUTE_PGM_RSRC2:TGID_Y_EN: 0
; COMPUTE_PGM_RSRC2:TGID_Z_EN: 0
; COMPUTE_PGM_RSRC2:TIDIG_COMP_CNT: 0
; COMPUTE_PGM_RSRC3_GFX90A:ACCUM_OFFSET: 0
; COMPUTE_PGM_RSRC3_GFX90A:TG_SPLIT: 0
	.section	.text._ZN7rocprim17ROCPRIM_400000_NS6detail17trampoline_kernelINS0_14default_configENS1_27scan_by_key_config_selectorIiiEEZZNS1_16scan_by_key_implILNS1_25lookback_scan_determinismE0ELb0ES3_N6thrust23THRUST_200600_302600_NS6detail15normal_iteratorINS9_10device_ptrIiEEEESE_SE_iNS9_10multipliesIiEENS9_8equal_toIiEEiEE10hipError_tPvRmT2_T3_T4_T5_mT6_T7_P12ihipStream_tbENKUlT_T0_E_clISt17integral_constantIbLb1EESZ_EEDaSU_SV_EUlSU_E_NS1_11comp_targetILNS1_3genE0ELNS1_11target_archE4294967295ELNS1_3gpuE0ELNS1_3repE0EEENS1_30default_config_static_selectorELNS0_4arch9wavefront6targetE1EEEvT1_,"axG",@progbits,_ZN7rocprim17ROCPRIM_400000_NS6detail17trampoline_kernelINS0_14default_configENS1_27scan_by_key_config_selectorIiiEEZZNS1_16scan_by_key_implILNS1_25lookback_scan_determinismE0ELb0ES3_N6thrust23THRUST_200600_302600_NS6detail15normal_iteratorINS9_10device_ptrIiEEEESE_SE_iNS9_10multipliesIiEENS9_8equal_toIiEEiEE10hipError_tPvRmT2_T3_T4_T5_mT6_T7_P12ihipStream_tbENKUlT_T0_E_clISt17integral_constantIbLb1EESZ_EEDaSU_SV_EUlSU_E_NS1_11comp_targetILNS1_3genE0ELNS1_11target_archE4294967295ELNS1_3gpuE0ELNS1_3repE0EEENS1_30default_config_static_selectorELNS0_4arch9wavefront6targetE1EEEvT1_,comdat
	.protected	_ZN7rocprim17ROCPRIM_400000_NS6detail17trampoline_kernelINS0_14default_configENS1_27scan_by_key_config_selectorIiiEEZZNS1_16scan_by_key_implILNS1_25lookback_scan_determinismE0ELb0ES3_N6thrust23THRUST_200600_302600_NS6detail15normal_iteratorINS9_10device_ptrIiEEEESE_SE_iNS9_10multipliesIiEENS9_8equal_toIiEEiEE10hipError_tPvRmT2_T3_T4_T5_mT6_T7_P12ihipStream_tbENKUlT_T0_E_clISt17integral_constantIbLb1EESZ_EEDaSU_SV_EUlSU_E_NS1_11comp_targetILNS1_3genE0ELNS1_11target_archE4294967295ELNS1_3gpuE0ELNS1_3repE0EEENS1_30default_config_static_selectorELNS0_4arch9wavefront6targetE1EEEvT1_ ; -- Begin function _ZN7rocprim17ROCPRIM_400000_NS6detail17trampoline_kernelINS0_14default_configENS1_27scan_by_key_config_selectorIiiEEZZNS1_16scan_by_key_implILNS1_25lookback_scan_determinismE0ELb0ES3_N6thrust23THRUST_200600_302600_NS6detail15normal_iteratorINS9_10device_ptrIiEEEESE_SE_iNS9_10multipliesIiEENS9_8equal_toIiEEiEE10hipError_tPvRmT2_T3_T4_T5_mT6_T7_P12ihipStream_tbENKUlT_T0_E_clISt17integral_constantIbLb1EESZ_EEDaSU_SV_EUlSU_E_NS1_11comp_targetILNS1_3genE0ELNS1_11target_archE4294967295ELNS1_3gpuE0ELNS1_3repE0EEENS1_30default_config_static_selectorELNS0_4arch9wavefront6targetE1EEEvT1_
	.globl	_ZN7rocprim17ROCPRIM_400000_NS6detail17trampoline_kernelINS0_14default_configENS1_27scan_by_key_config_selectorIiiEEZZNS1_16scan_by_key_implILNS1_25lookback_scan_determinismE0ELb0ES3_N6thrust23THRUST_200600_302600_NS6detail15normal_iteratorINS9_10device_ptrIiEEEESE_SE_iNS9_10multipliesIiEENS9_8equal_toIiEEiEE10hipError_tPvRmT2_T3_T4_T5_mT6_T7_P12ihipStream_tbENKUlT_T0_E_clISt17integral_constantIbLb1EESZ_EEDaSU_SV_EUlSU_E_NS1_11comp_targetILNS1_3genE0ELNS1_11target_archE4294967295ELNS1_3gpuE0ELNS1_3repE0EEENS1_30default_config_static_selectorELNS0_4arch9wavefront6targetE1EEEvT1_
	.p2align	8
	.type	_ZN7rocprim17ROCPRIM_400000_NS6detail17trampoline_kernelINS0_14default_configENS1_27scan_by_key_config_selectorIiiEEZZNS1_16scan_by_key_implILNS1_25lookback_scan_determinismE0ELb0ES3_N6thrust23THRUST_200600_302600_NS6detail15normal_iteratorINS9_10device_ptrIiEEEESE_SE_iNS9_10multipliesIiEENS9_8equal_toIiEEiEE10hipError_tPvRmT2_T3_T4_T5_mT6_T7_P12ihipStream_tbENKUlT_T0_E_clISt17integral_constantIbLb1EESZ_EEDaSU_SV_EUlSU_E_NS1_11comp_targetILNS1_3genE0ELNS1_11target_archE4294967295ELNS1_3gpuE0ELNS1_3repE0EEENS1_30default_config_static_selectorELNS0_4arch9wavefront6targetE1EEEvT1_,@function
_ZN7rocprim17ROCPRIM_400000_NS6detail17trampoline_kernelINS0_14default_configENS1_27scan_by_key_config_selectorIiiEEZZNS1_16scan_by_key_implILNS1_25lookback_scan_determinismE0ELb0ES3_N6thrust23THRUST_200600_302600_NS6detail15normal_iteratorINS9_10device_ptrIiEEEESE_SE_iNS9_10multipliesIiEENS9_8equal_toIiEEiEE10hipError_tPvRmT2_T3_T4_T5_mT6_T7_P12ihipStream_tbENKUlT_T0_E_clISt17integral_constantIbLb1EESZ_EEDaSU_SV_EUlSU_E_NS1_11comp_targetILNS1_3genE0ELNS1_11target_archE4294967295ELNS1_3gpuE0ELNS1_3repE0EEENS1_30default_config_static_selectorELNS0_4arch9wavefront6targetE1EEEvT1_: ; @_ZN7rocprim17ROCPRIM_400000_NS6detail17trampoline_kernelINS0_14default_configENS1_27scan_by_key_config_selectorIiiEEZZNS1_16scan_by_key_implILNS1_25lookback_scan_determinismE0ELb0ES3_N6thrust23THRUST_200600_302600_NS6detail15normal_iteratorINS9_10device_ptrIiEEEESE_SE_iNS9_10multipliesIiEENS9_8equal_toIiEEiEE10hipError_tPvRmT2_T3_T4_T5_mT6_T7_P12ihipStream_tbENKUlT_T0_E_clISt17integral_constantIbLb1EESZ_EEDaSU_SV_EUlSU_E_NS1_11comp_targetILNS1_3genE0ELNS1_11target_archE4294967295ELNS1_3gpuE0ELNS1_3repE0EEENS1_30default_config_static_selectorELNS0_4arch9wavefront6targetE1EEEvT1_
; %bb.0:
	.section	.rodata,"a",@progbits
	.p2align	6, 0x0
	.amdhsa_kernel _ZN7rocprim17ROCPRIM_400000_NS6detail17trampoline_kernelINS0_14default_configENS1_27scan_by_key_config_selectorIiiEEZZNS1_16scan_by_key_implILNS1_25lookback_scan_determinismE0ELb0ES3_N6thrust23THRUST_200600_302600_NS6detail15normal_iteratorINS9_10device_ptrIiEEEESE_SE_iNS9_10multipliesIiEENS9_8equal_toIiEEiEE10hipError_tPvRmT2_T3_T4_T5_mT6_T7_P12ihipStream_tbENKUlT_T0_E_clISt17integral_constantIbLb1EESZ_EEDaSU_SV_EUlSU_E_NS1_11comp_targetILNS1_3genE0ELNS1_11target_archE4294967295ELNS1_3gpuE0ELNS1_3repE0EEENS1_30default_config_static_selectorELNS0_4arch9wavefront6targetE1EEEvT1_
		.amdhsa_group_segment_fixed_size 0
		.amdhsa_private_segment_fixed_size 0
		.amdhsa_kernarg_size 112
		.amdhsa_user_sgpr_count 2
		.amdhsa_user_sgpr_dispatch_ptr 0
		.amdhsa_user_sgpr_queue_ptr 0
		.amdhsa_user_sgpr_kernarg_segment_ptr 1
		.amdhsa_user_sgpr_dispatch_id 0
		.amdhsa_user_sgpr_kernarg_preload_length 0
		.amdhsa_user_sgpr_kernarg_preload_offset 0
		.amdhsa_user_sgpr_private_segment_size 0
		.amdhsa_uses_dynamic_stack 0
		.amdhsa_enable_private_segment 0
		.amdhsa_system_sgpr_workgroup_id_x 1
		.amdhsa_system_sgpr_workgroup_id_y 0
		.amdhsa_system_sgpr_workgroup_id_z 0
		.amdhsa_system_sgpr_workgroup_info 0
		.amdhsa_system_vgpr_workitem_id 0
		.amdhsa_next_free_vgpr 1
		.amdhsa_next_free_sgpr 0
		.amdhsa_accum_offset 4
		.amdhsa_reserve_vcc 0
		.amdhsa_float_round_mode_32 0
		.amdhsa_float_round_mode_16_64 0
		.amdhsa_float_denorm_mode_32 3
		.amdhsa_float_denorm_mode_16_64 3
		.amdhsa_dx10_clamp 1
		.amdhsa_ieee_mode 1
		.amdhsa_fp16_overflow 0
		.amdhsa_tg_split 0
		.amdhsa_exception_fp_ieee_invalid_op 0
		.amdhsa_exception_fp_denorm_src 0
		.amdhsa_exception_fp_ieee_div_zero 0
		.amdhsa_exception_fp_ieee_overflow 0
		.amdhsa_exception_fp_ieee_underflow 0
		.amdhsa_exception_fp_ieee_inexact 0
		.amdhsa_exception_int_div_zero 0
	.end_amdhsa_kernel
	.section	.text._ZN7rocprim17ROCPRIM_400000_NS6detail17trampoline_kernelINS0_14default_configENS1_27scan_by_key_config_selectorIiiEEZZNS1_16scan_by_key_implILNS1_25lookback_scan_determinismE0ELb0ES3_N6thrust23THRUST_200600_302600_NS6detail15normal_iteratorINS9_10device_ptrIiEEEESE_SE_iNS9_10multipliesIiEENS9_8equal_toIiEEiEE10hipError_tPvRmT2_T3_T4_T5_mT6_T7_P12ihipStream_tbENKUlT_T0_E_clISt17integral_constantIbLb1EESZ_EEDaSU_SV_EUlSU_E_NS1_11comp_targetILNS1_3genE0ELNS1_11target_archE4294967295ELNS1_3gpuE0ELNS1_3repE0EEENS1_30default_config_static_selectorELNS0_4arch9wavefront6targetE1EEEvT1_,"axG",@progbits,_ZN7rocprim17ROCPRIM_400000_NS6detail17trampoline_kernelINS0_14default_configENS1_27scan_by_key_config_selectorIiiEEZZNS1_16scan_by_key_implILNS1_25lookback_scan_determinismE0ELb0ES3_N6thrust23THRUST_200600_302600_NS6detail15normal_iteratorINS9_10device_ptrIiEEEESE_SE_iNS9_10multipliesIiEENS9_8equal_toIiEEiEE10hipError_tPvRmT2_T3_T4_T5_mT6_T7_P12ihipStream_tbENKUlT_T0_E_clISt17integral_constantIbLb1EESZ_EEDaSU_SV_EUlSU_E_NS1_11comp_targetILNS1_3genE0ELNS1_11target_archE4294967295ELNS1_3gpuE0ELNS1_3repE0EEENS1_30default_config_static_selectorELNS0_4arch9wavefront6targetE1EEEvT1_,comdat
.Lfunc_end173:
	.size	_ZN7rocprim17ROCPRIM_400000_NS6detail17trampoline_kernelINS0_14default_configENS1_27scan_by_key_config_selectorIiiEEZZNS1_16scan_by_key_implILNS1_25lookback_scan_determinismE0ELb0ES3_N6thrust23THRUST_200600_302600_NS6detail15normal_iteratorINS9_10device_ptrIiEEEESE_SE_iNS9_10multipliesIiEENS9_8equal_toIiEEiEE10hipError_tPvRmT2_T3_T4_T5_mT6_T7_P12ihipStream_tbENKUlT_T0_E_clISt17integral_constantIbLb1EESZ_EEDaSU_SV_EUlSU_E_NS1_11comp_targetILNS1_3genE0ELNS1_11target_archE4294967295ELNS1_3gpuE0ELNS1_3repE0EEENS1_30default_config_static_selectorELNS0_4arch9wavefront6targetE1EEEvT1_, .Lfunc_end173-_ZN7rocprim17ROCPRIM_400000_NS6detail17trampoline_kernelINS0_14default_configENS1_27scan_by_key_config_selectorIiiEEZZNS1_16scan_by_key_implILNS1_25lookback_scan_determinismE0ELb0ES3_N6thrust23THRUST_200600_302600_NS6detail15normal_iteratorINS9_10device_ptrIiEEEESE_SE_iNS9_10multipliesIiEENS9_8equal_toIiEEiEE10hipError_tPvRmT2_T3_T4_T5_mT6_T7_P12ihipStream_tbENKUlT_T0_E_clISt17integral_constantIbLb1EESZ_EEDaSU_SV_EUlSU_E_NS1_11comp_targetILNS1_3genE0ELNS1_11target_archE4294967295ELNS1_3gpuE0ELNS1_3repE0EEENS1_30default_config_static_selectorELNS0_4arch9wavefront6targetE1EEEvT1_
                                        ; -- End function
	.section	.AMDGPU.csdata,"",@progbits
; Kernel info:
; codeLenInByte = 0
; NumSgprs: 6
; NumVgprs: 0
; NumAgprs: 0
; TotalNumVgprs: 0
; ScratchSize: 0
; MemoryBound: 0
; FloatMode: 240
; IeeeMode: 1
; LDSByteSize: 0 bytes/workgroup (compile time only)
; SGPRBlocks: 0
; VGPRBlocks: 0
; NumSGPRsForWavesPerEU: 6
; NumVGPRsForWavesPerEU: 1
; AccumOffset: 4
; Occupancy: 8
; WaveLimiterHint : 0
; COMPUTE_PGM_RSRC2:SCRATCH_EN: 0
; COMPUTE_PGM_RSRC2:USER_SGPR: 2
; COMPUTE_PGM_RSRC2:TRAP_HANDLER: 0
; COMPUTE_PGM_RSRC2:TGID_X_EN: 1
; COMPUTE_PGM_RSRC2:TGID_Y_EN: 0
; COMPUTE_PGM_RSRC2:TGID_Z_EN: 0
; COMPUTE_PGM_RSRC2:TIDIG_COMP_CNT: 0
; COMPUTE_PGM_RSRC3_GFX90A:ACCUM_OFFSET: 0
; COMPUTE_PGM_RSRC3_GFX90A:TG_SPLIT: 0
	.section	.text._ZN7rocprim17ROCPRIM_400000_NS6detail17trampoline_kernelINS0_14default_configENS1_27scan_by_key_config_selectorIiiEEZZNS1_16scan_by_key_implILNS1_25lookback_scan_determinismE0ELb0ES3_N6thrust23THRUST_200600_302600_NS6detail15normal_iteratorINS9_10device_ptrIiEEEESE_SE_iNS9_10multipliesIiEENS9_8equal_toIiEEiEE10hipError_tPvRmT2_T3_T4_T5_mT6_T7_P12ihipStream_tbENKUlT_T0_E_clISt17integral_constantIbLb1EESZ_EEDaSU_SV_EUlSU_E_NS1_11comp_targetILNS1_3genE10ELNS1_11target_archE1201ELNS1_3gpuE5ELNS1_3repE0EEENS1_30default_config_static_selectorELNS0_4arch9wavefront6targetE1EEEvT1_,"axG",@progbits,_ZN7rocprim17ROCPRIM_400000_NS6detail17trampoline_kernelINS0_14default_configENS1_27scan_by_key_config_selectorIiiEEZZNS1_16scan_by_key_implILNS1_25lookback_scan_determinismE0ELb0ES3_N6thrust23THRUST_200600_302600_NS6detail15normal_iteratorINS9_10device_ptrIiEEEESE_SE_iNS9_10multipliesIiEENS9_8equal_toIiEEiEE10hipError_tPvRmT2_T3_T4_T5_mT6_T7_P12ihipStream_tbENKUlT_T0_E_clISt17integral_constantIbLb1EESZ_EEDaSU_SV_EUlSU_E_NS1_11comp_targetILNS1_3genE10ELNS1_11target_archE1201ELNS1_3gpuE5ELNS1_3repE0EEENS1_30default_config_static_selectorELNS0_4arch9wavefront6targetE1EEEvT1_,comdat
	.protected	_ZN7rocprim17ROCPRIM_400000_NS6detail17trampoline_kernelINS0_14default_configENS1_27scan_by_key_config_selectorIiiEEZZNS1_16scan_by_key_implILNS1_25lookback_scan_determinismE0ELb0ES3_N6thrust23THRUST_200600_302600_NS6detail15normal_iteratorINS9_10device_ptrIiEEEESE_SE_iNS9_10multipliesIiEENS9_8equal_toIiEEiEE10hipError_tPvRmT2_T3_T4_T5_mT6_T7_P12ihipStream_tbENKUlT_T0_E_clISt17integral_constantIbLb1EESZ_EEDaSU_SV_EUlSU_E_NS1_11comp_targetILNS1_3genE10ELNS1_11target_archE1201ELNS1_3gpuE5ELNS1_3repE0EEENS1_30default_config_static_selectorELNS0_4arch9wavefront6targetE1EEEvT1_ ; -- Begin function _ZN7rocprim17ROCPRIM_400000_NS6detail17trampoline_kernelINS0_14default_configENS1_27scan_by_key_config_selectorIiiEEZZNS1_16scan_by_key_implILNS1_25lookback_scan_determinismE0ELb0ES3_N6thrust23THRUST_200600_302600_NS6detail15normal_iteratorINS9_10device_ptrIiEEEESE_SE_iNS9_10multipliesIiEENS9_8equal_toIiEEiEE10hipError_tPvRmT2_T3_T4_T5_mT6_T7_P12ihipStream_tbENKUlT_T0_E_clISt17integral_constantIbLb1EESZ_EEDaSU_SV_EUlSU_E_NS1_11comp_targetILNS1_3genE10ELNS1_11target_archE1201ELNS1_3gpuE5ELNS1_3repE0EEENS1_30default_config_static_selectorELNS0_4arch9wavefront6targetE1EEEvT1_
	.globl	_ZN7rocprim17ROCPRIM_400000_NS6detail17trampoline_kernelINS0_14default_configENS1_27scan_by_key_config_selectorIiiEEZZNS1_16scan_by_key_implILNS1_25lookback_scan_determinismE0ELb0ES3_N6thrust23THRUST_200600_302600_NS6detail15normal_iteratorINS9_10device_ptrIiEEEESE_SE_iNS9_10multipliesIiEENS9_8equal_toIiEEiEE10hipError_tPvRmT2_T3_T4_T5_mT6_T7_P12ihipStream_tbENKUlT_T0_E_clISt17integral_constantIbLb1EESZ_EEDaSU_SV_EUlSU_E_NS1_11comp_targetILNS1_3genE10ELNS1_11target_archE1201ELNS1_3gpuE5ELNS1_3repE0EEENS1_30default_config_static_selectorELNS0_4arch9wavefront6targetE1EEEvT1_
	.p2align	8
	.type	_ZN7rocprim17ROCPRIM_400000_NS6detail17trampoline_kernelINS0_14default_configENS1_27scan_by_key_config_selectorIiiEEZZNS1_16scan_by_key_implILNS1_25lookback_scan_determinismE0ELb0ES3_N6thrust23THRUST_200600_302600_NS6detail15normal_iteratorINS9_10device_ptrIiEEEESE_SE_iNS9_10multipliesIiEENS9_8equal_toIiEEiEE10hipError_tPvRmT2_T3_T4_T5_mT6_T7_P12ihipStream_tbENKUlT_T0_E_clISt17integral_constantIbLb1EESZ_EEDaSU_SV_EUlSU_E_NS1_11comp_targetILNS1_3genE10ELNS1_11target_archE1201ELNS1_3gpuE5ELNS1_3repE0EEENS1_30default_config_static_selectorELNS0_4arch9wavefront6targetE1EEEvT1_,@function
_ZN7rocprim17ROCPRIM_400000_NS6detail17trampoline_kernelINS0_14default_configENS1_27scan_by_key_config_selectorIiiEEZZNS1_16scan_by_key_implILNS1_25lookback_scan_determinismE0ELb0ES3_N6thrust23THRUST_200600_302600_NS6detail15normal_iteratorINS9_10device_ptrIiEEEESE_SE_iNS9_10multipliesIiEENS9_8equal_toIiEEiEE10hipError_tPvRmT2_T3_T4_T5_mT6_T7_P12ihipStream_tbENKUlT_T0_E_clISt17integral_constantIbLb1EESZ_EEDaSU_SV_EUlSU_E_NS1_11comp_targetILNS1_3genE10ELNS1_11target_archE1201ELNS1_3gpuE5ELNS1_3repE0EEENS1_30default_config_static_selectorELNS0_4arch9wavefront6targetE1EEEvT1_: ; @_ZN7rocprim17ROCPRIM_400000_NS6detail17trampoline_kernelINS0_14default_configENS1_27scan_by_key_config_selectorIiiEEZZNS1_16scan_by_key_implILNS1_25lookback_scan_determinismE0ELb0ES3_N6thrust23THRUST_200600_302600_NS6detail15normal_iteratorINS9_10device_ptrIiEEEESE_SE_iNS9_10multipliesIiEENS9_8equal_toIiEEiEE10hipError_tPvRmT2_T3_T4_T5_mT6_T7_P12ihipStream_tbENKUlT_T0_E_clISt17integral_constantIbLb1EESZ_EEDaSU_SV_EUlSU_E_NS1_11comp_targetILNS1_3genE10ELNS1_11target_archE1201ELNS1_3gpuE5ELNS1_3repE0EEENS1_30default_config_static_selectorELNS0_4arch9wavefront6targetE1EEEvT1_
; %bb.0:
	.section	.rodata,"a",@progbits
	.p2align	6, 0x0
	.amdhsa_kernel _ZN7rocprim17ROCPRIM_400000_NS6detail17trampoline_kernelINS0_14default_configENS1_27scan_by_key_config_selectorIiiEEZZNS1_16scan_by_key_implILNS1_25lookback_scan_determinismE0ELb0ES3_N6thrust23THRUST_200600_302600_NS6detail15normal_iteratorINS9_10device_ptrIiEEEESE_SE_iNS9_10multipliesIiEENS9_8equal_toIiEEiEE10hipError_tPvRmT2_T3_T4_T5_mT6_T7_P12ihipStream_tbENKUlT_T0_E_clISt17integral_constantIbLb1EESZ_EEDaSU_SV_EUlSU_E_NS1_11comp_targetILNS1_3genE10ELNS1_11target_archE1201ELNS1_3gpuE5ELNS1_3repE0EEENS1_30default_config_static_selectorELNS0_4arch9wavefront6targetE1EEEvT1_
		.amdhsa_group_segment_fixed_size 0
		.amdhsa_private_segment_fixed_size 0
		.amdhsa_kernarg_size 112
		.amdhsa_user_sgpr_count 2
		.amdhsa_user_sgpr_dispatch_ptr 0
		.amdhsa_user_sgpr_queue_ptr 0
		.amdhsa_user_sgpr_kernarg_segment_ptr 1
		.amdhsa_user_sgpr_dispatch_id 0
		.amdhsa_user_sgpr_kernarg_preload_length 0
		.amdhsa_user_sgpr_kernarg_preload_offset 0
		.amdhsa_user_sgpr_private_segment_size 0
		.amdhsa_uses_dynamic_stack 0
		.amdhsa_enable_private_segment 0
		.amdhsa_system_sgpr_workgroup_id_x 1
		.amdhsa_system_sgpr_workgroup_id_y 0
		.amdhsa_system_sgpr_workgroup_id_z 0
		.amdhsa_system_sgpr_workgroup_info 0
		.amdhsa_system_vgpr_workitem_id 0
		.amdhsa_next_free_vgpr 1
		.amdhsa_next_free_sgpr 0
		.amdhsa_accum_offset 4
		.amdhsa_reserve_vcc 0
		.amdhsa_float_round_mode_32 0
		.amdhsa_float_round_mode_16_64 0
		.amdhsa_float_denorm_mode_32 3
		.amdhsa_float_denorm_mode_16_64 3
		.amdhsa_dx10_clamp 1
		.amdhsa_ieee_mode 1
		.amdhsa_fp16_overflow 0
		.amdhsa_tg_split 0
		.amdhsa_exception_fp_ieee_invalid_op 0
		.amdhsa_exception_fp_denorm_src 0
		.amdhsa_exception_fp_ieee_div_zero 0
		.amdhsa_exception_fp_ieee_overflow 0
		.amdhsa_exception_fp_ieee_underflow 0
		.amdhsa_exception_fp_ieee_inexact 0
		.amdhsa_exception_int_div_zero 0
	.end_amdhsa_kernel
	.section	.text._ZN7rocprim17ROCPRIM_400000_NS6detail17trampoline_kernelINS0_14default_configENS1_27scan_by_key_config_selectorIiiEEZZNS1_16scan_by_key_implILNS1_25lookback_scan_determinismE0ELb0ES3_N6thrust23THRUST_200600_302600_NS6detail15normal_iteratorINS9_10device_ptrIiEEEESE_SE_iNS9_10multipliesIiEENS9_8equal_toIiEEiEE10hipError_tPvRmT2_T3_T4_T5_mT6_T7_P12ihipStream_tbENKUlT_T0_E_clISt17integral_constantIbLb1EESZ_EEDaSU_SV_EUlSU_E_NS1_11comp_targetILNS1_3genE10ELNS1_11target_archE1201ELNS1_3gpuE5ELNS1_3repE0EEENS1_30default_config_static_selectorELNS0_4arch9wavefront6targetE1EEEvT1_,"axG",@progbits,_ZN7rocprim17ROCPRIM_400000_NS6detail17trampoline_kernelINS0_14default_configENS1_27scan_by_key_config_selectorIiiEEZZNS1_16scan_by_key_implILNS1_25lookback_scan_determinismE0ELb0ES3_N6thrust23THRUST_200600_302600_NS6detail15normal_iteratorINS9_10device_ptrIiEEEESE_SE_iNS9_10multipliesIiEENS9_8equal_toIiEEiEE10hipError_tPvRmT2_T3_T4_T5_mT6_T7_P12ihipStream_tbENKUlT_T0_E_clISt17integral_constantIbLb1EESZ_EEDaSU_SV_EUlSU_E_NS1_11comp_targetILNS1_3genE10ELNS1_11target_archE1201ELNS1_3gpuE5ELNS1_3repE0EEENS1_30default_config_static_selectorELNS0_4arch9wavefront6targetE1EEEvT1_,comdat
.Lfunc_end174:
	.size	_ZN7rocprim17ROCPRIM_400000_NS6detail17trampoline_kernelINS0_14default_configENS1_27scan_by_key_config_selectorIiiEEZZNS1_16scan_by_key_implILNS1_25lookback_scan_determinismE0ELb0ES3_N6thrust23THRUST_200600_302600_NS6detail15normal_iteratorINS9_10device_ptrIiEEEESE_SE_iNS9_10multipliesIiEENS9_8equal_toIiEEiEE10hipError_tPvRmT2_T3_T4_T5_mT6_T7_P12ihipStream_tbENKUlT_T0_E_clISt17integral_constantIbLb1EESZ_EEDaSU_SV_EUlSU_E_NS1_11comp_targetILNS1_3genE10ELNS1_11target_archE1201ELNS1_3gpuE5ELNS1_3repE0EEENS1_30default_config_static_selectorELNS0_4arch9wavefront6targetE1EEEvT1_, .Lfunc_end174-_ZN7rocprim17ROCPRIM_400000_NS6detail17trampoline_kernelINS0_14default_configENS1_27scan_by_key_config_selectorIiiEEZZNS1_16scan_by_key_implILNS1_25lookback_scan_determinismE0ELb0ES3_N6thrust23THRUST_200600_302600_NS6detail15normal_iteratorINS9_10device_ptrIiEEEESE_SE_iNS9_10multipliesIiEENS9_8equal_toIiEEiEE10hipError_tPvRmT2_T3_T4_T5_mT6_T7_P12ihipStream_tbENKUlT_T0_E_clISt17integral_constantIbLb1EESZ_EEDaSU_SV_EUlSU_E_NS1_11comp_targetILNS1_3genE10ELNS1_11target_archE1201ELNS1_3gpuE5ELNS1_3repE0EEENS1_30default_config_static_selectorELNS0_4arch9wavefront6targetE1EEEvT1_
                                        ; -- End function
	.section	.AMDGPU.csdata,"",@progbits
; Kernel info:
; codeLenInByte = 0
; NumSgprs: 6
; NumVgprs: 0
; NumAgprs: 0
; TotalNumVgprs: 0
; ScratchSize: 0
; MemoryBound: 0
; FloatMode: 240
; IeeeMode: 1
; LDSByteSize: 0 bytes/workgroup (compile time only)
; SGPRBlocks: 0
; VGPRBlocks: 0
; NumSGPRsForWavesPerEU: 6
; NumVGPRsForWavesPerEU: 1
; AccumOffset: 4
; Occupancy: 8
; WaveLimiterHint : 0
; COMPUTE_PGM_RSRC2:SCRATCH_EN: 0
; COMPUTE_PGM_RSRC2:USER_SGPR: 2
; COMPUTE_PGM_RSRC2:TRAP_HANDLER: 0
; COMPUTE_PGM_RSRC2:TGID_X_EN: 1
; COMPUTE_PGM_RSRC2:TGID_Y_EN: 0
; COMPUTE_PGM_RSRC2:TGID_Z_EN: 0
; COMPUTE_PGM_RSRC2:TIDIG_COMP_CNT: 0
; COMPUTE_PGM_RSRC3_GFX90A:ACCUM_OFFSET: 0
; COMPUTE_PGM_RSRC3_GFX90A:TG_SPLIT: 0
	.section	.text._ZN7rocprim17ROCPRIM_400000_NS6detail17trampoline_kernelINS0_14default_configENS1_27scan_by_key_config_selectorIiiEEZZNS1_16scan_by_key_implILNS1_25lookback_scan_determinismE0ELb0ES3_N6thrust23THRUST_200600_302600_NS6detail15normal_iteratorINS9_10device_ptrIiEEEESE_SE_iNS9_10multipliesIiEENS9_8equal_toIiEEiEE10hipError_tPvRmT2_T3_T4_T5_mT6_T7_P12ihipStream_tbENKUlT_T0_E_clISt17integral_constantIbLb1EESZ_EEDaSU_SV_EUlSU_E_NS1_11comp_targetILNS1_3genE5ELNS1_11target_archE942ELNS1_3gpuE9ELNS1_3repE0EEENS1_30default_config_static_selectorELNS0_4arch9wavefront6targetE1EEEvT1_,"axG",@progbits,_ZN7rocprim17ROCPRIM_400000_NS6detail17trampoline_kernelINS0_14default_configENS1_27scan_by_key_config_selectorIiiEEZZNS1_16scan_by_key_implILNS1_25lookback_scan_determinismE0ELb0ES3_N6thrust23THRUST_200600_302600_NS6detail15normal_iteratorINS9_10device_ptrIiEEEESE_SE_iNS9_10multipliesIiEENS9_8equal_toIiEEiEE10hipError_tPvRmT2_T3_T4_T5_mT6_T7_P12ihipStream_tbENKUlT_T0_E_clISt17integral_constantIbLb1EESZ_EEDaSU_SV_EUlSU_E_NS1_11comp_targetILNS1_3genE5ELNS1_11target_archE942ELNS1_3gpuE9ELNS1_3repE0EEENS1_30default_config_static_selectorELNS0_4arch9wavefront6targetE1EEEvT1_,comdat
	.protected	_ZN7rocprim17ROCPRIM_400000_NS6detail17trampoline_kernelINS0_14default_configENS1_27scan_by_key_config_selectorIiiEEZZNS1_16scan_by_key_implILNS1_25lookback_scan_determinismE0ELb0ES3_N6thrust23THRUST_200600_302600_NS6detail15normal_iteratorINS9_10device_ptrIiEEEESE_SE_iNS9_10multipliesIiEENS9_8equal_toIiEEiEE10hipError_tPvRmT2_T3_T4_T5_mT6_T7_P12ihipStream_tbENKUlT_T0_E_clISt17integral_constantIbLb1EESZ_EEDaSU_SV_EUlSU_E_NS1_11comp_targetILNS1_3genE5ELNS1_11target_archE942ELNS1_3gpuE9ELNS1_3repE0EEENS1_30default_config_static_selectorELNS0_4arch9wavefront6targetE1EEEvT1_ ; -- Begin function _ZN7rocprim17ROCPRIM_400000_NS6detail17trampoline_kernelINS0_14default_configENS1_27scan_by_key_config_selectorIiiEEZZNS1_16scan_by_key_implILNS1_25lookback_scan_determinismE0ELb0ES3_N6thrust23THRUST_200600_302600_NS6detail15normal_iteratorINS9_10device_ptrIiEEEESE_SE_iNS9_10multipliesIiEENS9_8equal_toIiEEiEE10hipError_tPvRmT2_T3_T4_T5_mT6_T7_P12ihipStream_tbENKUlT_T0_E_clISt17integral_constantIbLb1EESZ_EEDaSU_SV_EUlSU_E_NS1_11comp_targetILNS1_3genE5ELNS1_11target_archE942ELNS1_3gpuE9ELNS1_3repE0EEENS1_30default_config_static_selectorELNS0_4arch9wavefront6targetE1EEEvT1_
	.globl	_ZN7rocprim17ROCPRIM_400000_NS6detail17trampoline_kernelINS0_14default_configENS1_27scan_by_key_config_selectorIiiEEZZNS1_16scan_by_key_implILNS1_25lookback_scan_determinismE0ELb0ES3_N6thrust23THRUST_200600_302600_NS6detail15normal_iteratorINS9_10device_ptrIiEEEESE_SE_iNS9_10multipliesIiEENS9_8equal_toIiEEiEE10hipError_tPvRmT2_T3_T4_T5_mT6_T7_P12ihipStream_tbENKUlT_T0_E_clISt17integral_constantIbLb1EESZ_EEDaSU_SV_EUlSU_E_NS1_11comp_targetILNS1_3genE5ELNS1_11target_archE942ELNS1_3gpuE9ELNS1_3repE0EEENS1_30default_config_static_selectorELNS0_4arch9wavefront6targetE1EEEvT1_
	.p2align	8
	.type	_ZN7rocprim17ROCPRIM_400000_NS6detail17trampoline_kernelINS0_14default_configENS1_27scan_by_key_config_selectorIiiEEZZNS1_16scan_by_key_implILNS1_25lookback_scan_determinismE0ELb0ES3_N6thrust23THRUST_200600_302600_NS6detail15normal_iteratorINS9_10device_ptrIiEEEESE_SE_iNS9_10multipliesIiEENS9_8equal_toIiEEiEE10hipError_tPvRmT2_T3_T4_T5_mT6_T7_P12ihipStream_tbENKUlT_T0_E_clISt17integral_constantIbLb1EESZ_EEDaSU_SV_EUlSU_E_NS1_11comp_targetILNS1_3genE5ELNS1_11target_archE942ELNS1_3gpuE9ELNS1_3repE0EEENS1_30default_config_static_selectorELNS0_4arch9wavefront6targetE1EEEvT1_,@function
_ZN7rocprim17ROCPRIM_400000_NS6detail17trampoline_kernelINS0_14default_configENS1_27scan_by_key_config_selectorIiiEEZZNS1_16scan_by_key_implILNS1_25lookback_scan_determinismE0ELb0ES3_N6thrust23THRUST_200600_302600_NS6detail15normal_iteratorINS9_10device_ptrIiEEEESE_SE_iNS9_10multipliesIiEENS9_8equal_toIiEEiEE10hipError_tPvRmT2_T3_T4_T5_mT6_T7_P12ihipStream_tbENKUlT_T0_E_clISt17integral_constantIbLb1EESZ_EEDaSU_SV_EUlSU_E_NS1_11comp_targetILNS1_3genE5ELNS1_11target_archE942ELNS1_3gpuE9ELNS1_3repE0EEENS1_30default_config_static_selectorELNS0_4arch9wavefront6targetE1EEEvT1_: ; @_ZN7rocprim17ROCPRIM_400000_NS6detail17trampoline_kernelINS0_14default_configENS1_27scan_by_key_config_selectorIiiEEZZNS1_16scan_by_key_implILNS1_25lookback_scan_determinismE0ELb0ES3_N6thrust23THRUST_200600_302600_NS6detail15normal_iteratorINS9_10device_ptrIiEEEESE_SE_iNS9_10multipliesIiEENS9_8equal_toIiEEiEE10hipError_tPvRmT2_T3_T4_T5_mT6_T7_P12ihipStream_tbENKUlT_T0_E_clISt17integral_constantIbLb1EESZ_EEDaSU_SV_EUlSU_E_NS1_11comp_targetILNS1_3genE5ELNS1_11target_archE942ELNS1_3gpuE9ELNS1_3repE0EEENS1_30default_config_static_selectorELNS0_4arch9wavefront6targetE1EEEvT1_
; %bb.0:
	s_load_dwordx4 s[72:75], s[0:1], 0x28
	s_load_dwordx2 s[76:77], s[0:1], 0x38
	v_cmp_ne_u32_e64 s[4:5], 0, v0
	v_cmp_eq_u32_e64 s[54:55], 0, v0
	s_and_saveexec_b64 s[2:3], s[54:55]
	s_cbranch_execz .LBB175_4
; %bb.1:
	s_mov_b64 s[8:9], exec
	v_mbcnt_lo_u32_b32 v1, s8, 0
	v_mbcnt_hi_u32_b32 v1, s9, v1
	v_cmp_eq_u32_e32 vcc, 0, v1
                                        ; implicit-def: $vgpr2
	s_and_saveexec_b64 s[6:7], vcc
	s_cbranch_execz .LBB175_3
; %bb.2:
	s_load_dwordx2 s[10:11], s[0:1], 0x68
	s_bcnt1_i32_b64 s8, s[8:9]
	v_mov_b32_e32 v2, 0
	v_mov_b32_e32 v3, s8
	s_waitcnt lgkmcnt(0)
	global_atomic_add v2, v2, v3, s[10:11] sc0
.LBB175_3:
	s_or_b64 exec, exec, s[6:7]
	s_waitcnt vmcnt(0)
	v_readfirstlane_b32 s6, v2
	v_mov_b32_e32 v2, 0
	s_nop 0
	v_add_u32_e32 v1, s6, v1
	ds_write_b32 v2, v1
.LBB175_4:
	s_or_b64 exec, exec, s[2:3]
	s_load_dwordx8 s[56:63], s[0:1], 0x0
	s_load_dword s2, s[0:1], 0x40
	s_load_dwordx8 s[64:71], s[0:1], 0x48
	v_mov_b32_e32 v1, 0
	s_waitcnt lgkmcnt(0)
	s_barrier
	ds_read_b32 v1, v1
	s_lshl_b64 s[58:59], s[58:59], 2
	s_add_u32 s3, s56, s58
	s_addc_u32 s6, s57, s59
	s_add_u32 s7, s60, s58
	s_mul_i32 s0, s77, s2
	s_mul_hi_u32 s1, s76, s2
	s_addc_u32 s8, s61, s59
	s_add_i32 s9, s1, s0
	s_waitcnt lgkmcnt(0)
	v_readfirstlane_b32 s75, v1
	s_cmp_lg_u64 s[68:69], 0
	s_mov_b32 s1, 0
	s_mul_i32 s0, s75, 0x1700
	s_cselect_b64 s[78:79], -1, 0
	s_lshl_b64 s[56:57], s[0:1], 2
	s_add_u32 s68, s3, s56
	s_addc_u32 s69, s6, s57
	s_add_u32 s60, s7, s56
	s_mul_i32 s2, s76, s2
	s_addc_u32 s61, s8, s57
	s_add_u32 s80, s2, s75
	s_addc_u32 s81, s9, 0
	s_add_u32 s0, s64, -1
	s_addc_u32 s1, s65, -1
	v_mov_b64_e32 v[2:3], s[0:1]
	v_cmp_ge_u64_e64 s[2:3], s[80:81], v[2:3]
	s_mov_b64 s[10:11], 0
	s_mov_b64 s[6:7], -1
	s_and_b64 vcc, exec, s[2:3]
	s_mul_i32 s33, s0, 0xffffe900
	s_barrier
	s_barrier
	s_cbranch_vccz .LBB175_126
; %bb.5:
	v_mov_b64_e32 v[2:3], s[68:69]
	flat_load_dword v1, v[2:3]
	s_add_i32 s84, s33, s74
	v_cmp_gt_u32_e64 s[6:7], s84, v0
	s_waitcnt vmcnt(0) lgkmcnt(0)
	v_mov_b32_e32 v3, v1
	s_and_saveexec_b64 s[0:1], s[6:7]
	s_cbranch_execz .LBB175_7
; %bb.6:
	v_lshlrev_b32_e32 v2, 2, v0
	v_mov_b32_e32 v3, 0
	v_lshl_add_u64 v[2:3], s[68:69], 0, v[2:3]
	flat_load_dword v3, v[2:3]
.LBB175_7:
	s_or_b64 exec, exec, s[0:1]
	v_or_b32_e32 v2, 0x100, v0
	v_cmp_gt_u32_e64 s[8:9], s84, v2
	v_mov_b32_e32 v4, v1
	s_and_saveexec_b64 s[0:1], s[8:9]
	s_cbranch_execz .LBB175_9
; %bb.8:
	v_lshlrev_b32_e32 v4, 2, v0
	v_mov_b32_e32 v5, 0
	v_lshl_add_u64 v[4:5], s[68:69], 0, v[4:5]
	flat_load_dword v4, v[4:5] offset:1024
.LBB175_9:
	s_or_b64 exec, exec, s[0:1]
	v_or_b32_e32 v2, 0x200, v0
	v_cmp_gt_u32_e64 s[10:11], s84, v2
	v_mov_b32_e32 v5, v1
	s_and_saveexec_b64 s[0:1], s[10:11]
	s_cbranch_execz .LBB175_11
; %bb.10:
	v_lshlrev_b32_e32 v6, 2, v0
	v_mov_b32_e32 v7, 0
	v_lshl_add_u64 v[6:7], s[68:69], 0, v[6:7]
	flat_load_dword v5, v[6:7] offset:2048
.LBB175_11:
	;; [unrolled: 12-line block ×3, first 2 shown]
	s_or_b64 exec, exec, s[0:1]
	v_or_b32_e32 v10, 0x400, v0
	v_cmp_gt_u32_e64 s[14:15], s84, v10
	v_mov_b32_e32 v7, v1
	s_and_saveexec_b64 s[0:1], s[14:15]
	s_cbranch_execz .LBB175_15
; %bb.14:
	v_lshlrev_b32_e32 v8, 2, v10
	v_mov_b32_e32 v9, 0
	v_lshl_add_u64 v[8:9], s[68:69], 0, v[8:9]
	flat_load_dword v7, v[8:9]
.LBB175_15:
	s_or_b64 exec, exec, s[0:1]
	v_or_b32_e32 v11, 0x500, v0
	v_cmp_gt_u32_e64 s[16:17], s84, v11
	v_mov_b32_e32 v8, v1
	s_and_saveexec_b64 s[0:1], s[16:17]
	s_cbranch_execz .LBB175_17
; %bb.16:
	v_lshlrev_b32_e32 v8, 2, v11
	v_mov_b32_e32 v9, 0
	v_lshl_add_u64 v[8:9], s[68:69], 0, v[8:9]
	flat_load_dword v8, v[8:9]
.LBB175_17:
	;; [unrolled: 12-line block ×18, first 2 shown]
	s_or_b64 exec, exec, s[0:1]
	v_or_b32_e32 v28, 0x1600, v0
	v_cmp_gt_u32_e64 s[52:53], s84, v28
	s_and_saveexec_b64 s[0:1], s[52:53]
	s_cbranch_execz .LBB175_51
; %bb.50:
	v_lshlrev_b32_e32 v44, 2, v28
	v_mov_b32_e32 v45, 0
	v_lshl_add_u64 v[44:45], s[68:69], 0, v[44:45]
	flat_load_dword v1, v[44:45]
.LBB175_51:
	s_or_b64 exec, exec, s[0:1]
	v_lshlrev_b32_e32 v2, 2, v0
	s_movk_i32 s0, 0x58
	s_waitcnt vmcnt(0) lgkmcnt(0)
	ds_write2st64_b32 v2, v3, v4 offset1:4
	ds_write2st64_b32 v2, v5, v6 offset0:8 offset1:12
	ds_write2st64_b32 v2, v7, v8 offset0:16 offset1:20
	;; [unrolled: 1-line block ×10, first 2 shown]
	ds_write_b32 v2, v1 offset:22528
	v_mad_u32_u24 v1, v0, s0, v2
	s_waitcnt lgkmcnt(0)
	s_barrier
	ds_read2_b32 v[68:69], v1 offset1:1
	ds_read2_b32 v[66:67], v1 offset0:2 offset1:3
	ds_read2_b32 v[64:65], v1 offset0:4 offset1:5
	;; [unrolled: 1-line block ×10, first 2 shown]
	ds_read_b32 v72, v1 offset:88
	s_cmp_eq_u64 s[80:81], 0
	s_mov_b64 s[0:1], s[68:69]
	s_cbranch_scc1 .LBB175_55
; %bb.52:
	s_andn2_b64 vcc, exec, s[78:79]
	s_cbranch_vccnz .LBB175_301
; %bb.53:
	s_lshl_b64 s[0:1], s[80:81], 2
	s_add_u32 s0, s70, s0
	s_addc_u32 s1, s71, s1
	s_add_u32 s0, s0, -4
	s_addc_u32 s1, s1, -1
	s_cbranch_execnz .LBB175_55
.LBB175_54:
	s_add_u32 s0, s68, -4
	s_addc_u32 s1, s69, -1
.LBB175_55:
	v_mov_b64_e32 v[30:31], s[0:1]
	flat_load_dword v70, v[30:31]
	s_movk_i32 s0, 0xffa8
	v_mad_i32_i24 v3, v0, s0, v1
	s_waitcnt lgkmcnt(0)
	ds_write_b32 v3, v72 offset:23552
	s_waitcnt lgkmcnt(0)
	s_barrier
	s_and_saveexec_b64 s[0:1], s[4:5]
	s_cbranch_execz .LBB175_57
; %bb.56:
	v_mul_i32_i24_e32 v3, 0xffffffa8, v0
	v_add_u32_e32 v3, v1, v3
	s_waitcnt vmcnt(0)
	ds_read_b32 v70, v3 offset:23548
.LBB175_57:
	s_or_b64 exec, exec, s[0:1]
	v_mov_b32_e32 v3, 0
	s_waitcnt lgkmcnt(0)
	s_barrier
	s_waitcnt lgkmcnt(0)
                                        ; implicit-def: $vgpr29
	s_and_saveexec_b64 s[0:1], s[6:7]
	s_cbranch_execnz .LBB175_277
; %bb.58:
	s_or_b64 exec, exec, s[0:1]
                                        ; implicit-def: $vgpr30
	s_and_saveexec_b64 s[0:1], s[8:9]
	s_cbranch_execnz .LBB175_278
.LBB175_59:
	s_or_b64 exec, exec, s[0:1]
                                        ; implicit-def: $vgpr31
	s_and_saveexec_b64 s[0:1], s[10:11]
	s_cbranch_execnz .LBB175_279
.LBB175_60:
	s_or_b64 exec, exec, s[0:1]
                                        ; implicit-def: $vgpr3
	s_and_saveexec_b64 s[0:1], s[12:13]
	s_cbranch_execnz .LBB175_280
.LBB175_61:
	s_or_b64 exec, exec, s[0:1]
                                        ; implicit-def: $vgpr32
	s_and_saveexec_b64 s[0:1], s[14:15]
	s_cbranch_execnz .LBB175_281
.LBB175_62:
	s_or_b64 exec, exec, s[0:1]
                                        ; implicit-def: $vgpr10
	s_and_saveexec_b64 s[0:1], s[16:17]
	s_cbranch_execnz .LBB175_282
.LBB175_63:
	s_or_b64 exec, exec, s[0:1]
                                        ; implicit-def: $vgpr11
	s_and_saveexec_b64 s[0:1], s[18:19]
	s_cbranch_execnz .LBB175_283
.LBB175_64:
	s_or_b64 exec, exec, s[0:1]
                                        ; implicit-def: $vgpr12
	s_and_saveexec_b64 s[0:1], s[20:21]
	s_cbranch_execnz .LBB175_284
.LBB175_65:
	s_or_b64 exec, exec, s[0:1]
                                        ; implicit-def: $vgpr13
	s_and_saveexec_b64 s[0:1], s[22:23]
	s_cbranch_execnz .LBB175_285
.LBB175_66:
	s_or_b64 exec, exec, s[0:1]
                                        ; implicit-def: $vgpr14
	s_and_saveexec_b64 s[0:1], s[24:25]
	s_cbranch_execnz .LBB175_286
.LBB175_67:
	s_or_b64 exec, exec, s[0:1]
                                        ; implicit-def: $vgpr15
	s_and_saveexec_b64 s[0:1], s[26:27]
	s_cbranch_execnz .LBB175_287
.LBB175_68:
	s_or_b64 exec, exec, s[0:1]
                                        ; implicit-def: $vgpr16
	s_and_saveexec_b64 s[0:1], s[28:29]
	s_cbranch_execnz .LBB175_288
.LBB175_69:
	s_or_b64 exec, exec, s[0:1]
                                        ; implicit-def: $vgpr17
	s_and_saveexec_b64 s[0:1], s[30:31]
	s_cbranch_execnz .LBB175_289
.LBB175_70:
	s_or_b64 exec, exec, s[0:1]
                                        ; implicit-def: $vgpr18
	s_and_saveexec_b64 s[0:1], s[34:35]
	s_cbranch_execnz .LBB175_290
.LBB175_71:
	s_or_b64 exec, exec, s[0:1]
                                        ; implicit-def: $vgpr19
	s_and_saveexec_b64 s[0:1], s[36:37]
	s_cbranch_execnz .LBB175_291
.LBB175_72:
	s_or_b64 exec, exec, s[0:1]
                                        ; implicit-def: $vgpr20
	s_and_saveexec_b64 s[0:1], s[38:39]
	s_cbranch_execnz .LBB175_292
.LBB175_73:
	s_or_b64 exec, exec, s[0:1]
                                        ; implicit-def: $vgpr21
	s_and_saveexec_b64 s[0:1], s[40:41]
	s_cbranch_execnz .LBB175_293
.LBB175_74:
	s_or_b64 exec, exec, s[0:1]
                                        ; implicit-def: $vgpr22
	s_and_saveexec_b64 s[0:1], s[42:43]
	s_cbranch_execnz .LBB175_294
.LBB175_75:
	s_or_b64 exec, exec, s[0:1]
                                        ; implicit-def: $vgpr23
	s_and_saveexec_b64 s[0:1], s[44:45]
	s_cbranch_execnz .LBB175_295
.LBB175_76:
	s_or_b64 exec, exec, s[0:1]
                                        ; implicit-def: $vgpr24
	s_and_saveexec_b64 s[0:1], s[46:47]
	s_cbranch_execnz .LBB175_296
.LBB175_77:
	s_or_b64 exec, exec, s[0:1]
                                        ; implicit-def: $vgpr25
	s_and_saveexec_b64 s[0:1], s[48:49]
	s_cbranch_execnz .LBB175_297
.LBB175_78:
	s_or_b64 exec, exec, s[0:1]
                                        ; implicit-def: $vgpr26
	s_and_saveexec_b64 s[0:1], s[50:51]
	s_cbranch_execnz .LBB175_298
.LBB175_79:
	s_or_b64 exec, exec, s[0:1]
                                        ; implicit-def: $vgpr27
	s_and_saveexec_b64 s[0:1], s[52:53]
	s_cbranch_execz .LBB175_81
.LBB175_80:
	v_lshlrev_b32_e32 v34, 2, v28
	v_mov_b32_e32 v35, 0
	v_lshl_add_u64 v[34:35], s[60:61], 0, v[34:35]
	flat_load_dword v27, v[34:35]
.LBB175_81:
	s_or_b64 exec, exec, s[0:1]
	v_mul_u32_u24_e32 v73, 23, v0
	s_waitcnt vmcnt(0) lgkmcnt(0)
	ds_write2st64_b32 v2, v29, v30 offset1:4
	ds_write2st64_b32 v2, v31, v3 offset0:8 offset1:12
	ds_write2st64_b32 v2, v32, v10 offset0:16 offset1:20
	;; [unrolled: 1-line block ×10, first 2 shown]
	ds_write_b32 v2, v27 offset:22528
	v_mov_b64_e32 v[10:11], 0
	v_cmp_gt_u32_e32 vcc, s84, v73
	s_mov_b64 s[10:11], 0
	s_mov_b64 s[6:7], 0
	v_mov_b64_e32 v[12:13], v[10:11]
	v_mov_b64_e32 v[14:15], v[10:11]
	v_mov_b64_e32 v[16:17], v[10:11]
	v_mov_b64_e32 v[18:19], v[10:11]
	v_mov_b64_e32 v[20:21], v[10:11]
	v_mov_b64_e32 v[22:23], v[10:11]
	v_mov_b64_e32 v[24:25], v[10:11]
	v_mov_b64_e32 v[26:27], v[10:11]
	v_mov_b64_e32 v[28:29], v[10:11]
	v_mov_b64_e32 v[30:31], v[10:11]
	v_mov_b64_e32 v[32:33], v[10:11]
	v_mov_b64_e32 v[34:35], v[10:11]
	v_mov_b64_e32 v[36:37], v[10:11]
	v_mov_b64_e32 v[38:39], v[10:11]
	v_mov_b64_e32 v[40:41], v[10:11]
	v_mov_b64_e32 v[42:43], v[10:11]
	v_mov_b64_e32 v[44:45], v[10:11]
	v_mov_b64_e32 v[46:47], v[10:11]
	v_mov_b64_e32 v[48:49], v[10:11]
	v_mov_b64_e32 v[50:51], v[10:11]
	v_mov_b64_e32 v[52:53], v[10:11]
	s_waitcnt lgkmcnt(0)
	s_barrier
	s_waitcnt lgkmcnt(0)
                                        ; implicit-def: $sgpr0_sgpr1
                                        ; implicit-def: $vgpr3
	s_and_saveexec_b64 s[8:9], vcc
	s_cbranch_execz .LBB175_125
; %bb.82:
	ds_read_b32 v10, v1
	v_add_u32_e32 v2, 1, v73
	v_cmp_ne_u32_e32 vcc, v70, v68
	v_mov_b64_e32 v[12:13], 0
	s_mov_b64 s[12:13], 0
	v_cndmask_b32_e64 v11, 0, 1, vcc
	v_cmp_gt_u32_e32 vcc, s84, v2
	s_mov_b64 s[0:1], 0
	v_mov_b64_e32 v[14:15], v[12:13]
	v_mov_b64_e32 v[16:17], v[12:13]
	;; [unrolled: 1-line block ×20, first 2 shown]
                                        ; implicit-def: $sgpr14_sgpr15
                                        ; implicit-def: $vgpr3
	s_and_saveexec_b64 s[10:11], vcc
	s_cbranch_execz .LBB175_124
; %bb.83:
	ds_read2_b32 v[70:71], v1 offset0:1 offset1:2
	v_add_u32_e32 v2, 2, v73
	v_cmp_ne_u32_e32 vcc, v68, v69
	v_mov_b64_e32 v[14:15], 0
	s_mov_b64 s[16:17], 0
	v_cndmask_b32_e64 v13, 0, 1, vcc
	v_cmp_gt_u32_e32 vcc, s84, v2
	s_waitcnt lgkmcnt(0)
	v_mov_b32_e32 v12, v70
	v_mov_b64_e32 v[16:17], v[14:15]
	v_mov_b64_e32 v[18:19], v[14:15]
	;; [unrolled: 1-line block ×19, first 2 shown]
                                        ; implicit-def: $sgpr14_sgpr15
                                        ; implicit-def: $vgpr3
	s_and_saveexec_b64 s[12:13], vcc
	s_cbranch_execz .LBB175_123
; %bb.84:
	v_add_u32_e32 v2, 3, v73
	v_cmp_ne_u32_e32 vcc, v69, v66
	v_mov_b64_e32 v[16:17], 0
	v_mov_b32_e32 v14, v71
	v_cndmask_b32_e64 v15, 0, 1, vcc
	v_cmp_gt_u32_e32 vcc, s84, v2
	v_mov_b64_e32 v[18:19], v[16:17]
	v_mov_b64_e32 v[20:21], v[16:17]
	;; [unrolled: 1-line block ×18, first 2 shown]
                                        ; implicit-def: $sgpr18_sgpr19
                                        ; implicit-def: $vgpr3
	s_and_saveexec_b64 s[14:15], vcc
	s_cbranch_execz .LBB175_122
; %bb.85:
	ds_read2_b32 v[68:69], v1 offset0:3 offset1:4
	v_add_u32_e32 v2, 4, v73
	v_cmp_ne_u32_e32 vcc, v66, v67
	v_mov_b64_e32 v[18:19], 0
	s_mov_b64 s[20:21], 0
	v_cndmask_b32_e64 v17, 0, 1, vcc
	v_cmp_gt_u32_e32 vcc, s84, v2
	s_waitcnt lgkmcnt(0)
	v_mov_b32_e32 v16, v68
	v_mov_b64_e32 v[20:21], v[18:19]
	v_mov_b64_e32 v[22:23], v[18:19]
	;; [unrolled: 1-line block ×17, first 2 shown]
                                        ; implicit-def: $sgpr18_sgpr19
                                        ; implicit-def: $vgpr3
	s_and_saveexec_b64 s[16:17], vcc
	s_cbranch_execz .LBB175_121
; %bb.86:
	v_add_u32_e32 v2, 5, v73
	v_cmp_ne_u32_e32 vcc, v67, v64
	v_mov_b64_e32 v[20:21], 0
	v_mov_b32_e32 v18, v69
	v_cndmask_b32_e64 v19, 0, 1, vcc
	v_cmp_gt_u32_e32 vcc, s84, v2
	v_mov_b64_e32 v[22:23], v[20:21]
	v_mov_b64_e32 v[24:25], v[20:21]
	;; [unrolled: 1-line block ×16, first 2 shown]
                                        ; implicit-def: $sgpr22_sgpr23
                                        ; implicit-def: $vgpr3
	s_and_saveexec_b64 s[18:19], vcc
	s_cbranch_execz .LBB175_120
; %bb.87:
	ds_read2_b32 v[66:67], v1 offset0:5 offset1:6
	v_add_u32_e32 v2, 6, v73
	v_cmp_ne_u32_e32 vcc, v64, v65
	v_mov_b64_e32 v[22:23], 0
	s_mov_b64 s[24:25], 0
	v_cndmask_b32_e64 v21, 0, 1, vcc
	v_cmp_gt_u32_e32 vcc, s84, v2
	s_waitcnt lgkmcnt(0)
	v_mov_b32_e32 v20, v66
	v_mov_b64_e32 v[24:25], v[22:23]
	v_mov_b64_e32 v[26:27], v[22:23]
	;; [unrolled: 1-line block ×15, first 2 shown]
                                        ; implicit-def: $sgpr22_sgpr23
                                        ; implicit-def: $vgpr3
	s_and_saveexec_b64 s[20:21], vcc
	s_cbranch_execz .LBB175_119
; %bb.88:
	v_add_u32_e32 v2, 7, v73
	v_cmp_ne_u32_e32 vcc, v65, v62
	v_mov_b64_e32 v[24:25], 0
	v_mov_b32_e32 v22, v67
	v_cndmask_b32_e64 v23, 0, 1, vcc
	v_cmp_gt_u32_e32 vcc, s84, v2
	v_mov_b64_e32 v[26:27], v[24:25]
	v_mov_b64_e32 v[28:29], v[24:25]
	v_mov_b64_e32 v[30:31], v[24:25]
	v_mov_b64_e32 v[32:33], v[24:25]
	v_mov_b64_e32 v[34:35], v[24:25]
	v_mov_b64_e32 v[36:37], v[24:25]
	v_mov_b64_e32 v[38:39], v[24:25]
	v_mov_b64_e32 v[40:41], v[24:25]
	v_mov_b64_e32 v[42:43], v[24:25]
	v_mov_b64_e32 v[44:45], v[24:25]
	v_mov_b64_e32 v[46:47], v[24:25]
	v_mov_b64_e32 v[48:49], v[24:25]
	v_mov_b64_e32 v[50:51], v[24:25]
	v_mov_b64_e32 v[52:53], v[24:25]
                                        ; implicit-def: $sgpr26_sgpr27
                                        ; implicit-def: $vgpr3
	s_and_saveexec_b64 s[22:23], vcc
	s_cbranch_execz .LBB175_118
; %bb.89:
	ds_read2_b32 v[64:65], v1 offset0:7 offset1:8
	v_add_u32_e32 v2, 8, v73
	v_cmp_ne_u32_e32 vcc, v62, v63
	v_mov_b64_e32 v[26:27], 0
	s_mov_b64 s[28:29], 0
	v_cndmask_b32_e64 v25, 0, 1, vcc
	v_cmp_gt_u32_e32 vcc, s84, v2
	s_waitcnt lgkmcnt(0)
	v_mov_b32_e32 v24, v64
	v_mov_b64_e32 v[28:29], v[26:27]
	v_mov_b64_e32 v[30:31], v[26:27]
	;; [unrolled: 1-line block ×13, first 2 shown]
                                        ; implicit-def: $sgpr26_sgpr27
                                        ; implicit-def: $vgpr3
	s_and_saveexec_b64 s[24:25], vcc
	s_cbranch_execz .LBB175_117
; %bb.90:
	v_add_u32_e32 v2, 9, v73
	v_cmp_ne_u32_e32 vcc, v63, v60
	v_mov_b64_e32 v[28:29], 0
	v_mov_b32_e32 v26, v65
	v_cndmask_b32_e64 v27, 0, 1, vcc
	v_cmp_gt_u32_e32 vcc, s84, v2
	v_mov_b64_e32 v[30:31], v[28:29]
	v_mov_b64_e32 v[32:33], v[28:29]
	;; [unrolled: 1-line block ×12, first 2 shown]
                                        ; implicit-def: $sgpr30_sgpr31
                                        ; implicit-def: $vgpr3
	s_and_saveexec_b64 s[26:27], vcc
	s_cbranch_execz .LBB175_116
; %bb.91:
	ds_read2_b32 v[62:63], v1 offset0:9 offset1:10
	v_add_u32_e32 v2, 10, v73
	v_cmp_ne_u32_e32 vcc, v60, v61
	v_mov_b64_e32 v[30:31], 0
	s_mov_b64 s[34:35], 0
	v_cndmask_b32_e64 v29, 0, 1, vcc
	v_cmp_gt_u32_e32 vcc, s84, v2
	s_waitcnt lgkmcnt(0)
	v_mov_b32_e32 v28, v62
	v_mov_b64_e32 v[32:33], v[30:31]
	v_mov_b64_e32 v[34:35], v[30:31]
	;; [unrolled: 1-line block ×11, first 2 shown]
                                        ; implicit-def: $sgpr30_sgpr31
                                        ; implicit-def: $vgpr3
	s_and_saveexec_b64 s[28:29], vcc
	s_cbranch_execz .LBB175_115
; %bb.92:
	v_add_u32_e32 v2, 11, v73
	v_cmp_ne_u32_e32 vcc, v61, v58
	v_mov_b64_e32 v[32:33], 0
	v_mov_b32_e32 v30, v63
	v_cndmask_b32_e64 v31, 0, 1, vcc
	v_cmp_gt_u32_e32 vcc, s84, v2
	v_mov_b64_e32 v[34:35], v[32:33]
	v_mov_b64_e32 v[36:37], v[32:33]
	;; [unrolled: 1-line block ×10, first 2 shown]
                                        ; implicit-def: $sgpr36_sgpr37
                                        ; implicit-def: $vgpr3
	s_and_saveexec_b64 s[30:31], vcc
	s_cbranch_execz .LBB175_114
; %bb.93:
	ds_read2_b32 v[60:61], v1 offset0:11 offset1:12
	v_add_u32_e32 v2, 12, v73
	v_cmp_ne_u32_e32 vcc, v58, v59
	v_mov_b64_e32 v[34:35], 0
	s_mov_b64 s[38:39], 0
	v_cndmask_b32_e64 v33, 0, 1, vcc
	v_cmp_gt_u32_e32 vcc, s84, v2
	s_waitcnt lgkmcnt(0)
	v_mov_b32_e32 v32, v60
	v_mov_b64_e32 v[36:37], v[34:35]
	v_mov_b64_e32 v[38:39], v[34:35]
	;; [unrolled: 1-line block ×9, first 2 shown]
                                        ; implicit-def: $sgpr36_sgpr37
                                        ; implicit-def: $vgpr3
	s_and_saveexec_b64 s[34:35], vcc
	s_cbranch_execz .LBB175_113
; %bb.94:
	v_add_u32_e32 v2, 13, v73
	v_cmp_ne_u32_e32 vcc, v59, v56
	v_mov_b64_e32 v[36:37], 0
	v_mov_b32_e32 v34, v61
	v_cndmask_b32_e64 v35, 0, 1, vcc
	v_cmp_gt_u32_e32 vcc, s84, v2
	v_mov_b64_e32 v[38:39], v[36:37]
	v_mov_b64_e32 v[40:41], v[36:37]
	;; [unrolled: 1-line block ×8, first 2 shown]
                                        ; implicit-def: $sgpr40_sgpr41
                                        ; implicit-def: $vgpr3
	s_and_saveexec_b64 s[36:37], vcc
	s_cbranch_execz .LBB175_112
; %bb.95:
	ds_read2_b32 v[58:59], v1 offset0:13 offset1:14
	v_add_u32_e32 v2, 14, v73
	v_cmp_ne_u32_e32 vcc, v56, v57
	v_mov_b64_e32 v[38:39], 0
	s_mov_b64 s[42:43], 0
	v_cndmask_b32_e64 v37, 0, 1, vcc
	v_cmp_gt_u32_e32 vcc, s84, v2
	s_waitcnt lgkmcnt(0)
	v_mov_b32_e32 v36, v58
	v_mov_b64_e32 v[40:41], v[38:39]
	v_mov_b64_e32 v[42:43], v[38:39]
	v_mov_b64_e32 v[44:45], v[38:39]
	v_mov_b64_e32 v[46:47], v[38:39]
	v_mov_b64_e32 v[48:49], v[38:39]
	v_mov_b64_e32 v[50:51], v[38:39]
	v_mov_b64_e32 v[52:53], v[38:39]
                                        ; implicit-def: $sgpr40_sgpr41
                                        ; implicit-def: $vgpr3
	s_and_saveexec_b64 s[38:39], vcc
	s_cbranch_execz .LBB175_111
; %bb.96:
	v_add_u32_e32 v2, 15, v73
	v_cmp_ne_u32_e32 vcc, v57, v54
	v_mov_b64_e32 v[40:41], 0
	v_mov_b32_e32 v38, v59
	v_cndmask_b32_e64 v39, 0, 1, vcc
	v_cmp_gt_u32_e32 vcc, s84, v2
	v_mov_b64_e32 v[42:43], v[40:41]
	v_mov_b64_e32 v[44:45], v[40:41]
	;; [unrolled: 1-line block ×6, first 2 shown]
                                        ; implicit-def: $sgpr44_sgpr45
                                        ; implicit-def: $vgpr3
	s_and_saveexec_b64 s[40:41], vcc
	s_cbranch_execz .LBB175_110
; %bb.97:
	ds_read2_b32 v[56:57], v1 offset0:15 offset1:16
	v_add_u32_e32 v2, 16, v73
	v_cmp_ne_u32_e32 vcc, v54, v55
	v_mov_b64_e32 v[42:43], 0
	s_mov_b64 s[46:47], 0
	v_cndmask_b32_e64 v41, 0, 1, vcc
	v_cmp_gt_u32_e32 vcc, s84, v2
	s_waitcnt lgkmcnt(0)
	v_mov_b32_e32 v40, v56
	v_mov_b64_e32 v[44:45], v[42:43]
	v_mov_b64_e32 v[46:47], v[42:43]
	;; [unrolled: 1-line block ×5, first 2 shown]
                                        ; implicit-def: $sgpr44_sgpr45
                                        ; implicit-def: $vgpr3
	s_and_saveexec_b64 s[42:43], vcc
	s_cbranch_execz .LBB175_109
; %bb.98:
	v_add_u32_e32 v2, 17, v73
	v_cmp_ne_u32_e32 vcc, v55, v8
	v_mov_b64_e32 v[44:45], 0
	v_mov_b32_e32 v42, v57
	v_cndmask_b32_e64 v43, 0, 1, vcc
	v_cmp_gt_u32_e32 vcc, s84, v2
	v_mov_b64_e32 v[46:47], v[44:45]
	v_mov_b64_e32 v[48:49], v[44:45]
	;; [unrolled: 1-line block ×4, first 2 shown]
                                        ; implicit-def: $sgpr48_sgpr49
                                        ; implicit-def: $vgpr3
	s_and_saveexec_b64 s[44:45], vcc
	s_cbranch_execz .LBB175_108
; %bb.99:
	ds_read2_b32 v[54:55], v1 offset0:17 offset1:18
	v_add_u32_e32 v2, 18, v73
	v_cmp_ne_u32_e32 vcc, v8, v9
	v_mov_b64_e32 v[46:47], 0
	s_mov_b64 s[50:51], 0
	v_cndmask_b32_e64 v45, 0, 1, vcc
	v_cmp_gt_u32_e32 vcc, s84, v2
	s_waitcnt lgkmcnt(0)
	v_mov_b32_e32 v44, v54
	v_mov_b64_e32 v[48:49], v[46:47]
	v_mov_b64_e32 v[50:51], v[46:47]
	;; [unrolled: 1-line block ×3, first 2 shown]
                                        ; implicit-def: $sgpr48_sgpr49
                                        ; implicit-def: $vgpr3
	s_and_saveexec_b64 s[46:47], vcc
	s_cbranch_execz .LBB175_107
; %bb.100:
	v_add_u32_e32 v2, 19, v73
	v_cmp_ne_u32_e32 vcc, v9, v6
	v_mov_b64_e32 v[48:49], 0
	v_mov_b32_e32 v46, v55
	v_cndmask_b32_e64 v47, 0, 1, vcc
	v_cmp_gt_u32_e32 vcc, s84, v2
	v_mov_b64_e32 v[50:51], v[48:49]
	v_mov_b64_e32 v[52:53], v[48:49]
                                        ; implicit-def: $sgpr52_sgpr53
                                        ; implicit-def: $vgpr3
	s_and_saveexec_b64 s[48:49], vcc
	s_cbranch_execz .LBB175_106
; %bb.101:
	ds_read2_b32 v[8:9], v1 offset0:19 offset1:20
	v_add_u32_e32 v2, 20, v73
	v_cmp_ne_u32_e32 vcc, v6, v7
	v_mov_b64_e32 v[50:51], 0
	s_mov_b64 s[52:53], 0
	v_cndmask_b32_e64 v49, 0, 1, vcc
	v_cmp_gt_u32_e32 vcc, s84, v2
	s_waitcnt lgkmcnt(0)
	v_mov_b32_e32 v48, v8
	v_mov_b64_e32 v[52:53], v[50:51]
                                        ; implicit-def: $sgpr64_sgpr65
                                        ; implicit-def: $vgpr3
	s_and_saveexec_b64 s[50:51], vcc
	s_cbranch_execz .LBB175_105
; %bb.102:
	v_add_u32_e32 v2, 21, v73
	v_cmp_ne_u32_e32 vcc, v7, v4
	v_mov_b32_e32 v50, v9
	v_mov_b64_e32 v[52:53], 0
	v_cndmask_b32_e64 v51, 0, 1, vcc
	v_cmp_gt_u32_e32 vcc, s84, v2
                                        ; implicit-def: $sgpr64_sgpr65
                                        ; implicit-def: $vgpr3
	s_and_saveexec_b64 s[0:1], vcc
	s_xor_b64 s[82:83], exec, s[0:1]
	s_cbranch_execz .LBB175_104
; %bb.103:
	ds_read2_b32 v[2:3], v1 offset0:21 offset1:22
	v_add_u32_e32 v1, 22, v73
	v_cmp_ne_u32_e64 s[0:1], v4, v5
	v_cmp_ne_u32_e32 vcc, v5, v72
	s_and_b64 s[64:65], vcc, exec
	v_cndmask_b32_e64 v53, 0, 1, s[0:1]
	v_cmp_gt_u32_e64 s[0:1], s84, v1
	s_waitcnt lgkmcnt(0)
	v_mov_b32_e32 v52, v2
	s_and_b64 s[52:53], s[0:1], exec
.LBB175_104:
	s_or_b64 exec, exec, s[82:83]
	s_and_b64 s[64:65], s[64:65], exec
	s_and_b64 s[0:1], s[52:53], exec
.LBB175_105:
	s_or_b64 exec, exec, s[50:51]
	s_and_b64 s[52:53], s[64:65], exec
	s_and_b64 s[50:51], s[0:1], exec
.LBB175_106:
	s_or_b64 exec, exec, s[48:49]
	s_and_b64 s[48:49], s[52:53], exec
	s_and_b64 s[0:1], s[50:51], exec
.LBB175_107:
	s_or_b64 exec, exec, s[46:47]
	s_and_b64 s[48:49], s[48:49], exec
	s_and_b64 s[46:47], s[0:1], exec
.LBB175_108:
	s_or_b64 exec, exec, s[44:45]
	s_and_b64 s[44:45], s[48:49], exec
	s_and_b64 s[0:1], s[46:47], exec
.LBB175_109:
	s_or_b64 exec, exec, s[42:43]
	s_and_b64 s[44:45], s[44:45], exec
	s_and_b64 s[42:43], s[0:1], exec
.LBB175_110:
	s_or_b64 exec, exec, s[40:41]
	s_and_b64 s[40:41], s[44:45], exec
	s_and_b64 s[0:1], s[42:43], exec
.LBB175_111:
	s_or_b64 exec, exec, s[38:39]
	s_and_b64 s[40:41], s[40:41], exec
	s_and_b64 s[38:39], s[0:1], exec
.LBB175_112:
	s_or_b64 exec, exec, s[36:37]
	s_and_b64 s[36:37], s[40:41], exec
	s_and_b64 s[0:1], s[38:39], exec
.LBB175_113:
	s_or_b64 exec, exec, s[34:35]
	s_and_b64 s[36:37], s[36:37], exec
	s_and_b64 s[34:35], s[0:1], exec
.LBB175_114:
	s_or_b64 exec, exec, s[30:31]
	s_and_b64 s[30:31], s[36:37], exec
	s_and_b64 s[0:1], s[34:35], exec
.LBB175_115:
	s_or_b64 exec, exec, s[28:29]
	s_and_b64 s[30:31], s[30:31], exec
	s_and_b64 s[28:29], s[0:1], exec
.LBB175_116:
	s_or_b64 exec, exec, s[26:27]
	s_and_b64 s[26:27], s[30:31], exec
	s_and_b64 s[0:1], s[28:29], exec
.LBB175_117:
	s_or_b64 exec, exec, s[24:25]
	s_and_b64 s[26:27], s[26:27], exec
	s_and_b64 s[24:25], s[0:1], exec
.LBB175_118:
	s_or_b64 exec, exec, s[22:23]
	s_and_b64 s[22:23], s[26:27], exec
	s_and_b64 s[0:1], s[24:25], exec
.LBB175_119:
	s_or_b64 exec, exec, s[20:21]
	s_and_b64 s[22:23], s[22:23], exec
	s_and_b64 s[20:21], s[0:1], exec
.LBB175_120:
	s_or_b64 exec, exec, s[18:19]
	s_and_b64 s[18:19], s[22:23], exec
	s_and_b64 s[0:1], s[20:21], exec
.LBB175_121:
	s_or_b64 exec, exec, s[16:17]
	s_and_b64 s[18:19], s[18:19], exec
	s_and_b64 s[16:17], s[0:1], exec
.LBB175_122:
	s_or_b64 exec, exec, s[14:15]
	s_and_b64 s[14:15], s[18:19], exec
	s_and_b64 s[0:1], s[16:17], exec
.LBB175_123:
	s_or_b64 exec, exec, s[12:13]
	s_and_b64 s[14:15], s[14:15], exec
	s_and_b64 s[12:13], s[0:1], exec
.LBB175_124:
	s_or_b64 exec, exec, s[10:11]
	s_and_b64 s[0:1], s[14:15], exec
	s_and_b64 s[10:11], s[12:13], exec
.LBB175_125:
	s_or_b64 exec, exec, s[8:9]
	s_mov_b64 s[8:9], 0
	s_and_b64 vcc, exec, s[6:7]
	v_lshlrev_b32_e32 v54, 2, v0
	s_cbranch_vccnz .LBB175_127
	s_branch .LBB175_135
.LBB175_126:
                                        ; implicit-def: $sgpr0_sgpr1
                                        ; implicit-def: $vgpr3
                                        ; implicit-def: $vgpr10_vgpr11
                                        ; implicit-def: $vgpr12_vgpr13
                                        ; implicit-def: $vgpr14_vgpr15
                                        ; implicit-def: $vgpr16_vgpr17
                                        ; implicit-def: $vgpr18_vgpr19
                                        ; implicit-def: $vgpr20_vgpr21
                                        ; implicit-def: $vgpr22_vgpr23
                                        ; implicit-def: $vgpr24_vgpr25
                                        ; implicit-def: $vgpr26_vgpr27
                                        ; implicit-def: $vgpr28_vgpr29
                                        ; implicit-def: $vgpr30_vgpr31
                                        ; implicit-def: $vgpr32_vgpr33
                                        ; implicit-def: $vgpr34_vgpr35
                                        ; implicit-def: $vgpr36_vgpr37
                                        ; implicit-def: $vgpr38_vgpr39
                                        ; implicit-def: $vgpr40_vgpr41
                                        ; implicit-def: $vgpr42_vgpr43
                                        ; implicit-def: $vgpr44_vgpr45
                                        ; implicit-def: $vgpr46_vgpr47
                                        ; implicit-def: $vgpr48_vgpr49
                                        ; implicit-def: $vgpr50_vgpr51
                                        ; implicit-def: $vgpr52_vgpr53
                                        ; implicit-def: $sgpr8_sgpr9
	s_and_b64 vcc, exec, s[6:7]
	v_lshlrev_b32_e32 v54, 2, v0
	s_cbranch_vccz .LBB175_135
.LBB175_127:
	v_mov_b32_e32 v55, 0
	v_lshl_add_u64 v[2:3], s[68:69], 0, v[54:55]
	v_add_co_u32_e32 v4, vcc, 0x1000, v2
	s_movk_i32 s0, 0x58
	s_nop 0
	v_addc_co_u32_e32 v5, vcc, 0, v3, vcc
	flat_load_dword v8, v[2:3]
	flat_load_dword v9, v[2:3] offset:1024
	s_waitcnt lgkmcnt(0)
	flat_load_dword v10, v[2:3] offset:2048
	flat_load_dword v11, v[2:3] offset:3072
	flat_load_dword v12, v[4:5]
	flat_load_dword v13, v[4:5] offset:1024
	flat_load_dword v14, v[4:5] offset:2048
	;; [unrolled: 1-line block ×3, first 2 shown]
	v_add_co_u32_e32 v4, vcc, 0x2000, v2
	v_mad_u32_u24 v1, v0, s0, v54
	s_nop 0
	v_addc_co_u32_e32 v5, vcc, 0, v3, vcc
	v_add_co_u32_e32 v6, vcc, 0x3000, v2
	s_cmp_eq_u64 s[80:81], 0
	s_nop 0
	v_addc_co_u32_e32 v7, vcc, 0, v3, vcc
	flat_load_dword v16, v[4:5]
	flat_load_dword v17, v[4:5] offset:1024
	flat_load_dword v18, v[4:5] offset:2048
	;; [unrolled: 1-line block ×3, first 2 shown]
	flat_load_dword v20, v[6:7]
	flat_load_dword v21, v[6:7] offset:1024
	flat_load_dword v22, v[6:7] offset:2048
	;; [unrolled: 1-line block ×3, first 2 shown]
	v_add_co_u32_e32 v4, vcc, 0x4000, v2
	s_nop 1
	v_addc_co_u32_e32 v5, vcc, 0, v3, vcc
	v_add_co_u32_e32 v2, vcc, 0x5000, v2
	s_nop 1
	v_addc_co_u32_e32 v3, vcc, 0, v3, vcc
	flat_load_dword v6, v[4:5]
	flat_load_dword v7, v[4:5] offset:1024
	flat_load_dword v24, v[4:5] offset:2048
	;; [unrolled: 1-line block ×3, first 2 shown]
	flat_load_dword v26, v[2:3]
	flat_load_dword v27, v[2:3] offset:1024
	flat_load_dword v28, v[2:3] offset:2048
	s_waitcnt vmcnt(0)
	ds_write2st64_b32 v54, v8, v9 offset1:4
	s_waitcnt lgkmcnt(0)
	ds_write2st64_b32 v54, v10, v11 offset0:8 offset1:12
	ds_write2st64_b32 v54, v12, v13 offset0:16 offset1:20
	;; [unrolled: 1-line block ×10, first 2 shown]
	ds_write_b32 v54, v28 offset:22528
	s_waitcnt lgkmcnt(0)
	s_barrier
	ds_read2_b32 v[2:3], v1 offset1:1
	ds_read2_b32 v[18:19], v1 offset0:2 offset1:3
	ds_read2_b32 v[22:23], v1 offset0:4 offset1:5
	;; [unrolled: 1-line block ×10, first 2 shown]
	ds_read_b32 v10, v1 offset:88
	s_cbranch_scc1 .LBB175_132
; %bb.128:
	s_andn2_b64 vcc, exec, s[78:79]
	s_cbranch_vccnz .LBB175_302
; %bb.129:
	s_lshl_b64 s[0:1], s[80:81], 2
	s_add_u32 s0, s70, s0
	s_addc_u32 s1, s71, s1
	s_add_u32 s0, s0, -4
	s_addc_u32 s1, s1, -1
	s_cbranch_execnz .LBB175_131
.LBB175_130:
	s_add_u32 s0, s68, -4
	s_addc_u32 s1, s69, -1
.LBB175_131:
	s_mov_b64 s[68:69], s[0:1]
.LBB175_132:
	v_mov_b64_e32 v[12:13], s[68:69]
	flat_load_dword v11, v[12:13]
	s_movk_i32 s0, 0xffa8
	v_mad_i32_i24 v12, v0, s0, v1
	s_waitcnt lgkmcnt(0)
	ds_write_b32 v12, v10 offset:23552
	s_waitcnt lgkmcnt(0)
	s_barrier
	s_and_saveexec_b64 s[0:1], s[4:5]
	s_cbranch_execz .LBB175_134
; %bb.133:
	s_waitcnt vmcnt(0)
	v_mul_i32_i24_e32 v11, 0xffffffa8, v0
	v_add_u32_e32 v11, v1, v11
	ds_read_b32 v11, v11 offset:23548
.LBB175_134:
	s_or_b64 exec, exec, s[0:1]
	v_mov_b32_e32 v55, 0
	v_lshl_add_u64 v[12:13], s[60:61], 0, v[54:55]
	s_movk_i32 s0, 0x1000
	v_add_co_u32_e32 v14, vcc, s0, v12
	s_movk_i32 s0, 0x2000
	s_nop 0
	v_addc_co_u32_e32 v15, vcc, 0, v13, vcc
	s_waitcnt lgkmcnt(0)
	s_barrier
	flat_load_dword v20, v[12:13]
	flat_load_dword v21, v[12:13] offset:1024
	flat_load_dword v24, v[12:13] offset:2048
	;; [unrolled: 1-line block ×3, first 2 shown]
	flat_load_dword v28, v[14:15]
	flat_load_dword v29, v[14:15] offset:1024
	flat_load_dword v32, v[14:15] offset:2048
	;; [unrolled: 1-line block ×3, first 2 shown]
	v_add_co_u32_e32 v14, vcc, s0, v12
	s_movk_i32 s0, 0x3000
	s_nop 0
	v_addc_co_u32_e32 v15, vcc, 0, v13, vcc
	v_add_co_u32_e32 v16, vcc, s0, v12
	s_movk_i32 s0, 0x4000
	s_nop 0
	v_addc_co_u32_e32 v17, vcc, 0, v13, vcc
	flat_load_dword v36, v[14:15]
	flat_load_dword v37, v[14:15] offset:1024
	flat_load_dword v40, v[14:15] offset:2048
	;; [unrolled: 1-line block ×3, first 2 shown]
	flat_load_dword v44, v[16:17]
	flat_load_dword v45, v[16:17] offset:1024
	flat_load_dword v46, v[16:17] offset:2048
	;; [unrolled: 1-line block ×3, first 2 shown]
	v_add_co_u32_e32 v14, vcc, s0, v12
	s_movk_i32 s0, 0x5000
	s_nop 0
	v_addc_co_u32_e32 v15, vcc, 0, v13, vcc
	v_add_co_u32_e32 v12, vcc, s0, v12
	v_cmp_ne_u32_e64 s[0:1], v5, v10
	s_nop 0
	v_addc_co_u32_e32 v13, vcc, 0, v13, vcc
	flat_load_dword v16, v[14:15]
	flat_load_dword v17, v[14:15] offset:1024
	flat_load_dword v48, v[14:15] offset:2048
	;; [unrolled: 1-line block ×3, first 2 shown]
	flat_load_dword v50, v[12:13]
	flat_load_dword v51, v[12:13] offset:1024
	flat_load_dword v52, v[12:13] offset:2048
	s_waitcnt vmcnt(0)
	v_cmp_ne_u32_e32 vcc, v11, v2
	s_mov_b64 s[10:11], -1
                                        ; implicit-def: $sgpr8_sgpr9
	s_waitcnt lgkmcnt(0)
	ds_write2st64_b32 v54, v20, v21 offset1:4
	ds_write2st64_b32 v54, v24, v25 offset0:8 offset1:12
	ds_write2st64_b32 v54, v28, v29 offset0:16 offset1:20
	;; [unrolled: 1-line block ×10, first 2 shown]
	ds_write_b32 v54, v52 offset:22528
	v_cndmask_b32_e64 v11, 0, 1, vcc
	v_cmp_ne_u32_e32 vcc, v2, v3
	s_waitcnt lgkmcnt(0)
	s_barrier
	v_cndmask_b32_e64 v13, 0, 1, vcc
	v_cmp_ne_u32_e32 vcc, v3, v18
	ds_read2_b32 v[16:17], v1 offset1:1
	ds_read2_b32 v[20:21], v1 offset0:2 offset1:3
	ds_read2_b32 v[24:25], v1 offset0:4 offset1:5
	;; [unrolled: 1-line block ×10, first 2 shown]
	ds_read_b32 v3, v1 offset:88
	v_cndmask_b32_e64 v15, 0, 1, vcc
	v_cmp_ne_u32_e32 vcc, v18, v19
	s_waitcnt lgkmcnt(11)
	v_mov_b32_e32 v12, v17
	v_mov_b32_e32 v10, v16
	v_cndmask_b32_e64 v17, 0, 1, vcc
	v_cmp_ne_u32_e32 vcc, v19, v22
	s_waitcnt lgkmcnt(10)
	v_mov_b32_e32 v16, v21
	v_mov_b32_e32 v14, v20
	v_cndmask_b32_e64 v19, 0, 1, vcc
	v_cmp_ne_u32_e32 vcc, v22, v23
	s_waitcnt lgkmcnt(9)
	v_mov_b32_e32 v20, v25
	v_mov_b32_e32 v18, v24
	v_cndmask_b32_e64 v21, 0, 1, vcc
	v_cmp_ne_u32_e32 vcc, v23, v26
	s_waitcnt lgkmcnt(8)
	v_mov_b32_e32 v24, v29
	v_mov_b32_e32 v22, v28
	v_cndmask_b32_e64 v23, 0, 1, vcc
	v_cmp_ne_u32_e32 vcc, v26, v27
	s_waitcnt lgkmcnt(7)
	v_mov_b32_e32 v28, v33
	v_mov_b32_e32 v26, v32
	v_cndmask_b32_e64 v25, 0, 1, vcc
	v_cmp_ne_u32_e32 vcc, v27, v30
	s_waitcnt lgkmcnt(6)
	v_mov_b32_e32 v32, v37
	s_waitcnt lgkmcnt(2)
	v_mov_b32_e32 v48, v51
	v_cndmask_b32_e64 v27, 0, 1, vcc
	v_cmp_ne_u32_e32 vcc, v30, v31
	v_mov_b32_e32 v30, v36
	v_mov_b32_e32 v36, v41
	v_cndmask_b32_e64 v29, 0, 1, vcc
	v_cmp_ne_u32_e32 vcc, v31, v34
	s_waitcnt lgkmcnt(1)
	v_mov_b32_e32 v52, v57
	v_cndmask_b32_e64 v31, 0, 1, vcc
	v_cmp_ne_u32_e32 vcc, v34, v35
	v_mov_b32_e32 v34, v40
	v_mov_b32_e32 v40, v45
	v_cndmask_b32_e64 v33, 0, 1, vcc
	v_cmp_ne_u32_e32 vcc, v35, v38
	s_nop 1
	v_cndmask_b32_e64 v35, 0, 1, vcc
	v_cmp_ne_u32_e32 vcc, v38, v39
	v_mov_b32_e32 v38, v44
	v_mov_b32_e32 v44, v47
	v_cndmask_b32_e64 v37, 0, 1, vcc
	v_cmp_ne_u32_e32 vcc, v39, v42
	s_nop 1
	v_cndmask_b32_e64 v39, 0, 1, vcc
	v_cmp_ne_u32_e32 vcc, v42, v43
	v_mov_b32_e32 v42, v46
	v_mov_b32_e32 v46, v50
	v_cndmask_b32_e64 v41, 0, 1, vcc
	v_cmp_ne_u32_e32 vcc, v43, v8
	v_mov_b32_e32 v50, v56
	s_nop 0
	v_cndmask_b32_e64 v43, 0, 1, vcc
	v_cmp_ne_u32_e32 vcc, v8, v9
	s_nop 1
	v_cndmask_b32_e64 v45, 0, 1, vcc
	v_cmp_ne_u32_e32 vcc, v9, v6
	;; [unrolled: 3-line block ×5, first 2 shown]
	s_nop 1
	v_cndmask_b32_e64 v53, 0, 1, vcc
.LBB175_135:
	v_mov_b64_e32 v[56:57], s[8:9]
	s_and_saveexec_b64 s[6:7], s[10:11]
	s_cbranch_execz .LBB175_137
; %bb.136:
	v_cndmask_b32_e64 v57, 0, 1, s[0:1]
	s_waitcnt lgkmcnt(0)
	v_mov_b32_e32 v56, v3
.LBB175_137:
	s_or_b64 exec, exec, s[6:7]
	s_mov_b32 s0, 0
	s_cmp_lg_u32 s75, 0
	v_or_b32_e32 v55, v57, v53
	v_lshrrev_b32_e32 v1, 5, v0
	v_cmp_gt_u32_e32 vcc, 64, v0
	s_waitcnt lgkmcnt(0)
	s_barrier
	s_cbranch_scc0 .LBB175_204
; %bb.138:
	s_mov_b32 s1, 1
	v_cmp_gt_u64_e64 s[6:7], s[0:1], v[12:13]
	v_cmp_gt_u64_e64 s[8:9], s[0:1], v[14:15]
	v_cmp_gt_u64_e64 s[10:11], s[0:1], v[16:17]
	v_cndmask_b32_e64 v2, 1, v10, s[6:7]
	v_mul_lo_u32 v2, v2, v12
	v_cndmask_b32_e64 v2, 1, v2, s[8:9]
	v_mul_lo_u32 v2, v2, v14
	v_cndmask_b32_e64 v2, 1, v2, s[10:11]
	v_mul_lo_u32 v2, v2, v16
	v_cmp_gt_u64_e64 s[12:13], s[0:1], v[18:19]
	v_cmp_gt_u64_e64 s[14:15], s[0:1], v[20:21]
	v_cmp_gt_u64_e64 s[16:17], s[0:1], v[22:23]
	v_cndmask_b32_e64 v2, 1, v2, s[12:13]
	v_mul_lo_u32 v2, v2, v18
	v_cndmask_b32_e64 v2, 1, v2, s[14:15]
	v_mul_lo_u32 v2, v2, v20
	v_cndmask_b32_e64 v2, 1, v2, s[16:17]
	v_mul_lo_u32 v2, v2, v22
	;; [unrolled: 9-line block ×7, first 2 shown]
	v_cmp_gt_u64_e64 s[50:51], s[0:1], v[56:57]
	v_mov_b32_e32 v6, 0
	s_nop 0
	v_cndmask_b32_e64 v2, 1, v2, s[50:51]
	v_mul_lo_u32 v59, v2, v56
	v_or3_b32 v2, v55, v51, v49
	v_or3_b32 v2, v2, v47, v45
	;; [unrolled: 1-line block ×10, first 2 shown]
	v_and_b32_e32 v2, 1, v2
	v_cmp_eq_u32_e64 s[0:1], 1, v2
	v_add_lshl_u32 v2, v1, v0, 3
	s_nop 0
	v_cndmask_b32_e64 v64, v11, 1, s[0:1]
	ds_write_b32 v2, v59
	ds_write_b8 v2, v64 offset:4
	s_waitcnt lgkmcnt(0)
	s_barrier
	s_and_saveexec_b64 s[52:53], vcc
	s_cbranch_execz .LBB175_152
; %bb.139:
	v_lshrrev_b32_e32 v2, 3, v0
	v_add_lshl_u32 v4, v2, v54, 3
	ds_read2_b32 v[8:9], v4 offset0:2 offset1:4
	ds_read_b64 v[2:3], v4
	ds_read_u8 v7, v4 offset:12
	ds_read_u8 v58, v4 offset:20
	ds_read_b32 v60, v4 offset:24
	ds_read_u8 v61, v4 offset:28
	s_waitcnt lgkmcnt(4)
	v_and_b32_e32 v5, 1, v3
	s_waitcnt lgkmcnt(3)
	v_cmp_eq_u16_sdwa s[0:1], v7, v6 src0_sel:BYTE_0 src1_sel:DWORD
	s_nop 1
	v_cndmask_b32_e64 v62, 1, v2, s[0:1]
	v_mul_lo_u32 v8, v62, v8
	s_waitcnt lgkmcnt(2)
	v_cmp_eq_u16_sdwa s[0:1], v58, v6 src0_sel:BYTE_0 src1_sel:DWORD
	s_nop 1
	v_cndmask_b32_e64 v6, 1, v8, s[0:1]
	s_waitcnt lgkmcnt(0)
	v_or_b32_e32 v8, v61, v58
	v_or_b32_e32 v7, v8, v7
	v_mul_lo_u32 v6, v6, v9
	v_cmp_eq_u16_e64 s[0:1], 0, v61
	v_and_b32_e32 v7, 1, v7
	v_mbcnt_lo_u32_b32 v8, -1, 0
	v_cndmask_b32_e64 v6, 1, v6, s[0:1]
	v_cmp_eq_u32_e64 s[0:1], 1, v7
	v_and_b32_e32 v7, 0xffffff00, v3
	v_mbcnt_hi_u32_b32 v8, -1, v8
	v_cndmask_b32_e64 v9, v5, 1, s[0:1]
	v_mul_lo_u32 v6, v6, v60
	v_and_b32_e32 v60, 15, v8
	v_or_b32_sdwa v58, v7, v9 dst_sel:DWORD dst_unused:UNUSED_PAD src0_sel:DWORD src1_sel:WORD_0
	v_mov_b32_dpp v62, v6 row_shr:1 row_mask:0xf bank_mask:0xf
	v_cmp_ne_u32_e64 s[0:1], 0, v60
	v_mov_b32_dpp v61, v58 row_shr:1 row_mask:0xf bank_mask:0xf
	s_and_saveexec_b64 s[60:61], s[0:1]
; %bb.140:
	v_cmp_eq_u16_e64 s[0:1], 0, v9
	v_and_b32_e32 v9, 1, v9
	s_nop 0
	v_cndmask_b32_e64 v58, 1, v62, s[0:1]
	v_mul_lo_u32 v6, v58, v6
	v_and_b32_e32 v58, 1, v61
	v_cmp_eq_u32_e64 s[0:1], 1, v9
	s_nop 1
	v_cndmask_b32_e64 v9, v58, 1, s[0:1]
	v_or_b32_sdwa v58, v7, v9 dst_sel:DWORD dst_unused:UNUSED_PAD src0_sel:DWORD src1_sel:WORD_0
; %bb.141:
	s_or_b64 exec, exec, s[60:61]
	v_mov_b32_dpp v62, v6 row_shr:2 row_mask:0xf bank_mask:0xf
	v_mov_b32_dpp v61, v58 row_shr:2 row_mask:0xf bank_mask:0xf
	v_cmp_lt_u32_e64 s[0:1], 1, v60
	s_and_saveexec_b64 s[60:61], s[0:1]
; %bb.142:
	v_cmp_eq_u16_e64 s[0:1], 0, v9
	v_and_b32_e32 v9, 1, v9
	s_nop 0
	v_cndmask_b32_e64 v58, 1, v62, s[0:1]
	v_mul_lo_u32 v6, v58, v6
	v_and_b32_e32 v58, 1, v61
	v_cmp_eq_u32_e64 s[0:1], 1, v9
	s_nop 1
	v_cndmask_b32_e64 v9, v58, 1, s[0:1]
	v_or_b32_sdwa v58, v7, v9 dst_sel:DWORD dst_unused:UNUSED_PAD src0_sel:DWORD src1_sel:WORD_0
; %bb.143:
	s_or_b64 exec, exec, s[60:61]
	v_mov_b32_dpp v62, v6 row_shr:4 row_mask:0xf bank_mask:0xf
	v_mov_b32_dpp v61, v58 row_shr:4 row_mask:0xf bank_mask:0xf
	v_cmp_lt_u32_e64 s[0:1], 3, v60
	;; [unrolled: 17-line block ×3, first 2 shown]
	s_and_saveexec_b64 s[60:61], s[0:1]
; %bb.146:
	v_cmp_eq_u16_e64 s[0:1], 0, v9
	v_and_b32_e32 v9, 1, v9
	s_nop 0
	v_cndmask_b32_e64 v58, 1, v62, s[0:1]
	v_mul_lo_u32 v6, v58, v6
	v_and_b32_e32 v58, 1, v61
	v_cmp_eq_u32_e64 s[0:1], 1, v9
	s_nop 1
	v_cndmask_b32_e64 v9, v58, 1, s[0:1]
	v_or_b32_sdwa v58, v7, v9 dst_sel:DWORD dst_unused:UNUSED_PAD src0_sel:DWORD src1_sel:WORD_0
; %bb.147:
	s_or_b64 exec, exec, s[60:61]
	v_and_b32_e32 v62, 16, v8
	v_mov_b32_dpp v61, v6 row_bcast:15 row_mask:0xf bank_mask:0xf
	v_mov_b32_dpp v60, v58 row_bcast:15 row_mask:0xf bank_mask:0xf
	v_cmp_ne_u32_e64 s[0:1], 0, v62
	s_and_saveexec_b64 s[60:61], s[0:1]
; %bb.148:
	v_cmp_eq_u16_e64 s[0:1], 0, v9
	v_and_b32_e32 v9, 1, v9
	s_nop 0
	v_cndmask_b32_e64 v58, 1, v61, s[0:1]
	v_mul_lo_u32 v6, v58, v6
	v_and_b32_e32 v58, 1, v60
	v_cmp_eq_u32_e64 s[0:1], 1, v9
	s_nop 1
	v_cndmask_b32_e64 v9, v58, 1, s[0:1]
	v_or_b32_sdwa v58, v7, v9 dst_sel:DWORD dst_unused:UNUSED_PAD src0_sel:DWORD src1_sel:WORD_0
; %bb.149:
	s_or_b64 exec, exec, s[60:61]
	v_mov_b32_dpp v60, v6 row_bcast:31 row_mask:0xf bank_mask:0xf
	v_mov_b32_dpp v58, v58 row_bcast:31 row_mask:0xf bank_mask:0xf
	v_cmp_lt_u32_e64 s[0:1], 31, v8
	s_and_saveexec_b64 s[60:61], s[0:1]
; %bb.150:
	v_cmp_eq_u16_e64 s[0:1], 0, v9
	v_and_b32_e32 v9, 1, v9
	v_and_b32_e32 v58, 1, v58
	v_cndmask_b32_e64 v60, 1, v60, s[0:1]
	v_cmp_eq_u32_e64 s[0:1], 1, v9
	v_mul_lo_u32 v6, v60, v6
	s_nop 0
	v_cndmask_b32_e64 v9, v58, 1, s[0:1]
; %bb.151:
	s_or_b64 exec, exec, s[60:61]
	v_add_u32_e32 v58, -1, v8
	v_and_b32_e32 v60, 64, v8
	v_cmp_lt_i32_e64 s[0:1], v58, v60
	v_or_b32_sdwa v7, v7, v9 dst_sel:DWORD dst_unused:UNUSED_PAD src0_sel:DWORD src1_sel:WORD_0
	s_nop 0
	v_cndmask_b32_e64 v8, v58, v8, s[0:1]
	v_lshlrev_b32_e32 v8, 2, v8
	ds_bpermute_b32 v6, v8, v6
	ds_bpermute_b32 v7, v8, v7
	v_mov_b32_e32 v8, 0
	v_cmp_eq_u16_sdwa s[0:1], v3, v8 src0_sel:BYTE_0 src1_sel:DWORD
	; wave barrier
	s_waitcnt lgkmcnt(1)
	s_nop 0
	v_cndmask_b32_e64 v3, 1, v6, s[0:1]
	v_mul_lo_u32 v2, v3, v2
	s_waitcnt lgkmcnt(0)
	v_and_b32_e32 v3, 1, v7
	v_cmp_eq_u32_e64 s[0:1], 1, v5
	v_cndmask_b32_e64 v5, v2, v59, s[54:55]
	s_nop 0
	v_cndmask_b32_e64 v3, v3, 1, s[0:1]
	v_cndmask_b32_e64 v6, v3, v64, s[54:55]
	ds_write_b32 v4, v5
	ds_write_b8 v4, v6 offset:4
	; wave barrier
	ds_read_u8 v7, v4 offset:12
	ds_read2_b32 v[2:3], v4 offset0:2 offset1:4
	ds_read_u8 v8, v4 offset:20
	ds_read_b32 v9, v4 offset:24
	ds_read_u8 v58, v4 offset:28
	s_waitcnt lgkmcnt(4)
	v_cmp_eq_u16_e64 s[0:1], 0, v7
	s_nop 1
	v_cndmask_b32_e64 v5, 1, v5, s[0:1]
	s_waitcnt lgkmcnt(3)
	v_mul_lo_u32 v2, v5, v2
	v_and_b32_e32 v5, 1, v7
	v_cmp_eq_u32_e64 s[0:1], 1, v5
	s_nop 1
	v_cndmask_b32_e64 v5, v6, 1, s[0:1]
	s_waitcnt lgkmcnt(2)
	v_cmp_eq_u16_e64 s[0:1], 0, v8
	ds_write_b8 v4, v5 offset:12
	s_nop 0
	v_cndmask_b32_e64 v6, 1, v2, s[0:1]
	v_mul_lo_u32 v3, v6, v3
	v_and_b32_e32 v6, 1, v8
	v_cmp_eq_u32_e64 s[0:1], 1, v6
	s_nop 1
	v_cndmask_b32_e64 v5, v5, 1, s[0:1]
	s_waitcnt lgkmcnt(1)
	v_cmp_eq_u16_e64 s[0:1], 0, v58
	ds_write2_b32 v4, v2, v3 offset0:2 offset1:4
	ds_write_b8 v4, v5 offset:20
	v_cndmask_b32_e64 v2, 1, v3, s[0:1]
	v_and_b32_e32 v3, 1, v58
	v_mul_lo_u32 v2, v2, v9
	v_cmp_eq_u32_e64 s[0:1], 1, v3
	s_nop 1
	v_cndmask_b32_e64 v3, v5, 1, s[0:1]
	ds_write_b32 v4, v2 offset:24
	ds_write_b8 v4, v3 offset:28
.LBB175_152:
	s_or_b64 exec, exec, s[52:53]
	v_mov_b32_e32 v58, v11
	s_waitcnt lgkmcnt(0)
	s_barrier
	s_and_saveexec_b64 s[0:1], s[4:5]
	s_cbranch_execz .LBB175_154
; %bb.153:
	v_add_u32_e32 v2, -1, v0
	v_lshrrev_b32_e32 v3, 5, v2
	v_add_lshl_u32 v2, v3, v2, 3
	ds_read_b32 v59, v2
	ds_read_u8 v64, v2 offset:4
.LBB175_154:
	s_or_b64 exec, exec, s[0:1]
	s_and_saveexec_b64 s[0:1], vcc
	s_cbranch_execz .LBB175_201
; %bb.155:
	v_mov_b32_e32 v5, 0
	ds_read_b64 v[2:3], v5 offset:2096
	v_mbcnt_lo_u32_b32 v4, -1, 0
	v_mbcnt_hi_u32_b32 v61, -1, v4
	s_mov_b32 s65, 0
	v_cmp_eq_u32_e64 s[52:53], 0, v61
	s_waitcnt lgkmcnt(0)
	v_readfirstlane_b32 s70, v3
	s_and_saveexec_b64 s[60:61], s[52:53]
	s_cbranch_execz .LBB175_157
; %bb.156:
	s_add_i32 s64, s75, 64
	s_lshl_b64 s[68:69], s[64:65], 4
	s_add_u32 s68, s72, s68
	s_addc_u32 s69, s73, s69
	s_and_b32 s79, s70, 0xff000000
	s_mov_b32 s78, s65
	s_and_b32 s81, s70, 0xff0000
	s_mov_b32 s80, s65
	s_or_b64 s[78:79], s[80:81], s[78:79]
	s_and_b32 s81, s70, 0xff00
	s_or_b64 s[78:79], s[78:79], s[80:81]
	s_and_b32 s81, s70, 0xff
	s_or_b64 s[64:65], s[78:79], s[80:81]
	v_mov_b32_e32 v3, s65
	v_mov_b32_e32 v4, 1
	v_mov_b64_e32 v[6:7], s[68:69]
	;;#ASMSTART
	global_store_dwordx4 v[6:7], v[2:5] off sc1	
s_waitcnt vmcnt(0)
	;;#ASMEND
.LBB175_157:
	s_or_b64 exec, exec, s[60:61]
	v_xad_u32 v60, v61, -1, s75
	v_add_u32_e32 v4, 64, v60
	v_lshl_add_u64 v[62:63], v[4:5], 4, s[72:73]
	;;#ASMSTART
	global_load_dwordx4 v[6:9], v[62:63] off sc1	
s_waitcnt vmcnt(0)
	;;#ASMEND
	s_nop 0
	v_and_b32_e32 v3, 0xff0000, v6
	v_and_b32_e32 v4, 0xff000000, v6
	;; [unrolled: 1-line block ×3, first 2 shown]
	v_or_b32_sdwa v3, v6, v3 dst_sel:DWORD dst_unused:UNUSED_PAD src0_sel:WORD_0 src1_sel:DWORD
	v_or3_b32 v7, 0, 0, v7
	v_or3_b32 v6, v3, v4, 0
	v_cmp_eq_u16_sdwa s[64:65], v8, v5 src0_sel:BYTE_0 src1_sel:DWORD
	s_and_saveexec_b64 s[60:61], s[64:65]
	s_cbranch_execz .LBB175_163
; %bb.158:
	s_mov_b32 s68, 1
	s_mov_b64 s[64:65], 0
	v_mov_b32_e32 v3, 0
.LBB175_159:                            ; =>This Loop Header: Depth=1
                                        ;     Child Loop BB175_160 Depth 2
	s_max_u32 s69, s68, 1
.LBB175_160:                            ;   Parent Loop BB175_159 Depth=1
                                        ; =>  This Inner Loop Header: Depth=2
	s_add_i32 s69, s69, -1
	s_cmp_eq_u32 s69, 0
	s_sleep 1
	s_cbranch_scc0 .LBB175_160
; %bb.161:                              ;   in Loop: Header=BB175_159 Depth=1
	s_cmp_lt_u32 s68, 32
	s_cselect_b64 s[78:79], -1, 0
	s_cmp_lg_u64 s[78:79], 0
	s_addc_u32 s68, s68, 0
	;;#ASMSTART
	global_load_dwordx4 v[6:9], v[62:63] off sc1	
s_waitcnt vmcnt(0)
	;;#ASMEND
	s_nop 0
	v_cmp_ne_u16_sdwa s[78:79], v8, v3 src0_sel:BYTE_0 src1_sel:DWORD
	s_or_b64 s[64:65], s[78:79], s[64:65]
	s_andn2_b64 exec, exec, s[64:65]
	s_cbranch_execnz .LBB175_159
; %bb.162:
	s_or_b64 exec, exec, s[64:65]
	v_and_b32_e32 v7, 0xff, v7
.LBB175_163:
	s_or_b64 exec, exec, s[60:61]
	v_mov_b32_e32 v3, 2
	v_cmp_eq_u16_sdwa s[60:61], v8, v3 src0_sel:BYTE_0 src1_sel:DWORD
	v_lshlrev_b64 v[4:5], v61, -1
	s_mov_b32 s64, 0
	v_and_b32_e32 v3, s61, v5
	v_or_b32_e32 v3, 0x80000000, v3
	v_ffbl_b32_e32 v3, v3
	v_add_u32_e32 v62, 32, v3
	v_and_b32_e32 v3, 63, v61
	v_cmp_ne_u32_e32 vcc, 63, v3
	v_and_b32_e32 v9, s60, v4
	v_ffbl_b32_e32 v9, v9
	v_addc_co_u32_e32 v63, vcc, 0, v61, vcc
	v_lshlrev_b32_e32 v65, 2, v63
	ds_bpermute_b32 v66, v65, v6
	ds_bpermute_b32 v63, v65, v7
	v_min_u32_e32 v9, v9, v62
	v_cmp_lt_u32_e32 vcc, v3, v9
	v_mov_b32_e32 v62, v7
	s_and_saveexec_b64 s[60:61], vcc
	s_cbranch_execz .LBB175_165
; %bb.164:
	s_mov_b32 s65, 1
	v_cmp_gt_u64_e32 vcc, s[64:65], v[6:7]
	v_and_b32_e32 v7, 1, v7
	s_waitcnt lgkmcnt(1)
	v_cndmask_b32_e32 v62, 1, v66, vcc
	v_mul_lo_u32 v6, v62, v6
	s_waitcnt lgkmcnt(0)
	v_and_b32_e32 v62, 1, v63
	v_cmp_eq_u32_e32 vcc, 1, v7
	s_nop 1
	v_cndmask_b32_e64 v7, v62, 1, vcc
	v_and_b32_e32 v62, 0xffff, v7
.LBB175_165:
	s_or_b64 exec, exec, s[60:61]
	v_cmp_gt_u32_e32 vcc, 62, v3
	v_add_u32_e32 v67, 2, v3
	s_waitcnt lgkmcnt(0)
	v_cndmask_b32_e64 v63, 0, 1, vcc
	v_lshlrev_b32_e32 v63, 1, v63
	v_add_lshl_u32 v66, v63, v61, 2
	ds_bpermute_b32 v68, v66, v6
	ds_bpermute_b32 v63, v66, v62
	v_cmp_le_u32_e32 vcc, v67, v9
	s_and_saveexec_b64 s[60:61], vcc
	s_cbranch_execz .LBB175_167
; %bb.166:
	v_cmp_eq_u16_e32 vcc, 0, v7
	v_and_b32_e32 v7, 1, v7
	s_waitcnt lgkmcnt(1)
	v_cndmask_b32_e32 v62, 1, v68, vcc
	v_mul_lo_u32 v6, v62, v6
	s_waitcnt lgkmcnt(0)
	v_and_b32_e32 v62, 1, v63
	v_cmp_eq_u32_e32 vcc, 1, v7
	s_nop 1
	v_cndmask_b32_e64 v7, v62, 1, vcc
	v_and_b32_e32 v62, 0xffff, v7
.LBB175_167:
	s_or_b64 exec, exec, s[60:61]
	v_cmp_gt_u32_e32 vcc, 60, v3
	v_add_u32_e32 v69, 4, v3
	s_waitcnt lgkmcnt(0)
	v_cndmask_b32_e64 v63, 0, 1, vcc
	v_lshlrev_b32_e32 v63, 2, v63
	v_add_lshl_u32 v68, v63, v61, 2
	ds_bpermute_b32 v70, v68, v6
	ds_bpermute_b32 v63, v68, v62
	v_cmp_le_u32_e32 vcc, v69, v9
	s_and_saveexec_b64 s[60:61], vcc
	s_cbranch_execz .LBB175_169
; %bb.168:
	v_cmp_eq_u16_e32 vcc, 0, v7
	v_and_b32_e32 v7, 1, v7
	s_waitcnt lgkmcnt(1)
	v_cndmask_b32_e32 v62, 1, v70, vcc
	v_mul_lo_u32 v6, v62, v6
	s_waitcnt lgkmcnt(0)
	v_and_b32_e32 v62, 1, v63
	v_cmp_eq_u32_e32 vcc, 1, v7
	s_nop 1
	v_cndmask_b32_e64 v7, v62, 1, vcc
	v_and_b32_e32 v62, 0xffff, v7
.LBB175_169:
	s_or_b64 exec, exec, s[60:61]
	v_cmp_gt_u32_e32 vcc, 56, v3
	v_add_u32_e32 v71, 8, v3
	s_waitcnt lgkmcnt(0)
	v_cndmask_b32_e64 v63, 0, 1, vcc
	v_lshlrev_b32_e32 v63, 3, v63
	v_add_lshl_u32 v70, v63, v61, 2
	ds_bpermute_b32 v72, v70, v6
	ds_bpermute_b32 v63, v70, v62
	v_cmp_le_u32_e32 vcc, v71, v9
	s_and_saveexec_b64 s[60:61], vcc
	s_cbranch_execz .LBB175_171
; %bb.170:
	v_cmp_eq_u16_e32 vcc, 0, v7
	v_and_b32_e32 v7, 1, v7
	s_waitcnt lgkmcnt(1)
	v_cndmask_b32_e32 v62, 1, v72, vcc
	v_mul_lo_u32 v6, v62, v6
	s_waitcnt lgkmcnt(0)
	v_and_b32_e32 v62, 1, v63
	v_cmp_eq_u32_e32 vcc, 1, v7
	s_nop 1
	v_cndmask_b32_e64 v7, v62, 1, vcc
	v_and_b32_e32 v62, 0xffff, v7
.LBB175_171:
	s_or_b64 exec, exec, s[60:61]
	v_cmp_gt_u32_e32 vcc, 48, v3
	v_add_u32_e32 v73, 16, v3
	s_waitcnt lgkmcnt(0)
	v_cndmask_b32_e64 v63, 0, 1, vcc
	v_lshlrev_b32_e32 v63, 4, v63
	v_add_lshl_u32 v72, v63, v61, 2
	ds_bpermute_b32 v74, v72, v6
	ds_bpermute_b32 v63, v72, v62
	v_cmp_le_u32_e32 vcc, v73, v9
	s_and_saveexec_b64 s[60:61], vcc
	s_cbranch_execz .LBB175_173
; %bb.172:
	v_cmp_eq_u16_e32 vcc, 0, v7
	v_and_b32_e32 v7, 1, v7
	s_waitcnt lgkmcnt(1)
	v_cndmask_b32_e32 v62, 1, v74, vcc
	v_mul_lo_u32 v6, v62, v6
	s_waitcnt lgkmcnt(0)
	v_and_b32_e32 v62, 1, v63
	v_cmp_eq_u32_e32 vcc, 1, v7
	s_nop 1
	v_cndmask_b32_e64 v7, v62, 1, vcc
	v_and_b32_e32 v62, 0xffff, v7
.LBB175_173:
	s_or_b64 exec, exec, s[60:61]
	v_cmp_gt_u32_e32 vcc, 32, v3
	v_add_u32_e32 v76, 32, v3
	s_waitcnt lgkmcnt(0)
	v_cndmask_b32_e64 v63, 0, 1, vcc
	v_lshlrev_b32_e32 v63, 5, v63
	v_add_lshl_u32 v75, v63, v61, 2
	ds_bpermute_b32 v63, v75, v6
	ds_bpermute_b32 v61, v75, v62
	v_cmp_le_u32_e32 vcc, v76, v9
	s_and_saveexec_b64 s[60:61], vcc
	s_cbranch_execz .LBB175_175
; %bb.174:
	v_cmp_eq_u16_e32 vcc, 0, v7
	v_and_b32_e32 v7, 1, v7
	s_waitcnt lgkmcnt(1)
	v_cndmask_b32_e32 v9, 1, v63, vcc
	v_mul_lo_u32 v6, v9, v6
	s_waitcnt lgkmcnt(0)
	v_and_b32_e32 v9, 1, v61
	v_cmp_eq_u32_e32 vcc, 1, v7
	s_nop 1
	v_cndmask_b32_e64 v7, v9, 1, vcc
.LBB175_175:
	s_or_b64 exec, exec, s[60:61]
	s_mov_b32 s60, 0
	s_mov_b32 s61, 1
	s_waitcnt lgkmcnt(0)
	v_mov_b32_e32 v61, 0
	v_mov_b32_e32 v78, 2
	s_branch .LBB175_177
.LBB175_176:                            ;   in Loop: Header=BB175_177 Depth=1
	s_or_b64 exec, exec, s[64:65]
	v_cmp_eq_u16_sdwa vcc, v74, v61 src0_sel:BYTE_0 src1_sel:DWORD
	v_and_b32_e32 v9, 1, v74
	v_and_b32_e32 v7, 1, v7
	v_cndmask_b32_e32 v6, 1, v6, vcc
	v_cmp_eq_u32_e32 vcc, 1, v9
	v_subrev_u32_e32 v60, 64, v60
	v_mul_lo_u32 v6, v6, v77
	v_cndmask_b32_e64 v7, v7, 1, vcc
.LBB175_177:                            ; =>This Loop Header: Depth=1
                                        ;     Child Loop BB175_180 Depth 2
                                        ;       Child Loop BB175_181 Depth 3
	v_cmp_ne_u16_sdwa s[64:65], v8, v78 src0_sel:BYTE_0 src1_sel:DWORD
	v_mov_b32_e32 v74, v7
	v_mov_b32_e32 v77, v6
	v_cndmask_b32_e64 v7, 0, 1, s[64:65]
	;;#ASMSTART
	;;#ASMEND
	s_nop 0
	v_cmp_ne_u32_e32 vcc, 0, v7
	s_cmp_lg_u64 vcc, exec
	s_cbranch_scc1 .LBB175_196
; %bb.178:                              ;   in Loop: Header=BB175_177 Depth=1
	s_waitcnt lgkmcnt(0)
	v_lshl_add_u64 v[62:63], v[60:61], 4, s[72:73]
	;;#ASMSTART
	global_load_dwordx4 v[6:9], v[62:63] off sc1	
s_waitcnt vmcnt(0)
	;;#ASMEND
	s_nop 0
	v_and_b32_e32 v9, 0xff0000, v6
	v_and_b32_e32 v79, 0xff000000, v6
	;; [unrolled: 1-line block ×3, first 2 shown]
	v_or_b32_sdwa v6, v6, v9 dst_sel:DWORD dst_unused:UNUSED_PAD src0_sel:WORD_0 src1_sel:DWORD
	v_or3_b32 v7, 0, 0, v7
	v_or3_b32 v6, v6, v79, 0
	v_cmp_eq_u16_sdwa s[68:69], v8, v61 src0_sel:BYTE_0 src1_sel:DWORD
	s_and_saveexec_b64 s[64:65], s[68:69]
	s_cbranch_execz .LBB175_184
; %bb.179:                              ;   in Loop: Header=BB175_177 Depth=1
	s_mov_b32 s71, 1
	s_mov_b64 s[68:69], 0
.LBB175_180:                            ;   Parent Loop BB175_177 Depth=1
                                        ; =>  This Loop Header: Depth=2
                                        ;       Child Loop BB175_181 Depth 3
	s_max_u32 s78, s71, 1
.LBB175_181:                            ;   Parent Loop BB175_177 Depth=1
                                        ;     Parent Loop BB175_180 Depth=2
                                        ; =>    This Inner Loop Header: Depth=3
	s_add_i32 s78, s78, -1
	s_cmp_eq_u32 s78, 0
	s_sleep 1
	s_cbranch_scc0 .LBB175_181
; %bb.182:                              ;   in Loop: Header=BB175_180 Depth=2
	s_cmp_lt_u32 s71, 32
	s_cselect_b64 s[78:79], -1, 0
	s_cmp_lg_u64 s[78:79], 0
	s_addc_u32 s71, s71, 0
	;;#ASMSTART
	global_load_dwordx4 v[6:9], v[62:63] off sc1	
s_waitcnt vmcnt(0)
	;;#ASMEND
	s_nop 0
	v_cmp_ne_u16_sdwa s[78:79], v8, v61 src0_sel:BYTE_0 src1_sel:DWORD
	s_or_b64 s[68:69], s[78:79], s[68:69]
	s_andn2_b64 exec, exec, s[68:69]
	s_cbranch_execnz .LBB175_180
; %bb.183:                              ;   in Loop: Header=BB175_177 Depth=1
	s_or_b64 exec, exec, s[68:69]
	v_and_b32_e32 v7, 0xff, v7
.LBB175_184:                            ;   in Loop: Header=BB175_177 Depth=1
	s_or_b64 exec, exec, s[64:65]
	v_cmp_eq_u16_sdwa s[64:65], v8, v78 src0_sel:BYTE_0 src1_sel:DWORD
	ds_bpermute_b32 v79, v65, v6
	ds_bpermute_b32 v63, v65, v7
	v_and_b32_e32 v9, s65, v5
	v_or_b32_e32 v9, 0x80000000, v9
	v_and_b32_e32 v62, s64, v4
	v_ffbl_b32_e32 v9, v9
	v_add_u32_e32 v9, 32, v9
	v_ffbl_b32_e32 v62, v62
	v_min_u32_e32 v9, v62, v9
	v_cmp_lt_u32_e32 vcc, v3, v9
	v_mov_b32_e32 v62, v7
	s_and_saveexec_b64 s[64:65], vcc
	s_cbranch_execz .LBB175_186
; %bb.185:                              ;   in Loop: Header=BB175_177 Depth=1
	v_cmp_gt_u64_e32 vcc, s[60:61], v[6:7]
	v_and_b32_e32 v7, 1, v7
	s_waitcnt lgkmcnt(1)
	v_cndmask_b32_e32 v62, 1, v79, vcc
	v_mul_lo_u32 v6, v62, v6
	s_waitcnt lgkmcnt(0)
	v_and_b32_e32 v62, 1, v63
	v_cmp_eq_u32_e32 vcc, 1, v7
	s_nop 1
	v_cndmask_b32_e64 v7, v62, 1, vcc
	v_and_b32_e32 v62, 0xffff, v7
.LBB175_186:                            ;   in Loop: Header=BB175_177 Depth=1
	s_or_b64 exec, exec, s[64:65]
	s_waitcnt lgkmcnt(1)
	ds_bpermute_b32 v79, v66, v6
	s_waitcnt lgkmcnt(1)
	ds_bpermute_b32 v63, v66, v62
	v_cmp_le_u32_e32 vcc, v67, v9
	s_and_saveexec_b64 s[64:65], vcc
	s_cbranch_execz .LBB175_188
; %bb.187:                              ;   in Loop: Header=BB175_177 Depth=1
	v_cmp_eq_u16_e32 vcc, 0, v7
	v_and_b32_e32 v7, 1, v7
	s_waitcnt lgkmcnt(1)
	v_cndmask_b32_e32 v62, 1, v79, vcc
	v_mul_lo_u32 v6, v62, v6
	s_waitcnt lgkmcnt(0)
	v_and_b32_e32 v62, 1, v63
	v_cmp_eq_u32_e32 vcc, 1, v7
	s_nop 1
	v_cndmask_b32_e64 v7, v62, 1, vcc
	v_and_b32_e32 v62, 0xffff, v7
.LBB175_188:                            ;   in Loop: Header=BB175_177 Depth=1
	s_or_b64 exec, exec, s[64:65]
	s_waitcnt lgkmcnt(1)
	ds_bpermute_b32 v79, v68, v6
	s_waitcnt lgkmcnt(1)
	ds_bpermute_b32 v63, v68, v62
	v_cmp_le_u32_e32 vcc, v69, v9
	s_and_saveexec_b64 s[64:65], vcc
	s_cbranch_execz .LBB175_190
; %bb.189:                              ;   in Loop: Header=BB175_177 Depth=1
	v_cmp_eq_u16_e32 vcc, 0, v7
	v_and_b32_e32 v7, 1, v7
	s_waitcnt lgkmcnt(1)
	v_cndmask_b32_e32 v62, 1, v79, vcc
	v_mul_lo_u32 v6, v62, v6
	s_waitcnt lgkmcnt(0)
	v_and_b32_e32 v62, 1, v63
	v_cmp_eq_u32_e32 vcc, 1, v7
	s_nop 1
	v_cndmask_b32_e64 v7, v62, 1, vcc
	v_and_b32_e32 v62, 0xffff, v7
.LBB175_190:                            ;   in Loop: Header=BB175_177 Depth=1
	;; [unrolled: 21-line block ×4, first 2 shown]
	s_or_b64 exec, exec, s[64:65]
	s_waitcnt lgkmcnt(0)
	ds_bpermute_b32 v63, v75, v6
	ds_bpermute_b32 v62, v75, v62
	v_cmp_le_u32_e32 vcc, v76, v9
	s_and_saveexec_b64 s[64:65], vcc
	s_cbranch_execz .LBB175_176
; %bb.195:                              ;   in Loop: Header=BB175_177 Depth=1
	v_cmp_eq_u16_e32 vcc, 0, v7
	v_and_b32_e32 v7, 1, v7
	s_waitcnt lgkmcnt(1)
	v_cndmask_b32_e32 v9, 1, v63, vcc
	v_cmp_eq_u32_e32 vcc, 1, v7
	v_mul_lo_u32 v6, v9, v6
	s_waitcnt lgkmcnt(0)
	v_cndmask_b32_e64 v7, v62, 1, vcc
	s_branch .LBB175_176
.LBB175_196:                            ;   in Loop: Header=BB175_177 Depth=1
                                        ; implicit-def: $vgpr7
	s_cbranch_execz .LBB175_177
; %bb.197:
	s_and_saveexec_b64 s[60:61], s[52:53]
	s_cbranch_execz .LBB175_199
; %bb.198:
	s_and_b32 s52, s70, 0xff
	s_cmp_eq_u32 s52, 0
	s_cselect_b64 vcc, -1, 0
	s_bitcmp1_b32 s70, 0
	s_mov_b32 s53, 0
	s_cselect_b64 s[64:65], -1, 0
	s_add_i32 s52, s75, 64
	s_lshl_b64 s[52:53], s[52:53], 4
	v_cndmask_b32_e32 v3, 1, v77, vcc
	s_add_u32 s52, s72, s52
	v_mul_lo_u32 v2, v3, v2
	v_and_b32_e32 v3, 1, v74
	s_addc_u32 s53, s73, s53
	v_cndmask_b32_e64 v3, v3, 1, s[64:65]
	v_mov_b32_e32 v4, 2
	v_mov_b32_e32 v5, 0
	v_mov_b64_e32 v[6:7], s[52:53]
	;;#ASMSTART
	global_store_dwordx4 v[6:7], v[2:5] off sc1	
s_waitcnt vmcnt(0)
	;;#ASMEND
.LBB175_199:
	s_or_b64 exec, exec, s[60:61]
	s_and_b64 exec, exec, s[54:55]
	s_cbranch_execz .LBB175_201
; %bb.200:
	v_mov_b32_e32 v2, 0
	ds_write_b32 v2, v77
	ds_write_b8 v2, v74 offset:4
.LBB175_201:
	s_or_b64 exec, exec, s[0:1]
	v_mov_b32_e32 v2, 0
	s_waitcnt lgkmcnt(0)
	s_barrier
	ds_read_b32 v3, v2
	v_mov_b32_e32 v4, v10
	s_and_saveexec_b64 s[0:1], s[4:5]
; %bb.202:
	v_and_b32_e32 v4, 1, v11
	s_mov_b32 s52, 0
	s_mov_b32 s53, 1
	v_and_b32_e32 v5, 1, v64
	v_cmp_eq_u32_e32 vcc, 1, v4
	s_nop 1
	v_cndmask_b32_e64 v58, v5, 1, vcc
	v_cmp_gt_u64_e32 vcc, s[52:53], v[10:11]
	s_nop 1
	v_cndmask_b32_e32 v4, 1, v59, vcc
	v_mul_lo_u32 v4, v4, v10
; %bb.203:
	s_or_b64 exec, exec, s[0:1]
	v_cmp_eq_u16_sdwa vcc, v58, v2 src0_sel:BYTE_0 src1_sel:DWORD
	s_waitcnt lgkmcnt(0)
	s_nop 0
	v_cndmask_b32_e32 v2, 1, v3, vcc
	v_mul_lo_u32 v80, v2, v4
	v_cndmask_b32_e64 v2, 1, v80, s[6:7]
	v_mul_lo_u32 v58, v2, v12
	v_cndmask_b32_e64 v2, 1, v58, s[8:9]
	;; [unrolled: 2-line block ×22, first 2 shown]
	v_mul_lo_u32 v79, v2, v56
	s_branch .LBB175_226
.LBB175_204:
                                        ; implicit-def: $vgpr78
                                        ; implicit-def: $vgpr77
                                        ; implicit-def: $vgpr76
                                        ; implicit-def: $vgpr75
                                        ; implicit-def: $vgpr74
                                        ; implicit-def: $vgpr73
                                        ; implicit-def: $vgpr72
                                        ; implicit-def: $vgpr71
                                        ; implicit-def: $vgpr70
                                        ; implicit-def: $vgpr69
                                        ; implicit-def: $vgpr68
                                        ; implicit-def: $vgpr67
                                        ; implicit-def: $vgpr66
                                        ; implicit-def: $vgpr65
                                        ; implicit-def: $vgpr64
                                        ; implicit-def: $vgpr63
                                        ; implicit-def: $vgpr62
                                        ; implicit-def: $vgpr61
                                        ; implicit-def: $vgpr60
                                        ; implicit-def: $vgpr59
                                        ; implicit-def: $vgpr58
                                        ; implicit-def: $vgpr80
                                        ; implicit-def: $vgpr79
	s_cbranch_execz .LBB175_226
; %bb.205:
	s_cmp_lg_u64 s[76:77], 0
	s_cselect_b32 s9, s67, 0
	s_cselect_b32 s8, s66, 0
	s_cmp_lg_u64 s[8:9], 0
	s_cselect_b64 s[6:7], -1, 0
	s_mov_b32 s0, 0
	s_and_b64 s[10:11], s[54:55], s[6:7]
	s_and_saveexec_b64 s[6:7], s[10:11]
	s_cbranch_execz .LBB175_207
; %bb.206:
	v_mov_b32_e32 v2, 0
	global_load_dword v4, v2, s[8:9]
	global_load_ubyte v5, v2, s[8:9] offset:4
	s_mov_b32 s1, 1
	v_and_b32_e32 v3, 1, v11
	v_cmp_gt_u64_e32 vcc, s[0:1], v[10:11]
	s_waitcnt vmcnt(0)
	v_and_b32_e32 v5, 1, v5
	v_cndmask_b32_e32 v4, 1, v4, vcc
	v_cmp_eq_u64_e32 vcc, 0, v[2:3]
	v_mul_lo_u32 v10, v4, v10
	s_nop 0
	v_cndmask_b32_e32 v11, 1, v5, vcc
.LBB175_207:
	s_or_b64 exec, exec, s[6:7]
	s_mov_b32 s1, 1
	v_cmp_gt_u64_e32 vcc, s[0:1], v[12:13]
	v_cmp_gt_u64_e64 s[6:7], s[0:1], v[14:15]
	v_cmp_gt_u64_e64 s[8:9], s[0:1], v[16:17]
	v_cndmask_b32_e32 v2, 1, v10, vcc
	v_mul_lo_u32 v58, v2, v12
	v_cndmask_b32_e64 v2, 1, v58, s[6:7]
	v_mul_lo_u32 v59, v2, v14
	v_cndmask_b32_e64 v2, 1, v59, s[8:9]
	v_mul_lo_u32 v60, v2, v16
	v_cmp_gt_u64_e64 s[10:11], s[0:1], v[18:19]
	v_cmp_gt_u64_e64 s[12:13], s[0:1], v[20:21]
	v_cmp_gt_u64_e64 s[14:15], s[0:1], v[22:23]
	v_cndmask_b32_e64 v2, 1, v60, s[10:11]
	v_mul_lo_u32 v61, v2, v18
	v_cndmask_b32_e64 v2, 1, v61, s[12:13]
	v_mul_lo_u32 v62, v2, v20
	v_cndmask_b32_e64 v2, 1, v62, s[14:15]
	v_mul_lo_u32 v63, v2, v22
	v_cmp_gt_u64_e64 s[16:17], s[0:1], v[24:25]
	v_cmp_gt_u64_e64 s[18:19], s[0:1], v[26:27]
	v_cmp_gt_u64_e64 s[20:21], s[0:1], v[28:29]
	v_cndmask_b32_e64 v2, 1, v63, s[16:17]
	;; [unrolled: 9-line block ×6, first 2 shown]
	v_mul_lo_u32 v76, v2, v48
	v_cndmask_b32_e64 v2, 1, v76, s[44:45]
	v_mul_lo_u32 v77, v2, v50
	v_cndmask_b32_e64 v2, 1, v77, s[46:47]
	v_mul_lo_u32 v78, v2, v52
	v_cmp_gt_u64_e64 s[48:49], s[0:1], v[56:57]
	v_add_lshl_u32 v1, v1, v0, 3
	s_nop 0
	v_cndmask_b32_e64 v2, 1, v78, s[48:49]
	v_mul_lo_u32 v79, v2, v56
	v_or3_b32 v2, v55, v51, v49
	v_or3_b32 v2, v2, v47, v45
	;; [unrolled: 1-line block ×10, first 2 shown]
	v_and_b32_e32 v2, 1, v2
	v_cmp_eq_u32_e64 s[0:1], 1, v2
	s_nop 1
	v_cndmask_b32_e64 v4, v11, 1, s[0:1]
	v_cmp_gt_u32_e64 s[0:1], 64, v0
	ds_write_b32 v1, v79
	ds_write_b8 v1, v4 offset:4
	s_waitcnt lgkmcnt(0)
	s_barrier
	s_and_saveexec_b64 s[50:51], s[0:1]
	s_cbranch_execz .LBB175_221
; %bb.208:
	v_lshrrev_b32_e32 v1, 3, v0
	v_add_lshl_u32 v1, v1, v54, 3
	ds_read2_b32 v[6:7], v1 offset0:2 offset1:4
	ds_read_b64 v[2:3], v1
	ds_read_u8 v8, v1 offset:12
	ds_read_u8 v9, v1 offset:20
	ds_read_b32 v13, v1 offset:24
	ds_read_u8 v15, v1 offset:28
	v_mov_b32_e32 v17, 0
	s_waitcnt lgkmcnt(3)
	v_cmp_eq_u16_sdwa s[0:1], v8, v17 src0_sel:BYTE_0 src1_sel:DWORD
	v_and_b32_e32 v5, 1, v3
	s_nop 0
	v_cndmask_b32_e64 v19, 1, v2, s[0:1]
	v_mul_lo_u32 v6, v19, v6
	s_waitcnt lgkmcnt(2)
	v_cmp_eq_u16_sdwa s[0:1], v9, v17 src0_sel:BYTE_0 src1_sel:DWORD
	s_nop 1
	v_cndmask_b32_e64 v6, 1, v6, s[0:1]
	v_mul_lo_u32 v6, v6, v7
	s_waitcnt lgkmcnt(0)
	v_or_b32_e32 v7, v15, v9
	v_or_b32_e32 v7, v7, v8
	v_cmp_eq_u16_e64 s[0:1], 0, v15
	v_and_b32_e32 v7, 1, v7
	v_mbcnt_lo_u32_b32 v8, -1, 0
	v_cndmask_b32_e64 v6, 1, v6, s[0:1]
	v_cmp_eq_u32_e64 s[0:1], 1, v7
	v_and_b32_e32 v7, 0xffffff00, v3
	v_mbcnt_hi_u32_b32 v8, -1, v8
	v_cndmask_b32_e64 v9, v5, 1, s[0:1]
	v_mul_lo_u32 v6, v6, v13
	v_and_b32_e32 v15, 15, v8
	v_or_b32_sdwa v13, v7, v9 dst_sel:DWORD dst_unused:UNUSED_PAD src0_sel:DWORD src1_sel:WORD_0
	v_mov_b32_dpp v19, v6 row_shr:1 row_mask:0xf bank_mask:0xf
	v_cmp_ne_u32_e64 s[0:1], 0, v15
	v_mov_b32_dpp v17, v13 row_shr:1 row_mask:0xf bank_mask:0xf
	s_and_saveexec_b64 s[52:53], s[0:1]
; %bb.209:
	v_cmp_eq_u16_e64 s[0:1], 0, v9
	v_and_b32_e32 v9, 1, v9
	s_nop 0
	v_cndmask_b32_e64 v13, 1, v19, s[0:1]
	v_mul_lo_u32 v6, v13, v6
	v_and_b32_e32 v13, 1, v17
	v_cmp_eq_u32_e64 s[0:1], 1, v9
	s_nop 1
	v_cndmask_b32_e64 v9, v13, 1, s[0:1]
	v_or_b32_sdwa v13, v7, v9 dst_sel:DWORD dst_unused:UNUSED_PAD src0_sel:DWORD src1_sel:WORD_0
; %bb.210:
	s_or_b64 exec, exec, s[52:53]
	v_mov_b32_dpp v19, v6 row_shr:2 row_mask:0xf bank_mask:0xf
	v_mov_b32_dpp v17, v13 row_shr:2 row_mask:0xf bank_mask:0xf
	v_cmp_lt_u32_e64 s[0:1], 1, v15
	s_and_saveexec_b64 s[52:53], s[0:1]
; %bb.211:
	v_cmp_eq_u16_e64 s[0:1], 0, v9
	v_and_b32_e32 v9, 1, v9
	s_nop 0
	v_cndmask_b32_e64 v13, 1, v19, s[0:1]
	v_mul_lo_u32 v6, v13, v6
	v_and_b32_e32 v13, 1, v17
	v_cmp_eq_u32_e64 s[0:1], 1, v9
	s_nop 1
	v_cndmask_b32_e64 v9, v13, 1, s[0:1]
	v_or_b32_sdwa v13, v7, v9 dst_sel:DWORD dst_unused:UNUSED_PAD src0_sel:DWORD src1_sel:WORD_0
; %bb.212:
	s_or_b64 exec, exec, s[52:53]
	v_mov_b32_dpp v19, v6 row_shr:4 row_mask:0xf bank_mask:0xf
	v_mov_b32_dpp v17, v13 row_shr:4 row_mask:0xf bank_mask:0xf
	v_cmp_lt_u32_e64 s[0:1], 3, v15
	;; [unrolled: 17-line block ×3, first 2 shown]
	s_and_saveexec_b64 s[52:53], s[0:1]
; %bb.215:
	v_cmp_eq_u16_e64 s[0:1], 0, v9
	v_and_b32_e32 v9, 1, v9
	s_nop 0
	v_cndmask_b32_e64 v13, 1, v19, s[0:1]
	v_mul_lo_u32 v6, v13, v6
	v_and_b32_e32 v13, 1, v17
	v_cmp_eq_u32_e64 s[0:1], 1, v9
	s_nop 1
	v_cndmask_b32_e64 v9, v13, 1, s[0:1]
	v_or_b32_sdwa v13, v7, v9 dst_sel:DWORD dst_unused:UNUSED_PAD src0_sel:DWORD src1_sel:WORD_0
; %bb.216:
	s_or_b64 exec, exec, s[52:53]
	v_and_b32_e32 v19, 16, v8
	v_mov_b32_dpp v17, v6 row_bcast:15 row_mask:0xf bank_mask:0xf
	v_mov_b32_dpp v15, v13 row_bcast:15 row_mask:0xf bank_mask:0xf
	v_cmp_ne_u32_e64 s[0:1], 0, v19
	s_and_saveexec_b64 s[52:53], s[0:1]
; %bb.217:
	v_cmp_eq_u16_e64 s[0:1], 0, v9
	v_and_b32_e32 v9, 1, v9
	s_nop 0
	v_cndmask_b32_e64 v13, 1, v17, s[0:1]
	v_mul_lo_u32 v6, v13, v6
	v_and_b32_e32 v13, 1, v15
	v_cmp_eq_u32_e64 s[0:1], 1, v9
	s_nop 1
	v_cndmask_b32_e64 v9, v13, 1, s[0:1]
	v_or_b32_sdwa v13, v7, v9 dst_sel:DWORD dst_unused:UNUSED_PAD src0_sel:DWORD src1_sel:WORD_0
; %bb.218:
	s_or_b64 exec, exec, s[52:53]
	v_mov_b32_dpp v15, v6 row_bcast:31 row_mask:0xf bank_mask:0xf
	v_mov_b32_dpp v13, v13 row_bcast:31 row_mask:0xf bank_mask:0xf
	v_cmp_lt_u32_e64 s[0:1], 31, v8
	s_and_saveexec_b64 s[52:53], s[0:1]
; %bb.219:
	v_cmp_eq_u16_e64 s[0:1], 0, v9
	v_and_b32_e32 v9, 1, v9
	v_and_b32_e32 v13, 1, v13
	v_cndmask_b32_e64 v15, 1, v15, s[0:1]
	v_cmp_eq_u32_e64 s[0:1], 1, v9
	v_mul_lo_u32 v6, v15, v6
	s_nop 0
	v_cndmask_b32_e64 v9, v13, 1, s[0:1]
; %bb.220:
	s_or_b64 exec, exec, s[52:53]
	v_add_u32_e32 v13, -1, v8
	v_and_b32_e32 v15, 64, v8
	v_cmp_lt_i32_e64 s[0:1], v13, v15
	v_or_b32_sdwa v7, v7, v9 dst_sel:DWORD dst_unused:UNUSED_PAD src0_sel:DWORD src1_sel:WORD_0
	s_nop 0
	v_cndmask_b32_e64 v8, v13, v8, s[0:1]
	v_lshlrev_b32_e32 v8, 2, v8
	ds_bpermute_b32 v6, v8, v6
	ds_bpermute_b32 v7, v8, v7
	v_mov_b32_e32 v8, 0
	v_cmp_eq_u16_sdwa s[0:1], v3, v8 src0_sel:BYTE_0 src1_sel:DWORD
	; wave barrier
	s_waitcnt lgkmcnt(1)
	s_nop 0
	v_cndmask_b32_e64 v3, 1, v6, s[0:1]
	v_mul_lo_u32 v2, v3, v2
	s_waitcnt lgkmcnt(0)
	v_and_b32_e32 v3, 1, v7
	v_cmp_eq_u32_e64 s[0:1], 1, v5
	v_cndmask_b32_e64 v5, v2, v79, s[54:55]
	s_nop 0
	v_cndmask_b32_e64 v3, v3, 1, s[0:1]
	v_cndmask_b32_e64 v4, v3, v4, s[54:55]
	ds_write_b32 v1, v5
	ds_write_b8 v1, v4 offset:4
	; wave barrier
	ds_read_u8 v6, v1 offset:12
	ds_read2_b32 v[2:3], v1 offset0:2 offset1:4
	ds_read_u8 v7, v1 offset:20
	ds_read_b32 v8, v1 offset:24
	ds_read_u8 v9, v1 offset:28
	s_waitcnt lgkmcnt(4)
	v_cmp_eq_u16_e64 s[0:1], 0, v6
	s_nop 1
	v_cndmask_b32_e64 v5, 1, v5, s[0:1]
	s_waitcnt lgkmcnt(3)
	v_mul_lo_u32 v2, v5, v2
	v_and_b32_e32 v5, 1, v6
	v_cmp_eq_u32_e64 s[0:1], 1, v5
	s_nop 1
	v_cndmask_b32_e64 v4, v4, 1, s[0:1]
	s_waitcnt lgkmcnt(2)
	v_cmp_eq_u16_e64 s[0:1], 0, v7
	ds_write_b8 v1, v4 offset:12
	s_nop 0
	v_cndmask_b32_e64 v5, 1, v2, s[0:1]
	v_mul_lo_u32 v3, v5, v3
	v_and_b32_e32 v5, 1, v7
	v_cmp_eq_u32_e64 s[0:1], 1, v5
	s_nop 1
	v_cndmask_b32_e64 v4, v4, 1, s[0:1]
	s_waitcnt lgkmcnt(1)
	v_cmp_eq_u16_e64 s[0:1], 0, v9
	ds_write2_b32 v1, v2, v3 offset0:2 offset1:4
	ds_write_b8 v1, v4 offset:20
	v_cndmask_b32_e64 v2, 1, v3, s[0:1]
	v_and_b32_e32 v3, 1, v9
	v_mul_lo_u32 v2, v2, v8
	v_cmp_eq_u32_e64 s[0:1], 1, v3
	s_nop 1
	v_cndmask_b32_e64 v3, v4, 1, s[0:1]
	ds_write_b32 v1, v2 offset:24
	ds_write_b8 v1, v3 offset:28
.LBB175_221:
	s_or_b64 exec, exec, s[50:51]
	v_mov_b32_e32 v1, v79
	s_waitcnt lgkmcnt(0)
	s_barrier
	s_and_saveexec_b64 s[0:1], s[4:5]
	s_cbranch_execnz .LBB175_299
; %bb.222:
	s_or_b64 exec, exec, s[0:1]
	s_and_saveexec_b64 s[50:51], s[4:5]
	s_cbranch_execnz .LBB175_300
.LBB175_223:
	s_or_b64 exec, exec, s[50:51]
	s_and_saveexec_b64 s[0:1], s[54:55]
	s_cbranch_execz .LBB175_225
.LBB175_224:
	v_mov_b32_e32 v5, 0
	ds_read_b32 v2, v5 offset:2096
	ds_read_u8 v3, v5 offset:2100
	s_add_u32 s4, s72, 0x400
	s_addc_u32 s5, s73, 0
	v_mov_b32_e32 v4, 2
	v_mov_b64_e32 v[6:7], s[4:5]
	s_waitcnt lgkmcnt(0)
	;;#ASMSTART
	global_store_dwordx4 v[6:7], v[2:5] off sc1	
s_waitcnt vmcnt(0)
	;;#ASMEND
.LBB175_225:
	s_or_b64 exec, exec, s[0:1]
	v_mov_b32_e32 v80, v10
.LBB175_226:
	s_add_u32 s0, s62, s58
	s_addc_u32 s1, s63, s59
	s_add_u32 s0, s0, s56
	s_addc_u32 s1, s1, s57
	s_and_b64 vcc, exec, s[2:3]
	s_cbranch_vccz .LBB175_272
; %bb.227:
	s_movk_i32 s2, 0x5c
	v_mul_i32_i24_e32 v26, 0xffffffa8, v0
	s_waitcnt lgkmcnt(0)
	v_mul_u32_u24_e32 v1, 0x5c, v0
	v_mad_u32_u24 v2, v0, s2, v26
	s_barrier
	ds_write2_b32 v1, v80, v58 offset1:1
	ds_write2_b32 v1, v59, v60 offset0:2 offset1:3
	ds_write2_b32 v1, v61, v62 offset0:4 offset1:5
	;; [unrolled: 1-line block ×10, first 2 shown]
	ds_write_b32 v1, v79 offset:88
	s_waitcnt lgkmcnt(0)
	s_barrier
	ds_read2st64_b32 v[24:25], v2 offset0:4 offset1:8
	ds_read2st64_b32 v[22:23], v2 offset0:12 offset1:16
	;; [unrolled: 1-line block ×11, first 2 shown]
	s_add_i32 s33, s33, s74
	v_mov_b32_e32 v55, 0
	v_lshl_add_u64 v[4:5], s[0:1], 0, v[54:55]
	v_cmp_gt_u32_e32 vcc, s33, v0
	s_and_saveexec_b64 s[2:3], vcc
	s_cbranch_execz .LBB175_229
; %bb.228:
	v_add_u32_e32 v1, v1, v26
	ds_read_b32 v1, v1
	s_waitcnt lgkmcnt(0)
	flat_store_dword v[4:5], v1
.LBB175_229:
	s_or_b64 exec, exec, s[2:3]
	v_or_b32_e32 v1, 0x100, v0
	v_cmp_gt_u32_e32 vcc, s33, v1
	s_and_saveexec_b64 s[2:3], vcc
	s_cbranch_execz .LBB175_231
; %bb.230:
	s_waitcnt lgkmcnt(0)
	flat_store_dword v[4:5], v24 offset:1024
.LBB175_231:
	s_or_b64 exec, exec, s[2:3]
	v_or_b32_e32 v1, 0x200, v0
	v_cmp_gt_u32_e32 vcc, s33, v1
	s_and_saveexec_b64 s[2:3], vcc
	s_cbranch_execz .LBB175_233
; %bb.232:
	s_waitcnt lgkmcnt(0)
	flat_store_dword v[4:5], v25 offset:2048
.LBB175_233:
	s_or_b64 exec, exec, s[2:3]
	v_or_b32_e32 v1, 0x300, v0
	v_cmp_gt_u32_e32 vcc, s33, v1
	s_and_saveexec_b64 s[2:3], vcc
	s_cbranch_execz .LBB175_235
; %bb.234:
	s_waitcnt lgkmcnt(0)
	flat_store_dword v[4:5], v22 offset:3072
.LBB175_235:
	s_or_b64 exec, exec, s[2:3]
	v_or_b32_e32 v1, 0x400, v0
	v_cmp_gt_u32_e32 vcc, s33, v1
	s_and_saveexec_b64 s[2:3], vcc
	s_cbranch_execz .LBB175_237
; %bb.236:
	s_waitcnt lgkmcnt(0)
	v_add_co_u32_e32 v24, vcc, 0x1000, v4
	s_nop 1
	v_addc_co_u32_e32 v25, vcc, 0, v5, vcc
	flat_store_dword v[24:25], v23
.LBB175_237:
	s_or_b64 exec, exec, s[2:3]
	v_or_b32_e32 v1, 0x500, v0
	v_cmp_gt_u32_e32 vcc, s33, v1
	s_and_saveexec_b64 s[2:3], vcc
	s_cbranch_execz .LBB175_239
; %bb.238:
	s_waitcnt lgkmcnt(0)
	v_add_co_u32_e32 v22, vcc, 0x1000, v4
	s_nop 1
	v_addc_co_u32_e32 v23, vcc, 0, v5, vcc
	flat_store_dword v[22:23], v20 offset:1024
.LBB175_239:
	s_or_b64 exec, exec, s[2:3]
	v_or_b32_e32 v1, 0x600, v0
	v_cmp_gt_u32_e32 vcc, s33, v1
	s_and_saveexec_b64 s[2:3], vcc
	s_cbranch_execz .LBB175_241
; %bb.240:
	s_waitcnt lgkmcnt(0)
	v_add_co_u32_e32 v22, vcc, 0x1000, v4
	s_nop 1
	v_addc_co_u32_e32 v23, vcc, 0, v5, vcc
	flat_store_dword v[22:23], v21 offset:2048
.LBB175_241:
	s_or_b64 exec, exec, s[2:3]
	v_or_b32_e32 v1, 0x700, v0
	v_cmp_gt_u32_e32 vcc, s33, v1
	s_and_saveexec_b64 s[2:3], vcc
	s_cbranch_execz .LBB175_243
; %bb.242:
	s_waitcnt lgkmcnt(0)
	v_add_co_u32_e32 v20, vcc, 0x1000, v4
	s_nop 1
	v_addc_co_u32_e32 v21, vcc, 0, v5, vcc
	flat_store_dword v[20:21], v18 offset:3072
.LBB175_243:
	s_or_b64 exec, exec, s[2:3]
	v_or_b32_e32 v1, 0x800, v0
	v_cmp_gt_u32_e32 vcc, s33, v1
	s_and_saveexec_b64 s[2:3], vcc
	s_cbranch_execz .LBB175_245
; %bb.244:
	s_waitcnt lgkmcnt(0)
	v_add_co_u32_e32 v20, vcc, 0x2000, v4
	s_nop 1
	v_addc_co_u32_e32 v21, vcc, 0, v5, vcc
	flat_store_dword v[20:21], v19
.LBB175_245:
	s_or_b64 exec, exec, s[2:3]
	v_or_b32_e32 v1, 0x900, v0
	v_cmp_gt_u32_e32 vcc, s33, v1
	s_and_saveexec_b64 s[2:3], vcc
	s_cbranch_execz .LBB175_247
; %bb.246:
	s_waitcnt lgkmcnt(0)
	v_add_co_u32_e32 v18, vcc, 0x2000, v4
	s_nop 1
	v_addc_co_u32_e32 v19, vcc, 0, v5, vcc
	flat_store_dword v[18:19], v16 offset:1024
.LBB175_247:
	s_or_b64 exec, exec, s[2:3]
	v_or_b32_e32 v1, 0xa00, v0
	v_cmp_gt_u32_e32 vcc, s33, v1
	s_and_saveexec_b64 s[2:3], vcc
	s_cbranch_execz .LBB175_249
; %bb.248:
	s_waitcnt lgkmcnt(0)
	v_add_co_u32_e32 v18, vcc, 0x2000, v4
	s_nop 1
	v_addc_co_u32_e32 v19, vcc, 0, v5, vcc
	flat_store_dword v[18:19], v17 offset:2048
.LBB175_249:
	s_or_b64 exec, exec, s[2:3]
	v_or_b32_e32 v1, 0xb00, v0
	v_cmp_gt_u32_e32 vcc, s33, v1
	s_and_saveexec_b64 s[2:3], vcc
	s_cbranch_execz .LBB175_251
; %bb.250:
	s_waitcnt lgkmcnt(0)
	v_add_co_u32_e32 v16, vcc, 0x2000, v4
	s_nop 1
	v_addc_co_u32_e32 v17, vcc, 0, v5, vcc
	flat_store_dword v[16:17], v14 offset:3072
.LBB175_251:
	;; [unrolled: 48-line block ×4, first 2 shown]
	s_or_b64 exec, exec, s[2:3]
	v_or_b32_e32 v1, 0x1400, v0
	v_cmp_gt_u32_e32 vcc, s33, v1
	s_and_saveexec_b64 s[2:3], vcc
	s_cbranch_execz .LBB175_269
; %bb.268:
	s_waitcnt lgkmcnt(0)
	v_add_co_u32_e32 v8, vcc, 0x5000, v4
	s_nop 1
	v_addc_co_u32_e32 v9, vcc, 0, v5, vcc
	flat_store_dword v[8:9], v7
.LBB175_269:
	s_or_b64 exec, exec, s[2:3]
	v_or_b32_e32 v1, 0x1500, v0
	v_cmp_gt_u32_e32 vcc, s33, v1
	s_and_saveexec_b64 s[2:3], vcc
	s_cbranch_execz .LBB175_271
; %bb.270:
	v_add_co_u32_e32 v4, vcc, 0x5000, v4
	s_nop 1
	v_addc_co_u32_e32 v5, vcc, 0, v5, vcc
	s_waitcnt lgkmcnt(0)
	flat_store_dword v[4:5], v2 offset:1024
.LBB175_271:
	s_or_b64 exec, exec, s[2:3]
	s_waitcnt lgkmcnt(0)
	v_or_b32_e32 v2, 0x1600, v0
	v_mov_b32_e32 v1, v55
	v_cmp_gt_u32_e64 s[2:3], s33, v2
	s_branch .LBB175_274
.LBB175_272:
	s_mov_b64 s[2:3], 0
                                        ; implicit-def: $vgpr3
	s_cbranch_execz .LBB175_274
; %bb.273:
	s_waitcnt lgkmcnt(0)
	v_mul_u32_u24_e32 v1, 0x5c, v0
	s_barrier
	s_movk_i32 s4, 0x5c
	ds_write2_b32 v1, v80, v58 offset1:1
	ds_write2_b32 v1, v59, v60 offset0:2 offset1:3
	ds_write2_b32 v1, v61, v62 offset0:4 offset1:5
	;; [unrolled: 1-line block ×10, first 2 shown]
	ds_write_b32 v1, v79 offset:88
	v_mov_b32_e32 v1, 0
	v_mul_i32_i24_e32 v2, 0xffffffa8, v0
	v_mad_u32_u24 v2, v0, s4, v2
	v_mov_b32_e32 v55, v1
	s_waitcnt lgkmcnt(0)
	s_barrier
	ds_read2st64_b32 v[4:5], v2 offset1:4
	ds_read2st64_b32 v[6:7], v2 offset0:8 offset1:12
	ds_read2st64_b32 v[8:9], v2 offset0:16 offset1:20
	;; [unrolled: 1-line block ×10, first 2 shown]
	ds_read_b32 v3, v2 offset:22528
	v_lshl_add_u64 v[26:27], s[0:1], 0, v[54:55]
	s_movk_i32 s4, 0x1000
	s_waitcnt lgkmcnt(0)
	flat_store_dword v[26:27], v4
	flat_store_dword v[26:27], v5 offset:1024
	flat_store_dword v[26:27], v6 offset:2048
	;; [unrolled: 1-line block ×3, first 2 shown]
	v_add_co_u32_e32 v4, vcc, s4, v26
	s_movk_i32 s4, 0x2000
	s_nop 0
	v_addc_co_u32_e32 v5, vcc, 0, v27, vcc
	flat_store_dword v[4:5], v8
	flat_store_dword v[4:5], v9 offset:1024
	flat_store_dword v[4:5], v10 offset:2048
	;; [unrolled: 1-line block ×3, first 2 shown]
	v_add_co_u32_e32 v4, vcc, s4, v26
	s_movk_i32 s4, 0x3000
	s_nop 0
	v_addc_co_u32_e32 v5, vcc, 0, v27, vcc
	flat_store_dword v[4:5], v12
	flat_store_dword v[4:5], v13 offset:1024
	flat_store_dword v[4:5], v14 offset:2048
	;; [unrolled: 1-line block ×3, first 2 shown]
	v_add_co_u32_e32 v4, vcc, s4, v26
	s_or_b64 s[2:3], s[2:3], exec
	s_nop 0
	v_addc_co_u32_e32 v5, vcc, 0, v27, vcc
	flat_store_dword v[4:5], v16
	flat_store_dword v[4:5], v17 offset:1024
	flat_store_dword v[4:5], v18 offset:2048
	;; [unrolled: 1-line block ×3, first 2 shown]
	v_add_co_u32_e32 v4, vcc, 0x4000, v26
	s_nop 1
	v_addc_co_u32_e32 v5, vcc, 0, v27, vcc
	flat_store_dword v[4:5], v20
	flat_store_dword v[4:5], v21 offset:1024
	flat_store_dword v[4:5], v22 offset:2048
	;; [unrolled: 1-line block ×3, first 2 shown]
	v_add_co_u32_e32 v4, vcc, 0x5000, v26
	s_nop 1
	v_addc_co_u32_e32 v5, vcc, 0, v27, vcc
	flat_store_dword v[4:5], v24
	flat_store_dword v[4:5], v25 offset:1024
.LBB175_274:
	s_and_saveexec_b64 s[4:5], s[2:3]
	s_cbranch_execnz .LBB175_276
; %bb.275:
	s_endpgm
.LBB175_276:
	s_waitcnt lgkmcnt(0)
	v_lshl_add_u64 v[0:1], v[0:1], 2, s[0:1]
	v_add_co_u32_e32 v0, vcc, 0x5000, v0
	s_nop 1
	v_addc_co_u32_e32 v1, vcc, 0, v1, vcc
	flat_store_dword v[0:1], v3 offset:2048
	s_endpgm
.LBB175_277:
	v_lshl_add_u64 v[30:31], s[60:61], 0, v[2:3]
	flat_load_dword v29, v[30:31]
	s_or_b64 exec, exec, s[0:1]
                                        ; implicit-def: $vgpr30
	s_and_saveexec_b64 s[0:1], s[8:9]
	s_cbranch_execz .LBB175_59
.LBB175_278:
	v_mov_b32_e32 v3, 0
	v_lshl_add_u64 v[30:31], s[60:61], 0, v[2:3]
	flat_load_dword v30, v[30:31] offset:1024
	s_or_b64 exec, exec, s[0:1]
                                        ; implicit-def: $vgpr31
	s_and_saveexec_b64 s[0:1], s[10:11]
	s_cbranch_execz .LBB175_60
.LBB175_279:
	v_mov_b32_e32 v3, 0
	v_lshl_add_u64 v[32:33], s[60:61], 0, v[2:3]
	flat_load_dword v31, v[32:33] offset:2048
	s_or_b64 exec, exec, s[0:1]
                                        ; implicit-def: $vgpr3
	s_and_saveexec_b64 s[0:1], s[12:13]
	s_cbranch_execz .LBB175_61
.LBB175_280:
	v_mov_b32_e32 v3, 0
	v_lshl_add_u64 v[32:33], s[60:61], 0, v[2:3]
	flat_load_dword v3, v[32:33] offset:3072
	s_or_b64 exec, exec, s[0:1]
                                        ; implicit-def: $vgpr32
	s_and_saveexec_b64 s[0:1], s[14:15]
	s_cbranch_execz .LBB175_62
.LBB175_281:
	v_lshlrev_b32_e32 v32, 2, v10
	v_mov_b32_e32 v33, 0
	v_lshl_add_u64 v[32:33], s[60:61], 0, v[32:33]
	flat_load_dword v32, v[32:33]
	s_or_b64 exec, exec, s[0:1]
                                        ; implicit-def: $vgpr10
	s_and_saveexec_b64 s[0:1], s[16:17]
	s_cbranch_execz .LBB175_63
.LBB175_282:
	v_lshlrev_b32_e32 v10, 2, v11
	v_mov_b32_e32 v11, 0
	v_lshl_add_u64 v[10:11], s[60:61], 0, v[10:11]
	flat_load_dword v10, v[10:11]
	s_or_b64 exec, exec, s[0:1]
                                        ; implicit-def: $vgpr11
	s_and_saveexec_b64 s[0:1], s[18:19]
	s_cbranch_execz .LBB175_64
.LBB175_283:
	v_lshlrev_b32_e32 v34, 2, v12
	v_mov_b32_e32 v35, 0
	v_lshl_add_u64 v[34:35], s[60:61], 0, v[34:35]
	flat_load_dword v11, v[34:35]
	s_or_b64 exec, exec, s[0:1]
                                        ; implicit-def: $vgpr12
	s_and_saveexec_b64 s[0:1], s[20:21]
	s_cbranch_execz .LBB175_65
.LBB175_284:
	v_lshlrev_b32_e32 v12, 2, v13
	v_mov_b32_e32 v13, 0
	v_lshl_add_u64 v[12:13], s[60:61], 0, v[12:13]
	flat_load_dword v12, v[12:13]
	s_or_b64 exec, exec, s[0:1]
                                        ; implicit-def: $vgpr13
	s_and_saveexec_b64 s[0:1], s[22:23]
	s_cbranch_execz .LBB175_66
.LBB175_285:
	v_lshlrev_b32_e32 v34, 2, v14
	v_mov_b32_e32 v35, 0
	v_lshl_add_u64 v[34:35], s[60:61], 0, v[34:35]
	flat_load_dword v13, v[34:35]
	s_or_b64 exec, exec, s[0:1]
                                        ; implicit-def: $vgpr14
	s_and_saveexec_b64 s[0:1], s[24:25]
	s_cbranch_execz .LBB175_67
.LBB175_286:
	v_lshlrev_b32_e32 v14, 2, v15
	v_mov_b32_e32 v15, 0
	v_lshl_add_u64 v[14:15], s[60:61], 0, v[14:15]
	flat_load_dword v14, v[14:15]
	s_or_b64 exec, exec, s[0:1]
                                        ; implicit-def: $vgpr15
	s_and_saveexec_b64 s[0:1], s[26:27]
	s_cbranch_execz .LBB175_68
.LBB175_287:
	v_lshlrev_b32_e32 v34, 2, v16
	v_mov_b32_e32 v35, 0
	v_lshl_add_u64 v[34:35], s[60:61], 0, v[34:35]
	flat_load_dword v15, v[34:35]
	s_or_b64 exec, exec, s[0:1]
                                        ; implicit-def: $vgpr16
	s_and_saveexec_b64 s[0:1], s[28:29]
	s_cbranch_execz .LBB175_69
.LBB175_288:
	v_lshlrev_b32_e32 v16, 2, v17
	v_mov_b32_e32 v17, 0
	v_lshl_add_u64 v[16:17], s[60:61], 0, v[16:17]
	flat_load_dword v16, v[16:17]
	s_or_b64 exec, exec, s[0:1]
                                        ; implicit-def: $vgpr17
	s_and_saveexec_b64 s[0:1], s[30:31]
	s_cbranch_execz .LBB175_70
.LBB175_289:
	v_lshlrev_b32_e32 v34, 2, v18
	v_mov_b32_e32 v35, 0
	v_lshl_add_u64 v[34:35], s[60:61], 0, v[34:35]
	flat_load_dword v17, v[34:35]
	s_or_b64 exec, exec, s[0:1]
                                        ; implicit-def: $vgpr18
	s_and_saveexec_b64 s[0:1], s[34:35]
	s_cbranch_execz .LBB175_71
.LBB175_290:
	v_lshlrev_b32_e32 v18, 2, v19
	v_mov_b32_e32 v19, 0
	v_lshl_add_u64 v[18:19], s[60:61], 0, v[18:19]
	flat_load_dword v18, v[18:19]
	s_or_b64 exec, exec, s[0:1]
                                        ; implicit-def: $vgpr19
	s_and_saveexec_b64 s[0:1], s[36:37]
	s_cbranch_execz .LBB175_72
.LBB175_291:
	v_lshlrev_b32_e32 v34, 2, v20
	v_mov_b32_e32 v35, 0
	v_lshl_add_u64 v[34:35], s[60:61], 0, v[34:35]
	flat_load_dword v19, v[34:35]
	s_or_b64 exec, exec, s[0:1]
                                        ; implicit-def: $vgpr20
	s_and_saveexec_b64 s[0:1], s[38:39]
	s_cbranch_execz .LBB175_73
.LBB175_292:
	v_lshlrev_b32_e32 v20, 2, v21
	v_mov_b32_e32 v21, 0
	v_lshl_add_u64 v[20:21], s[60:61], 0, v[20:21]
	flat_load_dword v20, v[20:21]
	s_or_b64 exec, exec, s[0:1]
                                        ; implicit-def: $vgpr21
	s_and_saveexec_b64 s[0:1], s[40:41]
	s_cbranch_execz .LBB175_74
.LBB175_293:
	v_lshlrev_b32_e32 v34, 2, v22
	v_mov_b32_e32 v35, 0
	v_lshl_add_u64 v[34:35], s[60:61], 0, v[34:35]
	flat_load_dword v21, v[34:35]
	s_or_b64 exec, exec, s[0:1]
                                        ; implicit-def: $vgpr22
	s_and_saveexec_b64 s[0:1], s[42:43]
	s_cbranch_execz .LBB175_75
.LBB175_294:
	v_lshlrev_b32_e32 v22, 2, v23
	v_mov_b32_e32 v23, 0
	v_lshl_add_u64 v[22:23], s[60:61], 0, v[22:23]
	flat_load_dword v22, v[22:23]
	s_or_b64 exec, exec, s[0:1]
                                        ; implicit-def: $vgpr23
	s_and_saveexec_b64 s[0:1], s[44:45]
	s_cbranch_execz .LBB175_76
.LBB175_295:
	v_lshlrev_b32_e32 v34, 2, v24
	v_mov_b32_e32 v35, 0
	v_lshl_add_u64 v[34:35], s[60:61], 0, v[34:35]
	flat_load_dword v23, v[34:35]
	s_or_b64 exec, exec, s[0:1]
                                        ; implicit-def: $vgpr24
	s_and_saveexec_b64 s[0:1], s[46:47]
	s_cbranch_execz .LBB175_77
.LBB175_296:
	v_lshlrev_b32_e32 v24, 2, v25
	v_mov_b32_e32 v25, 0
	v_lshl_add_u64 v[24:25], s[60:61], 0, v[24:25]
	flat_load_dword v24, v[24:25]
	s_or_b64 exec, exec, s[0:1]
                                        ; implicit-def: $vgpr25
	s_and_saveexec_b64 s[0:1], s[48:49]
	s_cbranch_execz .LBB175_78
.LBB175_297:
	v_lshlrev_b32_e32 v34, 2, v26
	v_mov_b32_e32 v35, 0
	v_lshl_add_u64 v[34:35], s[60:61], 0, v[34:35]
	flat_load_dword v25, v[34:35]
	s_or_b64 exec, exec, s[0:1]
                                        ; implicit-def: $vgpr26
	s_and_saveexec_b64 s[0:1], s[50:51]
	s_cbranch_execz .LBB175_79
.LBB175_298:
	v_lshlrev_b32_e32 v26, 2, v27
	v_mov_b32_e32 v27, 0
	v_lshl_add_u64 v[26:27], s[60:61], 0, v[26:27]
	flat_load_dword v26, v[26:27]
	s_or_b64 exec, exec, s[0:1]
                                        ; implicit-def: $vgpr27
	s_and_saveexec_b64 s[0:1], s[52:53]
	s_cbranch_execnz .LBB175_80
	s_branch .LBB175_81
.LBB175_299:
	v_add_u32_e32 v1, -1, v0
	v_lshrrev_b32_e32 v2, 5, v1
	v_add_lshl_u32 v1, v2, v1, 3
	ds_read_b32 v1, v1
	s_or_b64 exec, exec, s[0:1]
	s_and_saveexec_b64 s[50:51], s[4:5]
	s_cbranch_execz .LBB175_223
.LBB175_300:
	v_and_b32_e32 v3, 0xff, v11
	v_mov_b32_e32 v2, 0
	v_cmp_eq_u64_e64 s[0:1], 0, v[2:3]
	;;#ASMSTART
	;;#ASMEND
	s_waitcnt lgkmcnt(0)
	s_nop 0
	v_cndmask_b32_e64 v1, 1, v1, s[0:1]
	v_mul_lo_u32 v10, v1, v10
	v_cndmask_b32_e32 v1, 1, v10, vcc
	v_mul_lo_u32 v58, v1, v12
	v_cndmask_b32_e64 v1, 1, v58, s[6:7]
	v_mul_lo_u32 v59, v1, v14
	v_cndmask_b32_e64 v1, 1, v59, s[8:9]
	;; [unrolled: 2-line block ×21, first 2 shown]
	v_mul_lo_u32 v79, v1, v56
	s_or_b64 exec, exec, s[50:51]
	s_and_saveexec_b64 s[0:1], s[54:55]
	s_cbranch_execnz .LBB175_224
	s_branch .LBB175_225
.LBB175_301:
                                        ; implicit-def: $sgpr0_sgpr1
	s_branch .LBB175_54
.LBB175_302:
                                        ; implicit-def: $sgpr0_sgpr1
	s_branch .LBB175_130
	.section	.rodata,"a",@progbits
	.p2align	6, 0x0
	.amdhsa_kernel _ZN7rocprim17ROCPRIM_400000_NS6detail17trampoline_kernelINS0_14default_configENS1_27scan_by_key_config_selectorIiiEEZZNS1_16scan_by_key_implILNS1_25lookback_scan_determinismE0ELb0ES3_N6thrust23THRUST_200600_302600_NS6detail15normal_iteratorINS9_10device_ptrIiEEEESE_SE_iNS9_10multipliesIiEENS9_8equal_toIiEEiEE10hipError_tPvRmT2_T3_T4_T5_mT6_T7_P12ihipStream_tbENKUlT_T0_E_clISt17integral_constantIbLb1EESZ_EEDaSU_SV_EUlSU_E_NS1_11comp_targetILNS1_3genE5ELNS1_11target_archE942ELNS1_3gpuE9ELNS1_3repE0EEENS1_30default_config_static_selectorELNS0_4arch9wavefront6targetE1EEEvT1_
		.amdhsa_group_segment_fixed_size 25600
		.amdhsa_private_segment_fixed_size 0
		.amdhsa_kernarg_size 112
		.amdhsa_user_sgpr_count 2
		.amdhsa_user_sgpr_dispatch_ptr 0
		.amdhsa_user_sgpr_queue_ptr 0
		.amdhsa_user_sgpr_kernarg_segment_ptr 1
		.amdhsa_user_sgpr_dispatch_id 0
		.amdhsa_user_sgpr_kernarg_preload_length 0
		.amdhsa_user_sgpr_kernarg_preload_offset 0
		.amdhsa_user_sgpr_private_segment_size 0
		.amdhsa_uses_dynamic_stack 0
		.amdhsa_enable_private_segment 0
		.amdhsa_system_sgpr_workgroup_id_x 1
		.amdhsa_system_sgpr_workgroup_id_y 0
		.amdhsa_system_sgpr_workgroup_id_z 0
		.amdhsa_system_sgpr_workgroup_info 0
		.amdhsa_system_vgpr_workitem_id 0
		.amdhsa_next_free_vgpr 81
		.amdhsa_next_free_sgpr 85
		.amdhsa_accum_offset 84
		.amdhsa_reserve_vcc 1
		.amdhsa_float_round_mode_32 0
		.amdhsa_float_round_mode_16_64 0
		.amdhsa_float_denorm_mode_32 3
		.amdhsa_float_denorm_mode_16_64 3
		.amdhsa_dx10_clamp 1
		.amdhsa_ieee_mode 1
		.amdhsa_fp16_overflow 0
		.amdhsa_tg_split 0
		.amdhsa_exception_fp_ieee_invalid_op 0
		.amdhsa_exception_fp_denorm_src 0
		.amdhsa_exception_fp_ieee_div_zero 0
		.amdhsa_exception_fp_ieee_overflow 0
		.amdhsa_exception_fp_ieee_underflow 0
		.amdhsa_exception_fp_ieee_inexact 0
		.amdhsa_exception_int_div_zero 0
	.end_amdhsa_kernel
	.section	.text._ZN7rocprim17ROCPRIM_400000_NS6detail17trampoline_kernelINS0_14default_configENS1_27scan_by_key_config_selectorIiiEEZZNS1_16scan_by_key_implILNS1_25lookback_scan_determinismE0ELb0ES3_N6thrust23THRUST_200600_302600_NS6detail15normal_iteratorINS9_10device_ptrIiEEEESE_SE_iNS9_10multipliesIiEENS9_8equal_toIiEEiEE10hipError_tPvRmT2_T3_T4_T5_mT6_T7_P12ihipStream_tbENKUlT_T0_E_clISt17integral_constantIbLb1EESZ_EEDaSU_SV_EUlSU_E_NS1_11comp_targetILNS1_3genE5ELNS1_11target_archE942ELNS1_3gpuE9ELNS1_3repE0EEENS1_30default_config_static_selectorELNS0_4arch9wavefront6targetE1EEEvT1_,"axG",@progbits,_ZN7rocprim17ROCPRIM_400000_NS6detail17trampoline_kernelINS0_14default_configENS1_27scan_by_key_config_selectorIiiEEZZNS1_16scan_by_key_implILNS1_25lookback_scan_determinismE0ELb0ES3_N6thrust23THRUST_200600_302600_NS6detail15normal_iteratorINS9_10device_ptrIiEEEESE_SE_iNS9_10multipliesIiEENS9_8equal_toIiEEiEE10hipError_tPvRmT2_T3_T4_T5_mT6_T7_P12ihipStream_tbENKUlT_T0_E_clISt17integral_constantIbLb1EESZ_EEDaSU_SV_EUlSU_E_NS1_11comp_targetILNS1_3genE5ELNS1_11target_archE942ELNS1_3gpuE9ELNS1_3repE0EEENS1_30default_config_static_selectorELNS0_4arch9wavefront6targetE1EEEvT1_,comdat
.Lfunc_end175:
	.size	_ZN7rocprim17ROCPRIM_400000_NS6detail17trampoline_kernelINS0_14default_configENS1_27scan_by_key_config_selectorIiiEEZZNS1_16scan_by_key_implILNS1_25lookback_scan_determinismE0ELb0ES3_N6thrust23THRUST_200600_302600_NS6detail15normal_iteratorINS9_10device_ptrIiEEEESE_SE_iNS9_10multipliesIiEENS9_8equal_toIiEEiEE10hipError_tPvRmT2_T3_T4_T5_mT6_T7_P12ihipStream_tbENKUlT_T0_E_clISt17integral_constantIbLb1EESZ_EEDaSU_SV_EUlSU_E_NS1_11comp_targetILNS1_3genE5ELNS1_11target_archE942ELNS1_3gpuE9ELNS1_3repE0EEENS1_30default_config_static_selectorELNS0_4arch9wavefront6targetE1EEEvT1_, .Lfunc_end175-_ZN7rocprim17ROCPRIM_400000_NS6detail17trampoline_kernelINS0_14default_configENS1_27scan_by_key_config_selectorIiiEEZZNS1_16scan_by_key_implILNS1_25lookback_scan_determinismE0ELb0ES3_N6thrust23THRUST_200600_302600_NS6detail15normal_iteratorINS9_10device_ptrIiEEEESE_SE_iNS9_10multipliesIiEENS9_8equal_toIiEEiEE10hipError_tPvRmT2_T3_T4_T5_mT6_T7_P12ihipStream_tbENKUlT_T0_E_clISt17integral_constantIbLb1EESZ_EEDaSU_SV_EUlSU_E_NS1_11comp_targetILNS1_3genE5ELNS1_11target_archE942ELNS1_3gpuE9ELNS1_3repE0EEENS1_30default_config_static_selectorELNS0_4arch9wavefront6targetE1EEEvT1_
                                        ; -- End function
	.section	.AMDGPU.csdata,"",@progbits
; Kernel info:
; codeLenInByte = 16108
; NumSgprs: 91
; NumVgprs: 81
; NumAgprs: 0
; TotalNumVgprs: 81
; ScratchSize: 0
; MemoryBound: 0
; FloatMode: 240
; IeeeMode: 1
; LDSByteSize: 25600 bytes/workgroup (compile time only)
; SGPRBlocks: 11
; VGPRBlocks: 10
; NumSGPRsForWavesPerEU: 91
; NumVGPRsForWavesPerEU: 81
; AccumOffset: 84
; Occupancy: 2
; WaveLimiterHint : 1
; COMPUTE_PGM_RSRC2:SCRATCH_EN: 0
; COMPUTE_PGM_RSRC2:USER_SGPR: 2
; COMPUTE_PGM_RSRC2:TRAP_HANDLER: 0
; COMPUTE_PGM_RSRC2:TGID_X_EN: 1
; COMPUTE_PGM_RSRC2:TGID_Y_EN: 0
; COMPUTE_PGM_RSRC2:TGID_Z_EN: 0
; COMPUTE_PGM_RSRC2:TIDIG_COMP_CNT: 0
; COMPUTE_PGM_RSRC3_GFX90A:ACCUM_OFFSET: 20
; COMPUTE_PGM_RSRC3_GFX90A:TG_SPLIT: 0
	.section	.text._ZN7rocprim17ROCPRIM_400000_NS6detail17trampoline_kernelINS0_14default_configENS1_27scan_by_key_config_selectorIiiEEZZNS1_16scan_by_key_implILNS1_25lookback_scan_determinismE0ELb0ES3_N6thrust23THRUST_200600_302600_NS6detail15normal_iteratorINS9_10device_ptrIiEEEESE_SE_iNS9_10multipliesIiEENS9_8equal_toIiEEiEE10hipError_tPvRmT2_T3_T4_T5_mT6_T7_P12ihipStream_tbENKUlT_T0_E_clISt17integral_constantIbLb1EESZ_EEDaSU_SV_EUlSU_E_NS1_11comp_targetILNS1_3genE4ELNS1_11target_archE910ELNS1_3gpuE8ELNS1_3repE0EEENS1_30default_config_static_selectorELNS0_4arch9wavefront6targetE1EEEvT1_,"axG",@progbits,_ZN7rocprim17ROCPRIM_400000_NS6detail17trampoline_kernelINS0_14default_configENS1_27scan_by_key_config_selectorIiiEEZZNS1_16scan_by_key_implILNS1_25lookback_scan_determinismE0ELb0ES3_N6thrust23THRUST_200600_302600_NS6detail15normal_iteratorINS9_10device_ptrIiEEEESE_SE_iNS9_10multipliesIiEENS9_8equal_toIiEEiEE10hipError_tPvRmT2_T3_T4_T5_mT6_T7_P12ihipStream_tbENKUlT_T0_E_clISt17integral_constantIbLb1EESZ_EEDaSU_SV_EUlSU_E_NS1_11comp_targetILNS1_3genE4ELNS1_11target_archE910ELNS1_3gpuE8ELNS1_3repE0EEENS1_30default_config_static_selectorELNS0_4arch9wavefront6targetE1EEEvT1_,comdat
	.protected	_ZN7rocprim17ROCPRIM_400000_NS6detail17trampoline_kernelINS0_14default_configENS1_27scan_by_key_config_selectorIiiEEZZNS1_16scan_by_key_implILNS1_25lookback_scan_determinismE0ELb0ES3_N6thrust23THRUST_200600_302600_NS6detail15normal_iteratorINS9_10device_ptrIiEEEESE_SE_iNS9_10multipliesIiEENS9_8equal_toIiEEiEE10hipError_tPvRmT2_T3_T4_T5_mT6_T7_P12ihipStream_tbENKUlT_T0_E_clISt17integral_constantIbLb1EESZ_EEDaSU_SV_EUlSU_E_NS1_11comp_targetILNS1_3genE4ELNS1_11target_archE910ELNS1_3gpuE8ELNS1_3repE0EEENS1_30default_config_static_selectorELNS0_4arch9wavefront6targetE1EEEvT1_ ; -- Begin function _ZN7rocprim17ROCPRIM_400000_NS6detail17trampoline_kernelINS0_14default_configENS1_27scan_by_key_config_selectorIiiEEZZNS1_16scan_by_key_implILNS1_25lookback_scan_determinismE0ELb0ES3_N6thrust23THRUST_200600_302600_NS6detail15normal_iteratorINS9_10device_ptrIiEEEESE_SE_iNS9_10multipliesIiEENS9_8equal_toIiEEiEE10hipError_tPvRmT2_T3_T4_T5_mT6_T7_P12ihipStream_tbENKUlT_T0_E_clISt17integral_constantIbLb1EESZ_EEDaSU_SV_EUlSU_E_NS1_11comp_targetILNS1_3genE4ELNS1_11target_archE910ELNS1_3gpuE8ELNS1_3repE0EEENS1_30default_config_static_selectorELNS0_4arch9wavefront6targetE1EEEvT1_
	.globl	_ZN7rocprim17ROCPRIM_400000_NS6detail17trampoline_kernelINS0_14default_configENS1_27scan_by_key_config_selectorIiiEEZZNS1_16scan_by_key_implILNS1_25lookback_scan_determinismE0ELb0ES3_N6thrust23THRUST_200600_302600_NS6detail15normal_iteratorINS9_10device_ptrIiEEEESE_SE_iNS9_10multipliesIiEENS9_8equal_toIiEEiEE10hipError_tPvRmT2_T3_T4_T5_mT6_T7_P12ihipStream_tbENKUlT_T0_E_clISt17integral_constantIbLb1EESZ_EEDaSU_SV_EUlSU_E_NS1_11comp_targetILNS1_3genE4ELNS1_11target_archE910ELNS1_3gpuE8ELNS1_3repE0EEENS1_30default_config_static_selectorELNS0_4arch9wavefront6targetE1EEEvT1_
	.p2align	8
	.type	_ZN7rocprim17ROCPRIM_400000_NS6detail17trampoline_kernelINS0_14default_configENS1_27scan_by_key_config_selectorIiiEEZZNS1_16scan_by_key_implILNS1_25lookback_scan_determinismE0ELb0ES3_N6thrust23THRUST_200600_302600_NS6detail15normal_iteratorINS9_10device_ptrIiEEEESE_SE_iNS9_10multipliesIiEENS9_8equal_toIiEEiEE10hipError_tPvRmT2_T3_T4_T5_mT6_T7_P12ihipStream_tbENKUlT_T0_E_clISt17integral_constantIbLb1EESZ_EEDaSU_SV_EUlSU_E_NS1_11comp_targetILNS1_3genE4ELNS1_11target_archE910ELNS1_3gpuE8ELNS1_3repE0EEENS1_30default_config_static_selectorELNS0_4arch9wavefront6targetE1EEEvT1_,@function
_ZN7rocprim17ROCPRIM_400000_NS6detail17trampoline_kernelINS0_14default_configENS1_27scan_by_key_config_selectorIiiEEZZNS1_16scan_by_key_implILNS1_25lookback_scan_determinismE0ELb0ES3_N6thrust23THRUST_200600_302600_NS6detail15normal_iteratorINS9_10device_ptrIiEEEESE_SE_iNS9_10multipliesIiEENS9_8equal_toIiEEiEE10hipError_tPvRmT2_T3_T4_T5_mT6_T7_P12ihipStream_tbENKUlT_T0_E_clISt17integral_constantIbLb1EESZ_EEDaSU_SV_EUlSU_E_NS1_11comp_targetILNS1_3genE4ELNS1_11target_archE910ELNS1_3gpuE8ELNS1_3repE0EEENS1_30default_config_static_selectorELNS0_4arch9wavefront6targetE1EEEvT1_: ; @_ZN7rocprim17ROCPRIM_400000_NS6detail17trampoline_kernelINS0_14default_configENS1_27scan_by_key_config_selectorIiiEEZZNS1_16scan_by_key_implILNS1_25lookback_scan_determinismE0ELb0ES3_N6thrust23THRUST_200600_302600_NS6detail15normal_iteratorINS9_10device_ptrIiEEEESE_SE_iNS9_10multipliesIiEENS9_8equal_toIiEEiEE10hipError_tPvRmT2_T3_T4_T5_mT6_T7_P12ihipStream_tbENKUlT_T0_E_clISt17integral_constantIbLb1EESZ_EEDaSU_SV_EUlSU_E_NS1_11comp_targetILNS1_3genE4ELNS1_11target_archE910ELNS1_3gpuE8ELNS1_3repE0EEENS1_30default_config_static_selectorELNS0_4arch9wavefront6targetE1EEEvT1_
; %bb.0:
	.section	.rodata,"a",@progbits
	.p2align	6, 0x0
	.amdhsa_kernel _ZN7rocprim17ROCPRIM_400000_NS6detail17trampoline_kernelINS0_14default_configENS1_27scan_by_key_config_selectorIiiEEZZNS1_16scan_by_key_implILNS1_25lookback_scan_determinismE0ELb0ES3_N6thrust23THRUST_200600_302600_NS6detail15normal_iteratorINS9_10device_ptrIiEEEESE_SE_iNS9_10multipliesIiEENS9_8equal_toIiEEiEE10hipError_tPvRmT2_T3_T4_T5_mT6_T7_P12ihipStream_tbENKUlT_T0_E_clISt17integral_constantIbLb1EESZ_EEDaSU_SV_EUlSU_E_NS1_11comp_targetILNS1_3genE4ELNS1_11target_archE910ELNS1_3gpuE8ELNS1_3repE0EEENS1_30default_config_static_selectorELNS0_4arch9wavefront6targetE1EEEvT1_
		.amdhsa_group_segment_fixed_size 0
		.amdhsa_private_segment_fixed_size 0
		.amdhsa_kernarg_size 112
		.amdhsa_user_sgpr_count 2
		.amdhsa_user_sgpr_dispatch_ptr 0
		.amdhsa_user_sgpr_queue_ptr 0
		.amdhsa_user_sgpr_kernarg_segment_ptr 1
		.amdhsa_user_sgpr_dispatch_id 0
		.amdhsa_user_sgpr_kernarg_preload_length 0
		.amdhsa_user_sgpr_kernarg_preload_offset 0
		.amdhsa_user_sgpr_private_segment_size 0
		.amdhsa_uses_dynamic_stack 0
		.amdhsa_enable_private_segment 0
		.amdhsa_system_sgpr_workgroup_id_x 1
		.amdhsa_system_sgpr_workgroup_id_y 0
		.amdhsa_system_sgpr_workgroup_id_z 0
		.amdhsa_system_sgpr_workgroup_info 0
		.amdhsa_system_vgpr_workitem_id 0
		.amdhsa_next_free_vgpr 1
		.amdhsa_next_free_sgpr 0
		.amdhsa_accum_offset 4
		.amdhsa_reserve_vcc 0
		.amdhsa_float_round_mode_32 0
		.amdhsa_float_round_mode_16_64 0
		.amdhsa_float_denorm_mode_32 3
		.amdhsa_float_denorm_mode_16_64 3
		.amdhsa_dx10_clamp 1
		.amdhsa_ieee_mode 1
		.amdhsa_fp16_overflow 0
		.amdhsa_tg_split 0
		.amdhsa_exception_fp_ieee_invalid_op 0
		.amdhsa_exception_fp_denorm_src 0
		.amdhsa_exception_fp_ieee_div_zero 0
		.amdhsa_exception_fp_ieee_overflow 0
		.amdhsa_exception_fp_ieee_underflow 0
		.amdhsa_exception_fp_ieee_inexact 0
		.amdhsa_exception_int_div_zero 0
	.end_amdhsa_kernel
	.section	.text._ZN7rocprim17ROCPRIM_400000_NS6detail17trampoline_kernelINS0_14default_configENS1_27scan_by_key_config_selectorIiiEEZZNS1_16scan_by_key_implILNS1_25lookback_scan_determinismE0ELb0ES3_N6thrust23THRUST_200600_302600_NS6detail15normal_iteratorINS9_10device_ptrIiEEEESE_SE_iNS9_10multipliesIiEENS9_8equal_toIiEEiEE10hipError_tPvRmT2_T3_T4_T5_mT6_T7_P12ihipStream_tbENKUlT_T0_E_clISt17integral_constantIbLb1EESZ_EEDaSU_SV_EUlSU_E_NS1_11comp_targetILNS1_3genE4ELNS1_11target_archE910ELNS1_3gpuE8ELNS1_3repE0EEENS1_30default_config_static_selectorELNS0_4arch9wavefront6targetE1EEEvT1_,"axG",@progbits,_ZN7rocprim17ROCPRIM_400000_NS6detail17trampoline_kernelINS0_14default_configENS1_27scan_by_key_config_selectorIiiEEZZNS1_16scan_by_key_implILNS1_25lookback_scan_determinismE0ELb0ES3_N6thrust23THRUST_200600_302600_NS6detail15normal_iteratorINS9_10device_ptrIiEEEESE_SE_iNS9_10multipliesIiEENS9_8equal_toIiEEiEE10hipError_tPvRmT2_T3_T4_T5_mT6_T7_P12ihipStream_tbENKUlT_T0_E_clISt17integral_constantIbLb1EESZ_EEDaSU_SV_EUlSU_E_NS1_11comp_targetILNS1_3genE4ELNS1_11target_archE910ELNS1_3gpuE8ELNS1_3repE0EEENS1_30default_config_static_selectorELNS0_4arch9wavefront6targetE1EEEvT1_,comdat
.Lfunc_end176:
	.size	_ZN7rocprim17ROCPRIM_400000_NS6detail17trampoline_kernelINS0_14default_configENS1_27scan_by_key_config_selectorIiiEEZZNS1_16scan_by_key_implILNS1_25lookback_scan_determinismE0ELb0ES3_N6thrust23THRUST_200600_302600_NS6detail15normal_iteratorINS9_10device_ptrIiEEEESE_SE_iNS9_10multipliesIiEENS9_8equal_toIiEEiEE10hipError_tPvRmT2_T3_T4_T5_mT6_T7_P12ihipStream_tbENKUlT_T0_E_clISt17integral_constantIbLb1EESZ_EEDaSU_SV_EUlSU_E_NS1_11comp_targetILNS1_3genE4ELNS1_11target_archE910ELNS1_3gpuE8ELNS1_3repE0EEENS1_30default_config_static_selectorELNS0_4arch9wavefront6targetE1EEEvT1_, .Lfunc_end176-_ZN7rocprim17ROCPRIM_400000_NS6detail17trampoline_kernelINS0_14default_configENS1_27scan_by_key_config_selectorIiiEEZZNS1_16scan_by_key_implILNS1_25lookback_scan_determinismE0ELb0ES3_N6thrust23THRUST_200600_302600_NS6detail15normal_iteratorINS9_10device_ptrIiEEEESE_SE_iNS9_10multipliesIiEENS9_8equal_toIiEEiEE10hipError_tPvRmT2_T3_T4_T5_mT6_T7_P12ihipStream_tbENKUlT_T0_E_clISt17integral_constantIbLb1EESZ_EEDaSU_SV_EUlSU_E_NS1_11comp_targetILNS1_3genE4ELNS1_11target_archE910ELNS1_3gpuE8ELNS1_3repE0EEENS1_30default_config_static_selectorELNS0_4arch9wavefront6targetE1EEEvT1_
                                        ; -- End function
	.section	.AMDGPU.csdata,"",@progbits
; Kernel info:
; codeLenInByte = 0
; NumSgprs: 6
; NumVgprs: 0
; NumAgprs: 0
; TotalNumVgprs: 0
; ScratchSize: 0
; MemoryBound: 0
; FloatMode: 240
; IeeeMode: 1
; LDSByteSize: 0 bytes/workgroup (compile time only)
; SGPRBlocks: 0
; VGPRBlocks: 0
; NumSGPRsForWavesPerEU: 6
; NumVGPRsForWavesPerEU: 1
; AccumOffset: 4
; Occupancy: 8
; WaveLimiterHint : 0
; COMPUTE_PGM_RSRC2:SCRATCH_EN: 0
; COMPUTE_PGM_RSRC2:USER_SGPR: 2
; COMPUTE_PGM_RSRC2:TRAP_HANDLER: 0
; COMPUTE_PGM_RSRC2:TGID_X_EN: 1
; COMPUTE_PGM_RSRC2:TGID_Y_EN: 0
; COMPUTE_PGM_RSRC2:TGID_Z_EN: 0
; COMPUTE_PGM_RSRC2:TIDIG_COMP_CNT: 0
; COMPUTE_PGM_RSRC3_GFX90A:ACCUM_OFFSET: 0
; COMPUTE_PGM_RSRC3_GFX90A:TG_SPLIT: 0
	.section	.text._ZN7rocprim17ROCPRIM_400000_NS6detail17trampoline_kernelINS0_14default_configENS1_27scan_by_key_config_selectorIiiEEZZNS1_16scan_by_key_implILNS1_25lookback_scan_determinismE0ELb0ES3_N6thrust23THRUST_200600_302600_NS6detail15normal_iteratorINS9_10device_ptrIiEEEESE_SE_iNS9_10multipliesIiEENS9_8equal_toIiEEiEE10hipError_tPvRmT2_T3_T4_T5_mT6_T7_P12ihipStream_tbENKUlT_T0_E_clISt17integral_constantIbLb1EESZ_EEDaSU_SV_EUlSU_E_NS1_11comp_targetILNS1_3genE3ELNS1_11target_archE908ELNS1_3gpuE7ELNS1_3repE0EEENS1_30default_config_static_selectorELNS0_4arch9wavefront6targetE1EEEvT1_,"axG",@progbits,_ZN7rocprim17ROCPRIM_400000_NS6detail17trampoline_kernelINS0_14default_configENS1_27scan_by_key_config_selectorIiiEEZZNS1_16scan_by_key_implILNS1_25lookback_scan_determinismE0ELb0ES3_N6thrust23THRUST_200600_302600_NS6detail15normal_iteratorINS9_10device_ptrIiEEEESE_SE_iNS9_10multipliesIiEENS9_8equal_toIiEEiEE10hipError_tPvRmT2_T3_T4_T5_mT6_T7_P12ihipStream_tbENKUlT_T0_E_clISt17integral_constantIbLb1EESZ_EEDaSU_SV_EUlSU_E_NS1_11comp_targetILNS1_3genE3ELNS1_11target_archE908ELNS1_3gpuE7ELNS1_3repE0EEENS1_30default_config_static_selectorELNS0_4arch9wavefront6targetE1EEEvT1_,comdat
	.protected	_ZN7rocprim17ROCPRIM_400000_NS6detail17trampoline_kernelINS0_14default_configENS1_27scan_by_key_config_selectorIiiEEZZNS1_16scan_by_key_implILNS1_25lookback_scan_determinismE0ELb0ES3_N6thrust23THRUST_200600_302600_NS6detail15normal_iteratorINS9_10device_ptrIiEEEESE_SE_iNS9_10multipliesIiEENS9_8equal_toIiEEiEE10hipError_tPvRmT2_T3_T4_T5_mT6_T7_P12ihipStream_tbENKUlT_T0_E_clISt17integral_constantIbLb1EESZ_EEDaSU_SV_EUlSU_E_NS1_11comp_targetILNS1_3genE3ELNS1_11target_archE908ELNS1_3gpuE7ELNS1_3repE0EEENS1_30default_config_static_selectorELNS0_4arch9wavefront6targetE1EEEvT1_ ; -- Begin function _ZN7rocprim17ROCPRIM_400000_NS6detail17trampoline_kernelINS0_14default_configENS1_27scan_by_key_config_selectorIiiEEZZNS1_16scan_by_key_implILNS1_25lookback_scan_determinismE0ELb0ES3_N6thrust23THRUST_200600_302600_NS6detail15normal_iteratorINS9_10device_ptrIiEEEESE_SE_iNS9_10multipliesIiEENS9_8equal_toIiEEiEE10hipError_tPvRmT2_T3_T4_T5_mT6_T7_P12ihipStream_tbENKUlT_T0_E_clISt17integral_constantIbLb1EESZ_EEDaSU_SV_EUlSU_E_NS1_11comp_targetILNS1_3genE3ELNS1_11target_archE908ELNS1_3gpuE7ELNS1_3repE0EEENS1_30default_config_static_selectorELNS0_4arch9wavefront6targetE1EEEvT1_
	.globl	_ZN7rocprim17ROCPRIM_400000_NS6detail17trampoline_kernelINS0_14default_configENS1_27scan_by_key_config_selectorIiiEEZZNS1_16scan_by_key_implILNS1_25lookback_scan_determinismE0ELb0ES3_N6thrust23THRUST_200600_302600_NS6detail15normal_iteratorINS9_10device_ptrIiEEEESE_SE_iNS9_10multipliesIiEENS9_8equal_toIiEEiEE10hipError_tPvRmT2_T3_T4_T5_mT6_T7_P12ihipStream_tbENKUlT_T0_E_clISt17integral_constantIbLb1EESZ_EEDaSU_SV_EUlSU_E_NS1_11comp_targetILNS1_3genE3ELNS1_11target_archE908ELNS1_3gpuE7ELNS1_3repE0EEENS1_30default_config_static_selectorELNS0_4arch9wavefront6targetE1EEEvT1_
	.p2align	8
	.type	_ZN7rocprim17ROCPRIM_400000_NS6detail17trampoline_kernelINS0_14default_configENS1_27scan_by_key_config_selectorIiiEEZZNS1_16scan_by_key_implILNS1_25lookback_scan_determinismE0ELb0ES3_N6thrust23THRUST_200600_302600_NS6detail15normal_iteratorINS9_10device_ptrIiEEEESE_SE_iNS9_10multipliesIiEENS9_8equal_toIiEEiEE10hipError_tPvRmT2_T3_T4_T5_mT6_T7_P12ihipStream_tbENKUlT_T0_E_clISt17integral_constantIbLb1EESZ_EEDaSU_SV_EUlSU_E_NS1_11comp_targetILNS1_3genE3ELNS1_11target_archE908ELNS1_3gpuE7ELNS1_3repE0EEENS1_30default_config_static_selectorELNS0_4arch9wavefront6targetE1EEEvT1_,@function
_ZN7rocprim17ROCPRIM_400000_NS6detail17trampoline_kernelINS0_14default_configENS1_27scan_by_key_config_selectorIiiEEZZNS1_16scan_by_key_implILNS1_25lookback_scan_determinismE0ELb0ES3_N6thrust23THRUST_200600_302600_NS6detail15normal_iteratorINS9_10device_ptrIiEEEESE_SE_iNS9_10multipliesIiEENS9_8equal_toIiEEiEE10hipError_tPvRmT2_T3_T4_T5_mT6_T7_P12ihipStream_tbENKUlT_T0_E_clISt17integral_constantIbLb1EESZ_EEDaSU_SV_EUlSU_E_NS1_11comp_targetILNS1_3genE3ELNS1_11target_archE908ELNS1_3gpuE7ELNS1_3repE0EEENS1_30default_config_static_selectorELNS0_4arch9wavefront6targetE1EEEvT1_: ; @_ZN7rocprim17ROCPRIM_400000_NS6detail17trampoline_kernelINS0_14default_configENS1_27scan_by_key_config_selectorIiiEEZZNS1_16scan_by_key_implILNS1_25lookback_scan_determinismE0ELb0ES3_N6thrust23THRUST_200600_302600_NS6detail15normal_iteratorINS9_10device_ptrIiEEEESE_SE_iNS9_10multipliesIiEENS9_8equal_toIiEEiEE10hipError_tPvRmT2_T3_T4_T5_mT6_T7_P12ihipStream_tbENKUlT_T0_E_clISt17integral_constantIbLb1EESZ_EEDaSU_SV_EUlSU_E_NS1_11comp_targetILNS1_3genE3ELNS1_11target_archE908ELNS1_3gpuE7ELNS1_3repE0EEENS1_30default_config_static_selectorELNS0_4arch9wavefront6targetE1EEEvT1_
; %bb.0:
	.section	.rodata,"a",@progbits
	.p2align	6, 0x0
	.amdhsa_kernel _ZN7rocprim17ROCPRIM_400000_NS6detail17trampoline_kernelINS0_14default_configENS1_27scan_by_key_config_selectorIiiEEZZNS1_16scan_by_key_implILNS1_25lookback_scan_determinismE0ELb0ES3_N6thrust23THRUST_200600_302600_NS6detail15normal_iteratorINS9_10device_ptrIiEEEESE_SE_iNS9_10multipliesIiEENS9_8equal_toIiEEiEE10hipError_tPvRmT2_T3_T4_T5_mT6_T7_P12ihipStream_tbENKUlT_T0_E_clISt17integral_constantIbLb1EESZ_EEDaSU_SV_EUlSU_E_NS1_11comp_targetILNS1_3genE3ELNS1_11target_archE908ELNS1_3gpuE7ELNS1_3repE0EEENS1_30default_config_static_selectorELNS0_4arch9wavefront6targetE1EEEvT1_
		.amdhsa_group_segment_fixed_size 0
		.amdhsa_private_segment_fixed_size 0
		.amdhsa_kernarg_size 112
		.amdhsa_user_sgpr_count 2
		.amdhsa_user_sgpr_dispatch_ptr 0
		.amdhsa_user_sgpr_queue_ptr 0
		.amdhsa_user_sgpr_kernarg_segment_ptr 1
		.amdhsa_user_sgpr_dispatch_id 0
		.amdhsa_user_sgpr_kernarg_preload_length 0
		.amdhsa_user_sgpr_kernarg_preload_offset 0
		.amdhsa_user_sgpr_private_segment_size 0
		.amdhsa_uses_dynamic_stack 0
		.amdhsa_enable_private_segment 0
		.amdhsa_system_sgpr_workgroup_id_x 1
		.amdhsa_system_sgpr_workgroup_id_y 0
		.amdhsa_system_sgpr_workgroup_id_z 0
		.amdhsa_system_sgpr_workgroup_info 0
		.amdhsa_system_vgpr_workitem_id 0
		.amdhsa_next_free_vgpr 1
		.amdhsa_next_free_sgpr 0
		.amdhsa_accum_offset 4
		.amdhsa_reserve_vcc 0
		.amdhsa_float_round_mode_32 0
		.amdhsa_float_round_mode_16_64 0
		.amdhsa_float_denorm_mode_32 3
		.amdhsa_float_denorm_mode_16_64 3
		.amdhsa_dx10_clamp 1
		.amdhsa_ieee_mode 1
		.amdhsa_fp16_overflow 0
		.amdhsa_tg_split 0
		.amdhsa_exception_fp_ieee_invalid_op 0
		.amdhsa_exception_fp_denorm_src 0
		.amdhsa_exception_fp_ieee_div_zero 0
		.amdhsa_exception_fp_ieee_overflow 0
		.amdhsa_exception_fp_ieee_underflow 0
		.amdhsa_exception_fp_ieee_inexact 0
		.amdhsa_exception_int_div_zero 0
	.end_amdhsa_kernel
	.section	.text._ZN7rocprim17ROCPRIM_400000_NS6detail17trampoline_kernelINS0_14default_configENS1_27scan_by_key_config_selectorIiiEEZZNS1_16scan_by_key_implILNS1_25lookback_scan_determinismE0ELb0ES3_N6thrust23THRUST_200600_302600_NS6detail15normal_iteratorINS9_10device_ptrIiEEEESE_SE_iNS9_10multipliesIiEENS9_8equal_toIiEEiEE10hipError_tPvRmT2_T3_T4_T5_mT6_T7_P12ihipStream_tbENKUlT_T0_E_clISt17integral_constantIbLb1EESZ_EEDaSU_SV_EUlSU_E_NS1_11comp_targetILNS1_3genE3ELNS1_11target_archE908ELNS1_3gpuE7ELNS1_3repE0EEENS1_30default_config_static_selectorELNS0_4arch9wavefront6targetE1EEEvT1_,"axG",@progbits,_ZN7rocprim17ROCPRIM_400000_NS6detail17trampoline_kernelINS0_14default_configENS1_27scan_by_key_config_selectorIiiEEZZNS1_16scan_by_key_implILNS1_25lookback_scan_determinismE0ELb0ES3_N6thrust23THRUST_200600_302600_NS6detail15normal_iteratorINS9_10device_ptrIiEEEESE_SE_iNS9_10multipliesIiEENS9_8equal_toIiEEiEE10hipError_tPvRmT2_T3_T4_T5_mT6_T7_P12ihipStream_tbENKUlT_T0_E_clISt17integral_constantIbLb1EESZ_EEDaSU_SV_EUlSU_E_NS1_11comp_targetILNS1_3genE3ELNS1_11target_archE908ELNS1_3gpuE7ELNS1_3repE0EEENS1_30default_config_static_selectorELNS0_4arch9wavefront6targetE1EEEvT1_,comdat
.Lfunc_end177:
	.size	_ZN7rocprim17ROCPRIM_400000_NS6detail17trampoline_kernelINS0_14default_configENS1_27scan_by_key_config_selectorIiiEEZZNS1_16scan_by_key_implILNS1_25lookback_scan_determinismE0ELb0ES3_N6thrust23THRUST_200600_302600_NS6detail15normal_iteratorINS9_10device_ptrIiEEEESE_SE_iNS9_10multipliesIiEENS9_8equal_toIiEEiEE10hipError_tPvRmT2_T3_T4_T5_mT6_T7_P12ihipStream_tbENKUlT_T0_E_clISt17integral_constantIbLb1EESZ_EEDaSU_SV_EUlSU_E_NS1_11comp_targetILNS1_3genE3ELNS1_11target_archE908ELNS1_3gpuE7ELNS1_3repE0EEENS1_30default_config_static_selectorELNS0_4arch9wavefront6targetE1EEEvT1_, .Lfunc_end177-_ZN7rocprim17ROCPRIM_400000_NS6detail17trampoline_kernelINS0_14default_configENS1_27scan_by_key_config_selectorIiiEEZZNS1_16scan_by_key_implILNS1_25lookback_scan_determinismE0ELb0ES3_N6thrust23THRUST_200600_302600_NS6detail15normal_iteratorINS9_10device_ptrIiEEEESE_SE_iNS9_10multipliesIiEENS9_8equal_toIiEEiEE10hipError_tPvRmT2_T3_T4_T5_mT6_T7_P12ihipStream_tbENKUlT_T0_E_clISt17integral_constantIbLb1EESZ_EEDaSU_SV_EUlSU_E_NS1_11comp_targetILNS1_3genE3ELNS1_11target_archE908ELNS1_3gpuE7ELNS1_3repE0EEENS1_30default_config_static_selectorELNS0_4arch9wavefront6targetE1EEEvT1_
                                        ; -- End function
	.section	.AMDGPU.csdata,"",@progbits
; Kernel info:
; codeLenInByte = 0
; NumSgprs: 6
; NumVgprs: 0
; NumAgprs: 0
; TotalNumVgprs: 0
; ScratchSize: 0
; MemoryBound: 0
; FloatMode: 240
; IeeeMode: 1
; LDSByteSize: 0 bytes/workgroup (compile time only)
; SGPRBlocks: 0
; VGPRBlocks: 0
; NumSGPRsForWavesPerEU: 6
; NumVGPRsForWavesPerEU: 1
; AccumOffset: 4
; Occupancy: 8
; WaveLimiterHint : 0
; COMPUTE_PGM_RSRC2:SCRATCH_EN: 0
; COMPUTE_PGM_RSRC2:USER_SGPR: 2
; COMPUTE_PGM_RSRC2:TRAP_HANDLER: 0
; COMPUTE_PGM_RSRC2:TGID_X_EN: 1
; COMPUTE_PGM_RSRC2:TGID_Y_EN: 0
; COMPUTE_PGM_RSRC2:TGID_Z_EN: 0
; COMPUTE_PGM_RSRC2:TIDIG_COMP_CNT: 0
; COMPUTE_PGM_RSRC3_GFX90A:ACCUM_OFFSET: 0
; COMPUTE_PGM_RSRC3_GFX90A:TG_SPLIT: 0
	.section	.text._ZN7rocprim17ROCPRIM_400000_NS6detail17trampoline_kernelINS0_14default_configENS1_27scan_by_key_config_selectorIiiEEZZNS1_16scan_by_key_implILNS1_25lookback_scan_determinismE0ELb0ES3_N6thrust23THRUST_200600_302600_NS6detail15normal_iteratorINS9_10device_ptrIiEEEESE_SE_iNS9_10multipliesIiEENS9_8equal_toIiEEiEE10hipError_tPvRmT2_T3_T4_T5_mT6_T7_P12ihipStream_tbENKUlT_T0_E_clISt17integral_constantIbLb1EESZ_EEDaSU_SV_EUlSU_E_NS1_11comp_targetILNS1_3genE2ELNS1_11target_archE906ELNS1_3gpuE6ELNS1_3repE0EEENS1_30default_config_static_selectorELNS0_4arch9wavefront6targetE1EEEvT1_,"axG",@progbits,_ZN7rocprim17ROCPRIM_400000_NS6detail17trampoline_kernelINS0_14default_configENS1_27scan_by_key_config_selectorIiiEEZZNS1_16scan_by_key_implILNS1_25lookback_scan_determinismE0ELb0ES3_N6thrust23THRUST_200600_302600_NS6detail15normal_iteratorINS9_10device_ptrIiEEEESE_SE_iNS9_10multipliesIiEENS9_8equal_toIiEEiEE10hipError_tPvRmT2_T3_T4_T5_mT6_T7_P12ihipStream_tbENKUlT_T0_E_clISt17integral_constantIbLb1EESZ_EEDaSU_SV_EUlSU_E_NS1_11comp_targetILNS1_3genE2ELNS1_11target_archE906ELNS1_3gpuE6ELNS1_3repE0EEENS1_30default_config_static_selectorELNS0_4arch9wavefront6targetE1EEEvT1_,comdat
	.protected	_ZN7rocprim17ROCPRIM_400000_NS6detail17trampoline_kernelINS0_14default_configENS1_27scan_by_key_config_selectorIiiEEZZNS1_16scan_by_key_implILNS1_25lookback_scan_determinismE0ELb0ES3_N6thrust23THRUST_200600_302600_NS6detail15normal_iteratorINS9_10device_ptrIiEEEESE_SE_iNS9_10multipliesIiEENS9_8equal_toIiEEiEE10hipError_tPvRmT2_T3_T4_T5_mT6_T7_P12ihipStream_tbENKUlT_T0_E_clISt17integral_constantIbLb1EESZ_EEDaSU_SV_EUlSU_E_NS1_11comp_targetILNS1_3genE2ELNS1_11target_archE906ELNS1_3gpuE6ELNS1_3repE0EEENS1_30default_config_static_selectorELNS0_4arch9wavefront6targetE1EEEvT1_ ; -- Begin function _ZN7rocprim17ROCPRIM_400000_NS6detail17trampoline_kernelINS0_14default_configENS1_27scan_by_key_config_selectorIiiEEZZNS1_16scan_by_key_implILNS1_25lookback_scan_determinismE0ELb0ES3_N6thrust23THRUST_200600_302600_NS6detail15normal_iteratorINS9_10device_ptrIiEEEESE_SE_iNS9_10multipliesIiEENS9_8equal_toIiEEiEE10hipError_tPvRmT2_T3_T4_T5_mT6_T7_P12ihipStream_tbENKUlT_T0_E_clISt17integral_constantIbLb1EESZ_EEDaSU_SV_EUlSU_E_NS1_11comp_targetILNS1_3genE2ELNS1_11target_archE906ELNS1_3gpuE6ELNS1_3repE0EEENS1_30default_config_static_selectorELNS0_4arch9wavefront6targetE1EEEvT1_
	.globl	_ZN7rocprim17ROCPRIM_400000_NS6detail17trampoline_kernelINS0_14default_configENS1_27scan_by_key_config_selectorIiiEEZZNS1_16scan_by_key_implILNS1_25lookback_scan_determinismE0ELb0ES3_N6thrust23THRUST_200600_302600_NS6detail15normal_iteratorINS9_10device_ptrIiEEEESE_SE_iNS9_10multipliesIiEENS9_8equal_toIiEEiEE10hipError_tPvRmT2_T3_T4_T5_mT6_T7_P12ihipStream_tbENKUlT_T0_E_clISt17integral_constantIbLb1EESZ_EEDaSU_SV_EUlSU_E_NS1_11comp_targetILNS1_3genE2ELNS1_11target_archE906ELNS1_3gpuE6ELNS1_3repE0EEENS1_30default_config_static_selectorELNS0_4arch9wavefront6targetE1EEEvT1_
	.p2align	8
	.type	_ZN7rocprim17ROCPRIM_400000_NS6detail17trampoline_kernelINS0_14default_configENS1_27scan_by_key_config_selectorIiiEEZZNS1_16scan_by_key_implILNS1_25lookback_scan_determinismE0ELb0ES3_N6thrust23THRUST_200600_302600_NS6detail15normal_iteratorINS9_10device_ptrIiEEEESE_SE_iNS9_10multipliesIiEENS9_8equal_toIiEEiEE10hipError_tPvRmT2_T3_T4_T5_mT6_T7_P12ihipStream_tbENKUlT_T0_E_clISt17integral_constantIbLb1EESZ_EEDaSU_SV_EUlSU_E_NS1_11comp_targetILNS1_3genE2ELNS1_11target_archE906ELNS1_3gpuE6ELNS1_3repE0EEENS1_30default_config_static_selectorELNS0_4arch9wavefront6targetE1EEEvT1_,@function
_ZN7rocprim17ROCPRIM_400000_NS6detail17trampoline_kernelINS0_14default_configENS1_27scan_by_key_config_selectorIiiEEZZNS1_16scan_by_key_implILNS1_25lookback_scan_determinismE0ELb0ES3_N6thrust23THRUST_200600_302600_NS6detail15normal_iteratorINS9_10device_ptrIiEEEESE_SE_iNS9_10multipliesIiEENS9_8equal_toIiEEiEE10hipError_tPvRmT2_T3_T4_T5_mT6_T7_P12ihipStream_tbENKUlT_T0_E_clISt17integral_constantIbLb1EESZ_EEDaSU_SV_EUlSU_E_NS1_11comp_targetILNS1_3genE2ELNS1_11target_archE906ELNS1_3gpuE6ELNS1_3repE0EEENS1_30default_config_static_selectorELNS0_4arch9wavefront6targetE1EEEvT1_: ; @_ZN7rocprim17ROCPRIM_400000_NS6detail17trampoline_kernelINS0_14default_configENS1_27scan_by_key_config_selectorIiiEEZZNS1_16scan_by_key_implILNS1_25lookback_scan_determinismE0ELb0ES3_N6thrust23THRUST_200600_302600_NS6detail15normal_iteratorINS9_10device_ptrIiEEEESE_SE_iNS9_10multipliesIiEENS9_8equal_toIiEEiEE10hipError_tPvRmT2_T3_T4_T5_mT6_T7_P12ihipStream_tbENKUlT_T0_E_clISt17integral_constantIbLb1EESZ_EEDaSU_SV_EUlSU_E_NS1_11comp_targetILNS1_3genE2ELNS1_11target_archE906ELNS1_3gpuE6ELNS1_3repE0EEENS1_30default_config_static_selectorELNS0_4arch9wavefront6targetE1EEEvT1_
; %bb.0:
	.section	.rodata,"a",@progbits
	.p2align	6, 0x0
	.amdhsa_kernel _ZN7rocprim17ROCPRIM_400000_NS6detail17trampoline_kernelINS0_14default_configENS1_27scan_by_key_config_selectorIiiEEZZNS1_16scan_by_key_implILNS1_25lookback_scan_determinismE0ELb0ES3_N6thrust23THRUST_200600_302600_NS6detail15normal_iteratorINS9_10device_ptrIiEEEESE_SE_iNS9_10multipliesIiEENS9_8equal_toIiEEiEE10hipError_tPvRmT2_T3_T4_T5_mT6_T7_P12ihipStream_tbENKUlT_T0_E_clISt17integral_constantIbLb1EESZ_EEDaSU_SV_EUlSU_E_NS1_11comp_targetILNS1_3genE2ELNS1_11target_archE906ELNS1_3gpuE6ELNS1_3repE0EEENS1_30default_config_static_selectorELNS0_4arch9wavefront6targetE1EEEvT1_
		.amdhsa_group_segment_fixed_size 0
		.amdhsa_private_segment_fixed_size 0
		.amdhsa_kernarg_size 112
		.amdhsa_user_sgpr_count 2
		.amdhsa_user_sgpr_dispatch_ptr 0
		.amdhsa_user_sgpr_queue_ptr 0
		.amdhsa_user_sgpr_kernarg_segment_ptr 1
		.amdhsa_user_sgpr_dispatch_id 0
		.amdhsa_user_sgpr_kernarg_preload_length 0
		.amdhsa_user_sgpr_kernarg_preload_offset 0
		.amdhsa_user_sgpr_private_segment_size 0
		.amdhsa_uses_dynamic_stack 0
		.amdhsa_enable_private_segment 0
		.amdhsa_system_sgpr_workgroup_id_x 1
		.amdhsa_system_sgpr_workgroup_id_y 0
		.amdhsa_system_sgpr_workgroup_id_z 0
		.amdhsa_system_sgpr_workgroup_info 0
		.amdhsa_system_vgpr_workitem_id 0
		.amdhsa_next_free_vgpr 1
		.amdhsa_next_free_sgpr 0
		.amdhsa_accum_offset 4
		.amdhsa_reserve_vcc 0
		.amdhsa_float_round_mode_32 0
		.amdhsa_float_round_mode_16_64 0
		.amdhsa_float_denorm_mode_32 3
		.amdhsa_float_denorm_mode_16_64 3
		.amdhsa_dx10_clamp 1
		.amdhsa_ieee_mode 1
		.amdhsa_fp16_overflow 0
		.amdhsa_tg_split 0
		.amdhsa_exception_fp_ieee_invalid_op 0
		.amdhsa_exception_fp_denorm_src 0
		.amdhsa_exception_fp_ieee_div_zero 0
		.amdhsa_exception_fp_ieee_overflow 0
		.amdhsa_exception_fp_ieee_underflow 0
		.amdhsa_exception_fp_ieee_inexact 0
		.amdhsa_exception_int_div_zero 0
	.end_amdhsa_kernel
	.section	.text._ZN7rocprim17ROCPRIM_400000_NS6detail17trampoline_kernelINS0_14default_configENS1_27scan_by_key_config_selectorIiiEEZZNS1_16scan_by_key_implILNS1_25lookback_scan_determinismE0ELb0ES3_N6thrust23THRUST_200600_302600_NS6detail15normal_iteratorINS9_10device_ptrIiEEEESE_SE_iNS9_10multipliesIiEENS9_8equal_toIiEEiEE10hipError_tPvRmT2_T3_T4_T5_mT6_T7_P12ihipStream_tbENKUlT_T0_E_clISt17integral_constantIbLb1EESZ_EEDaSU_SV_EUlSU_E_NS1_11comp_targetILNS1_3genE2ELNS1_11target_archE906ELNS1_3gpuE6ELNS1_3repE0EEENS1_30default_config_static_selectorELNS0_4arch9wavefront6targetE1EEEvT1_,"axG",@progbits,_ZN7rocprim17ROCPRIM_400000_NS6detail17trampoline_kernelINS0_14default_configENS1_27scan_by_key_config_selectorIiiEEZZNS1_16scan_by_key_implILNS1_25lookback_scan_determinismE0ELb0ES3_N6thrust23THRUST_200600_302600_NS6detail15normal_iteratorINS9_10device_ptrIiEEEESE_SE_iNS9_10multipliesIiEENS9_8equal_toIiEEiEE10hipError_tPvRmT2_T3_T4_T5_mT6_T7_P12ihipStream_tbENKUlT_T0_E_clISt17integral_constantIbLb1EESZ_EEDaSU_SV_EUlSU_E_NS1_11comp_targetILNS1_3genE2ELNS1_11target_archE906ELNS1_3gpuE6ELNS1_3repE0EEENS1_30default_config_static_selectorELNS0_4arch9wavefront6targetE1EEEvT1_,comdat
.Lfunc_end178:
	.size	_ZN7rocprim17ROCPRIM_400000_NS6detail17trampoline_kernelINS0_14default_configENS1_27scan_by_key_config_selectorIiiEEZZNS1_16scan_by_key_implILNS1_25lookback_scan_determinismE0ELb0ES3_N6thrust23THRUST_200600_302600_NS6detail15normal_iteratorINS9_10device_ptrIiEEEESE_SE_iNS9_10multipliesIiEENS9_8equal_toIiEEiEE10hipError_tPvRmT2_T3_T4_T5_mT6_T7_P12ihipStream_tbENKUlT_T0_E_clISt17integral_constantIbLb1EESZ_EEDaSU_SV_EUlSU_E_NS1_11comp_targetILNS1_3genE2ELNS1_11target_archE906ELNS1_3gpuE6ELNS1_3repE0EEENS1_30default_config_static_selectorELNS0_4arch9wavefront6targetE1EEEvT1_, .Lfunc_end178-_ZN7rocprim17ROCPRIM_400000_NS6detail17trampoline_kernelINS0_14default_configENS1_27scan_by_key_config_selectorIiiEEZZNS1_16scan_by_key_implILNS1_25lookback_scan_determinismE0ELb0ES3_N6thrust23THRUST_200600_302600_NS6detail15normal_iteratorINS9_10device_ptrIiEEEESE_SE_iNS9_10multipliesIiEENS9_8equal_toIiEEiEE10hipError_tPvRmT2_T3_T4_T5_mT6_T7_P12ihipStream_tbENKUlT_T0_E_clISt17integral_constantIbLb1EESZ_EEDaSU_SV_EUlSU_E_NS1_11comp_targetILNS1_3genE2ELNS1_11target_archE906ELNS1_3gpuE6ELNS1_3repE0EEENS1_30default_config_static_selectorELNS0_4arch9wavefront6targetE1EEEvT1_
                                        ; -- End function
	.section	.AMDGPU.csdata,"",@progbits
; Kernel info:
; codeLenInByte = 0
; NumSgprs: 6
; NumVgprs: 0
; NumAgprs: 0
; TotalNumVgprs: 0
; ScratchSize: 0
; MemoryBound: 0
; FloatMode: 240
; IeeeMode: 1
; LDSByteSize: 0 bytes/workgroup (compile time only)
; SGPRBlocks: 0
; VGPRBlocks: 0
; NumSGPRsForWavesPerEU: 6
; NumVGPRsForWavesPerEU: 1
; AccumOffset: 4
; Occupancy: 8
; WaveLimiterHint : 0
; COMPUTE_PGM_RSRC2:SCRATCH_EN: 0
; COMPUTE_PGM_RSRC2:USER_SGPR: 2
; COMPUTE_PGM_RSRC2:TRAP_HANDLER: 0
; COMPUTE_PGM_RSRC2:TGID_X_EN: 1
; COMPUTE_PGM_RSRC2:TGID_Y_EN: 0
; COMPUTE_PGM_RSRC2:TGID_Z_EN: 0
; COMPUTE_PGM_RSRC2:TIDIG_COMP_CNT: 0
; COMPUTE_PGM_RSRC3_GFX90A:ACCUM_OFFSET: 0
; COMPUTE_PGM_RSRC3_GFX90A:TG_SPLIT: 0
	.section	.text._ZN7rocprim17ROCPRIM_400000_NS6detail17trampoline_kernelINS0_14default_configENS1_27scan_by_key_config_selectorIiiEEZZNS1_16scan_by_key_implILNS1_25lookback_scan_determinismE0ELb0ES3_N6thrust23THRUST_200600_302600_NS6detail15normal_iteratorINS9_10device_ptrIiEEEESE_SE_iNS9_10multipliesIiEENS9_8equal_toIiEEiEE10hipError_tPvRmT2_T3_T4_T5_mT6_T7_P12ihipStream_tbENKUlT_T0_E_clISt17integral_constantIbLb1EESZ_EEDaSU_SV_EUlSU_E_NS1_11comp_targetILNS1_3genE10ELNS1_11target_archE1200ELNS1_3gpuE4ELNS1_3repE0EEENS1_30default_config_static_selectorELNS0_4arch9wavefront6targetE1EEEvT1_,"axG",@progbits,_ZN7rocprim17ROCPRIM_400000_NS6detail17trampoline_kernelINS0_14default_configENS1_27scan_by_key_config_selectorIiiEEZZNS1_16scan_by_key_implILNS1_25lookback_scan_determinismE0ELb0ES3_N6thrust23THRUST_200600_302600_NS6detail15normal_iteratorINS9_10device_ptrIiEEEESE_SE_iNS9_10multipliesIiEENS9_8equal_toIiEEiEE10hipError_tPvRmT2_T3_T4_T5_mT6_T7_P12ihipStream_tbENKUlT_T0_E_clISt17integral_constantIbLb1EESZ_EEDaSU_SV_EUlSU_E_NS1_11comp_targetILNS1_3genE10ELNS1_11target_archE1200ELNS1_3gpuE4ELNS1_3repE0EEENS1_30default_config_static_selectorELNS0_4arch9wavefront6targetE1EEEvT1_,comdat
	.protected	_ZN7rocprim17ROCPRIM_400000_NS6detail17trampoline_kernelINS0_14default_configENS1_27scan_by_key_config_selectorIiiEEZZNS1_16scan_by_key_implILNS1_25lookback_scan_determinismE0ELb0ES3_N6thrust23THRUST_200600_302600_NS6detail15normal_iteratorINS9_10device_ptrIiEEEESE_SE_iNS9_10multipliesIiEENS9_8equal_toIiEEiEE10hipError_tPvRmT2_T3_T4_T5_mT6_T7_P12ihipStream_tbENKUlT_T0_E_clISt17integral_constantIbLb1EESZ_EEDaSU_SV_EUlSU_E_NS1_11comp_targetILNS1_3genE10ELNS1_11target_archE1200ELNS1_3gpuE4ELNS1_3repE0EEENS1_30default_config_static_selectorELNS0_4arch9wavefront6targetE1EEEvT1_ ; -- Begin function _ZN7rocprim17ROCPRIM_400000_NS6detail17trampoline_kernelINS0_14default_configENS1_27scan_by_key_config_selectorIiiEEZZNS1_16scan_by_key_implILNS1_25lookback_scan_determinismE0ELb0ES3_N6thrust23THRUST_200600_302600_NS6detail15normal_iteratorINS9_10device_ptrIiEEEESE_SE_iNS9_10multipliesIiEENS9_8equal_toIiEEiEE10hipError_tPvRmT2_T3_T4_T5_mT6_T7_P12ihipStream_tbENKUlT_T0_E_clISt17integral_constantIbLb1EESZ_EEDaSU_SV_EUlSU_E_NS1_11comp_targetILNS1_3genE10ELNS1_11target_archE1200ELNS1_3gpuE4ELNS1_3repE0EEENS1_30default_config_static_selectorELNS0_4arch9wavefront6targetE1EEEvT1_
	.globl	_ZN7rocprim17ROCPRIM_400000_NS6detail17trampoline_kernelINS0_14default_configENS1_27scan_by_key_config_selectorIiiEEZZNS1_16scan_by_key_implILNS1_25lookback_scan_determinismE0ELb0ES3_N6thrust23THRUST_200600_302600_NS6detail15normal_iteratorINS9_10device_ptrIiEEEESE_SE_iNS9_10multipliesIiEENS9_8equal_toIiEEiEE10hipError_tPvRmT2_T3_T4_T5_mT6_T7_P12ihipStream_tbENKUlT_T0_E_clISt17integral_constantIbLb1EESZ_EEDaSU_SV_EUlSU_E_NS1_11comp_targetILNS1_3genE10ELNS1_11target_archE1200ELNS1_3gpuE4ELNS1_3repE0EEENS1_30default_config_static_selectorELNS0_4arch9wavefront6targetE1EEEvT1_
	.p2align	8
	.type	_ZN7rocprim17ROCPRIM_400000_NS6detail17trampoline_kernelINS0_14default_configENS1_27scan_by_key_config_selectorIiiEEZZNS1_16scan_by_key_implILNS1_25lookback_scan_determinismE0ELb0ES3_N6thrust23THRUST_200600_302600_NS6detail15normal_iteratorINS9_10device_ptrIiEEEESE_SE_iNS9_10multipliesIiEENS9_8equal_toIiEEiEE10hipError_tPvRmT2_T3_T4_T5_mT6_T7_P12ihipStream_tbENKUlT_T0_E_clISt17integral_constantIbLb1EESZ_EEDaSU_SV_EUlSU_E_NS1_11comp_targetILNS1_3genE10ELNS1_11target_archE1200ELNS1_3gpuE4ELNS1_3repE0EEENS1_30default_config_static_selectorELNS0_4arch9wavefront6targetE1EEEvT1_,@function
_ZN7rocprim17ROCPRIM_400000_NS6detail17trampoline_kernelINS0_14default_configENS1_27scan_by_key_config_selectorIiiEEZZNS1_16scan_by_key_implILNS1_25lookback_scan_determinismE0ELb0ES3_N6thrust23THRUST_200600_302600_NS6detail15normal_iteratorINS9_10device_ptrIiEEEESE_SE_iNS9_10multipliesIiEENS9_8equal_toIiEEiEE10hipError_tPvRmT2_T3_T4_T5_mT6_T7_P12ihipStream_tbENKUlT_T0_E_clISt17integral_constantIbLb1EESZ_EEDaSU_SV_EUlSU_E_NS1_11comp_targetILNS1_3genE10ELNS1_11target_archE1200ELNS1_3gpuE4ELNS1_3repE0EEENS1_30default_config_static_selectorELNS0_4arch9wavefront6targetE1EEEvT1_: ; @_ZN7rocprim17ROCPRIM_400000_NS6detail17trampoline_kernelINS0_14default_configENS1_27scan_by_key_config_selectorIiiEEZZNS1_16scan_by_key_implILNS1_25lookback_scan_determinismE0ELb0ES3_N6thrust23THRUST_200600_302600_NS6detail15normal_iteratorINS9_10device_ptrIiEEEESE_SE_iNS9_10multipliesIiEENS9_8equal_toIiEEiEE10hipError_tPvRmT2_T3_T4_T5_mT6_T7_P12ihipStream_tbENKUlT_T0_E_clISt17integral_constantIbLb1EESZ_EEDaSU_SV_EUlSU_E_NS1_11comp_targetILNS1_3genE10ELNS1_11target_archE1200ELNS1_3gpuE4ELNS1_3repE0EEENS1_30default_config_static_selectorELNS0_4arch9wavefront6targetE1EEEvT1_
; %bb.0:
	.section	.rodata,"a",@progbits
	.p2align	6, 0x0
	.amdhsa_kernel _ZN7rocprim17ROCPRIM_400000_NS6detail17trampoline_kernelINS0_14default_configENS1_27scan_by_key_config_selectorIiiEEZZNS1_16scan_by_key_implILNS1_25lookback_scan_determinismE0ELb0ES3_N6thrust23THRUST_200600_302600_NS6detail15normal_iteratorINS9_10device_ptrIiEEEESE_SE_iNS9_10multipliesIiEENS9_8equal_toIiEEiEE10hipError_tPvRmT2_T3_T4_T5_mT6_T7_P12ihipStream_tbENKUlT_T0_E_clISt17integral_constantIbLb1EESZ_EEDaSU_SV_EUlSU_E_NS1_11comp_targetILNS1_3genE10ELNS1_11target_archE1200ELNS1_3gpuE4ELNS1_3repE0EEENS1_30default_config_static_selectorELNS0_4arch9wavefront6targetE1EEEvT1_
		.amdhsa_group_segment_fixed_size 0
		.amdhsa_private_segment_fixed_size 0
		.amdhsa_kernarg_size 112
		.amdhsa_user_sgpr_count 2
		.amdhsa_user_sgpr_dispatch_ptr 0
		.amdhsa_user_sgpr_queue_ptr 0
		.amdhsa_user_sgpr_kernarg_segment_ptr 1
		.amdhsa_user_sgpr_dispatch_id 0
		.amdhsa_user_sgpr_kernarg_preload_length 0
		.amdhsa_user_sgpr_kernarg_preload_offset 0
		.amdhsa_user_sgpr_private_segment_size 0
		.amdhsa_uses_dynamic_stack 0
		.amdhsa_enable_private_segment 0
		.amdhsa_system_sgpr_workgroup_id_x 1
		.amdhsa_system_sgpr_workgroup_id_y 0
		.amdhsa_system_sgpr_workgroup_id_z 0
		.amdhsa_system_sgpr_workgroup_info 0
		.amdhsa_system_vgpr_workitem_id 0
		.amdhsa_next_free_vgpr 1
		.amdhsa_next_free_sgpr 0
		.amdhsa_accum_offset 4
		.amdhsa_reserve_vcc 0
		.amdhsa_float_round_mode_32 0
		.amdhsa_float_round_mode_16_64 0
		.amdhsa_float_denorm_mode_32 3
		.amdhsa_float_denorm_mode_16_64 3
		.amdhsa_dx10_clamp 1
		.amdhsa_ieee_mode 1
		.amdhsa_fp16_overflow 0
		.amdhsa_tg_split 0
		.amdhsa_exception_fp_ieee_invalid_op 0
		.amdhsa_exception_fp_denorm_src 0
		.amdhsa_exception_fp_ieee_div_zero 0
		.amdhsa_exception_fp_ieee_overflow 0
		.amdhsa_exception_fp_ieee_underflow 0
		.amdhsa_exception_fp_ieee_inexact 0
		.amdhsa_exception_int_div_zero 0
	.end_amdhsa_kernel
	.section	.text._ZN7rocprim17ROCPRIM_400000_NS6detail17trampoline_kernelINS0_14default_configENS1_27scan_by_key_config_selectorIiiEEZZNS1_16scan_by_key_implILNS1_25lookback_scan_determinismE0ELb0ES3_N6thrust23THRUST_200600_302600_NS6detail15normal_iteratorINS9_10device_ptrIiEEEESE_SE_iNS9_10multipliesIiEENS9_8equal_toIiEEiEE10hipError_tPvRmT2_T3_T4_T5_mT6_T7_P12ihipStream_tbENKUlT_T0_E_clISt17integral_constantIbLb1EESZ_EEDaSU_SV_EUlSU_E_NS1_11comp_targetILNS1_3genE10ELNS1_11target_archE1200ELNS1_3gpuE4ELNS1_3repE0EEENS1_30default_config_static_selectorELNS0_4arch9wavefront6targetE1EEEvT1_,"axG",@progbits,_ZN7rocprim17ROCPRIM_400000_NS6detail17trampoline_kernelINS0_14default_configENS1_27scan_by_key_config_selectorIiiEEZZNS1_16scan_by_key_implILNS1_25lookback_scan_determinismE0ELb0ES3_N6thrust23THRUST_200600_302600_NS6detail15normal_iteratorINS9_10device_ptrIiEEEESE_SE_iNS9_10multipliesIiEENS9_8equal_toIiEEiEE10hipError_tPvRmT2_T3_T4_T5_mT6_T7_P12ihipStream_tbENKUlT_T0_E_clISt17integral_constantIbLb1EESZ_EEDaSU_SV_EUlSU_E_NS1_11comp_targetILNS1_3genE10ELNS1_11target_archE1200ELNS1_3gpuE4ELNS1_3repE0EEENS1_30default_config_static_selectorELNS0_4arch9wavefront6targetE1EEEvT1_,comdat
.Lfunc_end179:
	.size	_ZN7rocprim17ROCPRIM_400000_NS6detail17trampoline_kernelINS0_14default_configENS1_27scan_by_key_config_selectorIiiEEZZNS1_16scan_by_key_implILNS1_25lookback_scan_determinismE0ELb0ES3_N6thrust23THRUST_200600_302600_NS6detail15normal_iteratorINS9_10device_ptrIiEEEESE_SE_iNS9_10multipliesIiEENS9_8equal_toIiEEiEE10hipError_tPvRmT2_T3_T4_T5_mT6_T7_P12ihipStream_tbENKUlT_T0_E_clISt17integral_constantIbLb1EESZ_EEDaSU_SV_EUlSU_E_NS1_11comp_targetILNS1_3genE10ELNS1_11target_archE1200ELNS1_3gpuE4ELNS1_3repE0EEENS1_30default_config_static_selectorELNS0_4arch9wavefront6targetE1EEEvT1_, .Lfunc_end179-_ZN7rocprim17ROCPRIM_400000_NS6detail17trampoline_kernelINS0_14default_configENS1_27scan_by_key_config_selectorIiiEEZZNS1_16scan_by_key_implILNS1_25lookback_scan_determinismE0ELb0ES3_N6thrust23THRUST_200600_302600_NS6detail15normal_iteratorINS9_10device_ptrIiEEEESE_SE_iNS9_10multipliesIiEENS9_8equal_toIiEEiEE10hipError_tPvRmT2_T3_T4_T5_mT6_T7_P12ihipStream_tbENKUlT_T0_E_clISt17integral_constantIbLb1EESZ_EEDaSU_SV_EUlSU_E_NS1_11comp_targetILNS1_3genE10ELNS1_11target_archE1200ELNS1_3gpuE4ELNS1_3repE0EEENS1_30default_config_static_selectorELNS0_4arch9wavefront6targetE1EEEvT1_
                                        ; -- End function
	.section	.AMDGPU.csdata,"",@progbits
; Kernel info:
; codeLenInByte = 0
; NumSgprs: 6
; NumVgprs: 0
; NumAgprs: 0
; TotalNumVgprs: 0
; ScratchSize: 0
; MemoryBound: 0
; FloatMode: 240
; IeeeMode: 1
; LDSByteSize: 0 bytes/workgroup (compile time only)
; SGPRBlocks: 0
; VGPRBlocks: 0
; NumSGPRsForWavesPerEU: 6
; NumVGPRsForWavesPerEU: 1
; AccumOffset: 4
; Occupancy: 8
; WaveLimiterHint : 0
; COMPUTE_PGM_RSRC2:SCRATCH_EN: 0
; COMPUTE_PGM_RSRC2:USER_SGPR: 2
; COMPUTE_PGM_RSRC2:TRAP_HANDLER: 0
; COMPUTE_PGM_RSRC2:TGID_X_EN: 1
; COMPUTE_PGM_RSRC2:TGID_Y_EN: 0
; COMPUTE_PGM_RSRC2:TGID_Z_EN: 0
; COMPUTE_PGM_RSRC2:TIDIG_COMP_CNT: 0
; COMPUTE_PGM_RSRC3_GFX90A:ACCUM_OFFSET: 0
; COMPUTE_PGM_RSRC3_GFX90A:TG_SPLIT: 0
	.section	.text._ZN7rocprim17ROCPRIM_400000_NS6detail17trampoline_kernelINS0_14default_configENS1_27scan_by_key_config_selectorIiiEEZZNS1_16scan_by_key_implILNS1_25lookback_scan_determinismE0ELb0ES3_N6thrust23THRUST_200600_302600_NS6detail15normal_iteratorINS9_10device_ptrIiEEEESE_SE_iNS9_10multipliesIiEENS9_8equal_toIiEEiEE10hipError_tPvRmT2_T3_T4_T5_mT6_T7_P12ihipStream_tbENKUlT_T0_E_clISt17integral_constantIbLb1EESZ_EEDaSU_SV_EUlSU_E_NS1_11comp_targetILNS1_3genE9ELNS1_11target_archE1100ELNS1_3gpuE3ELNS1_3repE0EEENS1_30default_config_static_selectorELNS0_4arch9wavefront6targetE1EEEvT1_,"axG",@progbits,_ZN7rocprim17ROCPRIM_400000_NS6detail17trampoline_kernelINS0_14default_configENS1_27scan_by_key_config_selectorIiiEEZZNS1_16scan_by_key_implILNS1_25lookback_scan_determinismE0ELb0ES3_N6thrust23THRUST_200600_302600_NS6detail15normal_iteratorINS9_10device_ptrIiEEEESE_SE_iNS9_10multipliesIiEENS9_8equal_toIiEEiEE10hipError_tPvRmT2_T3_T4_T5_mT6_T7_P12ihipStream_tbENKUlT_T0_E_clISt17integral_constantIbLb1EESZ_EEDaSU_SV_EUlSU_E_NS1_11comp_targetILNS1_3genE9ELNS1_11target_archE1100ELNS1_3gpuE3ELNS1_3repE0EEENS1_30default_config_static_selectorELNS0_4arch9wavefront6targetE1EEEvT1_,comdat
	.protected	_ZN7rocprim17ROCPRIM_400000_NS6detail17trampoline_kernelINS0_14default_configENS1_27scan_by_key_config_selectorIiiEEZZNS1_16scan_by_key_implILNS1_25lookback_scan_determinismE0ELb0ES3_N6thrust23THRUST_200600_302600_NS6detail15normal_iteratorINS9_10device_ptrIiEEEESE_SE_iNS9_10multipliesIiEENS9_8equal_toIiEEiEE10hipError_tPvRmT2_T3_T4_T5_mT6_T7_P12ihipStream_tbENKUlT_T0_E_clISt17integral_constantIbLb1EESZ_EEDaSU_SV_EUlSU_E_NS1_11comp_targetILNS1_3genE9ELNS1_11target_archE1100ELNS1_3gpuE3ELNS1_3repE0EEENS1_30default_config_static_selectorELNS0_4arch9wavefront6targetE1EEEvT1_ ; -- Begin function _ZN7rocprim17ROCPRIM_400000_NS6detail17trampoline_kernelINS0_14default_configENS1_27scan_by_key_config_selectorIiiEEZZNS1_16scan_by_key_implILNS1_25lookback_scan_determinismE0ELb0ES3_N6thrust23THRUST_200600_302600_NS6detail15normal_iteratorINS9_10device_ptrIiEEEESE_SE_iNS9_10multipliesIiEENS9_8equal_toIiEEiEE10hipError_tPvRmT2_T3_T4_T5_mT6_T7_P12ihipStream_tbENKUlT_T0_E_clISt17integral_constantIbLb1EESZ_EEDaSU_SV_EUlSU_E_NS1_11comp_targetILNS1_3genE9ELNS1_11target_archE1100ELNS1_3gpuE3ELNS1_3repE0EEENS1_30default_config_static_selectorELNS0_4arch9wavefront6targetE1EEEvT1_
	.globl	_ZN7rocprim17ROCPRIM_400000_NS6detail17trampoline_kernelINS0_14default_configENS1_27scan_by_key_config_selectorIiiEEZZNS1_16scan_by_key_implILNS1_25lookback_scan_determinismE0ELb0ES3_N6thrust23THRUST_200600_302600_NS6detail15normal_iteratorINS9_10device_ptrIiEEEESE_SE_iNS9_10multipliesIiEENS9_8equal_toIiEEiEE10hipError_tPvRmT2_T3_T4_T5_mT6_T7_P12ihipStream_tbENKUlT_T0_E_clISt17integral_constantIbLb1EESZ_EEDaSU_SV_EUlSU_E_NS1_11comp_targetILNS1_3genE9ELNS1_11target_archE1100ELNS1_3gpuE3ELNS1_3repE0EEENS1_30default_config_static_selectorELNS0_4arch9wavefront6targetE1EEEvT1_
	.p2align	8
	.type	_ZN7rocprim17ROCPRIM_400000_NS6detail17trampoline_kernelINS0_14default_configENS1_27scan_by_key_config_selectorIiiEEZZNS1_16scan_by_key_implILNS1_25lookback_scan_determinismE0ELb0ES3_N6thrust23THRUST_200600_302600_NS6detail15normal_iteratorINS9_10device_ptrIiEEEESE_SE_iNS9_10multipliesIiEENS9_8equal_toIiEEiEE10hipError_tPvRmT2_T3_T4_T5_mT6_T7_P12ihipStream_tbENKUlT_T0_E_clISt17integral_constantIbLb1EESZ_EEDaSU_SV_EUlSU_E_NS1_11comp_targetILNS1_3genE9ELNS1_11target_archE1100ELNS1_3gpuE3ELNS1_3repE0EEENS1_30default_config_static_selectorELNS0_4arch9wavefront6targetE1EEEvT1_,@function
_ZN7rocprim17ROCPRIM_400000_NS6detail17trampoline_kernelINS0_14default_configENS1_27scan_by_key_config_selectorIiiEEZZNS1_16scan_by_key_implILNS1_25lookback_scan_determinismE0ELb0ES3_N6thrust23THRUST_200600_302600_NS6detail15normal_iteratorINS9_10device_ptrIiEEEESE_SE_iNS9_10multipliesIiEENS9_8equal_toIiEEiEE10hipError_tPvRmT2_T3_T4_T5_mT6_T7_P12ihipStream_tbENKUlT_T0_E_clISt17integral_constantIbLb1EESZ_EEDaSU_SV_EUlSU_E_NS1_11comp_targetILNS1_3genE9ELNS1_11target_archE1100ELNS1_3gpuE3ELNS1_3repE0EEENS1_30default_config_static_selectorELNS0_4arch9wavefront6targetE1EEEvT1_: ; @_ZN7rocprim17ROCPRIM_400000_NS6detail17trampoline_kernelINS0_14default_configENS1_27scan_by_key_config_selectorIiiEEZZNS1_16scan_by_key_implILNS1_25lookback_scan_determinismE0ELb0ES3_N6thrust23THRUST_200600_302600_NS6detail15normal_iteratorINS9_10device_ptrIiEEEESE_SE_iNS9_10multipliesIiEENS9_8equal_toIiEEiEE10hipError_tPvRmT2_T3_T4_T5_mT6_T7_P12ihipStream_tbENKUlT_T0_E_clISt17integral_constantIbLb1EESZ_EEDaSU_SV_EUlSU_E_NS1_11comp_targetILNS1_3genE9ELNS1_11target_archE1100ELNS1_3gpuE3ELNS1_3repE0EEENS1_30default_config_static_selectorELNS0_4arch9wavefront6targetE1EEEvT1_
; %bb.0:
	.section	.rodata,"a",@progbits
	.p2align	6, 0x0
	.amdhsa_kernel _ZN7rocprim17ROCPRIM_400000_NS6detail17trampoline_kernelINS0_14default_configENS1_27scan_by_key_config_selectorIiiEEZZNS1_16scan_by_key_implILNS1_25lookback_scan_determinismE0ELb0ES3_N6thrust23THRUST_200600_302600_NS6detail15normal_iteratorINS9_10device_ptrIiEEEESE_SE_iNS9_10multipliesIiEENS9_8equal_toIiEEiEE10hipError_tPvRmT2_T3_T4_T5_mT6_T7_P12ihipStream_tbENKUlT_T0_E_clISt17integral_constantIbLb1EESZ_EEDaSU_SV_EUlSU_E_NS1_11comp_targetILNS1_3genE9ELNS1_11target_archE1100ELNS1_3gpuE3ELNS1_3repE0EEENS1_30default_config_static_selectorELNS0_4arch9wavefront6targetE1EEEvT1_
		.amdhsa_group_segment_fixed_size 0
		.amdhsa_private_segment_fixed_size 0
		.amdhsa_kernarg_size 112
		.amdhsa_user_sgpr_count 2
		.amdhsa_user_sgpr_dispatch_ptr 0
		.amdhsa_user_sgpr_queue_ptr 0
		.amdhsa_user_sgpr_kernarg_segment_ptr 1
		.amdhsa_user_sgpr_dispatch_id 0
		.amdhsa_user_sgpr_kernarg_preload_length 0
		.amdhsa_user_sgpr_kernarg_preload_offset 0
		.amdhsa_user_sgpr_private_segment_size 0
		.amdhsa_uses_dynamic_stack 0
		.amdhsa_enable_private_segment 0
		.amdhsa_system_sgpr_workgroup_id_x 1
		.amdhsa_system_sgpr_workgroup_id_y 0
		.amdhsa_system_sgpr_workgroup_id_z 0
		.amdhsa_system_sgpr_workgroup_info 0
		.amdhsa_system_vgpr_workitem_id 0
		.amdhsa_next_free_vgpr 1
		.amdhsa_next_free_sgpr 0
		.amdhsa_accum_offset 4
		.amdhsa_reserve_vcc 0
		.amdhsa_float_round_mode_32 0
		.amdhsa_float_round_mode_16_64 0
		.amdhsa_float_denorm_mode_32 3
		.amdhsa_float_denorm_mode_16_64 3
		.amdhsa_dx10_clamp 1
		.amdhsa_ieee_mode 1
		.amdhsa_fp16_overflow 0
		.amdhsa_tg_split 0
		.amdhsa_exception_fp_ieee_invalid_op 0
		.amdhsa_exception_fp_denorm_src 0
		.amdhsa_exception_fp_ieee_div_zero 0
		.amdhsa_exception_fp_ieee_overflow 0
		.amdhsa_exception_fp_ieee_underflow 0
		.amdhsa_exception_fp_ieee_inexact 0
		.amdhsa_exception_int_div_zero 0
	.end_amdhsa_kernel
	.section	.text._ZN7rocprim17ROCPRIM_400000_NS6detail17trampoline_kernelINS0_14default_configENS1_27scan_by_key_config_selectorIiiEEZZNS1_16scan_by_key_implILNS1_25lookback_scan_determinismE0ELb0ES3_N6thrust23THRUST_200600_302600_NS6detail15normal_iteratorINS9_10device_ptrIiEEEESE_SE_iNS9_10multipliesIiEENS9_8equal_toIiEEiEE10hipError_tPvRmT2_T3_T4_T5_mT6_T7_P12ihipStream_tbENKUlT_T0_E_clISt17integral_constantIbLb1EESZ_EEDaSU_SV_EUlSU_E_NS1_11comp_targetILNS1_3genE9ELNS1_11target_archE1100ELNS1_3gpuE3ELNS1_3repE0EEENS1_30default_config_static_selectorELNS0_4arch9wavefront6targetE1EEEvT1_,"axG",@progbits,_ZN7rocprim17ROCPRIM_400000_NS6detail17trampoline_kernelINS0_14default_configENS1_27scan_by_key_config_selectorIiiEEZZNS1_16scan_by_key_implILNS1_25lookback_scan_determinismE0ELb0ES3_N6thrust23THRUST_200600_302600_NS6detail15normal_iteratorINS9_10device_ptrIiEEEESE_SE_iNS9_10multipliesIiEENS9_8equal_toIiEEiEE10hipError_tPvRmT2_T3_T4_T5_mT6_T7_P12ihipStream_tbENKUlT_T0_E_clISt17integral_constantIbLb1EESZ_EEDaSU_SV_EUlSU_E_NS1_11comp_targetILNS1_3genE9ELNS1_11target_archE1100ELNS1_3gpuE3ELNS1_3repE0EEENS1_30default_config_static_selectorELNS0_4arch9wavefront6targetE1EEEvT1_,comdat
.Lfunc_end180:
	.size	_ZN7rocprim17ROCPRIM_400000_NS6detail17trampoline_kernelINS0_14default_configENS1_27scan_by_key_config_selectorIiiEEZZNS1_16scan_by_key_implILNS1_25lookback_scan_determinismE0ELb0ES3_N6thrust23THRUST_200600_302600_NS6detail15normal_iteratorINS9_10device_ptrIiEEEESE_SE_iNS9_10multipliesIiEENS9_8equal_toIiEEiEE10hipError_tPvRmT2_T3_T4_T5_mT6_T7_P12ihipStream_tbENKUlT_T0_E_clISt17integral_constantIbLb1EESZ_EEDaSU_SV_EUlSU_E_NS1_11comp_targetILNS1_3genE9ELNS1_11target_archE1100ELNS1_3gpuE3ELNS1_3repE0EEENS1_30default_config_static_selectorELNS0_4arch9wavefront6targetE1EEEvT1_, .Lfunc_end180-_ZN7rocprim17ROCPRIM_400000_NS6detail17trampoline_kernelINS0_14default_configENS1_27scan_by_key_config_selectorIiiEEZZNS1_16scan_by_key_implILNS1_25lookback_scan_determinismE0ELb0ES3_N6thrust23THRUST_200600_302600_NS6detail15normal_iteratorINS9_10device_ptrIiEEEESE_SE_iNS9_10multipliesIiEENS9_8equal_toIiEEiEE10hipError_tPvRmT2_T3_T4_T5_mT6_T7_P12ihipStream_tbENKUlT_T0_E_clISt17integral_constantIbLb1EESZ_EEDaSU_SV_EUlSU_E_NS1_11comp_targetILNS1_3genE9ELNS1_11target_archE1100ELNS1_3gpuE3ELNS1_3repE0EEENS1_30default_config_static_selectorELNS0_4arch9wavefront6targetE1EEEvT1_
                                        ; -- End function
	.section	.AMDGPU.csdata,"",@progbits
; Kernel info:
; codeLenInByte = 0
; NumSgprs: 6
; NumVgprs: 0
; NumAgprs: 0
; TotalNumVgprs: 0
; ScratchSize: 0
; MemoryBound: 0
; FloatMode: 240
; IeeeMode: 1
; LDSByteSize: 0 bytes/workgroup (compile time only)
; SGPRBlocks: 0
; VGPRBlocks: 0
; NumSGPRsForWavesPerEU: 6
; NumVGPRsForWavesPerEU: 1
; AccumOffset: 4
; Occupancy: 8
; WaveLimiterHint : 0
; COMPUTE_PGM_RSRC2:SCRATCH_EN: 0
; COMPUTE_PGM_RSRC2:USER_SGPR: 2
; COMPUTE_PGM_RSRC2:TRAP_HANDLER: 0
; COMPUTE_PGM_RSRC2:TGID_X_EN: 1
; COMPUTE_PGM_RSRC2:TGID_Y_EN: 0
; COMPUTE_PGM_RSRC2:TGID_Z_EN: 0
; COMPUTE_PGM_RSRC2:TIDIG_COMP_CNT: 0
; COMPUTE_PGM_RSRC3_GFX90A:ACCUM_OFFSET: 0
; COMPUTE_PGM_RSRC3_GFX90A:TG_SPLIT: 0
	.section	.text._ZN7rocprim17ROCPRIM_400000_NS6detail17trampoline_kernelINS0_14default_configENS1_27scan_by_key_config_selectorIiiEEZZNS1_16scan_by_key_implILNS1_25lookback_scan_determinismE0ELb0ES3_N6thrust23THRUST_200600_302600_NS6detail15normal_iteratorINS9_10device_ptrIiEEEESE_SE_iNS9_10multipliesIiEENS9_8equal_toIiEEiEE10hipError_tPvRmT2_T3_T4_T5_mT6_T7_P12ihipStream_tbENKUlT_T0_E_clISt17integral_constantIbLb1EESZ_EEDaSU_SV_EUlSU_E_NS1_11comp_targetILNS1_3genE8ELNS1_11target_archE1030ELNS1_3gpuE2ELNS1_3repE0EEENS1_30default_config_static_selectorELNS0_4arch9wavefront6targetE1EEEvT1_,"axG",@progbits,_ZN7rocprim17ROCPRIM_400000_NS6detail17trampoline_kernelINS0_14default_configENS1_27scan_by_key_config_selectorIiiEEZZNS1_16scan_by_key_implILNS1_25lookback_scan_determinismE0ELb0ES3_N6thrust23THRUST_200600_302600_NS6detail15normal_iteratorINS9_10device_ptrIiEEEESE_SE_iNS9_10multipliesIiEENS9_8equal_toIiEEiEE10hipError_tPvRmT2_T3_T4_T5_mT6_T7_P12ihipStream_tbENKUlT_T0_E_clISt17integral_constantIbLb1EESZ_EEDaSU_SV_EUlSU_E_NS1_11comp_targetILNS1_3genE8ELNS1_11target_archE1030ELNS1_3gpuE2ELNS1_3repE0EEENS1_30default_config_static_selectorELNS0_4arch9wavefront6targetE1EEEvT1_,comdat
	.protected	_ZN7rocprim17ROCPRIM_400000_NS6detail17trampoline_kernelINS0_14default_configENS1_27scan_by_key_config_selectorIiiEEZZNS1_16scan_by_key_implILNS1_25lookback_scan_determinismE0ELb0ES3_N6thrust23THRUST_200600_302600_NS6detail15normal_iteratorINS9_10device_ptrIiEEEESE_SE_iNS9_10multipliesIiEENS9_8equal_toIiEEiEE10hipError_tPvRmT2_T3_T4_T5_mT6_T7_P12ihipStream_tbENKUlT_T0_E_clISt17integral_constantIbLb1EESZ_EEDaSU_SV_EUlSU_E_NS1_11comp_targetILNS1_3genE8ELNS1_11target_archE1030ELNS1_3gpuE2ELNS1_3repE0EEENS1_30default_config_static_selectorELNS0_4arch9wavefront6targetE1EEEvT1_ ; -- Begin function _ZN7rocprim17ROCPRIM_400000_NS6detail17trampoline_kernelINS0_14default_configENS1_27scan_by_key_config_selectorIiiEEZZNS1_16scan_by_key_implILNS1_25lookback_scan_determinismE0ELb0ES3_N6thrust23THRUST_200600_302600_NS6detail15normal_iteratorINS9_10device_ptrIiEEEESE_SE_iNS9_10multipliesIiEENS9_8equal_toIiEEiEE10hipError_tPvRmT2_T3_T4_T5_mT6_T7_P12ihipStream_tbENKUlT_T0_E_clISt17integral_constantIbLb1EESZ_EEDaSU_SV_EUlSU_E_NS1_11comp_targetILNS1_3genE8ELNS1_11target_archE1030ELNS1_3gpuE2ELNS1_3repE0EEENS1_30default_config_static_selectorELNS0_4arch9wavefront6targetE1EEEvT1_
	.globl	_ZN7rocprim17ROCPRIM_400000_NS6detail17trampoline_kernelINS0_14default_configENS1_27scan_by_key_config_selectorIiiEEZZNS1_16scan_by_key_implILNS1_25lookback_scan_determinismE0ELb0ES3_N6thrust23THRUST_200600_302600_NS6detail15normal_iteratorINS9_10device_ptrIiEEEESE_SE_iNS9_10multipliesIiEENS9_8equal_toIiEEiEE10hipError_tPvRmT2_T3_T4_T5_mT6_T7_P12ihipStream_tbENKUlT_T0_E_clISt17integral_constantIbLb1EESZ_EEDaSU_SV_EUlSU_E_NS1_11comp_targetILNS1_3genE8ELNS1_11target_archE1030ELNS1_3gpuE2ELNS1_3repE0EEENS1_30default_config_static_selectorELNS0_4arch9wavefront6targetE1EEEvT1_
	.p2align	8
	.type	_ZN7rocprim17ROCPRIM_400000_NS6detail17trampoline_kernelINS0_14default_configENS1_27scan_by_key_config_selectorIiiEEZZNS1_16scan_by_key_implILNS1_25lookback_scan_determinismE0ELb0ES3_N6thrust23THRUST_200600_302600_NS6detail15normal_iteratorINS9_10device_ptrIiEEEESE_SE_iNS9_10multipliesIiEENS9_8equal_toIiEEiEE10hipError_tPvRmT2_T3_T4_T5_mT6_T7_P12ihipStream_tbENKUlT_T0_E_clISt17integral_constantIbLb1EESZ_EEDaSU_SV_EUlSU_E_NS1_11comp_targetILNS1_3genE8ELNS1_11target_archE1030ELNS1_3gpuE2ELNS1_3repE0EEENS1_30default_config_static_selectorELNS0_4arch9wavefront6targetE1EEEvT1_,@function
_ZN7rocprim17ROCPRIM_400000_NS6detail17trampoline_kernelINS0_14default_configENS1_27scan_by_key_config_selectorIiiEEZZNS1_16scan_by_key_implILNS1_25lookback_scan_determinismE0ELb0ES3_N6thrust23THRUST_200600_302600_NS6detail15normal_iteratorINS9_10device_ptrIiEEEESE_SE_iNS9_10multipliesIiEENS9_8equal_toIiEEiEE10hipError_tPvRmT2_T3_T4_T5_mT6_T7_P12ihipStream_tbENKUlT_T0_E_clISt17integral_constantIbLb1EESZ_EEDaSU_SV_EUlSU_E_NS1_11comp_targetILNS1_3genE8ELNS1_11target_archE1030ELNS1_3gpuE2ELNS1_3repE0EEENS1_30default_config_static_selectorELNS0_4arch9wavefront6targetE1EEEvT1_: ; @_ZN7rocprim17ROCPRIM_400000_NS6detail17trampoline_kernelINS0_14default_configENS1_27scan_by_key_config_selectorIiiEEZZNS1_16scan_by_key_implILNS1_25lookback_scan_determinismE0ELb0ES3_N6thrust23THRUST_200600_302600_NS6detail15normal_iteratorINS9_10device_ptrIiEEEESE_SE_iNS9_10multipliesIiEENS9_8equal_toIiEEiEE10hipError_tPvRmT2_T3_T4_T5_mT6_T7_P12ihipStream_tbENKUlT_T0_E_clISt17integral_constantIbLb1EESZ_EEDaSU_SV_EUlSU_E_NS1_11comp_targetILNS1_3genE8ELNS1_11target_archE1030ELNS1_3gpuE2ELNS1_3repE0EEENS1_30default_config_static_selectorELNS0_4arch9wavefront6targetE1EEEvT1_
; %bb.0:
	.section	.rodata,"a",@progbits
	.p2align	6, 0x0
	.amdhsa_kernel _ZN7rocprim17ROCPRIM_400000_NS6detail17trampoline_kernelINS0_14default_configENS1_27scan_by_key_config_selectorIiiEEZZNS1_16scan_by_key_implILNS1_25lookback_scan_determinismE0ELb0ES3_N6thrust23THRUST_200600_302600_NS6detail15normal_iteratorINS9_10device_ptrIiEEEESE_SE_iNS9_10multipliesIiEENS9_8equal_toIiEEiEE10hipError_tPvRmT2_T3_T4_T5_mT6_T7_P12ihipStream_tbENKUlT_T0_E_clISt17integral_constantIbLb1EESZ_EEDaSU_SV_EUlSU_E_NS1_11comp_targetILNS1_3genE8ELNS1_11target_archE1030ELNS1_3gpuE2ELNS1_3repE0EEENS1_30default_config_static_selectorELNS0_4arch9wavefront6targetE1EEEvT1_
		.amdhsa_group_segment_fixed_size 0
		.amdhsa_private_segment_fixed_size 0
		.amdhsa_kernarg_size 112
		.amdhsa_user_sgpr_count 2
		.amdhsa_user_sgpr_dispatch_ptr 0
		.amdhsa_user_sgpr_queue_ptr 0
		.amdhsa_user_sgpr_kernarg_segment_ptr 1
		.amdhsa_user_sgpr_dispatch_id 0
		.amdhsa_user_sgpr_kernarg_preload_length 0
		.amdhsa_user_sgpr_kernarg_preload_offset 0
		.amdhsa_user_sgpr_private_segment_size 0
		.amdhsa_uses_dynamic_stack 0
		.amdhsa_enable_private_segment 0
		.amdhsa_system_sgpr_workgroup_id_x 1
		.amdhsa_system_sgpr_workgroup_id_y 0
		.amdhsa_system_sgpr_workgroup_id_z 0
		.amdhsa_system_sgpr_workgroup_info 0
		.amdhsa_system_vgpr_workitem_id 0
		.amdhsa_next_free_vgpr 1
		.amdhsa_next_free_sgpr 0
		.amdhsa_accum_offset 4
		.amdhsa_reserve_vcc 0
		.amdhsa_float_round_mode_32 0
		.amdhsa_float_round_mode_16_64 0
		.amdhsa_float_denorm_mode_32 3
		.amdhsa_float_denorm_mode_16_64 3
		.amdhsa_dx10_clamp 1
		.amdhsa_ieee_mode 1
		.amdhsa_fp16_overflow 0
		.amdhsa_tg_split 0
		.amdhsa_exception_fp_ieee_invalid_op 0
		.amdhsa_exception_fp_denorm_src 0
		.amdhsa_exception_fp_ieee_div_zero 0
		.amdhsa_exception_fp_ieee_overflow 0
		.amdhsa_exception_fp_ieee_underflow 0
		.amdhsa_exception_fp_ieee_inexact 0
		.amdhsa_exception_int_div_zero 0
	.end_amdhsa_kernel
	.section	.text._ZN7rocprim17ROCPRIM_400000_NS6detail17trampoline_kernelINS0_14default_configENS1_27scan_by_key_config_selectorIiiEEZZNS1_16scan_by_key_implILNS1_25lookback_scan_determinismE0ELb0ES3_N6thrust23THRUST_200600_302600_NS6detail15normal_iteratorINS9_10device_ptrIiEEEESE_SE_iNS9_10multipliesIiEENS9_8equal_toIiEEiEE10hipError_tPvRmT2_T3_T4_T5_mT6_T7_P12ihipStream_tbENKUlT_T0_E_clISt17integral_constantIbLb1EESZ_EEDaSU_SV_EUlSU_E_NS1_11comp_targetILNS1_3genE8ELNS1_11target_archE1030ELNS1_3gpuE2ELNS1_3repE0EEENS1_30default_config_static_selectorELNS0_4arch9wavefront6targetE1EEEvT1_,"axG",@progbits,_ZN7rocprim17ROCPRIM_400000_NS6detail17trampoline_kernelINS0_14default_configENS1_27scan_by_key_config_selectorIiiEEZZNS1_16scan_by_key_implILNS1_25lookback_scan_determinismE0ELb0ES3_N6thrust23THRUST_200600_302600_NS6detail15normal_iteratorINS9_10device_ptrIiEEEESE_SE_iNS9_10multipliesIiEENS9_8equal_toIiEEiEE10hipError_tPvRmT2_T3_T4_T5_mT6_T7_P12ihipStream_tbENKUlT_T0_E_clISt17integral_constantIbLb1EESZ_EEDaSU_SV_EUlSU_E_NS1_11comp_targetILNS1_3genE8ELNS1_11target_archE1030ELNS1_3gpuE2ELNS1_3repE0EEENS1_30default_config_static_selectorELNS0_4arch9wavefront6targetE1EEEvT1_,comdat
.Lfunc_end181:
	.size	_ZN7rocprim17ROCPRIM_400000_NS6detail17trampoline_kernelINS0_14default_configENS1_27scan_by_key_config_selectorIiiEEZZNS1_16scan_by_key_implILNS1_25lookback_scan_determinismE0ELb0ES3_N6thrust23THRUST_200600_302600_NS6detail15normal_iteratorINS9_10device_ptrIiEEEESE_SE_iNS9_10multipliesIiEENS9_8equal_toIiEEiEE10hipError_tPvRmT2_T3_T4_T5_mT6_T7_P12ihipStream_tbENKUlT_T0_E_clISt17integral_constantIbLb1EESZ_EEDaSU_SV_EUlSU_E_NS1_11comp_targetILNS1_3genE8ELNS1_11target_archE1030ELNS1_3gpuE2ELNS1_3repE0EEENS1_30default_config_static_selectorELNS0_4arch9wavefront6targetE1EEEvT1_, .Lfunc_end181-_ZN7rocprim17ROCPRIM_400000_NS6detail17trampoline_kernelINS0_14default_configENS1_27scan_by_key_config_selectorIiiEEZZNS1_16scan_by_key_implILNS1_25lookback_scan_determinismE0ELb0ES3_N6thrust23THRUST_200600_302600_NS6detail15normal_iteratorINS9_10device_ptrIiEEEESE_SE_iNS9_10multipliesIiEENS9_8equal_toIiEEiEE10hipError_tPvRmT2_T3_T4_T5_mT6_T7_P12ihipStream_tbENKUlT_T0_E_clISt17integral_constantIbLb1EESZ_EEDaSU_SV_EUlSU_E_NS1_11comp_targetILNS1_3genE8ELNS1_11target_archE1030ELNS1_3gpuE2ELNS1_3repE0EEENS1_30default_config_static_selectorELNS0_4arch9wavefront6targetE1EEEvT1_
                                        ; -- End function
	.section	.AMDGPU.csdata,"",@progbits
; Kernel info:
; codeLenInByte = 0
; NumSgprs: 6
; NumVgprs: 0
; NumAgprs: 0
; TotalNumVgprs: 0
; ScratchSize: 0
; MemoryBound: 0
; FloatMode: 240
; IeeeMode: 1
; LDSByteSize: 0 bytes/workgroup (compile time only)
; SGPRBlocks: 0
; VGPRBlocks: 0
; NumSGPRsForWavesPerEU: 6
; NumVGPRsForWavesPerEU: 1
; AccumOffset: 4
; Occupancy: 8
; WaveLimiterHint : 0
; COMPUTE_PGM_RSRC2:SCRATCH_EN: 0
; COMPUTE_PGM_RSRC2:USER_SGPR: 2
; COMPUTE_PGM_RSRC2:TRAP_HANDLER: 0
; COMPUTE_PGM_RSRC2:TGID_X_EN: 1
; COMPUTE_PGM_RSRC2:TGID_Y_EN: 0
; COMPUTE_PGM_RSRC2:TGID_Z_EN: 0
; COMPUTE_PGM_RSRC2:TIDIG_COMP_CNT: 0
; COMPUTE_PGM_RSRC3_GFX90A:ACCUM_OFFSET: 0
; COMPUTE_PGM_RSRC3_GFX90A:TG_SPLIT: 0
	.section	.text._ZN7rocprim17ROCPRIM_400000_NS6detail17trampoline_kernelINS0_14default_configENS1_27scan_by_key_config_selectorIiiEEZZNS1_16scan_by_key_implILNS1_25lookback_scan_determinismE0ELb0ES3_N6thrust23THRUST_200600_302600_NS6detail15normal_iteratorINS9_10device_ptrIiEEEESE_SE_iNS9_10multipliesIiEENS9_8equal_toIiEEiEE10hipError_tPvRmT2_T3_T4_T5_mT6_T7_P12ihipStream_tbENKUlT_T0_E_clISt17integral_constantIbLb1EESY_IbLb0EEEEDaSU_SV_EUlSU_E_NS1_11comp_targetILNS1_3genE0ELNS1_11target_archE4294967295ELNS1_3gpuE0ELNS1_3repE0EEENS1_30default_config_static_selectorELNS0_4arch9wavefront6targetE1EEEvT1_,"axG",@progbits,_ZN7rocprim17ROCPRIM_400000_NS6detail17trampoline_kernelINS0_14default_configENS1_27scan_by_key_config_selectorIiiEEZZNS1_16scan_by_key_implILNS1_25lookback_scan_determinismE0ELb0ES3_N6thrust23THRUST_200600_302600_NS6detail15normal_iteratorINS9_10device_ptrIiEEEESE_SE_iNS9_10multipliesIiEENS9_8equal_toIiEEiEE10hipError_tPvRmT2_T3_T4_T5_mT6_T7_P12ihipStream_tbENKUlT_T0_E_clISt17integral_constantIbLb1EESY_IbLb0EEEEDaSU_SV_EUlSU_E_NS1_11comp_targetILNS1_3genE0ELNS1_11target_archE4294967295ELNS1_3gpuE0ELNS1_3repE0EEENS1_30default_config_static_selectorELNS0_4arch9wavefront6targetE1EEEvT1_,comdat
	.protected	_ZN7rocprim17ROCPRIM_400000_NS6detail17trampoline_kernelINS0_14default_configENS1_27scan_by_key_config_selectorIiiEEZZNS1_16scan_by_key_implILNS1_25lookback_scan_determinismE0ELb0ES3_N6thrust23THRUST_200600_302600_NS6detail15normal_iteratorINS9_10device_ptrIiEEEESE_SE_iNS9_10multipliesIiEENS9_8equal_toIiEEiEE10hipError_tPvRmT2_T3_T4_T5_mT6_T7_P12ihipStream_tbENKUlT_T0_E_clISt17integral_constantIbLb1EESY_IbLb0EEEEDaSU_SV_EUlSU_E_NS1_11comp_targetILNS1_3genE0ELNS1_11target_archE4294967295ELNS1_3gpuE0ELNS1_3repE0EEENS1_30default_config_static_selectorELNS0_4arch9wavefront6targetE1EEEvT1_ ; -- Begin function _ZN7rocprim17ROCPRIM_400000_NS6detail17trampoline_kernelINS0_14default_configENS1_27scan_by_key_config_selectorIiiEEZZNS1_16scan_by_key_implILNS1_25lookback_scan_determinismE0ELb0ES3_N6thrust23THRUST_200600_302600_NS6detail15normal_iteratorINS9_10device_ptrIiEEEESE_SE_iNS9_10multipliesIiEENS9_8equal_toIiEEiEE10hipError_tPvRmT2_T3_T4_T5_mT6_T7_P12ihipStream_tbENKUlT_T0_E_clISt17integral_constantIbLb1EESY_IbLb0EEEEDaSU_SV_EUlSU_E_NS1_11comp_targetILNS1_3genE0ELNS1_11target_archE4294967295ELNS1_3gpuE0ELNS1_3repE0EEENS1_30default_config_static_selectorELNS0_4arch9wavefront6targetE1EEEvT1_
	.globl	_ZN7rocprim17ROCPRIM_400000_NS6detail17trampoline_kernelINS0_14default_configENS1_27scan_by_key_config_selectorIiiEEZZNS1_16scan_by_key_implILNS1_25lookback_scan_determinismE0ELb0ES3_N6thrust23THRUST_200600_302600_NS6detail15normal_iteratorINS9_10device_ptrIiEEEESE_SE_iNS9_10multipliesIiEENS9_8equal_toIiEEiEE10hipError_tPvRmT2_T3_T4_T5_mT6_T7_P12ihipStream_tbENKUlT_T0_E_clISt17integral_constantIbLb1EESY_IbLb0EEEEDaSU_SV_EUlSU_E_NS1_11comp_targetILNS1_3genE0ELNS1_11target_archE4294967295ELNS1_3gpuE0ELNS1_3repE0EEENS1_30default_config_static_selectorELNS0_4arch9wavefront6targetE1EEEvT1_
	.p2align	8
	.type	_ZN7rocprim17ROCPRIM_400000_NS6detail17trampoline_kernelINS0_14default_configENS1_27scan_by_key_config_selectorIiiEEZZNS1_16scan_by_key_implILNS1_25lookback_scan_determinismE0ELb0ES3_N6thrust23THRUST_200600_302600_NS6detail15normal_iteratorINS9_10device_ptrIiEEEESE_SE_iNS9_10multipliesIiEENS9_8equal_toIiEEiEE10hipError_tPvRmT2_T3_T4_T5_mT6_T7_P12ihipStream_tbENKUlT_T0_E_clISt17integral_constantIbLb1EESY_IbLb0EEEEDaSU_SV_EUlSU_E_NS1_11comp_targetILNS1_3genE0ELNS1_11target_archE4294967295ELNS1_3gpuE0ELNS1_3repE0EEENS1_30default_config_static_selectorELNS0_4arch9wavefront6targetE1EEEvT1_,@function
_ZN7rocprim17ROCPRIM_400000_NS6detail17trampoline_kernelINS0_14default_configENS1_27scan_by_key_config_selectorIiiEEZZNS1_16scan_by_key_implILNS1_25lookback_scan_determinismE0ELb0ES3_N6thrust23THRUST_200600_302600_NS6detail15normal_iteratorINS9_10device_ptrIiEEEESE_SE_iNS9_10multipliesIiEENS9_8equal_toIiEEiEE10hipError_tPvRmT2_T3_T4_T5_mT6_T7_P12ihipStream_tbENKUlT_T0_E_clISt17integral_constantIbLb1EESY_IbLb0EEEEDaSU_SV_EUlSU_E_NS1_11comp_targetILNS1_3genE0ELNS1_11target_archE4294967295ELNS1_3gpuE0ELNS1_3repE0EEENS1_30default_config_static_selectorELNS0_4arch9wavefront6targetE1EEEvT1_: ; @_ZN7rocprim17ROCPRIM_400000_NS6detail17trampoline_kernelINS0_14default_configENS1_27scan_by_key_config_selectorIiiEEZZNS1_16scan_by_key_implILNS1_25lookback_scan_determinismE0ELb0ES3_N6thrust23THRUST_200600_302600_NS6detail15normal_iteratorINS9_10device_ptrIiEEEESE_SE_iNS9_10multipliesIiEENS9_8equal_toIiEEiEE10hipError_tPvRmT2_T3_T4_T5_mT6_T7_P12ihipStream_tbENKUlT_T0_E_clISt17integral_constantIbLb1EESY_IbLb0EEEEDaSU_SV_EUlSU_E_NS1_11comp_targetILNS1_3genE0ELNS1_11target_archE4294967295ELNS1_3gpuE0ELNS1_3repE0EEENS1_30default_config_static_selectorELNS0_4arch9wavefront6targetE1EEEvT1_
; %bb.0:
	.section	.rodata,"a",@progbits
	.p2align	6, 0x0
	.amdhsa_kernel _ZN7rocprim17ROCPRIM_400000_NS6detail17trampoline_kernelINS0_14default_configENS1_27scan_by_key_config_selectorIiiEEZZNS1_16scan_by_key_implILNS1_25lookback_scan_determinismE0ELb0ES3_N6thrust23THRUST_200600_302600_NS6detail15normal_iteratorINS9_10device_ptrIiEEEESE_SE_iNS9_10multipliesIiEENS9_8equal_toIiEEiEE10hipError_tPvRmT2_T3_T4_T5_mT6_T7_P12ihipStream_tbENKUlT_T0_E_clISt17integral_constantIbLb1EESY_IbLb0EEEEDaSU_SV_EUlSU_E_NS1_11comp_targetILNS1_3genE0ELNS1_11target_archE4294967295ELNS1_3gpuE0ELNS1_3repE0EEENS1_30default_config_static_selectorELNS0_4arch9wavefront6targetE1EEEvT1_
		.amdhsa_group_segment_fixed_size 0
		.amdhsa_private_segment_fixed_size 0
		.amdhsa_kernarg_size 112
		.amdhsa_user_sgpr_count 2
		.amdhsa_user_sgpr_dispatch_ptr 0
		.amdhsa_user_sgpr_queue_ptr 0
		.amdhsa_user_sgpr_kernarg_segment_ptr 1
		.amdhsa_user_sgpr_dispatch_id 0
		.amdhsa_user_sgpr_kernarg_preload_length 0
		.amdhsa_user_sgpr_kernarg_preload_offset 0
		.amdhsa_user_sgpr_private_segment_size 0
		.amdhsa_uses_dynamic_stack 0
		.amdhsa_enable_private_segment 0
		.amdhsa_system_sgpr_workgroup_id_x 1
		.amdhsa_system_sgpr_workgroup_id_y 0
		.amdhsa_system_sgpr_workgroup_id_z 0
		.amdhsa_system_sgpr_workgroup_info 0
		.amdhsa_system_vgpr_workitem_id 0
		.amdhsa_next_free_vgpr 1
		.amdhsa_next_free_sgpr 0
		.amdhsa_accum_offset 4
		.amdhsa_reserve_vcc 0
		.amdhsa_float_round_mode_32 0
		.amdhsa_float_round_mode_16_64 0
		.amdhsa_float_denorm_mode_32 3
		.amdhsa_float_denorm_mode_16_64 3
		.amdhsa_dx10_clamp 1
		.amdhsa_ieee_mode 1
		.amdhsa_fp16_overflow 0
		.amdhsa_tg_split 0
		.amdhsa_exception_fp_ieee_invalid_op 0
		.amdhsa_exception_fp_denorm_src 0
		.amdhsa_exception_fp_ieee_div_zero 0
		.amdhsa_exception_fp_ieee_overflow 0
		.amdhsa_exception_fp_ieee_underflow 0
		.amdhsa_exception_fp_ieee_inexact 0
		.amdhsa_exception_int_div_zero 0
	.end_amdhsa_kernel
	.section	.text._ZN7rocprim17ROCPRIM_400000_NS6detail17trampoline_kernelINS0_14default_configENS1_27scan_by_key_config_selectorIiiEEZZNS1_16scan_by_key_implILNS1_25lookback_scan_determinismE0ELb0ES3_N6thrust23THRUST_200600_302600_NS6detail15normal_iteratorINS9_10device_ptrIiEEEESE_SE_iNS9_10multipliesIiEENS9_8equal_toIiEEiEE10hipError_tPvRmT2_T3_T4_T5_mT6_T7_P12ihipStream_tbENKUlT_T0_E_clISt17integral_constantIbLb1EESY_IbLb0EEEEDaSU_SV_EUlSU_E_NS1_11comp_targetILNS1_3genE0ELNS1_11target_archE4294967295ELNS1_3gpuE0ELNS1_3repE0EEENS1_30default_config_static_selectorELNS0_4arch9wavefront6targetE1EEEvT1_,"axG",@progbits,_ZN7rocprim17ROCPRIM_400000_NS6detail17trampoline_kernelINS0_14default_configENS1_27scan_by_key_config_selectorIiiEEZZNS1_16scan_by_key_implILNS1_25lookback_scan_determinismE0ELb0ES3_N6thrust23THRUST_200600_302600_NS6detail15normal_iteratorINS9_10device_ptrIiEEEESE_SE_iNS9_10multipliesIiEENS9_8equal_toIiEEiEE10hipError_tPvRmT2_T3_T4_T5_mT6_T7_P12ihipStream_tbENKUlT_T0_E_clISt17integral_constantIbLb1EESY_IbLb0EEEEDaSU_SV_EUlSU_E_NS1_11comp_targetILNS1_3genE0ELNS1_11target_archE4294967295ELNS1_3gpuE0ELNS1_3repE0EEENS1_30default_config_static_selectorELNS0_4arch9wavefront6targetE1EEEvT1_,comdat
.Lfunc_end182:
	.size	_ZN7rocprim17ROCPRIM_400000_NS6detail17trampoline_kernelINS0_14default_configENS1_27scan_by_key_config_selectorIiiEEZZNS1_16scan_by_key_implILNS1_25lookback_scan_determinismE0ELb0ES3_N6thrust23THRUST_200600_302600_NS6detail15normal_iteratorINS9_10device_ptrIiEEEESE_SE_iNS9_10multipliesIiEENS9_8equal_toIiEEiEE10hipError_tPvRmT2_T3_T4_T5_mT6_T7_P12ihipStream_tbENKUlT_T0_E_clISt17integral_constantIbLb1EESY_IbLb0EEEEDaSU_SV_EUlSU_E_NS1_11comp_targetILNS1_3genE0ELNS1_11target_archE4294967295ELNS1_3gpuE0ELNS1_3repE0EEENS1_30default_config_static_selectorELNS0_4arch9wavefront6targetE1EEEvT1_, .Lfunc_end182-_ZN7rocprim17ROCPRIM_400000_NS6detail17trampoline_kernelINS0_14default_configENS1_27scan_by_key_config_selectorIiiEEZZNS1_16scan_by_key_implILNS1_25lookback_scan_determinismE0ELb0ES3_N6thrust23THRUST_200600_302600_NS6detail15normal_iteratorINS9_10device_ptrIiEEEESE_SE_iNS9_10multipliesIiEENS9_8equal_toIiEEiEE10hipError_tPvRmT2_T3_T4_T5_mT6_T7_P12ihipStream_tbENKUlT_T0_E_clISt17integral_constantIbLb1EESY_IbLb0EEEEDaSU_SV_EUlSU_E_NS1_11comp_targetILNS1_3genE0ELNS1_11target_archE4294967295ELNS1_3gpuE0ELNS1_3repE0EEENS1_30default_config_static_selectorELNS0_4arch9wavefront6targetE1EEEvT1_
                                        ; -- End function
	.section	.AMDGPU.csdata,"",@progbits
; Kernel info:
; codeLenInByte = 0
; NumSgprs: 6
; NumVgprs: 0
; NumAgprs: 0
; TotalNumVgprs: 0
; ScratchSize: 0
; MemoryBound: 0
; FloatMode: 240
; IeeeMode: 1
; LDSByteSize: 0 bytes/workgroup (compile time only)
; SGPRBlocks: 0
; VGPRBlocks: 0
; NumSGPRsForWavesPerEU: 6
; NumVGPRsForWavesPerEU: 1
; AccumOffset: 4
; Occupancy: 8
; WaveLimiterHint : 0
; COMPUTE_PGM_RSRC2:SCRATCH_EN: 0
; COMPUTE_PGM_RSRC2:USER_SGPR: 2
; COMPUTE_PGM_RSRC2:TRAP_HANDLER: 0
; COMPUTE_PGM_RSRC2:TGID_X_EN: 1
; COMPUTE_PGM_RSRC2:TGID_Y_EN: 0
; COMPUTE_PGM_RSRC2:TGID_Z_EN: 0
; COMPUTE_PGM_RSRC2:TIDIG_COMP_CNT: 0
; COMPUTE_PGM_RSRC3_GFX90A:ACCUM_OFFSET: 0
; COMPUTE_PGM_RSRC3_GFX90A:TG_SPLIT: 0
	.section	.text._ZN7rocprim17ROCPRIM_400000_NS6detail17trampoline_kernelINS0_14default_configENS1_27scan_by_key_config_selectorIiiEEZZNS1_16scan_by_key_implILNS1_25lookback_scan_determinismE0ELb0ES3_N6thrust23THRUST_200600_302600_NS6detail15normal_iteratorINS9_10device_ptrIiEEEESE_SE_iNS9_10multipliesIiEENS9_8equal_toIiEEiEE10hipError_tPvRmT2_T3_T4_T5_mT6_T7_P12ihipStream_tbENKUlT_T0_E_clISt17integral_constantIbLb1EESY_IbLb0EEEEDaSU_SV_EUlSU_E_NS1_11comp_targetILNS1_3genE10ELNS1_11target_archE1201ELNS1_3gpuE5ELNS1_3repE0EEENS1_30default_config_static_selectorELNS0_4arch9wavefront6targetE1EEEvT1_,"axG",@progbits,_ZN7rocprim17ROCPRIM_400000_NS6detail17trampoline_kernelINS0_14default_configENS1_27scan_by_key_config_selectorIiiEEZZNS1_16scan_by_key_implILNS1_25lookback_scan_determinismE0ELb0ES3_N6thrust23THRUST_200600_302600_NS6detail15normal_iteratorINS9_10device_ptrIiEEEESE_SE_iNS9_10multipliesIiEENS9_8equal_toIiEEiEE10hipError_tPvRmT2_T3_T4_T5_mT6_T7_P12ihipStream_tbENKUlT_T0_E_clISt17integral_constantIbLb1EESY_IbLb0EEEEDaSU_SV_EUlSU_E_NS1_11comp_targetILNS1_3genE10ELNS1_11target_archE1201ELNS1_3gpuE5ELNS1_3repE0EEENS1_30default_config_static_selectorELNS0_4arch9wavefront6targetE1EEEvT1_,comdat
	.protected	_ZN7rocprim17ROCPRIM_400000_NS6detail17trampoline_kernelINS0_14default_configENS1_27scan_by_key_config_selectorIiiEEZZNS1_16scan_by_key_implILNS1_25lookback_scan_determinismE0ELb0ES3_N6thrust23THRUST_200600_302600_NS6detail15normal_iteratorINS9_10device_ptrIiEEEESE_SE_iNS9_10multipliesIiEENS9_8equal_toIiEEiEE10hipError_tPvRmT2_T3_T4_T5_mT6_T7_P12ihipStream_tbENKUlT_T0_E_clISt17integral_constantIbLb1EESY_IbLb0EEEEDaSU_SV_EUlSU_E_NS1_11comp_targetILNS1_3genE10ELNS1_11target_archE1201ELNS1_3gpuE5ELNS1_3repE0EEENS1_30default_config_static_selectorELNS0_4arch9wavefront6targetE1EEEvT1_ ; -- Begin function _ZN7rocprim17ROCPRIM_400000_NS6detail17trampoline_kernelINS0_14default_configENS1_27scan_by_key_config_selectorIiiEEZZNS1_16scan_by_key_implILNS1_25lookback_scan_determinismE0ELb0ES3_N6thrust23THRUST_200600_302600_NS6detail15normal_iteratorINS9_10device_ptrIiEEEESE_SE_iNS9_10multipliesIiEENS9_8equal_toIiEEiEE10hipError_tPvRmT2_T3_T4_T5_mT6_T7_P12ihipStream_tbENKUlT_T0_E_clISt17integral_constantIbLb1EESY_IbLb0EEEEDaSU_SV_EUlSU_E_NS1_11comp_targetILNS1_3genE10ELNS1_11target_archE1201ELNS1_3gpuE5ELNS1_3repE0EEENS1_30default_config_static_selectorELNS0_4arch9wavefront6targetE1EEEvT1_
	.globl	_ZN7rocprim17ROCPRIM_400000_NS6detail17trampoline_kernelINS0_14default_configENS1_27scan_by_key_config_selectorIiiEEZZNS1_16scan_by_key_implILNS1_25lookback_scan_determinismE0ELb0ES3_N6thrust23THRUST_200600_302600_NS6detail15normal_iteratorINS9_10device_ptrIiEEEESE_SE_iNS9_10multipliesIiEENS9_8equal_toIiEEiEE10hipError_tPvRmT2_T3_T4_T5_mT6_T7_P12ihipStream_tbENKUlT_T0_E_clISt17integral_constantIbLb1EESY_IbLb0EEEEDaSU_SV_EUlSU_E_NS1_11comp_targetILNS1_3genE10ELNS1_11target_archE1201ELNS1_3gpuE5ELNS1_3repE0EEENS1_30default_config_static_selectorELNS0_4arch9wavefront6targetE1EEEvT1_
	.p2align	8
	.type	_ZN7rocprim17ROCPRIM_400000_NS6detail17trampoline_kernelINS0_14default_configENS1_27scan_by_key_config_selectorIiiEEZZNS1_16scan_by_key_implILNS1_25lookback_scan_determinismE0ELb0ES3_N6thrust23THRUST_200600_302600_NS6detail15normal_iteratorINS9_10device_ptrIiEEEESE_SE_iNS9_10multipliesIiEENS9_8equal_toIiEEiEE10hipError_tPvRmT2_T3_T4_T5_mT6_T7_P12ihipStream_tbENKUlT_T0_E_clISt17integral_constantIbLb1EESY_IbLb0EEEEDaSU_SV_EUlSU_E_NS1_11comp_targetILNS1_3genE10ELNS1_11target_archE1201ELNS1_3gpuE5ELNS1_3repE0EEENS1_30default_config_static_selectorELNS0_4arch9wavefront6targetE1EEEvT1_,@function
_ZN7rocprim17ROCPRIM_400000_NS6detail17trampoline_kernelINS0_14default_configENS1_27scan_by_key_config_selectorIiiEEZZNS1_16scan_by_key_implILNS1_25lookback_scan_determinismE0ELb0ES3_N6thrust23THRUST_200600_302600_NS6detail15normal_iteratorINS9_10device_ptrIiEEEESE_SE_iNS9_10multipliesIiEENS9_8equal_toIiEEiEE10hipError_tPvRmT2_T3_T4_T5_mT6_T7_P12ihipStream_tbENKUlT_T0_E_clISt17integral_constantIbLb1EESY_IbLb0EEEEDaSU_SV_EUlSU_E_NS1_11comp_targetILNS1_3genE10ELNS1_11target_archE1201ELNS1_3gpuE5ELNS1_3repE0EEENS1_30default_config_static_selectorELNS0_4arch9wavefront6targetE1EEEvT1_: ; @_ZN7rocprim17ROCPRIM_400000_NS6detail17trampoline_kernelINS0_14default_configENS1_27scan_by_key_config_selectorIiiEEZZNS1_16scan_by_key_implILNS1_25lookback_scan_determinismE0ELb0ES3_N6thrust23THRUST_200600_302600_NS6detail15normal_iteratorINS9_10device_ptrIiEEEESE_SE_iNS9_10multipliesIiEENS9_8equal_toIiEEiEE10hipError_tPvRmT2_T3_T4_T5_mT6_T7_P12ihipStream_tbENKUlT_T0_E_clISt17integral_constantIbLb1EESY_IbLb0EEEEDaSU_SV_EUlSU_E_NS1_11comp_targetILNS1_3genE10ELNS1_11target_archE1201ELNS1_3gpuE5ELNS1_3repE0EEENS1_30default_config_static_selectorELNS0_4arch9wavefront6targetE1EEEvT1_
; %bb.0:
	.section	.rodata,"a",@progbits
	.p2align	6, 0x0
	.amdhsa_kernel _ZN7rocprim17ROCPRIM_400000_NS6detail17trampoline_kernelINS0_14default_configENS1_27scan_by_key_config_selectorIiiEEZZNS1_16scan_by_key_implILNS1_25lookback_scan_determinismE0ELb0ES3_N6thrust23THRUST_200600_302600_NS6detail15normal_iteratorINS9_10device_ptrIiEEEESE_SE_iNS9_10multipliesIiEENS9_8equal_toIiEEiEE10hipError_tPvRmT2_T3_T4_T5_mT6_T7_P12ihipStream_tbENKUlT_T0_E_clISt17integral_constantIbLb1EESY_IbLb0EEEEDaSU_SV_EUlSU_E_NS1_11comp_targetILNS1_3genE10ELNS1_11target_archE1201ELNS1_3gpuE5ELNS1_3repE0EEENS1_30default_config_static_selectorELNS0_4arch9wavefront6targetE1EEEvT1_
		.amdhsa_group_segment_fixed_size 0
		.amdhsa_private_segment_fixed_size 0
		.amdhsa_kernarg_size 112
		.amdhsa_user_sgpr_count 2
		.amdhsa_user_sgpr_dispatch_ptr 0
		.amdhsa_user_sgpr_queue_ptr 0
		.amdhsa_user_sgpr_kernarg_segment_ptr 1
		.amdhsa_user_sgpr_dispatch_id 0
		.amdhsa_user_sgpr_kernarg_preload_length 0
		.amdhsa_user_sgpr_kernarg_preload_offset 0
		.amdhsa_user_sgpr_private_segment_size 0
		.amdhsa_uses_dynamic_stack 0
		.amdhsa_enable_private_segment 0
		.amdhsa_system_sgpr_workgroup_id_x 1
		.amdhsa_system_sgpr_workgroup_id_y 0
		.amdhsa_system_sgpr_workgroup_id_z 0
		.amdhsa_system_sgpr_workgroup_info 0
		.amdhsa_system_vgpr_workitem_id 0
		.amdhsa_next_free_vgpr 1
		.amdhsa_next_free_sgpr 0
		.amdhsa_accum_offset 4
		.amdhsa_reserve_vcc 0
		.amdhsa_float_round_mode_32 0
		.amdhsa_float_round_mode_16_64 0
		.amdhsa_float_denorm_mode_32 3
		.amdhsa_float_denorm_mode_16_64 3
		.amdhsa_dx10_clamp 1
		.amdhsa_ieee_mode 1
		.amdhsa_fp16_overflow 0
		.amdhsa_tg_split 0
		.amdhsa_exception_fp_ieee_invalid_op 0
		.amdhsa_exception_fp_denorm_src 0
		.amdhsa_exception_fp_ieee_div_zero 0
		.amdhsa_exception_fp_ieee_overflow 0
		.amdhsa_exception_fp_ieee_underflow 0
		.amdhsa_exception_fp_ieee_inexact 0
		.amdhsa_exception_int_div_zero 0
	.end_amdhsa_kernel
	.section	.text._ZN7rocprim17ROCPRIM_400000_NS6detail17trampoline_kernelINS0_14default_configENS1_27scan_by_key_config_selectorIiiEEZZNS1_16scan_by_key_implILNS1_25lookback_scan_determinismE0ELb0ES3_N6thrust23THRUST_200600_302600_NS6detail15normal_iteratorINS9_10device_ptrIiEEEESE_SE_iNS9_10multipliesIiEENS9_8equal_toIiEEiEE10hipError_tPvRmT2_T3_T4_T5_mT6_T7_P12ihipStream_tbENKUlT_T0_E_clISt17integral_constantIbLb1EESY_IbLb0EEEEDaSU_SV_EUlSU_E_NS1_11comp_targetILNS1_3genE10ELNS1_11target_archE1201ELNS1_3gpuE5ELNS1_3repE0EEENS1_30default_config_static_selectorELNS0_4arch9wavefront6targetE1EEEvT1_,"axG",@progbits,_ZN7rocprim17ROCPRIM_400000_NS6detail17trampoline_kernelINS0_14default_configENS1_27scan_by_key_config_selectorIiiEEZZNS1_16scan_by_key_implILNS1_25lookback_scan_determinismE0ELb0ES3_N6thrust23THRUST_200600_302600_NS6detail15normal_iteratorINS9_10device_ptrIiEEEESE_SE_iNS9_10multipliesIiEENS9_8equal_toIiEEiEE10hipError_tPvRmT2_T3_T4_T5_mT6_T7_P12ihipStream_tbENKUlT_T0_E_clISt17integral_constantIbLb1EESY_IbLb0EEEEDaSU_SV_EUlSU_E_NS1_11comp_targetILNS1_3genE10ELNS1_11target_archE1201ELNS1_3gpuE5ELNS1_3repE0EEENS1_30default_config_static_selectorELNS0_4arch9wavefront6targetE1EEEvT1_,comdat
.Lfunc_end183:
	.size	_ZN7rocprim17ROCPRIM_400000_NS6detail17trampoline_kernelINS0_14default_configENS1_27scan_by_key_config_selectorIiiEEZZNS1_16scan_by_key_implILNS1_25lookback_scan_determinismE0ELb0ES3_N6thrust23THRUST_200600_302600_NS6detail15normal_iteratorINS9_10device_ptrIiEEEESE_SE_iNS9_10multipliesIiEENS9_8equal_toIiEEiEE10hipError_tPvRmT2_T3_T4_T5_mT6_T7_P12ihipStream_tbENKUlT_T0_E_clISt17integral_constantIbLb1EESY_IbLb0EEEEDaSU_SV_EUlSU_E_NS1_11comp_targetILNS1_3genE10ELNS1_11target_archE1201ELNS1_3gpuE5ELNS1_3repE0EEENS1_30default_config_static_selectorELNS0_4arch9wavefront6targetE1EEEvT1_, .Lfunc_end183-_ZN7rocprim17ROCPRIM_400000_NS6detail17trampoline_kernelINS0_14default_configENS1_27scan_by_key_config_selectorIiiEEZZNS1_16scan_by_key_implILNS1_25lookback_scan_determinismE0ELb0ES3_N6thrust23THRUST_200600_302600_NS6detail15normal_iteratorINS9_10device_ptrIiEEEESE_SE_iNS9_10multipliesIiEENS9_8equal_toIiEEiEE10hipError_tPvRmT2_T3_T4_T5_mT6_T7_P12ihipStream_tbENKUlT_T0_E_clISt17integral_constantIbLb1EESY_IbLb0EEEEDaSU_SV_EUlSU_E_NS1_11comp_targetILNS1_3genE10ELNS1_11target_archE1201ELNS1_3gpuE5ELNS1_3repE0EEENS1_30default_config_static_selectorELNS0_4arch9wavefront6targetE1EEEvT1_
                                        ; -- End function
	.section	.AMDGPU.csdata,"",@progbits
; Kernel info:
; codeLenInByte = 0
; NumSgprs: 6
; NumVgprs: 0
; NumAgprs: 0
; TotalNumVgprs: 0
; ScratchSize: 0
; MemoryBound: 0
; FloatMode: 240
; IeeeMode: 1
; LDSByteSize: 0 bytes/workgroup (compile time only)
; SGPRBlocks: 0
; VGPRBlocks: 0
; NumSGPRsForWavesPerEU: 6
; NumVGPRsForWavesPerEU: 1
; AccumOffset: 4
; Occupancy: 8
; WaveLimiterHint : 0
; COMPUTE_PGM_RSRC2:SCRATCH_EN: 0
; COMPUTE_PGM_RSRC2:USER_SGPR: 2
; COMPUTE_PGM_RSRC2:TRAP_HANDLER: 0
; COMPUTE_PGM_RSRC2:TGID_X_EN: 1
; COMPUTE_PGM_RSRC2:TGID_Y_EN: 0
; COMPUTE_PGM_RSRC2:TGID_Z_EN: 0
; COMPUTE_PGM_RSRC2:TIDIG_COMP_CNT: 0
; COMPUTE_PGM_RSRC3_GFX90A:ACCUM_OFFSET: 0
; COMPUTE_PGM_RSRC3_GFX90A:TG_SPLIT: 0
	.section	.text._ZN7rocprim17ROCPRIM_400000_NS6detail17trampoline_kernelINS0_14default_configENS1_27scan_by_key_config_selectorIiiEEZZNS1_16scan_by_key_implILNS1_25lookback_scan_determinismE0ELb0ES3_N6thrust23THRUST_200600_302600_NS6detail15normal_iteratorINS9_10device_ptrIiEEEESE_SE_iNS9_10multipliesIiEENS9_8equal_toIiEEiEE10hipError_tPvRmT2_T3_T4_T5_mT6_T7_P12ihipStream_tbENKUlT_T0_E_clISt17integral_constantIbLb1EESY_IbLb0EEEEDaSU_SV_EUlSU_E_NS1_11comp_targetILNS1_3genE5ELNS1_11target_archE942ELNS1_3gpuE9ELNS1_3repE0EEENS1_30default_config_static_selectorELNS0_4arch9wavefront6targetE1EEEvT1_,"axG",@progbits,_ZN7rocprim17ROCPRIM_400000_NS6detail17trampoline_kernelINS0_14default_configENS1_27scan_by_key_config_selectorIiiEEZZNS1_16scan_by_key_implILNS1_25lookback_scan_determinismE0ELb0ES3_N6thrust23THRUST_200600_302600_NS6detail15normal_iteratorINS9_10device_ptrIiEEEESE_SE_iNS9_10multipliesIiEENS9_8equal_toIiEEiEE10hipError_tPvRmT2_T3_T4_T5_mT6_T7_P12ihipStream_tbENKUlT_T0_E_clISt17integral_constantIbLb1EESY_IbLb0EEEEDaSU_SV_EUlSU_E_NS1_11comp_targetILNS1_3genE5ELNS1_11target_archE942ELNS1_3gpuE9ELNS1_3repE0EEENS1_30default_config_static_selectorELNS0_4arch9wavefront6targetE1EEEvT1_,comdat
	.protected	_ZN7rocprim17ROCPRIM_400000_NS6detail17trampoline_kernelINS0_14default_configENS1_27scan_by_key_config_selectorIiiEEZZNS1_16scan_by_key_implILNS1_25lookback_scan_determinismE0ELb0ES3_N6thrust23THRUST_200600_302600_NS6detail15normal_iteratorINS9_10device_ptrIiEEEESE_SE_iNS9_10multipliesIiEENS9_8equal_toIiEEiEE10hipError_tPvRmT2_T3_T4_T5_mT6_T7_P12ihipStream_tbENKUlT_T0_E_clISt17integral_constantIbLb1EESY_IbLb0EEEEDaSU_SV_EUlSU_E_NS1_11comp_targetILNS1_3genE5ELNS1_11target_archE942ELNS1_3gpuE9ELNS1_3repE0EEENS1_30default_config_static_selectorELNS0_4arch9wavefront6targetE1EEEvT1_ ; -- Begin function _ZN7rocprim17ROCPRIM_400000_NS6detail17trampoline_kernelINS0_14default_configENS1_27scan_by_key_config_selectorIiiEEZZNS1_16scan_by_key_implILNS1_25lookback_scan_determinismE0ELb0ES3_N6thrust23THRUST_200600_302600_NS6detail15normal_iteratorINS9_10device_ptrIiEEEESE_SE_iNS9_10multipliesIiEENS9_8equal_toIiEEiEE10hipError_tPvRmT2_T3_T4_T5_mT6_T7_P12ihipStream_tbENKUlT_T0_E_clISt17integral_constantIbLb1EESY_IbLb0EEEEDaSU_SV_EUlSU_E_NS1_11comp_targetILNS1_3genE5ELNS1_11target_archE942ELNS1_3gpuE9ELNS1_3repE0EEENS1_30default_config_static_selectorELNS0_4arch9wavefront6targetE1EEEvT1_
	.globl	_ZN7rocprim17ROCPRIM_400000_NS6detail17trampoline_kernelINS0_14default_configENS1_27scan_by_key_config_selectorIiiEEZZNS1_16scan_by_key_implILNS1_25lookback_scan_determinismE0ELb0ES3_N6thrust23THRUST_200600_302600_NS6detail15normal_iteratorINS9_10device_ptrIiEEEESE_SE_iNS9_10multipliesIiEENS9_8equal_toIiEEiEE10hipError_tPvRmT2_T3_T4_T5_mT6_T7_P12ihipStream_tbENKUlT_T0_E_clISt17integral_constantIbLb1EESY_IbLb0EEEEDaSU_SV_EUlSU_E_NS1_11comp_targetILNS1_3genE5ELNS1_11target_archE942ELNS1_3gpuE9ELNS1_3repE0EEENS1_30default_config_static_selectorELNS0_4arch9wavefront6targetE1EEEvT1_
	.p2align	8
	.type	_ZN7rocprim17ROCPRIM_400000_NS6detail17trampoline_kernelINS0_14default_configENS1_27scan_by_key_config_selectorIiiEEZZNS1_16scan_by_key_implILNS1_25lookback_scan_determinismE0ELb0ES3_N6thrust23THRUST_200600_302600_NS6detail15normal_iteratorINS9_10device_ptrIiEEEESE_SE_iNS9_10multipliesIiEENS9_8equal_toIiEEiEE10hipError_tPvRmT2_T3_T4_T5_mT6_T7_P12ihipStream_tbENKUlT_T0_E_clISt17integral_constantIbLb1EESY_IbLb0EEEEDaSU_SV_EUlSU_E_NS1_11comp_targetILNS1_3genE5ELNS1_11target_archE942ELNS1_3gpuE9ELNS1_3repE0EEENS1_30default_config_static_selectorELNS0_4arch9wavefront6targetE1EEEvT1_,@function
_ZN7rocprim17ROCPRIM_400000_NS6detail17trampoline_kernelINS0_14default_configENS1_27scan_by_key_config_selectorIiiEEZZNS1_16scan_by_key_implILNS1_25lookback_scan_determinismE0ELb0ES3_N6thrust23THRUST_200600_302600_NS6detail15normal_iteratorINS9_10device_ptrIiEEEESE_SE_iNS9_10multipliesIiEENS9_8equal_toIiEEiEE10hipError_tPvRmT2_T3_T4_T5_mT6_T7_P12ihipStream_tbENKUlT_T0_E_clISt17integral_constantIbLb1EESY_IbLb0EEEEDaSU_SV_EUlSU_E_NS1_11comp_targetILNS1_3genE5ELNS1_11target_archE942ELNS1_3gpuE9ELNS1_3repE0EEENS1_30default_config_static_selectorELNS0_4arch9wavefront6targetE1EEEvT1_: ; @_ZN7rocprim17ROCPRIM_400000_NS6detail17trampoline_kernelINS0_14default_configENS1_27scan_by_key_config_selectorIiiEEZZNS1_16scan_by_key_implILNS1_25lookback_scan_determinismE0ELb0ES3_N6thrust23THRUST_200600_302600_NS6detail15normal_iteratorINS9_10device_ptrIiEEEESE_SE_iNS9_10multipliesIiEENS9_8equal_toIiEEiEE10hipError_tPvRmT2_T3_T4_T5_mT6_T7_P12ihipStream_tbENKUlT_T0_E_clISt17integral_constantIbLb1EESY_IbLb0EEEEDaSU_SV_EUlSU_E_NS1_11comp_targetILNS1_3genE5ELNS1_11target_archE942ELNS1_3gpuE9ELNS1_3repE0EEENS1_30default_config_static_selectorELNS0_4arch9wavefront6targetE1EEEvT1_
; %bb.0:
	s_load_dwordx8 s[52:59], s[0:1], 0x0
	s_load_dwordx4 s[68:71], s[0:1], 0x28
	s_load_dwordx2 s[74:75], s[0:1], 0x38
	s_load_dword s3, s[0:1], 0x40
	s_load_dwordx8 s[60:67], s[0:1], 0x48
	s_waitcnt lgkmcnt(0)
	s_lshl_b64 s[72:73], s[54:55], 2
	s_add_u32 s4, s52, s72
	s_addc_u32 s5, s53, s73
	s_add_u32 s6, s56, s72
	s_mul_i32 s0, s75, s3
	s_mul_hi_u32 s1, s74, s3
	s_addc_u32 s7, s57, s73
	s_add_i32 s8, s1, s0
	s_cmp_lg_u64 s[64:65], 0
	s_mul_i32 s0, s2, 0x1700
	s_mov_b32 s1, 0
	s_cselect_b64 s[64:65], -1, 0
	s_lshl_b64 s[56:57], s[0:1], 2
	s_add_u32 s54, s4, s56
	s_addc_u32 s55, s5, s57
	s_add_u32 s52, s6, s56
	s_mul_i32 s3, s74, s3
	s_addc_u32 s53, s7, s57
	s_add_u32 s76, s3, s2
	s_addc_u32 s77, s8, 0
	s_add_u32 s4, s60, -1
	s_addc_u32 s5, s61, -1
	v_mov_b64_e32 v[2:3], s[4:5]
	v_cmp_ge_u64_e64 s[0:1], s[76:77], v[2:3]
	s_mov_b64 s[10:11], 0
	s_mov_b64 s[6:7], -1
	s_and_b64 vcc, exec, s[0:1]
	s_mul_i32 s33, s4, 0xffffe900
	s_barrier
	s_cbranch_vccz .LBB184_122
; %bb.1:
	v_mov_b64_e32 v[2:3], s[54:55]
	flat_load_dword v1, v[2:3]
	s_add_i32 s3, s33, s70
	v_cmp_gt_u32_e64 s[50:51], s3, v0
	s_waitcnt vmcnt(0) lgkmcnt(0)
	v_mov_b32_e32 v3, v1
	s_and_saveexec_b64 s[4:5], s[50:51]
	s_cbranch_execz .LBB184_3
; %bb.2:
	v_lshlrev_b32_e32 v2, 2, v0
	v_mov_b32_e32 v3, 0
	v_lshl_add_u64 v[2:3], s[54:55], 0, v[2:3]
	flat_load_dword v3, v[2:3]
.LBB184_3:
	s_or_b64 exec, exec, s[4:5]
	v_or_b32_e32 v2, 0x100, v0
	v_cmp_gt_u32_e64 s[4:5], s3, v2
	v_mov_b32_e32 v4, v1
	s_and_saveexec_b64 s[6:7], s[4:5]
	s_cbranch_execz .LBB184_5
; %bb.4:
	v_lshlrev_b32_e32 v4, 2, v0
	v_mov_b32_e32 v5, 0
	v_lshl_add_u64 v[4:5], s[54:55], 0, v[4:5]
	flat_load_dword v4, v[4:5] offset:1024
.LBB184_5:
	s_or_b64 exec, exec, s[6:7]
	v_or_b32_e32 v2, 0x200, v0
	v_cmp_gt_u32_e64 s[6:7], s3, v2
	v_mov_b32_e32 v5, v1
	s_and_saveexec_b64 s[8:9], s[6:7]
	s_cbranch_execz .LBB184_7
; %bb.6:
	v_lshlrev_b32_e32 v6, 2, v0
	v_mov_b32_e32 v7, 0
	v_lshl_add_u64 v[6:7], s[54:55], 0, v[6:7]
	flat_load_dword v5, v[6:7] offset:2048
.LBB184_7:
	;; [unrolled: 12-line block ×3, first 2 shown]
	s_or_b64 exec, exec, s[10:11]
	v_or_b32_e32 v10, 0x400, v0
	v_cmp_gt_u32_e64 s[10:11], s3, v10
	v_mov_b32_e32 v7, v1
	s_and_saveexec_b64 s[12:13], s[10:11]
	s_cbranch_execz .LBB184_11
; %bb.10:
	v_lshlrev_b32_e32 v8, 2, v10
	v_mov_b32_e32 v9, 0
	v_lshl_add_u64 v[8:9], s[54:55], 0, v[8:9]
	flat_load_dword v7, v[8:9]
.LBB184_11:
	s_or_b64 exec, exec, s[12:13]
	v_or_b32_e32 v11, 0x500, v0
	v_cmp_gt_u32_e64 s[12:13], s3, v11
	v_mov_b32_e32 v8, v1
	s_and_saveexec_b64 s[14:15], s[12:13]
	s_cbranch_execz .LBB184_13
; %bb.12:
	v_lshlrev_b32_e32 v8, 2, v11
	v_mov_b32_e32 v9, 0
	v_lshl_add_u64 v[8:9], s[54:55], 0, v[8:9]
	flat_load_dword v8, v[8:9]
.LBB184_13:
	;; [unrolled: 12-line block ×18, first 2 shown]
	s_or_b64 exec, exec, s[48:49]
	v_or_b32_e32 v28, 0x1600, v0
	v_cmp_gt_u32_e64 s[48:49], s3, v28
	s_and_saveexec_b64 s[60:61], s[48:49]
	s_cbranch_execz .LBB184_47
; %bb.46:
	v_lshlrev_b32_e32 v44, 2, v28
	v_mov_b32_e32 v45, 0
	v_lshl_add_u64 v[44:45], s[54:55], 0, v[44:45]
	flat_load_dword v1, v[44:45]
.LBB184_47:
	s_or_b64 exec, exec, s[60:61]
	v_lshlrev_b32_e32 v2, 2, v0
	s_movk_i32 s60, 0x58
	s_waitcnt vmcnt(0) lgkmcnt(0)
	ds_write2st64_b32 v2, v3, v4 offset1:4
	ds_write2st64_b32 v2, v5, v6 offset0:8 offset1:12
	ds_write2st64_b32 v2, v7, v8 offset0:16 offset1:20
	;; [unrolled: 1-line block ×10, first 2 shown]
	ds_write_b32 v2, v1 offset:22528
	v_mad_u32_u24 v1, v0, s60, v2
	s_waitcnt lgkmcnt(0)
	s_barrier
	ds_read2_b32 v[68:69], v1 offset1:1
	ds_read2_b32 v[66:67], v1 offset0:2 offset1:3
	ds_read2_b32 v[64:65], v1 offset0:4 offset1:5
	;; [unrolled: 1-line block ×10, first 2 shown]
	ds_read_b32 v72, v1 offset:88
	s_cmp_eq_u64 s[76:77], 0
	s_mov_b64 s[60:61], s[54:55]
	s_cbranch_scc1 .LBB184_51
; %bb.48:
	s_andn2_b64 vcc, exec, s[64:65]
	s_cbranch_vccnz .LBB184_297
; %bb.49:
	s_lshl_b64 s[60:61], s[76:77], 2
	s_add_u32 s60, s66, s60
	s_addc_u32 s61, s67, s61
	s_add_u32 s60, s60, -4
	s_addc_u32 s61, s61, -1
	s_cbranch_execnz .LBB184_51
.LBB184_50:
	s_add_u32 s60, s54, -4
	s_addc_u32 s61, s55, -1
.LBB184_51:
	v_mov_b64_e32 v[30:31], s[60:61]
	flat_load_dword v70, v[30:31]
	s_movk_i32 s60, 0xffa8
	v_mad_i32_i24 v3, v0, s60, v1
	v_cmp_ne_u32_e32 vcc, 0, v0
	s_waitcnt lgkmcnt(0)
	ds_write_b32 v3, v72 offset:23552
	s_waitcnt lgkmcnt(0)
	s_barrier
	s_and_saveexec_b64 s[60:61], vcc
	s_cbranch_execz .LBB184_53
; %bb.52:
	v_mul_i32_i24_e32 v3, 0xffffffa8, v0
	v_add_u32_e32 v3, v1, v3
	s_waitcnt vmcnt(0)
	ds_read_b32 v70, v3 offset:23548
.LBB184_53:
	s_or_b64 exec, exec, s[60:61]
	v_mov_b32_e32 v3, 0
	s_waitcnt lgkmcnt(0)
	s_barrier
	s_waitcnt lgkmcnt(0)
                                        ; implicit-def: $vgpr29
	s_and_saveexec_b64 s[60:61], s[50:51]
	s_cbranch_execnz .LBB184_273
; %bb.54:
	s_or_b64 exec, exec, s[60:61]
                                        ; implicit-def: $vgpr30
	s_and_saveexec_b64 s[50:51], s[4:5]
	s_cbranch_execnz .LBB184_274
.LBB184_55:
	s_or_b64 exec, exec, s[50:51]
                                        ; implicit-def: $vgpr31
	s_and_saveexec_b64 s[4:5], s[6:7]
	s_cbranch_execnz .LBB184_275
.LBB184_56:
	s_or_b64 exec, exec, s[4:5]
                                        ; implicit-def: $vgpr3
	s_and_saveexec_b64 s[4:5], s[8:9]
	s_cbranch_execnz .LBB184_276
.LBB184_57:
	s_or_b64 exec, exec, s[4:5]
                                        ; implicit-def: $vgpr32
	s_and_saveexec_b64 s[4:5], s[10:11]
	s_cbranch_execnz .LBB184_277
.LBB184_58:
	s_or_b64 exec, exec, s[4:5]
                                        ; implicit-def: $vgpr10
	s_and_saveexec_b64 s[4:5], s[12:13]
	s_cbranch_execnz .LBB184_278
.LBB184_59:
	s_or_b64 exec, exec, s[4:5]
                                        ; implicit-def: $vgpr11
	s_and_saveexec_b64 s[4:5], s[14:15]
	s_cbranch_execnz .LBB184_279
.LBB184_60:
	s_or_b64 exec, exec, s[4:5]
                                        ; implicit-def: $vgpr12
	s_and_saveexec_b64 s[4:5], s[16:17]
	s_cbranch_execnz .LBB184_280
.LBB184_61:
	s_or_b64 exec, exec, s[4:5]
                                        ; implicit-def: $vgpr13
	s_and_saveexec_b64 s[4:5], s[18:19]
	s_cbranch_execnz .LBB184_281
.LBB184_62:
	s_or_b64 exec, exec, s[4:5]
                                        ; implicit-def: $vgpr14
	s_and_saveexec_b64 s[4:5], s[20:21]
	s_cbranch_execnz .LBB184_282
.LBB184_63:
	s_or_b64 exec, exec, s[4:5]
                                        ; implicit-def: $vgpr15
	s_and_saveexec_b64 s[4:5], s[22:23]
	s_cbranch_execnz .LBB184_283
.LBB184_64:
	s_or_b64 exec, exec, s[4:5]
                                        ; implicit-def: $vgpr16
	s_and_saveexec_b64 s[4:5], s[24:25]
	s_cbranch_execnz .LBB184_284
.LBB184_65:
	s_or_b64 exec, exec, s[4:5]
                                        ; implicit-def: $vgpr17
	s_and_saveexec_b64 s[4:5], s[26:27]
	s_cbranch_execnz .LBB184_285
.LBB184_66:
	s_or_b64 exec, exec, s[4:5]
                                        ; implicit-def: $vgpr18
	s_and_saveexec_b64 s[4:5], s[28:29]
	s_cbranch_execnz .LBB184_286
.LBB184_67:
	s_or_b64 exec, exec, s[4:5]
                                        ; implicit-def: $vgpr19
	s_and_saveexec_b64 s[4:5], s[30:31]
	s_cbranch_execnz .LBB184_287
.LBB184_68:
	s_or_b64 exec, exec, s[4:5]
                                        ; implicit-def: $vgpr20
	s_and_saveexec_b64 s[4:5], s[34:35]
	s_cbranch_execnz .LBB184_288
.LBB184_69:
	s_or_b64 exec, exec, s[4:5]
                                        ; implicit-def: $vgpr21
	s_and_saveexec_b64 s[4:5], s[36:37]
	s_cbranch_execnz .LBB184_289
.LBB184_70:
	s_or_b64 exec, exec, s[4:5]
                                        ; implicit-def: $vgpr22
	s_and_saveexec_b64 s[4:5], s[38:39]
	s_cbranch_execnz .LBB184_290
.LBB184_71:
	s_or_b64 exec, exec, s[4:5]
                                        ; implicit-def: $vgpr23
	s_and_saveexec_b64 s[4:5], s[40:41]
	s_cbranch_execnz .LBB184_291
.LBB184_72:
	s_or_b64 exec, exec, s[4:5]
                                        ; implicit-def: $vgpr24
	s_and_saveexec_b64 s[4:5], s[42:43]
	s_cbranch_execnz .LBB184_292
.LBB184_73:
	s_or_b64 exec, exec, s[4:5]
                                        ; implicit-def: $vgpr25
	s_and_saveexec_b64 s[4:5], s[44:45]
	s_cbranch_execnz .LBB184_293
.LBB184_74:
	s_or_b64 exec, exec, s[4:5]
                                        ; implicit-def: $vgpr26
	s_and_saveexec_b64 s[4:5], s[46:47]
	s_cbranch_execnz .LBB184_294
.LBB184_75:
	s_or_b64 exec, exec, s[4:5]
                                        ; implicit-def: $vgpr27
	s_and_saveexec_b64 s[4:5], s[48:49]
	s_cbranch_execz .LBB184_77
.LBB184_76:
	v_lshlrev_b32_e32 v34, 2, v28
	v_mov_b32_e32 v35, 0
	v_lshl_add_u64 v[34:35], s[52:53], 0, v[34:35]
	flat_load_dword v27, v[34:35]
.LBB184_77:
	s_or_b64 exec, exec, s[4:5]
	v_mul_u32_u24_e32 v73, 23, v0
	s_waitcnt vmcnt(0) lgkmcnt(0)
	ds_write2st64_b32 v2, v29, v30 offset1:4
	ds_write2st64_b32 v2, v31, v3 offset0:8 offset1:12
	ds_write2st64_b32 v2, v32, v10 offset0:16 offset1:20
	;; [unrolled: 1-line block ×10, first 2 shown]
	ds_write_b32 v2, v27 offset:22528
	v_mov_b64_e32 v[10:11], 0
	v_cmp_gt_u32_e32 vcc, s3, v73
	s_mov_b64 s[10:11], 0
	s_mov_b64 s[6:7], 0
	v_mov_b64_e32 v[12:13], v[10:11]
	v_mov_b64_e32 v[14:15], v[10:11]
	;; [unrolled: 1-line block ×21, first 2 shown]
	s_waitcnt lgkmcnt(0)
	s_barrier
	s_waitcnt lgkmcnt(0)
                                        ; implicit-def: $sgpr4_sgpr5
                                        ; implicit-def: $vgpr3
	s_and_saveexec_b64 s[8:9], vcc
	s_cbranch_execz .LBB184_121
; %bb.78:
	ds_read_b32 v10, v1
	v_add_u32_e32 v2, 1, v73
	v_cmp_ne_u32_e32 vcc, v70, v68
	v_mov_b64_e32 v[12:13], 0
	s_mov_b64 s[12:13], 0
	v_cndmask_b32_e64 v11, 0, 1, vcc
	v_cmp_gt_u32_e32 vcc, s3, v2
	s_mov_b64 s[4:5], 0
	v_mov_b64_e32 v[14:15], v[12:13]
	v_mov_b64_e32 v[16:17], v[12:13]
	;; [unrolled: 1-line block ×20, first 2 shown]
                                        ; implicit-def: $sgpr14_sgpr15
                                        ; implicit-def: $vgpr3
	s_and_saveexec_b64 s[10:11], vcc
	s_cbranch_execz .LBB184_120
; %bb.79:
	ds_read2_b32 v[70:71], v1 offset0:1 offset1:2
	v_add_u32_e32 v2, 2, v73
	v_cmp_ne_u32_e32 vcc, v68, v69
	v_mov_b64_e32 v[14:15], 0
	s_mov_b64 s[16:17], 0
	v_cndmask_b32_e64 v13, 0, 1, vcc
	v_cmp_gt_u32_e32 vcc, s3, v2
	s_waitcnt lgkmcnt(0)
	v_mov_b32_e32 v12, v70
	v_mov_b64_e32 v[16:17], v[14:15]
	v_mov_b64_e32 v[18:19], v[14:15]
	;; [unrolled: 1-line block ×19, first 2 shown]
                                        ; implicit-def: $sgpr14_sgpr15
                                        ; implicit-def: $vgpr3
	s_and_saveexec_b64 s[12:13], vcc
	s_cbranch_execz .LBB184_119
; %bb.80:
	v_add_u32_e32 v2, 3, v73
	v_cmp_ne_u32_e32 vcc, v69, v66
	v_mov_b64_e32 v[16:17], 0
	v_mov_b32_e32 v14, v71
	v_cndmask_b32_e64 v15, 0, 1, vcc
	v_cmp_gt_u32_e32 vcc, s3, v2
	v_mov_b64_e32 v[18:19], v[16:17]
	v_mov_b64_e32 v[20:21], v[16:17]
	;; [unrolled: 1-line block ×18, first 2 shown]
                                        ; implicit-def: $sgpr18_sgpr19
                                        ; implicit-def: $vgpr3
	s_and_saveexec_b64 s[14:15], vcc
	s_cbranch_execz .LBB184_118
; %bb.81:
	ds_read2_b32 v[68:69], v1 offset0:3 offset1:4
	v_add_u32_e32 v2, 4, v73
	v_cmp_ne_u32_e32 vcc, v66, v67
	v_mov_b64_e32 v[18:19], 0
	s_mov_b64 s[20:21], 0
	v_cndmask_b32_e64 v17, 0, 1, vcc
	v_cmp_gt_u32_e32 vcc, s3, v2
	s_waitcnt lgkmcnt(0)
	v_mov_b32_e32 v16, v68
	v_mov_b64_e32 v[20:21], v[18:19]
	v_mov_b64_e32 v[22:23], v[18:19]
	;; [unrolled: 1-line block ×17, first 2 shown]
                                        ; implicit-def: $sgpr18_sgpr19
                                        ; implicit-def: $vgpr3
	s_and_saveexec_b64 s[16:17], vcc
	s_cbranch_execz .LBB184_117
; %bb.82:
	v_add_u32_e32 v2, 5, v73
	v_cmp_ne_u32_e32 vcc, v67, v64
	v_mov_b64_e32 v[20:21], 0
	v_mov_b32_e32 v18, v69
	v_cndmask_b32_e64 v19, 0, 1, vcc
	v_cmp_gt_u32_e32 vcc, s3, v2
	v_mov_b64_e32 v[22:23], v[20:21]
	v_mov_b64_e32 v[24:25], v[20:21]
	;; [unrolled: 1-line block ×16, first 2 shown]
                                        ; implicit-def: $sgpr22_sgpr23
                                        ; implicit-def: $vgpr3
	s_and_saveexec_b64 s[18:19], vcc
	s_cbranch_execz .LBB184_116
; %bb.83:
	ds_read2_b32 v[66:67], v1 offset0:5 offset1:6
	v_add_u32_e32 v2, 6, v73
	v_cmp_ne_u32_e32 vcc, v64, v65
	v_mov_b64_e32 v[22:23], 0
	s_mov_b64 s[24:25], 0
	v_cndmask_b32_e64 v21, 0, 1, vcc
	v_cmp_gt_u32_e32 vcc, s3, v2
	s_waitcnt lgkmcnt(0)
	v_mov_b32_e32 v20, v66
	v_mov_b64_e32 v[24:25], v[22:23]
	v_mov_b64_e32 v[26:27], v[22:23]
	v_mov_b64_e32 v[28:29], v[22:23]
	v_mov_b64_e32 v[30:31], v[22:23]
	v_mov_b64_e32 v[32:33], v[22:23]
	v_mov_b64_e32 v[34:35], v[22:23]
	v_mov_b64_e32 v[36:37], v[22:23]
	v_mov_b64_e32 v[38:39], v[22:23]
	v_mov_b64_e32 v[40:41], v[22:23]
	v_mov_b64_e32 v[42:43], v[22:23]
	v_mov_b64_e32 v[44:45], v[22:23]
	v_mov_b64_e32 v[46:47], v[22:23]
	v_mov_b64_e32 v[48:49], v[22:23]
	v_mov_b64_e32 v[50:51], v[22:23]
	v_mov_b64_e32 v[52:53], v[22:23]
                                        ; implicit-def: $sgpr22_sgpr23
                                        ; implicit-def: $vgpr3
	s_and_saveexec_b64 s[20:21], vcc
	s_cbranch_execz .LBB184_115
; %bb.84:
	v_add_u32_e32 v2, 7, v73
	v_cmp_ne_u32_e32 vcc, v65, v62
	v_mov_b64_e32 v[24:25], 0
	v_mov_b32_e32 v22, v67
	v_cndmask_b32_e64 v23, 0, 1, vcc
	v_cmp_gt_u32_e32 vcc, s3, v2
	v_mov_b64_e32 v[26:27], v[24:25]
	v_mov_b64_e32 v[28:29], v[24:25]
	;; [unrolled: 1-line block ×14, first 2 shown]
                                        ; implicit-def: $sgpr26_sgpr27
                                        ; implicit-def: $vgpr3
	s_and_saveexec_b64 s[22:23], vcc
	s_cbranch_execz .LBB184_114
; %bb.85:
	ds_read2_b32 v[64:65], v1 offset0:7 offset1:8
	v_add_u32_e32 v2, 8, v73
	v_cmp_ne_u32_e32 vcc, v62, v63
	v_mov_b64_e32 v[26:27], 0
	s_mov_b64 s[28:29], 0
	v_cndmask_b32_e64 v25, 0, 1, vcc
	v_cmp_gt_u32_e32 vcc, s3, v2
	s_waitcnt lgkmcnt(0)
	v_mov_b32_e32 v24, v64
	v_mov_b64_e32 v[28:29], v[26:27]
	v_mov_b64_e32 v[30:31], v[26:27]
	;; [unrolled: 1-line block ×13, first 2 shown]
                                        ; implicit-def: $sgpr26_sgpr27
                                        ; implicit-def: $vgpr3
	s_and_saveexec_b64 s[24:25], vcc
	s_cbranch_execz .LBB184_113
; %bb.86:
	v_add_u32_e32 v2, 9, v73
	v_cmp_ne_u32_e32 vcc, v63, v60
	v_mov_b64_e32 v[28:29], 0
	v_mov_b32_e32 v26, v65
	v_cndmask_b32_e64 v27, 0, 1, vcc
	v_cmp_gt_u32_e32 vcc, s3, v2
	v_mov_b64_e32 v[30:31], v[28:29]
	v_mov_b64_e32 v[32:33], v[28:29]
	;; [unrolled: 1-line block ×12, first 2 shown]
                                        ; implicit-def: $sgpr30_sgpr31
                                        ; implicit-def: $vgpr3
	s_and_saveexec_b64 s[26:27], vcc
	s_cbranch_execz .LBB184_112
; %bb.87:
	ds_read2_b32 v[62:63], v1 offset0:9 offset1:10
	v_add_u32_e32 v2, 10, v73
	v_cmp_ne_u32_e32 vcc, v60, v61
	v_mov_b64_e32 v[30:31], 0
	s_mov_b64 s[34:35], 0
	v_cndmask_b32_e64 v29, 0, 1, vcc
	v_cmp_gt_u32_e32 vcc, s3, v2
	s_waitcnt lgkmcnt(0)
	v_mov_b32_e32 v28, v62
	v_mov_b64_e32 v[32:33], v[30:31]
	v_mov_b64_e32 v[34:35], v[30:31]
	;; [unrolled: 1-line block ×11, first 2 shown]
                                        ; implicit-def: $sgpr30_sgpr31
                                        ; implicit-def: $vgpr3
	s_and_saveexec_b64 s[28:29], vcc
	s_cbranch_execz .LBB184_111
; %bb.88:
	v_add_u32_e32 v2, 11, v73
	v_cmp_ne_u32_e32 vcc, v61, v58
	v_mov_b64_e32 v[32:33], 0
	v_mov_b32_e32 v30, v63
	v_cndmask_b32_e64 v31, 0, 1, vcc
	v_cmp_gt_u32_e32 vcc, s3, v2
	v_mov_b64_e32 v[34:35], v[32:33]
	v_mov_b64_e32 v[36:37], v[32:33]
	;; [unrolled: 1-line block ×10, first 2 shown]
                                        ; implicit-def: $sgpr36_sgpr37
                                        ; implicit-def: $vgpr3
	s_and_saveexec_b64 s[30:31], vcc
	s_cbranch_execz .LBB184_110
; %bb.89:
	ds_read2_b32 v[60:61], v1 offset0:11 offset1:12
	v_add_u32_e32 v2, 12, v73
	v_cmp_ne_u32_e32 vcc, v58, v59
	v_mov_b64_e32 v[34:35], 0
	s_mov_b64 s[38:39], 0
	v_cndmask_b32_e64 v33, 0, 1, vcc
	v_cmp_gt_u32_e32 vcc, s3, v2
	s_waitcnt lgkmcnt(0)
	v_mov_b32_e32 v32, v60
	v_mov_b64_e32 v[36:37], v[34:35]
	v_mov_b64_e32 v[38:39], v[34:35]
	;; [unrolled: 1-line block ×9, first 2 shown]
                                        ; implicit-def: $sgpr36_sgpr37
                                        ; implicit-def: $vgpr3
	s_and_saveexec_b64 s[34:35], vcc
	s_cbranch_execz .LBB184_109
; %bb.90:
	v_add_u32_e32 v2, 13, v73
	v_cmp_ne_u32_e32 vcc, v59, v56
	v_mov_b64_e32 v[36:37], 0
	v_mov_b32_e32 v34, v61
	v_cndmask_b32_e64 v35, 0, 1, vcc
	v_cmp_gt_u32_e32 vcc, s3, v2
	v_mov_b64_e32 v[38:39], v[36:37]
	v_mov_b64_e32 v[40:41], v[36:37]
	;; [unrolled: 1-line block ×8, first 2 shown]
                                        ; implicit-def: $sgpr40_sgpr41
                                        ; implicit-def: $vgpr3
	s_and_saveexec_b64 s[36:37], vcc
	s_cbranch_execz .LBB184_108
; %bb.91:
	ds_read2_b32 v[58:59], v1 offset0:13 offset1:14
	v_add_u32_e32 v2, 14, v73
	v_cmp_ne_u32_e32 vcc, v56, v57
	v_mov_b64_e32 v[38:39], 0
	s_mov_b64 s[42:43], 0
	v_cndmask_b32_e64 v37, 0, 1, vcc
	v_cmp_gt_u32_e32 vcc, s3, v2
	s_waitcnt lgkmcnt(0)
	v_mov_b32_e32 v36, v58
	v_mov_b64_e32 v[40:41], v[38:39]
	v_mov_b64_e32 v[42:43], v[38:39]
	;; [unrolled: 1-line block ×7, first 2 shown]
                                        ; implicit-def: $sgpr40_sgpr41
                                        ; implicit-def: $vgpr3
	s_and_saveexec_b64 s[38:39], vcc
	s_cbranch_execz .LBB184_107
; %bb.92:
	v_add_u32_e32 v2, 15, v73
	v_cmp_ne_u32_e32 vcc, v57, v54
	v_mov_b64_e32 v[40:41], 0
	v_mov_b32_e32 v38, v59
	v_cndmask_b32_e64 v39, 0, 1, vcc
	v_cmp_gt_u32_e32 vcc, s3, v2
	v_mov_b64_e32 v[42:43], v[40:41]
	v_mov_b64_e32 v[44:45], v[40:41]
	;; [unrolled: 1-line block ×6, first 2 shown]
                                        ; implicit-def: $sgpr44_sgpr45
                                        ; implicit-def: $vgpr3
	s_and_saveexec_b64 s[40:41], vcc
	s_cbranch_execz .LBB184_106
; %bb.93:
	ds_read2_b32 v[56:57], v1 offset0:15 offset1:16
	v_add_u32_e32 v2, 16, v73
	v_cmp_ne_u32_e32 vcc, v54, v55
	v_mov_b64_e32 v[42:43], 0
	s_mov_b64 s[46:47], 0
	v_cndmask_b32_e64 v41, 0, 1, vcc
	v_cmp_gt_u32_e32 vcc, s3, v2
	s_waitcnt lgkmcnt(0)
	v_mov_b32_e32 v40, v56
	v_mov_b64_e32 v[44:45], v[42:43]
	v_mov_b64_e32 v[46:47], v[42:43]
	;; [unrolled: 1-line block ×5, first 2 shown]
                                        ; implicit-def: $sgpr44_sgpr45
                                        ; implicit-def: $vgpr3
	s_and_saveexec_b64 s[42:43], vcc
	s_cbranch_execz .LBB184_105
; %bb.94:
	v_add_u32_e32 v2, 17, v73
	v_cmp_ne_u32_e32 vcc, v55, v8
	v_mov_b64_e32 v[44:45], 0
	v_mov_b32_e32 v42, v57
	v_cndmask_b32_e64 v43, 0, 1, vcc
	v_cmp_gt_u32_e32 vcc, s3, v2
	v_mov_b64_e32 v[46:47], v[44:45]
	v_mov_b64_e32 v[48:49], v[44:45]
	;; [unrolled: 1-line block ×4, first 2 shown]
                                        ; implicit-def: $sgpr48_sgpr49
                                        ; implicit-def: $vgpr3
	s_and_saveexec_b64 s[44:45], vcc
	s_cbranch_execz .LBB184_104
; %bb.95:
	ds_read2_b32 v[54:55], v1 offset0:17 offset1:18
	v_add_u32_e32 v2, 18, v73
	v_cmp_ne_u32_e32 vcc, v8, v9
	v_mov_b64_e32 v[46:47], 0
	s_mov_b64 s[50:51], 0
	v_cndmask_b32_e64 v45, 0, 1, vcc
	v_cmp_gt_u32_e32 vcc, s3, v2
	s_waitcnt lgkmcnt(0)
	v_mov_b32_e32 v44, v54
	v_mov_b64_e32 v[48:49], v[46:47]
	v_mov_b64_e32 v[50:51], v[46:47]
	;; [unrolled: 1-line block ×3, first 2 shown]
                                        ; implicit-def: $sgpr48_sgpr49
                                        ; implicit-def: $vgpr3
	s_and_saveexec_b64 s[46:47], vcc
	s_cbranch_execz .LBB184_103
; %bb.96:
	v_add_u32_e32 v2, 19, v73
	v_cmp_ne_u32_e32 vcc, v9, v6
	v_mov_b64_e32 v[48:49], 0
	v_mov_b32_e32 v46, v55
	v_cndmask_b32_e64 v47, 0, 1, vcc
	v_cmp_gt_u32_e32 vcc, s3, v2
	v_mov_b64_e32 v[50:51], v[48:49]
	v_mov_b64_e32 v[52:53], v[48:49]
                                        ; implicit-def: $sgpr60_sgpr61
                                        ; implicit-def: $vgpr3
	s_and_saveexec_b64 s[48:49], vcc
	s_cbranch_execz .LBB184_102
; %bb.97:
	ds_read2_b32 v[8:9], v1 offset0:19 offset1:20
	v_add_u32_e32 v2, 20, v73
	v_cmp_ne_u32_e32 vcc, v6, v7
	v_mov_b64_e32 v[50:51], 0
	s_mov_b64 s[60:61], 0
	v_cndmask_b32_e64 v49, 0, 1, vcc
	v_cmp_gt_u32_e32 vcc, s3, v2
	s_waitcnt lgkmcnt(0)
	v_mov_b32_e32 v48, v8
	v_mov_b64_e32 v[52:53], v[50:51]
                                        ; implicit-def: $sgpr78_sgpr79
                                        ; implicit-def: $vgpr3
	s_and_saveexec_b64 s[50:51], vcc
	s_cbranch_execz .LBB184_101
; %bb.98:
	v_add_u32_e32 v2, 21, v73
	v_cmp_ne_u32_e32 vcc, v7, v4
	v_mov_b32_e32 v50, v9
	v_mov_b64_e32 v[52:53], 0
	v_cndmask_b32_e64 v51, 0, 1, vcc
	v_cmp_gt_u32_e32 vcc, s3, v2
                                        ; implicit-def: $sgpr78_sgpr79
                                        ; implicit-def: $vgpr3
	s_and_saveexec_b64 s[4:5], vcc
	s_xor_b64 s[80:81], exec, s[4:5]
	s_cbranch_execz .LBB184_100
; %bb.99:
	ds_read2_b32 v[2:3], v1 offset0:21 offset1:22
	v_add_u32_e32 v1, 22, v73
	v_cmp_ne_u32_e64 s[4:5], v4, v5
	v_cmp_ne_u32_e32 vcc, v5, v72
	s_and_b64 s[78:79], vcc, exec
	v_cndmask_b32_e64 v53, 0, 1, s[4:5]
	v_cmp_gt_u32_e64 s[4:5], s3, v1
	s_waitcnt lgkmcnt(0)
	v_mov_b32_e32 v52, v2
	s_and_b64 s[60:61], s[4:5], exec
.LBB184_100:
	s_or_b64 exec, exec, s[80:81]
	s_and_b64 s[78:79], s[78:79], exec
	s_and_b64 s[4:5], s[60:61], exec
.LBB184_101:
	s_or_b64 exec, exec, s[50:51]
	s_and_b64 s[60:61], s[78:79], exec
	s_and_b64 s[50:51], s[4:5], exec
.LBB184_102:
	s_or_b64 exec, exec, s[48:49]
	s_and_b64 s[48:49], s[60:61], exec
	s_and_b64 s[4:5], s[50:51], exec
.LBB184_103:
	s_or_b64 exec, exec, s[46:47]
	s_and_b64 s[48:49], s[48:49], exec
	s_and_b64 s[46:47], s[4:5], exec
.LBB184_104:
	s_or_b64 exec, exec, s[44:45]
	s_and_b64 s[44:45], s[48:49], exec
	s_and_b64 s[4:5], s[46:47], exec
.LBB184_105:
	s_or_b64 exec, exec, s[42:43]
	s_and_b64 s[44:45], s[44:45], exec
	s_and_b64 s[42:43], s[4:5], exec
.LBB184_106:
	s_or_b64 exec, exec, s[40:41]
	s_and_b64 s[40:41], s[44:45], exec
	s_and_b64 s[4:5], s[42:43], exec
.LBB184_107:
	s_or_b64 exec, exec, s[38:39]
	s_and_b64 s[40:41], s[40:41], exec
	s_and_b64 s[38:39], s[4:5], exec
.LBB184_108:
	s_or_b64 exec, exec, s[36:37]
	s_and_b64 s[36:37], s[40:41], exec
	s_and_b64 s[4:5], s[38:39], exec
.LBB184_109:
	s_or_b64 exec, exec, s[34:35]
	s_and_b64 s[36:37], s[36:37], exec
	s_and_b64 s[34:35], s[4:5], exec
.LBB184_110:
	s_or_b64 exec, exec, s[30:31]
	s_and_b64 s[30:31], s[36:37], exec
	s_and_b64 s[4:5], s[34:35], exec
.LBB184_111:
	s_or_b64 exec, exec, s[28:29]
	s_and_b64 s[30:31], s[30:31], exec
	s_and_b64 s[28:29], s[4:5], exec
.LBB184_112:
	s_or_b64 exec, exec, s[26:27]
	s_and_b64 s[26:27], s[30:31], exec
	s_and_b64 s[4:5], s[28:29], exec
.LBB184_113:
	s_or_b64 exec, exec, s[24:25]
	s_and_b64 s[26:27], s[26:27], exec
	s_and_b64 s[24:25], s[4:5], exec
.LBB184_114:
	s_or_b64 exec, exec, s[22:23]
	s_and_b64 s[22:23], s[26:27], exec
	s_and_b64 s[4:5], s[24:25], exec
.LBB184_115:
	s_or_b64 exec, exec, s[20:21]
	s_and_b64 s[22:23], s[22:23], exec
	s_and_b64 s[20:21], s[4:5], exec
.LBB184_116:
	s_or_b64 exec, exec, s[18:19]
	s_and_b64 s[18:19], s[22:23], exec
	s_and_b64 s[4:5], s[20:21], exec
.LBB184_117:
	s_or_b64 exec, exec, s[16:17]
	s_and_b64 s[18:19], s[18:19], exec
	s_and_b64 s[16:17], s[4:5], exec
.LBB184_118:
	s_or_b64 exec, exec, s[14:15]
	s_and_b64 s[14:15], s[18:19], exec
	s_and_b64 s[4:5], s[16:17], exec
.LBB184_119:
	s_or_b64 exec, exec, s[12:13]
	s_and_b64 s[14:15], s[14:15], exec
	s_and_b64 s[12:13], s[4:5], exec
.LBB184_120:
	s_or_b64 exec, exec, s[10:11]
	s_and_b64 s[4:5], s[14:15], exec
	s_and_b64 s[10:11], s[12:13], exec
.LBB184_121:
	s_or_b64 exec, exec, s[8:9]
	s_mov_b64 s[8:9], 0
	s_and_b64 vcc, exec, s[6:7]
	v_lshlrev_b32_e32 v54, 2, v0
	s_cbranch_vccnz .LBB184_123
	s_branch .LBB184_131
.LBB184_122:
                                        ; implicit-def: $sgpr4_sgpr5
                                        ; implicit-def: $vgpr3
                                        ; implicit-def: $vgpr10_vgpr11
                                        ; implicit-def: $vgpr12_vgpr13
                                        ; implicit-def: $vgpr14_vgpr15
                                        ; implicit-def: $vgpr16_vgpr17
                                        ; implicit-def: $vgpr18_vgpr19
                                        ; implicit-def: $vgpr20_vgpr21
                                        ; implicit-def: $vgpr22_vgpr23
                                        ; implicit-def: $vgpr24_vgpr25
                                        ; implicit-def: $vgpr26_vgpr27
                                        ; implicit-def: $vgpr28_vgpr29
                                        ; implicit-def: $vgpr30_vgpr31
                                        ; implicit-def: $vgpr32_vgpr33
                                        ; implicit-def: $vgpr34_vgpr35
                                        ; implicit-def: $vgpr36_vgpr37
                                        ; implicit-def: $vgpr38_vgpr39
                                        ; implicit-def: $vgpr40_vgpr41
                                        ; implicit-def: $vgpr42_vgpr43
                                        ; implicit-def: $vgpr44_vgpr45
                                        ; implicit-def: $vgpr46_vgpr47
                                        ; implicit-def: $vgpr48_vgpr49
                                        ; implicit-def: $vgpr50_vgpr51
                                        ; implicit-def: $vgpr52_vgpr53
                                        ; implicit-def: $sgpr8_sgpr9
	s_and_b64 vcc, exec, s[6:7]
	v_lshlrev_b32_e32 v54, 2, v0
	s_cbranch_vccz .LBB184_131
.LBB184_123:
	v_mov_b32_e32 v55, 0
	v_lshl_add_u64 v[2:3], s[54:55], 0, v[54:55]
	v_add_co_u32_e32 v4, vcc, 0x1000, v2
	s_movk_i32 s3, 0x58
	s_nop 0
	v_addc_co_u32_e32 v5, vcc, 0, v3, vcc
	flat_load_dword v8, v[2:3]
	flat_load_dword v9, v[2:3] offset:1024
	s_waitcnt lgkmcnt(0)
	flat_load_dword v10, v[2:3] offset:2048
	flat_load_dword v11, v[2:3] offset:3072
	flat_load_dword v12, v[4:5]
	flat_load_dword v13, v[4:5] offset:1024
	flat_load_dword v14, v[4:5] offset:2048
	;; [unrolled: 1-line block ×3, first 2 shown]
	v_add_co_u32_e32 v4, vcc, 0x2000, v2
	v_mad_u32_u24 v1, v0, s3, v54
	s_nop 0
	v_addc_co_u32_e32 v5, vcc, 0, v3, vcc
	v_add_co_u32_e32 v6, vcc, 0x3000, v2
	s_cmp_eq_u64 s[76:77], 0
	s_nop 0
	v_addc_co_u32_e32 v7, vcc, 0, v3, vcc
	flat_load_dword v16, v[4:5]
	flat_load_dword v17, v[4:5] offset:1024
	flat_load_dword v18, v[4:5] offset:2048
	;; [unrolled: 1-line block ×3, first 2 shown]
	flat_load_dword v20, v[6:7]
	flat_load_dword v21, v[6:7] offset:1024
	flat_load_dword v22, v[6:7] offset:2048
	;; [unrolled: 1-line block ×3, first 2 shown]
	v_add_co_u32_e32 v4, vcc, 0x4000, v2
	s_nop 1
	v_addc_co_u32_e32 v5, vcc, 0, v3, vcc
	v_add_co_u32_e32 v2, vcc, 0x5000, v2
	s_nop 1
	v_addc_co_u32_e32 v3, vcc, 0, v3, vcc
	flat_load_dword v6, v[4:5]
	flat_load_dword v7, v[4:5] offset:1024
	flat_load_dword v24, v[4:5] offset:2048
	;; [unrolled: 1-line block ×3, first 2 shown]
	flat_load_dword v26, v[2:3]
	flat_load_dword v27, v[2:3] offset:1024
	flat_load_dword v28, v[2:3] offset:2048
	s_waitcnt vmcnt(0)
	ds_write2st64_b32 v54, v8, v9 offset1:4
	s_waitcnt lgkmcnt(0)
	ds_write2st64_b32 v54, v10, v11 offset0:8 offset1:12
	ds_write2st64_b32 v54, v12, v13 offset0:16 offset1:20
	;; [unrolled: 1-line block ×10, first 2 shown]
	ds_write_b32 v54, v28 offset:22528
	s_waitcnt lgkmcnt(0)
	s_barrier
	ds_read2_b32 v[2:3], v1 offset1:1
	ds_read2_b32 v[18:19], v1 offset0:2 offset1:3
	ds_read2_b32 v[22:23], v1 offset0:4 offset1:5
	ds_read2_b32 v[26:27], v1 offset0:6 offset1:7
	ds_read2_b32 v[30:31], v1 offset0:8 offset1:9
	ds_read2_b32 v[34:35], v1 offset0:10 offset1:11
	ds_read2_b32 v[38:39], v1 offset0:12 offset1:13
	ds_read2_b32 v[42:43], v1 offset0:14 offset1:15
	ds_read2_b32 v[8:9], v1 offset0:16 offset1:17
	ds_read2_b32 v[6:7], v1 offset0:18 offset1:19
	ds_read2_b32 v[4:5], v1 offset0:20 offset1:21
	ds_read_b32 v10, v1 offset:88
	s_cbranch_scc1 .LBB184_128
; %bb.124:
	s_andn2_b64 vcc, exec, s[64:65]
	s_cbranch_vccnz .LBB184_298
; %bb.125:
	s_lshl_b64 s[4:5], s[76:77], 2
	s_add_u32 s3, s66, s4
	s_addc_u32 s5, s67, s5
	s_add_u32 s4, s3, -4
	s_addc_u32 s5, s5, -1
	s_cbranch_execnz .LBB184_127
.LBB184_126:
	s_add_u32 s4, s54, -4
	s_addc_u32 s5, s55, -1
.LBB184_127:
	s_mov_b64 s[54:55], s[4:5]
.LBB184_128:
	v_mov_b64_e32 v[12:13], s[54:55]
	flat_load_dword v11, v[12:13]
	s_movk_i32 s3, 0xffa8
	v_mad_i32_i24 v12, v0, s3, v1
	v_cmp_ne_u32_e32 vcc, 0, v0
	s_waitcnt lgkmcnt(0)
	ds_write_b32 v12, v10 offset:23552
	s_waitcnt lgkmcnt(0)
	s_barrier
	s_and_saveexec_b64 s[4:5], vcc
	s_cbranch_execz .LBB184_130
; %bb.129:
	s_waitcnt vmcnt(0)
	v_mul_i32_i24_e32 v11, 0xffffffa8, v0
	v_add_u32_e32 v11, v1, v11
	ds_read_b32 v11, v11 offset:23548
.LBB184_130:
	s_or_b64 exec, exec, s[4:5]
	v_mov_b32_e32 v55, 0
	v_lshl_add_u64 v[12:13], s[52:53], 0, v[54:55]
	s_movk_i32 s3, 0x1000
	v_add_co_u32_e32 v14, vcc, s3, v12
	s_movk_i32 s3, 0x2000
	s_nop 0
	v_addc_co_u32_e32 v15, vcc, 0, v13, vcc
	s_waitcnt lgkmcnt(0)
	s_barrier
	flat_load_dword v20, v[12:13]
	flat_load_dword v21, v[12:13] offset:1024
	flat_load_dword v24, v[12:13] offset:2048
	flat_load_dword v25, v[12:13] offset:3072
	flat_load_dword v28, v[14:15]
	flat_load_dword v29, v[14:15] offset:1024
	flat_load_dword v32, v[14:15] offset:2048
	;; [unrolled: 1-line block ×3, first 2 shown]
	v_add_co_u32_e32 v14, vcc, s3, v12
	s_movk_i32 s3, 0x3000
	s_nop 0
	v_addc_co_u32_e32 v15, vcc, 0, v13, vcc
	v_add_co_u32_e32 v16, vcc, s3, v12
	s_movk_i32 s3, 0x4000
	s_nop 0
	v_addc_co_u32_e32 v17, vcc, 0, v13, vcc
	flat_load_dword v36, v[14:15]
	flat_load_dword v37, v[14:15] offset:1024
	flat_load_dword v40, v[14:15] offset:2048
	;; [unrolled: 1-line block ×3, first 2 shown]
	flat_load_dword v44, v[16:17]
	flat_load_dword v45, v[16:17] offset:1024
	flat_load_dword v46, v[16:17] offset:2048
	;; [unrolled: 1-line block ×3, first 2 shown]
	v_add_co_u32_e32 v14, vcc, s3, v12
	s_movk_i32 s3, 0x5000
	s_nop 0
	v_addc_co_u32_e32 v15, vcc, 0, v13, vcc
	v_add_co_u32_e32 v12, vcc, s3, v12
	v_cmp_ne_u32_e64 s[4:5], v5, v10
	s_nop 0
	v_addc_co_u32_e32 v13, vcc, 0, v13, vcc
	flat_load_dword v16, v[14:15]
	flat_load_dword v17, v[14:15] offset:1024
	flat_load_dword v48, v[14:15] offset:2048
	;; [unrolled: 1-line block ×3, first 2 shown]
	flat_load_dword v50, v[12:13]
	flat_load_dword v51, v[12:13] offset:1024
	flat_load_dword v52, v[12:13] offset:2048
	s_waitcnt vmcnt(0)
	v_cmp_ne_u32_e32 vcc, v11, v2
	s_mov_b64 s[10:11], -1
                                        ; implicit-def: $sgpr8_sgpr9
	s_waitcnt lgkmcnt(0)
	ds_write2st64_b32 v54, v20, v21 offset1:4
	ds_write2st64_b32 v54, v24, v25 offset0:8 offset1:12
	ds_write2st64_b32 v54, v28, v29 offset0:16 offset1:20
	;; [unrolled: 1-line block ×10, first 2 shown]
	ds_write_b32 v54, v52 offset:22528
	v_cndmask_b32_e64 v11, 0, 1, vcc
	v_cmp_ne_u32_e32 vcc, v2, v3
	s_waitcnt lgkmcnt(0)
	s_barrier
	v_cndmask_b32_e64 v13, 0, 1, vcc
	v_cmp_ne_u32_e32 vcc, v3, v18
	ds_read2_b32 v[16:17], v1 offset1:1
	ds_read2_b32 v[20:21], v1 offset0:2 offset1:3
	ds_read2_b32 v[24:25], v1 offset0:4 offset1:5
	;; [unrolled: 1-line block ×10, first 2 shown]
	ds_read_b32 v3, v1 offset:88
	v_cndmask_b32_e64 v15, 0, 1, vcc
	v_cmp_ne_u32_e32 vcc, v18, v19
	s_waitcnt lgkmcnt(11)
	v_mov_b32_e32 v12, v17
	v_mov_b32_e32 v10, v16
	v_cndmask_b32_e64 v17, 0, 1, vcc
	v_cmp_ne_u32_e32 vcc, v19, v22
	s_waitcnt lgkmcnt(10)
	v_mov_b32_e32 v16, v21
	v_mov_b32_e32 v14, v20
	;; [unrolled: 5-line block ×5, first 2 shown]
	v_cndmask_b32_e64 v25, 0, 1, vcc
	v_cmp_ne_u32_e32 vcc, v27, v30
	s_waitcnt lgkmcnt(6)
	v_mov_b32_e32 v32, v37
	s_waitcnt lgkmcnt(2)
	v_mov_b32_e32 v48, v51
	v_cndmask_b32_e64 v27, 0, 1, vcc
	v_cmp_ne_u32_e32 vcc, v30, v31
	v_mov_b32_e32 v30, v36
	v_mov_b32_e32 v36, v41
	v_cndmask_b32_e64 v29, 0, 1, vcc
	v_cmp_ne_u32_e32 vcc, v31, v34
	s_waitcnt lgkmcnt(1)
	v_mov_b32_e32 v52, v57
	v_cndmask_b32_e64 v31, 0, 1, vcc
	v_cmp_ne_u32_e32 vcc, v34, v35
	v_mov_b32_e32 v34, v40
	v_mov_b32_e32 v40, v45
	v_cndmask_b32_e64 v33, 0, 1, vcc
	v_cmp_ne_u32_e32 vcc, v35, v38
	s_nop 1
	v_cndmask_b32_e64 v35, 0, 1, vcc
	v_cmp_ne_u32_e32 vcc, v38, v39
	v_mov_b32_e32 v38, v44
	v_mov_b32_e32 v44, v47
	v_cndmask_b32_e64 v37, 0, 1, vcc
	v_cmp_ne_u32_e32 vcc, v39, v42
	s_nop 1
	v_cndmask_b32_e64 v39, 0, 1, vcc
	v_cmp_ne_u32_e32 vcc, v42, v43
	v_mov_b32_e32 v42, v46
	v_mov_b32_e32 v46, v50
	v_cndmask_b32_e64 v41, 0, 1, vcc
	v_cmp_ne_u32_e32 vcc, v43, v8
	v_mov_b32_e32 v50, v56
	s_nop 0
	v_cndmask_b32_e64 v43, 0, 1, vcc
	v_cmp_ne_u32_e32 vcc, v8, v9
	s_nop 1
	v_cndmask_b32_e64 v45, 0, 1, vcc
	v_cmp_ne_u32_e32 vcc, v9, v6
	;; [unrolled: 3-line block ×5, first 2 shown]
	s_nop 1
	v_cndmask_b32_e64 v53, 0, 1, vcc
.LBB184_131:
	v_mov_b64_e32 v[56:57], s[8:9]
	s_and_saveexec_b64 s[6:7], s[10:11]
	s_cbranch_execz .LBB184_133
; %bb.132:
	v_cndmask_b32_e64 v57, 0, 1, s[4:5]
	s_waitcnt lgkmcnt(0)
	v_mov_b32_e32 v56, v3
.LBB184_133:
	s_or_b64 exec, exec, s[6:7]
	s_mov_b32 s46, 0
	s_cmp_lg_u32 s2, 0
	v_or_b32_e32 v55, v57, v53
	v_lshrrev_b32_e32 v1, 5, v0
	v_cmp_gt_u32_e32 vcc, 64, v0
	s_waitcnt lgkmcnt(0)
	s_barrier
	s_cbranch_scc0 .LBB184_200
; %bb.134:
	s_mov_b32 s47, 1
	v_cmp_gt_u64_e64 s[54:55], s[46:47], v[12:13]
	v_cmp_gt_u64_e64 s[4:5], s[46:47], v[14:15]
	v_cmp_gt_u64_e64 s[6:7], s[46:47], v[16:17]
	v_cndmask_b32_e64 v2, 1, v10, s[54:55]
	v_mul_lo_u32 v2, v2, v12
	v_cndmask_b32_e64 v2, 1, v2, s[4:5]
	v_mul_lo_u32 v2, v2, v14
	v_cndmask_b32_e64 v2, 1, v2, s[6:7]
	v_mul_lo_u32 v2, v2, v16
	v_cmp_gt_u64_e64 s[8:9], s[46:47], v[18:19]
	v_cmp_gt_u64_e64 s[10:11], s[46:47], v[20:21]
	v_cmp_gt_u64_e64 s[12:13], s[46:47], v[22:23]
	v_cndmask_b32_e64 v2, 1, v2, s[8:9]
	v_mul_lo_u32 v2, v2, v18
	v_cndmask_b32_e64 v2, 1, v2, s[10:11]
	v_mul_lo_u32 v2, v2, v20
	v_cndmask_b32_e64 v2, 1, v2, s[12:13]
	v_mul_lo_u32 v2, v2, v22
	;; [unrolled: 9-line block ×7, first 2 shown]
	v_cmp_gt_u64_e64 s[46:47], s[46:47], v[56:57]
	v_mov_b32_e32 v6, 0
	s_nop 0
	v_cndmask_b32_e64 v2, 1, v2, s[46:47]
	v_mul_lo_u32 v59, v2, v56
	v_or3_b32 v2, v55, v51, v49
	v_or3_b32 v2, v2, v47, v45
	;; [unrolled: 1-line block ×10, first 2 shown]
	v_and_b32_e32 v2, 1, v2
	v_cmp_eq_u32_e64 s[48:49], 1, v2
	v_add_lshl_u32 v2, v1, v0, 3
	s_nop 0
	v_cndmask_b32_e64 v64, v11, 1, s[48:49]
	ds_write_b32 v2, v59
	ds_write_b8 v2, v64 offset:4
	s_waitcnt lgkmcnt(0)
	s_barrier
	s_and_saveexec_b64 s[50:51], vcc
	s_cbranch_execz .LBB184_148
; %bb.135:
	v_lshrrev_b32_e32 v2, 3, v0
	v_add_lshl_u32 v4, v2, v54, 3
	ds_read2_b32 v[8:9], v4 offset0:2 offset1:4
	ds_read_b64 v[2:3], v4
	ds_read_u8 v7, v4 offset:12
	ds_read_u8 v58, v4 offset:20
	ds_read_b32 v60, v4 offset:24
	ds_read_u8 v61, v4 offset:28
	s_waitcnt lgkmcnt(4)
	v_and_b32_e32 v5, 1, v3
	s_waitcnt lgkmcnt(3)
	v_cmp_eq_u16_sdwa s[48:49], v7, v6 src0_sel:BYTE_0 src1_sel:DWORD
	s_nop 1
	v_cndmask_b32_e64 v62, 1, v2, s[48:49]
	v_mul_lo_u32 v8, v62, v8
	s_waitcnt lgkmcnt(2)
	v_cmp_eq_u16_sdwa s[48:49], v58, v6 src0_sel:BYTE_0 src1_sel:DWORD
	s_nop 1
	v_cndmask_b32_e64 v6, 1, v8, s[48:49]
	s_waitcnt lgkmcnt(0)
	v_or_b32_e32 v8, v61, v58
	v_or_b32_e32 v7, v8, v7
	v_mul_lo_u32 v6, v6, v9
	v_cmp_eq_u16_e64 s[48:49], 0, v61
	v_and_b32_e32 v7, 1, v7
	v_mbcnt_lo_u32_b32 v8, -1, 0
	v_cndmask_b32_e64 v6, 1, v6, s[48:49]
	v_cmp_eq_u32_e64 s[48:49], 1, v7
	v_and_b32_e32 v7, 0xffffff00, v3
	v_mbcnt_hi_u32_b32 v8, -1, v8
	v_cndmask_b32_e64 v9, v5, 1, s[48:49]
	v_mul_lo_u32 v6, v6, v60
	v_and_b32_e32 v60, 15, v8
	v_or_b32_sdwa v58, v7, v9 dst_sel:DWORD dst_unused:UNUSED_PAD src0_sel:DWORD src1_sel:WORD_0
	v_mov_b32_dpp v62, v6 row_shr:1 row_mask:0xf bank_mask:0xf
	v_cmp_ne_u32_e64 s[48:49], 0, v60
	v_mov_b32_dpp v61, v58 row_shr:1 row_mask:0xf bank_mask:0xf
	s_and_saveexec_b64 s[52:53], s[48:49]
; %bb.136:
	v_cmp_eq_u16_e64 s[48:49], 0, v9
	v_and_b32_e32 v9, 1, v9
	s_nop 0
	v_cndmask_b32_e64 v58, 1, v62, s[48:49]
	v_mul_lo_u32 v6, v58, v6
	v_and_b32_e32 v58, 1, v61
	v_cmp_eq_u32_e64 s[48:49], 1, v9
	s_nop 1
	v_cndmask_b32_e64 v9, v58, 1, s[48:49]
	v_or_b32_sdwa v58, v7, v9 dst_sel:DWORD dst_unused:UNUSED_PAD src0_sel:DWORD src1_sel:WORD_0
; %bb.137:
	s_or_b64 exec, exec, s[52:53]
	v_mov_b32_dpp v62, v6 row_shr:2 row_mask:0xf bank_mask:0xf
	v_mov_b32_dpp v61, v58 row_shr:2 row_mask:0xf bank_mask:0xf
	v_cmp_lt_u32_e64 s[48:49], 1, v60
	s_and_saveexec_b64 s[52:53], s[48:49]
; %bb.138:
	v_cmp_eq_u16_e64 s[48:49], 0, v9
	v_and_b32_e32 v9, 1, v9
	s_nop 0
	v_cndmask_b32_e64 v58, 1, v62, s[48:49]
	v_mul_lo_u32 v6, v58, v6
	v_and_b32_e32 v58, 1, v61
	v_cmp_eq_u32_e64 s[48:49], 1, v9
	s_nop 1
	v_cndmask_b32_e64 v9, v58, 1, s[48:49]
	v_or_b32_sdwa v58, v7, v9 dst_sel:DWORD dst_unused:UNUSED_PAD src0_sel:DWORD src1_sel:WORD_0
; %bb.139:
	s_or_b64 exec, exec, s[52:53]
	v_mov_b32_dpp v62, v6 row_shr:4 row_mask:0xf bank_mask:0xf
	v_mov_b32_dpp v61, v58 row_shr:4 row_mask:0xf bank_mask:0xf
	v_cmp_lt_u32_e64 s[48:49], 3, v60
	;; [unrolled: 17-line block ×3, first 2 shown]
	s_and_saveexec_b64 s[52:53], s[48:49]
; %bb.142:
	v_cmp_eq_u16_e64 s[48:49], 0, v9
	v_and_b32_e32 v9, 1, v9
	s_nop 0
	v_cndmask_b32_e64 v58, 1, v62, s[48:49]
	v_mul_lo_u32 v6, v58, v6
	v_and_b32_e32 v58, 1, v61
	v_cmp_eq_u32_e64 s[48:49], 1, v9
	s_nop 1
	v_cndmask_b32_e64 v9, v58, 1, s[48:49]
	v_or_b32_sdwa v58, v7, v9 dst_sel:DWORD dst_unused:UNUSED_PAD src0_sel:DWORD src1_sel:WORD_0
; %bb.143:
	s_or_b64 exec, exec, s[52:53]
	v_and_b32_e32 v62, 16, v8
	v_mov_b32_dpp v61, v6 row_bcast:15 row_mask:0xf bank_mask:0xf
	v_mov_b32_dpp v60, v58 row_bcast:15 row_mask:0xf bank_mask:0xf
	v_cmp_ne_u32_e64 s[48:49], 0, v62
	s_and_saveexec_b64 s[52:53], s[48:49]
; %bb.144:
	v_cmp_eq_u16_e64 s[48:49], 0, v9
	v_and_b32_e32 v9, 1, v9
	s_nop 0
	v_cndmask_b32_e64 v58, 1, v61, s[48:49]
	v_mul_lo_u32 v6, v58, v6
	v_and_b32_e32 v58, 1, v60
	v_cmp_eq_u32_e64 s[48:49], 1, v9
	s_nop 1
	v_cndmask_b32_e64 v9, v58, 1, s[48:49]
	v_or_b32_sdwa v58, v7, v9 dst_sel:DWORD dst_unused:UNUSED_PAD src0_sel:DWORD src1_sel:WORD_0
; %bb.145:
	s_or_b64 exec, exec, s[52:53]
	v_mov_b32_dpp v60, v6 row_bcast:31 row_mask:0xf bank_mask:0xf
	v_mov_b32_dpp v58, v58 row_bcast:31 row_mask:0xf bank_mask:0xf
	v_cmp_lt_u32_e64 s[48:49], 31, v8
	s_and_saveexec_b64 s[52:53], s[48:49]
; %bb.146:
	v_cmp_eq_u16_e64 s[48:49], 0, v9
	v_and_b32_e32 v9, 1, v9
	v_and_b32_e32 v58, 1, v58
	v_cndmask_b32_e64 v60, 1, v60, s[48:49]
	v_cmp_eq_u32_e64 s[48:49], 1, v9
	v_mul_lo_u32 v6, v60, v6
	s_nop 0
	v_cndmask_b32_e64 v9, v58, 1, s[48:49]
; %bb.147:
	s_or_b64 exec, exec, s[52:53]
	v_add_u32_e32 v58, -1, v8
	v_and_b32_e32 v60, 64, v8
	v_cmp_lt_i32_e64 s[48:49], v58, v60
	v_or_b32_sdwa v7, v7, v9 dst_sel:DWORD dst_unused:UNUSED_PAD src0_sel:DWORD src1_sel:WORD_0
	s_nop 0
	v_cndmask_b32_e64 v8, v58, v8, s[48:49]
	v_lshlrev_b32_e32 v8, 2, v8
	ds_bpermute_b32 v6, v8, v6
	ds_bpermute_b32 v7, v8, v7
	v_mov_b32_e32 v8, 0
	v_cmp_eq_u16_sdwa s[48:49], v3, v8 src0_sel:BYTE_0 src1_sel:DWORD
	; wave barrier
	s_waitcnt lgkmcnt(1)
	s_nop 0
	v_cndmask_b32_e64 v3, 1, v6, s[48:49]
	v_mul_lo_u32 v2, v3, v2
	s_waitcnt lgkmcnt(0)
	v_and_b32_e32 v3, 1, v7
	v_cmp_eq_u32_e64 s[48:49], 1, v5
	s_nop 1
	v_cndmask_b32_e64 v3, v3, 1, s[48:49]
	v_cmp_eq_u32_e64 s[48:49], 0, v0
	s_nop 1
	v_cndmask_b32_e64 v5, v2, v59, s[48:49]
	v_cndmask_b32_e64 v6, v3, v64, s[48:49]
	ds_write_b32 v4, v5
	ds_write_b8 v4, v6 offset:4
	; wave barrier
	ds_read_u8 v7, v4 offset:12
	ds_read2_b32 v[2:3], v4 offset0:2 offset1:4
	ds_read_u8 v8, v4 offset:20
	ds_read_b32 v9, v4 offset:24
	ds_read_u8 v58, v4 offset:28
	s_waitcnt lgkmcnt(4)
	v_cmp_eq_u16_e64 s[48:49], 0, v7
	s_nop 1
	v_cndmask_b32_e64 v5, 1, v5, s[48:49]
	s_waitcnt lgkmcnt(3)
	v_mul_lo_u32 v2, v5, v2
	v_and_b32_e32 v5, 1, v7
	v_cmp_eq_u32_e64 s[48:49], 1, v5
	s_nop 1
	v_cndmask_b32_e64 v5, v6, 1, s[48:49]
	s_waitcnt lgkmcnt(2)
	v_cmp_eq_u16_e64 s[48:49], 0, v8
	ds_write_b8 v4, v5 offset:12
	s_nop 0
	v_cndmask_b32_e64 v6, 1, v2, s[48:49]
	v_mul_lo_u32 v3, v6, v3
	v_and_b32_e32 v6, 1, v8
	v_cmp_eq_u32_e64 s[48:49], 1, v6
	s_nop 1
	v_cndmask_b32_e64 v5, v5, 1, s[48:49]
	s_waitcnt lgkmcnt(1)
	v_cmp_eq_u16_e64 s[48:49], 0, v58
	ds_write2_b32 v4, v2, v3 offset0:2 offset1:4
	ds_write_b8 v4, v5 offset:20
	v_cndmask_b32_e64 v2, 1, v3, s[48:49]
	v_and_b32_e32 v3, 1, v58
	v_mul_lo_u32 v2, v2, v9
	v_cmp_eq_u32_e64 s[48:49], 1, v3
	s_nop 1
	v_cndmask_b32_e64 v3, v5, 1, s[48:49]
	ds_write_b32 v4, v2 offset:24
	ds_write_b8 v4, v3 offset:28
.LBB184_148:
	s_or_b64 exec, exec, s[50:51]
	v_mov_b32_e32 v58, v11
	v_cmp_eq_u32_e64 s[50:51], 0, v0
	v_cmp_ne_u32_e64 s[48:49], 0, v0
	s_waitcnt lgkmcnt(0)
	s_barrier
	s_and_saveexec_b64 s[52:53], s[48:49]
	s_cbranch_execz .LBB184_150
; %bb.149:
	v_add_u32_e32 v2, -1, v0
	v_lshrrev_b32_e32 v3, 5, v2
	v_add_lshl_u32 v2, v3, v2, 3
	ds_read_b32 v59, v2
	ds_read_u8 v64, v2 offset:4
.LBB184_150:
	s_or_b64 exec, exec, s[52:53]
	s_and_saveexec_b64 s[60:61], vcc
	s_cbranch_execz .LBB184_197
; %bb.151:
	v_mov_b32_e32 v5, 0
	ds_read_b64 v[2:3], v5 offset:2096
	v_mbcnt_lo_u32_b32 v4, -1, 0
	v_mbcnt_hi_u32_b32 v61, -1, v4
	s_mov_b32 s67, 0
	v_cmp_eq_u32_e64 s[52:53], 0, v61
	s_waitcnt lgkmcnt(0)
	v_readfirstlane_b32 s3, v3
	s_and_saveexec_b64 s[64:65], s[52:53]
	s_cbranch_execz .LBB184_153
; %bb.152:
	s_add_i32 s66, s2, 64
	s_lshl_b64 s[76:77], s[66:67], 4
	s_add_u32 s76, s68, s76
	s_addc_u32 s77, s69, s77
	s_and_b32 s79, s3, 0xff000000
	s_mov_b32 s78, s67
	s_and_b32 s81, s3, 0xff0000
	s_mov_b32 s80, s67
	s_or_b64 s[78:79], s[80:81], s[78:79]
	s_and_b32 s81, s3, 0xff00
	s_or_b64 s[78:79], s[78:79], s[80:81]
	s_and_b32 s81, s3, 0xff
	s_or_b64 s[66:67], s[78:79], s[80:81]
	v_mov_b32_e32 v3, s67
	v_mov_b32_e32 v4, 1
	v_mov_b64_e32 v[6:7], s[76:77]
	;;#ASMSTART
	global_store_dwordx4 v[6:7], v[2:5] off sc1	
s_waitcnt vmcnt(0)
	;;#ASMEND
.LBB184_153:
	s_or_b64 exec, exec, s[64:65]
	v_xad_u32 v60, v61, -1, s2
	v_add_u32_e32 v4, 64, v60
	v_lshl_add_u64 v[62:63], v[4:5], 4, s[68:69]
	;;#ASMSTART
	global_load_dwordx4 v[6:9], v[62:63] off sc1	
s_waitcnt vmcnt(0)
	;;#ASMEND
	s_nop 0
	v_and_b32_e32 v3, 0xff0000, v6
	v_and_b32_e32 v4, 0xff000000, v6
	v_and_b32_e32 v7, 0xff, v7
	v_or_b32_sdwa v3, v6, v3 dst_sel:DWORD dst_unused:UNUSED_PAD src0_sel:WORD_0 src1_sel:DWORD
	v_or3_b32 v7, 0, 0, v7
	v_or3_b32 v6, v3, v4, 0
	v_cmp_eq_u16_sdwa s[66:67], v8, v5 src0_sel:BYTE_0 src1_sel:DWORD
	s_and_saveexec_b64 s[64:65], s[66:67]
	s_cbranch_execz .LBB184_159
; %bb.154:
	s_mov_b32 s71, 1
	s_mov_b64 s[66:67], 0
	v_mov_b32_e32 v3, 0
.LBB184_155:                            ; =>This Loop Header: Depth=1
                                        ;     Child Loop BB184_156 Depth 2
	s_max_u32 s76, s71, 1
.LBB184_156:                            ;   Parent Loop BB184_155 Depth=1
                                        ; =>  This Inner Loop Header: Depth=2
	s_add_i32 s76, s76, -1
	s_cmp_eq_u32 s76, 0
	s_sleep 1
	s_cbranch_scc0 .LBB184_156
; %bb.157:                              ;   in Loop: Header=BB184_155 Depth=1
	s_cmp_lt_u32 s71, 32
	s_cselect_b64 s[76:77], -1, 0
	s_cmp_lg_u64 s[76:77], 0
	s_addc_u32 s71, s71, 0
	;;#ASMSTART
	global_load_dwordx4 v[6:9], v[62:63] off sc1	
s_waitcnt vmcnt(0)
	;;#ASMEND
	s_nop 0
	v_cmp_ne_u16_sdwa s[76:77], v8, v3 src0_sel:BYTE_0 src1_sel:DWORD
	s_or_b64 s[66:67], s[76:77], s[66:67]
	s_andn2_b64 exec, exec, s[66:67]
	s_cbranch_execnz .LBB184_155
; %bb.158:
	s_or_b64 exec, exec, s[66:67]
	v_and_b32_e32 v7, 0xff, v7
.LBB184_159:
	s_or_b64 exec, exec, s[64:65]
	v_mov_b32_e32 v3, 2
	v_cmp_eq_u16_sdwa s[64:65], v8, v3 src0_sel:BYTE_0 src1_sel:DWORD
	v_lshlrev_b64 v[4:5], v61, -1
	s_mov_b32 s66, 0
	v_and_b32_e32 v3, s65, v5
	v_or_b32_e32 v3, 0x80000000, v3
	v_ffbl_b32_e32 v3, v3
	v_add_u32_e32 v62, 32, v3
	v_and_b32_e32 v3, 63, v61
	v_cmp_ne_u32_e32 vcc, 63, v3
	v_and_b32_e32 v9, s64, v4
	v_ffbl_b32_e32 v9, v9
	v_addc_co_u32_e32 v63, vcc, 0, v61, vcc
	v_lshlrev_b32_e32 v65, 2, v63
	ds_bpermute_b32 v66, v65, v6
	ds_bpermute_b32 v63, v65, v7
	v_min_u32_e32 v9, v9, v62
	v_cmp_lt_u32_e32 vcc, v3, v9
	v_mov_b32_e32 v62, v7
	s_and_saveexec_b64 s[64:65], vcc
	s_cbranch_execz .LBB184_161
; %bb.160:
	s_mov_b32 s67, 1
	v_cmp_gt_u64_e32 vcc, s[66:67], v[6:7]
	v_and_b32_e32 v7, 1, v7
	s_waitcnt lgkmcnt(1)
	v_cndmask_b32_e32 v62, 1, v66, vcc
	v_mul_lo_u32 v6, v62, v6
	s_waitcnt lgkmcnt(0)
	v_and_b32_e32 v62, 1, v63
	v_cmp_eq_u32_e32 vcc, 1, v7
	s_nop 1
	v_cndmask_b32_e64 v7, v62, 1, vcc
	v_and_b32_e32 v62, 0xffff, v7
.LBB184_161:
	s_or_b64 exec, exec, s[64:65]
	v_cmp_gt_u32_e32 vcc, 62, v3
	v_add_u32_e32 v67, 2, v3
	s_waitcnt lgkmcnt(0)
	v_cndmask_b32_e64 v63, 0, 1, vcc
	v_lshlrev_b32_e32 v63, 1, v63
	v_add_lshl_u32 v66, v63, v61, 2
	ds_bpermute_b32 v68, v66, v6
	ds_bpermute_b32 v63, v66, v62
	v_cmp_le_u32_e32 vcc, v67, v9
	s_and_saveexec_b64 s[64:65], vcc
	s_cbranch_execz .LBB184_163
; %bb.162:
	v_cmp_eq_u16_e32 vcc, 0, v7
	v_and_b32_e32 v7, 1, v7
	s_waitcnt lgkmcnt(1)
	v_cndmask_b32_e32 v62, 1, v68, vcc
	v_mul_lo_u32 v6, v62, v6
	s_waitcnt lgkmcnt(0)
	v_and_b32_e32 v62, 1, v63
	v_cmp_eq_u32_e32 vcc, 1, v7
	s_nop 1
	v_cndmask_b32_e64 v7, v62, 1, vcc
	v_and_b32_e32 v62, 0xffff, v7
.LBB184_163:
	s_or_b64 exec, exec, s[64:65]
	v_cmp_gt_u32_e32 vcc, 60, v3
	v_add_u32_e32 v69, 4, v3
	s_waitcnt lgkmcnt(0)
	v_cndmask_b32_e64 v63, 0, 1, vcc
	v_lshlrev_b32_e32 v63, 2, v63
	v_add_lshl_u32 v68, v63, v61, 2
	ds_bpermute_b32 v70, v68, v6
	ds_bpermute_b32 v63, v68, v62
	v_cmp_le_u32_e32 vcc, v69, v9
	s_and_saveexec_b64 s[64:65], vcc
	s_cbranch_execz .LBB184_165
; %bb.164:
	v_cmp_eq_u16_e32 vcc, 0, v7
	v_and_b32_e32 v7, 1, v7
	s_waitcnt lgkmcnt(1)
	v_cndmask_b32_e32 v62, 1, v70, vcc
	v_mul_lo_u32 v6, v62, v6
	s_waitcnt lgkmcnt(0)
	v_and_b32_e32 v62, 1, v63
	v_cmp_eq_u32_e32 vcc, 1, v7
	s_nop 1
	v_cndmask_b32_e64 v7, v62, 1, vcc
	v_and_b32_e32 v62, 0xffff, v7
.LBB184_165:
	s_or_b64 exec, exec, s[64:65]
	v_cmp_gt_u32_e32 vcc, 56, v3
	v_add_u32_e32 v71, 8, v3
	s_waitcnt lgkmcnt(0)
	v_cndmask_b32_e64 v63, 0, 1, vcc
	v_lshlrev_b32_e32 v63, 3, v63
	v_add_lshl_u32 v70, v63, v61, 2
	ds_bpermute_b32 v72, v70, v6
	ds_bpermute_b32 v63, v70, v62
	v_cmp_le_u32_e32 vcc, v71, v9
	s_and_saveexec_b64 s[64:65], vcc
	s_cbranch_execz .LBB184_167
; %bb.166:
	v_cmp_eq_u16_e32 vcc, 0, v7
	v_and_b32_e32 v7, 1, v7
	s_waitcnt lgkmcnt(1)
	v_cndmask_b32_e32 v62, 1, v72, vcc
	v_mul_lo_u32 v6, v62, v6
	s_waitcnt lgkmcnt(0)
	v_and_b32_e32 v62, 1, v63
	v_cmp_eq_u32_e32 vcc, 1, v7
	s_nop 1
	v_cndmask_b32_e64 v7, v62, 1, vcc
	v_and_b32_e32 v62, 0xffff, v7
.LBB184_167:
	s_or_b64 exec, exec, s[64:65]
	v_cmp_gt_u32_e32 vcc, 48, v3
	v_add_u32_e32 v73, 16, v3
	s_waitcnt lgkmcnt(0)
	v_cndmask_b32_e64 v63, 0, 1, vcc
	v_lshlrev_b32_e32 v63, 4, v63
	v_add_lshl_u32 v72, v63, v61, 2
	ds_bpermute_b32 v74, v72, v6
	ds_bpermute_b32 v63, v72, v62
	v_cmp_le_u32_e32 vcc, v73, v9
	s_and_saveexec_b64 s[64:65], vcc
	s_cbranch_execz .LBB184_169
; %bb.168:
	v_cmp_eq_u16_e32 vcc, 0, v7
	v_and_b32_e32 v7, 1, v7
	s_waitcnt lgkmcnt(1)
	v_cndmask_b32_e32 v62, 1, v74, vcc
	v_mul_lo_u32 v6, v62, v6
	s_waitcnt lgkmcnt(0)
	v_and_b32_e32 v62, 1, v63
	v_cmp_eq_u32_e32 vcc, 1, v7
	s_nop 1
	v_cndmask_b32_e64 v7, v62, 1, vcc
	v_and_b32_e32 v62, 0xffff, v7
.LBB184_169:
	s_or_b64 exec, exec, s[64:65]
	v_cmp_gt_u32_e32 vcc, 32, v3
	v_add_u32_e32 v76, 32, v3
	s_waitcnt lgkmcnt(0)
	v_cndmask_b32_e64 v63, 0, 1, vcc
	v_lshlrev_b32_e32 v63, 5, v63
	v_add_lshl_u32 v75, v63, v61, 2
	ds_bpermute_b32 v63, v75, v6
	ds_bpermute_b32 v61, v75, v62
	v_cmp_le_u32_e32 vcc, v76, v9
	s_and_saveexec_b64 s[64:65], vcc
	s_cbranch_execz .LBB184_171
; %bb.170:
	v_cmp_eq_u16_e32 vcc, 0, v7
	v_and_b32_e32 v7, 1, v7
	s_waitcnt lgkmcnt(1)
	v_cndmask_b32_e32 v9, 1, v63, vcc
	v_mul_lo_u32 v6, v9, v6
	s_waitcnt lgkmcnt(0)
	v_and_b32_e32 v9, 1, v61
	v_cmp_eq_u32_e32 vcc, 1, v7
	s_nop 1
	v_cndmask_b32_e64 v7, v9, 1, vcc
.LBB184_171:
	s_or_b64 exec, exec, s[64:65]
	s_mov_b32 s64, 0
	s_mov_b32 s65, 1
	s_waitcnt lgkmcnt(0)
	v_mov_b32_e32 v61, 0
	v_mov_b32_e32 v78, 2
	s_branch .LBB184_173
.LBB184_172:                            ;   in Loop: Header=BB184_173 Depth=1
	s_or_b64 exec, exec, s[66:67]
	v_cmp_eq_u16_sdwa vcc, v74, v61 src0_sel:BYTE_0 src1_sel:DWORD
	v_and_b32_e32 v9, 1, v74
	v_and_b32_e32 v7, 1, v7
	v_cndmask_b32_e32 v6, 1, v6, vcc
	v_cmp_eq_u32_e32 vcc, 1, v9
	v_subrev_u32_e32 v60, 64, v60
	v_mul_lo_u32 v6, v6, v77
	v_cndmask_b32_e64 v7, v7, 1, vcc
.LBB184_173:                            ; =>This Loop Header: Depth=1
                                        ;     Child Loop BB184_176 Depth 2
                                        ;       Child Loop BB184_177 Depth 3
	v_cmp_ne_u16_sdwa s[66:67], v8, v78 src0_sel:BYTE_0 src1_sel:DWORD
	v_mov_b32_e32 v74, v7
	v_mov_b32_e32 v77, v6
	v_cndmask_b32_e64 v7, 0, 1, s[66:67]
	;;#ASMSTART
	;;#ASMEND
	s_nop 0
	v_cmp_ne_u32_e32 vcc, 0, v7
	s_cmp_lg_u64 vcc, exec
	s_cbranch_scc1 .LBB184_192
; %bb.174:                              ;   in Loop: Header=BB184_173 Depth=1
	s_waitcnt lgkmcnt(0)
	v_lshl_add_u64 v[62:63], v[60:61], 4, s[68:69]
	;;#ASMSTART
	global_load_dwordx4 v[6:9], v[62:63] off sc1	
s_waitcnt vmcnt(0)
	;;#ASMEND
	s_nop 0
	v_and_b32_e32 v9, 0xff0000, v6
	v_and_b32_e32 v79, 0xff000000, v6
	;; [unrolled: 1-line block ×3, first 2 shown]
	v_or_b32_sdwa v6, v6, v9 dst_sel:DWORD dst_unused:UNUSED_PAD src0_sel:WORD_0 src1_sel:DWORD
	v_or3_b32 v7, 0, 0, v7
	v_or3_b32 v6, v6, v79, 0
	v_cmp_eq_u16_sdwa s[76:77], v8, v61 src0_sel:BYTE_0 src1_sel:DWORD
	s_and_saveexec_b64 s[66:67], s[76:77]
	s_cbranch_execz .LBB184_180
; %bb.175:                              ;   in Loop: Header=BB184_173 Depth=1
	s_mov_b32 s71, 1
	s_mov_b64 s[76:77], 0
.LBB184_176:                            ;   Parent Loop BB184_173 Depth=1
                                        ; =>  This Loop Header: Depth=2
                                        ;       Child Loop BB184_177 Depth 3
	s_max_u32 s78, s71, 1
.LBB184_177:                            ;   Parent Loop BB184_173 Depth=1
                                        ;     Parent Loop BB184_176 Depth=2
                                        ; =>    This Inner Loop Header: Depth=3
	s_add_i32 s78, s78, -1
	s_cmp_eq_u32 s78, 0
	s_sleep 1
	s_cbranch_scc0 .LBB184_177
; %bb.178:                              ;   in Loop: Header=BB184_176 Depth=2
	s_cmp_lt_u32 s71, 32
	s_cselect_b64 s[78:79], -1, 0
	s_cmp_lg_u64 s[78:79], 0
	s_addc_u32 s71, s71, 0
	;;#ASMSTART
	global_load_dwordx4 v[6:9], v[62:63] off sc1	
s_waitcnt vmcnt(0)
	;;#ASMEND
	s_nop 0
	v_cmp_ne_u16_sdwa s[78:79], v8, v61 src0_sel:BYTE_0 src1_sel:DWORD
	s_or_b64 s[76:77], s[78:79], s[76:77]
	s_andn2_b64 exec, exec, s[76:77]
	s_cbranch_execnz .LBB184_176
; %bb.179:                              ;   in Loop: Header=BB184_173 Depth=1
	s_or_b64 exec, exec, s[76:77]
	v_and_b32_e32 v7, 0xff, v7
.LBB184_180:                            ;   in Loop: Header=BB184_173 Depth=1
	s_or_b64 exec, exec, s[66:67]
	v_cmp_eq_u16_sdwa s[66:67], v8, v78 src0_sel:BYTE_0 src1_sel:DWORD
	ds_bpermute_b32 v79, v65, v6
	ds_bpermute_b32 v63, v65, v7
	v_and_b32_e32 v9, s67, v5
	v_or_b32_e32 v9, 0x80000000, v9
	v_and_b32_e32 v62, s66, v4
	v_ffbl_b32_e32 v9, v9
	v_add_u32_e32 v9, 32, v9
	v_ffbl_b32_e32 v62, v62
	v_min_u32_e32 v9, v62, v9
	v_cmp_lt_u32_e32 vcc, v3, v9
	v_mov_b32_e32 v62, v7
	s_and_saveexec_b64 s[66:67], vcc
	s_cbranch_execz .LBB184_182
; %bb.181:                              ;   in Loop: Header=BB184_173 Depth=1
	v_cmp_gt_u64_e32 vcc, s[64:65], v[6:7]
	v_and_b32_e32 v7, 1, v7
	s_waitcnt lgkmcnt(1)
	v_cndmask_b32_e32 v62, 1, v79, vcc
	v_mul_lo_u32 v6, v62, v6
	s_waitcnt lgkmcnt(0)
	v_and_b32_e32 v62, 1, v63
	v_cmp_eq_u32_e32 vcc, 1, v7
	s_nop 1
	v_cndmask_b32_e64 v7, v62, 1, vcc
	v_and_b32_e32 v62, 0xffff, v7
.LBB184_182:                            ;   in Loop: Header=BB184_173 Depth=1
	s_or_b64 exec, exec, s[66:67]
	s_waitcnt lgkmcnt(1)
	ds_bpermute_b32 v79, v66, v6
	s_waitcnt lgkmcnt(1)
	ds_bpermute_b32 v63, v66, v62
	v_cmp_le_u32_e32 vcc, v67, v9
	s_and_saveexec_b64 s[66:67], vcc
	s_cbranch_execz .LBB184_184
; %bb.183:                              ;   in Loop: Header=BB184_173 Depth=1
	v_cmp_eq_u16_e32 vcc, 0, v7
	v_and_b32_e32 v7, 1, v7
	s_waitcnt lgkmcnt(1)
	v_cndmask_b32_e32 v62, 1, v79, vcc
	v_mul_lo_u32 v6, v62, v6
	s_waitcnt lgkmcnt(0)
	v_and_b32_e32 v62, 1, v63
	v_cmp_eq_u32_e32 vcc, 1, v7
	s_nop 1
	v_cndmask_b32_e64 v7, v62, 1, vcc
	v_and_b32_e32 v62, 0xffff, v7
.LBB184_184:                            ;   in Loop: Header=BB184_173 Depth=1
	s_or_b64 exec, exec, s[66:67]
	s_waitcnt lgkmcnt(1)
	ds_bpermute_b32 v79, v68, v6
	s_waitcnt lgkmcnt(1)
	ds_bpermute_b32 v63, v68, v62
	v_cmp_le_u32_e32 vcc, v69, v9
	s_and_saveexec_b64 s[66:67], vcc
	s_cbranch_execz .LBB184_186
; %bb.185:                              ;   in Loop: Header=BB184_173 Depth=1
	v_cmp_eq_u16_e32 vcc, 0, v7
	v_and_b32_e32 v7, 1, v7
	s_waitcnt lgkmcnt(1)
	v_cndmask_b32_e32 v62, 1, v79, vcc
	v_mul_lo_u32 v6, v62, v6
	s_waitcnt lgkmcnt(0)
	v_and_b32_e32 v62, 1, v63
	v_cmp_eq_u32_e32 vcc, 1, v7
	s_nop 1
	v_cndmask_b32_e64 v7, v62, 1, vcc
	v_and_b32_e32 v62, 0xffff, v7
.LBB184_186:                            ;   in Loop: Header=BB184_173 Depth=1
	;; [unrolled: 21-line block ×4, first 2 shown]
	s_or_b64 exec, exec, s[66:67]
	s_waitcnt lgkmcnt(0)
	ds_bpermute_b32 v63, v75, v6
	ds_bpermute_b32 v62, v75, v62
	v_cmp_le_u32_e32 vcc, v76, v9
	s_and_saveexec_b64 s[66:67], vcc
	s_cbranch_execz .LBB184_172
; %bb.191:                              ;   in Loop: Header=BB184_173 Depth=1
	v_cmp_eq_u16_e32 vcc, 0, v7
	v_and_b32_e32 v7, 1, v7
	s_waitcnt lgkmcnt(1)
	v_cndmask_b32_e32 v9, 1, v63, vcc
	v_cmp_eq_u32_e32 vcc, 1, v7
	v_mul_lo_u32 v6, v9, v6
	s_waitcnt lgkmcnt(0)
	v_cndmask_b32_e64 v7, v62, 1, vcc
	s_branch .LBB184_172
.LBB184_192:                            ;   in Loop: Header=BB184_173 Depth=1
                                        ; implicit-def: $vgpr7
	s_cbranch_execz .LBB184_173
; %bb.193:
	s_and_saveexec_b64 s[64:65], s[52:53]
	s_cbranch_execz .LBB184_195
; %bb.194:
	s_and_b32 s52, s3, 0xff
	s_cmp_eq_u32 s52, 0
	s_cselect_b64 vcc, -1, 0
	s_bitcmp1_b32 s3, 0
	s_mov_b32 s53, 0
	s_cselect_b64 s[66:67], -1, 0
	s_add_i32 s52, s2, 64
	s_lshl_b64 s[2:3], s[52:53], 4
	v_cndmask_b32_e32 v3, 1, v77, vcc
	s_add_u32 s2, s68, s2
	v_mul_lo_u32 v2, v3, v2
	v_and_b32_e32 v3, 1, v74
	s_addc_u32 s3, s69, s3
	v_cndmask_b32_e64 v3, v3, 1, s[66:67]
	v_mov_b32_e32 v4, 2
	v_mov_b32_e32 v5, 0
	v_mov_b64_e32 v[6:7], s[2:3]
	;;#ASMSTART
	global_store_dwordx4 v[6:7], v[2:5] off sc1	
s_waitcnt vmcnt(0)
	;;#ASMEND
.LBB184_195:
	s_or_b64 exec, exec, s[64:65]
	s_and_b64 exec, exec, s[50:51]
	s_cbranch_execz .LBB184_197
; %bb.196:
	v_mov_b32_e32 v2, 0
	ds_write_b32 v2, v77
	ds_write_b8 v2, v74 offset:4
.LBB184_197:
	s_or_b64 exec, exec, s[60:61]
	v_mov_b32_e32 v2, 0
	s_waitcnt lgkmcnt(0)
	s_barrier
	ds_read_b32 v3, v2
	v_mov_b32_e32 v4, v10
	s_and_saveexec_b64 s[2:3], s[48:49]
; %bb.198:
	v_and_b32_e32 v4, 1, v11
	s_mov_b32 s48, 0
	s_mov_b32 s49, 1
	v_and_b32_e32 v5, 1, v64
	v_cmp_eq_u32_e32 vcc, 1, v4
	s_nop 1
	v_cndmask_b32_e64 v58, v5, 1, vcc
	v_cmp_gt_u64_e32 vcc, s[48:49], v[10:11]
	s_nop 1
	v_cndmask_b32_e32 v4, 1, v59, vcc
	v_mul_lo_u32 v4, v4, v10
; %bb.199:
	s_or_b64 exec, exec, s[2:3]
	v_cmp_eq_u16_sdwa vcc, v58, v2 src0_sel:BYTE_0 src1_sel:DWORD
	s_waitcnt lgkmcnt(0)
	s_nop 0
	v_cndmask_b32_e32 v2, 1, v3, vcc
	v_mul_lo_u32 v80, v2, v4
	v_cndmask_b32_e64 v2, 1, v80, s[54:55]
	v_mul_lo_u32 v58, v2, v12
	v_cndmask_b32_e64 v2, 1, v58, s[4:5]
	;; [unrolled: 2-line block ×22, first 2 shown]
	v_mul_lo_u32 v79, v2, v56
	s_branch .LBB184_222
.LBB184_200:
                                        ; implicit-def: $vgpr78
                                        ; implicit-def: $vgpr77
                                        ; implicit-def: $vgpr76
                                        ; implicit-def: $vgpr75
                                        ; implicit-def: $vgpr74
                                        ; implicit-def: $vgpr73
                                        ; implicit-def: $vgpr72
                                        ; implicit-def: $vgpr71
                                        ; implicit-def: $vgpr70
                                        ; implicit-def: $vgpr69
                                        ; implicit-def: $vgpr68
                                        ; implicit-def: $vgpr67
                                        ; implicit-def: $vgpr66
                                        ; implicit-def: $vgpr65
                                        ; implicit-def: $vgpr64
                                        ; implicit-def: $vgpr63
                                        ; implicit-def: $vgpr62
                                        ; implicit-def: $vgpr61
                                        ; implicit-def: $vgpr60
                                        ; implicit-def: $vgpr59
                                        ; implicit-def: $vgpr58
                                        ; implicit-def: $vgpr80
                                        ; implicit-def: $vgpr79
	s_cbranch_execz .LBB184_222
; %bb.201:
	s_cmp_lg_u64 s[74:75], 0
	s_cselect_b32 s5, s63, 0
	s_cselect_b32 s4, s62, 0
	s_cmp_lg_u64 s[4:5], 0
	s_cselect_b64 s[6:7], -1, 0
	v_cmp_eq_u32_e32 vcc, 0, v0
	s_mov_b32 s48, 0
	v_cmp_ne_u32_e64 s[2:3], 0, v0
	s_and_b64 s[8:9], vcc, s[6:7]
	s_and_saveexec_b64 s[6:7], s[8:9]
	s_cbranch_execz .LBB184_203
; %bb.202:
	v_mov_b32_e32 v2, 0
	global_load_dword v4, v2, s[4:5]
	global_load_ubyte v5, v2, s[4:5] offset:4
	s_mov_b32 s49, 1
	v_and_b32_e32 v3, 1, v11
	v_cmp_gt_u64_e64 s[4:5], s[48:49], v[10:11]
	s_waitcnt vmcnt(0)
	v_and_b32_e32 v5, 1, v5
	v_cndmask_b32_e64 v4, 1, v4, s[4:5]
	v_cmp_eq_u64_e64 s[4:5], 0, v[2:3]
	v_mul_lo_u32 v10, v4, v10
	s_nop 0
	v_cndmask_b32_e64 v11, 1, v5, s[4:5]
.LBB184_203:
	s_or_b64 exec, exec, s[6:7]
	s_mov_b32 s49, 1
	v_cmp_gt_u64_e64 s[4:5], s[48:49], v[12:13]
	v_cmp_gt_u64_e64 s[6:7], s[48:49], v[14:15]
	v_cmp_gt_u64_e64 s[8:9], s[48:49], v[16:17]
	v_cndmask_b32_e64 v2, 1, v10, s[4:5]
	v_mul_lo_u32 v58, v2, v12
	v_cndmask_b32_e64 v2, 1, v58, s[6:7]
	v_mul_lo_u32 v59, v2, v14
	v_cndmask_b32_e64 v2, 1, v59, s[8:9]
	v_mul_lo_u32 v60, v2, v16
	v_cmp_gt_u64_e64 s[10:11], s[48:49], v[18:19]
	v_cmp_gt_u64_e64 s[12:13], s[48:49], v[20:21]
	v_cmp_gt_u64_e64 s[14:15], s[48:49], v[22:23]
	v_cndmask_b32_e64 v2, 1, v60, s[10:11]
	v_mul_lo_u32 v61, v2, v18
	v_cndmask_b32_e64 v2, 1, v61, s[12:13]
	v_mul_lo_u32 v62, v2, v20
	v_cndmask_b32_e64 v2, 1, v62, s[14:15]
	v_mul_lo_u32 v63, v2, v22
	;; [unrolled: 9-line block ×7, first 2 shown]
	v_cmp_gt_u64_e64 s[48:49], s[48:49], v[56:57]
	v_add_lshl_u32 v1, v1, v0, 3
	s_nop 0
	v_cndmask_b32_e64 v2, 1, v78, s[48:49]
	v_mul_lo_u32 v79, v2, v56
	v_or3_b32 v2, v55, v51, v49
	v_or3_b32 v2, v2, v47, v45
	v_or3_b32 v2, v2, v43, v41
	v_or3_b32 v2, v2, v39, v37
	v_or3_b32 v2, v2, v35, v33
	v_or3_b32 v2, v2, v31, v29
	v_or3_b32 v2, v2, v27, v25
	v_or3_b32 v2, v2, v23, v21
	v_or3_b32 v2, v2, v19, v17
	v_or3_b32 v2, v2, v15, v13
	v_and_b32_e32 v2, 1, v2
	v_cmp_eq_u32_e64 s[50:51], 1, v2
	s_nop 1
	v_cndmask_b32_e64 v4, v11, 1, s[50:51]
	v_cmp_gt_u32_e64 s[50:51], 64, v0
	ds_write_b32 v1, v79
	ds_write_b8 v1, v4 offset:4
	s_waitcnt lgkmcnt(0)
	s_barrier
	s_and_saveexec_b64 s[52:53], s[50:51]
	s_cbranch_execz .LBB184_217
; %bb.204:
	v_lshrrev_b32_e32 v1, 3, v0
	v_add_lshl_u32 v1, v1, v54, 3
	ds_read2_b32 v[6:7], v1 offset0:2 offset1:4
	ds_read_b64 v[2:3], v1
	ds_read_u8 v8, v1 offset:12
	ds_read_u8 v9, v1 offset:20
	ds_read_b32 v13, v1 offset:24
	ds_read_u8 v15, v1 offset:28
	v_mov_b32_e32 v17, 0
	s_waitcnt lgkmcnt(3)
	v_cmp_eq_u16_sdwa s[50:51], v8, v17 src0_sel:BYTE_0 src1_sel:DWORD
	v_and_b32_e32 v5, 1, v3
	s_nop 0
	v_cndmask_b32_e64 v19, 1, v2, s[50:51]
	v_mul_lo_u32 v6, v19, v6
	s_waitcnt lgkmcnt(2)
	v_cmp_eq_u16_sdwa s[50:51], v9, v17 src0_sel:BYTE_0 src1_sel:DWORD
	s_nop 1
	v_cndmask_b32_e64 v6, 1, v6, s[50:51]
	v_mul_lo_u32 v6, v6, v7
	s_waitcnt lgkmcnt(0)
	v_or_b32_e32 v7, v15, v9
	v_or_b32_e32 v7, v7, v8
	v_cmp_eq_u16_e64 s[50:51], 0, v15
	v_and_b32_e32 v7, 1, v7
	v_mbcnt_lo_u32_b32 v8, -1, 0
	v_cndmask_b32_e64 v6, 1, v6, s[50:51]
	v_cmp_eq_u32_e64 s[50:51], 1, v7
	v_and_b32_e32 v7, 0xffffff00, v3
	v_mbcnt_hi_u32_b32 v8, -1, v8
	v_cndmask_b32_e64 v9, v5, 1, s[50:51]
	v_mul_lo_u32 v6, v6, v13
	v_and_b32_e32 v15, 15, v8
	v_or_b32_sdwa v13, v7, v9 dst_sel:DWORD dst_unused:UNUSED_PAD src0_sel:DWORD src1_sel:WORD_0
	v_mov_b32_dpp v19, v6 row_shr:1 row_mask:0xf bank_mask:0xf
	v_cmp_ne_u32_e64 s[50:51], 0, v15
	v_mov_b32_dpp v17, v13 row_shr:1 row_mask:0xf bank_mask:0xf
	s_and_saveexec_b64 s[54:55], s[50:51]
; %bb.205:
	v_cmp_eq_u16_e64 s[50:51], 0, v9
	v_and_b32_e32 v9, 1, v9
	s_nop 0
	v_cndmask_b32_e64 v13, 1, v19, s[50:51]
	v_mul_lo_u32 v6, v13, v6
	v_and_b32_e32 v13, 1, v17
	v_cmp_eq_u32_e64 s[50:51], 1, v9
	s_nop 1
	v_cndmask_b32_e64 v9, v13, 1, s[50:51]
	v_or_b32_sdwa v13, v7, v9 dst_sel:DWORD dst_unused:UNUSED_PAD src0_sel:DWORD src1_sel:WORD_0
; %bb.206:
	s_or_b64 exec, exec, s[54:55]
	v_mov_b32_dpp v19, v6 row_shr:2 row_mask:0xf bank_mask:0xf
	v_mov_b32_dpp v17, v13 row_shr:2 row_mask:0xf bank_mask:0xf
	v_cmp_lt_u32_e64 s[50:51], 1, v15
	s_and_saveexec_b64 s[54:55], s[50:51]
; %bb.207:
	v_cmp_eq_u16_e64 s[50:51], 0, v9
	v_and_b32_e32 v9, 1, v9
	s_nop 0
	v_cndmask_b32_e64 v13, 1, v19, s[50:51]
	v_mul_lo_u32 v6, v13, v6
	v_and_b32_e32 v13, 1, v17
	v_cmp_eq_u32_e64 s[50:51], 1, v9
	s_nop 1
	v_cndmask_b32_e64 v9, v13, 1, s[50:51]
	v_or_b32_sdwa v13, v7, v9 dst_sel:DWORD dst_unused:UNUSED_PAD src0_sel:DWORD src1_sel:WORD_0
; %bb.208:
	s_or_b64 exec, exec, s[54:55]
	v_mov_b32_dpp v19, v6 row_shr:4 row_mask:0xf bank_mask:0xf
	v_mov_b32_dpp v17, v13 row_shr:4 row_mask:0xf bank_mask:0xf
	v_cmp_lt_u32_e64 s[50:51], 3, v15
	;; [unrolled: 17-line block ×3, first 2 shown]
	s_and_saveexec_b64 s[54:55], s[50:51]
; %bb.211:
	v_cmp_eq_u16_e64 s[50:51], 0, v9
	v_and_b32_e32 v9, 1, v9
	s_nop 0
	v_cndmask_b32_e64 v13, 1, v19, s[50:51]
	v_mul_lo_u32 v6, v13, v6
	v_and_b32_e32 v13, 1, v17
	v_cmp_eq_u32_e64 s[50:51], 1, v9
	s_nop 1
	v_cndmask_b32_e64 v9, v13, 1, s[50:51]
	v_or_b32_sdwa v13, v7, v9 dst_sel:DWORD dst_unused:UNUSED_PAD src0_sel:DWORD src1_sel:WORD_0
; %bb.212:
	s_or_b64 exec, exec, s[54:55]
	v_and_b32_e32 v19, 16, v8
	v_mov_b32_dpp v17, v6 row_bcast:15 row_mask:0xf bank_mask:0xf
	v_mov_b32_dpp v15, v13 row_bcast:15 row_mask:0xf bank_mask:0xf
	v_cmp_ne_u32_e64 s[50:51], 0, v19
	s_and_saveexec_b64 s[54:55], s[50:51]
; %bb.213:
	v_cmp_eq_u16_e64 s[50:51], 0, v9
	v_and_b32_e32 v9, 1, v9
	s_nop 0
	v_cndmask_b32_e64 v13, 1, v17, s[50:51]
	v_mul_lo_u32 v6, v13, v6
	v_and_b32_e32 v13, 1, v15
	v_cmp_eq_u32_e64 s[50:51], 1, v9
	s_nop 1
	v_cndmask_b32_e64 v9, v13, 1, s[50:51]
	v_or_b32_sdwa v13, v7, v9 dst_sel:DWORD dst_unused:UNUSED_PAD src0_sel:DWORD src1_sel:WORD_0
; %bb.214:
	s_or_b64 exec, exec, s[54:55]
	v_mov_b32_dpp v15, v6 row_bcast:31 row_mask:0xf bank_mask:0xf
	v_mov_b32_dpp v13, v13 row_bcast:31 row_mask:0xf bank_mask:0xf
	v_cmp_lt_u32_e64 s[50:51], 31, v8
	s_and_saveexec_b64 s[54:55], s[50:51]
; %bb.215:
	v_cmp_eq_u16_e64 s[50:51], 0, v9
	v_and_b32_e32 v9, 1, v9
	v_and_b32_e32 v13, 1, v13
	v_cndmask_b32_e64 v15, 1, v15, s[50:51]
	v_cmp_eq_u32_e64 s[50:51], 1, v9
	v_mul_lo_u32 v6, v15, v6
	s_nop 0
	v_cndmask_b32_e64 v9, v13, 1, s[50:51]
; %bb.216:
	s_or_b64 exec, exec, s[54:55]
	v_add_u32_e32 v13, -1, v8
	v_and_b32_e32 v15, 64, v8
	v_cmp_lt_i32_e64 s[50:51], v13, v15
	v_or_b32_sdwa v7, v7, v9 dst_sel:DWORD dst_unused:UNUSED_PAD src0_sel:DWORD src1_sel:WORD_0
	s_nop 0
	v_cndmask_b32_e64 v8, v13, v8, s[50:51]
	v_lshlrev_b32_e32 v8, 2, v8
	ds_bpermute_b32 v6, v8, v6
	ds_bpermute_b32 v7, v8, v7
	v_mov_b32_e32 v8, 0
	v_cmp_eq_u16_sdwa s[50:51], v3, v8 src0_sel:BYTE_0 src1_sel:DWORD
	; wave barrier
	s_waitcnt lgkmcnt(1)
	s_nop 0
	v_cndmask_b32_e64 v3, 1, v6, s[50:51]
	v_mul_lo_u32 v2, v3, v2
	s_waitcnt lgkmcnt(0)
	v_and_b32_e32 v3, 1, v7
	v_cmp_eq_u32_e64 s[50:51], 1, v5
	v_cndmask_b32_e32 v5, v2, v79, vcc
	s_nop 0
	v_cndmask_b32_e64 v3, v3, 1, s[50:51]
	v_cndmask_b32_e32 v4, v3, v4, vcc
	ds_write_b32 v1, v5
	ds_write_b8 v1, v4 offset:4
	; wave barrier
	ds_read_u8 v6, v1 offset:12
	ds_read2_b32 v[2:3], v1 offset0:2 offset1:4
	ds_read_u8 v7, v1 offset:20
	ds_read_b32 v8, v1 offset:24
	ds_read_u8 v9, v1 offset:28
	s_waitcnt lgkmcnt(4)
	v_cmp_eq_u16_e64 s[50:51], 0, v6
	s_nop 1
	v_cndmask_b32_e64 v5, 1, v5, s[50:51]
	s_waitcnt lgkmcnt(3)
	v_mul_lo_u32 v2, v5, v2
	v_and_b32_e32 v5, 1, v6
	v_cmp_eq_u32_e64 s[50:51], 1, v5
	s_nop 1
	v_cndmask_b32_e64 v4, v4, 1, s[50:51]
	s_waitcnt lgkmcnt(2)
	v_cmp_eq_u16_e64 s[50:51], 0, v7
	ds_write_b8 v1, v4 offset:12
	s_nop 0
	v_cndmask_b32_e64 v5, 1, v2, s[50:51]
	v_mul_lo_u32 v3, v5, v3
	v_and_b32_e32 v5, 1, v7
	v_cmp_eq_u32_e64 s[50:51], 1, v5
	s_nop 1
	v_cndmask_b32_e64 v4, v4, 1, s[50:51]
	s_waitcnt lgkmcnt(1)
	v_cmp_eq_u16_e64 s[50:51], 0, v9
	ds_write2_b32 v1, v2, v3 offset0:2 offset1:4
	ds_write_b8 v1, v4 offset:20
	v_cndmask_b32_e64 v2, 1, v3, s[50:51]
	v_and_b32_e32 v3, 1, v9
	v_mul_lo_u32 v2, v2, v8
	v_cmp_eq_u32_e64 s[50:51], 1, v3
	s_nop 1
	v_cndmask_b32_e64 v3, v4, 1, s[50:51]
	ds_write_b32 v1, v2 offset:24
	ds_write_b8 v1, v3 offset:28
.LBB184_217:
	s_or_b64 exec, exec, s[52:53]
	v_mov_b32_e32 v1, v79
	s_waitcnt lgkmcnt(0)
	s_barrier
	s_and_saveexec_b64 s[50:51], s[2:3]
	s_cbranch_execnz .LBB184_295
; %bb.218:
	s_or_b64 exec, exec, s[50:51]
	s_and_saveexec_b64 s[50:51], s[2:3]
	s_cbranch_execnz .LBB184_296
.LBB184_219:
	s_or_b64 exec, exec, s[50:51]
	s_and_saveexec_b64 s[2:3], vcc
	s_cbranch_execz .LBB184_221
.LBB184_220:
	v_mov_b32_e32 v5, 0
	ds_read_b32 v2, v5 offset:2096
	ds_read_u8 v3, v5 offset:2100
	s_add_u32 s4, s68, 0x400
	s_addc_u32 s5, s69, 0
	v_mov_b32_e32 v4, 2
	v_mov_b64_e32 v[6:7], s[4:5]
	s_waitcnt lgkmcnt(0)
	;;#ASMSTART
	global_store_dwordx4 v[6:7], v[2:5] off sc1	
s_waitcnt vmcnt(0)
	;;#ASMEND
.LBB184_221:
	s_or_b64 exec, exec, s[2:3]
	v_mov_b32_e32 v80, v10
.LBB184_222:
	s_add_u32 s2, s58, s72
	s_addc_u32 s3, s59, s73
	s_add_u32 s2, s2, s56
	s_addc_u32 s3, s3, s57
	s_and_b64 vcc, exec, s[0:1]
	s_cbranch_vccz .LBB184_268
; %bb.223:
	s_movk_i32 s0, 0x5c
	v_mul_i32_i24_e32 v26, 0xffffffa8, v0
	s_waitcnt lgkmcnt(0)
	v_mul_u32_u24_e32 v1, 0x5c, v0
	v_mad_u32_u24 v2, v0, s0, v26
	s_barrier
	ds_write2_b32 v1, v80, v58 offset1:1
	ds_write2_b32 v1, v59, v60 offset0:2 offset1:3
	ds_write2_b32 v1, v61, v62 offset0:4 offset1:5
	;; [unrolled: 1-line block ×10, first 2 shown]
	ds_write_b32 v1, v79 offset:88
	s_waitcnt lgkmcnt(0)
	s_barrier
	ds_read2st64_b32 v[24:25], v2 offset0:4 offset1:8
	ds_read2st64_b32 v[22:23], v2 offset0:12 offset1:16
	;; [unrolled: 1-line block ×11, first 2 shown]
	s_add_i32 s33, s33, s70
	v_mov_b32_e32 v55, 0
	v_lshl_add_u64 v[4:5], s[2:3], 0, v[54:55]
	v_cmp_gt_u32_e32 vcc, s33, v0
	s_and_saveexec_b64 s[0:1], vcc
	s_cbranch_execz .LBB184_225
; %bb.224:
	v_add_u32_e32 v1, v1, v26
	ds_read_b32 v1, v1
	s_waitcnt lgkmcnt(0)
	flat_store_dword v[4:5], v1
.LBB184_225:
	s_or_b64 exec, exec, s[0:1]
	v_or_b32_e32 v1, 0x100, v0
	v_cmp_gt_u32_e32 vcc, s33, v1
	s_and_saveexec_b64 s[0:1], vcc
	s_cbranch_execz .LBB184_227
; %bb.226:
	s_waitcnt lgkmcnt(0)
	flat_store_dword v[4:5], v24 offset:1024
.LBB184_227:
	s_or_b64 exec, exec, s[0:1]
	v_or_b32_e32 v1, 0x200, v0
	v_cmp_gt_u32_e32 vcc, s33, v1
	s_and_saveexec_b64 s[0:1], vcc
	s_cbranch_execz .LBB184_229
; %bb.228:
	s_waitcnt lgkmcnt(0)
	flat_store_dword v[4:5], v25 offset:2048
.LBB184_229:
	;; [unrolled: 9-line block ×3, first 2 shown]
	s_or_b64 exec, exec, s[0:1]
	v_or_b32_e32 v1, 0x400, v0
	v_cmp_gt_u32_e32 vcc, s33, v1
	s_and_saveexec_b64 s[0:1], vcc
	s_cbranch_execz .LBB184_233
; %bb.232:
	s_waitcnt lgkmcnt(0)
	v_add_co_u32_e32 v24, vcc, 0x1000, v4
	s_nop 1
	v_addc_co_u32_e32 v25, vcc, 0, v5, vcc
	flat_store_dword v[24:25], v23
.LBB184_233:
	s_or_b64 exec, exec, s[0:1]
	v_or_b32_e32 v1, 0x500, v0
	v_cmp_gt_u32_e32 vcc, s33, v1
	s_and_saveexec_b64 s[0:1], vcc
	s_cbranch_execz .LBB184_235
; %bb.234:
	s_waitcnt lgkmcnt(0)
	v_add_co_u32_e32 v22, vcc, 0x1000, v4
	s_nop 1
	v_addc_co_u32_e32 v23, vcc, 0, v5, vcc
	flat_store_dword v[22:23], v20 offset:1024
.LBB184_235:
	s_or_b64 exec, exec, s[0:1]
	v_or_b32_e32 v1, 0x600, v0
	v_cmp_gt_u32_e32 vcc, s33, v1
	s_and_saveexec_b64 s[0:1], vcc
	s_cbranch_execz .LBB184_237
; %bb.236:
	s_waitcnt lgkmcnt(0)
	v_add_co_u32_e32 v22, vcc, 0x1000, v4
	s_nop 1
	v_addc_co_u32_e32 v23, vcc, 0, v5, vcc
	flat_store_dword v[22:23], v21 offset:2048
.LBB184_237:
	s_or_b64 exec, exec, s[0:1]
	v_or_b32_e32 v1, 0x700, v0
	v_cmp_gt_u32_e32 vcc, s33, v1
	s_and_saveexec_b64 s[0:1], vcc
	s_cbranch_execz .LBB184_239
; %bb.238:
	s_waitcnt lgkmcnt(0)
	v_add_co_u32_e32 v20, vcc, 0x1000, v4
	s_nop 1
	v_addc_co_u32_e32 v21, vcc, 0, v5, vcc
	flat_store_dword v[20:21], v18 offset:3072
.LBB184_239:
	s_or_b64 exec, exec, s[0:1]
	v_or_b32_e32 v1, 0x800, v0
	v_cmp_gt_u32_e32 vcc, s33, v1
	s_and_saveexec_b64 s[0:1], vcc
	s_cbranch_execz .LBB184_241
; %bb.240:
	s_waitcnt lgkmcnt(0)
	v_add_co_u32_e32 v20, vcc, 0x2000, v4
	s_nop 1
	v_addc_co_u32_e32 v21, vcc, 0, v5, vcc
	flat_store_dword v[20:21], v19
.LBB184_241:
	s_or_b64 exec, exec, s[0:1]
	v_or_b32_e32 v1, 0x900, v0
	v_cmp_gt_u32_e32 vcc, s33, v1
	s_and_saveexec_b64 s[0:1], vcc
	s_cbranch_execz .LBB184_243
; %bb.242:
	s_waitcnt lgkmcnt(0)
	v_add_co_u32_e32 v18, vcc, 0x2000, v4
	s_nop 1
	v_addc_co_u32_e32 v19, vcc, 0, v5, vcc
	flat_store_dword v[18:19], v16 offset:1024
.LBB184_243:
	s_or_b64 exec, exec, s[0:1]
	v_or_b32_e32 v1, 0xa00, v0
	v_cmp_gt_u32_e32 vcc, s33, v1
	s_and_saveexec_b64 s[0:1], vcc
	s_cbranch_execz .LBB184_245
; %bb.244:
	s_waitcnt lgkmcnt(0)
	v_add_co_u32_e32 v18, vcc, 0x2000, v4
	s_nop 1
	v_addc_co_u32_e32 v19, vcc, 0, v5, vcc
	flat_store_dword v[18:19], v17 offset:2048
.LBB184_245:
	s_or_b64 exec, exec, s[0:1]
	v_or_b32_e32 v1, 0xb00, v0
	v_cmp_gt_u32_e32 vcc, s33, v1
	s_and_saveexec_b64 s[0:1], vcc
	s_cbranch_execz .LBB184_247
; %bb.246:
	s_waitcnt lgkmcnt(0)
	v_add_co_u32_e32 v16, vcc, 0x2000, v4
	s_nop 1
	v_addc_co_u32_e32 v17, vcc, 0, v5, vcc
	flat_store_dword v[16:17], v14 offset:3072
.LBB184_247:
	;; [unrolled: 48-line block ×4, first 2 shown]
	s_or_b64 exec, exec, s[0:1]
	v_or_b32_e32 v1, 0x1400, v0
	v_cmp_gt_u32_e32 vcc, s33, v1
	s_and_saveexec_b64 s[0:1], vcc
	s_cbranch_execz .LBB184_265
; %bb.264:
	s_waitcnt lgkmcnt(0)
	v_add_co_u32_e32 v8, vcc, 0x5000, v4
	s_nop 1
	v_addc_co_u32_e32 v9, vcc, 0, v5, vcc
	flat_store_dword v[8:9], v7
.LBB184_265:
	s_or_b64 exec, exec, s[0:1]
	v_or_b32_e32 v1, 0x1500, v0
	v_cmp_gt_u32_e32 vcc, s33, v1
	s_and_saveexec_b64 s[0:1], vcc
	s_cbranch_execz .LBB184_267
; %bb.266:
	v_add_co_u32_e32 v4, vcc, 0x5000, v4
	s_nop 1
	v_addc_co_u32_e32 v5, vcc, 0, v5, vcc
	s_waitcnt lgkmcnt(0)
	flat_store_dword v[4:5], v2 offset:1024
.LBB184_267:
	s_or_b64 exec, exec, s[0:1]
	s_waitcnt lgkmcnt(0)
	v_or_b32_e32 v2, 0x1600, v0
	v_mov_b32_e32 v1, v55
	v_cmp_gt_u32_e64 s[0:1], s33, v2
	s_branch .LBB184_270
.LBB184_268:
	s_mov_b64 s[0:1], 0
                                        ; implicit-def: $vgpr3
	s_cbranch_execz .LBB184_270
; %bb.269:
	s_waitcnt lgkmcnt(0)
	v_mul_u32_u24_e32 v1, 0x5c, v0
	s_barrier
	s_movk_i32 s4, 0x5c
	ds_write2_b32 v1, v80, v58 offset1:1
	ds_write2_b32 v1, v59, v60 offset0:2 offset1:3
	ds_write2_b32 v1, v61, v62 offset0:4 offset1:5
	;; [unrolled: 1-line block ×10, first 2 shown]
	ds_write_b32 v1, v79 offset:88
	v_mov_b32_e32 v1, 0
	v_mul_i32_i24_e32 v2, 0xffffffa8, v0
	v_mad_u32_u24 v2, v0, s4, v2
	v_mov_b32_e32 v55, v1
	s_waitcnt lgkmcnt(0)
	s_barrier
	ds_read2st64_b32 v[4:5], v2 offset1:4
	ds_read2st64_b32 v[6:7], v2 offset0:8 offset1:12
	ds_read2st64_b32 v[8:9], v2 offset0:16 offset1:20
	;; [unrolled: 1-line block ×10, first 2 shown]
	ds_read_b32 v3, v2 offset:22528
	v_lshl_add_u64 v[26:27], s[2:3], 0, v[54:55]
	s_movk_i32 s4, 0x1000
	s_waitcnt lgkmcnt(0)
	flat_store_dword v[26:27], v4
	flat_store_dword v[26:27], v5 offset:1024
	flat_store_dword v[26:27], v6 offset:2048
	;; [unrolled: 1-line block ×3, first 2 shown]
	v_add_co_u32_e32 v4, vcc, s4, v26
	s_movk_i32 s4, 0x2000
	s_nop 0
	v_addc_co_u32_e32 v5, vcc, 0, v27, vcc
	flat_store_dword v[4:5], v8
	flat_store_dword v[4:5], v9 offset:1024
	flat_store_dword v[4:5], v10 offset:2048
	;; [unrolled: 1-line block ×3, first 2 shown]
	v_add_co_u32_e32 v4, vcc, s4, v26
	s_movk_i32 s4, 0x3000
	s_nop 0
	v_addc_co_u32_e32 v5, vcc, 0, v27, vcc
	flat_store_dword v[4:5], v12
	flat_store_dword v[4:5], v13 offset:1024
	flat_store_dword v[4:5], v14 offset:2048
	;; [unrolled: 1-line block ×3, first 2 shown]
	v_add_co_u32_e32 v4, vcc, s4, v26
	s_or_b64 s[0:1], s[0:1], exec
	s_nop 0
	v_addc_co_u32_e32 v5, vcc, 0, v27, vcc
	flat_store_dword v[4:5], v16
	flat_store_dword v[4:5], v17 offset:1024
	flat_store_dword v[4:5], v18 offset:2048
	;; [unrolled: 1-line block ×3, first 2 shown]
	v_add_co_u32_e32 v4, vcc, 0x4000, v26
	s_nop 1
	v_addc_co_u32_e32 v5, vcc, 0, v27, vcc
	flat_store_dword v[4:5], v20
	flat_store_dword v[4:5], v21 offset:1024
	flat_store_dword v[4:5], v22 offset:2048
	flat_store_dword v[4:5], v23 offset:3072
	v_add_co_u32_e32 v4, vcc, 0x5000, v26
	s_nop 1
	v_addc_co_u32_e32 v5, vcc, 0, v27, vcc
	flat_store_dword v[4:5], v24
	flat_store_dword v[4:5], v25 offset:1024
.LBB184_270:
	s_and_saveexec_b64 s[4:5], s[0:1]
	s_cbranch_execnz .LBB184_272
; %bb.271:
	s_endpgm
.LBB184_272:
	s_waitcnt lgkmcnt(0)
	v_lshl_add_u64 v[0:1], v[0:1], 2, s[2:3]
	v_add_co_u32_e32 v0, vcc, 0x5000, v0
	s_nop 1
	v_addc_co_u32_e32 v1, vcc, 0, v1, vcc
	flat_store_dword v[0:1], v3 offset:2048
	s_endpgm
.LBB184_273:
	v_lshl_add_u64 v[30:31], s[52:53], 0, v[2:3]
	flat_load_dword v29, v[30:31]
	s_or_b64 exec, exec, s[60:61]
                                        ; implicit-def: $vgpr30
	s_and_saveexec_b64 s[50:51], s[4:5]
	s_cbranch_execz .LBB184_55
.LBB184_274:
	v_mov_b32_e32 v3, 0
	v_lshl_add_u64 v[30:31], s[52:53], 0, v[2:3]
	flat_load_dword v30, v[30:31] offset:1024
	s_or_b64 exec, exec, s[50:51]
                                        ; implicit-def: $vgpr31
	s_and_saveexec_b64 s[4:5], s[6:7]
	s_cbranch_execz .LBB184_56
.LBB184_275:
	v_mov_b32_e32 v3, 0
	v_lshl_add_u64 v[32:33], s[52:53], 0, v[2:3]
	flat_load_dword v31, v[32:33] offset:2048
	s_or_b64 exec, exec, s[4:5]
                                        ; implicit-def: $vgpr3
	s_and_saveexec_b64 s[4:5], s[8:9]
	s_cbranch_execz .LBB184_57
.LBB184_276:
	v_mov_b32_e32 v3, 0
	v_lshl_add_u64 v[32:33], s[52:53], 0, v[2:3]
	flat_load_dword v3, v[32:33] offset:3072
	s_or_b64 exec, exec, s[4:5]
                                        ; implicit-def: $vgpr32
	s_and_saveexec_b64 s[4:5], s[10:11]
	s_cbranch_execz .LBB184_58
.LBB184_277:
	v_lshlrev_b32_e32 v32, 2, v10
	v_mov_b32_e32 v33, 0
	v_lshl_add_u64 v[32:33], s[52:53], 0, v[32:33]
	flat_load_dword v32, v[32:33]
	s_or_b64 exec, exec, s[4:5]
                                        ; implicit-def: $vgpr10
	s_and_saveexec_b64 s[4:5], s[12:13]
	s_cbranch_execz .LBB184_59
.LBB184_278:
	v_lshlrev_b32_e32 v10, 2, v11
	v_mov_b32_e32 v11, 0
	v_lshl_add_u64 v[10:11], s[52:53], 0, v[10:11]
	flat_load_dword v10, v[10:11]
	s_or_b64 exec, exec, s[4:5]
                                        ; implicit-def: $vgpr11
	s_and_saveexec_b64 s[4:5], s[14:15]
	s_cbranch_execz .LBB184_60
.LBB184_279:
	v_lshlrev_b32_e32 v34, 2, v12
	v_mov_b32_e32 v35, 0
	v_lshl_add_u64 v[34:35], s[52:53], 0, v[34:35]
	flat_load_dword v11, v[34:35]
	s_or_b64 exec, exec, s[4:5]
                                        ; implicit-def: $vgpr12
	s_and_saveexec_b64 s[4:5], s[16:17]
	s_cbranch_execz .LBB184_61
.LBB184_280:
	v_lshlrev_b32_e32 v12, 2, v13
	v_mov_b32_e32 v13, 0
	v_lshl_add_u64 v[12:13], s[52:53], 0, v[12:13]
	flat_load_dword v12, v[12:13]
	s_or_b64 exec, exec, s[4:5]
                                        ; implicit-def: $vgpr13
	s_and_saveexec_b64 s[4:5], s[18:19]
	s_cbranch_execz .LBB184_62
.LBB184_281:
	v_lshlrev_b32_e32 v34, 2, v14
	v_mov_b32_e32 v35, 0
	v_lshl_add_u64 v[34:35], s[52:53], 0, v[34:35]
	flat_load_dword v13, v[34:35]
	s_or_b64 exec, exec, s[4:5]
                                        ; implicit-def: $vgpr14
	s_and_saveexec_b64 s[4:5], s[20:21]
	s_cbranch_execz .LBB184_63
.LBB184_282:
	v_lshlrev_b32_e32 v14, 2, v15
	v_mov_b32_e32 v15, 0
	v_lshl_add_u64 v[14:15], s[52:53], 0, v[14:15]
	flat_load_dword v14, v[14:15]
	s_or_b64 exec, exec, s[4:5]
                                        ; implicit-def: $vgpr15
	s_and_saveexec_b64 s[4:5], s[22:23]
	s_cbranch_execz .LBB184_64
.LBB184_283:
	v_lshlrev_b32_e32 v34, 2, v16
	v_mov_b32_e32 v35, 0
	v_lshl_add_u64 v[34:35], s[52:53], 0, v[34:35]
	flat_load_dword v15, v[34:35]
	s_or_b64 exec, exec, s[4:5]
                                        ; implicit-def: $vgpr16
	s_and_saveexec_b64 s[4:5], s[24:25]
	s_cbranch_execz .LBB184_65
.LBB184_284:
	v_lshlrev_b32_e32 v16, 2, v17
	v_mov_b32_e32 v17, 0
	v_lshl_add_u64 v[16:17], s[52:53], 0, v[16:17]
	flat_load_dword v16, v[16:17]
	s_or_b64 exec, exec, s[4:5]
                                        ; implicit-def: $vgpr17
	s_and_saveexec_b64 s[4:5], s[26:27]
	s_cbranch_execz .LBB184_66
.LBB184_285:
	v_lshlrev_b32_e32 v34, 2, v18
	v_mov_b32_e32 v35, 0
	v_lshl_add_u64 v[34:35], s[52:53], 0, v[34:35]
	flat_load_dword v17, v[34:35]
	s_or_b64 exec, exec, s[4:5]
                                        ; implicit-def: $vgpr18
	s_and_saveexec_b64 s[4:5], s[28:29]
	s_cbranch_execz .LBB184_67
.LBB184_286:
	v_lshlrev_b32_e32 v18, 2, v19
	v_mov_b32_e32 v19, 0
	v_lshl_add_u64 v[18:19], s[52:53], 0, v[18:19]
	flat_load_dword v18, v[18:19]
	s_or_b64 exec, exec, s[4:5]
                                        ; implicit-def: $vgpr19
	s_and_saveexec_b64 s[4:5], s[30:31]
	s_cbranch_execz .LBB184_68
.LBB184_287:
	v_lshlrev_b32_e32 v34, 2, v20
	v_mov_b32_e32 v35, 0
	v_lshl_add_u64 v[34:35], s[52:53], 0, v[34:35]
	flat_load_dword v19, v[34:35]
	s_or_b64 exec, exec, s[4:5]
                                        ; implicit-def: $vgpr20
	s_and_saveexec_b64 s[4:5], s[34:35]
	s_cbranch_execz .LBB184_69
.LBB184_288:
	v_lshlrev_b32_e32 v20, 2, v21
	v_mov_b32_e32 v21, 0
	v_lshl_add_u64 v[20:21], s[52:53], 0, v[20:21]
	flat_load_dword v20, v[20:21]
	s_or_b64 exec, exec, s[4:5]
                                        ; implicit-def: $vgpr21
	s_and_saveexec_b64 s[4:5], s[36:37]
	s_cbranch_execz .LBB184_70
.LBB184_289:
	v_lshlrev_b32_e32 v34, 2, v22
	v_mov_b32_e32 v35, 0
	v_lshl_add_u64 v[34:35], s[52:53], 0, v[34:35]
	flat_load_dword v21, v[34:35]
	s_or_b64 exec, exec, s[4:5]
                                        ; implicit-def: $vgpr22
	s_and_saveexec_b64 s[4:5], s[38:39]
	s_cbranch_execz .LBB184_71
.LBB184_290:
	v_lshlrev_b32_e32 v22, 2, v23
	v_mov_b32_e32 v23, 0
	v_lshl_add_u64 v[22:23], s[52:53], 0, v[22:23]
	flat_load_dword v22, v[22:23]
	s_or_b64 exec, exec, s[4:5]
                                        ; implicit-def: $vgpr23
	s_and_saveexec_b64 s[4:5], s[40:41]
	s_cbranch_execz .LBB184_72
.LBB184_291:
	v_lshlrev_b32_e32 v34, 2, v24
	v_mov_b32_e32 v35, 0
	v_lshl_add_u64 v[34:35], s[52:53], 0, v[34:35]
	flat_load_dword v23, v[34:35]
	s_or_b64 exec, exec, s[4:5]
                                        ; implicit-def: $vgpr24
	s_and_saveexec_b64 s[4:5], s[42:43]
	s_cbranch_execz .LBB184_73
.LBB184_292:
	v_lshlrev_b32_e32 v24, 2, v25
	v_mov_b32_e32 v25, 0
	v_lshl_add_u64 v[24:25], s[52:53], 0, v[24:25]
	flat_load_dword v24, v[24:25]
	s_or_b64 exec, exec, s[4:5]
                                        ; implicit-def: $vgpr25
	s_and_saveexec_b64 s[4:5], s[44:45]
	s_cbranch_execz .LBB184_74
.LBB184_293:
	v_lshlrev_b32_e32 v34, 2, v26
	v_mov_b32_e32 v35, 0
	v_lshl_add_u64 v[34:35], s[52:53], 0, v[34:35]
	flat_load_dword v25, v[34:35]
	s_or_b64 exec, exec, s[4:5]
                                        ; implicit-def: $vgpr26
	s_and_saveexec_b64 s[4:5], s[46:47]
	s_cbranch_execz .LBB184_75
.LBB184_294:
	v_lshlrev_b32_e32 v26, 2, v27
	v_mov_b32_e32 v27, 0
	v_lshl_add_u64 v[26:27], s[52:53], 0, v[26:27]
	flat_load_dword v26, v[26:27]
	s_or_b64 exec, exec, s[4:5]
                                        ; implicit-def: $vgpr27
	s_and_saveexec_b64 s[4:5], s[48:49]
	s_cbranch_execnz .LBB184_76
	s_branch .LBB184_77
.LBB184_295:
	v_add_u32_e32 v1, -1, v0
	v_lshrrev_b32_e32 v2, 5, v1
	v_add_lshl_u32 v1, v2, v1, 3
	ds_read_b32 v1, v1
	s_or_b64 exec, exec, s[50:51]
	s_and_saveexec_b64 s[50:51], s[2:3]
	s_cbranch_execz .LBB184_219
.LBB184_296:
	v_and_b32_e32 v3, 0xff, v11
	v_mov_b32_e32 v2, 0
	v_cmp_eq_u64_e64 s[2:3], 0, v[2:3]
	;;#ASMSTART
	;;#ASMEND
	s_waitcnt lgkmcnt(0)
	s_nop 0
	v_cndmask_b32_e64 v1, 1, v1, s[2:3]
	v_mul_lo_u32 v10, v1, v10
	v_cndmask_b32_e64 v1, 1, v10, s[4:5]
	v_mul_lo_u32 v58, v1, v12
	;; [unrolled: 2-line block ×23, first 2 shown]
	s_or_b64 exec, exec, s[50:51]
	s_and_saveexec_b64 s[2:3], vcc
	s_cbranch_execnz .LBB184_220
	s_branch .LBB184_221
.LBB184_297:
                                        ; implicit-def: $sgpr60_sgpr61
	s_branch .LBB184_50
.LBB184_298:
                                        ; implicit-def: $sgpr4_sgpr5
	s_branch .LBB184_126
	.section	.rodata,"a",@progbits
	.p2align	6, 0x0
	.amdhsa_kernel _ZN7rocprim17ROCPRIM_400000_NS6detail17trampoline_kernelINS0_14default_configENS1_27scan_by_key_config_selectorIiiEEZZNS1_16scan_by_key_implILNS1_25lookback_scan_determinismE0ELb0ES3_N6thrust23THRUST_200600_302600_NS6detail15normal_iteratorINS9_10device_ptrIiEEEESE_SE_iNS9_10multipliesIiEENS9_8equal_toIiEEiEE10hipError_tPvRmT2_T3_T4_T5_mT6_T7_P12ihipStream_tbENKUlT_T0_E_clISt17integral_constantIbLb1EESY_IbLb0EEEEDaSU_SV_EUlSU_E_NS1_11comp_targetILNS1_3genE5ELNS1_11target_archE942ELNS1_3gpuE9ELNS1_3repE0EEENS1_30default_config_static_selectorELNS0_4arch9wavefront6targetE1EEEvT1_
		.amdhsa_group_segment_fixed_size 25600
		.amdhsa_private_segment_fixed_size 0
		.amdhsa_kernarg_size 112
		.amdhsa_user_sgpr_count 2
		.amdhsa_user_sgpr_dispatch_ptr 0
		.amdhsa_user_sgpr_queue_ptr 0
		.amdhsa_user_sgpr_kernarg_segment_ptr 1
		.amdhsa_user_sgpr_dispatch_id 0
		.amdhsa_user_sgpr_kernarg_preload_length 0
		.amdhsa_user_sgpr_kernarg_preload_offset 0
		.amdhsa_user_sgpr_private_segment_size 0
		.amdhsa_uses_dynamic_stack 0
		.amdhsa_enable_private_segment 0
		.amdhsa_system_sgpr_workgroup_id_x 1
		.amdhsa_system_sgpr_workgroup_id_y 0
		.amdhsa_system_sgpr_workgroup_id_z 0
		.amdhsa_system_sgpr_workgroup_info 0
		.amdhsa_system_vgpr_workitem_id 0
		.amdhsa_next_free_vgpr 81
		.amdhsa_next_free_sgpr 82
		.amdhsa_accum_offset 84
		.amdhsa_reserve_vcc 1
		.amdhsa_float_round_mode_32 0
		.amdhsa_float_round_mode_16_64 0
		.amdhsa_float_denorm_mode_32 3
		.amdhsa_float_denorm_mode_16_64 3
		.amdhsa_dx10_clamp 1
		.amdhsa_ieee_mode 1
		.amdhsa_fp16_overflow 0
		.amdhsa_tg_split 0
		.amdhsa_exception_fp_ieee_invalid_op 0
		.amdhsa_exception_fp_denorm_src 0
		.amdhsa_exception_fp_ieee_div_zero 0
		.amdhsa_exception_fp_ieee_overflow 0
		.amdhsa_exception_fp_ieee_underflow 0
		.amdhsa_exception_fp_ieee_inexact 0
		.amdhsa_exception_int_div_zero 0
	.end_amdhsa_kernel
	.section	.text._ZN7rocprim17ROCPRIM_400000_NS6detail17trampoline_kernelINS0_14default_configENS1_27scan_by_key_config_selectorIiiEEZZNS1_16scan_by_key_implILNS1_25lookback_scan_determinismE0ELb0ES3_N6thrust23THRUST_200600_302600_NS6detail15normal_iteratorINS9_10device_ptrIiEEEESE_SE_iNS9_10multipliesIiEENS9_8equal_toIiEEiEE10hipError_tPvRmT2_T3_T4_T5_mT6_T7_P12ihipStream_tbENKUlT_T0_E_clISt17integral_constantIbLb1EESY_IbLb0EEEEDaSU_SV_EUlSU_E_NS1_11comp_targetILNS1_3genE5ELNS1_11target_archE942ELNS1_3gpuE9ELNS1_3repE0EEENS1_30default_config_static_selectorELNS0_4arch9wavefront6targetE1EEEvT1_,"axG",@progbits,_ZN7rocprim17ROCPRIM_400000_NS6detail17trampoline_kernelINS0_14default_configENS1_27scan_by_key_config_selectorIiiEEZZNS1_16scan_by_key_implILNS1_25lookback_scan_determinismE0ELb0ES3_N6thrust23THRUST_200600_302600_NS6detail15normal_iteratorINS9_10device_ptrIiEEEESE_SE_iNS9_10multipliesIiEENS9_8equal_toIiEEiEE10hipError_tPvRmT2_T3_T4_T5_mT6_T7_P12ihipStream_tbENKUlT_T0_E_clISt17integral_constantIbLb1EESY_IbLb0EEEEDaSU_SV_EUlSU_E_NS1_11comp_targetILNS1_3genE5ELNS1_11target_archE942ELNS1_3gpuE9ELNS1_3repE0EEENS1_30default_config_static_selectorELNS0_4arch9wavefront6targetE1EEEvT1_,comdat
.Lfunc_end184:
	.size	_ZN7rocprim17ROCPRIM_400000_NS6detail17trampoline_kernelINS0_14default_configENS1_27scan_by_key_config_selectorIiiEEZZNS1_16scan_by_key_implILNS1_25lookback_scan_determinismE0ELb0ES3_N6thrust23THRUST_200600_302600_NS6detail15normal_iteratorINS9_10device_ptrIiEEEESE_SE_iNS9_10multipliesIiEENS9_8equal_toIiEEiEE10hipError_tPvRmT2_T3_T4_T5_mT6_T7_P12ihipStream_tbENKUlT_T0_E_clISt17integral_constantIbLb1EESY_IbLb0EEEEDaSU_SV_EUlSU_E_NS1_11comp_targetILNS1_3genE5ELNS1_11target_archE942ELNS1_3gpuE9ELNS1_3repE0EEENS1_30default_config_static_selectorELNS0_4arch9wavefront6targetE1EEEvT1_, .Lfunc_end184-_ZN7rocprim17ROCPRIM_400000_NS6detail17trampoline_kernelINS0_14default_configENS1_27scan_by_key_config_selectorIiiEEZZNS1_16scan_by_key_implILNS1_25lookback_scan_determinismE0ELb0ES3_N6thrust23THRUST_200600_302600_NS6detail15normal_iteratorINS9_10device_ptrIiEEEESE_SE_iNS9_10multipliesIiEENS9_8equal_toIiEEiEE10hipError_tPvRmT2_T3_T4_T5_mT6_T7_P12ihipStream_tbENKUlT_T0_E_clISt17integral_constantIbLb1EESY_IbLb0EEEEDaSU_SV_EUlSU_E_NS1_11comp_targetILNS1_3genE5ELNS1_11target_archE942ELNS1_3gpuE9ELNS1_3repE0EEENS1_30default_config_static_selectorELNS0_4arch9wavefront6targetE1EEEvT1_
                                        ; -- End function
	.section	.AMDGPU.csdata,"",@progbits
; Kernel info:
; codeLenInByte = 16024
; NumSgprs: 88
; NumVgprs: 81
; NumAgprs: 0
; TotalNumVgprs: 81
; ScratchSize: 0
; MemoryBound: 0
; FloatMode: 240
; IeeeMode: 1
; LDSByteSize: 25600 bytes/workgroup (compile time only)
; SGPRBlocks: 10
; VGPRBlocks: 10
; NumSGPRsForWavesPerEU: 88
; NumVGPRsForWavesPerEU: 81
; AccumOffset: 84
; Occupancy: 2
; WaveLimiterHint : 1
; COMPUTE_PGM_RSRC2:SCRATCH_EN: 0
; COMPUTE_PGM_RSRC2:USER_SGPR: 2
; COMPUTE_PGM_RSRC2:TRAP_HANDLER: 0
; COMPUTE_PGM_RSRC2:TGID_X_EN: 1
; COMPUTE_PGM_RSRC2:TGID_Y_EN: 0
; COMPUTE_PGM_RSRC2:TGID_Z_EN: 0
; COMPUTE_PGM_RSRC2:TIDIG_COMP_CNT: 0
; COMPUTE_PGM_RSRC3_GFX90A:ACCUM_OFFSET: 20
; COMPUTE_PGM_RSRC3_GFX90A:TG_SPLIT: 0
	.section	.text._ZN7rocprim17ROCPRIM_400000_NS6detail17trampoline_kernelINS0_14default_configENS1_27scan_by_key_config_selectorIiiEEZZNS1_16scan_by_key_implILNS1_25lookback_scan_determinismE0ELb0ES3_N6thrust23THRUST_200600_302600_NS6detail15normal_iteratorINS9_10device_ptrIiEEEESE_SE_iNS9_10multipliesIiEENS9_8equal_toIiEEiEE10hipError_tPvRmT2_T3_T4_T5_mT6_T7_P12ihipStream_tbENKUlT_T0_E_clISt17integral_constantIbLb1EESY_IbLb0EEEEDaSU_SV_EUlSU_E_NS1_11comp_targetILNS1_3genE4ELNS1_11target_archE910ELNS1_3gpuE8ELNS1_3repE0EEENS1_30default_config_static_selectorELNS0_4arch9wavefront6targetE1EEEvT1_,"axG",@progbits,_ZN7rocprim17ROCPRIM_400000_NS6detail17trampoline_kernelINS0_14default_configENS1_27scan_by_key_config_selectorIiiEEZZNS1_16scan_by_key_implILNS1_25lookback_scan_determinismE0ELb0ES3_N6thrust23THRUST_200600_302600_NS6detail15normal_iteratorINS9_10device_ptrIiEEEESE_SE_iNS9_10multipliesIiEENS9_8equal_toIiEEiEE10hipError_tPvRmT2_T3_T4_T5_mT6_T7_P12ihipStream_tbENKUlT_T0_E_clISt17integral_constantIbLb1EESY_IbLb0EEEEDaSU_SV_EUlSU_E_NS1_11comp_targetILNS1_3genE4ELNS1_11target_archE910ELNS1_3gpuE8ELNS1_3repE0EEENS1_30default_config_static_selectorELNS0_4arch9wavefront6targetE1EEEvT1_,comdat
	.protected	_ZN7rocprim17ROCPRIM_400000_NS6detail17trampoline_kernelINS0_14default_configENS1_27scan_by_key_config_selectorIiiEEZZNS1_16scan_by_key_implILNS1_25lookback_scan_determinismE0ELb0ES3_N6thrust23THRUST_200600_302600_NS6detail15normal_iteratorINS9_10device_ptrIiEEEESE_SE_iNS9_10multipliesIiEENS9_8equal_toIiEEiEE10hipError_tPvRmT2_T3_T4_T5_mT6_T7_P12ihipStream_tbENKUlT_T0_E_clISt17integral_constantIbLb1EESY_IbLb0EEEEDaSU_SV_EUlSU_E_NS1_11comp_targetILNS1_3genE4ELNS1_11target_archE910ELNS1_3gpuE8ELNS1_3repE0EEENS1_30default_config_static_selectorELNS0_4arch9wavefront6targetE1EEEvT1_ ; -- Begin function _ZN7rocprim17ROCPRIM_400000_NS6detail17trampoline_kernelINS0_14default_configENS1_27scan_by_key_config_selectorIiiEEZZNS1_16scan_by_key_implILNS1_25lookback_scan_determinismE0ELb0ES3_N6thrust23THRUST_200600_302600_NS6detail15normal_iteratorINS9_10device_ptrIiEEEESE_SE_iNS9_10multipliesIiEENS9_8equal_toIiEEiEE10hipError_tPvRmT2_T3_T4_T5_mT6_T7_P12ihipStream_tbENKUlT_T0_E_clISt17integral_constantIbLb1EESY_IbLb0EEEEDaSU_SV_EUlSU_E_NS1_11comp_targetILNS1_3genE4ELNS1_11target_archE910ELNS1_3gpuE8ELNS1_3repE0EEENS1_30default_config_static_selectorELNS0_4arch9wavefront6targetE1EEEvT1_
	.globl	_ZN7rocprim17ROCPRIM_400000_NS6detail17trampoline_kernelINS0_14default_configENS1_27scan_by_key_config_selectorIiiEEZZNS1_16scan_by_key_implILNS1_25lookback_scan_determinismE0ELb0ES3_N6thrust23THRUST_200600_302600_NS6detail15normal_iteratorINS9_10device_ptrIiEEEESE_SE_iNS9_10multipliesIiEENS9_8equal_toIiEEiEE10hipError_tPvRmT2_T3_T4_T5_mT6_T7_P12ihipStream_tbENKUlT_T0_E_clISt17integral_constantIbLb1EESY_IbLb0EEEEDaSU_SV_EUlSU_E_NS1_11comp_targetILNS1_3genE4ELNS1_11target_archE910ELNS1_3gpuE8ELNS1_3repE0EEENS1_30default_config_static_selectorELNS0_4arch9wavefront6targetE1EEEvT1_
	.p2align	8
	.type	_ZN7rocprim17ROCPRIM_400000_NS6detail17trampoline_kernelINS0_14default_configENS1_27scan_by_key_config_selectorIiiEEZZNS1_16scan_by_key_implILNS1_25lookback_scan_determinismE0ELb0ES3_N6thrust23THRUST_200600_302600_NS6detail15normal_iteratorINS9_10device_ptrIiEEEESE_SE_iNS9_10multipliesIiEENS9_8equal_toIiEEiEE10hipError_tPvRmT2_T3_T4_T5_mT6_T7_P12ihipStream_tbENKUlT_T0_E_clISt17integral_constantIbLb1EESY_IbLb0EEEEDaSU_SV_EUlSU_E_NS1_11comp_targetILNS1_3genE4ELNS1_11target_archE910ELNS1_3gpuE8ELNS1_3repE0EEENS1_30default_config_static_selectorELNS0_4arch9wavefront6targetE1EEEvT1_,@function
_ZN7rocprim17ROCPRIM_400000_NS6detail17trampoline_kernelINS0_14default_configENS1_27scan_by_key_config_selectorIiiEEZZNS1_16scan_by_key_implILNS1_25lookback_scan_determinismE0ELb0ES3_N6thrust23THRUST_200600_302600_NS6detail15normal_iteratorINS9_10device_ptrIiEEEESE_SE_iNS9_10multipliesIiEENS9_8equal_toIiEEiEE10hipError_tPvRmT2_T3_T4_T5_mT6_T7_P12ihipStream_tbENKUlT_T0_E_clISt17integral_constantIbLb1EESY_IbLb0EEEEDaSU_SV_EUlSU_E_NS1_11comp_targetILNS1_3genE4ELNS1_11target_archE910ELNS1_3gpuE8ELNS1_3repE0EEENS1_30default_config_static_selectorELNS0_4arch9wavefront6targetE1EEEvT1_: ; @_ZN7rocprim17ROCPRIM_400000_NS6detail17trampoline_kernelINS0_14default_configENS1_27scan_by_key_config_selectorIiiEEZZNS1_16scan_by_key_implILNS1_25lookback_scan_determinismE0ELb0ES3_N6thrust23THRUST_200600_302600_NS6detail15normal_iteratorINS9_10device_ptrIiEEEESE_SE_iNS9_10multipliesIiEENS9_8equal_toIiEEiEE10hipError_tPvRmT2_T3_T4_T5_mT6_T7_P12ihipStream_tbENKUlT_T0_E_clISt17integral_constantIbLb1EESY_IbLb0EEEEDaSU_SV_EUlSU_E_NS1_11comp_targetILNS1_3genE4ELNS1_11target_archE910ELNS1_3gpuE8ELNS1_3repE0EEENS1_30default_config_static_selectorELNS0_4arch9wavefront6targetE1EEEvT1_
; %bb.0:
	.section	.rodata,"a",@progbits
	.p2align	6, 0x0
	.amdhsa_kernel _ZN7rocprim17ROCPRIM_400000_NS6detail17trampoline_kernelINS0_14default_configENS1_27scan_by_key_config_selectorIiiEEZZNS1_16scan_by_key_implILNS1_25lookback_scan_determinismE0ELb0ES3_N6thrust23THRUST_200600_302600_NS6detail15normal_iteratorINS9_10device_ptrIiEEEESE_SE_iNS9_10multipliesIiEENS9_8equal_toIiEEiEE10hipError_tPvRmT2_T3_T4_T5_mT6_T7_P12ihipStream_tbENKUlT_T0_E_clISt17integral_constantIbLb1EESY_IbLb0EEEEDaSU_SV_EUlSU_E_NS1_11comp_targetILNS1_3genE4ELNS1_11target_archE910ELNS1_3gpuE8ELNS1_3repE0EEENS1_30default_config_static_selectorELNS0_4arch9wavefront6targetE1EEEvT1_
		.amdhsa_group_segment_fixed_size 0
		.amdhsa_private_segment_fixed_size 0
		.amdhsa_kernarg_size 112
		.amdhsa_user_sgpr_count 2
		.amdhsa_user_sgpr_dispatch_ptr 0
		.amdhsa_user_sgpr_queue_ptr 0
		.amdhsa_user_sgpr_kernarg_segment_ptr 1
		.amdhsa_user_sgpr_dispatch_id 0
		.amdhsa_user_sgpr_kernarg_preload_length 0
		.amdhsa_user_sgpr_kernarg_preload_offset 0
		.amdhsa_user_sgpr_private_segment_size 0
		.amdhsa_uses_dynamic_stack 0
		.amdhsa_enable_private_segment 0
		.amdhsa_system_sgpr_workgroup_id_x 1
		.amdhsa_system_sgpr_workgroup_id_y 0
		.amdhsa_system_sgpr_workgroup_id_z 0
		.amdhsa_system_sgpr_workgroup_info 0
		.amdhsa_system_vgpr_workitem_id 0
		.amdhsa_next_free_vgpr 1
		.amdhsa_next_free_sgpr 0
		.amdhsa_accum_offset 4
		.amdhsa_reserve_vcc 0
		.amdhsa_float_round_mode_32 0
		.amdhsa_float_round_mode_16_64 0
		.amdhsa_float_denorm_mode_32 3
		.amdhsa_float_denorm_mode_16_64 3
		.amdhsa_dx10_clamp 1
		.amdhsa_ieee_mode 1
		.amdhsa_fp16_overflow 0
		.amdhsa_tg_split 0
		.amdhsa_exception_fp_ieee_invalid_op 0
		.amdhsa_exception_fp_denorm_src 0
		.amdhsa_exception_fp_ieee_div_zero 0
		.amdhsa_exception_fp_ieee_overflow 0
		.amdhsa_exception_fp_ieee_underflow 0
		.amdhsa_exception_fp_ieee_inexact 0
		.amdhsa_exception_int_div_zero 0
	.end_amdhsa_kernel
	.section	.text._ZN7rocprim17ROCPRIM_400000_NS6detail17trampoline_kernelINS0_14default_configENS1_27scan_by_key_config_selectorIiiEEZZNS1_16scan_by_key_implILNS1_25lookback_scan_determinismE0ELb0ES3_N6thrust23THRUST_200600_302600_NS6detail15normal_iteratorINS9_10device_ptrIiEEEESE_SE_iNS9_10multipliesIiEENS9_8equal_toIiEEiEE10hipError_tPvRmT2_T3_T4_T5_mT6_T7_P12ihipStream_tbENKUlT_T0_E_clISt17integral_constantIbLb1EESY_IbLb0EEEEDaSU_SV_EUlSU_E_NS1_11comp_targetILNS1_3genE4ELNS1_11target_archE910ELNS1_3gpuE8ELNS1_3repE0EEENS1_30default_config_static_selectorELNS0_4arch9wavefront6targetE1EEEvT1_,"axG",@progbits,_ZN7rocprim17ROCPRIM_400000_NS6detail17trampoline_kernelINS0_14default_configENS1_27scan_by_key_config_selectorIiiEEZZNS1_16scan_by_key_implILNS1_25lookback_scan_determinismE0ELb0ES3_N6thrust23THRUST_200600_302600_NS6detail15normal_iteratorINS9_10device_ptrIiEEEESE_SE_iNS9_10multipliesIiEENS9_8equal_toIiEEiEE10hipError_tPvRmT2_T3_T4_T5_mT6_T7_P12ihipStream_tbENKUlT_T0_E_clISt17integral_constantIbLb1EESY_IbLb0EEEEDaSU_SV_EUlSU_E_NS1_11comp_targetILNS1_3genE4ELNS1_11target_archE910ELNS1_3gpuE8ELNS1_3repE0EEENS1_30default_config_static_selectorELNS0_4arch9wavefront6targetE1EEEvT1_,comdat
.Lfunc_end185:
	.size	_ZN7rocprim17ROCPRIM_400000_NS6detail17trampoline_kernelINS0_14default_configENS1_27scan_by_key_config_selectorIiiEEZZNS1_16scan_by_key_implILNS1_25lookback_scan_determinismE0ELb0ES3_N6thrust23THRUST_200600_302600_NS6detail15normal_iteratorINS9_10device_ptrIiEEEESE_SE_iNS9_10multipliesIiEENS9_8equal_toIiEEiEE10hipError_tPvRmT2_T3_T4_T5_mT6_T7_P12ihipStream_tbENKUlT_T0_E_clISt17integral_constantIbLb1EESY_IbLb0EEEEDaSU_SV_EUlSU_E_NS1_11comp_targetILNS1_3genE4ELNS1_11target_archE910ELNS1_3gpuE8ELNS1_3repE0EEENS1_30default_config_static_selectorELNS0_4arch9wavefront6targetE1EEEvT1_, .Lfunc_end185-_ZN7rocprim17ROCPRIM_400000_NS6detail17trampoline_kernelINS0_14default_configENS1_27scan_by_key_config_selectorIiiEEZZNS1_16scan_by_key_implILNS1_25lookback_scan_determinismE0ELb0ES3_N6thrust23THRUST_200600_302600_NS6detail15normal_iteratorINS9_10device_ptrIiEEEESE_SE_iNS9_10multipliesIiEENS9_8equal_toIiEEiEE10hipError_tPvRmT2_T3_T4_T5_mT6_T7_P12ihipStream_tbENKUlT_T0_E_clISt17integral_constantIbLb1EESY_IbLb0EEEEDaSU_SV_EUlSU_E_NS1_11comp_targetILNS1_3genE4ELNS1_11target_archE910ELNS1_3gpuE8ELNS1_3repE0EEENS1_30default_config_static_selectorELNS0_4arch9wavefront6targetE1EEEvT1_
                                        ; -- End function
	.section	.AMDGPU.csdata,"",@progbits
; Kernel info:
; codeLenInByte = 0
; NumSgprs: 6
; NumVgprs: 0
; NumAgprs: 0
; TotalNumVgprs: 0
; ScratchSize: 0
; MemoryBound: 0
; FloatMode: 240
; IeeeMode: 1
; LDSByteSize: 0 bytes/workgroup (compile time only)
; SGPRBlocks: 0
; VGPRBlocks: 0
; NumSGPRsForWavesPerEU: 6
; NumVGPRsForWavesPerEU: 1
; AccumOffset: 4
; Occupancy: 8
; WaveLimiterHint : 0
; COMPUTE_PGM_RSRC2:SCRATCH_EN: 0
; COMPUTE_PGM_RSRC2:USER_SGPR: 2
; COMPUTE_PGM_RSRC2:TRAP_HANDLER: 0
; COMPUTE_PGM_RSRC2:TGID_X_EN: 1
; COMPUTE_PGM_RSRC2:TGID_Y_EN: 0
; COMPUTE_PGM_RSRC2:TGID_Z_EN: 0
; COMPUTE_PGM_RSRC2:TIDIG_COMP_CNT: 0
; COMPUTE_PGM_RSRC3_GFX90A:ACCUM_OFFSET: 0
; COMPUTE_PGM_RSRC3_GFX90A:TG_SPLIT: 0
	.section	.text._ZN7rocprim17ROCPRIM_400000_NS6detail17trampoline_kernelINS0_14default_configENS1_27scan_by_key_config_selectorIiiEEZZNS1_16scan_by_key_implILNS1_25lookback_scan_determinismE0ELb0ES3_N6thrust23THRUST_200600_302600_NS6detail15normal_iteratorINS9_10device_ptrIiEEEESE_SE_iNS9_10multipliesIiEENS9_8equal_toIiEEiEE10hipError_tPvRmT2_T3_T4_T5_mT6_T7_P12ihipStream_tbENKUlT_T0_E_clISt17integral_constantIbLb1EESY_IbLb0EEEEDaSU_SV_EUlSU_E_NS1_11comp_targetILNS1_3genE3ELNS1_11target_archE908ELNS1_3gpuE7ELNS1_3repE0EEENS1_30default_config_static_selectorELNS0_4arch9wavefront6targetE1EEEvT1_,"axG",@progbits,_ZN7rocprim17ROCPRIM_400000_NS6detail17trampoline_kernelINS0_14default_configENS1_27scan_by_key_config_selectorIiiEEZZNS1_16scan_by_key_implILNS1_25lookback_scan_determinismE0ELb0ES3_N6thrust23THRUST_200600_302600_NS6detail15normal_iteratorINS9_10device_ptrIiEEEESE_SE_iNS9_10multipliesIiEENS9_8equal_toIiEEiEE10hipError_tPvRmT2_T3_T4_T5_mT6_T7_P12ihipStream_tbENKUlT_T0_E_clISt17integral_constantIbLb1EESY_IbLb0EEEEDaSU_SV_EUlSU_E_NS1_11comp_targetILNS1_3genE3ELNS1_11target_archE908ELNS1_3gpuE7ELNS1_3repE0EEENS1_30default_config_static_selectorELNS0_4arch9wavefront6targetE1EEEvT1_,comdat
	.protected	_ZN7rocprim17ROCPRIM_400000_NS6detail17trampoline_kernelINS0_14default_configENS1_27scan_by_key_config_selectorIiiEEZZNS1_16scan_by_key_implILNS1_25lookback_scan_determinismE0ELb0ES3_N6thrust23THRUST_200600_302600_NS6detail15normal_iteratorINS9_10device_ptrIiEEEESE_SE_iNS9_10multipliesIiEENS9_8equal_toIiEEiEE10hipError_tPvRmT2_T3_T4_T5_mT6_T7_P12ihipStream_tbENKUlT_T0_E_clISt17integral_constantIbLb1EESY_IbLb0EEEEDaSU_SV_EUlSU_E_NS1_11comp_targetILNS1_3genE3ELNS1_11target_archE908ELNS1_3gpuE7ELNS1_3repE0EEENS1_30default_config_static_selectorELNS0_4arch9wavefront6targetE1EEEvT1_ ; -- Begin function _ZN7rocprim17ROCPRIM_400000_NS6detail17trampoline_kernelINS0_14default_configENS1_27scan_by_key_config_selectorIiiEEZZNS1_16scan_by_key_implILNS1_25lookback_scan_determinismE0ELb0ES3_N6thrust23THRUST_200600_302600_NS6detail15normal_iteratorINS9_10device_ptrIiEEEESE_SE_iNS9_10multipliesIiEENS9_8equal_toIiEEiEE10hipError_tPvRmT2_T3_T4_T5_mT6_T7_P12ihipStream_tbENKUlT_T0_E_clISt17integral_constantIbLb1EESY_IbLb0EEEEDaSU_SV_EUlSU_E_NS1_11comp_targetILNS1_3genE3ELNS1_11target_archE908ELNS1_3gpuE7ELNS1_3repE0EEENS1_30default_config_static_selectorELNS0_4arch9wavefront6targetE1EEEvT1_
	.globl	_ZN7rocprim17ROCPRIM_400000_NS6detail17trampoline_kernelINS0_14default_configENS1_27scan_by_key_config_selectorIiiEEZZNS1_16scan_by_key_implILNS1_25lookback_scan_determinismE0ELb0ES3_N6thrust23THRUST_200600_302600_NS6detail15normal_iteratorINS9_10device_ptrIiEEEESE_SE_iNS9_10multipliesIiEENS9_8equal_toIiEEiEE10hipError_tPvRmT2_T3_T4_T5_mT6_T7_P12ihipStream_tbENKUlT_T0_E_clISt17integral_constantIbLb1EESY_IbLb0EEEEDaSU_SV_EUlSU_E_NS1_11comp_targetILNS1_3genE3ELNS1_11target_archE908ELNS1_3gpuE7ELNS1_3repE0EEENS1_30default_config_static_selectorELNS0_4arch9wavefront6targetE1EEEvT1_
	.p2align	8
	.type	_ZN7rocprim17ROCPRIM_400000_NS6detail17trampoline_kernelINS0_14default_configENS1_27scan_by_key_config_selectorIiiEEZZNS1_16scan_by_key_implILNS1_25lookback_scan_determinismE0ELb0ES3_N6thrust23THRUST_200600_302600_NS6detail15normal_iteratorINS9_10device_ptrIiEEEESE_SE_iNS9_10multipliesIiEENS9_8equal_toIiEEiEE10hipError_tPvRmT2_T3_T4_T5_mT6_T7_P12ihipStream_tbENKUlT_T0_E_clISt17integral_constantIbLb1EESY_IbLb0EEEEDaSU_SV_EUlSU_E_NS1_11comp_targetILNS1_3genE3ELNS1_11target_archE908ELNS1_3gpuE7ELNS1_3repE0EEENS1_30default_config_static_selectorELNS0_4arch9wavefront6targetE1EEEvT1_,@function
_ZN7rocprim17ROCPRIM_400000_NS6detail17trampoline_kernelINS0_14default_configENS1_27scan_by_key_config_selectorIiiEEZZNS1_16scan_by_key_implILNS1_25lookback_scan_determinismE0ELb0ES3_N6thrust23THRUST_200600_302600_NS6detail15normal_iteratorINS9_10device_ptrIiEEEESE_SE_iNS9_10multipliesIiEENS9_8equal_toIiEEiEE10hipError_tPvRmT2_T3_T4_T5_mT6_T7_P12ihipStream_tbENKUlT_T0_E_clISt17integral_constantIbLb1EESY_IbLb0EEEEDaSU_SV_EUlSU_E_NS1_11comp_targetILNS1_3genE3ELNS1_11target_archE908ELNS1_3gpuE7ELNS1_3repE0EEENS1_30default_config_static_selectorELNS0_4arch9wavefront6targetE1EEEvT1_: ; @_ZN7rocprim17ROCPRIM_400000_NS6detail17trampoline_kernelINS0_14default_configENS1_27scan_by_key_config_selectorIiiEEZZNS1_16scan_by_key_implILNS1_25lookback_scan_determinismE0ELb0ES3_N6thrust23THRUST_200600_302600_NS6detail15normal_iteratorINS9_10device_ptrIiEEEESE_SE_iNS9_10multipliesIiEENS9_8equal_toIiEEiEE10hipError_tPvRmT2_T3_T4_T5_mT6_T7_P12ihipStream_tbENKUlT_T0_E_clISt17integral_constantIbLb1EESY_IbLb0EEEEDaSU_SV_EUlSU_E_NS1_11comp_targetILNS1_3genE3ELNS1_11target_archE908ELNS1_3gpuE7ELNS1_3repE0EEENS1_30default_config_static_selectorELNS0_4arch9wavefront6targetE1EEEvT1_
; %bb.0:
	.section	.rodata,"a",@progbits
	.p2align	6, 0x0
	.amdhsa_kernel _ZN7rocprim17ROCPRIM_400000_NS6detail17trampoline_kernelINS0_14default_configENS1_27scan_by_key_config_selectorIiiEEZZNS1_16scan_by_key_implILNS1_25lookback_scan_determinismE0ELb0ES3_N6thrust23THRUST_200600_302600_NS6detail15normal_iteratorINS9_10device_ptrIiEEEESE_SE_iNS9_10multipliesIiEENS9_8equal_toIiEEiEE10hipError_tPvRmT2_T3_T4_T5_mT6_T7_P12ihipStream_tbENKUlT_T0_E_clISt17integral_constantIbLb1EESY_IbLb0EEEEDaSU_SV_EUlSU_E_NS1_11comp_targetILNS1_3genE3ELNS1_11target_archE908ELNS1_3gpuE7ELNS1_3repE0EEENS1_30default_config_static_selectorELNS0_4arch9wavefront6targetE1EEEvT1_
		.amdhsa_group_segment_fixed_size 0
		.amdhsa_private_segment_fixed_size 0
		.amdhsa_kernarg_size 112
		.amdhsa_user_sgpr_count 2
		.amdhsa_user_sgpr_dispatch_ptr 0
		.amdhsa_user_sgpr_queue_ptr 0
		.amdhsa_user_sgpr_kernarg_segment_ptr 1
		.amdhsa_user_sgpr_dispatch_id 0
		.amdhsa_user_sgpr_kernarg_preload_length 0
		.amdhsa_user_sgpr_kernarg_preload_offset 0
		.amdhsa_user_sgpr_private_segment_size 0
		.amdhsa_uses_dynamic_stack 0
		.amdhsa_enable_private_segment 0
		.amdhsa_system_sgpr_workgroup_id_x 1
		.amdhsa_system_sgpr_workgroup_id_y 0
		.amdhsa_system_sgpr_workgroup_id_z 0
		.amdhsa_system_sgpr_workgroup_info 0
		.amdhsa_system_vgpr_workitem_id 0
		.amdhsa_next_free_vgpr 1
		.amdhsa_next_free_sgpr 0
		.amdhsa_accum_offset 4
		.amdhsa_reserve_vcc 0
		.amdhsa_float_round_mode_32 0
		.amdhsa_float_round_mode_16_64 0
		.amdhsa_float_denorm_mode_32 3
		.amdhsa_float_denorm_mode_16_64 3
		.amdhsa_dx10_clamp 1
		.amdhsa_ieee_mode 1
		.amdhsa_fp16_overflow 0
		.amdhsa_tg_split 0
		.amdhsa_exception_fp_ieee_invalid_op 0
		.amdhsa_exception_fp_denorm_src 0
		.amdhsa_exception_fp_ieee_div_zero 0
		.amdhsa_exception_fp_ieee_overflow 0
		.amdhsa_exception_fp_ieee_underflow 0
		.amdhsa_exception_fp_ieee_inexact 0
		.amdhsa_exception_int_div_zero 0
	.end_amdhsa_kernel
	.section	.text._ZN7rocprim17ROCPRIM_400000_NS6detail17trampoline_kernelINS0_14default_configENS1_27scan_by_key_config_selectorIiiEEZZNS1_16scan_by_key_implILNS1_25lookback_scan_determinismE0ELb0ES3_N6thrust23THRUST_200600_302600_NS6detail15normal_iteratorINS9_10device_ptrIiEEEESE_SE_iNS9_10multipliesIiEENS9_8equal_toIiEEiEE10hipError_tPvRmT2_T3_T4_T5_mT6_T7_P12ihipStream_tbENKUlT_T0_E_clISt17integral_constantIbLb1EESY_IbLb0EEEEDaSU_SV_EUlSU_E_NS1_11comp_targetILNS1_3genE3ELNS1_11target_archE908ELNS1_3gpuE7ELNS1_3repE0EEENS1_30default_config_static_selectorELNS0_4arch9wavefront6targetE1EEEvT1_,"axG",@progbits,_ZN7rocprim17ROCPRIM_400000_NS6detail17trampoline_kernelINS0_14default_configENS1_27scan_by_key_config_selectorIiiEEZZNS1_16scan_by_key_implILNS1_25lookback_scan_determinismE0ELb0ES3_N6thrust23THRUST_200600_302600_NS6detail15normal_iteratorINS9_10device_ptrIiEEEESE_SE_iNS9_10multipliesIiEENS9_8equal_toIiEEiEE10hipError_tPvRmT2_T3_T4_T5_mT6_T7_P12ihipStream_tbENKUlT_T0_E_clISt17integral_constantIbLb1EESY_IbLb0EEEEDaSU_SV_EUlSU_E_NS1_11comp_targetILNS1_3genE3ELNS1_11target_archE908ELNS1_3gpuE7ELNS1_3repE0EEENS1_30default_config_static_selectorELNS0_4arch9wavefront6targetE1EEEvT1_,comdat
.Lfunc_end186:
	.size	_ZN7rocprim17ROCPRIM_400000_NS6detail17trampoline_kernelINS0_14default_configENS1_27scan_by_key_config_selectorIiiEEZZNS1_16scan_by_key_implILNS1_25lookback_scan_determinismE0ELb0ES3_N6thrust23THRUST_200600_302600_NS6detail15normal_iteratorINS9_10device_ptrIiEEEESE_SE_iNS9_10multipliesIiEENS9_8equal_toIiEEiEE10hipError_tPvRmT2_T3_T4_T5_mT6_T7_P12ihipStream_tbENKUlT_T0_E_clISt17integral_constantIbLb1EESY_IbLb0EEEEDaSU_SV_EUlSU_E_NS1_11comp_targetILNS1_3genE3ELNS1_11target_archE908ELNS1_3gpuE7ELNS1_3repE0EEENS1_30default_config_static_selectorELNS0_4arch9wavefront6targetE1EEEvT1_, .Lfunc_end186-_ZN7rocprim17ROCPRIM_400000_NS6detail17trampoline_kernelINS0_14default_configENS1_27scan_by_key_config_selectorIiiEEZZNS1_16scan_by_key_implILNS1_25lookback_scan_determinismE0ELb0ES3_N6thrust23THRUST_200600_302600_NS6detail15normal_iteratorINS9_10device_ptrIiEEEESE_SE_iNS9_10multipliesIiEENS9_8equal_toIiEEiEE10hipError_tPvRmT2_T3_T4_T5_mT6_T7_P12ihipStream_tbENKUlT_T0_E_clISt17integral_constantIbLb1EESY_IbLb0EEEEDaSU_SV_EUlSU_E_NS1_11comp_targetILNS1_3genE3ELNS1_11target_archE908ELNS1_3gpuE7ELNS1_3repE0EEENS1_30default_config_static_selectorELNS0_4arch9wavefront6targetE1EEEvT1_
                                        ; -- End function
	.section	.AMDGPU.csdata,"",@progbits
; Kernel info:
; codeLenInByte = 0
; NumSgprs: 6
; NumVgprs: 0
; NumAgprs: 0
; TotalNumVgprs: 0
; ScratchSize: 0
; MemoryBound: 0
; FloatMode: 240
; IeeeMode: 1
; LDSByteSize: 0 bytes/workgroup (compile time only)
; SGPRBlocks: 0
; VGPRBlocks: 0
; NumSGPRsForWavesPerEU: 6
; NumVGPRsForWavesPerEU: 1
; AccumOffset: 4
; Occupancy: 8
; WaveLimiterHint : 0
; COMPUTE_PGM_RSRC2:SCRATCH_EN: 0
; COMPUTE_PGM_RSRC2:USER_SGPR: 2
; COMPUTE_PGM_RSRC2:TRAP_HANDLER: 0
; COMPUTE_PGM_RSRC2:TGID_X_EN: 1
; COMPUTE_PGM_RSRC2:TGID_Y_EN: 0
; COMPUTE_PGM_RSRC2:TGID_Z_EN: 0
; COMPUTE_PGM_RSRC2:TIDIG_COMP_CNT: 0
; COMPUTE_PGM_RSRC3_GFX90A:ACCUM_OFFSET: 0
; COMPUTE_PGM_RSRC3_GFX90A:TG_SPLIT: 0
	.section	.text._ZN7rocprim17ROCPRIM_400000_NS6detail17trampoline_kernelINS0_14default_configENS1_27scan_by_key_config_selectorIiiEEZZNS1_16scan_by_key_implILNS1_25lookback_scan_determinismE0ELb0ES3_N6thrust23THRUST_200600_302600_NS6detail15normal_iteratorINS9_10device_ptrIiEEEESE_SE_iNS9_10multipliesIiEENS9_8equal_toIiEEiEE10hipError_tPvRmT2_T3_T4_T5_mT6_T7_P12ihipStream_tbENKUlT_T0_E_clISt17integral_constantIbLb1EESY_IbLb0EEEEDaSU_SV_EUlSU_E_NS1_11comp_targetILNS1_3genE2ELNS1_11target_archE906ELNS1_3gpuE6ELNS1_3repE0EEENS1_30default_config_static_selectorELNS0_4arch9wavefront6targetE1EEEvT1_,"axG",@progbits,_ZN7rocprim17ROCPRIM_400000_NS6detail17trampoline_kernelINS0_14default_configENS1_27scan_by_key_config_selectorIiiEEZZNS1_16scan_by_key_implILNS1_25lookback_scan_determinismE0ELb0ES3_N6thrust23THRUST_200600_302600_NS6detail15normal_iteratorINS9_10device_ptrIiEEEESE_SE_iNS9_10multipliesIiEENS9_8equal_toIiEEiEE10hipError_tPvRmT2_T3_T4_T5_mT6_T7_P12ihipStream_tbENKUlT_T0_E_clISt17integral_constantIbLb1EESY_IbLb0EEEEDaSU_SV_EUlSU_E_NS1_11comp_targetILNS1_3genE2ELNS1_11target_archE906ELNS1_3gpuE6ELNS1_3repE0EEENS1_30default_config_static_selectorELNS0_4arch9wavefront6targetE1EEEvT1_,comdat
	.protected	_ZN7rocprim17ROCPRIM_400000_NS6detail17trampoline_kernelINS0_14default_configENS1_27scan_by_key_config_selectorIiiEEZZNS1_16scan_by_key_implILNS1_25lookback_scan_determinismE0ELb0ES3_N6thrust23THRUST_200600_302600_NS6detail15normal_iteratorINS9_10device_ptrIiEEEESE_SE_iNS9_10multipliesIiEENS9_8equal_toIiEEiEE10hipError_tPvRmT2_T3_T4_T5_mT6_T7_P12ihipStream_tbENKUlT_T0_E_clISt17integral_constantIbLb1EESY_IbLb0EEEEDaSU_SV_EUlSU_E_NS1_11comp_targetILNS1_3genE2ELNS1_11target_archE906ELNS1_3gpuE6ELNS1_3repE0EEENS1_30default_config_static_selectorELNS0_4arch9wavefront6targetE1EEEvT1_ ; -- Begin function _ZN7rocprim17ROCPRIM_400000_NS6detail17trampoline_kernelINS0_14default_configENS1_27scan_by_key_config_selectorIiiEEZZNS1_16scan_by_key_implILNS1_25lookback_scan_determinismE0ELb0ES3_N6thrust23THRUST_200600_302600_NS6detail15normal_iteratorINS9_10device_ptrIiEEEESE_SE_iNS9_10multipliesIiEENS9_8equal_toIiEEiEE10hipError_tPvRmT2_T3_T4_T5_mT6_T7_P12ihipStream_tbENKUlT_T0_E_clISt17integral_constantIbLb1EESY_IbLb0EEEEDaSU_SV_EUlSU_E_NS1_11comp_targetILNS1_3genE2ELNS1_11target_archE906ELNS1_3gpuE6ELNS1_3repE0EEENS1_30default_config_static_selectorELNS0_4arch9wavefront6targetE1EEEvT1_
	.globl	_ZN7rocprim17ROCPRIM_400000_NS6detail17trampoline_kernelINS0_14default_configENS1_27scan_by_key_config_selectorIiiEEZZNS1_16scan_by_key_implILNS1_25lookback_scan_determinismE0ELb0ES3_N6thrust23THRUST_200600_302600_NS6detail15normal_iteratorINS9_10device_ptrIiEEEESE_SE_iNS9_10multipliesIiEENS9_8equal_toIiEEiEE10hipError_tPvRmT2_T3_T4_T5_mT6_T7_P12ihipStream_tbENKUlT_T0_E_clISt17integral_constantIbLb1EESY_IbLb0EEEEDaSU_SV_EUlSU_E_NS1_11comp_targetILNS1_3genE2ELNS1_11target_archE906ELNS1_3gpuE6ELNS1_3repE0EEENS1_30default_config_static_selectorELNS0_4arch9wavefront6targetE1EEEvT1_
	.p2align	8
	.type	_ZN7rocprim17ROCPRIM_400000_NS6detail17trampoline_kernelINS0_14default_configENS1_27scan_by_key_config_selectorIiiEEZZNS1_16scan_by_key_implILNS1_25lookback_scan_determinismE0ELb0ES3_N6thrust23THRUST_200600_302600_NS6detail15normal_iteratorINS9_10device_ptrIiEEEESE_SE_iNS9_10multipliesIiEENS9_8equal_toIiEEiEE10hipError_tPvRmT2_T3_T4_T5_mT6_T7_P12ihipStream_tbENKUlT_T0_E_clISt17integral_constantIbLb1EESY_IbLb0EEEEDaSU_SV_EUlSU_E_NS1_11comp_targetILNS1_3genE2ELNS1_11target_archE906ELNS1_3gpuE6ELNS1_3repE0EEENS1_30default_config_static_selectorELNS0_4arch9wavefront6targetE1EEEvT1_,@function
_ZN7rocprim17ROCPRIM_400000_NS6detail17trampoline_kernelINS0_14default_configENS1_27scan_by_key_config_selectorIiiEEZZNS1_16scan_by_key_implILNS1_25lookback_scan_determinismE0ELb0ES3_N6thrust23THRUST_200600_302600_NS6detail15normal_iteratorINS9_10device_ptrIiEEEESE_SE_iNS9_10multipliesIiEENS9_8equal_toIiEEiEE10hipError_tPvRmT2_T3_T4_T5_mT6_T7_P12ihipStream_tbENKUlT_T0_E_clISt17integral_constantIbLb1EESY_IbLb0EEEEDaSU_SV_EUlSU_E_NS1_11comp_targetILNS1_3genE2ELNS1_11target_archE906ELNS1_3gpuE6ELNS1_3repE0EEENS1_30default_config_static_selectorELNS0_4arch9wavefront6targetE1EEEvT1_: ; @_ZN7rocprim17ROCPRIM_400000_NS6detail17trampoline_kernelINS0_14default_configENS1_27scan_by_key_config_selectorIiiEEZZNS1_16scan_by_key_implILNS1_25lookback_scan_determinismE0ELb0ES3_N6thrust23THRUST_200600_302600_NS6detail15normal_iteratorINS9_10device_ptrIiEEEESE_SE_iNS9_10multipliesIiEENS9_8equal_toIiEEiEE10hipError_tPvRmT2_T3_T4_T5_mT6_T7_P12ihipStream_tbENKUlT_T0_E_clISt17integral_constantIbLb1EESY_IbLb0EEEEDaSU_SV_EUlSU_E_NS1_11comp_targetILNS1_3genE2ELNS1_11target_archE906ELNS1_3gpuE6ELNS1_3repE0EEENS1_30default_config_static_selectorELNS0_4arch9wavefront6targetE1EEEvT1_
; %bb.0:
	.section	.rodata,"a",@progbits
	.p2align	6, 0x0
	.amdhsa_kernel _ZN7rocprim17ROCPRIM_400000_NS6detail17trampoline_kernelINS0_14default_configENS1_27scan_by_key_config_selectorIiiEEZZNS1_16scan_by_key_implILNS1_25lookback_scan_determinismE0ELb0ES3_N6thrust23THRUST_200600_302600_NS6detail15normal_iteratorINS9_10device_ptrIiEEEESE_SE_iNS9_10multipliesIiEENS9_8equal_toIiEEiEE10hipError_tPvRmT2_T3_T4_T5_mT6_T7_P12ihipStream_tbENKUlT_T0_E_clISt17integral_constantIbLb1EESY_IbLb0EEEEDaSU_SV_EUlSU_E_NS1_11comp_targetILNS1_3genE2ELNS1_11target_archE906ELNS1_3gpuE6ELNS1_3repE0EEENS1_30default_config_static_selectorELNS0_4arch9wavefront6targetE1EEEvT1_
		.amdhsa_group_segment_fixed_size 0
		.amdhsa_private_segment_fixed_size 0
		.amdhsa_kernarg_size 112
		.amdhsa_user_sgpr_count 2
		.amdhsa_user_sgpr_dispatch_ptr 0
		.amdhsa_user_sgpr_queue_ptr 0
		.amdhsa_user_sgpr_kernarg_segment_ptr 1
		.amdhsa_user_sgpr_dispatch_id 0
		.amdhsa_user_sgpr_kernarg_preload_length 0
		.amdhsa_user_sgpr_kernarg_preload_offset 0
		.amdhsa_user_sgpr_private_segment_size 0
		.amdhsa_uses_dynamic_stack 0
		.amdhsa_enable_private_segment 0
		.amdhsa_system_sgpr_workgroup_id_x 1
		.amdhsa_system_sgpr_workgroup_id_y 0
		.amdhsa_system_sgpr_workgroup_id_z 0
		.amdhsa_system_sgpr_workgroup_info 0
		.amdhsa_system_vgpr_workitem_id 0
		.amdhsa_next_free_vgpr 1
		.amdhsa_next_free_sgpr 0
		.amdhsa_accum_offset 4
		.amdhsa_reserve_vcc 0
		.amdhsa_float_round_mode_32 0
		.amdhsa_float_round_mode_16_64 0
		.amdhsa_float_denorm_mode_32 3
		.amdhsa_float_denorm_mode_16_64 3
		.amdhsa_dx10_clamp 1
		.amdhsa_ieee_mode 1
		.amdhsa_fp16_overflow 0
		.amdhsa_tg_split 0
		.amdhsa_exception_fp_ieee_invalid_op 0
		.amdhsa_exception_fp_denorm_src 0
		.amdhsa_exception_fp_ieee_div_zero 0
		.amdhsa_exception_fp_ieee_overflow 0
		.amdhsa_exception_fp_ieee_underflow 0
		.amdhsa_exception_fp_ieee_inexact 0
		.amdhsa_exception_int_div_zero 0
	.end_amdhsa_kernel
	.section	.text._ZN7rocprim17ROCPRIM_400000_NS6detail17trampoline_kernelINS0_14default_configENS1_27scan_by_key_config_selectorIiiEEZZNS1_16scan_by_key_implILNS1_25lookback_scan_determinismE0ELb0ES3_N6thrust23THRUST_200600_302600_NS6detail15normal_iteratorINS9_10device_ptrIiEEEESE_SE_iNS9_10multipliesIiEENS9_8equal_toIiEEiEE10hipError_tPvRmT2_T3_T4_T5_mT6_T7_P12ihipStream_tbENKUlT_T0_E_clISt17integral_constantIbLb1EESY_IbLb0EEEEDaSU_SV_EUlSU_E_NS1_11comp_targetILNS1_3genE2ELNS1_11target_archE906ELNS1_3gpuE6ELNS1_3repE0EEENS1_30default_config_static_selectorELNS0_4arch9wavefront6targetE1EEEvT1_,"axG",@progbits,_ZN7rocprim17ROCPRIM_400000_NS6detail17trampoline_kernelINS0_14default_configENS1_27scan_by_key_config_selectorIiiEEZZNS1_16scan_by_key_implILNS1_25lookback_scan_determinismE0ELb0ES3_N6thrust23THRUST_200600_302600_NS6detail15normal_iteratorINS9_10device_ptrIiEEEESE_SE_iNS9_10multipliesIiEENS9_8equal_toIiEEiEE10hipError_tPvRmT2_T3_T4_T5_mT6_T7_P12ihipStream_tbENKUlT_T0_E_clISt17integral_constantIbLb1EESY_IbLb0EEEEDaSU_SV_EUlSU_E_NS1_11comp_targetILNS1_3genE2ELNS1_11target_archE906ELNS1_3gpuE6ELNS1_3repE0EEENS1_30default_config_static_selectorELNS0_4arch9wavefront6targetE1EEEvT1_,comdat
.Lfunc_end187:
	.size	_ZN7rocprim17ROCPRIM_400000_NS6detail17trampoline_kernelINS0_14default_configENS1_27scan_by_key_config_selectorIiiEEZZNS1_16scan_by_key_implILNS1_25lookback_scan_determinismE0ELb0ES3_N6thrust23THRUST_200600_302600_NS6detail15normal_iteratorINS9_10device_ptrIiEEEESE_SE_iNS9_10multipliesIiEENS9_8equal_toIiEEiEE10hipError_tPvRmT2_T3_T4_T5_mT6_T7_P12ihipStream_tbENKUlT_T0_E_clISt17integral_constantIbLb1EESY_IbLb0EEEEDaSU_SV_EUlSU_E_NS1_11comp_targetILNS1_3genE2ELNS1_11target_archE906ELNS1_3gpuE6ELNS1_3repE0EEENS1_30default_config_static_selectorELNS0_4arch9wavefront6targetE1EEEvT1_, .Lfunc_end187-_ZN7rocprim17ROCPRIM_400000_NS6detail17trampoline_kernelINS0_14default_configENS1_27scan_by_key_config_selectorIiiEEZZNS1_16scan_by_key_implILNS1_25lookback_scan_determinismE0ELb0ES3_N6thrust23THRUST_200600_302600_NS6detail15normal_iteratorINS9_10device_ptrIiEEEESE_SE_iNS9_10multipliesIiEENS9_8equal_toIiEEiEE10hipError_tPvRmT2_T3_T4_T5_mT6_T7_P12ihipStream_tbENKUlT_T0_E_clISt17integral_constantIbLb1EESY_IbLb0EEEEDaSU_SV_EUlSU_E_NS1_11comp_targetILNS1_3genE2ELNS1_11target_archE906ELNS1_3gpuE6ELNS1_3repE0EEENS1_30default_config_static_selectorELNS0_4arch9wavefront6targetE1EEEvT1_
                                        ; -- End function
	.section	.AMDGPU.csdata,"",@progbits
; Kernel info:
; codeLenInByte = 0
; NumSgprs: 6
; NumVgprs: 0
; NumAgprs: 0
; TotalNumVgprs: 0
; ScratchSize: 0
; MemoryBound: 0
; FloatMode: 240
; IeeeMode: 1
; LDSByteSize: 0 bytes/workgroup (compile time only)
; SGPRBlocks: 0
; VGPRBlocks: 0
; NumSGPRsForWavesPerEU: 6
; NumVGPRsForWavesPerEU: 1
; AccumOffset: 4
; Occupancy: 8
; WaveLimiterHint : 0
; COMPUTE_PGM_RSRC2:SCRATCH_EN: 0
; COMPUTE_PGM_RSRC2:USER_SGPR: 2
; COMPUTE_PGM_RSRC2:TRAP_HANDLER: 0
; COMPUTE_PGM_RSRC2:TGID_X_EN: 1
; COMPUTE_PGM_RSRC2:TGID_Y_EN: 0
; COMPUTE_PGM_RSRC2:TGID_Z_EN: 0
; COMPUTE_PGM_RSRC2:TIDIG_COMP_CNT: 0
; COMPUTE_PGM_RSRC3_GFX90A:ACCUM_OFFSET: 0
; COMPUTE_PGM_RSRC3_GFX90A:TG_SPLIT: 0
	.section	.text._ZN7rocprim17ROCPRIM_400000_NS6detail17trampoline_kernelINS0_14default_configENS1_27scan_by_key_config_selectorIiiEEZZNS1_16scan_by_key_implILNS1_25lookback_scan_determinismE0ELb0ES3_N6thrust23THRUST_200600_302600_NS6detail15normal_iteratorINS9_10device_ptrIiEEEESE_SE_iNS9_10multipliesIiEENS9_8equal_toIiEEiEE10hipError_tPvRmT2_T3_T4_T5_mT6_T7_P12ihipStream_tbENKUlT_T0_E_clISt17integral_constantIbLb1EESY_IbLb0EEEEDaSU_SV_EUlSU_E_NS1_11comp_targetILNS1_3genE10ELNS1_11target_archE1200ELNS1_3gpuE4ELNS1_3repE0EEENS1_30default_config_static_selectorELNS0_4arch9wavefront6targetE1EEEvT1_,"axG",@progbits,_ZN7rocprim17ROCPRIM_400000_NS6detail17trampoline_kernelINS0_14default_configENS1_27scan_by_key_config_selectorIiiEEZZNS1_16scan_by_key_implILNS1_25lookback_scan_determinismE0ELb0ES3_N6thrust23THRUST_200600_302600_NS6detail15normal_iteratorINS9_10device_ptrIiEEEESE_SE_iNS9_10multipliesIiEENS9_8equal_toIiEEiEE10hipError_tPvRmT2_T3_T4_T5_mT6_T7_P12ihipStream_tbENKUlT_T0_E_clISt17integral_constantIbLb1EESY_IbLb0EEEEDaSU_SV_EUlSU_E_NS1_11comp_targetILNS1_3genE10ELNS1_11target_archE1200ELNS1_3gpuE4ELNS1_3repE0EEENS1_30default_config_static_selectorELNS0_4arch9wavefront6targetE1EEEvT1_,comdat
	.protected	_ZN7rocprim17ROCPRIM_400000_NS6detail17trampoline_kernelINS0_14default_configENS1_27scan_by_key_config_selectorIiiEEZZNS1_16scan_by_key_implILNS1_25lookback_scan_determinismE0ELb0ES3_N6thrust23THRUST_200600_302600_NS6detail15normal_iteratorINS9_10device_ptrIiEEEESE_SE_iNS9_10multipliesIiEENS9_8equal_toIiEEiEE10hipError_tPvRmT2_T3_T4_T5_mT6_T7_P12ihipStream_tbENKUlT_T0_E_clISt17integral_constantIbLb1EESY_IbLb0EEEEDaSU_SV_EUlSU_E_NS1_11comp_targetILNS1_3genE10ELNS1_11target_archE1200ELNS1_3gpuE4ELNS1_3repE0EEENS1_30default_config_static_selectorELNS0_4arch9wavefront6targetE1EEEvT1_ ; -- Begin function _ZN7rocprim17ROCPRIM_400000_NS6detail17trampoline_kernelINS0_14default_configENS1_27scan_by_key_config_selectorIiiEEZZNS1_16scan_by_key_implILNS1_25lookback_scan_determinismE0ELb0ES3_N6thrust23THRUST_200600_302600_NS6detail15normal_iteratorINS9_10device_ptrIiEEEESE_SE_iNS9_10multipliesIiEENS9_8equal_toIiEEiEE10hipError_tPvRmT2_T3_T4_T5_mT6_T7_P12ihipStream_tbENKUlT_T0_E_clISt17integral_constantIbLb1EESY_IbLb0EEEEDaSU_SV_EUlSU_E_NS1_11comp_targetILNS1_3genE10ELNS1_11target_archE1200ELNS1_3gpuE4ELNS1_3repE0EEENS1_30default_config_static_selectorELNS0_4arch9wavefront6targetE1EEEvT1_
	.globl	_ZN7rocprim17ROCPRIM_400000_NS6detail17trampoline_kernelINS0_14default_configENS1_27scan_by_key_config_selectorIiiEEZZNS1_16scan_by_key_implILNS1_25lookback_scan_determinismE0ELb0ES3_N6thrust23THRUST_200600_302600_NS6detail15normal_iteratorINS9_10device_ptrIiEEEESE_SE_iNS9_10multipliesIiEENS9_8equal_toIiEEiEE10hipError_tPvRmT2_T3_T4_T5_mT6_T7_P12ihipStream_tbENKUlT_T0_E_clISt17integral_constantIbLb1EESY_IbLb0EEEEDaSU_SV_EUlSU_E_NS1_11comp_targetILNS1_3genE10ELNS1_11target_archE1200ELNS1_3gpuE4ELNS1_3repE0EEENS1_30default_config_static_selectorELNS0_4arch9wavefront6targetE1EEEvT1_
	.p2align	8
	.type	_ZN7rocprim17ROCPRIM_400000_NS6detail17trampoline_kernelINS0_14default_configENS1_27scan_by_key_config_selectorIiiEEZZNS1_16scan_by_key_implILNS1_25lookback_scan_determinismE0ELb0ES3_N6thrust23THRUST_200600_302600_NS6detail15normal_iteratorINS9_10device_ptrIiEEEESE_SE_iNS9_10multipliesIiEENS9_8equal_toIiEEiEE10hipError_tPvRmT2_T3_T4_T5_mT6_T7_P12ihipStream_tbENKUlT_T0_E_clISt17integral_constantIbLb1EESY_IbLb0EEEEDaSU_SV_EUlSU_E_NS1_11comp_targetILNS1_3genE10ELNS1_11target_archE1200ELNS1_3gpuE4ELNS1_3repE0EEENS1_30default_config_static_selectorELNS0_4arch9wavefront6targetE1EEEvT1_,@function
_ZN7rocprim17ROCPRIM_400000_NS6detail17trampoline_kernelINS0_14default_configENS1_27scan_by_key_config_selectorIiiEEZZNS1_16scan_by_key_implILNS1_25lookback_scan_determinismE0ELb0ES3_N6thrust23THRUST_200600_302600_NS6detail15normal_iteratorINS9_10device_ptrIiEEEESE_SE_iNS9_10multipliesIiEENS9_8equal_toIiEEiEE10hipError_tPvRmT2_T3_T4_T5_mT6_T7_P12ihipStream_tbENKUlT_T0_E_clISt17integral_constantIbLb1EESY_IbLb0EEEEDaSU_SV_EUlSU_E_NS1_11comp_targetILNS1_3genE10ELNS1_11target_archE1200ELNS1_3gpuE4ELNS1_3repE0EEENS1_30default_config_static_selectorELNS0_4arch9wavefront6targetE1EEEvT1_: ; @_ZN7rocprim17ROCPRIM_400000_NS6detail17trampoline_kernelINS0_14default_configENS1_27scan_by_key_config_selectorIiiEEZZNS1_16scan_by_key_implILNS1_25lookback_scan_determinismE0ELb0ES3_N6thrust23THRUST_200600_302600_NS6detail15normal_iteratorINS9_10device_ptrIiEEEESE_SE_iNS9_10multipliesIiEENS9_8equal_toIiEEiEE10hipError_tPvRmT2_T3_T4_T5_mT6_T7_P12ihipStream_tbENKUlT_T0_E_clISt17integral_constantIbLb1EESY_IbLb0EEEEDaSU_SV_EUlSU_E_NS1_11comp_targetILNS1_3genE10ELNS1_11target_archE1200ELNS1_3gpuE4ELNS1_3repE0EEENS1_30default_config_static_selectorELNS0_4arch9wavefront6targetE1EEEvT1_
; %bb.0:
	.section	.rodata,"a",@progbits
	.p2align	6, 0x0
	.amdhsa_kernel _ZN7rocprim17ROCPRIM_400000_NS6detail17trampoline_kernelINS0_14default_configENS1_27scan_by_key_config_selectorIiiEEZZNS1_16scan_by_key_implILNS1_25lookback_scan_determinismE0ELb0ES3_N6thrust23THRUST_200600_302600_NS6detail15normal_iteratorINS9_10device_ptrIiEEEESE_SE_iNS9_10multipliesIiEENS9_8equal_toIiEEiEE10hipError_tPvRmT2_T3_T4_T5_mT6_T7_P12ihipStream_tbENKUlT_T0_E_clISt17integral_constantIbLb1EESY_IbLb0EEEEDaSU_SV_EUlSU_E_NS1_11comp_targetILNS1_3genE10ELNS1_11target_archE1200ELNS1_3gpuE4ELNS1_3repE0EEENS1_30default_config_static_selectorELNS0_4arch9wavefront6targetE1EEEvT1_
		.amdhsa_group_segment_fixed_size 0
		.amdhsa_private_segment_fixed_size 0
		.amdhsa_kernarg_size 112
		.amdhsa_user_sgpr_count 2
		.amdhsa_user_sgpr_dispatch_ptr 0
		.amdhsa_user_sgpr_queue_ptr 0
		.amdhsa_user_sgpr_kernarg_segment_ptr 1
		.amdhsa_user_sgpr_dispatch_id 0
		.amdhsa_user_sgpr_kernarg_preload_length 0
		.amdhsa_user_sgpr_kernarg_preload_offset 0
		.amdhsa_user_sgpr_private_segment_size 0
		.amdhsa_uses_dynamic_stack 0
		.amdhsa_enable_private_segment 0
		.amdhsa_system_sgpr_workgroup_id_x 1
		.amdhsa_system_sgpr_workgroup_id_y 0
		.amdhsa_system_sgpr_workgroup_id_z 0
		.amdhsa_system_sgpr_workgroup_info 0
		.amdhsa_system_vgpr_workitem_id 0
		.amdhsa_next_free_vgpr 1
		.amdhsa_next_free_sgpr 0
		.amdhsa_accum_offset 4
		.amdhsa_reserve_vcc 0
		.amdhsa_float_round_mode_32 0
		.amdhsa_float_round_mode_16_64 0
		.amdhsa_float_denorm_mode_32 3
		.amdhsa_float_denorm_mode_16_64 3
		.amdhsa_dx10_clamp 1
		.amdhsa_ieee_mode 1
		.amdhsa_fp16_overflow 0
		.amdhsa_tg_split 0
		.amdhsa_exception_fp_ieee_invalid_op 0
		.amdhsa_exception_fp_denorm_src 0
		.amdhsa_exception_fp_ieee_div_zero 0
		.amdhsa_exception_fp_ieee_overflow 0
		.amdhsa_exception_fp_ieee_underflow 0
		.amdhsa_exception_fp_ieee_inexact 0
		.amdhsa_exception_int_div_zero 0
	.end_amdhsa_kernel
	.section	.text._ZN7rocprim17ROCPRIM_400000_NS6detail17trampoline_kernelINS0_14default_configENS1_27scan_by_key_config_selectorIiiEEZZNS1_16scan_by_key_implILNS1_25lookback_scan_determinismE0ELb0ES3_N6thrust23THRUST_200600_302600_NS6detail15normal_iteratorINS9_10device_ptrIiEEEESE_SE_iNS9_10multipliesIiEENS9_8equal_toIiEEiEE10hipError_tPvRmT2_T3_T4_T5_mT6_T7_P12ihipStream_tbENKUlT_T0_E_clISt17integral_constantIbLb1EESY_IbLb0EEEEDaSU_SV_EUlSU_E_NS1_11comp_targetILNS1_3genE10ELNS1_11target_archE1200ELNS1_3gpuE4ELNS1_3repE0EEENS1_30default_config_static_selectorELNS0_4arch9wavefront6targetE1EEEvT1_,"axG",@progbits,_ZN7rocprim17ROCPRIM_400000_NS6detail17trampoline_kernelINS0_14default_configENS1_27scan_by_key_config_selectorIiiEEZZNS1_16scan_by_key_implILNS1_25lookback_scan_determinismE0ELb0ES3_N6thrust23THRUST_200600_302600_NS6detail15normal_iteratorINS9_10device_ptrIiEEEESE_SE_iNS9_10multipliesIiEENS9_8equal_toIiEEiEE10hipError_tPvRmT2_T3_T4_T5_mT6_T7_P12ihipStream_tbENKUlT_T0_E_clISt17integral_constantIbLb1EESY_IbLb0EEEEDaSU_SV_EUlSU_E_NS1_11comp_targetILNS1_3genE10ELNS1_11target_archE1200ELNS1_3gpuE4ELNS1_3repE0EEENS1_30default_config_static_selectorELNS0_4arch9wavefront6targetE1EEEvT1_,comdat
.Lfunc_end188:
	.size	_ZN7rocprim17ROCPRIM_400000_NS6detail17trampoline_kernelINS0_14default_configENS1_27scan_by_key_config_selectorIiiEEZZNS1_16scan_by_key_implILNS1_25lookback_scan_determinismE0ELb0ES3_N6thrust23THRUST_200600_302600_NS6detail15normal_iteratorINS9_10device_ptrIiEEEESE_SE_iNS9_10multipliesIiEENS9_8equal_toIiEEiEE10hipError_tPvRmT2_T3_T4_T5_mT6_T7_P12ihipStream_tbENKUlT_T0_E_clISt17integral_constantIbLb1EESY_IbLb0EEEEDaSU_SV_EUlSU_E_NS1_11comp_targetILNS1_3genE10ELNS1_11target_archE1200ELNS1_3gpuE4ELNS1_3repE0EEENS1_30default_config_static_selectorELNS0_4arch9wavefront6targetE1EEEvT1_, .Lfunc_end188-_ZN7rocprim17ROCPRIM_400000_NS6detail17trampoline_kernelINS0_14default_configENS1_27scan_by_key_config_selectorIiiEEZZNS1_16scan_by_key_implILNS1_25lookback_scan_determinismE0ELb0ES3_N6thrust23THRUST_200600_302600_NS6detail15normal_iteratorINS9_10device_ptrIiEEEESE_SE_iNS9_10multipliesIiEENS9_8equal_toIiEEiEE10hipError_tPvRmT2_T3_T4_T5_mT6_T7_P12ihipStream_tbENKUlT_T0_E_clISt17integral_constantIbLb1EESY_IbLb0EEEEDaSU_SV_EUlSU_E_NS1_11comp_targetILNS1_3genE10ELNS1_11target_archE1200ELNS1_3gpuE4ELNS1_3repE0EEENS1_30default_config_static_selectorELNS0_4arch9wavefront6targetE1EEEvT1_
                                        ; -- End function
	.section	.AMDGPU.csdata,"",@progbits
; Kernel info:
; codeLenInByte = 0
; NumSgprs: 6
; NumVgprs: 0
; NumAgprs: 0
; TotalNumVgprs: 0
; ScratchSize: 0
; MemoryBound: 0
; FloatMode: 240
; IeeeMode: 1
; LDSByteSize: 0 bytes/workgroup (compile time only)
; SGPRBlocks: 0
; VGPRBlocks: 0
; NumSGPRsForWavesPerEU: 6
; NumVGPRsForWavesPerEU: 1
; AccumOffset: 4
; Occupancy: 8
; WaveLimiterHint : 0
; COMPUTE_PGM_RSRC2:SCRATCH_EN: 0
; COMPUTE_PGM_RSRC2:USER_SGPR: 2
; COMPUTE_PGM_RSRC2:TRAP_HANDLER: 0
; COMPUTE_PGM_RSRC2:TGID_X_EN: 1
; COMPUTE_PGM_RSRC2:TGID_Y_EN: 0
; COMPUTE_PGM_RSRC2:TGID_Z_EN: 0
; COMPUTE_PGM_RSRC2:TIDIG_COMP_CNT: 0
; COMPUTE_PGM_RSRC3_GFX90A:ACCUM_OFFSET: 0
; COMPUTE_PGM_RSRC3_GFX90A:TG_SPLIT: 0
	.section	.text._ZN7rocprim17ROCPRIM_400000_NS6detail17trampoline_kernelINS0_14default_configENS1_27scan_by_key_config_selectorIiiEEZZNS1_16scan_by_key_implILNS1_25lookback_scan_determinismE0ELb0ES3_N6thrust23THRUST_200600_302600_NS6detail15normal_iteratorINS9_10device_ptrIiEEEESE_SE_iNS9_10multipliesIiEENS9_8equal_toIiEEiEE10hipError_tPvRmT2_T3_T4_T5_mT6_T7_P12ihipStream_tbENKUlT_T0_E_clISt17integral_constantIbLb1EESY_IbLb0EEEEDaSU_SV_EUlSU_E_NS1_11comp_targetILNS1_3genE9ELNS1_11target_archE1100ELNS1_3gpuE3ELNS1_3repE0EEENS1_30default_config_static_selectorELNS0_4arch9wavefront6targetE1EEEvT1_,"axG",@progbits,_ZN7rocprim17ROCPRIM_400000_NS6detail17trampoline_kernelINS0_14default_configENS1_27scan_by_key_config_selectorIiiEEZZNS1_16scan_by_key_implILNS1_25lookback_scan_determinismE0ELb0ES3_N6thrust23THRUST_200600_302600_NS6detail15normal_iteratorINS9_10device_ptrIiEEEESE_SE_iNS9_10multipliesIiEENS9_8equal_toIiEEiEE10hipError_tPvRmT2_T3_T4_T5_mT6_T7_P12ihipStream_tbENKUlT_T0_E_clISt17integral_constantIbLb1EESY_IbLb0EEEEDaSU_SV_EUlSU_E_NS1_11comp_targetILNS1_3genE9ELNS1_11target_archE1100ELNS1_3gpuE3ELNS1_3repE0EEENS1_30default_config_static_selectorELNS0_4arch9wavefront6targetE1EEEvT1_,comdat
	.protected	_ZN7rocprim17ROCPRIM_400000_NS6detail17trampoline_kernelINS0_14default_configENS1_27scan_by_key_config_selectorIiiEEZZNS1_16scan_by_key_implILNS1_25lookback_scan_determinismE0ELb0ES3_N6thrust23THRUST_200600_302600_NS6detail15normal_iteratorINS9_10device_ptrIiEEEESE_SE_iNS9_10multipliesIiEENS9_8equal_toIiEEiEE10hipError_tPvRmT2_T3_T4_T5_mT6_T7_P12ihipStream_tbENKUlT_T0_E_clISt17integral_constantIbLb1EESY_IbLb0EEEEDaSU_SV_EUlSU_E_NS1_11comp_targetILNS1_3genE9ELNS1_11target_archE1100ELNS1_3gpuE3ELNS1_3repE0EEENS1_30default_config_static_selectorELNS0_4arch9wavefront6targetE1EEEvT1_ ; -- Begin function _ZN7rocprim17ROCPRIM_400000_NS6detail17trampoline_kernelINS0_14default_configENS1_27scan_by_key_config_selectorIiiEEZZNS1_16scan_by_key_implILNS1_25lookback_scan_determinismE0ELb0ES3_N6thrust23THRUST_200600_302600_NS6detail15normal_iteratorINS9_10device_ptrIiEEEESE_SE_iNS9_10multipliesIiEENS9_8equal_toIiEEiEE10hipError_tPvRmT2_T3_T4_T5_mT6_T7_P12ihipStream_tbENKUlT_T0_E_clISt17integral_constantIbLb1EESY_IbLb0EEEEDaSU_SV_EUlSU_E_NS1_11comp_targetILNS1_3genE9ELNS1_11target_archE1100ELNS1_3gpuE3ELNS1_3repE0EEENS1_30default_config_static_selectorELNS0_4arch9wavefront6targetE1EEEvT1_
	.globl	_ZN7rocprim17ROCPRIM_400000_NS6detail17trampoline_kernelINS0_14default_configENS1_27scan_by_key_config_selectorIiiEEZZNS1_16scan_by_key_implILNS1_25lookback_scan_determinismE0ELb0ES3_N6thrust23THRUST_200600_302600_NS6detail15normal_iteratorINS9_10device_ptrIiEEEESE_SE_iNS9_10multipliesIiEENS9_8equal_toIiEEiEE10hipError_tPvRmT2_T3_T4_T5_mT6_T7_P12ihipStream_tbENKUlT_T0_E_clISt17integral_constantIbLb1EESY_IbLb0EEEEDaSU_SV_EUlSU_E_NS1_11comp_targetILNS1_3genE9ELNS1_11target_archE1100ELNS1_3gpuE3ELNS1_3repE0EEENS1_30default_config_static_selectorELNS0_4arch9wavefront6targetE1EEEvT1_
	.p2align	8
	.type	_ZN7rocprim17ROCPRIM_400000_NS6detail17trampoline_kernelINS0_14default_configENS1_27scan_by_key_config_selectorIiiEEZZNS1_16scan_by_key_implILNS1_25lookback_scan_determinismE0ELb0ES3_N6thrust23THRUST_200600_302600_NS6detail15normal_iteratorINS9_10device_ptrIiEEEESE_SE_iNS9_10multipliesIiEENS9_8equal_toIiEEiEE10hipError_tPvRmT2_T3_T4_T5_mT6_T7_P12ihipStream_tbENKUlT_T0_E_clISt17integral_constantIbLb1EESY_IbLb0EEEEDaSU_SV_EUlSU_E_NS1_11comp_targetILNS1_3genE9ELNS1_11target_archE1100ELNS1_3gpuE3ELNS1_3repE0EEENS1_30default_config_static_selectorELNS0_4arch9wavefront6targetE1EEEvT1_,@function
_ZN7rocprim17ROCPRIM_400000_NS6detail17trampoline_kernelINS0_14default_configENS1_27scan_by_key_config_selectorIiiEEZZNS1_16scan_by_key_implILNS1_25lookback_scan_determinismE0ELb0ES3_N6thrust23THRUST_200600_302600_NS6detail15normal_iteratorINS9_10device_ptrIiEEEESE_SE_iNS9_10multipliesIiEENS9_8equal_toIiEEiEE10hipError_tPvRmT2_T3_T4_T5_mT6_T7_P12ihipStream_tbENKUlT_T0_E_clISt17integral_constantIbLb1EESY_IbLb0EEEEDaSU_SV_EUlSU_E_NS1_11comp_targetILNS1_3genE9ELNS1_11target_archE1100ELNS1_3gpuE3ELNS1_3repE0EEENS1_30default_config_static_selectorELNS0_4arch9wavefront6targetE1EEEvT1_: ; @_ZN7rocprim17ROCPRIM_400000_NS6detail17trampoline_kernelINS0_14default_configENS1_27scan_by_key_config_selectorIiiEEZZNS1_16scan_by_key_implILNS1_25lookback_scan_determinismE0ELb0ES3_N6thrust23THRUST_200600_302600_NS6detail15normal_iteratorINS9_10device_ptrIiEEEESE_SE_iNS9_10multipliesIiEENS9_8equal_toIiEEiEE10hipError_tPvRmT2_T3_T4_T5_mT6_T7_P12ihipStream_tbENKUlT_T0_E_clISt17integral_constantIbLb1EESY_IbLb0EEEEDaSU_SV_EUlSU_E_NS1_11comp_targetILNS1_3genE9ELNS1_11target_archE1100ELNS1_3gpuE3ELNS1_3repE0EEENS1_30default_config_static_selectorELNS0_4arch9wavefront6targetE1EEEvT1_
; %bb.0:
	.section	.rodata,"a",@progbits
	.p2align	6, 0x0
	.amdhsa_kernel _ZN7rocprim17ROCPRIM_400000_NS6detail17trampoline_kernelINS0_14default_configENS1_27scan_by_key_config_selectorIiiEEZZNS1_16scan_by_key_implILNS1_25lookback_scan_determinismE0ELb0ES3_N6thrust23THRUST_200600_302600_NS6detail15normal_iteratorINS9_10device_ptrIiEEEESE_SE_iNS9_10multipliesIiEENS9_8equal_toIiEEiEE10hipError_tPvRmT2_T3_T4_T5_mT6_T7_P12ihipStream_tbENKUlT_T0_E_clISt17integral_constantIbLb1EESY_IbLb0EEEEDaSU_SV_EUlSU_E_NS1_11comp_targetILNS1_3genE9ELNS1_11target_archE1100ELNS1_3gpuE3ELNS1_3repE0EEENS1_30default_config_static_selectorELNS0_4arch9wavefront6targetE1EEEvT1_
		.amdhsa_group_segment_fixed_size 0
		.amdhsa_private_segment_fixed_size 0
		.amdhsa_kernarg_size 112
		.amdhsa_user_sgpr_count 2
		.amdhsa_user_sgpr_dispatch_ptr 0
		.amdhsa_user_sgpr_queue_ptr 0
		.amdhsa_user_sgpr_kernarg_segment_ptr 1
		.amdhsa_user_sgpr_dispatch_id 0
		.amdhsa_user_sgpr_kernarg_preload_length 0
		.amdhsa_user_sgpr_kernarg_preload_offset 0
		.amdhsa_user_sgpr_private_segment_size 0
		.amdhsa_uses_dynamic_stack 0
		.amdhsa_enable_private_segment 0
		.amdhsa_system_sgpr_workgroup_id_x 1
		.amdhsa_system_sgpr_workgroup_id_y 0
		.amdhsa_system_sgpr_workgroup_id_z 0
		.amdhsa_system_sgpr_workgroup_info 0
		.amdhsa_system_vgpr_workitem_id 0
		.amdhsa_next_free_vgpr 1
		.amdhsa_next_free_sgpr 0
		.amdhsa_accum_offset 4
		.amdhsa_reserve_vcc 0
		.amdhsa_float_round_mode_32 0
		.amdhsa_float_round_mode_16_64 0
		.amdhsa_float_denorm_mode_32 3
		.amdhsa_float_denorm_mode_16_64 3
		.amdhsa_dx10_clamp 1
		.amdhsa_ieee_mode 1
		.amdhsa_fp16_overflow 0
		.amdhsa_tg_split 0
		.amdhsa_exception_fp_ieee_invalid_op 0
		.amdhsa_exception_fp_denorm_src 0
		.amdhsa_exception_fp_ieee_div_zero 0
		.amdhsa_exception_fp_ieee_overflow 0
		.amdhsa_exception_fp_ieee_underflow 0
		.amdhsa_exception_fp_ieee_inexact 0
		.amdhsa_exception_int_div_zero 0
	.end_amdhsa_kernel
	.section	.text._ZN7rocprim17ROCPRIM_400000_NS6detail17trampoline_kernelINS0_14default_configENS1_27scan_by_key_config_selectorIiiEEZZNS1_16scan_by_key_implILNS1_25lookback_scan_determinismE0ELb0ES3_N6thrust23THRUST_200600_302600_NS6detail15normal_iteratorINS9_10device_ptrIiEEEESE_SE_iNS9_10multipliesIiEENS9_8equal_toIiEEiEE10hipError_tPvRmT2_T3_T4_T5_mT6_T7_P12ihipStream_tbENKUlT_T0_E_clISt17integral_constantIbLb1EESY_IbLb0EEEEDaSU_SV_EUlSU_E_NS1_11comp_targetILNS1_3genE9ELNS1_11target_archE1100ELNS1_3gpuE3ELNS1_3repE0EEENS1_30default_config_static_selectorELNS0_4arch9wavefront6targetE1EEEvT1_,"axG",@progbits,_ZN7rocprim17ROCPRIM_400000_NS6detail17trampoline_kernelINS0_14default_configENS1_27scan_by_key_config_selectorIiiEEZZNS1_16scan_by_key_implILNS1_25lookback_scan_determinismE0ELb0ES3_N6thrust23THRUST_200600_302600_NS6detail15normal_iteratorINS9_10device_ptrIiEEEESE_SE_iNS9_10multipliesIiEENS9_8equal_toIiEEiEE10hipError_tPvRmT2_T3_T4_T5_mT6_T7_P12ihipStream_tbENKUlT_T0_E_clISt17integral_constantIbLb1EESY_IbLb0EEEEDaSU_SV_EUlSU_E_NS1_11comp_targetILNS1_3genE9ELNS1_11target_archE1100ELNS1_3gpuE3ELNS1_3repE0EEENS1_30default_config_static_selectorELNS0_4arch9wavefront6targetE1EEEvT1_,comdat
.Lfunc_end189:
	.size	_ZN7rocprim17ROCPRIM_400000_NS6detail17trampoline_kernelINS0_14default_configENS1_27scan_by_key_config_selectorIiiEEZZNS1_16scan_by_key_implILNS1_25lookback_scan_determinismE0ELb0ES3_N6thrust23THRUST_200600_302600_NS6detail15normal_iteratorINS9_10device_ptrIiEEEESE_SE_iNS9_10multipliesIiEENS9_8equal_toIiEEiEE10hipError_tPvRmT2_T3_T4_T5_mT6_T7_P12ihipStream_tbENKUlT_T0_E_clISt17integral_constantIbLb1EESY_IbLb0EEEEDaSU_SV_EUlSU_E_NS1_11comp_targetILNS1_3genE9ELNS1_11target_archE1100ELNS1_3gpuE3ELNS1_3repE0EEENS1_30default_config_static_selectorELNS0_4arch9wavefront6targetE1EEEvT1_, .Lfunc_end189-_ZN7rocprim17ROCPRIM_400000_NS6detail17trampoline_kernelINS0_14default_configENS1_27scan_by_key_config_selectorIiiEEZZNS1_16scan_by_key_implILNS1_25lookback_scan_determinismE0ELb0ES3_N6thrust23THRUST_200600_302600_NS6detail15normal_iteratorINS9_10device_ptrIiEEEESE_SE_iNS9_10multipliesIiEENS9_8equal_toIiEEiEE10hipError_tPvRmT2_T3_T4_T5_mT6_T7_P12ihipStream_tbENKUlT_T0_E_clISt17integral_constantIbLb1EESY_IbLb0EEEEDaSU_SV_EUlSU_E_NS1_11comp_targetILNS1_3genE9ELNS1_11target_archE1100ELNS1_3gpuE3ELNS1_3repE0EEENS1_30default_config_static_selectorELNS0_4arch9wavefront6targetE1EEEvT1_
                                        ; -- End function
	.section	.AMDGPU.csdata,"",@progbits
; Kernel info:
; codeLenInByte = 0
; NumSgprs: 6
; NumVgprs: 0
; NumAgprs: 0
; TotalNumVgprs: 0
; ScratchSize: 0
; MemoryBound: 0
; FloatMode: 240
; IeeeMode: 1
; LDSByteSize: 0 bytes/workgroup (compile time only)
; SGPRBlocks: 0
; VGPRBlocks: 0
; NumSGPRsForWavesPerEU: 6
; NumVGPRsForWavesPerEU: 1
; AccumOffset: 4
; Occupancy: 8
; WaveLimiterHint : 0
; COMPUTE_PGM_RSRC2:SCRATCH_EN: 0
; COMPUTE_PGM_RSRC2:USER_SGPR: 2
; COMPUTE_PGM_RSRC2:TRAP_HANDLER: 0
; COMPUTE_PGM_RSRC2:TGID_X_EN: 1
; COMPUTE_PGM_RSRC2:TGID_Y_EN: 0
; COMPUTE_PGM_RSRC2:TGID_Z_EN: 0
; COMPUTE_PGM_RSRC2:TIDIG_COMP_CNT: 0
; COMPUTE_PGM_RSRC3_GFX90A:ACCUM_OFFSET: 0
; COMPUTE_PGM_RSRC3_GFX90A:TG_SPLIT: 0
	.section	.text._ZN7rocprim17ROCPRIM_400000_NS6detail17trampoline_kernelINS0_14default_configENS1_27scan_by_key_config_selectorIiiEEZZNS1_16scan_by_key_implILNS1_25lookback_scan_determinismE0ELb0ES3_N6thrust23THRUST_200600_302600_NS6detail15normal_iteratorINS9_10device_ptrIiEEEESE_SE_iNS9_10multipliesIiEENS9_8equal_toIiEEiEE10hipError_tPvRmT2_T3_T4_T5_mT6_T7_P12ihipStream_tbENKUlT_T0_E_clISt17integral_constantIbLb1EESY_IbLb0EEEEDaSU_SV_EUlSU_E_NS1_11comp_targetILNS1_3genE8ELNS1_11target_archE1030ELNS1_3gpuE2ELNS1_3repE0EEENS1_30default_config_static_selectorELNS0_4arch9wavefront6targetE1EEEvT1_,"axG",@progbits,_ZN7rocprim17ROCPRIM_400000_NS6detail17trampoline_kernelINS0_14default_configENS1_27scan_by_key_config_selectorIiiEEZZNS1_16scan_by_key_implILNS1_25lookback_scan_determinismE0ELb0ES3_N6thrust23THRUST_200600_302600_NS6detail15normal_iteratorINS9_10device_ptrIiEEEESE_SE_iNS9_10multipliesIiEENS9_8equal_toIiEEiEE10hipError_tPvRmT2_T3_T4_T5_mT6_T7_P12ihipStream_tbENKUlT_T0_E_clISt17integral_constantIbLb1EESY_IbLb0EEEEDaSU_SV_EUlSU_E_NS1_11comp_targetILNS1_3genE8ELNS1_11target_archE1030ELNS1_3gpuE2ELNS1_3repE0EEENS1_30default_config_static_selectorELNS0_4arch9wavefront6targetE1EEEvT1_,comdat
	.protected	_ZN7rocprim17ROCPRIM_400000_NS6detail17trampoline_kernelINS0_14default_configENS1_27scan_by_key_config_selectorIiiEEZZNS1_16scan_by_key_implILNS1_25lookback_scan_determinismE0ELb0ES3_N6thrust23THRUST_200600_302600_NS6detail15normal_iteratorINS9_10device_ptrIiEEEESE_SE_iNS9_10multipliesIiEENS9_8equal_toIiEEiEE10hipError_tPvRmT2_T3_T4_T5_mT6_T7_P12ihipStream_tbENKUlT_T0_E_clISt17integral_constantIbLb1EESY_IbLb0EEEEDaSU_SV_EUlSU_E_NS1_11comp_targetILNS1_3genE8ELNS1_11target_archE1030ELNS1_3gpuE2ELNS1_3repE0EEENS1_30default_config_static_selectorELNS0_4arch9wavefront6targetE1EEEvT1_ ; -- Begin function _ZN7rocprim17ROCPRIM_400000_NS6detail17trampoline_kernelINS0_14default_configENS1_27scan_by_key_config_selectorIiiEEZZNS1_16scan_by_key_implILNS1_25lookback_scan_determinismE0ELb0ES3_N6thrust23THRUST_200600_302600_NS6detail15normal_iteratorINS9_10device_ptrIiEEEESE_SE_iNS9_10multipliesIiEENS9_8equal_toIiEEiEE10hipError_tPvRmT2_T3_T4_T5_mT6_T7_P12ihipStream_tbENKUlT_T0_E_clISt17integral_constantIbLb1EESY_IbLb0EEEEDaSU_SV_EUlSU_E_NS1_11comp_targetILNS1_3genE8ELNS1_11target_archE1030ELNS1_3gpuE2ELNS1_3repE0EEENS1_30default_config_static_selectorELNS0_4arch9wavefront6targetE1EEEvT1_
	.globl	_ZN7rocprim17ROCPRIM_400000_NS6detail17trampoline_kernelINS0_14default_configENS1_27scan_by_key_config_selectorIiiEEZZNS1_16scan_by_key_implILNS1_25lookback_scan_determinismE0ELb0ES3_N6thrust23THRUST_200600_302600_NS6detail15normal_iteratorINS9_10device_ptrIiEEEESE_SE_iNS9_10multipliesIiEENS9_8equal_toIiEEiEE10hipError_tPvRmT2_T3_T4_T5_mT6_T7_P12ihipStream_tbENKUlT_T0_E_clISt17integral_constantIbLb1EESY_IbLb0EEEEDaSU_SV_EUlSU_E_NS1_11comp_targetILNS1_3genE8ELNS1_11target_archE1030ELNS1_3gpuE2ELNS1_3repE0EEENS1_30default_config_static_selectorELNS0_4arch9wavefront6targetE1EEEvT1_
	.p2align	8
	.type	_ZN7rocprim17ROCPRIM_400000_NS6detail17trampoline_kernelINS0_14default_configENS1_27scan_by_key_config_selectorIiiEEZZNS1_16scan_by_key_implILNS1_25lookback_scan_determinismE0ELb0ES3_N6thrust23THRUST_200600_302600_NS6detail15normal_iteratorINS9_10device_ptrIiEEEESE_SE_iNS9_10multipliesIiEENS9_8equal_toIiEEiEE10hipError_tPvRmT2_T3_T4_T5_mT6_T7_P12ihipStream_tbENKUlT_T0_E_clISt17integral_constantIbLb1EESY_IbLb0EEEEDaSU_SV_EUlSU_E_NS1_11comp_targetILNS1_3genE8ELNS1_11target_archE1030ELNS1_3gpuE2ELNS1_3repE0EEENS1_30default_config_static_selectorELNS0_4arch9wavefront6targetE1EEEvT1_,@function
_ZN7rocprim17ROCPRIM_400000_NS6detail17trampoline_kernelINS0_14default_configENS1_27scan_by_key_config_selectorIiiEEZZNS1_16scan_by_key_implILNS1_25lookback_scan_determinismE0ELb0ES3_N6thrust23THRUST_200600_302600_NS6detail15normal_iteratorINS9_10device_ptrIiEEEESE_SE_iNS9_10multipliesIiEENS9_8equal_toIiEEiEE10hipError_tPvRmT2_T3_T4_T5_mT6_T7_P12ihipStream_tbENKUlT_T0_E_clISt17integral_constantIbLb1EESY_IbLb0EEEEDaSU_SV_EUlSU_E_NS1_11comp_targetILNS1_3genE8ELNS1_11target_archE1030ELNS1_3gpuE2ELNS1_3repE0EEENS1_30default_config_static_selectorELNS0_4arch9wavefront6targetE1EEEvT1_: ; @_ZN7rocprim17ROCPRIM_400000_NS6detail17trampoline_kernelINS0_14default_configENS1_27scan_by_key_config_selectorIiiEEZZNS1_16scan_by_key_implILNS1_25lookback_scan_determinismE0ELb0ES3_N6thrust23THRUST_200600_302600_NS6detail15normal_iteratorINS9_10device_ptrIiEEEESE_SE_iNS9_10multipliesIiEENS9_8equal_toIiEEiEE10hipError_tPvRmT2_T3_T4_T5_mT6_T7_P12ihipStream_tbENKUlT_T0_E_clISt17integral_constantIbLb1EESY_IbLb0EEEEDaSU_SV_EUlSU_E_NS1_11comp_targetILNS1_3genE8ELNS1_11target_archE1030ELNS1_3gpuE2ELNS1_3repE0EEENS1_30default_config_static_selectorELNS0_4arch9wavefront6targetE1EEEvT1_
; %bb.0:
	.section	.rodata,"a",@progbits
	.p2align	6, 0x0
	.amdhsa_kernel _ZN7rocprim17ROCPRIM_400000_NS6detail17trampoline_kernelINS0_14default_configENS1_27scan_by_key_config_selectorIiiEEZZNS1_16scan_by_key_implILNS1_25lookback_scan_determinismE0ELb0ES3_N6thrust23THRUST_200600_302600_NS6detail15normal_iteratorINS9_10device_ptrIiEEEESE_SE_iNS9_10multipliesIiEENS9_8equal_toIiEEiEE10hipError_tPvRmT2_T3_T4_T5_mT6_T7_P12ihipStream_tbENKUlT_T0_E_clISt17integral_constantIbLb1EESY_IbLb0EEEEDaSU_SV_EUlSU_E_NS1_11comp_targetILNS1_3genE8ELNS1_11target_archE1030ELNS1_3gpuE2ELNS1_3repE0EEENS1_30default_config_static_selectorELNS0_4arch9wavefront6targetE1EEEvT1_
		.amdhsa_group_segment_fixed_size 0
		.amdhsa_private_segment_fixed_size 0
		.amdhsa_kernarg_size 112
		.amdhsa_user_sgpr_count 2
		.amdhsa_user_sgpr_dispatch_ptr 0
		.amdhsa_user_sgpr_queue_ptr 0
		.amdhsa_user_sgpr_kernarg_segment_ptr 1
		.amdhsa_user_sgpr_dispatch_id 0
		.amdhsa_user_sgpr_kernarg_preload_length 0
		.amdhsa_user_sgpr_kernarg_preload_offset 0
		.amdhsa_user_sgpr_private_segment_size 0
		.amdhsa_uses_dynamic_stack 0
		.amdhsa_enable_private_segment 0
		.amdhsa_system_sgpr_workgroup_id_x 1
		.amdhsa_system_sgpr_workgroup_id_y 0
		.amdhsa_system_sgpr_workgroup_id_z 0
		.amdhsa_system_sgpr_workgroup_info 0
		.amdhsa_system_vgpr_workitem_id 0
		.amdhsa_next_free_vgpr 1
		.amdhsa_next_free_sgpr 0
		.amdhsa_accum_offset 4
		.amdhsa_reserve_vcc 0
		.amdhsa_float_round_mode_32 0
		.amdhsa_float_round_mode_16_64 0
		.amdhsa_float_denorm_mode_32 3
		.amdhsa_float_denorm_mode_16_64 3
		.amdhsa_dx10_clamp 1
		.amdhsa_ieee_mode 1
		.amdhsa_fp16_overflow 0
		.amdhsa_tg_split 0
		.amdhsa_exception_fp_ieee_invalid_op 0
		.amdhsa_exception_fp_denorm_src 0
		.amdhsa_exception_fp_ieee_div_zero 0
		.amdhsa_exception_fp_ieee_overflow 0
		.amdhsa_exception_fp_ieee_underflow 0
		.amdhsa_exception_fp_ieee_inexact 0
		.amdhsa_exception_int_div_zero 0
	.end_amdhsa_kernel
	.section	.text._ZN7rocprim17ROCPRIM_400000_NS6detail17trampoline_kernelINS0_14default_configENS1_27scan_by_key_config_selectorIiiEEZZNS1_16scan_by_key_implILNS1_25lookback_scan_determinismE0ELb0ES3_N6thrust23THRUST_200600_302600_NS6detail15normal_iteratorINS9_10device_ptrIiEEEESE_SE_iNS9_10multipliesIiEENS9_8equal_toIiEEiEE10hipError_tPvRmT2_T3_T4_T5_mT6_T7_P12ihipStream_tbENKUlT_T0_E_clISt17integral_constantIbLb1EESY_IbLb0EEEEDaSU_SV_EUlSU_E_NS1_11comp_targetILNS1_3genE8ELNS1_11target_archE1030ELNS1_3gpuE2ELNS1_3repE0EEENS1_30default_config_static_selectorELNS0_4arch9wavefront6targetE1EEEvT1_,"axG",@progbits,_ZN7rocprim17ROCPRIM_400000_NS6detail17trampoline_kernelINS0_14default_configENS1_27scan_by_key_config_selectorIiiEEZZNS1_16scan_by_key_implILNS1_25lookback_scan_determinismE0ELb0ES3_N6thrust23THRUST_200600_302600_NS6detail15normal_iteratorINS9_10device_ptrIiEEEESE_SE_iNS9_10multipliesIiEENS9_8equal_toIiEEiEE10hipError_tPvRmT2_T3_T4_T5_mT6_T7_P12ihipStream_tbENKUlT_T0_E_clISt17integral_constantIbLb1EESY_IbLb0EEEEDaSU_SV_EUlSU_E_NS1_11comp_targetILNS1_3genE8ELNS1_11target_archE1030ELNS1_3gpuE2ELNS1_3repE0EEENS1_30default_config_static_selectorELNS0_4arch9wavefront6targetE1EEEvT1_,comdat
.Lfunc_end190:
	.size	_ZN7rocprim17ROCPRIM_400000_NS6detail17trampoline_kernelINS0_14default_configENS1_27scan_by_key_config_selectorIiiEEZZNS1_16scan_by_key_implILNS1_25lookback_scan_determinismE0ELb0ES3_N6thrust23THRUST_200600_302600_NS6detail15normal_iteratorINS9_10device_ptrIiEEEESE_SE_iNS9_10multipliesIiEENS9_8equal_toIiEEiEE10hipError_tPvRmT2_T3_T4_T5_mT6_T7_P12ihipStream_tbENKUlT_T0_E_clISt17integral_constantIbLb1EESY_IbLb0EEEEDaSU_SV_EUlSU_E_NS1_11comp_targetILNS1_3genE8ELNS1_11target_archE1030ELNS1_3gpuE2ELNS1_3repE0EEENS1_30default_config_static_selectorELNS0_4arch9wavefront6targetE1EEEvT1_, .Lfunc_end190-_ZN7rocprim17ROCPRIM_400000_NS6detail17trampoline_kernelINS0_14default_configENS1_27scan_by_key_config_selectorIiiEEZZNS1_16scan_by_key_implILNS1_25lookback_scan_determinismE0ELb0ES3_N6thrust23THRUST_200600_302600_NS6detail15normal_iteratorINS9_10device_ptrIiEEEESE_SE_iNS9_10multipliesIiEENS9_8equal_toIiEEiEE10hipError_tPvRmT2_T3_T4_T5_mT6_T7_P12ihipStream_tbENKUlT_T0_E_clISt17integral_constantIbLb1EESY_IbLb0EEEEDaSU_SV_EUlSU_E_NS1_11comp_targetILNS1_3genE8ELNS1_11target_archE1030ELNS1_3gpuE2ELNS1_3repE0EEENS1_30default_config_static_selectorELNS0_4arch9wavefront6targetE1EEEvT1_
                                        ; -- End function
	.section	.AMDGPU.csdata,"",@progbits
; Kernel info:
; codeLenInByte = 0
; NumSgprs: 6
; NumVgprs: 0
; NumAgprs: 0
; TotalNumVgprs: 0
; ScratchSize: 0
; MemoryBound: 0
; FloatMode: 240
; IeeeMode: 1
; LDSByteSize: 0 bytes/workgroup (compile time only)
; SGPRBlocks: 0
; VGPRBlocks: 0
; NumSGPRsForWavesPerEU: 6
; NumVGPRsForWavesPerEU: 1
; AccumOffset: 4
; Occupancy: 8
; WaveLimiterHint : 0
; COMPUTE_PGM_RSRC2:SCRATCH_EN: 0
; COMPUTE_PGM_RSRC2:USER_SGPR: 2
; COMPUTE_PGM_RSRC2:TRAP_HANDLER: 0
; COMPUTE_PGM_RSRC2:TGID_X_EN: 1
; COMPUTE_PGM_RSRC2:TGID_Y_EN: 0
; COMPUTE_PGM_RSRC2:TGID_Z_EN: 0
; COMPUTE_PGM_RSRC2:TIDIG_COMP_CNT: 0
; COMPUTE_PGM_RSRC3_GFX90A:ACCUM_OFFSET: 0
; COMPUTE_PGM_RSRC3_GFX90A:TG_SPLIT: 0
	.section	.text._ZN7rocprim17ROCPRIM_400000_NS6detail17trampoline_kernelINS0_14default_configENS1_27scan_by_key_config_selectorIiiEEZZNS1_16scan_by_key_implILNS1_25lookback_scan_determinismE0ELb0ES3_N6thrust23THRUST_200600_302600_NS6detail15normal_iteratorINS9_10device_ptrIiEEEESE_SE_iNS9_10multipliesIiEENS9_8equal_toIiEEiEE10hipError_tPvRmT2_T3_T4_T5_mT6_T7_P12ihipStream_tbENKUlT_T0_E_clISt17integral_constantIbLb0EESY_IbLb1EEEEDaSU_SV_EUlSU_E_NS1_11comp_targetILNS1_3genE0ELNS1_11target_archE4294967295ELNS1_3gpuE0ELNS1_3repE0EEENS1_30default_config_static_selectorELNS0_4arch9wavefront6targetE1EEEvT1_,"axG",@progbits,_ZN7rocprim17ROCPRIM_400000_NS6detail17trampoline_kernelINS0_14default_configENS1_27scan_by_key_config_selectorIiiEEZZNS1_16scan_by_key_implILNS1_25lookback_scan_determinismE0ELb0ES3_N6thrust23THRUST_200600_302600_NS6detail15normal_iteratorINS9_10device_ptrIiEEEESE_SE_iNS9_10multipliesIiEENS9_8equal_toIiEEiEE10hipError_tPvRmT2_T3_T4_T5_mT6_T7_P12ihipStream_tbENKUlT_T0_E_clISt17integral_constantIbLb0EESY_IbLb1EEEEDaSU_SV_EUlSU_E_NS1_11comp_targetILNS1_3genE0ELNS1_11target_archE4294967295ELNS1_3gpuE0ELNS1_3repE0EEENS1_30default_config_static_selectorELNS0_4arch9wavefront6targetE1EEEvT1_,comdat
	.protected	_ZN7rocprim17ROCPRIM_400000_NS6detail17trampoline_kernelINS0_14default_configENS1_27scan_by_key_config_selectorIiiEEZZNS1_16scan_by_key_implILNS1_25lookback_scan_determinismE0ELb0ES3_N6thrust23THRUST_200600_302600_NS6detail15normal_iteratorINS9_10device_ptrIiEEEESE_SE_iNS9_10multipliesIiEENS9_8equal_toIiEEiEE10hipError_tPvRmT2_T3_T4_T5_mT6_T7_P12ihipStream_tbENKUlT_T0_E_clISt17integral_constantIbLb0EESY_IbLb1EEEEDaSU_SV_EUlSU_E_NS1_11comp_targetILNS1_3genE0ELNS1_11target_archE4294967295ELNS1_3gpuE0ELNS1_3repE0EEENS1_30default_config_static_selectorELNS0_4arch9wavefront6targetE1EEEvT1_ ; -- Begin function _ZN7rocprim17ROCPRIM_400000_NS6detail17trampoline_kernelINS0_14default_configENS1_27scan_by_key_config_selectorIiiEEZZNS1_16scan_by_key_implILNS1_25lookback_scan_determinismE0ELb0ES3_N6thrust23THRUST_200600_302600_NS6detail15normal_iteratorINS9_10device_ptrIiEEEESE_SE_iNS9_10multipliesIiEENS9_8equal_toIiEEiEE10hipError_tPvRmT2_T3_T4_T5_mT6_T7_P12ihipStream_tbENKUlT_T0_E_clISt17integral_constantIbLb0EESY_IbLb1EEEEDaSU_SV_EUlSU_E_NS1_11comp_targetILNS1_3genE0ELNS1_11target_archE4294967295ELNS1_3gpuE0ELNS1_3repE0EEENS1_30default_config_static_selectorELNS0_4arch9wavefront6targetE1EEEvT1_
	.globl	_ZN7rocprim17ROCPRIM_400000_NS6detail17trampoline_kernelINS0_14default_configENS1_27scan_by_key_config_selectorIiiEEZZNS1_16scan_by_key_implILNS1_25lookback_scan_determinismE0ELb0ES3_N6thrust23THRUST_200600_302600_NS6detail15normal_iteratorINS9_10device_ptrIiEEEESE_SE_iNS9_10multipliesIiEENS9_8equal_toIiEEiEE10hipError_tPvRmT2_T3_T4_T5_mT6_T7_P12ihipStream_tbENKUlT_T0_E_clISt17integral_constantIbLb0EESY_IbLb1EEEEDaSU_SV_EUlSU_E_NS1_11comp_targetILNS1_3genE0ELNS1_11target_archE4294967295ELNS1_3gpuE0ELNS1_3repE0EEENS1_30default_config_static_selectorELNS0_4arch9wavefront6targetE1EEEvT1_
	.p2align	8
	.type	_ZN7rocprim17ROCPRIM_400000_NS6detail17trampoline_kernelINS0_14default_configENS1_27scan_by_key_config_selectorIiiEEZZNS1_16scan_by_key_implILNS1_25lookback_scan_determinismE0ELb0ES3_N6thrust23THRUST_200600_302600_NS6detail15normal_iteratorINS9_10device_ptrIiEEEESE_SE_iNS9_10multipliesIiEENS9_8equal_toIiEEiEE10hipError_tPvRmT2_T3_T4_T5_mT6_T7_P12ihipStream_tbENKUlT_T0_E_clISt17integral_constantIbLb0EESY_IbLb1EEEEDaSU_SV_EUlSU_E_NS1_11comp_targetILNS1_3genE0ELNS1_11target_archE4294967295ELNS1_3gpuE0ELNS1_3repE0EEENS1_30default_config_static_selectorELNS0_4arch9wavefront6targetE1EEEvT1_,@function
_ZN7rocprim17ROCPRIM_400000_NS6detail17trampoline_kernelINS0_14default_configENS1_27scan_by_key_config_selectorIiiEEZZNS1_16scan_by_key_implILNS1_25lookback_scan_determinismE0ELb0ES3_N6thrust23THRUST_200600_302600_NS6detail15normal_iteratorINS9_10device_ptrIiEEEESE_SE_iNS9_10multipliesIiEENS9_8equal_toIiEEiEE10hipError_tPvRmT2_T3_T4_T5_mT6_T7_P12ihipStream_tbENKUlT_T0_E_clISt17integral_constantIbLb0EESY_IbLb1EEEEDaSU_SV_EUlSU_E_NS1_11comp_targetILNS1_3genE0ELNS1_11target_archE4294967295ELNS1_3gpuE0ELNS1_3repE0EEENS1_30default_config_static_selectorELNS0_4arch9wavefront6targetE1EEEvT1_: ; @_ZN7rocprim17ROCPRIM_400000_NS6detail17trampoline_kernelINS0_14default_configENS1_27scan_by_key_config_selectorIiiEEZZNS1_16scan_by_key_implILNS1_25lookback_scan_determinismE0ELb0ES3_N6thrust23THRUST_200600_302600_NS6detail15normal_iteratorINS9_10device_ptrIiEEEESE_SE_iNS9_10multipliesIiEENS9_8equal_toIiEEiEE10hipError_tPvRmT2_T3_T4_T5_mT6_T7_P12ihipStream_tbENKUlT_T0_E_clISt17integral_constantIbLb0EESY_IbLb1EEEEDaSU_SV_EUlSU_E_NS1_11comp_targetILNS1_3genE0ELNS1_11target_archE4294967295ELNS1_3gpuE0ELNS1_3repE0EEENS1_30default_config_static_selectorELNS0_4arch9wavefront6targetE1EEEvT1_
; %bb.0:
	.section	.rodata,"a",@progbits
	.p2align	6, 0x0
	.amdhsa_kernel _ZN7rocprim17ROCPRIM_400000_NS6detail17trampoline_kernelINS0_14default_configENS1_27scan_by_key_config_selectorIiiEEZZNS1_16scan_by_key_implILNS1_25lookback_scan_determinismE0ELb0ES3_N6thrust23THRUST_200600_302600_NS6detail15normal_iteratorINS9_10device_ptrIiEEEESE_SE_iNS9_10multipliesIiEENS9_8equal_toIiEEiEE10hipError_tPvRmT2_T3_T4_T5_mT6_T7_P12ihipStream_tbENKUlT_T0_E_clISt17integral_constantIbLb0EESY_IbLb1EEEEDaSU_SV_EUlSU_E_NS1_11comp_targetILNS1_3genE0ELNS1_11target_archE4294967295ELNS1_3gpuE0ELNS1_3repE0EEENS1_30default_config_static_selectorELNS0_4arch9wavefront6targetE1EEEvT1_
		.amdhsa_group_segment_fixed_size 0
		.amdhsa_private_segment_fixed_size 0
		.amdhsa_kernarg_size 112
		.amdhsa_user_sgpr_count 2
		.amdhsa_user_sgpr_dispatch_ptr 0
		.amdhsa_user_sgpr_queue_ptr 0
		.amdhsa_user_sgpr_kernarg_segment_ptr 1
		.amdhsa_user_sgpr_dispatch_id 0
		.amdhsa_user_sgpr_kernarg_preload_length 0
		.amdhsa_user_sgpr_kernarg_preload_offset 0
		.amdhsa_user_sgpr_private_segment_size 0
		.amdhsa_uses_dynamic_stack 0
		.amdhsa_enable_private_segment 0
		.amdhsa_system_sgpr_workgroup_id_x 1
		.amdhsa_system_sgpr_workgroup_id_y 0
		.amdhsa_system_sgpr_workgroup_id_z 0
		.amdhsa_system_sgpr_workgroup_info 0
		.amdhsa_system_vgpr_workitem_id 0
		.amdhsa_next_free_vgpr 1
		.amdhsa_next_free_sgpr 0
		.amdhsa_accum_offset 4
		.amdhsa_reserve_vcc 0
		.amdhsa_float_round_mode_32 0
		.amdhsa_float_round_mode_16_64 0
		.amdhsa_float_denorm_mode_32 3
		.amdhsa_float_denorm_mode_16_64 3
		.amdhsa_dx10_clamp 1
		.amdhsa_ieee_mode 1
		.amdhsa_fp16_overflow 0
		.amdhsa_tg_split 0
		.amdhsa_exception_fp_ieee_invalid_op 0
		.amdhsa_exception_fp_denorm_src 0
		.amdhsa_exception_fp_ieee_div_zero 0
		.amdhsa_exception_fp_ieee_overflow 0
		.amdhsa_exception_fp_ieee_underflow 0
		.amdhsa_exception_fp_ieee_inexact 0
		.amdhsa_exception_int_div_zero 0
	.end_amdhsa_kernel
	.section	.text._ZN7rocprim17ROCPRIM_400000_NS6detail17trampoline_kernelINS0_14default_configENS1_27scan_by_key_config_selectorIiiEEZZNS1_16scan_by_key_implILNS1_25lookback_scan_determinismE0ELb0ES3_N6thrust23THRUST_200600_302600_NS6detail15normal_iteratorINS9_10device_ptrIiEEEESE_SE_iNS9_10multipliesIiEENS9_8equal_toIiEEiEE10hipError_tPvRmT2_T3_T4_T5_mT6_T7_P12ihipStream_tbENKUlT_T0_E_clISt17integral_constantIbLb0EESY_IbLb1EEEEDaSU_SV_EUlSU_E_NS1_11comp_targetILNS1_3genE0ELNS1_11target_archE4294967295ELNS1_3gpuE0ELNS1_3repE0EEENS1_30default_config_static_selectorELNS0_4arch9wavefront6targetE1EEEvT1_,"axG",@progbits,_ZN7rocprim17ROCPRIM_400000_NS6detail17trampoline_kernelINS0_14default_configENS1_27scan_by_key_config_selectorIiiEEZZNS1_16scan_by_key_implILNS1_25lookback_scan_determinismE0ELb0ES3_N6thrust23THRUST_200600_302600_NS6detail15normal_iteratorINS9_10device_ptrIiEEEESE_SE_iNS9_10multipliesIiEENS9_8equal_toIiEEiEE10hipError_tPvRmT2_T3_T4_T5_mT6_T7_P12ihipStream_tbENKUlT_T0_E_clISt17integral_constantIbLb0EESY_IbLb1EEEEDaSU_SV_EUlSU_E_NS1_11comp_targetILNS1_3genE0ELNS1_11target_archE4294967295ELNS1_3gpuE0ELNS1_3repE0EEENS1_30default_config_static_selectorELNS0_4arch9wavefront6targetE1EEEvT1_,comdat
.Lfunc_end191:
	.size	_ZN7rocprim17ROCPRIM_400000_NS6detail17trampoline_kernelINS0_14default_configENS1_27scan_by_key_config_selectorIiiEEZZNS1_16scan_by_key_implILNS1_25lookback_scan_determinismE0ELb0ES3_N6thrust23THRUST_200600_302600_NS6detail15normal_iteratorINS9_10device_ptrIiEEEESE_SE_iNS9_10multipliesIiEENS9_8equal_toIiEEiEE10hipError_tPvRmT2_T3_T4_T5_mT6_T7_P12ihipStream_tbENKUlT_T0_E_clISt17integral_constantIbLb0EESY_IbLb1EEEEDaSU_SV_EUlSU_E_NS1_11comp_targetILNS1_3genE0ELNS1_11target_archE4294967295ELNS1_3gpuE0ELNS1_3repE0EEENS1_30default_config_static_selectorELNS0_4arch9wavefront6targetE1EEEvT1_, .Lfunc_end191-_ZN7rocprim17ROCPRIM_400000_NS6detail17trampoline_kernelINS0_14default_configENS1_27scan_by_key_config_selectorIiiEEZZNS1_16scan_by_key_implILNS1_25lookback_scan_determinismE0ELb0ES3_N6thrust23THRUST_200600_302600_NS6detail15normal_iteratorINS9_10device_ptrIiEEEESE_SE_iNS9_10multipliesIiEENS9_8equal_toIiEEiEE10hipError_tPvRmT2_T3_T4_T5_mT6_T7_P12ihipStream_tbENKUlT_T0_E_clISt17integral_constantIbLb0EESY_IbLb1EEEEDaSU_SV_EUlSU_E_NS1_11comp_targetILNS1_3genE0ELNS1_11target_archE4294967295ELNS1_3gpuE0ELNS1_3repE0EEENS1_30default_config_static_selectorELNS0_4arch9wavefront6targetE1EEEvT1_
                                        ; -- End function
	.section	.AMDGPU.csdata,"",@progbits
; Kernel info:
; codeLenInByte = 0
; NumSgprs: 6
; NumVgprs: 0
; NumAgprs: 0
; TotalNumVgprs: 0
; ScratchSize: 0
; MemoryBound: 0
; FloatMode: 240
; IeeeMode: 1
; LDSByteSize: 0 bytes/workgroup (compile time only)
; SGPRBlocks: 0
; VGPRBlocks: 0
; NumSGPRsForWavesPerEU: 6
; NumVGPRsForWavesPerEU: 1
; AccumOffset: 4
; Occupancy: 8
; WaveLimiterHint : 0
; COMPUTE_PGM_RSRC2:SCRATCH_EN: 0
; COMPUTE_PGM_RSRC2:USER_SGPR: 2
; COMPUTE_PGM_RSRC2:TRAP_HANDLER: 0
; COMPUTE_PGM_RSRC2:TGID_X_EN: 1
; COMPUTE_PGM_RSRC2:TGID_Y_EN: 0
; COMPUTE_PGM_RSRC2:TGID_Z_EN: 0
; COMPUTE_PGM_RSRC2:TIDIG_COMP_CNT: 0
; COMPUTE_PGM_RSRC3_GFX90A:ACCUM_OFFSET: 0
; COMPUTE_PGM_RSRC3_GFX90A:TG_SPLIT: 0
	.section	.text._ZN7rocprim17ROCPRIM_400000_NS6detail17trampoline_kernelINS0_14default_configENS1_27scan_by_key_config_selectorIiiEEZZNS1_16scan_by_key_implILNS1_25lookback_scan_determinismE0ELb0ES3_N6thrust23THRUST_200600_302600_NS6detail15normal_iteratorINS9_10device_ptrIiEEEESE_SE_iNS9_10multipliesIiEENS9_8equal_toIiEEiEE10hipError_tPvRmT2_T3_T4_T5_mT6_T7_P12ihipStream_tbENKUlT_T0_E_clISt17integral_constantIbLb0EESY_IbLb1EEEEDaSU_SV_EUlSU_E_NS1_11comp_targetILNS1_3genE10ELNS1_11target_archE1201ELNS1_3gpuE5ELNS1_3repE0EEENS1_30default_config_static_selectorELNS0_4arch9wavefront6targetE1EEEvT1_,"axG",@progbits,_ZN7rocprim17ROCPRIM_400000_NS6detail17trampoline_kernelINS0_14default_configENS1_27scan_by_key_config_selectorIiiEEZZNS1_16scan_by_key_implILNS1_25lookback_scan_determinismE0ELb0ES3_N6thrust23THRUST_200600_302600_NS6detail15normal_iteratorINS9_10device_ptrIiEEEESE_SE_iNS9_10multipliesIiEENS9_8equal_toIiEEiEE10hipError_tPvRmT2_T3_T4_T5_mT6_T7_P12ihipStream_tbENKUlT_T0_E_clISt17integral_constantIbLb0EESY_IbLb1EEEEDaSU_SV_EUlSU_E_NS1_11comp_targetILNS1_3genE10ELNS1_11target_archE1201ELNS1_3gpuE5ELNS1_3repE0EEENS1_30default_config_static_selectorELNS0_4arch9wavefront6targetE1EEEvT1_,comdat
	.protected	_ZN7rocprim17ROCPRIM_400000_NS6detail17trampoline_kernelINS0_14default_configENS1_27scan_by_key_config_selectorIiiEEZZNS1_16scan_by_key_implILNS1_25lookback_scan_determinismE0ELb0ES3_N6thrust23THRUST_200600_302600_NS6detail15normal_iteratorINS9_10device_ptrIiEEEESE_SE_iNS9_10multipliesIiEENS9_8equal_toIiEEiEE10hipError_tPvRmT2_T3_T4_T5_mT6_T7_P12ihipStream_tbENKUlT_T0_E_clISt17integral_constantIbLb0EESY_IbLb1EEEEDaSU_SV_EUlSU_E_NS1_11comp_targetILNS1_3genE10ELNS1_11target_archE1201ELNS1_3gpuE5ELNS1_3repE0EEENS1_30default_config_static_selectorELNS0_4arch9wavefront6targetE1EEEvT1_ ; -- Begin function _ZN7rocprim17ROCPRIM_400000_NS6detail17trampoline_kernelINS0_14default_configENS1_27scan_by_key_config_selectorIiiEEZZNS1_16scan_by_key_implILNS1_25lookback_scan_determinismE0ELb0ES3_N6thrust23THRUST_200600_302600_NS6detail15normal_iteratorINS9_10device_ptrIiEEEESE_SE_iNS9_10multipliesIiEENS9_8equal_toIiEEiEE10hipError_tPvRmT2_T3_T4_T5_mT6_T7_P12ihipStream_tbENKUlT_T0_E_clISt17integral_constantIbLb0EESY_IbLb1EEEEDaSU_SV_EUlSU_E_NS1_11comp_targetILNS1_3genE10ELNS1_11target_archE1201ELNS1_3gpuE5ELNS1_3repE0EEENS1_30default_config_static_selectorELNS0_4arch9wavefront6targetE1EEEvT1_
	.globl	_ZN7rocprim17ROCPRIM_400000_NS6detail17trampoline_kernelINS0_14default_configENS1_27scan_by_key_config_selectorIiiEEZZNS1_16scan_by_key_implILNS1_25lookback_scan_determinismE0ELb0ES3_N6thrust23THRUST_200600_302600_NS6detail15normal_iteratorINS9_10device_ptrIiEEEESE_SE_iNS9_10multipliesIiEENS9_8equal_toIiEEiEE10hipError_tPvRmT2_T3_T4_T5_mT6_T7_P12ihipStream_tbENKUlT_T0_E_clISt17integral_constantIbLb0EESY_IbLb1EEEEDaSU_SV_EUlSU_E_NS1_11comp_targetILNS1_3genE10ELNS1_11target_archE1201ELNS1_3gpuE5ELNS1_3repE0EEENS1_30default_config_static_selectorELNS0_4arch9wavefront6targetE1EEEvT1_
	.p2align	8
	.type	_ZN7rocprim17ROCPRIM_400000_NS6detail17trampoline_kernelINS0_14default_configENS1_27scan_by_key_config_selectorIiiEEZZNS1_16scan_by_key_implILNS1_25lookback_scan_determinismE0ELb0ES3_N6thrust23THRUST_200600_302600_NS6detail15normal_iteratorINS9_10device_ptrIiEEEESE_SE_iNS9_10multipliesIiEENS9_8equal_toIiEEiEE10hipError_tPvRmT2_T3_T4_T5_mT6_T7_P12ihipStream_tbENKUlT_T0_E_clISt17integral_constantIbLb0EESY_IbLb1EEEEDaSU_SV_EUlSU_E_NS1_11comp_targetILNS1_3genE10ELNS1_11target_archE1201ELNS1_3gpuE5ELNS1_3repE0EEENS1_30default_config_static_selectorELNS0_4arch9wavefront6targetE1EEEvT1_,@function
_ZN7rocprim17ROCPRIM_400000_NS6detail17trampoline_kernelINS0_14default_configENS1_27scan_by_key_config_selectorIiiEEZZNS1_16scan_by_key_implILNS1_25lookback_scan_determinismE0ELb0ES3_N6thrust23THRUST_200600_302600_NS6detail15normal_iteratorINS9_10device_ptrIiEEEESE_SE_iNS9_10multipliesIiEENS9_8equal_toIiEEiEE10hipError_tPvRmT2_T3_T4_T5_mT6_T7_P12ihipStream_tbENKUlT_T0_E_clISt17integral_constantIbLb0EESY_IbLb1EEEEDaSU_SV_EUlSU_E_NS1_11comp_targetILNS1_3genE10ELNS1_11target_archE1201ELNS1_3gpuE5ELNS1_3repE0EEENS1_30default_config_static_selectorELNS0_4arch9wavefront6targetE1EEEvT1_: ; @_ZN7rocprim17ROCPRIM_400000_NS6detail17trampoline_kernelINS0_14default_configENS1_27scan_by_key_config_selectorIiiEEZZNS1_16scan_by_key_implILNS1_25lookback_scan_determinismE0ELb0ES3_N6thrust23THRUST_200600_302600_NS6detail15normal_iteratorINS9_10device_ptrIiEEEESE_SE_iNS9_10multipliesIiEENS9_8equal_toIiEEiEE10hipError_tPvRmT2_T3_T4_T5_mT6_T7_P12ihipStream_tbENKUlT_T0_E_clISt17integral_constantIbLb0EESY_IbLb1EEEEDaSU_SV_EUlSU_E_NS1_11comp_targetILNS1_3genE10ELNS1_11target_archE1201ELNS1_3gpuE5ELNS1_3repE0EEENS1_30default_config_static_selectorELNS0_4arch9wavefront6targetE1EEEvT1_
; %bb.0:
	.section	.rodata,"a",@progbits
	.p2align	6, 0x0
	.amdhsa_kernel _ZN7rocprim17ROCPRIM_400000_NS6detail17trampoline_kernelINS0_14default_configENS1_27scan_by_key_config_selectorIiiEEZZNS1_16scan_by_key_implILNS1_25lookback_scan_determinismE0ELb0ES3_N6thrust23THRUST_200600_302600_NS6detail15normal_iteratorINS9_10device_ptrIiEEEESE_SE_iNS9_10multipliesIiEENS9_8equal_toIiEEiEE10hipError_tPvRmT2_T3_T4_T5_mT6_T7_P12ihipStream_tbENKUlT_T0_E_clISt17integral_constantIbLb0EESY_IbLb1EEEEDaSU_SV_EUlSU_E_NS1_11comp_targetILNS1_3genE10ELNS1_11target_archE1201ELNS1_3gpuE5ELNS1_3repE0EEENS1_30default_config_static_selectorELNS0_4arch9wavefront6targetE1EEEvT1_
		.amdhsa_group_segment_fixed_size 0
		.amdhsa_private_segment_fixed_size 0
		.amdhsa_kernarg_size 112
		.amdhsa_user_sgpr_count 2
		.amdhsa_user_sgpr_dispatch_ptr 0
		.amdhsa_user_sgpr_queue_ptr 0
		.amdhsa_user_sgpr_kernarg_segment_ptr 1
		.amdhsa_user_sgpr_dispatch_id 0
		.amdhsa_user_sgpr_kernarg_preload_length 0
		.amdhsa_user_sgpr_kernarg_preload_offset 0
		.amdhsa_user_sgpr_private_segment_size 0
		.amdhsa_uses_dynamic_stack 0
		.amdhsa_enable_private_segment 0
		.amdhsa_system_sgpr_workgroup_id_x 1
		.amdhsa_system_sgpr_workgroup_id_y 0
		.amdhsa_system_sgpr_workgroup_id_z 0
		.amdhsa_system_sgpr_workgroup_info 0
		.amdhsa_system_vgpr_workitem_id 0
		.amdhsa_next_free_vgpr 1
		.amdhsa_next_free_sgpr 0
		.amdhsa_accum_offset 4
		.amdhsa_reserve_vcc 0
		.amdhsa_float_round_mode_32 0
		.amdhsa_float_round_mode_16_64 0
		.amdhsa_float_denorm_mode_32 3
		.amdhsa_float_denorm_mode_16_64 3
		.amdhsa_dx10_clamp 1
		.amdhsa_ieee_mode 1
		.amdhsa_fp16_overflow 0
		.amdhsa_tg_split 0
		.amdhsa_exception_fp_ieee_invalid_op 0
		.amdhsa_exception_fp_denorm_src 0
		.amdhsa_exception_fp_ieee_div_zero 0
		.amdhsa_exception_fp_ieee_overflow 0
		.amdhsa_exception_fp_ieee_underflow 0
		.amdhsa_exception_fp_ieee_inexact 0
		.amdhsa_exception_int_div_zero 0
	.end_amdhsa_kernel
	.section	.text._ZN7rocprim17ROCPRIM_400000_NS6detail17trampoline_kernelINS0_14default_configENS1_27scan_by_key_config_selectorIiiEEZZNS1_16scan_by_key_implILNS1_25lookback_scan_determinismE0ELb0ES3_N6thrust23THRUST_200600_302600_NS6detail15normal_iteratorINS9_10device_ptrIiEEEESE_SE_iNS9_10multipliesIiEENS9_8equal_toIiEEiEE10hipError_tPvRmT2_T3_T4_T5_mT6_T7_P12ihipStream_tbENKUlT_T0_E_clISt17integral_constantIbLb0EESY_IbLb1EEEEDaSU_SV_EUlSU_E_NS1_11comp_targetILNS1_3genE10ELNS1_11target_archE1201ELNS1_3gpuE5ELNS1_3repE0EEENS1_30default_config_static_selectorELNS0_4arch9wavefront6targetE1EEEvT1_,"axG",@progbits,_ZN7rocprim17ROCPRIM_400000_NS6detail17trampoline_kernelINS0_14default_configENS1_27scan_by_key_config_selectorIiiEEZZNS1_16scan_by_key_implILNS1_25lookback_scan_determinismE0ELb0ES3_N6thrust23THRUST_200600_302600_NS6detail15normal_iteratorINS9_10device_ptrIiEEEESE_SE_iNS9_10multipliesIiEENS9_8equal_toIiEEiEE10hipError_tPvRmT2_T3_T4_T5_mT6_T7_P12ihipStream_tbENKUlT_T0_E_clISt17integral_constantIbLb0EESY_IbLb1EEEEDaSU_SV_EUlSU_E_NS1_11comp_targetILNS1_3genE10ELNS1_11target_archE1201ELNS1_3gpuE5ELNS1_3repE0EEENS1_30default_config_static_selectorELNS0_4arch9wavefront6targetE1EEEvT1_,comdat
.Lfunc_end192:
	.size	_ZN7rocprim17ROCPRIM_400000_NS6detail17trampoline_kernelINS0_14default_configENS1_27scan_by_key_config_selectorIiiEEZZNS1_16scan_by_key_implILNS1_25lookback_scan_determinismE0ELb0ES3_N6thrust23THRUST_200600_302600_NS6detail15normal_iteratorINS9_10device_ptrIiEEEESE_SE_iNS9_10multipliesIiEENS9_8equal_toIiEEiEE10hipError_tPvRmT2_T3_T4_T5_mT6_T7_P12ihipStream_tbENKUlT_T0_E_clISt17integral_constantIbLb0EESY_IbLb1EEEEDaSU_SV_EUlSU_E_NS1_11comp_targetILNS1_3genE10ELNS1_11target_archE1201ELNS1_3gpuE5ELNS1_3repE0EEENS1_30default_config_static_selectorELNS0_4arch9wavefront6targetE1EEEvT1_, .Lfunc_end192-_ZN7rocprim17ROCPRIM_400000_NS6detail17trampoline_kernelINS0_14default_configENS1_27scan_by_key_config_selectorIiiEEZZNS1_16scan_by_key_implILNS1_25lookback_scan_determinismE0ELb0ES3_N6thrust23THRUST_200600_302600_NS6detail15normal_iteratorINS9_10device_ptrIiEEEESE_SE_iNS9_10multipliesIiEENS9_8equal_toIiEEiEE10hipError_tPvRmT2_T3_T4_T5_mT6_T7_P12ihipStream_tbENKUlT_T0_E_clISt17integral_constantIbLb0EESY_IbLb1EEEEDaSU_SV_EUlSU_E_NS1_11comp_targetILNS1_3genE10ELNS1_11target_archE1201ELNS1_3gpuE5ELNS1_3repE0EEENS1_30default_config_static_selectorELNS0_4arch9wavefront6targetE1EEEvT1_
                                        ; -- End function
	.section	.AMDGPU.csdata,"",@progbits
; Kernel info:
; codeLenInByte = 0
; NumSgprs: 6
; NumVgprs: 0
; NumAgprs: 0
; TotalNumVgprs: 0
; ScratchSize: 0
; MemoryBound: 0
; FloatMode: 240
; IeeeMode: 1
; LDSByteSize: 0 bytes/workgroup (compile time only)
; SGPRBlocks: 0
; VGPRBlocks: 0
; NumSGPRsForWavesPerEU: 6
; NumVGPRsForWavesPerEU: 1
; AccumOffset: 4
; Occupancy: 8
; WaveLimiterHint : 0
; COMPUTE_PGM_RSRC2:SCRATCH_EN: 0
; COMPUTE_PGM_RSRC2:USER_SGPR: 2
; COMPUTE_PGM_RSRC2:TRAP_HANDLER: 0
; COMPUTE_PGM_RSRC2:TGID_X_EN: 1
; COMPUTE_PGM_RSRC2:TGID_Y_EN: 0
; COMPUTE_PGM_RSRC2:TGID_Z_EN: 0
; COMPUTE_PGM_RSRC2:TIDIG_COMP_CNT: 0
; COMPUTE_PGM_RSRC3_GFX90A:ACCUM_OFFSET: 0
; COMPUTE_PGM_RSRC3_GFX90A:TG_SPLIT: 0
	.section	.text._ZN7rocprim17ROCPRIM_400000_NS6detail17trampoline_kernelINS0_14default_configENS1_27scan_by_key_config_selectorIiiEEZZNS1_16scan_by_key_implILNS1_25lookback_scan_determinismE0ELb0ES3_N6thrust23THRUST_200600_302600_NS6detail15normal_iteratorINS9_10device_ptrIiEEEESE_SE_iNS9_10multipliesIiEENS9_8equal_toIiEEiEE10hipError_tPvRmT2_T3_T4_T5_mT6_T7_P12ihipStream_tbENKUlT_T0_E_clISt17integral_constantIbLb0EESY_IbLb1EEEEDaSU_SV_EUlSU_E_NS1_11comp_targetILNS1_3genE5ELNS1_11target_archE942ELNS1_3gpuE9ELNS1_3repE0EEENS1_30default_config_static_selectorELNS0_4arch9wavefront6targetE1EEEvT1_,"axG",@progbits,_ZN7rocprim17ROCPRIM_400000_NS6detail17trampoline_kernelINS0_14default_configENS1_27scan_by_key_config_selectorIiiEEZZNS1_16scan_by_key_implILNS1_25lookback_scan_determinismE0ELb0ES3_N6thrust23THRUST_200600_302600_NS6detail15normal_iteratorINS9_10device_ptrIiEEEESE_SE_iNS9_10multipliesIiEENS9_8equal_toIiEEiEE10hipError_tPvRmT2_T3_T4_T5_mT6_T7_P12ihipStream_tbENKUlT_T0_E_clISt17integral_constantIbLb0EESY_IbLb1EEEEDaSU_SV_EUlSU_E_NS1_11comp_targetILNS1_3genE5ELNS1_11target_archE942ELNS1_3gpuE9ELNS1_3repE0EEENS1_30default_config_static_selectorELNS0_4arch9wavefront6targetE1EEEvT1_,comdat
	.protected	_ZN7rocprim17ROCPRIM_400000_NS6detail17trampoline_kernelINS0_14default_configENS1_27scan_by_key_config_selectorIiiEEZZNS1_16scan_by_key_implILNS1_25lookback_scan_determinismE0ELb0ES3_N6thrust23THRUST_200600_302600_NS6detail15normal_iteratorINS9_10device_ptrIiEEEESE_SE_iNS9_10multipliesIiEENS9_8equal_toIiEEiEE10hipError_tPvRmT2_T3_T4_T5_mT6_T7_P12ihipStream_tbENKUlT_T0_E_clISt17integral_constantIbLb0EESY_IbLb1EEEEDaSU_SV_EUlSU_E_NS1_11comp_targetILNS1_3genE5ELNS1_11target_archE942ELNS1_3gpuE9ELNS1_3repE0EEENS1_30default_config_static_selectorELNS0_4arch9wavefront6targetE1EEEvT1_ ; -- Begin function _ZN7rocprim17ROCPRIM_400000_NS6detail17trampoline_kernelINS0_14default_configENS1_27scan_by_key_config_selectorIiiEEZZNS1_16scan_by_key_implILNS1_25lookback_scan_determinismE0ELb0ES3_N6thrust23THRUST_200600_302600_NS6detail15normal_iteratorINS9_10device_ptrIiEEEESE_SE_iNS9_10multipliesIiEENS9_8equal_toIiEEiEE10hipError_tPvRmT2_T3_T4_T5_mT6_T7_P12ihipStream_tbENKUlT_T0_E_clISt17integral_constantIbLb0EESY_IbLb1EEEEDaSU_SV_EUlSU_E_NS1_11comp_targetILNS1_3genE5ELNS1_11target_archE942ELNS1_3gpuE9ELNS1_3repE0EEENS1_30default_config_static_selectorELNS0_4arch9wavefront6targetE1EEEvT1_
	.globl	_ZN7rocprim17ROCPRIM_400000_NS6detail17trampoline_kernelINS0_14default_configENS1_27scan_by_key_config_selectorIiiEEZZNS1_16scan_by_key_implILNS1_25lookback_scan_determinismE0ELb0ES3_N6thrust23THRUST_200600_302600_NS6detail15normal_iteratorINS9_10device_ptrIiEEEESE_SE_iNS9_10multipliesIiEENS9_8equal_toIiEEiEE10hipError_tPvRmT2_T3_T4_T5_mT6_T7_P12ihipStream_tbENKUlT_T0_E_clISt17integral_constantIbLb0EESY_IbLb1EEEEDaSU_SV_EUlSU_E_NS1_11comp_targetILNS1_3genE5ELNS1_11target_archE942ELNS1_3gpuE9ELNS1_3repE0EEENS1_30default_config_static_selectorELNS0_4arch9wavefront6targetE1EEEvT1_
	.p2align	8
	.type	_ZN7rocprim17ROCPRIM_400000_NS6detail17trampoline_kernelINS0_14default_configENS1_27scan_by_key_config_selectorIiiEEZZNS1_16scan_by_key_implILNS1_25lookback_scan_determinismE0ELb0ES3_N6thrust23THRUST_200600_302600_NS6detail15normal_iteratorINS9_10device_ptrIiEEEESE_SE_iNS9_10multipliesIiEENS9_8equal_toIiEEiEE10hipError_tPvRmT2_T3_T4_T5_mT6_T7_P12ihipStream_tbENKUlT_T0_E_clISt17integral_constantIbLb0EESY_IbLb1EEEEDaSU_SV_EUlSU_E_NS1_11comp_targetILNS1_3genE5ELNS1_11target_archE942ELNS1_3gpuE9ELNS1_3repE0EEENS1_30default_config_static_selectorELNS0_4arch9wavefront6targetE1EEEvT1_,@function
_ZN7rocprim17ROCPRIM_400000_NS6detail17trampoline_kernelINS0_14default_configENS1_27scan_by_key_config_selectorIiiEEZZNS1_16scan_by_key_implILNS1_25lookback_scan_determinismE0ELb0ES3_N6thrust23THRUST_200600_302600_NS6detail15normal_iteratorINS9_10device_ptrIiEEEESE_SE_iNS9_10multipliesIiEENS9_8equal_toIiEEiEE10hipError_tPvRmT2_T3_T4_T5_mT6_T7_P12ihipStream_tbENKUlT_T0_E_clISt17integral_constantIbLb0EESY_IbLb1EEEEDaSU_SV_EUlSU_E_NS1_11comp_targetILNS1_3genE5ELNS1_11target_archE942ELNS1_3gpuE9ELNS1_3repE0EEENS1_30default_config_static_selectorELNS0_4arch9wavefront6targetE1EEEvT1_: ; @_ZN7rocprim17ROCPRIM_400000_NS6detail17trampoline_kernelINS0_14default_configENS1_27scan_by_key_config_selectorIiiEEZZNS1_16scan_by_key_implILNS1_25lookback_scan_determinismE0ELb0ES3_N6thrust23THRUST_200600_302600_NS6detail15normal_iteratorINS9_10device_ptrIiEEEESE_SE_iNS9_10multipliesIiEENS9_8equal_toIiEEiEE10hipError_tPvRmT2_T3_T4_T5_mT6_T7_P12ihipStream_tbENKUlT_T0_E_clISt17integral_constantIbLb0EESY_IbLb1EEEEDaSU_SV_EUlSU_E_NS1_11comp_targetILNS1_3genE5ELNS1_11target_archE942ELNS1_3gpuE9ELNS1_3repE0EEENS1_30default_config_static_selectorELNS0_4arch9wavefront6targetE1EEEvT1_
; %bb.0:
	s_load_dwordx4 s[72:75], s[0:1], 0x28
	s_load_dwordx2 s[76:77], s[0:1], 0x38
	v_cmp_ne_u32_e64 s[4:5], 0, v0
	v_cmp_eq_u32_e64 s[54:55], 0, v0
	s_and_saveexec_b64 s[2:3], s[54:55]
	s_cbranch_execz .LBB193_4
; %bb.1:
	s_mov_b64 s[8:9], exec
	v_mbcnt_lo_u32_b32 v1, s8, 0
	v_mbcnt_hi_u32_b32 v1, s9, v1
	v_cmp_eq_u32_e32 vcc, 0, v1
                                        ; implicit-def: $vgpr2
	s_and_saveexec_b64 s[6:7], vcc
	s_cbranch_execz .LBB193_3
; %bb.2:
	s_load_dwordx2 s[10:11], s[0:1], 0x68
	s_bcnt1_i32_b64 s8, s[8:9]
	v_mov_b32_e32 v2, 0
	v_mov_b32_e32 v3, s8
	s_waitcnt lgkmcnt(0)
	global_atomic_add v2, v2, v3, s[10:11] sc0
.LBB193_3:
	s_or_b64 exec, exec, s[6:7]
	s_waitcnt vmcnt(0)
	v_readfirstlane_b32 s6, v2
	v_mov_b32_e32 v2, 0
	s_nop 0
	v_add_u32_e32 v1, s6, v1
	ds_write_b32 v2, v1
.LBB193_4:
	s_or_b64 exec, exec, s[2:3]
	s_load_dwordx8 s[56:63], s[0:1], 0x0
	s_load_dword s2, s[0:1], 0x40
	s_load_dwordx8 s[64:71], s[0:1], 0x48
	v_mov_b32_e32 v1, 0
	s_waitcnt lgkmcnt(0)
	s_barrier
	ds_read_b32 v1, v1
	s_lshl_b64 s[58:59], s[58:59], 2
	s_add_u32 s3, s56, s58
	s_addc_u32 s6, s57, s59
	s_add_u32 s7, s60, s58
	s_mul_i32 s0, s77, s2
	s_mul_hi_u32 s1, s76, s2
	s_addc_u32 s8, s61, s59
	s_add_i32 s9, s1, s0
	s_waitcnt lgkmcnt(0)
	v_readfirstlane_b32 s75, v1
	s_cmp_lg_u64 s[68:69], 0
	s_mov_b32 s1, 0
	s_mul_i32 s0, s75, 0x1700
	s_cselect_b64 s[78:79], -1, 0
	s_lshl_b64 s[56:57], s[0:1], 2
	s_add_u32 s68, s3, s56
	s_addc_u32 s69, s6, s57
	s_add_u32 s60, s7, s56
	s_mul_i32 s2, s76, s2
	s_addc_u32 s61, s8, s57
	s_add_u32 s80, s2, s75
	s_addc_u32 s81, s9, 0
	s_add_u32 s0, s64, -1
	s_addc_u32 s1, s65, -1
	v_mov_b64_e32 v[2:3], s[0:1]
	v_cmp_ge_u64_e64 s[2:3], s[80:81], v[2:3]
	s_mov_b64 s[10:11], 0
	s_mov_b64 s[6:7], -1
	s_and_b64 vcc, exec, s[2:3]
	s_mul_i32 s33, s0, 0xffffe900
	s_barrier
	s_barrier
	s_cbranch_vccz .LBB193_126
; %bb.5:
	v_mov_b64_e32 v[2:3], s[68:69]
	flat_load_dword v1, v[2:3]
	s_add_i32 s84, s33, s74
	v_cmp_gt_u32_e64 s[6:7], s84, v0
	s_waitcnt vmcnt(0) lgkmcnt(0)
	v_mov_b32_e32 v4, v1
	s_and_saveexec_b64 s[0:1], s[6:7]
	s_cbranch_execz .LBB193_7
; %bb.6:
	v_lshlrev_b32_e32 v2, 2, v0
	v_mov_b32_e32 v3, 0
	v_lshl_add_u64 v[2:3], s[68:69], 0, v[2:3]
	flat_load_dword v4, v[2:3]
.LBB193_7:
	s_or_b64 exec, exec, s[0:1]
	v_or_b32_e32 v2, 0x100, v0
	v_cmp_gt_u32_e64 s[8:9], s84, v2
	v_mov_b32_e32 v5, v1
	s_and_saveexec_b64 s[0:1], s[8:9]
	s_cbranch_execz .LBB193_9
; %bb.8:
	v_lshlrev_b32_e32 v2, 2, v0
	v_mov_b32_e32 v3, 0
	v_lshl_add_u64 v[2:3], s[68:69], 0, v[2:3]
	flat_load_dword v5, v[2:3] offset:1024
.LBB193_9:
	s_or_b64 exec, exec, s[0:1]
	v_or_b32_e32 v2, 0x200, v0
	v_cmp_gt_u32_e64 s[10:11], s84, v2
	v_mov_b32_e32 v6, v1
	s_and_saveexec_b64 s[0:1], s[10:11]
	s_cbranch_execz .LBB193_11
; %bb.10:
	v_lshlrev_b32_e32 v2, 2, v0
	v_mov_b32_e32 v3, 0
	v_lshl_add_u64 v[2:3], s[68:69], 0, v[2:3]
	flat_load_dword v6, v[2:3] offset:2048
.LBB193_11:
	;; [unrolled: 12-line block ×3, first 2 shown]
	s_or_b64 exec, exec, s[0:1]
	v_or_b32_e32 v2, 0x400, v0
	v_cmp_gt_u32_e64 s[14:15], s84, v2
	v_lshlrev_b32_e32 v2, 2, v2
	v_mov_b32_e32 v3, v1
	s_and_saveexec_b64 s[0:1], s[14:15]
	s_cbranch_execz .LBB193_15
; %bb.14:
	v_mov_b32_e32 v3, 0
	v_lshl_add_u64 v[8:9], s[68:69], 0, v[2:3]
	flat_load_dword v3, v[8:9]
.LBB193_15:
	s_or_b64 exec, exec, s[0:1]
	v_or_b32_e32 v8, 0x500, v0
	v_cmp_gt_u32_e64 s[16:17], s84, v8
	v_lshlrev_b32_e32 v10, 2, v8
	v_mov_b32_e32 v8, v1
	s_and_saveexec_b64 s[0:1], s[16:17]
	s_cbranch_execz .LBB193_17
; %bb.16:
	v_mov_b32_e32 v11, 0
	v_lshl_add_u64 v[8:9], s[68:69], 0, v[10:11]
	flat_load_dword v8, v[8:9]
.LBB193_17:
	;; [unrolled: 12-line block ×18, first 2 shown]
	s_or_b64 exec, exec, s[0:1]
	v_or_b32_e32 v41, 0x1600, v0
	v_cmp_gt_u32_e64 s[52:53], s84, v41
	v_lshlrev_b32_e32 v46, 2, v41
	s_and_saveexec_b64 s[0:1], s[52:53]
	s_cbranch_execz .LBB193_51
; %bb.50:
	v_mov_b32_e32 v47, 0
	v_lshl_add_u64 v[44:45], s[68:69], 0, v[46:47]
	flat_load_dword v1, v[44:45]
.LBB193_51:
	s_or_b64 exec, exec, s[0:1]
	v_lshlrev_b32_e32 v44, 2, v0
	s_movk_i32 s0, 0x58
	s_waitcnt vmcnt(0) lgkmcnt(0)
	ds_write2st64_b32 v44, v4, v5 offset1:4
	ds_write2st64_b32 v44, v6, v7 offset0:8 offset1:12
	ds_write2st64_b32 v44, v3, v8 offset0:16 offset1:20
	ds_write2st64_b32 v44, v9, v11 offset0:24 offset1:28
	ds_write2st64_b32 v44, v13, v15 offset0:32 offset1:36
	ds_write2st64_b32 v44, v17, v19 offset0:40 offset1:44
	ds_write2st64_b32 v44, v21, v23 offset0:48 offset1:52
	ds_write2st64_b32 v44, v25, v27 offset0:56 offset1:60
	ds_write2st64_b32 v44, v29, v31 offset0:64 offset1:68
	ds_write2st64_b32 v44, v33, v35 offset0:72 offset1:76
	ds_write2st64_b32 v44, v37, v39 offset0:80 offset1:84
	ds_write_b32 v44, v1 offset:22528
	v_mad_u32_u24 v1, v0, s0, v44
	s_waitcnt lgkmcnt(0)
	s_barrier
	ds_read2_b32 v[68:69], v1 offset1:1
	ds_read2_b32 v[66:67], v1 offset0:2 offset1:3
	ds_read2_b32 v[64:65], v1 offset0:4 offset1:5
	;; [unrolled: 1-line block ×10, first 2 shown]
	ds_read_b32 v72, v1 offset:88
	s_cmp_eq_u64 s[80:81], 0
	s_mov_b64 s[0:1], s[68:69]
	s_cbranch_scc1 .LBB193_55
; %bb.52:
	s_andn2_b64 vcc, exec, s[78:79]
	s_cbranch_vccnz .LBB193_297
; %bb.53:
	s_lshl_b64 s[0:1], s[80:81], 2
	s_add_u32 s0, s70, s0
	s_addc_u32 s1, s71, s1
	s_add_u32 s0, s0, -4
	s_addc_u32 s1, s1, -1
	s_cbranch_execnz .LBB193_55
.LBB193_54:
	s_add_u32 s0, s68, -4
	s_addc_u32 s1, s69, -1
.LBB193_55:
	v_mov_b64_e32 v[48:49], s[0:1]
	flat_load_dword v70, v[48:49]
	s_movk_i32 s0, 0xffa8
	v_mad_i32_i24 v3, v0, s0, v1
	s_waitcnt lgkmcnt(0)
	ds_write_b32 v3, v72 offset:23552
	s_waitcnt lgkmcnt(0)
	s_barrier
	s_and_saveexec_b64 s[0:1], s[4:5]
	s_cbranch_execz .LBB193_57
; %bb.56:
	v_mul_i32_i24_e32 v3, 0xffffffa8, v0
	v_add_u32_e32 v3, v1, v3
	s_waitcnt vmcnt(0)
	ds_read_b32 v70, v3 offset:23548
.LBB193_57:
	s_or_b64 exec, exec, s[0:1]
	v_mov_b32_e32 v45, 0
	s_waitcnt lgkmcnt(0)
	s_barrier
	s_waitcnt lgkmcnt(0)
                                        ; implicit-def: $vgpr48
	s_and_saveexec_b64 s[0:1], s[6:7]
	s_cbranch_execnz .LBB193_273
; %bb.58:
	s_or_b64 exec, exec, s[0:1]
                                        ; implicit-def: $vgpr49
	s_and_saveexec_b64 s[0:1], s[8:9]
	s_cbranch_execnz .LBB193_274
.LBB193_59:
	s_or_b64 exec, exec, s[0:1]
                                        ; implicit-def: $vgpr50
	s_and_saveexec_b64 s[0:1], s[10:11]
	s_cbranch_execnz .LBB193_275
.LBB193_60:
	s_or_b64 exec, exec, s[0:1]
                                        ; implicit-def: $vgpr45
	s_and_saveexec_b64 s[0:1], s[12:13]
	s_cbranch_execnz .LBB193_276
.LBB193_61:
	s_or_b64 exec, exec, s[0:1]
                                        ; implicit-def: $vgpr3
	s_and_saveexec_b64 s[0:1], s[14:15]
	s_cbranch_execnz .LBB193_277
.LBB193_62:
	s_or_b64 exec, exec, s[0:1]
                                        ; implicit-def: $vgpr2
	s_and_saveexec_b64 s[0:1], s[16:17]
	s_cbranch_execnz .LBB193_278
.LBB193_63:
	s_or_b64 exec, exec, s[0:1]
                                        ; implicit-def: $vgpr10
	s_and_saveexec_b64 s[0:1], s[18:19]
	s_cbranch_execnz .LBB193_279
.LBB193_64:
	s_or_b64 exec, exec, s[0:1]
                                        ; implicit-def: $vgpr11
	s_and_saveexec_b64 s[0:1], s[20:21]
	s_cbranch_execnz .LBB193_280
.LBB193_65:
	s_or_b64 exec, exec, s[0:1]
                                        ; implicit-def: $vgpr12
	s_and_saveexec_b64 s[0:1], s[22:23]
	s_cbranch_execnz .LBB193_281
.LBB193_66:
	s_or_b64 exec, exec, s[0:1]
                                        ; implicit-def: $vgpr13
	s_and_saveexec_b64 s[0:1], s[24:25]
	s_cbranch_execnz .LBB193_282
.LBB193_67:
	s_or_b64 exec, exec, s[0:1]
                                        ; implicit-def: $vgpr14
	s_and_saveexec_b64 s[0:1], s[26:27]
	s_cbranch_execnz .LBB193_283
.LBB193_68:
	s_or_b64 exec, exec, s[0:1]
                                        ; implicit-def: $vgpr15
	s_and_saveexec_b64 s[0:1], s[28:29]
	s_cbranch_execnz .LBB193_284
.LBB193_69:
	s_or_b64 exec, exec, s[0:1]
                                        ; implicit-def: $vgpr16
	s_and_saveexec_b64 s[0:1], s[30:31]
	s_cbranch_execnz .LBB193_285
.LBB193_70:
	s_or_b64 exec, exec, s[0:1]
                                        ; implicit-def: $vgpr17
	s_and_saveexec_b64 s[0:1], s[34:35]
	s_cbranch_execnz .LBB193_286
.LBB193_71:
	s_or_b64 exec, exec, s[0:1]
                                        ; implicit-def: $vgpr18
	s_and_saveexec_b64 s[0:1], s[36:37]
	s_cbranch_execnz .LBB193_287
.LBB193_72:
	s_or_b64 exec, exec, s[0:1]
                                        ; implicit-def: $vgpr19
	s_and_saveexec_b64 s[0:1], s[38:39]
	s_cbranch_execnz .LBB193_288
.LBB193_73:
	s_or_b64 exec, exec, s[0:1]
                                        ; implicit-def: $vgpr20
	s_and_saveexec_b64 s[0:1], s[40:41]
	s_cbranch_execnz .LBB193_289
.LBB193_74:
	s_or_b64 exec, exec, s[0:1]
                                        ; implicit-def: $vgpr21
	s_and_saveexec_b64 s[0:1], s[42:43]
	s_cbranch_execnz .LBB193_290
.LBB193_75:
	s_or_b64 exec, exec, s[0:1]
                                        ; implicit-def: $vgpr22
	s_and_saveexec_b64 s[0:1], s[44:45]
	s_cbranch_execnz .LBB193_291
.LBB193_76:
	s_or_b64 exec, exec, s[0:1]
                                        ; implicit-def: $vgpr23
	s_and_saveexec_b64 s[0:1], s[46:47]
	s_cbranch_execnz .LBB193_292
.LBB193_77:
	s_or_b64 exec, exec, s[0:1]
                                        ; implicit-def: $vgpr24
	s_and_saveexec_b64 s[0:1], s[48:49]
	s_cbranch_execnz .LBB193_293
.LBB193_78:
	s_or_b64 exec, exec, s[0:1]
                                        ; implicit-def: $vgpr25
	s_and_saveexec_b64 s[0:1], s[50:51]
	s_cbranch_execnz .LBB193_294
.LBB193_79:
	s_or_b64 exec, exec, s[0:1]
                                        ; implicit-def: $vgpr26
	s_and_saveexec_b64 s[0:1], s[52:53]
	s_cbranch_execz .LBB193_81
.LBB193_80:
	v_mov_b32_e32 v47, 0
	v_lshl_add_u64 v[26:27], s[60:61], 0, v[46:47]
	flat_load_dword v26, v[26:27]
.LBB193_81:
	s_or_b64 exec, exec, s[0:1]
	v_mul_u32_u24_e32 v73, 23, v0
	s_waitcnt vmcnt(0) lgkmcnt(0)
	ds_write2st64_b32 v44, v48, v49 offset1:4
	ds_write2st64_b32 v44, v50, v45 offset0:8 offset1:12
	ds_write2st64_b32 v44, v3, v2 offset0:16 offset1:20
	ds_write2st64_b32 v44, v10, v11 offset0:24 offset1:28
	ds_write2st64_b32 v44, v12, v13 offset0:32 offset1:36
	ds_write2st64_b32 v44, v14, v15 offset0:40 offset1:44
	ds_write2st64_b32 v44, v16, v17 offset0:48 offset1:52
	ds_write2st64_b32 v44, v18, v19 offset0:56 offset1:60
	ds_write2st64_b32 v44, v20, v21 offset0:64 offset1:68
	ds_write2st64_b32 v44, v22, v23 offset0:72 offset1:76
	ds_write2st64_b32 v44, v24, v25 offset0:80 offset1:84
	ds_write_b32 v44, v26 offset:22528
	v_mov_b64_e32 v[10:11], 0
	v_cmp_gt_u32_e32 vcc, s84, v73
	s_mov_b64 s[10:11], 0
	s_mov_b64 s[6:7], 0
	v_mov_b64_e32 v[12:13], v[10:11]
	v_mov_b64_e32 v[14:15], v[10:11]
	;; [unrolled: 1-line block ×21, first 2 shown]
	s_waitcnt lgkmcnt(0)
	s_barrier
	s_waitcnt lgkmcnt(0)
                                        ; implicit-def: $sgpr0_sgpr1
                                        ; implicit-def: $vgpr3
	s_and_saveexec_b64 s[8:9], vcc
	s_cbranch_execz .LBB193_125
; %bb.82:
	ds_read_b32 v10, v1
	v_add_u32_e32 v2, 1, v73
	v_cmp_ne_u32_e32 vcc, v70, v68
	v_mov_b64_e32 v[12:13], 0
	s_mov_b64 s[12:13], 0
	v_cndmask_b32_e64 v11, 0, 1, vcc
	v_cmp_gt_u32_e32 vcc, s84, v2
	s_mov_b64 s[0:1], 0
	v_mov_b64_e32 v[14:15], v[12:13]
	v_mov_b64_e32 v[16:17], v[12:13]
	;; [unrolled: 1-line block ×20, first 2 shown]
                                        ; implicit-def: $sgpr14_sgpr15
                                        ; implicit-def: $vgpr3
	s_and_saveexec_b64 s[10:11], vcc
	s_cbranch_execz .LBB193_124
; %bb.83:
	ds_read2_b32 v[70:71], v1 offset0:1 offset1:2
	v_add_u32_e32 v2, 2, v73
	v_cmp_ne_u32_e32 vcc, v68, v69
	v_mov_b64_e32 v[14:15], 0
	s_mov_b64 s[16:17], 0
	v_cndmask_b32_e64 v13, 0, 1, vcc
	v_cmp_gt_u32_e32 vcc, s84, v2
	s_waitcnt lgkmcnt(0)
	v_mov_b32_e32 v12, v70
	v_mov_b64_e32 v[16:17], v[14:15]
	v_mov_b64_e32 v[18:19], v[14:15]
	;; [unrolled: 1-line block ×19, first 2 shown]
                                        ; implicit-def: $sgpr14_sgpr15
                                        ; implicit-def: $vgpr3
	s_and_saveexec_b64 s[12:13], vcc
	s_cbranch_execz .LBB193_123
; %bb.84:
	v_add_u32_e32 v2, 3, v73
	v_cmp_ne_u32_e32 vcc, v69, v66
	v_mov_b64_e32 v[16:17], 0
	v_mov_b32_e32 v14, v71
	v_cndmask_b32_e64 v15, 0, 1, vcc
	v_cmp_gt_u32_e32 vcc, s84, v2
	v_mov_b64_e32 v[18:19], v[16:17]
	v_mov_b64_e32 v[20:21], v[16:17]
	;; [unrolled: 1-line block ×18, first 2 shown]
                                        ; implicit-def: $sgpr18_sgpr19
                                        ; implicit-def: $vgpr3
	s_and_saveexec_b64 s[14:15], vcc
	s_cbranch_execz .LBB193_122
; %bb.85:
	ds_read2_b32 v[68:69], v1 offset0:3 offset1:4
	v_add_u32_e32 v2, 4, v73
	v_cmp_ne_u32_e32 vcc, v66, v67
	v_mov_b64_e32 v[18:19], 0
	s_mov_b64 s[20:21], 0
	v_cndmask_b32_e64 v17, 0, 1, vcc
	v_cmp_gt_u32_e32 vcc, s84, v2
	s_waitcnt lgkmcnt(0)
	v_mov_b32_e32 v16, v68
	v_mov_b64_e32 v[20:21], v[18:19]
	v_mov_b64_e32 v[22:23], v[18:19]
	v_mov_b64_e32 v[24:25], v[18:19]
	v_mov_b64_e32 v[26:27], v[18:19]
	v_mov_b64_e32 v[28:29], v[18:19]
	v_mov_b64_e32 v[30:31], v[18:19]
	v_mov_b64_e32 v[32:33], v[18:19]
	v_mov_b64_e32 v[34:35], v[18:19]
	v_mov_b64_e32 v[36:37], v[18:19]
	v_mov_b64_e32 v[38:39], v[18:19]
	v_mov_b64_e32 v[40:41], v[18:19]
	v_mov_b64_e32 v[42:43], v[18:19]
	v_mov_b64_e32 v[44:45], v[18:19]
	v_mov_b64_e32 v[46:47], v[18:19]
	v_mov_b64_e32 v[48:49], v[18:19]
	v_mov_b64_e32 v[50:51], v[18:19]
	v_mov_b64_e32 v[52:53], v[18:19]
                                        ; implicit-def: $sgpr18_sgpr19
                                        ; implicit-def: $vgpr3
	s_and_saveexec_b64 s[16:17], vcc
	s_cbranch_execz .LBB193_121
; %bb.86:
	v_add_u32_e32 v2, 5, v73
	v_cmp_ne_u32_e32 vcc, v67, v64
	v_mov_b64_e32 v[20:21], 0
	v_mov_b32_e32 v18, v69
	v_cndmask_b32_e64 v19, 0, 1, vcc
	v_cmp_gt_u32_e32 vcc, s84, v2
	v_mov_b64_e32 v[22:23], v[20:21]
	v_mov_b64_e32 v[24:25], v[20:21]
	;; [unrolled: 1-line block ×16, first 2 shown]
                                        ; implicit-def: $sgpr22_sgpr23
                                        ; implicit-def: $vgpr3
	s_and_saveexec_b64 s[18:19], vcc
	s_cbranch_execz .LBB193_120
; %bb.87:
	ds_read2_b32 v[66:67], v1 offset0:5 offset1:6
	v_add_u32_e32 v2, 6, v73
	v_cmp_ne_u32_e32 vcc, v64, v65
	v_mov_b64_e32 v[22:23], 0
	s_mov_b64 s[24:25], 0
	v_cndmask_b32_e64 v21, 0, 1, vcc
	v_cmp_gt_u32_e32 vcc, s84, v2
	s_waitcnt lgkmcnt(0)
	v_mov_b32_e32 v20, v66
	v_mov_b64_e32 v[24:25], v[22:23]
	v_mov_b64_e32 v[26:27], v[22:23]
	;; [unrolled: 1-line block ×15, first 2 shown]
                                        ; implicit-def: $sgpr22_sgpr23
                                        ; implicit-def: $vgpr3
	s_and_saveexec_b64 s[20:21], vcc
	s_cbranch_execz .LBB193_119
; %bb.88:
	v_add_u32_e32 v2, 7, v73
	v_cmp_ne_u32_e32 vcc, v65, v62
	v_mov_b64_e32 v[24:25], 0
	v_mov_b32_e32 v22, v67
	v_cndmask_b32_e64 v23, 0, 1, vcc
	v_cmp_gt_u32_e32 vcc, s84, v2
	v_mov_b64_e32 v[26:27], v[24:25]
	v_mov_b64_e32 v[28:29], v[24:25]
	;; [unrolled: 1-line block ×14, first 2 shown]
                                        ; implicit-def: $sgpr26_sgpr27
                                        ; implicit-def: $vgpr3
	s_and_saveexec_b64 s[22:23], vcc
	s_cbranch_execz .LBB193_118
; %bb.89:
	ds_read2_b32 v[64:65], v1 offset0:7 offset1:8
	v_add_u32_e32 v2, 8, v73
	v_cmp_ne_u32_e32 vcc, v62, v63
	v_mov_b64_e32 v[26:27], 0
	s_mov_b64 s[28:29], 0
	v_cndmask_b32_e64 v25, 0, 1, vcc
	v_cmp_gt_u32_e32 vcc, s84, v2
	s_waitcnt lgkmcnt(0)
	v_mov_b32_e32 v24, v64
	v_mov_b64_e32 v[28:29], v[26:27]
	v_mov_b64_e32 v[30:31], v[26:27]
	;; [unrolled: 1-line block ×13, first 2 shown]
                                        ; implicit-def: $sgpr26_sgpr27
                                        ; implicit-def: $vgpr3
	s_and_saveexec_b64 s[24:25], vcc
	s_cbranch_execz .LBB193_117
; %bb.90:
	v_add_u32_e32 v2, 9, v73
	v_cmp_ne_u32_e32 vcc, v63, v60
	v_mov_b64_e32 v[28:29], 0
	v_mov_b32_e32 v26, v65
	v_cndmask_b32_e64 v27, 0, 1, vcc
	v_cmp_gt_u32_e32 vcc, s84, v2
	v_mov_b64_e32 v[30:31], v[28:29]
	v_mov_b64_e32 v[32:33], v[28:29]
	;; [unrolled: 1-line block ×12, first 2 shown]
                                        ; implicit-def: $sgpr30_sgpr31
                                        ; implicit-def: $vgpr3
	s_and_saveexec_b64 s[26:27], vcc
	s_cbranch_execz .LBB193_116
; %bb.91:
	ds_read2_b32 v[62:63], v1 offset0:9 offset1:10
	v_add_u32_e32 v2, 10, v73
	v_cmp_ne_u32_e32 vcc, v60, v61
	v_mov_b64_e32 v[30:31], 0
	s_mov_b64 s[34:35], 0
	v_cndmask_b32_e64 v29, 0, 1, vcc
	v_cmp_gt_u32_e32 vcc, s84, v2
	s_waitcnt lgkmcnt(0)
	v_mov_b32_e32 v28, v62
	v_mov_b64_e32 v[32:33], v[30:31]
	v_mov_b64_e32 v[34:35], v[30:31]
	;; [unrolled: 1-line block ×11, first 2 shown]
                                        ; implicit-def: $sgpr30_sgpr31
                                        ; implicit-def: $vgpr3
	s_and_saveexec_b64 s[28:29], vcc
	s_cbranch_execz .LBB193_115
; %bb.92:
	v_add_u32_e32 v2, 11, v73
	v_cmp_ne_u32_e32 vcc, v61, v58
	v_mov_b64_e32 v[32:33], 0
	v_mov_b32_e32 v30, v63
	v_cndmask_b32_e64 v31, 0, 1, vcc
	v_cmp_gt_u32_e32 vcc, s84, v2
	v_mov_b64_e32 v[34:35], v[32:33]
	v_mov_b64_e32 v[36:37], v[32:33]
	;; [unrolled: 1-line block ×10, first 2 shown]
                                        ; implicit-def: $sgpr36_sgpr37
                                        ; implicit-def: $vgpr3
	s_and_saveexec_b64 s[30:31], vcc
	s_cbranch_execz .LBB193_114
; %bb.93:
	ds_read2_b32 v[60:61], v1 offset0:11 offset1:12
	v_add_u32_e32 v2, 12, v73
	v_cmp_ne_u32_e32 vcc, v58, v59
	v_mov_b64_e32 v[34:35], 0
	s_mov_b64 s[38:39], 0
	v_cndmask_b32_e64 v33, 0, 1, vcc
	v_cmp_gt_u32_e32 vcc, s84, v2
	s_waitcnt lgkmcnt(0)
	v_mov_b32_e32 v32, v60
	v_mov_b64_e32 v[36:37], v[34:35]
	v_mov_b64_e32 v[38:39], v[34:35]
	;; [unrolled: 1-line block ×9, first 2 shown]
                                        ; implicit-def: $sgpr36_sgpr37
                                        ; implicit-def: $vgpr3
	s_and_saveexec_b64 s[34:35], vcc
	s_cbranch_execz .LBB193_113
; %bb.94:
	v_add_u32_e32 v2, 13, v73
	v_cmp_ne_u32_e32 vcc, v59, v56
	v_mov_b64_e32 v[36:37], 0
	v_mov_b32_e32 v34, v61
	v_cndmask_b32_e64 v35, 0, 1, vcc
	v_cmp_gt_u32_e32 vcc, s84, v2
	v_mov_b64_e32 v[38:39], v[36:37]
	v_mov_b64_e32 v[40:41], v[36:37]
	;; [unrolled: 1-line block ×8, first 2 shown]
                                        ; implicit-def: $sgpr40_sgpr41
                                        ; implicit-def: $vgpr3
	s_and_saveexec_b64 s[36:37], vcc
	s_cbranch_execz .LBB193_112
; %bb.95:
	ds_read2_b32 v[58:59], v1 offset0:13 offset1:14
	v_add_u32_e32 v2, 14, v73
	v_cmp_ne_u32_e32 vcc, v56, v57
	v_mov_b64_e32 v[38:39], 0
	s_mov_b64 s[42:43], 0
	v_cndmask_b32_e64 v37, 0, 1, vcc
	v_cmp_gt_u32_e32 vcc, s84, v2
	s_waitcnt lgkmcnt(0)
	v_mov_b32_e32 v36, v58
	v_mov_b64_e32 v[40:41], v[38:39]
	v_mov_b64_e32 v[42:43], v[38:39]
	;; [unrolled: 1-line block ×7, first 2 shown]
                                        ; implicit-def: $sgpr40_sgpr41
                                        ; implicit-def: $vgpr3
	s_and_saveexec_b64 s[38:39], vcc
	s_cbranch_execz .LBB193_111
; %bb.96:
	v_add_u32_e32 v2, 15, v73
	v_cmp_ne_u32_e32 vcc, v57, v54
	v_mov_b64_e32 v[40:41], 0
	v_mov_b32_e32 v38, v59
	v_cndmask_b32_e64 v39, 0, 1, vcc
	v_cmp_gt_u32_e32 vcc, s84, v2
	v_mov_b64_e32 v[42:43], v[40:41]
	v_mov_b64_e32 v[44:45], v[40:41]
	;; [unrolled: 1-line block ×6, first 2 shown]
                                        ; implicit-def: $sgpr44_sgpr45
                                        ; implicit-def: $vgpr3
	s_and_saveexec_b64 s[40:41], vcc
	s_cbranch_execz .LBB193_110
; %bb.97:
	ds_read2_b32 v[56:57], v1 offset0:15 offset1:16
	v_add_u32_e32 v2, 16, v73
	v_cmp_ne_u32_e32 vcc, v54, v55
	v_mov_b64_e32 v[42:43], 0
	s_mov_b64 s[46:47], 0
	v_cndmask_b32_e64 v41, 0, 1, vcc
	v_cmp_gt_u32_e32 vcc, s84, v2
	s_waitcnt lgkmcnt(0)
	v_mov_b32_e32 v40, v56
	v_mov_b64_e32 v[44:45], v[42:43]
	v_mov_b64_e32 v[46:47], v[42:43]
	;; [unrolled: 1-line block ×5, first 2 shown]
                                        ; implicit-def: $sgpr44_sgpr45
                                        ; implicit-def: $vgpr3
	s_and_saveexec_b64 s[42:43], vcc
	s_cbranch_execz .LBB193_109
; %bb.98:
	v_add_u32_e32 v2, 17, v73
	v_cmp_ne_u32_e32 vcc, v55, v8
	v_mov_b64_e32 v[44:45], 0
	v_mov_b32_e32 v42, v57
	v_cndmask_b32_e64 v43, 0, 1, vcc
	v_cmp_gt_u32_e32 vcc, s84, v2
	v_mov_b64_e32 v[46:47], v[44:45]
	v_mov_b64_e32 v[48:49], v[44:45]
	;; [unrolled: 1-line block ×4, first 2 shown]
                                        ; implicit-def: $sgpr48_sgpr49
                                        ; implicit-def: $vgpr3
	s_and_saveexec_b64 s[44:45], vcc
	s_cbranch_execz .LBB193_108
; %bb.99:
	ds_read2_b32 v[54:55], v1 offset0:17 offset1:18
	v_add_u32_e32 v2, 18, v73
	v_cmp_ne_u32_e32 vcc, v8, v9
	v_mov_b64_e32 v[46:47], 0
	s_mov_b64 s[50:51], 0
	v_cndmask_b32_e64 v45, 0, 1, vcc
	v_cmp_gt_u32_e32 vcc, s84, v2
	s_waitcnt lgkmcnt(0)
	v_mov_b32_e32 v44, v54
	v_mov_b64_e32 v[48:49], v[46:47]
	v_mov_b64_e32 v[50:51], v[46:47]
	;; [unrolled: 1-line block ×3, first 2 shown]
                                        ; implicit-def: $sgpr48_sgpr49
                                        ; implicit-def: $vgpr3
	s_and_saveexec_b64 s[46:47], vcc
	s_cbranch_execz .LBB193_107
; %bb.100:
	v_add_u32_e32 v2, 19, v73
	v_cmp_ne_u32_e32 vcc, v9, v6
	v_mov_b64_e32 v[48:49], 0
	v_mov_b32_e32 v46, v55
	v_cndmask_b32_e64 v47, 0, 1, vcc
	v_cmp_gt_u32_e32 vcc, s84, v2
	v_mov_b64_e32 v[50:51], v[48:49]
	v_mov_b64_e32 v[52:53], v[48:49]
                                        ; implicit-def: $sgpr52_sgpr53
                                        ; implicit-def: $vgpr3
	s_and_saveexec_b64 s[48:49], vcc
	s_cbranch_execz .LBB193_106
; %bb.101:
	ds_read2_b32 v[8:9], v1 offset0:19 offset1:20
	v_add_u32_e32 v2, 20, v73
	v_cmp_ne_u32_e32 vcc, v6, v7
	v_mov_b64_e32 v[50:51], 0
	s_mov_b64 s[52:53], 0
	v_cndmask_b32_e64 v49, 0, 1, vcc
	v_cmp_gt_u32_e32 vcc, s84, v2
	s_waitcnt lgkmcnt(0)
	v_mov_b32_e32 v48, v8
	v_mov_b64_e32 v[52:53], v[50:51]
                                        ; implicit-def: $sgpr64_sgpr65
                                        ; implicit-def: $vgpr3
	s_and_saveexec_b64 s[50:51], vcc
	s_cbranch_execz .LBB193_105
; %bb.102:
	v_add_u32_e32 v2, 21, v73
	v_cmp_ne_u32_e32 vcc, v7, v4
	v_mov_b32_e32 v50, v9
	v_mov_b64_e32 v[52:53], 0
	v_cndmask_b32_e64 v51, 0, 1, vcc
	v_cmp_gt_u32_e32 vcc, s84, v2
                                        ; implicit-def: $sgpr64_sgpr65
                                        ; implicit-def: $vgpr3
	s_and_saveexec_b64 s[0:1], vcc
	s_xor_b64 s[82:83], exec, s[0:1]
	s_cbranch_execz .LBB193_104
; %bb.103:
	ds_read2_b32 v[2:3], v1 offset0:21 offset1:22
	v_add_u32_e32 v1, 22, v73
	v_cmp_ne_u32_e64 s[0:1], v4, v5
	v_cmp_ne_u32_e32 vcc, v5, v72
	s_and_b64 s[64:65], vcc, exec
	v_cndmask_b32_e64 v53, 0, 1, s[0:1]
	v_cmp_gt_u32_e64 s[0:1], s84, v1
	s_waitcnt lgkmcnt(0)
	v_mov_b32_e32 v52, v2
	s_and_b64 s[52:53], s[0:1], exec
.LBB193_104:
	s_or_b64 exec, exec, s[82:83]
	s_and_b64 s[64:65], s[64:65], exec
	s_and_b64 s[0:1], s[52:53], exec
.LBB193_105:
	s_or_b64 exec, exec, s[50:51]
	s_and_b64 s[52:53], s[64:65], exec
	s_and_b64 s[50:51], s[0:1], exec
.LBB193_106:
	s_or_b64 exec, exec, s[48:49]
	s_and_b64 s[48:49], s[52:53], exec
	s_and_b64 s[0:1], s[50:51], exec
.LBB193_107:
	s_or_b64 exec, exec, s[46:47]
	s_and_b64 s[48:49], s[48:49], exec
	s_and_b64 s[46:47], s[0:1], exec
.LBB193_108:
	s_or_b64 exec, exec, s[44:45]
	s_and_b64 s[44:45], s[48:49], exec
	s_and_b64 s[0:1], s[46:47], exec
.LBB193_109:
	s_or_b64 exec, exec, s[42:43]
	s_and_b64 s[44:45], s[44:45], exec
	s_and_b64 s[42:43], s[0:1], exec
.LBB193_110:
	s_or_b64 exec, exec, s[40:41]
	s_and_b64 s[40:41], s[44:45], exec
	s_and_b64 s[0:1], s[42:43], exec
.LBB193_111:
	s_or_b64 exec, exec, s[38:39]
	s_and_b64 s[40:41], s[40:41], exec
	s_and_b64 s[38:39], s[0:1], exec
.LBB193_112:
	s_or_b64 exec, exec, s[36:37]
	s_and_b64 s[36:37], s[40:41], exec
	s_and_b64 s[0:1], s[38:39], exec
.LBB193_113:
	s_or_b64 exec, exec, s[34:35]
	s_and_b64 s[36:37], s[36:37], exec
	s_and_b64 s[34:35], s[0:1], exec
.LBB193_114:
	s_or_b64 exec, exec, s[30:31]
	s_and_b64 s[30:31], s[36:37], exec
	s_and_b64 s[0:1], s[34:35], exec
.LBB193_115:
	s_or_b64 exec, exec, s[28:29]
	s_and_b64 s[30:31], s[30:31], exec
	s_and_b64 s[28:29], s[0:1], exec
.LBB193_116:
	s_or_b64 exec, exec, s[26:27]
	s_and_b64 s[26:27], s[30:31], exec
	s_and_b64 s[0:1], s[28:29], exec
.LBB193_117:
	s_or_b64 exec, exec, s[24:25]
	s_and_b64 s[26:27], s[26:27], exec
	s_and_b64 s[24:25], s[0:1], exec
.LBB193_118:
	s_or_b64 exec, exec, s[22:23]
	s_and_b64 s[22:23], s[26:27], exec
	s_and_b64 s[0:1], s[24:25], exec
.LBB193_119:
	s_or_b64 exec, exec, s[20:21]
	s_and_b64 s[22:23], s[22:23], exec
	s_and_b64 s[20:21], s[0:1], exec
.LBB193_120:
	s_or_b64 exec, exec, s[18:19]
	s_and_b64 s[18:19], s[22:23], exec
	s_and_b64 s[0:1], s[20:21], exec
.LBB193_121:
	s_or_b64 exec, exec, s[16:17]
	s_and_b64 s[18:19], s[18:19], exec
	s_and_b64 s[16:17], s[0:1], exec
.LBB193_122:
	s_or_b64 exec, exec, s[14:15]
	s_and_b64 s[14:15], s[18:19], exec
	s_and_b64 s[0:1], s[16:17], exec
.LBB193_123:
	s_or_b64 exec, exec, s[12:13]
	s_and_b64 s[14:15], s[14:15], exec
	s_and_b64 s[12:13], s[0:1], exec
.LBB193_124:
	s_or_b64 exec, exec, s[10:11]
	s_and_b64 s[0:1], s[14:15], exec
	s_and_b64 s[10:11], s[12:13], exec
.LBB193_125:
	s_or_b64 exec, exec, s[8:9]
	s_mov_b64 s[8:9], 0
	s_and_b64 vcc, exec, s[6:7]
	v_lshlrev_b32_e32 v54, 2, v0
	s_cbranch_vccnz .LBB193_127
	s_branch .LBB193_135
.LBB193_126:
                                        ; implicit-def: $sgpr0_sgpr1
                                        ; implicit-def: $vgpr3
                                        ; implicit-def: $vgpr10_vgpr11
                                        ; implicit-def: $vgpr12_vgpr13
                                        ; implicit-def: $vgpr14_vgpr15
                                        ; implicit-def: $vgpr16_vgpr17
                                        ; implicit-def: $vgpr18_vgpr19
                                        ; implicit-def: $vgpr20_vgpr21
                                        ; implicit-def: $vgpr22_vgpr23
                                        ; implicit-def: $vgpr24_vgpr25
                                        ; implicit-def: $vgpr26_vgpr27
                                        ; implicit-def: $vgpr28_vgpr29
                                        ; implicit-def: $vgpr30_vgpr31
                                        ; implicit-def: $vgpr32_vgpr33
                                        ; implicit-def: $vgpr34_vgpr35
                                        ; implicit-def: $vgpr36_vgpr37
                                        ; implicit-def: $vgpr38_vgpr39
                                        ; implicit-def: $vgpr40_vgpr41
                                        ; implicit-def: $vgpr42_vgpr43
                                        ; implicit-def: $vgpr44_vgpr45
                                        ; implicit-def: $vgpr46_vgpr47
                                        ; implicit-def: $vgpr48_vgpr49
                                        ; implicit-def: $vgpr50_vgpr51
                                        ; implicit-def: $vgpr52_vgpr53
                                        ; implicit-def: $sgpr8_sgpr9
	s_and_b64 vcc, exec, s[6:7]
	v_lshlrev_b32_e32 v54, 2, v0
	s_cbranch_vccz .LBB193_135
.LBB193_127:
	v_mov_b32_e32 v55, 0
	v_lshl_add_u64 v[2:3], s[68:69], 0, v[54:55]
	v_add_co_u32_e32 v4, vcc, 0x1000, v2
	s_movk_i32 s0, 0x58
	s_nop 0
	v_addc_co_u32_e32 v5, vcc, 0, v3, vcc
	flat_load_dword v8, v[2:3]
	flat_load_dword v9, v[2:3] offset:1024
	s_waitcnt lgkmcnt(0)
	flat_load_dword v10, v[2:3] offset:2048
	flat_load_dword v11, v[2:3] offset:3072
	flat_load_dword v12, v[4:5]
	flat_load_dword v13, v[4:5] offset:1024
	flat_load_dword v14, v[4:5] offset:2048
	;; [unrolled: 1-line block ×3, first 2 shown]
	v_add_co_u32_e32 v4, vcc, 0x2000, v2
	v_mad_u32_u24 v1, v0, s0, v54
	s_nop 0
	v_addc_co_u32_e32 v5, vcc, 0, v3, vcc
	v_add_co_u32_e32 v6, vcc, 0x3000, v2
	s_cmp_eq_u64 s[80:81], 0
	s_nop 0
	v_addc_co_u32_e32 v7, vcc, 0, v3, vcc
	flat_load_dword v16, v[4:5]
	flat_load_dword v17, v[4:5] offset:1024
	flat_load_dword v18, v[4:5] offset:2048
	;; [unrolled: 1-line block ×3, first 2 shown]
	flat_load_dword v20, v[6:7]
	flat_load_dword v21, v[6:7] offset:1024
	flat_load_dword v22, v[6:7] offset:2048
	;; [unrolled: 1-line block ×3, first 2 shown]
	v_add_co_u32_e32 v4, vcc, 0x4000, v2
	s_nop 1
	v_addc_co_u32_e32 v5, vcc, 0, v3, vcc
	v_add_co_u32_e32 v2, vcc, 0x5000, v2
	s_nop 1
	v_addc_co_u32_e32 v3, vcc, 0, v3, vcc
	flat_load_dword v6, v[4:5]
	flat_load_dword v7, v[4:5] offset:1024
	flat_load_dword v24, v[4:5] offset:2048
	;; [unrolled: 1-line block ×3, first 2 shown]
	flat_load_dword v26, v[2:3]
	flat_load_dword v27, v[2:3] offset:1024
	flat_load_dword v28, v[2:3] offset:2048
	s_waitcnt vmcnt(0)
	ds_write2st64_b32 v54, v8, v9 offset1:4
	s_waitcnt lgkmcnt(0)
	ds_write2st64_b32 v54, v10, v11 offset0:8 offset1:12
	ds_write2st64_b32 v54, v12, v13 offset0:16 offset1:20
	;; [unrolled: 1-line block ×10, first 2 shown]
	ds_write_b32 v54, v28 offset:22528
	s_waitcnt lgkmcnt(0)
	s_barrier
	ds_read2_b32 v[2:3], v1 offset1:1
	ds_read2_b32 v[18:19], v1 offset0:2 offset1:3
	ds_read2_b32 v[22:23], v1 offset0:4 offset1:5
	;; [unrolled: 1-line block ×10, first 2 shown]
	ds_read_b32 v10, v1 offset:88
	s_cbranch_scc1 .LBB193_132
; %bb.128:
	s_andn2_b64 vcc, exec, s[78:79]
	s_cbranch_vccnz .LBB193_298
; %bb.129:
	s_lshl_b64 s[0:1], s[80:81], 2
	s_add_u32 s0, s70, s0
	s_addc_u32 s1, s71, s1
	s_add_u32 s0, s0, -4
	s_addc_u32 s1, s1, -1
	s_cbranch_execnz .LBB193_131
.LBB193_130:
	s_add_u32 s0, s68, -4
	s_addc_u32 s1, s69, -1
.LBB193_131:
	s_mov_b64 s[68:69], s[0:1]
.LBB193_132:
	v_mov_b64_e32 v[12:13], s[68:69]
	flat_load_dword v11, v[12:13]
	s_movk_i32 s0, 0xffa8
	v_mad_i32_i24 v12, v0, s0, v1
	s_waitcnt lgkmcnt(0)
	ds_write_b32 v12, v10 offset:23552
	s_waitcnt lgkmcnt(0)
	s_barrier
	s_and_saveexec_b64 s[0:1], s[4:5]
	s_cbranch_execz .LBB193_134
; %bb.133:
	s_waitcnt vmcnt(0)
	v_mul_i32_i24_e32 v11, 0xffffffa8, v0
	v_add_u32_e32 v11, v1, v11
	ds_read_b32 v11, v11 offset:23548
.LBB193_134:
	s_or_b64 exec, exec, s[0:1]
	v_mov_b32_e32 v55, 0
	v_lshl_add_u64 v[12:13], s[60:61], 0, v[54:55]
	s_movk_i32 s0, 0x1000
	v_add_co_u32_e32 v14, vcc, s0, v12
	s_movk_i32 s0, 0x2000
	s_nop 0
	v_addc_co_u32_e32 v15, vcc, 0, v13, vcc
	s_waitcnt lgkmcnt(0)
	s_barrier
	flat_load_dword v20, v[12:13]
	flat_load_dword v21, v[12:13] offset:1024
	flat_load_dword v24, v[12:13] offset:2048
	;; [unrolled: 1-line block ×3, first 2 shown]
	flat_load_dword v28, v[14:15]
	flat_load_dword v29, v[14:15] offset:1024
	flat_load_dword v32, v[14:15] offset:2048
	;; [unrolled: 1-line block ×3, first 2 shown]
	v_add_co_u32_e32 v14, vcc, s0, v12
	s_movk_i32 s0, 0x3000
	s_nop 0
	v_addc_co_u32_e32 v15, vcc, 0, v13, vcc
	v_add_co_u32_e32 v16, vcc, s0, v12
	s_movk_i32 s0, 0x4000
	s_nop 0
	v_addc_co_u32_e32 v17, vcc, 0, v13, vcc
	flat_load_dword v36, v[14:15]
	flat_load_dword v37, v[14:15] offset:1024
	flat_load_dword v40, v[14:15] offset:2048
	;; [unrolled: 1-line block ×3, first 2 shown]
	flat_load_dword v44, v[16:17]
	flat_load_dword v45, v[16:17] offset:1024
	flat_load_dword v46, v[16:17] offset:2048
	;; [unrolled: 1-line block ×3, first 2 shown]
	v_add_co_u32_e32 v14, vcc, s0, v12
	s_movk_i32 s0, 0x5000
	s_nop 0
	v_addc_co_u32_e32 v15, vcc, 0, v13, vcc
	v_add_co_u32_e32 v12, vcc, s0, v12
	v_cmp_ne_u32_e64 s[0:1], v5, v10
	s_nop 0
	v_addc_co_u32_e32 v13, vcc, 0, v13, vcc
	flat_load_dword v16, v[14:15]
	flat_load_dword v17, v[14:15] offset:1024
	flat_load_dword v48, v[14:15] offset:2048
	;; [unrolled: 1-line block ×3, first 2 shown]
	flat_load_dword v50, v[12:13]
	flat_load_dword v51, v[12:13] offset:1024
	flat_load_dword v52, v[12:13] offset:2048
	s_waitcnt vmcnt(0)
	v_cmp_ne_u32_e32 vcc, v11, v2
	s_mov_b64 s[10:11], -1
                                        ; implicit-def: $sgpr8_sgpr9
	s_waitcnt lgkmcnt(0)
	ds_write2st64_b32 v54, v20, v21 offset1:4
	ds_write2st64_b32 v54, v24, v25 offset0:8 offset1:12
	ds_write2st64_b32 v54, v28, v29 offset0:16 offset1:20
	;; [unrolled: 1-line block ×10, first 2 shown]
	ds_write_b32 v54, v52 offset:22528
	v_cndmask_b32_e64 v11, 0, 1, vcc
	v_cmp_ne_u32_e32 vcc, v2, v3
	s_waitcnt lgkmcnt(0)
	s_barrier
	v_cndmask_b32_e64 v13, 0, 1, vcc
	v_cmp_ne_u32_e32 vcc, v3, v18
	ds_read2_b32 v[16:17], v1 offset1:1
	ds_read2_b32 v[20:21], v1 offset0:2 offset1:3
	ds_read2_b32 v[24:25], v1 offset0:4 offset1:5
	;; [unrolled: 1-line block ×10, first 2 shown]
	ds_read_b32 v3, v1 offset:88
	v_cndmask_b32_e64 v15, 0, 1, vcc
	v_cmp_ne_u32_e32 vcc, v18, v19
	s_waitcnt lgkmcnt(11)
	v_mov_b32_e32 v12, v17
	v_mov_b32_e32 v10, v16
	v_cndmask_b32_e64 v17, 0, 1, vcc
	v_cmp_ne_u32_e32 vcc, v19, v22
	s_waitcnt lgkmcnt(10)
	v_mov_b32_e32 v16, v21
	v_mov_b32_e32 v14, v20
	v_cndmask_b32_e64 v19, 0, 1, vcc
	v_cmp_ne_u32_e32 vcc, v22, v23
	s_waitcnt lgkmcnt(9)
	v_mov_b32_e32 v20, v25
	v_mov_b32_e32 v18, v24
	v_cndmask_b32_e64 v21, 0, 1, vcc
	v_cmp_ne_u32_e32 vcc, v23, v26
	s_waitcnt lgkmcnt(8)
	v_mov_b32_e32 v24, v29
	v_mov_b32_e32 v22, v28
	v_cndmask_b32_e64 v23, 0, 1, vcc
	v_cmp_ne_u32_e32 vcc, v26, v27
	s_waitcnt lgkmcnt(7)
	v_mov_b32_e32 v28, v33
	v_mov_b32_e32 v26, v32
	v_cndmask_b32_e64 v25, 0, 1, vcc
	v_cmp_ne_u32_e32 vcc, v27, v30
	s_waitcnt lgkmcnt(6)
	v_mov_b32_e32 v32, v37
	s_waitcnt lgkmcnt(2)
	v_mov_b32_e32 v48, v51
	v_cndmask_b32_e64 v27, 0, 1, vcc
	v_cmp_ne_u32_e32 vcc, v30, v31
	v_mov_b32_e32 v30, v36
	v_mov_b32_e32 v36, v41
	v_cndmask_b32_e64 v29, 0, 1, vcc
	v_cmp_ne_u32_e32 vcc, v31, v34
	s_waitcnt lgkmcnt(1)
	v_mov_b32_e32 v52, v57
	v_cndmask_b32_e64 v31, 0, 1, vcc
	v_cmp_ne_u32_e32 vcc, v34, v35
	v_mov_b32_e32 v34, v40
	v_mov_b32_e32 v40, v45
	v_cndmask_b32_e64 v33, 0, 1, vcc
	v_cmp_ne_u32_e32 vcc, v35, v38
	s_nop 1
	v_cndmask_b32_e64 v35, 0, 1, vcc
	v_cmp_ne_u32_e32 vcc, v38, v39
	v_mov_b32_e32 v38, v44
	v_mov_b32_e32 v44, v47
	v_cndmask_b32_e64 v37, 0, 1, vcc
	v_cmp_ne_u32_e32 vcc, v39, v42
	s_nop 1
	v_cndmask_b32_e64 v39, 0, 1, vcc
	v_cmp_ne_u32_e32 vcc, v42, v43
	v_mov_b32_e32 v42, v46
	v_mov_b32_e32 v46, v50
	v_cndmask_b32_e64 v41, 0, 1, vcc
	v_cmp_ne_u32_e32 vcc, v43, v8
	v_mov_b32_e32 v50, v56
	s_nop 0
	v_cndmask_b32_e64 v43, 0, 1, vcc
	v_cmp_ne_u32_e32 vcc, v8, v9
	s_nop 1
	v_cndmask_b32_e64 v45, 0, 1, vcc
	v_cmp_ne_u32_e32 vcc, v9, v6
	;; [unrolled: 3-line block ×5, first 2 shown]
	s_nop 1
	v_cndmask_b32_e64 v53, 0, 1, vcc
.LBB193_135:
	v_mov_b64_e32 v[56:57], s[8:9]
	s_and_saveexec_b64 s[6:7], s[10:11]
	s_cbranch_execz .LBB193_137
; %bb.136:
	v_cndmask_b32_e64 v57, 0, 1, s[0:1]
	s_waitcnt lgkmcnt(0)
	v_mov_b32_e32 v56, v3
.LBB193_137:
	s_or_b64 exec, exec, s[6:7]
	s_mov_b32 s0, 0
	s_cmp_lg_u32 s75, 0
	v_or_b32_e32 v55, v57, v53
	v_lshrrev_b32_e32 v1, 5, v0
	v_cmp_gt_u32_e32 vcc, 64, v0
	s_waitcnt lgkmcnt(0)
	s_barrier
	s_cbranch_scc0 .LBB193_200
; %bb.138:
	s_mov_b32 s1, 1
	v_cmp_gt_u64_e64 s[6:7], s[0:1], v[12:13]
	v_cmp_gt_u64_e64 s[8:9], s[0:1], v[14:15]
	v_cmp_gt_u64_e64 s[10:11], s[0:1], v[16:17]
	v_cndmask_b32_e64 v2, 1, v10, s[6:7]
	v_mul_lo_u32 v2, v2, v12
	v_cndmask_b32_e64 v2, 1, v2, s[8:9]
	v_mul_lo_u32 v2, v2, v14
	v_cndmask_b32_e64 v2, 1, v2, s[10:11]
	v_mul_lo_u32 v2, v2, v16
	v_cmp_gt_u64_e64 s[12:13], s[0:1], v[18:19]
	v_cmp_gt_u64_e64 s[14:15], s[0:1], v[20:21]
	v_cmp_gt_u64_e64 s[16:17], s[0:1], v[22:23]
	v_cndmask_b32_e64 v2, 1, v2, s[12:13]
	v_mul_lo_u32 v2, v2, v18
	v_cndmask_b32_e64 v2, 1, v2, s[14:15]
	v_mul_lo_u32 v2, v2, v20
	v_cndmask_b32_e64 v2, 1, v2, s[16:17]
	v_mul_lo_u32 v2, v2, v22
	;; [unrolled: 9-line block ×7, first 2 shown]
	v_cmp_gt_u64_e64 s[50:51], s[0:1], v[56:57]
	v_mov_b32_e32 v6, 0
	s_nop 0
	v_cndmask_b32_e64 v2, 1, v2, s[50:51]
	v_mul_lo_u32 v59, v2, v56
	v_or3_b32 v2, v55, v51, v49
	v_or3_b32 v2, v2, v47, v45
	;; [unrolled: 1-line block ×10, first 2 shown]
	v_and_b32_e32 v2, 1, v2
	v_cmp_eq_u32_e64 s[0:1], 1, v2
	v_add_lshl_u32 v2, v1, v0, 3
	s_nop 0
	v_cndmask_b32_e64 v64, v11, 1, s[0:1]
	ds_write_b32 v2, v59
	ds_write_b8 v2, v64 offset:4
	s_waitcnt lgkmcnt(0)
	s_barrier
	s_and_saveexec_b64 s[52:53], vcc
	s_cbranch_execz .LBB193_152
; %bb.139:
	v_lshrrev_b32_e32 v2, 3, v0
	v_add_lshl_u32 v4, v2, v54, 3
	ds_read2_b32 v[8:9], v4 offset0:2 offset1:4
	ds_read_b64 v[2:3], v4
	ds_read_u8 v7, v4 offset:12
	ds_read_u8 v58, v4 offset:20
	ds_read_b32 v60, v4 offset:24
	ds_read_u8 v61, v4 offset:28
	s_waitcnt lgkmcnt(4)
	v_and_b32_e32 v5, 1, v3
	s_waitcnt lgkmcnt(3)
	v_cmp_eq_u16_sdwa s[0:1], v7, v6 src0_sel:BYTE_0 src1_sel:DWORD
	s_nop 1
	v_cndmask_b32_e64 v62, 1, v2, s[0:1]
	v_mul_lo_u32 v8, v62, v8
	s_waitcnt lgkmcnt(2)
	v_cmp_eq_u16_sdwa s[0:1], v58, v6 src0_sel:BYTE_0 src1_sel:DWORD
	s_nop 1
	v_cndmask_b32_e64 v6, 1, v8, s[0:1]
	s_waitcnt lgkmcnt(0)
	v_or_b32_e32 v8, v61, v58
	v_or_b32_e32 v7, v8, v7
	v_mul_lo_u32 v6, v6, v9
	v_cmp_eq_u16_e64 s[0:1], 0, v61
	v_and_b32_e32 v7, 1, v7
	v_mbcnt_lo_u32_b32 v8, -1, 0
	v_cndmask_b32_e64 v6, 1, v6, s[0:1]
	v_cmp_eq_u32_e64 s[0:1], 1, v7
	v_and_b32_e32 v7, 0xffffff00, v3
	v_mbcnt_hi_u32_b32 v8, -1, v8
	v_cndmask_b32_e64 v9, v5, 1, s[0:1]
	v_mul_lo_u32 v6, v6, v60
	v_and_b32_e32 v60, 15, v8
	v_or_b32_sdwa v58, v7, v9 dst_sel:DWORD dst_unused:UNUSED_PAD src0_sel:DWORD src1_sel:WORD_0
	v_mov_b32_dpp v62, v6 row_shr:1 row_mask:0xf bank_mask:0xf
	v_cmp_ne_u32_e64 s[0:1], 0, v60
	v_mov_b32_dpp v61, v58 row_shr:1 row_mask:0xf bank_mask:0xf
	s_and_saveexec_b64 s[60:61], s[0:1]
; %bb.140:
	v_cmp_eq_u16_e64 s[0:1], 0, v9
	v_and_b32_e32 v9, 1, v9
	s_nop 0
	v_cndmask_b32_e64 v58, 1, v62, s[0:1]
	v_mul_lo_u32 v6, v58, v6
	v_and_b32_e32 v58, 1, v61
	v_cmp_eq_u32_e64 s[0:1], 1, v9
	s_nop 1
	v_cndmask_b32_e64 v9, v58, 1, s[0:1]
	v_or_b32_sdwa v58, v7, v9 dst_sel:DWORD dst_unused:UNUSED_PAD src0_sel:DWORD src1_sel:WORD_0
; %bb.141:
	s_or_b64 exec, exec, s[60:61]
	v_mov_b32_dpp v62, v6 row_shr:2 row_mask:0xf bank_mask:0xf
	v_mov_b32_dpp v61, v58 row_shr:2 row_mask:0xf bank_mask:0xf
	v_cmp_lt_u32_e64 s[0:1], 1, v60
	s_and_saveexec_b64 s[60:61], s[0:1]
; %bb.142:
	v_cmp_eq_u16_e64 s[0:1], 0, v9
	v_and_b32_e32 v9, 1, v9
	s_nop 0
	v_cndmask_b32_e64 v58, 1, v62, s[0:1]
	v_mul_lo_u32 v6, v58, v6
	v_and_b32_e32 v58, 1, v61
	v_cmp_eq_u32_e64 s[0:1], 1, v9
	s_nop 1
	v_cndmask_b32_e64 v9, v58, 1, s[0:1]
	v_or_b32_sdwa v58, v7, v9 dst_sel:DWORD dst_unused:UNUSED_PAD src0_sel:DWORD src1_sel:WORD_0
; %bb.143:
	s_or_b64 exec, exec, s[60:61]
	v_mov_b32_dpp v62, v6 row_shr:4 row_mask:0xf bank_mask:0xf
	v_mov_b32_dpp v61, v58 row_shr:4 row_mask:0xf bank_mask:0xf
	v_cmp_lt_u32_e64 s[0:1], 3, v60
	;; [unrolled: 17-line block ×3, first 2 shown]
	s_and_saveexec_b64 s[60:61], s[0:1]
; %bb.146:
	v_cmp_eq_u16_e64 s[0:1], 0, v9
	v_and_b32_e32 v9, 1, v9
	s_nop 0
	v_cndmask_b32_e64 v58, 1, v62, s[0:1]
	v_mul_lo_u32 v6, v58, v6
	v_and_b32_e32 v58, 1, v61
	v_cmp_eq_u32_e64 s[0:1], 1, v9
	s_nop 1
	v_cndmask_b32_e64 v9, v58, 1, s[0:1]
	v_or_b32_sdwa v58, v7, v9 dst_sel:DWORD dst_unused:UNUSED_PAD src0_sel:DWORD src1_sel:WORD_0
; %bb.147:
	s_or_b64 exec, exec, s[60:61]
	v_and_b32_e32 v62, 16, v8
	v_mov_b32_dpp v61, v6 row_bcast:15 row_mask:0xf bank_mask:0xf
	v_mov_b32_dpp v60, v58 row_bcast:15 row_mask:0xf bank_mask:0xf
	v_cmp_ne_u32_e64 s[0:1], 0, v62
	s_and_saveexec_b64 s[60:61], s[0:1]
; %bb.148:
	v_cmp_eq_u16_e64 s[0:1], 0, v9
	v_and_b32_e32 v9, 1, v9
	s_nop 0
	v_cndmask_b32_e64 v58, 1, v61, s[0:1]
	v_mul_lo_u32 v6, v58, v6
	v_and_b32_e32 v58, 1, v60
	v_cmp_eq_u32_e64 s[0:1], 1, v9
	s_nop 1
	v_cndmask_b32_e64 v9, v58, 1, s[0:1]
	v_or_b32_sdwa v58, v7, v9 dst_sel:DWORD dst_unused:UNUSED_PAD src0_sel:DWORD src1_sel:WORD_0
; %bb.149:
	s_or_b64 exec, exec, s[60:61]
	v_mov_b32_dpp v60, v6 row_bcast:31 row_mask:0xf bank_mask:0xf
	v_mov_b32_dpp v58, v58 row_bcast:31 row_mask:0xf bank_mask:0xf
	v_cmp_lt_u32_e64 s[0:1], 31, v8
	s_and_saveexec_b64 s[60:61], s[0:1]
; %bb.150:
	v_cmp_eq_u16_e64 s[0:1], 0, v9
	v_and_b32_e32 v9, 1, v9
	v_and_b32_e32 v58, 1, v58
	v_cndmask_b32_e64 v60, 1, v60, s[0:1]
	v_cmp_eq_u32_e64 s[0:1], 1, v9
	v_mul_lo_u32 v6, v60, v6
	s_nop 0
	v_cndmask_b32_e64 v9, v58, 1, s[0:1]
; %bb.151:
	s_or_b64 exec, exec, s[60:61]
	v_add_u32_e32 v58, -1, v8
	v_and_b32_e32 v60, 64, v8
	v_cmp_lt_i32_e64 s[0:1], v58, v60
	v_or_b32_sdwa v7, v7, v9 dst_sel:DWORD dst_unused:UNUSED_PAD src0_sel:DWORD src1_sel:WORD_0
	s_nop 0
	v_cndmask_b32_e64 v8, v58, v8, s[0:1]
	v_lshlrev_b32_e32 v8, 2, v8
	ds_bpermute_b32 v6, v8, v6
	ds_bpermute_b32 v7, v8, v7
	v_mov_b32_e32 v8, 0
	v_cmp_eq_u16_sdwa s[0:1], v3, v8 src0_sel:BYTE_0 src1_sel:DWORD
	; wave barrier
	s_waitcnt lgkmcnt(1)
	s_nop 0
	v_cndmask_b32_e64 v3, 1, v6, s[0:1]
	v_mul_lo_u32 v2, v3, v2
	s_waitcnt lgkmcnt(0)
	v_and_b32_e32 v3, 1, v7
	v_cmp_eq_u32_e64 s[0:1], 1, v5
	v_cndmask_b32_e64 v5, v2, v59, s[54:55]
	s_nop 0
	v_cndmask_b32_e64 v3, v3, 1, s[0:1]
	v_cndmask_b32_e64 v6, v3, v64, s[54:55]
	ds_write_b32 v4, v5
	ds_write_b8 v4, v6 offset:4
	; wave barrier
	ds_read_u8 v7, v4 offset:12
	ds_read2_b32 v[2:3], v4 offset0:2 offset1:4
	ds_read_u8 v8, v4 offset:20
	ds_read_b32 v9, v4 offset:24
	ds_read_u8 v58, v4 offset:28
	s_waitcnt lgkmcnt(4)
	v_cmp_eq_u16_e64 s[0:1], 0, v7
	s_nop 1
	v_cndmask_b32_e64 v5, 1, v5, s[0:1]
	s_waitcnt lgkmcnt(3)
	v_mul_lo_u32 v2, v5, v2
	v_and_b32_e32 v5, 1, v7
	v_cmp_eq_u32_e64 s[0:1], 1, v5
	s_nop 1
	v_cndmask_b32_e64 v5, v6, 1, s[0:1]
	s_waitcnt lgkmcnt(2)
	v_cmp_eq_u16_e64 s[0:1], 0, v8
	ds_write_b8 v4, v5 offset:12
	s_nop 0
	v_cndmask_b32_e64 v6, 1, v2, s[0:1]
	v_mul_lo_u32 v3, v6, v3
	v_and_b32_e32 v6, 1, v8
	v_cmp_eq_u32_e64 s[0:1], 1, v6
	s_nop 1
	v_cndmask_b32_e64 v5, v5, 1, s[0:1]
	s_waitcnt lgkmcnt(1)
	v_cmp_eq_u16_e64 s[0:1], 0, v58
	ds_write2_b32 v4, v2, v3 offset0:2 offset1:4
	ds_write_b8 v4, v5 offset:20
	v_cndmask_b32_e64 v2, 1, v3, s[0:1]
	v_and_b32_e32 v3, 1, v58
	v_mul_lo_u32 v2, v2, v9
	v_cmp_eq_u32_e64 s[0:1], 1, v3
	s_nop 1
	v_cndmask_b32_e64 v3, v5, 1, s[0:1]
	ds_write_b32 v4, v2 offset:24
	ds_write_b8 v4, v3 offset:28
.LBB193_152:
	s_or_b64 exec, exec, s[52:53]
	v_mov_b32_e32 v58, v11
	s_waitcnt lgkmcnt(0)
	s_barrier
	s_and_saveexec_b64 s[0:1], s[4:5]
	s_cbranch_execz .LBB193_154
; %bb.153:
	v_add_u32_e32 v2, -1, v0
	v_lshrrev_b32_e32 v3, 5, v2
	v_add_lshl_u32 v2, v3, v2, 3
	ds_read_b32 v59, v2
	ds_read_u8 v64, v2 offset:4
.LBB193_154:
	s_or_b64 exec, exec, s[0:1]
	s_and_saveexec_b64 s[0:1], vcc
	s_cbranch_execz .LBB193_197
; %bb.155:
	v_mov_b32_e32 v5, 0
	ds_read_b64 v[2:3], v5 offset:2096
	v_mbcnt_lo_u32_b32 v4, -1, 0
	v_mbcnt_hi_u32_b32 v61, -1, v4
	s_mov_b32 s65, 0
	v_cmp_eq_u32_e64 s[52:53], 0, v61
	s_waitcnt lgkmcnt(0)
	v_readfirstlane_b32 s70, v3
	s_and_saveexec_b64 s[60:61], s[52:53]
	s_cbranch_execz .LBB193_157
; %bb.156:
	s_add_i32 s64, s75, 64
	s_lshl_b64 s[68:69], s[64:65], 4
	s_add_u32 s68, s72, s68
	s_addc_u32 s69, s73, s69
	s_and_b32 s79, s70, 0xff000000
	s_mov_b32 s78, s65
	s_and_b32 s81, s70, 0xff0000
	s_mov_b32 s80, s65
	s_or_b64 s[78:79], s[80:81], s[78:79]
	s_and_b32 s81, s70, 0xff00
	s_or_b64 s[78:79], s[78:79], s[80:81]
	s_and_b32 s81, s70, 0xff
	s_or_b64 s[64:65], s[78:79], s[80:81]
	v_mov_b32_e32 v3, s65
	v_mov_b32_e32 v4, 1
	v_mov_b64_e32 v[6:7], s[68:69]
	;;#ASMSTART
	global_store_dwordx4 v[6:7], v[2:5] off sc1	
s_waitcnt vmcnt(0)
	;;#ASMEND
.LBB193_157:
	s_or_b64 exec, exec, s[60:61]
	v_xad_u32 v60, v61, -1, s75
	v_add_u32_e32 v4, 64, v60
	v_lshl_add_u64 v[62:63], v[4:5], 4, s[72:73]
	;;#ASMSTART
	global_load_dwordx4 v[6:9], v[62:63] off sc1	
s_waitcnt vmcnt(0)
	;;#ASMEND
	s_nop 0
	v_and_b32_e32 v3, 0xff0000, v6
	v_and_b32_e32 v4, 0xff000000, v6
	;; [unrolled: 1-line block ×3, first 2 shown]
	v_or_b32_sdwa v3, v6, v3 dst_sel:DWORD dst_unused:UNUSED_PAD src0_sel:WORD_0 src1_sel:DWORD
	v_or3_b32 v7, 0, 0, v7
	v_or3_b32 v6, v3, v4, 0
	v_cmp_eq_u16_sdwa s[64:65], v8, v5 src0_sel:BYTE_0 src1_sel:DWORD
	s_and_saveexec_b64 s[60:61], s[64:65]
	s_cbranch_execz .LBB193_161
; %bb.158:
	s_mov_b64 s[64:65], 0
	v_mov_b32_e32 v3, 0
.LBB193_159:                            ; =>This Inner Loop Header: Depth=1
	;;#ASMSTART
	global_load_dwordx4 v[6:9], v[62:63] off sc1	
s_waitcnt vmcnt(0)
	;;#ASMEND
	s_nop 0
	v_cmp_ne_u16_sdwa s[68:69], v8, v3 src0_sel:BYTE_0 src1_sel:DWORD
	s_or_b64 s[64:65], s[68:69], s[64:65]
	s_andn2_b64 exec, exec, s[64:65]
	s_cbranch_execnz .LBB193_159
; %bb.160:
	s_or_b64 exec, exec, s[64:65]
	v_and_b32_e32 v7, 0xff, v7
.LBB193_161:
	s_or_b64 exec, exec, s[60:61]
	v_mov_b32_e32 v3, 2
	v_cmp_eq_u16_sdwa s[60:61], v8, v3 src0_sel:BYTE_0 src1_sel:DWORD
	v_lshlrev_b64 v[4:5], v61, -1
	s_mov_b32 s64, 0
	v_and_b32_e32 v3, s61, v5
	v_or_b32_e32 v3, 0x80000000, v3
	v_ffbl_b32_e32 v3, v3
	v_add_u32_e32 v62, 32, v3
	v_and_b32_e32 v3, 63, v61
	v_cmp_ne_u32_e32 vcc, 63, v3
	v_and_b32_e32 v9, s60, v4
	v_ffbl_b32_e32 v9, v9
	v_addc_co_u32_e32 v63, vcc, 0, v61, vcc
	v_lshlrev_b32_e32 v65, 2, v63
	ds_bpermute_b32 v66, v65, v6
	ds_bpermute_b32 v63, v65, v7
	v_min_u32_e32 v9, v9, v62
	v_cmp_lt_u32_e32 vcc, v3, v9
	v_mov_b32_e32 v62, v7
	s_and_saveexec_b64 s[60:61], vcc
	s_cbranch_execz .LBB193_163
; %bb.162:
	s_mov_b32 s65, 1
	v_cmp_gt_u64_e32 vcc, s[64:65], v[6:7]
	v_and_b32_e32 v7, 1, v7
	s_waitcnt lgkmcnt(1)
	v_cndmask_b32_e32 v62, 1, v66, vcc
	v_mul_lo_u32 v6, v62, v6
	s_waitcnt lgkmcnt(0)
	v_and_b32_e32 v62, 1, v63
	v_cmp_eq_u32_e32 vcc, 1, v7
	s_nop 1
	v_cndmask_b32_e64 v7, v62, 1, vcc
	v_and_b32_e32 v62, 0xffff, v7
.LBB193_163:
	s_or_b64 exec, exec, s[60:61]
	v_cmp_gt_u32_e32 vcc, 62, v3
	v_add_u32_e32 v67, 2, v3
	s_waitcnt lgkmcnt(0)
	v_cndmask_b32_e64 v63, 0, 1, vcc
	v_lshlrev_b32_e32 v63, 1, v63
	v_add_lshl_u32 v66, v63, v61, 2
	ds_bpermute_b32 v68, v66, v6
	ds_bpermute_b32 v63, v66, v62
	v_cmp_le_u32_e32 vcc, v67, v9
	s_and_saveexec_b64 s[60:61], vcc
	s_cbranch_execz .LBB193_165
; %bb.164:
	v_cmp_eq_u16_e32 vcc, 0, v7
	v_and_b32_e32 v7, 1, v7
	s_waitcnt lgkmcnt(1)
	v_cndmask_b32_e32 v62, 1, v68, vcc
	v_mul_lo_u32 v6, v62, v6
	s_waitcnt lgkmcnt(0)
	v_and_b32_e32 v62, 1, v63
	v_cmp_eq_u32_e32 vcc, 1, v7
	s_nop 1
	v_cndmask_b32_e64 v7, v62, 1, vcc
	v_and_b32_e32 v62, 0xffff, v7
.LBB193_165:
	s_or_b64 exec, exec, s[60:61]
	v_cmp_gt_u32_e32 vcc, 60, v3
	v_add_u32_e32 v69, 4, v3
	s_waitcnt lgkmcnt(0)
	v_cndmask_b32_e64 v63, 0, 1, vcc
	v_lshlrev_b32_e32 v63, 2, v63
	v_add_lshl_u32 v68, v63, v61, 2
	ds_bpermute_b32 v70, v68, v6
	ds_bpermute_b32 v63, v68, v62
	v_cmp_le_u32_e32 vcc, v69, v9
	s_and_saveexec_b64 s[60:61], vcc
	s_cbranch_execz .LBB193_167
; %bb.166:
	v_cmp_eq_u16_e32 vcc, 0, v7
	v_and_b32_e32 v7, 1, v7
	s_waitcnt lgkmcnt(1)
	v_cndmask_b32_e32 v62, 1, v70, vcc
	v_mul_lo_u32 v6, v62, v6
	s_waitcnt lgkmcnt(0)
	v_and_b32_e32 v62, 1, v63
	v_cmp_eq_u32_e32 vcc, 1, v7
	s_nop 1
	v_cndmask_b32_e64 v7, v62, 1, vcc
	v_and_b32_e32 v62, 0xffff, v7
.LBB193_167:
	;; [unrolled: 25-line block ×4, first 2 shown]
	s_or_b64 exec, exec, s[60:61]
	v_cmp_gt_u32_e32 vcc, 32, v3
	v_add_u32_e32 v76, 32, v3
	s_waitcnt lgkmcnt(0)
	v_cndmask_b32_e64 v63, 0, 1, vcc
	v_lshlrev_b32_e32 v63, 5, v63
	v_add_lshl_u32 v75, v63, v61, 2
	ds_bpermute_b32 v63, v75, v6
	ds_bpermute_b32 v61, v75, v62
	v_cmp_le_u32_e32 vcc, v76, v9
	s_and_saveexec_b64 s[60:61], vcc
	s_cbranch_execz .LBB193_173
; %bb.172:
	v_cmp_eq_u16_e32 vcc, 0, v7
	v_and_b32_e32 v7, 1, v7
	s_waitcnt lgkmcnt(1)
	v_cndmask_b32_e32 v9, 1, v63, vcc
	v_mul_lo_u32 v6, v9, v6
	s_waitcnt lgkmcnt(0)
	v_and_b32_e32 v9, 1, v61
	v_cmp_eq_u32_e32 vcc, 1, v7
	s_nop 1
	v_cndmask_b32_e64 v7, v9, 1, vcc
.LBB193_173:
	s_or_b64 exec, exec, s[60:61]
	s_mov_b32 s60, 0
	s_mov_b32 s61, 1
	s_waitcnt lgkmcnt(0)
	v_mov_b32_e32 v61, 0
	v_mov_b32_e32 v78, 2
	s_branch .LBB193_175
.LBB193_174:                            ;   in Loop: Header=BB193_175 Depth=1
	s_or_b64 exec, exec, s[64:65]
	v_cmp_eq_u16_sdwa vcc, v74, v61 src0_sel:BYTE_0 src1_sel:DWORD
	v_and_b32_e32 v9, 1, v74
	v_and_b32_e32 v7, 1, v7
	v_cndmask_b32_e32 v6, 1, v6, vcc
	v_cmp_eq_u32_e32 vcc, 1, v9
	v_subrev_u32_e32 v60, 64, v60
	v_mul_lo_u32 v6, v6, v77
	v_cndmask_b32_e64 v7, v7, 1, vcc
.LBB193_175:                            ; =>This Loop Header: Depth=1
                                        ;     Child Loop BB193_178 Depth 2
	v_cmp_ne_u16_sdwa s[64:65], v8, v78 src0_sel:BYTE_0 src1_sel:DWORD
	v_mov_b32_e32 v74, v7
	v_mov_b32_e32 v77, v6
	v_cndmask_b32_e64 v7, 0, 1, s[64:65]
	;;#ASMSTART
	;;#ASMEND
	s_nop 0
	v_cmp_ne_u32_e32 vcc, 0, v7
	s_cmp_lg_u64 vcc, exec
	s_cbranch_scc1 .LBB193_192
; %bb.176:                              ;   in Loop: Header=BB193_175 Depth=1
	s_waitcnt lgkmcnt(0)
	v_lshl_add_u64 v[62:63], v[60:61], 4, s[72:73]
	;;#ASMSTART
	global_load_dwordx4 v[6:9], v[62:63] off sc1	
s_waitcnt vmcnt(0)
	;;#ASMEND
	s_nop 0
	v_and_b32_e32 v9, 0xff0000, v6
	v_and_b32_e32 v79, 0xff000000, v6
	;; [unrolled: 1-line block ×3, first 2 shown]
	v_or_b32_sdwa v6, v6, v9 dst_sel:DWORD dst_unused:UNUSED_PAD src0_sel:WORD_0 src1_sel:DWORD
	v_or3_b32 v7, 0, 0, v7
	v_or3_b32 v6, v6, v79, 0
	v_cmp_eq_u16_sdwa s[68:69], v8, v61 src0_sel:BYTE_0 src1_sel:DWORD
	s_and_saveexec_b64 s[64:65], s[68:69]
	s_cbranch_execz .LBB193_180
; %bb.177:                              ;   in Loop: Header=BB193_175 Depth=1
	s_mov_b64 s[68:69], 0
.LBB193_178:                            ;   Parent Loop BB193_175 Depth=1
                                        ; =>  This Inner Loop Header: Depth=2
	;;#ASMSTART
	global_load_dwordx4 v[6:9], v[62:63] off sc1	
s_waitcnt vmcnt(0)
	;;#ASMEND
	s_nop 0
	v_cmp_ne_u16_sdwa s[78:79], v8, v61 src0_sel:BYTE_0 src1_sel:DWORD
	s_or_b64 s[68:69], s[78:79], s[68:69]
	s_andn2_b64 exec, exec, s[68:69]
	s_cbranch_execnz .LBB193_178
; %bb.179:                              ;   in Loop: Header=BB193_175 Depth=1
	s_or_b64 exec, exec, s[68:69]
	v_and_b32_e32 v7, 0xff, v7
.LBB193_180:                            ;   in Loop: Header=BB193_175 Depth=1
	s_or_b64 exec, exec, s[64:65]
	v_cmp_eq_u16_sdwa s[64:65], v8, v78 src0_sel:BYTE_0 src1_sel:DWORD
	ds_bpermute_b32 v79, v65, v6
	ds_bpermute_b32 v63, v65, v7
	v_and_b32_e32 v9, s65, v5
	v_or_b32_e32 v9, 0x80000000, v9
	v_and_b32_e32 v62, s64, v4
	v_ffbl_b32_e32 v9, v9
	v_add_u32_e32 v9, 32, v9
	v_ffbl_b32_e32 v62, v62
	v_min_u32_e32 v9, v62, v9
	v_cmp_lt_u32_e32 vcc, v3, v9
	v_mov_b32_e32 v62, v7
	s_and_saveexec_b64 s[64:65], vcc
	s_cbranch_execz .LBB193_182
; %bb.181:                              ;   in Loop: Header=BB193_175 Depth=1
	v_cmp_gt_u64_e32 vcc, s[60:61], v[6:7]
	v_and_b32_e32 v7, 1, v7
	s_waitcnt lgkmcnt(1)
	v_cndmask_b32_e32 v62, 1, v79, vcc
	v_mul_lo_u32 v6, v62, v6
	s_waitcnt lgkmcnt(0)
	v_and_b32_e32 v62, 1, v63
	v_cmp_eq_u32_e32 vcc, 1, v7
	s_nop 1
	v_cndmask_b32_e64 v7, v62, 1, vcc
	v_and_b32_e32 v62, 0xffff, v7
.LBB193_182:                            ;   in Loop: Header=BB193_175 Depth=1
	s_or_b64 exec, exec, s[64:65]
	s_waitcnt lgkmcnt(1)
	ds_bpermute_b32 v79, v66, v6
	s_waitcnt lgkmcnt(1)
	ds_bpermute_b32 v63, v66, v62
	v_cmp_le_u32_e32 vcc, v67, v9
	s_and_saveexec_b64 s[64:65], vcc
	s_cbranch_execz .LBB193_184
; %bb.183:                              ;   in Loop: Header=BB193_175 Depth=1
	v_cmp_eq_u16_e32 vcc, 0, v7
	v_and_b32_e32 v7, 1, v7
	s_waitcnt lgkmcnt(1)
	v_cndmask_b32_e32 v62, 1, v79, vcc
	v_mul_lo_u32 v6, v62, v6
	s_waitcnt lgkmcnt(0)
	v_and_b32_e32 v62, 1, v63
	v_cmp_eq_u32_e32 vcc, 1, v7
	s_nop 1
	v_cndmask_b32_e64 v7, v62, 1, vcc
	v_and_b32_e32 v62, 0xffff, v7
.LBB193_184:                            ;   in Loop: Header=BB193_175 Depth=1
	s_or_b64 exec, exec, s[64:65]
	s_waitcnt lgkmcnt(1)
	ds_bpermute_b32 v79, v68, v6
	s_waitcnt lgkmcnt(1)
	ds_bpermute_b32 v63, v68, v62
	v_cmp_le_u32_e32 vcc, v69, v9
	s_and_saveexec_b64 s[64:65], vcc
	s_cbranch_execz .LBB193_186
; %bb.185:                              ;   in Loop: Header=BB193_175 Depth=1
	v_cmp_eq_u16_e32 vcc, 0, v7
	v_and_b32_e32 v7, 1, v7
	s_waitcnt lgkmcnt(1)
	v_cndmask_b32_e32 v62, 1, v79, vcc
	v_mul_lo_u32 v6, v62, v6
	s_waitcnt lgkmcnt(0)
	v_and_b32_e32 v62, 1, v63
	v_cmp_eq_u32_e32 vcc, 1, v7
	s_nop 1
	v_cndmask_b32_e64 v7, v62, 1, vcc
	v_and_b32_e32 v62, 0xffff, v7
.LBB193_186:                            ;   in Loop: Header=BB193_175 Depth=1
	;; [unrolled: 21-line block ×4, first 2 shown]
	s_or_b64 exec, exec, s[64:65]
	s_waitcnt lgkmcnt(0)
	ds_bpermute_b32 v63, v75, v6
	ds_bpermute_b32 v62, v75, v62
	v_cmp_le_u32_e32 vcc, v76, v9
	s_and_saveexec_b64 s[64:65], vcc
	s_cbranch_execz .LBB193_174
; %bb.191:                              ;   in Loop: Header=BB193_175 Depth=1
	v_cmp_eq_u16_e32 vcc, 0, v7
	v_and_b32_e32 v7, 1, v7
	s_waitcnt lgkmcnt(1)
	v_cndmask_b32_e32 v9, 1, v63, vcc
	v_cmp_eq_u32_e32 vcc, 1, v7
	v_mul_lo_u32 v6, v9, v6
	s_waitcnt lgkmcnt(0)
	v_cndmask_b32_e64 v7, v62, 1, vcc
	s_branch .LBB193_174
.LBB193_192:                            ;   in Loop: Header=BB193_175 Depth=1
                                        ; implicit-def: $vgpr7
	s_cbranch_execz .LBB193_175
; %bb.193:
	s_and_saveexec_b64 s[60:61], s[52:53]
	s_cbranch_execz .LBB193_195
; %bb.194:
	s_and_b32 s52, s70, 0xff
	s_cmp_eq_u32 s52, 0
	s_cselect_b64 vcc, -1, 0
	s_bitcmp1_b32 s70, 0
	s_mov_b32 s53, 0
	s_cselect_b64 s[64:65], -1, 0
	s_add_i32 s52, s75, 64
	s_lshl_b64 s[52:53], s[52:53], 4
	v_cndmask_b32_e32 v3, 1, v77, vcc
	s_add_u32 s52, s72, s52
	v_mul_lo_u32 v2, v3, v2
	v_and_b32_e32 v3, 1, v74
	s_addc_u32 s53, s73, s53
	v_cndmask_b32_e64 v3, v3, 1, s[64:65]
	v_mov_b32_e32 v4, 2
	v_mov_b32_e32 v5, 0
	v_mov_b64_e32 v[6:7], s[52:53]
	;;#ASMSTART
	global_store_dwordx4 v[6:7], v[2:5] off sc1	
s_waitcnt vmcnt(0)
	;;#ASMEND
.LBB193_195:
	s_or_b64 exec, exec, s[60:61]
	s_and_b64 exec, exec, s[54:55]
	s_cbranch_execz .LBB193_197
; %bb.196:
	v_mov_b32_e32 v2, 0
	ds_write_b32 v2, v77
	ds_write_b8 v2, v74 offset:4
.LBB193_197:
	s_or_b64 exec, exec, s[0:1]
	v_mov_b32_e32 v2, 0
	s_waitcnt lgkmcnt(0)
	s_barrier
	ds_read_b32 v3, v2
	v_mov_b32_e32 v4, v10
	s_and_saveexec_b64 s[0:1], s[4:5]
; %bb.198:
	v_and_b32_e32 v4, 1, v11
	s_mov_b32 s52, 0
	s_mov_b32 s53, 1
	v_and_b32_e32 v5, 1, v64
	v_cmp_eq_u32_e32 vcc, 1, v4
	s_nop 1
	v_cndmask_b32_e64 v58, v5, 1, vcc
	v_cmp_gt_u64_e32 vcc, s[52:53], v[10:11]
	s_nop 1
	v_cndmask_b32_e32 v4, 1, v59, vcc
	v_mul_lo_u32 v4, v4, v10
; %bb.199:
	s_or_b64 exec, exec, s[0:1]
	v_cmp_eq_u16_sdwa vcc, v58, v2 src0_sel:BYTE_0 src1_sel:DWORD
	s_waitcnt lgkmcnt(0)
	s_nop 0
	v_cndmask_b32_e32 v2, 1, v3, vcc
	v_mul_lo_u32 v80, v2, v4
	v_cndmask_b32_e64 v2, 1, v80, s[6:7]
	v_mul_lo_u32 v58, v2, v12
	v_cndmask_b32_e64 v2, 1, v58, s[8:9]
	;; [unrolled: 2-line block ×22, first 2 shown]
	v_mul_lo_u32 v79, v2, v56
	s_branch .LBB193_222
.LBB193_200:
                                        ; implicit-def: $vgpr78
                                        ; implicit-def: $vgpr77
                                        ; implicit-def: $vgpr76
                                        ; implicit-def: $vgpr75
                                        ; implicit-def: $vgpr74
                                        ; implicit-def: $vgpr73
                                        ; implicit-def: $vgpr72
                                        ; implicit-def: $vgpr71
                                        ; implicit-def: $vgpr70
                                        ; implicit-def: $vgpr69
                                        ; implicit-def: $vgpr68
                                        ; implicit-def: $vgpr67
                                        ; implicit-def: $vgpr66
                                        ; implicit-def: $vgpr65
                                        ; implicit-def: $vgpr64
                                        ; implicit-def: $vgpr63
                                        ; implicit-def: $vgpr62
                                        ; implicit-def: $vgpr61
                                        ; implicit-def: $vgpr60
                                        ; implicit-def: $vgpr59
                                        ; implicit-def: $vgpr58
                                        ; implicit-def: $vgpr80
                                        ; implicit-def: $vgpr79
	s_cbranch_execz .LBB193_222
; %bb.201:
	s_cmp_lg_u64 s[76:77], 0
	s_cselect_b32 s9, s67, 0
	s_cselect_b32 s8, s66, 0
	s_cmp_lg_u64 s[8:9], 0
	s_cselect_b64 s[6:7], -1, 0
	s_mov_b32 s0, 0
	s_and_b64 s[10:11], s[54:55], s[6:7]
	s_and_saveexec_b64 s[6:7], s[10:11]
	s_cbranch_execz .LBB193_203
; %bb.202:
	v_mov_b32_e32 v2, 0
	global_load_dword v4, v2, s[8:9]
	global_load_ubyte v5, v2, s[8:9] offset:4
	s_mov_b32 s1, 1
	v_and_b32_e32 v3, 1, v11
	v_cmp_gt_u64_e32 vcc, s[0:1], v[10:11]
	s_waitcnt vmcnt(0)
	v_and_b32_e32 v5, 1, v5
	v_cndmask_b32_e32 v4, 1, v4, vcc
	v_cmp_eq_u64_e32 vcc, 0, v[2:3]
	v_mul_lo_u32 v10, v4, v10
	s_nop 0
	v_cndmask_b32_e32 v11, 1, v5, vcc
.LBB193_203:
	s_or_b64 exec, exec, s[6:7]
	s_mov_b32 s1, 1
	v_cmp_gt_u64_e32 vcc, s[0:1], v[12:13]
	v_cmp_gt_u64_e64 s[6:7], s[0:1], v[14:15]
	v_cmp_gt_u64_e64 s[8:9], s[0:1], v[16:17]
	v_cndmask_b32_e32 v2, 1, v10, vcc
	v_mul_lo_u32 v58, v2, v12
	v_cndmask_b32_e64 v2, 1, v58, s[6:7]
	v_mul_lo_u32 v59, v2, v14
	v_cndmask_b32_e64 v2, 1, v59, s[8:9]
	v_mul_lo_u32 v60, v2, v16
	v_cmp_gt_u64_e64 s[10:11], s[0:1], v[18:19]
	v_cmp_gt_u64_e64 s[12:13], s[0:1], v[20:21]
	v_cmp_gt_u64_e64 s[14:15], s[0:1], v[22:23]
	v_cndmask_b32_e64 v2, 1, v60, s[10:11]
	v_mul_lo_u32 v61, v2, v18
	v_cndmask_b32_e64 v2, 1, v61, s[12:13]
	v_mul_lo_u32 v62, v2, v20
	v_cndmask_b32_e64 v2, 1, v62, s[14:15]
	v_mul_lo_u32 v63, v2, v22
	v_cmp_gt_u64_e64 s[16:17], s[0:1], v[24:25]
	v_cmp_gt_u64_e64 s[18:19], s[0:1], v[26:27]
	v_cmp_gt_u64_e64 s[20:21], s[0:1], v[28:29]
	v_cndmask_b32_e64 v2, 1, v63, s[16:17]
	v_mul_lo_u32 v64, v2, v24
	v_cndmask_b32_e64 v2, 1, v64, s[18:19]
	v_mul_lo_u32 v65, v2, v26
	v_cndmask_b32_e64 v2, 1, v65, s[20:21]
	v_mul_lo_u32 v66, v2, v28
	v_cmp_gt_u64_e64 s[22:23], s[0:1], v[30:31]
	v_cmp_gt_u64_e64 s[24:25], s[0:1], v[32:33]
	v_cmp_gt_u64_e64 s[26:27], s[0:1], v[34:35]
	v_cndmask_b32_e64 v2, 1, v66, s[22:23]
	v_mul_lo_u32 v67, v2, v30
	v_cndmask_b32_e64 v2, 1, v67, s[24:25]
	v_mul_lo_u32 v68, v2, v32
	v_cndmask_b32_e64 v2, 1, v68, s[26:27]
	v_mul_lo_u32 v69, v2, v34
	v_cmp_gt_u64_e64 s[28:29], s[0:1], v[36:37]
	v_cmp_gt_u64_e64 s[30:31], s[0:1], v[38:39]
	v_cmp_gt_u64_e64 s[34:35], s[0:1], v[40:41]
	v_cndmask_b32_e64 v2, 1, v69, s[28:29]
	v_mul_lo_u32 v70, v2, v36
	v_cndmask_b32_e64 v2, 1, v70, s[30:31]
	v_mul_lo_u32 v71, v2, v38
	v_cndmask_b32_e64 v2, 1, v71, s[34:35]
	v_mul_lo_u32 v72, v2, v40
	v_cmp_gt_u64_e64 s[36:37], s[0:1], v[42:43]
	v_cmp_gt_u64_e64 s[38:39], s[0:1], v[44:45]
	v_cmp_gt_u64_e64 s[40:41], s[0:1], v[46:47]
	v_cndmask_b32_e64 v2, 1, v72, s[36:37]
	v_mul_lo_u32 v73, v2, v42
	v_cndmask_b32_e64 v2, 1, v73, s[38:39]
	v_mul_lo_u32 v74, v2, v44
	v_cndmask_b32_e64 v2, 1, v74, s[40:41]
	v_mul_lo_u32 v75, v2, v46
	v_cmp_gt_u64_e64 s[42:43], s[0:1], v[48:49]
	v_cmp_gt_u64_e64 s[44:45], s[0:1], v[50:51]
	v_cmp_gt_u64_e64 s[46:47], s[0:1], v[52:53]
	v_cndmask_b32_e64 v2, 1, v75, s[42:43]
	v_mul_lo_u32 v76, v2, v48
	v_cndmask_b32_e64 v2, 1, v76, s[44:45]
	v_mul_lo_u32 v77, v2, v50
	v_cndmask_b32_e64 v2, 1, v77, s[46:47]
	v_mul_lo_u32 v78, v2, v52
	v_cmp_gt_u64_e64 s[48:49], s[0:1], v[56:57]
	v_add_lshl_u32 v1, v1, v0, 3
	s_nop 0
	v_cndmask_b32_e64 v2, 1, v78, s[48:49]
	v_mul_lo_u32 v79, v2, v56
	v_or3_b32 v2, v55, v51, v49
	v_or3_b32 v2, v2, v47, v45
	;; [unrolled: 1-line block ×10, first 2 shown]
	v_and_b32_e32 v2, 1, v2
	v_cmp_eq_u32_e64 s[0:1], 1, v2
	s_nop 1
	v_cndmask_b32_e64 v4, v11, 1, s[0:1]
	v_cmp_gt_u32_e64 s[0:1], 64, v0
	ds_write_b32 v1, v79
	ds_write_b8 v1, v4 offset:4
	s_waitcnt lgkmcnt(0)
	s_barrier
	s_and_saveexec_b64 s[50:51], s[0:1]
	s_cbranch_execz .LBB193_217
; %bb.204:
	v_lshrrev_b32_e32 v1, 3, v0
	v_add_lshl_u32 v1, v1, v54, 3
	ds_read2_b32 v[6:7], v1 offset0:2 offset1:4
	ds_read_b64 v[2:3], v1
	ds_read_u8 v8, v1 offset:12
	ds_read_u8 v9, v1 offset:20
	ds_read_b32 v13, v1 offset:24
	ds_read_u8 v15, v1 offset:28
	v_mov_b32_e32 v17, 0
	s_waitcnt lgkmcnt(3)
	v_cmp_eq_u16_sdwa s[0:1], v8, v17 src0_sel:BYTE_0 src1_sel:DWORD
	v_and_b32_e32 v5, 1, v3
	s_nop 0
	v_cndmask_b32_e64 v19, 1, v2, s[0:1]
	v_mul_lo_u32 v6, v19, v6
	s_waitcnt lgkmcnt(2)
	v_cmp_eq_u16_sdwa s[0:1], v9, v17 src0_sel:BYTE_0 src1_sel:DWORD
	s_nop 1
	v_cndmask_b32_e64 v6, 1, v6, s[0:1]
	v_mul_lo_u32 v6, v6, v7
	s_waitcnt lgkmcnt(0)
	v_or_b32_e32 v7, v15, v9
	v_or_b32_e32 v7, v7, v8
	v_cmp_eq_u16_e64 s[0:1], 0, v15
	v_and_b32_e32 v7, 1, v7
	v_mbcnt_lo_u32_b32 v8, -1, 0
	v_cndmask_b32_e64 v6, 1, v6, s[0:1]
	v_cmp_eq_u32_e64 s[0:1], 1, v7
	v_and_b32_e32 v7, 0xffffff00, v3
	v_mbcnt_hi_u32_b32 v8, -1, v8
	v_cndmask_b32_e64 v9, v5, 1, s[0:1]
	v_mul_lo_u32 v6, v6, v13
	v_and_b32_e32 v15, 15, v8
	v_or_b32_sdwa v13, v7, v9 dst_sel:DWORD dst_unused:UNUSED_PAD src0_sel:DWORD src1_sel:WORD_0
	v_mov_b32_dpp v19, v6 row_shr:1 row_mask:0xf bank_mask:0xf
	v_cmp_ne_u32_e64 s[0:1], 0, v15
	v_mov_b32_dpp v17, v13 row_shr:1 row_mask:0xf bank_mask:0xf
	s_and_saveexec_b64 s[52:53], s[0:1]
; %bb.205:
	v_cmp_eq_u16_e64 s[0:1], 0, v9
	v_and_b32_e32 v9, 1, v9
	s_nop 0
	v_cndmask_b32_e64 v13, 1, v19, s[0:1]
	v_mul_lo_u32 v6, v13, v6
	v_and_b32_e32 v13, 1, v17
	v_cmp_eq_u32_e64 s[0:1], 1, v9
	s_nop 1
	v_cndmask_b32_e64 v9, v13, 1, s[0:1]
	v_or_b32_sdwa v13, v7, v9 dst_sel:DWORD dst_unused:UNUSED_PAD src0_sel:DWORD src1_sel:WORD_0
; %bb.206:
	s_or_b64 exec, exec, s[52:53]
	v_mov_b32_dpp v19, v6 row_shr:2 row_mask:0xf bank_mask:0xf
	v_mov_b32_dpp v17, v13 row_shr:2 row_mask:0xf bank_mask:0xf
	v_cmp_lt_u32_e64 s[0:1], 1, v15
	s_and_saveexec_b64 s[52:53], s[0:1]
; %bb.207:
	v_cmp_eq_u16_e64 s[0:1], 0, v9
	v_and_b32_e32 v9, 1, v9
	s_nop 0
	v_cndmask_b32_e64 v13, 1, v19, s[0:1]
	v_mul_lo_u32 v6, v13, v6
	v_and_b32_e32 v13, 1, v17
	v_cmp_eq_u32_e64 s[0:1], 1, v9
	s_nop 1
	v_cndmask_b32_e64 v9, v13, 1, s[0:1]
	v_or_b32_sdwa v13, v7, v9 dst_sel:DWORD dst_unused:UNUSED_PAD src0_sel:DWORD src1_sel:WORD_0
; %bb.208:
	s_or_b64 exec, exec, s[52:53]
	v_mov_b32_dpp v19, v6 row_shr:4 row_mask:0xf bank_mask:0xf
	v_mov_b32_dpp v17, v13 row_shr:4 row_mask:0xf bank_mask:0xf
	v_cmp_lt_u32_e64 s[0:1], 3, v15
	;; [unrolled: 17-line block ×3, first 2 shown]
	s_and_saveexec_b64 s[52:53], s[0:1]
; %bb.211:
	v_cmp_eq_u16_e64 s[0:1], 0, v9
	v_and_b32_e32 v9, 1, v9
	s_nop 0
	v_cndmask_b32_e64 v13, 1, v19, s[0:1]
	v_mul_lo_u32 v6, v13, v6
	v_and_b32_e32 v13, 1, v17
	v_cmp_eq_u32_e64 s[0:1], 1, v9
	s_nop 1
	v_cndmask_b32_e64 v9, v13, 1, s[0:1]
	v_or_b32_sdwa v13, v7, v9 dst_sel:DWORD dst_unused:UNUSED_PAD src0_sel:DWORD src1_sel:WORD_0
; %bb.212:
	s_or_b64 exec, exec, s[52:53]
	v_and_b32_e32 v19, 16, v8
	v_mov_b32_dpp v17, v6 row_bcast:15 row_mask:0xf bank_mask:0xf
	v_mov_b32_dpp v15, v13 row_bcast:15 row_mask:0xf bank_mask:0xf
	v_cmp_ne_u32_e64 s[0:1], 0, v19
	s_and_saveexec_b64 s[52:53], s[0:1]
; %bb.213:
	v_cmp_eq_u16_e64 s[0:1], 0, v9
	v_and_b32_e32 v9, 1, v9
	s_nop 0
	v_cndmask_b32_e64 v13, 1, v17, s[0:1]
	v_mul_lo_u32 v6, v13, v6
	v_and_b32_e32 v13, 1, v15
	v_cmp_eq_u32_e64 s[0:1], 1, v9
	s_nop 1
	v_cndmask_b32_e64 v9, v13, 1, s[0:1]
	v_or_b32_sdwa v13, v7, v9 dst_sel:DWORD dst_unused:UNUSED_PAD src0_sel:DWORD src1_sel:WORD_0
; %bb.214:
	s_or_b64 exec, exec, s[52:53]
	v_mov_b32_dpp v15, v6 row_bcast:31 row_mask:0xf bank_mask:0xf
	v_mov_b32_dpp v13, v13 row_bcast:31 row_mask:0xf bank_mask:0xf
	v_cmp_lt_u32_e64 s[0:1], 31, v8
	s_and_saveexec_b64 s[52:53], s[0:1]
; %bb.215:
	v_cmp_eq_u16_e64 s[0:1], 0, v9
	v_and_b32_e32 v9, 1, v9
	v_and_b32_e32 v13, 1, v13
	v_cndmask_b32_e64 v15, 1, v15, s[0:1]
	v_cmp_eq_u32_e64 s[0:1], 1, v9
	v_mul_lo_u32 v6, v15, v6
	s_nop 0
	v_cndmask_b32_e64 v9, v13, 1, s[0:1]
; %bb.216:
	s_or_b64 exec, exec, s[52:53]
	v_add_u32_e32 v13, -1, v8
	v_and_b32_e32 v15, 64, v8
	v_cmp_lt_i32_e64 s[0:1], v13, v15
	v_or_b32_sdwa v7, v7, v9 dst_sel:DWORD dst_unused:UNUSED_PAD src0_sel:DWORD src1_sel:WORD_0
	s_nop 0
	v_cndmask_b32_e64 v8, v13, v8, s[0:1]
	v_lshlrev_b32_e32 v8, 2, v8
	ds_bpermute_b32 v6, v8, v6
	ds_bpermute_b32 v7, v8, v7
	v_mov_b32_e32 v8, 0
	v_cmp_eq_u16_sdwa s[0:1], v3, v8 src0_sel:BYTE_0 src1_sel:DWORD
	; wave barrier
	s_waitcnt lgkmcnt(1)
	s_nop 0
	v_cndmask_b32_e64 v3, 1, v6, s[0:1]
	v_mul_lo_u32 v2, v3, v2
	s_waitcnt lgkmcnt(0)
	v_and_b32_e32 v3, 1, v7
	v_cmp_eq_u32_e64 s[0:1], 1, v5
	v_cndmask_b32_e64 v5, v2, v79, s[54:55]
	s_nop 0
	v_cndmask_b32_e64 v3, v3, 1, s[0:1]
	v_cndmask_b32_e64 v4, v3, v4, s[54:55]
	ds_write_b32 v1, v5
	ds_write_b8 v1, v4 offset:4
	; wave barrier
	ds_read_u8 v6, v1 offset:12
	ds_read2_b32 v[2:3], v1 offset0:2 offset1:4
	ds_read_u8 v7, v1 offset:20
	ds_read_b32 v8, v1 offset:24
	ds_read_u8 v9, v1 offset:28
	s_waitcnt lgkmcnt(4)
	v_cmp_eq_u16_e64 s[0:1], 0, v6
	s_nop 1
	v_cndmask_b32_e64 v5, 1, v5, s[0:1]
	s_waitcnt lgkmcnt(3)
	v_mul_lo_u32 v2, v5, v2
	v_and_b32_e32 v5, 1, v6
	v_cmp_eq_u32_e64 s[0:1], 1, v5
	s_nop 1
	v_cndmask_b32_e64 v4, v4, 1, s[0:1]
	s_waitcnt lgkmcnt(2)
	v_cmp_eq_u16_e64 s[0:1], 0, v7
	ds_write_b8 v1, v4 offset:12
	s_nop 0
	v_cndmask_b32_e64 v5, 1, v2, s[0:1]
	v_mul_lo_u32 v3, v5, v3
	v_and_b32_e32 v5, 1, v7
	v_cmp_eq_u32_e64 s[0:1], 1, v5
	s_nop 1
	v_cndmask_b32_e64 v4, v4, 1, s[0:1]
	s_waitcnt lgkmcnt(1)
	v_cmp_eq_u16_e64 s[0:1], 0, v9
	ds_write2_b32 v1, v2, v3 offset0:2 offset1:4
	ds_write_b8 v1, v4 offset:20
	v_cndmask_b32_e64 v2, 1, v3, s[0:1]
	v_and_b32_e32 v3, 1, v9
	v_mul_lo_u32 v2, v2, v8
	v_cmp_eq_u32_e64 s[0:1], 1, v3
	s_nop 1
	v_cndmask_b32_e64 v3, v4, 1, s[0:1]
	ds_write_b32 v1, v2 offset:24
	ds_write_b8 v1, v3 offset:28
.LBB193_217:
	s_or_b64 exec, exec, s[50:51]
	v_mov_b32_e32 v1, v79
	s_waitcnt lgkmcnt(0)
	s_barrier
	s_and_saveexec_b64 s[0:1], s[4:5]
	s_cbranch_execnz .LBB193_295
; %bb.218:
	s_or_b64 exec, exec, s[0:1]
	s_and_saveexec_b64 s[50:51], s[4:5]
	s_cbranch_execnz .LBB193_296
.LBB193_219:
	s_or_b64 exec, exec, s[50:51]
	s_and_saveexec_b64 s[0:1], s[54:55]
	s_cbranch_execz .LBB193_221
.LBB193_220:
	v_mov_b32_e32 v5, 0
	ds_read_b32 v2, v5 offset:2096
	ds_read_u8 v3, v5 offset:2100
	s_add_u32 s4, s72, 0x400
	s_addc_u32 s5, s73, 0
	v_mov_b32_e32 v4, 2
	v_mov_b64_e32 v[6:7], s[4:5]
	s_waitcnt lgkmcnt(0)
	;;#ASMSTART
	global_store_dwordx4 v[6:7], v[2:5] off sc1	
s_waitcnt vmcnt(0)
	;;#ASMEND
.LBB193_221:
	s_or_b64 exec, exec, s[0:1]
	v_mov_b32_e32 v80, v10
.LBB193_222:
	s_add_u32 s0, s62, s58
	s_addc_u32 s1, s63, s59
	s_add_u32 s0, s0, s56
	s_addc_u32 s1, s1, s57
	s_and_b64 vcc, exec, s[2:3]
	s_cbranch_vccz .LBB193_268
; %bb.223:
	s_movk_i32 s2, 0x5c
	v_mul_i32_i24_e32 v26, 0xffffffa8, v0
	s_waitcnt lgkmcnt(0)
	v_mul_u32_u24_e32 v1, 0x5c, v0
	v_mad_u32_u24 v2, v0, s2, v26
	s_barrier
	ds_write2_b32 v1, v80, v58 offset1:1
	ds_write2_b32 v1, v59, v60 offset0:2 offset1:3
	ds_write2_b32 v1, v61, v62 offset0:4 offset1:5
	;; [unrolled: 1-line block ×10, first 2 shown]
	ds_write_b32 v1, v79 offset:88
	s_waitcnt lgkmcnt(0)
	s_barrier
	ds_read2st64_b32 v[24:25], v2 offset0:4 offset1:8
	ds_read2st64_b32 v[22:23], v2 offset0:12 offset1:16
	ds_read2st64_b32 v[20:21], v2 offset0:20 offset1:24
	ds_read2st64_b32 v[18:19], v2 offset0:28 offset1:32
	ds_read2st64_b32 v[16:17], v2 offset0:36 offset1:40
	ds_read2st64_b32 v[14:15], v2 offset0:44 offset1:48
	ds_read2st64_b32 v[12:13], v2 offset0:52 offset1:56
	ds_read2st64_b32 v[10:11], v2 offset0:60 offset1:64
	ds_read2st64_b32 v[8:9], v2 offset0:68 offset1:72
	ds_read2st64_b32 v[6:7], v2 offset0:76 offset1:80
	ds_read2st64_b32 v[2:3], v2 offset0:84 offset1:88
	s_add_i32 s33, s33, s74
	v_mov_b32_e32 v55, 0
	v_lshl_add_u64 v[4:5], s[0:1], 0, v[54:55]
	v_cmp_gt_u32_e32 vcc, s33, v0
	s_and_saveexec_b64 s[2:3], vcc
	s_cbranch_execz .LBB193_225
; %bb.224:
	v_add_u32_e32 v1, v1, v26
	ds_read_b32 v1, v1
	s_waitcnt lgkmcnt(0)
	flat_store_dword v[4:5], v1
.LBB193_225:
	s_or_b64 exec, exec, s[2:3]
	v_or_b32_e32 v1, 0x100, v0
	v_cmp_gt_u32_e32 vcc, s33, v1
	s_and_saveexec_b64 s[2:3], vcc
	s_cbranch_execz .LBB193_227
; %bb.226:
	s_waitcnt lgkmcnt(0)
	flat_store_dword v[4:5], v24 offset:1024
.LBB193_227:
	s_or_b64 exec, exec, s[2:3]
	v_or_b32_e32 v1, 0x200, v0
	v_cmp_gt_u32_e32 vcc, s33, v1
	s_and_saveexec_b64 s[2:3], vcc
	s_cbranch_execz .LBB193_229
; %bb.228:
	s_waitcnt lgkmcnt(0)
	flat_store_dword v[4:5], v25 offset:2048
.LBB193_229:
	;; [unrolled: 9-line block ×3, first 2 shown]
	s_or_b64 exec, exec, s[2:3]
	v_or_b32_e32 v1, 0x400, v0
	v_cmp_gt_u32_e32 vcc, s33, v1
	s_and_saveexec_b64 s[2:3], vcc
	s_cbranch_execz .LBB193_233
; %bb.232:
	s_waitcnt lgkmcnt(0)
	v_add_co_u32_e32 v24, vcc, 0x1000, v4
	s_nop 1
	v_addc_co_u32_e32 v25, vcc, 0, v5, vcc
	flat_store_dword v[24:25], v23
.LBB193_233:
	s_or_b64 exec, exec, s[2:3]
	v_or_b32_e32 v1, 0x500, v0
	v_cmp_gt_u32_e32 vcc, s33, v1
	s_and_saveexec_b64 s[2:3], vcc
	s_cbranch_execz .LBB193_235
; %bb.234:
	s_waitcnt lgkmcnt(0)
	v_add_co_u32_e32 v22, vcc, 0x1000, v4
	s_nop 1
	v_addc_co_u32_e32 v23, vcc, 0, v5, vcc
	flat_store_dword v[22:23], v20 offset:1024
.LBB193_235:
	s_or_b64 exec, exec, s[2:3]
	v_or_b32_e32 v1, 0x600, v0
	v_cmp_gt_u32_e32 vcc, s33, v1
	s_and_saveexec_b64 s[2:3], vcc
	s_cbranch_execz .LBB193_237
; %bb.236:
	s_waitcnt lgkmcnt(0)
	v_add_co_u32_e32 v22, vcc, 0x1000, v4
	s_nop 1
	v_addc_co_u32_e32 v23, vcc, 0, v5, vcc
	flat_store_dword v[22:23], v21 offset:2048
.LBB193_237:
	s_or_b64 exec, exec, s[2:3]
	v_or_b32_e32 v1, 0x700, v0
	v_cmp_gt_u32_e32 vcc, s33, v1
	s_and_saveexec_b64 s[2:3], vcc
	s_cbranch_execz .LBB193_239
; %bb.238:
	s_waitcnt lgkmcnt(0)
	v_add_co_u32_e32 v20, vcc, 0x1000, v4
	s_nop 1
	v_addc_co_u32_e32 v21, vcc, 0, v5, vcc
	flat_store_dword v[20:21], v18 offset:3072
.LBB193_239:
	s_or_b64 exec, exec, s[2:3]
	v_or_b32_e32 v1, 0x800, v0
	v_cmp_gt_u32_e32 vcc, s33, v1
	s_and_saveexec_b64 s[2:3], vcc
	s_cbranch_execz .LBB193_241
; %bb.240:
	s_waitcnt lgkmcnt(0)
	v_add_co_u32_e32 v20, vcc, 0x2000, v4
	s_nop 1
	v_addc_co_u32_e32 v21, vcc, 0, v5, vcc
	flat_store_dword v[20:21], v19
.LBB193_241:
	s_or_b64 exec, exec, s[2:3]
	v_or_b32_e32 v1, 0x900, v0
	v_cmp_gt_u32_e32 vcc, s33, v1
	s_and_saveexec_b64 s[2:3], vcc
	s_cbranch_execz .LBB193_243
; %bb.242:
	s_waitcnt lgkmcnt(0)
	v_add_co_u32_e32 v18, vcc, 0x2000, v4
	s_nop 1
	v_addc_co_u32_e32 v19, vcc, 0, v5, vcc
	flat_store_dword v[18:19], v16 offset:1024
.LBB193_243:
	s_or_b64 exec, exec, s[2:3]
	v_or_b32_e32 v1, 0xa00, v0
	v_cmp_gt_u32_e32 vcc, s33, v1
	s_and_saveexec_b64 s[2:3], vcc
	s_cbranch_execz .LBB193_245
; %bb.244:
	s_waitcnt lgkmcnt(0)
	v_add_co_u32_e32 v18, vcc, 0x2000, v4
	s_nop 1
	v_addc_co_u32_e32 v19, vcc, 0, v5, vcc
	flat_store_dword v[18:19], v17 offset:2048
.LBB193_245:
	s_or_b64 exec, exec, s[2:3]
	v_or_b32_e32 v1, 0xb00, v0
	v_cmp_gt_u32_e32 vcc, s33, v1
	s_and_saveexec_b64 s[2:3], vcc
	s_cbranch_execz .LBB193_247
; %bb.246:
	s_waitcnt lgkmcnt(0)
	v_add_co_u32_e32 v16, vcc, 0x2000, v4
	s_nop 1
	v_addc_co_u32_e32 v17, vcc, 0, v5, vcc
	flat_store_dword v[16:17], v14 offset:3072
.LBB193_247:
	;; [unrolled: 48-line block ×4, first 2 shown]
	s_or_b64 exec, exec, s[2:3]
	v_or_b32_e32 v1, 0x1400, v0
	v_cmp_gt_u32_e32 vcc, s33, v1
	s_and_saveexec_b64 s[2:3], vcc
	s_cbranch_execz .LBB193_265
; %bb.264:
	s_waitcnt lgkmcnt(0)
	v_add_co_u32_e32 v8, vcc, 0x5000, v4
	s_nop 1
	v_addc_co_u32_e32 v9, vcc, 0, v5, vcc
	flat_store_dword v[8:9], v7
.LBB193_265:
	s_or_b64 exec, exec, s[2:3]
	v_or_b32_e32 v1, 0x1500, v0
	v_cmp_gt_u32_e32 vcc, s33, v1
	s_and_saveexec_b64 s[2:3], vcc
	s_cbranch_execz .LBB193_267
; %bb.266:
	v_add_co_u32_e32 v4, vcc, 0x5000, v4
	s_nop 1
	v_addc_co_u32_e32 v5, vcc, 0, v5, vcc
	s_waitcnt lgkmcnt(0)
	flat_store_dword v[4:5], v2 offset:1024
.LBB193_267:
	s_or_b64 exec, exec, s[2:3]
	s_waitcnt lgkmcnt(0)
	v_or_b32_e32 v2, 0x1600, v0
	v_mov_b32_e32 v1, v55
	v_cmp_gt_u32_e64 s[2:3], s33, v2
	s_branch .LBB193_270
.LBB193_268:
	s_mov_b64 s[2:3], 0
                                        ; implicit-def: $vgpr3
	s_cbranch_execz .LBB193_270
; %bb.269:
	s_waitcnt lgkmcnt(0)
	v_mul_u32_u24_e32 v1, 0x5c, v0
	s_barrier
	s_movk_i32 s4, 0x5c
	ds_write2_b32 v1, v80, v58 offset1:1
	ds_write2_b32 v1, v59, v60 offset0:2 offset1:3
	ds_write2_b32 v1, v61, v62 offset0:4 offset1:5
	;; [unrolled: 1-line block ×10, first 2 shown]
	ds_write_b32 v1, v79 offset:88
	v_mov_b32_e32 v1, 0
	v_mul_i32_i24_e32 v2, 0xffffffa8, v0
	v_mad_u32_u24 v2, v0, s4, v2
	v_mov_b32_e32 v55, v1
	s_waitcnt lgkmcnt(0)
	s_barrier
	ds_read2st64_b32 v[4:5], v2 offset1:4
	ds_read2st64_b32 v[6:7], v2 offset0:8 offset1:12
	ds_read2st64_b32 v[8:9], v2 offset0:16 offset1:20
	;; [unrolled: 1-line block ×10, first 2 shown]
	ds_read_b32 v3, v2 offset:22528
	v_lshl_add_u64 v[26:27], s[0:1], 0, v[54:55]
	s_movk_i32 s4, 0x1000
	s_waitcnt lgkmcnt(0)
	flat_store_dword v[26:27], v4
	flat_store_dword v[26:27], v5 offset:1024
	flat_store_dword v[26:27], v6 offset:2048
	flat_store_dword v[26:27], v7 offset:3072
	v_add_co_u32_e32 v4, vcc, s4, v26
	s_movk_i32 s4, 0x2000
	s_nop 0
	v_addc_co_u32_e32 v5, vcc, 0, v27, vcc
	flat_store_dword v[4:5], v8
	flat_store_dword v[4:5], v9 offset:1024
	flat_store_dword v[4:5], v10 offset:2048
	;; [unrolled: 1-line block ×3, first 2 shown]
	v_add_co_u32_e32 v4, vcc, s4, v26
	s_movk_i32 s4, 0x3000
	s_nop 0
	v_addc_co_u32_e32 v5, vcc, 0, v27, vcc
	flat_store_dword v[4:5], v12
	flat_store_dword v[4:5], v13 offset:1024
	flat_store_dword v[4:5], v14 offset:2048
	flat_store_dword v[4:5], v15 offset:3072
	v_add_co_u32_e32 v4, vcc, s4, v26
	s_or_b64 s[2:3], s[2:3], exec
	s_nop 0
	v_addc_co_u32_e32 v5, vcc, 0, v27, vcc
	flat_store_dword v[4:5], v16
	flat_store_dword v[4:5], v17 offset:1024
	flat_store_dword v[4:5], v18 offset:2048
	;; [unrolled: 1-line block ×3, first 2 shown]
	v_add_co_u32_e32 v4, vcc, 0x4000, v26
	s_nop 1
	v_addc_co_u32_e32 v5, vcc, 0, v27, vcc
	flat_store_dword v[4:5], v20
	flat_store_dword v[4:5], v21 offset:1024
	flat_store_dword v[4:5], v22 offset:2048
	;; [unrolled: 1-line block ×3, first 2 shown]
	v_add_co_u32_e32 v4, vcc, 0x5000, v26
	s_nop 1
	v_addc_co_u32_e32 v5, vcc, 0, v27, vcc
	flat_store_dword v[4:5], v24
	flat_store_dword v[4:5], v25 offset:1024
.LBB193_270:
	s_and_saveexec_b64 s[4:5], s[2:3]
	s_cbranch_execnz .LBB193_272
; %bb.271:
	s_endpgm
.LBB193_272:
	s_waitcnt lgkmcnt(0)
	v_lshl_add_u64 v[0:1], v[0:1], 2, s[0:1]
	v_add_co_u32_e32 v0, vcc, 0x5000, v0
	s_nop 1
	v_addc_co_u32_e32 v1, vcc, 0, v1, vcc
	flat_store_dword v[0:1], v3 offset:2048
	s_endpgm
.LBB193_273:
	v_lshl_add_u64 v[48:49], s[60:61], 0, v[44:45]
	flat_load_dword v48, v[48:49]
	s_or_b64 exec, exec, s[0:1]
                                        ; implicit-def: $vgpr49
	s_and_saveexec_b64 s[0:1], s[8:9]
	s_cbranch_execz .LBB193_59
.LBB193_274:
	v_mov_b32_e32 v45, 0
	v_lshl_add_u64 v[50:51], s[60:61], 0, v[44:45]
	flat_load_dword v49, v[50:51] offset:1024
	s_or_b64 exec, exec, s[0:1]
                                        ; implicit-def: $vgpr50
	s_and_saveexec_b64 s[0:1], s[10:11]
	s_cbranch_execz .LBB193_60
.LBB193_275:
	v_mov_b32_e32 v45, 0
	v_lshl_add_u64 v[50:51], s[60:61], 0, v[44:45]
	flat_load_dword v50, v[50:51] offset:2048
	s_or_b64 exec, exec, s[0:1]
                                        ; implicit-def: $vgpr45
	s_and_saveexec_b64 s[0:1], s[12:13]
	s_cbranch_execz .LBB193_61
.LBB193_276:
	v_mov_b32_e32 v45, 0
	v_lshl_add_u64 v[52:53], s[60:61], 0, v[44:45]
	flat_load_dword v45, v[52:53] offset:3072
	s_or_b64 exec, exec, s[0:1]
                                        ; implicit-def: $vgpr3
	s_and_saveexec_b64 s[0:1], s[14:15]
	s_cbranch_execz .LBB193_62
.LBB193_277:
	v_mov_b32_e32 v3, 0
	v_lshl_add_u64 v[2:3], s[60:61], 0, v[2:3]
	flat_load_dword v3, v[2:3]
	s_or_b64 exec, exec, s[0:1]
                                        ; implicit-def: $vgpr2
	s_and_saveexec_b64 s[0:1], s[16:17]
	s_cbranch_execz .LBB193_63
.LBB193_278:
	v_mov_b32_e32 v11, 0
	v_lshl_add_u64 v[10:11], s[60:61], 0, v[10:11]
	flat_load_dword v2, v[10:11]
	s_or_b64 exec, exec, s[0:1]
                                        ; implicit-def: $vgpr10
	s_and_saveexec_b64 s[0:1], s[18:19]
	s_cbranch_execz .LBB193_64
.LBB193_279:
	v_mov_b32_e32 v13, 0
	v_lshl_add_u64 v[10:11], s[60:61], 0, v[12:13]
	flat_load_dword v10, v[10:11]
	s_or_b64 exec, exec, s[0:1]
                                        ; implicit-def: $vgpr11
	s_and_saveexec_b64 s[0:1], s[20:21]
	s_cbranch_execz .LBB193_65
.LBB193_280:
	v_mov_b32_e32 v15, 0
	v_lshl_add_u64 v[12:13], s[60:61], 0, v[14:15]
	flat_load_dword v11, v[12:13]
	s_or_b64 exec, exec, s[0:1]
                                        ; implicit-def: $vgpr12
	s_and_saveexec_b64 s[0:1], s[22:23]
	s_cbranch_execz .LBB193_66
.LBB193_281:
	v_mov_b32_e32 v17, 0
	v_lshl_add_u64 v[12:13], s[60:61], 0, v[16:17]
	flat_load_dword v12, v[12:13]
	s_or_b64 exec, exec, s[0:1]
                                        ; implicit-def: $vgpr13
	s_and_saveexec_b64 s[0:1], s[24:25]
	s_cbranch_execz .LBB193_67
.LBB193_282:
	v_mov_b32_e32 v19, 0
	v_lshl_add_u64 v[14:15], s[60:61], 0, v[18:19]
	flat_load_dword v13, v[14:15]
	s_or_b64 exec, exec, s[0:1]
                                        ; implicit-def: $vgpr14
	s_and_saveexec_b64 s[0:1], s[26:27]
	s_cbranch_execz .LBB193_68
.LBB193_283:
	v_mov_b32_e32 v21, 0
	v_lshl_add_u64 v[14:15], s[60:61], 0, v[20:21]
	flat_load_dword v14, v[14:15]
	s_or_b64 exec, exec, s[0:1]
                                        ; implicit-def: $vgpr15
	s_and_saveexec_b64 s[0:1], s[28:29]
	s_cbranch_execz .LBB193_69
.LBB193_284:
	v_mov_b32_e32 v23, 0
	v_lshl_add_u64 v[16:17], s[60:61], 0, v[22:23]
	flat_load_dword v15, v[16:17]
	s_or_b64 exec, exec, s[0:1]
                                        ; implicit-def: $vgpr16
	s_and_saveexec_b64 s[0:1], s[30:31]
	s_cbranch_execz .LBB193_70
.LBB193_285:
	v_mov_b32_e32 v25, 0
	v_lshl_add_u64 v[16:17], s[60:61], 0, v[24:25]
	flat_load_dword v16, v[16:17]
	s_or_b64 exec, exec, s[0:1]
                                        ; implicit-def: $vgpr17
	s_and_saveexec_b64 s[0:1], s[34:35]
	s_cbranch_execz .LBB193_71
.LBB193_286:
	v_mov_b32_e32 v27, 0
	v_lshl_add_u64 v[18:19], s[60:61], 0, v[26:27]
	flat_load_dword v17, v[18:19]
	s_or_b64 exec, exec, s[0:1]
                                        ; implicit-def: $vgpr18
	s_and_saveexec_b64 s[0:1], s[36:37]
	s_cbranch_execz .LBB193_72
.LBB193_287:
	v_mov_b32_e32 v29, 0
	v_lshl_add_u64 v[18:19], s[60:61], 0, v[28:29]
	flat_load_dword v18, v[18:19]
	s_or_b64 exec, exec, s[0:1]
                                        ; implicit-def: $vgpr19
	s_and_saveexec_b64 s[0:1], s[38:39]
	s_cbranch_execz .LBB193_73
.LBB193_288:
	v_mov_b32_e32 v31, 0
	v_lshl_add_u64 v[20:21], s[60:61], 0, v[30:31]
	flat_load_dword v19, v[20:21]
	s_or_b64 exec, exec, s[0:1]
                                        ; implicit-def: $vgpr20
	s_and_saveexec_b64 s[0:1], s[40:41]
	s_cbranch_execz .LBB193_74
.LBB193_289:
	v_mov_b32_e32 v33, 0
	v_lshl_add_u64 v[20:21], s[60:61], 0, v[32:33]
	flat_load_dword v20, v[20:21]
	s_or_b64 exec, exec, s[0:1]
                                        ; implicit-def: $vgpr21
	s_and_saveexec_b64 s[0:1], s[42:43]
	s_cbranch_execz .LBB193_75
.LBB193_290:
	v_mov_b32_e32 v35, 0
	v_lshl_add_u64 v[22:23], s[60:61], 0, v[34:35]
	flat_load_dword v21, v[22:23]
	s_or_b64 exec, exec, s[0:1]
                                        ; implicit-def: $vgpr22
	s_and_saveexec_b64 s[0:1], s[44:45]
	s_cbranch_execz .LBB193_76
.LBB193_291:
	v_mov_b32_e32 v37, 0
	v_lshl_add_u64 v[22:23], s[60:61], 0, v[36:37]
	flat_load_dword v22, v[22:23]
	s_or_b64 exec, exec, s[0:1]
                                        ; implicit-def: $vgpr23
	s_and_saveexec_b64 s[0:1], s[46:47]
	s_cbranch_execz .LBB193_77
.LBB193_292:
	v_mov_b32_e32 v39, 0
	v_lshl_add_u64 v[24:25], s[60:61], 0, v[38:39]
	flat_load_dword v23, v[24:25]
	s_or_b64 exec, exec, s[0:1]
                                        ; implicit-def: $vgpr24
	s_and_saveexec_b64 s[0:1], s[48:49]
	s_cbranch_execz .LBB193_78
.LBB193_293:
	v_mov_b32_e32 v41, 0
	v_lshl_add_u64 v[24:25], s[60:61], 0, v[40:41]
	flat_load_dword v24, v[24:25]
	s_or_b64 exec, exec, s[0:1]
                                        ; implicit-def: $vgpr25
	s_and_saveexec_b64 s[0:1], s[50:51]
	s_cbranch_execz .LBB193_79
.LBB193_294:
	v_mov_b32_e32 v43, 0
	v_lshl_add_u64 v[26:27], s[60:61], 0, v[42:43]
	flat_load_dword v25, v[26:27]
	s_or_b64 exec, exec, s[0:1]
                                        ; implicit-def: $vgpr26
	s_and_saveexec_b64 s[0:1], s[52:53]
	s_cbranch_execnz .LBB193_80
	s_branch .LBB193_81
.LBB193_295:
	v_add_u32_e32 v1, -1, v0
	v_lshrrev_b32_e32 v2, 5, v1
	v_add_lshl_u32 v1, v2, v1, 3
	ds_read_b32 v1, v1
	s_or_b64 exec, exec, s[0:1]
	s_and_saveexec_b64 s[50:51], s[4:5]
	s_cbranch_execz .LBB193_219
.LBB193_296:
	v_and_b32_e32 v3, 0xff, v11
	v_mov_b32_e32 v2, 0
	v_cmp_eq_u64_e64 s[0:1], 0, v[2:3]
	;;#ASMSTART
	;;#ASMEND
	s_waitcnt lgkmcnt(0)
	s_nop 0
	v_cndmask_b32_e64 v1, 1, v1, s[0:1]
	v_mul_lo_u32 v10, v1, v10
	v_cndmask_b32_e32 v1, 1, v10, vcc
	v_mul_lo_u32 v58, v1, v12
	v_cndmask_b32_e64 v1, 1, v58, s[6:7]
	v_mul_lo_u32 v59, v1, v14
	v_cndmask_b32_e64 v1, 1, v59, s[8:9]
	;; [unrolled: 2-line block ×21, first 2 shown]
	v_mul_lo_u32 v79, v1, v56
	s_or_b64 exec, exec, s[50:51]
	s_and_saveexec_b64 s[0:1], s[54:55]
	s_cbranch_execnz .LBB193_220
	s_branch .LBB193_221
.LBB193_297:
                                        ; implicit-def: $sgpr0_sgpr1
	s_branch .LBB193_54
.LBB193_298:
                                        ; implicit-def: $sgpr0_sgpr1
	s_branch .LBB193_130
	.section	.rodata,"a",@progbits
	.p2align	6, 0x0
	.amdhsa_kernel _ZN7rocprim17ROCPRIM_400000_NS6detail17trampoline_kernelINS0_14default_configENS1_27scan_by_key_config_selectorIiiEEZZNS1_16scan_by_key_implILNS1_25lookback_scan_determinismE0ELb0ES3_N6thrust23THRUST_200600_302600_NS6detail15normal_iteratorINS9_10device_ptrIiEEEESE_SE_iNS9_10multipliesIiEENS9_8equal_toIiEEiEE10hipError_tPvRmT2_T3_T4_T5_mT6_T7_P12ihipStream_tbENKUlT_T0_E_clISt17integral_constantIbLb0EESY_IbLb1EEEEDaSU_SV_EUlSU_E_NS1_11comp_targetILNS1_3genE5ELNS1_11target_archE942ELNS1_3gpuE9ELNS1_3repE0EEENS1_30default_config_static_selectorELNS0_4arch9wavefront6targetE1EEEvT1_
		.amdhsa_group_segment_fixed_size 25600
		.amdhsa_private_segment_fixed_size 0
		.amdhsa_kernarg_size 112
		.amdhsa_user_sgpr_count 2
		.amdhsa_user_sgpr_dispatch_ptr 0
		.amdhsa_user_sgpr_queue_ptr 0
		.amdhsa_user_sgpr_kernarg_segment_ptr 1
		.amdhsa_user_sgpr_dispatch_id 0
		.amdhsa_user_sgpr_kernarg_preload_length 0
		.amdhsa_user_sgpr_kernarg_preload_offset 0
		.amdhsa_user_sgpr_private_segment_size 0
		.amdhsa_uses_dynamic_stack 0
		.amdhsa_enable_private_segment 0
		.amdhsa_system_sgpr_workgroup_id_x 1
		.amdhsa_system_sgpr_workgroup_id_y 0
		.amdhsa_system_sgpr_workgroup_id_z 0
		.amdhsa_system_sgpr_workgroup_info 0
		.amdhsa_system_vgpr_workitem_id 0
		.amdhsa_next_free_vgpr 81
		.amdhsa_next_free_sgpr 85
		.amdhsa_accum_offset 84
		.amdhsa_reserve_vcc 1
		.amdhsa_float_round_mode_32 0
		.amdhsa_float_round_mode_16_64 0
		.amdhsa_float_denorm_mode_32 3
		.amdhsa_float_denorm_mode_16_64 3
		.amdhsa_dx10_clamp 1
		.amdhsa_ieee_mode 1
		.amdhsa_fp16_overflow 0
		.amdhsa_tg_split 0
		.amdhsa_exception_fp_ieee_invalid_op 0
		.amdhsa_exception_fp_denorm_src 0
		.amdhsa_exception_fp_ieee_div_zero 0
		.amdhsa_exception_fp_ieee_overflow 0
		.amdhsa_exception_fp_ieee_underflow 0
		.amdhsa_exception_fp_ieee_inexact 0
		.amdhsa_exception_int_div_zero 0
	.end_amdhsa_kernel
	.section	.text._ZN7rocprim17ROCPRIM_400000_NS6detail17trampoline_kernelINS0_14default_configENS1_27scan_by_key_config_selectorIiiEEZZNS1_16scan_by_key_implILNS1_25lookback_scan_determinismE0ELb0ES3_N6thrust23THRUST_200600_302600_NS6detail15normal_iteratorINS9_10device_ptrIiEEEESE_SE_iNS9_10multipliesIiEENS9_8equal_toIiEEiEE10hipError_tPvRmT2_T3_T4_T5_mT6_T7_P12ihipStream_tbENKUlT_T0_E_clISt17integral_constantIbLb0EESY_IbLb1EEEEDaSU_SV_EUlSU_E_NS1_11comp_targetILNS1_3genE5ELNS1_11target_archE942ELNS1_3gpuE9ELNS1_3repE0EEENS1_30default_config_static_selectorELNS0_4arch9wavefront6targetE1EEEvT1_,"axG",@progbits,_ZN7rocprim17ROCPRIM_400000_NS6detail17trampoline_kernelINS0_14default_configENS1_27scan_by_key_config_selectorIiiEEZZNS1_16scan_by_key_implILNS1_25lookback_scan_determinismE0ELb0ES3_N6thrust23THRUST_200600_302600_NS6detail15normal_iteratorINS9_10device_ptrIiEEEESE_SE_iNS9_10multipliesIiEENS9_8equal_toIiEEiEE10hipError_tPvRmT2_T3_T4_T5_mT6_T7_P12ihipStream_tbENKUlT_T0_E_clISt17integral_constantIbLb0EESY_IbLb1EEEEDaSU_SV_EUlSU_E_NS1_11comp_targetILNS1_3genE5ELNS1_11target_archE942ELNS1_3gpuE9ELNS1_3repE0EEENS1_30default_config_static_selectorELNS0_4arch9wavefront6targetE1EEEvT1_,comdat
.Lfunc_end193:
	.size	_ZN7rocprim17ROCPRIM_400000_NS6detail17trampoline_kernelINS0_14default_configENS1_27scan_by_key_config_selectorIiiEEZZNS1_16scan_by_key_implILNS1_25lookback_scan_determinismE0ELb0ES3_N6thrust23THRUST_200600_302600_NS6detail15normal_iteratorINS9_10device_ptrIiEEEESE_SE_iNS9_10multipliesIiEENS9_8equal_toIiEEiEE10hipError_tPvRmT2_T3_T4_T5_mT6_T7_P12ihipStream_tbENKUlT_T0_E_clISt17integral_constantIbLb0EESY_IbLb1EEEEDaSU_SV_EUlSU_E_NS1_11comp_targetILNS1_3genE5ELNS1_11target_archE942ELNS1_3gpuE9ELNS1_3repE0EEENS1_30default_config_static_selectorELNS0_4arch9wavefront6targetE1EEEvT1_, .Lfunc_end193-_ZN7rocprim17ROCPRIM_400000_NS6detail17trampoline_kernelINS0_14default_configENS1_27scan_by_key_config_selectorIiiEEZZNS1_16scan_by_key_implILNS1_25lookback_scan_determinismE0ELb0ES3_N6thrust23THRUST_200600_302600_NS6detail15normal_iteratorINS9_10device_ptrIiEEEESE_SE_iNS9_10multipliesIiEENS9_8equal_toIiEEiEE10hipError_tPvRmT2_T3_T4_T5_mT6_T7_P12ihipStream_tbENKUlT_T0_E_clISt17integral_constantIbLb0EESY_IbLb1EEEEDaSU_SV_EUlSU_E_NS1_11comp_targetILNS1_3genE5ELNS1_11target_archE942ELNS1_3gpuE9ELNS1_3repE0EEENS1_30default_config_static_selectorELNS0_4arch9wavefront6targetE1EEEvT1_
                                        ; -- End function
	.section	.AMDGPU.csdata,"",@progbits
; Kernel info:
; codeLenInByte = 15952
; NumSgprs: 91
; NumVgprs: 81
; NumAgprs: 0
; TotalNumVgprs: 81
; ScratchSize: 0
; MemoryBound: 0
; FloatMode: 240
; IeeeMode: 1
; LDSByteSize: 25600 bytes/workgroup (compile time only)
; SGPRBlocks: 11
; VGPRBlocks: 10
; NumSGPRsForWavesPerEU: 91
; NumVGPRsForWavesPerEU: 81
; AccumOffset: 84
; Occupancy: 2
; WaveLimiterHint : 1
; COMPUTE_PGM_RSRC2:SCRATCH_EN: 0
; COMPUTE_PGM_RSRC2:USER_SGPR: 2
; COMPUTE_PGM_RSRC2:TRAP_HANDLER: 0
; COMPUTE_PGM_RSRC2:TGID_X_EN: 1
; COMPUTE_PGM_RSRC2:TGID_Y_EN: 0
; COMPUTE_PGM_RSRC2:TGID_Z_EN: 0
; COMPUTE_PGM_RSRC2:TIDIG_COMP_CNT: 0
; COMPUTE_PGM_RSRC3_GFX90A:ACCUM_OFFSET: 20
; COMPUTE_PGM_RSRC3_GFX90A:TG_SPLIT: 0
	.section	.text._ZN7rocprim17ROCPRIM_400000_NS6detail17trampoline_kernelINS0_14default_configENS1_27scan_by_key_config_selectorIiiEEZZNS1_16scan_by_key_implILNS1_25lookback_scan_determinismE0ELb0ES3_N6thrust23THRUST_200600_302600_NS6detail15normal_iteratorINS9_10device_ptrIiEEEESE_SE_iNS9_10multipliesIiEENS9_8equal_toIiEEiEE10hipError_tPvRmT2_T3_T4_T5_mT6_T7_P12ihipStream_tbENKUlT_T0_E_clISt17integral_constantIbLb0EESY_IbLb1EEEEDaSU_SV_EUlSU_E_NS1_11comp_targetILNS1_3genE4ELNS1_11target_archE910ELNS1_3gpuE8ELNS1_3repE0EEENS1_30default_config_static_selectorELNS0_4arch9wavefront6targetE1EEEvT1_,"axG",@progbits,_ZN7rocprim17ROCPRIM_400000_NS6detail17trampoline_kernelINS0_14default_configENS1_27scan_by_key_config_selectorIiiEEZZNS1_16scan_by_key_implILNS1_25lookback_scan_determinismE0ELb0ES3_N6thrust23THRUST_200600_302600_NS6detail15normal_iteratorINS9_10device_ptrIiEEEESE_SE_iNS9_10multipliesIiEENS9_8equal_toIiEEiEE10hipError_tPvRmT2_T3_T4_T5_mT6_T7_P12ihipStream_tbENKUlT_T0_E_clISt17integral_constantIbLb0EESY_IbLb1EEEEDaSU_SV_EUlSU_E_NS1_11comp_targetILNS1_3genE4ELNS1_11target_archE910ELNS1_3gpuE8ELNS1_3repE0EEENS1_30default_config_static_selectorELNS0_4arch9wavefront6targetE1EEEvT1_,comdat
	.protected	_ZN7rocprim17ROCPRIM_400000_NS6detail17trampoline_kernelINS0_14default_configENS1_27scan_by_key_config_selectorIiiEEZZNS1_16scan_by_key_implILNS1_25lookback_scan_determinismE0ELb0ES3_N6thrust23THRUST_200600_302600_NS6detail15normal_iteratorINS9_10device_ptrIiEEEESE_SE_iNS9_10multipliesIiEENS9_8equal_toIiEEiEE10hipError_tPvRmT2_T3_T4_T5_mT6_T7_P12ihipStream_tbENKUlT_T0_E_clISt17integral_constantIbLb0EESY_IbLb1EEEEDaSU_SV_EUlSU_E_NS1_11comp_targetILNS1_3genE4ELNS1_11target_archE910ELNS1_3gpuE8ELNS1_3repE0EEENS1_30default_config_static_selectorELNS0_4arch9wavefront6targetE1EEEvT1_ ; -- Begin function _ZN7rocprim17ROCPRIM_400000_NS6detail17trampoline_kernelINS0_14default_configENS1_27scan_by_key_config_selectorIiiEEZZNS1_16scan_by_key_implILNS1_25lookback_scan_determinismE0ELb0ES3_N6thrust23THRUST_200600_302600_NS6detail15normal_iteratorINS9_10device_ptrIiEEEESE_SE_iNS9_10multipliesIiEENS9_8equal_toIiEEiEE10hipError_tPvRmT2_T3_T4_T5_mT6_T7_P12ihipStream_tbENKUlT_T0_E_clISt17integral_constantIbLb0EESY_IbLb1EEEEDaSU_SV_EUlSU_E_NS1_11comp_targetILNS1_3genE4ELNS1_11target_archE910ELNS1_3gpuE8ELNS1_3repE0EEENS1_30default_config_static_selectorELNS0_4arch9wavefront6targetE1EEEvT1_
	.globl	_ZN7rocprim17ROCPRIM_400000_NS6detail17trampoline_kernelINS0_14default_configENS1_27scan_by_key_config_selectorIiiEEZZNS1_16scan_by_key_implILNS1_25lookback_scan_determinismE0ELb0ES3_N6thrust23THRUST_200600_302600_NS6detail15normal_iteratorINS9_10device_ptrIiEEEESE_SE_iNS9_10multipliesIiEENS9_8equal_toIiEEiEE10hipError_tPvRmT2_T3_T4_T5_mT6_T7_P12ihipStream_tbENKUlT_T0_E_clISt17integral_constantIbLb0EESY_IbLb1EEEEDaSU_SV_EUlSU_E_NS1_11comp_targetILNS1_3genE4ELNS1_11target_archE910ELNS1_3gpuE8ELNS1_3repE0EEENS1_30default_config_static_selectorELNS0_4arch9wavefront6targetE1EEEvT1_
	.p2align	8
	.type	_ZN7rocprim17ROCPRIM_400000_NS6detail17trampoline_kernelINS0_14default_configENS1_27scan_by_key_config_selectorIiiEEZZNS1_16scan_by_key_implILNS1_25lookback_scan_determinismE0ELb0ES3_N6thrust23THRUST_200600_302600_NS6detail15normal_iteratorINS9_10device_ptrIiEEEESE_SE_iNS9_10multipliesIiEENS9_8equal_toIiEEiEE10hipError_tPvRmT2_T3_T4_T5_mT6_T7_P12ihipStream_tbENKUlT_T0_E_clISt17integral_constantIbLb0EESY_IbLb1EEEEDaSU_SV_EUlSU_E_NS1_11comp_targetILNS1_3genE4ELNS1_11target_archE910ELNS1_3gpuE8ELNS1_3repE0EEENS1_30default_config_static_selectorELNS0_4arch9wavefront6targetE1EEEvT1_,@function
_ZN7rocprim17ROCPRIM_400000_NS6detail17trampoline_kernelINS0_14default_configENS1_27scan_by_key_config_selectorIiiEEZZNS1_16scan_by_key_implILNS1_25lookback_scan_determinismE0ELb0ES3_N6thrust23THRUST_200600_302600_NS6detail15normal_iteratorINS9_10device_ptrIiEEEESE_SE_iNS9_10multipliesIiEENS9_8equal_toIiEEiEE10hipError_tPvRmT2_T3_T4_T5_mT6_T7_P12ihipStream_tbENKUlT_T0_E_clISt17integral_constantIbLb0EESY_IbLb1EEEEDaSU_SV_EUlSU_E_NS1_11comp_targetILNS1_3genE4ELNS1_11target_archE910ELNS1_3gpuE8ELNS1_3repE0EEENS1_30default_config_static_selectorELNS0_4arch9wavefront6targetE1EEEvT1_: ; @_ZN7rocprim17ROCPRIM_400000_NS6detail17trampoline_kernelINS0_14default_configENS1_27scan_by_key_config_selectorIiiEEZZNS1_16scan_by_key_implILNS1_25lookback_scan_determinismE0ELb0ES3_N6thrust23THRUST_200600_302600_NS6detail15normal_iteratorINS9_10device_ptrIiEEEESE_SE_iNS9_10multipliesIiEENS9_8equal_toIiEEiEE10hipError_tPvRmT2_T3_T4_T5_mT6_T7_P12ihipStream_tbENKUlT_T0_E_clISt17integral_constantIbLb0EESY_IbLb1EEEEDaSU_SV_EUlSU_E_NS1_11comp_targetILNS1_3genE4ELNS1_11target_archE910ELNS1_3gpuE8ELNS1_3repE0EEENS1_30default_config_static_selectorELNS0_4arch9wavefront6targetE1EEEvT1_
; %bb.0:
	.section	.rodata,"a",@progbits
	.p2align	6, 0x0
	.amdhsa_kernel _ZN7rocprim17ROCPRIM_400000_NS6detail17trampoline_kernelINS0_14default_configENS1_27scan_by_key_config_selectorIiiEEZZNS1_16scan_by_key_implILNS1_25lookback_scan_determinismE0ELb0ES3_N6thrust23THRUST_200600_302600_NS6detail15normal_iteratorINS9_10device_ptrIiEEEESE_SE_iNS9_10multipliesIiEENS9_8equal_toIiEEiEE10hipError_tPvRmT2_T3_T4_T5_mT6_T7_P12ihipStream_tbENKUlT_T0_E_clISt17integral_constantIbLb0EESY_IbLb1EEEEDaSU_SV_EUlSU_E_NS1_11comp_targetILNS1_3genE4ELNS1_11target_archE910ELNS1_3gpuE8ELNS1_3repE0EEENS1_30default_config_static_selectorELNS0_4arch9wavefront6targetE1EEEvT1_
		.amdhsa_group_segment_fixed_size 0
		.amdhsa_private_segment_fixed_size 0
		.amdhsa_kernarg_size 112
		.amdhsa_user_sgpr_count 2
		.amdhsa_user_sgpr_dispatch_ptr 0
		.amdhsa_user_sgpr_queue_ptr 0
		.amdhsa_user_sgpr_kernarg_segment_ptr 1
		.amdhsa_user_sgpr_dispatch_id 0
		.amdhsa_user_sgpr_kernarg_preload_length 0
		.amdhsa_user_sgpr_kernarg_preload_offset 0
		.amdhsa_user_sgpr_private_segment_size 0
		.amdhsa_uses_dynamic_stack 0
		.amdhsa_enable_private_segment 0
		.amdhsa_system_sgpr_workgroup_id_x 1
		.amdhsa_system_sgpr_workgroup_id_y 0
		.amdhsa_system_sgpr_workgroup_id_z 0
		.amdhsa_system_sgpr_workgroup_info 0
		.amdhsa_system_vgpr_workitem_id 0
		.amdhsa_next_free_vgpr 1
		.amdhsa_next_free_sgpr 0
		.amdhsa_accum_offset 4
		.amdhsa_reserve_vcc 0
		.amdhsa_float_round_mode_32 0
		.amdhsa_float_round_mode_16_64 0
		.amdhsa_float_denorm_mode_32 3
		.amdhsa_float_denorm_mode_16_64 3
		.amdhsa_dx10_clamp 1
		.amdhsa_ieee_mode 1
		.amdhsa_fp16_overflow 0
		.amdhsa_tg_split 0
		.amdhsa_exception_fp_ieee_invalid_op 0
		.amdhsa_exception_fp_denorm_src 0
		.amdhsa_exception_fp_ieee_div_zero 0
		.amdhsa_exception_fp_ieee_overflow 0
		.amdhsa_exception_fp_ieee_underflow 0
		.amdhsa_exception_fp_ieee_inexact 0
		.amdhsa_exception_int_div_zero 0
	.end_amdhsa_kernel
	.section	.text._ZN7rocprim17ROCPRIM_400000_NS6detail17trampoline_kernelINS0_14default_configENS1_27scan_by_key_config_selectorIiiEEZZNS1_16scan_by_key_implILNS1_25lookback_scan_determinismE0ELb0ES3_N6thrust23THRUST_200600_302600_NS6detail15normal_iteratorINS9_10device_ptrIiEEEESE_SE_iNS9_10multipliesIiEENS9_8equal_toIiEEiEE10hipError_tPvRmT2_T3_T4_T5_mT6_T7_P12ihipStream_tbENKUlT_T0_E_clISt17integral_constantIbLb0EESY_IbLb1EEEEDaSU_SV_EUlSU_E_NS1_11comp_targetILNS1_3genE4ELNS1_11target_archE910ELNS1_3gpuE8ELNS1_3repE0EEENS1_30default_config_static_selectorELNS0_4arch9wavefront6targetE1EEEvT1_,"axG",@progbits,_ZN7rocprim17ROCPRIM_400000_NS6detail17trampoline_kernelINS0_14default_configENS1_27scan_by_key_config_selectorIiiEEZZNS1_16scan_by_key_implILNS1_25lookback_scan_determinismE0ELb0ES3_N6thrust23THRUST_200600_302600_NS6detail15normal_iteratorINS9_10device_ptrIiEEEESE_SE_iNS9_10multipliesIiEENS9_8equal_toIiEEiEE10hipError_tPvRmT2_T3_T4_T5_mT6_T7_P12ihipStream_tbENKUlT_T0_E_clISt17integral_constantIbLb0EESY_IbLb1EEEEDaSU_SV_EUlSU_E_NS1_11comp_targetILNS1_3genE4ELNS1_11target_archE910ELNS1_3gpuE8ELNS1_3repE0EEENS1_30default_config_static_selectorELNS0_4arch9wavefront6targetE1EEEvT1_,comdat
.Lfunc_end194:
	.size	_ZN7rocprim17ROCPRIM_400000_NS6detail17trampoline_kernelINS0_14default_configENS1_27scan_by_key_config_selectorIiiEEZZNS1_16scan_by_key_implILNS1_25lookback_scan_determinismE0ELb0ES3_N6thrust23THRUST_200600_302600_NS6detail15normal_iteratorINS9_10device_ptrIiEEEESE_SE_iNS9_10multipliesIiEENS9_8equal_toIiEEiEE10hipError_tPvRmT2_T3_T4_T5_mT6_T7_P12ihipStream_tbENKUlT_T0_E_clISt17integral_constantIbLb0EESY_IbLb1EEEEDaSU_SV_EUlSU_E_NS1_11comp_targetILNS1_3genE4ELNS1_11target_archE910ELNS1_3gpuE8ELNS1_3repE0EEENS1_30default_config_static_selectorELNS0_4arch9wavefront6targetE1EEEvT1_, .Lfunc_end194-_ZN7rocprim17ROCPRIM_400000_NS6detail17trampoline_kernelINS0_14default_configENS1_27scan_by_key_config_selectorIiiEEZZNS1_16scan_by_key_implILNS1_25lookback_scan_determinismE0ELb0ES3_N6thrust23THRUST_200600_302600_NS6detail15normal_iteratorINS9_10device_ptrIiEEEESE_SE_iNS9_10multipliesIiEENS9_8equal_toIiEEiEE10hipError_tPvRmT2_T3_T4_T5_mT6_T7_P12ihipStream_tbENKUlT_T0_E_clISt17integral_constantIbLb0EESY_IbLb1EEEEDaSU_SV_EUlSU_E_NS1_11comp_targetILNS1_3genE4ELNS1_11target_archE910ELNS1_3gpuE8ELNS1_3repE0EEENS1_30default_config_static_selectorELNS0_4arch9wavefront6targetE1EEEvT1_
                                        ; -- End function
	.section	.AMDGPU.csdata,"",@progbits
; Kernel info:
; codeLenInByte = 0
; NumSgprs: 6
; NumVgprs: 0
; NumAgprs: 0
; TotalNumVgprs: 0
; ScratchSize: 0
; MemoryBound: 0
; FloatMode: 240
; IeeeMode: 1
; LDSByteSize: 0 bytes/workgroup (compile time only)
; SGPRBlocks: 0
; VGPRBlocks: 0
; NumSGPRsForWavesPerEU: 6
; NumVGPRsForWavesPerEU: 1
; AccumOffset: 4
; Occupancy: 8
; WaveLimiterHint : 0
; COMPUTE_PGM_RSRC2:SCRATCH_EN: 0
; COMPUTE_PGM_RSRC2:USER_SGPR: 2
; COMPUTE_PGM_RSRC2:TRAP_HANDLER: 0
; COMPUTE_PGM_RSRC2:TGID_X_EN: 1
; COMPUTE_PGM_RSRC2:TGID_Y_EN: 0
; COMPUTE_PGM_RSRC2:TGID_Z_EN: 0
; COMPUTE_PGM_RSRC2:TIDIG_COMP_CNT: 0
; COMPUTE_PGM_RSRC3_GFX90A:ACCUM_OFFSET: 0
; COMPUTE_PGM_RSRC3_GFX90A:TG_SPLIT: 0
	.section	.text._ZN7rocprim17ROCPRIM_400000_NS6detail17trampoline_kernelINS0_14default_configENS1_27scan_by_key_config_selectorIiiEEZZNS1_16scan_by_key_implILNS1_25lookback_scan_determinismE0ELb0ES3_N6thrust23THRUST_200600_302600_NS6detail15normal_iteratorINS9_10device_ptrIiEEEESE_SE_iNS9_10multipliesIiEENS9_8equal_toIiEEiEE10hipError_tPvRmT2_T3_T4_T5_mT6_T7_P12ihipStream_tbENKUlT_T0_E_clISt17integral_constantIbLb0EESY_IbLb1EEEEDaSU_SV_EUlSU_E_NS1_11comp_targetILNS1_3genE3ELNS1_11target_archE908ELNS1_3gpuE7ELNS1_3repE0EEENS1_30default_config_static_selectorELNS0_4arch9wavefront6targetE1EEEvT1_,"axG",@progbits,_ZN7rocprim17ROCPRIM_400000_NS6detail17trampoline_kernelINS0_14default_configENS1_27scan_by_key_config_selectorIiiEEZZNS1_16scan_by_key_implILNS1_25lookback_scan_determinismE0ELb0ES3_N6thrust23THRUST_200600_302600_NS6detail15normal_iteratorINS9_10device_ptrIiEEEESE_SE_iNS9_10multipliesIiEENS9_8equal_toIiEEiEE10hipError_tPvRmT2_T3_T4_T5_mT6_T7_P12ihipStream_tbENKUlT_T0_E_clISt17integral_constantIbLb0EESY_IbLb1EEEEDaSU_SV_EUlSU_E_NS1_11comp_targetILNS1_3genE3ELNS1_11target_archE908ELNS1_3gpuE7ELNS1_3repE0EEENS1_30default_config_static_selectorELNS0_4arch9wavefront6targetE1EEEvT1_,comdat
	.protected	_ZN7rocprim17ROCPRIM_400000_NS6detail17trampoline_kernelINS0_14default_configENS1_27scan_by_key_config_selectorIiiEEZZNS1_16scan_by_key_implILNS1_25lookback_scan_determinismE0ELb0ES3_N6thrust23THRUST_200600_302600_NS6detail15normal_iteratorINS9_10device_ptrIiEEEESE_SE_iNS9_10multipliesIiEENS9_8equal_toIiEEiEE10hipError_tPvRmT2_T3_T4_T5_mT6_T7_P12ihipStream_tbENKUlT_T0_E_clISt17integral_constantIbLb0EESY_IbLb1EEEEDaSU_SV_EUlSU_E_NS1_11comp_targetILNS1_3genE3ELNS1_11target_archE908ELNS1_3gpuE7ELNS1_3repE0EEENS1_30default_config_static_selectorELNS0_4arch9wavefront6targetE1EEEvT1_ ; -- Begin function _ZN7rocprim17ROCPRIM_400000_NS6detail17trampoline_kernelINS0_14default_configENS1_27scan_by_key_config_selectorIiiEEZZNS1_16scan_by_key_implILNS1_25lookback_scan_determinismE0ELb0ES3_N6thrust23THRUST_200600_302600_NS6detail15normal_iteratorINS9_10device_ptrIiEEEESE_SE_iNS9_10multipliesIiEENS9_8equal_toIiEEiEE10hipError_tPvRmT2_T3_T4_T5_mT6_T7_P12ihipStream_tbENKUlT_T0_E_clISt17integral_constantIbLb0EESY_IbLb1EEEEDaSU_SV_EUlSU_E_NS1_11comp_targetILNS1_3genE3ELNS1_11target_archE908ELNS1_3gpuE7ELNS1_3repE0EEENS1_30default_config_static_selectorELNS0_4arch9wavefront6targetE1EEEvT1_
	.globl	_ZN7rocprim17ROCPRIM_400000_NS6detail17trampoline_kernelINS0_14default_configENS1_27scan_by_key_config_selectorIiiEEZZNS1_16scan_by_key_implILNS1_25lookback_scan_determinismE0ELb0ES3_N6thrust23THRUST_200600_302600_NS6detail15normal_iteratorINS9_10device_ptrIiEEEESE_SE_iNS9_10multipliesIiEENS9_8equal_toIiEEiEE10hipError_tPvRmT2_T3_T4_T5_mT6_T7_P12ihipStream_tbENKUlT_T0_E_clISt17integral_constantIbLb0EESY_IbLb1EEEEDaSU_SV_EUlSU_E_NS1_11comp_targetILNS1_3genE3ELNS1_11target_archE908ELNS1_3gpuE7ELNS1_3repE0EEENS1_30default_config_static_selectorELNS0_4arch9wavefront6targetE1EEEvT1_
	.p2align	8
	.type	_ZN7rocprim17ROCPRIM_400000_NS6detail17trampoline_kernelINS0_14default_configENS1_27scan_by_key_config_selectorIiiEEZZNS1_16scan_by_key_implILNS1_25lookback_scan_determinismE0ELb0ES3_N6thrust23THRUST_200600_302600_NS6detail15normal_iteratorINS9_10device_ptrIiEEEESE_SE_iNS9_10multipliesIiEENS9_8equal_toIiEEiEE10hipError_tPvRmT2_T3_T4_T5_mT6_T7_P12ihipStream_tbENKUlT_T0_E_clISt17integral_constantIbLb0EESY_IbLb1EEEEDaSU_SV_EUlSU_E_NS1_11comp_targetILNS1_3genE3ELNS1_11target_archE908ELNS1_3gpuE7ELNS1_3repE0EEENS1_30default_config_static_selectorELNS0_4arch9wavefront6targetE1EEEvT1_,@function
_ZN7rocprim17ROCPRIM_400000_NS6detail17trampoline_kernelINS0_14default_configENS1_27scan_by_key_config_selectorIiiEEZZNS1_16scan_by_key_implILNS1_25lookback_scan_determinismE0ELb0ES3_N6thrust23THRUST_200600_302600_NS6detail15normal_iteratorINS9_10device_ptrIiEEEESE_SE_iNS9_10multipliesIiEENS9_8equal_toIiEEiEE10hipError_tPvRmT2_T3_T4_T5_mT6_T7_P12ihipStream_tbENKUlT_T0_E_clISt17integral_constantIbLb0EESY_IbLb1EEEEDaSU_SV_EUlSU_E_NS1_11comp_targetILNS1_3genE3ELNS1_11target_archE908ELNS1_3gpuE7ELNS1_3repE0EEENS1_30default_config_static_selectorELNS0_4arch9wavefront6targetE1EEEvT1_: ; @_ZN7rocprim17ROCPRIM_400000_NS6detail17trampoline_kernelINS0_14default_configENS1_27scan_by_key_config_selectorIiiEEZZNS1_16scan_by_key_implILNS1_25lookback_scan_determinismE0ELb0ES3_N6thrust23THRUST_200600_302600_NS6detail15normal_iteratorINS9_10device_ptrIiEEEESE_SE_iNS9_10multipliesIiEENS9_8equal_toIiEEiEE10hipError_tPvRmT2_T3_T4_T5_mT6_T7_P12ihipStream_tbENKUlT_T0_E_clISt17integral_constantIbLb0EESY_IbLb1EEEEDaSU_SV_EUlSU_E_NS1_11comp_targetILNS1_3genE3ELNS1_11target_archE908ELNS1_3gpuE7ELNS1_3repE0EEENS1_30default_config_static_selectorELNS0_4arch9wavefront6targetE1EEEvT1_
; %bb.0:
	.section	.rodata,"a",@progbits
	.p2align	6, 0x0
	.amdhsa_kernel _ZN7rocprim17ROCPRIM_400000_NS6detail17trampoline_kernelINS0_14default_configENS1_27scan_by_key_config_selectorIiiEEZZNS1_16scan_by_key_implILNS1_25lookback_scan_determinismE0ELb0ES3_N6thrust23THRUST_200600_302600_NS6detail15normal_iteratorINS9_10device_ptrIiEEEESE_SE_iNS9_10multipliesIiEENS9_8equal_toIiEEiEE10hipError_tPvRmT2_T3_T4_T5_mT6_T7_P12ihipStream_tbENKUlT_T0_E_clISt17integral_constantIbLb0EESY_IbLb1EEEEDaSU_SV_EUlSU_E_NS1_11comp_targetILNS1_3genE3ELNS1_11target_archE908ELNS1_3gpuE7ELNS1_3repE0EEENS1_30default_config_static_selectorELNS0_4arch9wavefront6targetE1EEEvT1_
		.amdhsa_group_segment_fixed_size 0
		.amdhsa_private_segment_fixed_size 0
		.amdhsa_kernarg_size 112
		.amdhsa_user_sgpr_count 2
		.amdhsa_user_sgpr_dispatch_ptr 0
		.amdhsa_user_sgpr_queue_ptr 0
		.amdhsa_user_sgpr_kernarg_segment_ptr 1
		.amdhsa_user_sgpr_dispatch_id 0
		.amdhsa_user_sgpr_kernarg_preload_length 0
		.amdhsa_user_sgpr_kernarg_preload_offset 0
		.amdhsa_user_sgpr_private_segment_size 0
		.amdhsa_uses_dynamic_stack 0
		.amdhsa_enable_private_segment 0
		.amdhsa_system_sgpr_workgroup_id_x 1
		.amdhsa_system_sgpr_workgroup_id_y 0
		.amdhsa_system_sgpr_workgroup_id_z 0
		.amdhsa_system_sgpr_workgroup_info 0
		.amdhsa_system_vgpr_workitem_id 0
		.amdhsa_next_free_vgpr 1
		.amdhsa_next_free_sgpr 0
		.amdhsa_accum_offset 4
		.amdhsa_reserve_vcc 0
		.amdhsa_float_round_mode_32 0
		.amdhsa_float_round_mode_16_64 0
		.amdhsa_float_denorm_mode_32 3
		.amdhsa_float_denorm_mode_16_64 3
		.amdhsa_dx10_clamp 1
		.amdhsa_ieee_mode 1
		.amdhsa_fp16_overflow 0
		.amdhsa_tg_split 0
		.amdhsa_exception_fp_ieee_invalid_op 0
		.amdhsa_exception_fp_denorm_src 0
		.amdhsa_exception_fp_ieee_div_zero 0
		.amdhsa_exception_fp_ieee_overflow 0
		.amdhsa_exception_fp_ieee_underflow 0
		.amdhsa_exception_fp_ieee_inexact 0
		.amdhsa_exception_int_div_zero 0
	.end_amdhsa_kernel
	.section	.text._ZN7rocprim17ROCPRIM_400000_NS6detail17trampoline_kernelINS0_14default_configENS1_27scan_by_key_config_selectorIiiEEZZNS1_16scan_by_key_implILNS1_25lookback_scan_determinismE0ELb0ES3_N6thrust23THRUST_200600_302600_NS6detail15normal_iteratorINS9_10device_ptrIiEEEESE_SE_iNS9_10multipliesIiEENS9_8equal_toIiEEiEE10hipError_tPvRmT2_T3_T4_T5_mT6_T7_P12ihipStream_tbENKUlT_T0_E_clISt17integral_constantIbLb0EESY_IbLb1EEEEDaSU_SV_EUlSU_E_NS1_11comp_targetILNS1_3genE3ELNS1_11target_archE908ELNS1_3gpuE7ELNS1_3repE0EEENS1_30default_config_static_selectorELNS0_4arch9wavefront6targetE1EEEvT1_,"axG",@progbits,_ZN7rocprim17ROCPRIM_400000_NS6detail17trampoline_kernelINS0_14default_configENS1_27scan_by_key_config_selectorIiiEEZZNS1_16scan_by_key_implILNS1_25lookback_scan_determinismE0ELb0ES3_N6thrust23THRUST_200600_302600_NS6detail15normal_iteratorINS9_10device_ptrIiEEEESE_SE_iNS9_10multipliesIiEENS9_8equal_toIiEEiEE10hipError_tPvRmT2_T3_T4_T5_mT6_T7_P12ihipStream_tbENKUlT_T0_E_clISt17integral_constantIbLb0EESY_IbLb1EEEEDaSU_SV_EUlSU_E_NS1_11comp_targetILNS1_3genE3ELNS1_11target_archE908ELNS1_3gpuE7ELNS1_3repE0EEENS1_30default_config_static_selectorELNS0_4arch9wavefront6targetE1EEEvT1_,comdat
.Lfunc_end195:
	.size	_ZN7rocprim17ROCPRIM_400000_NS6detail17trampoline_kernelINS0_14default_configENS1_27scan_by_key_config_selectorIiiEEZZNS1_16scan_by_key_implILNS1_25lookback_scan_determinismE0ELb0ES3_N6thrust23THRUST_200600_302600_NS6detail15normal_iteratorINS9_10device_ptrIiEEEESE_SE_iNS9_10multipliesIiEENS9_8equal_toIiEEiEE10hipError_tPvRmT2_T3_T4_T5_mT6_T7_P12ihipStream_tbENKUlT_T0_E_clISt17integral_constantIbLb0EESY_IbLb1EEEEDaSU_SV_EUlSU_E_NS1_11comp_targetILNS1_3genE3ELNS1_11target_archE908ELNS1_3gpuE7ELNS1_3repE0EEENS1_30default_config_static_selectorELNS0_4arch9wavefront6targetE1EEEvT1_, .Lfunc_end195-_ZN7rocprim17ROCPRIM_400000_NS6detail17trampoline_kernelINS0_14default_configENS1_27scan_by_key_config_selectorIiiEEZZNS1_16scan_by_key_implILNS1_25lookback_scan_determinismE0ELb0ES3_N6thrust23THRUST_200600_302600_NS6detail15normal_iteratorINS9_10device_ptrIiEEEESE_SE_iNS9_10multipliesIiEENS9_8equal_toIiEEiEE10hipError_tPvRmT2_T3_T4_T5_mT6_T7_P12ihipStream_tbENKUlT_T0_E_clISt17integral_constantIbLb0EESY_IbLb1EEEEDaSU_SV_EUlSU_E_NS1_11comp_targetILNS1_3genE3ELNS1_11target_archE908ELNS1_3gpuE7ELNS1_3repE0EEENS1_30default_config_static_selectorELNS0_4arch9wavefront6targetE1EEEvT1_
                                        ; -- End function
	.section	.AMDGPU.csdata,"",@progbits
; Kernel info:
; codeLenInByte = 0
; NumSgprs: 6
; NumVgprs: 0
; NumAgprs: 0
; TotalNumVgprs: 0
; ScratchSize: 0
; MemoryBound: 0
; FloatMode: 240
; IeeeMode: 1
; LDSByteSize: 0 bytes/workgroup (compile time only)
; SGPRBlocks: 0
; VGPRBlocks: 0
; NumSGPRsForWavesPerEU: 6
; NumVGPRsForWavesPerEU: 1
; AccumOffset: 4
; Occupancy: 8
; WaveLimiterHint : 0
; COMPUTE_PGM_RSRC2:SCRATCH_EN: 0
; COMPUTE_PGM_RSRC2:USER_SGPR: 2
; COMPUTE_PGM_RSRC2:TRAP_HANDLER: 0
; COMPUTE_PGM_RSRC2:TGID_X_EN: 1
; COMPUTE_PGM_RSRC2:TGID_Y_EN: 0
; COMPUTE_PGM_RSRC2:TGID_Z_EN: 0
; COMPUTE_PGM_RSRC2:TIDIG_COMP_CNT: 0
; COMPUTE_PGM_RSRC3_GFX90A:ACCUM_OFFSET: 0
; COMPUTE_PGM_RSRC3_GFX90A:TG_SPLIT: 0
	.section	.text._ZN7rocprim17ROCPRIM_400000_NS6detail17trampoline_kernelINS0_14default_configENS1_27scan_by_key_config_selectorIiiEEZZNS1_16scan_by_key_implILNS1_25lookback_scan_determinismE0ELb0ES3_N6thrust23THRUST_200600_302600_NS6detail15normal_iteratorINS9_10device_ptrIiEEEESE_SE_iNS9_10multipliesIiEENS9_8equal_toIiEEiEE10hipError_tPvRmT2_T3_T4_T5_mT6_T7_P12ihipStream_tbENKUlT_T0_E_clISt17integral_constantIbLb0EESY_IbLb1EEEEDaSU_SV_EUlSU_E_NS1_11comp_targetILNS1_3genE2ELNS1_11target_archE906ELNS1_3gpuE6ELNS1_3repE0EEENS1_30default_config_static_selectorELNS0_4arch9wavefront6targetE1EEEvT1_,"axG",@progbits,_ZN7rocprim17ROCPRIM_400000_NS6detail17trampoline_kernelINS0_14default_configENS1_27scan_by_key_config_selectorIiiEEZZNS1_16scan_by_key_implILNS1_25lookback_scan_determinismE0ELb0ES3_N6thrust23THRUST_200600_302600_NS6detail15normal_iteratorINS9_10device_ptrIiEEEESE_SE_iNS9_10multipliesIiEENS9_8equal_toIiEEiEE10hipError_tPvRmT2_T3_T4_T5_mT6_T7_P12ihipStream_tbENKUlT_T0_E_clISt17integral_constantIbLb0EESY_IbLb1EEEEDaSU_SV_EUlSU_E_NS1_11comp_targetILNS1_3genE2ELNS1_11target_archE906ELNS1_3gpuE6ELNS1_3repE0EEENS1_30default_config_static_selectorELNS0_4arch9wavefront6targetE1EEEvT1_,comdat
	.protected	_ZN7rocprim17ROCPRIM_400000_NS6detail17trampoline_kernelINS0_14default_configENS1_27scan_by_key_config_selectorIiiEEZZNS1_16scan_by_key_implILNS1_25lookback_scan_determinismE0ELb0ES3_N6thrust23THRUST_200600_302600_NS6detail15normal_iteratorINS9_10device_ptrIiEEEESE_SE_iNS9_10multipliesIiEENS9_8equal_toIiEEiEE10hipError_tPvRmT2_T3_T4_T5_mT6_T7_P12ihipStream_tbENKUlT_T0_E_clISt17integral_constantIbLb0EESY_IbLb1EEEEDaSU_SV_EUlSU_E_NS1_11comp_targetILNS1_3genE2ELNS1_11target_archE906ELNS1_3gpuE6ELNS1_3repE0EEENS1_30default_config_static_selectorELNS0_4arch9wavefront6targetE1EEEvT1_ ; -- Begin function _ZN7rocprim17ROCPRIM_400000_NS6detail17trampoline_kernelINS0_14default_configENS1_27scan_by_key_config_selectorIiiEEZZNS1_16scan_by_key_implILNS1_25lookback_scan_determinismE0ELb0ES3_N6thrust23THRUST_200600_302600_NS6detail15normal_iteratorINS9_10device_ptrIiEEEESE_SE_iNS9_10multipliesIiEENS9_8equal_toIiEEiEE10hipError_tPvRmT2_T3_T4_T5_mT6_T7_P12ihipStream_tbENKUlT_T0_E_clISt17integral_constantIbLb0EESY_IbLb1EEEEDaSU_SV_EUlSU_E_NS1_11comp_targetILNS1_3genE2ELNS1_11target_archE906ELNS1_3gpuE6ELNS1_3repE0EEENS1_30default_config_static_selectorELNS0_4arch9wavefront6targetE1EEEvT1_
	.globl	_ZN7rocprim17ROCPRIM_400000_NS6detail17trampoline_kernelINS0_14default_configENS1_27scan_by_key_config_selectorIiiEEZZNS1_16scan_by_key_implILNS1_25lookback_scan_determinismE0ELb0ES3_N6thrust23THRUST_200600_302600_NS6detail15normal_iteratorINS9_10device_ptrIiEEEESE_SE_iNS9_10multipliesIiEENS9_8equal_toIiEEiEE10hipError_tPvRmT2_T3_T4_T5_mT6_T7_P12ihipStream_tbENKUlT_T0_E_clISt17integral_constantIbLb0EESY_IbLb1EEEEDaSU_SV_EUlSU_E_NS1_11comp_targetILNS1_3genE2ELNS1_11target_archE906ELNS1_3gpuE6ELNS1_3repE0EEENS1_30default_config_static_selectorELNS0_4arch9wavefront6targetE1EEEvT1_
	.p2align	8
	.type	_ZN7rocprim17ROCPRIM_400000_NS6detail17trampoline_kernelINS0_14default_configENS1_27scan_by_key_config_selectorIiiEEZZNS1_16scan_by_key_implILNS1_25lookback_scan_determinismE0ELb0ES3_N6thrust23THRUST_200600_302600_NS6detail15normal_iteratorINS9_10device_ptrIiEEEESE_SE_iNS9_10multipliesIiEENS9_8equal_toIiEEiEE10hipError_tPvRmT2_T3_T4_T5_mT6_T7_P12ihipStream_tbENKUlT_T0_E_clISt17integral_constantIbLb0EESY_IbLb1EEEEDaSU_SV_EUlSU_E_NS1_11comp_targetILNS1_3genE2ELNS1_11target_archE906ELNS1_3gpuE6ELNS1_3repE0EEENS1_30default_config_static_selectorELNS0_4arch9wavefront6targetE1EEEvT1_,@function
_ZN7rocprim17ROCPRIM_400000_NS6detail17trampoline_kernelINS0_14default_configENS1_27scan_by_key_config_selectorIiiEEZZNS1_16scan_by_key_implILNS1_25lookback_scan_determinismE0ELb0ES3_N6thrust23THRUST_200600_302600_NS6detail15normal_iteratorINS9_10device_ptrIiEEEESE_SE_iNS9_10multipliesIiEENS9_8equal_toIiEEiEE10hipError_tPvRmT2_T3_T4_T5_mT6_T7_P12ihipStream_tbENKUlT_T0_E_clISt17integral_constantIbLb0EESY_IbLb1EEEEDaSU_SV_EUlSU_E_NS1_11comp_targetILNS1_3genE2ELNS1_11target_archE906ELNS1_3gpuE6ELNS1_3repE0EEENS1_30default_config_static_selectorELNS0_4arch9wavefront6targetE1EEEvT1_: ; @_ZN7rocprim17ROCPRIM_400000_NS6detail17trampoline_kernelINS0_14default_configENS1_27scan_by_key_config_selectorIiiEEZZNS1_16scan_by_key_implILNS1_25lookback_scan_determinismE0ELb0ES3_N6thrust23THRUST_200600_302600_NS6detail15normal_iteratorINS9_10device_ptrIiEEEESE_SE_iNS9_10multipliesIiEENS9_8equal_toIiEEiEE10hipError_tPvRmT2_T3_T4_T5_mT6_T7_P12ihipStream_tbENKUlT_T0_E_clISt17integral_constantIbLb0EESY_IbLb1EEEEDaSU_SV_EUlSU_E_NS1_11comp_targetILNS1_3genE2ELNS1_11target_archE906ELNS1_3gpuE6ELNS1_3repE0EEENS1_30default_config_static_selectorELNS0_4arch9wavefront6targetE1EEEvT1_
; %bb.0:
	.section	.rodata,"a",@progbits
	.p2align	6, 0x0
	.amdhsa_kernel _ZN7rocprim17ROCPRIM_400000_NS6detail17trampoline_kernelINS0_14default_configENS1_27scan_by_key_config_selectorIiiEEZZNS1_16scan_by_key_implILNS1_25lookback_scan_determinismE0ELb0ES3_N6thrust23THRUST_200600_302600_NS6detail15normal_iteratorINS9_10device_ptrIiEEEESE_SE_iNS9_10multipliesIiEENS9_8equal_toIiEEiEE10hipError_tPvRmT2_T3_T4_T5_mT6_T7_P12ihipStream_tbENKUlT_T0_E_clISt17integral_constantIbLb0EESY_IbLb1EEEEDaSU_SV_EUlSU_E_NS1_11comp_targetILNS1_3genE2ELNS1_11target_archE906ELNS1_3gpuE6ELNS1_3repE0EEENS1_30default_config_static_selectorELNS0_4arch9wavefront6targetE1EEEvT1_
		.amdhsa_group_segment_fixed_size 0
		.amdhsa_private_segment_fixed_size 0
		.amdhsa_kernarg_size 112
		.amdhsa_user_sgpr_count 2
		.amdhsa_user_sgpr_dispatch_ptr 0
		.amdhsa_user_sgpr_queue_ptr 0
		.amdhsa_user_sgpr_kernarg_segment_ptr 1
		.amdhsa_user_sgpr_dispatch_id 0
		.amdhsa_user_sgpr_kernarg_preload_length 0
		.amdhsa_user_sgpr_kernarg_preload_offset 0
		.amdhsa_user_sgpr_private_segment_size 0
		.amdhsa_uses_dynamic_stack 0
		.amdhsa_enable_private_segment 0
		.amdhsa_system_sgpr_workgroup_id_x 1
		.amdhsa_system_sgpr_workgroup_id_y 0
		.amdhsa_system_sgpr_workgroup_id_z 0
		.amdhsa_system_sgpr_workgroup_info 0
		.amdhsa_system_vgpr_workitem_id 0
		.amdhsa_next_free_vgpr 1
		.amdhsa_next_free_sgpr 0
		.amdhsa_accum_offset 4
		.amdhsa_reserve_vcc 0
		.amdhsa_float_round_mode_32 0
		.amdhsa_float_round_mode_16_64 0
		.amdhsa_float_denorm_mode_32 3
		.amdhsa_float_denorm_mode_16_64 3
		.amdhsa_dx10_clamp 1
		.amdhsa_ieee_mode 1
		.amdhsa_fp16_overflow 0
		.amdhsa_tg_split 0
		.amdhsa_exception_fp_ieee_invalid_op 0
		.amdhsa_exception_fp_denorm_src 0
		.amdhsa_exception_fp_ieee_div_zero 0
		.amdhsa_exception_fp_ieee_overflow 0
		.amdhsa_exception_fp_ieee_underflow 0
		.amdhsa_exception_fp_ieee_inexact 0
		.amdhsa_exception_int_div_zero 0
	.end_amdhsa_kernel
	.section	.text._ZN7rocprim17ROCPRIM_400000_NS6detail17trampoline_kernelINS0_14default_configENS1_27scan_by_key_config_selectorIiiEEZZNS1_16scan_by_key_implILNS1_25lookback_scan_determinismE0ELb0ES3_N6thrust23THRUST_200600_302600_NS6detail15normal_iteratorINS9_10device_ptrIiEEEESE_SE_iNS9_10multipliesIiEENS9_8equal_toIiEEiEE10hipError_tPvRmT2_T3_T4_T5_mT6_T7_P12ihipStream_tbENKUlT_T0_E_clISt17integral_constantIbLb0EESY_IbLb1EEEEDaSU_SV_EUlSU_E_NS1_11comp_targetILNS1_3genE2ELNS1_11target_archE906ELNS1_3gpuE6ELNS1_3repE0EEENS1_30default_config_static_selectorELNS0_4arch9wavefront6targetE1EEEvT1_,"axG",@progbits,_ZN7rocprim17ROCPRIM_400000_NS6detail17trampoline_kernelINS0_14default_configENS1_27scan_by_key_config_selectorIiiEEZZNS1_16scan_by_key_implILNS1_25lookback_scan_determinismE0ELb0ES3_N6thrust23THRUST_200600_302600_NS6detail15normal_iteratorINS9_10device_ptrIiEEEESE_SE_iNS9_10multipliesIiEENS9_8equal_toIiEEiEE10hipError_tPvRmT2_T3_T4_T5_mT6_T7_P12ihipStream_tbENKUlT_T0_E_clISt17integral_constantIbLb0EESY_IbLb1EEEEDaSU_SV_EUlSU_E_NS1_11comp_targetILNS1_3genE2ELNS1_11target_archE906ELNS1_3gpuE6ELNS1_3repE0EEENS1_30default_config_static_selectorELNS0_4arch9wavefront6targetE1EEEvT1_,comdat
.Lfunc_end196:
	.size	_ZN7rocprim17ROCPRIM_400000_NS6detail17trampoline_kernelINS0_14default_configENS1_27scan_by_key_config_selectorIiiEEZZNS1_16scan_by_key_implILNS1_25lookback_scan_determinismE0ELb0ES3_N6thrust23THRUST_200600_302600_NS6detail15normal_iteratorINS9_10device_ptrIiEEEESE_SE_iNS9_10multipliesIiEENS9_8equal_toIiEEiEE10hipError_tPvRmT2_T3_T4_T5_mT6_T7_P12ihipStream_tbENKUlT_T0_E_clISt17integral_constantIbLb0EESY_IbLb1EEEEDaSU_SV_EUlSU_E_NS1_11comp_targetILNS1_3genE2ELNS1_11target_archE906ELNS1_3gpuE6ELNS1_3repE0EEENS1_30default_config_static_selectorELNS0_4arch9wavefront6targetE1EEEvT1_, .Lfunc_end196-_ZN7rocprim17ROCPRIM_400000_NS6detail17trampoline_kernelINS0_14default_configENS1_27scan_by_key_config_selectorIiiEEZZNS1_16scan_by_key_implILNS1_25lookback_scan_determinismE0ELb0ES3_N6thrust23THRUST_200600_302600_NS6detail15normal_iteratorINS9_10device_ptrIiEEEESE_SE_iNS9_10multipliesIiEENS9_8equal_toIiEEiEE10hipError_tPvRmT2_T3_T4_T5_mT6_T7_P12ihipStream_tbENKUlT_T0_E_clISt17integral_constantIbLb0EESY_IbLb1EEEEDaSU_SV_EUlSU_E_NS1_11comp_targetILNS1_3genE2ELNS1_11target_archE906ELNS1_3gpuE6ELNS1_3repE0EEENS1_30default_config_static_selectorELNS0_4arch9wavefront6targetE1EEEvT1_
                                        ; -- End function
	.section	.AMDGPU.csdata,"",@progbits
; Kernel info:
; codeLenInByte = 0
; NumSgprs: 6
; NumVgprs: 0
; NumAgprs: 0
; TotalNumVgprs: 0
; ScratchSize: 0
; MemoryBound: 0
; FloatMode: 240
; IeeeMode: 1
; LDSByteSize: 0 bytes/workgroup (compile time only)
; SGPRBlocks: 0
; VGPRBlocks: 0
; NumSGPRsForWavesPerEU: 6
; NumVGPRsForWavesPerEU: 1
; AccumOffset: 4
; Occupancy: 8
; WaveLimiterHint : 0
; COMPUTE_PGM_RSRC2:SCRATCH_EN: 0
; COMPUTE_PGM_RSRC2:USER_SGPR: 2
; COMPUTE_PGM_RSRC2:TRAP_HANDLER: 0
; COMPUTE_PGM_RSRC2:TGID_X_EN: 1
; COMPUTE_PGM_RSRC2:TGID_Y_EN: 0
; COMPUTE_PGM_RSRC2:TGID_Z_EN: 0
; COMPUTE_PGM_RSRC2:TIDIG_COMP_CNT: 0
; COMPUTE_PGM_RSRC3_GFX90A:ACCUM_OFFSET: 0
; COMPUTE_PGM_RSRC3_GFX90A:TG_SPLIT: 0
	.section	.text._ZN7rocprim17ROCPRIM_400000_NS6detail17trampoline_kernelINS0_14default_configENS1_27scan_by_key_config_selectorIiiEEZZNS1_16scan_by_key_implILNS1_25lookback_scan_determinismE0ELb0ES3_N6thrust23THRUST_200600_302600_NS6detail15normal_iteratorINS9_10device_ptrIiEEEESE_SE_iNS9_10multipliesIiEENS9_8equal_toIiEEiEE10hipError_tPvRmT2_T3_T4_T5_mT6_T7_P12ihipStream_tbENKUlT_T0_E_clISt17integral_constantIbLb0EESY_IbLb1EEEEDaSU_SV_EUlSU_E_NS1_11comp_targetILNS1_3genE10ELNS1_11target_archE1200ELNS1_3gpuE4ELNS1_3repE0EEENS1_30default_config_static_selectorELNS0_4arch9wavefront6targetE1EEEvT1_,"axG",@progbits,_ZN7rocprim17ROCPRIM_400000_NS6detail17trampoline_kernelINS0_14default_configENS1_27scan_by_key_config_selectorIiiEEZZNS1_16scan_by_key_implILNS1_25lookback_scan_determinismE0ELb0ES3_N6thrust23THRUST_200600_302600_NS6detail15normal_iteratorINS9_10device_ptrIiEEEESE_SE_iNS9_10multipliesIiEENS9_8equal_toIiEEiEE10hipError_tPvRmT2_T3_T4_T5_mT6_T7_P12ihipStream_tbENKUlT_T0_E_clISt17integral_constantIbLb0EESY_IbLb1EEEEDaSU_SV_EUlSU_E_NS1_11comp_targetILNS1_3genE10ELNS1_11target_archE1200ELNS1_3gpuE4ELNS1_3repE0EEENS1_30default_config_static_selectorELNS0_4arch9wavefront6targetE1EEEvT1_,comdat
	.protected	_ZN7rocprim17ROCPRIM_400000_NS6detail17trampoline_kernelINS0_14default_configENS1_27scan_by_key_config_selectorIiiEEZZNS1_16scan_by_key_implILNS1_25lookback_scan_determinismE0ELb0ES3_N6thrust23THRUST_200600_302600_NS6detail15normal_iteratorINS9_10device_ptrIiEEEESE_SE_iNS9_10multipliesIiEENS9_8equal_toIiEEiEE10hipError_tPvRmT2_T3_T4_T5_mT6_T7_P12ihipStream_tbENKUlT_T0_E_clISt17integral_constantIbLb0EESY_IbLb1EEEEDaSU_SV_EUlSU_E_NS1_11comp_targetILNS1_3genE10ELNS1_11target_archE1200ELNS1_3gpuE4ELNS1_3repE0EEENS1_30default_config_static_selectorELNS0_4arch9wavefront6targetE1EEEvT1_ ; -- Begin function _ZN7rocprim17ROCPRIM_400000_NS6detail17trampoline_kernelINS0_14default_configENS1_27scan_by_key_config_selectorIiiEEZZNS1_16scan_by_key_implILNS1_25lookback_scan_determinismE0ELb0ES3_N6thrust23THRUST_200600_302600_NS6detail15normal_iteratorINS9_10device_ptrIiEEEESE_SE_iNS9_10multipliesIiEENS9_8equal_toIiEEiEE10hipError_tPvRmT2_T3_T4_T5_mT6_T7_P12ihipStream_tbENKUlT_T0_E_clISt17integral_constantIbLb0EESY_IbLb1EEEEDaSU_SV_EUlSU_E_NS1_11comp_targetILNS1_3genE10ELNS1_11target_archE1200ELNS1_3gpuE4ELNS1_3repE0EEENS1_30default_config_static_selectorELNS0_4arch9wavefront6targetE1EEEvT1_
	.globl	_ZN7rocprim17ROCPRIM_400000_NS6detail17trampoline_kernelINS0_14default_configENS1_27scan_by_key_config_selectorIiiEEZZNS1_16scan_by_key_implILNS1_25lookback_scan_determinismE0ELb0ES3_N6thrust23THRUST_200600_302600_NS6detail15normal_iteratorINS9_10device_ptrIiEEEESE_SE_iNS9_10multipliesIiEENS9_8equal_toIiEEiEE10hipError_tPvRmT2_T3_T4_T5_mT6_T7_P12ihipStream_tbENKUlT_T0_E_clISt17integral_constantIbLb0EESY_IbLb1EEEEDaSU_SV_EUlSU_E_NS1_11comp_targetILNS1_3genE10ELNS1_11target_archE1200ELNS1_3gpuE4ELNS1_3repE0EEENS1_30default_config_static_selectorELNS0_4arch9wavefront6targetE1EEEvT1_
	.p2align	8
	.type	_ZN7rocprim17ROCPRIM_400000_NS6detail17trampoline_kernelINS0_14default_configENS1_27scan_by_key_config_selectorIiiEEZZNS1_16scan_by_key_implILNS1_25lookback_scan_determinismE0ELb0ES3_N6thrust23THRUST_200600_302600_NS6detail15normal_iteratorINS9_10device_ptrIiEEEESE_SE_iNS9_10multipliesIiEENS9_8equal_toIiEEiEE10hipError_tPvRmT2_T3_T4_T5_mT6_T7_P12ihipStream_tbENKUlT_T0_E_clISt17integral_constantIbLb0EESY_IbLb1EEEEDaSU_SV_EUlSU_E_NS1_11comp_targetILNS1_3genE10ELNS1_11target_archE1200ELNS1_3gpuE4ELNS1_3repE0EEENS1_30default_config_static_selectorELNS0_4arch9wavefront6targetE1EEEvT1_,@function
_ZN7rocprim17ROCPRIM_400000_NS6detail17trampoline_kernelINS0_14default_configENS1_27scan_by_key_config_selectorIiiEEZZNS1_16scan_by_key_implILNS1_25lookback_scan_determinismE0ELb0ES3_N6thrust23THRUST_200600_302600_NS6detail15normal_iteratorINS9_10device_ptrIiEEEESE_SE_iNS9_10multipliesIiEENS9_8equal_toIiEEiEE10hipError_tPvRmT2_T3_T4_T5_mT6_T7_P12ihipStream_tbENKUlT_T0_E_clISt17integral_constantIbLb0EESY_IbLb1EEEEDaSU_SV_EUlSU_E_NS1_11comp_targetILNS1_3genE10ELNS1_11target_archE1200ELNS1_3gpuE4ELNS1_3repE0EEENS1_30default_config_static_selectorELNS0_4arch9wavefront6targetE1EEEvT1_: ; @_ZN7rocprim17ROCPRIM_400000_NS6detail17trampoline_kernelINS0_14default_configENS1_27scan_by_key_config_selectorIiiEEZZNS1_16scan_by_key_implILNS1_25lookback_scan_determinismE0ELb0ES3_N6thrust23THRUST_200600_302600_NS6detail15normal_iteratorINS9_10device_ptrIiEEEESE_SE_iNS9_10multipliesIiEENS9_8equal_toIiEEiEE10hipError_tPvRmT2_T3_T4_T5_mT6_T7_P12ihipStream_tbENKUlT_T0_E_clISt17integral_constantIbLb0EESY_IbLb1EEEEDaSU_SV_EUlSU_E_NS1_11comp_targetILNS1_3genE10ELNS1_11target_archE1200ELNS1_3gpuE4ELNS1_3repE0EEENS1_30default_config_static_selectorELNS0_4arch9wavefront6targetE1EEEvT1_
; %bb.0:
	.section	.rodata,"a",@progbits
	.p2align	6, 0x0
	.amdhsa_kernel _ZN7rocprim17ROCPRIM_400000_NS6detail17trampoline_kernelINS0_14default_configENS1_27scan_by_key_config_selectorIiiEEZZNS1_16scan_by_key_implILNS1_25lookback_scan_determinismE0ELb0ES3_N6thrust23THRUST_200600_302600_NS6detail15normal_iteratorINS9_10device_ptrIiEEEESE_SE_iNS9_10multipliesIiEENS9_8equal_toIiEEiEE10hipError_tPvRmT2_T3_T4_T5_mT6_T7_P12ihipStream_tbENKUlT_T0_E_clISt17integral_constantIbLb0EESY_IbLb1EEEEDaSU_SV_EUlSU_E_NS1_11comp_targetILNS1_3genE10ELNS1_11target_archE1200ELNS1_3gpuE4ELNS1_3repE0EEENS1_30default_config_static_selectorELNS0_4arch9wavefront6targetE1EEEvT1_
		.amdhsa_group_segment_fixed_size 0
		.amdhsa_private_segment_fixed_size 0
		.amdhsa_kernarg_size 112
		.amdhsa_user_sgpr_count 2
		.amdhsa_user_sgpr_dispatch_ptr 0
		.amdhsa_user_sgpr_queue_ptr 0
		.amdhsa_user_sgpr_kernarg_segment_ptr 1
		.amdhsa_user_sgpr_dispatch_id 0
		.amdhsa_user_sgpr_kernarg_preload_length 0
		.amdhsa_user_sgpr_kernarg_preload_offset 0
		.amdhsa_user_sgpr_private_segment_size 0
		.amdhsa_uses_dynamic_stack 0
		.amdhsa_enable_private_segment 0
		.amdhsa_system_sgpr_workgroup_id_x 1
		.amdhsa_system_sgpr_workgroup_id_y 0
		.amdhsa_system_sgpr_workgroup_id_z 0
		.amdhsa_system_sgpr_workgroup_info 0
		.amdhsa_system_vgpr_workitem_id 0
		.amdhsa_next_free_vgpr 1
		.amdhsa_next_free_sgpr 0
		.amdhsa_accum_offset 4
		.amdhsa_reserve_vcc 0
		.amdhsa_float_round_mode_32 0
		.amdhsa_float_round_mode_16_64 0
		.amdhsa_float_denorm_mode_32 3
		.amdhsa_float_denorm_mode_16_64 3
		.amdhsa_dx10_clamp 1
		.amdhsa_ieee_mode 1
		.amdhsa_fp16_overflow 0
		.amdhsa_tg_split 0
		.amdhsa_exception_fp_ieee_invalid_op 0
		.amdhsa_exception_fp_denorm_src 0
		.amdhsa_exception_fp_ieee_div_zero 0
		.amdhsa_exception_fp_ieee_overflow 0
		.amdhsa_exception_fp_ieee_underflow 0
		.amdhsa_exception_fp_ieee_inexact 0
		.amdhsa_exception_int_div_zero 0
	.end_amdhsa_kernel
	.section	.text._ZN7rocprim17ROCPRIM_400000_NS6detail17trampoline_kernelINS0_14default_configENS1_27scan_by_key_config_selectorIiiEEZZNS1_16scan_by_key_implILNS1_25lookback_scan_determinismE0ELb0ES3_N6thrust23THRUST_200600_302600_NS6detail15normal_iteratorINS9_10device_ptrIiEEEESE_SE_iNS9_10multipliesIiEENS9_8equal_toIiEEiEE10hipError_tPvRmT2_T3_T4_T5_mT6_T7_P12ihipStream_tbENKUlT_T0_E_clISt17integral_constantIbLb0EESY_IbLb1EEEEDaSU_SV_EUlSU_E_NS1_11comp_targetILNS1_3genE10ELNS1_11target_archE1200ELNS1_3gpuE4ELNS1_3repE0EEENS1_30default_config_static_selectorELNS0_4arch9wavefront6targetE1EEEvT1_,"axG",@progbits,_ZN7rocprim17ROCPRIM_400000_NS6detail17trampoline_kernelINS0_14default_configENS1_27scan_by_key_config_selectorIiiEEZZNS1_16scan_by_key_implILNS1_25lookback_scan_determinismE0ELb0ES3_N6thrust23THRUST_200600_302600_NS6detail15normal_iteratorINS9_10device_ptrIiEEEESE_SE_iNS9_10multipliesIiEENS9_8equal_toIiEEiEE10hipError_tPvRmT2_T3_T4_T5_mT6_T7_P12ihipStream_tbENKUlT_T0_E_clISt17integral_constantIbLb0EESY_IbLb1EEEEDaSU_SV_EUlSU_E_NS1_11comp_targetILNS1_3genE10ELNS1_11target_archE1200ELNS1_3gpuE4ELNS1_3repE0EEENS1_30default_config_static_selectorELNS0_4arch9wavefront6targetE1EEEvT1_,comdat
.Lfunc_end197:
	.size	_ZN7rocprim17ROCPRIM_400000_NS6detail17trampoline_kernelINS0_14default_configENS1_27scan_by_key_config_selectorIiiEEZZNS1_16scan_by_key_implILNS1_25lookback_scan_determinismE0ELb0ES3_N6thrust23THRUST_200600_302600_NS6detail15normal_iteratorINS9_10device_ptrIiEEEESE_SE_iNS9_10multipliesIiEENS9_8equal_toIiEEiEE10hipError_tPvRmT2_T3_T4_T5_mT6_T7_P12ihipStream_tbENKUlT_T0_E_clISt17integral_constantIbLb0EESY_IbLb1EEEEDaSU_SV_EUlSU_E_NS1_11comp_targetILNS1_3genE10ELNS1_11target_archE1200ELNS1_3gpuE4ELNS1_3repE0EEENS1_30default_config_static_selectorELNS0_4arch9wavefront6targetE1EEEvT1_, .Lfunc_end197-_ZN7rocprim17ROCPRIM_400000_NS6detail17trampoline_kernelINS0_14default_configENS1_27scan_by_key_config_selectorIiiEEZZNS1_16scan_by_key_implILNS1_25lookback_scan_determinismE0ELb0ES3_N6thrust23THRUST_200600_302600_NS6detail15normal_iteratorINS9_10device_ptrIiEEEESE_SE_iNS9_10multipliesIiEENS9_8equal_toIiEEiEE10hipError_tPvRmT2_T3_T4_T5_mT6_T7_P12ihipStream_tbENKUlT_T0_E_clISt17integral_constantIbLb0EESY_IbLb1EEEEDaSU_SV_EUlSU_E_NS1_11comp_targetILNS1_3genE10ELNS1_11target_archE1200ELNS1_3gpuE4ELNS1_3repE0EEENS1_30default_config_static_selectorELNS0_4arch9wavefront6targetE1EEEvT1_
                                        ; -- End function
	.section	.AMDGPU.csdata,"",@progbits
; Kernel info:
; codeLenInByte = 0
; NumSgprs: 6
; NumVgprs: 0
; NumAgprs: 0
; TotalNumVgprs: 0
; ScratchSize: 0
; MemoryBound: 0
; FloatMode: 240
; IeeeMode: 1
; LDSByteSize: 0 bytes/workgroup (compile time only)
; SGPRBlocks: 0
; VGPRBlocks: 0
; NumSGPRsForWavesPerEU: 6
; NumVGPRsForWavesPerEU: 1
; AccumOffset: 4
; Occupancy: 8
; WaveLimiterHint : 0
; COMPUTE_PGM_RSRC2:SCRATCH_EN: 0
; COMPUTE_PGM_RSRC2:USER_SGPR: 2
; COMPUTE_PGM_RSRC2:TRAP_HANDLER: 0
; COMPUTE_PGM_RSRC2:TGID_X_EN: 1
; COMPUTE_PGM_RSRC2:TGID_Y_EN: 0
; COMPUTE_PGM_RSRC2:TGID_Z_EN: 0
; COMPUTE_PGM_RSRC2:TIDIG_COMP_CNT: 0
; COMPUTE_PGM_RSRC3_GFX90A:ACCUM_OFFSET: 0
; COMPUTE_PGM_RSRC3_GFX90A:TG_SPLIT: 0
	.section	.text._ZN7rocprim17ROCPRIM_400000_NS6detail17trampoline_kernelINS0_14default_configENS1_27scan_by_key_config_selectorIiiEEZZNS1_16scan_by_key_implILNS1_25lookback_scan_determinismE0ELb0ES3_N6thrust23THRUST_200600_302600_NS6detail15normal_iteratorINS9_10device_ptrIiEEEESE_SE_iNS9_10multipliesIiEENS9_8equal_toIiEEiEE10hipError_tPvRmT2_T3_T4_T5_mT6_T7_P12ihipStream_tbENKUlT_T0_E_clISt17integral_constantIbLb0EESY_IbLb1EEEEDaSU_SV_EUlSU_E_NS1_11comp_targetILNS1_3genE9ELNS1_11target_archE1100ELNS1_3gpuE3ELNS1_3repE0EEENS1_30default_config_static_selectorELNS0_4arch9wavefront6targetE1EEEvT1_,"axG",@progbits,_ZN7rocprim17ROCPRIM_400000_NS6detail17trampoline_kernelINS0_14default_configENS1_27scan_by_key_config_selectorIiiEEZZNS1_16scan_by_key_implILNS1_25lookback_scan_determinismE0ELb0ES3_N6thrust23THRUST_200600_302600_NS6detail15normal_iteratorINS9_10device_ptrIiEEEESE_SE_iNS9_10multipliesIiEENS9_8equal_toIiEEiEE10hipError_tPvRmT2_T3_T4_T5_mT6_T7_P12ihipStream_tbENKUlT_T0_E_clISt17integral_constantIbLb0EESY_IbLb1EEEEDaSU_SV_EUlSU_E_NS1_11comp_targetILNS1_3genE9ELNS1_11target_archE1100ELNS1_3gpuE3ELNS1_3repE0EEENS1_30default_config_static_selectorELNS0_4arch9wavefront6targetE1EEEvT1_,comdat
	.protected	_ZN7rocprim17ROCPRIM_400000_NS6detail17trampoline_kernelINS0_14default_configENS1_27scan_by_key_config_selectorIiiEEZZNS1_16scan_by_key_implILNS1_25lookback_scan_determinismE0ELb0ES3_N6thrust23THRUST_200600_302600_NS6detail15normal_iteratorINS9_10device_ptrIiEEEESE_SE_iNS9_10multipliesIiEENS9_8equal_toIiEEiEE10hipError_tPvRmT2_T3_T4_T5_mT6_T7_P12ihipStream_tbENKUlT_T0_E_clISt17integral_constantIbLb0EESY_IbLb1EEEEDaSU_SV_EUlSU_E_NS1_11comp_targetILNS1_3genE9ELNS1_11target_archE1100ELNS1_3gpuE3ELNS1_3repE0EEENS1_30default_config_static_selectorELNS0_4arch9wavefront6targetE1EEEvT1_ ; -- Begin function _ZN7rocprim17ROCPRIM_400000_NS6detail17trampoline_kernelINS0_14default_configENS1_27scan_by_key_config_selectorIiiEEZZNS1_16scan_by_key_implILNS1_25lookback_scan_determinismE0ELb0ES3_N6thrust23THRUST_200600_302600_NS6detail15normal_iteratorINS9_10device_ptrIiEEEESE_SE_iNS9_10multipliesIiEENS9_8equal_toIiEEiEE10hipError_tPvRmT2_T3_T4_T5_mT6_T7_P12ihipStream_tbENKUlT_T0_E_clISt17integral_constantIbLb0EESY_IbLb1EEEEDaSU_SV_EUlSU_E_NS1_11comp_targetILNS1_3genE9ELNS1_11target_archE1100ELNS1_3gpuE3ELNS1_3repE0EEENS1_30default_config_static_selectorELNS0_4arch9wavefront6targetE1EEEvT1_
	.globl	_ZN7rocprim17ROCPRIM_400000_NS6detail17trampoline_kernelINS0_14default_configENS1_27scan_by_key_config_selectorIiiEEZZNS1_16scan_by_key_implILNS1_25lookback_scan_determinismE0ELb0ES3_N6thrust23THRUST_200600_302600_NS6detail15normal_iteratorINS9_10device_ptrIiEEEESE_SE_iNS9_10multipliesIiEENS9_8equal_toIiEEiEE10hipError_tPvRmT2_T3_T4_T5_mT6_T7_P12ihipStream_tbENKUlT_T0_E_clISt17integral_constantIbLb0EESY_IbLb1EEEEDaSU_SV_EUlSU_E_NS1_11comp_targetILNS1_3genE9ELNS1_11target_archE1100ELNS1_3gpuE3ELNS1_3repE0EEENS1_30default_config_static_selectorELNS0_4arch9wavefront6targetE1EEEvT1_
	.p2align	8
	.type	_ZN7rocprim17ROCPRIM_400000_NS6detail17trampoline_kernelINS0_14default_configENS1_27scan_by_key_config_selectorIiiEEZZNS1_16scan_by_key_implILNS1_25lookback_scan_determinismE0ELb0ES3_N6thrust23THRUST_200600_302600_NS6detail15normal_iteratorINS9_10device_ptrIiEEEESE_SE_iNS9_10multipliesIiEENS9_8equal_toIiEEiEE10hipError_tPvRmT2_T3_T4_T5_mT6_T7_P12ihipStream_tbENKUlT_T0_E_clISt17integral_constantIbLb0EESY_IbLb1EEEEDaSU_SV_EUlSU_E_NS1_11comp_targetILNS1_3genE9ELNS1_11target_archE1100ELNS1_3gpuE3ELNS1_3repE0EEENS1_30default_config_static_selectorELNS0_4arch9wavefront6targetE1EEEvT1_,@function
_ZN7rocprim17ROCPRIM_400000_NS6detail17trampoline_kernelINS0_14default_configENS1_27scan_by_key_config_selectorIiiEEZZNS1_16scan_by_key_implILNS1_25lookback_scan_determinismE0ELb0ES3_N6thrust23THRUST_200600_302600_NS6detail15normal_iteratorINS9_10device_ptrIiEEEESE_SE_iNS9_10multipliesIiEENS9_8equal_toIiEEiEE10hipError_tPvRmT2_T3_T4_T5_mT6_T7_P12ihipStream_tbENKUlT_T0_E_clISt17integral_constantIbLb0EESY_IbLb1EEEEDaSU_SV_EUlSU_E_NS1_11comp_targetILNS1_3genE9ELNS1_11target_archE1100ELNS1_3gpuE3ELNS1_3repE0EEENS1_30default_config_static_selectorELNS0_4arch9wavefront6targetE1EEEvT1_: ; @_ZN7rocprim17ROCPRIM_400000_NS6detail17trampoline_kernelINS0_14default_configENS1_27scan_by_key_config_selectorIiiEEZZNS1_16scan_by_key_implILNS1_25lookback_scan_determinismE0ELb0ES3_N6thrust23THRUST_200600_302600_NS6detail15normal_iteratorINS9_10device_ptrIiEEEESE_SE_iNS9_10multipliesIiEENS9_8equal_toIiEEiEE10hipError_tPvRmT2_T3_T4_T5_mT6_T7_P12ihipStream_tbENKUlT_T0_E_clISt17integral_constantIbLb0EESY_IbLb1EEEEDaSU_SV_EUlSU_E_NS1_11comp_targetILNS1_3genE9ELNS1_11target_archE1100ELNS1_3gpuE3ELNS1_3repE0EEENS1_30default_config_static_selectorELNS0_4arch9wavefront6targetE1EEEvT1_
; %bb.0:
	.section	.rodata,"a",@progbits
	.p2align	6, 0x0
	.amdhsa_kernel _ZN7rocprim17ROCPRIM_400000_NS6detail17trampoline_kernelINS0_14default_configENS1_27scan_by_key_config_selectorIiiEEZZNS1_16scan_by_key_implILNS1_25lookback_scan_determinismE0ELb0ES3_N6thrust23THRUST_200600_302600_NS6detail15normal_iteratorINS9_10device_ptrIiEEEESE_SE_iNS9_10multipliesIiEENS9_8equal_toIiEEiEE10hipError_tPvRmT2_T3_T4_T5_mT6_T7_P12ihipStream_tbENKUlT_T0_E_clISt17integral_constantIbLb0EESY_IbLb1EEEEDaSU_SV_EUlSU_E_NS1_11comp_targetILNS1_3genE9ELNS1_11target_archE1100ELNS1_3gpuE3ELNS1_3repE0EEENS1_30default_config_static_selectorELNS0_4arch9wavefront6targetE1EEEvT1_
		.amdhsa_group_segment_fixed_size 0
		.amdhsa_private_segment_fixed_size 0
		.amdhsa_kernarg_size 112
		.amdhsa_user_sgpr_count 2
		.amdhsa_user_sgpr_dispatch_ptr 0
		.amdhsa_user_sgpr_queue_ptr 0
		.amdhsa_user_sgpr_kernarg_segment_ptr 1
		.amdhsa_user_sgpr_dispatch_id 0
		.amdhsa_user_sgpr_kernarg_preload_length 0
		.amdhsa_user_sgpr_kernarg_preload_offset 0
		.amdhsa_user_sgpr_private_segment_size 0
		.amdhsa_uses_dynamic_stack 0
		.amdhsa_enable_private_segment 0
		.amdhsa_system_sgpr_workgroup_id_x 1
		.amdhsa_system_sgpr_workgroup_id_y 0
		.amdhsa_system_sgpr_workgroup_id_z 0
		.amdhsa_system_sgpr_workgroup_info 0
		.amdhsa_system_vgpr_workitem_id 0
		.amdhsa_next_free_vgpr 1
		.amdhsa_next_free_sgpr 0
		.amdhsa_accum_offset 4
		.amdhsa_reserve_vcc 0
		.amdhsa_float_round_mode_32 0
		.amdhsa_float_round_mode_16_64 0
		.amdhsa_float_denorm_mode_32 3
		.amdhsa_float_denorm_mode_16_64 3
		.amdhsa_dx10_clamp 1
		.amdhsa_ieee_mode 1
		.amdhsa_fp16_overflow 0
		.amdhsa_tg_split 0
		.amdhsa_exception_fp_ieee_invalid_op 0
		.amdhsa_exception_fp_denorm_src 0
		.amdhsa_exception_fp_ieee_div_zero 0
		.amdhsa_exception_fp_ieee_overflow 0
		.amdhsa_exception_fp_ieee_underflow 0
		.amdhsa_exception_fp_ieee_inexact 0
		.amdhsa_exception_int_div_zero 0
	.end_amdhsa_kernel
	.section	.text._ZN7rocprim17ROCPRIM_400000_NS6detail17trampoline_kernelINS0_14default_configENS1_27scan_by_key_config_selectorIiiEEZZNS1_16scan_by_key_implILNS1_25lookback_scan_determinismE0ELb0ES3_N6thrust23THRUST_200600_302600_NS6detail15normal_iteratorINS9_10device_ptrIiEEEESE_SE_iNS9_10multipliesIiEENS9_8equal_toIiEEiEE10hipError_tPvRmT2_T3_T4_T5_mT6_T7_P12ihipStream_tbENKUlT_T0_E_clISt17integral_constantIbLb0EESY_IbLb1EEEEDaSU_SV_EUlSU_E_NS1_11comp_targetILNS1_3genE9ELNS1_11target_archE1100ELNS1_3gpuE3ELNS1_3repE0EEENS1_30default_config_static_selectorELNS0_4arch9wavefront6targetE1EEEvT1_,"axG",@progbits,_ZN7rocprim17ROCPRIM_400000_NS6detail17trampoline_kernelINS0_14default_configENS1_27scan_by_key_config_selectorIiiEEZZNS1_16scan_by_key_implILNS1_25lookback_scan_determinismE0ELb0ES3_N6thrust23THRUST_200600_302600_NS6detail15normal_iteratorINS9_10device_ptrIiEEEESE_SE_iNS9_10multipliesIiEENS9_8equal_toIiEEiEE10hipError_tPvRmT2_T3_T4_T5_mT6_T7_P12ihipStream_tbENKUlT_T0_E_clISt17integral_constantIbLb0EESY_IbLb1EEEEDaSU_SV_EUlSU_E_NS1_11comp_targetILNS1_3genE9ELNS1_11target_archE1100ELNS1_3gpuE3ELNS1_3repE0EEENS1_30default_config_static_selectorELNS0_4arch9wavefront6targetE1EEEvT1_,comdat
.Lfunc_end198:
	.size	_ZN7rocprim17ROCPRIM_400000_NS6detail17trampoline_kernelINS0_14default_configENS1_27scan_by_key_config_selectorIiiEEZZNS1_16scan_by_key_implILNS1_25lookback_scan_determinismE0ELb0ES3_N6thrust23THRUST_200600_302600_NS6detail15normal_iteratorINS9_10device_ptrIiEEEESE_SE_iNS9_10multipliesIiEENS9_8equal_toIiEEiEE10hipError_tPvRmT2_T3_T4_T5_mT6_T7_P12ihipStream_tbENKUlT_T0_E_clISt17integral_constantIbLb0EESY_IbLb1EEEEDaSU_SV_EUlSU_E_NS1_11comp_targetILNS1_3genE9ELNS1_11target_archE1100ELNS1_3gpuE3ELNS1_3repE0EEENS1_30default_config_static_selectorELNS0_4arch9wavefront6targetE1EEEvT1_, .Lfunc_end198-_ZN7rocprim17ROCPRIM_400000_NS6detail17trampoline_kernelINS0_14default_configENS1_27scan_by_key_config_selectorIiiEEZZNS1_16scan_by_key_implILNS1_25lookback_scan_determinismE0ELb0ES3_N6thrust23THRUST_200600_302600_NS6detail15normal_iteratorINS9_10device_ptrIiEEEESE_SE_iNS9_10multipliesIiEENS9_8equal_toIiEEiEE10hipError_tPvRmT2_T3_T4_T5_mT6_T7_P12ihipStream_tbENKUlT_T0_E_clISt17integral_constantIbLb0EESY_IbLb1EEEEDaSU_SV_EUlSU_E_NS1_11comp_targetILNS1_3genE9ELNS1_11target_archE1100ELNS1_3gpuE3ELNS1_3repE0EEENS1_30default_config_static_selectorELNS0_4arch9wavefront6targetE1EEEvT1_
                                        ; -- End function
	.section	.AMDGPU.csdata,"",@progbits
; Kernel info:
; codeLenInByte = 0
; NumSgprs: 6
; NumVgprs: 0
; NumAgprs: 0
; TotalNumVgprs: 0
; ScratchSize: 0
; MemoryBound: 0
; FloatMode: 240
; IeeeMode: 1
; LDSByteSize: 0 bytes/workgroup (compile time only)
; SGPRBlocks: 0
; VGPRBlocks: 0
; NumSGPRsForWavesPerEU: 6
; NumVGPRsForWavesPerEU: 1
; AccumOffset: 4
; Occupancy: 8
; WaveLimiterHint : 0
; COMPUTE_PGM_RSRC2:SCRATCH_EN: 0
; COMPUTE_PGM_RSRC2:USER_SGPR: 2
; COMPUTE_PGM_RSRC2:TRAP_HANDLER: 0
; COMPUTE_PGM_RSRC2:TGID_X_EN: 1
; COMPUTE_PGM_RSRC2:TGID_Y_EN: 0
; COMPUTE_PGM_RSRC2:TGID_Z_EN: 0
; COMPUTE_PGM_RSRC2:TIDIG_COMP_CNT: 0
; COMPUTE_PGM_RSRC3_GFX90A:ACCUM_OFFSET: 0
; COMPUTE_PGM_RSRC3_GFX90A:TG_SPLIT: 0
	.section	.text._ZN7rocprim17ROCPRIM_400000_NS6detail17trampoline_kernelINS0_14default_configENS1_27scan_by_key_config_selectorIiiEEZZNS1_16scan_by_key_implILNS1_25lookback_scan_determinismE0ELb0ES3_N6thrust23THRUST_200600_302600_NS6detail15normal_iteratorINS9_10device_ptrIiEEEESE_SE_iNS9_10multipliesIiEENS9_8equal_toIiEEiEE10hipError_tPvRmT2_T3_T4_T5_mT6_T7_P12ihipStream_tbENKUlT_T0_E_clISt17integral_constantIbLb0EESY_IbLb1EEEEDaSU_SV_EUlSU_E_NS1_11comp_targetILNS1_3genE8ELNS1_11target_archE1030ELNS1_3gpuE2ELNS1_3repE0EEENS1_30default_config_static_selectorELNS0_4arch9wavefront6targetE1EEEvT1_,"axG",@progbits,_ZN7rocprim17ROCPRIM_400000_NS6detail17trampoline_kernelINS0_14default_configENS1_27scan_by_key_config_selectorIiiEEZZNS1_16scan_by_key_implILNS1_25lookback_scan_determinismE0ELb0ES3_N6thrust23THRUST_200600_302600_NS6detail15normal_iteratorINS9_10device_ptrIiEEEESE_SE_iNS9_10multipliesIiEENS9_8equal_toIiEEiEE10hipError_tPvRmT2_T3_T4_T5_mT6_T7_P12ihipStream_tbENKUlT_T0_E_clISt17integral_constantIbLb0EESY_IbLb1EEEEDaSU_SV_EUlSU_E_NS1_11comp_targetILNS1_3genE8ELNS1_11target_archE1030ELNS1_3gpuE2ELNS1_3repE0EEENS1_30default_config_static_selectorELNS0_4arch9wavefront6targetE1EEEvT1_,comdat
	.protected	_ZN7rocprim17ROCPRIM_400000_NS6detail17trampoline_kernelINS0_14default_configENS1_27scan_by_key_config_selectorIiiEEZZNS1_16scan_by_key_implILNS1_25lookback_scan_determinismE0ELb0ES3_N6thrust23THRUST_200600_302600_NS6detail15normal_iteratorINS9_10device_ptrIiEEEESE_SE_iNS9_10multipliesIiEENS9_8equal_toIiEEiEE10hipError_tPvRmT2_T3_T4_T5_mT6_T7_P12ihipStream_tbENKUlT_T0_E_clISt17integral_constantIbLb0EESY_IbLb1EEEEDaSU_SV_EUlSU_E_NS1_11comp_targetILNS1_3genE8ELNS1_11target_archE1030ELNS1_3gpuE2ELNS1_3repE0EEENS1_30default_config_static_selectorELNS0_4arch9wavefront6targetE1EEEvT1_ ; -- Begin function _ZN7rocprim17ROCPRIM_400000_NS6detail17trampoline_kernelINS0_14default_configENS1_27scan_by_key_config_selectorIiiEEZZNS1_16scan_by_key_implILNS1_25lookback_scan_determinismE0ELb0ES3_N6thrust23THRUST_200600_302600_NS6detail15normal_iteratorINS9_10device_ptrIiEEEESE_SE_iNS9_10multipliesIiEENS9_8equal_toIiEEiEE10hipError_tPvRmT2_T3_T4_T5_mT6_T7_P12ihipStream_tbENKUlT_T0_E_clISt17integral_constantIbLb0EESY_IbLb1EEEEDaSU_SV_EUlSU_E_NS1_11comp_targetILNS1_3genE8ELNS1_11target_archE1030ELNS1_3gpuE2ELNS1_3repE0EEENS1_30default_config_static_selectorELNS0_4arch9wavefront6targetE1EEEvT1_
	.globl	_ZN7rocprim17ROCPRIM_400000_NS6detail17trampoline_kernelINS0_14default_configENS1_27scan_by_key_config_selectorIiiEEZZNS1_16scan_by_key_implILNS1_25lookback_scan_determinismE0ELb0ES3_N6thrust23THRUST_200600_302600_NS6detail15normal_iteratorINS9_10device_ptrIiEEEESE_SE_iNS9_10multipliesIiEENS9_8equal_toIiEEiEE10hipError_tPvRmT2_T3_T4_T5_mT6_T7_P12ihipStream_tbENKUlT_T0_E_clISt17integral_constantIbLb0EESY_IbLb1EEEEDaSU_SV_EUlSU_E_NS1_11comp_targetILNS1_3genE8ELNS1_11target_archE1030ELNS1_3gpuE2ELNS1_3repE0EEENS1_30default_config_static_selectorELNS0_4arch9wavefront6targetE1EEEvT1_
	.p2align	8
	.type	_ZN7rocprim17ROCPRIM_400000_NS6detail17trampoline_kernelINS0_14default_configENS1_27scan_by_key_config_selectorIiiEEZZNS1_16scan_by_key_implILNS1_25lookback_scan_determinismE0ELb0ES3_N6thrust23THRUST_200600_302600_NS6detail15normal_iteratorINS9_10device_ptrIiEEEESE_SE_iNS9_10multipliesIiEENS9_8equal_toIiEEiEE10hipError_tPvRmT2_T3_T4_T5_mT6_T7_P12ihipStream_tbENKUlT_T0_E_clISt17integral_constantIbLb0EESY_IbLb1EEEEDaSU_SV_EUlSU_E_NS1_11comp_targetILNS1_3genE8ELNS1_11target_archE1030ELNS1_3gpuE2ELNS1_3repE0EEENS1_30default_config_static_selectorELNS0_4arch9wavefront6targetE1EEEvT1_,@function
_ZN7rocprim17ROCPRIM_400000_NS6detail17trampoline_kernelINS0_14default_configENS1_27scan_by_key_config_selectorIiiEEZZNS1_16scan_by_key_implILNS1_25lookback_scan_determinismE0ELb0ES3_N6thrust23THRUST_200600_302600_NS6detail15normal_iteratorINS9_10device_ptrIiEEEESE_SE_iNS9_10multipliesIiEENS9_8equal_toIiEEiEE10hipError_tPvRmT2_T3_T4_T5_mT6_T7_P12ihipStream_tbENKUlT_T0_E_clISt17integral_constantIbLb0EESY_IbLb1EEEEDaSU_SV_EUlSU_E_NS1_11comp_targetILNS1_3genE8ELNS1_11target_archE1030ELNS1_3gpuE2ELNS1_3repE0EEENS1_30default_config_static_selectorELNS0_4arch9wavefront6targetE1EEEvT1_: ; @_ZN7rocprim17ROCPRIM_400000_NS6detail17trampoline_kernelINS0_14default_configENS1_27scan_by_key_config_selectorIiiEEZZNS1_16scan_by_key_implILNS1_25lookback_scan_determinismE0ELb0ES3_N6thrust23THRUST_200600_302600_NS6detail15normal_iteratorINS9_10device_ptrIiEEEESE_SE_iNS9_10multipliesIiEENS9_8equal_toIiEEiEE10hipError_tPvRmT2_T3_T4_T5_mT6_T7_P12ihipStream_tbENKUlT_T0_E_clISt17integral_constantIbLb0EESY_IbLb1EEEEDaSU_SV_EUlSU_E_NS1_11comp_targetILNS1_3genE8ELNS1_11target_archE1030ELNS1_3gpuE2ELNS1_3repE0EEENS1_30default_config_static_selectorELNS0_4arch9wavefront6targetE1EEEvT1_
; %bb.0:
	.section	.rodata,"a",@progbits
	.p2align	6, 0x0
	.amdhsa_kernel _ZN7rocprim17ROCPRIM_400000_NS6detail17trampoline_kernelINS0_14default_configENS1_27scan_by_key_config_selectorIiiEEZZNS1_16scan_by_key_implILNS1_25lookback_scan_determinismE0ELb0ES3_N6thrust23THRUST_200600_302600_NS6detail15normal_iteratorINS9_10device_ptrIiEEEESE_SE_iNS9_10multipliesIiEENS9_8equal_toIiEEiEE10hipError_tPvRmT2_T3_T4_T5_mT6_T7_P12ihipStream_tbENKUlT_T0_E_clISt17integral_constantIbLb0EESY_IbLb1EEEEDaSU_SV_EUlSU_E_NS1_11comp_targetILNS1_3genE8ELNS1_11target_archE1030ELNS1_3gpuE2ELNS1_3repE0EEENS1_30default_config_static_selectorELNS0_4arch9wavefront6targetE1EEEvT1_
		.amdhsa_group_segment_fixed_size 0
		.amdhsa_private_segment_fixed_size 0
		.amdhsa_kernarg_size 112
		.amdhsa_user_sgpr_count 2
		.amdhsa_user_sgpr_dispatch_ptr 0
		.amdhsa_user_sgpr_queue_ptr 0
		.amdhsa_user_sgpr_kernarg_segment_ptr 1
		.amdhsa_user_sgpr_dispatch_id 0
		.amdhsa_user_sgpr_kernarg_preload_length 0
		.amdhsa_user_sgpr_kernarg_preload_offset 0
		.amdhsa_user_sgpr_private_segment_size 0
		.amdhsa_uses_dynamic_stack 0
		.amdhsa_enable_private_segment 0
		.amdhsa_system_sgpr_workgroup_id_x 1
		.amdhsa_system_sgpr_workgroup_id_y 0
		.amdhsa_system_sgpr_workgroup_id_z 0
		.amdhsa_system_sgpr_workgroup_info 0
		.amdhsa_system_vgpr_workitem_id 0
		.amdhsa_next_free_vgpr 1
		.amdhsa_next_free_sgpr 0
		.amdhsa_accum_offset 4
		.amdhsa_reserve_vcc 0
		.amdhsa_float_round_mode_32 0
		.amdhsa_float_round_mode_16_64 0
		.amdhsa_float_denorm_mode_32 3
		.amdhsa_float_denorm_mode_16_64 3
		.amdhsa_dx10_clamp 1
		.amdhsa_ieee_mode 1
		.amdhsa_fp16_overflow 0
		.amdhsa_tg_split 0
		.amdhsa_exception_fp_ieee_invalid_op 0
		.amdhsa_exception_fp_denorm_src 0
		.amdhsa_exception_fp_ieee_div_zero 0
		.amdhsa_exception_fp_ieee_overflow 0
		.amdhsa_exception_fp_ieee_underflow 0
		.amdhsa_exception_fp_ieee_inexact 0
		.amdhsa_exception_int_div_zero 0
	.end_amdhsa_kernel
	.section	.text._ZN7rocprim17ROCPRIM_400000_NS6detail17trampoline_kernelINS0_14default_configENS1_27scan_by_key_config_selectorIiiEEZZNS1_16scan_by_key_implILNS1_25lookback_scan_determinismE0ELb0ES3_N6thrust23THRUST_200600_302600_NS6detail15normal_iteratorINS9_10device_ptrIiEEEESE_SE_iNS9_10multipliesIiEENS9_8equal_toIiEEiEE10hipError_tPvRmT2_T3_T4_T5_mT6_T7_P12ihipStream_tbENKUlT_T0_E_clISt17integral_constantIbLb0EESY_IbLb1EEEEDaSU_SV_EUlSU_E_NS1_11comp_targetILNS1_3genE8ELNS1_11target_archE1030ELNS1_3gpuE2ELNS1_3repE0EEENS1_30default_config_static_selectorELNS0_4arch9wavefront6targetE1EEEvT1_,"axG",@progbits,_ZN7rocprim17ROCPRIM_400000_NS6detail17trampoline_kernelINS0_14default_configENS1_27scan_by_key_config_selectorIiiEEZZNS1_16scan_by_key_implILNS1_25lookback_scan_determinismE0ELb0ES3_N6thrust23THRUST_200600_302600_NS6detail15normal_iteratorINS9_10device_ptrIiEEEESE_SE_iNS9_10multipliesIiEENS9_8equal_toIiEEiEE10hipError_tPvRmT2_T3_T4_T5_mT6_T7_P12ihipStream_tbENKUlT_T0_E_clISt17integral_constantIbLb0EESY_IbLb1EEEEDaSU_SV_EUlSU_E_NS1_11comp_targetILNS1_3genE8ELNS1_11target_archE1030ELNS1_3gpuE2ELNS1_3repE0EEENS1_30default_config_static_selectorELNS0_4arch9wavefront6targetE1EEEvT1_,comdat
.Lfunc_end199:
	.size	_ZN7rocprim17ROCPRIM_400000_NS6detail17trampoline_kernelINS0_14default_configENS1_27scan_by_key_config_selectorIiiEEZZNS1_16scan_by_key_implILNS1_25lookback_scan_determinismE0ELb0ES3_N6thrust23THRUST_200600_302600_NS6detail15normal_iteratorINS9_10device_ptrIiEEEESE_SE_iNS9_10multipliesIiEENS9_8equal_toIiEEiEE10hipError_tPvRmT2_T3_T4_T5_mT6_T7_P12ihipStream_tbENKUlT_T0_E_clISt17integral_constantIbLb0EESY_IbLb1EEEEDaSU_SV_EUlSU_E_NS1_11comp_targetILNS1_3genE8ELNS1_11target_archE1030ELNS1_3gpuE2ELNS1_3repE0EEENS1_30default_config_static_selectorELNS0_4arch9wavefront6targetE1EEEvT1_, .Lfunc_end199-_ZN7rocprim17ROCPRIM_400000_NS6detail17trampoline_kernelINS0_14default_configENS1_27scan_by_key_config_selectorIiiEEZZNS1_16scan_by_key_implILNS1_25lookback_scan_determinismE0ELb0ES3_N6thrust23THRUST_200600_302600_NS6detail15normal_iteratorINS9_10device_ptrIiEEEESE_SE_iNS9_10multipliesIiEENS9_8equal_toIiEEiEE10hipError_tPvRmT2_T3_T4_T5_mT6_T7_P12ihipStream_tbENKUlT_T0_E_clISt17integral_constantIbLb0EESY_IbLb1EEEEDaSU_SV_EUlSU_E_NS1_11comp_targetILNS1_3genE8ELNS1_11target_archE1030ELNS1_3gpuE2ELNS1_3repE0EEENS1_30default_config_static_selectorELNS0_4arch9wavefront6targetE1EEEvT1_
                                        ; -- End function
	.section	.AMDGPU.csdata,"",@progbits
; Kernel info:
; codeLenInByte = 0
; NumSgprs: 6
; NumVgprs: 0
; NumAgprs: 0
; TotalNumVgprs: 0
; ScratchSize: 0
; MemoryBound: 0
; FloatMode: 240
; IeeeMode: 1
; LDSByteSize: 0 bytes/workgroup (compile time only)
; SGPRBlocks: 0
; VGPRBlocks: 0
; NumSGPRsForWavesPerEU: 6
; NumVGPRsForWavesPerEU: 1
; AccumOffset: 4
; Occupancy: 8
; WaveLimiterHint : 0
; COMPUTE_PGM_RSRC2:SCRATCH_EN: 0
; COMPUTE_PGM_RSRC2:USER_SGPR: 2
; COMPUTE_PGM_RSRC2:TRAP_HANDLER: 0
; COMPUTE_PGM_RSRC2:TGID_X_EN: 1
; COMPUTE_PGM_RSRC2:TGID_Y_EN: 0
; COMPUTE_PGM_RSRC2:TGID_Z_EN: 0
; COMPUTE_PGM_RSRC2:TIDIG_COMP_CNT: 0
; COMPUTE_PGM_RSRC3_GFX90A:ACCUM_OFFSET: 0
; COMPUTE_PGM_RSRC3_GFX90A:TG_SPLIT: 0
	.section	.text._ZN7rocprim17ROCPRIM_400000_NS6detail17trampoline_kernelINS0_14default_configENS1_27scan_by_key_config_selectorIiiEEZZNS1_16scan_by_key_implILNS1_25lookback_scan_determinismE0ELb0ES3_N6thrust23THRUST_200600_302600_NS6detail15normal_iteratorINS9_10device_ptrIiEEEESE_SE_iNS9_4plusIvEENS9_8equal_toIiEEiEE10hipError_tPvRmT2_T3_T4_T5_mT6_T7_P12ihipStream_tbENKUlT_T0_E_clISt17integral_constantIbLb0EESZ_EEDaSU_SV_EUlSU_E_NS1_11comp_targetILNS1_3genE0ELNS1_11target_archE4294967295ELNS1_3gpuE0ELNS1_3repE0EEENS1_30default_config_static_selectorELNS0_4arch9wavefront6targetE1EEEvT1_,"axG",@progbits,_ZN7rocprim17ROCPRIM_400000_NS6detail17trampoline_kernelINS0_14default_configENS1_27scan_by_key_config_selectorIiiEEZZNS1_16scan_by_key_implILNS1_25lookback_scan_determinismE0ELb0ES3_N6thrust23THRUST_200600_302600_NS6detail15normal_iteratorINS9_10device_ptrIiEEEESE_SE_iNS9_4plusIvEENS9_8equal_toIiEEiEE10hipError_tPvRmT2_T3_T4_T5_mT6_T7_P12ihipStream_tbENKUlT_T0_E_clISt17integral_constantIbLb0EESZ_EEDaSU_SV_EUlSU_E_NS1_11comp_targetILNS1_3genE0ELNS1_11target_archE4294967295ELNS1_3gpuE0ELNS1_3repE0EEENS1_30default_config_static_selectorELNS0_4arch9wavefront6targetE1EEEvT1_,comdat
	.protected	_ZN7rocprim17ROCPRIM_400000_NS6detail17trampoline_kernelINS0_14default_configENS1_27scan_by_key_config_selectorIiiEEZZNS1_16scan_by_key_implILNS1_25lookback_scan_determinismE0ELb0ES3_N6thrust23THRUST_200600_302600_NS6detail15normal_iteratorINS9_10device_ptrIiEEEESE_SE_iNS9_4plusIvEENS9_8equal_toIiEEiEE10hipError_tPvRmT2_T3_T4_T5_mT6_T7_P12ihipStream_tbENKUlT_T0_E_clISt17integral_constantIbLb0EESZ_EEDaSU_SV_EUlSU_E_NS1_11comp_targetILNS1_3genE0ELNS1_11target_archE4294967295ELNS1_3gpuE0ELNS1_3repE0EEENS1_30default_config_static_selectorELNS0_4arch9wavefront6targetE1EEEvT1_ ; -- Begin function _ZN7rocprim17ROCPRIM_400000_NS6detail17trampoline_kernelINS0_14default_configENS1_27scan_by_key_config_selectorIiiEEZZNS1_16scan_by_key_implILNS1_25lookback_scan_determinismE0ELb0ES3_N6thrust23THRUST_200600_302600_NS6detail15normal_iteratorINS9_10device_ptrIiEEEESE_SE_iNS9_4plusIvEENS9_8equal_toIiEEiEE10hipError_tPvRmT2_T3_T4_T5_mT6_T7_P12ihipStream_tbENKUlT_T0_E_clISt17integral_constantIbLb0EESZ_EEDaSU_SV_EUlSU_E_NS1_11comp_targetILNS1_3genE0ELNS1_11target_archE4294967295ELNS1_3gpuE0ELNS1_3repE0EEENS1_30default_config_static_selectorELNS0_4arch9wavefront6targetE1EEEvT1_
	.globl	_ZN7rocprim17ROCPRIM_400000_NS6detail17trampoline_kernelINS0_14default_configENS1_27scan_by_key_config_selectorIiiEEZZNS1_16scan_by_key_implILNS1_25lookback_scan_determinismE0ELb0ES3_N6thrust23THRUST_200600_302600_NS6detail15normal_iteratorINS9_10device_ptrIiEEEESE_SE_iNS9_4plusIvEENS9_8equal_toIiEEiEE10hipError_tPvRmT2_T3_T4_T5_mT6_T7_P12ihipStream_tbENKUlT_T0_E_clISt17integral_constantIbLb0EESZ_EEDaSU_SV_EUlSU_E_NS1_11comp_targetILNS1_3genE0ELNS1_11target_archE4294967295ELNS1_3gpuE0ELNS1_3repE0EEENS1_30default_config_static_selectorELNS0_4arch9wavefront6targetE1EEEvT1_
	.p2align	8
	.type	_ZN7rocprim17ROCPRIM_400000_NS6detail17trampoline_kernelINS0_14default_configENS1_27scan_by_key_config_selectorIiiEEZZNS1_16scan_by_key_implILNS1_25lookback_scan_determinismE0ELb0ES3_N6thrust23THRUST_200600_302600_NS6detail15normal_iteratorINS9_10device_ptrIiEEEESE_SE_iNS9_4plusIvEENS9_8equal_toIiEEiEE10hipError_tPvRmT2_T3_T4_T5_mT6_T7_P12ihipStream_tbENKUlT_T0_E_clISt17integral_constantIbLb0EESZ_EEDaSU_SV_EUlSU_E_NS1_11comp_targetILNS1_3genE0ELNS1_11target_archE4294967295ELNS1_3gpuE0ELNS1_3repE0EEENS1_30default_config_static_selectorELNS0_4arch9wavefront6targetE1EEEvT1_,@function
_ZN7rocprim17ROCPRIM_400000_NS6detail17trampoline_kernelINS0_14default_configENS1_27scan_by_key_config_selectorIiiEEZZNS1_16scan_by_key_implILNS1_25lookback_scan_determinismE0ELb0ES3_N6thrust23THRUST_200600_302600_NS6detail15normal_iteratorINS9_10device_ptrIiEEEESE_SE_iNS9_4plusIvEENS9_8equal_toIiEEiEE10hipError_tPvRmT2_T3_T4_T5_mT6_T7_P12ihipStream_tbENKUlT_T0_E_clISt17integral_constantIbLb0EESZ_EEDaSU_SV_EUlSU_E_NS1_11comp_targetILNS1_3genE0ELNS1_11target_archE4294967295ELNS1_3gpuE0ELNS1_3repE0EEENS1_30default_config_static_selectorELNS0_4arch9wavefront6targetE1EEEvT1_: ; @_ZN7rocprim17ROCPRIM_400000_NS6detail17trampoline_kernelINS0_14default_configENS1_27scan_by_key_config_selectorIiiEEZZNS1_16scan_by_key_implILNS1_25lookback_scan_determinismE0ELb0ES3_N6thrust23THRUST_200600_302600_NS6detail15normal_iteratorINS9_10device_ptrIiEEEESE_SE_iNS9_4plusIvEENS9_8equal_toIiEEiEE10hipError_tPvRmT2_T3_T4_T5_mT6_T7_P12ihipStream_tbENKUlT_T0_E_clISt17integral_constantIbLb0EESZ_EEDaSU_SV_EUlSU_E_NS1_11comp_targetILNS1_3genE0ELNS1_11target_archE4294967295ELNS1_3gpuE0ELNS1_3repE0EEENS1_30default_config_static_selectorELNS0_4arch9wavefront6targetE1EEEvT1_
; %bb.0:
	.section	.rodata,"a",@progbits
	.p2align	6, 0x0
	.amdhsa_kernel _ZN7rocprim17ROCPRIM_400000_NS6detail17trampoline_kernelINS0_14default_configENS1_27scan_by_key_config_selectorIiiEEZZNS1_16scan_by_key_implILNS1_25lookback_scan_determinismE0ELb0ES3_N6thrust23THRUST_200600_302600_NS6detail15normal_iteratorINS9_10device_ptrIiEEEESE_SE_iNS9_4plusIvEENS9_8equal_toIiEEiEE10hipError_tPvRmT2_T3_T4_T5_mT6_T7_P12ihipStream_tbENKUlT_T0_E_clISt17integral_constantIbLb0EESZ_EEDaSU_SV_EUlSU_E_NS1_11comp_targetILNS1_3genE0ELNS1_11target_archE4294967295ELNS1_3gpuE0ELNS1_3repE0EEENS1_30default_config_static_selectorELNS0_4arch9wavefront6targetE1EEEvT1_
		.amdhsa_group_segment_fixed_size 0
		.amdhsa_private_segment_fixed_size 0
		.amdhsa_kernarg_size 112
		.amdhsa_user_sgpr_count 2
		.amdhsa_user_sgpr_dispatch_ptr 0
		.amdhsa_user_sgpr_queue_ptr 0
		.amdhsa_user_sgpr_kernarg_segment_ptr 1
		.amdhsa_user_sgpr_dispatch_id 0
		.amdhsa_user_sgpr_kernarg_preload_length 0
		.amdhsa_user_sgpr_kernarg_preload_offset 0
		.amdhsa_user_sgpr_private_segment_size 0
		.amdhsa_uses_dynamic_stack 0
		.amdhsa_enable_private_segment 0
		.amdhsa_system_sgpr_workgroup_id_x 1
		.amdhsa_system_sgpr_workgroup_id_y 0
		.amdhsa_system_sgpr_workgroup_id_z 0
		.amdhsa_system_sgpr_workgroup_info 0
		.amdhsa_system_vgpr_workitem_id 0
		.amdhsa_next_free_vgpr 1
		.amdhsa_next_free_sgpr 0
		.amdhsa_accum_offset 4
		.amdhsa_reserve_vcc 0
		.amdhsa_float_round_mode_32 0
		.amdhsa_float_round_mode_16_64 0
		.amdhsa_float_denorm_mode_32 3
		.amdhsa_float_denorm_mode_16_64 3
		.amdhsa_dx10_clamp 1
		.amdhsa_ieee_mode 1
		.amdhsa_fp16_overflow 0
		.amdhsa_tg_split 0
		.amdhsa_exception_fp_ieee_invalid_op 0
		.amdhsa_exception_fp_denorm_src 0
		.amdhsa_exception_fp_ieee_div_zero 0
		.amdhsa_exception_fp_ieee_overflow 0
		.amdhsa_exception_fp_ieee_underflow 0
		.amdhsa_exception_fp_ieee_inexact 0
		.amdhsa_exception_int_div_zero 0
	.end_amdhsa_kernel
	.section	.text._ZN7rocprim17ROCPRIM_400000_NS6detail17trampoline_kernelINS0_14default_configENS1_27scan_by_key_config_selectorIiiEEZZNS1_16scan_by_key_implILNS1_25lookback_scan_determinismE0ELb0ES3_N6thrust23THRUST_200600_302600_NS6detail15normal_iteratorINS9_10device_ptrIiEEEESE_SE_iNS9_4plusIvEENS9_8equal_toIiEEiEE10hipError_tPvRmT2_T3_T4_T5_mT6_T7_P12ihipStream_tbENKUlT_T0_E_clISt17integral_constantIbLb0EESZ_EEDaSU_SV_EUlSU_E_NS1_11comp_targetILNS1_3genE0ELNS1_11target_archE4294967295ELNS1_3gpuE0ELNS1_3repE0EEENS1_30default_config_static_selectorELNS0_4arch9wavefront6targetE1EEEvT1_,"axG",@progbits,_ZN7rocprim17ROCPRIM_400000_NS6detail17trampoline_kernelINS0_14default_configENS1_27scan_by_key_config_selectorIiiEEZZNS1_16scan_by_key_implILNS1_25lookback_scan_determinismE0ELb0ES3_N6thrust23THRUST_200600_302600_NS6detail15normal_iteratorINS9_10device_ptrIiEEEESE_SE_iNS9_4plusIvEENS9_8equal_toIiEEiEE10hipError_tPvRmT2_T3_T4_T5_mT6_T7_P12ihipStream_tbENKUlT_T0_E_clISt17integral_constantIbLb0EESZ_EEDaSU_SV_EUlSU_E_NS1_11comp_targetILNS1_3genE0ELNS1_11target_archE4294967295ELNS1_3gpuE0ELNS1_3repE0EEENS1_30default_config_static_selectorELNS0_4arch9wavefront6targetE1EEEvT1_,comdat
.Lfunc_end200:
	.size	_ZN7rocprim17ROCPRIM_400000_NS6detail17trampoline_kernelINS0_14default_configENS1_27scan_by_key_config_selectorIiiEEZZNS1_16scan_by_key_implILNS1_25lookback_scan_determinismE0ELb0ES3_N6thrust23THRUST_200600_302600_NS6detail15normal_iteratorINS9_10device_ptrIiEEEESE_SE_iNS9_4plusIvEENS9_8equal_toIiEEiEE10hipError_tPvRmT2_T3_T4_T5_mT6_T7_P12ihipStream_tbENKUlT_T0_E_clISt17integral_constantIbLb0EESZ_EEDaSU_SV_EUlSU_E_NS1_11comp_targetILNS1_3genE0ELNS1_11target_archE4294967295ELNS1_3gpuE0ELNS1_3repE0EEENS1_30default_config_static_selectorELNS0_4arch9wavefront6targetE1EEEvT1_, .Lfunc_end200-_ZN7rocprim17ROCPRIM_400000_NS6detail17trampoline_kernelINS0_14default_configENS1_27scan_by_key_config_selectorIiiEEZZNS1_16scan_by_key_implILNS1_25lookback_scan_determinismE0ELb0ES3_N6thrust23THRUST_200600_302600_NS6detail15normal_iteratorINS9_10device_ptrIiEEEESE_SE_iNS9_4plusIvEENS9_8equal_toIiEEiEE10hipError_tPvRmT2_T3_T4_T5_mT6_T7_P12ihipStream_tbENKUlT_T0_E_clISt17integral_constantIbLb0EESZ_EEDaSU_SV_EUlSU_E_NS1_11comp_targetILNS1_3genE0ELNS1_11target_archE4294967295ELNS1_3gpuE0ELNS1_3repE0EEENS1_30default_config_static_selectorELNS0_4arch9wavefront6targetE1EEEvT1_
                                        ; -- End function
	.section	.AMDGPU.csdata,"",@progbits
; Kernel info:
; codeLenInByte = 0
; NumSgprs: 6
; NumVgprs: 0
; NumAgprs: 0
; TotalNumVgprs: 0
; ScratchSize: 0
; MemoryBound: 0
; FloatMode: 240
; IeeeMode: 1
; LDSByteSize: 0 bytes/workgroup (compile time only)
; SGPRBlocks: 0
; VGPRBlocks: 0
; NumSGPRsForWavesPerEU: 6
; NumVGPRsForWavesPerEU: 1
; AccumOffset: 4
; Occupancy: 8
; WaveLimiterHint : 0
; COMPUTE_PGM_RSRC2:SCRATCH_EN: 0
; COMPUTE_PGM_RSRC2:USER_SGPR: 2
; COMPUTE_PGM_RSRC2:TRAP_HANDLER: 0
; COMPUTE_PGM_RSRC2:TGID_X_EN: 1
; COMPUTE_PGM_RSRC2:TGID_Y_EN: 0
; COMPUTE_PGM_RSRC2:TGID_Z_EN: 0
; COMPUTE_PGM_RSRC2:TIDIG_COMP_CNT: 0
; COMPUTE_PGM_RSRC3_GFX90A:ACCUM_OFFSET: 0
; COMPUTE_PGM_RSRC3_GFX90A:TG_SPLIT: 0
	.section	.text._ZN7rocprim17ROCPRIM_400000_NS6detail17trampoline_kernelINS0_14default_configENS1_27scan_by_key_config_selectorIiiEEZZNS1_16scan_by_key_implILNS1_25lookback_scan_determinismE0ELb0ES3_N6thrust23THRUST_200600_302600_NS6detail15normal_iteratorINS9_10device_ptrIiEEEESE_SE_iNS9_4plusIvEENS9_8equal_toIiEEiEE10hipError_tPvRmT2_T3_T4_T5_mT6_T7_P12ihipStream_tbENKUlT_T0_E_clISt17integral_constantIbLb0EESZ_EEDaSU_SV_EUlSU_E_NS1_11comp_targetILNS1_3genE10ELNS1_11target_archE1201ELNS1_3gpuE5ELNS1_3repE0EEENS1_30default_config_static_selectorELNS0_4arch9wavefront6targetE1EEEvT1_,"axG",@progbits,_ZN7rocprim17ROCPRIM_400000_NS6detail17trampoline_kernelINS0_14default_configENS1_27scan_by_key_config_selectorIiiEEZZNS1_16scan_by_key_implILNS1_25lookback_scan_determinismE0ELb0ES3_N6thrust23THRUST_200600_302600_NS6detail15normal_iteratorINS9_10device_ptrIiEEEESE_SE_iNS9_4plusIvEENS9_8equal_toIiEEiEE10hipError_tPvRmT2_T3_T4_T5_mT6_T7_P12ihipStream_tbENKUlT_T0_E_clISt17integral_constantIbLb0EESZ_EEDaSU_SV_EUlSU_E_NS1_11comp_targetILNS1_3genE10ELNS1_11target_archE1201ELNS1_3gpuE5ELNS1_3repE0EEENS1_30default_config_static_selectorELNS0_4arch9wavefront6targetE1EEEvT1_,comdat
	.protected	_ZN7rocprim17ROCPRIM_400000_NS6detail17trampoline_kernelINS0_14default_configENS1_27scan_by_key_config_selectorIiiEEZZNS1_16scan_by_key_implILNS1_25lookback_scan_determinismE0ELb0ES3_N6thrust23THRUST_200600_302600_NS6detail15normal_iteratorINS9_10device_ptrIiEEEESE_SE_iNS9_4plusIvEENS9_8equal_toIiEEiEE10hipError_tPvRmT2_T3_T4_T5_mT6_T7_P12ihipStream_tbENKUlT_T0_E_clISt17integral_constantIbLb0EESZ_EEDaSU_SV_EUlSU_E_NS1_11comp_targetILNS1_3genE10ELNS1_11target_archE1201ELNS1_3gpuE5ELNS1_3repE0EEENS1_30default_config_static_selectorELNS0_4arch9wavefront6targetE1EEEvT1_ ; -- Begin function _ZN7rocprim17ROCPRIM_400000_NS6detail17trampoline_kernelINS0_14default_configENS1_27scan_by_key_config_selectorIiiEEZZNS1_16scan_by_key_implILNS1_25lookback_scan_determinismE0ELb0ES3_N6thrust23THRUST_200600_302600_NS6detail15normal_iteratorINS9_10device_ptrIiEEEESE_SE_iNS9_4plusIvEENS9_8equal_toIiEEiEE10hipError_tPvRmT2_T3_T4_T5_mT6_T7_P12ihipStream_tbENKUlT_T0_E_clISt17integral_constantIbLb0EESZ_EEDaSU_SV_EUlSU_E_NS1_11comp_targetILNS1_3genE10ELNS1_11target_archE1201ELNS1_3gpuE5ELNS1_3repE0EEENS1_30default_config_static_selectorELNS0_4arch9wavefront6targetE1EEEvT1_
	.globl	_ZN7rocprim17ROCPRIM_400000_NS6detail17trampoline_kernelINS0_14default_configENS1_27scan_by_key_config_selectorIiiEEZZNS1_16scan_by_key_implILNS1_25lookback_scan_determinismE0ELb0ES3_N6thrust23THRUST_200600_302600_NS6detail15normal_iteratorINS9_10device_ptrIiEEEESE_SE_iNS9_4plusIvEENS9_8equal_toIiEEiEE10hipError_tPvRmT2_T3_T4_T5_mT6_T7_P12ihipStream_tbENKUlT_T0_E_clISt17integral_constantIbLb0EESZ_EEDaSU_SV_EUlSU_E_NS1_11comp_targetILNS1_3genE10ELNS1_11target_archE1201ELNS1_3gpuE5ELNS1_3repE0EEENS1_30default_config_static_selectorELNS0_4arch9wavefront6targetE1EEEvT1_
	.p2align	8
	.type	_ZN7rocprim17ROCPRIM_400000_NS6detail17trampoline_kernelINS0_14default_configENS1_27scan_by_key_config_selectorIiiEEZZNS1_16scan_by_key_implILNS1_25lookback_scan_determinismE0ELb0ES3_N6thrust23THRUST_200600_302600_NS6detail15normal_iteratorINS9_10device_ptrIiEEEESE_SE_iNS9_4plusIvEENS9_8equal_toIiEEiEE10hipError_tPvRmT2_T3_T4_T5_mT6_T7_P12ihipStream_tbENKUlT_T0_E_clISt17integral_constantIbLb0EESZ_EEDaSU_SV_EUlSU_E_NS1_11comp_targetILNS1_3genE10ELNS1_11target_archE1201ELNS1_3gpuE5ELNS1_3repE0EEENS1_30default_config_static_selectorELNS0_4arch9wavefront6targetE1EEEvT1_,@function
_ZN7rocprim17ROCPRIM_400000_NS6detail17trampoline_kernelINS0_14default_configENS1_27scan_by_key_config_selectorIiiEEZZNS1_16scan_by_key_implILNS1_25lookback_scan_determinismE0ELb0ES3_N6thrust23THRUST_200600_302600_NS6detail15normal_iteratorINS9_10device_ptrIiEEEESE_SE_iNS9_4plusIvEENS9_8equal_toIiEEiEE10hipError_tPvRmT2_T3_T4_T5_mT6_T7_P12ihipStream_tbENKUlT_T0_E_clISt17integral_constantIbLb0EESZ_EEDaSU_SV_EUlSU_E_NS1_11comp_targetILNS1_3genE10ELNS1_11target_archE1201ELNS1_3gpuE5ELNS1_3repE0EEENS1_30default_config_static_selectorELNS0_4arch9wavefront6targetE1EEEvT1_: ; @_ZN7rocprim17ROCPRIM_400000_NS6detail17trampoline_kernelINS0_14default_configENS1_27scan_by_key_config_selectorIiiEEZZNS1_16scan_by_key_implILNS1_25lookback_scan_determinismE0ELb0ES3_N6thrust23THRUST_200600_302600_NS6detail15normal_iteratorINS9_10device_ptrIiEEEESE_SE_iNS9_4plusIvEENS9_8equal_toIiEEiEE10hipError_tPvRmT2_T3_T4_T5_mT6_T7_P12ihipStream_tbENKUlT_T0_E_clISt17integral_constantIbLb0EESZ_EEDaSU_SV_EUlSU_E_NS1_11comp_targetILNS1_3genE10ELNS1_11target_archE1201ELNS1_3gpuE5ELNS1_3repE0EEENS1_30default_config_static_selectorELNS0_4arch9wavefront6targetE1EEEvT1_
; %bb.0:
	.section	.rodata,"a",@progbits
	.p2align	6, 0x0
	.amdhsa_kernel _ZN7rocprim17ROCPRIM_400000_NS6detail17trampoline_kernelINS0_14default_configENS1_27scan_by_key_config_selectorIiiEEZZNS1_16scan_by_key_implILNS1_25lookback_scan_determinismE0ELb0ES3_N6thrust23THRUST_200600_302600_NS6detail15normal_iteratorINS9_10device_ptrIiEEEESE_SE_iNS9_4plusIvEENS9_8equal_toIiEEiEE10hipError_tPvRmT2_T3_T4_T5_mT6_T7_P12ihipStream_tbENKUlT_T0_E_clISt17integral_constantIbLb0EESZ_EEDaSU_SV_EUlSU_E_NS1_11comp_targetILNS1_3genE10ELNS1_11target_archE1201ELNS1_3gpuE5ELNS1_3repE0EEENS1_30default_config_static_selectorELNS0_4arch9wavefront6targetE1EEEvT1_
		.amdhsa_group_segment_fixed_size 0
		.amdhsa_private_segment_fixed_size 0
		.amdhsa_kernarg_size 112
		.amdhsa_user_sgpr_count 2
		.amdhsa_user_sgpr_dispatch_ptr 0
		.amdhsa_user_sgpr_queue_ptr 0
		.amdhsa_user_sgpr_kernarg_segment_ptr 1
		.amdhsa_user_sgpr_dispatch_id 0
		.amdhsa_user_sgpr_kernarg_preload_length 0
		.amdhsa_user_sgpr_kernarg_preload_offset 0
		.amdhsa_user_sgpr_private_segment_size 0
		.amdhsa_uses_dynamic_stack 0
		.amdhsa_enable_private_segment 0
		.amdhsa_system_sgpr_workgroup_id_x 1
		.amdhsa_system_sgpr_workgroup_id_y 0
		.amdhsa_system_sgpr_workgroup_id_z 0
		.amdhsa_system_sgpr_workgroup_info 0
		.amdhsa_system_vgpr_workitem_id 0
		.amdhsa_next_free_vgpr 1
		.amdhsa_next_free_sgpr 0
		.amdhsa_accum_offset 4
		.amdhsa_reserve_vcc 0
		.amdhsa_float_round_mode_32 0
		.amdhsa_float_round_mode_16_64 0
		.amdhsa_float_denorm_mode_32 3
		.amdhsa_float_denorm_mode_16_64 3
		.amdhsa_dx10_clamp 1
		.amdhsa_ieee_mode 1
		.amdhsa_fp16_overflow 0
		.amdhsa_tg_split 0
		.amdhsa_exception_fp_ieee_invalid_op 0
		.amdhsa_exception_fp_denorm_src 0
		.amdhsa_exception_fp_ieee_div_zero 0
		.amdhsa_exception_fp_ieee_overflow 0
		.amdhsa_exception_fp_ieee_underflow 0
		.amdhsa_exception_fp_ieee_inexact 0
		.amdhsa_exception_int_div_zero 0
	.end_amdhsa_kernel
	.section	.text._ZN7rocprim17ROCPRIM_400000_NS6detail17trampoline_kernelINS0_14default_configENS1_27scan_by_key_config_selectorIiiEEZZNS1_16scan_by_key_implILNS1_25lookback_scan_determinismE0ELb0ES3_N6thrust23THRUST_200600_302600_NS6detail15normal_iteratorINS9_10device_ptrIiEEEESE_SE_iNS9_4plusIvEENS9_8equal_toIiEEiEE10hipError_tPvRmT2_T3_T4_T5_mT6_T7_P12ihipStream_tbENKUlT_T0_E_clISt17integral_constantIbLb0EESZ_EEDaSU_SV_EUlSU_E_NS1_11comp_targetILNS1_3genE10ELNS1_11target_archE1201ELNS1_3gpuE5ELNS1_3repE0EEENS1_30default_config_static_selectorELNS0_4arch9wavefront6targetE1EEEvT1_,"axG",@progbits,_ZN7rocprim17ROCPRIM_400000_NS6detail17trampoline_kernelINS0_14default_configENS1_27scan_by_key_config_selectorIiiEEZZNS1_16scan_by_key_implILNS1_25lookback_scan_determinismE0ELb0ES3_N6thrust23THRUST_200600_302600_NS6detail15normal_iteratorINS9_10device_ptrIiEEEESE_SE_iNS9_4plusIvEENS9_8equal_toIiEEiEE10hipError_tPvRmT2_T3_T4_T5_mT6_T7_P12ihipStream_tbENKUlT_T0_E_clISt17integral_constantIbLb0EESZ_EEDaSU_SV_EUlSU_E_NS1_11comp_targetILNS1_3genE10ELNS1_11target_archE1201ELNS1_3gpuE5ELNS1_3repE0EEENS1_30default_config_static_selectorELNS0_4arch9wavefront6targetE1EEEvT1_,comdat
.Lfunc_end201:
	.size	_ZN7rocprim17ROCPRIM_400000_NS6detail17trampoline_kernelINS0_14default_configENS1_27scan_by_key_config_selectorIiiEEZZNS1_16scan_by_key_implILNS1_25lookback_scan_determinismE0ELb0ES3_N6thrust23THRUST_200600_302600_NS6detail15normal_iteratorINS9_10device_ptrIiEEEESE_SE_iNS9_4plusIvEENS9_8equal_toIiEEiEE10hipError_tPvRmT2_T3_T4_T5_mT6_T7_P12ihipStream_tbENKUlT_T0_E_clISt17integral_constantIbLb0EESZ_EEDaSU_SV_EUlSU_E_NS1_11comp_targetILNS1_3genE10ELNS1_11target_archE1201ELNS1_3gpuE5ELNS1_3repE0EEENS1_30default_config_static_selectorELNS0_4arch9wavefront6targetE1EEEvT1_, .Lfunc_end201-_ZN7rocprim17ROCPRIM_400000_NS6detail17trampoline_kernelINS0_14default_configENS1_27scan_by_key_config_selectorIiiEEZZNS1_16scan_by_key_implILNS1_25lookback_scan_determinismE0ELb0ES3_N6thrust23THRUST_200600_302600_NS6detail15normal_iteratorINS9_10device_ptrIiEEEESE_SE_iNS9_4plusIvEENS9_8equal_toIiEEiEE10hipError_tPvRmT2_T3_T4_T5_mT6_T7_P12ihipStream_tbENKUlT_T0_E_clISt17integral_constantIbLb0EESZ_EEDaSU_SV_EUlSU_E_NS1_11comp_targetILNS1_3genE10ELNS1_11target_archE1201ELNS1_3gpuE5ELNS1_3repE0EEENS1_30default_config_static_selectorELNS0_4arch9wavefront6targetE1EEEvT1_
                                        ; -- End function
	.section	.AMDGPU.csdata,"",@progbits
; Kernel info:
; codeLenInByte = 0
; NumSgprs: 6
; NumVgprs: 0
; NumAgprs: 0
; TotalNumVgprs: 0
; ScratchSize: 0
; MemoryBound: 0
; FloatMode: 240
; IeeeMode: 1
; LDSByteSize: 0 bytes/workgroup (compile time only)
; SGPRBlocks: 0
; VGPRBlocks: 0
; NumSGPRsForWavesPerEU: 6
; NumVGPRsForWavesPerEU: 1
; AccumOffset: 4
; Occupancy: 8
; WaveLimiterHint : 0
; COMPUTE_PGM_RSRC2:SCRATCH_EN: 0
; COMPUTE_PGM_RSRC2:USER_SGPR: 2
; COMPUTE_PGM_RSRC2:TRAP_HANDLER: 0
; COMPUTE_PGM_RSRC2:TGID_X_EN: 1
; COMPUTE_PGM_RSRC2:TGID_Y_EN: 0
; COMPUTE_PGM_RSRC2:TGID_Z_EN: 0
; COMPUTE_PGM_RSRC2:TIDIG_COMP_CNT: 0
; COMPUTE_PGM_RSRC3_GFX90A:ACCUM_OFFSET: 0
; COMPUTE_PGM_RSRC3_GFX90A:TG_SPLIT: 0
	.section	.text._ZN7rocprim17ROCPRIM_400000_NS6detail17trampoline_kernelINS0_14default_configENS1_27scan_by_key_config_selectorIiiEEZZNS1_16scan_by_key_implILNS1_25lookback_scan_determinismE0ELb0ES3_N6thrust23THRUST_200600_302600_NS6detail15normal_iteratorINS9_10device_ptrIiEEEESE_SE_iNS9_4plusIvEENS9_8equal_toIiEEiEE10hipError_tPvRmT2_T3_T4_T5_mT6_T7_P12ihipStream_tbENKUlT_T0_E_clISt17integral_constantIbLb0EESZ_EEDaSU_SV_EUlSU_E_NS1_11comp_targetILNS1_3genE5ELNS1_11target_archE942ELNS1_3gpuE9ELNS1_3repE0EEENS1_30default_config_static_selectorELNS0_4arch9wavefront6targetE1EEEvT1_,"axG",@progbits,_ZN7rocprim17ROCPRIM_400000_NS6detail17trampoline_kernelINS0_14default_configENS1_27scan_by_key_config_selectorIiiEEZZNS1_16scan_by_key_implILNS1_25lookback_scan_determinismE0ELb0ES3_N6thrust23THRUST_200600_302600_NS6detail15normal_iteratorINS9_10device_ptrIiEEEESE_SE_iNS9_4plusIvEENS9_8equal_toIiEEiEE10hipError_tPvRmT2_T3_T4_T5_mT6_T7_P12ihipStream_tbENKUlT_T0_E_clISt17integral_constantIbLb0EESZ_EEDaSU_SV_EUlSU_E_NS1_11comp_targetILNS1_3genE5ELNS1_11target_archE942ELNS1_3gpuE9ELNS1_3repE0EEENS1_30default_config_static_selectorELNS0_4arch9wavefront6targetE1EEEvT1_,comdat
	.protected	_ZN7rocprim17ROCPRIM_400000_NS6detail17trampoline_kernelINS0_14default_configENS1_27scan_by_key_config_selectorIiiEEZZNS1_16scan_by_key_implILNS1_25lookback_scan_determinismE0ELb0ES3_N6thrust23THRUST_200600_302600_NS6detail15normal_iteratorINS9_10device_ptrIiEEEESE_SE_iNS9_4plusIvEENS9_8equal_toIiEEiEE10hipError_tPvRmT2_T3_T4_T5_mT6_T7_P12ihipStream_tbENKUlT_T0_E_clISt17integral_constantIbLb0EESZ_EEDaSU_SV_EUlSU_E_NS1_11comp_targetILNS1_3genE5ELNS1_11target_archE942ELNS1_3gpuE9ELNS1_3repE0EEENS1_30default_config_static_selectorELNS0_4arch9wavefront6targetE1EEEvT1_ ; -- Begin function _ZN7rocprim17ROCPRIM_400000_NS6detail17trampoline_kernelINS0_14default_configENS1_27scan_by_key_config_selectorIiiEEZZNS1_16scan_by_key_implILNS1_25lookback_scan_determinismE0ELb0ES3_N6thrust23THRUST_200600_302600_NS6detail15normal_iteratorINS9_10device_ptrIiEEEESE_SE_iNS9_4plusIvEENS9_8equal_toIiEEiEE10hipError_tPvRmT2_T3_T4_T5_mT6_T7_P12ihipStream_tbENKUlT_T0_E_clISt17integral_constantIbLb0EESZ_EEDaSU_SV_EUlSU_E_NS1_11comp_targetILNS1_3genE5ELNS1_11target_archE942ELNS1_3gpuE9ELNS1_3repE0EEENS1_30default_config_static_selectorELNS0_4arch9wavefront6targetE1EEEvT1_
	.globl	_ZN7rocprim17ROCPRIM_400000_NS6detail17trampoline_kernelINS0_14default_configENS1_27scan_by_key_config_selectorIiiEEZZNS1_16scan_by_key_implILNS1_25lookback_scan_determinismE0ELb0ES3_N6thrust23THRUST_200600_302600_NS6detail15normal_iteratorINS9_10device_ptrIiEEEESE_SE_iNS9_4plusIvEENS9_8equal_toIiEEiEE10hipError_tPvRmT2_T3_T4_T5_mT6_T7_P12ihipStream_tbENKUlT_T0_E_clISt17integral_constantIbLb0EESZ_EEDaSU_SV_EUlSU_E_NS1_11comp_targetILNS1_3genE5ELNS1_11target_archE942ELNS1_3gpuE9ELNS1_3repE0EEENS1_30default_config_static_selectorELNS0_4arch9wavefront6targetE1EEEvT1_
	.p2align	8
	.type	_ZN7rocprim17ROCPRIM_400000_NS6detail17trampoline_kernelINS0_14default_configENS1_27scan_by_key_config_selectorIiiEEZZNS1_16scan_by_key_implILNS1_25lookback_scan_determinismE0ELb0ES3_N6thrust23THRUST_200600_302600_NS6detail15normal_iteratorINS9_10device_ptrIiEEEESE_SE_iNS9_4plusIvEENS9_8equal_toIiEEiEE10hipError_tPvRmT2_T3_T4_T5_mT6_T7_P12ihipStream_tbENKUlT_T0_E_clISt17integral_constantIbLb0EESZ_EEDaSU_SV_EUlSU_E_NS1_11comp_targetILNS1_3genE5ELNS1_11target_archE942ELNS1_3gpuE9ELNS1_3repE0EEENS1_30default_config_static_selectorELNS0_4arch9wavefront6targetE1EEEvT1_,@function
_ZN7rocprim17ROCPRIM_400000_NS6detail17trampoline_kernelINS0_14default_configENS1_27scan_by_key_config_selectorIiiEEZZNS1_16scan_by_key_implILNS1_25lookback_scan_determinismE0ELb0ES3_N6thrust23THRUST_200600_302600_NS6detail15normal_iteratorINS9_10device_ptrIiEEEESE_SE_iNS9_4plusIvEENS9_8equal_toIiEEiEE10hipError_tPvRmT2_T3_T4_T5_mT6_T7_P12ihipStream_tbENKUlT_T0_E_clISt17integral_constantIbLb0EESZ_EEDaSU_SV_EUlSU_E_NS1_11comp_targetILNS1_3genE5ELNS1_11target_archE942ELNS1_3gpuE9ELNS1_3repE0EEENS1_30default_config_static_selectorELNS0_4arch9wavefront6targetE1EEEvT1_: ; @_ZN7rocprim17ROCPRIM_400000_NS6detail17trampoline_kernelINS0_14default_configENS1_27scan_by_key_config_selectorIiiEEZZNS1_16scan_by_key_implILNS1_25lookback_scan_determinismE0ELb0ES3_N6thrust23THRUST_200600_302600_NS6detail15normal_iteratorINS9_10device_ptrIiEEEESE_SE_iNS9_4plusIvEENS9_8equal_toIiEEiEE10hipError_tPvRmT2_T3_T4_T5_mT6_T7_P12ihipStream_tbENKUlT_T0_E_clISt17integral_constantIbLb0EESZ_EEDaSU_SV_EUlSU_E_NS1_11comp_targetILNS1_3genE5ELNS1_11target_archE942ELNS1_3gpuE9ELNS1_3repE0EEENS1_30default_config_static_selectorELNS0_4arch9wavefront6targetE1EEEvT1_
; %bb.0:
	s_load_dwordx8 s[52:59], s[0:1], 0x0
	s_load_dwordx4 s[68:71], s[0:1], 0x28
	s_load_dwordx2 s[74:75], s[0:1], 0x38
	s_load_dword s3, s[0:1], 0x40
	s_load_dwordx8 s[60:67], s[0:1], 0x48
	s_waitcnt lgkmcnt(0)
	s_lshl_b64 s[72:73], s[54:55], 2
	s_add_u32 s4, s52, s72
	s_addc_u32 s5, s53, s73
	s_add_u32 s6, s56, s72
	s_mul_i32 s0, s75, s3
	s_mul_hi_u32 s1, s74, s3
	s_addc_u32 s7, s57, s73
	s_add_i32 s8, s1, s0
	s_cmp_lg_u64 s[64:65], 0
	s_mul_i32 s0, s2, 0x1700
	s_mov_b32 s1, 0
	s_cselect_b64 s[64:65], -1, 0
	s_lshl_b64 s[56:57], s[0:1], 2
	s_add_u32 s54, s4, s56
	s_addc_u32 s55, s5, s57
	s_add_u32 s52, s6, s56
	s_mul_i32 s3, s74, s3
	s_addc_u32 s53, s7, s57
	s_add_u32 s76, s3, s2
	s_addc_u32 s77, s8, 0
	s_add_u32 s4, s60, -1
	s_addc_u32 s5, s61, -1
	v_mov_b64_e32 v[2:3], s[4:5]
	v_cmp_ge_u64_e64 s[0:1], s[76:77], v[2:3]
	s_mov_b64 s[10:11], 0
	s_mov_b64 s[6:7], -1
	s_and_b64 vcc, exec, s[0:1]
	s_mul_i32 s33, s4, 0xffffe900
	s_barrier
	s_cbranch_vccz .LBB202_122
; %bb.1:
	v_mov_b64_e32 v[2:3], s[54:55]
	flat_load_dword v1, v[2:3]
	s_add_i32 s3, s33, s70
	v_cmp_gt_u32_e64 s[50:51], s3, v0
	s_waitcnt vmcnt(0) lgkmcnt(0)
	v_mov_b32_e32 v4, v1
	s_and_saveexec_b64 s[4:5], s[50:51]
	s_cbranch_execz .LBB202_3
; %bb.2:
	v_lshlrev_b32_e32 v2, 2, v0
	v_mov_b32_e32 v3, 0
	v_lshl_add_u64 v[2:3], s[54:55], 0, v[2:3]
	flat_load_dword v4, v[2:3]
.LBB202_3:
	s_or_b64 exec, exec, s[4:5]
	v_or_b32_e32 v2, 0x100, v0
	v_cmp_gt_u32_e64 s[4:5], s3, v2
	v_mov_b32_e32 v5, v1
	s_and_saveexec_b64 s[6:7], s[4:5]
	s_cbranch_execz .LBB202_5
; %bb.4:
	v_lshlrev_b32_e32 v2, 2, v0
	v_mov_b32_e32 v3, 0
	v_lshl_add_u64 v[2:3], s[54:55], 0, v[2:3]
	flat_load_dword v5, v[2:3] offset:1024
.LBB202_5:
	s_or_b64 exec, exec, s[6:7]
	v_or_b32_e32 v2, 0x200, v0
	v_cmp_gt_u32_e64 s[6:7], s3, v2
	v_mov_b32_e32 v6, v1
	s_and_saveexec_b64 s[8:9], s[6:7]
	s_cbranch_execz .LBB202_7
; %bb.6:
	v_lshlrev_b32_e32 v2, 2, v0
	v_mov_b32_e32 v3, 0
	v_lshl_add_u64 v[2:3], s[54:55], 0, v[2:3]
	flat_load_dword v6, v[2:3] offset:2048
.LBB202_7:
	;; [unrolled: 12-line block ×3, first 2 shown]
	s_or_b64 exec, exec, s[10:11]
	v_or_b32_e32 v2, 0x400, v0
	v_cmp_gt_u32_e64 s[10:11], s3, v2
	v_lshlrev_b32_e32 v2, 2, v2
	v_mov_b32_e32 v3, v1
	s_and_saveexec_b64 s[12:13], s[10:11]
	s_cbranch_execz .LBB202_11
; %bb.10:
	v_mov_b32_e32 v3, 0
	v_lshl_add_u64 v[8:9], s[54:55], 0, v[2:3]
	flat_load_dword v3, v[8:9]
.LBB202_11:
	s_or_b64 exec, exec, s[12:13]
	v_or_b32_e32 v8, 0x500, v0
	v_cmp_gt_u32_e64 s[12:13], s3, v8
	v_lshlrev_b32_e32 v10, 2, v8
	v_mov_b32_e32 v8, v1
	s_and_saveexec_b64 s[14:15], s[12:13]
	s_cbranch_execz .LBB202_13
; %bb.12:
	v_mov_b32_e32 v11, 0
	v_lshl_add_u64 v[8:9], s[54:55], 0, v[10:11]
	flat_load_dword v8, v[8:9]
.LBB202_13:
	;; [unrolled: 12-line block ×18, first 2 shown]
	s_or_b64 exec, exec, s[48:49]
	v_or_b32_e32 v41, 0x1600, v0
	v_cmp_gt_u32_e64 s[48:49], s3, v41
	v_lshlrev_b32_e32 v46, 2, v41
	s_and_saveexec_b64 s[60:61], s[48:49]
	s_cbranch_execz .LBB202_47
; %bb.46:
	v_mov_b32_e32 v47, 0
	v_lshl_add_u64 v[44:45], s[54:55], 0, v[46:47]
	flat_load_dword v1, v[44:45]
.LBB202_47:
	s_or_b64 exec, exec, s[60:61]
	v_lshlrev_b32_e32 v44, 2, v0
	s_movk_i32 s60, 0x58
	s_waitcnt vmcnt(0) lgkmcnt(0)
	ds_write2st64_b32 v44, v4, v5 offset1:4
	ds_write2st64_b32 v44, v6, v7 offset0:8 offset1:12
	ds_write2st64_b32 v44, v3, v8 offset0:16 offset1:20
	;; [unrolled: 1-line block ×10, first 2 shown]
	ds_write_b32 v44, v1 offset:22528
	v_mad_u32_u24 v1, v0, s60, v44
	s_waitcnt lgkmcnt(0)
	s_barrier
	ds_read2_b32 v[68:69], v1 offset1:1
	ds_read2_b32 v[66:67], v1 offset0:2 offset1:3
	ds_read2_b32 v[64:65], v1 offset0:4 offset1:5
	;; [unrolled: 1-line block ×10, first 2 shown]
	ds_read_b32 v72, v1 offset:88
	s_cmp_eq_u64 s[76:77], 0
	s_mov_b64 s[60:61], s[54:55]
	s_cbranch_scc1 .LBB202_51
; %bb.48:
	s_andn2_b64 vcc, exec, s[64:65]
	s_cbranch_vccnz .LBB202_263
; %bb.49:
	s_lshl_b64 s[60:61], s[76:77], 2
	s_add_u32 s60, s66, s60
	s_addc_u32 s61, s67, s61
	s_add_u32 s60, s60, -4
	s_addc_u32 s61, s61, -1
	s_cbranch_execnz .LBB202_51
.LBB202_50:
	s_add_u32 s60, s54, -4
	s_addc_u32 s61, s55, -1
.LBB202_51:
	v_mov_b64_e32 v[48:49], s[60:61]
	flat_load_dword v70, v[48:49]
	s_movk_i32 s60, 0xffa8
	v_mad_i32_i24 v3, v0, s60, v1
	v_cmp_ne_u32_e32 vcc, 0, v0
	s_waitcnt lgkmcnt(0)
	ds_write_b32 v3, v72 offset:23552
	s_waitcnt lgkmcnt(0)
	s_barrier
	s_and_saveexec_b64 s[60:61], vcc
	s_cbranch_execz .LBB202_53
; %bb.52:
	v_mul_i32_i24_e32 v3, 0xffffffa8, v0
	v_add_u32_e32 v3, v1, v3
	s_waitcnt vmcnt(0)
	ds_read_b32 v70, v3 offset:23548
.LBB202_53:
	s_or_b64 exec, exec, s[60:61]
	v_mov_b32_e32 v45, 0
	s_waitcnt lgkmcnt(0)
	s_barrier
	s_waitcnt lgkmcnt(0)
                                        ; implicit-def: $vgpr48
	s_and_saveexec_b64 s[60:61], s[50:51]
	s_cbranch_execnz .LBB202_239
; %bb.54:
	s_or_b64 exec, exec, s[60:61]
                                        ; implicit-def: $vgpr49
	s_and_saveexec_b64 s[50:51], s[4:5]
	s_cbranch_execnz .LBB202_240
.LBB202_55:
	s_or_b64 exec, exec, s[50:51]
                                        ; implicit-def: $vgpr50
	s_and_saveexec_b64 s[4:5], s[6:7]
	s_cbranch_execnz .LBB202_241
.LBB202_56:
	s_or_b64 exec, exec, s[4:5]
                                        ; implicit-def: $vgpr45
	s_and_saveexec_b64 s[4:5], s[8:9]
	s_cbranch_execnz .LBB202_242
.LBB202_57:
	s_or_b64 exec, exec, s[4:5]
                                        ; implicit-def: $vgpr3
	s_and_saveexec_b64 s[4:5], s[10:11]
	s_cbranch_execnz .LBB202_243
.LBB202_58:
	s_or_b64 exec, exec, s[4:5]
                                        ; implicit-def: $vgpr2
	s_and_saveexec_b64 s[4:5], s[12:13]
	s_cbranch_execnz .LBB202_244
.LBB202_59:
	s_or_b64 exec, exec, s[4:5]
                                        ; implicit-def: $vgpr10
	s_and_saveexec_b64 s[4:5], s[14:15]
	s_cbranch_execnz .LBB202_245
.LBB202_60:
	s_or_b64 exec, exec, s[4:5]
                                        ; implicit-def: $vgpr11
	s_and_saveexec_b64 s[4:5], s[16:17]
	s_cbranch_execnz .LBB202_246
.LBB202_61:
	s_or_b64 exec, exec, s[4:5]
                                        ; implicit-def: $vgpr12
	s_and_saveexec_b64 s[4:5], s[18:19]
	s_cbranch_execnz .LBB202_247
.LBB202_62:
	s_or_b64 exec, exec, s[4:5]
                                        ; implicit-def: $vgpr13
	s_and_saveexec_b64 s[4:5], s[20:21]
	s_cbranch_execnz .LBB202_248
.LBB202_63:
	s_or_b64 exec, exec, s[4:5]
                                        ; implicit-def: $vgpr14
	s_and_saveexec_b64 s[4:5], s[22:23]
	s_cbranch_execnz .LBB202_249
.LBB202_64:
	s_or_b64 exec, exec, s[4:5]
                                        ; implicit-def: $vgpr15
	s_and_saveexec_b64 s[4:5], s[24:25]
	s_cbranch_execnz .LBB202_250
.LBB202_65:
	s_or_b64 exec, exec, s[4:5]
                                        ; implicit-def: $vgpr16
	s_and_saveexec_b64 s[4:5], s[26:27]
	s_cbranch_execnz .LBB202_251
.LBB202_66:
	s_or_b64 exec, exec, s[4:5]
                                        ; implicit-def: $vgpr17
	s_and_saveexec_b64 s[4:5], s[28:29]
	s_cbranch_execnz .LBB202_252
.LBB202_67:
	s_or_b64 exec, exec, s[4:5]
                                        ; implicit-def: $vgpr18
	s_and_saveexec_b64 s[4:5], s[30:31]
	s_cbranch_execnz .LBB202_253
.LBB202_68:
	s_or_b64 exec, exec, s[4:5]
                                        ; implicit-def: $vgpr19
	s_and_saveexec_b64 s[4:5], s[34:35]
	s_cbranch_execnz .LBB202_254
.LBB202_69:
	s_or_b64 exec, exec, s[4:5]
                                        ; implicit-def: $vgpr20
	s_and_saveexec_b64 s[4:5], s[36:37]
	s_cbranch_execnz .LBB202_255
.LBB202_70:
	s_or_b64 exec, exec, s[4:5]
                                        ; implicit-def: $vgpr21
	s_and_saveexec_b64 s[4:5], s[38:39]
	s_cbranch_execnz .LBB202_256
.LBB202_71:
	s_or_b64 exec, exec, s[4:5]
                                        ; implicit-def: $vgpr22
	s_and_saveexec_b64 s[4:5], s[40:41]
	s_cbranch_execnz .LBB202_257
.LBB202_72:
	s_or_b64 exec, exec, s[4:5]
                                        ; implicit-def: $vgpr23
	s_and_saveexec_b64 s[4:5], s[42:43]
	s_cbranch_execnz .LBB202_258
.LBB202_73:
	s_or_b64 exec, exec, s[4:5]
                                        ; implicit-def: $vgpr24
	s_and_saveexec_b64 s[4:5], s[44:45]
	s_cbranch_execnz .LBB202_259
.LBB202_74:
	s_or_b64 exec, exec, s[4:5]
                                        ; implicit-def: $vgpr25
	s_and_saveexec_b64 s[4:5], s[46:47]
	s_cbranch_execnz .LBB202_260
.LBB202_75:
	s_or_b64 exec, exec, s[4:5]
                                        ; implicit-def: $vgpr26
	s_and_saveexec_b64 s[4:5], s[48:49]
	s_cbranch_execz .LBB202_77
.LBB202_76:
	v_mov_b32_e32 v47, 0
	v_lshl_add_u64 v[26:27], s[52:53], 0, v[46:47]
	flat_load_dword v26, v[26:27]
.LBB202_77:
	s_or_b64 exec, exec, s[4:5]
	v_mul_u32_u24_e32 v73, 23, v0
	s_waitcnt vmcnt(0) lgkmcnt(0)
	ds_write2st64_b32 v44, v48, v49 offset1:4
	ds_write2st64_b32 v44, v50, v45 offset0:8 offset1:12
	ds_write2st64_b32 v44, v3, v2 offset0:16 offset1:20
	;; [unrolled: 1-line block ×10, first 2 shown]
	ds_write_b32 v44, v26 offset:22528
	v_mov_b64_e32 v[10:11], 0
	v_cmp_gt_u32_e32 vcc, s3, v73
	s_mov_b64 s[10:11], 0
	s_mov_b64 s[6:7], 0
	v_mov_b64_e32 v[12:13], v[10:11]
	v_mov_b64_e32 v[14:15], v[10:11]
	;; [unrolled: 1-line block ×21, first 2 shown]
	s_waitcnt lgkmcnt(0)
	s_barrier
	s_waitcnt lgkmcnt(0)
                                        ; implicit-def: $sgpr4_sgpr5
                                        ; implicit-def: $vgpr3
	s_and_saveexec_b64 s[8:9], vcc
	s_cbranch_execz .LBB202_121
; %bb.78:
	ds_read_b32 v10, v1
	v_add_u32_e32 v2, 1, v73
	v_cmp_ne_u32_e32 vcc, v70, v68
	v_mov_b64_e32 v[12:13], 0
	s_mov_b64 s[12:13], 0
	v_cndmask_b32_e64 v11, 0, 1, vcc
	v_cmp_gt_u32_e32 vcc, s3, v2
	s_mov_b64 s[4:5], 0
	v_mov_b64_e32 v[14:15], v[12:13]
	v_mov_b64_e32 v[16:17], v[12:13]
	;; [unrolled: 1-line block ×20, first 2 shown]
                                        ; implicit-def: $sgpr14_sgpr15
                                        ; implicit-def: $vgpr3
	s_and_saveexec_b64 s[10:11], vcc
	s_cbranch_execz .LBB202_120
; %bb.79:
	ds_read2_b32 v[70:71], v1 offset0:1 offset1:2
	v_add_u32_e32 v2, 2, v73
	v_cmp_ne_u32_e32 vcc, v68, v69
	v_mov_b64_e32 v[14:15], 0
	s_mov_b64 s[16:17], 0
	v_cndmask_b32_e64 v13, 0, 1, vcc
	v_cmp_gt_u32_e32 vcc, s3, v2
	s_waitcnt lgkmcnt(0)
	v_mov_b32_e32 v12, v70
	v_mov_b64_e32 v[16:17], v[14:15]
	v_mov_b64_e32 v[18:19], v[14:15]
	;; [unrolled: 1-line block ×19, first 2 shown]
                                        ; implicit-def: $sgpr14_sgpr15
                                        ; implicit-def: $vgpr3
	s_and_saveexec_b64 s[12:13], vcc
	s_cbranch_execz .LBB202_119
; %bb.80:
	v_add_u32_e32 v2, 3, v73
	v_cmp_ne_u32_e32 vcc, v69, v66
	v_mov_b64_e32 v[16:17], 0
	v_mov_b32_e32 v14, v71
	v_cndmask_b32_e64 v15, 0, 1, vcc
	v_cmp_gt_u32_e32 vcc, s3, v2
	v_mov_b64_e32 v[18:19], v[16:17]
	v_mov_b64_e32 v[20:21], v[16:17]
	;; [unrolled: 1-line block ×18, first 2 shown]
                                        ; implicit-def: $sgpr18_sgpr19
                                        ; implicit-def: $vgpr3
	s_and_saveexec_b64 s[14:15], vcc
	s_cbranch_execz .LBB202_118
; %bb.81:
	ds_read2_b32 v[68:69], v1 offset0:3 offset1:4
	v_add_u32_e32 v2, 4, v73
	v_cmp_ne_u32_e32 vcc, v66, v67
	v_mov_b64_e32 v[18:19], 0
	s_mov_b64 s[20:21], 0
	v_cndmask_b32_e64 v17, 0, 1, vcc
	v_cmp_gt_u32_e32 vcc, s3, v2
	s_waitcnt lgkmcnt(0)
	v_mov_b32_e32 v16, v68
	v_mov_b64_e32 v[20:21], v[18:19]
	v_mov_b64_e32 v[22:23], v[18:19]
	;; [unrolled: 1-line block ×17, first 2 shown]
                                        ; implicit-def: $sgpr18_sgpr19
                                        ; implicit-def: $vgpr3
	s_and_saveexec_b64 s[16:17], vcc
	s_cbranch_execz .LBB202_117
; %bb.82:
	v_add_u32_e32 v2, 5, v73
	v_cmp_ne_u32_e32 vcc, v67, v64
	v_mov_b64_e32 v[20:21], 0
	v_mov_b32_e32 v18, v69
	v_cndmask_b32_e64 v19, 0, 1, vcc
	v_cmp_gt_u32_e32 vcc, s3, v2
	v_mov_b64_e32 v[22:23], v[20:21]
	v_mov_b64_e32 v[24:25], v[20:21]
	;; [unrolled: 1-line block ×16, first 2 shown]
                                        ; implicit-def: $sgpr22_sgpr23
                                        ; implicit-def: $vgpr3
	s_and_saveexec_b64 s[18:19], vcc
	s_cbranch_execz .LBB202_116
; %bb.83:
	ds_read2_b32 v[66:67], v1 offset0:5 offset1:6
	v_add_u32_e32 v2, 6, v73
	v_cmp_ne_u32_e32 vcc, v64, v65
	v_mov_b64_e32 v[22:23], 0
	s_mov_b64 s[24:25], 0
	v_cndmask_b32_e64 v21, 0, 1, vcc
	v_cmp_gt_u32_e32 vcc, s3, v2
	s_waitcnt lgkmcnt(0)
	v_mov_b32_e32 v20, v66
	v_mov_b64_e32 v[24:25], v[22:23]
	v_mov_b64_e32 v[26:27], v[22:23]
	v_mov_b64_e32 v[28:29], v[22:23]
	v_mov_b64_e32 v[30:31], v[22:23]
	v_mov_b64_e32 v[32:33], v[22:23]
	v_mov_b64_e32 v[34:35], v[22:23]
	v_mov_b64_e32 v[36:37], v[22:23]
	v_mov_b64_e32 v[38:39], v[22:23]
	v_mov_b64_e32 v[40:41], v[22:23]
	v_mov_b64_e32 v[42:43], v[22:23]
	v_mov_b64_e32 v[44:45], v[22:23]
	v_mov_b64_e32 v[46:47], v[22:23]
	v_mov_b64_e32 v[48:49], v[22:23]
	v_mov_b64_e32 v[50:51], v[22:23]
	v_mov_b64_e32 v[52:53], v[22:23]
                                        ; implicit-def: $sgpr22_sgpr23
                                        ; implicit-def: $vgpr3
	s_and_saveexec_b64 s[20:21], vcc
	s_cbranch_execz .LBB202_115
; %bb.84:
	v_add_u32_e32 v2, 7, v73
	v_cmp_ne_u32_e32 vcc, v65, v62
	v_mov_b64_e32 v[24:25], 0
	v_mov_b32_e32 v22, v67
	v_cndmask_b32_e64 v23, 0, 1, vcc
	v_cmp_gt_u32_e32 vcc, s3, v2
	v_mov_b64_e32 v[26:27], v[24:25]
	v_mov_b64_e32 v[28:29], v[24:25]
	;; [unrolled: 1-line block ×14, first 2 shown]
                                        ; implicit-def: $sgpr26_sgpr27
                                        ; implicit-def: $vgpr3
	s_and_saveexec_b64 s[22:23], vcc
	s_cbranch_execz .LBB202_114
; %bb.85:
	ds_read2_b32 v[64:65], v1 offset0:7 offset1:8
	v_add_u32_e32 v2, 8, v73
	v_cmp_ne_u32_e32 vcc, v62, v63
	v_mov_b64_e32 v[26:27], 0
	s_mov_b64 s[28:29], 0
	v_cndmask_b32_e64 v25, 0, 1, vcc
	v_cmp_gt_u32_e32 vcc, s3, v2
	s_waitcnt lgkmcnt(0)
	v_mov_b32_e32 v24, v64
	v_mov_b64_e32 v[28:29], v[26:27]
	v_mov_b64_e32 v[30:31], v[26:27]
	;; [unrolled: 1-line block ×13, first 2 shown]
                                        ; implicit-def: $sgpr26_sgpr27
                                        ; implicit-def: $vgpr3
	s_and_saveexec_b64 s[24:25], vcc
	s_cbranch_execz .LBB202_113
; %bb.86:
	v_add_u32_e32 v2, 9, v73
	v_cmp_ne_u32_e32 vcc, v63, v60
	v_mov_b64_e32 v[28:29], 0
	v_mov_b32_e32 v26, v65
	v_cndmask_b32_e64 v27, 0, 1, vcc
	v_cmp_gt_u32_e32 vcc, s3, v2
	v_mov_b64_e32 v[30:31], v[28:29]
	v_mov_b64_e32 v[32:33], v[28:29]
	;; [unrolled: 1-line block ×12, first 2 shown]
                                        ; implicit-def: $sgpr30_sgpr31
                                        ; implicit-def: $vgpr3
	s_and_saveexec_b64 s[26:27], vcc
	s_cbranch_execz .LBB202_112
; %bb.87:
	ds_read2_b32 v[62:63], v1 offset0:9 offset1:10
	v_add_u32_e32 v2, 10, v73
	v_cmp_ne_u32_e32 vcc, v60, v61
	v_mov_b64_e32 v[30:31], 0
	s_mov_b64 s[34:35], 0
	v_cndmask_b32_e64 v29, 0, 1, vcc
	v_cmp_gt_u32_e32 vcc, s3, v2
	s_waitcnt lgkmcnt(0)
	v_mov_b32_e32 v28, v62
	v_mov_b64_e32 v[32:33], v[30:31]
	v_mov_b64_e32 v[34:35], v[30:31]
	;; [unrolled: 1-line block ×11, first 2 shown]
                                        ; implicit-def: $sgpr30_sgpr31
                                        ; implicit-def: $vgpr3
	s_and_saveexec_b64 s[28:29], vcc
	s_cbranch_execz .LBB202_111
; %bb.88:
	v_add_u32_e32 v2, 11, v73
	v_cmp_ne_u32_e32 vcc, v61, v58
	v_mov_b64_e32 v[32:33], 0
	v_mov_b32_e32 v30, v63
	v_cndmask_b32_e64 v31, 0, 1, vcc
	v_cmp_gt_u32_e32 vcc, s3, v2
	v_mov_b64_e32 v[34:35], v[32:33]
	v_mov_b64_e32 v[36:37], v[32:33]
	;; [unrolled: 1-line block ×10, first 2 shown]
                                        ; implicit-def: $sgpr36_sgpr37
                                        ; implicit-def: $vgpr3
	s_and_saveexec_b64 s[30:31], vcc
	s_cbranch_execz .LBB202_110
; %bb.89:
	ds_read2_b32 v[60:61], v1 offset0:11 offset1:12
	v_add_u32_e32 v2, 12, v73
	v_cmp_ne_u32_e32 vcc, v58, v59
	v_mov_b64_e32 v[34:35], 0
	s_mov_b64 s[38:39], 0
	v_cndmask_b32_e64 v33, 0, 1, vcc
	v_cmp_gt_u32_e32 vcc, s3, v2
	s_waitcnt lgkmcnt(0)
	v_mov_b32_e32 v32, v60
	v_mov_b64_e32 v[36:37], v[34:35]
	v_mov_b64_e32 v[38:39], v[34:35]
	;; [unrolled: 1-line block ×9, first 2 shown]
                                        ; implicit-def: $sgpr36_sgpr37
                                        ; implicit-def: $vgpr3
	s_and_saveexec_b64 s[34:35], vcc
	s_cbranch_execz .LBB202_109
; %bb.90:
	v_add_u32_e32 v2, 13, v73
	v_cmp_ne_u32_e32 vcc, v59, v56
	v_mov_b64_e32 v[36:37], 0
	v_mov_b32_e32 v34, v61
	v_cndmask_b32_e64 v35, 0, 1, vcc
	v_cmp_gt_u32_e32 vcc, s3, v2
	v_mov_b64_e32 v[38:39], v[36:37]
	v_mov_b64_e32 v[40:41], v[36:37]
	;; [unrolled: 1-line block ×8, first 2 shown]
                                        ; implicit-def: $sgpr40_sgpr41
                                        ; implicit-def: $vgpr3
	s_and_saveexec_b64 s[36:37], vcc
	s_cbranch_execz .LBB202_108
; %bb.91:
	ds_read2_b32 v[58:59], v1 offset0:13 offset1:14
	v_add_u32_e32 v2, 14, v73
	v_cmp_ne_u32_e32 vcc, v56, v57
	v_mov_b64_e32 v[38:39], 0
	s_mov_b64 s[42:43], 0
	v_cndmask_b32_e64 v37, 0, 1, vcc
	v_cmp_gt_u32_e32 vcc, s3, v2
	s_waitcnt lgkmcnt(0)
	v_mov_b32_e32 v36, v58
	v_mov_b64_e32 v[40:41], v[38:39]
	v_mov_b64_e32 v[42:43], v[38:39]
	;; [unrolled: 1-line block ×7, first 2 shown]
                                        ; implicit-def: $sgpr40_sgpr41
                                        ; implicit-def: $vgpr3
	s_and_saveexec_b64 s[38:39], vcc
	s_cbranch_execz .LBB202_107
; %bb.92:
	v_add_u32_e32 v2, 15, v73
	v_cmp_ne_u32_e32 vcc, v57, v54
	v_mov_b64_e32 v[40:41], 0
	v_mov_b32_e32 v38, v59
	v_cndmask_b32_e64 v39, 0, 1, vcc
	v_cmp_gt_u32_e32 vcc, s3, v2
	v_mov_b64_e32 v[42:43], v[40:41]
	v_mov_b64_e32 v[44:45], v[40:41]
	;; [unrolled: 1-line block ×6, first 2 shown]
                                        ; implicit-def: $sgpr44_sgpr45
                                        ; implicit-def: $vgpr3
	s_and_saveexec_b64 s[40:41], vcc
	s_cbranch_execz .LBB202_106
; %bb.93:
	ds_read2_b32 v[56:57], v1 offset0:15 offset1:16
	v_add_u32_e32 v2, 16, v73
	v_cmp_ne_u32_e32 vcc, v54, v55
	v_mov_b64_e32 v[42:43], 0
	s_mov_b64 s[46:47], 0
	v_cndmask_b32_e64 v41, 0, 1, vcc
	v_cmp_gt_u32_e32 vcc, s3, v2
	s_waitcnt lgkmcnt(0)
	v_mov_b32_e32 v40, v56
	v_mov_b64_e32 v[44:45], v[42:43]
	v_mov_b64_e32 v[46:47], v[42:43]
	;; [unrolled: 1-line block ×5, first 2 shown]
                                        ; implicit-def: $sgpr44_sgpr45
                                        ; implicit-def: $vgpr3
	s_and_saveexec_b64 s[42:43], vcc
	s_cbranch_execz .LBB202_105
; %bb.94:
	v_add_u32_e32 v2, 17, v73
	v_cmp_ne_u32_e32 vcc, v55, v8
	v_mov_b64_e32 v[44:45], 0
	v_mov_b32_e32 v42, v57
	v_cndmask_b32_e64 v43, 0, 1, vcc
	v_cmp_gt_u32_e32 vcc, s3, v2
	v_mov_b64_e32 v[46:47], v[44:45]
	v_mov_b64_e32 v[48:49], v[44:45]
	;; [unrolled: 1-line block ×4, first 2 shown]
                                        ; implicit-def: $sgpr48_sgpr49
                                        ; implicit-def: $vgpr3
	s_and_saveexec_b64 s[44:45], vcc
	s_cbranch_execz .LBB202_104
; %bb.95:
	ds_read2_b32 v[54:55], v1 offset0:17 offset1:18
	v_add_u32_e32 v2, 18, v73
	v_cmp_ne_u32_e32 vcc, v8, v9
	v_mov_b64_e32 v[46:47], 0
	s_mov_b64 s[50:51], 0
	v_cndmask_b32_e64 v45, 0, 1, vcc
	v_cmp_gt_u32_e32 vcc, s3, v2
	s_waitcnt lgkmcnt(0)
	v_mov_b32_e32 v44, v54
	v_mov_b64_e32 v[48:49], v[46:47]
	v_mov_b64_e32 v[50:51], v[46:47]
	;; [unrolled: 1-line block ×3, first 2 shown]
                                        ; implicit-def: $sgpr48_sgpr49
                                        ; implicit-def: $vgpr3
	s_and_saveexec_b64 s[46:47], vcc
	s_cbranch_execz .LBB202_103
; %bb.96:
	v_add_u32_e32 v2, 19, v73
	v_cmp_ne_u32_e32 vcc, v9, v6
	v_mov_b64_e32 v[48:49], 0
	v_mov_b32_e32 v46, v55
	v_cndmask_b32_e64 v47, 0, 1, vcc
	v_cmp_gt_u32_e32 vcc, s3, v2
	v_mov_b64_e32 v[50:51], v[48:49]
	v_mov_b64_e32 v[52:53], v[48:49]
                                        ; implicit-def: $sgpr60_sgpr61
                                        ; implicit-def: $vgpr3
	s_and_saveexec_b64 s[48:49], vcc
	s_cbranch_execz .LBB202_102
; %bb.97:
	ds_read2_b32 v[8:9], v1 offset0:19 offset1:20
	v_add_u32_e32 v2, 20, v73
	v_cmp_ne_u32_e32 vcc, v6, v7
	v_mov_b64_e32 v[50:51], 0
	s_mov_b64 s[60:61], 0
	v_cndmask_b32_e64 v49, 0, 1, vcc
	v_cmp_gt_u32_e32 vcc, s3, v2
	s_waitcnt lgkmcnt(0)
	v_mov_b32_e32 v48, v8
	v_mov_b64_e32 v[52:53], v[50:51]
                                        ; implicit-def: $sgpr78_sgpr79
                                        ; implicit-def: $vgpr3
	s_and_saveexec_b64 s[50:51], vcc
	s_cbranch_execz .LBB202_101
; %bb.98:
	v_add_u32_e32 v2, 21, v73
	v_cmp_ne_u32_e32 vcc, v7, v4
	v_mov_b32_e32 v50, v9
	v_mov_b64_e32 v[52:53], 0
	v_cndmask_b32_e64 v51, 0, 1, vcc
	v_cmp_gt_u32_e32 vcc, s3, v2
                                        ; implicit-def: $sgpr78_sgpr79
                                        ; implicit-def: $vgpr3
	s_and_saveexec_b64 s[4:5], vcc
	s_xor_b64 s[80:81], exec, s[4:5]
	s_cbranch_execz .LBB202_100
; %bb.99:
	ds_read2_b32 v[2:3], v1 offset0:21 offset1:22
	v_add_u32_e32 v1, 22, v73
	v_cmp_ne_u32_e64 s[4:5], v4, v5
	v_cmp_ne_u32_e32 vcc, v5, v72
	s_and_b64 s[78:79], vcc, exec
	v_cndmask_b32_e64 v53, 0, 1, s[4:5]
	v_cmp_gt_u32_e64 s[4:5], s3, v1
	s_waitcnt lgkmcnt(0)
	v_mov_b32_e32 v52, v2
	s_and_b64 s[60:61], s[4:5], exec
.LBB202_100:
	s_or_b64 exec, exec, s[80:81]
	s_and_b64 s[78:79], s[78:79], exec
	s_and_b64 s[4:5], s[60:61], exec
.LBB202_101:
	s_or_b64 exec, exec, s[50:51]
	s_and_b64 s[60:61], s[78:79], exec
	s_and_b64 s[50:51], s[4:5], exec
.LBB202_102:
	s_or_b64 exec, exec, s[48:49]
	s_and_b64 s[48:49], s[60:61], exec
	s_and_b64 s[4:5], s[50:51], exec
.LBB202_103:
	s_or_b64 exec, exec, s[46:47]
	s_and_b64 s[48:49], s[48:49], exec
	s_and_b64 s[46:47], s[4:5], exec
.LBB202_104:
	s_or_b64 exec, exec, s[44:45]
	s_and_b64 s[44:45], s[48:49], exec
	s_and_b64 s[4:5], s[46:47], exec
.LBB202_105:
	s_or_b64 exec, exec, s[42:43]
	s_and_b64 s[44:45], s[44:45], exec
	s_and_b64 s[42:43], s[4:5], exec
.LBB202_106:
	s_or_b64 exec, exec, s[40:41]
	s_and_b64 s[40:41], s[44:45], exec
	s_and_b64 s[4:5], s[42:43], exec
.LBB202_107:
	s_or_b64 exec, exec, s[38:39]
	s_and_b64 s[40:41], s[40:41], exec
	s_and_b64 s[38:39], s[4:5], exec
.LBB202_108:
	s_or_b64 exec, exec, s[36:37]
	s_and_b64 s[36:37], s[40:41], exec
	s_and_b64 s[4:5], s[38:39], exec
.LBB202_109:
	s_or_b64 exec, exec, s[34:35]
	s_and_b64 s[36:37], s[36:37], exec
	s_and_b64 s[34:35], s[4:5], exec
.LBB202_110:
	s_or_b64 exec, exec, s[30:31]
	s_and_b64 s[30:31], s[36:37], exec
	s_and_b64 s[4:5], s[34:35], exec
.LBB202_111:
	s_or_b64 exec, exec, s[28:29]
	s_and_b64 s[30:31], s[30:31], exec
	s_and_b64 s[28:29], s[4:5], exec
.LBB202_112:
	s_or_b64 exec, exec, s[26:27]
	s_and_b64 s[26:27], s[30:31], exec
	s_and_b64 s[4:5], s[28:29], exec
.LBB202_113:
	s_or_b64 exec, exec, s[24:25]
	s_and_b64 s[26:27], s[26:27], exec
	s_and_b64 s[24:25], s[4:5], exec
.LBB202_114:
	s_or_b64 exec, exec, s[22:23]
	s_and_b64 s[22:23], s[26:27], exec
	s_and_b64 s[4:5], s[24:25], exec
.LBB202_115:
	s_or_b64 exec, exec, s[20:21]
	s_and_b64 s[22:23], s[22:23], exec
	s_and_b64 s[20:21], s[4:5], exec
.LBB202_116:
	s_or_b64 exec, exec, s[18:19]
	s_and_b64 s[18:19], s[22:23], exec
	s_and_b64 s[4:5], s[20:21], exec
.LBB202_117:
	s_or_b64 exec, exec, s[16:17]
	s_and_b64 s[18:19], s[18:19], exec
	s_and_b64 s[16:17], s[4:5], exec
.LBB202_118:
	s_or_b64 exec, exec, s[14:15]
	s_and_b64 s[14:15], s[18:19], exec
	s_and_b64 s[4:5], s[16:17], exec
.LBB202_119:
	s_or_b64 exec, exec, s[12:13]
	s_and_b64 s[14:15], s[14:15], exec
	s_and_b64 s[12:13], s[4:5], exec
.LBB202_120:
	s_or_b64 exec, exec, s[10:11]
	s_and_b64 s[4:5], s[14:15], exec
	s_and_b64 s[10:11], s[12:13], exec
.LBB202_121:
	s_or_b64 exec, exec, s[8:9]
	s_mov_b64 s[8:9], 0
	s_and_b64 vcc, exec, s[6:7]
	v_lshlrev_b32_e32 v54, 2, v0
	s_cbranch_vccnz .LBB202_123
	s_branch .LBB202_131
.LBB202_122:
                                        ; implicit-def: $sgpr4_sgpr5
                                        ; implicit-def: $vgpr3
                                        ; implicit-def: $vgpr10_vgpr11
                                        ; implicit-def: $vgpr12_vgpr13
                                        ; implicit-def: $vgpr14_vgpr15
                                        ; implicit-def: $vgpr16_vgpr17
                                        ; implicit-def: $vgpr18_vgpr19
                                        ; implicit-def: $vgpr20_vgpr21
                                        ; implicit-def: $vgpr22_vgpr23
                                        ; implicit-def: $vgpr24_vgpr25
                                        ; implicit-def: $vgpr26_vgpr27
                                        ; implicit-def: $vgpr28_vgpr29
                                        ; implicit-def: $vgpr30_vgpr31
                                        ; implicit-def: $vgpr32_vgpr33
                                        ; implicit-def: $vgpr34_vgpr35
                                        ; implicit-def: $vgpr36_vgpr37
                                        ; implicit-def: $vgpr38_vgpr39
                                        ; implicit-def: $vgpr40_vgpr41
                                        ; implicit-def: $vgpr42_vgpr43
                                        ; implicit-def: $vgpr44_vgpr45
                                        ; implicit-def: $vgpr46_vgpr47
                                        ; implicit-def: $vgpr48_vgpr49
                                        ; implicit-def: $vgpr50_vgpr51
                                        ; implicit-def: $vgpr52_vgpr53
                                        ; implicit-def: $sgpr8_sgpr9
	s_and_b64 vcc, exec, s[6:7]
	v_lshlrev_b32_e32 v54, 2, v0
	s_cbranch_vccz .LBB202_131
.LBB202_123:
	v_mov_b32_e32 v55, 0
	v_lshl_add_u64 v[2:3], s[54:55], 0, v[54:55]
	v_add_co_u32_e32 v4, vcc, 0x1000, v2
	s_movk_i32 s3, 0x58
	s_nop 0
	v_addc_co_u32_e32 v5, vcc, 0, v3, vcc
	flat_load_dword v8, v[2:3]
	flat_load_dword v9, v[2:3] offset:1024
	s_waitcnt lgkmcnt(0)
	flat_load_dword v10, v[2:3] offset:2048
	flat_load_dword v11, v[2:3] offset:3072
	flat_load_dword v12, v[4:5]
	flat_load_dword v13, v[4:5] offset:1024
	flat_load_dword v14, v[4:5] offset:2048
	;; [unrolled: 1-line block ×3, first 2 shown]
	v_add_co_u32_e32 v4, vcc, 0x2000, v2
	v_mad_u32_u24 v1, v0, s3, v54
	s_nop 0
	v_addc_co_u32_e32 v5, vcc, 0, v3, vcc
	v_add_co_u32_e32 v6, vcc, 0x3000, v2
	s_cmp_eq_u64 s[76:77], 0
	s_nop 0
	v_addc_co_u32_e32 v7, vcc, 0, v3, vcc
	flat_load_dword v16, v[4:5]
	flat_load_dword v17, v[4:5] offset:1024
	flat_load_dword v18, v[4:5] offset:2048
	;; [unrolled: 1-line block ×3, first 2 shown]
	flat_load_dword v20, v[6:7]
	flat_load_dword v21, v[6:7] offset:1024
	flat_load_dword v22, v[6:7] offset:2048
	;; [unrolled: 1-line block ×3, first 2 shown]
	v_add_co_u32_e32 v4, vcc, 0x4000, v2
	s_nop 1
	v_addc_co_u32_e32 v5, vcc, 0, v3, vcc
	v_add_co_u32_e32 v2, vcc, 0x5000, v2
	s_nop 1
	v_addc_co_u32_e32 v3, vcc, 0, v3, vcc
	flat_load_dword v6, v[4:5]
	flat_load_dword v7, v[4:5] offset:1024
	flat_load_dword v24, v[4:5] offset:2048
	;; [unrolled: 1-line block ×3, first 2 shown]
	flat_load_dword v26, v[2:3]
	flat_load_dword v27, v[2:3] offset:1024
	flat_load_dword v28, v[2:3] offset:2048
	s_waitcnt vmcnt(0)
	ds_write2st64_b32 v54, v8, v9 offset1:4
	s_waitcnt lgkmcnt(0)
	ds_write2st64_b32 v54, v10, v11 offset0:8 offset1:12
	ds_write2st64_b32 v54, v12, v13 offset0:16 offset1:20
	;; [unrolled: 1-line block ×10, first 2 shown]
	ds_write_b32 v54, v28 offset:22528
	s_waitcnt lgkmcnt(0)
	s_barrier
	ds_read2_b32 v[2:3], v1 offset1:1
	ds_read2_b32 v[18:19], v1 offset0:2 offset1:3
	ds_read2_b32 v[22:23], v1 offset0:4 offset1:5
	;; [unrolled: 1-line block ×10, first 2 shown]
	ds_read_b32 v10, v1 offset:88
	s_cbranch_scc1 .LBB202_128
; %bb.124:
	s_andn2_b64 vcc, exec, s[64:65]
	s_cbranch_vccnz .LBB202_264
; %bb.125:
	s_lshl_b64 s[4:5], s[76:77], 2
	s_add_u32 s3, s66, s4
	s_addc_u32 s5, s67, s5
	s_add_u32 s4, s3, -4
	s_addc_u32 s5, s5, -1
	s_cbranch_execnz .LBB202_127
.LBB202_126:
	s_add_u32 s4, s54, -4
	s_addc_u32 s5, s55, -1
.LBB202_127:
	s_mov_b64 s[54:55], s[4:5]
.LBB202_128:
	v_mov_b64_e32 v[12:13], s[54:55]
	flat_load_dword v11, v[12:13]
	s_movk_i32 s3, 0xffa8
	v_mad_i32_i24 v12, v0, s3, v1
	v_cmp_ne_u32_e32 vcc, 0, v0
	s_waitcnt lgkmcnt(0)
	ds_write_b32 v12, v10 offset:23552
	s_waitcnt lgkmcnt(0)
	s_barrier
	s_and_saveexec_b64 s[4:5], vcc
	s_cbranch_execz .LBB202_130
; %bb.129:
	s_waitcnt vmcnt(0)
	v_mul_i32_i24_e32 v11, 0xffffffa8, v0
	v_add_u32_e32 v11, v1, v11
	ds_read_b32 v11, v11 offset:23548
.LBB202_130:
	s_or_b64 exec, exec, s[4:5]
	v_mov_b32_e32 v55, 0
	v_lshl_add_u64 v[12:13], s[52:53], 0, v[54:55]
	s_movk_i32 s3, 0x1000
	v_add_co_u32_e32 v14, vcc, s3, v12
	s_movk_i32 s3, 0x2000
	s_nop 0
	v_addc_co_u32_e32 v15, vcc, 0, v13, vcc
	s_waitcnt lgkmcnt(0)
	s_barrier
	flat_load_dword v20, v[12:13]
	flat_load_dword v21, v[12:13] offset:1024
	flat_load_dword v24, v[12:13] offset:2048
	;; [unrolled: 1-line block ×3, first 2 shown]
	flat_load_dword v28, v[14:15]
	flat_load_dword v29, v[14:15] offset:1024
	flat_load_dword v32, v[14:15] offset:2048
	flat_load_dword v33, v[14:15] offset:3072
	v_add_co_u32_e32 v14, vcc, s3, v12
	s_movk_i32 s3, 0x3000
	s_nop 0
	v_addc_co_u32_e32 v15, vcc, 0, v13, vcc
	v_add_co_u32_e32 v16, vcc, s3, v12
	s_movk_i32 s3, 0x4000
	s_nop 0
	v_addc_co_u32_e32 v17, vcc, 0, v13, vcc
	flat_load_dword v36, v[14:15]
	flat_load_dword v37, v[14:15] offset:1024
	flat_load_dword v40, v[14:15] offset:2048
	;; [unrolled: 1-line block ×3, first 2 shown]
	flat_load_dword v44, v[16:17]
	flat_load_dword v45, v[16:17] offset:1024
	flat_load_dword v46, v[16:17] offset:2048
	flat_load_dword v47, v[16:17] offset:3072
	v_add_co_u32_e32 v14, vcc, s3, v12
	s_movk_i32 s3, 0x5000
	s_nop 0
	v_addc_co_u32_e32 v15, vcc, 0, v13, vcc
	v_add_co_u32_e32 v12, vcc, s3, v12
	v_cmp_ne_u32_e64 s[4:5], v5, v10
	s_nop 0
	v_addc_co_u32_e32 v13, vcc, 0, v13, vcc
	flat_load_dword v16, v[14:15]
	flat_load_dword v17, v[14:15] offset:1024
	flat_load_dword v48, v[14:15] offset:2048
	;; [unrolled: 1-line block ×3, first 2 shown]
	flat_load_dword v50, v[12:13]
	flat_load_dword v51, v[12:13] offset:1024
	flat_load_dword v52, v[12:13] offset:2048
	s_waitcnt vmcnt(0)
	v_cmp_ne_u32_e32 vcc, v11, v2
	s_mov_b64 s[10:11], -1
                                        ; implicit-def: $sgpr8_sgpr9
	s_waitcnt lgkmcnt(0)
	ds_write2st64_b32 v54, v20, v21 offset1:4
	ds_write2st64_b32 v54, v24, v25 offset0:8 offset1:12
	ds_write2st64_b32 v54, v28, v29 offset0:16 offset1:20
	;; [unrolled: 1-line block ×10, first 2 shown]
	ds_write_b32 v54, v52 offset:22528
	v_cndmask_b32_e64 v11, 0, 1, vcc
	v_cmp_ne_u32_e32 vcc, v2, v3
	s_waitcnt lgkmcnt(0)
	s_barrier
	v_cndmask_b32_e64 v13, 0, 1, vcc
	v_cmp_ne_u32_e32 vcc, v3, v18
	ds_read2_b32 v[16:17], v1 offset1:1
	ds_read2_b32 v[20:21], v1 offset0:2 offset1:3
	ds_read2_b32 v[24:25], v1 offset0:4 offset1:5
	;; [unrolled: 1-line block ×10, first 2 shown]
	ds_read_b32 v3, v1 offset:88
	v_cndmask_b32_e64 v15, 0, 1, vcc
	v_cmp_ne_u32_e32 vcc, v18, v19
	s_waitcnt lgkmcnt(11)
	v_mov_b32_e32 v12, v17
	v_mov_b32_e32 v10, v16
	v_cndmask_b32_e64 v17, 0, 1, vcc
	v_cmp_ne_u32_e32 vcc, v19, v22
	s_waitcnt lgkmcnt(10)
	v_mov_b32_e32 v16, v21
	v_mov_b32_e32 v14, v20
	;; [unrolled: 5-line block ×5, first 2 shown]
	v_cndmask_b32_e64 v25, 0, 1, vcc
	v_cmp_ne_u32_e32 vcc, v27, v30
	s_waitcnt lgkmcnt(6)
	v_mov_b32_e32 v32, v37
	s_waitcnt lgkmcnt(2)
	v_mov_b32_e32 v48, v51
	v_cndmask_b32_e64 v27, 0, 1, vcc
	v_cmp_ne_u32_e32 vcc, v30, v31
	v_mov_b32_e32 v30, v36
	v_mov_b32_e32 v36, v41
	v_cndmask_b32_e64 v29, 0, 1, vcc
	v_cmp_ne_u32_e32 vcc, v31, v34
	s_waitcnt lgkmcnt(1)
	v_mov_b32_e32 v52, v57
	v_cndmask_b32_e64 v31, 0, 1, vcc
	v_cmp_ne_u32_e32 vcc, v34, v35
	v_mov_b32_e32 v34, v40
	v_mov_b32_e32 v40, v45
	v_cndmask_b32_e64 v33, 0, 1, vcc
	v_cmp_ne_u32_e32 vcc, v35, v38
	s_nop 1
	v_cndmask_b32_e64 v35, 0, 1, vcc
	v_cmp_ne_u32_e32 vcc, v38, v39
	v_mov_b32_e32 v38, v44
	v_mov_b32_e32 v44, v47
	v_cndmask_b32_e64 v37, 0, 1, vcc
	v_cmp_ne_u32_e32 vcc, v39, v42
	s_nop 1
	v_cndmask_b32_e64 v39, 0, 1, vcc
	v_cmp_ne_u32_e32 vcc, v42, v43
	v_mov_b32_e32 v42, v46
	v_mov_b32_e32 v46, v50
	v_cndmask_b32_e64 v41, 0, 1, vcc
	v_cmp_ne_u32_e32 vcc, v43, v8
	v_mov_b32_e32 v50, v56
	s_nop 0
	v_cndmask_b32_e64 v43, 0, 1, vcc
	v_cmp_ne_u32_e32 vcc, v8, v9
	s_nop 1
	v_cndmask_b32_e64 v45, 0, 1, vcc
	v_cmp_ne_u32_e32 vcc, v9, v6
	;; [unrolled: 3-line block ×5, first 2 shown]
	s_nop 1
	v_cndmask_b32_e64 v53, 0, 1, vcc
.LBB202_131:
	v_mov_b64_e32 v[56:57], s[8:9]
	s_and_saveexec_b64 s[6:7], s[10:11]
	s_cbranch_execz .LBB202_133
; %bb.132:
	v_cndmask_b32_e64 v57, 0, 1, s[4:5]
	s_waitcnt lgkmcnt(0)
	v_mov_b32_e32 v56, v3
.LBB202_133:
	s_or_b64 exec, exec, s[6:7]
	s_mov_b32 s46, 0
	s_cmp_lg_u32 s2, 0
	v_or_b32_e32 v55, v57, v53
	v_lshrrev_b32_e32 v1, 5, v0
	v_cmp_gt_u32_e32 vcc, 64, v0
	s_waitcnt lgkmcnt(0)
	s_barrier
	s_cbranch_scc0 .LBB202_168
; %bb.134:
	s_mov_b32 s47, 1
	v_cmp_gt_u64_e64 s[52:53], s[46:47], v[12:13]
	v_cmp_gt_u64_e64 s[4:5], s[46:47], v[14:15]
	v_cmp_gt_u64_e64 s[6:7], s[46:47], v[16:17]
	v_cndmask_b32_e64 v2, 0, v10, s[52:53]
	v_add_u32_e32 v2, v2, v12
	v_cndmask_b32_e64 v2, 0, v2, s[4:5]
	v_add_u32_e32 v2, v2, v14
	v_cndmask_b32_e64 v2, 0, v2, s[6:7]
	v_add_u32_e32 v2, v2, v16
	v_cmp_gt_u64_e64 s[8:9], s[46:47], v[18:19]
	v_cmp_gt_u64_e64 s[10:11], s[46:47], v[20:21]
	v_cmp_gt_u64_e64 s[12:13], s[46:47], v[22:23]
	v_cndmask_b32_e64 v2, 0, v2, s[8:9]
	v_add_u32_e32 v2, v2, v18
	v_cndmask_b32_e64 v2, 0, v2, s[10:11]
	v_add_u32_e32 v2, v2, v20
	v_cndmask_b32_e64 v2, 0, v2, s[12:13]
	v_add_u32_e32 v2, v2, v22
	;; [unrolled: 9-line block ×7, first 2 shown]
	v_cmp_gt_u64_e64 s[46:47], s[46:47], v[56:57]
	s_nop 1
	v_cndmask_b32_e64 v2, 0, v2, s[46:47]
	v_add_u32_e32 v62, v2, v56
	v_or3_b32 v2, v55, v51, v49
	v_or3_b32 v2, v2, v47, v45
	v_or3_b32 v2, v2, v43, v41
	v_or3_b32 v2, v2, v39, v37
	v_or3_b32 v2, v2, v35, v33
	v_or3_b32 v2, v2, v31, v29
	v_or3_b32 v2, v2, v27, v25
	v_or3_b32 v2, v2, v23, v21
	v_or3_b32 v2, v2, v19, v17
	v_or3_b32 v2, v2, v15, v13
	v_and_b32_e32 v2, 1, v2
	v_cmp_eq_u32_e64 s[48:49], 1, v2
	v_add_lshl_u32 v2, v1, v0, 3
	s_nop 0
	v_cndmask_b32_e64 v63, v11, 1, s[48:49]
	ds_write_b32 v2, v62
	ds_write_b8 v2, v63 offset:4
	s_waitcnt lgkmcnt(0)
	s_barrier
	s_and_saveexec_b64 s[50:51], vcc
	s_cbranch_execz .LBB202_146
; %bb.135:
	v_lshrrev_b32_e32 v2, 3, v0
	v_add_lshl_u32 v4, v2, v54, 3
	ds_read2_b32 v[6:7], v4 offset0:2 offset1:4
	ds_read_b64 v[2:3], v4
	ds_read_u8 v8, v4 offset:12
	ds_read_u8 v9, v4 offset:20
	ds_read_b32 v58, v4 offset:24
	ds_read_u8 v59, v4 offset:28
	v_mov_b32_e32 v60, 0
	s_waitcnt lgkmcnt(3)
	v_cmp_eq_u16_sdwa s[48:49], v8, v60 src0_sel:BYTE_0 src1_sel:DWORD
	v_and_b32_e32 v5, 1, v3
	s_nop 0
	v_cndmask_b32_e64 v61, 0, v2, s[48:49]
	v_add_u32_e32 v6, v61, v6
	s_waitcnt lgkmcnt(2)
	v_cmp_eq_u16_sdwa s[48:49], v9, v60 src0_sel:BYTE_0 src1_sel:DWORD
	s_nop 1
	v_cndmask_b32_e64 v6, 0, v6, s[48:49]
	v_add_u32_e32 v6, v6, v7
	s_waitcnt lgkmcnt(0)
	v_cmp_eq_u16_e64 s[48:49], 0, v59
	s_nop 1
	v_cndmask_b32_e64 v6, 0, v6, s[48:49]
	v_add_u32_e32 v7, v6, v58
	v_or_b32_e32 v6, v59, v9
	v_or_b32_e32 v6, v6, v8
	v_and_b32_e32 v6, 1, v6
	v_cmp_eq_u32_e64 s[48:49], 1, v6
	v_mbcnt_lo_u32_b32 v8, -1, 0
	v_and_b32_e32 v6, 0xffffff00, v3
	v_cndmask_b32_e64 v9, v5, 1, s[48:49]
	v_mbcnt_hi_u32_b32 v8, -1, v8
	v_and_b32_e32 v59, 15, v8
	v_or_b32_sdwa v58, v6, v9 dst_sel:DWORD dst_unused:UNUSED_PAD src0_sel:DWORD src1_sel:WORD_0
	v_mov_b32_dpp v60, v7 row_shr:1 row_mask:0xf bank_mask:0xf
	v_cmp_ne_u32_e64 s[48:49], 0, v59
	v_mov_b32_dpp v61, v58 row_shr:1 row_mask:0xf bank_mask:0xf
	s_and_saveexec_b64 s[54:55], s[48:49]
; %bb.136:
	v_and_b32_e32 v58, 1, v9
	v_and_b32_e32 v61, 1, v61
	v_cmp_eq_u32_e64 s[48:49], 1, v58
	s_nop 1
	v_cndmask_b32_e64 v61, v61, 1, s[48:49]
	v_cmp_eq_u16_e64 s[48:49], 0, v9
	v_or_b32_sdwa v58, v6, v61 dst_sel:DWORD dst_unused:UNUSED_PAD src0_sel:DWORD src1_sel:WORD_0
	s_nop 0
	v_cndmask_b32_e64 v9, 0, v60, s[48:49]
	v_add_u32_e32 v7, v9, v7
	v_mov_b32_e32 v9, v61
; %bb.137:
	s_or_b64 exec, exec, s[54:55]
	v_mov_b32_dpp v60, v7 row_shr:2 row_mask:0xf bank_mask:0xf
	v_mov_b32_dpp v61, v58 row_shr:2 row_mask:0xf bank_mask:0xf
	v_cmp_lt_u32_e64 s[48:49], 1, v59
	s_and_saveexec_b64 s[54:55], s[48:49]
; %bb.138:
	v_and_b32_e32 v58, 1, v9
	v_and_b32_e32 v61, 1, v61
	v_cmp_eq_u32_e64 s[48:49], 1, v58
	s_nop 1
	v_cndmask_b32_e64 v61, v61, 1, s[48:49]
	v_cmp_eq_u16_e64 s[48:49], 0, v9
	v_or_b32_sdwa v58, v6, v61 dst_sel:DWORD dst_unused:UNUSED_PAD src0_sel:DWORD src1_sel:WORD_0
	s_nop 0
	v_cndmask_b32_e64 v9, 0, v60, s[48:49]
	v_add_u32_e32 v7, v9, v7
	v_mov_b32_e32 v9, v61
; %bb.139:
	s_or_b64 exec, exec, s[54:55]
	v_mov_b32_dpp v60, v7 row_shr:4 row_mask:0xf bank_mask:0xf
	v_mov_b32_dpp v61, v58 row_shr:4 row_mask:0xf bank_mask:0xf
	v_cmp_lt_u32_e64 s[48:49], 3, v59
	;; [unrolled: 18-line block ×3, first 2 shown]
	s_and_saveexec_b64 s[54:55], s[48:49]
; %bb.142:
	v_and_b32_e32 v58, 1, v9
	v_and_b32_e32 v59, 1, v61
	v_cmp_eq_u32_e64 s[48:49], 1, v58
	s_nop 1
	v_cndmask_b32_e64 v59, v59, 1, s[48:49]
	v_cmp_eq_u16_e64 s[48:49], 0, v9
	v_or_b32_sdwa v58, v6, v59 dst_sel:DWORD dst_unused:UNUSED_PAD src0_sel:DWORD src1_sel:WORD_0
	s_nop 0
	v_cndmask_b32_e64 v9, 0, v60, s[48:49]
	v_add_u32_e32 v7, v9, v7
	v_mov_b32_e32 v9, v59
; %bb.143:
	s_or_b64 exec, exec, s[54:55]
	v_and_b32_e32 v61, 16, v8
	v_mov_b32_dpp v59, v7 row_bcast:15 row_mask:0xf bank_mask:0xf
	v_mov_b32_dpp v60, v58 row_bcast:15 row_mask:0xf bank_mask:0xf
	v_cmp_ne_u32_e64 s[48:49], 0, v61
	s_and_saveexec_b64 s[54:55], s[48:49]
; %bb.144:
	v_and_b32_e32 v58, 1, v9
	v_and_b32_e32 v60, 1, v60
	v_cmp_eq_u32_e64 s[48:49], 1, v58
	s_nop 1
	v_cndmask_b32_e64 v60, v60, 1, s[48:49]
	v_cmp_eq_u16_e64 s[48:49], 0, v9
	v_or_b32_sdwa v58, v6, v60 dst_sel:DWORD dst_unused:UNUSED_PAD src0_sel:DWORD src1_sel:WORD_0
	s_nop 0
	v_cndmask_b32_e64 v9, 0, v59, s[48:49]
	v_add_u32_e32 v7, v9, v7
	v_mov_b32_e32 v9, v60
; %bb.145:
	s_or_b64 exec, exec, s[54:55]
	v_mov_b32_dpp v58, v58 row_bcast:31 row_mask:0xf bank_mask:0xf
	v_and_b32_e32 v60, 1, v9
	v_and_b32_e32 v58, 1, v58
	v_cmp_eq_u32_e64 s[48:49], 1, v60
	v_mov_b32_e32 v60, 0
	v_cmp_eq_u16_sdwa s[54:55], v9, v60 src0_sel:BYTE_0 src1_sel:DWORD
	v_cndmask_b32_e64 v58, v58, 1, s[48:49]
	v_cmp_lt_u32_e64 s[48:49], 31, v8
	v_mov_b32_dpp v59, v7 row_bcast:31 row_mask:0xf bank_mask:0xf
	s_movk_i32 s3, 0xff
	v_cndmask_b32_e64 v9, v9, v58, s[48:49]
	s_and_b64 s[48:49], s[48:49], s[54:55]
	v_cndmask_b32_e64 v58, 0, v59, s[48:49]
	v_add_u32_e32 v7, v58, v7
	v_add_u32_e32 v58, -1, v8
	v_and_b32_e32 v59, 64, v8
	v_cmp_lt_i32_e64 s[48:49], v58, v59
	v_and_or_b32 v6, v9, s3, v6
	s_nop 0
	v_cndmask_b32_e64 v8, v58, v8, s[48:49]
	v_lshlrev_b32_e32 v8, 2, v8
	ds_bpermute_b32 v7, v8, v7
	ds_bpermute_b32 v6, v8, v6
	v_cmp_eq_u16_sdwa s[48:49], v3, v60 src0_sel:BYTE_0 src1_sel:DWORD
	; wave barrier
	s_waitcnt lgkmcnt(1)
	s_nop 0
	v_cndmask_b32_e64 v3, 0, v7, s[48:49]
	v_add_u32_e32 v2, v3, v2
	s_waitcnt lgkmcnt(0)
	v_and_b32_e32 v3, 1, v6
	v_cmp_eq_u32_e64 s[48:49], 1, v5
	s_nop 1
	v_cndmask_b32_e64 v3, v3, 1, s[48:49]
	v_cmp_eq_u32_e64 s[48:49], 0, v0
	s_nop 1
	v_cndmask_b32_e64 v5, v2, v62, s[48:49]
	v_cndmask_b32_e64 v6, v3, v63, s[48:49]
	ds_write_b32 v4, v5
	ds_write_b8 v4, v6 offset:4
	; wave barrier
	ds_read_u8 v7, v4 offset:12
	ds_read2_b32 v[2:3], v4 offset0:2 offset1:4
	ds_read_u8 v8, v4 offset:20
	ds_read_b32 v9, v4 offset:24
	ds_read_u8 v58, v4 offset:28
	s_waitcnt lgkmcnt(4)
	v_cmp_eq_u16_e64 s[48:49], 0, v7
	s_nop 1
	v_cndmask_b32_e64 v5, 0, v5, s[48:49]
	s_waitcnt lgkmcnt(3)
	v_add_u32_e32 v2, v5, v2
	v_and_b32_e32 v5, 1, v7
	v_cmp_eq_u32_e64 s[48:49], 1, v5
	s_nop 1
	v_cndmask_b32_e64 v5, v6, 1, s[48:49]
	s_waitcnt lgkmcnt(2)
	v_cmp_eq_u16_e64 s[48:49], 0, v8
	ds_write_b8 v4, v5 offset:12
	s_nop 0
	v_cndmask_b32_e64 v6, 0, v2, s[48:49]
	v_add_u32_e32 v3, v6, v3
	v_and_b32_e32 v6, 1, v8
	v_cmp_eq_u32_e64 s[48:49], 1, v6
	s_nop 1
	v_cndmask_b32_e64 v5, v5, 1, s[48:49]
	s_waitcnt lgkmcnt(1)
	v_cmp_eq_u16_e64 s[48:49], 0, v58
	ds_write2_b32 v4, v2, v3 offset0:2 offset1:4
	ds_write_b8 v4, v5 offset:20
	v_cndmask_b32_e64 v2, 0, v3, s[48:49]
	v_and_b32_e32 v3, 1, v58
	v_add_u32_e32 v2, v2, v9
	v_cmp_eq_u32_e64 s[48:49], 1, v3
	s_nop 1
	v_cndmask_b32_e64 v3, v5, 1, s[48:49]
	ds_write_b32 v4, v2 offset:24
	ds_write_b8 v4, v3 offset:28
.LBB202_146:
	s_or_b64 exec, exec, s[50:51]
	v_cmp_eq_u32_e64 s[48:49], 0, v0
	v_cmp_ne_u32_e64 s[50:51], 0, v0
	s_waitcnt lgkmcnt(0)
	s_barrier
	s_and_saveexec_b64 s[54:55], s[50:51]
	s_cbranch_execz .LBB202_148
; %bb.147:
	v_add_u32_e32 v2, -1, v0
	v_lshrrev_b32_e32 v3, 5, v2
	v_add_lshl_u32 v2, v3, v2, 3
	ds_read_b32 v62, v2
	ds_read_u8 v63, v2 offset:4
.LBB202_148:
	s_or_b64 exec, exec, s[54:55]
	s_and_saveexec_b64 s[60:61], vcc
	s_cbranch_execz .LBB202_167
; %bb.149:
	v_mov_b32_e32 v5, 0
	ds_read_b64 v[2:3], v5 offset:2096
	v_mbcnt_lo_u32_b32 v4, -1, 0
	v_mbcnt_hi_u32_b32 v73, -1, v4
	s_mov_b32 s65, 0
	v_cmp_eq_u32_e64 s[50:51], 0, v73
	s_waitcnt lgkmcnt(0)
	v_readfirstlane_b32 s3, v3
	s_and_saveexec_b64 s[54:55], s[50:51]
	s_cbranch_execz .LBB202_151
; %bb.150:
	s_add_i32 s64, s2, 64
	s_lshl_b64 s[66:67], s[64:65], 4
	s_add_u32 s66, s68, s66
	s_addc_u32 s67, s69, s67
	s_and_b32 s77, s3, 0xff000000
	s_mov_b32 s76, s65
	s_and_b32 s79, s3, 0xff0000
	s_mov_b32 s78, s65
	s_or_b64 s[76:77], s[78:79], s[76:77]
	s_and_b32 s79, s3, 0xff00
	s_or_b64 s[76:77], s[76:77], s[78:79]
	s_and_b32 s79, s3, 0xff
	s_or_b64 s[64:65], s[76:77], s[78:79]
	v_mov_b32_e32 v3, s65
	v_mov_b32_e32 v4, 1
	v_mov_b64_e32 v[6:7], s[66:67]
	;;#ASMSTART
	global_store_dwordx4 v[6:7], v[2:5] off sc1	
s_waitcnt vmcnt(0)
	;;#ASMEND
.LBB202_151:
	s_or_b64 exec, exec, s[54:55]
	v_xad_u32 v58, v73, -1, s2
	v_add_u32_e32 v4, 64, v58
	v_lshl_add_u64 v[60:61], v[4:5], 4, s[68:69]
	;;#ASMSTART
	global_load_dwordx4 v[6:9], v[60:61] off sc1	
s_waitcnt vmcnt(0)
	;;#ASMEND
	s_nop 0
	v_and_b32_e32 v3, 0xff0000, v6
	v_and_b32_e32 v4, 0xff000000, v6
	;; [unrolled: 1-line block ×3, first 2 shown]
	v_or_b32_sdwa v3, v6, v3 dst_sel:DWORD dst_unused:UNUSED_PAD src0_sel:WORD_0 src1_sel:DWORD
	v_or3_b32 v7, 0, 0, v7
	v_or3_b32 v6, v3, v4, 0
	v_cmp_eq_u16_sdwa s[64:65], v8, v5 src0_sel:BYTE_0 src1_sel:DWORD
	s_and_saveexec_b64 s[54:55], s[64:65]
	s_cbranch_execz .LBB202_155
; %bb.152:
	s_mov_b64 s[64:65], 0
	v_mov_b32_e32 v3, 0
.LBB202_153:                            ; =>This Inner Loop Header: Depth=1
	;;#ASMSTART
	global_load_dwordx4 v[6:9], v[60:61] off sc1	
s_waitcnt vmcnt(0)
	;;#ASMEND
	s_nop 0
	v_cmp_ne_u16_sdwa s[66:67], v8, v3 src0_sel:BYTE_0 src1_sel:DWORD
	s_or_b64 s[64:65], s[66:67], s[64:65]
	s_andn2_b64 exec, exec, s[64:65]
	s_cbranch_execnz .LBB202_153
; %bb.154:
	s_or_b64 exec, exec, s[64:65]
	v_and_b32_e32 v7, 0xff, v7
.LBB202_155:
	s_or_b64 exec, exec, s[54:55]
	v_mov_b32_e32 v3, 2
	v_cmp_eq_u16_sdwa s[54:55], v8, v3 src0_sel:BYTE_0 src1_sel:DWORD
	v_lshlrev_b64 v[4:5], v73, -1
	v_and_b32_e32 v64, 63, v73
	v_and_b32_e32 v9, s55, v5
	v_or_b32_e32 v9, 0x80000000, v9
	v_and_b32_e32 v59, s54, v4
	v_ffbl_b32_e32 v9, v9
	v_add_u32_e32 v9, 32, v9
	v_ffbl_b32_e32 v59, v59
	v_cmp_ne_u32_e32 vcc, 63, v64
	v_min_u32_e32 v9, v59, v9
	s_mov_b32 s64, 0
	v_addc_co_u32_e32 v59, vcc, 0, v73, vcc
	v_lshlrev_b32_e32 v65, 2, v59
	ds_bpermute_b32 v59, v65, v7
	ds_bpermute_b32 v60, v65, v6
	v_and_b32_e32 v61, 1, v7
	s_mov_b32 s65, 1
	v_cmp_eq_u32_e32 vcc, 1, v61
	s_waitcnt lgkmcnt(1)
	v_and_b32_e32 v59, 1, v59
	v_cmp_lt_u32_e64 s[54:55], v64, v9
	v_cndmask_b32_e64 v59, v59, 1, vcc
	v_cmp_gt_u64_e32 vcc, s[64:65], v[6:7]
	s_and_b64 vcc, s[54:55], vcc
	v_and_b32_e32 v61, 0xffff, v59
	v_cndmask_b32_e64 v68, v7, v59, s[54:55]
	s_waitcnt lgkmcnt(0)
	v_cndmask_b32_e32 v59, 0, v60, vcc
	v_cmp_gt_u32_e32 vcc, 62, v64
	v_cndmask_b32_e64 v7, v7, v61, s[54:55]
	v_add_u32_e32 v6, v59, v6
	v_cndmask_b32_e64 v60, 0, 1, vcc
	v_lshlrev_b32_e32 v60, 1, v60
	v_add_lshl_u32 v66, v60, v73, 2
	ds_bpermute_b32 v60, v66, v7
	ds_bpermute_b32 v61, v66, v6
	v_and_b32_e32 v59, 1, v68
	v_cmp_eq_u32_e32 vcc, 1, v59
	v_mov_b32_e32 v59, 0
	s_waitcnt lgkmcnt(1)
	v_and_b32_e32 v60, 1, v60
	v_add_u32_e32 v67, 2, v64
	v_cndmask_b32_e64 v60, v60, 1, vcc
	v_cmp_eq_u16_sdwa vcc, v68, v59 src0_sel:BYTE_0 src1_sel:DWORD
	v_and_b32_e32 v69, 0xffff, v60
	v_add_u32_e32 v77, 32, v64
	s_waitcnt lgkmcnt(0)
	v_cndmask_b32_e32 v61, 0, v61, vcc
	v_cmp_gt_u32_e32 vcc, v67, v9
	s_nop 1
	v_cndmask_b32_e32 v60, v60, v68, vcc
	v_cndmask_b32_e64 v61, v61, 0, vcc
	v_cndmask_b32_e32 v7, v69, v7, vcc
	v_cmp_gt_u32_e32 vcc, 60, v64
	v_add_u32_e32 v6, v61, v6
	v_and_b32_e32 v71, 1, v60
	v_cndmask_b32_e64 v68, 0, 1, vcc
	v_lshlrev_b32_e32 v68, 2, v68
	v_add_lshl_u32 v68, v68, v73, 2
	ds_bpermute_b32 v70, v68, v7
	ds_bpermute_b32 v61, v68, v6
	v_cmp_eq_u32_e32 vcc, 1, v71
	v_add_u32_e32 v69, 4, v64
	s_waitcnt lgkmcnt(1)
	v_and_b32_e32 v70, 1, v70
	v_cndmask_b32_e64 v70, v70, 1, vcc
	v_cmp_eq_u16_sdwa vcc, v60, v59 src0_sel:BYTE_0 src1_sel:DWORD
	v_and_b32_e32 v71, 0xffff, v70
	s_waitcnt lgkmcnt(0)
	v_cndmask_b32_e32 v61, 0, v61, vcc
	v_cmp_gt_u32_e32 vcc, v69, v9
	s_nop 1
	v_cndmask_b32_e32 v60, v70, v60, vcc
	v_cndmask_b32_e64 v61, v61, 0, vcc
	v_cndmask_b32_e32 v7, v71, v7, vcc
	v_cmp_gt_u32_e32 vcc, 56, v64
	v_add_u32_e32 v6, v61, v6
	v_and_b32_e32 v74, 1, v60
	v_cndmask_b32_e64 v70, 0, 1, vcc
	v_lshlrev_b32_e32 v70, 3, v70
	v_add_lshl_u32 v70, v70, v73, 2
	ds_bpermute_b32 v72, v70, v7
	ds_bpermute_b32 v61, v70, v6
	v_cmp_eq_u32_e32 vcc, 1, v74
	v_add_u32_e32 v71, 8, v64
	s_waitcnt lgkmcnt(1)
	v_and_b32_e32 v72, 1, v72
	v_cndmask_b32_e64 v72, v72, 1, vcc
	v_cmp_eq_u16_sdwa vcc, v60, v59 src0_sel:BYTE_0 src1_sel:DWORD
	v_and_b32_e32 v74, 0xffff, v72
	;; [unrolled: 22-line block ×3, first 2 shown]
	s_waitcnt lgkmcnt(0)
	v_cndmask_b32_e32 v61, 0, v61, vcc
	v_cmp_gt_u32_e32 vcc, v74, v9
	s_nop 1
	v_cndmask_b32_e32 v60, v75, v60, vcc
	v_cndmask_b32_e64 v61, v61, 0, vcc
	v_cndmask_b32_e32 v7, v76, v7, vcc
	v_cmp_gt_u32_e32 vcc, 32, v64
	v_add_u32_e32 v6, v61, v6
	s_nop 0
	v_cndmask_b32_e64 v75, 0, 1, vcc
	v_lshlrev_b32_e32 v75, 5, v75
	v_add_lshl_u32 v76, v75, v73, 2
	ds_bpermute_b32 v7, v76, v7
	ds_bpermute_b32 v61, v76, v6
	v_and_b32_e32 v73, 1, v60
	v_cmp_eq_u32_e32 vcc, 1, v73
	s_waitcnt lgkmcnt(1)
	v_and_b32_e32 v7, 1, v7
	v_cndmask_b32_e64 v7, v7, 1, vcc
	v_cmp_eq_u16_sdwa vcc, v60, v59 src0_sel:BYTE_0 src1_sel:DWORD
	s_waitcnt lgkmcnt(0)
	s_nop 0
	v_cndmask_b32_e32 v61, 0, v61, vcc
	v_cmp_gt_u32_e32 vcc, v77, v9
	s_nop 1
	v_cndmask_b32_e64 v9, v61, 0, vcc
	v_cndmask_b32_e32 v7, v7, v60, vcc
	v_add_u32_e32 v6, v9, v6
	s_branch .LBB202_157
.LBB202_156:                            ;   in Loop: Header=BB202_157 Depth=1
	s_or_b64 exec, exec, s[54:55]
	v_cmp_eq_u16_sdwa s[54:55], v8, v3 src0_sel:BYTE_0 src1_sel:DWORD
	ds_bpermute_b32 v61, v65, v7
	v_and_b32_e32 v78, 1, v7
	v_and_b32_e32 v9, s55, v5
	v_or_b32_e32 v9, 0x80000000, v9
	v_and_b32_e32 v60, s54, v4
	v_ffbl_b32_e32 v9, v9
	v_add_u32_e32 v9, 32, v9
	v_ffbl_b32_e32 v60, v60
	v_min_u32_e32 v9, v60, v9
	ds_bpermute_b32 v60, v65, v6
	s_waitcnt lgkmcnt(1)
	v_and_b32_e32 v61, 1, v61
	v_cmp_eq_u32_e32 vcc, 1, v78
	v_cmp_lt_u32_e64 s[54:55], v64, v9
	v_subrev_u32_e32 v58, 64, v58
	v_cndmask_b32_e64 v61, v61, 1, vcc
	v_cmp_gt_u64_e32 vcc, s[64:65], v[6:7]
	v_and_b32_e32 v78, 0xffff, v61
	v_cndmask_b32_e64 v61, v7, v61, s[54:55]
	v_cndmask_b32_e64 v7, v7, v78, s[54:55]
	s_and_b64 vcc, s[54:55], vcc
	ds_bpermute_b32 v78, v66, v7
	s_waitcnt lgkmcnt(1)
	v_cndmask_b32_e32 v60, 0, v60, vcc
	v_add_u32_e32 v6, v60, v6
	ds_bpermute_b32 v60, v66, v6
	v_and_b32_e32 v79, 1, v61
	s_waitcnt lgkmcnt(1)
	v_and_b32_e32 v78, 1, v78
	v_cmp_eq_u32_e32 vcc, 1, v79
	s_nop 1
	v_cndmask_b32_e64 v78, v78, 1, vcc
	v_cmp_eq_u16_sdwa vcc, v61, v59 src0_sel:BYTE_0 src1_sel:DWORD
	v_and_b32_e32 v79, 0xffff, v78
	s_waitcnt lgkmcnt(0)
	v_cndmask_b32_e32 v60, 0, v60, vcc
	v_cmp_gt_u32_e32 vcc, v67, v9
	s_nop 1
	v_cndmask_b32_e32 v7, v79, v7, vcc
	v_cndmask_b32_e32 v61, v78, v61, vcc
	ds_bpermute_b32 v78, v68, v7
	v_cndmask_b32_e64 v60, v60, 0, vcc
	v_add_u32_e32 v6, v60, v6
	ds_bpermute_b32 v60, v68, v6
	v_and_b32_e32 v79, 1, v61
	s_waitcnt lgkmcnt(1)
	v_and_b32_e32 v78, 1, v78
	v_cmp_eq_u32_e32 vcc, 1, v79
	s_nop 1
	v_cndmask_b32_e64 v78, v78, 1, vcc
	v_cmp_eq_u16_sdwa vcc, v61, v59 src0_sel:BYTE_0 src1_sel:DWORD
	v_and_b32_e32 v79, 0xffff, v78
	s_waitcnt lgkmcnt(0)
	v_cndmask_b32_e32 v60, 0, v60, vcc
	v_cmp_gt_u32_e32 vcc, v69, v9
	s_nop 1
	v_cndmask_b32_e32 v7, v79, v7, vcc
	v_cndmask_b32_e32 v61, v78, v61, vcc
	ds_bpermute_b32 v78, v70, v7
	v_cndmask_b32_e64 v60, v60, 0, vcc
	;; [unrolled: 18-line block ×3, first 2 shown]
	v_add_u32_e32 v6, v60, v6
	ds_bpermute_b32 v60, v72, v6
	v_and_b32_e32 v79, 1, v61
	s_waitcnt lgkmcnt(1)
	v_and_b32_e32 v78, 1, v78
	v_cmp_eq_u32_e32 vcc, 1, v79
	s_nop 1
	v_cndmask_b32_e64 v78, v78, 1, vcc
	v_cmp_eq_u16_sdwa vcc, v61, v59 src0_sel:BYTE_0 src1_sel:DWORD
	v_and_b32_e32 v79, 0xffff, v78
	s_waitcnt lgkmcnt(0)
	v_cndmask_b32_e32 v60, 0, v60, vcc
	v_cmp_gt_u32_e32 vcc, v74, v9
	s_nop 1
	v_cndmask_b32_e64 v60, v60, 0, vcc
	v_cndmask_b32_e32 v7, v79, v7, vcc
	ds_bpermute_b32 v7, v76, v7
	v_add_u32_e32 v6, v60, v6
	ds_bpermute_b32 v60, v76, v6
	v_cndmask_b32_e32 v61, v78, v61, vcc
	v_and_b32_e32 v78, 1, v61
	v_cmp_eq_u32_e32 vcc, 1, v78
	s_waitcnt lgkmcnt(1)
	s_nop 0
	v_cndmask_b32_e64 v7, v7, 1, vcc
	v_cmp_eq_u16_sdwa vcc, v61, v59 src0_sel:BYTE_0 src1_sel:DWORD
	s_waitcnt lgkmcnt(0)
	s_nop 0
	v_cndmask_b32_e32 v60, 0, v60, vcc
	v_cmp_gt_u32_e32 vcc, v77, v9
	s_nop 1
	v_cndmask_b32_e64 v9, v60, 0, vcc
	v_cndmask_b32_e32 v7, v7, v61, vcc
	v_add_u32_e32 v6, v9, v6
	v_cmp_eq_u16_sdwa vcc, v73, v59 src0_sel:BYTE_0 src1_sel:DWORD
	v_and_b32_e32 v9, 1, v73
	v_and_b32_e32 v7, 1, v7
	v_cndmask_b32_e32 v6, 0, v6, vcc
	v_cmp_eq_u32_e32 vcc, 1, v9
	v_add_u32_e32 v6, v6, v75
	s_nop 0
	v_cndmask_b32_e64 v7, v7, 1, vcc
.LBB202_157:                            ; =>This Loop Header: Depth=1
                                        ;     Child Loop BB202_160 Depth 2
	v_cmp_ne_u16_sdwa s[54:55], v8, v3 src0_sel:BYTE_0 src1_sel:DWORD
	v_mov_b32_e32 v73, v7
	v_mov_b32_e32 v75, v6
	v_cndmask_b32_e64 v7, 0, 1, s[54:55]
	;;#ASMSTART
	;;#ASMEND
	s_nop 0
	v_cmp_ne_u32_e32 vcc, 0, v7
	s_cmp_lg_u64 vcc, exec
	s_cbranch_scc1 .LBB202_162
; %bb.158:                              ;   in Loop: Header=BB202_157 Depth=1
	v_lshl_add_u64 v[60:61], v[58:59], 4, s[68:69]
	;;#ASMSTART
	global_load_dwordx4 v[6:9], v[60:61] off sc1	
s_waitcnt vmcnt(0)
	;;#ASMEND
	s_nop 0
	v_and_b32_e32 v9, 0xff0000, v6
	v_and_b32_e32 v78, 0xff000000, v6
	;; [unrolled: 1-line block ×3, first 2 shown]
	v_or_b32_sdwa v6, v6, v9 dst_sel:DWORD dst_unused:UNUSED_PAD src0_sel:WORD_0 src1_sel:DWORD
	v_or3_b32 v7, 0, 0, v7
	v_or3_b32 v6, v6, v78, 0
	v_cmp_eq_u16_sdwa s[66:67], v8, v59 src0_sel:BYTE_0 src1_sel:DWORD
	s_and_saveexec_b64 s[54:55], s[66:67]
	s_cbranch_execz .LBB202_156
; %bb.159:                              ;   in Loop: Header=BB202_157 Depth=1
	s_mov_b64 s[66:67], 0
.LBB202_160:                            ;   Parent Loop BB202_157 Depth=1
                                        ; =>  This Inner Loop Header: Depth=2
	;;#ASMSTART
	global_load_dwordx4 v[6:9], v[60:61] off sc1	
s_waitcnt vmcnt(0)
	;;#ASMEND
	s_nop 0
	v_cmp_ne_u16_sdwa s[76:77], v8, v59 src0_sel:BYTE_0 src1_sel:DWORD
	s_or_b64 s[66:67], s[76:77], s[66:67]
	s_andn2_b64 exec, exec, s[66:67]
	s_cbranch_execnz .LBB202_160
; %bb.161:                              ;   in Loop: Header=BB202_157 Depth=1
	s_or_b64 exec, exec, s[66:67]
	v_and_b32_e32 v7, 0xff, v7
	s_branch .LBB202_156
.LBB202_162:                            ;   in Loop: Header=BB202_157 Depth=1
                                        ; implicit-def: $vgpr7
                                        ; implicit-def: $vgpr6
                                        ; implicit-def: $vgpr8
	s_cbranch_execz .LBB202_157
; %bb.163:
	s_and_saveexec_b64 s[54:55], s[50:51]
	s_cbranch_execz .LBB202_165
; %bb.164:
	s_and_b32 s50, s3, 0xff
	s_cmp_eq_u32 s50, 0
	s_cselect_b64 vcc, -1, 0
	s_bitcmp1_b32 s3, 0
	s_mov_b32 s51, 0
	s_cselect_b64 s[64:65], -1, 0
	s_add_i32 s50, s2, 64
	s_lshl_b64 s[2:3], s[50:51], 4
	v_cndmask_b32_e32 v3, 0, v75, vcc
	s_add_u32 s2, s68, s2
	v_add_u32_e32 v2, v3, v2
	v_and_b32_e32 v3, 1, v73
	s_addc_u32 s3, s69, s3
	v_mov_b32_e32 v5, 0
	v_cndmask_b32_e64 v3, v3, 1, s[64:65]
	v_mov_b32_e32 v4, 2
	v_mov_b64_e32 v[6:7], s[2:3]
	;;#ASMSTART
	global_store_dwordx4 v[6:7], v[2:5] off sc1	
s_waitcnt vmcnt(0)
	;;#ASMEND
.LBB202_165:
	s_or_b64 exec, exec, s[54:55]
	s_and_b64 exec, exec, s[48:49]
	s_cbranch_execz .LBB202_167
; %bb.166:
	v_mov_b32_e32 v2, 0
	ds_write_b32 v2, v75
	ds_write_b8 v2, v73 offset:4
.LBB202_167:
	s_or_b64 exec, exec, s[60:61]
	s_mov_b32 s2, 0
	v_mov_b32_e32 v2, 0
	s_mov_b32 s3, 1
	s_waitcnt lgkmcnt(0)
	s_barrier
	ds_read_b32 v3, v2
	v_cmp_gt_u64_e32 vcc, s[2:3], v[10:11]
	v_and_b32_e32 v5, 1, v11
	v_and_b32_e32 v6, 1, v63
	v_cndmask_b32_e32 v4, 0, v62, vcc
	v_cmp_eq_u32_e32 vcc, 1, v5
	v_cndmask_b32_e64 v4, v4, 0, s[48:49]
	s_nop 0
	v_cndmask_b32_e64 v5, v6, 1, vcc
	v_cndmask_b32_e64 v5, v5, v11, s[48:49]
	v_cmp_eq_u16_sdwa vcc, v5, v2 src0_sel:BYTE_0 src1_sel:DWORD
	s_waitcnt lgkmcnt(0)
	s_nop 0
	v_cndmask_b32_e32 v2, 0, v3, vcc
	v_add3_u32 v80, v4, v10, v2
	v_cndmask_b32_e64 v2, 0, v80, s[52:53]
	v_add_u32_e32 v58, v2, v12
	v_cndmask_b32_e64 v2, 0, v58, s[4:5]
	v_add_u32_e32 v59, v2, v14
	;; [unrolled: 2-line block ×22, first 2 shown]
	s_branch .LBB202_188
.LBB202_168:
                                        ; implicit-def: $vgpr78
                                        ; implicit-def: $vgpr77
                                        ; implicit-def: $vgpr76
                                        ; implicit-def: $vgpr75
                                        ; implicit-def: $vgpr74
                                        ; implicit-def: $vgpr73
                                        ; implicit-def: $vgpr72
                                        ; implicit-def: $vgpr71
                                        ; implicit-def: $vgpr70
                                        ; implicit-def: $vgpr69
                                        ; implicit-def: $vgpr68
                                        ; implicit-def: $vgpr67
                                        ; implicit-def: $vgpr66
                                        ; implicit-def: $vgpr65
                                        ; implicit-def: $vgpr64
                                        ; implicit-def: $vgpr63
                                        ; implicit-def: $vgpr62
                                        ; implicit-def: $vgpr61
                                        ; implicit-def: $vgpr60
                                        ; implicit-def: $vgpr59
                                        ; implicit-def: $vgpr58
                                        ; implicit-def: $vgpr80
                                        ; implicit-def: $vgpr79
	s_cbranch_execz .LBB202_188
; %bb.169:
	s_cmp_lg_u64 s[74:75], 0
	s_cselect_b32 s5, s63, 0
	s_cselect_b32 s4, s62, 0
	s_cmp_lg_u64 s[4:5], 0
	s_cselect_b64 s[6:7], -1, 0
	v_cmp_eq_u32_e32 vcc, 0, v0
	s_mov_b32 s48, 0
	v_cmp_ne_u32_e64 s[2:3], 0, v0
	s_and_b64 s[8:9], vcc, s[6:7]
	s_and_saveexec_b64 s[6:7], s[8:9]
	s_cbranch_execz .LBB202_171
; %bb.170:
	v_mov_b32_e32 v2, 0
	global_load_dword v4, v2, s[4:5]
	global_load_ubyte v5, v2, s[4:5] offset:4
	s_mov_b32 s49, 1
	v_and_b32_e32 v3, 1, v11
	v_cmp_gt_u64_e64 s[4:5], s[48:49], v[10:11]
	s_waitcnt vmcnt(0)
	v_and_b32_e32 v5, 1, v5
	v_cndmask_b32_e64 v4, 0, v4, s[4:5]
	v_cmp_eq_u64_e64 s[4:5], 0, v[2:3]
	v_add_u32_e32 v10, v4, v10
	s_nop 0
	v_cndmask_b32_e64 v11, 1, v5, s[4:5]
.LBB202_171:
	s_or_b64 exec, exec, s[6:7]
	s_mov_b32 s49, 1
	v_cmp_gt_u64_e64 s[4:5], s[48:49], v[12:13]
	v_cmp_gt_u64_e64 s[6:7], s[48:49], v[14:15]
	v_cmp_gt_u64_e64 s[8:9], s[48:49], v[16:17]
	v_cndmask_b32_e64 v2, 0, v10, s[4:5]
	v_add_u32_e32 v58, v2, v12
	v_cndmask_b32_e64 v2, 0, v58, s[6:7]
	v_add_u32_e32 v59, v2, v14
	v_cndmask_b32_e64 v2, 0, v59, s[8:9]
	v_add_u32_e32 v60, v2, v16
	v_cmp_gt_u64_e64 s[10:11], s[48:49], v[18:19]
	v_cmp_gt_u64_e64 s[12:13], s[48:49], v[20:21]
	v_cmp_gt_u64_e64 s[14:15], s[48:49], v[22:23]
	v_cndmask_b32_e64 v2, 0, v60, s[10:11]
	v_add_u32_e32 v61, v2, v18
	v_cndmask_b32_e64 v2, 0, v61, s[12:13]
	v_add_u32_e32 v62, v2, v20
	v_cndmask_b32_e64 v2, 0, v62, s[14:15]
	v_add_u32_e32 v63, v2, v22
	;; [unrolled: 9-line block ×7, first 2 shown]
	v_cmp_gt_u64_e64 s[48:49], s[48:49], v[56:57]
	v_add_lshl_u32 v1, v1, v0, 3
	s_nop 0
	v_cndmask_b32_e64 v2, 0, v78, s[48:49]
	v_add_u32_e32 v79, v2, v56
	v_or3_b32 v2, v55, v51, v49
	v_or3_b32 v2, v2, v47, v45
	;; [unrolled: 1-line block ×10, first 2 shown]
	v_and_b32_e32 v2, 1, v2
	v_cmp_eq_u32_e64 s[50:51], 1, v2
	s_nop 1
	v_cndmask_b32_e64 v4, v11, 1, s[50:51]
	v_cmp_gt_u32_e64 s[50:51], 64, v0
	ds_write_b32 v1, v79
	ds_write_b8 v1, v4 offset:4
	s_waitcnt lgkmcnt(0)
	s_barrier
	s_and_saveexec_b64 s[52:53], s[50:51]
	s_cbranch_execz .LBB202_183
; %bb.172:
	v_lshrrev_b32_e32 v1, 3, v0
	v_add_lshl_u32 v1, v1, v54, 3
	ds_read2_b32 v[6:7], v1 offset0:2 offset1:4
	ds_read_b64 v[2:3], v1
	ds_read_u8 v8, v1 offset:12
	ds_read_u8 v9, v1 offset:20
	ds_read_b32 v13, v1 offset:24
	ds_read_u8 v15, v1 offset:28
	v_mov_b32_e32 v17, 0
	s_waitcnt lgkmcnt(3)
	v_cmp_eq_u16_sdwa s[50:51], v8, v17 src0_sel:BYTE_0 src1_sel:DWORD
	v_and_b32_e32 v5, 1, v3
	s_nop 0
	v_cndmask_b32_e64 v19, 0, v2, s[50:51]
	v_add_u32_e32 v6, v19, v6
	s_waitcnt lgkmcnt(2)
	v_cmp_eq_u16_sdwa s[50:51], v9, v17 src0_sel:BYTE_0 src1_sel:DWORD
	s_nop 1
	v_cndmask_b32_e64 v6, 0, v6, s[50:51]
	v_add_u32_e32 v6, v6, v7
	s_waitcnt lgkmcnt(0)
	v_cmp_eq_u16_e64 s[50:51], 0, v15
	s_nop 1
	v_cndmask_b32_e64 v6, 0, v6, s[50:51]
	v_add_u32_e32 v7, v6, v13
	v_or_b32_e32 v6, v15, v9
	v_or_b32_e32 v6, v6, v8
	v_and_b32_e32 v6, 1, v6
	v_cmp_eq_u32_e64 s[50:51], 1, v6
	v_mbcnt_lo_u32_b32 v8, -1, 0
	v_and_b32_e32 v6, 0xffffff00, v3
	v_cndmask_b32_e64 v9, v5, 1, s[50:51]
	v_mbcnt_hi_u32_b32 v8, -1, v8
	v_and_b32_e32 v15, 15, v8
	v_or_b32_sdwa v13, v6, v9 dst_sel:DWORD dst_unused:UNUSED_PAD src0_sel:DWORD src1_sel:WORD_0
	v_mov_b32_dpp v17, v7 row_shr:1 row_mask:0xf bank_mask:0xf
	v_cmp_ne_u32_e64 s[50:51], 0, v15
	v_mov_b32_dpp v19, v13 row_shr:1 row_mask:0xf bank_mask:0xf
	s_and_saveexec_b64 s[54:55], s[50:51]
; %bb.173:
	v_and_b32_e32 v13, 1, v9
	v_and_b32_e32 v19, 1, v19
	v_cmp_eq_u32_e64 s[50:51], 1, v13
	s_nop 1
	v_cndmask_b32_e64 v19, v19, 1, s[50:51]
	v_cmp_eq_u16_e64 s[50:51], 0, v9
	v_or_b32_sdwa v13, v6, v19 dst_sel:DWORD dst_unused:UNUSED_PAD src0_sel:DWORD src1_sel:WORD_0
	s_nop 0
	v_cndmask_b32_e64 v9, 0, v17, s[50:51]
	v_add_u32_e32 v7, v9, v7
	v_mov_b32_e32 v9, v19
; %bb.174:
	s_or_b64 exec, exec, s[54:55]
	v_mov_b32_dpp v17, v7 row_shr:2 row_mask:0xf bank_mask:0xf
	v_mov_b32_dpp v19, v13 row_shr:2 row_mask:0xf bank_mask:0xf
	v_cmp_lt_u32_e64 s[50:51], 1, v15
	s_and_saveexec_b64 s[54:55], s[50:51]
; %bb.175:
	v_and_b32_e32 v13, 1, v9
	v_and_b32_e32 v19, 1, v19
	v_cmp_eq_u32_e64 s[50:51], 1, v13
	s_nop 1
	v_cndmask_b32_e64 v19, v19, 1, s[50:51]
	v_cmp_eq_u16_e64 s[50:51], 0, v9
	v_or_b32_sdwa v13, v6, v19 dst_sel:DWORD dst_unused:UNUSED_PAD src0_sel:DWORD src1_sel:WORD_0
	s_nop 0
	v_cndmask_b32_e64 v9, 0, v17, s[50:51]
	v_add_u32_e32 v7, v9, v7
	v_mov_b32_e32 v9, v19
; %bb.176:
	s_or_b64 exec, exec, s[54:55]
	v_mov_b32_dpp v17, v7 row_shr:4 row_mask:0xf bank_mask:0xf
	v_mov_b32_dpp v19, v13 row_shr:4 row_mask:0xf bank_mask:0xf
	v_cmp_lt_u32_e64 s[50:51], 3, v15
	;; [unrolled: 18-line block ×3, first 2 shown]
	s_and_saveexec_b64 s[54:55], s[50:51]
; %bb.179:
	v_and_b32_e32 v13, 1, v9
	v_and_b32_e32 v15, 1, v19
	v_cmp_eq_u32_e64 s[50:51], 1, v13
	s_nop 1
	v_cndmask_b32_e64 v15, v15, 1, s[50:51]
	v_cmp_eq_u16_e64 s[50:51], 0, v9
	v_or_b32_sdwa v13, v6, v15 dst_sel:DWORD dst_unused:UNUSED_PAD src0_sel:DWORD src1_sel:WORD_0
	s_nop 0
	v_cndmask_b32_e64 v9, 0, v17, s[50:51]
	v_add_u32_e32 v7, v9, v7
	v_mov_b32_e32 v9, v15
; %bb.180:
	s_or_b64 exec, exec, s[54:55]
	v_and_b32_e32 v19, 16, v8
	v_mov_b32_dpp v15, v7 row_bcast:15 row_mask:0xf bank_mask:0xf
	v_mov_b32_dpp v17, v13 row_bcast:15 row_mask:0xf bank_mask:0xf
	v_cmp_ne_u32_e64 s[50:51], 0, v19
	s_and_saveexec_b64 s[54:55], s[50:51]
; %bb.181:
	v_and_b32_e32 v13, 1, v9
	v_and_b32_e32 v17, 1, v17
	v_cmp_eq_u32_e64 s[50:51], 1, v13
	s_nop 1
	v_cndmask_b32_e64 v17, v17, 1, s[50:51]
	v_cmp_eq_u16_e64 s[50:51], 0, v9
	v_or_b32_sdwa v13, v6, v17 dst_sel:DWORD dst_unused:UNUSED_PAD src0_sel:DWORD src1_sel:WORD_0
	s_nop 0
	v_cndmask_b32_e64 v9, 0, v15, s[50:51]
	v_add_u32_e32 v7, v9, v7
	v_mov_b32_e32 v9, v17
; %bb.182:
	s_or_b64 exec, exec, s[54:55]
	v_mov_b32_dpp v13, v13 row_bcast:31 row_mask:0xf bank_mask:0xf
	v_and_b32_e32 v17, 1, v9
	v_and_b32_e32 v13, 1, v13
	v_cmp_eq_u32_e64 s[50:51], 1, v17
	v_mov_b32_e32 v17, 0
	v_cmp_eq_u16_sdwa s[54:55], v9, v17 src0_sel:BYTE_0 src1_sel:DWORD
	v_cndmask_b32_e64 v13, v13, 1, s[50:51]
	v_cmp_lt_u32_e64 s[50:51], 31, v8
	v_mov_b32_dpp v15, v7 row_bcast:31 row_mask:0xf bank_mask:0xf
	s_movk_i32 s60, 0xff
	v_cndmask_b32_e64 v9, v9, v13, s[50:51]
	s_and_b64 s[50:51], s[50:51], s[54:55]
	v_cndmask_b32_e64 v13, 0, v15, s[50:51]
	v_add_u32_e32 v7, v13, v7
	v_add_u32_e32 v13, -1, v8
	v_and_b32_e32 v15, 64, v8
	v_cmp_lt_i32_e64 s[50:51], v13, v15
	v_and_or_b32 v6, v9, s60, v6
	s_nop 0
	v_cndmask_b32_e64 v8, v13, v8, s[50:51]
	v_lshlrev_b32_e32 v8, 2, v8
	ds_bpermute_b32 v7, v8, v7
	ds_bpermute_b32 v6, v8, v6
	v_cmp_eq_u16_sdwa s[50:51], v3, v17 src0_sel:BYTE_0 src1_sel:DWORD
	; wave barrier
	s_waitcnt lgkmcnt(1)
	s_nop 0
	v_cndmask_b32_e64 v3, 0, v7, s[50:51]
	v_add_u32_e32 v2, v3, v2
	s_waitcnt lgkmcnt(0)
	v_and_b32_e32 v3, 1, v6
	v_cmp_eq_u32_e64 s[50:51], 1, v5
	v_cndmask_b32_e32 v5, v2, v79, vcc
	s_nop 0
	v_cndmask_b32_e64 v3, v3, 1, s[50:51]
	v_cndmask_b32_e32 v4, v3, v4, vcc
	ds_write_b32 v1, v5
	ds_write_b8 v1, v4 offset:4
	; wave barrier
	ds_read_u8 v6, v1 offset:12
	ds_read2_b32 v[2:3], v1 offset0:2 offset1:4
	ds_read_u8 v7, v1 offset:20
	ds_read_b32 v8, v1 offset:24
	ds_read_u8 v9, v1 offset:28
	s_waitcnt lgkmcnt(4)
	v_cmp_eq_u16_e64 s[50:51], 0, v6
	s_nop 1
	v_cndmask_b32_e64 v5, 0, v5, s[50:51]
	s_waitcnt lgkmcnt(3)
	v_add_u32_e32 v2, v5, v2
	v_and_b32_e32 v5, 1, v6
	v_cmp_eq_u32_e64 s[50:51], 1, v5
	s_nop 1
	v_cndmask_b32_e64 v4, v4, 1, s[50:51]
	s_waitcnt lgkmcnt(2)
	v_cmp_eq_u16_e64 s[50:51], 0, v7
	ds_write_b8 v1, v4 offset:12
	s_nop 0
	v_cndmask_b32_e64 v5, 0, v2, s[50:51]
	v_add_u32_e32 v3, v5, v3
	v_and_b32_e32 v5, 1, v7
	v_cmp_eq_u32_e64 s[50:51], 1, v5
	s_nop 1
	v_cndmask_b32_e64 v4, v4, 1, s[50:51]
	s_waitcnt lgkmcnt(1)
	v_cmp_eq_u16_e64 s[50:51], 0, v9
	ds_write2_b32 v1, v2, v3 offset0:2 offset1:4
	ds_write_b8 v1, v4 offset:20
	v_cndmask_b32_e64 v2, 0, v3, s[50:51]
	v_and_b32_e32 v3, 1, v9
	v_add_u32_e32 v2, v2, v8
	v_cmp_eq_u32_e64 s[50:51], 1, v3
	s_nop 1
	v_cndmask_b32_e64 v3, v4, 1, s[50:51]
	ds_write_b32 v1, v2 offset:24
	ds_write_b8 v1, v3 offset:28
.LBB202_183:
	s_or_b64 exec, exec, s[52:53]
	v_mov_b32_e32 v1, v79
	s_waitcnt lgkmcnt(0)
	s_barrier
	s_and_saveexec_b64 s[50:51], s[2:3]
	s_cbranch_execnz .LBB202_261
; %bb.184:
	s_or_b64 exec, exec, s[50:51]
	s_and_saveexec_b64 s[50:51], s[2:3]
	s_cbranch_execnz .LBB202_262
.LBB202_185:
	s_or_b64 exec, exec, s[50:51]
	s_and_saveexec_b64 s[2:3], vcc
	s_cbranch_execz .LBB202_187
.LBB202_186:
	v_mov_b32_e32 v5, 0
	ds_read_b32 v2, v5 offset:2096
	ds_read_u8 v3, v5 offset:2100
	s_add_u32 s4, s68, 0x400
	s_addc_u32 s5, s69, 0
	v_mov_b32_e32 v4, 2
	v_mov_b64_e32 v[6:7], s[4:5]
	s_waitcnt lgkmcnt(0)
	;;#ASMSTART
	global_store_dwordx4 v[6:7], v[2:5] off sc1	
s_waitcnt vmcnt(0)
	;;#ASMEND
.LBB202_187:
	s_or_b64 exec, exec, s[2:3]
	v_mov_b32_e32 v80, v10
.LBB202_188:
	s_add_u32 s2, s58, s72
	s_addc_u32 s3, s59, s73
	s_add_u32 s2, s2, s56
	s_addc_u32 s3, s3, s57
	s_and_b64 vcc, exec, s[0:1]
	s_cbranch_vccz .LBB202_234
; %bb.189:
	s_movk_i32 s0, 0x5c
	v_mul_i32_i24_e32 v26, 0xffffffa8, v0
	s_waitcnt lgkmcnt(0)
	v_mul_u32_u24_e32 v1, 0x5c, v0
	v_mad_u32_u24 v2, v0, s0, v26
	s_barrier
	ds_write2_b32 v1, v80, v58 offset1:1
	ds_write2_b32 v1, v59, v60 offset0:2 offset1:3
	ds_write2_b32 v1, v61, v62 offset0:4 offset1:5
	;; [unrolled: 1-line block ×10, first 2 shown]
	ds_write_b32 v1, v79 offset:88
	s_waitcnt lgkmcnt(0)
	s_barrier
	ds_read2st64_b32 v[24:25], v2 offset0:4 offset1:8
	ds_read2st64_b32 v[22:23], v2 offset0:12 offset1:16
	;; [unrolled: 1-line block ×11, first 2 shown]
	s_add_i32 s33, s33, s70
	v_mov_b32_e32 v55, 0
	v_lshl_add_u64 v[4:5], s[2:3], 0, v[54:55]
	v_cmp_gt_u32_e32 vcc, s33, v0
	s_and_saveexec_b64 s[0:1], vcc
	s_cbranch_execz .LBB202_191
; %bb.190:
	v_add_u32_e32 v1, v1, v26
	ds_read_b32 v1, v1
	s_waitcnt lgkmcnt(0)
	flat_store_dword v[4:5], v1
.LBB202_191:
	s_or_b64 exec, exec, s[0:1]
	v_or_b32_e32 v1, 0x100, v0
	v_cmp_gt_u32_e32 vcc, s33, v1
	s_and_saveexec_b64 s[0:1], vcc
	s_cbranch_execz .LBB202_193
; %bb.192:
	s_waitcnt lgkmcnt(0)
	flat_store_dword v[4:5], v24 offset:1024
.LBB202_193:
	s_or_b64 exec, exec, s[0:1]
	v_or_b32_e32 v1, 0x200, v0
	v_cmp_gt_u32_e32 vcc, s33, v1
	s_and_saveexec_b64 s[0:1], vcc
	s_cbranch_execz .LBB202_195
; %bb.194:
	s_waitcnt lgkmcnt(0)
	flat_store_dword v[4:5], v25 offset:2048
.LBB202_195:
	;; [unrolled: 9-line block ×3, first 2 shown]
	s_or_b64 exec, exec, s[0:1]
	v_or_b32_e32 v1, 0x400, v0
	v_cmp_gt_u32_e32 vcc, s33, v1
	s_and_saveexec_b64 s[0:1], vcc
	s_cbranch_execz .LBB202_199
; %bb.198:
	s_waitcnt lgkmcnt(0)
	v_add_co_u32_e32 v24, vcc, 0x1000, v4
	s_nop 1
	v_addc_co_u32_e32 v25, vcc, 0, v5, vcc
	flat_store_dword v[24:25], v23
.LBB202_199:
	s_or_b64 exec, exec, s[0:1]
	v_or_b32_e32 v1, 0x500, v0
	v_cmp_gt_u32_e32 vcc, s33, v1
	s_and_saveexec_b64 s[0:1], vcc
	s_cbranch_execz .LBB202_201
; %bb.200:
	s_waitcnt lgkmcnt(0)
	v_add_co_u32_e32 v22, vcc, 0x1000, v4
	s_nop 1
	v_addc_co_u32_e32 v23, vcc, 0, v5, vcc
	flat_store_dword v[22:23], v20 offset:1024
.LBB202_201:
	s_or_b64 exec, exec, s[0:1]
	v_or_b32_e32 v1, 0x600, v0
	v_cmp_gt_u32_e32 vcc, s33, v1
	s_and_saveexec_b64 s[0:1], vcc
	s_cbranch_execz .LBB202_203
; %bb.202:
	s_waitcnt lgkmcnt(0)
	v_add_co_u32_e32 v22, vcc, 0x1000, v4
	s_nop 1
	v_addc_co_u32_e32 v23, vcc, 0, v5, vcc
	flat_store_dword v[22:23], v21 offset:2048
.LBB202_203:
	s_or_b64 exec, exec, s[0:1]
	v_or_b32_e32 v1, 0x700, v0
	v_cmp_gt_u32_e32 vcc, s33, v1
	s_and_saveexec_b64 s[0:1], vcc
	s_cbranch_execz .LBB202_205
; %bb.204:
	s_waitcnt lgkmcnt(0)
	v_add_co_u32_e32 v20, vcc, 0x1000, v4
	s_nop 1
	v_addc_co_u32_e32 v21, vcc, 0, v5, vcc
	flat_store_dword v[20:21], v18 offset:3072
.LBB202_205:
	s_or_b64 exec, exec, s[0:1]
	v_or_b32_e32 v1, 0x800, v0
	v_cmp_gt_u32_e32 vcc, s33, v1
	s_and_saveexec_b64 s[0:1], vcc
	s_cbranch_execz .LBB202_207
; %bb.206:
	s_waitcnt lgkmcnt(0)
	v_add_co_u32_e32 v20, vcc, 0x2000, v4
	s_nop 1
	v_addc_co_u32_e32 v21, vcc, 0, v5, vcc
	flat_store_dword v[20:21], v19
.LBB202_207:
	s_or_b64 exec, exec, s[0:1]
	v_or_b32_e32 v1, 0x900, v0
	v_cmp_gt_u32_e32 vcc, s33, v1
	s_and_saveexec_b64 s[0:1], vcc
	s_cbranch_execz .LBB202_209
; %bb.208:
	s_waitcnt lgkmcnt(0)
	v_add_co_u32_e32 v18, vcc, 0x2000, v4
	s_nop 1
	v_addc_co_u32_e32 v19, vcc, 0, v5, vcc
	flat_store_dword v[18:19], v16 offset:1024
.LBB202_209:
	s_or_b64 exec, exec, s[0:1]
	v_or_b32_e32 v1, 0xa00, v0
	v_cmp_gt_u32_e32 vcc, s33, v1
	s_and_saveexec_b64 s[0:1], vcc
	s_cbranch_execz .LBB202_211
; %bb.210:
	s_waitcnt lgkmcnt(0)
	v_add_co_u32_e32 v18, vcc, 0x2000, v4
	s_nop 1
	v_addc_co_u32_e32 v19, vcc, 0, v5, vcc
	flat_store_dword v[18:19], v17 offset:2048
.LBB202_211:
	s_or_b64 exec, exec, s[0:1]
	v_or_b32_e32 v1, 0xb00, v0
	v_cmp_gt_u32_e32 vcc, s33, v1
	s_and_saveexec_b64 s[0:1], vcc
	s_cbranch_execz .LBB202_213
; %bb.212:
	s_waitcnt lgkmcnt(0)
	v_add_co_u32_e32 v16, vcc, 0x2000, v4
	s_nop 1
	v_addc_co_u32_e32 v17, vcc, 0, v5, vcc
	flat_store_dword v[16:17], v14 offset:3072
.LBB202_213:
	;; [unrolled: 48-line block ×4, first 2 shown]
	s_or_b64 exec, exec, s[0:1]
	v_or_b32_e32 v1, 0x1400, v0
	v_cmp_gt_u32_e32 vcc, s33, v1
	s_and_saveexec_b64 s[0:1], vcc
	s_cbranch_execz .LBB202_231
; %bb.230:
	s_waitcnt lgkmcnt(0)
	v_add_co_u32_e32 v8, vcc, 0x5000, v4
	s_nop 1
	v_addc_co_u32_e32 v9, vcc, 0, v5, vcc
	flat_store_dword v[8:9], v7
.LBB202_231:
	s_or_b64 exec, exec, s[0:1]
	v_or_b32_e32 v1, 0x1500, v0
	v_cmp_gt_u32_e32 vcc, s33, v1
	s_and_saveexec_b64 s[0:1], vcc
	s_cbranch_execz .LBB202_233
; %bb.232:
	v_add_co_u32_e32 v4, vcc, 0x5000, v4
	s_nop 1
	v_addc_co_u32_e32 v5, vcc, 0, v5, vcc
	s_waitcnt lgkmcnt(0)
	flat_store_dword v[4:5], v2 offset:1024
.LBB202_233:
	s_or_b64 exec, exec, s[0:1]
	s_waitcnt lgkmcnt(0)
	v_or_b32_e32 v2, 0x1600, v0
	v_mov_b32_e32 v1, v55
	v_cmp_gt_u32_e64 s[0:1], s33, v2
	s_branch .LBB202_236
.LBB202_234:
	s_mov_b64 s[0:1], 0
                                        ; implicit-def: $vgpr3
	s_cbranch_execz .LBB202_236
; %bb.235:
	s_waitcnt lgkmcnt(0)
	v_mul_u32_u24_e32 v1, 0x5c, v0
	s_barrier
	s_movk_i32 s4, 0x5c
	ds_write2_b32 v1, v80, v58 offset1:1
	ds_write2_b32 v1, v59, v60 offset0:2 offset1:3
	ds_write2_b32 v1, v61, v62 offset0:4 offset1:5
	;; [unrolled: 1-line block ×10, first 2 shown]
	ds_write_b32 v1, v79 offset:88
	v_mov_b32_e32 v1, 0
	v_mul_i32_i24_e32 v2, 0xffffffa8, v0
	v_mad_u32_u24 v2, v0, s4, v2
	v_mov_b32_e32 v55, v1
	s_waitcnt lgkmcnt(0)
	s_barrier
	ds_read2st64_b32 v[4:5], v2 offset1:4
	ds_read2st64_b32 v[6:7], v2 offset0:8 offset1:12
	ds_read2st64_b32 v[8:9], v2 offset0:16 offset1:20
	;; [unrolled: 1-line block ×10, first 2 shown]
	ds_read_b32 v3, v2 offset:22528
	v_lshl_add_u64 v[26:27], s[2:3], 0, v[54:55]
	s_movk_i32 s4, 0x1000
	s_waitcnt lgkmcnt(0)
	flat_store_dword v[26:27], v4
	flat_store_dword v[26:27], v5 offset:1024
	flat_store_dword v[26:27], v6 offset:2048
	;; [unrolled: 1-line block ×3, first 2 shown]
	v_add_co_u32_e32 v4, vcc, s4, v26
	s_movk_i32 s4, 0x2000
	s_nop 0
	v_addc_co_u32_e32 v5, vcc, 0, v27, vcc
	flat_store_dword v[4:5], v8
	flat_store_dword v[4:5], v9 offset:1024
	flat_store_dword v[4:5], v10 offset:2048
	;; [unrolled: 1-line block ×3, first 2 shown]
	v_add_co_u32_e32 v4, vcc, s4, v26
	s_movk_i32 s4, 0x3000
	s_nop 0
	v_addc_co_u32_e32 v5, vcc, 0, v27, vcc
	flat_store_dword v[4:5], v12
	flat_store_dword v[4:5], v13 offset:1024
	flat_store_dword v[4:5], v14 offset:2048
	flat_store_dword v[4:5], v15 offset:3072
	v_add_co_u32_e32 v4, vcc, s4, v26
	s_or_b64 s[0:1], s[0:1], exec
	s_nop 0
	v_addc_co_u32_e32 v5, vcc, 0, v27, vcc
	flat_store_dword v[4:5], v16
	flat_store_dword v[4:5], v17 offset:1024
	flat_store_dword v[4:5], v18 offset:2048
	;; [unrolled: 1-line block ×3, first 2 shown]
	v_add_co_u32_e32 v4, vcc, 0x4000, v26
	s_nop 1
	v_addc_co_u32_e32 v5, vcc, 0, v27, vcc
	flat_store_dword v[4:5], v20
	flat_store_dword v[4:5], v21 offset:1024
	flat_store_dword v[4:5], v22 offset:2048
	;; [unrolled: 1-line block ×3, first 2 shown]
	v_add_co_u32_e32 v4, vcc, 0x5000, v26
	s_nop 1
	v_addc_co_u32_e32 v5, vcc, 0, v27, vcc
	flat_store_dword v[4:5], v24
	flat_store_dword v[4:5], v25 offset:1024
.LBB202_236:
	s_and_saveexec_b64 s[4:5], s[0:1]
	s_cbranch_execnz .LBB202_238
; %bb.237:
	s_endpgm
.LBB202_238:
	s_waitcnt lgkmcnt(0)
	v_lshl_add_u64 v[0:1], v[0:1], 2, s[2:3]
	v_add_co_u32_e32 v0, vcc, 0x5000, v0
	s_nop 1
	v_addc_co_u32_e32 v1, vcc, 0, v1, vcc
	flat_store_dword v[0:1], v3 offset:2048
	s_endpgm
.LBB202_239:
	v_lshl_add_u64 v[48:49], s[52:53], 0, v[44:45]
	flat_load_dword v48, v[48:49]
	s_or_b64 exec, exec, s[60:61]
                                        ; implicit-def: $vgpr49
	s_and_saveexec_b64 s[50:51], s[4:5]
	s_cbranch_execz .LBB202_55
.LBB202_240:
	v_mov_b32_e32 v45, 0
	v_lshl_add_u64 v[50:51], s[52:53], 0, v[44:45]
	flat_load_dword v49, v[50:51] offset:1024
	s_or_b64 exec, exec, s[50:51]
                                        ; implicit-def: $vgpr50
	s_and_saveexec_b64 s[4:5], s[6:7]
	s_cbranch_execz .LBB202_56
.LBB202_241:
	v_mov_b32_e32 v45, 0
	v_lshl_add_u64 v[50:51], s[52:53], 0, v[44:45]
	flat_load_dword v50, v[50:51] offset:2048
	s_or_b64 exec, exec, s[4:5]
                                        ; implicit-def: $vgpr45
	s_and_saveexec_b64 s[4:5], s[8:9]
	s_cbranch_execz .LBB202_57
.LBB202_242:
	v_mov_b32_e32 v45, 0
	v_lshl_add_u64 v[52:53], s[52:53], 0, v[44:45]
	flat_load_dword v45, v[52:53] offset:3072
	s_or_b64 exec, exec, s[4:5]
                                        ; implicit-def: $vgpr3
	s_and_saveexec_b64 s[4:5], s[10:11]
	s_cbranch_execz .LBB202_58
.LBB202_243:
	v_mov_b32_e32 v3, 0
	v_lshl_add_u64 v[2:3], s[52:53], 0, v[2:3]
	flat_load_dword v3, v[2:3]
	s_or_b64 exec, exec, s[4:5]
                                        ; implicit-def: $vgpr2
	s_and_saveexec_b64 s[4:5], s[12:13]
	s_cbranch_execz .LBB202_59
.LBB202_244:
	v_mov_b32_e32 v11, 0
	v_lshl_add_u64 v[10:11], s[52:53], 0, v[10:11]
	flat_load_dword v2, v[10:11]
	s_or_b64 exec, exec, s[4:5]
                                        ; implicit-def: $vgpr10
	s_and_saveexec_b64 s[4:5], s[14:15]
	s_cbranch_execz .LBB202_60
.LBB202_245:
	v_mov_b32_e32 v13, 0
	v_lshl_add_u64 v[10:11], s[52:53], 0, v[12:13]
	flat_load_dword v10, v[10:11]
	s_or_b64 exec, exec, s[4:5]
                                        ; implicit-def: $vgpr11
	s_and_saveexec_b64 s[4:5], s[16:17]
	s_cbranch_execz .LBB202_61
.LBB202_246:
	v_mov_b32_e32 v15, 0
	v_lshl_add_u64 v[12:13], s[52:53], 0, v[14:15]
	flat_load_dword v11, v[12:13]
	s_or_b64 exec, exec, s[4:5]
                                        ; implicit-def: $vgpr12
	s_and_saveexec_b64 s[4:5], s[18:19]
	s_cbranch_execz .LBB202_62
.LBB202_247:
	v_mov_b32_e32 v17, 0
	v_lshl_add_u64 v[12:13], s[52:53], 0, v[16:17]
	flat_load_dword v12, v[12:13]
	s_or_b64 exec, exec, s[4:5]
                                        ; implicit-def: $vgpr13
	s_and_saveexec_b64 s[4:5], s[20:21]
	s_cbranch_execz .LBB202_63
.LBB202_248:
	v_mov_b32_e32 v19, 0
	v_lshl_add_u64 v[14:15], s[52:53], 0, v[18:19]
	flat_load_dword v13, v[14:15]
	s_or_b64 exec, exec, s[4:5]
                                        ; implicit-def: $vgpr14
	s_and_saveexec_b64 s[4:5], s[22:23]
	s_cbranch_execz .LBB202_64
.LBB202_249:
	v_mov_b32_e32 v21, 0
	v_lshl_add_u64 v[14:15], s[52:53], 0, v[20:21]
	flat_load_dword v14, v[14:15]
	s_or_b64 exec, exec, s[4:5]
                                        ; implicit-def: $vgpr15
	s_and_saveexec_b64 s[4:5], s[24:25]
	s_cbranch_execz .LBB202_65
.LBB202_250:
	v_mov_b32_e32 v23, 0
	v_lshl_add_u64 v[16:17], s[52:53], 0, v[22:23]
	flat_load_dword v15, v[16:17]
	s_or_b64 exec, exec, s[4:5]
                                        ; implicit-def: $vgpr16
	s_and_saveexec_b64 s[4:5], s[26:27]
	s_cbranch_execz .LBB202_66
.LBB202_251:
	v_mov_b32_e32 v25, 0
	v_lshl_add_u64 v[16:17], s[52:53], 0, v[24:25]
	flat_load_dword v16, v[16:17]
	s_or_b64 exec, exec, s[4:5]
                                        ; implicit-def: $vgpr17
	s_and_saveexec_b64 s[4:5], s[28:29]
	s_cbranch_execz .LBB202_67
.LBB202_252:
	v_mov_b32_e32 v27, 0
	v_lshl_add_u64 v[18:19], s[52:53], 0, v[26:27]
	flat_load_dword v17, v[18:19]
	s_or_b64 exec, exec, s[4:5]
                                        ; implicit-def: $vgpr18
	s_and_saveexec_b64 s[4:5], s[30:31]
	s_cbranch_execz .LBB202_68
.LBB202_253:
	v_mov_b32_e32 v29, 0
	v_lshl_add_u64 v[18:19], s[52:53], 0, v[28:29]
	flat_load_dword v18, v[18:19]
	s_or_b64 exec, exec, s[4:5]
                                        ; implicit-def: $vgpr19
	s_and_saveexec_b64 s[4:5], s[34:35]
	s_cbranch_execz .LBB202_69
.LBB202_254:
	v_mov_b32_e32 v31, 0
	v_lshl_add_u64 v[20:21], s[52:53], 0, v[30:31]
	flat_load_dword v19, v[20:21]
	s_or_b64 exec, exec, s[4:5]
                                        ; implicit-def: $vgpr20
	s_and_saveexec_b64 s[4:5], s[36:37]
	s_cbranch_execz .LBB202_70
.LBB202_255:
	v_mov_b32_e32 v33, 0
	v_lshl_add_u64 v[20:21], s[52:53], 0, v[32:33]
	flat_load_dword v20, v[20:21]
	s_or_b64 exec, exec, s[4:5]
                                        ; implicit-def: $vgpr21
	s_and_saveexec_b64 s[4:5], s[38:39]
	s_cbranch_execz .LBB202_71
.LBB202_256:
	v_mov_b32_e32 v35, 0
	v_lshl_add_u64 v[22:23], s[52:53], 0, v[34:35]
	flat_load_dword v21, v[22:23]
	s_or_b64 exec, exec, s[4:5]
                                        ; implicit-def: $vgpr22
	s_and_saveexec_b64 s[4:5], s[40:41]
	s_cbranch_execz .LBB202_72
.LBB202_257:
	v_mov_b32_e32 v37, 0
	v_lshl_add_u64 v[22:23], s[52:53], 0, v[36:37]
	flat_load_dword v22, v[22:23]
	s_or_b64 exec, exec, s[4:5]
                                        ; implicit-def: $vgpr23
	s_and_saveexec_b64 s[4:5], s[42:43]
	s_cbranch_execz .LBB202_73
.LBB202_258:
	v_mov_b32_e32 v39, 0
	v_lshl_add_u64 v[24:25], s[52:53], 0, v[38:39]
	flat_load_dword v23, v[24:25]
	s_or_b64 exec, exec, s[4:5]
                                        ; implicit-def: $vgpr24
	s_and_saveexec_b64 s[4:5], s[44:45]
	s_cbranch_execz .LBB202_74
.LBB202_259:
	v_mov_b32_e32 v41, 0
	v_lshl_add_u64 v[24:25], s[52:53], 0, v[40:41]
	flat_load_dword v24, v[24:25]
	s_or_b64 exec, exec, s[4:5]
                                        ; implicit-def: $vgpr25
	s_and_saveexec_b64 s[4:5], s[46:47]
	s_cbranch_execz .LBB202_75
.LBB202_260:
	v_mov_b32_e32 v43, 0
	v_lshl_add_u64 v[26:27], s[52:53], 0, v[42:43]
	flat_load_dword v25, v[26:27]
	s_or_b64 exec, exec, s[4:5]
                                        ; implicit-def: $vgpr26
	s_and_saveexec_b64 s[4:5], s[48:49]
	s_cbranch_execnz .LBB202_76
	s_branch .LBB202_77
.LBB202_261:
	v_add_u32_e32 v1, -1, v0
	v_lshrrev_b32_e32 v2, 5, v1
	v_add_lshl_u32 v1, v2, v1, 3
	ds_read_b32 v1, v1
	s_or_b64 exec, exec, s[50:51]
	s_and_saveexec_b64 s[50:51], s[2:3]
	s_cbranch_execz .LBB202_185
.LBB202_262:
	v_and_b32_e32 v3, 0xff, v11
	v_mov_b32_e32 v2, 0
	v_cmp_eq_u64_e64 s[2:3], 0, v[2:3]
	;;#ASMSTART
	;;#ASMEND
	s_waitcnt lgkmcnt(0)
	s_nop 0
	v_cndmask_b32_e64 v1, 0, v1, s[2:3]
	v_add_u32_e32 v10, v1, v10
	v_cndmask_b32_e64 v1, 0, v10, s[4:5]
	v_add_u32_e32 v58, v1, v12
	;; [unrolled: 2-line block ×23, first 2 shown]
	s_or_b64 exec, exec, s[50:51]
	s_and_saveexec_b64 s[2:3], vcc
	s_cbranch_execnz .LBB202_186
	s_branch .LBB202_187
.LBB202_263:
                                        ; implicit-def: $sgpr60_sgpr61
	s_branch .LBB202_50
.LBB202_264:
                                        ; implicit-def: $sgpr4_sgpr5
	s_branch .LBB202_126
	.section	.rodata,"a",@progbits
	.p2align	6, 0x0
	.amdhsa_kernel _ZN7rocprim17ROCPRIM_400000_NS6detail17trampoline_kernelINS0_14default_configENS1_27scan_by_key_config_selectorIiiEEZZNS1_16scan_by_key_implILNS1_25lookback_scan_determinismE0ELb0ES3_N6thrust23THRUST_200600_302600_NS6detail15normal_iteratorINS9_10device_ptrIiEEEESE_SE_iNS9_4plusIvEENS9_8equal_toIiEEiEE10hipError_tPvRmT2_T3_T4_T5_mT6_T7_P12ihipStream_tbENKUlT_T0_E_clISt17integral_constantIbLb0EESZ_EEDaSU_SV_EUlSU_E_NS1_11comp_targetILNS1_3genE5ELNS1_11target_archE942ELNS1_3gpuE9ELNS1_3repE0EEENS1_30default_config_static_selectorELNS0_4arch9wavefront6targetE1EEEvT1_
		.amdhsa_group_segment_fixed_size 25600
		.amdhsa_private_segment_fixed_size 0
		.amdhsa_kernarg_size 112
		.amdhsa_user_sgpr_count 2
		.amdhsa_user_sgpr_dispatch_ptr 0
		.amdhsa_user_sgpr_queue_ptr 0
		.amdhsa_user_sgpr_kernarg_segment_ptr 1
		.amdhsa_user_sgpr_dispatch_id 0
		.amdhsa_user_sgpr_kernarg_preload_length 0
		.amdhsa_user_sgpr_kernarg_preload_offset 0
		.amdhsa_user_sgpr_private_segment_size 0
		.amdhsa_uses_dynamic_stack 0
		.amdhsa_enable_private_segment 0
		.amdhsa_system_sgpr_workgroup_id_x 1
		.amdhsa_system_sgpr_workgroup_id_y 0
		.amdhsa_system_sgpr_workgroup_id_z 0
		.amdhsa_system_sgpr_workgroup_info 0
		.amdhsa_system_vgpr_workitem_id 0
		.amdhsa_next_free_vgpr 81
		.amdhsa_next_free_sgpr 82
		.amdhsa_accum_offset 84
		.amdhsa_reserve_vcc 1
		.amdhsa_float_round_mode_32 0
		.amdhsa_float_round_mode_16_64 0
		.amdhsa_float_denorm_mode_32 3
		.amdhsa_float_denorm_mode_16_64 3
		.amdhsa_dx10_clamp 1
		.amdhsa_ieee_mode 1
		.amdhsa_fp16_overflow 0
		.amdhsa_tg_split 0
		.amdhsa_exception_fp_ieee_invalid_op 0
		.amdhsa_exception_fp_denorm_src 0
		.amdhsa_exception_fp_ieee_div_zero 0
		.amdhsa_exception_fp_ieee_overflow 0
		.amdhsa_exception_fp_ieee_underflow 0
		.amdhsa_exception_fp_ieee_inexact 0
		.amdhsa_exception_int_div_zero 0
	.end_amdhsa_kernel
	.section	.text._ZN7rocprim17ROCPRIM_400000_NS6detail17trampoline_kernelINS0_14default_configENS1_27scan_by_key_config_selectorIiiEEZZNS1_16scan_by_key_implILNS1_25lookback_scan_determinismE0ELb0ES3_N6thrust23THRUST_200600_302600_NS6detail15normal_iteratorINS9_10device_ptrIiEEEESE_SE_iNS9_4plusIvEENS9_8equal_toIiEEiEE10hipError_tPvRmT2_T3_T4_T5_mT6_T7_P12ihipStream_tbENKUlT_T0_E_clISt17integral_constantIbLb0EESZ_EEDaSU_SV_EUlSU_E_NS1_11comp_targetILNS1_3genE5ELNS1_11target_archE942ELNS1_3gpuE9ELNS1_3repE0EEENS1_30default_config_static_selectorELNS0_4arch9wavefront6targetE1EEEvT1_,"axG",@progbits,_ZN7rocprim17ROCPRIM_400000_NS6detail17trampoline_kernelINS0_14default_configENS1_27scan_by_key_config_selectorIiiEEZZNS1_16scan_by_key_implILNS1_25lookback_scan_determinismE0ELb0ES3_N6thrust23THRUST_200600_302600_NS6detail15normal_iteratorINS9_10device_ptrIiEEEESE_SE_iNS9_4plusIvEENS9_8equal_toIiEEiEE10hipError_tPvRmT2_T3_T4_T5_mT6_T7_P12ihipStream_tbENKUlT_T0_E_clISt17integral_constantIbLb0EESZ_EEDaSU_SV_EUlSU_E_NS1_11comp_targetILNS1_3genE5ELNS1_11target_archE942ELNS1_3gpuE9ELNS1_3repE0EEENS1_30default_config_static_selectorELNS0_4arch9wavefront6targetE1EEEvT1_,comdat
.Lfunc_end202:
	.size	_ZN7rocprim17ROCPRIM_400000_NS6detail17trampoline_kernelINS0_14default_configENS1_27scan_by_key_config_selectorIiiEEZZNS1_16scan_by_key_implILNS1_25lookback_scan_determinismE0ELb0ES3_N6thrust23THRUST_200600_302600_NS6detail15normal_iteratorINS9_10device_ptrIiEEEESE_SE_iNS9_4plusIvEENS9_8equal_toIiEEiEE10hipError_tPvRmT2_T3_T4_T5_mT6_T7_P12ihipStream_tbENKUlT_T0_E_clISt17integral_constantIbLb0EESZ_EEDaSU_SV_EUlSU_E_NS1_11comp_targetILNS1_3genE5ELNS1_11target_archE942ELNS1_3gpuE9ELNS1_3repE0EEENS1_30default_config_static_selectorELNS0_4arch9wavefront6targetE1EEEvT1_, .Lfunc_end202-_ZN7rocprim17ROCPRIM_400000_NS6detail17trampoline_kernelINS0_14default_configENS1_27scan_by_key_config_selectorIiiEEZZNS1_16scan_by_key_implILNS1_25lookback_scan_determinismE0ELb0ES3_N6thrust23THRUST_200600_302600_NS6detail15normal_iteratorINS9_10device_ptrIiEEEESE_SE_iNS9_4plusIvEENS9_8equal_toIiEEiEE10hipError_tPvRmT2_T3_T4_T5_mT6_T7_P12ihipStream_tbENKUlT_T0_E_clISt17integral_constantIbLb0EESZ_EEDaSU_SV_EUlSU_E_NS1_11comp_targetILNS1_3genE5ELNS1_11target_archE942ELNS1_3gpuE9ELNS1_3repE0EEENS1_30default_config_static_selectorELNS0_4arch9wavefront6targetE1EEEvT1_
                                        ; -- End function
	.section	.AMDGPU.csdata,"",@progbits
; Kernel info:
; codeLenInByte = 15432
; NumSgprs: 88
; NumVgprs: 81
; NumAgprs: 0
; TotalNumVgprs: 81
; ScratchSize: 0
; MemoryBound: 0
; FloatMode: 240
; IeeeMode: 1
; LDSByteSize: 25600 bytes/workgroup (compile time only)
; SGPRBlocks: 10
; VGPRBlocks: 10
; NumSGPRsForWavesPerEU: 88
; NumVGPRsForWavesPerEU: 81
; AccumOffset: 84
; Occupancy: 2
; WaveLimiterHint : 1
; COMPUTE_PGM_RSRC2:SCRATCH_EN: 0
; COMPUTE_PGM_RSRC2:USER_SGPR: 2
; COMPUTE_PGM_RSRC2:TRAP_HANDLER: 0
; COMPUTE_PGM_RSRC2:TGID_X_EN: 1
; COMPUTE_PGM_RSRC2:TGID_Y_EN: 0
; COMPUTE_PGM_RSRC2:TGID_Z_EN: 0
; COMPUTE_PGM_RSRC2:TIDIG_COMP_CNT: 0
; COMPUTE_PGM_RSRC3_GFX90A:ACCUM_OFFSET: 20
; COMPUTE_PGM_RSRC3_GFX90A:TG_SPLIT: 0
	.section	.text._ZN7rocprim17ROCPRIM_400000_NS6detail17trampoline_kernelINS0_14default_configENS1_27scan_by_key_config_selectorIiiEEZZNS1_16scan_by_key_implILNS1_25lookback_scan_determinismE0ELb0ES3_N6thrust23THRUST_200600_302600_NS6detail15normal_iteratorINS9_10device_ptrIiEEEESE_SE_iNS9_4plusIvEENS9_8equal_toIiEEiEE10hipError_tPvRmT2_T3_T4_T5_mT6_T7_P12ihipStream_tbENKUlT_T0_E_clISt17integral_constantIbLb0EESZ_EEDaSU_SV_EUlSU_E_NS1_11comp_targetILNS1_3genE4ELNS1_11target_archE910ELNS1_3gpuE8ELNS1_3repE0EEENS1_30default_config_static_selectorELNS0_4arch9wavefront6targetE1EEEvT1_,"axG",@progbits,_ZN7rocprim17ROCPRIM_400000_NS6detail17trampoline_kernelINS0_14default_configENS1_27scan_by_key_config_selectorIiiEEZZNS1_16scan_by_key_implILNS1_25lookback_scan_determinismE0ELb0ES3_N6thrust23THRUST_200600_302600_NS6detail15normal_iteratorINS9_10device_ptrIiEEEESE_SE_iNS9_4plusIvEENS9_8equal_toIiEEiEE10hipError_tPvRmT2_T3_T4_T5_mT6_T7_P12ihipStream_tbENKUlT_T0_E_clISt17integral_constantIbLb0EESZ_EEDaSU_SV_EUlSU_E_NS1_11comp_targetILNS1_3genE4ELNS1_11target_archE910ELNS1_3gpuE8ELNS1_3repE0EEENS1_30default_config_static_selectorELNS0_4arch9wavefront6targetE1EEEvT1_,comdat
	.protected	_ZN7rocprim17ROCPRIM_400000_NS6detail17trampoline_kernelINS0_14default_configENS1_27scan_by_key_config_selectorIiiEEZZNS1_16scan_by_key_implILNS1_25lookback_scan_determinismE0ELb0ES3_N6thrust23THRUST_200600_302600_NS6detail15normal_iteratorINS9_10device_ptrIiEEEESE_SE_iNS9_4plusIvEENS9_8equal_toIiEEiEE10hipError_tPvRmT2_T3_T4_T5_mT6_T7_P12ihipStream_tbENKUlT_T0_E_clISt17integral_constantIbLb0EESZ_EEDaSU_SV_EUlSU_E_NS1_11comp_targetILNS1_3genE4ELNS1_11target_archE910ELNS1_3gpuE8ELNS1_3repE0EEENS1_30default_config_static_selectorELNS0_4arch9wavefront6targetE1EEEvT1_ ; -- Begin function _ZN7rocprim17ROCPRIM_400000_NS6detail17trampoline_kernelINS0_14default_configENS1_27scan_by_key_config_selectorIiiEEZZNS1_16scan_by_key_implILNS1_25lookback_scan_determinismE0ELb0ES3_N6thrust23THRUST_200600_302600_NS6detail15normal_iteratorINS9_10device_ptrIiEEEESE_SE_iNS9_4plusIvEENS9_8equal_toIiEEiEE10hipError_tPvRmT2_T3_T4_T5_mT6_T7_P12ihipStream_tbENKUlT_T0_E_clISt17integral_constantIbLb0EESZ_EEDaSU_SV_EUlSU_E_NS1_11comp_targetILNS1_3genE4ELNS1_11target_archE910ELNS1_3gpuE8ELNS1_3repE0EEENS1_30default_config_static_selectorELNS0_4arch9wavefront6targetE1EEEvT1_
	.globl	_ZN7rocprim17ROCPRIM_400000_NS6detail17trampoline_kernelINS0_14default_configENS1_27scan_by_key_config_selectorIiiEEZZNS1_16scan_by_key_implILNS1_25lookback_scan_determinismE0ELb0ES3_N6thrust23THRUST_200600_302600_NS6detail15normal_iteratorINS9_10device_ptrIiEEEESE_SE_iNS9_4plusIvEENS9_8equal_toIiEEiEE10hipError_tPvRmT2_T3_T4_T5_mT6_T7_P12ihipStream_tbENKUlT_T0_E_clISt17integral_constantIbLb0EESZ_EEDaSU_SV_EUlSU_E_NS1_11comp_targetILNS1_3genE4ELNS1_11target_archE910ELNS1_3gpuE8ELNS1_3repE0EEENS1_30default_config_static_selectorELNS0_4arch9wavefront6targetE1EEEvT1_
	.p2align	8
	.type	_ZN7rocprim17ROCPRIM_400000_NS6detail17trampoline_kernelINS0_14default_configENS1_27scan_by_key_config_selectorIiiEEZZNS1_16scan_by_key_implILNS1_25lookback_scan_determinismE0ELb0ES3_N6thrust23THRUST_200600_302600_NS6detail15normal_iteratorINS9_10device_ptrIiEEEESE_SE_iNS9_4plusIvEENS9_8equal_toIiEEiEE10hipError_tPvRmT2_T3_T4_T5_mT6_T7_P12ihipStream_tbENKUlT_T0_E_clISt17integral_constantIbLb0EESZ_EEDaSU_SV_EUlSU_E_NS1_11comp_targetILNS1_3genE4ELNS1_11target_archE910ELNS1_3gpuE8ELNS1_3repE0EEENS1_30default_config_static_selectorELNS0_4arch9wavefront6targetE1EEEvT1_,@function
_ZN7rocprim17ROCPRIM_400000_NS6detail17trampoline_kernelINS0_14default_configENS1_27scan_by_key_config_selectorIiiEEZZNS1_16scan_by_key_implILNS1_25lookback_scan_determinismE0ELb0ES3_N6thrust23THRUST_200600_302600_NS6detail15normal_iteratorINS9_10device_ptrIiEEEESE_SE_iNS9_4plusIvEENS9_8equal_toIiEEiEE10hipError_tPvRmT2_T3_T4_T5_mT6_T7_P12ihipStream_tbENKUlT_T0_E_clISt17integral_constantIbLb0EESZ_EEDaSU_SV_EUlSU_E_NS1_11comp_targetILNS1_3genE4ELNS1_11target_archE910ELNS1_3gpuE8ELNS1_3repE0EEENS1_30default_config_static_selectorELNS0_4arch9wavefront6targetE1EEEvT1_: ; @_ZN7rocprim17ROCPRIM_400000_NS6detail17trampoline_kernelINS0_14default_configENS1_27scan_by_key_config_selectorIiiEEZZNS1_16scan_by_key_implILNS1_25lookback_scan_determinismE0ELb0ES3_N6thrust23THRUST_200600_302600_NS6detail15normal_iteratorINS9_10device_ptrIiEEEESE_SE_iNS9_4plusIvEENS9_8equal_toIiEEiEE10hipError_tPvRmT2_T3_T4_T5_mT6_T7_P12ihipStream_tbENKUlT_T0_E_clISt17integral_constantIbLb0EESZ_EEDaSU_SV_EUlSU_E_NS1_11comp_targetILNS1_3genE4ELNS1_11target_archE910ELNS1_3gpuE8ELNS1_3repE0EEENS1_30default_config_static_selectorELNS0_4arch9wavefront6targetE1EEEvT1_
; %bb.0:
	.section	.rodata,"a",@progbits
	.p2align	6, 0x0
	.amdhsa_kernel _ZN7rocprim17ROCPRIM_400000_NS6detail17trampoline_kernelINS0_14default_configENS1_27scan_by_key_config_selectorIiiEEZZNS1_16scan_by_key_implILNS1_25lookback_scan_determinismE0ELb0ES3_N6thrust23THRUST_200600_302600_NS6detail15normal_iteratorINS9_10device_ptrIiEEEESE_SE_iNS9_4plusIvEENS9_8equal_toIiEEiEE10hipError_tPvRmT2_T3_T4_T5_mT6_T7_P12ihipStream_tbENKUlT_T0_E_clISt17integral_constantIbLb0EESZ_EEDaSU_SV_EUlSU_E_NS1_11comp_targetILNS1_3genE4ELNS1_11target_archE910ELNS1_3gpuE8ELNS1_3repE0EEENS1_30default_config_static_selectorELNS0_4arch9wavefront6targetE1EEEvT1_
		.amdhsa_group_segment_fixed_size 0
		.amdhsa_private_segment_fixed_size 0
		.amdhsa_kernarg_size 112
		.amdhsa_user_sgpr_count 2
		.amdhsa_user_sgpr_dispatch_ptr 0
		.amdhsa_user_sgpr_queue_ptr 0
		.amdhsa_user_sgpr_kernarg_segment_ptr 1
		.amdhsa_user_sgpr_dispatch_id 0
		.amdhsa_user_sgpr_kernarg_preload_length 0
		.amdhsa_user_sgpr_kernarg_preload_offset 0
		.amdhsa_user_sgpr_private_segment_size 0
		.amdhsa_uses_dynamic_stack 0
		.amdhsa_enable_private_segment 0
		.amdhsa_system_sgpr_workgroup_id_x 1
		.amdhsa_system_sgpr_workgroup_id_y 0
		.amdhsa_system_sgpr_workgroup_id_z 0
		.amdhsa_system_sgpr_workgroup_info 0
		.amdhsa_system_vgpr_workitem_id 0
		.amdhsa_next_free_vgpr 1
		.amdhsa_next_free_sgpr 0
		.amdhsa_accum_offset 4
		.amdhsa_reserve_vcc 0
		.amdhsa_float_round_mode_32 0
		.amdhsa_float_round_mode_16_64 0
		.amdhsa_float_denorm_mode_32 3
		.amdhsa_float_denorm_mode_16_64 3
		.amdhsa_dx10_clamp 1
		.amdhsa_ieee_mode 1
		.amdhsa_fp16_overflow 0
		.amdhsa_tg_split 0
		.amdhsa_exception_fp_ieee_invalid_op 0
		.amdhsa_exception_fp_denorm_src 0
		.amdhsa_exception_fp_ieee_div_zero 0
		.amdhsa_exception_fp_ieee_overflow 0
		.amdhsa_exception_fp_ieee_underflow 0
		.amdhsa_exception_fp_ieee_inexact 0
		.amdhsa_exception_int_div_zero 0
	.end_amdhsa_kernel
	.section	.text._ZN7rocprim17ROCPRIM_400000_NS6detail17trampoline_kernelINS0_14default_configENS1_27scan_by_key_config_selectorIiiEEZZNS1_16scan_by_key_implILNS1_25lookback_scan_determinismE0ELb0ES3_N6thrust23THRUST_200600_302600_NS6detail15normal_iteratorINS9_10device_ptrIiEEEESE_SE_iNS9_4plusIvEENS9_8equal_toIiEEiEE10hipError_tPvRmT2_T3_T4_T5_mT6_T7_P12ihipStream_tbENKUlT_T0_E_clISt17integral_constantIbLb0EESZ_EEDaSU_SV_EUlSU_E_NS1_11comp_targetILNS1_3genE4ELNS1_11target_archE910ELNS1_3gpuE8ELNS1_3repE0EEENS1_30default_config_static_selectorELNS0_4arch9wavefront6targetE1EEEvT1_,"axG",@progbits,_ZN7rocprim17ROCPRIM_400000_NS6detail17trampoline_kernelINS0_14default_configENS1_27scan_by_key_config_selectorIiiEEZZNS1_16scan_by_key_implILNS1_25lookback_scan_determinismE0ELb0ES3_N6thrust23THRUST_200600_302600_NS6detail15normal_iteratorINS9_10device_ptrIiEEEESE_SE_iNS9_4plusIvEENS9_8equal_toIiEEiEE10hipError_tPvRmT2_T3_T4_T5_mT6_T7_P12ihipStream_tbENKUlT_T0_E_clISt17integral_constantIbLb0EESZ_EEDaSU_SV_EUlSU_E_NS1_11comp_targetILNS1_3genE4ELNS1_11target_archE910ELNS1_3gpuE8ELNS1_3repE0EEENS1_30default_config_static_selectorELNS0_4arch9wavefront6targetE1EEEvT1_,comdat
.Lfunc_end203:
	.size	_ZN7rocprim17ROCPRIM_400000_NS6detail17trampoline_kernelINS0_14default_configENS1_27scan_by_key_config_selectorIiiEEZZNS1_16scan_by_key_implILNS1_25lookback_scan_determinismE0ELb0ES3_N6thrust23THRUST_200600_302600_NS6detail15normal_iteratorINS9_10device_ptrIiEEEESE_SE_iNS9_4plusIvEENS9_8equal_toIiEEiEE10hipError_tPvRmT2_T3_T4_T5_mT6_T7_P12ihipStream_tbENKUlT_T0_E_clISt17integral_constantIbLb0EESZ_EEDaSU_SV_EUlSU_E_NS1_11comp_targetILNS1_3genE4ELNS1_11target_archE910ELNS1_3gpuE8ELNS1_3repE0EEENS1_30default_config_static_selectorELNS0_4arch9wavefront6targetE1EEEvT1_, .Lfunc_end203-_ZN7rocprim17ROCPRIM_400000_NS6detail17trampoline_kernelINS0_14default_configENS1_27scan_by_key_config_selectorIiiEEZZNS1_16scan_by_key_implILNS1_25lookback_scan_determinismE0ELb0ES3_N6thrust23THRUST_200600_302600_NS6detail15normal_iteratorINS9_10device_ptrIiEEEESE_SE_iNS9_4plusIvEENS9_8equal_toIiEEiEE10hipError_tPvRmT2_T3_T4_T5_mT6_T7_P12ihipStream_tbENKUlT_T0_E_clISt17integral_constantIbLb0EESZ_EEDaSU_SV_EUlSU_E_NS1_11comp_targetILNS1_3genE4ELNS1_11target_archE910ELNS1_3gpuE8ELNS1_3repE0EEENS1_30default_config_static_selectorELNS0_4arch9wavefront6targetE1EEEvT1_
                                        ; -- End function
	.section	.AMDGPU.csdata,"",@progbits
; Kernel info:
; codeLenInByte = 0
; NumSgprs: 6
; NumVgprs: 0
; NumAgprs: 0
; TotalNumVgprs: 0
; ScratchSize: 0
; MemoryBound: 0
; FloatMode: 240
; IeeeMode: 1
; LDSByteSize: 0 bytes/workgroup (compile time only)
; SGPRBlocks: 0
; VGPRBlocks: 0
; NumSGPRsForWavesPerEU: 6
; NumVGPRsForWavesPerEU: 1
; AccumOffset: 4
; Occupancy: 8
; WaveLimiterHint : 0
; COMPUTE_PGM_RSRC2:SCRATCH_EN: 0
; COMPUTE_PGM_RSRC2:USER_SGPR: 2
; COMPUTE_PGM_RSRC2:TRAP_HANDLER: 0
; COMPUTE_PGM_RSRC2:TGID_X_EN: 1
; COMPUTE_PGM_RSRC2:TGID_Y_EN: 0
; COMPUTE_PGM_RSRC2:TGID_Z_EN: 0
; COMPUTE_PGM_RSRC2:TIDIG_COMP_CNT: 0
; COMPUTE_PGM_RSRC3_GFX90A:ACCUM_OFFSET: 0
; COMPUTE_PGM_RSRC3_GFX90A:TG_SPLIT: 0
	.section	.text._ZN7rocprim17ROCPRIM_400000_NS6detail17trampoline_kernelINS0_14default_configENS1_27scan_by_key_config_selectorIiiEEZZNS1_16scan_by_key_implILNS1_25lookback_scan_determinismE0ELb0ES3_N6thrust23THRUST_200600_302600_NS6detail15normal_iteratorINS9_10device_ptrIiEEEESE_SE_iNS9_4plusIvEENS9_8equal_toIiEEiEE10hipError_tPvRmT2_T3_T4_T5_mT6_T7_P12ihipStream_tbENKUlT_T0_E_clISt17integral_constantIbLb0EESZ_EEDaSU_SV_EUlSU_E_NS1_11comp_targetILNS1_3genE3ELNS1_11target_archE908ELNS1_3gpuE7ELNS1_3repE0EEENS1_30default_config_static_selectorELNS0_4arch9wavefront6targetE1EEEvT1_,"axG",@progbits,_ZN7rocprim17ROCPRIM_400000_NS6detail17trampoline_kernelINS0_14default_configENS1_27scan_by_key_config_selectorIiiEEZZNS1_16scan_by_key_implILNS1_25lookback_scan_determinismE0ELb0ES3_N6thrust23THRUST_200600_302600_NS6detail15normal_iteratorINS9_10device_ptrIiEEEESE_SE_iNS9_4plusIvEENS9_8equal_toIiEEiEE10hipError_tPvRmT2_T3_T4_T5_mT6_T7_P12ihipStream_tbENKUlT_T0_E_clISt17integral_constantIbLb0EESZ_EEDaSU_SV_EUlSU_E_NS1_11comp_targetILNS1_3genE3ELNS1_11target_archE908ELNS1_3gpuE7ELNS1_3repE0EEENS1_30default_config_static_selectorELNS0_4arch9wavefront6targetE1EEEvT1_,comdat
	.protected	_ZN7rocprim17ROCPRIM_400000_NS6detail17trampoline_kernelINS0_14default_configENS1_27scan_by_key_config_selectorIiiEEZZNS1_16scan_by_key_implILNS1_25lookback_scan_determinismE0ELb0ES3_N6thrust23THRUST_200600_302600_NS6detail15normal_iteratorINS9_10device_ptrIiEEEESE_SE_iNS9_4plusIvEENS9_8equal_toIiEEiEE10hipError_tPvRmT2_T3_T4_T5_mT6_T7_P12ihipStream_tbENKUlT_T0_E_clISt17integral_constantIbLb0EESZ_EEDaSU_SV_EUlSU_E_NS1_11comp_targetILNS1_3genE3ELNS1_11target_archE908ELNS1_3gpuE7ELNS1_3repE0EEENS1_30default_config_static_selectorELNS0_4arch9wavefront6targetE1EEEvT1_ ; -- Begin function _ZN7rocprim17ROCPRIM_400000_NS6detail17trampoline_kernelINS0_14default_configENS1_27scan_by_key_config_selectorIiiEEZZNS1_16scan_by_key_implILNS1_25lookback_scan_determinismE0ELb0ES3_N6thrust23THRUST_200600_302600_NS6detail15normal_iteratorINS9_10device_ptrIiEEEESE_SE_iNS9_4plusIvEENS9_8equal_toIiEEiEE10hipError_tPvRmT2_T3_T4_T5_mT6_T7_P12ihipStream_tbENKUlT_T0_E_clISt17integral_constantIbLb0EESZ_EEDaSU_SV_EUlSU_E_NS1_11comp_targetILNS1_3genE3ELNS1_11target_archE908ELNS1_3gpuE7ELNS1_3repE0EEENS1_30default_config_static_selectorELNS0_4arch9wavefront6targetE1EEEvT1_
	.globl	_ZN7rocprim17ROCPRIM_400000_NS6detail17trampoline_kernelINS0_14default_configENS1_27scan_by_key_config_selectorIiiEEZZNS1_16scan_by_key_implILNS1_25lookback_scan_determinismE0ELb0ES3_N6thrust23THRUST_200600_302600_NS6detail15normal_iteratorINS9_10device_ptrIiEEEESE_SE_iNS9_4plusIvEENS9_8equal_toIiEEiEE10hipError_tPvRmT2_T3_T4_T5_mT6_T7_P12ihipStream_tbENKUlT_T0_E_clISt17integral_constantIbLb0EESZ_EEDaSU_SV_EUlSU_E_NS1_11comp_targetILNS1_3genE3ELNS1_11target_archE908ELNS1_3gpuE7ELNS1_3repE0EEENS1_30default_config_static_selectorELNS0_4arch9wavefront6targetE1EEEvT1_
	.p2align	8
	.type	_ZN7rocprim17ROCPRIM_400000_NS6detail17trampoline_kernelINS0_14default_configENS1_27scan_by_key_config_selectorIiiEEZZNS1_16scan_by_key_implILNS1_25lookback_scan_determinismE0ELb0ES3_N6thrust23THRUST_200600_302600_NS6detail15normal_iteratorINS9_10device_ptrIiEEEESE_SE_iNS9_4plusIvEENS9_8equal_toIiEEiEE10hipError_tPvRmT2_T3_T4_T5_mT6_T7_P12ihipStream_tbENKUlT_T0_E_clISt17integral_constantIbLb0EESZ_EEDaSU_SV_EUlSU_E_NS1_11comp_targetILNS1_3genE3ELNS1_11target_archE908ELNS1_3gpuE7ELNS1_3repE0EEENS1_30default_config_static_selectorELNS0_4arch9wavefront6targetE1EEEvT1_,@function
_ZN7rocprim17ROCPRIM_400000_NS6detail17trampoline_kernelINS0_14default_configENS1_27scan_by_key_config_selectorIiiEEZZNS1_16scan_by_key_implILNS1_25lookback_scan_determinismE0ELb0ES3_N6thrust23THRUST_200600_302600_NS6detail15normal_iteratorINS9_10device_ptrIiEEEESE_SE_iNS9_4plusIvEENS9_8equal_toIiEEiEE10hipError_tPvRmT2_T3_T4_T5_mT6_T7_P12ihipStream_tbENKUlT_T0_E_clISt17integral_constantIbLb0EESZ_EEDaSU_SV_EUlSU_E_NS1_11comp_targetILNS1_3genE3ELNS1_11target_archE908ELNS1_3gpuE7ELNS1_3repE0EEENS1_30default_config_static_selectorELNS0_4arch9wavefront6targetE1EEEvT1_: ; @_ZN7rocprim17ROCPRIM_400000_NS6detail17trampoline_kernelINS0_14default_configENS1_27scan_by_key_config_selectorIiiEEZZNS1_16scan_by_key_implILNS1_25lookback_scan_determinismE0ELb0ES3_N6thrust23THRUST_200600_302600_NS6detail15normal_iteratorINS9_10device_ptrIiEEEESE_SE_iNS9_4plusIvEENS9_8equal_toIiEEiEE10hipError_tPvRmT2_T3_T4_T5_mT6_T7_P12ihipStream_tbENKUlT_T0_E_clISt17integral_constantIbLb0EESZ_EEDaSU_SV_EUlSU_E_NS1_11comp_targetILNS1_3genE3ELNS1_11target_archE908ELNS1_3gpuE7ELNS1_3repE0EEENS1_30default_config_static_selectorELNS0_4arch9wavefront6targetE1EEEvT1_
; %bb.0:
	.section	.rodata,"a",@progbits
	.p2align	6, 0x0
	.amdhsa_kernel _ZN7rocprim17ROCPRIM_400000_NS6detail17trampoline_kernelINS0_14default_configENS1_27scan_by_key_config_selectorIiiEEZZNS1_16scan_by_key_implILNS1_25lookback_scan_determinismE0ELb0ES3_N6thrust23THRUST_200600_302600_NS6detail15normal_iteratorINS9_10device_ptrIiEEEESE_SE_iNS9_4plusIvEENS9_8equal_toIiEEiEE10hipError_tPvRmT2_T3_T4_T5_mT6_T7_P12ihipStream_tbENKUlT_T0_E_clISt17integral_constantIbLb0EESZ_EEDaSU_SV_EUlSU_E_NS1_11comp_targetILNS1_3genE3ELNS1_11target_archE908ELNS1_3gpuE7ELNS1_3repE0EEENS1_30default_config_static_selectorELNS0_4arch9wavefront6targetE1EEEvT1_
		.amdhsa_group_segment_fixed_size 0
		.amdhsa_private_segment_fixed_size 0
		.amdhsa_kernarg_size 112
		.amdhsa_user_sgpr_count 2
		.amdhsa_user_sgpr_dispatch_ptr 0
		.amdhsa_user_sgpr_queue_ptr 0
		.amdhsa_user_sgpr_kernarg_segment_ptr 1
		.amdhsa_user_sgpr_dispatch_id 0
		.amdhsa_user_sgpr_kernarg_preload_length 0
		.amdhsa_user_sgpr_kernarg_preload_offset 0
		.amdhsa_user_sgpr_private_segment_size 0
		.amdhsa_uses_dynamic_stack 0
		.amdhsa_enable_private_segment 0
		.amdhsa_system_sgpr_workgroup_id_x 1
		.amdhsa_system_sgpr_workgroup_id_y 0
		.amdhsa_system_sgpr_workgroup_id_z 0
		.amdhsa_system_sgpr_workgroup_info 0
		.amdhsa_system_vgpr_workitem_id 0
		.amdhsa_next_free_vgpr 1
		.amdhsa_next_free_sgpr 0
		.amdhsa_accum_offset 4
		.amdhsa_reserve_vcc 0
		.amdhsa_float_round_mode_32 0
		.amdhsa_float_round_mode_16_64 0
		.amdhsa_float_denorm_mode_32 3
		.amdhsa_float_denorm_mode_16_64 3
		.amdhsa_dx10_clamp 1
		.amdhsa_ieee_mode 1
		.amdhsa_fp16_overflow 0
		.amdhsa_tg_split 0
		.amdhsa_exception_fp_ieee_invalid_op 0
		.amdhsa_exception_fp_denorm_src 0
		.amdhsa_exception_fp_ieee_div_zero 0
		.amdhsa_exception_fp_ieee_overflow 0
		.amdhsa_exception_fp_ieee_underflow 0
		.amdhsa_exception_fp_ieee_inexact 0
		.amdhsa_exception_int_div_zero 0
	.end_amdhsa_kernel
	.section	.text._ZN7rocprim17ROCPRIM_400000_NS6detail17trampoline_kernelINS0_14default_configENS1_27scan_by_key_config_selectorIiiEEZZNS1_16scan_by_key_implILNS1_25lookback_scan_determinismE0ELb0ES3_N6thrust23THRUST_200600_302600_NS6detail15normal_iteratorINS9_10device_ptrIiEEEESE_SE_iNS9_4plusIvEENS9_8equal_toIiEEiEE10hipError_tPvRmT2_T3_T4_T5_mT6_T7_P12ihipStream_tbENKUlT_T0_E_clISt17integral_constantIbLb0EESZ_EEDaSU_SV_EUlSU_E_NS1_11comp_targetILNS1_3genE3ELNS1_11target_archE908ELNS1_3gpuE7ELNS1_3repE0EEENS1_30default_config_static_selectorELNS0_4arch9wavefront6targetE1EEEvT1_,"axG",@progbits,_ZN7rocprim17ROCPRIM_400000_NS6detail17trampoline_kernelINS0_14default_configENS1_27scan_by_key_config_selectorIiiEEZZNS1_16scan_by_key_implILNS1_25lookback_scan_determinismE0ELb0ES3_N6thrust23THRUST_200600_302600_NS6detail15normal_iteratorINS9_10device_ptrIiEEEESE_SE_iNS9_4plusIvEENS9_8equal_toIiEEiEE10hipError_tPvRmT2_T3_T4_T5_mT6_T7_P12ihipStream_tbENKUlT_T0_E_clISt17integral_constantIbLb0EESZ_EEDaSU_SV_EUlSU_E_NS1_11comp_targetILNS1_3genE3ELNS1_11target_archE908ELNS1_3gpuE7ELNS1_3repE0EEENS1_30default_config_static_selectorELNS0_4arch9wavefront6targetE1EEEvT1_,comdat
.Lfunc_end204:
	.size	_ZN7rocprim17ROCPRIM_400000_NS6detail17trampoline_kernelINS0_14default_configENS1_27scan_by_key_config_selectorIiiEEZZNS1_16scan_by_key_implILNS1_25lookback_scan_determinismE0ELb0ES3_N6thrust23THRUST_200600_302600_NS6detail15normal_iteratorINS9_10device_ptrIiEEEESE_SE_iNS9_4plusIvEENS9_8equal_toIiEEiEE10hipError_tPvRmT2_T3_T4_T5_mT6_T7_P12ihipStream_tbENKUlT_T0_E_clISt17integral_constantIbLb0EESZ_EEDaSU_SV_EUlSU_E_NS1_11comp_targetILNS1_3genE3ELNS1_11target_archE908ELNS1_3gpuE7ELNS1_3repE0EEENS1_30default_config_static_selectorELNS0_4arch9wavefront6targetE1EEEvT1_, .Lfunc_end204-_ZN7rocprim17ROCPRIM_400000_NS6detail17trampoline_kernelINS0_14default_configENS1_27scan_by_key_config_selectorIiiEEZZNS1_16scan_by_key_implILNS1_25lookback_scan_determinismE0ELb0ES3_N6thrust23THRUST_200600_302600_NS6detail15normal_iteratorINS9_10device_ptrIiEEEESE_SE_iNS9_4plusIvEENS9_8equal_toIiEEiEE10hipError_tPvRmT2_T3_T4_T5_mT6_T7_P12ihipStream_tbENKUlT_T0_E_clISt17integral_constantIbLb0EESZ_EEDaSU_SV_EUlSU_E_NS1_11comp_targetILNS1_3genE3ELNS1_11target_archE908ELNS1_3gpuE7ELNS1_3repE0EEENS1_30default_config_static_selectorELNS0_4arch9wavefront6targetE1EEEvT1_
                                        ; -- End function
	.section	.AMDGPU.csdata,"",@progbits
; Kernel info:
; codeLenInByte = 0
; NumSgprs: 6
; NumVgprs: 0
; NumAgprs: 0
; TotalNumVgprs: 0
; ScratchSize: 0
; MemoryBound: 0
; FloatMode: 240
; IeeeMode: 1
; LDSByteSize: 0 bytes/workgroup (compile time only)
; SGPRBlocks: 0
; VGPRBlocks: 0
; NumSGPRsForWavesPerEU: 6
; NumVGPRsForWavesPerEU: 1
; AccumOffset: 4
; Occupancy: 8
; WaveLimiterHint : 0
; COMPUTE_PGM_RSRC2:SCRATCH_EN: 0
; COMPUTE_PGM_RSRC2:USER_SGPR: 2
; COMPUTE_PGM_RSRC2:TRAP_HANDLER: 0
; COMPUTE_PGM_RSRC2:TGID_X_EN: 1
; COMPUTE_PGM_RSRC2:TGID_Y_EN: 0
; COMPUTE_PGM_RSRC2:TGID_Z_EN: 0
; COMPUTE_PGM_RSRC2:TIDIG_COMP_CNT: 0
; COMPUTE_PGM_RSRC3_GFX90A:ACCUM_OFFSET: 0
; COMPUTE_PGM_RSRC3_GFX90A:TG_SPLIT: 0
	.section	.text._ZN7rocprim17ROCPRIM_400000_NS6detail17trampoline_kernelINS0_14default_configENS1_27scan_by_key_config_selectorIiiEEZZNS1_16scan_by_key_implILNS1_25lookback_scan_determinismE0ELb0ES3_N6thrust23THRUST_200600_302600_NS6detail15normal_iteratorINS9_10device_ptrIiEEEESE_SE_iNS9_4plusIvEENS9_8equal_toIiEEiEE10hipError_tPvRmT2_T3_T4_T5_mT6_T7_P12ihipStream_tbENKUlT_T0_E_clISt17integral_constantIbLb0EESZ_EEDaSU_SV_EUlSU_E_NS1_11comp_targetILNS1_3genE2ELNS1_11target_archE906ELNS1_3gpuE6ELNS1_3repE0EEENS1_30default_config_static_selectorELNS0_4arch9wavefront6targetE1EEEvT1_,"axG",@progbits,_ZN7rocprim17ROCPRIM_400000_NS6detail17trampoline_kernelINS0_14default_configENS1_27scan_by_key_config_selectorIiiEEZZNS1_16scan_by_key_implILNS1_25lookback_scan_determinismE0ELb0ES3_N6thrust23THRUST_200600_302600_NS6detail15normal_iteratorINS9_10device_ptrIiEEEESE_SE_iNS9_4plusIvEENS9_8equal_toIiEEiEE10hipError_tPvRmT2_T3_T4_T5_mT6_T7_P12ihipStream_tbENKUlT_T0_E_clISt17integral_constantIbLb0EESZ_EEDaSU_SV_EUlSU_E_NS1_11comp_targetILNS1_3genE2ELNS1_11target_archE906ELNS1_3gpuE6ELNS1_3repE0EEENS1_30default_config_static_selectorELNS0_4arch9wavefront6targetE1EEEvT1_,comdat
	.protected	_ZN7rocprim17ROCPRIM_400000_NS6detail17trampoline_kernelINS0_14default_configENS1_27scan_by_key_config_selectorIiiEEZZNS1_16scan_by_key_implILNS1_25lookback_scan_determinismE0ELb0ES3_N6thrust23THRUST_200600_302600_NS6detail15normal_iteratorINS9_10device_ptrIiEEEESE_SE_iNS9_4plusIvEENS9_8equal_toIiEEiEE10hipError_tPvRmT2_T3_T4_T5_mT6_T7_P12ihipStream_tbENKUlT_T0_E_clISt17integral_constantIbLb0EESZ_EEDaSU_SV_EUlSU_E_NS1_11comp_targetILNS1_3genE2ELNS1_11target_archE906ELNS1_3gpuE6ELNS1_3repE0EEENS1_30default_config_static_selectorELNS0_4arch9wavefront6targetE1EEEvT1_ ; -- Begin function _ZN7rocprim17ROCPRIM_400000_NS6detail17trampoline_kernelINS0_14default_configENS1_27scan_by_key_config_selectorIiiEEZZNS1_16scan_by_key_implILNS1_25lookback_scan_determinismE0ELb0ES3_N6thrust23THRUST_200600_302600_NS6detail15normal_iteratorINS9_10device_ptrIiEEEESE_SE_iNS9_4plusIvEENS9_8equal_toIiEEiEE10hipError_tPvRmT2_T3_T4_T5_mT6_T7_P12ihipStream_tbENKUlT_T0_E_clISt17integral_constantIbLb0EESZ_EEDaSU_SV_EUlSU_E_NS1_11comp_targetILNS1_3genE2ELNS1_11target_archE906ELNS1_3gpuE6ELNS1_3repE0EEENS1_30default_config_static_selectorELNS0_4arch9wavefront6targetE1EEEvT1_
	.globl	_ZN7rocprim17ROCPRIM_400000_NS6detail17trampoline_kernelINS0_14default_configENS1_27scan_by_key_config_selectorIiiEEZZNS1_16scan_by_key_implILNS1_25lookback_scan_determinismE0ELb0ES3_N6thrust23THRUST_200600_302600_NS6detail15normal_iteratorINS9_10device_ptrIiEEEESE_SE_iNS9_4plusIvEENS9_8equal_toIiEEiEE10hipError_tPvRmT2_T3_T4_T5_mT6_T7_P12ihipStream_tbENKUlT_T0_E_clISt17integral_constantIbLb0EESZ_EEDaSU_SV_EUlSU_E_NS1_11comp_targetILNS1_3genE2ELNS1_11target_archE906ELNS1_3gpuE6ELNS1_3repE0EEENS1_30default_config_static_selectorELNS0_4arch9wavefront6targetE1EEEvT1_
	.p2align	8
	.type	_ZN7rocprim17ROCPRIM_400000_NS6detail17trampoline_kernelINS0_14default_configENS1_27scan_by_key_config_selectorIiiEEZZNS1_16scan_by_key_implILNS1_25lookback_scan_determinismE0ELb0ES3_N6thrust23THRUST_200600_302600_NS6detail15normal_iteratorINS9_10device_ptrIiEEEESE_SE_iNS9_4plusIvEENS9_8equal_toIiEEiEE10hipError_tPvRmT2_T3_T4_T5_mT6_T7_P12ihipStream_tbENKUlT_T0_E_clISt17integral_constantIbLb0EESZ_EEDaSU_SV_EUlSU_E_NS1_11comp_targetILNS1_3genE2ELNS1_11target_archE906ELNS1_3gpuE6ELNS1_3repE0EEENS1_30default_config_static_selectorELNS0_4arch9wavefront6targetE1EEEvT1_,@function
_ZN7rocprim17ROCPRIM_400000_NS6detail17trampoline_kernelINS0_14default_configENS1_27scan_by_key_config_selectorIiiEEZZNS1_16scan_by_key_implILNS1_25lookback_scan_determinismE0ELb0ES3_N6thrust23THRUST_200600_302600_NS6detail15normal_iteratorINS9_10device_ptrIiEEEESE_SE_iNS9_4plusIvEENS9_8equal_toIiEEiEE10hipError_tPvRmT2_T3_T4_T5_mT6_T7_P12ihipStream_tbENKUlT_T0_E_clISt17integral_constantIbLb0EESZ_EEDaSU_SV_EUlSU_E_NS1_11comp_targetILNS1_3genE2ELNS1_11target_archE906ELNS1_3gpuE6ELNS1_3repE0EEENS1_30default_config_static_selectorELNS0_4arch9wavefront6targetE1EEEvT1_: ; @_ZN7rocprim17ROCPRIM_400000_NS6detail17trampoline_kernelINS0_14default_configENS1_27scan_by_key_config_selectorIiiEEZZNS1_16scan_by_key_implILNS1_25lookback_scan_determinismE0ELb0ES3_N6thrust23THRUST_200600_302600_NS6detail15normal_iteratorINS9_10device_ptrIiEEEESE_SE_iNS9_4plusIvEENS9_8equal_toIiEEiEE10hipError_tPvRmT2_T3_T4_T5_mT6_T7_P12ihipStream_tbENKUlT_T0_E_clISt17integral_constantIbLb0EESZ_EEDaSU_SV_EUlSU_E_NS1_11comp_targetILNS1_3genE2ELNS1_11target_archE906ELNS1_3gpuE6ELNS1_3repE0EEENS1_30default_config_static_selectorELNS0_4arch9wavefront6targetE1EEEvT1_
; %bb.0:
	.section	.rodata,"a",@progbits
	.p2align	6, 0x0
	.amdhsa_kernel _ZN7rocprim17ROCPRIM_400000_NS6detail17trampoline_kernelINS0_14default_configENS1_27scan_by_key_config_selectorIiiEEZZNS1_16scan_by_key_implILNS1_25lookback_scan_determinismE0ELb0ES3_N6thrust23THRUST_200600_302600_NS6detail15normal_iteratorINS9_10device_ptrIiEEEESE_SE_iNS9_4plusIvEENS9_8equal_toIiEEiEE10hipError_tPvRmT2_T3_T4_T5_mT6_T7_P12ihipStream_tbENKUlT_T0_E_clISt17integral_constantIbLb0EESZ_EEDaSU_SV_EUlSU_E_NS1_11comp_targetILNS1_3genE2ELNS1_11target_archE906ELNS1_3gpuE6ELNS1_3repE0EEENS1_30default_config_static_selectorELNS0_4arch9wavefront6targetE1EEEvT1_
		.amdhsa_group_segment_fixed_size 0
		.amdhsa_private_segment_fixed_size 0
		.amdhsa_kernarg_size 112
		.amdhsa_user_sgpr_count 2
		.amdhsa_user_sgpr_dispatch_ptr 0
		.amdhsa_user_sgpr_queue_ptr 0
		.amdhsa_user_sgpr_kernarg_segment_ptr 1
		.amdhsa_user_sgpr_dispatch_id 0
		.amdhsa_user_sgpr_kernarg_preload_length 0
		.amdhsa_user_sgpr_kernarg_preload_offset 0
		.amdhsa_user_sgpr_private_segment_size 0
		.amdhsa_uses_dynamic_stack 0
		.amdhsa_enable_private_segment 0
		.amdhsa_system_sgpr_workgroup_id_x 1
		.amdhsa_system_sgpr_workgroup_id_y 0
		.amdhsa_system_sgpr_workgroup_id_z 0
		.amdhsa_system_sgpr_workgroup_info 0
		.amdhsa_system_vgpr_workitem_id 0
		.amdhsa_next_free_vgpr 1
		.amdhsa_next_free_sgpr 0
		.amdhsa_accum_offset 4
		.amdhsa_reserve_vcc 0
		.amdhsa_float_round_mode_32 0
		.amdhsa_float_round_mode_16_64 0
		.amdhsa_float_denorm_mode_32 3
		.amdhsa_float_denorm_mode_16_64 3
		.amdhsa_dx10_clamp 1
		.amdhsa_ieee_mode 1
		.amdhsa_fp16_overflow 0
		.amdhsa_tg_split 0
		.amdhsa_exception_fp_ieee_invalid_op 0
		.amdhsa_exception_fp_denorm_src 0
		.amdhsa_exception_fp_ieee_div_zero 0
		.amdhsa_exception_fp_ieee_overflow 0
		.amdhsa_exception_fp_ieee_underflow 0
		.amdhsa_exception_fp_ieee_inexact 0
		.amdhsa_exception_int_div_zero 0
	.end_amdhsa_kernel
	.section	.text._ZN7rocprim17ROCPRIM_400000_NS6detail17trampoline_kernelINS0_14default_configENS1_27scan_by_key_config_selectorIiiEEZZNS1_16scan_by_key_implILNS1_25lookback_scan_determinismE0ELb0ES3_N6thrust23THRUST_200600_302600_NS6detail15normal_iteratorINS9_10device_ptrIiEEEESE_SE_iNS9_4plusIvEENS9_8equal_toIiEEiEE10hipError_tPvRmT2_T3_T4_T5_mT6_T7_P12ihipStream_tbENKUlT_T0_E_clISt17integral_constantIbLb0EESZ_EEDaSU_SV_EUlSU_E_NS1_11comp_targetILNS1_3genE2ELNS1_11target_archE906ELNS1_3gpuE6ELNS1_3repE0EEENS1_30default_config_static_selectorELNS0_4arch9wavefront6targetE1EEEvT1_,"axG",@progbits,_ZN7rocprim17ROCPRIM_400000_NS6detail17trampoline_kernelINS0_14default_configENS1_27scan_by_key_config_selectorIiiEEZZNS1_16scan_by_key_implILNS1_25lookback_scan_determinismE0ELb0ES3_N6thrust23THRUST_200600_302600_NS6detail15normal_iteratorINS9_10device_ptrIiEEEESE_SE_iNS9_4plusIvEENS9_8equal_toIiEEiEE10hipError_tPvRmT2_T3_T4_T5_mT6_T7_P12ihipStream_tbENKUlT_T0_E_clISt17integral_constantIbLb0EESZ_EEDaSU_SV_EUlSU_E_NS1_11comp_targetILNS1_3genE2ELNS1_11target_archE906ELNS1_3gpuE6ELNS1_3repE0EEENS1_30default_config_static_selectorELNS0_4arch9wavefront6targetE1EEEvT1_,comdat
.Lfunc_end205:
	.size	_ZN7rocprim17ROCPRIM_400000_NS6detail17trampoline_kernelINS0_14default_configENS1_27scan_by_key_config_selectorIiiEEZZNS1_16scan_by_key_implILNS1_25lookback_scan_determinismE0ELb0ES3_N6thrust23THRUST_200600_302600_NS6detail15normal_iteratorINS9_10device_ptrIiEEEESE_SE_iNS9_4plusIvEENS9_8equal_toIiEEiEE10hipError_tPvRmT2_T3_T4_T5_mT6_T7_P12ihipStream_tbENKUlT_T0_E_clISt17integral_constantIbLb0EESZ_EEDaSU_SV_EUlSU_E_NS1_11comp_targetILNS1_3genE2ELNS1_11target_archE906ELNS1_3gpuE6ELNS1_3repE0EEENS1_30default_config_static_selectorELNS0_4arch9wavefront6targetE1EEEvT1_, .Lfunc_end205-_ZN7rocprim17ROCPRIM_400000_NS6detail17trampoline_kernelINS0_14default_configENS1_27scan_by_key_config_selectorIiiEEZZNS1_16scan_by_key_implILNS1_25lookback_scan_determinismE0ELb0ES3_N6thrust23THRUST_200600_302600_NS6detail15normal_iteratorINS9_10device_ptrIiEEEESE_SE_iNS9_4plusIvEENS9_8equal_toIiEEiEE10hipError_tPvRmT2_T3_T4_T5_mT6_T7_P12ihipStream_tbENKUlT_T0_E_clISt17integral_constantIbLb0EESZ_EEDaSU_SV_EUlSU_E_NS1_11comp_targetILNS1_3genE2ELNS1_11target_archE906ELNS1_3gpuE6ELNS1_3repE0EEENS1_30default_config_static_selectorELNS0_4arch9wavefront6targetE1EEEvT1_
                                        ; -- End function
	.section	.AMDGPU.csdata,"",@progbits
; Kernel info:
; codeLenInByte = 0
; NumSgprs: 6
; NumVgprs: 0
; NumAgprs: 0
; TotalNumVgprs: 0
; ScratchSize: 0
; MemoryBound: 0
; FloatMode: 240
; IeeeMode: 1
; LDSByteSize: 0 bytes/workgroup (compile time only)
; SGPRBlocks: 0
; VGPRBlocks: 0
; NumSGPRsForWavesPerEU: 6
; NumVGPRsForWavesPerEU: 1
; AccumOffset: 4
; Occupancy: 8
; WaveLimiterHint : 0
; COMPUTE_PGM_RSRC2:SCRATCH_EN: 0
; COMPUTE_PGM_RSRC2:USER_SGPR: 2
; COMPUTE_PGM_RSRC2:TRAP_HANDLER: 0
; COMPUTE_PGM_RSRC2:TGID_X_EN: 1
; COMPUTE_PGM_RSRC2:TGID_Y_EN: 0
; COMPUTE_PGM_RSRC2:TGID_Z_EN: 0
; COMPUTE_PGM_RSRC2:TIDIG_COMP_CNT: 0
; COMPUTE_PGM_RSRC3_GFX90A:ACCUM_OFFSET: 0
; COMPUTE_PGM_RSRC3_GFX90A:TG_SPLIT: 0
	.section	.text._ZN7rocprim17ROCPRIM_400000_NS6detail17trampoline_kernelINS0_14default_configENS1_27scan_by_key_config_selectorIiiEEZZNS1_16scan_by_key_implILNS1_25lookback_scan_determinismE0ELb0ES3_N6thrust23THRUST_200600_302600_NS6detail15normal_iteratorINS9_10device_ptrIiEEEESE_SE_iNS9_4plusIvEENS9_8equal_toIiEEiEE10hipError_tPvRmT2_T3_T4_T5_mT6_T7_P12ihipStream_tbENKUlT_T0_E_clISt17integral_constantIbLb0EESZ_EEDaSU_SV_EUlSU_E_NS1_11comp_targetILNS1_3genE10ELNS1_11target_archE1200ELNS1_3gpuE4ELNS1_3repE0EEENS1_30default_config_static_selectorELNS0_4arch9wavefront6targetE1EEEvT1_,"axG",@progbits,_ZN7rocprim17ROCPRIM_400000_NS6detail17trampoline_kernelINS0_14default_configENS1_27scan_by_key_config_selectorIiiEEZZNS1_16scan_by_key_implILNS1_25lookback_scan_determinismE0ELb0ES3_N6thrust23THRUST_200600_302600_NS6detail15normal_iteratorINS9_10device_ptrIiEEEESE_SE_iNS9_4plusIvEENS9_8equal_toIiEEiEE10hipError_tPvRmT2_T3_T4_T5_mT6_T7_P12ihipStream_tbENKUlT_T0_E_clISt17integral_constantIbLb0EESZ_EEDaSU_SV_EUlSU_E_NS1_11comp_targetILNS1_3genE10ELNS1_11target_archE1200ELNS1_3gpuE4ELNS1_3repE0EEENS1_30default_config_static_selectorELNS0_4arch9wavefront6targetE1EEEvT1_,comdat
	.protected	_ZN7rocprim17ROCPRIM_400000_NS6detail17trampoline_kernelINS0_14default_configENS1_27scan_by_key_config_selectorIiiEEZZNS1_16scan_by_key_implILNS1_25lookback_scan_determinismE0ELb0ES3_N6thrust23THRUST_200600_302600_NS6detail15normal_iteratorINS9_10device_ptrIiEEEESE_SE_iNS9_4plusIvEENS9_8equal_toIiEEiEE10hipError_tPvRmT2_T3_T4_T5_mT6_T7_P12ihipStream_tbENKUlT_T0_E_clISt17integral_constantIbLb0EESZ_EEDaSU_SV_EUlSU_E_NS1_11comp_targetILNS1_3genE10ELNS1_11target_archE1200ELNS1_3gpuE4ELNS1_3repE0EEENS1_30default_config_static_selectorELNS0_4arch9wavefront6targetE1EEEvT1_ ; -- Begin function _ZN7rocprim17ROCPRIM_400000_NS6detail17trampoline_kernelINS0_14default_configENS1_27scan_by_key_config_selectorIiiEEZZNS1_16scan_by_key_implILNS1_25lookback_scan_determinismE0ELb0ES3_N6thrust23THRUST_200600_302600_NS6detail15normal_iteratorINS9_10device_ptrIiEEEESE_SE_iNS9_4plusIvEENS9_8equal_toIiEEiEE10hipError_tPvRmT2_T3_T4_T5_mT6_T7_P12ihipStream_tbENKUlT_T0_E_clISt17integral_constantIbLb0EESZ_EEDaSU_SV_EUlSU_E_NS1_11comp_targetILNS1_3genE10ELNS1_11target_archE1200ELNS1_3gpuE4ELNS1_3repE0EEENS1_30default_config_static_selectorELNS0_4arch9wavefront6targetE1EEEvT1_
	.globl	_ZN7rocprim17ROCPRIM_400000_NS6detail17trampoline_kernelINS0_14default_configENS1_27scan_by_key_config_selectorIiiEEZZNS1_16scan_by_key_implILNS1_25lookback_scan_determinismE0ELb0ES3_N6thrust23THRUST_200600_302600_NS6detail15normal_iteratorINS9_10device_ptrIiEEEESE_SE_iNS9_4plusIvEENS9_8equal_toIiEEiEE10hipError_tPvRmT2_T3_T4_T5_mT6_T7_P12ihipStream_tbENKUlT_T0_E_clISt17integral_constantIbLb0EESZ_EEDaSU_SV_EUlSU_E_NS1_11comp_targetILNS1_3genE10ELNS1_11target_archE1200ELNS1_3gpuE4ELNS1_3repE0EEENS1_30default_config_static_selectorELNS0_4arch9wavefront6targetE1EEEvT1_
	.p2align	8
	.type	_ZN7rocprim17ROCPRIM_400000_NS6detail17trampoline_kernelINS0_14default_configENS1_27scan_by_key_config_selectorIiiEEZZNS1_16scan_by_key_implILNS1_25lookback_scan_determinismE0ELb0ES3_N6thrust23THRUST_200600_302600_NS6detail15normal_iteratorINS9_10device_ptrIiEEEESE_SE_iNS9_4plusIvEENS9_8equal_toIiEEiEE10hipError_tPvRmT2_T3_T4_T5_mT6_T7_P12ihipStream_tbENKUlT_T0_E_clISt17integral_constantIbLb0EESZ_EEDaSU_SV_EUlSU_E_NS1_11comp_targetILNS1_3genE10ELNS1_11target_archE1200ELNS1_3gpuE4ELNS1_3repE0EEENS1_30default_config_static_selectorELNS0_4arch9wavefront6targetE1EEEvT1_,@function
_ZN7rocprim17ROCPRIM_400000_NS6detail17trampoline_kernelINS0_14default_configENS1_27scan_by_key_config_selectorIiiEEZZNS1_16scan_by_key_implILNS1_25lookback_scan_determinismE0ELb0ES3_N6thrust23THRUST_200600_302600_NS6detail15normal_iteratorINS9_10device_ptrIiEEEESE_SE_iNS9_4plusIvEENS9_8equal_toIiEEiEE10hipError_tPvRmT2_T3_T4_T5_mT6_T7_P12ihipStream_tbENKUlT_T0_E_clISt17integral_constantIbLb0EESZ_EEDaSU_SV_EUlSU_E_NS1_11comp_targetILNS1_3genE10ELNS1_11target_archE1200ELNS1_3gpuE4ELNS1_3repE0EEENS1_30default_config_static_selectorELNS0_4arch9wavefront6targetE1EEEvT1_: ; @_ZN7rocprim17ROCPRIM_400000_NS6detail17trampoline_kernelINS0_14default_configENS1_27scan_by_key_config_selectorIiiEEZZNS1_16scan_by_key_implILNS1_25lookback_scan_determinismE0ELb0ES3_N6thrust23THRUST_200600_302600_NS6detail15normal_iteratorINS9_10device_ptrIiEEEESE_SE_iNS9_4plusIvEENS9_8equal_toIiEEiEE10hipError_tPvRmT2_T3_T4_T5_mT6_T7_P12ihipStream_tbENKUlT_T0_E_clISt17integral_constantIbLb0EESZ_EEDaSU_SV_EUlSU_E_NS1_11comp_targetILNS1_3genE10ELNS1_11target_archE1200ELNS1_3gpuE4ELNS1_3repE0EEENS1_30default_config_static_selectorELNS0_4arch9wavefront6targetE1EEEvT1_
; %bb.0:
	.section	.rodata,"a",@progbits
	.p2align	6, 0x0
	.amdhsa_kernel _ZN7rocprim17ROCPRIM_400000_NS6detail17trampoline_kernelINS0_14default_configENS1_27scan_by_key_config_selectorIiiEEZZNS1_16scan_by_key_implILNS1_25lookback_scan_determinismE0ELb0ES3_N6thrust23THRUST_200600_302600_NS6detail15normal_iteratorINS9_10device_ptrIiEEEESE_SE_iNS9_4plusIvEENS9_8equal_toIiEEiEE10hipError_tPvRmT2_T3_T4_T5_mT6_T7_P12ihipStream_tbENKUlT_T0_E_clISt17integral_constantIbLb0EESZ_EEDaSU_SV_EUlSU_E_NS1_11comp_targetILNS1_3genE10ELNS1_11target_archE1200ELNS1_3gpuE4ELNS1_3repE0EEENS1_30default_config_static_selectorELNS0_4arch9wavefront6targetE1EEEvT1_
		.amdhsa_group_segment_fixed_size 0
		.amdhsa_private_segment_fixed_size 0
		.amdhsa_kernarg_size 112
		.amdhsa_user_sgpr_count 2
		.amdhsa_user_sgpr_dispatch_ptr 0
		.amdhsa_user_sgpr_queue_ptr 0
		.amdhsa_user_sgpr_kernarg_segment_ptr 1
		.amdhsa_user_sgpr_dispatch_id 0
		.amdhsa_user_sgpr_kernarg_preload_length 0
		.amdhsa_user_sgpr_kernarg_preload_offset 0
		.amdhsa_user_sgpr_private_segment_size 0
		.amdhsa_uses_dynamic_stack 0
		.amdhsa_enable_private_segment 0
		.amdhsa_system_sgpr_workgroup_id_x 1
		.amdhsa_system_sgpr_workgroup_id_y 0
		.amdhsa_system_sgpr_workgroup_id_z 0
		.amdhsa_system_sgpr_workgroup_info 0
		.amdhsa_system_vgpr_workitem_id 0
		.amdhsa_next_free_vgpr 1
		.amdhsa_next_free_sgpr 0
		.amdhsa_accum_offset 4
		.amdhsa_reserve_vcc 0
		.amdhsa_float_round_mode_32 0
		.amdhsa_float_round_mode_16_64 0
		.amdhsa_float_denorm_mode_32 3
		.amdhsa_float_denorm_mode_16_64 3
		.amdhsa_dx10_clamp 1
		.amdhsa_ieee_mode 1
		.amdhsa_fp16_overflow 0
		.amdhsa_tg_split 0
		.amdhsa_exception_fp_ieee_invalid_op 0
		.amdhsa_exception_fp_denorm_src 0
		.amdhsa_exception_fp_ieee_div_zero 0
		.amdhsa_exception_fp_ieee_overflow 0
		.amdhsa_exception_fp_ieee_underflow 0
		.amdhsa_exception_fp_ieee_inexact 0
		.amdhsa_exception_int_div_zero 0
	.end_amdhsa_kernel
	.section	.text._ZN7rocprim17ROCPRIM_400000_NS6detail17trampoline_kernelINS0_14default_configENS1_27scan_by_key_config_selectorIiiEEZZNS1_16scan_by_key_implILNS1_25lookback_scan_determinismE0ELb0ES3_N6thrust23THRUST_200600_302600_NS6detail15normal_iteratorINS9_10device_ptrIiEEEESE_SE_iNS9_4plusIvEENS9_8equal_toIiEEiEE10hipError_tPvRmT2_T3_T4_T5_mT6_T7_P12ihipStream_tbENKUlT_T0_E_clISt17integral_constantIbLb0EESZ_EEDaSU_SV_EUlSU_E_NS1_11comp_targetILNS1_3genE10ELNS1_11target_archE1200ELNS1_3gpuE4ELNS1_3repE0EEENS1_30default_config_static_selectorELNS0_4arch9wavefront6targetE1EEEvT1_,"axG",@progbits,_ZN7rocprim17ROCPRIM_400000_NS6detail17trampoline_kernelINS0_14default_configENS1_27scan_by_key_config_selectorIiiEEZZNS1_16scan_by_key_implILNS1_25lookback_scan_determinismE0ELb0ES3_N6thrust23THRUST_200600_302600_NS6detail15normal_iteratorINS9_10device_ptrIiEEEESE_SE_iNS9_4plusIvEENS9_8equal_toIiEEiEE10hipError_tPvRmT2_T3_T4_T5_mT6_T7_P12ihipStream_tbENKUlT_T0_E_clISt17integral_constantIbLb0EESZ_EEDaSU_SV_EUlSU_E_NS1_11comp_targetILNS1_3genE10ELNS1_11target_archE1200ELNS1_3gpuE4ELNS1_3repE0EEENS1_30default_config_static_selectorELNS0_4arch9wavefront6targetE1EEEvT1_,comdat
.Lfunc_end206:
	.size	_ZN7rocprim17ROCPRIM_400000_NS6detail17trampoline_kernelINS0_14default_configENS1_27scan_by_key_config_selectorIiiEEZZNS1_16scan_by_key_implILNS1_25lookback_scan_determinismE0ELb0ES3_N6thrust23THRUST_200600_302600_NS6detail15normal_iteratorINS9_10device_ptrIiEEEESE_SE_iNS9_4plusIvEENS9_8equal_toIiEEiEE10hipError_tPvRmT2_T3_T4_T5_mT6_T7_P12ihipStream_tbENKUlT_T0_E_clISt17integral_constantIbLb0EESZ_EEDaSU_SV_EUlSU_E_NS1_11comp_targetILNS1_3genE10ELNS1_11target_archE1200ELNS1_3gpuE4ELNS1_3repE0EEENS1_30default_config_static_selectorELNS0_4arch9wavefront6targetE1EEEvT1_, .Lfunc_end206-_ZN7rocprim17ROCPRIM_400000_NS6detail17trampoline_kernelINS0_14default_configENS1_27scan_by_key_config_selectorIiiEEZZNS1_16scan_by_key_implILNS1_25lookback_scan_determinismE0ELb0ES3_N6thrust23THRUST_200600_302600_NS6detail15normal_iteratorINS9_10device_ptrIiEEEESE_SE_iNS9_4plusIvEENS9_8equal_toIiEEiEE10hipError_tPvRmT2_T3_T4_T5_mT6_T7_P12ihipStream_tbENKUlT_T0_E_clISt17integral_constantIbLb0EESZ_EEDaSU_SV_EUlSU_E_NS1_11comp_targetILNS1_3genE10ELNS1_11target_archE1200ELNS1_3gpuE4ELNS1_3repE0EEENS1_30default_config_static_selectorELNS0_4arch9wavefront6targetE1EEEvT1_
                                        ; -- End function
	.section	.AMDGPU.csdata,"",@progbits
; Kernel info:
; codeLenInByte = 0
; NumSgprs: 6
; NumVgprs: 0
; NumAgprs: 0
; TotalNumVgprs: 0
; ScratchSize: 0
; MemoryBound: 0
; FloatMode: 240
; IeeeMode: 1
; LDSByteSize: 0 bytes/workgroup (compile time only)
; SGPRBlocks: 0
; VGPRBlocks: 0
; NumSGPRsForWavesPerEU: 6
; NumVGPRsForWavesPerEU: 1
; AccumOffset: 4
; Occupancy: 8
; WaveLimiterHint : 0
; COMPUTE_PGM_RSRC2:SCRATCH_EN: 0
; COMPUTE_PGM_RSRC2:USER_SGPR: 2
; COMPUTE_PGM_RSRC2:TRAP_HANDLER: 0
; COMPUTE_PGM_RSRC2:TGID_X_EN: 1
; COMPUTE_PGM_RSRC2:TGID_Y_EN: 0
; COMPUTE_PGM_RSRC2:TGID_Z_EN: 0
; COMPUTE_PGM_RSRC2:TIDIG_COMP_CNT: 0
; COMPUTE_PGM_RSRC3_GFX90A:ACCUM_OFFSET: 0
; COMPUTE_PGM_RSRC3_GFX90A:TG_SPLIT: 0
	.section	.text._ZN7rocprim17ROCPRIM_400000_NS6detail17trampoline_kernelINS0_14default_configENS1_27scan_by_key_config_selectorIiiEEZZNS1_16scan_by_key_implILNS1_25lookback_scan_determinismE0ELb0ES3_N6thrust23THRUST_200600_302600_NS6detail15normal_iteratorINS9_10device_ptrIiEEEESE_SE_iNS9_4plusIvEENS9_8equal_toIiEEiEE10hipError_tPvRmT2_T3_T4_T5_mT6_T7_P12ihipStream_tbENKUlT_T0_E_clISt17integral_constantIbLb0EESZ_EEDaSU_SV_EUlSU_E_NS1_11comp_targetILNS1_3genE9ELNS1_11target_archE1100ELNS1_3gpuE3ELNS1_3repE0EEENS1_30default_config_static_selectorELNS0_4arch9wavefront6targetE1EEEvT1_,"axG",@progbits,_ZN7rocprim17ROCPRIM_400000_NS6detail17trampoline_kernelINS0_14default_configENS1_27scan_by_key_config_selectorIiiEEZZNS1_16scan_by_key_implILNS1_25lookback_scan_determinismE0ELb0ES3_N6thrust23THRUST_200600_302600_NS6detail15normal_iteratorINS9_10device_ptrIiEEEESE_SE_iNS9_4plusIvEENS9_8equal_toIiEEiEE10hipError_tPvRmT2_T3_T4_T5_mT6_T7_P12ihipStream_tbENKUlT_T0_E_clISt17integral_constantIbLb0EESZ_EEDaSU_SV_EUlSU_E_NS1_11comp_targetILNS1_3genE9ELNS1_11target_archE1100ELNS1_3gpuE3ELNS1_3repE0EEENS1_30default_config_static_selectorELNS0_4arch9wavefront6targetE1EEEvT1_,comdat
	.protected	_ZN7rocprim17ROCPRIM_400000_NS6detail17trampoline_kernelINS0_14default_configENS1_27scan_by_key_config_selectorIiiEEZZNS1_16scan_by_key_implILNS1_25lookback_scan_determinismE0ELb0ES3_N6thrust23THRUST_200600_302600_NS6detail15normal_iteratorINS9_10device_ptrIiEEEESE_SE_iNS9_4plusIvEENS9_8equal_toIiEEiEE10hipError_tPvRmT2_T3_T4_T5_mT6_T7_P12ihipStream_tbENKUlT_T0_E_clISt17integral_constantIbLb0EESZ_EEDaSU_SV_EUlSU_E_NS1_11comp_targetILNS1_3genE9ELNS1_11target_archE1100ELNS1_3gpuE3ELNS1_3repE0EEENS1_30default_config_static_selectorELNS0_4arch9wavefront6targetE1EEEvT1_ ; -- Begin function _ZN7rocprim17ROCPRIM_400000_NS6detail17trampoline_kernelINS0_14default_configENS1_27scan_by_key_config_selectorIiiEEZZNS1_16scan_by_key_implILNS1_25lookback_scan_determinismE0ELb0ES3_N6thrust23THRUST_200600_302600_NS6detail15normal_iteratorINS9_10device_ptrIiEEEESE_SE_iNS9_4plusIvEENS9_8equal_toIiEEiEE10hipError_tPvRmT2_T3_T4_T5_mT6_T7_P12ihipStream_tbENKUlT_T0_E_clISt17integral_constantIbLb0EESZ_EEDaSU_SV_EUlSU_E_NS1_11comp_targetILNS1_3genE9ELNS1_11target_archE1100ELNS1_3gpuE3ELNS1_3repE0EEENS1_30default_config_static_selectorELNS0_4arch9wavefront6targetE1EEEvT1_
	.globl	_ZN7rocprim17ROCPRIM_400000_NS6detail17trampoline_kernelINS0_14default_configENS1_27scan_by_key_config_selectorIiiEEZZNS1_16scan_by_key_implILNS1_25lookback_scan_determinismE0ELb0ES3_N6thrust23THRUST_200600_302600_NS6detail15normal_iteratorINS9_10device_ptrIiEEEESE_SE_iNS9_4plusIvEENS9_8equal_toIiEEiEE10hipError_tPvRmT2_T3_T4_T5_mT6_T7_P12ihipStream_tbENKUlT_T0_E_clISt17integral_constantIbLb0EESZ_EEDaSU_SV_EUlSU_E_NS1_11comp_targetILNS1_3genE9ELNS1_11target_archE1100ELNS1_3gpuE3ELNS1_3repE0EEENS1_30default_config_static_selectorELNS0_4arch9wavefront6targetE1EEEvT1_
	.p2align	8
	.type	_ZN7rocprim17ROCPRIM_400000_NS6detail17trampoline_kernelINS0_14default_configENS1_27scan_by_key_config_selectorIiiEEZZNS1_16scan_by_key_implILNS1_25lookback_scan_determinismE0ELb0ES3_N6thrust23THRUST_200600_302600_NS6detail15normal_iteratorINS9_10device_ptrIiEEEESE_SE_iNS9_4plusIvEENS9_8equal_toIiEEiEE10hipError_tPvRmT2_T3_T4_T5_mT6_T7_P12ihipStream_tbENKUlT_T0_E_clISt17integral_constantIbLb0EESZ_EEDaSU_SV_EUlSU_E_NS1_11comp_targetILNS1_3genE9ELNS1_11target_archE1100ELNS1_3gpuE3ELNS1_3repE0EEENS1_30default_config_static_selectorELNS0_4arch9wavefront6targetE1EEEvT1_,@function
_ZN7rocprim17ROCPRIM_400000_NS6detail17trampoline_kernelINS0_14default_configENS1_27scan_by_key_config_selectorIiiEEZZNS1_16scan_by_key_implILNS1_25lookback_scan_determinismE0ELb0ES3_N6thrust23THRUST_200600_302600_NS6detail15normal_iteratorINS9_10device_ptrIiEEEESE_SE_iNS9_4plusIvEENS9_8equal_toIiEEiEE10hipError_tPvRmT2_T3_T4_T5_mT6_T7_P12ihipStream_tbENKUlT_T0_E_clISt17integral_constantIbLb0EESZ_EEDaSU_SV_EUlSU_E_NS1_11comp_targetILNS1_3genE9ELNS1_11target_archE1100ELNS1_3gpuE3ELNS1_3repE0EEENS1_30default_config_static_selectorELNS0_4arch9wavefront6targetE1EEEvT1_: ; @_ZN7rocprim17ROCPRIM_400000_NS6detail17trampoline_kernelINS0_14default_configENS1_27scan_by_key_config_selectorIiiEEZZNS1_16scan_by_key_implILNS1_25lookback_scan_determinismE0ELb0ES3_N6thrust23THRUST_200600_302600_NS6detail15normal_iteratorINS9_10device_ptrIiEEEESE_SE_iNS9_4plusIvEENS9_8equal_toIiEEiEE10hipError_tPvRmT2_T3_T4_T5_mT6_T7_P12ihipStream_tbENKUlT_T0_E_clISt17integral_constantIbLb0EESZ_EEDaSU_SV_EUlSU_E_NS1_11comp_targetILNS1_3genE9ELNS1_11target_archE1100ELNS1_3gpuE3ELNS1_3repE0EEENS1_30default_config_static_selectorELNS0_4arch9wavefront6targetE1EEEvT1_
; %bb.0:
	.section	.rodata,"a",@progbits
	.p2align	6, 0x0
	.amdhsa_kernel _ZN7rocprim17ROCPRIM_400000_NS6detail17trampoline_kernelINS0_14default_configENS1_27scan_by_key_config_selectorIiiEEZZNS1_16scan_by_key_implILNS1_25lookback_scan_determinismE0ELb0ES3_N6thrust23THRUST_200600_302600_NS6detail15normal_iteratorINS9_10device_ptrIiEEEESE_SE_iNS9_4plusIvEENS9_8equal_toIiEEiEE10hipError_tPvRmT2_T3_T4_T5_mT6_T7_P12ihipStream_tbENKUlT_T0_E_clISt17integral_constantIbLb0EESZ_EEDaSU_SV_EUlSU_E_NS1_11comp_targetILNS1_3genE9ELNS1_11target_archE1100ELNS1_3gpuE3ELNS1_3repE0EEENS1_30default_config_static_selectorELNS0_4arch9wavefront6targetE1EEEvT1_
		.amdhsa_group_segment_fixed_size 0
		.amdhsa_private_segment_fixed_size 0
		.amdhsa_kernarg_size 112
		.amdhsa_user_sgpr_count 2
		.amdhsa_user_sgpr_dispatch_ptr 0
		.amdhsa_user_sgpr_queue_ptr 0
		.amdhsa_user_sgpr_kernarg_segment_ptr 1
		.amdhsa_user_sgpr_dispatch_id 0
		.amdhsa_user_sgpr_kernarg_preload_length 0
		.amdhsa_user_sgpr_kernarg_preload_offset 0
		.amdhsa_user_sgpr_private_segment_size 0
		.amdhsa_uses_dynamic_stack 0
		.amdhsa_enable_private_segment 0
		.amdhsa_system_sgpr_workgroup_id_x 1
		.amdhsa_system_sgpr_workgroup_id_y 0
		.amdhsa_system_sgpr_workgroup_id_z 0
		.amdhsa_system_sgpr_workgroup_info 0
		.amdhsa_system_vgpr_workitem_id 0
		.amdhsa_next_free_vgpr 1
		.amdhsa_next_free_sgpr 0
		.amdhsa_accum_offset 4
		.amdhsa_reserve_vcc 0
		.amdhsa_float_round_mode_32 0
		.amdhsa_float_round_mode_16_64 0
		.amdhsa_float_denorm_mode_32 3
		.amdhsa_float_denorm_mode_16_64 3
		.amdhsa_dx10_clamp 1
		.amdhsa_ieee_mode 1
		.amdhsa_fp16_overflow 0
		.amdhsa_tg_split 0
		.amdhsa_exception_fp_ieee_invalid_op 0
		.amdhsa_exception_fp_denorm_src 0
		.amdhsa_exception_fp_ieee_div_zero 0
		.amdhsa_exception_fp_ieee_overflow 0
		.amdhsa_exception_fp_ieee_underflow 0
		.amdhsa_exception_fp_ieee_inexact 0
		.amdhsa_exception_int_div_zero 0
	.end_amdhsa_kernel
	.section	.text._ZN7rocprim17ROCPRIM_400000_NS6detail17trampoline_kernelINS0_14default_configENS1_27scan_by_key_config_selectorIiiEEZZNS1_16scan_by_key_implILNS1_25lookback_scan_determinismE0ELb0ES3_N6thrust23THRUST_200600_302600_NS6detail15normal_iteratorINS9_10device_ptrIiEEEESE_SE_iNS9_4plusIvEENS9_8equal_toIiEEiEE10hipError_tPvRmT2_T3_T4_T5_mT6_T7_P12ihipStream_tbENKUlT_T0_E_clISt17integral_constantIbLb0EESZ_EEDaSU_SV_EUlSU_E_NS1_11comp_targetILNS1_3genE9ELNS1_11target_archE1100ELNS1_3gpuE3ELNS1_3repE0EEENS1_30default_config_static_selectorELNS0_4arch9wavefront6targetE1EEEvT1_,"axG",@progbits,_ZN7rocprim17ROCPRIM_400000_NS6detail17trampoline_kernelINS0_14default_configENS1_27scan_by_key_config_selectorIiiEEZZNS1_16scan_by_key_implILNS1_25lookback_scan_determinismE0ELb0ES3_N6thrust23THRUST_200600_302600_NS6detail15normal_iteratorINS9_10device_ptrIiEEEESE_SE_iNS9_4plusIvEENS9_8equal_toIiEEiEE10hipError_tPvRmT2_T3_T4_T5_mT6_T7_P12ihipStream_tbENKUlT_T0_E_clISt17integral_constantIbLb0EESZ_EEDaSU_SV_EUlSU_E_NS1_11comp_targetILNS1_3genE9ELNS1_11target_archE1100ELNS1_3gpuE3ELNS1_3repE0EEENS1_30default_config_static_selectorELNS0_4arch9wavefront6targetE1EEEvT1_,comdat
.Lfunc_end207:
	.size	_ZN7rocprim17ROCPRIM_400000_NS6detail17trampoline_kernelINS0_14default_configENS1_27scan_by_key_config_selectorIiiEEZZNS1_16scan_by_key_implILNS1_25lookback_scan_determinismE0ELb0ES3_N6thrust23THRUST_200600_302600_NS6detail15normal_iteratorINS9_10device_ptrIiEEEESE_SE_iNS9_4plusIvEENS9_8equal_toIiEEiEE10hipError_tPvRmT2_T3_T4_T5_mT6_T7_P12ihipStream_tbENKUlT_T0_E_clISt17integral_constantIbLb0EESZ_EEDaSU_SV_EUlSU_E_NS1_11comp_targetILNS1_3genE9ELNS1_11target_archE1100ELNS1_3gpuE3ELNS1_3repE0EEENS1_30default_config_static_selectorELNS0_4arch9wavefront6targetE1EEEvT1_, .Lfunc_end207-_ZN7rocprim17ROCPRIM_400000_NS6detail17trampoline_kernelINS0_14default_configENS1_27scan_by_key_config_selectorIiiEEZZNS1_16scan_by_key_implILNS1_25lookback_scan_determinismE0ELb0ES3_N6thrust23THRUST_200600_302600_NS6detail15normal_iteratorINS9_10device_ptrIiEEEESE_SE_iNS9_4plusIvEENS9_8equal_toIiEEiEE10hipError_tPvRmT2_T3_T4_T5_mT6_T7_P12ihipStream_tbENKUlT_T0_E_clISt17integral_constantIbLb0EESZ_EEDaSU_SV_EUlSU_E_NS1_11comp_targetILNS1_3genE9ELNS1_11target_archE1100ELNS1_3gpuE3ELNS1_3repE0EEENS1_30default_config_static_selectorELNS0_4arch9wavefront6targetE1EEEvT1_
                                        ; -- End function
	.section	.AMDGPU.csdata,"",@progbits
; Kernel info:
; codeLenInByte = 0
; NumSgprs: 6
; NumVgprs: 0
; NumAgprs: 0
; TotalNumVgprs: 0
; ScratchSize: 0
; MemoryBound: 0
; FloatMode: 240
; IeeeMode: 1
; LDSByteSize: 0 bytes/workgroup (compile time only)
; SGPRBlocks: 0
; VGPRBlocks: 0
; NumSGPRsForWavesPerEU: 6
; NumVGPRsForWavesPerEU: 1
; AccumOffset: 4
; Occupancy: 8
; WaveLimiterHint : 0
; COMPUTE_PGM_RSRC2:SCRATCH_EN: 0
; COMPUTE_PGM_RSRC2:USER_SGPR: 2
; COMPUTE_PGM_RSRC2:TRAP_HANDLER: 0
; COMPUTE_PGM_RSRC2:TGID_X_EN: 1
; COMPUTE_PGM_RSRC2:TGID_Y_EN: 0
; COMPUTE_PGM_RSRC2:TGID_Z_EN: 0
; COMPUTE_PGM_RSRC2:TIDIG_COMP_CNT: 0
; COMPUTE_PGM_RSRC3_GFX90A:ACCUM_OFFSET: 0
; COMPUTE_PGM_RSRC3_GFX90A:TG_SPLIT: 0
	.section	.text._ZN7rocprim17ROCPRIM_400000_NS6detail17trampoline_kernelINS0_14default_configENS1_27scan_by_key_config_selectorIiiEEZZNS1_16scan_by_key_implILNS1_25lookback_scan_determinismE0ELb0ES3_N6thrust23THRUST_200600_302600_NS6detail15normal_iteratorINS9_10device_ptrIiEEEESE_SE_iNS9_4plusIvEENS9_8equal_toIiEEiEE10hipError_tPvRmT2_T3_T4_T5_mT6_T7_P12ihipStream_tbENKUlT_T0_E_clISt17integral_constantIbLb0EESZ_EEDaSU_SV_EUlSU_E_NS1_11comp_targetILNS1_3genE8ELNS1_11target_archE1030ELNS1_3gpuE2ELNS1_3repE0EEENS1_30default_config_static_selectorELNS0_4arch9wavefront6targetE1EEEvT1_,"axG",@progbits,_ZN7rocprim17ROCPRIM_400000_NS6detail17trampoline_kernelINS0_14default_configENS1_27scan_by_key_config_selectorIiiEEZZNS1_16scan_by_key_implILNS1_25lookback_scan_determinismE0ELb0ES3_N6thrust23THRUST_200600_302600_NS6detail15normal_iteratorINS9_10device_ptrIiEEEESE_SE_iNS9_4plusIvEENS9_8equal_toIiEEiEE10hipError_tPvRmT2_T3_T4_T5_mT6_T7_P12ihipStream_tbENKUlT_T0_E_clISt17integral_constantIbLb0EESZ_EEDaSU_SV_EUlSU_E_NS1_11comp_targetILNS1_3genE8ELNS1_11target_archE1030ELNS1_3gpuE2ELNS1_3repE0EEENS1_30default_config_static_selectorELNS0_4arch9wavefront6targetE1EEEvT1_,comdat
	.protected	_ZN7rocprim17ROCPRIM_400000_NS6detail17trampoline_kernelINS0_14default_configENS1_27scan_by_key_config_selectorIiiEEZZNS1_16scan_by_key_implILNS1_25lookback_scan_determinismE0ELb0ES3_N6thrust23THRUST_200600_302600_NS6detail15normal_iteratorINS9_10device_ptrIiEEEESE_SE_iNS9_4plusIvEENS9_8equal_toIiEEiEE10hipError_tPvRmT2_T3_T4_T5_mT6_T7_P12ihipStream_tbENKUlT_T0_E_clISt17integral_constantIbLb0EESZ_EEDaSU_SV_EUlSU_E_NS1_11comp_targetILNS1_3genE8ELNS1_11target_archE1030ELNS1_3gpuE2ELNS1_3repE0EEENS1_30default_config_static_selectorELNS0_4arch9wavefront6targetE1EEEvT1_ ; -- Begin function _ZN7rocprim17ROCPRIM_400000_NS6detail17trampoline_kernelINS0_14default_configENS1_27scan_by_key_config_selectorIiiEEZZNS1_16scan_by_key_implILNS1_25lookback_scan_determinismE0ELb0ES3_N6thrust23THRUST_200600_302600_NS6detail15normal_iteratorINS9_10device_ptrIiEEEESE_SE_iNS9_4plusIvEENS9_8equal_toIiEEiEE10hipError_tPvRmT2_T3_T4_T5_mT6_T7_P12ihipStream_tbENKUlT_T0_E_clISt17integral_constantIbLb0EESZ_EEDaSU_SV_EUlSU_E_NS1_11comp_targetILNS1_3genE8ELNS1_11target_archE1030ELNS1_3gpuE2ELNS1_3repE0EEENS1_30default_config_static_selectorELNS0_4arch9wavefront6targetE1EEEvT1_
	.globl	_ZN7rocprim17ROCPRIM_400000_NS6detail17trampoline_kernelINS0_14default_configENS1_27scan_by_key_config_selectorIiiEEZZNS1_16scan_by_key_implILNS1_25lookback_scan_determinismE0ELb0ES3_N6thrust23THRUST_200600_302600_NS6detail15normal_iteratorINS9_10device_ptrIiEEEESE_SE_iNS9_4plusIvEENS9_8equal_toIiEEiEE10hipError_tPvRmT2_T3_T4_T5_mT6_T7_P12ihipStream_tbENKUlT_T0_E_clISt17integral_constantIbLb0EESZ_EEDaSU_SV_EUlSU_E_NS1_11comp_targetILNS1_3genE8ELNS1_11target_archE1030ELNS1_3gpuE2ELNS1_3repE0EEENS1_30default_config_static_selectorELNS0_4arch9wavefront6targetE1EEEvT1_
	.p2align	8
	.type	_ZN7rocprim17ROCPRIM_400000_NS6detail17trampoline_kernelINS0_14default_configENS1_27scan_by_key_config_selectorIiiEEZZNS1_16scan_by_key_implILNS1_25lookback_scan_determinismE0ELb0ES3_N6thrust23THRUST_200600_302600_NS6detail15normal_iteratorINS9_10device_ptrIiEEEESE_SE_iNS9_4plusIvEENS9_8equal_toIiEEiEE10hipError_tPvRmT2_T3_T4_T5_mT6_T7_P12ihipStream_tbENKUlT_T0_E_clISt17integral_constantIbLb0EESZ_EEDaSU_SV_EUlSU_E_NS1_11comp_targetILNS1_3genE8ELNS1_11target_archE1030ELNS1_3gpuE2ELNS1_3repE0EEENS1_30default_config_static_selectorELNS0_4arch9wavefront6targetE1EEEvT1_,@function
_ZN7rocprim17ROCPRIM_400000_NS6detail17trampoline_kernelINS0_14default_configENS1_27scan_by_key_config_selectorIiiEEZZNS1_16scan_by_key_implILNS1_25lookback_scan_determinismE0ELb0ES3_N6thrust23THRUST_200600_302600_NS6detail15normal_iteratorINS9_10device_ptrIiEEEESE_SE_iNS9_4plusIvEENS9_8equal_toIiEEiEE10hipError_tPvRmT2_T3_T4_T5_mT6_T7_P12ihipStream_tbENKUlT_T0_E_clISt17integral_constantIbLb0EESZ_EEDaSU_SV_EUlSU_E_NS1_11comp_targetILNS1_3genE8ELNS1_11target_archE1030ELNS1_3gpuE2ELNS1_3repE0EEENS1_30default_config_static_selectorELNS0_4arch9wavefront6targetE1EEEvT1_: ; @_ZN7rocprim17ROCPRIM_400000_NS6detail17trampoline_kernelINS0_14default_configENS1_27scan_by_key_config_selectorIiiEEZZNS1_16scan_by_key_implILNS1_25lookback_scan_determinismE0ELb0ES3_N6thrust23THRUST_200600_302600_NS6detail15normal_iteratorINS9_10device_ptrIiEEEESE_SE_iNS9_4plusIvEENS9_8equal_toIiEEiEE10hipError_tPvRmT2_T3_T4_T5_mT6_T7_P12ihipStream_tbENKUlT_T0_E_clISt17integral_constantIbLb0EESZ_EEDaSU_SV_EUlSU_E_NS1_11comp_targetILNS1_3genE8ELNS1_11target_archE1030ELNS1_3gpuE2ELNS1_3repE0EEENS1_30default_config_static_selectorELNS0_4arch9wavefront6targetE1EEEvT1_
; %bb.0:
	.section	.rodata,"a",@progbits
	.p2align	6, 0x0
	.amdhsa_kernel _ZN7rocprim17ROCPRIM_400000_NS6detail17trampoline_kernelINS0_14default_configENS1_27scan_by_key_config_selectorIiiEEZZNS1_16scan_by_key_implILNS1_25lookback_scan_determinismE0ELb0ES3_N6thrust23THRUST_200600_302600_NS6detail15normal_iteratorINS9_10device_ptrIiEEEESE_SE_iNS9_4plusIvEENS9_8equal_toIiEEiEE10hipError_tPvRmT2_T3_T4_T5_mT6_T7_P12ihipStream_tbENKUlT_T0_E_clISt17integral_constantIbLb0EESZ_EEDaSU_SV_EUlSU_E_NS1_11comp_targetILNS1_3genE8ELNS1_11target_archE1030ELNS1_3gpuE2ELNS1_3repE0EEENS1_30default_config_static_selectorELNS0_4arch9wavefront6targetE1EEEvT1_
		.amdhsa_group_segment_fixed_size 0
		.amdhsa_private_segment_fixed_size 0
		.amdhsa_kernarg_size 112
		.amdhsa_user_sgpr_count 2
		.amdhsa_user_sgpr_dispatch_ptr 0
		.amdhsa_user_sgpr_queue_ptr 0
		.amdhsa_user_sgpr_kernarg_segment_ptr 1
		.amdhsa_user_sgpr_dispatch_id 0
		.amdhsa_user_sgpr_kernarg_preload_length 0
		.amdhsa_user_sgpr_kernarg_preload_offset 0
		.amdhsa_user_sgpr_private_segment_size 0
		.amdhsa_uses_dynamic_stack 0
		.amdhsa_enable_private_segment 0
		.amdhsa_system_sgpr_workgroup_id_x 1
		.amdhsa_system_sgpr_workgroup_id_y 0
		.amdhsa_system_sgpr_workgroup_id_z 0
		.amdhsa_system_sgpr_workgroup_info 0
		.amdhsa_system_vgpr_workitem_id 0
		.amdhsa_next_free_vgpr 1
		.amdhsa_next_free_sgpr 0
		.amdhsa_accum_offset 4
		.amdhsa_reserve_vcc 0
		.amdhsa_float_round_mode_32 0
		.amdhsa_float_round_mode_16_64 0
		.amdhsa_float_denorm_mode_32 3
		.amdhsa_float_denorm_mode_16_64 3
		.amdhsa_dx10_clamp 1
		.amdhsa_ieee_mode 1
		.amdhsa_fp16_overflow 0
		.amdhsa_tg_split 0
		.amdhsa_exception_fp_ieee_invalid_op 0
		.amdhsa_exception_fp_denorm_src 0
		.amdhsa_exception_fp_ieee_div_zero 0
		.amdhsa_exception_fp_ieee_overflow 0
		.amdhsa_exception_fp_ieee_underflow 0
		.amdhsa_exception_fp_ieee_inexact 0
		.amdhsa_exception_int_div_zero 0
	.end_amdhsa_kernel
	.section	.text._ZN7rocprim17ROCPRIM_400000_NS6detail17trampoline_kernelINS0_14default_configENS1_27scan_by_key_config_selectorIiiEEZZNS1_16scan_by_key_implILNS1_25lookback_scan_determinismE0ELb0ES3_N6thrust23THRUST_200600_302600_NS6detail15normal_iteratorINS9_10device_ptrIiEEEESE_SE_iNS9_4plusIvEENS9_8equal_toIiEEiEE10hipError_tPvRmT2_T3_T4_T5_mT6_T7_P12ihipStream_tbENKUlT_T0_E_clISt17integral_constantIbLb0EESZ_EEDaSU_SV_EUlSU_E_NS1_11comp_targetILNS1_3genE8ELNS1_11target_archE1030ELNS1_3gpuE2ELNS1_3repE0EEENS1_30default_config_static_selectorELNS0_4arch9wavefront6targetE1EEEvT1_,"axG",@progbits,_ZN7rocprim17ROCPRIM_400000_NS6detail17trampoline_kernelINS0_14default_configENS1_27scan_by_key_config_selectorIiiEEZZNS1_16scan_by_key_implILNS1_25lookback_scan_determinismE0ELb0ES3_N6thrust23THRUST_200600_302600_NS6detail15normal_iteratorINS9_10device_ptrIiEEEESE_SE_iNS9_4plusIvEENS9_8equal_toIiEEiEE10hipError_tPvRmT2_T3_T4_T5_mT6_T7_P12ihipStream_tbENKUlT_T0_E_clISt17integral_constantIbLb0EESZ_EEDaSU_SV_EUlSU_E_NS1_11comp_targetILNS1_3genE8ELNS1_11target_archE1030ELNS1_3gpuE2ELNS1_3repE0EEENS1_30default_config_static_selectorELNS0_4arch9wavefront6targetE1EEEvT1_,comdat
.Lfunc_end208:
	.size	_ZN7rocprim17ROCPRIM_400000_NS6detail17trampoline_kernelINS0_14default_configENS1_27scan_by_key_config_selectorIiiEEZZNS1_16scan_by_key_implILNS1_25lookback_scan_determinismE0ELb0ES3_N6thrust23THRUST_200600_302600_NS6detail15normal_iteratorINS9_10device_ptrIiEEEESE_SE_iNS9_4plusIvEENS9_8equal_toIiEEiEE10hipError_tPvRmT2_T3_T4_T5_mT6_T7_P12ihipStream_tbENKUlT_T0_E_clISt17integral_constantIbLb0EESZ_EEDaSU_SV_EUlSU_E_NS1_11comp_targetILNS1_3genE8ELNS1_11target_archE1030ELNS1_3gpuE2ELNS1_3repE0EEENS1_30default_config_static_selectorELNS0_4arch9wavefront6targetE1EEEvT1_, .Lfunc_end208-_ZN7rocprim17ROCPRIM_400000_NS6detail17trampoline_kernelINS0_14default_configENS1_27scan_by_key_config_selectorIiiEEZZNS1_16scan_by_key_implILNS1_25lookback_scan_determinismE0ELb0ES3_N6thrust23THRUST_200600_302600_NS6detail15normal_iteratorINS9_10device_ptrIiEEEESE_SE_iNS9_4plusIvEENS9_8equal_toIiEEiEE10hipError_tPvRmT2_T3_T4_T5_mT6_T7_P12ihipStream_tbENKUlT_T0_E_clISt17integral_constantIbLb0EESZ_EEDaSU_SV_EUlSU_E_NS1_11comp_targetILNS1_3genE8ELNS1_11target_archE1030ELNS1_3gpuE2ELNS1_3repE0EEENS1_30default_config_static_selectorELNS0_4arch9wavefront6targetE1EEEvT1_
                                        ; -- End function
	.section	.AMDGPU.csdata,"",@progbits
; Kernel info:
; codeLenInByte = 0
; NumSgprs: 6
; NumVgprs: 0
; NumAgprs: 0
; TotalNumVgprs: 0
; ScratchSize: 0
; MemoryBound: 0
; FloatMode: 240
; IeeeMode: 1
; LDSByteSize: 0 bytes/workgroup (compile time only)
; SGPRBlocks: 0
; VGPRBlocks: 0
; NumSGPRsForWavesPerEU: 6
; NumVGPRsForWavesPerEU: 1
; AccumOffset: 4
; Occupancy: 8
; WaveLimiterHint : 0
; COMPUTE_PGM_RSRC2:SCRATCH_EN: 0
; COMPUTE_PGM_RSRC2:USER_SGPR: 2
; COMPUTE_PGM_RSRC2:TRAP_HANDLER: 0
; COMPUTE_PGM_RSRC2:TGID_X_EN: 1
; COMPUTE_PGM_RSRC2:TGID_Y_EN: 0
; COMPUTE_PGM_RSRC2:TGID_Z_EN: 0
; COMPUTE_PGM_RSRC2:TIDIG_COMP_CNT: 0
; COMPUTE_PGM_RSRC3_GFX90A:ACCUM_OFFSET: 0
; COMPUTE_PGM_RSRC3_GFX90A:TG_SPLIT: 0
	.section	.text._ZN7rocprim17ROCPRIM_400000_NS6detail17trampoline_kernelINS0_14default_configENS1_27scan_by_key_config_selectorIiiEEZZNS1_16scan_by_key_implILNS1_25lookback_scan_determinismE0ELb0ES3_N6thrust23THRUST_200600_302600_NS6detail15normal_iteratorINS9_10device_ptrIiEEEESE_SE_iNS9_4plusIvEENS9_8equal_toIiEEiEE10hipError_tPvRmT2_T3_T4_T5_mT6_T7_P12ihipStream_tbENKUlT_T0_E_clISt17integral_constantIbLb1EESZ_EEDaSU_SV_EUlSU_E_NS1_11comp_targetILNS1_3genE0ELNS1_11target_archE4294967295ELNS1_3gpuE0ELNS1_3repE0EEENS1_30default_config_static_selectorELNS0_4arch9wavefront6targetE1EEEvT1_,"axG",@progbits,_ZN7rocprim17ROCPRIM_400000_NS6detail17trampoline_kernelINS0_14default_configENS1_27scan_by_key_config_selectorIiiEEZZNS1_16scan_by_key_implILNS1_25lookback_scan_determinismE0ELb0ES3_N6thrust23THRUST_200600_302600_NS6detail15normal_iteratorINS9_10device_ptrIiEEEESE_SE_iNS9_4plusIvEENS9_8equal_toIiEEiEE10hipError_tPvRmT2_T3_T4_T5_mT6_T7_P12ihipStream_tbENKUlT_T0_E_clISt17integral_constantIbLb1EESZ_EEDaSU_SV_EUlSU_E_NS1_11comp_targetILNS1_3genE0ELNS1_11target_archE4294967295ELNS1_3gpuE0ELNS1_3repE0EEENS1_30default_config_static_selectorELNS0_4arch9wavefront6targetE1EEEvT1_,comdat
	.protected	_ZN7rocprim17ROCPRIM_400000_NS6detail17trampoline_kernelINS0_14default_configENS1_27scan_by_key_config_selectorIiiEEZZNS1_16scan_by_key_implILNS1_25lookback_scan_determinismE0ELb0ES3_N6thrust23THRUST_200600_302600_NS6detail15normal_iteratorINS9_10device_ptrIiEEEESE_SE_iNS9_4plusIvEENS9_8equal_toIiEEiEE10hipError_tPvRmT2_T3_T4_T5_mT6_T7_P12ihipStream_tbENKUlT_T0_E_clISt17integral_constantIbLb1EESZ_EEDaSU_SV_EUlSU_E_NS1_11comp_targetILNS1_3genE0ELNS1_11target_archE4294967295ELNS1_3gpuE0ELNS1_3repE0EEENS1_30default_config_static_selectorELNS0_4arch9wavefront6targetE1EEEvT1_ ; -- Begin function _ZN7rocprim17ROCPRIM_400000_NS6detail17trampoline_kernelINS0_14default_configENS1_27scan_by_key_config_selectorIiiEEZZNS1_16scan_by_key_implILNS1_25lookback_scan_determinismE0ELb0ES3_N6thrust23THRUST_200600_302600_NS6detail15normal_iteratorINS9_10device_ptrIiEEEESE_SE_iNS9_4plusIvEENS9_8equal_toIiEEiEE10hipError_tPvRmT2_T3_T4_T5_mT6_T7_P12ihipStream_tbENKUlT_T0_E_clISt17integral_constantIbLb1EESZ_EEDaSU_SV_EUlSU_E_NS1_11comp_targetILNS1_3genE0ELNS1_11target_archE4294967295ELNS1_3gpuE0ELNS1_3repE0EEENS1_30default_config_static_selectorELNS0_4arch9wavefront6targetE1EEEvT1_
	.globl	_ZN7rocprim17ROCPRIM_400000_NS6detail17trampoline_kernelINS0_14default_configENS1_27scan_by_key_config_selectorIiiEEZZNS1_16scan_by_key_implILNS1_25lookback_scan_determinismE0ELb0ES3_N6thrust23THRUST_200600_302600_NS6detail15normal_iteratorINS9_10device_ptrIiEEEESE_SE_iNS9_4plusIvEENS9_8equal_toIiEEiEE10hipError_tPvRmT2_T3_T4_T5_mT6_T7_P12ihipStream_tbENKUlT_T0_E_clISt17integral_constantIbLb1EESZ_EEDaSU_SV_EUlSU_E_NS1_11comp_targetILNS1_3genE0ELNS1_11target_archE4294967295ELNS1_3gpuE0ELNS1_3repE0EEENS1_30default_config_static_selectorELNS0_4arch9wavefront6targetE1EEEvT1_
	.p2align	8
	.type	_ZN7rocprim17ROCPRIM_400000_NS6detail17trampoline_kernelINS0_14default_configENS1_27scan_by_key_config_selectorIiiEEZZNS1_16scan_by_key_implILNS1_25lookback_scan_determinismE0ELb0ES3_N6thrust23THRUST_200600_302600_NS6detail15normal_iteratorINS9_10device_ptrIiEEEESE_SE_iNS9_4plusIvEENS9_8equal_toIiEEiEE10hipError_tPvRmT2_T3_T4_T5_mT6_T7_P12ihipStream_tbENKUlT_T0_E_clISt17integral_constantIbLb1EESZ_EEDaSU_SV_EUlSU_E_NS1_11comp_targetILNS1_3genE0ELNS1_11target_archE4294967295ELNS1_3gpuE0ELNS1_3repE0EEENS1_30default_config_static_selectorELNS0_4arch9wavefront6targetE1EEEvT1_,@function
_ZN7rocprim17ROCPRIM_400000_NS6detail17trampoline_kernelINS0_14default_configENS1_27scan_by_key_config_selectorIiiEEZZNS1_16scan_by_key_implILNS1_25lookback_scan_determinismE0ELb0ES3_N6thrust23THRUST_200600_302600_NS6detail15normal_iteratorINS9_10device_ptrIiEEEESE_SE_iNS9_4plusIvEENS9_8equal_toIiEEiEE10hipError_tPvRmT2_T3_T4_T5_mT6_T7_P12ihipStream_tbENKUlT_T0_E_clISt17integral_constantIbLb1EESZ_EEDaSU_SV_EUlSU_E_NS1_11comp_targetILNS1_3genE0ELNS1_11target_archE4294967295ELNS1_3gpuE0ELNS1_3repE0EEENS1_30default_config_static_selectorELNS0_4arch9wavefront6targetE1EEEvT1_: ; @_ZN7rocprim17ROCPRIM_400000_NS6detail17trampoline_kernelINS0_14default_configENS1_27scan_by_key_config_selectorIiiEEZZNS1_16scan_by_key_implILNS1_25lookback_scan_determinismE0ELb0ES3_N6thrust23THRUST_200600_302600_NS6detail15normal_iteratorINS9_10device_ptrIiEEEESE_SE_iNS9_4plusIvEENS9_8equal_toIiEEiEE10hipError_tPvRmT2_T3_T4_T5_mT6_T7_P12ihipStream_tbENKUlT_T0_E_clISt17integral_constantIbLb1EESZ_EEDaSU_SV_EUlSU_E_NS1_11comp_targetILNS1_3genE0ELNS1_11target_archE4294967295ELNS1_3gpuE0ELNS1_3repE0EEENS1_30default_config_static_selectorELNS0_4arch9wavefront6targetE1EEEvT1_
; %bb.0:
	.section	.rodata,"a",@progbits
	.p2align	6, 0x0
	.amdhsa_kernel _ZN7rocprim17ROCPRIM_400000_NS6detail17trampoline_kernelINS0_14default_configENS1_27scan_by_key_config_selectorIiiEEZZNS1_16scan_by_key_implILNS1_25lookback_scan_determinismE0ELb0ES3_N6thrust23THRUST_200600_302600_NS6detail15normal_iteratorINS9_10device_ptrIiEEEESE_SE_iNS9_4plusIvEENS9_8equal_toIiEEiEE10hipError_tPvRmT2_T3_T4_T5_mT6_T7_P12ihipStream_tbENKUlT_T0_E_clISt17integral_constantIbLb1EESZ_EEDaSU_SV_EUlSU_E_NS1_11comp_targetILNS1_3genE0ELNS1_11target_archE4294967295ELNS1_3gpuE0ELNS1_3repE0EEENS1_30default_config_static_selectorELNS0_4arch9wavefront6targetE1EEEvT1_
		.amdhsa_group_segment_fixed_size 0
		.amdhsa_private_segment_fixed_size 0
		.amdhsa_kernarg_size 112
		.amdhsa_user_sgpr_count 2
		.amdhsa_user_sgpr_dispatch_ptr 0
		.amdhsa_user_sgpr_queue_ptr 0
		.amdhsa_user_sgpr_kernarg_segment_ptr 1
		.amdhsa_user_sgpr_dispatch_id 0
		.amdhsa_user_sgpr_kernarg_preload_length 0
		.amdhsa_user_sgpr_kernarg_preload_offset 0
		.amdhsa_user_sgpr_private_segment_size 0
		.amdhsa_uses_dynamic_stack 0
		.amdhsa_enable_private_segment 0
		.amdhsa_system_sgpr_workgroup_id_x 1
		.amdhsa_system_sgpr_workgroup_id_y 0
		.amdhsa_system_sgpr_workgroup_id_z 0
		.amdhsa_system_sgpr_workgroup_info 0
		.amdhsa_system_vgpr_workitem_id 0
		.amdhsa_next_free_vgpr 1
		.amdhsa_next_free_sgpr 0
		.amdhsa_accum_offset 4
		.amdhsa_reserve_vcc 0
		.amdhsa_float_round_mode_32 0
		.amdhsa_float_round_mode_16_64 0
		.amdhsa_float_denorm_mode_32 3
		.amdhsa_float_denorm_mode_16_64 3
		.amdhsa_dx10_clamp 1
		.amdhsa_ieee_mode 1
		.amdhsa_fp16_overflow 0
		.amdhsa_tg_split 0
		.amdhsa_exception_fp_ieee_invalid_op 0
		.amdhsa_exception_fp_denorm_src 0
		.amdhsa_exception_fp_ieee_div_zero 0
		.amdhsa_exception_fp_ieee_overflow 0
		.amdhsa_exception_fp_ieee_underflow 0
		.amdhsa_exception_fp_ieee_inexact 0
		.amdhsa_exception_int_div_zero 0
	.end_amdhsa_kernel
	.section	.text._ZN7rocprim17ROCPRIM_400000_NS6detail17trampoline_kernelINS0_14default_configENS1_27scan_by_key_config_selectorIiiEEZZNS1_16scan_by_key_implILNS1_25lookback_scan_determinismE0ELb0ES3_N6thrust23THRUST_200600_302600_NS6detail15normal_iteratorINS9_10device_ptrIiEEEESE_SE_iNS9_4plusIvEENS9_8equal_toIiEEiEE10hipError_tPvRmT2_T3_T4_T5_mT6_T7_P12ihipStream_tbENKUlT_T0_E_clISt17integral_constantIbLb1EESZ_EEDaSU_SV_EUlSU_E_NS1_11comp_targetILNS1_3genE0ELNS1_11target_archE4294967295ELNS1_3gpuE0ELNS1_3repE0EEENS1_30default_config_static_selectorELNS0_4arch9wavefront6targetE1EEEvT1_,"axG",@progbits,_ZN7rocprim17ROCPRIM_400000_NS6detail17trampoline_kernelINS0_14default_configENS1_27scan_by_key_config_selectorIiiEEZZNS1_16scan_by_key_implILNS1_25lookback_scan_determinismE0ELb0ES3_N6thrust23THRUST_200600_302600_NS6detail15normal_iteratorINS9_10device_ptrIiEEEESE_SE_iNS9_4plusIvEENS9_8equal_toIiEEiEE10hipError_tPvRmT2_T3_T4_T5_mT6_T7_P12ihipStream_tbENKUlT_T0_E_clISt17integral_constantIbLb1EESZ_EEDaSU_SV_EUlSU_E_NS1_11comp_targetILNS1_3genE0ELNS1_11target_archE4294967295ELNS1_3gpuE0ELNS1_3repE0EEENS1_30default_config_static_selectorELNS0_4arch9wavefront6targetE1EEEvT1_,comdat
.Lfunc_end209:
	.size	_ZN7rocprim17ROCPRIM_400000_NS6detail17trampoline_kernelINS0_14default_configENS1_27scan_by_key_config_selectorIiiEEZZNS1_16scan_by_key_implILNS1_25lookback_scan_determinismE0ELb0ES3_N6thrust23THRUST_200600_302600_NS6detail15normal_iteratorINS9_10device_ptrIiEEEESE_SE_iNS9_4plusIvEENS9_8equal_toIiEEiEE10hipError_tPvRmT2_T3_T4_T5_mT6_T7_P12ihipStream_tbENKUlT_T0_E_clISt17integral_constantIbLb1EESZ_EEDaSU_SV_EUlSU_E_NS1_11comp_targetILNS1_3genE0ELNS1_11target_archE4294967295ELNS1_3gpuE0ELNS1_3repE0EEENS1_30default_config_static_selectorELNS0_4arch9wavefront6targetE1EEEvT1_, .Lfunc_end209-_ZN7rocprim17ROCPRIM_400000_NS6detail17trampoline_kernelINS0_14default_configENS1_27scan_by_key_config_selectorIiiEEZZNS1_16scan_by_key_implILNS1_25lookback_scan_determinismE0ELb0ES3_N6thrust23THRUST_200600_302600_NS6detail15normal_iteratorINS9_10device_ptrIiEEEESE_SE_iNS9_4plusIvEENS9_8equal_toIiEEiEE10hipError_tPvRmT2_T3_T4_T5_mT6_T7_P12ihipStream_tbENKUlT_T0_E_clISt17integral_constantIbLb1EESZ_EEDaSU_SV_EUlSU_E_NS1_11comp_targetILNS1_3genE0ELNS1_11target_archE4294967295ELNS1_3gpuE0ELNS1_3repE0EEENS1_30default_config_static_selectorELNS0_4arch9wavefront6targetE1EEEvT1_
                                        ; -- End function
	.section	.AMDGPU.csdata,"",@progbits
; Kernel info:
; codeLenInByte = 0
; NumSgprs: 6
; NumVgprs: 0
; NumAgprs: 0
; TotalNumVgprs: 0
; ScratchSize: 0
; MemoryBound: 0
; FloatMode: 240
; IeeeMode: 1
; LDSByteSize: 0 bytes/workgroup (compile time only)
; SGPRBlocks: 0
; VGPRBlocks: 0
; NumSGPRsForWavesPerEU: 6
; NumVGPRsForWavesPerEU: 1
; AccumOffset: 4
; Occupancy: 8
; WaveLimiterHint : 0
; COMPUTE_PGM_RSRC2:SCRATCH_EN: 0
; COMPUTE_PGM_RSRC2:USER_SGPR: 2
; COMPUTE_PGM_RSRC2:TRAP_HANDLER: 0
; COMPUTE_PGM_RSRC2:TGID_X_EN: 1
; COMPUTE_PGM_RSRC2:TGID_Y_EN: 0
; COMPUTE_PGM_RSRC2:TGID_Z_EN: 0
; COMPUTE_PGM_RSRC2:TIDIG_COMP_CNT: 0
; COMPUTE_PGM_RSRC3_GFX90A:ACCUM_OFFSET: 0
; COMPUTE_PGM_RSRC3_GFX90A:TG_SPLIT: 0
	.section	.text._ZN7rocprim17ROCPRIM_400000_NS6detail17trampoline_kernelINS0_14default_configENS1_27scan_by_key_config_selectorIiiEEZZNS1_16scan_by_key_implILNS1_25lookback_scan_determinismE0ELb0ES3_N6thrust23THRUST_200600_302600_NS6detail15normal_iteratorINS9_10device_ptrIiEEEESE_SE_iNS9_4plusIvEENS9_8equal_toIiEEiEE10hipError_tPvRmT2_T3_T4_T5_mT6_T7_P12ihipStream_tbENKUlT_T0_E_clISt17integral_constantIbLb1EESZ_EEDaSU_SV_EUlSU_E_NS1_11comp_targetILNS1_3genE10ELNS1_11target_archE1201ELNS1_3gpuE5ELNS1_3repE0EEENS1_30default_config_static_selectorELNS0_4arch9wavefront6targetE1EEEvT1_,"axG",@progbits,_ZN7rocprim17ROCPRIM_400000_NS6detail17trampoline_kernelINS0_14default_configENS1_27scan_by_key_config_selectorIiiEEZZNS1_16scan_by_key_implILNS1_25lookback_scan_determinismE0ELb0ES3_N6thrust23THRUST_200600_302600_NS6detail15normal_iteratorINS9_10device_ptrIiEEEESE_SE_iNS9_4plusIvEENS9_8equal_toIiEEiEE10hipError_tPvRmT2_T3_T4_T5_mT6_T7_P12ihipStream_tbENKUlT_T0_E_clISt17integral_constantIbLb1EESZ_EEDaSU_SV_EUlSU_E_NS1_11comp_targetILNS1_3genE10ELNS1_11target_archE1201ELNS1_3gpuE5ELNS1_3repE0EEENS1_30default_config_static_selectorELNS0_4arch9wavefront6targetE1EEEvT1_,comdat
	.protected	_ZN7rocprim17ROCPRIM_400000_NS6detail17trampoline_kernelINS0_14default_configENS1_27scan_by_key_config_selectorIiiEEZZNS1_16scan_by_key_implILNS1_25lookback_scan_determinismE0ELb0ES3_N6thrust23THRUST_200600_302600_NS6detail15normal_iteratorINS9_10device_ptrIiEEEESE_SE_iNS9_4plusIvEENS9_8equal_toIiEEiEE10hipError_tPvRmT2_T3_T4_T5_mT6_T7_P12ihipStream_tbENKUlT_T0_E_clISt17integral_constantIbLb1EESZ_EEDaSU_SV_EUlSU_E_NS1_11comp_targetILNS1_3genE10ELNS1_11target_archE1201ELNS1_3gpuE5ELNS1_3repE0EEENS1_30default_config_static_selectorELNS0_4arch9wavefront6targetE1EEEvT1_ ; -- Begin function _ZN7rocprim17ROCPRIM_400000_NS6detail17trampoline_kernelINS0_14default_configENS1_27scan_by_key_config_selectorIiiEEZZNS1_16scan_by_key_implILNS1_25lookback_scan_determinismE0ELb0ES3_N6thrust23THRUST_200600_302600_NS6detail15normal_iteratorINS9_10device_ptrIiEEEESE_SE_iNS9_4plusIvEENS9_8equal_toIiEEiEE10hipError_tPvRmT2_T3_T4_T5_mT6_T7_P12ihipStream_tbENKUlT_T0_E_clISt17integral_constantIbLb1EESZ_EEDaSU_SV_EUlSU_E_NS1_11comp_targetILNS1_3genE10ELNS1_11target_archE1201ELNS1_3gpuE5ELNS1_3repE0EEENS1_30default_config_static_selectorELNS0_4arch9wavefront6targetE1EEEvT1_
	.globl	_ZN7rocprim17ROCPRIM_400000_NS6detail17trampoline_kernelINS0_14default_configENS1_27scan_by_key_config_selectorIiiEEZZNS1_16scan_by_key_implILNS1_25lookback_scan_determinismE0ELb0ES3_N6thrust23THRUST_200600_302600_NS6detail15normal_iteratorINS9_10device_ptrIiEEEESE_SE_iNS9_4plusIvEENS9_8equal_toIiEEiEE10hipError_tPvRmT2_T3_T4_T5_mT6_T7_P12ihipStream_tbENKUlT_T0_E_clISt17integral_constantIbLb1EESZ_EEDaSU_SV_EUlSU_E_NS1_11comp_targetILNS1_3genE10ELNS1_11target_archE1201ELNS1_3gpuE5ELNS1_3repE0EEENS1_30default_config_static_selectorELNS0_4arch9wavefront6targetE1EEEvT1_
	.p2align	8
	.type	_ZN7rocprim17ROCPRIM_400000_NS6detail17trampoline_kernelINS0_14default_configENS1_27scan_by_key_config_selectorIiiEEZZNS1_16scan_by_key_implILNS1_25lookback_scan_determinismE0ELb0ES3_N6thrust23THRUST_200600_302600_NS6detail15normal_iteratorINS9_10device_ptrIiEEEESE_SE_iNS9_4plusIvEENS9_8equal_toIiEEiEE10hipError_tPvRmT2_T3_T4_T5_mT6_T7_P12ihipStream_tbENKUlT_T0_E_clISt17integral_constantIbLb1EESZ_EEDaSU_SV_EUlSU_E_NS1_11comp_targetILNS1_3genE10ELNS1_11target_archE1201ELNS1_3gpuE5ELNS1_3repE0EEENS1_30default_config_static_selectorELNS0_4arch9wavefront6targetE1EEEvT1_,@function
_ZN7rocprim17ROCPRIM_400000_NS6detail17trampoline_kernelINS0_14default_configENS1_27scan_by_key_config_selectorIiiEEZZNS1_16scan_by_key_implILNS1_25lookback_scan_determinismE0ELb0ES3_N6thrust23THRUST_200600_302600_NS6detail15normal_iteratorINS9_10device_ptrIiEEEESE_SE_iNS9_4plusIvEENS9_8equal_toIiEEiEE10hipError_tPvRmT2_T3_T4_T5_mT6_T7_P12ihipStream_tbENKUlT_T0_E_clISt17integral_constantIbLb1EESZ_EEDaSU_SV_EUlSU_E_NS1_11comp_targetILNS1_3genE10ELNS1_11target_archE1201ELNS1_3gpuE5ELNS1_3repE0EEENS1_30default_config_static_selectorELNS0_4arch9wavefront6targetE1EEEvT1_: ; @_ZN7rocprim17ROCPRIM_400000_NS6detail17trampoline_kernelINS0_14default_configENS1_27scan_by_key_config_selectorIiiEEZZNS1_16scan_by_key_implILNS1_25lookback_scan_determinismE0ELb0ES3_N6thrust23THRUST_200600_302600_NS6detail15normal_iteratorINS9_10device_ptrIiEEEESE_SE_iNS9_4plusIvEENS9_8equal_toIiEEiEE10hipError_tPvRmT2_T3_T4_T5_mT6_T7_P12ihipStream_tbENKUlT_T0_E_clISt17integral_constantIbLb1EESZ_EEDaSU_SV_EUlSU_E_NS1_11comp_targetILNS1_3genE10ELNS1_11target_archE1201ELNS1_3gpuE5ELNS1_3repE0EEENS1_30default_config_static_selectorELNS0_4arch9wavefront6targetE1EEEvT1_
; %bb.0:
	.section	.rodata,"a",@progbits
	.p2align	6, 0x0
	.amdhsa_kernel _ZN7rocprim17ROCPRIM_400000_NS6detail17trampoline_kernelINS0_14default_configENS1_27scan_by_key_config_selectorIiiEEZZNS1_16scan_by_key_implILNS1_25lookback_scan_determinismE0ELb0ES3_N6thrust23THRUST_200600_302600_NS6detail15normal_iteratorINS9_10device_ptrIiEEEESE_SE_iNS9_4plusIvEENS9_8equal_toIiEEiEE10hipError_tPvRmT2_T3_T4_T5_mT6_T7_P12ihipStream_tbENKUlT_T0_E_clISt17integral_constantIbLb1EESZ_EEDaSU_SV_EUlSU_E_NS1_11comp_targetILNS1_3genE10ELNS1_11target_archE1201ELNS1_3gpuE5ELNS1_3repE0EEENS1_30default_config_static_selectorELNS0_4arch9wavefront6targetE1EEEvT1_
		.amdhsa_group_segment_fixed_size 0
		.amdhsa_private_segment_fixed_size 0
		.amdhsa_kernarg_size 112
		.amdhsa_user_sgpr_count 2
		.amdhsa_user_sgpr_dispatch_ptr 0
		.amdhsa_user_sgpr_queue_ptr 0
		.amdhsa_user_sgpr_kernarg_segment_ptr 1
		.amdhsa_user_sgpr_dispatch_id 0
		.amdhsa_user_sgpr_kernarg_preload_length 0
		.amdhsa_user_sgpr_kernarg_preload_offset 0
		.amdhsa_user_sgpr_private_segment_size 0
		.amdhsa_uses_dynamic_stack 0
		.amdhsa_enable_private_segment 0
		.amdhsa_system_sgpr_workgroup_id_x 1
		.amdhsa_system_sgpr_workgroup_id_y 0
		.amdhsa_system_sgpr_workgroup_id_z 0
		.amdhsa_system_sgpr_workgroup_info 0
		.amdhsa_system_vgpr_workitem_id 0
		.amdhsa_next_free_vgpr 1
		.amdhsa_next_free_sgpr 0
		.amdhsa_accum_offset 4
		.amdhsa_reserve_vcc 0
		.amdhsa_float_round_mode_32 0
		.amdhsa_float_round_mode_16_64 0
		.amdhsa_float_denorm_mode_32 3
		.amdhsa_float_denorm_mode_16_64 3
		.amdhsa_dx10_clamp 1
		.amdhsa_ieee_mode 1
		.amdhsa_fp16_overflow 0
		.amdhsa_tg_split 0
		.amdhsa_exception_fp_ieee_invalid_op 0
		.amdhsa_exception_fp_denorm_src 0
		.amdhsa_exception_fp_ieee_div_zero 0
		.amdhsa_exception_fp_ieee_overflow 0
		.amdhsa_exception_fp_ieee_underflow 0
		.amdhsa_exception_fp_ieee_inexact 0
		.amdhsa_exception_int_div_zero 0
	.end_amdhsa_kernel
	.section	.text._ZN7rocprim17ROCPRIM_400000_NS6detail17trampoline_kernelINS0_14default_configENS1_27scan_by_key_config_selectorIiiEEZZNS1_16scan_by_key_implILNS1_25lookback_scan_determinismE0ELb0ES3_N6thrust23THRUST_200600_302600_NS6detail15normal_iteratorINS9_10device_ptrIiEEEESE_SE_iNS9_4plusIvEENS9_8equal_toIiEEiEE10hipError_tPvRmT2_T3_T4_T5_mT6_T7_P12ihipStream_tbENKUlT_T0_E_clISt17integral_constantIbLb1EESZ_EEDaSU_SV_EUlSU_E_NS1_11comp_targetILNS1_3genE10ELNS1_11target_archE1201ELNS1_3gpuE5ELNS1_3repE0EEENS1_30default_config_static_selectorELNS0_4arch9wavefront6targetE1EEEvT1_,"axG",@progbits,_ZN7rocprim17ROCPRIM_400000_NS6detail17trampoline_kernelINS0_14default_configENS1_27scan_by_key_config_selectorIiiEEZZNS1_16scan_by_key_implILNS1_25lookback_scan_determinismE0ELb0ES3_N6thrust23THRUST_200600_302600_NS6detail15normal_iteratorINS9_10device_ptrIiEEEESE_SE_iNS9_4plusIvEENS9_8equal_toIiEEiEE10hipError_tPvRmT2_T3_T4_T5_mT6_T7_P12ihipStream_tbENKUlT_T0_E_clISt17integral_constantIbLb1EESZ_EEDaSU_SV_EUlSU_E_NS1_11comp_targetILNS1_3genE10ELNS1_11target_archE1201ELNS1_3gpuE5ELNS1_3repE0EEENS1_30default_config_static_selectorELNS0_4arch9wavefront6targetE1EEEvT1_,comdat
.Lfunc_end210:
	.size	_ZN7rocprim17ROCPRIM_400000_NS6detail17trampoline_kernelINS0_14default_configENS1_27scan_by_key_config_selectorIiiEEZZNS1_16scan_by_key_implILNS1_25lookback_scan_determinismE0ELb0ES3_N6thrust23THRUST_200600_302600_NS6detail15normal_iteratorINS9_10device_ptrIiEEEESE_SE_iNS9_4plusIvEENS9_8equal_toIiEEiEE10hipError_tPvRmT2_T3_T4_T5_mT6_T7_P12ihipStream_tbENKUlT_T0_E_clISt17integral_constantIbLb1EESZ_EEDaSU_SV_EUlSU_E_NS1_11comp_targetILNS1_3genE10ELNS1_11target_archE1201ELNS1_3gpuE5ELNS1_3repE0EEENS1_30default_config_static_selectorELNS0_4arch9wavefront6targetE1EEEvT1_, .Lfunc_end210-_ZN7rocprim17ROCPRIM_400000_NS6detail17trampoline_kernelINS0_14default_configENS1_27scan_by_key_config_selectorIiiEEZZNS1_16scan_by_key_implILNS1_25lookback_scan_determinismE0ELb0ES3_N6thrust23THRUST_200600_302600_NS6detail15normal_iteratorINS9_10device_ptrIiEEEESE_SE_iNS9_4plusIvEENS9_8equal_toIiEEiEE10hipError_tPvRmT2_T3_T4_T5_mT6_T7_P12ihipStream_tbENKUlT_T0_E_clISt17integral_constantIbLb1EESZ_EEDaSU_SV_EUlSU_E_NS1_11comp_targetILNS1_3genE10ELNS1_11target_archE1201ELNS1_3gpuE5ELNS1_3repE0EEENS1_30default_config_static_selectorELNS0_4arch9wavefront6targetE1EEEvT1_
                                        ; -- End function
	.section	.AMDGPU.csdata,"",@progbits
; Kernel info:
; codeLenInByte = 0
; NumSgprs: 6
; NumVgprs: 0
; NumAgprs: 0
; TotalNumVgprs: 0
; ScratchSize: 0
; MemoryBound: 0
; FloatMode: 240
; IeeeMode: 1
; LDSByteSize: 0 bytes/workgroup (compile time only)
; SGPRBlocks: 0
; VGPRBlocks: 0
; NumSGPRsForWavesPerEU: 6
; NumVGPRsForWavesPerEU: 1
; AccumOffset: 4
; Occupancy: 8
; WaveLimiterHint : 0
; COMPUTE_PGM_RSRC2:SCRATCH_EN: 0
; COMPUTE_PGM_RSRC2:USER_SGPR: 2
; COMPUTE_PGM_RSRC2:TRAP_HANDLER: 0
; COMPUTE_PGM_RSRC2:TGID_X_EN: 1
; COMPUTE_PGM_RSRC2:TGID_Y_EN: 0
; COMPUTE_PGM_RSRC2:TGID_Z_EN: 0
; COMPUTE_PGM_RSRC2:TIDIG_COMP_CNT: 0
; COMPUTE_PGM_RSRC3_GFX90A:ACCUM_OFFSET: 0
; COMPUTE_PGM_RSRC3_GFX90A:TG_SPLIT: 0
	.section	.text._ZN7rocprim17ROCPRIM_400000_NS6detail17trampoline_kernelINS0_14default_configENS1_27scan_by_key_config_selectorIiiEEZZNS1_16scan_by_key_implILNS1_25lookback_scan_determinismE0ELb0ES3_N6thrust23THRUST_200600_302600_NS6detail15normal_iteratorINS9_10device_ptrIiEEEESE_SE_iNS9_4plusIvEENS9_8equal_toIiEEiEE10hipError_tPvRmT2_T3_T4_T5_mT6_T7_P12ihipStream_tbENKUlT_T0_E_clISt17integral_constantIbLb1EESZ_EEDaSU_SV_EUlSU_E_NS1_11comp_targetILNS1_3genE5ELNS1_11target_archE942ELNS1_3gpuE9ELNS1_3repE0EEENS1_30default_config_static_selectorELNS0_4arch9wavefront6targetE1EEEvT1_,"axG",@progbits,_ZN7rocprim17ROCPRIM_400000_NS6detail17trampoline_kernelINS0_14default_configENS1_27scan_by_key_config_selectorIiiEEZZNS1_16scan_by_key_implILNS1_25lookback_scan_determinismE0ELb0ES3_N6thrust23THRUST_200600_302600_NS6detail15normal_iteratorINS9_10device_ptrIiEEEESE_SE_iNS9_4plusIvEENS9_8equal_toIiEEiEE10hipError_tPvRmT2_T3_T4_T5_mT6_T7_P12ihipStream_tbENKUlT_T0_E_clISt17integral_constantIbLb1EESZ_EEDaSU_SV_EUlSU_E_NS1_11comp_targetILNS1_3genE5ELNS1_11target_archE942ELNS1_3gpuE9ELNS1_3repE0EEENS1_30default_config_static_selectorELNS0_4arch9wavefront6targetE1EEEvT1_,comdat
	.protected	_ZN7rocprim17ROCPRIM_400000_NS6detail17trampoline_kernelINS0_14default_configENS1_27scan_by_key_config_selectorIiiEEZZNS1_16scan_by_key_implILNS1_25lookback_scan_determinismE0ELb0ES3_N6thrust23THRUST_200600_302600_NS6detail15normal_iteratorINS9_10device_ptrIiEEEESE_SE_iNS9_4plusIvEENS9_8equal_toIiEEiEE10hipError_tPvRmT2_T3_T4_T5_mT6_T7_P12ihipStream_tbENKUlT_T0_E_clISt17integral_constantIbLb1EESZ_EEDaSU_SV_EUlSU_E_NS1_11comp_targetILNS1_3genE5ELNS1_11target_archE942ELNS1_3gpuE9ELNS1_3repE0EEENS1_30default_config_static_selectorELNS0_4arch9wavefront6targetE1EEEvT1_ ; -- Begin function _ZN7rocprim17ROCPRIM_400000_NS6detail17trampoline_kernelINS0_14default_configENS1_27scan_by_key_config_selectorIiiEEZZNS1_16scan_by_key_implILNS1_25lookback_scan_determinismE0ELb0ES3_N6thrust23THRUST_200600_302600_NS6detail15normal_iteratorINS9_10device_ptrIiEEEESE_SE_iNS9_4plusIvEENS9_8equal_toIiEEiEE10hipError_tPvRmT2_T3_T4_T5_mT6_T7_P12ihipStream_tbENKUlT_T0_E_clISt17integral_constantIbLb1EESZ_EEDaSU_SV_EUlSU_E_NS1_11comp_targetILNS1_3genE5ELNS1_11target_archE942ELNS1_3gpuE9ELNS1_3repE0EEENS1_30default_config_static_selectorELNS0_4arch9wavefront6targetE1EEEvT1_
	.globl	_ZN7rocprim17ROCPRIM_400000_NS6detail17trampoline_kernelINS0_14default_configENS1_27scan_by_key_config_selectorIiiEEZZNS1_16scan_by_key_implILNS1_25lookback_scan_determinismE0ELb0ES3_N6thrust23THRUST_200600_302600_NS6detail15normal_iteratorINS9_10device_ptrIiEEEESE_SE_iNS9_4plusIvEENS9_8equal_toIiEEiEE10hipError_tPvRmT2_T3_T4_T5_mT6_T7_P12ihipStream_tbENKUlT_T0_E_clISt17integral_constantIbLb1EESZ_EEDaSU_SV_EUlSU_E_NS1_11comp_targetILNS1_3genE5ELNS1_11target_archE942ELNS1_3gpuE9ELNS1_3repE0EEENS1_30default_config_static_selectorELNS0_4arch9wavefront6targetE1EEEvT1_
	.p2align	8
	.type	_ZN7rocprim17ROCPRIM_400000_NS6detail17trampoline_kernelINS0_14default_configENS1_27scan_by_key_config_selectorIiiEEZZNS1_16scan_by_key_implILNS1_25lookback_scan_determinismE0ELb0ES3_N6thrust23THRUST_200600_302600_NS6detail15normal_iteratorINS9_10device_ptrIiEEEESE_SE_iNS9_4plusIvEENS9_8equal_toIiEEiEE10hipError_tPvRmT2_T3_T4_T5_mT6_T7_P12ihipStream_tbENKUlT_T0_E_clISt17integral_constantIbLb1EESZ_EEDaSU_SV_EUlSU_E_NS1_11comp_targetILNS1_3genE5ELNS1_11target_archE942ELNS1_3gpuE9ELNS1_3repE0EEENS1_30default_config_static_selectorELNS0_4arch9wavefront6targetE1EEEvT1_,@function
_ZN7rocprim17ROCPRIM_400000_NS6detail17trampoline_kernelINS0_14default_configENS1_27scan_by_key_config_selectorIiiEEZZNS1_16scan_by_key_implILNS1_25lookback_scan_determinismE0ELb0ES3_N6thrust23THRUST_200600_302600_NS6detail15normal_iteratorINS9_10device_ptrIiEEEESE_SE_iNS9_4plusIvEENS9_8equal_toIiEEiEE10hipError_tPvRmT2_T3_T4_T5_mT6_T7_P12ihipStream_tbENKUlT_T0_E_clISt17integral_constantIbLb1EESZ_EEDaSU_SV_EUlSU_E_NS1_11comp_targetILNS1_3genE5ELNS1_11target_archE942ELNS1_3gpuE9ELNS1_3repE0EEENS1_30default_config_static_selectorELNS0_4arch9wavefront6targetE1EEEvT1_: ; @_ZN7rocprim17ROCPRIM_400000_NS6detail17trampoline_kernelINS0_14default_configENS1_27scan_by_key_config_selectorIiiEEZZNS1_16scan_by_key_implILNS1_25lookback_scan_determinismE0ELb0ES3_N6thrust23THRUST_200600_302600_NS6detail15normal_iteratorINS9_10device_ptrIiEEEESE_SE_iNS9_4plusIvEENS9_8equal_toIiEEiEE10hipError_tPvRmT2_T3_T4_T5_mT6_T7_P12ihipStream_tbENKUlT_T0_E_clISt17integral_constantIbLb1EESZ_EEDaSU_SV_EUlSU_E_NS1_11comp_targetILNS1_3genE5ELNS1_11target_archE942ELNS1_3gpuE9ELNS1_3repE0EEENS1_30default_config_static_selectorELNS0_4arch9wavefront6targetE1EEEvT1_
; %bb.0:
	s_load_dwordx4 s[72:75], s[0:1], 0x28
	s_load_dwordx2 s[76:77], s[0:1], 0x38
	v_cmp_ne_u32_e64 s[4:5], 0, v0
	v_cmp_eq_u32_e64 s[54:55], 0, v0
	s_and_saveexec_b64 s[2:3], s[54:55]
	s_cbranch_execz .LBB211_4
; %bb.1:
	s_mov_b64 s[8:9], exec
	v_mbcnt_lo_u32_b32 v1, s8, 0
	v_mbcnt_hi_u32_b32 v1, s9, v1
	v_cmp_eq_u32_e32 vcc, 0, v1
                                        ; implicit-def: $vgpr2
	s_and_saveexec_b64 s[6:7], vcc
	s_cbranch_execz .LBB211_3
; %bb.2:
	s_load_dwordx2 s[10:11], s[0:1], 0x68
	s_bcnt1_i32_b64 s8, s[8:9]
	v_mov_b32_e32 v2, 0
	v_mov_b32_e32 v3, s8
	s_waitcnt lgkmcnt(0)
	global_atomic_add v2, v2, v3, s[10:11] sc0
.LBB211_3:
	s_or_b64 exec, exec, s[6:7]
	s_waitcnt vmcnt(0)
	v_readfirstlane_b32 s6, v2
	v_mov_b32_e32 v2, 0
	s_nop 0
	v_add_u32_e32 v1, s6, v1
	ds_write_b32 v2, v1
.LBB211_4:
	s_or_b64 exec, exec, s[2:3]
	s_load_dwordx8 s[56:63], s[0:1], 0x0
	s_load_dword s2, s[0:1], 0x40
	s_load_dwordx8 s[64:71], s[0:1], 0x48
	v_mov_b32_e32 v1, 0
	s_waitcnt lgkmcnt(0)
	s_barrier
	ds_read_b32 v1, v1
	s_lshl_b64 s[58:59], s[58:59], 2
	s_add_u32 s3, s56, s58
	s_addc_u32 s6, s57, s59
	s_add_u32 s7, s60, s58
	s_mul_i32 s0, s77, s2
	s_mul_hi_u32 s1, s76, s2
	s_addc_u32 s8, s61, s59
	s_add_i32 s9, s1, s0
	s_waitcnt lgkmcnt(0)
	v_readfirstlane_b32 s75, v1
	s_cmp_lg_u64 s[68:69], 0
	s_mov_b32 s1, 0
	s_mul_i32 s0, s75, 0x1700
	s_cselect_b64 s[78:79], -1, 0
	s_lshl_b64 s[56:57], s[0:1], 2
	s_add_u32 s68, s3, s56
	s_addc_u32 s69, s6, s57
	s_add_u32 s60, s7, s56
	s_mul_i32 s2, s76, s2
	s_addc_u32 s61, s8, s57
	s_add_u32 s80, s2, s75
	s_addc_u32 s81, s9, 0
	s_add_u32 s0, s64, -1
	s_addc_u32 s1, s65, -1
	v_mov_b64_e32 v[2:3], s[0:1]
	v_cmp_ge_u64_e64 s[2:3], s[80:81], v[2:3]
	s_mov_b64 s[10:11], 0
	s_mov_b64 s[6:7], -1
	s_and_b64 vcc, exec, s[2:3]
	s_mul_i32 s33, s0, 0xffffe900
	s_barrier
	s_barrier
	s_cbranch_vccz .LBB211_126
; %bb.5:
	v_mov_b64_e32 v[2:3], s[68:69]
	flat_load_dword v1, v[2:3]
	s_add_i32 s84, s33, s74
	v_cmp_gt_u32_e64 s[6:7], s84, v0
	s_waitcnt vmcnt(0) lgkmcnt(0)
	v_mov_b32_e32 v3, v1
	s_and_saveexec_b64 s[0:1], s[6:7]
	s_cbranch_execz .LBB211_7
; %bb.6:
	v_lshlrev_b32_e32 v2, 2, v0
	v_mov_b32_e32 v3, 0
	v_lshl_add_u64 v[2:3], s[68:69], 0, v[2:3]
	flat_load_dword v3, v[2:3]
.LBB211_7:
	s_or_b64 exec, exec, s[0:1]
	v_or_b32_e32 v2, 0x100, v0
	v_cmp_gt_u32_e64 s[8:9], s84, v2
	v_mov_b32_e32 v4, v1
	s_and_saveexec_b64 s[0:1], s[8:9]
	s_cbranch_execz .LBB211_9
; %bb.8:
	v_lshlrev_b32_e32 v4, 2, v0
	v_mov_b32_e32 v5, 0
	v_lshl_add_u64 v[4:5], s[68:69], 0, v[4:5]
	flat_load_dword v4, v[4:5] offset:1024
.LBB211_9:
	s_or_b64 exec, exec, s[0:1]
	v_or_b32_e32 v2, 0x200, v0
	v_cmp_gt_u32_e64 s[10:11], s84, v2
	v_mov_b32_e32 v5, v1
	s_and_saveexec_b64 s[0:1], s[10:11]
	s_cbranch_execz .LBB211_11
; %bb.10:
	v_lshlrev_b32_e32 v6, 2, v0
	v_mov_b32_e32 v7, 0
	v_lshl_add_u64 v[6:7], s[68:69], 0, v[6:7]
	flat_load_dword v5, v[6:7] offset:2048
.LBB211_11:
	;; [unrolled: 12-line block ×3, first 2 shown]
	s_or_b64 exec, exec, s[0:1]
	v_or_b32_e32 v10, 0x400, v0
	v_cmp_gt_u32_e64 s[14:15], s84, v10
	v_mov_b32_e32 v7, v1
	s_and_saveexec_b64 s[0:1], s[14:15]
	s_cbranch_execz .LBB211_15
; %bb.14:
	v_lshlrev_b32_e32 v8, 2, v10
	v_mov_b32_e32 v9, 0
	v_lshl_add_u64 v[8:9], s[68:69], 0, v[8:9]
	flat_load_dword v7, v[8:9]
.LBB211_15:
	s_or_b64 exec, exec, s[0:1]
	v_or_b32_e32 v11, 0x500, v0
	v_cmp_gt_u32_e64 s[16:17], s84, v11
	v_mov_b32_e32 v8, v1
	s_and_saveexec_b64 s[0:1], s[16:17]
	s_cbranch_execz .LBB211_17
; %bb.16:
	v_lshlrev_b32_e32 v8, 2, v11
	v_mov_b32_e32 v9, 0
	v_lshl_add_u64 v[8:9], s[68:69], 0, v[8:9]
	flat_load_dword v8, v[8:9]
.LBB211_17:
	;; [unrolled: 12-line block ×18, first 2 shown]
	s_or_b64 exec, exec, s[0:1]
	v_or_b32_e32 v28, 0x1600, v0
	v_cmp_gt_u32_e64 s[52:53], s84, v28
	s_and_saveexec_b64 s[0:1], s[52:53]
	s_cbranch_execz .LBB211_51
; %bb.50:
	v_lshlrev_b32_e32 v44, 2, v28
	v_mov_b32_e32 v45, 0
	v_lshl_add_u64 v[44:45], s[68:69], 0, v[44:45]
	flat_load_dword v1, v[44:45]
.LBB211_51:
	s_or_b64 exec, exec, s[0:1]
	v_lshlrev_b32_e32 v2, 2, v0
	s_movk_i32 s0, 0x58
	s_waitcnt vmcnt(0) lgkmcnt(0)
	ds_write2st64_b32 v2, v3, v4 offset1:4
	ds_write2st64_b32 v2, v5, v6 offset0:8 offset1:12
	ds_write2st64_b32 v2, v7, v8 offset0:16 offset1:20
	;; [unrolled: 1-line block ×10, first 2 shown]
	ds_write_b32 v2, v1 offset:22528
	v_mad_u32_u24 v1, v0, s0, v2
	s_waitcnt lgkmcnt(0)
	s_barrier
	ds_read2_b32 v[68:69], v1 offset1:1
	ds_read2_b32 v[66:67], v1 offset0:2 offset1:3
	ds_read2_b32 v[64:65], v1 offset0:4 offset1:5
	;; [unrolled: 1-line block ×10, first 2 shown]
	ds_read_b32 v72, v1 offset:88
	s_cmp_eq_u64 s[80:81], 0
	s_mov_b64 s[0:1], s[68:69]
	s_cbranch_scc1 .LBB211_55
; %bb.52:
	s_andn2_b64 vcc, exec, s[78:79]
	s_cbranch_vccnz .LBB211_271
; %bb.53:
	s_lshl_b64 s[0:1], s[80:81], 2
	s_add_u32 s0, s70, s0
	s_addc_u32 s1, s71, s1
	s_add_u32 s0, s0, -4
	s_addc_u32 s1, s1, -1
	s_cbranch_execnz .LBB211_55
.LBB211_54:
	s_add_u32 s0, s68, -4
	s_addc_u32 s1, s69, -1
.LBB211_55:
	v_mov_b64_e32 v[30:31], s[0:1]
	flat_load_dword v70, v[30:31]
	s_movk_i32 s0, 0xffa8
	v_mad_i32_i24 v3, v0, s0, v1
	s_waitcnt lgkmcnt(0)
	ds_write_b32 v3, v72 offset:23552
	s_waitcnt lgkmcnt(0)
	s_barrier
	s_and_saveexec_b64 s[0:1], s[4:5]
	s_cbranch_execz .LBB211_57
; %bb.56:
	v_mul_i32_i24_e32 v3, 0xffffffa8, v0
	v_add_u32_e32 v3, v1, v3
	s_waitcnt vmcnt(0)
	ds_read_b32 v70, v3 offset:23548
.LBB211_57:
	s_or_b64 exec, exec, s[0:1]
	v_mov_b32_e32 v3, 0
	s_waitcnt lgkmcnt(0)
	s_barrier
	s_waitcnt lgkmcnt(0)
                                        ; implicit-def: $vgpr29
	s_and_saveexec_b64 s[0:1], s[6:7]
	s_cbranch_execnz .LBB211_247
; %bb.58:
	s_or_b64 exec, exec, s[0:1]
                                        ; implicit-def: $vgpr30
	s_and_saveexec_b64 s[0:1], s[8:9]
	s_cbranch_execnz .LBB211_248
.LBB211_59:
	s_or_b64 exec, exec, s[0:1]
                                        ; implicit-def: $vgpr31
	s_and_saveexec_b64 s[0:1], s[10:11]
	s_cbranch_execnz .LBB211_249
.LBB211_60:
	s_or_b64 exec, exec, s[0:1]
                                        ; implicit-def: $vgpr3
	s_and_saveexec_b64 s[0:1], s[12:13]
	s_cbranch_execnz .LBB211_250
.LBB211_61:
	s_or_b64 exec, exec, s[0:1]
                                        ; implicit-def: $vgpr32
	s_and_saveexec_b64 s[0:1], s[14:15]
	s_cbranch_execnz .LBB211_251
.LBB211_62:
	s_or_b64 exec, exec, s[0:1]
                                        ; implicit-def: $vgpr10
	s_and_saveexec_b64 s[0:1], s[16:17]
	s_cbranch_execnz .LBB211_252
.LBB211_63:
	s_or_b64 exec, exec, s[0:1]
                                        ; implicit-def: $vgpr11
	s_and_saveexec_b64 s[0:1], s[18:19]
	s_cbranch_execnz .LBB211_253
.LBB211_64:
	s_or_b64 exec, exec, s[0:1]
                                        ; implicit-def: $vgpr12
	s_and_saveexec_b64 s[0:1], s[20:21]
	s_cbranch_execnz .LBB211_254
.LBB211_65:
	s_or_b64 exec, exec, s[0:1]
                                        ; implicit-def: $vgpr13
	s_and_saveexec_b64 s[0:1], s[22:23]
	s_cbranch_execnz .LBB211_255
.LBB211_66:
	s_or_b64 exec, exec, s[0:1]
                                        ; implicit-def: $vgpr14
	s_and_saveexec_b64 s[0:1], s[24:25]
	s_cbranch_execnz .LBB211_256
.LBB211_67:
	s_or_b64 exec, exec, s[0:1]
                                        ; implicit-def: $vgpr15
	s_and_saveexec_b64 s[0:1], s[26:27]
	s_cbranch_execnz .LBB211_257
.LBB211_68:
	s_or_b64 exec, exec, s[0:1]
                                        ; implicit-def: $vgpr16
	s_and_saveexec_b64 s[0:1], s[28:29]
	s_cbranch_execnz .LBB211_258
.LBB211_69:
	s_or_b64 exec, exec, s[0:1]
                                        ; implicit-def: $vgpr17
	s_and_saveexec_b64 s[0:1], s[30:31]
	s_cbranch_execnz .LBB211_259
.LBB211_70:
	s_or_b64 exec, exec, s[0:1]
                                        ; implicit-def: $vgpr18
	s_and_saveexec_b64 s[0:1], s[34:35]
	s_cbranch_execnz .LBB211_260
.LBB211_71:
	s_or_b64 exec, exec, s[0:1]
                                        ; implicit-def: $vgpr19
	s_and_saveexec_b64 s[0:1], s[36:37]
	s_cbranch_execnz .LBB211_261
.LBB211_72:
	s_or_b64 exec, exec, s[0:1]
                                        ; implicit-def: $vgpr20
	s_and_saveexec_b64 s[0:1], s[38:39]
	s_cbranch_execnz .LBB211_262
.LBB211_73:
	s_or_b64 exec, exec, s[0:1]
                                        ; implicit-def: $vgpr21
	s_and_saveexec_b64 s[0:1], s[40:41]
	s_cbranch_execnz .LBB211_263
.LBB211_74:
	s_or_b64 exec, exec, s[0:1]
                                        ; implicit-def: $vgpr22
	s_and_saveexec_b64 s[0:1], s[42:43]
	s_cbranch_execnz .LBB211_264
.LBB211_75:
	s_or_b64 exec, exec, s[0:1]
                                        ; implicit-def: $vgpr23
	s_and_saveexec_b64 s[0:1], s[44:45]
	s_cbranch_execnz .LBB211_265
.LBB211_76:
	s_or_b64 exec, exec, s[0:1]
                                        ; implicit-def: $vgpr24
	s_and_saveexec_b64 s[0:1], s[46:47]
	s_cbranch_execnz .LBB211_266
.LBB211_77:
	s_or_b64 exec, exec, s[0:1]
                                        ; implicit-def: $vgpr25
	s_and_saveexec_b64 s[0:1], s[48:49]
	s_cbranch_execnz .LBB211_267
.LBB211_78:
	s_or_b64 exec, exec, s[0:1]
                                        ; implicit-def: $vgpr26
	s_and_saveexec_b64 s[0:1], s[50:51]
	s_cbranch_execnz .LBB211_268
.LBB211_79:
	s_or_b64 exec, exec, s[0:1]
                                        ; implicit-def: $vgpr27
	s_and_saveexec_b64 s[0:1], s[52:53]
	s_cbranch_execz .LBB211_81
.LBB211_80:
	v_lshlrev_b32_e32 v34, 2, v28
	v_mov_b32_e32 v35, 0
	v_lshl_add_u64 v[34:35], s[60:61], 0, v[34:35]
	flat_load_dword v27, v[34:35]
.LBB211_81:
	s_or_b64 exec, exec, s[0:1]
	v_mul_u32_u24_e32 v73, 23, v0
	s_waitcnt vmcnt(0) lgkmcnt(0)
	ds_write2st64_b32 v2, v29, v30 offset1:4
	ds_write2st64_b32 v2, v31, v3 offset0:8 offset1:12
	ds_write2st64_b32 v2, v32, v10 offset0:16 offset1:20
	;; [unrolled: 1-line block ×10, first 2 shown]
	ds_write_b32 v2, v27 offset:22528
	v_mov_b64_e32 v[10:11], 0
	v_cmp_gt_u32_e32 vcc, s84, v73
	s_mov_b64 s[10:11], 0
	s_mov_b64 s[6:7], 0
	v_mov_b64_e32 v[12:13], v[10:11]
	v_mov_b64_e32 v[14:15], v[10:11]
	;; [unrolled: 1-line block ×21, first 2 shown]
	s_waitcnt lgkmcnt(0)
	s_barrier
	s_waitcnt lgkmcnt(0)
                                        ; implicit-def: $sgpr0_sgpr1
                                        ; implicit-def: $vgpr3
	s_and_saveexec_b64 s[8:9], vcc
	s_cbranch_execz .LBB211_125
; %bb.82:
	ds_read_b32 v10, v1
	v_add_u32_e32 v2, 1, v73
	v_cmp_ne_u32_e32 vcc, v70, v68
	v_mov_b64_e32 v[12:13], 0
	s_mov_b64 s[12:13], 0
	v_cndmask_b32_e64 v11, 0, 1, vcc
	v_cmp_gt_u32_e32 vcc, s84, v2
	s_mov_b64 s[0:1], 0
	v_mov_b64_e32 v[14:15], v[12:13]
	v_mov_b64_e32 v[16:17], v[12:13]
	v_mov_b64_e32 v[18:19], v[12:13]
	v_mov_b64_e32 v[20:21], v[12:13]
	v_mov_b64_e32 v[22:23], v[12:13]
	v_mov_b64_e32 v[24:25], v[12:13]
	v_mov_b64_e32 v[26:27], v[12:13]
	v_mov_b64_e32 v[28:29], v[12:13]
	v_mov_b64_e32 v[30:31], v[12:13]
	v_mov_b64_e32 v[32:33], v[12:13]
	v_mov_b64_e32 v[34:35], v[12:13]
	v_mov_b64_e32 v[36:37], v[12:13]
	v_mov_b64_e32 v[38:39], v[12:13]
	v_mov_b64_e32 v[40:41], v[12:13]
	v_mov_b64_e32 v[42:43], v[12:13]
	v_mov_b64_e32 v[44:45], v[12:13]
	v_mov_b64_e32 v[46:47], v[12:13]
	v_mov_b64_e32 v[48:49], v[12:13]
	v_mov_b64_e32 v[50:51], v[12:13]
	v_mov_b64_e32 v[52:53], v[12:13]
                                        ; implicit-def: $sgpr14_sgpr15
                                        ; implicit-def: $vgpr3
	s_and_saveexec_b64 s[10:11], vcc
	s_cbranch_execz .LBB211_124
; %bb.83:
	ds_read2_b32 v[70:71], v1 offset0:1 offset1:2
	v_add_u32_e32 v2, 2, v73
	v_cmp_ne_u32_e32 vcc, v68, v69
	v_mov_b64_e32 v[14:15], 0
	s_mov_b64 s[16:17], 0
	v_cndmask_b32_e64 v13, 0, 1, vcc
	v_cmp_gt_u32_e32 vcc, s84, v2
	s_waitcnt lgkmcnt(0)
	v_mov_b32_e32 v12, v70
	v_mov_b64_e32 v[16:17], v[14:15]
	v_mov_b64_e32 v[18:19], v[14:15]
	;; [unrolled: 1-line block ×19, first 2 shown]
                                        ; implicit-def: $sgpr14_sgpr15
                                        ; implicit-def: $vgpr3
	s_and_saveexec_b64 s[12:13], vcc
	s_cbranch_execz .LBB211_123
; %bb.84:
	v_add_u32_e32 v2, 3, v73
	v_cmp_ne_u32_e32 vcc, v69, v66
	v_mov_b64_e32 v[16:17], 0
	v_mov_b32_e32 v14, v71
	v_cndmask_b32_e64 v15, 0, 1, vcc
	v_cmp_gt_u32_e32 vcc, s84, v2
	v_mov_b64_e32 v[18:19], v[16:17]
	v_mov_b64_e32 v[20:21], v[16:17]
	;; [unrolled: 1-line block ×18, first 2 shown]
                                        ; implicit-def: $sgpr18_sgpr19
                                        ; implicit-def: $vgpr3
	s_and_saveexec_b64 s[14:15], vcc
	s_cbranch_execz .LBB211_122
; %bb.85:
	ds_read2_b32 v[68:69], v1 offset0:3 offset1:4
	v_add_u32_e32 v2, 4, v73
	v_cmp_ne_u32_e32 vcc, v66, v67
	v_mov_b64_e32 v[18:19], 0
	s_mov_b64 s[20:21], 0
	v_cndmask_b32_e64 v17, 0, 1, vcc
	v_cmp_gt_u32_e32 vcc, s84, v2
	s_waitcnt lgkmcnt(0)
	v_mov_b32_e32 v16, v68
	v_mov_b64_e32 v[20:21], v[18:19]
	v_mov_b64_e32 v[22:23], v[18:19]
	;; [unrolled: 1-line block ×17, first 2 shown]
                                        ; implicit-def: $sgpr18_sgpr19
                                        ; implicit-def: $vgpr3
	s_and_saveexec_b64 s[16:17], vcc
	s_cbranch_execz .LBB211_121
; %bb.86:
	v_add_u32_e32 v2, 5, v73
	v_cmp_ne_u32_e32 vcc, v67, v64
	v_mov_b64_e32 v[20:21], 0
	v_mov_b32_e32 v18, v69
	v_cndmask_b32_e64 v19, 0, 1, vcc
	v_cmp_gt_u32_e32 vcc, s84, v2
	v_mov_b64_e32 v[22:23], v[20:21]
	v_mov_b64_e32 v[24:25], v[20:21]
	;; [unrolled: 1-line block ×16, first 2 shown]
                                        ; implicit-def: $sgpr22_sgpr23
                                        ; implicit-def: $vgpr3
	s_and_saveexec_b64 s[18:19], vcc
	s_cbranch_execz .LBB211_120
; %bb.87:
	ds_read2_b32 v[66:67], v1 offset0:5 offset1:6
	v_add_u32_e32 v2, 6, v73
	v_cmp_ne_u32_e32 vcc, v64, v65
	v_mov_b64_e32 v[22:23], 0
	s_mov_b64 s[24:25], 0
	v_cndmask_b32_e64 v21, 0, 1, vcc
	v_cmp_gt_u32_e32 vcc, s84, v2
	s_waitcnt lgkmcnt(0)
	v_mov_b32_e32 v20, v66
	v_mov_b64_e32 v[24:25], v[22:23]
	v_mov_b64_e32 v[26:27], v[22:23]
	;; [unrolled: 1-line block ×15, first 2 shown]
                                        ; implicit-def: $sgpr22_sgpr23
                                        ; implicit-def: $vgpr3
	s_and_saveexec_b64 s[20:21], vcc
	s_cbranch_execz .LBB211_119
; %bb.88:
	v_add_u32_e32 v2, 7, v73
	v_cmp_ne_u32_e32 vcc, v65, v62
	v_mov_b64_e32 v[24:25], 0
	v_mov_b32_e32 v22, v67
	v_cndmask_b32_e64 v23, 0, 1, vcc
	v_cmp_gt_u32_e32 vcc, s84, v2
	v_mov_b64_e32 v[26:27], v[24:25]
	v_mov_b64_e32 v[28:29], v[24:25]
	;; [unrolled: 1-line block ×14, first 2 shown]
                                        ; implicit-def: $sgpr26_sgpr27
                                        ; implicit-def: $vgpr3
	s_and_saveexec_b64 s[22:23], vcc
	s_cbranch_execz .LBB211_118
; %bb.89:
	ds_read2_b32 v[64:65], v1 offset0:7 offset1:8
	v_add_u32_e32 v2, 8, v73
	v_cmp_ne_u32_e32 vcc, v62, v63
	v_mov_b64_e32 v[26:27], 0
	s_mov_b64 s[28:29], 0
	v_cndmask_b32_e64 v25, 0, 1, vcc
	v_cmp_gt_u32_e32 vcc, s84, v2
	s_waitcnt lgkmcnt(0)
	v_mov_b32_e32 v24, v64
	v_mov_b64_e32 v[28:29], v[26:27]
	v_mov_b64_e32 v[30:31], v[26:27]
	;; [unrolled: 1-line block ×13, first 2 shown]
                                        ; implicit-def: $sgpr26_sgpr27
                                        ; implicit-def: $vgpr3
	s_and_saveexec_b64 s[24:25], vcc
	s_cbranch_execz .LBB211_117
; %bb.90:
	v_add_u32_e32 v2, 9, v73
	v_cmp_ne_u32_e32 vcc, v63, v60
	v_mov_b64_e32 v[28:29], 0
	v_mov_b32_e32 v26, v65
	v_cndmask_b32_e64 v27, 0, 1, vcc
	v_cmp_gt_u32_e32 vcc, s84, v2
	v_mov_b64_e32 v[30:31], v[28:29]
	v_mov_b64_e32 v[32:33], v[28:29]
	;; [unrolled: 1-line block ×12, first 2 shown]
                                        ; implicit-def: $sgpr30_sgpr31
                                        ; implicit-def: $vgpr3
	s_and_saveexec_b64 s[26:27], vcc
	s_cbranch_execz .LBB211_116
; %bb.91:
	ds_read2_b32 v[62:63], v1 offset0:9 offset1:10
	v_add_u32_e32 v2, 10, v73
	v_cmp_ne_u32_e32 vcc, v60, v61
	v_mov_b64_e32 v[30:31], 0
	s_mov_b64 s[34:35], 0
	v_cndmask_b32_e64 v29, 0, 1, vcc
	v_cmp_gt_u32_e32 vcc, s84, v2
	s_waitcnt lgkmcnt(0)
	v_mov_b32_e32 v28, v62
	v_mov_b64_e32 v[32:33], v[30:31]
	v_mov_b64_e32 v[34:35], v[30:31]
	;; [unrolled: 1-line block ×11, first 2 shown]
                                        ; implicit-def: $sgpr30_sgpr31
                                        ; implicit-def: $vgpr3
	s_and_saveexec_b64 s[28:29], vcc
	s_cbranch_execz .LBB211_115
; %bb.92:
	v_add_u32_e32 v2, 11, v73
	v_cmp_ne_u32_e32 vcc, v61, v58
	v_mov_b64_e32 v[32:33], 0
	v_mov_b32_e32 v30, v63
	v_cndmask_b32_e64 v31, 0, 1, vcc
	v_cmp_gt_u32_e32 vcc, s84, v2
	v_mov_b64_e32 v[34:35], v[32:33]
	v_mov_b64_e32 v[36:37], v[32:33]
	;; [unrolled: 1-line block ×10, first 2 shown]
                                        ; implicit-def: $sgpr36_sgpr37
                                        ; implicit-def: $vgpr3
	s_and_saveexec_b64 s[30:31], vcc
	s_cbranch_execz .LBB211_114
; %bb.93:
	ds_read2_b32 v[60:61], v1 offset0:11 offset1:12
	v_add_u32_e32 v2, 12, v73
	v_cmp_ne_u32_e32 vcc, v58, v59
	v_mov_b64_e32 v[34:35], 0
	s_mov_b64 s[38:39], 0
	v_cndmask_b32_e64 v33, 0, 1, vcc
	v_cmp_gt_u32_e32 vcc, s84, v2
	s_waitcnt lgkmcnt(0)
	v_mov_b32_e32 v32, v60
	v_mov_b64_e32 v[36:37], v[34:35]
	v_mov_b64_e32 v[38:39], v[34:35]
	;; [unrolled: 1-line block ×9, first 2 shown]
                                        ; implicit-def: $sgpr36_sgpr37
                                        ; implicit-def: $vgpr3
	s_and_saveexec_b64 s[34:35], vcc
	s_cbranch_execz .LBB211_113
; %bb.94:
	v_add_u32_e32 v2, 13, v73
	v_cmp_ne_u32_e32 vcc, v59, v56
	v_mov_b64_e32 v[36:37], 0
	v_mov_b32_e32 v34, v61
	v_cndmask_b32_e64 v35, 0, 1, vcc
	v_cmp_gt_u32_e32 vcc, s84, v2
	v_mov_b64_e32 v[38:39], v[36:37]
	v_mov_b64_e32 v[40:41], v[36:37]
	;; [unrolled: 1-line block ×8, first 2 shown]
                                        ; implicit-def: $sgpr40_sgpr41
                                        ; implicit-def: $vgpr3
	s_and_saveexec_b64 s[36:37], vcc
	s_cbranch_execz .LBB211_112
; %bb.95:
	ds_read2_b32 v[58:59], v1 offset0:13 offset1:14
	v_add_u32_e32 v2, 14, v73
	v_cmp_ne_u32_e32 vcc, v56, v57
	v_mov_b64_e32 v[38:39], 0
	s_mov_b64 s[42:43], 0
	v_cndmask_b32_e64 v37, 0, 1, vcc
	v_cmp_gt_u32_e32 vcc, s84, v2
	s_waitcnt lgkmcnt(0)
	v_mov_b32_e32 v36, v58
	v_mov_b64_e32 v[40:41], v[38:39]
	v_mov_b64_e32 v[42:43], v[38:39]
	v_mov_b64_e32 v[44:45], v[38:39]
	v_mov_b64_e32 v[46:47], v[38:39]
	v_mov_b64_e32 v[48:49], v[38:39]
	v_mov_b64_e32 v[50:51], v[38:39]
	v_mov_b64_e32 v[52:53], v[38:39]
                                        ; implicit-def: $sgpr40_sgpr41
                                        ; implicit-def: $vgpr3
	s_and_saveexec_b64 s[38:39], vcc
	s_cbranch_execz .LBB211_111
; %bb.96:
	v_add_u32_e32 v2, 15, v73
	v_cmp_ne_u32_e32 vcc, v57, v54
	v_mov_b64_e32 v[40:41], 0
	v_mov_b32_e32 v38, v59
	v_cndmask_b32_e64 v39, 0, 1, vcc
	v_cmp_gt_u32_e32 vcc, s84, v2
	v_mov_b64_e32 v[42:43], v[40:41]
	v_mov_b64_e32 v[44:45], v[40:41]
	;; [unrolled: 1-line block ×6, first 2 shown]
                                        ; implicit-def: $sgpr44_sgpr45
                                        ; implicit-def: $vgpr3
	s_and_saveexec_b64 s[40:41], vcc
	s_cbranch_execz .LBB211_110
; %bb.97:
	ds_read2_b32 v[56:57], v1 offset0:15 offset1:16
	v_add_u32_e32 v2, 16, v73
	v_cmp_ne_u32_e32 vcc, v54, v55
	v_mov_b64_e32 v[42:43], 0
	s_mov_b64 s[46:47], 0
	v_cndmask_b32_e64 v41, 0, 1, vcc
	v_cmp_gt_u32_e32 vcc, s84, v2
	s_waitcnt lgkmcnt(0)
	v_mov_b32_e32 v40, v56
	v_mov_b64_e32 v[44:45], v[42:43]
	v_mov_b64_e32 v[46:47], v[42:43]
	;; [unrolled: 1-line block ×5, first 2 shown]
                                        ; implicit-def: $sgpr44_sgpr45
                                        ; implicit-def: $vgpr3
	s_and_saveexec_b64 s[42:43], vcc
	s_cbranch_execz .LBB211_109
; %bb.98:
	v_add_u32_e32 v2, 17, v73
	v_cmp_ne_u32_e32 vcc, v55, v8
	v_mov_b64_e32 v[44:45], 0
	v_mov_b32_e32 v42, v57
	v_cndmask_b32_e64 v43, 0, 1, vcc
	v_cmp_gt_u32_e32 vcc, s84, v2
	v_mov_b64_e32 v[46:47], v[44:45]
	v_mov_b64_e32 v[48:49], v[44:45]
	;; [unrolled: 1-line block ×4, first 2 shown]
                                        ; implicit-def: $sgpr48_sgpr49
                                        ; implicit-def: $vgpr3
	s_and_saveexec_b64 s[44:45], vcc
	s_cbranch_execz .LBB211_108
; %bb.99:
	ds_read2_b32 v[54:55], v1 offset0:17 offset1:18
	v_add_u32_e32 v2, 18, v73
	v_cmp_ne_u32_e32 vcc, v8, v9
	v_mov_b64_e32 v[46:47], 0
	s_mov_b64 s[50:51], 0
	v_cndmask_b32_e64 v45, 0, 1, vcc
	v_cmp_gt_u32_e32 vcc, s84, v2
	s_waitcnt lgkmcnt(0)
	v_mov_b32_e32 v44, v54
	v_mov_b64_e32 v[48:49], v[46:47]
	v_mov_b64_e32 v[50:51], v[46:47]
	;; [unrolled: 1-line block ×3, first 2 shown]
                                        ; implicit-def: $sgpr48_sgpr49
                                        ; implicit-def: $vgpr3
	s_and_saveexec_b64 s[46:47], vcc
	s_cbranch_execz .LBB211_107
; %bb.100:
	v_add_u32_e32 v2, 19, v73
	v_cmp_ne_u32_e32 vcc, v9, v6
	v_mov_b64_e32 v[48:49], 0
	v_mov_b32_e32 v46, v55
	v_cndmask_b32_e64 v47, 0, 1, vcc
	v_cmp_gt_u32_e32 vcc, s84, v2
	v_mov_b64_e32 v[50:51], v[48:49]
	v_mov_b64_e32 v[52:53], v[48:49]
                                        ; implicit-def: $sgpr52_sgpr53
                                        ; implicit-def: $vgpr3
	s_and_saveexec_b64 s[48:49], vcc
	s_cbranch_execz .LBB211_106
; %bb.101:
	ds_read2_b32 v[8:9], v1 offset0:19 offset1:20
	v_add_u32_e32 v2, 20, v73
	v_cmp_ne_u32_e32 vcc, v6, v7
	v_mov_b64_e32 v[50:51], 0
	s_mov_b64 s[52:53], 0
	v_cndmask_b32_e64 v49, 0, 1, vcc
	v_cmp_gt_u32_e32 vcc, s84, v2
	s_waitcnt lgkmcnt(0)
	v_mov_b32_e32 v48, v8
	v_mov_b64_e32 v[52:53], v[50:51]
                                        ; implicit-def: $sgpr64_sgpr65
                                        ; implicit-def: $vgpr3
	s_and_saveexec_b64 s[50:51], vcc
	s_cbranch_execz .LBB211_105
; %bb.102:
	v_add_u32_e32 v2, 21, v73
	v_cmp_ne_u32_e32 vcc, v7, v4
	v_mov_b32_e32 v50, v9
	v_mov_b64_e32 v[52:53], 0
	v_cndmask_b32_e64 v51, 0, 1, vcc
	v_cmp_gt_u32_e32 vcc, s84, v2
                                        ; implicit-def: $sgpr64_sgpr65
                                        ; implicit-def: $vgpr3
	s_and_saveexec_b64 s[0:1], vcc
	s_xor_b64 s[82:83], exec, s[0:1]
	s_cbranch_execz .LBB211_104
; %bb.103:
	ds_read2_b32 v[2:3], v1 offset0:21 offset1:22
	v_add_u32_e32 v1, 22, v73
	v_cmp_ne_u32_e64 s[0:1], v4, v5
	v_cmp_ne_u32_e32 vcc, v5, v72
	s_and_b64 s[64:65], vcc, exec
	v_cndmask_b32_e64 v53, 0, 1, s[0:1]
	v_cmp_gt_u32_e64 s[0:1], s84, v1
	s_waitcnt lgkmcnt(0)
	v_mov_b32_e32 v52, v2
	s_and_b64 s[52:53], s[0:1], exec
.LBB211_104:
	s_or_b64 exec, exec, s[82:83]
	s_and_b64 s[64:65], s[64:65], exec
	s_and_b64 s[0:1], s[52:53], exec
.LBB211_105:
	s_or_b64 exec, exec, s[50:51]
	s_and_b64 s[52:53], s[64:65], exec
	s_and_b64 s[50:51], s[0:1], exec
.LBB211_106:
	s_or_b64 exec, exec, s[48:49]
	s_and_b64 s[48:49], s[52:53], exec
	s_and_b64 s[0:1], s[50:51], exec
.LBB211_107:
	s_or_b64 exec, exec, s[46:47]
	s_and_b64 s[48:49], s[48:49], exec
	s_and_b64 s[46:47], s[0:1], exec
.LBB211_108:
	s_or_b64 exec, exec, s[44:45]
	s_and_b64 s[44:45], s[48:49], exec
	s_and_b64 s[0:1], s[46:47], exec
.LBB211_109:
	s_or_b64 exec, exec, s[42:43]
	s_and_b64 s[44:45], s[44:45], exec
	s_and_b64 s[42:43], s[0:1], exec
.LBB211_110:
	s_or_b64 exec, exec, s[40:41]
	s_and_b64 s[40:41], s[44:45], exec
	s_and_b64 s[0:1], s[42:43], exec
.LBB211_111:
	s_or_b64 exec, exec, s[38:39]
	s_and_b64 s[40:41], s[40:41], exec
	s_and_b64 s[38:39], s[0:1], exec
.LBB211_112:
	s_or_b64 exec, exec, s[36:37]
	s_and_b64 s[36:37], s[40:41], exec
	s_and_b64 s[0:1], s[38:39], exec
.LBB211_113:
	s_or_b64 exec, exec, s[34:35]
	s_and_b64 s[36:37], s[36:37], exec
	s_and_b64 s[34:35], s[0:1], exec
.LBB211_114:
	s_or_b64 exec, exec, s[30:31]
	s_and_b64 s[30:31], s[36:37], exec
	s_and_b64 s[0:1], s[34:35], exec
.LBB211_115:
	s_or_b64 exec, exec, s[28:29]
	s_and_b64 s[30:31], s[30:31], exec
	s_and_b64 s[28:29], s[0:1], exec
.LBB211_116:
	s_or_b64 exec, exec, s[26:27]
	s_and_b64 s[26:27], s[30:31], exec
	s_and_b64 s[0:1], s[28:29], exec
.LBB211_117:
	s_or_b64 exec, exec, s[24:25]
	s_and_b64 s[26:27], s[26:27], exec
	s_and_b64 s[24:25], s[0:1], exec
.LBB211_118:
	s_or_b64 exec, exec, s[22:23]
	s_and_b64 s[22:23], s[26:27], exec
	s_and_b64 s[0:1], s[24:25], exec
.LBB211_119:
	s_or_b64 exec, exec, s[20:21]
	s_and_b64 s[22:23], s[22:23], exec
	s_and_b64 s[20:21], s[0:1], exec
.LBB211_120:
	s_or_b64 exec, exec, s[18:19]
	s_and_b64 s[18:19], s[22:23], exec
	s_and_b64 s[0:1], s[20:21], exec
.LBB211_121:
	s_or_b64 exec, exec, s[16:17]
	s_and_b64 s[18:19], s[18:19], exec
	s_and_b64 s[16:17], s[0:1], exec
.LBB211_122:
	s_or_b64 exec, exec, s[14:15]
	s_and_b64 s[14:15], s[18:19], exec
	s_and_b64 s[0:1], s[16:17], exec
.LBB211_123:
	s_or_b64 exec, exec, s[12:13]
	s_and_b64 s[14:15], s[14:15], exec
	s_and_b64 s[12:13], s[0:1], exec
.LBB211_124:
	s_or_b64 exec, exec, s[10:11]
	s_and_b64 s[0:1], s[14:15], exec
	s_and_b64 s[10:11], s[12:13], exec
.LBB211_125:
	s_or_b64 exec, exec, s[8:9]
	s_mov_b64 s[8:9], 0
	s_and_b64 vcc, exec, s[6:7]
	v_lshlrev_b32_e32 v54, 2, v0
	s_cbranch_vccnz .LBB211_127
	s_branch .LBB211_135
.LBB211_126:
                                        ; implicit-def: $sgpr0_sgpr1
                                        ; implicit-def: $vgpr3
                                        ; implicit-def: $vgpr10_vgpr11
                                        ; implicit-def: $vgpr12_vgpr13
                                        ; implicit-def: $vgpr14_vgpr15
                                        ; implicit-def: $vgpr16_vgpr17
                                        ; implicit-def: $vgpr18_vgpr19
                                        ; implicit-def: $vgpr20_vgpr21
                                        ; implicit-def: $vgpr22_vgpr23
                                        ; implicit-def: $vgpr24_vgpr25
                                        ; implicit-def: $vgpr26_vgpr27
                                        ; implicit-def: $vgpr28_vgpr29
                                        ; implicit-def: $vgpr30_vgpr31
                                        ; implicit-def: $vgpr32_vgpr33
                                        ; implicit-def: $vgpr34_vgpr35
                                        ; implicit-def: $vgpr36_vgpr37
                                        ; implicit-def: $vgpr38_vgpr39
                                        ; implicit-def: $vgpr40_vgpr41
                                        ; implicit-def: $vgpr42_vgpr43
                                        ; implicit-def: $vgpr44_vgpr45
                                        ; implicit-def: $vgpr46_vgpr47
                                        ; implicit-def: $vgpr48_vgpr49
                                        ; implicit-def: $vgpr50_vgpr51
                                        ; implicit-def: $vgpr52_vgpr53
                                        ; implicit-def: $sgpr8_sgpr9
	s_and_b64 vcc, exec, s[6:7]
	v_lshlrev_b32_e32 v54, 2, v0
	s_cbranch_vccz .LBB211_135
.LBB211_127:
	v_mov_b32_e32 v55, 0
	v_lshl_add_u64 v[2:3], s[68:69], 0, v[54:55]
	v_add_co_u32_e32 v4, vcc, 0x1000, v2
	s_movk_i32 s0, 0x58
	s_nop 0
	v_addc_co_u32_e32 v5, vcc, 0, v3, vcc
	flat_load_dword v8, v[2:3]
	flat_load_dword v9, v[2:3] offset:1024
	s_waitcnt lgkmcnt(0)
	flat_load_dword v10, v[2:3] offset:2048
	flat_load_dword v11, v[2:3] offset:3072
	flat_load_dword v12, v[4:5]
	flat_load_dword v13, v[4:5] offset:1024
	flat_load_dword v14, v[4:5] offset:2048
	;; [unrolled: 1-line block ×3, first 2 shown]
	v_add_co_u32_e32 v4, vcc, 0x2000, v2
	v_mad_u32_u24 v1, v0, s0, v54
	s_nop 0
	v_addc_co_u32_e32 v5, vcc, 0, v3, vcc
	v_add_co_u32_e32 v6, vcc, 0x3000, v2
	s_cmp_eq_u64 s[80:81], 0
	s_nop 0
	v_addc_co_u32_e32 v7, vcc, 0, v3, vcc
	flat_load_dword v16, v[4:5]
	flat_load_dword v17, v[4:5] offset:1024
	flat_load_dword v18, v[4:5] offset:2048
	;; [unrolled: 1-line block ×3, first 2 shown]
	flat_load_dword v20, v[6:7]
	flat_load_dword v21, v[6:7] offset:1024
	flat_load_dword v22, v[6:7] offset:2048
	;; [unrolled: 1-line block ×3, first 2 shown]
	v_add_co_u32_e32 v4, vcc, 0x4000, v2
	s_nop 1
	v_addc_co_u32_e32 v5, vcc, 0, v3, vcc
	v_add_co_u32_e32 v2, vcc, 0x5000, v2
	s_nop 1
	v_addc_co_u32_e32 v3, vcc, 0, v3, vcc
	flat_load_dword v6, v[4:5]
	flat_load_dword v7, v[4:5] offset:1024
	flat_load_dword v24, v[4:5] offset:2048
	;; [unrolled: 1-line block ×3, first 2 shown]
	flat_load_dword v26, v[2:3]
	flat_load_dword v27, v[2:3] offset:1024
	flat_load_dword v28, v[2:3] offset:2048
	s_waitcnt vmcnt(0)
	ds_write2st64_b32 v54, v8, v9 offset1:4
	s_waitcnt lgkmcnt(0)
	ds_write2st64_b32 v54, v10, v11 offset0:8 offset1:12
	ds_write2st64_b32 v54, v12, v13 offset0:16 offset1:20
	;; [unrolled: 1-line block ×10, first 2 shown]
	ds_write_b32 v54, v28 offset:22528
	s_waitcnt lgkmcnt(0)
	s_barrier
	ds_read2_b32 v[2:3], v1 offset1:1
	ds_read2_b32 v[18:19], v1 offset0:2 offset1:3
	ds_read2_b32 v[22:23], v1 offset0:4 offset1:5
	;; [unrolled: 1-line block ×10, first 2 shown]
	ds_read_b32 v10, v1 offset:88
	s_cbranch_scc1 .LBB211_132
; %bb.128:
	s_andn2_b64 vcc, exec, s[78:79]
	s_cbranch_vccnz .LBB211_272
; %bb.129:
	s_lshl_b64 s[0:1], s[80:81], 2
	s_add_u32 s0, s70, s0
	s_addc_u32 s1, s71, s1
	s_add_u32 s0, s0, -4
	s_addc_u32 s1, s1, -1
	s_cbranch_execnz .LBB211_131
.LBB211_130:
	s_add_u32 s0, s68, -4
	s_addc_u32 s1, s69, -1
.LBB211_131:
	s_mov_b64 s[68:69], s[0:1]
.LBB211_132:
	v_mov_b64_e32 v[12:13], s[68:69]
	flat_load_dword v11, v[12:13]
	s_movk_i32 s0, 0xffa8
	v_mad_i32_i24 v12, v0, s0, v1
	s_waitcnt lgkmcnt(0)
	ds_write_b32 v12, v10 offset:23552
	s_waitcnt lgkmcnt(0)
	s_barrier
	s_and_saveexec_b64 s[0:1], s[4:5]
	s_cbranch_execz .LBB211_134
; %bb.133:
	s_waitcnt vmcnt(0)
	v_mul_i32_i24_e32 v11, 0xffffffa8, v0
	v_add_u32_e32 v11, v1, v11
	ds_read_b32 v11, v11 offset:23548
.LBB211_134:
	s_or_b64 exec, exec, s[0:1]
	v_mov_b32_e32 v55, 0
	v_lshl_add_u64 v[12:13], s[60:61], 0, v[54:55]
	s_movk_i32 s0, 0x1000
	v_add_co_u32_e32 v14, vcc, s0, v12
	s_movk_i32 s0, 0x2000
	s_nop 0
	v_addc_co_u32_e32 v15, vcc, 0, v13, vcc
	s_waitcnt lgkmcnt(0)
	s_barrier
	flat_load_dword v20, v[12:13]
	flat_load_dword v21, v[12:13] offset:1024
	flat_load_dword v24, v[12:13] offset:2048
	flat_load_dword v25, v[12:13] offset:3072
	flat_load_dword v28, v[14:15]
	flat_load_dword v29, v[14:15] offset:1024
	flat_load_dword v32, v[14:15] offset:2048
	;; [unrolled: 1-line block ×3, first 2 shown]
	v_add_co_u32_e32 v14, vcc, s0, v12
	s_movk_i32 s0, 0x3000
	s_nop 0
	v_addc_co_u32_e32 v15, vcc, 0, v13, vcc
	v_add_co_u32_e32 v16, vcc, s0, v12
	s_movk_i32 s0, 0x4000
	s_nop 0
	v_addc_co_u32_e32 v17, vcc, 0, v13, vcc
	flat_load_dword v36, v[14:15]
	flat_load_dword v37, v[14:15] offset:1024
	flat_load_dword v40, v[14:15] offset:2048
	flat_load_dword v41, v[14:15] offset:3072
	flat_load_dword v44, v[16:17]
	flat_load_dword v45, v[16:17] offset:1024
	flat_load_dword v46, v[16:17] offset:2048
	;; [unrolled: 1-line block ×3, first 2 shown]
	v_add_co_u32_e32 v14, vcc, s0, v12
	s_movk_i32 s0, 0x5000
	s_nop 0
	v_addc_co_u32_e32 v15, vcc, 0, v13, vcc
	v_add_co_u32_e32 v12, vcc, s0, v12
	v_cmp_ne_u32_e64 s[0:1], v5, v10
	s_nop 0
	v_addc_co_u32_e32 v13, vcc, 0, v13, vcc
	flat_load_dword v16, v[14:15]
	flat_load_dword v17, v[14:15] offset:1024
	flat_load_dword v48, v[14:15] offset:2048
	;; [unrolled: 1-line block ×3, first 2 shown]
	flat_load_dword v50, v[12:13]
	flat_load_dword v51, v[12:13] offset:1024
	flat_load_dword v52, v[12:13] offset:2048
	s_waitcnt vmcnt(0)
	v_cmp_ne_u32_e32 vcc, v11, v2
	s_mov_b64 s[10:11], -1
                                        ; implicit-def: $sgpr8_sgpr9
	s_waitcnt lgkmcnt(0)
	ds_write2st64_b32 v54, v20, v21 offset1:4
	ds_write2st64_b32 v54, v24, v25 offset0:8 offset1:12
	ds_write2st64_b32 v54, v28, v29 offset0:16 offset1:20
	;; [unrolled: 1-line block ×10, first 2 shown]
	ds_write_b32 v54, v52 offset:22528
	v_cndmask_b32_e64 v11, 0, 1, vcc
	v_cmp_ne_u32_e32 vcc, v2, v3
	s_waitcnt lgkmcnt(0)
	s_barrier
	v_cndmask_b32_e64 v13, 0, 1, vcc
	v_cmp_ne_u32_e32 vcc, v3, v18
	ds_read2_b32 v[16:17], v1 offset1:1
	ds_read2_b32 v[20:21], v1 offset0:2 offset1:3
	ds_read2_b32 v[24:25], v1 offset0:4 offset1:5
	ds_read2_b32 v[28:29], v1 offset0:6 offset1:7
	ds_read2_b32 v[32:33], v1 offset0:8 offset1:9
	ds_read2_b32 v[36:37], v1 offset0:10 offset1:11
	ds_read2_b32 v[40:41], v1 offset0:12 offset1:13
	ds_read2_b32 v[44:45], v1 offset0:14 offset1:15
	ds_read2_b32 v[46:47], v1 offset0:16 offset1:17
	ds_read2_b32 v[50:51], v1 offset0:18 offset1:19
	ds_read2_b32 v[56:57], v1 offset0:20 offset1:21
	ds_read_b32 v3, v1 offset:88
	v_cndmask_b32_e64 v15, 0, 1, vcc
	v_cmp_ne_u32_e32 vcc, v18, v19
	s_waitcnt lgkmcnt(11)
	v_mov_b32_e32 v12, v17
	v_mov_b32_e32 v10, v16
	v_cndmask_b32_e64 v17, 0, 1, vcc
	v_cmp_ne_u32_e32 vcc, v19, v22
	s_waitcnt lgkmcnt(10)
	v_mov_b32_e32 v16, v21
	v_mov_b32_e32 v14, v20
	;; [unrolled: 5-line block ×5, first 2 shown]
	v_cndmask_b32_e64 v25, 0, 1, vcc
	v_cmp_ne_u32_e32 vcc, v27, v30
	s_waitcnt lgkmcnt(6)
	v_mov_b32_e32 v32, v37
	s_waitcnt lgkmcnt(2)
	v_mov_b32_e32 v48, v51
	v_cndmask_b32_e64 v27, 0, 1, vcc
	v_cmp_ne_u32_e32 vcc, v30, v31
	v_mov_b32_e32 v30, v36
	v_mov_b32_e32 v36, v41
	v_cndmask_b32_e64 v29, 0, 1, vcc
	v_cmp_ne_u32_e32 vcc, v31, v34
	s_waitcnt lgkmcnt(1)
	v_mov_b32_e32 v52, v57
	v_cndmask_b32_e64 v31, 0, 1, vcc
	v_cmp_ne_u32_e32 vcc, v34, v35
	v_mov_b32_e32 v34, v40
	v_mov_b32_e32 v40, v45
	v_cndmask_b32_e64 v33, 0, 1, vcc
	v_cmp_ne_u32_e32 vcc, v35, v38
	s_nop 1
	v_cndmask_b32_e64 v35, 0, 1, vcc
	v_cmp_ne_u32_e32 vcc, v38, v39
	v_mov_b32_e32 v38, v44
	v_mov_b32_e32 v44, v47
	v_cndmask_b32_e64 v37, 0, 1, vcc
	v_cmp_ne_u32_e32 vcc, v39, v42
	s_nop 1
	v_cndmask_b32_e64 v39, 0, 1, vcc
	v_cmp_ne_u32_e32 vcc, v42, v43
	v_mov_b32_e32 v42, v46
	v_mov_b32_e32 v46, v50
	v_cndmask_b32_e64 v41, 0, 1, vcc
	v_cmp_ne_u32_e32 vcc, v43, v8
	v_mov_b32_e32 v50, v56
	s_nop 0
	v_cndmask_b32_e64 v43, 0, 1, vcc
	v_cmp_ne_u32_e32 vcc, v8, v9
	s_nop 1
	v_cndmask_b32_e64 v45, 0, 1, vcc
	v_cmp_ne_u32_e32 vcc, v9, v6
	;; [unrolled: 3-line block ×5, first 2 shown]
	s_nop 1
	v_cndmask_b32_e64 v53, 0, 1, vcc
.LBB211_135:
	v_mov_b64_e32 v[56:57], s[8:9]
	s_and_saveexec_b64 s[6:7], s[10:11]
	s_cbranch_execz .LBB211_137
; %bb.136:
	v_cndmask_b32_e64 v57, 0, 1, s[0:1]
	s_waitcnt lgkmcnt(0)
	v_mov_b32_e32 v56, v3
.LBB211_137:
	s_or_b64 exec, exec, s[6:7]
	s_mov_b32 s0, 0
	s_cmp_lg_u32 s75, 0
	v_or_b32_e32 v55, v57, v53
	v_lshrrev_b32_e32 v1, 5, v0
	v_cmp_gt_u32_e32 vcc, 64, v0
	s_waitcnt lgkmcnt(0)
	s_barrier
	s_cbranch_scc0 .LBB211_176
; %bb.138:
	s_mov_b32 s1, 1
	v_cmp_gt_u64_e64 s[6:7], s[0:1], v[12:13]
	v_cmp_gt_u64_e64 s[8:9], s[0:1], v[14:15]
	v_cmp_gt_u64_e64 s[10:11], s[0:1], v[16:17]
	v_cndmask_b32_e64 v2, 0, v10, s[6:7]
	v_add_u32_e32 v2, v2, v12
	v_cndmask_b32_e64 v2, 0, v2, s[8:9]
	v_add_u32_e32 v2, v2, v14
	v_cndmask_b32_e64 v2, 0, v2, s[10:11]
	v_add_u32_e32 v2, v2, v16
	v_cmp_gt_u64_e64 s[12:13], s[0:1], v[18:19]
	v_cmp_gt_u64_e64 s[14:15], s[0:1], v[20:21]
	v_cmp_gt_u64_e64 s[16:17], s[0:1], v[22:23]
	v_cndmask_b32_e64 v2, 0, v2, s[12:13]
	v_add_u32_e32 v2, v2, v18
	v_cndmask_b32_e64 v2, 0, v2, s[14:15]
	v_add_u32_e32 v2, v2, v20
	v_cndmask_b32_e64 v2, 0, v2, s[16:17]
	v_add_u32_e32 v2, v2, v22
	;; [unrolled: 9-line block ×7, first 2 shown]
	v_cmp_gt_u64_e64 s[50:51], s[0:1], v[56:57]
	s_nop 1
	v_cndmask_b32_e64 v2, 0, v2, s[50:51]
	v_add_u32_e32 v62, v2, v56
	v_or3_b32 v2, v55, v51, v49
	v_or3_b32 v2, v2, v47, v45
	;; [unrolled: 1-line block ×10, first 2 shown]
	v_and_b32_e32 v2, 1, v2
	v_cmp_eq_u32_e64 s[0:1], 1, v2
	v_add_lshl_u32 v2, v1, v0, 3
	s_nop 0
	v_cndmask_b32_e64 v63, v11, 1, s[0:1]
	ds_write_b32 v2, v62
	ds_write_b8 v2, v63 offset:4
	s_waitcnt lgkmcnt(0)
	s_barrier
	s_and_saveexec_b64 s[52:53], vcc
	s_cbranch_execz .LBB211_150
; %bb.139:
	v_lshrrev_b32_e32 v2, 3, v0
	v_add_lshl_u32 v4, v2, v54, 3
	ds_read2_b32 v[6:7], v4 offset0:2 offset1:4
	ds_read_b64 v[2:3], v4
	ds_read_u8 v8, v4 offset:12
	ds_read_u8 v9, v4 offset:20
	ds_read_b32 v58, v4 offset:24
	ds_read_u8 v59, v4 offset:28
	v_mov_b32_e32 v60, 0
	s_waitcnt lgkmcnt(3)
	v_cmp_eq_u16_sdwa s[0:1], v8, v60 src0_sel:BYTE_0 src1_sel:DWORD
	v_and_b32_e32 v5, 1, v3
	s_nop 0
	v_cndmask_b32_e64 v61, 0, v2, s[0:1]
	v_add_u32_e32 v6, v61, v6
	s_waitcnt lgkmcnt(2)
	v_cmp_eq_u16_sdwa s[0:1], v9, v60 src0_sel:BYTE_0 src1_sel:DWORD
	s_nop 1
	v_cndmask_b32_e64 v6, 0, v6, s[0:1]
	v_add_u32_e32 v6, v6, v7
	s_waitcnt lgkmcnt(0)
	v_cmp_eq_u16_e64 s[0:1], 0, v59
	s_nop 1
	v_cndmask_b32_e64 v6, 0, v6, s[0:1]
	v_add_u32_e32 v7, v6, v58
	v_or_b32_e32 v6, v59, v9
	v_or_b32_e32 v6, v6, v8
	v_and_b32_e32 v6, 1, v6
	v_cmp_eq_u32_e64 s[0:1], 1, v6
	v_mbcnt_lo_u32_b32 v8, -1, 0
	v_and_b32_e32 v6, 0xffffff00, v3
	v_cndmask_b32_e64 v9, v5, 1, s[0:1]
	v_mbcnt_hi_u32_b32 v8, -1, v8
	v_and_b32_e32 v59, 15, v8
	v_or_b32_sdwa v58, v6, v9 dst_sel:DWORD dst_unused:UNUSED_PAD src0_sel:DWORD src1_sel:WORD_0
	v_mov_b32_dpp v60, v7 row_shr:1 row_mask:0xf bank_mask:0xf
	v_cmp_ne_u32_e64 s[0:1], 0, v59
	v_mov_b32_dpp v61, v58 row_shr:1 row_mask:0xf bank_mask:0xf
	s_and_saveexec_b64 s[60:61], s[0:1]
; %bb.140:
	v_and_b32_e32 v58, 1, v9
	v_and_b32_e32 v61, 1, v61
	v_cmp_eq_u32_e64 s[0:1], 1, v58
	s_nop 1
	v_cndmask_b32_e64 v61, v61, 1, s[0:1]
	v_cmp_eq_u16_e64 s[0:1], 0, v9
	v_or_b32_sdwa v58, v6, v61 dst_sel:DWORD dst_unused:UNUSED_PAD src0_sel:DWORD src1_sel:WORD_0
	s_nop 0
	v_cndmask_b32_e64 v9, 0, v60, s[0:1]
	v_add_u32_e32 v7, v9, v7
	v_mov_b32_e32 v9, v61
; %bb.141:
	s_or_b64 exec, exec, s[60:61]
	v_mov_b32_dpp v60, v7 row_shr:2 row_mask:0xf bank_mask:0xf
	v_mov_b32_dpp v61, v58 row_shr:2 row_mask:0xf bank_mask:0xf
	v_cmp_lt_u32_e64 s[0:1], 1, v59
	s_and_saveexec_b64 s[60:61], s[0:1]
; %bb.142:
	v_and_b32_e32 v58, 1, v9
	v_and_b32_e32 v61, 1, v61
	v_cmp_eq_u32_e64 s[0:1], 1, v58
	s_nop 1
	v_cndmask_b32_e64 v61, v61, 1, s[0:1]
	v_cmp_eq_u16_e64 s[0:1], 0, v9
	v_or_b32_sdwa v58, v6, v61 dst_sel:DWORD dst_unused:UNUSED_PAD src0_sel:DWORD src1_sel:WORD_0
	s_nop 0
	v_cndmask_b32_e64 v9, 0, v60, s[0:1]
	v_add_u32_e32 v7, v9, v7
	v_mov_b32_e32 v9, v61
; %bb.143:
	s_or_b64 exec, exec, s[60:61]
	v_mov_b32_dpp v60, v7 row_shr:4 row_mask:0xf bank_mask:0xf
	v_mov_b32_dpp v61, v58 row_shr:4 row_mask:0xf bank_mask:0xf
	v_cmp_lt_u32_e64 s[0:1], 3, v59
	;; [unrolled: 18-line block ×3, first 2 shown]
	s_and_saveexec_b64 s[60:61], s[0:1]
; %bb.146:
	v_and_b32_e32 v58, 1, v9
	v_and_b32_e32 v59, 1, v61
	v_cmp_eq_u32_e64 s[0:1], 1, v58
	s_nop 1
	v_cndmask_b32_e64 v59, v59, 1, s[0:1]
	v_cmp_eq_u16_e64 s[0:1], 0, v9
	v_or_b32_sdwa v58, v6, v59 dst_sel:DWORD dst_unused:UNUSED_PAD src0_sel:DWORD src1_sel:WORD_0
	s_nop 0
	v_cndmask_b32_e64 v9, 0, v60, s[0:1]
	v_add_u32_e32 v7, v9, v7
	v_mov_b32_e32 v9, v59
; %bb.147:
	s_or_b64 exec, exec, s[60:61]
	v_and_b32_e32 v61, 16, v8
	v_mov_b32_dpp v59, v7 row_bcast:15 row_mask:0xf bank_mask:0xf
	v_mov_b32_dpp v60, v58 row_bcast:15 row_mask:0xf bank_mask:0xf
	v_cmp_ne_u32_e64 s[0:1], 0, v61
	s_and_saveexec_b64 s[60:61], s[0:1]
; %bb.148:
	v_and_b32_e32 v58, 1, v9
	v_and_b32_e32 v60, 1, v60
	v_cmp_eq_u32_e64 s[0:1], 1, v58
	s_nop 1
	v_cndmask_b32_e64 v60, v60, 1, s[0:1]
	v_cmp_eq_u16_e64 s[0:1], 0, v9
	v_or_b32_sdwa v58, v6, v60 dst_sel:DWORD dst_unused:UNUSED_PAD src0_sel:DWORD src1_sel:WORD_0
	s_nop 0
	v_cndmask_b32_e64 v9, 0, v59, s[0:1]
	v_add_u32_e32 v7, v9, v7
	v_mov_b32_e32 v9, v60
; %bb.149:
	s_or_b64 exec, exec, s[60:61]
	v_mov_b32_dpp v58, v58 row_bcast:31 row_mask:0xf bank_mask:0xf
	v_and_b32_e32 v60, 1, v9
	v_and_b32_e32 v58, 1, v58
	v_cmp_eq_u32_e64 s[0:1], 1, v60
	v_mov_b32_e32 v60, 0
	v_cmp_eq_u16_sdwa s[60:61], v9, v60 src0_sel:BYTE_0 src1_sel:DWORD
	v_cndmask_b32_e64 v58, v58, 1, s[0:1]
	v_cmp_lt_u32_e64 s[0:1], 31, v8
	v_mov_b32_dpp v59, v7 row_bcast:31 row_mask:0xf bank_mask:0xf
	s_movk_i32 s64, 0xff
	v_cndmask_b32_e64 v9, v9, v58, s[0:1]
	s_and_b64 s[0:1], s[0:1], s[60:61]
	v_cndmask_b32_e64 v58, 0, v59, s[0:1]
	v_add_u32_e32 v7, v58, v7
	v_add_u32_e32 v58, -1, v8
	v_and_b32_e32 v59, 64, v8
	v_cmp_lt_i32_e64 s[0:1], v58, v59
	v_and_or_b32 v6, v9, s64, v6
	s_nop 0
	v_cndmask_b32_e64 v8, v58, v8, s[0:1]
	v_lshlrev_b32_e32 v8, 2, v8
	ds_bpermute_b32 v7, v8, v7
	ds_bpermute_b32 v6, v8, v6
	v_cmp_eq_u16_sdwa s[0:1], v3, v60 src0_sel:BYTE_0 src1_sel:DWORD
	; wave barrier
	s_waitcnt lgkmcnt(1)
	s_nop 0
	v_cndmask_b32_e64 v3, 0, v7, s[0:1]
	v_add_u32_e32 v2, v3, v2
	s_waitcnt lgkmcnt(0)
	v_and_b32_e32 v3, 1, v6
	v_cmp_eq_u32_e64 s[0:1], 1, v5
	v_cndmask_b32_e64 v5, v2, v62, s[54:55]
	s_nop 0
	v_cndmask_b32_e64 v3, v3, 1, s[0:1]
	v_cndmask_b32_e64 v6, v3, v63, s[54:55]
	ds_write_b32 v4, v5
	ds_write_b8 v4, v6 offset:4
	; wave barrier
	ds_read_u8 v7, v4 offset:12
	ds_read2_b32 v[2:3], v4 offset0:2 offset1:4
	ds_read_u8 v8, v4 offset:20
	ds_read_b32 v9, v4 offset:24
	ds_read_u8 v58, v4 offset:28
	s_waitcnt lgkmcnt(4)
	v_cmp_eq_u16_e64 s[0:1], 0, v7
	s_nop 1
	v_cndmask_b32_e64 v5, 0, v5, s[0:1]
	s_waitcnt lgkmcnt(3)
	v_add_u32_e32 v2, v5, v2
	v_and_b32_e32 v5, 1, v7
	v_cmp_eq_u32_e64 s[0:1], 1, v5
	s_nop 1
	v_cndmask_b32_e64 v5, v6, 1, s[0:1]
	s_waitcnt lgkmcnt(2)
	v_cmp_eq_u16_e64 s[0:1], 0, v8
	ds_write_b8 v4, v5 offset:12
	s_nop 0
	v_cndmask_b32_e64 v6, 0, v2, s[0:1]
	v_add_u32_e32 v3, v6, v3
	v_and_b32_e32 v6, 1, v8
	v_cmp_eq_u32_e64 s[0:1], 1, v6
	s_nop 1
	v_cndmask_b32_e64 v5, v5, 1, s[0:1]
	s_waitcnt lgkmcnt(1)
	v_cmp_eq_u16_e64 s[0:1], 0, v58
	ds_write2_b32 v4, v2, v3 offset0:2 offset1:4
	ds_write_b8 v4, v5 offset:20
	v_cndmask_b32_e64 v2, 0, v3, s[0:1]
	v_and_b32_e32 v3, 1, v58
	v_add_u32_e32 v2, v2, v9
	v_cmp_eq_u32_e64 s[0:1], 1, v3
	s_nop 1
	v_cndmask_b32_e64 v3, v5, 1, s[0:1]
	ds_write_b32 v4, v2 offset:24
	ds_write_b8 v4, v3 offset:28
.LBB211_150:
	s_or_b64 exec, exec, s[52:53]
	s_waitcnt lgkmcnt(0)
	s_barrier
	s_and_saveexec_b64 s[0:1], s[4:5]
	s_cbranch_execz .LBB211_152
; %bb.151:
	v_add_u32_e32 v2, -1, v0
	v_lshrrev_b32_e32 v3, 5, v2
	v_add_lshl_u32 v2, v3, v2, 3
	ds_read_b32 v62, v2
	ds_read_u8 v63, v2 offset:4
.LBB211_152:
	s_or_b64 exec, exec, s[0:1]
	s_and_saveexec_b64 s[60:61], vcc
	s_cbranch_execz .LBB211_175
; %bb.153:
	v_mov_b32_e32 v5, 0
	ds_read_b64 v[2:3], v5 offset:2096
	v_mbcnt_lo_u32_b32 v4, -1, 0
	v_mbcnt_hi_u32_b32 v73, -1, v4
	s_mov_b32 s65, 0
	v_cmp_eq_u32_e64 s[52:53], 0, v73
	s_waitcnt lgkmcnt(0)
	v_readfirstlane_b32 s70, v3
	s_and_saveexec_b64 s[0:1], s[52:53]
	s_cbranch_execz .LBB211_155
; %bb.154:
	s_add_i32 s64, s75, 64
	s_lshl_b64 s[68:69], s[64:65], 4
	s_add_u32 s68, s72, s68
	s_addc_u32 s69, s73, s69
	s_and_b32 s79, s70, 0xff000000
	s_mov_b32 s78, s65
	s_and_b32 s81, s70, 0xff0000
	s_mov_b32 s80, s65
	s_or_b64 s[78:79], s[80:81], s[78:79]
	s_and_b32 s81, s70, 0xff00
	s_or_b64 s[78:79], s[78:79], s[80:81]
	s_and_b32 s81, s70, 0xff
	s_or_b64 s[64:65], s[78:79], s[80:81]
	v_mov_b32_e32 v3, s65
	v_mov_b32_e32 v4, 1
	v_mov_b64_e32 v[6:7], s[68:69]
	;;#ASMSTART
	global_store_dwordx4 v[6:7], v[2:5] off sc1	
s_waitcnt vmcnt(0)
	;;#ASMEND
.LBB211_155:
	s_or_b64 exec, exec, s[0:1]
	v_xad_u32 v58, v73, -1, s75
	v_add_u32_e32 v4, 64, v58
	v_lshl_add_u64 v[60:61], v[4:5], 4, s[72:73]
	;;#ASMSTART
	global_load_dwordx4 v[6:9], v[60:61] off sc1	
s_waitcnt vmcnt(0)
	;;#ASMEND
	s_nop 0
	v_and_b32_e32 v3, 0xff0000, v6
	v_and_b32_e32 v4, 0xff000000, v6
	;; [unrolled: 1-line block ×3, first 2 shown]
	v_or_b32_sdwa v3, v6, v3 dst_sel:DWORD dst_unused:UNUSED_PAD src0_sel:WORD_0 src1_sel:DWORD
	v_or3_b32 v7, 0, 0, v7
	v_or3_b32 v6, v3, v4, 0
	v_cmp_eq_u16_sdwa s[64:65], v8, v5 src0_sel:BYTE_0 src1_sel:DWORD
	s_and_saveexec_b64 s[0:1], s[64:65]
	s_cbranch_execz .LBB211_161
; %bb.156:
	s_mov_b32 s68, 1
	s_mov_b64 s[64:65], 0
	v_mov_b32_e32 v3, 0
.LBB211_157:                            ; =>This Loop Header: Depth=1
                                        ;     Child Loop BB211_158 Depth 2
	s_max_u32 s69, s68, 1
.LBB211_158:                            ;   Parent Loop BB211_157 Depth=1
                                        ; =>  This Inner Loop Header: Depth=2
	s_add_i32 s69, s69, -1
	s_cmp_eq_u32 s69, 0
	s_sleep 1
	s_cbranch_scc0 .LBB211_158
; %bb.159:                              ;   in Loop: Header=BB211_157 Depth=1
	s_cmp_lt_u32 s68, 32
	s_cselect_b64 s[78:79], -1, 0
	s_cmp_lg_u64 s[78:79], 0
	s_addc_u32 s68, s68, 0
	;;#ASMSTART
	global_load_dwordx4 v[6:9], v[60:61] off sc1	
s_waitcnt vmcnt(0)
	;;#ASMEND
	s_nop 0
	v_cmp_ne_u16_sdwa s[78:79], v8, v3 src0_sel:BYTE_0 src1_sel:DWORD
	s_or_b64 s[64:65], s[78:79], s[64:65]
	s_andn2_b64 exec, exec, s[64:65]
	s_cbranch_execnz .LBB211_157
; %bb.160:
	s_or_b64 exec, exec, s[64:65]
	v_and_b32_e32 v7, 0xff, v7
.LBB211_161:
	s_or_b64 exec, exec, s[0:1]
	v_mov_b32_e32 v3, 2
	v_cmp_eq_u16_sdwa s[0:1], v8, v3 src0_sel:BYTE_0 src1_sel:DWORD
	v_lshlrev_b64 v[4:5], v73, -1
	v_and_b32_e32 v64, 63, v73
	v_and_b32_e32 v9, s1, v5
	v_or_b32_e32 v9, 0x80000000, v9
	v_and_b32_e32 v59, s0, v4
	v_ffbl_b32_e32 v9, v9
	v_add_u32_e32 v9, 32, v9
	v_ffbl_b32_e32 v59, v59
	v_cmp_ne_u32_e32 vcc, 63, v64
	v_min_u32_e32 v9, v59, v9
	s_mov_b32 s64, 0
	v_addc_co_u32_e32 v59, vcc, 0, v73, vcc
	v_lshlrev_b32_e32 v65, 2, v59
	ds_bpermute_b32 v59, v65, v7
	ds_bpermute_b32 v60, v65, v6
	v_and_b32_e32 v61, 1, v7
	s_mov_b32 s65, 1
	v_cmp_eq_u32_e32 vcc, 1, v61
	s_waitcnt lgkmcnt(1)
	v_and_b32_e32 v59, 1, v59
	v_cmp_lt_u32_e64 s[0:1], v64, v9
	v_cndmask_b32_e64 v59, v59, 1, vcc
	v_cmp_gt_u64_e32 vcc, s[64:65], v[6:7]
	s_and_b64 vcc, s[0:1], vcc
	v_and_b32_e32 v61, 0xffff, v59
	v_cndmask_b32_e64 v68, v7, v59, s[0:1]
	s_waitcnt lgkmcnt(0)
	v_cndmask_b32_e32 v59, 0, v60, vcc
	v_cmp_gt_u32_e32 vcc, 62, v64
	v_cndmask_b32_e64 v7, v7, v61, s[0:1]
	v_add_u32_e32 v6, v59, v6
	v_cndmask_b32_e64 v60, 0, 1, vcc
	v_lshlrev_b32_e32 v60, 1, v60
	v_add_lshl_u32 v66, v60, v73, 2
	ds_bpermute_b32 v60, v66, v7
	ds_bpermute_b32 v61, v66, v6
	v_and_b32_e32 v59, 1, v68
	v_cmp_eq_u32_e32 vcc, 1, v59
	v_mov_b32_e32 v59, 0
	s_waitcnt lgkmcnt(1)
	v_and_b32_e32 v60, 1, v60
	v_add_u32_e32 v67, 2, v64
	v_cndmask_b32_e64 v60, v60, 1, vcc
	v_cmp_eq_u16_sdwa vcc, v68, v59 src0_sel:BYTE_0 src1_sel:DWORD
	v_and_b32_e32 v69, 0xffff, v60
	v_add_u32_e32 v77, 32, v64
	s_waitcnt lgkmcnt(0)
	v_cndmask_b32_e32 v61, 0, v61, vcc
	v_cmp_gt_u32_e32 vcc, v67, v9
	s_nop 1
	v_cndmask_b32_e32 v60, v60, v68, vcc
	v_cndmask_b32_e64 v61, v61, 0, vcc
	v_cndmask_b32_e32 v7, v69, v7, vcc
	v_cmp_gt_u32_e32 vcc, 60, v64
	v_add_u32_e32 v6, v61, v6
	v_and_b32_e32 v71, 1, v60
	v_cndmask_b32_e64 v68, 0, 1, vcc
	v_lshlrev_b32_e32 v68, 2, v68
	v_add_lshl_u32 v68, v68, v73, 2
	ds_bpermute_b32 v70, v68, v7
	ds_bpermute_b32 v61, v68, v6
	v_cmp_eq_u32_e32 vcc, 1, v71
	v_add_u32_e32 v69, 4, v64
	s_waitcnt lgkmcnt(1)
	v_and_b32_e32 v70, 1, v70
	v_cndmask_b32_e64 v70, v70, 1, vcc
	v_cmp_eq_u16_sdwa vcc, v60, v59 src0_sel:BYTE_0 src1_sel:DWORD
	v_and_b32_e32 v71, 0xffff, v70
	s_waitcnt lgkmcnt(0)
	v_cndmask_b32_e32 v61, 0, v61, vcc
	v_cmp_gt_u32_e32 vcc, v69, v9
	s_nop 1
	v_cndmask_b32_e32 v60, v70, v60, vcc
	v_cndmask_b32_e64 v61, v61, 0, vcc
	v_cndmask_b32_e32 v7, v71, v7, vcc
	v_cmp_gt_u32_e32 vcc, 56, v64
	v_add_u32_e32 v6, v61, v6
	v_and_b32_e32 v74, 1, v60
	v_cndmask_b32_e64 v70, 0, 1, vcc
	v_lshlrev_b32_e32 v70, 3, v70
	v_add_lshl_u32 v70, v70, v73, 2
	ds_bpermute_b32 v72, v70, v7
	ds_bpermute_b32 v61, v70, v6
	v_cmp_eq_u32_e32 vcc, 1, v74
	v_add_u32_e32 v71, 8, v64
	s_waitcnt lgkmcnt(1)
	v_and_b32_e32 v72, 1, v72
	v_cndmask_b32_e64 v72, v72, 1, vcc
	v_cmp_eq_u16_sdwa vcc, v60, v59 src0_sel:BYTE_0 src1_sel:DWORD
	v_and_b32_e32 v74, 0xffff, v72
	;; [unrolled: 22-line block ×3, first 2 shown]
	s_waitcnt lgkmcnt(0)
	v_cndmask_b32_e32 v61, 0, v61, vcc
	v_cmp_gt_u32_e32 vcc, v74, v9
	s_nop 1
	v_cndmask_b32_e32 v60, v75, v60, vcc
	v_cndmask_b32_e64 v61, v61, 0, vcc
	v_cndmask_b32_e32 v7, v76, v7, vcc
	v_cmp_gt_u32_e32 vcc, 32, v64
	v_add_u32_e32 v6, v61, v6
	s_nop 0
	v_cndmask_b32_e64 v75, 0, 1, vcc
	v_lshlrev_b32_e32 v75, 5, v75
	v_add_lshl_u32 v76, v75, v73, 2
	ds_bpermute_b32 v7, v76, v7
	ds_bpermute_b32 v61, v76, v6
	v_and_b32_e32 v73, 1, v60
	v_cmp_eq_u32_e32 vcc, 1, v73
	s_waitcnt lgkmcnt(1)
	v_and_b32_e32 v7, 1, v7
	v_cndmask_b32_e64 v7, v7, 1, vcc
	v_cmp_eq_u16_sdwa vcc, v60, v59 src0_sel:BYTE_0 src1_sel:DWORD
	s_waitcnt lgkmcnt(0)
	s_nop 0
	v_cndmask_b32_e32 v61, 0, v61, vcc
	v_cmp_gt_u32_e32 vcc, v77, v9
	s_nop 1
	v_cndmask_b32_e64 v9, v61, 0, vcc
	v_cndmask_b32_e32 v7, v7, v60, vcc
	v_add_u32_e32 v6, v9, v6
	s_branch .LBB211_163
.LBB211_162:                            ;   in Loop: Header=BB211_163 Depth=1
	s_or_b64 exec, exec, s[0:1]
	v_cmp_eq_u16_sdwa s[0:1], v8, v3 src0_sel:BYTE_0 src1_sel:DWORD
	ds_bpermute_b32 v61, v65, v7
	v_and_b32_e32 v78, 1, v7
	v_and_b32_e32 v9, s1, v5
	v_or_b32_e32 v9, 0x80000000, v9
	v_and_b32_e32 v60, s0, v4
	v_ffbl_b32_e32 v9, v9
	v_add_u32_e32 v9, 32, v9
	v_ffbl_b32_e32 v60, v60
	v_min_u32_e32 v9, v60, v9
	ds_bpermute_b32 v60, v65, v6
	s_waitcnt lgkmcnt(1)
	v_and_b32_e32 v61, 1, v61
	v_cmp_eq_u32_e32 vcc, 1, v78
	v_cmp_lt_u32_e64 s[0:1], v64, v9
	v_subrev_u32_e32 v58, 64, v58
	v_cndmask_b32_e64 v61, v61, 1, vcc
	v_cmp_gt_u64_e32 vcc, s[64:65], v[6:7]
	v_and_b32_e32 v78, 0xffff, v61
	v_cndmask_b32_e64 v61, v7, v61, s[0:1]
	v_cndmask_b32_e64 v7, v7, v78, s[0:1]
	s_and_b64 vcc, s[0:1], vcc
	ds_bpermute_b32 v78, v66, v7
	s_waitcnt lgkmcnt(1)
	v_cndmask_b32_e32 v60, 0, v60, vcc
	v_add_u32_e32 v6, v60, v6
	ds_bpermute_b32 v60, v66, v6
	v_and_b32_e32 v79, 1, v61
	s_waitcnt lgkmcnt(1)
	v_and_b32_e32 v78, 1, v78
	v_cmp_eq_u32_e32 vcc, 1, v79
	s_nop 1
	v_cndmask_b32_e64 v78, v78, 1, vcc
	v_cmp_eq_u16_sdwa vcc, v61, v59 src0_sel:BYTE_0 src1_sel:DWORD
	v_and_b32_e32 v79, 0xffff, v78
	s_waitcnt lgkmcnt(0)
	v_cndmask_b32_e32 v60, 0, v60, vcc
	v_cmp_gt_u32_e32 vcc, v67, v9
	s_nop 1
	v_cndmask_b32_e32 v7, v79, v7, vcc
	v_cndmask_b32_e32 v61, v78, v61, vcc
	ds_bpermute_b32 v78, v68, v7
	v_cndmask_b32_e64 v60, v60, 0, vcc
	v_add_u32_e32 v6, v60, v6
	ds_bpermute_b32 v60, v68, v6
	v_and_b32_e32 v79, 1, v61
	s_waitcnt lgkmcnt(1)
	v_and_b32_e32 v78, 1, v78
	v_cmp_eq_u32_e32 vcc, 1, v79
	s_nop 1
	v_cndmask_b32_e64 v78, v78, 1, vcc
	v_cmp_eq_u16_sdwa vcc, v61, v59 src0_sel:BYTE_0 src1_sel:DWORD
	v_and_b32_e32 v79, 0xffff, v78
	s_waitcnt lgkmcnt(0)
	v_cndmask_b32_e32 v60, 0, v60, vcc
	v_cmp_gt_u32_e32 vcc, v69, v9
	s_nop 1
	v_cndmask_b32_e32 v7, v79, v7, vcc
	v_cndmask_b32_e32 v61, v78, v61, vcc
	ds_bpermute_b32 v78, v70, v7
	v_cndmask_b32_e64 v60, v60, 0, vcc
	v_add_u32_e32 v6, v60, v6
	ds_bpermute_b32 v60, v70, v6
	v_and_b32_e32 v79, 1, v61
	s_waitcnt lgkmcnt(1)
	v_and_b32_e32 v78, 1, v78
	v_cmp_eq_u32_e32 vcc, 1, v79
	s_nop 1
	v_cndmask_b32_e64 v78, v78, 1, vcc
	v_cmp_eq_u16_sdwa vcc, v61, v59 src0_sel:BYTE_0 src1_sel:DWORD
	v_and_b32_e32 v79, 0xffff, v78
	s_waitcnt lgkmcnt(0)
	v_cndmask_b32_e32 v60, 0, v60, vcc
	v_cmp_gt_u32_e32 vcc, v71, v9
	s_nop 1
	v_cndmask_b32_e32 v7, v79, v7, vcc
	v_cndmask_b32_e32 v61, v78, v61, vcc
	ds_bpermute_b32 v78, v72, v7
	v_cndmask_b32_e64 v60, v60, 0, vcc
	v_add_u32_e32 v6, v60, v6
	ds_bpermute_b32 v60, v72, v6
	v_and_b32_e32 v79, 1, v61
	s_waitcnt lgkmcnt(1)
	v_and_b32_e32 v78, 1, v78
	v_cmp_eq_u32_e32 vcc, 1, v79
	s_nop 1
	v_cndmask_b32_e64 v78, v78, 1, vcc
	v_cmp_eq_u16_sdwa vcc, v61, v59 src0_sel:BYTE_0 src1_sel:DWORD
	v_and_b32_e32 v79, 0xffff, v78
	s_waitcnt lgkmcnt(0)
	v_cndmask_b32_e32 v60, 0, v60, vcc
	v_cmp_gt_u32_e32 vcc, v74, v9
	s_nop 1
	v_cndmask_b32_e64 v60, v60, 0, vcc
	v_cndmask_b32_e32 v7, v79, v7, vcc
	ds_bpermute_b32 v7, v76, v7
	v_add_u32_e32 v6, v60, v6
	ds_bpermute_b32 v60, v76, v6
	v_cndmask_b32_e32 v61, v78, v61, vcc
	v_and_b32_e32 v78, 1, v61
	v_cmp_eq_u32_e32 vcc, 1, v78
	s_waitcnt lgkmcnt(1)
	s_nop 0
	v_cndmask_b32_e64 v7, v7, 1, vcc
	v_cmp_eq_u16_sdwa vcc, v61, v59 src0_sel:BYTE_0 src1_sel:DWORD
	s_waitcnt lgkmcnt(0)
	s_nop 0
	v_cndmask_b32_e32 v60, 0, v60, vcc
	v_cmp_gt_u32_e32 vcc, v77, v9
	s_nop 1
	v_cndmask_b32_e64 v9, v60, 0, vcc
	v_cndmask_b32_e32 v7, v7, v61, vcc
	v_add_u32_e32 v6, v9, v6
	v_cmp_eq_u16_sdwa vcc, v73, v59 src0_sel:BYTE_0 src1_sel:DWORD
	v_and_b32_e32 v9, 1, v73
	v_and_b32_e32 v7, 1, v7
	v_cndmask_b32_e32 v6, 0, v6, vcc
	v_cmp_eq_u32_e32 vcc, 1, v9
	v_add_u32_e32 v6, v6, v75
	s_nop 0
	v_cndmask_b32_e64 v7, v7, 1, vcc
.LBB211_163:                            ; =>This Loop Header: Depth=1
                                        ;     Child Loop BB211_166 Depth 2
                                        ;       Child Loop BB211_167 Depth 3
	v_cmp_ne_u16_sdwa s[0:1], v8, v3 src0_sel:BYTE_0 src1_sel:DWORD
	v_mov_b32_e32 v73, v7
	v_mov_b32_e32 v75, v6
	v_cndmask_b32_e64 v7, 0, 1, s[0:1]
	;;#ASMSTART
	;;#ASMEND
	s_nop 0
	v_cmp_ne_u32_e32 vcc, 0, v7
	s_cmp_lg_u64 vcc, exec
	s_cbranch_scc1 .LBB211_170
; %bb.164:                              ;   in Loop: Header=BB211_163 Depth=1
	v_lshl_add_u64 v[60:61], v[58:59], 4, s[72:73]
	;;#ASMSTART
	global_load_dwordx4 v[6:9], v[60:61] off sc1	
s_waitcnt vmcnt(0)
	;;#ASMEND
	s_nop 0
	v_and_b32_e32 v9, 0xff0000, v6
	v_and_b32_e32 v78, 0xff000000, v6
	v_and_b32_e32 v7, 0xff, v7
	v_or_b32_sdwa v6, v6, v9 dst_sel:DWORD dst_unused:UNUSED_PAD src0_sel:WORD_0 src1_sel:DWORD
	v_or3_b32 v7, 0, 0, v7
	v_or3_b32 v6, v6, v78, 0
	v_cmp_eq_u16_sdwa s[68:69], v8, v59 src0_sel:BYTE_0 src1_sel:DWORD
	s_and_saveexec_b64 s[0:1], s[68:69]
	s_cbranch_execz .LBB211_162
; %bb.165:                              ;   in Loop: Header=BB211_163 Depth=1
	s_mov_b32 s71, 1
	s_mov_b64 s[68:69], 0
.LBB211_166:                            ;   Parent Loop BB211_163 Depth=1
                                        ; =>  This Loop Header: Depth=2
                                        ;       Child Loop BB211_167 Depth 3
	s_max_u32 s78, s71, 1
.LBB211_167:                            ;   Parent Loop BB211_163 Depth=1
                                        ;     Parent Loop BB211_166 Depth=2
                                        ; =>    This Inner Loop Header: Depth=3
	s_add_i32 s78, s78, -1
	s_cmp_eq_u32 s78, 0
	s_sleep 1
	s_cbranch_scc0 .LBB211_167
; %bb.168:                              ;   in Loop: Header=BB211_166 Depth=2
	s_cmp_lt_u32 s71, 32
	s_cselect_b64 s[78:79], -1, 0
	s_cmp_lg_u64 s[78:79], 0
	s_addc_u32 s71, s71, 0
	;;#ASMSTART
	global_load_dwordx4 v[6:9], v[60:61] off sc1	
s_waitcnt vmcnt(0)
	;;#ASMEND
	s_nop 0
	v_cmp_ne_u16_sdwa s[78:79], v8, v59 src0_sel:BYTE_0 src1_sel:DWORD
	s_or_b64 s[68:69], s[78:79], s[68:69]
	s_andn2_b64 exec, exec, s[68:69]
	s_cbranch_execnz .LBB211_166
; %bb.169:                              ;   in Loop: Header=BB211_163 Depth=1
	s_or_b64 exec, exec, s[68:69]
	v_and_b32_e32 v7, 0xff, v7
	s_branch .LBB211_162
.LBB211_170:                            ;   in Loop: Header=BB211_163 Depth=1
                                        ; implicit-def: $vgpr7
                                        ; implicit-def: $vgpr6
                                        ; implicit-def: $vgpr8
	s_cbranch_execz .LBB211_163
; %bb.171:
	s_and_saveexec_b64 s[0:1], s[52:53]
	s_cbranch_execz .LBB211_173
; %bb.172:
	s_and_b32 s52, s70, 0xff
	s_cmp_eq_u32 s52, 0
	s_cselect_b64 vcc, -1, 0
	s_bitcmp1_b32 s70, 0
	s_mov_b32 s53, 0
	s_cselect_b64 s[64:65], -1, 0
	s_add_i32 s52, s75, 64
	s_lshl_b64 s[52:53], s[52:53], 4
	v_cndmask_b32_e32 v3, 0, v75, vcc
	s_add_u32 s52, s72, s52
	v_add_u32_e32 v2, v3, v2
	v_and_b32_e32 v3, 1, v73
	s_addc_u32 s53, s73, s53
	v_mov_b32_e32 v5, 0
	v_cndmask_b32_e64 v3, v3, 1, s[64:65]
	v_mov_b32_e32 v4, 2
	v_mov_b64_e32 v[6:7], s[52:53]
	;;#ASMSTART
	global_store_dwordx4 v[6:7], v[2:5] off sc1	
s_waitcnt vmcnt(0)
	;;#ASMEND
.LBB211_173:
	s_or_b64 exec, exec, s[0:1]
	s_and_b64 exec, exec, s[54:55]
	s_cbranch_execz .LBB211_175
; %bb.174:
	v_mov_b32_e32 v2, 0
	ds_write_b32 v2, v75
	ds_write_b8 v2, v73 offset:4
.LBB211_175:
	s_or_b64 exec, exec, s[60:61]
	s_mov_b32 s0, 0
	v_mov_b32_e32 v2, 0
	s_mov_b32 s1, 1
	s_waitcnt lgkmcnt(0)
	s_barrier
	ds_read_b32 v3, v2
	v_cmp_gt_u64_e32 vcc, s[0:1], v[10:11]
	v_and_b32_e32 v5, 1, v11
	v_and_b32_e32 v6, 1, v63
	v_cndmask_b32_e32 v4, 0, v62, vcc
	v_cmp_eq_u32_e32 vcc, 1, v5
	v_cndmask_b32_e64 v4, v4, 0, s[54:55]
	s_nop 0
	v_cndmask_b32_e64 v5, v6, 1, vcc
	v_cndmask_b32_e64 v5, v5, v11, s[54:55]
	v_cmp_eq_u16_sdwa vcc, v5, v2 src0_sel:BYTE_0 src1_sel:DWORD
	s_waitcnt lgkmcnt(0)
	s_nop 0
	v_cndmask_b32_e32 v2, 0, v3, vcc
	v_add3_u32 v80, v4, v10, v2
	v_cndmask_b32_e64 v2, 0, v80, s[6:7]
	v_add_u32_e32 v58, v2, v12
	v_cndmask_b32_e64 v2, 0, v58, s[8:9]
	v_add_u32_e32 v59, v2, v14
	;; [unrolled: 2-line block ×22, first 2 shown]
	s_branch .LBB211_196
.LBB211_176:
                                        ; implicit-def: $vgpr78
                                        ; implicit-def: $vgpr77
                                        ; implicit-def: $vgpr76
                                        ; implicit-def: $vgpr75
                                        ; implicit-def: $vgpr74
                                        ; implicit-def: $vgpr73
                                        ; implicit-def: $vgpr72
                                        ; implicit-def: $vgpr71
                                        ; implicit-def: $vgpr70
                                        ; implicit-def: $vgpr69
                                        ; implicit-def: $vgpr68
                                        ; implicit-def: $vgpr67
                                        ; implicit-def: $vgpr66
                                        ; implicit-def: $vgpr65
                                        ; implicit-def: $vgpr64
                                        ; implicit-def: $vgpr63
                                        ; implicit-def: $vgpr62
                                        ; implicit-def: $vgpr61
                                        ; implicit-def: $vgpr60
                                        ; implicit-def: $vgpr59
                                        ; implicit-def: $vgpr58
                                        ; implicit-def: $vgpr80
                                        ; implicit-def: $vgpr79
	s_cbranch_execz .LBB211_196
; %bb.177:
	s_cmp_lg_u64 s[76:77], 0
	s_cselect_b32 s9, s67, 0
	s_cselect_b32 s8, s66, 0
	s_cmp_lg_u64 s[8:9], 0
	s_cselect_b64 s[6:7], -1, 0
	s_mov_b32 s0, 0
	s_and_b64 s[10:11], s[54:55], s[6:7]
	s_and_saveexec_b64 s[6:7], s[10:11]
	s_cbranch_execz .LBB211_179
; %bb.178:
	v_mov_b32_e32 v2, 0
	global_load_dword v4, v2, s[8:9]
	global_load_ubyte v5, v2, s[8:9] offset:4
	s_mov_b32 s1, 1
	v_and_b32_e32 v3, 1, v11
	v_cmp_gt_u64_e32 vcc, s[0:1], v[10:11]
	s_waitcnt vmcnt(0)
	v_and_b32_e32 v5, 1, v5
	v_cndmask_b32_e32 v4, 0, v4, vcc
	v_cmp_eq_u64_e32 vcc, 0, v[2:3]
	v_add_u32_e32 v10, v4, v10
	s_nop 0
	v_cndmask_b32_e32 v11, 1, v5, vcc
.LBB211_179:
	s_or_b64 exec, exec, s[6:7]
	s_mov_b32 s1, 1
	v_cmp_gt_u64_e32 vcc, s[0:1], v[12:13]
	v_cmp_gt_u64_e64 s[6:7], s[0:1], v[14:15]
	v_cmp_gt_u64_e64 s[8:9], s[0:1], v[16:17]
	v_cndmask_b32_e32 v2, 0, v10, vcc
	v_add_u32_e32 v58, v2, v12
	v_cndmask_b32_e64 v2, 0, v58, s[6:7]
	v_add_u32_e32 v59, v2, v14
	v_cndmask_b32_e64 v2, 0, v59, s[8:9]
	v_add_u32_e32 v60, v2, v16
	v_cmp_gt_u64_e64 s[10:11], s[0:1], v[18:19]
	v_cmp_gt_u64_e64 s[12:13], s[0:1], v[20:21]
	v_cmp_gt_u64_e64 s[14:15], s[0:1], v[22:23]
	v_cndmask_b32_e64 v2, 0, v60, s[10:11]
	v_add_u32_e32 v61, v2, v18
	v_cndmask_b32_e64 v2, 0, v61, s[12:13]
	v_add_u32_e32 v62, v2, v20
	v_cndmask_b32_e64 v2, 0, v62, s[14:15]
	v_add_u32_e32 v63, v2, v22
	v_cmp_gt_u64_e64 s[16:17], s[0:1], v[24:25]
	v_cmp_gt_u64_e64 s[18:19], s[0:1], v[26:27]
	v_cmp_gt_u64_e64 s[20:21], s[0:1], v[28:29]
	v_cndmask_b32_e64 v2, 0, v63, s[16:17]
	v_add_u32_e32 v64, v2, v24
	v_cndmask_b32_e64 v2, 0, v64, s[18:19]
	v_add_u32_e32 v65, v2, v26
	v_cndmask_b32_e64 v2, 0, v65, s[20:21]
	v_add_u32_e32 v66, v2, v28
	v_cmp_gt_u64_e64 s[22:23], s[0:1], v[30:31]
	v_cmp_gt_u64_e64 s[24:25], s[0:1], v[32:33]
	v_cmp_gt_u64_e64 s[26:27], s[0:1], v[34:35]
	v_cndmask_b32_e64 v2, 0, v66, s[22:23]
	v_add_u32_e32 v67, v2, v30
	v_cndmask_b32_e64 v2, 0, v67, s[24:25]
	v_add_u32_e32 v68, v2, v32
	v_cndmask_b32_e64 v2, 0, v68, s[26:27]
	v_add_u32_e32 v69, v2, v34
	v_cmp_gt_u64_e64 s[28:29], s[0:1], v[36:37]
	v_cmp_gt_u64_e64 s[30:31], s[0:1], v[38:39]
	v_cmp_gt_u64_e64 s[34:35], s[0:1], v[40:41]
	v_cndmask_b32_e64 v2, 0, v69, s[28:29]
	v_add_u32_e32 v70, v2, v36
	v_cndmask_b32_e64 v2, 0, v70, s[30:31]
	v_add_u32_e32 v71, v2, v38
	v_cndmask_b32_e64 v2, 0, v71, s[34:35]
	v_add_u32_e32 v72, v2, v40
	v_cmp_gt_u64_e64 s[36:37], s[0:1], v[42:43]
	v_cmp_gt_u64_e64 s[38:39], s[0:1], v[44:45]
	v_cmp_gt_u64_e64 s[40:41], s[0:1], v[46:47]
	v_cndmask_b32_e64 v2, 0, v72, s[36:37]
	v_add_u32_e32 v73, v2, v42
	v_cndmask_b32_e64 v2, 0, v73, s[38:39]
	v_add_u32_e32 v74, v2, v44
	v_cndmask_b32_e64 v2, 0, v74, s[40:41]
	v_add_u32_e32 v75, v2, v46
	v_cmp_gt_u64_e64 s[42:43], s[0:1], v[48:49]
	v_cmp_gt_u64_e64 s[44:45], s[0:1], v[50:51]
	v_cmp_gt_u64_e64 s[46:47], s[0:1], v[52:53]
	v_cndmask_b32_e64 v2, 0, v75, s[42:43]
	v_add_u32_e32 v76, v2, v48
	v_cndmask_b32_e64 v2, 0, v76, s[44:45]
	v_add_u32_e32 v77, v2, v50
	v_cndmask_b32_e64 v2, 0, v77, s[46:47]
	v_add_u32_e32 v78, v2, v52
	v_cmp_gt_u64_e64 s[48:49], s[0:1], v[56:57]
	v_add_lshl_u32 v1, v1, v0, 3
	s_nop 0
	v_cndmask_b32_e64 v2, 0, v78, s[48:49]
	v_add_u32_e32 v79, v2, v56
	v_or3_b32 v2, v55, v51, v49
	v_or3_b32 v2, v2, v47, v45
	;; [unrolled: 1-line block ×10, first 2 shown]
	v_and_b32_e32 v2, 1, v2
	v_cmp_eq_u32_e64 s[0:1], 1, v2
	s_nop 1
	v_cndmask_b32_e64 v4, v11, 1, s[0:1]
	v_cmp_gt_u32_e64 s[0:1], 64, v0
	ds_write_b32 v1, v79
	ds_write_b8 v1, v4 offset:4
	s_waitcnt lgkmcnt(0)
	s_barrier
	s_and_saveexec_b64 s[50:51], s[0:1]
	s_cbranch_execz .LBB211_191
; %bb.180:
	v_lshrrev_b32_e32 v1, 3, v0
	v_add_lshl_u32 v1, v1, v54, 3
	ds_read2_b32 v[6:7], v1 offset0:2 offset1:4
	ds_read_b64 v[2:3], v1
	ds_read_u8 v8, v1 offset:12
	ds_read_u8 v9, v1 offset:20
	ds_read_b32 v13, v1 offset:24
	ds_read_u8 v15, v1 offset:28
	v_mov_b32_e32 v17, 0
	s_waitcnt lgkmcnt(3)
	v_cmp_eq_u16_sdwa s[0:1], v8, v17 src0_sel:BYTE_0 src1_sel:DWORD
	v_and_b32_e32 v5, 1, v3
	s_nop 0
	v_cndmask_b32_e64 v19, 0, v2, s[0:1]
	v_add_u32_e32 v6, v19, v6
	s_waitcnt lgkmcnt(2)
	v_cmp_eq_u16_sdwa s[0:1], v9, v17 src0_sel:BYTE_0 src1_sel:DWORD
	s_nop 1
	v_cndmask_b32_e64 v6, 0, v6, s[0:1]
	v_add_u32_e32 v6, v6, v7
	s_waitcnt lgkmcnt(0)
	v_cmp_eq_u16_e64 s[0:1], 0, v15
	s_nop 1
	v_cndmask_b32_e64 v6, 0, v6, s[0:1]
	v_add_u32_e32 v7, v6, v13
	v_or_b32_e32 v6, v15, v9
	v_or_b32_e32 v6, v6, v8
	v_and_b32_e32 v6, 1, v6
	v_cmp_eq_u32_e64 s[0:1], 1, v6
	v_mbcnt_lo_u32_b32 v8, -1, 0
	v_and_b32_e32 v6, 0xffffff00, v3
	v_cndmask_b32_e64 v9, v5, 1, s[0:1]
	v_mbcnt_hi_u32_b32 v8, -1, v8
	v_and_b32_e32 v15, 15, v8
	v_or_b32_sdwa v13, v6, v9 dst_sel:DWORD dst_unused:UNUSED_PAD src0_sel:DWORD src1_sel:WORD_0
	v_mov_b32_dpp v17, v7 row_shr:1 row_mask:0xf bank_mask:0xf
	v_cmp_ne_u32_e64 s[0:1], 0, v15
	v_mov_b32_dpp v19, v13 row_shr:1 row_mask:0xf bank_mask:0xf
	s_and_saveexec_b64 s[52:53], s[0:1]
; %bb.181:
	v_and_b32_e32 v13, 1, v9
	v_and_b32_e32 v19, 1, v19
	v_cmp_eq_u32_e64 s[0:1], 1, v13
	s_nop 1
	v_cndmask_b32_e64 v19, v19, 1, s[0:1]
	v_cmp_eq_u16_e64 s[0:1], 0, v9
	v_or_b32_sdwa v13, v6, v19 dst_sel:DWORD dst_unused:UNUSED_PAD src0_sel:DWORD src1_sel:WORD_0
	s_nop 0
	v_cndmask_b32_e64 v9, 0, v17, s[0:1]
	v_add_u32_e32 v7, v9, v7
	v_mov_b32_e32 v9, v19
; %bb.182:
	s_or_b64 exec, exec, s[52:53]
	v_mov_b32_dpp v17, v7 row_shr:2 row_mask:0xf bank_mask:0xf
	v_mov_b32_dpp v19, v13 row_shr:2 row_mask:0xf bank_mask:0xf
	v_cmp_lt_u32_e64 s[0:1], 1, v15
	s_and_saveexec_b64 s[52:53], s[0:1]
; %bb.183:
	v_and_b32_e32 v13, 1, v9
	v_and_b32_e32 v19, 1, v19
	v_cmp_eq_u32_e64 s[0:1], 1, v13
	s_nop 1
	v_cndmask_b32_e64 v19, v19, 1, s[0:1]
	v_cmp_eq_u16_e64 s[0:1], 0, v9
	v_or_b32_sdwa v13, v6, v19 dst_sel:DWORD dst_unused:UNUSED_PAD src0_sel:DWORD src1_sel:WORD_0
	s_nop 0
	v_cndmask_b32_e64 v9, 0, v17, s[0:1]
	v_add_u32_e32 v7, v9, v7
	v_mov_b32_e32 v9, v19
; %bb.184:
	s_or_b64 exec, exec, s[52:53]
	v_mov_b32_dpp v17, v7 row_shr:4 row_mask:0xf bank_mask:0xf
	v_mov_b32_dpp v19, v13 row_shr:4 row_mask:0xf bank_mask:0xf
	v_cmp_lt_u32_e64 s[0:1], 3, v15
	;; [unrolled: 18-line block ×3, first 2 shown]
	s_and_saveexec_b64 s[52:53], s[0:1]
; %bb.187:
	v_and_b32_e32 v13, 1, v9
	v_and_b32_e32 v15, 1, v19
	v_cmp_eq_u32_e64 s[0:1], 1, v13
	s_nop 1
	v_cndmask_b32_e64 v15, v15, 1, s[0:1]
	v_cmp_eq_u16_e64 s[0:1], 0, v9
	v_or_b32_sdwa v13, v6, v15 dst_sel:DWORD dst_unused:UNUSED_PAD src0_sel:DWORD src1_sel:WORD_0
	s_nop 0
	v_cndmask_b32_e64 v9, 0, v17, s[0:1]
	v_add_u32_e32 v7, v9, v7
	v_mov_b32_e32 v9, v15
; %bb.188:
	s_or_b64 exec, exec, s[52:53]
	v_and_b32_e32 v19, 16, v8
	v_mov_b32_dpp v15, v7 row_bcast:15 row_mask:0xf bank_mask:0xf
	v_mov_b32_dpp v17, v13 row_bcast:15 row_mask:0xf bank_mask:0xf
	v_cmp_ne_u32_e64 s[0:1], 0, v19
	s_and_saveexec_b64 s[52:53], s[0:1]
; %bb.189:
	v_and_b32_e32 v13, 1, v9
	v_and_b32_e32 v17, 1, v17
	v_cmp_eq_u32_e64 s[0:1], 1, v13
	s_nop 1
	v_cndmask_b32_e64 v17, v17, 1, s[0:1]
	v_cmp_eq_u16_e64 s[0:1], 0, v9
	v_or_b32_sdwa v13, v6, v17 dst_sel:DWORD dst_unused:UNUSED_PAD src0_sel:DWORD src1_sel:WORD_0
	s_nop 0
	v_cndmask_b32_e64 v9, 0, v15, s[0:1]
	v_add_u32_e32 v7, v9, v7
	v_mov_b32_e32 v9, v17
; %bb.190:
	s_or_b64 exec, exec, s[52:53]
	v_mov_b32_dpp v13, v13 row_bcast:31 row_mask:0xf bank_mask:0xf
	v_and_b32_e32 v17, 1, v9
	v_and_b32_e32 v13, 1, v13
	v_cmp_eq_u32_e64 s[0:1], 1, v17
	v_mov_b32_e32 v17, 0
	v_cmp_eq_u16_sdwa s[52:53], v9, v17 src0_sel:BYTE_0 src1_sel:DWORD
	v_cndmask_b32_e64 v13, v13, 1, s[0:1]
	v_cmp_lt_u32_e64 s[0:1], 31, v8
	v_mov_b32_dpp v15, v7 row_bcast:31 row_mask:0xf bank_mask:0xf
	s_movk_i32 s60, 0xff
	v_cndmask_b32_e64 v9, v9, v13, s[0:1]
	s_and_b64 s[0:1], s[0:1], s[52:53]
	v_cndmask_b32_e64 v13, 0, v15, s[0:1]
	v_add_u32_e32 v7, v13, v7
	v_add_u32_e32 v13, -1, v8
	v_and_b32_e32 v15, 64, v8
	v_cmp_lt_i32_e64 s[0:1], v13, v15
	v_and_or_b32 v6, v9, s60, v6
	s_nop 0
	v_cndmask_b32_e64 v8, v13, v8, s[0:1]
	v_lshlrev_b32_e32 v8, 2, v8
	ds_bpermute_b32 v7, v8, v7
	ds_bpermute_b32 v6, v8, v6
	v_cmp_eq_u16_sdwa s[0:1], v3, v17 src0_sel:BYTE_0 src1_sel:DWORD
	; wave barrier
	s_waitcnt lgkmcnt(1)
	s_nop 0
	v_cndmask_b32_e64 v3, 0, v7, s[0:1]
	v_add_u32_e32 v2, v3, v2
	s_waitcnt lgkmcnt(0)
	v_and_b32_e32 v3, 1, v6
	v_cmp_eq_u32_e64 s[0:1], 1, v5
	v_cndmask_b32_e64 v5, v2, v79, s[54:55]
	s_nop 0
	v_cndmask_b32_e64 v3, v3, 1, s[0:1]
	v_cndmask_b32_e64 v4, v3, v4, s[54:55]
	ds_write_b32 v1, v5
	ds_write_b8 v1, v4 offset:4
	; wave barrier
	ds_read_u8 v6, v1 offset:12
	ds_read2_b32 v[2:3], v1 offset0:2 offset1:4
	ds_read_u8 v7, v1 offset:20
	ds_read_b32 v8, v1 offset:24
	ds_read_u8 v9, v1 offset:28
	s_waitcnt lgkmcnt(4)
	v_cmp_eq_u16_e64 s[0:1], 0, v6
	s_nop 1
	v_cndmask_b32_e64 v5, 0, v5, s[0:1]
	s_waitcnt lgkmcnt(3)
	v_add_u32_e32 v2, v5, v2
	v_and_b32_e32 v5, 1, v6
	v_cmp_eq_u32_e64 s[0:1], 1, v5
	s_nop 1
	v_cndmask_b32_e64 v4, v4, 1, s[0:1]
	s_waitcnt lgkmcnt(2)
	v_cmp_eq_u16_e64 s[0:1], 0, v7
	ds_write_b8 v1, v4 offset:12
	s_nop 0
	v_cndmask_b32_e64 v5, 0, v2, s[0:1]
	v_add_u32_e32 v3, v5, v3
	v_and_b32_e32 v5, 1, v7
	v_cmp_eq_u32_e64 s[0:1], 1, v5
	s_nop 1
	v_cndmask_b32_e64 v4, v4, 1, s[0:1]
	s_waitcnt lgkmcnt(1)
	v_cmp_eq_u16_e64 s[0:1], 0, v9
	ds_write2_b32 v1, v2, v3 offset0:2 offset1:4
	ds_write_b8 v1, v4 offset:20
	v_cndmask_b32_e64 v2, 0, v3, s[0:1]
	v_and_b32_e32 v3, 1, v9
	v_add_u32_e32 v2, v2, v8
	v_cmp_eq_u32_e64 s[0:1], 1, v3
	s_nop 1
	v_cndmask_b32_e64 v3, v4, 1, s[0:1]
	ds_write_b32 v1, v2 offset:24
	ds_write_b8 v1, v3 offset:28
.LBB211_191:
	s_or_b64 exec, exec, s[50:51]
	v_mov_b32_e32 v1, v79
	s_waitcnt lgkmcnt(0)
	s_barrier
	s_and_saveexec_b64 s[0:1], s[4:5]
	s_cbranch_execnz .LBB211_269
; %bb.192:
	s_or_b64 exec, exec, s[0:1]
	s_and_saveexec_b64 s[50:51], s[4:5]
	s_cbranch_execnz .LBB211_270
.LBB211_193:
	s_or_b64 exec, exec, s[50:51]
	s_and_saveexec_b64 s[0:1], s[54:55]
	s_cbranch_execz .LBB211_195
.LBB211_194:
	v_mov_b32_e32 v5, 0
	ds_read_b32 v2, v5 offset:2096
	ds_read_u8 v3, v5 offset:2100
	s_add_u32 s4, s72, 0x400
	s_addc_u32 s5, s73, 0
	v_mov_b32_e32 v4, 2
	v_mov_b64_e32 v[6:7], s[4:5]
	s_waitcnt lgkmcnt(0)
	;;#ASMSTART
	global_store_dwordx4 v[6:7], v[2:5] off sc1	
s_waitcnt vmcnt(0)
	;;#ASMEND
.LBB211_195:
	s_or_b64 exec, exec, s[0:1]
	v_mov_b32_e32 v80, v10
.LBB211_196:
	s_add_u32 s0, s62, s58
	s_addc_u32 s1, s63, s59
	s_add_u32 s0, s0, s56
	s_addc_u32 s1, s1, s57
	s_and_b64 vcc, exec, s[2:3]
	s_cbranch_vccz .LBB211_242
; %bb.197:
	s_movk_i32 s2, 0x5c
	v_mul_i32_i24_e32 v26, 0xffffffa8, v0
	s_waitcnt lgkmcnt(0)
	v_mul_u32_u24_e32 v1, 0x5c, v0
	v_mad_u32_u24 v2, v0, s2, v26
	s_barrier
	ds_write2_b32 v1, v80, v58 offset1:1
	ds_write2_b32 v1, v59, v60 offset0:2 offset1:3
	ds_write2_b32 v1, v61, v62 offset0:4 offset1:5
	;; [unrolled: 1-line block ×10, first 2 shown]
	ds_write_b32 v1, v79 offset:88
	s_waitcnt lgkmcnt(0)
	s_barrier
	ds_read2st64_b32 v[24:25], v2 offset0:4 offset1:8
	ds_read2st64_b32 v[22:23], v2 offset0:12 offset1:16
	ds_read2st64_b32 v[20:21], v2 offset0:20 offset1:24
	ds_read2st64_b32 v[18:19], v2 offset0:28 offset1:32
	ds_read2st64_b32 v[16:17], v2 offset0:36 offset1:40
	ds_read2st64_b32 v[14:15], v2 offset0:44 offset1:48
	ds_read2st64_b32 v[12:13], v2 offset0:52 offset1:56
	ds_read2st64_b32 v[10:11], v2 offset0:60 offset1:64
	ds_read2st64_b32 v[8:9], v2 offset0:68 offset1:72
	ds_read2st64_b32 v[6:7], v2 offset0:76 offset1:80
	ds_read2st64_b32 v[2:3], v2 offset0:84 offset1:88
	s_add_i32 s33, s33, s74
	v_mov_b32_e32 v55, 0
	v_lshl_add_u64 v[4:5], s[0:1], 0, v[54:55]
	v_cmp_gt_u32_e32 vcc, s33, v0
	s_and_saveexec_b64 s[2:3], vcc
	s_cbranch_execz .LBB211_199
; %bb.198:
	v_add_u32_e32 v1, v1, v26
	ds_read_b32 v1, v1
	s_waitcnt lgkmcnt(0)
	flat_store_dword v[4:5], v1
.LBB211_199:
	s_or_b64 exec, exec, s[2:3]
	v_or_b32_e32 v1, 0x100, v0
	v_cmp_gt_u32_e32 vcc, s33, v1
	s_and_saveexec_b64 s[2:3], vcc
	s_cbranch_execz .LBB211_201
; %bb.200:
	s_waitcnt lgkmcnt(0)
	flat_store_dword v[4:5], v24 offset:1024
.LBB211_201:
	s_or_b64 exec, exec, s[2:3]
	v_or_b32_e32 v1, 0x200, v0
	v_cmp_gt_u32_e32 vcc, s33, v1
	s_and_saveexec_b64 s[2:3], vcc
	s_cbranch_execz .LBB211_203
; %bb.202:
	s_waitcnt lgkmcnt(0)
	flat_store_dword v[4:5], v25 offset:2048
.LBB211_203:
	;; [unrolled: 9-line block ×3, first 2 shown]
	s_or_b64 exec, exec, s[2:3]
	v_or_b32_e32 v1, 0x400, v0
	v_cmp_gt_u32_e32 vcc, s33, v1
	s_and_saveexec_b64 s[2:3], vcc
	s_cbranch_execz .LBB211_207
; %bb.206:
	s_waitcnt lgkmcnt(0)
	v_add_co_u32_e32 v24, vcc, 0x1000, v4
	s_nop 1
	v_addc_co_u32_e32 v25, vcc, 0, v5, vcc
	flat_store_dword v[24:25], v23
.LBB211_207:
	s_or_b64 exec, exec, s[2:3]
	v_or_b32_e32 v1, 0x500, v0
	v_cmp_gt_u32_e32 vcc, s33, v1
	s_and_saveexec_b64 s[2:3], vcc
	s_cbranch_execz .LBB211_209
; %bb.208:
	s_waitcnt lgkmcnt(0)
	v_add_co_u32_e32 v22, vcc, 0x1000, v4
	s_nop 1
	v_addc_co_u32_e32 v23, vcc, 0, v5, vcc
	flat_store_dword v[22:23], v20 offset:1024
.LBB211_209:
	s_or_b64 exec, exec, s[2:3]
	v_or_b32_e32 v1, 0x600, v0
	v_cmp_gt_u32_e32 vcc, s33, v1
	s_and_saveexec_b64 s[2:3], vcc
	s_cbranch_execz .LBB211_211
; %bb.210:
	s_waitcnt lgkmcnt(0)
	v_add_co_u32_e32 v22, vcc, 0x1000, v4
	s_nop 1
	v_addc_co_u32_e32 v23, vcc, 0, v5, vcc
	flat_store_dword v[22:23], v21 offset:2048
.LBB211_211:
	s_or_b64 exec, exec, s[2:3]
	v_or_b32_e32 v1, 0x700, v0
	v_cmp_gt_u32_e32 vcc, s33, v1
	s_and_saveexec_b64 s[2:3], vcc
	s_cbranch_execz .LBB211_213
; %bb.212:
	s_waitcnt lgkmcnt(0)
	v_add_co_u32_e32 v20, vcc, 0x1000, v4
	s_nop 1
	v_addc_co_u32_e32 v21, vcc, 0, v5, vcc
	flat_store_dword v[20:21], v18 offset:3072
.LBB211_213:
	s_or_b64 exec, exec, s[2:3]
	v_or_b32_e32 v1, 0x800, v0
	v_cmp_gt_u32_e32 vcc, s33, v1
	s_and_saveexec_b64 s[2:3], vcc
	s_cbranch_execz .LBB211_215
; %bb.214:
	s_waitcnt lgkmcnt(0)
	v_add_co_u32_e32 v20, vcc, 0x2000, v4
	s_nop 1
	v_addc_co_u32_e32 v21, vcc, 0, v5, vcc
	flat_store_dword v[20:21], v19
.LBB211_215:
	s_or_b64 exec, exec, s[2:3]
	v_or_b32_e32 v1, 0x900, v0
	v_cmp_gt_u32_e32 vcc, s33, v1
	s_and_saveexec_b64 s[2:3], vcc
	s_cbranch_execz .LBB211_217
; %bb.216:
	s_waitcnt lgkmcnt(0)
	v_add_co_u32_e32 v18, vcc, 0x2000, v4
	s_nop 1
	v_addc_co_u32_e32 v19, vcc, 0, v5, vcc
	flat_store_dword v[18:19], v16 offset:1024
.LBB211_217:
	s_or_b64 exec, exec, s[2:3]
	v_or_b32_e32 v1, 0xa00, v0
	v_cmp_gt_u32_e32 vcc, s33, v1
	s_and_saveexec_b64 s[2:3], vcc
	s_cbranch_execz .LBB211_219
; %bb.218:
	s_waitcnt lgkmcnt(0)
	v_add_co_u32_e32 v18, vcc, 0x2000, v4
	s_nop 1
	v_addc_co_u32_e32 v19, vcc, 0, v5, vcc
	flat_store_dword v[18:19], v17 offset:2048
.LBB211_219:
	s_or_b64 exec, exec, s[2:3]
	v_or_b32_e32 v1, 0xb00, v0
	v_cmp_gt_u32_e32 vcc, s33, v1
	s_and_saveexec_b64 s[2:3], vcc
	s_cbranch_execz .LBB211_221
; %bb.220:
	s_waitcnt lgkmcnt(0)
	v_add_co_u32_e32 v16, vcc, 0x2000, v4
	s_nop 1
	v_addc_co_u32_e32 v17, vcc, 0, v5, vcc
	flat_store_dword v[16:17], v14 offset:3072
.LBB211_221:
	;; [unrolled: 48-line block ×4, first 2 shown]
	s_or_b64 exec, exec, s[2:3]
	v_or_b32_e32 v1, 0x1400, v0
	v_cmp_gt_u32_e32 vcc, s33, v1
	s_and_saveexec_b64 s[2:3], vcc
	s_cbranch_execz .LBB211_239
; %bb.238:
	s_waitcnt lgkmcnt(0)
	v_add_co_u32_e32 v8, vcc, 0x5000, v4
	s_nop 1
	v_addc_co_u32_e32 v9, vcc, 0, v5, vcc
	flat_store_dword v[8:9], v7
.LBB211_239:
	s_or_b64 exec, exec, s[2:3]
	v_or_b32_e32 v1, 0x1500, v0
	v_cmp_gt_u32_e32 vcc, s33, v1
	s_and_saveexec_b64 s[2:3], vcc
	s_cbranch_execz .LBB211_241
; %bb.240:
	v_add_co_u32_e32 v4, vcc, 0x5000, v4
	s_nop 1
	v_addc_co_u32_e32 v5, vcc, 0, v5, vcc
	s_waitcnt lgkmcnt(0)
	flat_store_dword v[4:5], v2 offset:1024
.LBB211_241:
	s_or_b64 exec, exec, s[2:3]
	s_waitcnt lgkmcnt(0)
	v_or_b32_e32 v2, 0x1600, v0
	v_mov_b32_e32 v1, v55
	v_cmp_gt_u32_e64 s[2:3], s33, v2
	s_branch .LBB211_244
.LBB211_242:
	s_mov_b64 s[2:3], 0
                                        ; implicit-def: $vgpr3
	s_cbranch_execz .LBB211_244
; %bb.243:
	s_waitcnt lgkmcnt(0)
	v_mul_u32_u24_e32 v1, 0x5c, v0
	s_barrier
	s_movk_i32 s4, 0x5c
	ds_write2_b32 v1, v80, v58 offset1:1
	ds_write2_b32 v1, v59, v60 offset0:2 offset1:3
	ds_write2_b32 v1, v61, v62 offset0:4 offset1:5
	;; [unrolled: 1-line block ×10, first 2 shown]
	ds_write_b32 v1, v79 offset:88
	v_mov_b32_e32 v1, 0
	v_mul_i32_i24_e32 v2, 0xffffffa8, v0
	v_mad_u32_u24 v2, v0, s4, v2
	v_mov_b32_e32 v55, v1
	s_waitcnt lgkmcnt(0)
	s_barrier
	ds_read2st64_b32 v[4:5], v2 offset1:4
	ds_read2st64_b32 v[6:7], v2 offset0:8 offset1:12
	ds_read2st64_b32 v[8:9], v2 offset0:16 offset1:20
	ds_read2st64_b32 v[10:11], v2 offset0:24 offset1:28
	ds_read2st64_b32 v[12:13], v2 offset0:32 offset1:36
	ds_read2st64_b32 v[14:15], v2 offset0:40 offset1:44
	ds_read2st64_b32 v[16:17], v2 offset0:48 offset1:52
	ds_read2st64_b32 v[18:19], v2 offset0:56 offset1:60
	ds_read2st64_b32 v[20:21], v2 offset0:64 offset1:68
	ds_read2st64_b32 v[22:23], v2 offset0:72 offset1:76
	ds_read2st64_b32 v[24:25], v2 offset0:80 offset1:84
	ds_read_b32 v3, v2 offset:22528
	v_lshl_add_u64 v[26:27], s[0:1], 0, v[54:55]
	s_movk_i32 s4, 0x1000
	s_waitcnt lgkmcnt(0)
	flat_store_dword v[26:27], v4
	flat_store_dword v[26:27], v5 offset:1024
	flat_store_dword v[26:27], v6 offset:2048
	;; [unrolled: 1-line block ×3, first 2 shown]
	v_add_co_u32_e32 v4, vcc, s4, v26
	s_movk_i32 s4, 0x2000
	s_nop 0
	v_addc_co_u32_e32 v5, vcc, 0, v27, vcc
	flat_store_dword v[4:5], v8
	flat_store_dword v[4:5], v9 offset:1024
	flat_store_dword v[4:5], v10 offset:2048
	;; [unrolled: 1-line block ×3, first 2 shown]
	v_add_co_u32_e32 v4, vcc, s4, v26
	s_movk_i32 s4, 0x3000
	s_nop 0
	v_addc_co_u32_e32 v5, vcc, 0, v27, vcc
	flat_store_dword v[4:5], v12
	flat_store_dword v[4:5], v13 offset:1024
	flat_store_dword v[4:5], v14 offset:2048
	;; [unrolled: 1-line block ×3, first 2 shown]
	v_add_co_u32_e32 v4, vcc, s4, v26
	s_or_b64 s[2:3], s[2:3], exec
	s_nop 0
	v_addc_co_u32_e32 v5, vcc, 0, v27, vcc
	flat_store_dword v[4:5], v16
	flat_store_dword v[4:5], v17 offset:1024
	flat_store_dword v[4:5], v18 offset:2048
	;; [unrolled: 1-line block ×3, first 2 shown]
	v_add_co_u32_e32 v4, vcc, 0x4000, v26
	s_nop 1
	v_addc_co_u32_e32 v5, vcc, 0, v27, vcc
	flat_store_dword v[4:5], v20
	flat_store_dword v[4:5], v21 offset:1024
	flat_store_dword v[4:5], v22 offset:2048
	;; [unrolled: 1-line block ×3, first 2 shown]
	v_add_co_u32_e32 v4, vcc, 0x5000, v26
	s_nop 1
	v_addc_co_u32_e32 v5, vcc, 0, v27, vcc
	flat_store_dword v[4:5], v24
	flat_store_dword v[4:5], v25 offset:1024
.LBB211_244:
	s_and_saveexec_b64 s[4:5], s[2:3]
	s_cbranch_execnz .LBB211_246
; %bb.245:
	s_endpgm
.LBB211_246:
	s_waitcnt lgkmcnt(0)
	v_lshl_add_u64 v[0:1], v[0:1], 2, s[0:1]
	v_add_co_u32_e32 v0, vcc, 0x5000, v0
	s_nop 1
	v_addc_co_u32_e32 v1, vcc, 0, v1, vcc
	flat_store_dword v[0:1], v3 offset:2048
	s_endpgm
.LBB211_247:
	v_lshl_add_u64 v[30:31], s[60:61], 0, v[2:3]
	flat_load_dword v29, v[30:31]
	s_or_b64 exec, exec, s[0:1]
                                        ; implicit-def: $vgpr30
	s_and_saveexec_b64 s[0:1], s[8:9]
	s_cbranch_execz .LBB211_59
.LBB211_248:
	v_mov_b32_e32 v3, 0
	v_lshl_add_u64 v[30:31], s[60:61], 0, v[2:3]
	flat_load_dword v30, v[30:31] offset:1024
	s_or_b64 exec, exec, s[0:1]
                                        ; implicit-def: $vgpr31
	s_and_saveexec_b64 s[0:1], s[10:11]
	s_cbranch_execz .LBB211_60
.LBB211_249:
	v_mov_b32_e32 v3, 0
	v_lshl_add_u64 v[32:33], s[60:61], 0, v[2:3]
	flat_load_dword v31, v[32:33] offset:2048
	s_or_b64 exec, exec, s[0:1]
                                        ; implicit-def: $vgpr3
	s_and_saveexec_b64 s[0:1], s[12:13]
	s_cbranch_execz .LBB211_61
.LBB211_250:
	v_mov_b32_e32 v3, 0
	v_lshl_add_u64 v[32:33], s[60:61], 0, v[2:3]
	flat_load_dword v3, v[32:33] offset:3072
	s_or_b64 exec, exec, s[0:1]
                                        ; implicit-def: $vgpr32
	s_and_saveexec_b64 s[0:1], s[14:15]
	s_cbranch_execz .LBB211_62
.LBB211_251:
	v_lshlrev_b32_e32 v32, 2, v10
	v_mov_b32_e32 v33, 0
	v_lshl_add_u64 v[32:33], s[60:61], 0, v[32:33]
	flat_load_dword v32, v[32:33]
	s_or_b64 exec, exec, s[0:1]
                                        ; implicit-def: $vgpr10
	s_and_saveexec_b64 s[0:1], s[16:17]
	s_cbranch_execz .LBB211_63
.LBB211_252:
	v_lshlrev_b32_e32 v10, 2, v11
	v_mov_b32_e32 v11, 0
	v_lshl_add_u64 v[10:11], s[60:61], 0, v[10:11]
	flat_load_dword v10, v[10:11]
	s_or_b64 exec, exec, s[0:1]
                                        ; implicit-def: $vgpr11
	s_and_saveexec_b64 s[0:1], s[18:19]
	s_cbranch_execz .LBB211_64
.LBB211_253:
	v_lshlrev_b32_e32 v34, 2, v12
	v_mov_b32_e32 v35, 0
	v_lshl_add_u64 v[34:35], s[60:61], 0, v[34:35]
	flat_load_dword v11, v[34:35]
	s_or_b64 exec, exec, s[0:1]
                                        ; implicit-def: $vgpr12
	s_and_saveexec_b64 s[0:1], s[20:21]
	s_cbranch_execz .LBB211_65
.LBB211_254:
	v_lshlrev_b32_e32 v12, 2, v13
	v_mov_b32_e32 v13, 0
	v_lshl_add_u64 v[12:13], s[60:61], 0, v[12:13]
	flat_load_dword v12, v[12:13]
	s_or_b64 exec, exec, s[0:1]
                                        ; implicit-def: $vgpr13
	s_and_saveexec_b64 s[0:1], s[22:23]
	s_cbranch_execz .LBB211_66
.LBB211_255:
	v_lshlrev_b32_e32 v34, 2, v14
	v_mov_b32_e32 v35, 0
	v_lshl_add_u64 v[34:35], s[60:61], 0, v[34:35]
	flat_load_dword v13, v[34:35]
	s_or_b64 exec, exec, s[0:1]
                                        ; implicit-def: $vgpr14
	s_and_saveexec_b64 s[0:1], s[24:25]
	s_cbranch_execz .LBB211_67
.LBB211_256:
	v_lshlrev_b32_e32 v14, 2, v15
	v_mov_b32_e32 v15, 0
	v_lshl_add_u64 v[14:15], s[60:61], 0, v[14:15]
	flat_load_dword v14, v[14:15]
	s_or_b64 exec, exec, s[0:1]
                                        ; implicit-def: $vgpr15
	s_and_saveexec_b64 s[0:1], s[26:27]
	s_cbranch_execz .LBB211_68
.LBB211_257:
	v_lshlrev_b32_e32 v34, 2, v16
	v_mov_b32_e32 v35, 0
	v_lshl_add_u64 v[34:35], s[60:61], 0, v[34:35]
	flat_load_dword v15, v[34:35]
	s_or_b64 exec, exec, s[0:1]
                                        ; implicit-def: $vgpr16
	s_and_saveexec_b64 s[0:1], s[28:29]
	s_cbranch_execz .LBB211_69
.LBB211_258:
	v_lshlrev_b32_e32 v16, 2, v17
	v_mov_b32_e32 v17, 0
	v_lshl_add_u64 v[16:17], s[60:61], 0, v[16:17]
	flat_load_dword v16, v[16:17]
	s_or_b64 exec, exec, s[0:1]
                                        ; implicit-def: $vgpr17
	s_and_saveexec_b64 s[0:1], s[30:31]
	s_cbranch_execz .LBB211_70
.LBB211_259:
	v_lshlrev_b32_e32 v34, 2, v18
	v_mov_b32_e32 v35, 0
	v_lshl_add_u64 v[34:35], s[60:61], 0, v[34:35]
	flat_load_dword v17, v[34:35]
	s_or_b64 exec, exec, s[0:1]
                                        ; implicit-def: $vgpr18
	s_and_saveexec_b64 s[0:1], s[34:35]
	s_cbranch_execz .LBB211_71
.LBB211_260:
	v_lshlrev_b32_e32 v18, 2, v19
	v_mov_b32_e32 v19, 0
	v_lshl_add_u64 v[18:19], s[60:61], 0, v[18:19]
	flat_load_dword v18, v[18:19]
	s_or_b64 exec, exec, s[0:1]
                                        ; implicit-def: $vgpr19
	s_and_saveexec_b64 s[0:1], s[36:37]
	s_cbranch_execz .LBB211_72
.LBB211_261:
	v_lshlrev_b32_e32 v34, 2, v20
	v_mov_b32_e32 v35, 0
	v_lshl_add_u64 v[34:35], s[60:61], 0, v[34:35]
	flat_load_dword v19, v[34:35]
	s_or_b64 exec, exec, s[0:1]
                                        ; implicit-def: $vgpr20
	s_and_saveexec_b64 s[0:1], s[38:39]
	s_cbranch_execz .LBB211_73
.LBB211_262:
	v_lshlrev_b32_e32 v20, 2, v21
	v_mov_b32_e32 v21, 0
	v_lshl_add_u64 v[20:21], s[60:61], 0, v[20:21]
	flat_load_dword v20, v[20:21]
	s_or_b64 exec, exec, s[0:1]
                                        ; implicit-def: $vgpr21
	s_and_saveexec_b64 s[0:1], s[40:41]
	s_cbranch_execz .LBB211_74
.LBB211_263:
	v_lshlrev_b32_e32 v34, 2, v22
	v_mov_b32_e32 v35, 0
	v_lshl_add_u64 v[34:35], s[60:61], 0, v[34:35]
	flat_load_dword v21, v[34:35]
	s_or_b64 exec, exec, s[0:1]
                                        ; implicit-def: $vgpr22
	s_and_saveexec_b64 s[0:1], s[42:43]
	s_cbranch_execz .LBB211_75
.LBB211_264:
	v_lshlrev_b32_e32 v22, 2, v23
	v_mov_b32_e32 v23, 0
	v_lshl_add_u64 v[22:23], s[60:61], 0, v[22:23]
	flat_load_dword v22, v[22:23]
	s_or_b64 exec, exec, s[0:1]
                                        ; implicit-def: $vgpr23
	s_and_saveexec_b64 s[0:1], s[44:45]
	s_cbranch_execz .LBB211_76
.LBB211_265:
	v_lshlrev_b32_e32 v34, 2, v24
	v_mov_b32_e32 v35, 0
	v_lshl_add_u64 v[34:35], s[60:61], 0, v[34:35]
	flat_load_dword v23, v[34:35]
	s_or_b64 exec, exec, s[0:1]
                                        ; implicit-def: $vgpr24
	s_and_saveexec_b64 s[0:1], s[46:47]
	s_cbranch_execz .LBB211_77
.LBB211_266:
	v_lshlrev_b32_e32 v24, 2, v25
	v_mov_b32_e32 v25, 0
	v_lshl_add_u64 v[24:25], s[60:61], 0, v[24:25]
	flat_load_dword v24, v[24:25]
	s_or_b64 exec, exec, s[0:1]
                                        ; implicit-def: $vgpr25
	s_and_saveexec_b64 s[0:1], s[48:49]
	s_cbranch_execz .LBB211_78
.LBB211_267:
	v_lshlrev_b32_e32 v34, 2, v26
	v_mov_b32_e32 v35, 0
	v_lshl_add_u64 v[34:35], s[60:61], 0, v[34:35]
	flat_load_dword v25, v[34:35]
	s_or_b64 exec, exec, s[0:1]
                                        ; implicit-def: $vgpr26
	s_and_saveexec_b64 s[0:1], s[50:51]
	s_cbranch_execz .LBB211_79
.LBB211_268:
	v_lshlrev_b32_e32 v26, 2, v27
	v_mov_b32_e32 v27, 0
	v_lshl_add_u64 v[26:27], s[60:61], 0, v[26:27]
	flat_load_dword v26, v[26:27]
	s_or_b64 exec, exec, s[0:1]
                                        ; implicit-def: $vgpr27
	s_and_saveexec_b64 s[0:1], s[52:53]
	s_cbranch_execnz .LBB211_80
	s_branch .LBB211_81
.LBB211_269:
	v_add_u32_e32 v1, -1, v0
	v_lshrrev_b32_e32 v2, 5, v1
	v_add_lshl_u32 v1, v2, v1, 3
	ds_read_b32 v1, v1
	s_or_b64 exec, exec, s[0:1]
	s_and_saveexec_b64 s[50:51], s[4:5]
	s_cbranch_execz .LBB211_193
.LBB211_270:
	v_and_b32_e32 v3, 0xff, v11
	v_mov_b32_e32 v2, 0
	v_cmp_eq_u64_e64 s[0:1], 0, v[2:3]
	;;#ASMSTART
	;;#ASMEND
	s_waitcnt lgkmcnt(0)
	s_nop 0
	v_cndmask_b32_e64 v1, 0, v1, s[0:1]
	v_add_u32_e32 v10, v1, v10
	v_cndmask_b32_e32 v1, 0, v10, vcc
	v_add_u32_e32 v58, v1, v12
	v_cndmask_b32_e64 v1, 0, v58, s[6:7]
	v_add_u32_e32 v59, v1, v14
	v_cndmask_b32_e64 v1, 0, v59, s[8:9]
	v_add_u32_e32 v60, v1, v16
	v_cndmask_b32_e64 v1, 0, v60, s[10:11]
	v_add_u32_e32 v61, v1, v18
	v_cndmask_b32_e64 v1, 0, v61, s[12:13]
	v_add_u32_e32 v62, v1, v20
	v_cndmask_b32_e64 v1, 0, v62, s[14:15]
	v_add_u32_e32 v63, v1, v22
	v_cndmask_b32_e64 v1, 0, v63, s[16:17]
	v_add_u32_e32 v64, v1, v24
	v_cndmask_b32_e64 v1, 0, v64, s[18:19]
	v_add_u32_e32 v65, v1, v26
	v_cndmask_b32_e64 v1, 0, v65, s[20:21]
	v_add_u32_e32 v66, v1, v28
	v_cndmask_b32_e64 v1, 0, v66, s[22:23]
	v_add_u32_e32 v67, v1, v30
	v_cndmask_b32_e64 v1, 0, v67, s[24:25]
	v_add_u32_e32 v68, v1, v32
	v_cndmask_b32_e64 v1, 0, v68, s[26:27]
	v_add_u32_e32 v69, v1, v34
	v_cndmask_b32_e64 v1, 0, v69, s[28:29]
	v_add_u32_e32 v70, v1, v36
	v_cndmask_b32_e64 v1, 0, v70, s[30:31]
	v_add_u32_e32 v71, v1, v38
	v_cndmask_b32_e64 v1, 0, v71, s[34:35]
	v_add_u32_e32 v72, v1, v40
	v_cndmask_b32_e64 v1, 0, v72, s[36:37]
	v_add_u32_e32 v73, v1, v42
	v_cndmask_b32_e64 v1, 0, v73, s[38:39]
	v_add_u32_e32 v74, v1, v44
	v_cndmask_b32_e64 v1, 0, v74, s[40:41]
	v_add_u32_e32 v75, v1, v46
	v_cndmask_b32_e64 v1, 0, v75, s[42:43]
	v_add_u32_e32 v76, v1, v48
	v_cndmask_b32_e64 v1, 0, v76, s[44:45]
	v_add_u32_e32 v77, v1, v50
	v_cndmask_b32_e64 v1, 0, v77, s[46:47]
	v_add_u32_e32 v78, v1, v52
	v_cndmask_b32_e64 v1, 0, v78, s[48:49]
	v_add_u32_e32 v79, v1, v56
	s_or_b64 exec, exec, s[50:51]
	s_and_saveexec_b64 s[0:1], s[54:55]
	s_cbranch_execnz .LBB211_194
	s_branch .LBB211_195
.LBB211_271:
                                        ; implicit-def: $sgpr0_sgpr1
	s_branch .LBB211_54
.LBB211_272:
                                        ; implicit-def: $sgpr0_sgpr1
	s_branch .LBB211_130
	.section	.rodata,"a",@progbits
	.p2align	6, 0x0
	.amdhsa_kernel _ZN7rocprim17ROCPRIM_400000_NS6detail17trampoline_kernelINS0_14default_configENS1_27scan_by_key_config_selectorIiiEEZZNS1_16scan_by_key_implILNS1_25lookback_scan_determinismE0ELb0ES3_N6thrust23THRUST_200600_302600_NS6detail15normal_iteratorINS9_10device_ptrIiEEEESE_SE_iNS9_4plusIvEENS9_8equal_toIiEEiEE10hipError_tPvRmT2_T3_T4_T5_mT6_T7_P12ihipStream_tbENKUlT_T0_E_clISt17integral_constantIbLb1EESZ_EEDaSU_SV_EUlSU_E_NS1_11comp_targetILNS1_3genE5ELNS1_11target_archE942ELNS1_3gpuE9ELNS1_3repE0EEENS1_30default_config_static_selectorELNS0_4arch9wavefront6targetE1EEEvT1_
		.amdhsa_group_segment_fixed_size 25600
		.amdhsa_private_segment_fixed_size 0
		.amdhsa_kernarg_size 112
		.amdhsa_user_sgpr_count 2
		.amdhsa_user_sgpr_dispatch_ptr 0
		.amdhsa_user_sgpr_queue_ptr 0
		.amdhsa_user_sgpr_kernarg_segment_ptr 1
		.amdhsa_user_sgpr_dispatch_id 0
		.amdhsa_user_sgpr_kernarg_preload_length 0
		.amdhsa_user_sgpr_kernarg_preload_offset 0
		.amdhsa_user_sgpr_private_segment_size 0
		.amdhsa_uses_dynamic_stack 0
		.amdhsa_enable_private_segment 0
		.amdhsa_system_sgpr_workgroup_id_x 1
		.amdhsa_system_sgpr_workgroup_id_y 0
		.amdhsa_system_sgpr_workgroup_id_z 0
		.amdhsa_system_sgpr_workgroup_info 0
		.amdhsa_system_vgpr_workitem_id 0
		.amdhsa_next_free_vgpr 81
		.amdhsa_next_free_sgpr 85
		.amdhsa_accum_offset 84
		.amdhsa_reserve_vcc 1
		.amdhsa_float_round_mode_32 0
		.amdhsa_float_round_mode_16_64 0
		.amdhsa_float_denorm_mode_32 3
		.amdhsa_float_denorm_mode_16_64 3
		.amdhsa_dx10_clamp 1
		.amdhsa_ieee_mode 1
		.amdhsa_fp16_overflow 0
		.amdhsa_tg_split 0
		.amdhsa_exception_fp_ieee_invalid_op 0
		.amdhsa_exception_fp_denorm_src 0
		.amdhsa_exception_fp_ieee_div_zero 0
		.amdhsa_exception_fp_ieee_overflow 0
		.amdhsa_exception_fp_ieee_underflow 0
		.amdhsa_exception_fp_ieee_inexact 0
		.amdhsa_exception_int_div_zero 0
	.end_amdhsa_kernel
	.section	.text._ZN7rocprim17ROCPRIM_400000_NS6detail17trampoline_kernelINS0_14default_configENS1_27scan_by_key_config_selectorIiiEEZZNS1_16scan_by_key_implILNS1_25lookback_scan_determinismE0ELb0ES3_N6thrust23THRUST_200600_302600_NS6detail15normal_iteratorINS9_10device_ptrIiEEEESE_SE_iNS9_4plusIvEENS9_8equal_toIiEEiEE10hipError_tPvRmT2_T3_T4_T5_mT6_T7_P12ihipStream_tbENKUlT_T0_E_clISt17integral_constantIbLb1EESZ_EEDaSU_SV_EUlSU_E_NS1_11comp_targetILNS1_3genE5ELNS1_11target_archE942ELNS1_3gpuE9ELNS1_3repE0EEENS1_30default_config_static_selectorELNS0_4arch9wavefront6targetE1EEEvT1_,"axG",@progbits,_ZN7rocprim17ROCPRIM_400000_NS6detail17trampoline_kernelINS0_14default_configENS1_27scan_by_key_config_selectorIiiEEZZNS1_16scan_by_key_implILNS1_25lookback_scan_determinismE0ELb0ES3_N6thrust23THRUST_200600_302600_NS6detail15normal_iteratorINS9_10device_ptrIiEEEESE_SE_iNS9_4plusIvEENS9_8equal_toIiEEiEE10hipError_tPvRmT2_T3_T4_T5_mT6_T7_P12ihipStream_tbENKUlT_T0_E_clISt17integral_constantIbLb1EESZ_EEDaSU_SV_EUlSU_E_NS1_11comp_targetILNS1_3genE5ELNS1_11target_archE942ELNS1_3gpuE9ELNS1_3repE0EEENS1_30default_config_static_selectorELNS0_4arch9wavefront6targetE1EEEvT1_,comdat
.Lfunc_end211:
	.size	_ZN7rocprim17ROCPRIM_400000_NS6detail17trampoline_kernelINS0_14default_configENS1_27scan_by_key_config_selectorIiiEEZZNS1_16scan_by_key_implILNS1_25lookback_scan_determinismE0ELb0ES3_N6thrust23THRUST_200600_302600_NS6detail15normal_iteratorINS9_10device_ptrIiEEEESE_SE_iNS9_4plusIvEENS9_8equal_toIiEEiEE10hipError_tPvRmT2_T3_T4_T5_mT6_T7_P12ihipStream_tbENKUlT_T0_E_clISt17integral_constantIbLb1EESZ_EEDaSU_SV_EUlSU_E_NS1_11comp_targetILNS1_3genE5ELNS1_11target_archE942ELNS1_3gpuE9ELNS1_3repE0EEENS1_30default_config_static_selectorELNS0_4arch9wavefront6targetE1EEEvT1_, .Lfunc_end211-_ZN7rocprim17ROCPRIM_400000_NS6detail17trampoline_kernelINS0_14default_configENS1_27scan_by_key_config_selectorIiiEEZZNS1_16scan_by_key_implILNS1_25lookback_scan_determinismE0ELb0ES3_N6thrust23THRUST_200600_302600_NS6detail15normal_iteratorINS9_10device_ptrIiEEEESE_SE_iNS9_4plusIvEENS9_8equal_toIiEEiEE10hipError_tPvRmT2_T3_T4_T5_mT6_T7_P12ihipStream_tbENKUlT_T0_E_clISt17integral_constantIbLb1EESZ_EEDaSU_SV_EUlSU_E_NS1_11comp_targetILNS1_3genE5ELNS1_11target_archE942ELNS1_3gpuE9ELNS1_3repE0EEENS1_30default_config_static_selectorELNS0_4arch9wavefront6targetE1EEEvT1_
                                        ; -- End function
	.section	.AMDGPU.csdata,"",@progbits
; Kernel info:
; codeLenInByte = 15672
; NumSgprs: 91
; NumVgprs: 81
; NumAgprs: 0
; TotalNumVgprs: 81
; ScratchSize: 0
; MemoryBound: 0
; FloatMode: 240
; IeeeMode: 1
; LDSByteSize: 25600 bytes/workgroup (compile time only)
; SGPRBlocks: 11
; VGPRBlocks: 10
; NumSGPRsForWavesPerEU: 91
; NumVGPRsForWavesPerEU: 81
; AccumOffset: 84
; Occupancy: 2
; WaveLimiterHint : 1
; COMPUTE_PGM_RSRC2:SCRATCH_EN: 0
; COMPUTE_PGM_RSRC2:USER_SGPR: 2
; COMPUTE_PGM_RSRC2:TRAP_HANDLER: 0
; COMPUTE_PGM_RSRC2:TGID_X_EN: 1
; COMPUTE_PGM_RSRC2:TGID_Y_EN: 0
; COMPUTE_PGM_RSRC2:TGID_Z_EN: 0
; COMPUTE_PGM_RSRC2:TIDIG_COMP_CNT: 0
; COMPUTE_PGM_RSRC3_GFX90A:ACCUM_OFFSET: 20
; COMPUTE_PGM_RSRC3_GFX90A:TG_SPLIT: 0
	.section	.text._ZN7rocprim17ROCPRIM_400000_NS6detail17trampoline_kernelINS0_14default_configENS1_27scan_by_key_config_selectorIiiEEZZNS1_16scan_by_key_implILNS1_25lookback_scan_determinismE0ELb0ES3_N6thrust23THRUST_200600_302600_NS6detail15normal_iteratorINS9_10device_ptrIiEEEESE_SE_iNS9_4plusIvEENS9_8equal_toIiEEiEE10hipError_tPvRmT2_T3_T4_T5_mT6_T7_P12ihipStream_tbENKUlT_T0_E_clISt17integral_constantIbLb1EESZ_EEDaSU_SV_EUlSU_E_NS1_11comp_targetILNS1_3genE4ELNS1_11target_archE910ELNS1_3gpuE8ELNS1_3repE0EEENS1_30default_config_static_selectorELNS0_4arch9wavefront6targetE1EEEvT1_,"axG",@progbits,_ZN7rocprim17ROCPRIM_400000_NS6detail17trampoline_kernelINS0_14default_configENS1_27scan_by_key_config_selectorIiiEEZZNS1_16scan_by_key_implILNS1_25lookback_scan_determinismE0ELb0ES3_N6thrust23THRUST_200600_302600_NS6detail15normal_iteratorINS9_10device_ptrIiEEEESE_SE_iNS9_4plusIvEENS9_8equal_toIiEEiEE10hipError_tPvRmT2_T3_T4_T5_mT6_T7_P12ihipStream_tbENKUlT_T0_E_clISt17integral_constantIbLb1EESZ_EEDaSU_SV_EUlSU_E_NS1_11comp_targetILNS1_3genE4ELNS1_11target_archE910ELNS1_3gpuE8ELNS1_3repE0EEENS1_30default_config_static_selectorELNS0_4arch9wavefront6targetE1EEEvT1_,comdat
	.protected	_ZN7rocprim17ROCPRIM_400000_NS6detail17trampoline_kernelINS0_14default_configENS1_27scan_by_key_config_selectorIiiEEZZNS1_16scan_by_key_implILNS1_25lookback_scan_determinismE0ELb0ES3_N6thrust23THRUST_200600_302600_NS6detail15normal_iteratorINS9_10device_ptrIiEEEESE_SE_iNS9_4plusIvEENS9_8equal_toIiEEiEE10hipError_tPvRmT2_T3_T4_T5_mT6_T7_P12ihipStream_tbENKUlT_T0_E_clISt17integral_constantIbLb1EESZ_EEDaSU_SV_EUlSU_E_NS1_11comp_targetILNS1_3genE4ELNS1_11target_archE910ELNS1_3gpuE8ELNS1_3repE0EEENS1_30default_config_static_selectorELNS0_4arch9wavefront6targetE1EEEvT1_ ; -- Begin function _ZN7rocprim17ROCPRIM_400000_NS6detail17trampoline_kernelINS0_14default_configENS1_27scan_by_key_config_selectorIiiEEZZNS1_16scan_by_key_implILNS1_25lookback_scan_determinismE0ELb0ES3_N6thrust23THRUST_200600_302600_NS6detail15normal_iteratorINS9_10device_ptrIiEEEESE_SE_iNS9_4plusIvEENS9_8equal_toIiEEiEE10hipError_tPvRmT2_T3_T4_T5_mT6_T7_P12ihipStream_tbENKUlT_T0_E_clISt17integral_constantIbLb1EESZ_EEDaSU_SV_EUlSU_E_NS1_11comp_targetILNS1_3genE4ELNS1_11target_archE910ELNS1_3gpuE8ELNS1_3repE0EEENS1_30default_config_static_selectorELNS0_4arch9wavefront6targetE1EEEvT1_
	.globl	_ZN7rocprim17ROCPRIM_400000_NS6detail17trampoline_kernelINS0_14default_configENS1_27scan_by_key_config_selectorIiiEEZZNS1_16scan_by_key_implILNS1_25lookback_scan_determinismE0ELb0ES3_N6thrust23THRUST_200600_302600_NS6detail15normal_iteratorINS9_10device_ptrIiEEEESE_SE_iNS9_4plusIvEENS9_8equal_toIiEEiEE10hipError_tPvRmT2_T3_T4_T5_mT6_T7_P12ihipStream_tbENKUlT_T0_E_clISt17integral_constantIbLb1EESZ_EEDaSU_SV_EUlSU_E_NS1_11comp_targetILNS1_3genE4ELNS1_11target_archE910ELNS1_3gpuE8ELNS1_3repE0EEENS1_30default_config_static_selectorELNS0_4arch9wavefront6targetE1EEEvT1_
	.p2align	8
	.type	_ZN7rocprim17ROCPRIM_400000_NS6detail17trampoline_kernelINS0_14default_configENS1_27scan_by_key_config_selectorIiiEEZZNS1_16scan_by_key_implILNS1_25lookback_scan_determinismE0ELb0ES3_N6thrust23THRUST_200600_302600_NS6detail15normal_iteratorINS9_10device_ptrIiEEEESE_SE_iNS9_4plusIvEENS9_8equal_toIiEEiEE10hipError_tPvRmT2_T3_T4_T5_mT6_T7_P12ihipStream_tbENKUlT_T0_E_clISt17integral_constantIbLb1EESZ_EEDaSU_SV_EUlSU_E_NS1_11comp_targetILNS1_3genE4ELNS1_11target_archE910ELNS1_3gpuE8ELNS1_3repE0EEENS1_30default_config_static_selectorELNS0_4arch9wavefront6targetE1EEEvT1_,@function
_ZN7rocprim17ROCPRIM_400000_NS6detail17trampoline_kernelINS0_14default_configENS1_27scan_by_key_config_selectorIiiEEZZNS1_16scan_by_key_implILNS1_25lookback_scan_determinismE0ELb0ES3_N6thrust23THRUST_200600_302600_NS6detail15normal_iteratorINS9_10device_ptrIiEEEESE_SE_iNS9_4plusIvEENS9_8equal_toIiEEiEE10hipError_tPvRmT2_T3_T4_T5_mT6_T7_P12ihipStream_tbENKUlT_T0_E_clISt17integral_constantIbLb1EESZ_EEDaSU_SV_EUlSU_E_NS1_11comp_targetILNS1_3genE4ELNS1_11target_archE910ELNS1_3gpuE8ELNS1_3repE0EEENS1_30default_config_static_selectorELNS0_4arch9wavefront6targetE1EEEvT1_: ; @_ZN7rocprim17ROCPRIM_400000_NS6detail17trampoline_kernelINS0_14default_configENS1_27scan_by_key_config_selectorIiiEEZZNS1_16scan_by_key_implILNS1_25lookback_scan_determinismE0ELb0ES3_N6thrust23THRUST_200600_302600_NS6detail15normal_iteratorINS9_10device_ptrIiEEEESE_SE_iNS9_4plusIvEENS9_8equal_toIiEEiEE10hipError_tPvRmT2_T3_T4_T5_mT6_T7_P12ihipStream_tbENKUlT_T0_E_clISt17integral_constantIbLb1EESZ_EEDaSU_SV_EUlSU_E_NS1_11comp_targetILNS1_3genE4ELNS1_11target_archE910ELNS1_3gpuE8ELNS1_3repE0EEENS1_30default_config_static_selectorELNS0_4arch9wavefront6targetE1EEEvT1_
; %bb.0:
	.section	.rodata,"a",@progbits
	.p2align	6, 0x0
	.amdhsa_kernel _ZN7rocprim17ROCPRIM_400000_NS6detail17trampoline_kernelINS0_14default_configENS1_27scan_by_key_config_selectorIiiEEZZNS1_16scan_by_key_implILNS1_25lookback_scan_determinismE0ELb0ES3_N6thrust23THRUST_200600_302600_NS6detail15normal_iteratorINS9_10device_ptrIiEEEESE_SE_iNS9_4plusIvEENS9_8equal_toIiEEiEE10hipError_tPvRmT2_T3_T4_T5_mT6_T7_P12ihipStream_tbENKUlT_T0_E_clISt17integral_constantIbLb1EESZ_EEDaSU_SV_EUlSU_E_NS1_11comp_targetILNS1_3genE4ELNS1_11target_archE910ELNS1_3gpuE8ELNS1_3repE0EEENS1_30default_config_static_selectorELNS0_4arch9wavefront6targetE1EEEvT1_
		.amdhsa_group_segment_fixed_size 0
		.amdhsa_private_segment_fixed_size 0
		.amdhsa_kernarg_size 112
		.amdhsa_user_sgpr_count 2
		.amdhsa_user_sgpr_dispatch_ptr 0
		.amdhsa_user_sgpr_queue_ptr 0
		.amdhsa_user_sgpr_kernarg_segment_ptr 1
		.amdhsa_user_sgpr_dispatch_id 0
		.amdhsa_user_sgpr_kernarg_preload_length 0
		.amdhsa_user_sgpr_kernarg_preload_offset 0
		.amdhsa_user_sgpr_private_segment_size 0
		.amdhsa_uses_dynamic_stack 0
		.amdhsa_enable_private_segment 0
		.amdhsa_system_sgpr_workgroup_id_x 1
		.amdhsa_system_sgpr_workgroup_id_y 0
		.amdhsa_system_sgpr_workgroup_id_z 0
		.amdhsa_system_sgpr_workgroup_info 0
		.amdhsa_system_vgpr_workitem_id 0
		.amdhsa_next_free_vgpr 1
		.amdhsa_next_free_sgpr 0
		.amdhsa_accum_offset 4
		.amdhsa_reserve_vcc 0
		.amdhsa_float_round_mode_32 0
		.amdhsa_float_round_mode_16_64 0
		.amdhsa_float_denorm_mode_32 3
		.amdhsa_float_denorm_mode_16_64 3
		.amdhsa_dx10_clamp 1
		.amdhsa_ieee_mode 1
		.amdhsa_fp16_overflow 0
		.amdhsa_tg_split 0
		.amdhsa_exception_fp_ieee_invalid_op 0
		.amdhsa_exception_fp_denorm_src 0
		.amdhsa_exception_fp_ieee_div_zero 0
		.amdhsa_exception_fp_ieee_overflow 0
		.amdhsa_exception_fp_ieee_underflow 0
		.amdhsa_exception_fp_ieee_inexact 0
		.amdhsa_exception_int_div_zero 0
	.end_amdhsa_kernel
	.section	.text._ZN7rocprim17ROCPRIM_400000_NS6detail17trampoline_kernelINS0_14default_configENS1_27scan_by_key_config_selectorIiiEEZZNS1_16scan_by_key_implILNS1_25lookback_scan_determinismE0ELb0ES3_N6thrust23THRUST_200600_302600_NS6detail15normal_iteratorINS9_10device_ptrIiEEEESE_SE_iNS9_4plusIvEENS9_8equal_toIiEEiEE10hipError_tPvRmT2_T3_T4_T5_mT6_T7_P12ihipStream_tbENKUlT_T0_E_clISt17integral_constantIbLb1EESZ_EEDaSU_SV_EUlSU_E_NS1_11comp_targetILNS1_3genE4ELNS1_11target_archE910ELNS1_3gpuE8ELNS1_3repE0EEENS1_30default_config_static_selectorELNS0_4arch9wavefront6targetE1EEEvT1_,"axG",@progbits,_ZN7rocprim17ROCPRIM_400000_NS6detail17trampoline_kernelINS0_14default_configENS1_27scan_by_key_config_selectorIiiEEZZNS1_16scan_by_key_implILNS1_25lookback_scan_determinismE0ELb0ES3_N6thrust23THRUST_200600_302600_NS6detail15normal_iteratorINS9_10device_ptrIiEEEESE_SE_iNS9_4plusIvEENS9_8equal_toIiEEiEE10hipError_tPvRmT2_T3_T4_T5_mT6_T7_P12ihipStream_tbENKUlT_T0_E_clISt17integral_constantIbLb1EESZ_EEDaSU_SV_EUlSU_E_NS1_11comp_targetILNS1_3genE4ELNS1_11target_archE910ELNS1_3gpuE8ELNS1_3repE0EEENS1_30default_config_static_selectorELNS0_4arch9wavefront6targetE1EEEvT1_,comdat
.Lfunc_end212:
	.size	_ZN7rocprim17ROCPRIM_400000_NS6detail17trampoline_kernelINS0_14default_configENS1_27scan_by_key_config_selectorIiiEEZZNS1_16scan_by_key_implILNS1_25lookback_scan_determinismE0ELb0ES3_N6thrust23THRUST_200600_302600_NS6detail15normal_iteratorINS9_10device_ptrIiEEEESE_SE_iNS9_4plusIvEENS9_8equal_toIiEEiEE10hipError_tPvRmT2_T3_T4_T5_mT6_T7_P12ihipStream_tbENKUlT_T0_E_clISt17integral_constantIbLb1EESZ_EEDaSU_SV_EUlSU_E_NS1_11comp_targetILNS1_3genE4ELNS1_11target_archE910ELNS1_3gpuE8ELNS1_3repE0EEENS1_30default_config_static_selectorELNS0_4arch9wavefront6targetE1EEEvT1_, .Lfunc_end212-_ZN7rocprim17ROCPRIM_400000_NS6detail17trampoline_kernelINS0_14default_configENS1_27scan_by_key_config_selectorIiiEEZZNS1_16scan_by_key_implILNS1_25lookback_scan_determinismE0ELb0ES3_N6thrust23THRUST_200600_302600_NS6detail15normal_iteratorINS9_10device_ptrIiEEEESE_SE_iNS9_4plusIvEENS9_8equal_toIiEEiEE10hipError_tPvRmT2_T3_T4_T5_mT6_T7_P12ihipStream_tbENKUlT_T0_E_clISt17integral_constantIbLb1EESZ_EEDaSU_SV_EUlSU_E_NS1_11comp_targetILNS1_3genE4ELNS1_11target_archE910ELNS1_3gpuE8ELNS1_3repE0EEENS1_30default_config_static_selectorELNS0_4arch9wavefront6targetE1EEEvT1_
                                        ; -- End function
	.section	.AMDGPU.csdata,"",@progbits
; Kernel info:
; codeLenInByte = 0
; NumSgprs: 6
; NumVgprs: 0
; NumAgprs: 0
; TotalNumVgprs: 0
; ScratchSize: 0
; MemoryBound: 0
; FloatMode: 240
; IeeeMode: 1
; LDSByteSize: 0 bytes/workgroup (compile time only)
; SGPRBlocks: 0
; VGPRBlocks: 0
; NumSGPRsForWavesPerEU: 6
; NumVGPRsForWavesPerEU: 1
; AccumOffset: 4
; Occupancy: 8
; WaveLimiterHint : 0
; COMPUTE_PGM_RSRC2:SCRATCH_EN: 0
; COMPUTE_PGM_RSRC2:USER_SGPR: 2
; COMPUTE_PGM_RSRC2:TRAP_HANDLER: 0
; COMPUTE_PGM_RSRC2:TGID_X_EN: 1
; COMPUTE_PGM_RSRC2:TGID_Y_EN: 0
; COMPUTE_PGM_RSRC2:TGID_Z_EN: 0
; COMPUTE_PGM_RSRC2:TIDIG_COMP_CNT: 0
; COMPUTE_PGM_RSRC3_GFX90A:ACCUM_OFFSET: 0
; COMPUTE_PGM_RSRC3_GFX90A:TG_SPLIT: 0
	.section	.text._ZN7rocprim17ROCPRIM_400000_NS6detail17trampoline_kernelINS0_14default_configENS1_27scan_by_key_config_selectorIiiEEZZNS1_16scan_by_key_implILNS1_25lookback_scan_determinismE0ELb0ES3_N6thrust23THRUST_200600_302600_NS6detail15normal_iteratorINS9_10device_ptrIiEEEESE_SE_iNS9_4plusIvEENS9_8equal_toIiEEiEE10hipError_tPvRmT2_T3_T4_T5_mT6_T7_P12ihipStream_tbENKUlT_T0_E_clISt17integral_constantIbLb1EESZ_EEDaSU_SV_EUlSU_E_NS1_11comp_targetILNS1_3genE3ELNS1_11target_archE908ELNS1_3gpuE7ELNS1_3repE0EEENS1_30default_config_static_selectorELNS0_4arch9wavefront6targetE1EEEvT1_,"axG",@progbits,_ZN7rocprim17ROCPRIM_400000_NS6detail17trampoline_kernelINS0_14default_configENS1_27scan_by_key_config_selectorIiiEEZZNS1_16scan_by_key_implILNS1_25lookback_scan_determinismE0ELb0ES3_N6thrust23THRUST_200600_302600_NS6detail15normal_iteratorINS9_10device_ptrIiEEEESE_SE_iNS9_4plusIvEENS9_8equal_toIiEEiEE10hipError_tPvRmT2_T3_T4_T5_mT6_T7_P12ihipStream_tbENKUlT_T0_E_clISt17integral_constantIbLb1EESZ_EEDaSU_SV_EUlSU_E_NS1_11comp_targetILNS1_3genE3ELNS1_11target_archE908ELNS1_3gpuE7ELNS1_3repE0EEENS1_30default_config_static_selectorELNS0_4arch9wavefront6targetE1EEEvT1_,comdat
	.protected	_ZN7rocprim17ROCPRIM_400000_NS6detail17trampoline_kernelINS0_14default_configENS1_27scan_by_key_config_selectorIiiEEZZNS1_16scan_by_key_implILNS1_25lookback_scan_determinismE0ELb0ES3_N6thrust23THRUST_200600_302600_NS6detail15normal_iteratorINS9_10device_ptrIiEEEESE_SE_iNS9_4plusIvEENS9_8equal_toIiEEiEE10hipError_tPvRmT2_T3_T4_T5_mT6_T7_P12ihipStream_tbENKUlT_T0_E_clISt17integral_constantIbLb1EESZ_EEDaSU_SV_EUlSU_E_NS1_11comp_targetILNS1_3genE3ELNS1_11target_archE908ELNS1_3gpuE7ELNS1_3repE0EEENS1_30default_config_static_selectorELNS0_4arch9wavefront6targetE1EEEvT1_ ; -- Begin function _ZN7rocprim17ROCPRIM_400000_NS6detail17trampoline_kernelINS0_14default_configENS1_27scan_by_key_config_selectorIiiEEZZNS1_16scan_by_key_implILNS1_25lookback_scan_determinismE0ELb0ES3_N6thrust23THRUST_200600_302600_NS6detail15normal_iteratorINS9_10device_ptrIiEEEESE_SE_iNS9_4plusIvEENS9_8equal_toIiEEiEE10hipError_tPvRmT2_T3_T4_T5_mT6_T7_P12ihipStream_tbENKUlT_T0_E_clISt17integral_constantIbLb1EESZ_EEDaSU_SV_EUlSU_E_NS1_11comp_targetILNS1_3genE3ELNS1_11target_archE908ELNS1_3gpuE7ELNS1_3repE0EEENS1_30default_config_static_selectorELNS0_4arch9wavefront6targetE1EEEvT1_
	.globl	_ZN7rocprim17ROCPRIM_400000_NS6detail17trampoline_kernelINS0_14default_configENS1_27scan_by_key_config_selectorIiiEEZZNS1_16scan_by_key_implILNS1_25lookback_scan_determinismE0ELb0ES3_N6thrust23THRUST_200600_302600_NS6detail15normal_iteratorINS9_10device_ptrIiEEEESE_SE_iNS9_4plusIvEENS9_8equal_toIiEEiEE10hipError_tPvRmT2_T3_T4_T5_mT6_T7_P12ihipStream_tbENKUlT_T0_E_clISt17integral_constantIbLb1EESZ_EEDaSU_SV_EUlSU_E_NS1_11comp_targetILNS1_3genE3ELNS1_11target_archE908ELNS1_3gpuE7ELNS1_3repE0EEENS1_30default_config_static_selectorELNS0_4arch9wavefront6targetE1EEEvT1_
	.p2align	8
	.type	_ZN7rocprim17ROCPRIM_400000_NS6detail17trampoline_kernelINS0_14default_configENS1_27scan_by_key_config_selectorIiiEEZZNS1_16scan_by_key_implILNS1_25lookback_scan_determinismE0ELb0ES3_N6thrust23THRUST_200600_302600_NS6detail15normal_iteratorINS9_10device_ptrIiEEEESE_SE_iNS9_4plusIvEENS9_8equal_toIiEEiEE10hipError_tPvRmT2_T3_T4_T5_mT6_T7_P12ihipStream_tbENKUlT_T0_E_clISt17integral_constantIbLb1EESZ_EEDaSU_SV_EUlSU_E_NS1_11comp_targetILNS1_3genE3ELNS1_11target_archE908ELNS1_3gpuE7ELNS1_3repE0EEENS1_30default_config_static_selectorELNS0_4arch9wavefront6targetE1EEEvT1_,@function
_ZN7rocprim17ROCPRIM_400000_NS6detail17trampoline_kernelINS0_14default_configENS1_27scan_by_key_config_selectorIiiEEZZNS1_16scan_by_key_implILNS1_25lookback_scan_determinismE0ELb0ES3_N6thrust23THRUST_200600_302600_NS6detail15normal_iteratorINS9_10device_ptrIiEEEESE_SE_iNS9_4plusIvEENS9_8equal_toIiEEiEE10hipError_tPvRmT2_T3_T4_T5_mT6_T7_P12ihipStream_tbENKUlT_T0_E_clISt17integral_constantIbLb1EESZ_EEDaSU_SV_EUlSU_E_NS1_11comp_targetILNS1_3genE3ELNS1_11target_archE908ELNS1_3gpuE7ELNS1_3repE0EEENS1_30default_config_static_selectorELNS0_4arch9wavefront6targetE1EEEvT1_: ; @_ZN7rocprim17ROCPRIM_400000_NS6detail17trampoline_kernelINS0_14default_configENS1_27scan_by_key_config_selectorIiiEEZZNS1_16scan_by_key_implILNS1_25lookback_scan_determinismE0ELb0ES3_N6thrust23THRUST_200600_302600_NS6detail15normal_iteratorINS9_10device_ptrIiEEEESE_SE_iNS9_4plusIvEENS9_8equal_toIiEEiEE10hipError_tPvRmT2_T3_T4_T5_mT6_T7_P12ihipStream_tbENKUlT_T0_E_clISt17integral_constantIbLb1EESZ_EEDaSU_SV_EUlSU_E_NS1_11comp_targetILNS1_3genE3ELNS1_11target_archE908ELNS1_3gpuE7ELNS1_3repE0EEENS1_30default_config_static_selectorELNS0_4arch9wavefront6targetE1EEEvT1_
; %bb.0:
	.section	.rodata,"a",@progbits
	.p2align	6, 0x0
	.amdhsa_kernel _ZN7rocprim17ROCPRIM_400000_NS6detail17trampoline_kernelINS0_14default_configENS1_27scan_by_key_config_selectorIiiEEZZNS1_16scan_by_key_implILNS1_25lookback_scan_determinismE0ELb0ES3_N6thrust23THRUST_200600_302600_NS6detail15normal_iteratorINS9_10device_ptrIiEEEESE_SE_iNS9_4plusIvEENS9_8equal_toIiEEiEE10hipError_tPvRmT2_T3_T4_T5_mT6_T7_P12ihipStream_tbENKUlT_T0_E_clISt17integral_constantIbLb1EESZ_EEDaSU_SV_EUlSU_E_NS1_11comp_targetILNS1_3genE3ELNS1_11target_archE908ELNS1_3gpuE7ELNS1_3repE0EEENS1_30default_config_static_selectorELNS0_4arch9wavefront6targetE1EEEvT1_
		.amdhsa_group_segment_fixed_size 0
		.amdhsa_private_segment_fixed_size 0
		.amdhsa_kernarg_size 112
		.amdhsa_user_sgpr_count 2
		.amdhsa_user_sgpr_dispatch_ptr 0
		.amdhsa_user_sgpr_queue_ptr 0
		.amdhsa_user_sgpr_kernarg_segment_ptr 1
		.amdhsa_user_sgpr_dispatch_id 0
		.amdhsa_user_sgpr_kernarg_preload_length 0
		.amdhsa_user_sgpr_kernarg_preload_offset 0
		.amdhsa_user_sgpr_private_segment_size 0
		.amdhsa_uses_dynamic_stack 0
		.amdhsa_enable_private_segment 0
		.amdhsa_system_sgpr_workgroup_id_x 1
		.amdhsa_system_sgpr_workgroup_id_y 0
		.amdhsa_system_sgpr_workgroup_id_z 0
		.amdhsa_system_sgpr_workgroup_info 0
		.amdhsa_system_vgpr_workitem_id 0
		.amdhsa_next_free_vgpr 1
		.amdhsa_next_free_sgpr 0
		.amdhsa_accum_offset 4
		.amdhsa_reserve_vcc 0
		.amdhsa_float_round_mode_32 0
		.amdhsa_float_round_mode_16_64 0
		.amdhsa_float_denorm_mode_32 3
		.amdhsa_float_denorm_mode_16_64 3
		.amdhsa_dx10_clamp 1
		.amdhsa_ieee_mode 1
		.amdhsa_fp16_overflow 0
		.amdhsa_tg_split 0
		.amdhsa_exception_fp_ieee_invalid_op 0
		.amdhsa_exception_fp_denorm_src 0
		.amdhsa_exception_fp_ieee_div_zero 0
		.amdhsa_exception_fp_ieee_overflow 0
		.amdhsa_exception_fp_ieee_underflow 0
		.amdhsa_exception_fp_ieee_inexact 0
		.amdhsa_exception_int_div_zero 0
	.end_amdhsa_kernel
	.section	.text._ZN7rocprim17ROCPRIM_400000_NS6detail17trampoline_kernelINS0_14default_configENS1_27scan_by_key_config_selectorIiiEEZZNS1_16scan_by_key_implILNS1_25lookback_scan_determinismE0ELb0ES3_N6thrust23THRUST_200600_302600_NS6detail15normal_iteratorINS9_10device_ptrIiEEEESE_SE_iNS9_4plusIvEENS9_8equal_toIiEEiEE10hipError_tPvRmT2_T3_T4_T5_mT6_T7_P12ihipStream_tbENKUlT_T0_E_clISt17integral_constantIbLb1EESZ_EEDaSU_SV_EUlSU_E_NS1_11comp_targetILNS1_3genE3ELNS1_11target_archE908ELNS1_3gpuE7ELNS1_3repE0EEENS1_30default_config_static_selectorELNS0_4arch9wavefront6targetE1EEEvT1_,"axG",@progbits,_ZN7rocprim17ROCPRIM_400000_NS6detail17trampoline_kernelINS0_14default_configENS1_27scan_by_key_config_selectorIiiEEZZNS1_16scan_by_key_implILNS1_25lookback_scan_determinismE0ELb0ES3_N6thrust23THRUST_200600_302600_NS6detail15normal_iteratorINS9_10device_ptrIiEEEESE_SE_iNS9_4plusIvEENS9_8equal_toIiEEiEE10hipError_tPvRmT2_T3_T4_T5_mT6_T7_P12ihipStream_tbENKUlT_T0_E_clISt17integral_constantIbLb1EESZ_EEDaSU_SV_EUlSU_E_NS1_11comp_targetILNS1_3genE3ELNS1_11target_archE908ELNS1_3gpuE7ELNS1_3repE0EEENS1_30default_config_static_selectorELNS0_4arch9wavefront6targetE1EEEvT1_,comdat
.Lfunc_end213:
	.size	_ZN7rocprim17ROCPRIM_400000_NS6detail17trampoline_kernelINS0_14default_configENS1_27scan_by_key_config_selectorIiiEEZZNS1_16scan_by_key_implILNS1_25lookback_scan_determinismE0ELb0ES3_N6thrust23THRUST_200600_302600_NS6detail15normal_iteratorINS9_10device_ptrIiEEEESE_SE_iNS9_4plusIvEENS9_8equal_toIiEEiEE10hipError_tPvRmT2_T3_T4_T5_mT6_T7_P12ihipStream_tbENKUlT_T0_E_clISt17integral_constantIbLb1EESZ_EEDaSU_SV_EUlSU_E_NS1_11comp_targetILNS1_3genE3ELNS1_11target_archE908ELNS1_3gpuE7ELNS1_3repE0EEENS1_30default_config_static_selectorELNS0_4arch9wavefront6targetE1EEEvT1_, .Lfunc_end213-_ZN7rocprim17ROCPRIM_400000_NS6detail17trampoline_kernelINS0_14default_configENS1_27scan_by_key_config_selectorIiiEEZZNS1_16scan_by_key_implILNS1_25lookback_scan_determinismE0ELb0ES3_N6thrust23THRUST_200600_302600_NS6detail15normal_iteratorINS9_10device_ptrIiEEEESE_SE_iNS9_4plusIvEENS9_8equal_toIiEEiEE10hipError_tPvRmT2_T3_T4_T5_mT6_T7_P12ihipStream_tbENKUlT_T0_E_clISt17integral_constantIbLb1EESZ_EEDaSU_SV_EUlSU_E_NS1_11comp_targetILNS1_3genE3ELNS1_11target_archE908ELNS1_3gpuE7ELNS1_3repE0EEENS1_30default_config_static_selectorELNS0_4arch9wavefront6targetE1EEEvT1_
                                        ; -- End function
	.section	.AMDGPU.csdata,"",@progbits
; Kernel info:
; codeLenInByte = 0
; NumSgprs: 6
; NumVgprs: 0
; NumAgprs: 0
; TotalNumVgprs: 0
; ScratchSize: 0
; MemoryBound: 0
; FloatMode: 240
; IeeeMode: 1
; LDSByteSize: 0 bytes/workgroup (compile time only)
; SGPRBlocks: 0
; VGPRBlocks: 0
; NumSGPRsForWavesPerEU: 6
; NumVGPRsForWavesPerEU: 1
; AccumOffset: 4
; Occupancy: 8
; WaveLimiterHint : 0
; COMPUTE_PGM_RSRC2:SCRATCH_EN: 0
; COMPUTE_PGM_RSRC2:USER_SGPR: 2
; COMPUTE_PGM_RSRC2:TRAP_HANDLER: 0
; COMPUTE_PGM_RSRC2:TGID_X_EN: 1
; COMPUTE_PGM_RSRC2:TGID_Y_EN: 0
; COMPUTE_PGM_RSRC2:TGID_Z_EN: 0
; COMPUTE_PGM_RSRC2:TIDIG_COMP_CNT: 0
; COMPUTE_PGM_RSRC3_GFX90A:ACCUM_OFFSET: 0
; COMPUTE_PGM_RSRC3_GFX90A:TG_SPLIT: 0
	.section	.text._ZN7rocprim17ROCPRIM_400000_NS6detail17trampoline_kernelINS0_14default_configENS1_27scan_by_key_config_selectorIiiEEZZNS1_16scan_by_key_implILNS1_25lookback_scan_determinismE0ELb0ES3_N6thrust23THRUST_200600_302600_NS6detail15normal_iteratorINS9_10device_ptrIiEEEESE_SE_iNS9_4plusIvEENS9_8equal_toIiEEiEE10hipError_tPvRmT2_T3_T4_T5_mT6_T7_P12ihipStream_tbENKUlT_T0_E_clISt17integral_constantIbLb1EESZ_EEDaSU_SV_EUlSU_E_NS1_11comp_targetILNS1_3genE2ELNS1_11target_archE906ELNS1_3gpuE6ELNS1_3repE0EEENS1_30default_config_static_selectorELNS0_4arch9wavefront6targetE1EEEvT1_,"axG",@progbits,_ZN7rocprim17ROCPRIM_400000_NS6detail17trampoline_kernelINS0_14default_configENS1_27scan_by_key_config_selectorIiiEEZZNS1_16scan_by_key_implILNS1_25lookback_scan_determinismE0ELb0ES3_N6thrust23THRUST_200600_302600_NS6detail15normal_iteratorINS9_10device_ptrIiEEEESE_SE_iNS9_4plusIvEENS9_8equal_toIiEEiEE10hipError_tPvRmT2_T3_T4_T5_mT6_T7_P12ihipStream_tbENKUlT_T0_E_clISt17integral_constantIbLb1EESZ_EEDaSU_SV_EUlSU_E_NS1_11comp_targetILNS1_3genE2ELNS1_11target_archE906ELNS1_3gpuE6ELNS1_3repE0EEENS1_30default_config_static_selectorELNS0_4arch9wavefront6targetE1EEEvT1_,comdat
	.protected	_ZN7rocprim17ROCPRIM_400000_NS6detail17trampoline_kernelINS0_14default_configENS1_27scan_by_key_config_selectorIiiEEZZNS1_16scan_by_key_implILNS1_25lookback_scan_determinismE0ELb0ES3_N6thrust23THRUST_200600_302600_NS6detail15normal_iteratorINS9_10device_ptrIiEEEESE_SE_iNS9_4plusIvEENS9_8equal_toIiEEiEE10hipError_tPvRmT2_T3_T4_T5_mT6_T7_P12ihipStream_tbENKUlT_T0_E_clISt17integral_constantIbLb1EESZ_EEDaSU_SV_EUlSU_E_NS1_11comp_targetILNS1_3genE2ELNS1_11target_archE906ELNS1_3gpuE6ELNS1_3repE0EEENS1_30default_config_static_selectorELNS0_4arch9wavefront6targetE1EEEvT1_ ; -- Begin function _ZN7rocprim17ROCPRIM_400000_NS6detail17trampoline_kernelINS0_14default_configENS1_27scan_by_key_config_selectorIiiEEZZNS1_16scan_by_key_implILNS1_25lookback_scan_determinismE0ELb0ES3_N6thrust23THRUST_200600_302600_NS6detail15normal_iteratorINS9_10device_ptrIiEEEESE_SE_iNS9_4plusIvEENS9_8equal_toIiEEiEE10hipError_tPvRmT2_T3_T4_T5_mT6_T7_P12ihipStream_tbENKUlT_T0_E_clISt17integral_constantIbLb1EESZ_EEDaSU_SV_EUlSU_E_NS1_11comp_targetILNS1_3genE2ELNS1_11target_archE906ELNS1_3gpuE6ELNS1_3repE0EEENS1_30default_config_static_selectorELNS0_4arch9wavefront6targetE1EEEvT1_
	.globl	_ZN7rocprim17ROCPRIM_400000_NS6detail17trampoline_kernelINS0_14default_configENS1_27scan_by_key_config_selectorIiiEEZZNS1_16scan_by_key_implILNS1_25lookback_scan_determinismE0ELb0ES3_N6thrust23THRUST_200600_302600_NS6detail15normal_iteratorINS9_10device_ptrIiEEEESE_SE_iNS9_4plusIvEENS9_8equal_toIiEEiEE10hipError_tPvRmT2_T3_T4_T5_mT6_T7_P12ihipStream_tbENKUlT_T0_E_clISt17integral_constantIbLb1EESZ_EEDaSU_SV_EUlSU_E_NS1_11comp_targetILNS1_3genE2ELNS1_11target_archE906ELNS1_3gpuE6ELNS1_3repE0EEENS1_30default_config_static_selectorELNS0_4arch9wavefront6targetE1EEEvT1_
	.p2align	8
	.type	_ZN7rocprim17ROCPRIM_400000_NS6detail17trampoline_kernelINS0_14default_configENS1_27scan_by_key_config_selectorIiiEEZZNS1_16scan_by_key_implILNS1_25lookback_scan_determinismE0ELb0ES3_N6thrust23THRUST_200600_302600_NS6detail15normal_iteratorINS9_10device_ptrIiEEEESE_SE_iNS9_4plusIvEENS9_8equal_toIiEEiEE10hipError_tPvRmT2_T3_T4_T5_mT6_T7_P12ihipStream_tbENKUlT_T0_E_clISt17integral_constantIbLb1EESZ_EEDaSU_SV_EUlSU_E_NS1_11comp_targetILNS1_3genE2ELNS1_11target_archE906ELNS1_3gpuE6ELNS1_3repE0EEENS1_30default_config_static_selectorELNS0_4arch9wavefront6targetE1EEEvT1_,@function
_ZN7rocprim17ROCPRIM_400000_NS6detail17trampoline_kernelINS0_14default_configENS1_27scan_by_key_config_selectorIiiEEZZNS1_16scan_by_key_implILNS1_25lookback_scan_determinismE0ELb0ES3_N6thrust23THRUST_200600_302600_NS6detail15normal_iteratorINS9_10device_ptrIiEEEESE_SE_iNS9_4plusIvEENS9_8equal_toIiEEiEE10hipError_tPvRmT2_T3_T4_T5_mT6_T7_P12ihipStream_tbENKUlT_T0_E_clISt17integral_constantIbLb1EESZ_EEDaSU_SV_EUlSU_E_NS1_11comp_targetILNS1_3genE2ELNS1_11target_archE906ELNS1_3gpuE6ELNS1_3repE0EEENS1_30default_config_static_selectorELNS0_4arch9wavefront6targetE1EEEvT1_: ; @_ZN7rocprim17ROCPRIM_400000_NS6detail17trampoline_kernelINS0_14default_configENS1_27scan_by_key_config_selectorIiiEEZZNS1_16scan_by_key_implILNS1_25lookback_scan_determinismE0ELb0ES3_N6thrust23THRUST_200600_302600_NS6detail15normal_iteratorINS9_10device_ptrIiEEEESE_SE_iNS9_4plusIvEENS9_8equal_toIiEEiEE10hipError_tPvRmT2_T3_T4_T5_mT6_T7_P12ihipStream_tbENKUlT_T0_E_clISt17integral_constantIbLb1EESZ_EEDaSU_SV_EUlSU_E_NS1_11comp_targetILNS1_3genE2ELNS1_11target_archE906ELNS1_3gpuE6ELNS1_3repE0EEENS1_30default_config_static_selectorELNS0_4arch9wavefront6targetE1EEEvT1_
; %bb.0:
	.section	.rodata,"a",@progbits
	.p2align	6, 0x0
	.amdhsa_kernel _ZN7rocprim17ROCPRIM_400000_NS6detail17trampoline_kernelINS0_14default_configENS1_27scan_by_key_config_selectorIiiEEZZNS1_16scan_by_key_implILNS1_25lookback_scan_determinismE0ELb0ES3_N6thrust23THRUST_200600_302600_NS6detail15normal_iteratorINS9_10device_ptrIiEEEESE_SE_iNS9_4plusIvEENS9_8equal_toIiEEiEE10hipError_tPvRmT2_T3_T4_T5_mT6_T7_P12ihipStream_tbENKUlT_T0_E_clISt17integral_constantIbLb1EESZ_EEDaSU_SV_EUlSU_E_NS1_11comp_targetILNS1_3genE2ELNS1_11target_archE906ELNS1_3gpuE6ELNS1_3repE0EEENS1_30default_config_static_selectorELNS0_4arch9wavefront6targetE1EEEvT1_
		.amdhsa_group_segment_fixed_size 0
		.amdhsa_private_segment_fixed_size 0
		.amdhsa_kernarg_size 112
		.amdhsa_user_sgpr_count 2
		.amdhsa_user_sgpr_dispatch_ptr 0
		.amdhsa_user_sgpr_queue_ptr 0
		.amdhsa_user_sgpr_kernarg_segment_ptr 1
		.amdhsa_user_sgpr_dispatch_id 0
		.amdhsa_user_sgpr_kernarg_preload_length 0
		.amdhsa_user_sgpr_kernarg_preload_offset 0
		.amdhsa_user_sgpr_private_segment_size 0
		.amdhsa_uses_dynamic_stack 0
		.amdhsa_enable_private_segment 0
		.amdhsa_system_sgpr_workgroup_id_x 1
		.amdhsa_system_sgpr_workgroup_id_y 0
		.amdhsa_system_sgpr_workgroup_id_z 0
		.amdhsa_system_sgpr_workgroup_info 0
		.amdhsa_system_vgpr_workitem_id 0
		.amdhsa_next_free_vgpr 1
		.amdhsa_next_free_sgpr 0
		.amdhsa_accum_offset 4
		.amdhsa_reserve_vcc 0
		.amdhsa_float_round_mode_32 0
		.amdhsa_float_round_mode_16_64 0
		.amdhsa_float_denorm_mode_32 3
		.amdhsa_float_denorm_mode_16_64 3
		.amdhsa_dx10_clamp 1
		.amdhsa_ieee_mode 1
		.amdhsa_fp16_overflow 0
		.amdhsa_tg_split 0
		.amdhsa_exception_fp_ieee_invalid_op 0
		.amdhsa_exception_fp_denorm_src 0
		.amdhsa_exception_fp_ieee_div_zero 0
		.amdhsa_exception_fp_ieee_overflow 0
		.amdhsa_exception_fp_ieee_underflow 0
		.amdhsa_exception_fp_ieee_inexact 0
		.amdhsa_exception_int_div_zero 0
	.end_amdhsa_kernel
	.section	.text._ZN7rocprim17ROCPRIM_400000_NS6detail17trampoline_kernelINS0_14default_configENS1_27scan_by_key_config_selectorIiiEEZZNS1_16scan_by_key_implILNS1_25lookback_scan_determinismE0ELb0ES3_N6thrust23THRUST_200600_302600_NS6detail15normal_iteratorINS9_10device_ptrIiEEEESE_SE_iNS9_4plusIvEENS9_8equal_toIiEEiEE10hipError_tPvRmT2_T3_T4_T5_mT6_T7_P12ihipStream_tbENKUlT_T0_E_clISt17integral_constantIbLb1EESZ_EEDaSU_SV_EUlSU_E_NS1_11comp_targetILNS1_3genE2ELNS1_11target_archE906ELNS1_3gpuE6ELNS1_3repE0EEENS1_30default_config_static_selectorELNS0_4arch9wavefront6targetE1EEEvT1_,"axG",@progbits,_ZN7rocprim17ROCPRIM_400000_NS6detail17trampoline_kernelINS0_14default_configENS1_27scan_by_key_config_selectorIiiEEZZNS1_16scan_by_key_implILNS1_25lookback_scan_determinismE0ELb0ES3_N6thrust23THRUST_200600_302600_NS6detail15normal_iteratorINS9_10device_ptrIiEEEESE_SE_iNS9_4plusIvEENS9_8equal_toIiEEiEE10hipError_tPvRmT2_T3_T4_T5_mT6_T7_P12ihipStream_tbENKUlT_T0_E_clISt17integral_constantIbLb1EESZ_EEDaSU_SV_EUlSU_E_NS1_11comp_targetILNS1_3genE2ELNS1_11target_archE906ELNS1_3gpuE6ELNS1_3repE0EEENS1_30default_config_static_selectorELNS0_4arch9wavefront6targetE1EEEvT1_,comdat
.Lfunc_end214:
	.size	_ZN7rocprim17ROCPRIM_400000_NS6detail17trampoline_kernelINS0_14default_configENS1_27scan_by_key_config_selectorIiiEEZZNS1_16scan_by_key_implILNS1_25lookback_scan_determinismE0ELb0ES3_N6thrust23THRUST_200600_302600_NS6detail15normal_iteratorINS9_10device_ptrIiEEEESE_SE_iNS9_4plusIvEENS9_8equal_toIiEEiEE10hipError_tPvRmT2_T3_T4_T5_mT6_T7_P12ihipStream_tbENKUlT_T0_E_clISt17integral_constantIbLb1EESZ_EEDaSU_SV_EUlSU_E_NS1_11comp_targetILNS1_3genE2ELNS1_11target_archE906ELNS1_3gpuE6ELNS1_3repE0EEENS1_30default_config_static_selectorELNS0_4arch9wavefront6targetE1EEEvT1_, .Lfunc_end214-_ZN7rocprim17ROCPRIM_400000_NS6detail17trampoline_kernelINS0_14default_configENS1_27scan_by_key_config_selectorIiiEEZZNS1_16scan_by_key_implILNS1_25lookback_scan_determinismE0ELb0ES3_N6thrust23THRUST_200600_302600_NS6detail15normal_iteratorINS9_10device_ptrIiEEEESE_SE_iNS9_4plusIvEENS9_8equal_toIiEEiEE10hipError_tPvRmT2_T3_T4_T5_mT6_T7_P12ihipStream_tbENKUlT_T0_E_clISt17integral_constantIbLb1EESZ_EEDaSU_SV_EUlSU_E_NS1_11comp_targetILNS1_3genE2ELNS1_11target_archE906ELNS1_3gpuE6ELNS1_3repE0EEENS1_30default_config_static_selectorELNS0_4arch9wavefront6targetE1EEEvT1_
                                        ; -- End function
	.section	.AMDGPU.csdata,"",@progbits
; Kernel info:
; codeLenInByte = 0
; NumSgprs: 6
; NumVgprs: 0
; NumAgprs: 0
; TotalNumVgprs: 0
; ScratchSize: 0
; MemoryBound: 0
; FloatMode: 240
; IeeeMode: 1
; LDSByteSize: 0 bytes/workgroup (compile time only)
; SGPRBlocks: 0
; VGPRBlocks: 0
; NumSGPRsForWavesPerEU: 6
; NumVGPRsForWavesPerEU: 1
; AccumOffset: 4
; Occupancy: 8
; WaveLimiterHint : 0
; COMPUTE_PGM_RSRC2:SCRATCH_EN: 0
; COMPUTE_PGM_RSRC2:USER_SGPR: 2
; COMPUTE_PGM_RSRC2:TRAP_HANDLER: 0
; COMPUTE_PGM_RSRC2:TGID_X_EN: 1
; COMPUTE_PGM_RSRC2:TGID_Y_EN: 0
; COMPUTE_PGM_RSRC2:TGID_Z_EN: 0
; COMPUTE_PGM_RSRC2:TIDIG_COMP_CNT: 0
; COMPUTE_PGM_RSRC3_GFX90A:ACCUM_OFFSET: 0
; COMPUTE_PGM_RSRC3_GFX90A:TG_SPLIT: 0
	.section	.text._ZN7rocprim17ROCPRIM_400000_NS6detail17trampoline_kernelINS0_14default_configENS1_27scan_by_key_config_selectorIiiEEZZNS1_16scan_by_key_implILNS1_25lookback_scan_determinismE0ELb0ES3_N6thrust23THRUST_200600_302600_NS6detail15normal_iteratorINS9_10device_ptrIiEEEESE_SE_iNS9_4plusIvEENS9_8equal_toIiEEiEE10hipError_tPvRmT2_T3_T4_T5_mT6_T7_P12ihipStream_tbENKUlT_T0_E_clISt17integral_constantIbLb1EESZ_EEDaSU_SV_EUlSU_E_NS1_11comp_targetILNS1_3genE10ELNS1_11target_archE1200ELNS1_3gpuE4ELNS1_3repE0EEENS1_30default_config_static_selectorELNS0_4arch9wavefront6targetE1EEEvT1_,"axG",@progbits,_ZN7rocprim17ROCPRIM_400000_NS6detail17trampoline_kernelINS0_14default_configENS1_27scan_by_key_config_selectorIiiEEZZNS1_16scan_by_key_implILNS1_25lookback_scan_determinismE0ELb0ES3_N6thrust23THRUST_200600_302600_NS6detail15normal_iteratorINS9_10device_ptrIiEEEESE_SE_iNS9_4plusIvEENS9_8equal_toIiEEiEE10hipError_tPvRmT2_T3_T4_T5_mT6_T7_P12ihipStream_tbENKUlT_T0_E_clISt17integral_constantIbLb1EESZ_EEDaSU_SV_EUlSU_E_NS1_11comp_targetILNS1_3genE10ELNS1_11target_archE1200ELNS1_3gpuE4ELNS1_3repE0EEENS1_30default_config_static_selectorELNS0_4arch9wavefront6targetE1EEEvT1_,comdat
	.protected	_ZN7rocprim17ROCPRIM_400000_NS6detail17trampoline_kernelINS0_14default_configENS1_27scan_by_key_config_selectorIiiEEZZNS1_16scan_by_key_implILNS1_25lookback_scan_determinismE0ELb0ES3_N6thrust23THRUST_200600_302600_NS6detail15normal_iteratorINS9_10device_ptrIiEEEESE_SE_iNS9_4plusIvEENS9_8equal_toIiEEiEE10hipError_tPvRmT2_T3_T4_T5_mT6_T7_P12ihipStream_tbENKUlT_T0_E_clISt17integral_constantIbLb1EESZ_EEDaSU_SV_EUlSU_E_NS1_11comp_targetILNS1_3genE10ELNS1_11target_archE1200ELNS1_3gpuE4ELNS1_3repE0EEENS1_30default_config_static_selectorELNS0_4arch9wavefront6targetE1EEEvT1_ ; -- Begin function _ZN7rocprim17ROCPRIM_400000_NS6detail17trampoline_kernelINS0_14default_configENS1_27scan_by_key_config_selectorIiiEEZZNS1_16scan_by_key_implILNS1_25lookback_scan_determinismE0ELb0ES3_N6thrust23THRUST_200600_302600_NS6detail15normal_iteratorINS9_10device_ptrIiEEEESE_SE_iNS9_4plusIvEENS9_8equal_toIiEEiEE10hipError_tPvRmT2_T3_T4_T5_mT6_T7_P12ihipStream_tbENKUlT_T0_E_clISt17integral_constantIbLb1EESZ_EEDaSU_SV_EUlSU_E_NS1_11comp_targetILNS1_3genE10ELNS1_11target_archE1200ELNS1_3gpuE4ELNS1_3repE0EEENS1_30default_config_static_selectorELNS0_4arch9wavefront6targetE1EEEvT1_
	.globl	_ZN7rocprim17ROCPRIM_400000_NS6detail17trampoline_kernelINS0_14default_configENS1_27scan_by_key_config_selectorIiiEEZZNS1_16scan_by_key_implILNS1_25lookback_scan_determinismE0ELb0ES3_N6thrust23THRUST_200600_302600_NS6detail15normal_iteratorINS9_10device_ptrIiEEEESE_SE_iNS9_4plusIvEENS9_8equal_toIiEEiEE10hipError_tPvRmT2_T3_T4_T5_mT6_T7_P12ihipStream_tbENKUlT_T0_E_clISt17integral_constantIbLb1EESZ_EEDaSU_SV_EUlSU_E_NS1_11comp_targetILNS1_3genE10ELNS1_11target_archE1200ELNS1_3gpuE4ELNS1_3repE0EEENS1_30default_config_static_selectorELNS0_4arch9wavefront6targetE1EEEvT1_
	.p2align	8
	.type	_ZN7rocprim17ROCPRIM_400000_NS6detail17trampoline_kernelINS0_14default_configENS1_27scan_by_key_config_selectorIiiEEZZNS1_16scan_by_key_implILNS1_25lookback_scan_determinismE0ELb0ES3_N6thrust23THRUST_200600_302600_NS6detail15normal_iteratorINS9_10device_ptrIiEEEESE_SE_iNS9_4plusIvEENS9_8equal_toIiEEiEE10hipError_tPvRmT2_T3_T4_T5_mT6_T7_P12ihipStream_tbENKUlT_T0_E_clISt17integral_constantIbLb1EESZ_EEDaSU_SV_EUlSU_E_NS1_11comp_targetILNS1_3genE10ELNS1_11target_archE1200ELNS1_3gpuE4ELNS1_3repE0EEENS1_30default_config_static_selectorELNS0_4arch9wavefront6targetE1EEEvT1_,@function
_ZN7rocprim17ROCPRIM_400000_NS6detail17trampoline_kernelINS0_14default_configENS1_27scan_by_key_config_selectorIiiEEZZNS1_16scan_by_key_implILNS1_25lookback_scan_determinismE0ELb0ES3_N6thrust23THRUST_200600_302600_NS6detail15normal_iteratorINS9_10device_ptrIiEEEESE_SE_iNS9_4plusIvEENS9_8equal_toIiEEiEE10hipError_tPvRmT2_T3_T4_T5_mT6_T7_P12ihipStream_tbENKUlT_T0_E_clISt17integral_constantIbLb1EESZ_EEDaSU_SV_EUlSU_E_NS1_11comp_targetILNS1_3genE10ELNS1_11target_archE1200ELNS1_3gpuE4ELNS1_3repE0EEENS1_30default_config_static_selectorELNS0_4arch9wavefront6targetE1EEEvT1_: ; @_ZN7rocprim17ROCPRIM_400000_NS6detail17trampoline_kernelINS0_14default_configENS1_27scan_by_key_config_selectorIiiEEZZNS1_16scan_by_key_implILNS1_25lookback_scan_determinismE0ELb0ES3_N6thrust23THRUST_200600_302600_NS6detail15normal_iteratorINS9_10device_ptrIiEEEESE_SE_iNS9_4plusIvEENS9_8equal_toIiEEiEE10hipError_tPvRmT2_T3_T4_T5_mT6_T7_P12ihipStream_tbENKUlT_T0_E_clISt17integral_constantIbLb1EESZ_EEDaSU_SV_EUlSU_E_NS1_11comp_targetILNS1_3genE10ELNS1_11target_archE1200ELNS1_3gpuE4ELNS1_3repE0EEENS1_30default_config_static_selectorELNS0_4arch9wavefront6targetE1EEEvT1_
; %bb.0:
	.section	.rodata,"a",@progbits
	.p2align	6, 0x0
	.amdhsa_kernel _ZN7rocprim17ROCPRIM_400000_NS6detail17trampoline_kernelINS0_14default_configENS1_27scan_by_key_config_selectorIiiEEZZNS1_16scan_by_key_implILNS1_25lookback_scan_determinismE0ELb0ES3_N6thrust23THRUST_200600_302600_NS6detail15normal_iteratorINS9_10device_ptrIiEEEESE_SE_iNS9_4plusIvEENS9_8equal_toIiEEiEE10hipError_tPvRmT2_T3_T4_T5_mT6_T7_P12ihipStream_tbENKUlT_T0_E_clISt17integral_constantIbLb1EESZ_EEDaSU_SV_EUlSU_E_NS1_11comp_targetILNS1_3genE10ELNS1_11target_archE1200ELNS1_3gpuE4ELNS1_3repE0EEENS1_30default_config_static_selectorELNS0_4arch9wavefront6targetE1EEEvT1_
		.amdhsa_group_segment_fixed_size 0
		.amdhsa_private_segment_fixed_size 0
		.amdhsa_kernarg_size 112
		.amdhsa_user_sgpr_count 2
		.amdhsa_user_sgpr_dispatch_ptr 0
		.amdhsa_user_sgpr_queue_ptr 0
		.amdhsa_user_sgpr_kernarg_segment_ptr 1
		.amdhsa_user_sgpr_dispatch_id 0
		.amdhsa_user_sgpr_kernarg_preload_length 0
		.amdhsa_user_sgpr_kernarg_preload_offset 0
		.amdhsa_user_sgpr_private_segment_size 0
		.amdhsa_uses_dynamic_stack 0
		.amdhsa_enable_private_segment 0
		.amdhsa_system_sgpr_workgroup_id_x 1
		.amdhsa_system_sgpr_workgroup_id_y 0
		.amdhsa_system_sgpr_workgroup_id_z 0
		.amdhsa_system_sgpr_workgroup_info 0
		.amdhsa_system_vgpr_workitem_id 0
		.amdhsa_next_free_vgpr 1
		.amdhsa_next_free_sgpr 0
		.amdhsa_accum_offset 4
		.amdhsa_reserve_vcc 0
		.amdhsa_float_round_mode_32 0
		.amdhsa_float_round_mode_16_64 0
		.amdhsa_float_denorm_mode_32 3
		.amdhsa_float_denorm_mode_16_64 3
		.amdhsa_dx10_clamp 1
		.amdhsa_ieee_mode 1
		.amdhsa_fp16_overflow 0
		.amdhsa_tg_split 0
		.amdhsa_exception_fp_ieee_invalid_op 0
		.amdhsa_exception_fp_denorm_src 0
		.amdhsa_exception_fp_ieee_div_zero 0
		.amdhsa_exception_fp_ieee_overflow 0
		.amdhsa_exception_fp_ieee_underflow 0
		.amdhsa_exception_fp_ieee_inexact 0
		.amdhsa_exception_int_div_zero 0
	.end_amdhsa_kernel
	.section	.text._ZN7rocprim17ROCPRIM_400000_NS6detail17trampoline_kernelINS0_14default_configENS1_27scan_by_key_config_selectorIiiEEZZNS1_16scan_by_key_implILNS1_25lookback_scan_determinismE0ELb0ES3_N6thrust23THRUST_200600_302600_NS6detail15normal_iteratorINS9_10device_ptrIiEEEESE_SE_iNS9_4plusIvEENS9_8equal_toIiEEiEE10hipError_tPvRmT2_T3_T4_T5_mT6_T7_P12ihipStream_tbENKUlT_T0_E_clISt17integral_constantIbLb1EESZ_EEDaSU_SV_EUlSU_E_NS1_11comp_targetILNS1_3genE10ELNS1_11target_archE1200ELNS1_3gpuE4ELNS1_3repE0EEENS1_30default_config_static_selectorELNS0_4arch9wavefront6targetE1EEEvT1_,"axG",@progbits,_ZN7rocprim17ROCPRIM_400000_NS6detail17trampoline_kernelINS0_14default_configENS1_27scan_by_key_config_selectorIiiEEZZNS1_16scan_by_key_implILNS1_25lookback_scan_determinismE0ELb0ES3_N6thrust23THRUST_200600_302600_NS6detail15normal_iteratorINS9_10device_ptrIiEEEESE_SE_iNS9_4plusIvEENS9_8equal_toIiEEiEE10hipError_tPvRmT2_T3_T4_T5_mT6_T7_P12ihipStream_tbENKUlT_T0_E_clISt17integral_constantIbLb1EESZ_EEDaSU_SV_EUlSU_E_NS1_11comp_targetILNS1_3genE10ELNS1_11target_archE1200ELNS1_3gpuE4ELNS1_3repE0EEENS1_30default_config_static_selectorELNS0_4arch9wavefront6targetE1EEEvT1_,comdat
.Lfunc_end215:
	.size	_ZN7rocprim17ROCPRIM_400000_NS6detail17trampoline_kernelINS0_14default_configENS1_27scan_by_key_config_selectorIiiEEZZNS1_16scan_by_key_implILNS1_25lookback_scan_determinismE0ELb0ES3_N6thrust23THRUST_200600_302600_NS6detail15normal_iteratorINS9_10device_ptrIiEEEESE_SE_iNS9_4plusIvEENS9_8equal_toIiEEiEE10hipError_tPvRmT2_T3_T4_T5_mT6_T7_P12ihipStream_tbENKUlT_T0_E_clISt17integral_constantIbLb1EESZ_EEDaSU_SV_EUlSU_E_NS1_11comp_targetILNS1_3genE10ELNS1_11target_archE1200ELNS1_3gpuE4ELNS1_3repE0EEENS1_30default_config_static_selectorELNS0_4arch9wavefront6targetE1EEEvT1_, .Lfunc_end215-_ZN7rocprim17ROCPRIM_400000_NS6detail17trampoline_kernelINS0_14default_configENS1_27scan_by_key_config_selectorIiiEEZZNS1_16scan_by_key_implILNS1_25lookback_scan_determinismE0ELb0ES3_N6thrust23THRUST_200600_302600_NS6detail15normal_iteratorINS9_10device_ptrIiEEEESE_SE_iNS9_4plusIvEENS9_8equal_toIiEEiEE10hipError_tPvRmT2_T3_T4_T5_mT6_T7_P12ihipStream_tbENKUlT_T0_E_clISt17integral_constantIbLb1EESZ_EEDaSU_SV_EUlSU_E_NS1_11comp_targetILNS1_3genE10ELNS1_11target_archE1200ELNS1_3gpuE4ELNS1_3repE0EEENS1_30default_config_static_selectorELNS0_4arch9wavefront6targetE1EEEvT1_
                                        ; -- End function
	.section	.AMDGPU.csdata,"",@progbits
; Kernel info:
; codeLenInByte = 0
; NumSgprs: 6
; NumVgprs: 0
; NumAgprs: 0
; TotalNumVgprs: 0
; ScratchSize: 0
; MemoryBound: 0
; FloatMode: 240
; IeeeMode: 1
; LDSByteSize: 0 bytes/workgroup (compile time only)
; SGPRBlocks: 0
; VGPRBlocks: 0
; NumSGPRsForWavesPerEU: 6
; NumVGPRsForWavesPerEU: 1
; AccumOffset: 4
; Occupancy: 8
; WaveLimiterHint : 0
; COMPUTE_PGM_RSRC2:SCRATCH_EN: 0
; COMPUTE_PGM_RSRC2:USER_SGPR: 2
; COMPUTE_PGM_RSRC2:TRAP_HANDLER: 0
; COMPUTE_PGM_RSRC2:TGID_X_EN: 1
; COMPUTE_PGM_RSRC2:TGID_Y_EN: 0
; COMPUTE_PGM_RSRC2:TGID_Z_EN: 0
; COMPUTE_PGM_RSRC2:TIDIG_COMP_CNT: 0
; COMPUTE_PGM_RSRC3_GFX90A:ACCUM_OFFSET: 0
; COMPUTE_PGM_RSRC3_GFX90A:TG_SPLIT: 0
	.section	.text._ZN7rocprim17ROCPRIM_400000_NS6detail17trampoline_kernelINS0_14default_configENS1_27scan_by_key_config_selectorIiiEEZZNS1_16scan_by_key_implILNS1_25lookback_scan_determinismE0ELb0ES3_N6thrust23THRUST_200600_302600_NS6detail15normal_iteratorINS9_10device_ptrIiEEEESE_SE_iNS9_4plusIvEENS9_8equal_toIiEEiEE10hipError_tPvRmT2_T3_T4_T5_mT6_T7_P12ihipStream_tbENKUlT_T0_E_clISt17integral_constantIbLb1EESZ_EEDaSU_SV_EUlSU_E_NS1_11comp_targetILNS1_3genE9ELNS1_11target_archE1100ELNS1_3gpuE3ELNS1_3repE0EEENS1_30default_config_static_selectorELNS0_4arch9wavefront6targetE1EEEvT1_,"axG",@progbits,_ZN7rocprim17ROCPRIM_400000_NS6detail17trampoline_kernelINS0_14default_configENS1_27scan_by_key_config_selectorIiiEEZZNS1_16scan_by_key_implILNS1_25lookback_scan_determinismE0ELb0ES3_N6thrust23THRUST_200600_302600_NS6detail15normal_iteratorINS9_10device_ptrIiEEEESE_SE_iNS9_4plusIvEENS9_8equal_toIiEEiEE10hipError_tPvRmT2_T3_T4_T5_mT6_T7_P12ihipStream_tbENKUlT_T0_E_clISt17integral_constantIbLb1EESZ_EEDaSU_SV_EUlSU_E_NS1_11comp_targetILNS1_3genE9ELNS1_11target_archE1100ELNS1_3gpuE3ELNS1_3repE0EEENS1_30default_config_static_selectorELNS0_4arch9wavefront6targetE1EEEvT1_,comdat
	.protected	_ZN7rocprim17ROCPRIM_400000_NS6detail17trampoline_kernelINS0_14default_configENS1_27scan_by_key_config_selectorIiiEEZZNS1_16scan_by_key_implILNS1_25lookback_scan_determinismE0ELb0ES3_N6thrust23THRUST_200600_302600_NS6detail15normal_iteratorINS9_10device_ptrIiEEEESE_SE_iNS9_4plusIvEENS9_8equal_toIiEEiEE10hipError_tPvRmT2_T3_T4_T5_mT6_T7_P12ihipStream_tbENKUlT_T0_E_clISt17integral_constantIbLb1EESZ_EEDaSU_SV_EUlSU_E_NS1_11comp_targetILNS1_3genE9ELNS1_11target_archE1100ELNS1_3gpuE3ELNS1_3repE0EEENS1_30default_config_static_selectorELNS0_4arch9wavefront6targetE1EEEvT1_ ; -- Begin function _ZN7rocprim17ROCPRIM_400000_NS6detail17trampoline_kernelINS0_14default_configENS1_27scan_by_key_config_selectorIiiEEZZNS1_16scan_by_key_implILNS1_25lookback_scan_determinismE0ELb0ES3_N6thrust23THRUST_200600_302600_NS6detail15normal_iteratorINS9_10device_ptrIiEEEESE_SE_iNS9_4plusIvEENS9_8equal_toIiEEiEE10hipError_tPvRmT2_T3_T4_T5_mT6_T7_P12ihipStream_tbENKUlT_T0_E_clISt17integral_constantIbLb1EESZ_EEDaSU_SV_EUlSU_E_NS1_11comp_targetILNS1_3genE9ELNS1_11target_archE1100ELNS1_3gpuE3ELNS1_3repE0EEENS1_30default_config_static_selectorELNS0_4arch9wavefront6targetE1EEEvT1_
	.globl	_ZN7rocprim17ROCPRIM_400000_NS6detail17trampoline_kernelINS0_14default_configENS1_27scan_by_key_config_selectorIiiEEZZNS1_16scan_by_key_implILNS1_25lookback_scan_determinismE0ELb0ES3_N6thrust23THRUST_200600_302600_NS6detail15normal_iteratorINS9_10device_ptrIiEEEESE_SE_iNS9_4plusIvEENS9_8equal_toIiEEiEE10hipError_tPvRmT2_T3_T4_T5_mT6_T7_P12ihipStream_tbENKUlT_T0_E_clISt17integral_constantIbLb1EESZ_EEDaSU_SV_EUlSU_E_NS1_11comp_targetILNS1_3genE9ELNS1_11target_archE1100ELNS1_3gpuE3ELNS1_3repE0EEENS1_30default_config_static_selectorELNS0_4arch9wavefront6targetE1EEEvT1_
	.p2align	8
	.type	_ZN7rocprim17ROCPRIM_400000_NS6detail17trampoline_kernelINS0_14default_configENS1_27scan_by_key_config_selectorIiiEEZZNS1_16scan_by_key_implILNS1_25lookback_scan_determinismE0ELb0ES3_N6thrust23THRUST_200600_302600_NS6detail15normal_iteratorINS9_10device_ptrIiEEEESE_SE_iNS9_4plusIvEENS9_8equal_toIiEEiEE10hipError_tPvRmT2_T3_T4_T5_mT6_T7_P12ihipStream_tbENKUlT_T0_E_clISt17integral_constantIbLb1EESZ_EEDaSU_SV_EUlSU_E_NS1_11comp_targetILNS1_3genE9ELNS1_11target_archE1100ELNS1_3gpuE3ELNS1_3repE0EEENS1_30default_config_static_selectorELNS0_4arch9wavefront6targetE1EEEvT1_,@function
_ZN7rocprim17ROCPRIM_400000_NS6detail17trampoline_kernelINS0_14default_configENS1_27scan_by_key_config_selectorIiiEEZZNS1_16scan_by_key_implILNS1_25lookback_scan_determinismE0ELb0ES3_N6thrust23THRUST_200600_302600_NS6detail15normal_iteratorINS9_10device_ptrIiEEEESE_SE_iNS9_4plusIvEENS9_8equal_toIiEEiEE10hipError_tPvRmT2_T3_T4_T5_mT6_T7_P12ihipStream_tbENKUlT_T0_E_clISt17integral_constantIbLb1EESZ_EEDaSU_SV_EUlSU_E_NS1_11comp_targetILNS1_3genE9ELNS1_11target_archE1100ELNS1_3gpuE3ELNS1_3repE0EEENS1_30default_config_static_selectorELNS0_4arch9wavefront6targetE1EEEvT1_: ; @_ZN7rocprim17ROCPRIM_400000_NS6detail17trampoline_kernelINS0_14default_configENS1_27scan_by_key_config_selectorIiiEEZZNS1_16scan_by_key_implILNS1_25lookback_scan_determinismE0ELb0ES3_N6thrust23THRUST_200600_302600_NS6detail15normal_iteratorINS9_10device_ptrIiEEEESE_SE_iNS9_4plusIvEENS9_8equal_toIiEEiEE10hipError_tPvRmT2_T3_T4_T5_mT6_T7_P12ihipStream_tbENKUlT_T0_E_clISt17integral_constantIbLb1EESZ_EEDaSU_SV_EUlSU_E_NS1_11comp_targetILNS1_3genE9ELNS1_11target_archE1100ELNS1_3gpuE3ELNS1_3repE0EEENS1_30default_config_static_selectorELNS0_4arch9wavefront6targetE1EEEvT1_
; %bb.0:
	.section	.rodata,"a",@progbits
	.p2align	6, 0x0
	.amdhsa_kernel _ZN7rocprim17ROCPRIM_400000_NS6detail17trampoline_kernelINS0_14default_configENS1_27scan_by_key_config_selectorIiiEEZZNS1_16scan_by_key_implILNS1_25lookback_scan_determinismE0ELb0ES3_N6thrust23THRUST_200600_302600_NS6detail15normal_iteratorINS9_10device_ptrIiEEEESE_SE_iNS9_4plusIvEENS9_8equal_toIiEEiEE10hipError_tPvRmT2_T3_T4_T5_mT6_T7_P12ihipStream_tbENKUlT_T0_E_clISt17integral_constantIbLb1EESZ_EEDaSU_SV_EUlSU_E_NS1_11comp_targetILNS1_3genE9ELNS1_11target_archE1100ELNS1_3gpuE3ELNS1_3repE0EEENS1_30default_config_static_selectorELNS0_4arch9wavefront6targetE1EEEvT1_
		.amdhsa_group_segment_fixed_size 0
		.amdhsa_private_segment_fixed_size 0
		.amdhsa_kernarg_size 112
		.amdhsa_user_sgpr_count 2
		.amdhsa_user_sgpr_dispatch_ptr 0
		.amdhsa_user_sgpr_queue_ptr 0
		.amdhsa_user_sgpr_kernarg_segment_ptr 1
		.amdhsa_user_sgpr_dispatch_id 0
		.amdhsa_user_sgpr_kernarg_preload_length 0
		.amdhsa_user_sgpr_kernarg_preload_offset 0
		.amdhsa_user_sgpr_private_segment_size 0
		.amdhsa_uses_dynamic_stack 0
		.amdhsa_enable_private_segment 0
		.amdhsa_system_sgpr_workgroup_id_x 1
		.amdhsa_system_sgpr_workgroup_id_y 0
		.amdhsa_system_sgpr_workgroup_id_z 0
		.amdhsa_system_sgpr_workgroup_info 0
		.amdhsa_system_vgpr_workitem_id 0
		.amdhsa_next_free_vgpr 1
		.amdhsa_next_free_sgpr 0
		.amdhsa_accum_offset 4
		.amdhsa_reserve_vcc 0
		.amdhsa_float_round_mode_32 0
		.amdhsa_float_round_mode_16_64 0
		.amdhsa_float_denorm_mode_32 3
		.amdhsa_float_denorm_mode_16_64 3
		.amdhsa_dx10_clamp 1
		.amdhsa_ieee_mode 1
		.amdhsa_fp16_overflow 0
		.amdhsa_tg_split 0
		.amdhsa_exception_fp_ieee_invalid_op 0
		.amdhsa_exception_fp_denorm_src 0
		.amdhsa_exception_fp_ieee_div_zero 0
		.amdhsa_exception_fp_ieee_overflow 0
		.amdhsa_exception_fp_ieee_underflow 0
		.amdhsa_exception_fp_ieee_inexact 0
		.amdhsa_exception_int_div_zero 0
	.end_amdhsa_kernel
	.section	.text._ZN7rocprim17ROCPRIM_400000_NS6detail17trampoline_kernelINS0_14default_configENS1_27scan_by_key_config_selectorIiiEEZZNS1_16scan_by_key_implILNS1_25lookback_scan_determinismE0ELb0ES3_N6thrust23THRUST_200600_302600_NS6detail15normal_iteratorINS9_10device_ptrIiEEEESE_SE_iNS9_4plusIvEENS9_8equal_toIiEEiEE10hipError_tPvRmT2_T3_T4_T5_mT6_T7_P12ihipStream_tbENKUlT_T0_E_clISt17integral_constantIbLb1EESZ_EEDaSU_SV_EUlSU_E_NS1_11comp_targetILNS1_3genE9ELNS1_11target_archE1100ELNS1_3gpuE3ELNS1_3repE0EEENS1_30default_config_static_selectorELNS0_4arch9wavefront6targetE1EEEvT1_,"axG",@progbits,_ZN7rocprim17ROCPRIM_400000_NS6detail17trampoline_kernelINS0_14default_configENS1_27scan_by_key_config_selectorIiiEEZZNS1_16scan_by_key_implILNS1_25lookback_scan_determinismE0ELb0ES3_N6thrust23THRUST_200600_302600_NS6detail15normal_iteratorINS9_10device_ptrIiEEEESE_SE_iNS9_4plusIvEENS9_8equal_toIiEEiEE10hipError_tPvRmT2_T3_T4_T5_mT6_T7_P12ihipStream_tbENKUlT_T0_E_clISt17integral_constantIbLb1EESZ_EEDaSU_SV_EUlSU_E_NS1_11comp_targetILNS1_3genE9ELNS1_11target_archE1100ELNS1_3gpuE3ELNS1_3repE0EEENS1_30default_config_static_selectorELNS0_4arch9wavefront6targetE1EEEvT1_,comdat
.Lfunc_end216:
	.size	_ZN7rocprim17ROCPRIM_400000_NS6detail17trampoline_kernelINS0_14default_configENS1_27scan_by_key_config_selectorIiiEEZZNS1_16scan_by_key_implILNS1_25lookback_scan_determinismE0ELb0ES3_N6thrust23THRUST_200600_302600_NS6detail15normal_iteratorINS9_10device_ptrIiEEEESE_SE_iNS9_4plusIvEENS9_8equal_toIiEEiEE10hipError_tPvRmT2_T3_T4_T5_mT6_T7_P12ihipStream_tbENKUlT_T0_E_clISt17integral_constantIbLb1EESZ_EEDaSU_SV_EUlSU_E_NS1_11comp_targetILNS1_3genE9ELNS1_11target_archE1100ELNS1_3gpuE3ELNS1_3repE0EEENS1_30default_config_static_selectorELNS0_4arch9wavefront6targetE1EEEvT1_, .Lfunc_end216-_ZN7rocprim17ROCPRIM_400000_NS6detail17trampoline_kernelINS0_14default_configENS1_27scan_by_key_config_selectorIiiEEZZNS1_16scan_by_key_implILNS1_25lookback_scan_determinismE0ELb0ES3_N6thrust23THRUST_200600_302600_NS6detail15normal_iteratorINS9_10device_ptrIiEEEESE_SE_iNS9_4plusIvEENS9_8equal_toIiEEiEE10hipError_tPvRmT2_T3_T4_T5_mT6_T7_P12ihipStream_tbENKUlT_T0_E_clISt17integral_constantIbLb1EESZ_EEDaSU_SV_EUlSU_E_NS1_11comp_targetILNS1_3genE9ELNS1_11target_archE1100ELNS1_3gpuE3ELNS1_3repE0EEENS1_30default_config_static_selectorELNS0_4arch9wavefront6targetE1EEEvT1_
                                        ; -- End function
	.section	.AMDGPU.csdata,"",@progbits
; Kernel info:
; codeLenInByte = 0
; NumSgprs: 6
; NumVgprs: 0
; NumAgprs: 0
; TotalNumVgprs: 0
; ScratchSize: 0
; MemoryBound: 0
; FloatMode: 240
; IeeeMode: 1
; LDSByteSize: 0 bytes/workgroup (compile time only)
; SGPRBlocks: 0
; VGPRBlocks: 0
; NumSGPRsForWavesPerEU: 6
; NumVGPRsForWavesPerEU: 1
; AccumOffset: 4
; Occupancy: 8
; WaveLimiterHint : 0
; COMPUTE_PGM_RSRC2:SCRATCH_EN: 0
; COMPUTE_PGM_RSRC2:USER_SGPR: 2
; COMPUTE_PGM_RSRC2:TRAP_HANDLER: 0
; COMPUTE_PGM_RSRC2:TGID_X_EN: 1
; COMPUTE_PGM_RSRC2:TGID_Y_EN: 0
; COMPUTE_PGM_RSRC2:TGID_Z_EN: 0
; COMPUTE_PGM_RSRC2:TIDIG_COMP_CNT: 0
; COMPUTE_PGM_RSRC3_GFX90A:ACCUM_OFFSET: 0
; COMPUTE_PGM_RSRC3_GFX90A:TG_SPLIT: 0
	.section	.text._ZN7rocprim17ROCPRIM_400000_NS6detail17trampoline_kernelINS0_14default_configENS1_27scan_by_key_config_selectorIiiEEZZNS1_16scan_by_key_implILNS1_25lookback_scan_determinismE0ELb0ES3_N6thrust23THRUST_200600_302600_NS6detail15normal_iteratorINS9_10device_ptrIiEEEESE_SE_iNS9_4plusIvEENS9_8equal_toIiEEiEE10hipError_tPvRmT2_T3_T4_T5_mT6_T7_P12ihipStream_tbENKUlT_T0_E_clISt17integral_constantIbLb1EESZ_EEDaSU_SV_EUlSU_E_NS1_11comp_targetILNS1_3genE8ELNS1_11target_archE1030ELNS1_3gpuE2ELNS1_3repE0EEENS1_30default_config_static_selectorELNS0_4arch9wavefront6targetE1EEEvT1_,"axG",@progbits,_ZN7rocprim17ROCPRIM_400000_NS6detail17trampoline_kernelINS0_14default_configENS1_27scan_by_key_config_selectorIiiEEZZNS1_16scan_by_key_implILNS1_25lookback_scan_determinismE0ELb0ES3_N6thrust23THRUST_200600_302600_NS6detail15normal_iteratorINS9_10device_ptrIiEEEESE_SE_iNS9_4plusIvEENS9_8equal_toIiEEiEE10hipError_tPvRmT2_T3_T4_T5_mT6_T7_P12ihipStream_tbENKUlT_T0_E_clISt17integral_constantIbLb1EESZ_EEDaSU_SV_EUlSU_E_NS1_11comp_targetILNS1_3genE8ELNS1_11target_archE1030ELNS1_3gpuE2ELNS1_3repE0EEENS1_30default_config_static_selectorELNS0_4arch9wavefront6targetE1EEEvT1_,comdat
	.protected	_ZN7rocprim17ROCPRIM_400000_NS6detail17trampoline_kernelINS0_14default_configENS1_27scan_by_key_config_selectorIiiEEZZNS1_16scan_by_key_implILNS1_25lookback_scan_determinismE0ELb0ES3_N6thrust23THRUST_200600_302600_NS6detail15normal_iteratorINS9_10device_ptrIiEEEESE_SE_iNS9_4plusIvEENS9_8equal_toIiEEiEE10hipError_tPvRmT2_T3_T4_T5_mT6_T7_P12ihipStream_tbENKUlT_T0_E_clISt17integral_constantIbLb1EESZ_EEDaSU_SV_EUlSU_E_NS1_11comp_targetILNS1_3genE8ELNS1_11target_archE1030ELNS1_3gpuE2ELNS1_3repE0EEENS1_30default_config_static_selectorELNS0_4arch9wavefront6targetE1EEEvT1_ ; -- Begin function _ZN7rocprim17ROCPRIM_400000_NS6detail17trampoline_kernelINS0_14default_configENS1_27scan_by_key_config_selectorIiiEEZZNS1_16scan_by_key_implILNS1_25lookback_scan_determinismE0ELb0ES3_N6thrust23THRUST_200600_302600_NS6detail15normal_iteratorINS9_10device_ptrIiEEEESE_SE_iNS9_4plusIvEENS9_8equal_toIiEEiEE10hipError_tPvRmT2_T3_T4_T5_mT6_T7_P12ihipStream_tbENKUlT_T0_E_clISt17integral_constantIbLb1EESZ_EEDaSU_SV_EUlSU_E_NS1_11comp_targetILNS1_3genE8ELNS1_11target_archE1030ELNS1_3gpuE2ELNS1_3repE0EEENS1_30default_config_static_selectorELNS0_4arch9wavefront6targetE1EEEvT1_
	.globl	_ZN7rocprim17ROCPRIM_400000_NS6detail17trampoline_kernelINS0_14default_configENS1_27scan_by_key_config_selectorIiiEEZZNS1_16scan_by_key_implILNS1_25lookback_scan_determinismE0ELb0ES3_N6thrust23THRUST_200600_302600_NS6detail15normal_iteratorINS9_10device_ptrIiEEEESE_SE_iNS9_4plusIvEENS9_8equal_toIiEEiEE10hipError_tPvRmT2_T3_T4_T5_mT6_T7_P12ihipStream_tbENKUlT_T0_E_clISt17integral_constantIbLb1EESZ_EEDaSU_SV_EUlSU_E_NS1_11comp_targetILNS1_3genE8ELNS1_11target_archE1030ELNS1_3gpuE2ELNS1_3repE0EEENS1_30default_config_static_selectorELNS0_4arch9wavefront6targetE1EEEvT1_
	.p2align	8
	.type	_ZN7rocprim17ROCPRIM_400000_NS6detail17trampoline_kernelINS0_14default_configENS1_27scan_by_key_config_selectorIiiEEZZNS1_16scan_by_key_implILNS1_25lookback_scan_determinismE0ELb0ES3_N6thrust23THRUST_200600_302600_NS6detail15normal_iteratorINS9_10device_ptrIiEEEESE_SE_iNS9_4plusIvEENS9_8equal_toIiEEiEE10hipError_tPvRmT2_T3_T4_T5_mT6_T7_P12ihipStream_tbENKUlT_T0_E_clISt17integral_constantIbLb1EESZ_EEDaSU_SV_EUlSU_E_NS1_11comp_targetILNS1_3genE8ELNS1_11target_archE1030ELNS1_3gpuE2ELNS1_3repE0EEENS1_30default_config_static_selectorELNS0_4arch9wavefront6targetE1EEEvT1_,@function
_ZN7rocprim17ROCPRIM_400000_NS6detail17trampoline_kernelINS0_14default_configENS1_27scan_by_key_config_selectorIiiEEZZNS1_16scan_by_key_implILNS1_25lookback_scan_determinismE0ELb0ES3_N6thrust23THRUST_200600_302600_NS6detail15normal_iteratorINS9_10device_ptrIiEEEESE_SE_iNS9_4plusIvEENS9_8equal_toIiEEiEE10hipError_tPvRmT2_T3_T4_T5_mT6_T7_P12ihipStream_tbENKUlT_T0_E_clISt17integral_constantIbLb1EESZ_EEDaSU_SV_EUlSU_E_NS1_11comp_targetILNS1_3genE8ELNS1_11target_archE1030ELNS1_3gpuE2ELNS1_3repE0EEENS1_30default_config_static_selectorELNS0_4arch9wavefront6targetE1EEEvT1_: ; @_ZN7rocprim17ROCPRIM_400000_NS6detail17trampoline_kernelINS0_14default_configENS1_27scan_by_key_config_selectorIiiEEZZNS1_16scan_by_key_implILNS1_25lookback_scan_determinismE0ELb0ES3_N6thrust23THRUST_200600_302600_NS6detail15normal_iteratorINS9_10device_ptrIiEEEESE_SE_iNS9_4plusIvEENS9_8equal_toIiEEiEE10hipError_tPvRmT2_T3_T4_T5_mT6_T7_P12ihipStream_tbENKUlT_T0_E_clISt17integral_constantIbLb1EESZ_EEDaSU_SV_EUlSU_E_NS1_11comp_targetILNS1_3genE8ELNS1_11target_archE1030ELNS1_3gpuE2ELNS1_3repE0EEENS1_30default_config_static_selectorELNS0_4arch9wavefront6targetE1EEEvT1_
; %bb.0:
	.section	.rodata,"a",@progbits
	.p2align	6, 0x0
	.amdhsa_kernel _ZN7rocprim17ROCPRIM_400000_NS6detail17trampoline_kernelINS0_14default_configENS1_27scan_by_key_config_selectorIiiEEZZNS1_16scan_by_key_implILNS1_25lookback_scan_determinismE0ELb0ES3_N6thrust23THRUST_200600_302600_NS6detail15normal_iteratorINS9_10device_ptrIiEEEESE_SE_iNS9_4plusIvEENS9_8equal_toIiEEiEE10hipError_tPvRmT2_T3_T4_T5_mT6_T7_P12ihipStream_tbENKUlT_T0_E_clISt17integral_constantIbLb1EESZ_EEDaSU_SV_EUlSU_E_NS1_11comp_targetILNS1_3genE8ELNS1_11target_archE1030ELNS1_3gpuE2ELNS1_3repE0EEENS1_30default_config_static_selectorELNS0_4arch9wavefront6targetE1EEEvT1_
		.amdhsa_group_segment_fixed_size 0
		.amdhsa_private_segment_fixed_size 0
		.amdhsa_kernarg_size 112
		.amdhsa_user_sgpr_count 2
		.amdhsa_user_sgpr_dispatch_ptr 0
		.amdhsa_user_sgpr_queue_ptr 0
		.amdhsa_user_sgpr_kernarg_segment_ptr 1
		.amdhsa_user_sgpr_dispatch_id 0
		.amdhsa_user_sgpr_kernarg_preload_length 0
		.amdhsa_user_sgpr_kernarg_preload_offset 0
		.amdhsa_user_sgpr_private_segment_size 0
		.amdhsa_uses_dynamic_stack 0
		.amdhsa_enable_private_segment 0
		.amdhsa_system_sgpr_workgroup_id_x 1
		.amdhsa_system_sgpr_workgroup_id_y 0
		.amdhsa_system_sgpr_workgroup_id_z 0
		.amdhsa_system_sgpr_workgroup_info 0
		.amdhsa_system_vgpr_workitem_id 0
		.amdhsa_next_free_vgpr 1
		.amdhsa_next_free_sgpr 0
		.amdhsa_accum_offset 4
		.amdhsa_reserve_vcc 0
		.amdhsa_float_round_mode_32 0
		.amdhsa_float_round_mode_16_64 0
		.amdhsa_float_denorm_mode_32 3
		.amdhsa_float_denorm_mode_16_64 3
		.amdhsa_dx10_clamp 1
		.amdhsa_ieee_mode 1
		.amdhsa_fp16_overflow 0
		.amdhsa_tg_split 0
		.amdhsa_exception_fp_ieee_invalid_op 0
		.amdhsa_exception_fp_denorm_src 0
		.amdhsa_exception_fp_ieee_div_zero 0
		.amdhsa_exception_fp_ieee_overflow 0
		.amdhsa_exception_fp_ieee_underflow 0
		.amdhsa_exception_fp_ieee_inexact 0
		.amdhsa_exception_int_div_zero 0
	.end_amdhsa_kernel
	.section	.text._ZN7rocprim17ROCPRIM_400000_NS6detail17trampoline_kernelINS0_14default_configENS1_27scan_by_key_config_selectorIiiEEZZNS1_16scan_by_key_implILNS1_25lookback_scan_determinismE0ELb0ES3_N6thrust23THRUST_200600_302600_NS6detail15normal_iteratorINS9_10device_ptrIiEEEESE_SE_iNS9_4plusIvEENS9_8equal_toIiEEiEE10hipError_tPvRmT2_T3_T4_T5_mT6_T7_P12ihipStream_tbENKUlT_T0_E_clISt17integral_constantIbLb1EESZ_EEDaSU_SV_EUlSU_E_NS1_11comp_targetILNS1_3genE8ELNS1_11target_archE1030ELNS1_3gpuE2ELNS1_3repE0EEENS1_30default_config_static_selectorELNS0_4arch9wavefront6targetE1EEEvT1_,"axG",@progbits,_ZN7rocprim17ROCPRIM_400000_NS6detail17trampoline_kernelINS0_14default_configENS1_27scan_by_key_config_selectorIiiEEZZNS1_16scan_by_key_implILNS1_25lookback_scan_determinismE0ELb0ES3_N6thrust23THRUST_200600_302600_NS6detail15normal_iteratorINS9_10device_ptrIiEEEESE_SE_iNS9_4plusIvEENS9_8equal_toIiEEiEE10hipError_tPvRmT2_T3_T4_T5_mT6_T7_P12ihipStream_tbENKUlT_T0_E_clISt17integral_constantIbLb1EESZ_EEDaSU_SV_EUlSU_E_NS1_11comp_targetILNS1_3genE8ELNS1_11target_archE1030ELNS1_3gpuE2ELNS1_3repE0EEENS1_30default_config_static_selectorELNS0_4arch9wavefront6targetE1EEEvT1_,comdat
.Lfunc_end217:
	.size	_ZN7rocprim17ROCPRIM_400000_NS6detail17trampoline_kernelINS0_14default_configENS1_27scan_by_key_config_selectorIiiEEZZNS1_16scan_by_key_implILNS1_25lookback_scan_determinismE0ELb0ES3_N6thrust23THRUST_200600_302600_NS6detail15normal_iteratorINS9_10device_ptrIiEEEESE_SE_iNS9_4plusIvEENS9_8equal_toIiEEiEE10hipError_tPvRmT2_T3_T4_T5_mT6_T7_P12ihipStream_tbENKUlT_T0_E_clISt17integral_constantIbLb1EESZ_EEDaSU_SV_EUlSU_E_NS1_11comp_targetILNS1_3genE8ELNS1_11target_archE1030ELNS1_3gpuE2ELNS1_3repE0EEENS1_30default_config_static_selectorELNS0_4arch9wavefront6targetE1EEEvT1_, .Lfunc_end217-_ZN7rocprim17ROCPRIM_400000_NS6detail17trampoline_kernelINS0_14default_configENS1_27scan_by_key_config_selectorIiiEEZZNS1_16scan_by_key_implILNS1_25lookback_scan_determinismE0ELb0ES3_N6thrust23THRUST_200600_302600_NS6detail15normal_iteratorINS9_10device_ptrIiEEEESE_SE_iNS9_4plusIvEENS9_8equal_toIiEEiEE10hipError_tPvRmT2_T3_T4_T5_mT6_T7_P12ihipStream_tbENKUlT_T0_E_clISt17integral_constantIbLb1EESZ_EEDaSU_SV_EUlSU_E_NS1_11comp_targetILNS1_3genE8ELNS1_11target_archE1030ELNS1_3gpuE2ELNS1_3repE0EEENS1_30default_config_static_selectorELNS0_4arch9wavefront6targetE1EEEvT1_
                                        ; -- End function
	.section	.AMDGPU.csdata,"",@progbits
; Kernel info:
; codeLenInByte = 0
; NumSgprs: 6
; NumVgprs: 0
; NumAgprs: 0
; TotalNumVgprs: 0
; ScratchSize: 0
; MemoryBound: 0
; FloatMode: 240
; IeeeMode: 1
; LDSByteSize: 0 bytes/workgroup (compile time only)
; SGPRBlocks: 0
; VGPRBlocks: 0
; NumSGPRsForWavesPerEU: 6
; NumVGPRsForWavesPerEU: 1
; AccumOffset: 4
; Occupancy: 8
; WaveLimiterHint : 0
; COMPUTE_PGM_RSRC2:SCRATCH_EN: 0
; COMPUTE_PGM_RSRC2:USER_SGPR: 2
; COMPUTE_PGM_RSRC2:TRAP_HANDLER: 0
; COMPUTE_PGM_RSRC2:TGID_X_EN: 1
; COMPUTE_PGM_RSRC2:TGID_Y_EN: 0
; COMPUTE_PGM_RSRC2:TGID_Z_EN: 0
; COMPUTE_PGM_RSRC2:TIDIG_COMP_CNT: 0
; COMPUTE_PGM_RSRC3_GFX90A:ACCUM_OFFSET: 0
; COMPUTE_PGM_RSRC3_GFX90A:TG_SPLIT: 0
	.section	.text._ZN7rocprim17ROCPRIM_400000_NS6detail17trampoline_kernelINS0_14default_configENS1_27scan_by_key_config_selectorIiiEEZZNS1_16scan_by_key_implILNS1_25lookback_scan_determinismE0ELb0ES3_N6thrust23THRUST_200600_302600_NS6detail15normal_iteratorINS9_10device_ptrIiEEEESE_SE_iNS9_4plusIvEENS9_8equal_toIiEEiEE10hipError_tPvRmT2_T3_T4_T5_mT6_T7_P12ihipStream_tbENKUlT_T0_E_clISt17integral_constantIbLb1EESY_IbLb0EEEEDaSU_SV_EUlSU_E_NS1_11comp_targetILNS1_3genE0ELNS1_11target_archE4294967295ELNS1_3gpuE0ELNS1_3repE0EEENS1_30default_config_static_selectorELNS0_4arch9wavefront6targetE1EEEvT1_,"axG",@progbits,_ZN7rocprim17ROCPRIM_400000_NS6detail17trampoline_kernelINS0_14default_configENS1_27scan_by_key_config_selectorIiiEEZZNS1_16scan_by_key_implILNS1_25lookback_scan_determinismE0ELb0ES3_N6thrust23THRUST_200600_302600_NS6detail15normal_iteratorINS9_10device_ptrIiEEEESE_SE_iNS9_4plusIvEENS9_8equal_toIiEEiEE10hipError_tPvRmT2_T3_T4_T5_mT6_T7_P12ihipStream_tbENKUlT_T0_E_clISt17integral_constantIbLb1EESY_IbLb0EEEEDaSU_SV_EUlSU_E_NS1_11comp_targetILNS1_3genE0ELNS1_11target_archE4294967295ELNS1_3gpuE0ELNS1_3repE0EEENS1_30default_config_static_selectorELNS0_4arch9wavefront6targetE1EEEvT1_,comdat
	.protected	_ZN7rocprim17ROCPRIM_400000_NS6detail17trampoline_kernelINS0_14default_configENS1_27scan_by_key_config_selectorIiiEEZZNS1_16scan_by_key_implILNS1_25lookback_scan_determinismE0ELb0ES3_N6thrust23THRUST_200600_302600_NS6detail15normal_iteratorINS9_10device_ptrIiEEEESE_SE_iNS9_4plusIvEENS9_8equal_toIiEEiEE10hipError_tPvRmT2_T3_T4_T5_mT6_T7_P12ihipStream_tbENKUlT_T0_E_clISt17integral_constantIbLb1EESY_IbLb0EEEEDaSU_SV_EUlSU_E_NS1_11comp_targetILNS1_3genE0ELNS1_11target_archE4294967295ELNS1_3gpuE0ELNS1_3repE0EEENS1_30default_config_static_selectorELNS0_4arch9wavefront6targetE1EEEvT1_ ; -- Begin function _ZN7rocprim17ROCPRIM_400000_NS6detail17trampoline_kernelINS0_14default_configENS1_27scan_by_key_config_selectorIiiEEZZNS1_16scan_by_key_implILNS1_25lookback_scan_determinismE0ELb0ES3_N6thrust23THRUST_200600_302600_NS6detail15normal_iteratorINS9_10device_ptrIiEEEESE_SE_iNS9_4plusIvEENS9_8equal_toIiEEiEE10hipError_tPvRmT2_T3_T4_T5_mT6_T7_P12ihipStream_tbENKUlT_T0_E_clISt17integral_constantIbLb1EESY_IbLb0EEEEDaSU_SV_EUlSU_E_NS1_11comp_targetILNS1_3genE0ELNS1_11target_archE4294967295ELNS1_3gpuE0ELNS1_3repE0EEENS1_30default_config_static_selectorELNS0_4arch9wavefront6targetE1EEEvT1_
	.globl	_ZN7rocprim17ROCPRIM_400000_NS6detail17trampoline_kernelINS0_14default_configENS1_27scan_by_key_config_selectorIiiEEZZNS1_16scan_by_key_implILNS1_25lookback_scan_determinismE0ELb0ES3_N6thrust23THRUST_200600_302600_NS6detail15normal_iteratorINS9_10device_ptrIiEEEESE_SE_iNS9_4plusIvEENS9_8equal_toIiEEiEE10hipError_tPvRmT2_T3_T4_T5_mT6_T7_P12ihipStream_tbENKUlT_T0_E_clISt17integral_constantIbLb1EESY_IbLb0EEEEDaSU_SV_EUlSU_E_NS1_11comp_targetILNS1_3genE0ELNS1_11target_archE4294967295ELNS1_3gpuE0ELNS1_3repE0EEENS1_30default_config_static_selectorELNS0_4arch9wavefront6targetE1EEEvT1_
	.p2align	8
	.type	_ZN7rocprim17ROCPRIM_400000_NS6detail17trampoline_kernelINS0_14default_configENS1_27scan_by_key_config_selectorIiiEEZZNS1_16scan_by_key_implILNS1_25lookback_scan_determinismE0ELb0ES3_N6thrust23THRUST_200600_302600_NS6detail15normal_iteratorINS9_10device_ptrIiEEEESE_SE_iNS9_4plusIvEENS9_8equal_toIiEEiEE10hipError_tPvRmT2_T3_T4_T5_mT6_T7_P12ihipStream_tbENKUlT_T0_E_clISt17integral_constantIbLb1EESY_IbLb0EEEEDaSU_SV_EUlSU_E_NS1_11comp_targetILNS1_3genE0ELNS1_11target_archE4294967295ELNS1_3gpuE0ELNS1_3repE0EEENS1_30default_config_static_selectorELNS0_4arch9wavefront6targetE1EEEvT1_,@function
_ZN7rocprim17ROCPRIM_400000_NS6detail17trampoline_kernelINS0_14default_configENS1_27scan_by_key_config_selectorIiiEEZZNS1_16scan_by_key_implILNS1_25lookback_scan_determinismE0ELb0ES3_N6thrust23THRUST_200600_302600_NS6detail15normal_iteratorINS9_10device_ptrIiEEEESE_SE_iNS9_4plusIvEENS9_8equal_toIiEEiEE10hipError_tPvRmT2_T3_T4_T5_mT6_T7_P12ihipStream_tbENKUlT_T0_E_clISt17integral_constantIbLb1EESY_IbLb0EEEEDaSU_SV_EUlSU_E_NS1_11comp_targetILNS1_3genE0ELNS1_11target_archE4294967295ELNS1_3gpuE0ELNS1_3repE0EEENS1_30default_config_static_selectorELNS0_4arch9wavefront6targetE1EEEvT1_: ; @_ZN7rocprim17ROCPRIM_400000_NS6detail17trampoline_kernelINS0_14default_configENS1_27scan_by_key_config_selectorIiiEEZZNS1_16scan_by_key_implILNS1_25lookback_scan_determinismE0ELb0ES3_N6thrust23THRUST_200600_302600_NS6detail15normal_iteratorINS9_10device_ptrIiEEEESE_SE_iNS9_4plusIvEENS9_8equal_toIiEEiEE10hipError_tPvRmT2_T3_T4_T5_mT6_T7_P12ihipStream_tbENKUlT_T0_E_clISt17integral_constantIbLb1EESY_IbLb0EEEEDaSU_SV_EUlSU_E_NS1_11comp_targetILNS1_3genE0ELNS1_11target_archE4294967295ELNS1_3gpuE0ELNS1_3repE0EEENS1_30default_config_static_selectorELNS0_4arch9wavefront6targetE1EEEvT1_
; %bb.0:
	.section	.rodata,"a",@progbits
	.p2align	6, 0x0
	.amdhsa_kernel _ZN7rocprim17ROCPRIM_400000_NS6detail17trampoline_kernelINS0_14default_configENS1_27scan_by_key_config_selectorIiiEEZZNS1_16scan_by_key_implILNS1_25lookback_scan_determinismE0ELb0ES3_N6thrust23THRUST_200600_302600_NS6detail15normal_iteratorINS9_10device_ptrIiEEEESE_SE_iNS9_4plusIvEENS9_8equal_toIiEEiEE10hipError_tPvRmT2_T3_T4_T5_mT6_T7_P12ihipStream_tbENKUlT_T0_E_clISt17integral_constantIbLb1EESY_IbLb0EEEEDaSU_SV_EUlSU_E_NS1_11comp_targetILNS1_3genE0ELNS1_11target_archE4294967295ELNS1_3gpuE0ELNS1_3repE0EEENS1_30default_config_static_selectorELNS0_4arch9wavefront6targetE1EEEvT1_
		.amdhsa_group_segment_fixed_size 0
		.amdhsa_private_segment_fixed_size 0
		.amdhsa_kernarg_size 112
		.amdhsa_user_sgpr_count 2
		.amdhsa_user_sgpr_dispatch_ptr 0
		.amdhsa_user_sgpr_queue_ptr 0
		.amdhsa_user_sgpr_kernarg_segment_ptr 1
		.amdhsa_user_sgpr_dispatch_id 0
		.amdhsa_user_sgpr_kernarg_preload_length 0
		.amdhsa_user_sgpr_kernarg_preload_offset 0
		.amdhsa_user_sgpr_private_segment_size 0
		.amdhsa_uses_dynamic_stack 0
		.amdhsa_enable_private_segment 0
		.amdhsa_system_sgpr_workgroup_id_x 1
		.amdhsa_system_sgpr_workgroup_id_y 0
		.amdhsa_system_sgpr_workgroup_id_z 0
		.amdhsa_system_sgpr_workgroup_info 0
		.amdhsa_system_vgpr_workitem_id 0
		.amdhsa_next_free_vgpr 1
		.amdhsa_next_free_sgpr 0
		.amdhsa_accum_offset 4
		.amdhsa_reserve_vcc 0
		.amdhsa_float_round_mode_32 0
		.amdhsa_float_round_mode_16_64 0
		.amdhsa_float_denorm_mode_32 3
		.amdhsa_float_denorm_mode_16_64 3
		.amdhsa_dx10_clamp 1
		.amdhsa_ieee_mode 1
		.amdhsa_fp16_overflow 0
		.amdhsa_tg_split 0
		.amdhsa_exception_fp_ieee_invalid_op 0
		.amdhsa_exception_fp_denorm_src 0
		.amdhsa_exception_fp_ieee_div_zero 0
		.amdhsa_exception_fp_ieee_overflow 0
		.amdhsa_exception_fp_ieee_underflow 0
		.amdhsa_exception_fp_ieee_inexact 0
		.amdhsa_exception_int_div_zero 0
	.end_amdhsa_kernel
	.section	.text._ZN7rocprim17ROCPRIM_400000_NS6detail17trampoline_kernelINS0_14default_configENS1_27scan_by_key_config_selectorIiiEEZZNS1_16scan_by_key_implILNS1_25lookback_scan_determinismE0ELb0ES3_N6thrust23THRUST_200600_302600_NS6detail15normal_iteratorINS9_10device_ptrIiEEEESE_SE_iNS9_4plusIvEENS9_8equal_toIiEEiEE10hipError_tPvRmT2_T3_T4_T5_mT6_T7_P12ihipStream_tbENKUlT_T0_E_clISt17integral_constantIbLb1EESY_IbLb0EEEEDaSU_SV_EUlSU_E_NS1_11comp_targetILNS1_3genE0ELNS1_11target_archE4294967295ELNS1_3gpuE0ELNS1_3repE0EEENS1_30default_config_static_selectorELNS0_4arch9wavefront6targetE1EEEvT1_,"axG",@progbits,_ZN7rocprim17ROCPRIM_400000_NS6detail17trampoline_kernelINS0_14default_configENS1_27scan_by_key_config_selectorIiiEEZZNS1_16scan_by_key_implILNS1_25lookback_scan_determinismE0ELb0ES3_N6thrust23THRUST_200600_302600_NS6detail15normal_iteratorINS9_10device_ptrIiEEEESE_SE_iNS9_4plusIvEENS9_8equal_toIiEEiEE10hipError_tPvRmT2_T3_T4_T5_mT6_T7_P12ihipStream_tbENKUlT_T0_E_clISt17integral_constantIbLb1EESY_IbLb0EEEEDaSU_SV_EUlSU_E_NS1_11comp_targetILNS1_3genE0ELNS1_11target_archE4294967295ELNS1_3gpuE0ELNS1_3repE0EEENS1_30default_config_static_selectorELNS0_4arch9wavefront6targetE1EEEvT1_,comdat
.Lfunc_end218:
	.size	_ZN7rocprim17ROCPRIM_400000_NS6detail17trampoline_kernelINS0_14default_configENS1_27scan_by_key_config_selectorIiiEEZZNS1_16scan_by_key_implILNS1_25lookback_scan_determinismE0ELb0ES3_N6thrust23THRUST_200600_302600_NS6detail15normal_iteratorINS9_10device_ptrIiEEEESE_SE_iNS9_4plusIvEENS9_8equal_toIiEEiEE10hipError_tPvRmT2_T3_T4_T5_mT6_T7_P12ihipStream_tbENKUlT_T0_E_clISt17integral_constantIbLb1EESY_IbLb0EEEEDaSU_SV_EUlSU_E_NS1_11comp_targetILNS1_3genE0ELNS1_11target_archE4294967295ELNS1_3gpuE0ELNS1_3repE0EEENS1_30default_config_static_selectorELNS0_4arch9wavefront6targetE1EEEvT1_, .Lfunc_end218-_ZN7rocprim17ROCPRIM_400000_NS6detail17trampoline_kernelINS0_14default_configENS1_27scan_by_key_config_selectorIiiEEZZNS1_16scan_by_key_implILNS1_25lookback_scan_determinismE0ELb0ES3_N6thrust23THRUST_200600_302600_NS6detail15normal_iteratorINS9_10device_ptrIiEEEESE_SE_iNS9_4plusIvEENS9_8equal_toIiEEiEE10hipError_tPvRmT2_T3_T4_T5_mT6_T7_P12ihipStream_tbENKUlT_T0_E_clISt17integral_constantIbLb1EESY_IbLb0EEEEDaSU_SV_EUlSU_E_NS1_11comp_targetILNS1_3genE0ELNS1_11target_archE4294967295ELNS1_3gpuE0ELNS1_3repE0EEENS1_30default_config_static_selectorELNS0_4arch9wavefront6targetE1EEEvT1_
                                        ; -- End function
	.section	.AMDGPU.csdata,"",@progbits
; Kernel info:
; codeLenInByte = 0
; NumSgprs: 6
; NumVgprs: 0
; NumAgprs: 0
; TotalNumVgprs: 0
; ScratchSize: 0
; MemoryBound: 0
; FloatMode: 240
; IeeeMode: 1
; LDSByteSize: 0 bytes/workgroup (compile time only)
; SGPRBlocks: 0
; VGPRBlocks: 0
; NumSGPRsForWavesPerEU: 6
; NumVGPRsForWavesPerEU: 1
; AccumOffset: 4
; Occupancy: 8
; WaveLimiterHint : 0
; COMPUTE_PGM_RSRC2:SCRATCH_EN: 0
; COMPUTE_PGM_RSRC2:USER_SGPR: 2
; COMPUTE_PGM_RSRC2:TRAP_HANDLER: 0
; COMPUTE_PGM_RSRC2:TGID_X_EN: 1
; COMPUTE_PGM_RSRC2:TGID_Y_EN: 0
; COMPUTE_PGM_RSRC2:TGID_Z_EN: 0
; COMPUTE_PGM_RSRC2:TIDIG_COMP_CNT: 0
; COMPUTE_PGM_RSRC3_GFX90A:ACCUM_OFFSET: 0
; COMPUTE_PGM_RSRC3_GFX90A:TG_SPLIT: 0
	.section	.text._ZN7rocprim17ROCPRIM_400000_NS6detail17trampoline_kernelINS0_14default_configENS1_27scan_by_key_config_selectorIiiEEZZNS1_16scan_by_key_implILNS1_25lookback_scan_determinismE0ELb0ES3_N6thrust23THRUST_200600_302600_NS6detail15normal_iteratorINS9_10device_ptrIiEEEESE_SE_iNS9_4plusIvEENS9_8equal_toIiEEiEE10hipError_tPvRmT2_T3_T4_T5_mT6_T7_P12ihipStream_tbENKUlT_T0_E_clISt17integral_constantIbLb1EESY_IbLb0EEEEDaSU_SV_EUlSU_E_NS1_11comp_targetILNS1_3genE10ELNS1_11target_archE1201ELNS1_3gpuE5ELNS1_3repE0EEENS1_30default_config_static_selectorELNS0_4arch9wavefront6targetE1EEEvT1_,"axG",@progbits,_ZN7rocprim17ROCPRIM_400000_NS6detail17trampoline_kernelINS0_14default_configENS1_27scan_by_key_config_selectorIiiEEZZNS1_16scan_by_key_implILNS1_25lookback_scan_determinismE0ELb0ES3_N6thrust23THRUST_200600_302600_NS6detail15normal_iteratorINS9_10device_ptrIiEEEESE_SE_iNS9_4plusIvEENS9_8equal_toIiEEiEE10hipError_tPvRmT2_T3_T4_T5_mT6_T7_P12ihipStream_tbENKUlT_T0_E_clISt17integral_constantIbLb1EESY_IbLb0EEEEDaSU_SV_EUlSU_E_NS1_11comp_targetILNS1_3genE10ELNS1_11target_archE1201ELNS1_3gpuE5ELNS1_3repE0EEENS1_30default_config_static_selectorELNS0_4arch9wavefront6targetE1EEEvT1_,comdat
	.protected	_ZN7rocprim17ROCPRIM_400000_NS6detail17trampoline_kernelINS0_14default_configENS1_27scan_by_key_config_selectorIiiEEZZNS1_16scan_by_key_implILNS1_25lookback_scan_determinismE0ELb0ES3_N6thrust23THRUST_200600_302600_NS6detail15normal_iteratorINS9_10device_ptrIiEEEESE_SE_iNS9_4plusIvEENS9_8equal_toIiEEiEE10hipError_tPvRmT2_T3_T4_T5_mT6_T7_P12ihipStream_tbENKUlT_T0_E_clISt17integral_constantIbLb1EESY_IbLb0EEEEDaSU_SV_EUlSU_E_NS1_11comp_targetILNS1_3genE10ELNS1_11target_archE1201ELNS1_3gpuE5ELNS1_3repE0EEENS1_30default_config_static_selectorELNS0_4arch9wavefront6targetE1EEEvT1_ ; -- Begin function _ZN7rocprim17ROCPRIM_400000_NS6detail17trampoline_kernelINS0_14default_configENS1_27scan_by_key_config_selectorIiiEEZZNS1_16scan_by_key_implILNS1_25lookback_scan_determinismE0ELb0ES3_N6thrust23THRUST_200600_302600_NS6detail15normal_iteratorINS9_10device_ptrIiEEEESE_SE_iNS9_4plusIvEENS9_8equal_toIiEEiEE10hipError_tPvRmT2_T3_T4_T5_mT6_T7_P12ihipStream_tbENKUlT_T0_E_clISt17integral_constantIbLb1EESY_IbLb0EEEEDaSU_SV_EUlSU_E_NS1_11comp_targetILNS1_3genE10ELNS1_11target_archE1201ELNS1_3gpuE5ELNS1_3repE0EEENS1_30default_config_static_selectorELNS0_4arch9wavefront6targetE1EEEvT1_
	.globl	_ZN7rocprim17ROCPRIM_400000_NS6detail17trampoline_kernelINS0_14default_configENS1_27scan_by_key_config_selectorIiiEEZZNS1_16scan_by_key_implILNS1_25lookback_scan_determinismE0ELb0ES3_N6thrust23THRUST_200600_302600_NS6detail15normal_iteratorINS9_10device_ptrIiEEEESE_SE_iNS9_4plusIvEENS9_8equal_toIiEEiEE10hipError_tPvRmT2_T3_T4_T5_mT6_T7_P12ihipStream_tbENKUlT_T0_E_clISt17integral_constantIbLb1EESY_IbLb0EEEEDaSU_SV_EUlSU_E_NS1_11comp_targetILNS1_3genE10ELNS1_11target_archE1201ELNS1_3gpuE5ELNS1_3repE0EEENS1_30default_config_static_selectorELNS0_4arch9wavefront6targetE1EEEvT1_
	.p2align	8
	.type	_ZN7rocprim17ROCPRIM_400000_NS6detail17trampoline_kernelINS0_14default_configENS1_27scan_by_key_config_selectorIiiEEZZNS1_16scan_by_key_implILNS1_25lookback_scan_determinismE0ELb0ES3_N6thrust23THRUST_200600_302600_NS6detail15normal_iteratorINS9_10device_ptrIiEEEESE_SE_iNS9_4plusIvEENS9_8equal_toIiEEiEE10hipError_tPvRmT2_T3_T4_T5_mT6_T7_P12ihipStream_tbENKUlT_T0_E_clISt17integral_constantIbLb1EESY_IbLb0EEEEDaSU_SV_EUlSU_E_NS1_11comp_targetILNS1_3genE10ELNS1_11target_archE1201ELNS1_3gpuE5ELNS1_3repE0EEENS1_30default_config_static_selectorELNS0_4arch9wavefront6targetE1EEEvT1_,@function
_ZN7rocprim17ROCPRIM_400000_NS6detail17trampoline_kernelINS0_14default_configENS1_27scan_by_key_config_selectorIiiEEZZNS1_16scan_by_key_implILNS1_25lookback_scan_determinismE0ELb0ES3_N6thrust23THRUST_200600_302600_NS6detail15normal_iteratorINS9_10device_ptrIiEEEESE_SE_iNS9_4plusIvEENS9_8equal_toIiEEiEE10hipError_tPvRmT2_T3_T4_T5_mT6_T7_P12ihipStream_tbENKUlT_T0_E_clISt17integral_constantIbLb1EESY_IbLb0EEEEDaSU_SV_EUlSU_E_NS1_11comp_targetILNS1_3genE10ELNS1_11target_archE1201ELNS1_3gpuE5ELNS1_3repE0EEENS1_30default_config_static_selectorELNS0_4arch9wavefront6targetE1EEEvT1_: ; @_ZN7rocprim17ROCPRIM_400000_NS6detail17trampoline_kernelINS0_14default_configENS1_27scan_by_key_config_selectorIiiEEZZNS1_16scan_by_key_implILNS1_25lookback_scan_determinismE0ELb0ES3_N6thrust23THRUST_200600_302600_NS6detail15normal_iteratorINS9_10device_ptrIiEEEESE_SE_iNS9_4plusIvEENS9_8equal_toIiEEiEE10hipError_tPvRmT2_T3_T4_T5_mT6_T7_P12ihipStream_tbENKUlT_T0_E_clISt17integral_constantIbLb1EESY_IbLb0EEEEDaSU_SV_EUlSU_E_NS1_11comp_targetILNS1_3genE10ELNS1_11target_archE1201ELNS1_3gpuE5ELNS1_3repE0EEENS1_30default_config_static_selectorELNS0_4arch9wavefront6targetE1EEEvT1_
; %bb.0:
	.section	.rodata,"a",@progbits
	.p2align	6, 0x0
	.amdhsa_kernel _ZN7rocprim17ROCPRIM_400000_NS6detail17trampoline_kernelINS0_14default_configENS1_27scan_by_key_config_selectorIiiEEZZNS1_16scan_by_key_implILNS1_25lookback_scan_determinismE0ELb0ES3_N6thrust23THRUST_200600_302600_NS6detail15normal_iteratorINS9_10device_ptrIiEEEESE_SE_iNS9_4plusIvEENS9_8equal_toIiEEiEE10hipError_tPvRmT2_T3_T4_T5_mT6_T7_P12ihipStream_tbENKUlT_T0_E_clISt17integral_constantIbLb1EESY_IbLb0EEEEDaSU_SV_EUlSU_E_NS1_11comp_targetILNS1_3genE10ELNS1_11target_archE1201ELNS1_3gpuE5ELNS1_3repE0EEENS1_30default_config_static_selectorELNS0_4arch9wavefront6targetE1EEEvT1_
		.amdhsa_group_segment_fixed_size 0
		.amdhsa_private_segment_fixed_size 0
		.amdhsa_kernarg_size 112
		.amdhsa_user_sgpr_count 2
		.amdhsa_user_sgpr_dispatch_ptr 0
		.amdhsa_user_sgpr_queue_ptr 0
		.amdhsa_user_sgpr_kernarg_segment_ptr 1
		.amdhsa_user_sgpr_dispatch_id 0
		.amdhsa_user_sgpr_kernarg_preload_length 0
		.amdhsa_user_sgpr_kernarg_preload_offset 0
		.amdhsa_user_sgpr_private_segment_size 0
		.amdhsa_uses_dynamic_stack 0
		.amdhsa_enable_private_segment 0
		.amdhsa_system_sgpr_workgroup_id_x 1
		.amdhsa_system_sgpr_workgroup_id_y 0
		.amdhsa_system_sgpr_workgroup_id_z 0
		.amdhsa_system_sgpr_workgroup_info 0
		.amdhsa_system_vgpr_workitem_id 0
		.amdhsa_next_free_vgpr 1
		.amdhsa_next_free_sgpr 0
		.amdhsa_accum_offset 4
		.amdhsa_reserve_vcc 0
		.amdhsa_float_round_mode_32 0
		.amdhsa_float_round_mode_16_64 0
		.amdhsa_float_denorm_mode_32 3
		.amdhsa_float_denorm_mode_16_64 3
		.amdhsa_dx10_clamp 1
		.amdhsa_ieee_mode 1
		.amdhsa_fp16_overflow 0
		.amdhsa_tg_split 0
		.amdhsa_exception_fp_ieee_invalid_op 0
		.amdhsa_exception_fp_denorm_src 0
		.amdhsa_exception_fp_ieee_div_zero 0
		.amdhsa_exception_fp_ieee_overflow 0
		.amdhsa_exception_fp_ieee_underflow 0
		.amdhsa_exception_fp_ieee_inexact 0
		.amdhsa_exception_int_div_zero 0
	.end_amdhsa_kernel
	.section	.text._ZN7rocprim17ROCPRIM_400000_NS6detail17trampoline_kernelINS0_14default_configENS1_27scan_by_key_config_selectorIiiEEZZNS1_16scan_by_key_implILNS1_25lookback_scan_determinismE0ELb0ES3_N6thrust23THRUST_200600_302600_NS6detail15normal_iteratorINS9_10device_ptrIiEEEESE_SE_iNS9_4plusIvEENS9_8equal_toIiEEiEE10hipError_tPvRmT2_T3_T4_T5_mT6_T7_P12ihipStream_tbENKUlT_T0_E_clISt17integral_constantIbLb1EESY_IbLb0EEEEDaSU_SV_EUlSU_E_NS1_11comp_targetILNS1_3genE10ELNS1_11target_archE1201ELNS1_3gpuE5ELNS1_3repE0EEENS1_30default_config_static_selectorELNS0_4arch9wavefront6targetE1EEEvT1_,"axG",@progbits,_ZN7rocprim17ROCPRIM_400000_NS6detail17trampoline_kernelINS0_14default_configENS1_27scan_by_key_config_selectorIiiEEZZNS1_16scan_by_key_implILNS1_25lookback_scan_determinismE0ELb0ES3_N6thrust23THRUST_200600_302600_NS6detail15normal_iteratorINS9_10device_ptrIiEEEESE_SE_iNS9_4plusIvEENS9_8equal_toIiEEiEE10hipError_tPvRmT2_T3_T4_T5_mT6_T7_P12ihipStream_tbENKUlT_T0_E_clISt17integral_constantIbLb1EESY_IbLb0EEEEDaSU_SV_EUlSU_E_NS1_11comp_targetILNS1_3genE10ELNS1_11target_archE1201ELNS1_3gpuE5ELNS1_3repE0EEENS1_30default_config_static_selectorELNS0_4arch9wavefront6targetE1EEEvT1_,comdat
.Lfunc_end219:
	.size	_ZN7rocprim17ROCPRIM_400000_NS6detail17trampoline_kernelINS0_14default_configENS1_27scan_by_key_config_selectorIiiEEZZNS1_16scan_by_key_implILNS1_25lookback_scan_determinismE0ELb0ES3_N6thrust23THRUST_200600_302600_NS6detail15normal_iteratorINS9_10device_ptrIiEEEESE_SE_iNS9_4plusIvEENS9_8equal_toIiEEiEE10hipError_tPvRmT2_T3_T4_T5_mT6_T7_P12ihipStream_tbENKUlT_T0_E_clISt17integral_constantIbLb1EESY_IbLb0EEEEDaSU_SV_EUlSU_E_NS1_11comp_targetILNS1_3genE10ELNS1_11target_archE1201ELNS1_3gpuE5ELNS1_3repE0EEENS1_30default_config_static_selectorELNS0_4arch9wavefront6targetE1EEEvT1_, .Lfunc_end219-_ZN7rocprim17ROCPRIM_400000_NS6detail17trampoline_kernelINS0_14default_configENS1_27scan_by_key_config_selectorIiiEEZZNS1_16scan_by_key_implILNS1_25lookback_scan_determinismE0ELb0ES3_N6thrust23THRUST_200600_302600_NS6detail15normal_iteratorINS9_10device_ptrIiEEEESE_SE_iNS9_4plusIvEENS9_8equal_toIiEEiEE10hipError_tPvRmT2_T3_T4_T5_mT6_T7_P12ihipStream_tbENKUlT_T0_E_clISt17integral_constantIbLb1EESY_IbLb0EEEEDaSU_SV_EUlSU_E_NS1_11comp_targetILNS1_3genE10ELNS1_11target_archE1201ELNS1_3gpuE5ELNS1_3repE0EEENS1_30default_config_static_selectorELNS0_4arch9wavefront6targetE1EEEvT1_
                                        ; -- End function
	.section	.AMDGPU.csdata,"",@progbits
; Kernel info:
; codeLenInByte = 0
; NumSgprs: 6
; NumVgprs: 0
; NumAgprs: 0
; TotalNumVgprs: 0
; ScratchSize: 0
; MemoryBound: 0
; FloatMode: 240
; IeeeMode: 1
; LDSByteSize: 0 bytes/workgroup (compile time only)
; SGPRBlocks: 0
; VGPRBlocks: 0
; NumSGPRsForWavesPerEU: 6
; NumVGPRsForWavesPerEU: 1
; AccumOffset: 4
; Occupancy: 8
; WaveLimiterHint : 0
; COMPUTE_PGM_RSRC2:SCRATCH_EN: 0
; COMPUTE_PGM_RSRC2:USER_SGPR: 2
; COMPUTE_PGM_RSRC2:TRAP_HANDLER: 0
; COMPUTE_PGM_RSRC2:TGID_X_EN: 1
; COMPUTE_PGM_RSRC2:TGID_Y_EN: 0
; COMPUTE_PGM_RSRC2:TGID_Z_EN: 0
; COMPUTE_PGM_RSRC2:TIDIG_COMP_CNT: 0
; COMPUTE_PGM_RSRC3_GFX90A:ACCUM_OFFSET: 0
; COMPUTE_PGM_RSRC3_GFX90A:TG_SPLIT: 0
	.section	.text._ZN7rocprim17ROCPRIM_400000_NS6detail17trampoline_kernelINS0_14default_configENS1_27scan_by_key_config_selectorIiiEEZZNS1_16scan_by_key_implILNS1_25lookback_scan_determinismE0ELb0ES3_N6thrust23THRUST_200600_302600_NS6detail15normal_iteratorINS9_10device_ptrIiEEEESE_SE_iNS9_4plusIvEENS9_8equal_toIiEEiEE10hipError_tPvRmT2_T3_T4_T5_mT6_T7_P12ihipStream_tbENKUlT_T0_E_clISt17integral_constantIbLb1EESY_IbLb0EEEEDaSU_SV_EUlSU_E_NS1_11comp_targetILNS1_3genE5ELNS1_11target_archE942ELNS1_3gpuE9ELNS1_3repE0EEENS1_30default_config_static_selectorELNS0_4arch9wavefront6targetE1EEEvT1_,"axG",@progbits,_ZN7rocprim17ROCPRIM_400000_NS6detail17trampoline_kernelINS0_14default_configENS1_27scan_by_key_config_selectorIiiEEZZNS1_16scan_by_key_implILNS1_25lookback_scan_determinismE0ELb0ES3_N6thrust23THRUST_200600_302600_NS6detail15normal_iteratorINS9_10device_ptrIiEEEESE_SE_iNS9_4plusIvEENS9_8equal_toIiEEiEE10hipError_tPvRmT2_T3_T4_T5_mT6_T7_P12ihipStream_tbENKUlT_T0_E_clISt17integral_constantIbLb1EESY_IbLb0EEEEDaSU_SV_EUlSU_E_NS1_11comp_targetILNS1_3genE5ELNS1_11target_archE942ELNS1_3gpuE9ELNS1_3repE0EEENS1_30default_config_static_selectorELNS0_4arch9wavefront6targetE1EEEvT1_,comdat
	.protected	_ZN7rocprim17ROCPRIM_400000_NS6detail17trampoline_kernelINS0_14default_configENS1_27scan_by_key_config_selectorIiiEEZZNS1_16scan_by_key_implILNS1_25lookback_scan_determinismE0ELb0ES3_N6thrust23THRUST_200600_302600_NS6detail15normal_iteratorINS9_10device_ptrIiEEEESE_SE_iNS9_4plusIvEENS9_8equal_toIiEEiEE10hipError_tPvRmT2_T3_T4_T5_mT6_T7_P12ihipStream_tbENKUlT_T0_E_clISt17integral_constantIbLb1EESY_IbLb0EEEEDaSU_SV_EUlSU_E_NS1_11comp_targetILNS1_3genE5ELNS1_11target_archE942ELNS1_3gpuE9ELNS1_3repE0EEENS1_30default_config_static_selectorELNS0_4arch9wavefront6targetE1EEEvT1_ ; -- Begin function _ZN7rocprim17ROCPRIM_400000_NS6detail17trampoline_kernelINS0_14default_configENS1_27scan_by_key_config_selectorIiiEEZZNS1_16scan_by_key_implILNS1_25lookback_scan_determinismE0ELb0ES3_N6thrust23THRUST_200600_302600_NS6detail15normal_iteratorINS9_10device_ptrIiEEEESE_SE_iNS9_4plusIvEENS9_8equal_toIiEEiEE10hipError_tPvRmT2_T3_T4_T5_mT6_T7_P12ihipStream_tbENKUlT_T0_E_clISt17integral_constantIbLb1EESY_IbLb0EEEEDaSU_SV_EUlSU_E_NS1_11comp_targetILNS1_3genE5ELNS1_11target_archE942ELNS1_3gpuE9ELNS1_3repE0EEENS1_30default_config_static_selectorELNS0_4arch9wavefront6targetE1EEEvT1_
	.globl	_ZN7rocprim17ROCPRIM_400000_NS6detail17trampoline_kernelINS0_14default_configENS1_27scan_by_key_config_selectorIiiEEZZNS1_16scan_by_key_implILNS1_25lookback_scan_determinismE0ELb0ES3_N6thrust23THRUST_200600_302600_NS6detail15normal_iteratorINS9_10device_ptrIiEEEESE_SE_iNS9_4plusIvEENS9_8equal_toIiEEiEE10hipError_tPvRmT2_T3_T4_T5_mT6_T7_P12ihipStream_tbENKUlT_T0_E_clISt17integral_constantIbLb1EESY_IbLb0EEEEDaSU_SV_EUlSU_E_NS1_11comp_targetILNS1_3genE5ELNS1_11target_archE942ELNS1_3gpuE9ELNS1_3repE0EEENS1_30default_config_static_selectorELNS0_4arch9wavefront6targetE1EEEvT1_
	.p2align	8
	.type	_ZN7rocprim17ROCPRIM_400000_NS6detail17trampoline_kernelINS0_14default_configENS1_27scan_by_key_config_selectorIiiEEZZNS1_16scan_by_key_implILNS1_25lookback_scan_determinismE0ELb0ES3_N6thrust23THRUST_200600_302600_NS6detail15normal_iteratorINS9_10device_ptrIiEEEESE_SE_iNS9_4plusIvEENS9_8equal_toIiEEiEE10hipError_tPvRmT2_T3_T4_T5_mT6_T7_P12ihipStream_tbENKUlT_T0_E_clISt17integral_constantIbLb1EESY_IbLb0EEEEDaSU_SV_EUlSU_E_NS1_11comp_targetILNS1_3genE5ELNS1_11target_archE942ELNS1_3gpuE9ELNS1_3repE0EEENS1_30default_config_static_selectorELNS0_4arch9wavefront6targetE1EEEvT1_,@function
_ZN7rocprim17ROCPRIM_400000_NS6detail17trampoline_kernelINS0_14default_configENS1_27scan_by_key_config_selectorIiiEEZZNS1_16scan_by_key_implILNS1_25lookback_scan_determinismE0ELb0ES3_N6thrust23THRUST_200600_302600_NS6detail15normal_iteratorINS9_10device_ptrIiEEEESE_SE_iNS9_4plusIvEENS9_8equal_toIiEEiEE10hipError_tPvRmT2_T3_T4_T5_mT6_T7_P12ihipStream_tbENKUlT_T0_E_clISt17integral_constantIbLb1EESY_IbLb0EEEEDaSU_SV_EUlSU_E_NS1_11comp_targetILNS1_3genE5ELNS1_11target_archE942ELNS1_3gpuE9ELNS1_3repE0EEENS1_30default_config_static_selectorELNS0_4arch9wavefront6targetE1EEEvT1_: ; @_ZN7rocprim17ROCPRIM_400000_NS6detail17trampoline_kernelINS0_14default_configENS1_27scan_by_key_config_selectorIiiEEZZNS1_16scan_by_key_implILNS1_25lookback_scan_determinismE0ELb0ES3_N6thrust23THRUST_200600_302600_NS6detail15normal_iteratorINS9_10device_ptrIiEEEESE_SE_iNS9_4plusIvEENS9_8equal_toIiEEiEE10hipError_tPvRmT2_T3_T4_T5_mT6_T7_P12ihipStream_tbENKUlT_T0_E_clISt17integral_constantIbLb1EESY_IbLb0EEEEDaSU_SV_EUlSU_E_NS1_11comp_targetILNS1_3genE5ELNS1_11target_archE942ELNS1_3gpuE9ELNS1_3repE0EEENS1_30default_config_static_selectorELNS0_4arch9wavefront6targetE1EEEvT1_
; %bb.0:
	s_load_dwordx8 s[52:59], s[0:1], 0x0
	s_load_dwordx4 s[68:71], s[0:1], 0x28
	s_load_dwordx2 s[74:75], s[0:1], 0x38
	s_load_dword s3, s[0:1], 0x40
	s_load_dwordx8 s[60:67], s[0:1], 0x48
	s_waitcnt lgkmcnt(0)
	s_lshl_b64 s[72:73], s[54:55], 2
	s_add_u32 s4, s52, s72
	s_addc_u32 s5, s53, s73
	s_add_u32 s6, s56, s72
	s_mul_i32 s0, s75, s3
	s_mul_hi_u32 s1, s74, s3
	s_addc_u32 s7, s57, s73
	s_add_i32 s8, s1, s0
	s_cmp_lg_u64 s[64:65], 0
	s_mul_i32 s0, s2, 0x1700
	s_mov_b32 s1, 0
	s_cselect_b64 s[64:65], -1, 0
	s_lshl_b64 s[56:57], s[0:1], 2
	s_add_u32 s54, s4, s56
	s_addc_u32 s55, s5, s57
	s_add_u32 s52, s6, s56
	s_mul_i32 s3, s74, s3
	s_addc_u32 s53, s7, s57
	s_add_u32 s76, s3, s2
	s_addc_u32 s77, s8, 0
	s_add_u32 s4, s60, -1
	s_addc_u32 s5, s61, -1
	v_mov_b64_e32 v[2:3], s[4:5]
	v_cmp_ge_u64_e64 s[0:1], s[76:77], v[2:3]
	s_mov_b64 s[10:11], 0
	s_mov_b64 s[6:7], -1
	s_and_b64 vcc, exec, s[0:1]
	s_mul_i32 s33, s4, 0xffffe900
	s_barrier
	s_cbranch_vccz .LBB220_122
; %bb.1:
	v_mov_b64_e32 v[2:3], s[54:55]
	flat_load_dword v1, v[2:3]
	s_add_i32 s3, s33, s70
	v_cmp_gt_u32_e64 s[50:51], s3, v0
	s_waitcnt vmcnt(0) lgkmcnt(0)
	v_mov_b32_e32 v3, v1
	s_and_saveexec_b64 s[4:5], s[50:51]
	s_cbranch_execz .LBB220_3
; %bb.2:
	v_lshlrev_b32_e32 v2, 2, v0
	v_mov_b32_e32 v3, 0
	v_lshl_add_u64 v[2:3], s[54:55], 0, v[2:3]
	flat_load_dword v3, v[2:3]
.LBB220_3:
	s_or_b64 exec, exec, s[4:5]
	v_or_b32_e32 v2, 0x100, v0
	v_cmp_gt_u32_e64 s[4:5], s3, v2
	v_mov_b32_e32 v4, v1
	s_and_saveexec_b64 s[6:7], s[4:5]
	s_cbranch_execz .LBB220_5
; %bb.4:
	v_lshlrev_b32_e32 v4, 2, v0
	v_mov_b32_e32 v5, 0
	v_lshl_add_u64 v[4:5], s[54:55], 0, v[4:5]
	flat_load_dword v4, v[4:5] offset:1024
.LBB220_5:
	s_or_b64 exec, exec, s[6:7]
	v_or_b32_e32 v2, 0x200, v0
	v_cmp_gt_u32_e64 s[6:7], s3, v2
	v_mov_b32_e32 v5, v1
	s_and_saveexec_b64 s[8:9], s[6:7]
	s_cbranch_execz .LBB220_7
; %bb.6:
	v_lshlrev_b32_e32 v6, 2, v0
	v_mov_b32_e32 v7, 0
	v_lshl_add_u64 v[6:7], s[54:55], 0, v[6:7]
	flat_load_dword v5, v[6:7] offset:2048
.LBB220_7:
	;; [unrolled: 12-line block ×3, first 2 shown]
	s_or_b64 exec, exec, s[10:11]
	v_or_b32_e32 v10, 0x400, v0
	v_cmp_gt_u32_e64 s[10:11], s3, v10
	v_mov_b32_e32 v7, v1
	s_and_saveexec_b64 s[12:13], s[10:11]
	s_cbranch_execz .LBB220_11
; %bb.10:
	v_lshlrev_b32_e32 v8, 2, v10
	v_mov_b32_e32 v9, 0
	v_lshl_add_u64 v[8:9], s[54:55], 0, v[8:9]
	flat_load_dword v7, v[8:9]
.LBB220_11:
	s_or_b64 exec, exec, s[12:13]
	v_or_b32_e32 v11, 0x500, v0
	v_cmp_gt_u32_e64 s[12:13], s3, v11
	v_mov_b32_e32 v8, v1
	s_and_saveexec_b64 s[14:15], s[12:13]
	s_cbranch_execz .LBB220_13
; %bb.12:
	v_lshlrev_b32_e32 v8, 2, v11
	v_mov_b32_e32 v9, 0
	v_lshl_add_u64 v[8:9], s[54:55], 0, v[8:9]
	flat_load_dword v8, v[8:9]
.LBB220_13:
	;; [unrolled: 12-line block ×18, first 2 shown]
	s_or_b64 exec, exec, s[48:49]
	v_or_b32_e32 v28, 0x1600, v0
	v_cmp_gt_u32_e64 s[48:49], s3, v28
	s_and_saveexec_b64 s[60:61], s[48:49]
	s_cbranch_execz .LBB220_47
; %bb.46:
	v_lshlrev_b32_e32 v44, 2, v28
	v_mov_b32_e32 v45, 0
	v_lshl_add_u64 v[44:45], s[54:55], 0, v[44:45]
	flat_load_dword v1, v[44:45]
.LBB220_47:
	s_or_b64 exec, exec, s[60:61]
	v_lshlrev_b32_e32 v2, 2, v0
	s_movk_i32 s60, 0x58
	s_waitcnt vmcnt(0) lgkmcnt(0)
	ds_write2st64_b32 v2, v3, v4 offset1:4
	ds_write2st64_b32 v2, v5, v6 offset0:8 offset1:12
	ds_write2st64_b32 v2, v7, v8 offset0:16 offset1:20
	;; [unrolled: 1-line block ×10, first 2 shown]
	ds_write_b32 v2, v1 offset:22528
	v_mad_u32_u24 v1, v0, s60, v2
	s_waitcnt lgkmcnt(0)
	s_barrier
	ds_read2_b32 v[68:69], v1 offset1:1
	ds_read2_b32 v[66:67], v1 offset0:2 offset1:3
	ds_read2_b32 v[64:65], v1 offset0:4 offset1:5
	;; [unrolled: 1-line block ×10, first 2 shown]
	ds_read_b32 v72, v1 offset:88
	s_cmp_eq_u64 s[76:77], 0
	s_mov_b64 s[60:61], s[54:55]
	s_cbranch_scc1 .LBB220_51
; %bb.48:
	s_andn2_b64 vcc, exec, s[64:65]
	s_cbranch_vccnz .LBB220_267
; %bb.49:
	s_lshl_b64 s[60:61], s[76:77], 2
	s_add_u32 s60, s66, s60
	s_addc_u32 s61, s67, s61
	s_add_u32 s60, s60, -4
	s_addc_u32 s61, s61, -1
	s_cbranch_execnz .LBB220_51
.LBB220_50:
	s_add_u32 s60, s54, -4
	s_addc_u32 s61, s55, -1
.LBB220_51:
	v_mov_b64_e32 v[30:31], s[60:61]
	flat_load_dword v70, v[30:31]
	s_movk_i32 s60, 0xffa8
	v_mad_i32_i24 v3, v0, s60, v1
	v_cmp_ne_u32_e32 vcc, 0, v0
	s_waitcnt lgkmcnt(0)
	ds_write_b32 v3, v72 offset:23552
	s_waitcnt lgkmcnt(0)
	s_barrier
	s_and_saveexec_b64 s[60:61], vcc
	s_cbranch_execz .LBB220_53
; %bb.52:
	v_mul_i32_i24_e32 v3, 0xffffffa8, v0
	v_add_u32_e32 v3, v1, v3
	s_waitcnt vmcnt(0)
	ds_read_b32 v70, v3 offset:23548
.LBB220_53:
	s_or_b64 exec, exec, s[60:61]
	v_mov_b32_e32 v3, 0
	s_waitcnt lgkmcnt(0)
	s_barrier
	s_waitcnt lgkmcnt(0)
                                        ; implicit-def: $vgpr29
	s_and_saveexec_b64 s[60:61], s[50:51]
	s_cbranch_execnz .LBB220_243
; %bb.54:
	s_or_b64 exec, exec, s[60:61]
                                        ; implicit-def: $vgpr30
	s_and_saveexec_b64 s[50:51], s[4:5]
	s_cbranch_execnz .LBB220_244
.LBB220_55:
	s_or_b64 exec, exec, s[50:51]
                                        ; implicit-def: $vgpr31
	s_and_saveexec_b64 s[4:5], s[6:7]
	s_cbranch_execnz .LBB220_245
.LBB220_56:
	s_or_b64 exec, exec, s[4:5]
                                        ; implicit-def: $vgpr3
	s_and_saveexec_b64 s[4:5], s[8:9]
	s_cbranch_execnz .LBB220_246
.LBB220_57:
	s_or_b64 exec, exec, s[4:5]
                                        ; implicit-def: $vgpr32
	s_and_saveexec_b64 s[4:5], s[10:11]
	s_cbranch_execnz .LBB220_247
.LBB220_58:
	s_or_b64 exec, exec, s[4:5]
                                        ; implicit-def: $vgpr10
	s_and_saveexec_b64 s[4:5], s[12:13]
	s_cbranch_execnz .LBB220_248
.LBB220_59:
	s_or_b64 exec, exec, s[4:5]
                                        ; implicit-def: $vgpr11
	s_and_saveexec_b64 s[4:5], s[14:15]
	s_cbranch_execnz .LBB220_249
.LBB220_60:
	s_or_b64 exec, exec, s[4:5]
                                        ; implicit-def: $vgpr12
	s_and_saveexec_b64 s[4:5], s[16:17]
	s_cbranch_execnz .LBB220_250
.LBB220_61:
	s_or_b64 exec, exec, s[4:5]
                                        ; implicit-def: $vgpr13
	s_and_saveexec_b64 s[4:5], s[18:19]
	s_cbranch_execnz .LBB220_251
.LBB220_62:
	s_or_b64 exec, exec, s[4:5]
                                        ; implicit-def: $vgpr14
	s_and_saveexec_b64 s[4:5], s[20:21]
	s_cbranch_execnz .LBB220_252
.LBB220_63:
	s_or_b64 exec, exec, s[4:5]
                                        ; implicit-def: $vgpr15
	s_and_saveexec_b64 s[4:5], s[22:23]
	s_cbranch_execnz .LBB220_253
.LBB220_64:
	s_or_b64 exec, exec, s[4:5]
                                        ; implicit-def: $vgpr16
	s_and_saveexec_b64 s[4:5], s[24:25]
	s_cbranch_execnz .LBB220_254
.LBB220_65:
	s_or_b64 exec, exec, s[4:5]
                                        ; implicit-def: $vgpr17
	s_and_saveexec_b64 s[4:5], s[26:27]
	s_cbranch_execnz .LBB220_255
.LBB220_66:
	s_or_b64 exec, exec, s[4:5]
                                        ; implicit-def: $vgpr18
	s_and_saveexec_b64 s[4:5], s[28:29]
	s_cbranch_execnz .LBB220_256
.LBB220_67:
	s_or_b64 exec, exec, s[4:5]
                                        ; implicit-def: $vgpr19
	s_and_saveexec_b64 s[4:5], s[30:31]
	s_cbranch_execnz .LBB220_257
.LBB220_68:
	s_or_b64 exec, exec, s[4:5]
                                        ; implicit-def: $vgpr20
	s_and_saveexec_b64 s[4:5], s[34:35]
	s_cbranch_execnz .LBB220_258
.LBB220_69:
	s_or_b64 exec, exec, s[4:5]
                                        ; implicit-def: $vgpr21
	s_and_saveexec_b64 s[4:5], s[36:37]
	s_cbranch_execnz .LBB220_259
.LBB220_70:
	s_or_b64 exec, exec, s[4:5]
                                        ; implicit-def: $vgpr22
	s_and_saveexec_b64 s[4:5], s[38:39]
	s_cbranch_execnz .LBB220_260
.LBB220_71:
	s_or_b64 exec, exec, s[4:5]
                                        ; implicit-def: $vgpr23
	s_and_saveexec_b64 s[4:5], s[40:41]
	s_cbranch_execnz .LBB220_261
.LBB220_72:
	s_or_b64 exec, exec, s[4:5]
                                        ; implicit-def: $vgpr24
	s_and_saveexec_b64 s[4:5], s[42:43]
	s_cbranch_execnz .LBB220_262
.LBB220_73:
	s_or_b64 exec, exec, s[4:5]
                                        ; implicit-def: $vgpr25
	s_and_saveexec_b64 s[4:5], s[44:45]
	s_cbranch_execnz .LBB220_263
.LBB220_74:
	s_or_b64 exec, exec, s[4:5]
                                        ; implicit-def: $vgpr26
	s_and_saveexec_b64 s[4:5], s[46:47]
	s_cbranch_execnz .LBB220_264
.LBB220_75:
	s_or_b64 exec, exec, s[4:5]
                                        ; implicit-def: $vgpr27
	s_and_saveexec_b64 s[4:5], s[48:49]
	s_cbranch_execz .LBB220_77
.LBB220_76:
	v_lshlrev_b32_e32 v34, 2, v28
	v_mov_b32_e32 v35, 0
	v_lshl_add_u64 v[34:35], s[52:53], 0, v[34:35]
	flat_load_dword v27, v[34:35]
.LBB220_77:
	s_or_b64 exec, exec, s[4:5]
	v_mul_u32_u24_e32 v73, 23, v0
	s_waitcnt vmcnt(0) lgkmcnt(0)
	ds_write2st64_b32 v2, v29, v30 offset1:4
	ds_write2st64_b32 v2, v31, v3 offset0:8 offset1:12
	ds_write2st64_b32 v2, v32, v10 offset0:16 offset1:20
	;; [unrolled: 1-line block ×10, first 2 shown]
	ds_write_b32 v2, v27 offset:22528
	v_mov_b64_e32 v[10:11], 0
	v_cmp_gt_u32_e32 vcc, s3, v73
	s_mov_b64 s[10:11], 0
	s_mov_b64 s[6:7], 0
	v_mov_b64_e32 v[12:13], v[10:11]
	v_mov_b64_e32 v[14:15], v[10:11]
	v_mov_b64_e32 v[16:17], v[10:11]
	v_mov_b64_e32 v[18:19], v[10:11]
	v_mov_b64_e32 v[20:21], v[10:11]
	v_mov_b64_e32 v[22:23], v[10:11]
	v_mov_b64_e32 v[24:25], v[10:11]
	v_mov_b64_e32 v[26:27], v[10:11]
	v_mov_b64_e32 v[28:29], v[10:11]
	v_mov_b64_e32 v[30:31], v[10:11]
	v_mov_b64_e32 v[32:33], v[10:11]
	v_mov_b64_e32 v[34:35], v[10:11]
	v_mov_b64_e32 v[36:37], v[10:11]
	v_mov_b64_e32 v[38:39], v[10:11]
	v_mov_b64_e32 v[40:41], v[10:11]
	v_mov_b64_e32 v[42:43], v[10:11]
	v_mov_b64_e32 v[44:45], v[10:11]
	v_mov_b64_e32 v[46:47], v[10:11]
	v_mov_b64_e32 v[48:49], v[10:11]
	v_mov_b64_e32 v[50:51], v[10:11]
	v_mov_b64_e32 v[52:53], v[10:11]
	s_waitcnt lgkmcnt(0)
	s_barrier
	s_waitcnt lgkmcnt(0)
                                        ; implicit-def: $sgpr4_sgpr5
                                        ; implicit-def: $vgpr3
	s_and_saveexec_b64 s[8:9], vcc
	s_cbranch_execz .LBB220_121
; %bb.78:
	ds_read_b32 v10, v1
	v_add_u32_e32 v2, 1, v73
	v_cmp_ne_u32_e32 vcc, v70, v68
	v_mov_b64_e32 v[12:13], 0
	s_mov_b64 s[12:13], 0
	v_cndmask_b32_e64 v11, 0, 1, vcc
	v_cmp_gt_u32_e32 vcc, s3, v2
	s_mov_b64 s[4:5], 0
	v_mov_b64_e32 v[14:15], v[12:13]
	v_mov_b64_e32 v[16:17], v[12:13]
	;; [unrolled: 1-line block ×20, first 2 shown]
                                        ; implicit-def: $sgpr14_sgpr15
                                        ; implicit-def: $vgpr3
	s_and_saveexec_b64 s[10:11], vcc
	s_cbranch_execz .LBB220_120
; %bb.79:
	ds_read2_b32 v[70:71], v1 offset0:1 offset1:2
	v_add_u32_e32 v2, 2, v73
	v_cmp_ne_u32_e32 vcc, v68, v69
	v_mov_b64_e32 v[14:15], 0
	s_mov_b64 s[16:17], 0
	v_cndmask_b32_e64 v13, 0, 1, vcc
	v_cmp_gt_u32_e32 vcc, s3, v2
	s_waitcnt lgkmcnt(0)
	v_mov_b32_e32 v12, v70
	v_mov_b64_e32 v[16:17], v[14:15]
	v_mov_b64_e32 v[18:19], v[14:15]
	;; [unrolled: 1-line block ×19, first 2 shown]
                                        ; implicit-def: $sgpr14_sgpr15
                                        ; implicit-def: $vgpr3
	s_and_saveexec_b64 s[12:13], vcc
	s_cbranch_execz .LBB220_119
; %bb.80:
	v_add_u32_e32 v2, 3, v73
	v_cmp_ne_u32_e32 vcc, v69, v66
	v_mov_b64_e32 v[16:17], 0
	v_mov_b32_e32 v14, v71
	v_cndmask_b32_e64 v15, 0, 1, vcc
	v_cmp_gt_u32_e32 vcc, s3, v2
	v_mov_b64_e32 v[18:19], v[16:17]
	v_mov_b64_e32 v[20:21], v[16:17]
	;; [unrolled: 1-line block ×18, first 2 shown]
                                        ; implicit-def: $sgpr18_sgpr19
                                        ; implicit-def: $vgpr3
	s_and_saveexec_b64 s[14:15], vcc
	s_cbranch_execz .LBB220_118
; %bb.81:
	ds_read2_b32 v[68:69], v1 offset0:3 offset1:4
	v_add_u32_e32 v2, 4, v73
	v_cmp_ne_u32_e32 vcc, v66, v67
	v_mov_b64_e32 v[18:19], 0
	s_mov_b64 s[20:21], 0
	v_cndmask_b32_e64 v17, 0, 1, vcc
	v_cmp_gt_u32_e32 vcc, s3, v2
	s_waitcnt lgkmcnt(0)
	v_mov_b32_e32 v16, v68
	v_mov_b64_e32 v[20:21], v[18:19]
	v_mov_b64_e32 v[22:23], v[18:19]
	;; [unrolled: 1-line block ×17, first 2 shown]
                                        ; implicit-def: $sgpr18_sgpr19
                                        ; implicit-def: $vgpr3
	s_and_saveexec_b64 s[16:17], vcc
	s_cbranch_execz .LBB220_117
; %bb.82:
	v_add_u32_e32 v2, 5, v73
	v_cmp_ne_u32_e32 vcc, v67, v64
	v_mov_b64_e32 v[20:21], 0
	v_mov_b32_e32 v18, v69
	v_cndmask_b32_e64 v19, 0, 1, vcc
	v_cmp_gt_u32_e32 vcc, s3, v2
	v_mov_b64_e32 v[22:23], v[20:21]
	v_mov_b64_e32 v[24:25], v[20:21]
	;; [unrolled: 1-line block ×16, first 2 shown]
                                        ; implicit-def: $sgpr22_sgpr23
                                        ; implicit-def: $vgpr3
	s_and_saveexec_b64 s[18:19], vcc
	s_cbranch_execz .LBB220_116
; %bb.83:
	ds_read2_b32 v[66:67], v1 offset0:5 offset1:6
	v_add_u32_e32 v2, 6, v73
	v_cmp_ne_u32_e32 vcc, v64, v65
	v_mov_b64_e32 v[22:23], 0
	s_mov_b64 s[24:25], 0
	v_cndmask_b32_e64 v21, 0, 1, vcc
	v_cmp_gt_u32_e32 vcc, s3, v2
	s_waitcnt lgkmcnt(0)
	v_mov_b32_e32 v20, v66
	v_mov_b64_e32 v[24:25], v[22:23]
	v_mov_b64_e32 v[26:27], v[22:23]
	;; [unrolled: 1-line block ×15, first 2 shown]
                                        ; implicit-def: $sgpr22_sgpr23
                                        ; implicit-def: $vgpr3
	s_and_saveexec_b64 s[20:21], vcc
	s_cbranch_execz .LBB220_115
; %bb.84:
	v_add_u32_e32 v2, 7, v73
	v_cmp_ne_u32_e32 vcc, v65, v62
	v_mov_b64_e32 v[24:25], 0
	v_mov_b32_e32 v22, v67
	v_cndmask_b32_e64 v23, 0, 1, vcc
	v_cmp_gt_u32_e32 vcc, s3, v2
	v_mov_b64_e32 v[26:27], v[24:25]
	v_mov_b64_e32 v[28:29], v[24:25]
	;; [unrolled: 1-line block ×14, first 2 shown]
                                        ; implicit-def: $sgpr26_sgpr27
                                        ; implicit-def: $vgpr3
	s_and_saveexec_b64 s[22:23], vcc
	s_cbranch_execz .LBB220_114
; %bb.85:
	ds_read2_b32 v[64:65], v1 offset0:7 offset1:8
	v_add_u32_e32 v2, 8, v73
	v_cmp_ne_u32_e32 vcc, v62, v63
	v_mov_b64_e32 v[26:27], 0
	s_mov_b64 s[28:29], 0
	v_cndmask_b32_e64 v25, 0, 1, vcc
	v_cmp_gt_u32_e32 vcc, s3, v2
	s_waitcnt lgkmcnt(0)
	v_mov_b32_e32 v24, v64
	v_mov_b64_e32 v[28:29], v[26:27]
	v_mov_b64_e32 v[30:31], v[26:27]
	v_mov_b64_e32 v[32:33], v[26:27]
	v_mov_b64_e32 v[34:35], v[26:27]
	v_mov_b64_e32 v[36:37], v[26:27]
	v_mov_b64_e32 v[38:39], v[26:27]
	v_mov_b64_e32 v[40:41], v[26:27]
	v_mov_b64_e32 v[42:43], v[26:27]
	v_mov_b64_e32 v[44:45], v[26:27]
	v_mov_b64_e32 v[46:47], v[26:27]
	v_mov_b64_e32 v[48:49], v[26:27]
	v_mov_b64_e32 v[50:51], v[26:27]
	v_mov_b64_e32 v[52:53], v[26:27]
                                        ; implicit-def: $sgpr26_sgpr27
                                        ; implicit-def: $vgpr3
	s_and_saveexec_b64 s[24:25], vcc
	s_cbranch_execz .LBB220_113
; %bb.86:
	v_add_u32_e32 v2, 9, v73
	v_cmp_ne_u32_e32 vcc, v63, v60
	v_mov_b64_e32 v[28:29], 0
	v_mov_b32_e32 v26, v65
	v_cndmask_b32_e64 v27, 0, 1, vcc
	v_cmp_gt_u32_e32 vcc, s3, v2
	v_mov_b64_e32 v[30:31], v[28:29]
	v_mov_b64_e32 v[32:33], v[28:29]
	;; [unrolled: 1-line block ×12, first 2 shown]
                                        ; implicit-def: $sgpr30_sgpr31
                                        ; implicit-def: $vgpr3
	s_and_saveexec_b64 s[26:27], vcc
	s_cbranch_execz .LBB220_112
; %bb.87:
	ds_read2_b32 v[62:63], v1 offset0:9 offset1:10
	v_add_u32_e32 v2, 10, v73
	v_cmp_ne_u32_e32 vcc, v60, v61
	v_mov_b64_e32 v[30:31], 0
	s_mov_b64 s[34:35], 0
	v_cndmask_b32_e64 v29, 0, 1, vcc
	v_cmp_gt_u32_e32 vcc, s3, v2
	s_waitcnt lgkmcnt(0)
	v_mov_b32_e32 v28, v62
	v_mov_b64_e32 v[32:33], v[30:31]
	v_mov_b64_e32 v[34:35], v[30:31]
	v_mov_b64_e32 v[36:37], v[30:31]
	v_mov_b64_e32 v[38:39], v[30:31]
	v_mov_b64_e32 v[40:41], v[30:31]
	v_mov_b64_e32 v[42:43], v[30:31]
	v_mov_b64_e32 v[44:45], v[30:31]
	v_mov_b64_e32 v[46:47], v[30:31]
	v_mov_b64_e32 v[48:49], v[30:31]
	v_mov_b64_e32 v[50:51], v[30:31]
	v_mov_b64_e32 v[52:53], v[30:31]
                                        ; implicit-def: $sgpr30_sgpr31
                                        ; implicit-def: $vgpr3
	s_and_saveexec_b64 s[28:29], vcc
	s_cbranch_execz .LBB220_111
; %bb.88:
	v_add_u32_e32 v2, 11, v73
	v_cmp_ne_u32_e32 vcc, v61, v58
	v_mov_b64_e32 v[32:33], 0
	v_mov_b32_e32 v30, v63
	v_cndmask_b32_e64 v31, 0, 1, vcc
	v_cmp_gt_u32_e32 vcc, s3, v2
	v_mov_b64_e32 v[34:35], v[32:33]
	v_mov_b64_e32 v[36:37], v[32:33]
	;; [unrolled: 1-line block ×10, first 2 shown]
                                        ; implicit-def: $sgpr36_sgpr37
                                        ; implicit-def: $vgpr3
	s_and_saveexec_b64 s[30:31], vcc
	s_cbranch_execz .LBB220_110
; %bb.89:
	ds_read2_b32 v[60:61], v1 offset0:11 offset1:12
	v_add_u32_e32 v2, 12, v73
	v_cmp_ne_u32_e32 vcc, v58, v59
	v_mov_b64_e32 v[34:35], 0
	s_mov_b64 s[38:39], 0
	v_cndmask_b32_e64 v33, 0, 1, vcc
	v_cmp_gt_u32_e32 vcc, s3, v2
	s_waitcnt lgkmcnt(0)
	v_mov_b32_e32 v32, v60
	v_mov_b64_e32 v[36:37], v[34:35]
	v_mov_b64_e32 v[38:39], v[34:35]
	;; [unrolled: 1-line block ×9, first 2 shown]
                                        ; implicit-def: $sgpr36_sgpr37
                                        ; implicit-def: $vgpr3
	s_and_saveexec_b64 s[34:35], vcc
	s_cbranch_execz .LBB220_109
; %bb.90:
	v_add_u32_e32 v2, 13, v73
	v_cmp_ne_u32_e32 vcc, v59, v56
	v_mov_b64_e32 v[36:37], 0
	v_mov_b32_e32 v34, v61
	v_cndmask_b32_e64 v35, 0, 1, vcc
	v_cmp_gt_u32_e32 vcc, s3, v2
	v_mov_b64_e32 v[38:39], v[36:37]
	v_mov_b64_e32 v[40:41], v[36:37]
	;; [unrolled: 1-line block ×8, first 2 shown]
                                        ; implicit-def: $sgpr40_sgpr41
                                        ; implicit-def: $vgpr3
	s_and_saveexec_b64 s[36:37], vcc
	s_cbranch_execz .LBB220_108
; %bb.91:
	ds_read2_b32 v[58:59], v1 offset0:13 offset1:14
	v_add_u32_e32 v2, 14, v73
	v_cmp_ne_u32_e32 vcc, v56, v57
	v_mov_b64_e32 v[38:39], 0
	s_mov_b64 s[42:43], 0
	v_cndmask_b32_e64 v37, 0, 1, vcc
	v_cmp_gt_u32_e32 vcc, s3, v2
	s_waitcnt lgkmcnt(0)
	v_mov_b32_e32 v36, v58
	v_mov_b64_e32 v[40:41], v[38:39]
	v_mov_b64_e32 v[42:43], v[38:39]
	;; [unrolled: 1-line block ×7, first 2 shown]
                                        ; implicit-def: $sgpr40_sgpr41
                                        ; implicit-def: $vgpr3
	s_and_saveexec_b64 s[38:39], vcc
	s_cbranch_execz .LBB220_107
; %bb.92:
	v_add_u32_e32 v2, 15, v73
	v_cmp_ne_u32_e32 vcc, v57, v54
	v_mov_b64_e32 v[40:41], 0
	v_mov_b32_e32 v38, v59
	v_cndmask_b32_e64 v39, 0, 1, vcc
	v_cmp_gt_u32_e32 vcc, s3, v2
	v_mov_b64_e32 v[42:43], v[40:41]
	v_mov_b64_e32 v[44:45], v[40:41]
	;; [unrolled: 1-line block ×6, first 2 shown]
                                        ; implicit-def: $sgpr44_sgpr45
                                        ; implicit-def: $vgpr3
	s_and_saveexec_b64 s[40:41], vcc
	s_cbranch_execz .LBB220_106
; %bb.93:
	ds_read2_b32 v[56:57], v1 offset0:15 offset1:16
	v_add_u32_e32 v2, 16, v73
	v_cmp_ne_u32_e32 vcc, v54, v55
	v_mov_b64_e32 v[42:43], 0
	s_mov_b64 s[46:47], 0
	v_cndmask_b32_e64 v41, 0, 1, vcc
	v_cmp_gt_u32_e32 vcc, s3, v2
	s_waitcnt lgkmcnt(0)
	v_mov_b32_e32 v40, v56
	v_mov_b64_e32 v[44:45], v[42:43]
	v_mov_b64_e32 v[46:47], v[42:43]
	;; [unrolled: 1-line block ×5, first 2 shown]
                                        ; implicit-def: $sgpr44_sgpr45
                                        ; implicit-def: $vgpr3
	s_and_saveexec_b64 s[42:43], vcc
	s_cbranch_execz .LBB220_105
; %bb.94:
	v_add_u32_e32 v2, 17, v73
	v_cmp_ne_u32_e32 vcc, v55, v8
	v_mov_b64_e32 v[44:45], 0
	v_mov_b32_e32 v42, v57
	v_cndmask_b32_e64 v43, 0, 1, vcc
	v_cmp_gt_u32_e32 vcc, s3, v2
	v_mov_b64_e32 v[46:47], v[44:45]
	v_mov_b64_e32 v[48:49], v[44:45]
	;; [unrolled: 1-line block ×4, first 2 shown]
                                        ; implicit-def: $sgpr48_sgpr49
                                        ; implicit-def: $vgpr3
	s_and_saveexec_b64 s[44:45], vcc
	s_cbranch_execz .LBB220_104
; %bb.95:
	ds_read2_b32 v[54:55], v1 offset0:17 offset1:18
	v_add_u32_e32 v2, 18, v73
	v_cmp_ne_u32_e32 vcc, v8, v9
	v_mov_b64_e32 v[46:47], 0
	s_mov_b64 s[50:51], 0
	v_cndmask_b32_e64 v45, 0, 1, vcc
	v_cmp_gt_u32_e32 vcc, s3, v2
	s_waitcnt lgkmcnt(0)
	v_mov_b32_e32 v44, v54
	v_mov_b64_e32 v[48:49], v[46:47]
	v_mov_b64_e32 v[50:51], v[46:47]
	;; [unrolled: 1-line block ×3, first 2 shown]
                                        ; implicit-def: $sgpr48_sgpr49
                                        ; implicit-def: $vgpr3
	s_and_saveexec_b64 s[46:47], vcc
	s_cbranch_execz .LBB220_103
; %bb.96:
	v_add_u32_e32 v2, 19, v73
	v_cmp_ne_u32_e32 vcc, v9, v6
	v_mov_b64_e32 v[48:49], 0
	v_mov_b32_e32 v46, v55
	v_cndmask_b32_e64 v47, 0, 1, vcc
	v_cmp_gt_u32_e32 vcc, s3, v2
	v_mov_b64_e32 v[50:51], v[48:49]
	v_mov_b64_e32 v[52:53], v[48:49]
                                        ; implicit-def: $sgpr60_sgpr61
                                        ; implicit-def: $vgpr3
	s_and_saveexec_b64 s[48:49], vcc
	s_cbranch_execz .LBB220_102
; %bb.97:
	ds_read2_b32 v[8:9], v1 offset0:19 offset1:20
	v_add_u32_e32 v2, 20, v73
	v_cmp_ne_u32_e32 vcc, v6, v7
	v_mov_b64_e32 v[50:51], 0
	s_mov_b64 s[60:61], 0
	v_cndmask_b32_e64 v49, 0, 1, vcc
	v_cmp_gt_u32_e32 vcc, s3, v2
	s_waitcnt lgkmcnt(0)
	v_mov_b32_e32 v48, v8
	v_mov_b64_e32 v[52:53], v[50:51]
                                        ; implicit-def: $sgpr78_sgpr79
                                        ; implicit-def: $vgpr3
	s_and_saveexec_b64 s[50:51], vcc
	s_cbranch_execz .LBB220_101
; %bb.98:
	v_add_u32_e32 v2, 21, v73
	v_cmp_ne_u32_e32 vcc, v7, v4
	v_mov_b32_e32 v50, v9
	v_mov_b64_e32 v[52:53], 0
	v_cndmask_b32_e64 v51, 0, 1, vcc
	v_cmp_gt_u32_e32 vcc, s3, v2
                                        ; implicit-def: $sgpr78_sgpr79
                                        ; implicit-def: $vgpr3
	s_and_saveexec_b64 s[4:5], vcc
	s_xor_b64 s[80:81], exec, s[4:5]
	s_cbranch_execz .LBB220_100
; %bb.99:
	ds_read2_b32 v[2:3], v1 offset0:21 offset1:22
	v_add_u32_e32 v1, 22, v73
	v_cmp_ne_u32_e64 s[4:5], v4, v5
	v_cmp_ne_u32_e32 vcc, v5, v72
	s_and_b64 s[78:79], vcc, exec
	v_cndmask_b32_e64 v53, 0, 1, s[4:5]
	v_cmp_gt_u32_e64 s[4:5], s3, v1
	s_waitcnt lgkmcnt(0)
	v_mov_b32_e32 v52, v2
	s_and_b64 s[60:61], s[4:5], exec
.LBB220_100:
	s_or_b64 exec, exec, s[80:81]
	s_and_b64 s[78:79], s[78:79], exec
	s_and_b64 s[4:5], s[60:61], exec
.LBB220_101:
	s_or_b64 exec, exec, s[50:51]
	s_and_b64 s[60:61], s[78:79], exec
	s_and_b64 s[50:51], s[4:5], exec
.LBB220_102:
	s_or_b64 exec, exec, s[48:49]
	s_and_b64 s[48:49], s[60:61], exec
	s_and_b64 s[4:5], s[50:51], exec
.LBB220_103:
	s_or_b64 exec, exec, s[46:47]
	s_and_b64 s[48:49], s[48:49], exec
	s_and_b64 s[46:47], s[4:5], exec
.LBB220_104:
	s_or_b64 exec, exec, s[44:45]
	s_and_b64 s[44:45], s[48:49], exec
	s_and_b64 s[4:5], s[46:47], exec
.LBB220_105:
	s_or_b64 exec, exec, s[42:43]
	s_and_b64 s[44:45], s[44:45], exec
	s_and_b64 s[42:43], s[4:5], exec
.LBB220_106:
	s_or_b64 exec, exec, s[40:41]
	s_and_b64 s[40:41], s[44:45], exec
	s_and_b64 s[4:5], s[42:43], exec
.LBB220_107:
	s_or_b64 exec, exec, s[38:39]
	s_and_b64 s[40:41], s[40:41], exec
	s_and_b64 s[38:39], s[4:5], exec
.LBB220_108:
	s_or_b64 exec, exec, s[36:37]
	s_and_b64 s[36:37], s[40:41], exec
	s_and_b64 s[4:5], s[38:39], exec
.LBB220_109:
	s_or_b64 exec, exec, s[34:35]
	s_and_b64 s[36:37], s[36:37], exec
	s_and_b64 s[34:35], s[4:5], exec
.LBB220_110:
	s_or_b64 exec, exec, s[30:31]
	s_and_b64 s[30:31], s[36:37], exec
	s_and_b64 s[4:5], s[34:35], exec
.LBB220_111:
	s_or_b64 exec, exec, s[28:29]
	s_and_b64 s[30:31], s[30:31], exec
	s_and_b64 s[28:29], s[4:5], exec
.LBB220_112:
	s_or_b64 exec, exec, s[26:27]
	s_and_b64 s[26:27], s[30:31], exec
	s_and_b64 s[4:5], s[28:29], exec
.LBB220_113:
	s_or_b64 exec, exec, s[24:25]
	s_and_b64 s[26:27], s[26:27], exec
	s_and_b64 s[24:25], s[4:5], exec
.LBB220_114:
	s_or_b64 exec, exec, s[22:23]
	s_and_b64 s[22:23], s[26:27], exec
	s_and_b64 s[4:5], s[24:25], exec
.LBB220_115:
	s_or_b64 exec, exec, s[20:21]
	s_and_b64 s[22:23], s[22:23], exec
	s_and_b64 s[20:21], s[4:5], exec
.LBB220_116:
	s_or_b64 exec, exec, s[18:19]
	s_and_b64 s[18:19], s[22:23], exec
	s_and_b64 s[4:5], s[20:21], exec
.LBB220_117:
	s_or_b64 exec, exec, s[16:17]
	s_and_b64 s[18:19], s[18:19], exec
	s_and_b64 s[16:17], s[4:5], exec
.LBB220_118:
	s_or_b64 exec, exec, s[14:15]
	s_and_b64 s[14:15], s[18:19], exec
	s_and_b64 s[4:5], s[16:17], exec
.LBB220_119:
	s_or_b64 exec, exec, s[12:13]
	s_and_b64 s[14:15], s[14:15], exec
	s_and_b64 s[12:13], s[4:5], exec
.LBB220_120:
	s_or_b64 exec, exec, s[10:11]
	s_and_b64 s[4:5], s[14:15], exec
	s_and_b64 s[10:11], s[12:13], exec
.LBB220_121:
	s_or_b64 exec, exec, s[8:9]
	s_mov_b64 s[8:9], 0
	s_and_b64 vcc, exec, s[6:7]
	v_lshlrev_b32_e32 v54, 2, v0
	s_cbranch_vccnz .LBB220_123
	s_branch .LBB220_131
.LBB220_122:
                                        ; implicit-def: $sgpr4_sgpr5
                                        ; implicit-def: $vgpr3
                                        ; implicit-def: $vgpr10_vgpr11
                                        ; implicit-def: $vgpr12_vgpr13
                                        ; implicit-def: $vgpr14_vgpr15
                                        ; implicit-def: $vgpr16_vgpr17
                                        ; implicit-def: $vgpr18_vgpr19
                                        ; implicit-def: $vgpr20_vgpr21
                                        ; implicit-def: $vgpr22_vgpr23
                                        ; implicit-def: $vgpr24_vgpr25
                                        ; implicit-def: $vgpr26_vgpr27
                                        ; implicit-def: $vgpr28_vgpr29
                                        ; implicit-def: $vgpr30_vgpr31
                                        ; implicit-def: $vgpr32_vgpr33
                                        ; implicit-def: $vgpr34_vgpr35
                                        ; implicit-def: $vgpr36_vgpr37
                                        ; implicit-def: $vgpr38_vgpr39
                                        ; implicit-def: $vgpr40_vgpr41
                                        ; implicit-def: $vgpr42_vgpr43
                                        ; implicit-def: $vgpr44_vgpr45
                                        ; implicit-def: $vgpr46_vgpr47
                                        ; implicit-def: $vgpr48_vgpr49
                                        ; implicit-def: $vgpr50_vgpr51
                                        ; implicit-def: $vgpr52_vgpr53
                                        ; implicit-def: $sgpr8_sgpr9
	s_and_b64 vcc, exec, s[6:7]
	v_lshlrev_b32_e32 v54, 2, v0
	s_cbranch_vccz .LBB220_131
.LBB220_123:
	v_mov_b32_e32 v55, 0
	v_lshl_add_u64 v[2:3], s[54:55], 0, v[54:55]
	v_add_co_u32_e32 v4, vcc, 0x1000, v2
	s_movk_i32 s3, 0x58
	s_nop 0
	v_addc_co_u32_e32 v5, vcc, 0, v3, vcc
	flat_load_dword v8, v[2:3]
	flat_load_dword v9, v[2:3] offset:1024
	s_waitcnt lgkmcnt(0)
	flat_load_dword v10, v[2:3] offset:2048
	flat_load_dword v11, v[2:3] offset:3072
	flat_load_dword v12, v[4:5]
	flat_load_dword v13, v[4:5] offset:1024
	flat_load_dword v14, v[4:5] offset:2048
	flat_load_dword v15, v[4:5] offset:3072
	v_add_co_u32_e32 v4, vcc, 0x2000, v2
	v_mad_u32_u24 v1, v0, s3, v54
	s_nop 0
	v_addc_co_u32_e32 v5, vcc, 0, v3, vcc
	v_add_co_u32_e32 v6, vcc, 0x3000, v2
	s_cmp_eq_u64 s[76:77], 0
	s_nop 0
	v_addc_co_u32_e32 v7, vcc, 0, v3, vcc
	flat_load_dword v16, v[4:5]
	flat_load_dword v17, v[4:5] offset:1024
	flat_load_dword v18, v[4:5] offset:2048
	flat_load_dword v19, v[4:5] offset:3072
	flat_load_dword v20, v[6:7]
	flat_load_dword v21, v[6:7] offset:1024
	flat_load_dword v22, v[6:7] offset:2048
	;; [unrolled: 1-line block ×3, first 2 shown]
	v_add_co_u32_e32 v4, vcc, 0x4000, v2
	s_nop 1
	v_addc_co_u32_e32 v5, vcc, 0, v3, vcc
	v_add_co_u32_e32 v2, vcc, 0x5000, v2
	s_nop 1
	v_addc_co_u32_e32 v3, vcc, 0, v3, vcc
	flat_load_dword v6, v[4:5]
	flat_load_dword v7, v[4:5] offset:1024
	flat_load_dword v24, v[4:5] offset:2048
	flat_load_dword v25, v[4:5] offset:3072
	flat_load_dword v26, v[2:3]
	flat_load_dword v27, v[2:3] offset:1024
	flat_load_dword v28, v[2:3] offset:2048
	s_waitcnt vmcnt(0)
	ds_write2st64_b32 v54, v8, v9 offset1:4
	s_waitcnt lgkmcnt(0)
	ds_write2st64_b32 v54, v10, v11 offset0:8 offset1:12
	ds_write2st64_b32 v54, v12, v13 offset0:16 offset1:20
	;; [unrolled: 1-line block ×10, first 2 shown]
	ds_write_b32 v54, v28 offset:22528
	s_waitcnt lgkmcnt(0)
	s_barrier
	ds_read2_b32 v[2:3], v1 offset1:1
	ds_read2_b32 v[18:19], v1 offset0:2 offset1:3
	ds_read2_b32 v[22:23], v1 offset0:4 offset1:5
	;; [unrolled: 1-line block ×10, first 2 shown]
	ds_read_b32 v10, v1 offset:88
	s_cbranch_scc1 .LBB220_128
; %bb.124:
	s_andn2_b64 vcc, exec, s[64:65]
	s_cbranch_vccnz .LBB220_268
; %bb.125:
	s_lshl_b64 s[4:5], s[76:77], 2
	s_add_u32 s3, s66, s4
	s_addc_u32 s5, s67, s5
	s_add_u32 s4, s3, -4
	s_addc_u32 s5, s5, -1
	s_cbranch_execnz .LBB220_127
.LBB220_126:
	s_add_u32 s4, s54, -4
	s_addc_u32 s5, s55, -1
.LBB220_127:
	s_mov_b64 s[54:55], s[4:5]
.LBB220_128:
	v_mov_b64_e32 v[12:13], s[54:55]
	flat_load_dword v11, v[12:13]
	s_movk_i32 s3, 0xffa8
	v_mad_i32_i24 v12, v0, s3, v1
	v_cmp_ne_u32_e32 vcc, 0, v0
	s_waitcnt lgkmcnt(0)
	ds_write_b32 v12, v10 offset:23552
	s_waitcnt lgkmcnt(0)
	s_barrier
	s_and_saveexec_b64 s[4:5], vcc
	s_cbranch_execz .LBB220_130
; %bb.129:
	s_waitcnt vmcnt(0)
	v_mul_i32_i24_e32 v11, 0xffffffa8, v0
	v_add_u32_e32 v11, v1, v11
	ds_read_b32 v11, v11 offset:23548
.LBB220_130:
	s_or_b64 exec, exec, s[4:5]
	v_mov_b32_e32 v55, 0
	v_lshl_add_u64 v[12:13], s[52:53], 0, v[54:55]
	s_movk_i32 s3, 0x1000
	v_add_co_u32_e32 v14, vcc, s3, v12
	s_movk_i32 s3, 0x2000
	s_nop 0
	v_addc_co_u32_e32 v15, vcc, 0, v13, vcc
	s_waitcnt lgkmcnt(0)
	s_barrier
	flat_load_dword v20, v[12:13]
	flat_load_dword v21, v[12:13] offset:1024
	flat_load_dword v24, v[12:13] offset:2048
	flat_load_dword v25, v[12:13] offset:3072
	flat_load_dword v28, v[14:15]
	flat_load_dword v29, v[14:15] offset:1024
	flat_load_dword v32, v[14:15] offset:2048
	;; [unrolled: 1-line block ×3, first 2 shown]
	v_add_co_u32_e32 v14, vcc, s3, v12
	s_movk_i32 s3, 0x3000
	s_nop 0
	v_addc_co_u32_e32 v15, vcc, 0, v13, vcc
	v_add_co_u32_e32 v16, vcc, s3, v12
	s_movk_i32 s3, 0x4000
	s_nop 0
	v_addc_co_u32_e32 v17, vcc, 0, v13, vcc
	flat_load_dword v36, v[14:15]
	flat_load_dword v37, v[14:15] offset:1024
	flat_load_dword v40, v[14:15] offset:2048
	;; [unrolled: 1-line block ×3, first 2 shown]
	flat_load_dword v44, v[16:17]
	flat_load_dword v45, v[16:17] offset:1024
	flat_load_dword v46, v[16:17] offset:2048
	flat_load_dword v47, v[16:17] offset:3072
	v_add_co_u32_e32 v14, vcc, s3, v12
	s_movk_i32 s3, 0x5000
	s_nop 0
	v_addc_co_u32_e32 v15, vcc, 0, v13, vcc
	v_add_co_u32_e32 v12, vcc, s3, v12
	v_cmp_ne_u32_e64 s[4:5], v5, v10
	s_nop 0
	v_addc_co_u32_e32 v13, vcc, 0, v13, vcc
	flat_load_dword v16, v[14:15]
	flat_load_dword v17, v[14:15] offset:1024
	flat_load_dword v48, v[14:15] offset:2048
	;; [unrolled: 1-line block ×3, first 2 shown]
	flat_load_dword v50, v[12:13]
	flat_load_dword v51, v[12:13] offset:1024
	flat_load_dword v52, v[12:13] offset:2048
	s_waitcnt vmcnt(0)
	v_cmp_ne_u32_e32 vcc, v11, v2
	s_mov_b64 s[10:11], -1
                                        ; implicit-def: $sgpr8_sgpr9
	s_waitcnt lgkmcnt(0)
	ds_write2st64_b32 v54, v20, v21 offset1:4
	ds_write2st64_b32 v54, v24, v25 offset0:8 offset1:12
	ds_write2st64_b32 v54, v28, v29 offset0:16 offset1:20
	;; [unrolled: 1-line block ×10, first 2 shown]
	ds_write_b32 v54, v52 offset:22528
	v_cndmask_b32_e64 v11, 0, 1, vcc
	v_cmp_ne_u32_e32 vcc, v2, v3
	s_waitcnt lgkmcnt(0)
	s_barrier
	v_cndmask_b32_e64 v13, 0, 1, vcc
	v_cmp_ne_u32_e32 vcc, v3, v18
	ds_read2_b32 v[16:17], v1 offset1:1
	ds_read2_b32 v[20:21], v1 offset0:2 offset1:3
	ds_read2_b32 v[24:25], v1 offset0:4 offset1:5
	;; [unrolled: 1-line block ×10, first 2 shown]
	ds_read_b32 v3, v1 offset:88
	v_cndmask_b32_e64 v15, 0, 1, vcc
	v_cmp_ne_u32_e32 vcc, v18, v19
	s_waitcnt lgkmcnt(11)
	v_mov_b32_e32 v12, v17
	v_mov_b32_e32 v10, v16
	v_cndmask_b32_e64 v17, 0, 1, vcc
	v_cmp_ne_u32_e32 vcc, v19, v22
	s_waitcnt lgkmcnt(10)
	v_mov_b32_e32 v16, v21
	v_mov_b32_e32 v14, v20
	;; [unrolled: 5-line block ×5, first 2 shown]
	v_cndmask_b32_e64 v25, 0, 1, vcc
	v_cmp_ne_u32_e32 vcc, v27, v30
	s_waitcnt lgkmcnt(6)
	v_mov_b32_e32 v32, v37
	s_waitcnt lgkmcnt(2)
	v_mov_b32_e32 v48, v51
	v_cndmask_b32_e64 v27, 0, 1, vcc
	v_cmp_ne_u32_e32 vcc, v30, v31
	v_mov_b32_e32 v30, v36
	v_mov_b32_e32 v36, v41
	v_cndmask_b32_e64 v29, 0, 1, vcc
	v_cmp_ne_u32_e32 vcc, v31, v34
	s_waitcnt lgkmcnt(1)
	v_mov_b32_e32 v52, v57
	v_cndmask_b32_e64 v31, 0, 1, vcc
	v_cmp_ne_u32_e32 vcc, v34, v35
	v_mov_b32_e32 v34, v40
	v_mov_b32_e32 v40, v45
	v_cndmask_b32_e64 v33, 0, 1, vcc
	v_cmp_ne_u32_e32 vcc, v35, v38
	s_nop 1
	v_cndmask_b32_e64 v35, 0, 1, vcc
	v_cmp_ne_u32_e32 vcc, v38, v39
	v_mov_b32_e32 v38, v44
	v_mov_b32_e32 v44, v47
	v_cndmask_b32_e64 v37, 0, 1, vcc
	v_cmp_ne_u32_e32 vcc, v39, v42
	s_nop 1
	v_cndmask_b32_e64 v39, 0, 1, vcc
	v_cmp_ne_u32_e32 vcc, v42, v43
	v_mov_b32_e32 v42, v46
	v_mov_b32_e32 v46, v50
	v_cndmask_b32_e64 v41, 0, 1, vcc
	v_cmp_ne_u32_e32 vcc, v43, v8
	v_mov_b32_e32 v50, v56
	s_nop 0
	v_cndmask_b32_e64 v43, 0, 1, vcc
	v_cmp_ne_u32_e32 vcc, v8, v9
	s_nop 1
	v_cndmask_b32_e64 v45, 0, 1, vcc
	v_cmp_ne_u32_e32 vcc, v9, v6
	;; [unrolled: 3-line block ×5, first 2 shown]
	s_nop 1
	v_cndmask_b32_e64 v53, 0, 1, vcc
.LBB220_131:
	v_mov_b64_e32 v[56:57], s[8:9]
	s_and_saveexec_b64 s[6:7], s[10:11]
	s_cbranch_execz .LBB220_133
; %bb.132:
	v_cndmask_b32_e64 v57, 0, 1, s[4:5]
	s_waitcnt lgkmcnt(0)
	v_mov_b32_e32 v56, v3
.LBB220_133:
	s_or_b64 exec, exec, s[6:7]
	s_mov_b32 s46, 0
	s_cmp_lg_u32 s2, 0
	v_or_b32_e32 v55, v57, v53
	v_lshrrev_b32_e32 v1, 5, v0
	v_cmp_gt_u32_e32 vcc, 64, v0
	s_waitcnt lgkmcnt(0)
	s_barrier
	s_cbranch_scc0 .LBB220_172
; %bb.134:
	s_mov_b32 s47, 1
	v_cmp_gt_u64_e64 s[52:53], s[46:47], v[12:13]
	v_cmp_gt_u64_e64 s[4:5], s[46:47], v[14:15]
	v_cmp_gt_u64_e64 s[6:7], s[46:47], v[16:17]
	v_cndmask_b32_e64 v2, 0, v10, s[52:53]
	v_add_u32_e32 v2, v2, v12
	v_cndmask_b32_e64 v2, 0, v2, s[4:5]
	v_add_u32_e32 v2, v2, v14
	v_cndmask_b32_e64 v2, 0, v2, s[6:7]
	v_add_u32_e32 v2, v2, v16
	v_cmp_gt_u64_e64 s[8:9], s[46:47], v[18:19]
	v_cmp_gt_u64_e64 s[10:11], s[46:47], v[20:21]
	v_cmp_gt_u64_e64 s[12:13], s[46:47], v[22:23]
	v_cndmask_b32_e64 v2, 0, v2, s[8:9]
	v_add_u32_e32 v2, v2, v18
	v_cndmask_b32_e64 v2, 0, v2, s[10:11]
	v_add_u32_e32 v2, v2, v20
	v_cndmask_b32_e64 v2, 0, v2, s[12:13]
	v_add_u32_e32 v2, v2, v22
	;; [unrolled: 9-line block ×7, first 2 shown]
	v_cmp_gt_u64_e64 s[46:47], s[46:47], v[56:57]
	s_nop 1
	v_cndmask_b32_e64 v2, 0, v2, s[46:47]
	v_add_u32_e32 v62, v2, v56
	v_or3_b32 v2, v55, v51, v49
	v_or3_b32 v2, v2, v47, v45
	;; [unrolled: 1-line block ×10, first 2 shown]
	v_and_b32_e32 v2, 1, v2
	v_cmp_eq_u32_e64 s[48:49], 1, v2
	v_add_lshl_u32 v2, v1, v0, 3
	s_nop 0
	v_cndmask_b32_e64 v63, v11, 1, s[48:49]
	ds_write_b32 v2, v62
	ds_write_b8 v2, v63 offset:4
	s_waitcnt lgkmcnt(0)
	s_barrier
	s_and_saveexec_b64 s[50:51], vcc
	s_cbranch_execz .LBB220_146
; %bb.135:
	v_lshrrev_b32_e32 v2, 3, v0
	v_add_lshl_u32 v4, v2, v54, 3
	ds_read2_b32 v[6:7], v4 offset0:2 offset1:4
	ds_read_b64 v[2:3], v4
	ds_read_u8 v8, v4 offset:12
	ds_read_u8 v9, v4 offset:20
	ds_read_b32 v58, v4 offset:24
	ds_read_u8 v59, v4 offset:28
	v_mov_b32_e32 v60, 0
	s_waitcnt lgkmcnt(3)
	v_cmp_eq_u16_sdwa s[48:49], v8, v60 src0_sel:BYTE_0 src1_sel:DWORD
	v_and_b32_e32 v5, 1, v3
	s_nop 0
	v_cndmask_b32_e64 v61, 0, v2, s[48:49]
	v_add_u32_e32 v6, v61, v6
	s_waitcnt lgkmcnt(2)
	v_cmp_eq_u16_sdwa s[48:49], v9, v60 src0_sel:BYTE_0 src1_sel:DWORD
	s_nop 1
	v_cndmask_b32_e64 v6, 0, v6, s[48:49]
	v_add_u32_e32 v6, v6, v7
	s_waitcnt lgkmcnt(0)
	v_cmp_eq_u16_e64 s[48:49], 0, v59
	s_nop 1
	v_cndmask_b32_e64 v6, 0, v6, s[48:49]
	v_add_u32_e32 v7, v6, v58
	v_or_b32_e32 v6, v59, v9
	v_or_b32_e32 v6, v6, v8
	v_and_b32_e32 v6, 1, v6
	v_cmp_eq_u32_e64 s[48:49], 1, v6
	v_mbcnt_lo_u32_b32 v8, -1, 0
	v_and_b32_e32 v6, 0xffffff00, v3
	v_cndmask_b32_e64 v9, v5, 1, s[48:49]
	v_mbcnt_hi_u32_b32 v8, -1, v8
	v_and_b32_e32 v59, 15, v8
	v_or_b32_sdwa v58, v6, v9 dst_sel:DWORD dst_unused:UNUSED_PAD src0_sel:DWORD src1_sel:WORD_0
	v_mov_b32_dpp v60, v7 row_shr:1 row_mask:0xf bank_mask:0xf
	v_cmp_ne_u32_e64 s[48:49], 0, v59
	v_mov_b32_dpp v61, v58 row_shr:1 row_mask:0xf bank_mask:0xf
	s_and_saveexec_b64 s[54:55], s[48:49]
; %bb.136:
	v_and_b32_e32 v58, 1, v9
	v_and_b32_e32 v61, 1, v61
	v_cmp_eq_u32_e64 s[48:49], 1, v58
	s_nop 1
	v_cndmask_b32_e64 v61, v61, 1, s[48:49]
	v_cmp_eq_u16_e64 s[48:49], 0, v9
	v_or_b32_sdwa v58, v6, v61 dst_sel:DWORD dst_unused:UNUSED_PAD src0_sel:DWORD src1_sel:WORD_0
	s_nop 0
	v_cndmask_b32_e64 v9, 0, v60, s[48:49]
	v_add_u32_e32 v7, v9, v7
	v_mov_b32_e32 v9, v61
; %bb.137:
	s_or_b64 exec, exec, s[54:55]
	v_mov_b32_dpp v60, v7 row_shr:2 row_mask:0xf bank_mask:0xf
	v_mov_b32_dpp v61, v58 row_shr:2 row_mask:0xf bank_mask:0xf
	v_cmp_lt_u32_e64 s[48:49], 1, v59
	s_and_saveexec_b64 s[54:55], s[48:49]
; %bb.138:
	v_and_b32_e32 v58, 1, v9
	v_and_b32_e32 v61, 1, v61
	v_cmp_eq_u32_e64 s[48:49], 1, v58
	s_nop 1
	v_cndmask_b32_e64 v61, v61, 1, s[48:49]
	v_cmp_eq_u16_e64 s[48:49], 0, v9
	v_or_b32_sdwa v58, v6, v61 dst_sel:DWORD dst_unused:UNUSED_PAD src0_sel:DWORD src1_sel:WORD_0
	s_nop 0
	v_cndmask_b32_e64 v9, 0, v60, s[48:49]
	v_add_u32_e32 v7, v9, v7
	v_mov_b32_e32 v9, v61
; %bb.139:
	s_or_b64 exec, exec, s[54:55]
	v_mov_b32_dpp v60, v7 row_shr:4 row_mask:0xf bank_mask:0xf
	v_mov_b32_dpp v61, v58 row_shr:4 row_mask:0xf bank_mask:0xf
	v_cmp_lt_u32_e64 s[48:49], 3, v59
	;; [unrolled: 18-line block ×3, first 2 shown]
	s_and_saveexec_b64 s[54:55], s[48:49]
; %bb.142:
	v_and_b32_e32 v58, 1, v9
	v_and_b32_e32 v59, 1, v61
	v_cmp_eq_u32_e64 s[48:49], 1, v58
	s_nop 1
	v_cndmask_b32_e64 v59, v59, 1, s[48:49]
	v_cmp_eq_u16_e64 s[48:49], 0, v9
	v_or_b32_sdwa v58, v6, v59 dst_sel:DWORD dst_unused:UNUSED_PAD src0_sel:DWORD src1_sel:WORD_0
	s_nop 0
	v_cndmask_b32_e64 v9, 0, v60, s[48:49]
	v_add_u32_e32 v7, v9, v7
	v_mov_b32_e32 v9, v59
; %bb.143:
	s_or_b64 exec, exec, s[54:55]
	v_and_b32_e32 v61, 16, v8
	v_mov_b32_dpp v59, v7 row_bcast:15 row_mask:0xf bank_mask:0xf
	v_mov_b32_dpp v60, v58 row_bcast:15 row_mask:0xf bank_mask:0xf
	v_cmp_ne_u32_e64 s[48:49], 0, v61
	s_and_saveexec_b64 s[54:55], s[48:49]
; %bb.144:
	v_and_b32_e32 v58, 1, v9
	v_and_b32_e32 v60, 1, v60
	v_cmp_eq_u32_e64 s[48:49], 1, v58
	s_nop 1
	v_cndmask_b32_e64 v60, v60, 1, s[48:49]
	v_cmp_eq_u16_e64 s[48:49], 0, v9
	v_or_b32_sdwa v58, v6, v60 dst_sel:DWORD dst_unused:UNUSED_PAD src0_sel:DWORD src1_sel:WORD_0
	s_nop 0
	v_cndmask_b32_e64 v9, 0, v59, s[48:49]
	v_add_u32_e32 v7, v9, v7
	v_mov_b32_e32 v9, v60
; %bb.145:
	s_or_b64 exec, exec, s[54:55]
	v_mov_b32_dpp v58, v58 row_bcast:31 row_mask:0xf bank_mask:0xf
	v_and_b32_e32 v60, 1, v9
	v_and_b32_e32 v58, 1, v58
	v_cmp_eq_u32_e64 s[48:49], 1, v60
	v_mov_b32_e32 v60, 0
	v_cmp_eq_u16_sdwa s[54:55], v9, v60 src0_sel:BYTE_0 src1_sel:DWORD
	v_cndmask_b32_e64 v58, v58, 1, s[48:49]
	v_cmp_lt_u32_e64 s[48:49], 31, v8
	v_mov_b32_dpp v59, v7 row_bcast:31 row_mask:0xf bank_mask:0xf
	s_movk_i32 s3, 0xff
	v_cndmask_b32_e64 v9, v9, v58, s[48:49]
	s_and_b64 s[48:49], s[48:49], s[54:55]
	v_cndmask_b32_e64 v58, 0, v59, s[48:49]
	v_add_u32_e32 v7, v58, v7
	v_add_u32_e32 v58, -1, v8
	v_and_b32_e32 v59, 64, v8
	v_cmp_lt_i32_e64 s[48:49], v58, v59
	v_and_or_b32 v6, v9, s3, v6
	s_nop 0
	v_cndmask_b32_e64 v8, v58, v8, s[48:49]
	v_lshlrev_b32_e32 v8, 2, v8
	ds_bpermute_b32 v7, v8, v7
	ds_bpermute_b32 v6, v8, v6
	v_cmp_eq_u16_sdwa s[48:49], v3, v60 src0_sel:BYTE_0 src1_sel:DWORD
	; wave barrier
	s_waitcnt lgkmcnt(1)
	s_nop 0
	v_cndmask_b32_e64 v3, 0, v7, s[48:49]
	v_add_u32_e32 v2, v3, v2
	s_waitcnt lgkmcnt(0)
	v_and_b32_e32 v3, 1, v6
	v_cmp_eq_u32_e64 s[48:49], 1, v5
	s_nop 1
	v_cndmask_b32_e64 v3, v3, 1, s[48:49]
	v_cmp_eq_u32_e64 s[48:49], 0, v0
	s_nop 1
	v_cndmask_b32_e64 v5, v2, v62, s[48:49]
	v_cndmask_b32_e64 v6, v3, v63, s[48:49]
	ds_write_b32 v4, v5
	ds_write_b8 v4, v6 offset:4
	; wave barrier
	ds_read_u8 v7, v4 offset:12
	ds_read2_b32 v[2:3], v4 offset0:2 offset1:4
	ds_read_u8 v8, v4 offset:20
	ds_read_b32 v9, v4 offset:24
	ds_read_u8 v58, v4 offset:28
	s_waitcnt lgkmcnt(4)
	v_cmp_eq_u16_e64 s[48:49], 0, v7
	s_nop 1
	v_cndmask_b32_e64 v5, 0, v5, s[48:49]
	s_waitcnt lgkmcnt(3)
	v_add_u32_e32 v2, v5, v2
	v_and_b32_e32 v5, 1, v7
	v_cmp_eq_u32_e64 s[48:49], 1, v5
	s_nop 1
	v_cndmask_b32_e64 v5, v6, 1, s[48:49]
	s_waitcnt lgkmcnt(2)
	v_cmp_eq_u16_e64 s[48:49], 0, v8
	ds_write_b8 v4, v5 offset:12
	s_nop 0
	v_cndmask_b32_e64 v6, 0, v2, s[48:49]
	v_add_u32_e32 v3, v6, v3
	v_and_b32_e32 v6, 1, v8
	v_cmp_eq_u32_e64 s[48:49], 1, v6
	s_nop 1
	v_cndmask_b32_e64 v5, v5, 1, s[48:49]
	s_waitcnt lgkmcnt(1)
	v_cmp_eq_u16_e64 s[48:49], 0, v58
	ds_write2_b32 v4, v2, v3 offset0:2 offset1:4
	ds_write_b8 v4, v5 offset:20
	v_cndmask_b32_e64 v2, 0, v3, s[48:49]
	v_and_b32_e32 v3, 1, v58
	v_add_u32_e32 v2, v2, v9
	v_cmp_eq_u32_e64 s[48:49], 1, v3
	s_nop 1
	v_cndmask_b32_e64 v3, v5, 1, s[48:49]
	ds_write_b32 v4, v2 offset:24
	ds_write_b8 v4, v3 offset:28
.LBB220_146:
	s_or_b64 exec, exec, s[50:51]
	v_cmp_eq_u32_e64 s[48:49], 0, v0
	v_cmp_ne_u32_e64 s[50:51], 0, v0
	s_waitcnt lgkmcnt(0)
	s_barrier
	s_and_saveexec_b64 s[54:55], s[50:51]
	s_cbranch_execz .LBB220_148
; %bb.147:
	v_add_u32_e32 v2, -1, v0
	v_lshrrev_b32_e32 v3, 5, v2
	v_add_lshl_u32 v2, v3, v2, 3
	ds_read_b32 v62, v2
	ds_read_u8 v63, v2 offset:4
.LBB220_148:
	s_or_b64 exec, exec, s[54:55]
	s_and_saveexec_b64 s[60:61], vcc
	s_cbranch_execz .LBB220_171
; %bb.149:
	v_mov_b32_e32 v5, 0
	ds_read_b64 v[2:3], v5 offset:2096
	v_mbcnt_lo_u32_b32 v4, -1, 0
	v_mbcnt_hi_u32_b32 v73, -1, v4
	s_mov_b32 s65, 0
	v_cmp_eq_u32_e64 s[50:51], 0, v73
	s_waitcnt lgkmcnt(0)
	v_readfirstlane_b32 s3, v3
	s_and_saveexec_b64 s[54:55], s[50:51]
	s_cbranch_execz .LBB220_151
; %bb.150:
	s_add_i32 s64, s2, 64
	s_lshl_b64 s[66:67], s[64:65], 4
	s_add_u32 s66, s68, s66
	s_addc_u32 s67, s69, s67
	s_and_b32 s77, s3, 0xff000000
	s_mov_b32 s76, s65
	s_and_b32 s79, s3, 0xff0000
	s_mov_b32 s78, s65
	s_or_b64 s[76:77], s[78:79], s[76:77]
	s_and_b32 s79, s3, 0xff00
	s_or_b64 s[76:77], s[76:77], s[78:79]
	s_and_b32 s79, s3, 0xff
	s_or_b64 s[64:65], s[76:77], s[78:79]
	v_mov_b32_e32 v3, s65
	v_mov_b32_e32 v4, 1
	v_mov_b64_e32 v[6:7], s[66:67]
	;;#ASMSTART
	global_store_dwordx4 v[6:7], v[2:5] off sc1	
s_waitcnt vmcnt(0)
	;;#ASMEND
.LBB220_151:
	s_or_b64 exec, exec, s[54:55]
	v_xad_u32 v58, v73, -1, s2
	v_add_u32_e32 v4, 64, v58
	v_lshl_add_u64 v[60:61], v[4:5], 4, s[68:69]
	;;#ASMSTART
	global_load_dwordx4 v[6:9], v[60:61] off sc1	
s_waitcnt vmcnt(0)
	;;#ASMEND
	s_nop 0
	v_and_b32_e32 v3, 0xff0000, v6
	v_and_b32_e32 v4, 0xff000000, v6
	;; [unrolled: 1-line block ×3, first 2 shown]
	v_or_b32_sdwa v3, v6, v3 dst_sel:DWORD dst_unused:UNUSED_PAD src0_sel:WORD_0 src1_sel:DWORD
	v_or3_b32 v7, 0, 0, v7
	v_or3_b32 v6, v3, v4, 0
	v_cmp_eq_u16_sdwa s[64:65], v8, v5 src0_sel:BYTE_0 src1_sel:DWORD
	s_and_saveexec_b64 s[54:55], s[64:65]
	s_cbranch_execz .LBB220_157
; %bb.152:
	s_mov_b32 s66, 1
	s_mov_b64 s[64:65], 0
	v_mov_b32_e32 v3, 0
.LBB220_153:                            ; =>This Loop Header: Depth=1
                                        ;     Child Loop BB220_154 Depth 2
	s_max_u32 s67, s66, 1
.LBB220_154:                            ;   Parent Loop BB220_153 Depth=1
                                        ; =>  This Inner Loop Header: Depth=2
	s_add_i32 s67, s67, -1
	s_cmp_eq_u32 s67, 0
	s_sleep 1
	s_cbranch_scc0 .LBB220_154
; %bb.155:                              ;   in Loop: Header=BB220_153 Depth=1
	s_cmp_lt_u32 s66, 32
	s_cselect_b64 s[76:77], -1, 0
	s_cmp_lg_u64 s[76:77], 0
	s_addc_u32 s66, s66, 0
	;;#ASMSTART
	global_load_dwordx4 v[6:9], v[60:61] off sc1	
s_waitcnt vmcnt(0)
	;;#ASMEND
	s_nop 0
	v_cmp_ne_u16_sdwa s[76:77], v8, v3 src0_sel:BYTE_0 src1_sel:DWORD
	s_or_b64 s[64:65], s[76:77], s[64:65]
	s_andn2_b64 exec, exec, s[64:65]
	s_cbranch_execnz .LBB220_153
; %bb.156:
	s_or_b64 exec, exec, s[64:65]
	v_and_b32_e32 v7, 0xff, v7
.LBB220_157:
	s_or_b64 exec, exec, s[54:55]
	v_mov_b32_e32 v3, 2
	v_cmp_eq_u16_sdwa s[54:55], v8, v3 src0_sel:BYTE_0 src1_sel:DWORD
	v_lshlrev_b64 v[4:5], v73, -1
	v_and_b32_e32 v64, 63, v73
	v_and_b32_e32 v9, s55, v5
	v_or_b32_e32 v9, 0x80000000, v9
	v_and_b32_e32 v59, s54, v4
	v_ffbl_b32_e32 v9, v9
	v_add_u32_e32 v9, 32, v9
	v_ffbl_b32_e32 v59, v59
	v_cmp_ne_u32_e32 vcc, 63, v64
	v_min_u32_e32 v9, v59, v9
	s_mov_b32 s64, 0
	v_addc_co_u32_e32 v59, vcc, 0, v73, vcc
	v_lshlrev_b32_e32 v65, 2, v59
	ds_bpermute_b32 v59, v65, v7
	ds_bpermute_b32 v60, v65, v6
	v_and_b32_e32 v61, 1, v7
	s_mov_b32 s65, 1
	v_cmp_eq_u32_e32 vcc, 1, v61
	s_waitcnt lgkmcnt(1)
	v_and_b32_e32 v59, 1, v59
	v_cmp_lt_u32_e64 s[54:55], v64, v9
	v_cndmask_b32_e64 v59, v59, 1, vcc
	v_cmp_gt_u64_e32 vcc, s[64:65], v[6:7]
	s_and_b64 vcc, s[54:55], vcc
	v_and_b32_e32 v61, 0xffff, v59
	v_cndmask_b32_e64 v68, v7, v59, s[54:55]
	s_waitcnt lgkmcnt(0)
	v_cndmask_b32_e32 v59, 0, v60, vcc
	v_cmp_gt_u32_e32 vcc, 62, v64
	v_cndmask_b32_e64 v7, v7, v61, s[54:55]
	v_add_u32_e32 v6, v59, v6
	v_cndmask_b32_e64 v60, 0, 1, vcc
	v_lshlrev_b32_e32 v60, 1, v60
	v_add_lshl_u32 v66, v60, v73, 2
	ds_bpermute_b32 v60, v66, v7
	ds_bpermute_b32 v61, v66, v6
	v_and_b32_e32 v59, 1, v68
	v_cmp_eq_u32_e32 vcc, 1, v59
	v_mov_b32_e32 v59, 0
	s_waitcnt lgkmcnt(1)
	v_and_b32_e32 v60, 1, v60
	v_add_u32_e32 v67, 2, v64
	v_cndmask_b32_e64 v60, v60, 1, vcc
	v_cmp_eq_u16_sdwa vcc, v68, v59 src0_sel:BYTE_0 src1_sel:DWORD
	v_and_b32_e32 v69, 0xffff, v60
	v_add_u32_e32 v77, 32, v64
	s_waitcnt lgkmcnt(0)
	v_cndmask_b32_e32 v61, 0, v61, vcc
	v_cmp_gt_u32_e32 vcc, v67, v9
	s_nop 1
	v_cndmask_b32_e32 v60, v60, v68, vcc
	v_cndmask_b32_e64 v61, v61, 0, vcc
	v_cndmask_b32_e32 v7, v69, v7, vcc
	v_cmp_gt_u32_e32 vcc, 60, v64
	v_add_u32_e32 v6, v61, v6
	v_and_b32_e32 v71, 1, v60
	v_cndmask_b32_e64 v68, 0, 1, vcc
	v_lshlrev_b32_e32 v68, 2, v68
	v_add_lshl_u32 v68, v68, v73, 2
	ds_bpermute_b32 v70, v68, v7
	ds_bpermute_b32 v61, v68, v6
	v_cmp_eq_u32_e32 vcc, 1, v71
	v_add_u32_e32 v69, 4, v64
	s_waitcnt lgkmcnt(1)
	v_and_b32_e32 v70, 1, v70
	v_cndmask_b32_e64 v70, v70, 1, vcc
	v_cmp_eq_u16_sdwa vcc, v60, v59 src0_sel:BYTE_0 src1_sel:DWORD
	v_and_b32_e32 v71, 0xffff, v70
	s_waitcnt lgkmcnt(0)
	v_cndmask_b32_e32 v61, 0, v61, vcc
	v_cmp_gt_u32_e32 vcc, v69, v9
	s_nop 1
	v_cndmask_b32_e32 v60, v70, v60, vcc
	v_cndmask_b32_e64 v61, v61, 0, vcc
	v_cndmask_b32_e32 v7, v71, v7, vcc
	v_cmp_gt_u32_e32 vcc, 56, v64
	v_add_u32_e32 v6, v61, v6
	v_and_b32_e32 v74, 1, v60
	v_cndmask_b32_e64 v70, 0, 1, vcc
	v_lshlrev_b32_e32 v70, 3, v70
	v_add_lshl_u32 v70, v70, v73, 2
	ds_bpermute_b32 v72, v70, v7
	ds_bpermute_b32 v61, v70, v6
	v_cmp_eq_u32_e32 vcc, 1, v74
	v_add_u32_e32 v71, 8, v64
	s_waitcnt lgkmcnt(1)
	v_and_b32_e32 v72, 1, v72
	v_cndmask_b32_e64 v72, v72, 1, vcc
	v_cmp_eq_u16_sdwa vcc, v60, v59 src0_sel:BYTE_0 src1_sel:DWORD
	v_and_b32_e32 v74, 0xffff, v72
	;; [unrolled: 22-line block ×3, first 2 shown]
	s_waitcnt lgkmcnt(0)
	v_cndmask_b32_e32 v61, 0, v61, vcc
	v_cmp_gt_u32_e32 vcc, v74, v9
	s_nop 1
	v_cndmask_b32_e32 v60, v75, v60, vcc
	v_cndmask_b32_e64 v61, v61, 0, vcc
	v_cndmask_b32_e32 v7, v76, v7, vcc
	v_cmp_gt_u32_e32 vcc, 32, v64
	v_add_u32_e32 v6, v61, v6
	s_nop 0
	v_cndmask_b32_e64 v75, 0, 1, vcc
	v_lshlrev_b32_e32 v75, 5, v75
	v_add_lshl_u32 v76, v75, v73, 2
	ds_bpermute_b32 v7, v76, v7
	ds_bpermute_b32 v61, v76, v6
	v_and_b32_e32 v73, 1, v60
	v_cmp_eq_u32_e32 vcc, 1, v73
	s_waitcnt lgkmcnt(1)
	v_and_b32_e32 v7, 1, v7
	v_cndmask_b32_e64 v7, v7, 1, vcc
	v_cmp_eq_u16_sdwa vcc, v60, v59 src0_sel:BYTE_0 src1_sel:DWORD
	s_waitcnt lgkmcnt(0)
	s_nop 0
	v_cndmask_b32_e32 v61, 0, v61, vcc
	v_cmp_gt_u32_e32 vcc, v77, v9
	s_nop 1
	v_cndmask_b32_e64 v9, v61, 0, vcc
	v_cndmask_b32_e32 v7, v7, v60, vcc
	v_add_u32_e32 v6, v9, v6
	s_branch .LBB220_159
.LBB220_158:                            ;   in Loop: Header=BB220_159 Depth=1
	s_or_b64 exec, exec, s[54:55]
	v_cmp_eq_u16_sdwa s[54:55], v8, v3 src0_sel:BYTE_0 src1_sel:DWORD
	ds_bpermute_b32 v61, v65, v7
	v_and_b32_e32 v78, 1, v7
	v_and_b32_e32 v9, s55, v5
	v_or_b32_e32 v9, 0x80000000, v9
	v_and_b32_e32 v60, s54, v4
	v_ffbl_b32_e32 v9, v9
	v_add_u32_e32 v9, 32, v9
	v_ffbl_b32_e32 v60, v60
	v_min_u32_e32 v9, v60, v9
	ds_bpermute_b32 v60, v65, v6
	s_waitcnt lgkmcnt(1)
	v_and_b32_e32 v61, 1, v61
	v_cmp_eq_u32_e32 vcc, 1, v78
	v_cmp_lt_u32_e64 s[54:55], v64, v9
	v_subrev_u32_e32 v58, 64, v58
	v_cndmask_b32_e64 v61, v61, 1, vcc
	v_cmp_gt_u64_e32 vcc, s[64:65], v[6:7]
	v_and_b32_e32 v78, 0xffff, v61
	v_cndmask_b32_e64 v61, v7, v61, s[54:55]
	v_cndmask_b32_e64 v7, v7, v78, s[54:55]
	s_and_b64 vcc, s[54:55], vcc
	ds_bpermute_b32 v78, v66, v7
	s_waitcnt lgkmcnt(1)
	v_cndmask_b32_e32 v60, 0, v60, vcc
	v_add_u32_e32 v6, v60, v6
	ds_bpermute_b32 v60, v66, v6
	v_and_b32_e32 v79, 1, v61
	s_waitcnt lgkmcnt(1)
	v_and_b32_e32 v78, 1, v78
	v_cmp_eq_u32_e32 vcc, 1, v79
	s_nop 1
	v_cndmask_b32_e64 v78, v78, 1, vcc
	v_cmp_eq_u16_sdwa vcc, v61, v59 src0_sel:BYTE_0 src1_sel:DWORD
	v_and_b32_e32 v79, 0xffff, v78
	s_waitcnt lgkmcnt(0)
	v_cndmask_b32_e32 v60, 0, v60, vcc
	v_cmp_gt_u32_e32 vcc, v67, v9
	s_nop 1
	v_cndmask_b32_e32 v7, v79, v7, vcc
	v_cndmask_b32_e32 v61, v78, v61, vcc
	ds_bpermute_b32 v78, v68, v7
	v_cndmask_b32_e64 v60, v60, 0, vcc
	v_add_u32_e32 v6, v60, v6
	ds_bpermute_b32 v60, v68, v6
	v_and_b32_e32 v79, 1, v61
	s_waitcnt lgkmcnt(1)
	v_and_b32_e32 v78, 1, v78
	v_cmp_eq_u32_e32 vcc, 1, v79
	s_nop 1
	v_cndmask_b32_e64 v78, v78, 1, vcc
	v_cmp_eq_u16_sdwa vcc, v61, v59 src0_sel:BYTE_0 src1_sel:DWORD
	v_and_b32_e32 v79, 0xffff, v78
	s_waitcnt lgkmcnt(0)
	v_cndmask_b32_e32 v60, 0, v60, vcc
	v_cmp_gt_u32_e32 vcc, v69, v9
	s_nop 1
	v_cndmask_b32_e32 v7, v79, v7, vcc
	v_cndmask_b32_e32 v61, v78, v61, vcc
	ds_bpermute_b32 v78, v70, v7
	v_cndmask_b32_e64 v60, v60, 0, vcc
	;; [unrolled: 18-line block ×3, first 2 shown]
	v_add_u32_e32 v6, v60, v6
	ds_bpermute_b32 v60, v72, v6
	v_and_b32_e32 v79, 1, v61
	s_waitcnt lgkmcnt(1)
	v_and_b32_e32 v78, 1, v78
	v_cmp_eq_u32_e32 vcc, 1, v79
	s_nop 1
	v_cndmask_b32_e64 v78, v78, 1, vcc
	v_cmp_eq_u16_sdwa vcc, v61, v59 src0_sel:BYTE_0 src1_sel:DWORD
	v_and_b32_e32 v79, 0xffff, v78
	s_waitcnt lgkmcnt(0)
	v_cndmask_b32_e32 v60, 0, v60, vcc
	v_cmp_gt_u32_e32 vcc, v74, v9
	s_nop 1
	v_cndmask_b32_e64 v60, v60, 0, vcc
	v_cndmask_b32_e32 v7, v79, v7, vcc
	ds_bpermute_b32 v7, v76, v7
	v_add_u32_e32 v6, v60, v6
	ds_bpermute_b32 v60, v76, v6
	v_cndmask_b32_e32 v61, v78, v61, vcc
	v_and_b32_e32 v78, 1, v61
	v_cmp_eq_u32_e32 vcc, 1, v78
	s_waitcnt lgkmcnt(1)
	s_nop 0
	v_cndmask_b32_e64 v7, v7, 1, vcc
	v_cmp_eq_u16_sdwa vcc, v61, v59 src0_sel:BYTE_0 src1_sel:DWORD
	s_waitcnt lgkmcnt(0)
	s_nop 0
	v_cndmask_b32_e32 v60, 0, v60, vcc
	v_cmp_gt_u32_e32 vcc, v77, v9
	s_nop 1
	v_cndmask_b32_e64 v9, v60, 0, vcc
	v_cndmask_b32_e32 v7, v7, v61, vcc
	v_add_u32_e32 v6, v9, v6
	v_cmp_eq_u16_sdwa vcc, v73, v59 src0_sel:BYTE_0 src1_sel:DWORD
	v_and_b32_e32 v9, 1, v73
	v_and_b32_e32 v7, 1, v7
	v_cndmask_b32_e32 v6, 0, v6, vcc
	v_cmp_eq_u32_e32 vcc, 1, v9
	v_add_u32_e32 v6, v6, v75
	s_nop 0
	v_cndmask_b32_e64 v7, v7, 1, vcc
.LBB220_159:                            ; =>This Loop Header: Depth=1
                                        ;     Child Loop BB220_162 Depth 2
                                        ;       Child Loop BB220_163 Depth 3
	v_cmp_ne_u16_sdwa s[54:55], v8, v3 src0_sel:BYTE_0 src1_sel:DWORD
	v_mov_b32_e32 v73, v7
	v_mov_b32_e32 v75, v6
	v_cndmask_b32_e64 v7, 0, 1, s[54:55]
	;;#ASMSTART
	;;#ASMEND
	s_nop 0
	v_cmp_ne_u32_e32 vcc, 0, v7
	s_cmp_lg_u64 vcc, exec
	s_cbranch_scc1 .LBB220_166
; %bb.160:                              ;   in Loop: Header=BB220_159 Depth=1
	v_lshl_add_u64 v[60:61], v[58:59], 4, s[68:69]
	;;#ASMSTART
	global_load_dwordx4 v[6:9], v[60:61] off sc1	
s_waitcnt vmcnt(0)
	;;#ASMEND
	s_nop 0
	v_and_b32_e32 v9, 0xff0000, v6
	v_and_b32_e32 v78, 0xff000000, v6
	;; [unrolled: 1-line block ×3, first 2 shown]
	v_or_b32_sdwa v6, v6, v9 dst_sel:DWORD dst_unused:UNUSED_PAD src0_sel:WORD_0 src1_sel:DWORD
	v_or3_b32 v7, 0, 0, v7
	v_or3_b32 v6, v6, v78, 0
	v_cmp_eq_u16_sdwa s[66:67], v8, v59 src0_sel:BYTE_0 src1_sel:DWORD
	s_and_saveexec_b64 s[54:55], s[66:67]
	s_cbranch_execz .LBB220_158
; %bb.161:                              ;   in Loop: Header=BB220_159 Depth=1
	s_mov_b32 s71, 1
	s_mov_b64 s[66:67], 0
.LBB220_162:                            ;   Parent Loop BB220_159 Depth=1
                                        ; =>  This Loop Header: Depth=2
                                        ;       Child Loop BB220_163 Depth 3
	s_max_u32 s76, s71, 1
.LBB220_163:                            ;   Parent Loop BB220_159 Depth=1
                                        ;     Parent Loop BB220_162 Depth=2
                                        ; =>    This Inner Loop Header: Depth=3
	s_add_i32 s76, s76, -1
	s_cmp_eq_u32 s76, 0
	s_sleep 1
	s_cbranch_scc0 .LBB220_163
; %bb.164:                              ;   in Loop: Header=BB220_162 Depth=2
	s_cmp_lt_u32 s71, 32
	s_cselect_b64 s[76:77], -1, 0
	s_cmp_lg_u64 s[76:77], 0
	s_addc_u32 s71, s71, 0
	;;#ASMSTART
	global_load_dwordx4 v[6:9], v[60:61] off sc1	
s_waitcnt vmcnt(0)
	;;#ASMEND
	s_nop 0
	v_cmp_ne_u16_sdwa s[76:77], v8, v59 src0_sel:BYTE_0 src1_sel:DWORD
	s_or_b64 s[66:67], s[76:77], s[66:67]
	s_andn2_b64 exec, exec, s[66:67]
	s_cbranch_execnz .LBB220_162
; %bb.165:                              ;   in Loop: Header=BB220_159 Depth=1
	s_or_b64 exec, exec, s[66:67]
	v_and_b32_e32 v7, 0xff, v7
	s_branch .LBB220_158
.LBB220_166:                            ;   in Loop: Header=BB220_159 Depth=1
                                        ; implicit-def: $vgpr7
                                        ; implicit-def: $vgpr6
                                        ; implicit-def: $vgpr8
	s_cbranch_execz .LBB220_159
; %bb.167:
	s_and_saveexec_b64 s[54:55], s[50:51]
	s_cbranch_execz .LBB220_169
; %bb.168:
	s_and_b32 s50, s3, 0xff
	s_cmp_eq_u32 s50, 0
	s_cselect_b64 vcc, -1, 0
	s_bitcmp1_b32 s3, 0
	s_mov_b32 s51, 0
	s_cselect_b64 s[64:65], -1, 0
	s_add_i32 s50, s2, 64
	s_lshl_b64 s[2:3], s[50:51], 4
	v_cndmask_b32_e32 v3, 0, v75, vcc
	s_add_u32 s2, s68, s2
	v_add_u32_e32 v2, v3, v2
	v_and_b32_e32 v3, 1, v73
	s_addc_u32 s3, s69, s3
	v_mov_b32_e32 v5, 0
	v_cndmask_b32_e64 v3, v3, 1, s[64:65]
	v_mov_b32_e32 v4, 2
	v_mov_b64_e32 v[6:7], s[2:3]
	;;#ASMSTART
	global_store_dwordx4 v[6:7], v[2:5] off sc1	
s_waitcnt vmcnt(0)
	;;#ASMEND
.LBB220_169:
	s_or_b64 exec, exec, s[54:55]
	s_and_b64 exec, exec, s[48:49]
	s_cbranch_execz .LBB220_171
; %bb.170:
	v_mov_b32_e32 v2, 0
	ds_write_b32 v2, v75
	ds_write_b8 v2, v73 offset:4
.LBB220_171:
	s_or_b64 exec, exec, s[60:61]
	s_mov_b32 s2, 0
	v_mov_b32_e32 v2, 0
	s_mov_b32 s3, 1
	s_waitcnt lgkmcnt(0)
	s_barrier
	ds_read_b32 v3, v2
	v_cmp_gt_u64_e32 vcc, s[2:3], v[10:11]
	v_and_b32_e32 v5, 1, v11
	v_and_b32_e32 v6, 1, v63
	v_cndmask_b32_e32 v4, 0, v62, vcc
	v_cmp_eq_u32_e32 vcc, 1, v5
	v_cndmask_b32_e64 v4, v4, 0, s[48:49]
	s_nop 0
	v_cndmask_b32_e64 v5, v6, 1, vcc
	v_cndmask_b32_e64 v5, v5, v11, s[48:49]
	v_cmp_eq_u16_sdwa vcc, v5, v2 src0_sel:BYTE_0 src1_sel:DWORD
	s_waitcnt lgkmcnt(0)
	s_nop 0
	v_cndmask_b32_e32 v2, 0, v3, vcc
	v_add3_u32 v80, v4, v10, v2
	v_cndmask_b32_e64 v2, 0, v80, s[52:53]
	v_add_u32_e32 v58, v2, v12
	v_cndmask_b32_e64 v2, 0, v58, s[4:5]
	v_add_u32_e32 v59, v2, v14
	;; [unrolled: 2-line block ×22, first 2 shown]
	s_branch .LBB220_192
.LBB220_172:
                                        ; implicit-def: $vgpr78
                                        ; implicit-def: $vgpr77
                                        ; implicit-def: $vgpr76
                                        ; implicit-def: $vgpr75
                                        ; implicit-def: $vgpr74
                                        ; implicit-def: $vgpr73
                                        ; implicit-def: $vgpr72
                                        ; implicit-def: $vgpr71
                                        ; implicit-def: $vgpr70
                                        ; implicit-def: $vgpr69
                                        ; implicit-def: $vgpr68
                                        ; implicit-def: $vgpr67
                                        ; implicit-def: $vgpr66
                                        ; implicit-def: $vgpr65
                                        ; implicit-def: $vgpr64
                                        ; implicit-def: $vgpr63
                                        ; implicit-def: $vgpr62
                                        ; implicit-def: $vgpr61
                                        ; implicit-def: $vgpr60
                                        ; implicit-def: $vgpr59
                                        ; implicit-def: $vgpr58
                                        ; implicit-def: $vgpr80
                                        ; implicit-def: $vgpr79
	s_cbranch_execz .LBB220_192
; %bb.173:
	s_cmp_lg_u64 s[74:75], 0
	s_cselect_b32 s5, s63, 0
	s_cselect_b32 s4, s62, 0
	s_cmp_lg_u64 s[4:5], 0
	s_cselect_b64 s[6:7], -1, 0
	v_cmp_eq_u32_e32 vcc, 0, v0
	s_mov_b32 s48, 0
	v_cmp_ne_u32_e64 s[2:3], 0, v0
	s_and_b64 s[8:9], vcc, s[6:7]
	s_and_saveexec_b64 s[6:7], s[8:9]
	s_cbranch_execz .LBB220_175
; %bb.174:
	v_mov_b32_e32 v2, 0
	global_load_dword v4, v2, s[4:5]
	global_load_ubyte v5, v2, s[4:5] offset:4
	s_mov_b32 s49, 1
	v_and_b32_e32 v3, 1, v11
	v_cmp_gt_u64_e64 s[4:5], s[48:49], v[10:11]
	s_waitcnt vmcnt(0)
	v_and_b32_e32 v5, 1, v5
	v_cndmask_b32_e64 v4, 0, v4, s[4:5]
	v_cmp_eq_u64_e64 s[4:5], 0, v[2:3]
	v_add_u32_e32 v10, v4, v10
	s_nop 0
	v_cndmask_b32_e64 v11, 1, v5, s[4:5]
.LBB220_175:
	s_or_b64 exec, exec, s[6:7]
	s_mov_b32 s49, 1
	v_cmp_gt_u64_e64 s[4:5], s[48:49], v[12:13]
	v_cmp_gt_u64_e64 s[6:7], s[48:49], v[14:15]
	v_cmp_gt_u64_e64 s[8:9], s[48:49], v[16:17]
	v_cndmask_b32_e64 v2, 0, v10, s[4:5]
	v_add_u32_e32 v58, v2, v12
	v_cndmask_b32_e64 v2, 0, v58, s[6:7]
	v_add_u32_e32 v59, v2, v14
	v_cndmask_b32_e64 v2, 0, v59, s[8:9]
	v_add_u32_e32 v60, v2, v16
	v_cmp_gt_u64_e64 s[10:11], s[48:49], v[18:19]
	v_cmp_gt_u64_e64 s[12:13], s[48:49], v[20:21]
	v_cmp_gt_u64_e64 s[14:15], s[48:49], v[22:23]
	v_cndmask_b32_e64 v2, 0, v60, s[10:11]
	v_add_u32_e32 v61, v2, v18
	v_cndmask_b32_e64 v2, 0, v61, s[12:13]
	v_add_u32_e32 v62, v2, v20
	v_cndmask_b32_e64 v2, 0, v62, s[14:15]
	v_add_u32_e32 v63, v2, v22
	;; [unrolled: 9-line block ×7, first 2 shown]
	v_cmp_gt_u64_e64 s[48:49], s[48:49], v[56:57]
	v_add_lshl_u32 v1, v1, v0, 3
	s_nop 0
	v_cndmask_b32_e64 v2, 0, v78, s[48:49]
	v_add_u32_e32 v79, v2, v56
	v_or3_b32 v2, v55, v51, v49
	v_or3_b32 v2, v2, v47, v45
	;; [unrolled: 1-line block ×10, first 2 shown]
	v_and_b32_e32 v2, 1, v2
	v_cmp_eq_u32_e64 s[50:51], 1, v2
	s_nop 1
	v_cndmask_b32_e64 v4, v11, 1, s[50:51]
	v_cmp_gt_u32_e64 s[50:51], 64, v0
	ds_write_b32 v1, v79
	ds_write_b8 v1, v4 offset:4
	s_waitcnt lgkmcnt(0)
	s_barrier
	s_and_saveexec_b64 s[52:53], s[50:51]
	s_cbranch_execz .LBB220_187
; %bb.176:
	v_lshrrev_b32_e32 v1, 3, v0
	v_add_lshl_u32 v1, v1, v54, 3
	ds_read2_b32 v[6:7], v1 offset0:2 offset1:4
	ds_read_b64 v[2:3], v1
	ds_read_u8 v8, v1 offset:12
	ds_read_u8 v9, v1 offset:20
	ds_read_b32 v13, v1 offset:24
	ds_read_u8 v15, v1 offset:28
	v_mov_b32_e32 v17, 0
	s_waitcnt lgkmcnt(3)
	v_cmp_eq_u16_sdwa s[50:51], v8, v17 src0_sel:BYTE_0 src1_sel:DWORD
	v_and_b32_e32 v5, 1, v3
	s_nop 0
	v_cndmask_b32_e64 v19, 0, v2, s[50:51]
	v_add_u32_e32 v6, v19, v6
	s_waitcnt lgkmcnt(2)
	v_cmp_eq_u16_sdwa s[50:51], v9, v17 src0_sel:BYTE_0 src1_sel:DWORD
	s_nop 1
	v_cndmask_b32_e64 v6, 0, v6, s[50:51]
	v_add_u32_e32 v6, v6, v7
	s_waitcnt lgkmcnt(0)
	v_cmp_eq_u16_e64 s[50:51], 0, v15
	s_nop 1
	v_cndmask_b32_e64 v6, 0, v6, s[50:51]
	v_add_u32_e32 v7, v6, v13
	v_or_b32_e32 v6, v15, v9
	v_or_b32_e32 v6, v6, v8
	v_and_b32_e32 v6, 1, v6
	v_cmp_eq_u32_e64 s[50:51], 1, v6
	v_mbcnt_lo_u32_b32 v8, -1, 0
	v_and_b32_e32 v6, 0xffffff00, v3
	v_cndmask_b32_e64 v9, v5, 1, s[50:51]
	v_mbcnt_hi_u32_b32 v8, -1, v8
	v_and_b32_e32 v15, 15, v8
	v_or_b32_sdwa v13, v6, v9 dst_sel:DWORD dst_unused:UNUSED_PAD src0_sel:DWORD src1_sel:WORD_0
	v_mov_b32_dpp v17, v7 row_shr:1 row_mask:0xf bank_mask:0xf
	v_cmp_ne_u32_e64 s[50:51], 0, v15
	v_mov_b32_dpp v19, v13 row_shr:1 row_mask:0xf bank_mask:0xf
	s_and_saveexec_b64 s[54:55], s[50:51]
; %bb.177:
	v_and_b32_e32 v13, 1, v9
	v_and_b32_e32 v19, 1, v19
	v_cmp_eq_u32_e64 s[50:51], 1, v13
	s_nop 1
	v_cndmask_b32_e64 v19, v19, 1, s[50:51]
	v_cmp_eq_u16_e64 s[50:51], 0, v9
	v_or_b32_sdwa v13, v6, v19 dst_sel:DWORD dst_unused:UNUSED_PAD src0_sel:DWORD src1_sel:WORD_0
	s_nop 0
	v_cndmask_b32_e64 v9, 0, v17, s[50:51]
	v_add_u32_e32 v7, v9, v7
	v_mov_b32_e32 v9, v19
; %bb.178:
	s_or_b64 exec, exec, s[54:55]
	v_mov_b32_dpp v17, v7 row_shr:2 row_mask:0xf bank_mask:0xf
	v_mov_b32_dpp v19, v13 row_shr:2 row_mask:0xf bank_mask:0xf
	v_cmp_lt_u32_e64 s[50:51], 1, v15
	s_and_saveexec_b64 s[54:55], s[50:51]
; %bb.179:
	v_and_b32_e32 v13, 1, v9
	v_and_b32_e32 v19, 1, v19
	v_cmp_eq_u32_e64 s[50:51], 1, v13
	s_nop 1
	v_cndmask_b32_e64 v19, v19, 1, s[50:51]
	v_cmp_eq_u16_e64 s[50:51], 0, v9
	v_or_b32_sdwa v13, v6, v19 dst_sel:DWORD dst_unused:UNUSED_PAD src0_sel:DWORD src1_sel:WORD_0
	s_nop 0
	v_cndmask_b32_e64 v9, 0, v17, s[50:51]
	v_add_u32_e32 v7, v9, v7
	v_mov_b32_e32 v9, v19
; %bb.180:
	s_or_b64 exec, exec, s[54:55]
	v_mov_b32_dpp v17, v7 row_shr:4 row_mask:0xf bank_mask:0xf
	v_mov_b32_dpp v19, v13 row_shr:4 row_mask:0xf bank_mask:0xf
	v_cmp_lt_u32_e64 s[50:51], 3, v15
	;; [unrolled: 18-line block ×3, first 2 shown]
	s_and_saveexec_b64 s[54:55], s[50:51]
; %bb.183:
	v_and_b32_e32 v13, 1, v9
	v_and_b32_e32 v15, 1, v19
	v_cmp_eq_u32_e64 s[50:51], 1, v13
	s_nop 1
	v_cndmask_b32_e64 v15, v15, 1, s[50:51]
	v_cmp_eq_u16_e64 s[50:51], 0, v9
	v_or_b32_sdwa v13, v6, v15 dst_sel:DWORD dst_unused:UNUSED_PAD src0_sel:DWORD src1_sel:WORD_0
	s_nop 0
	v_cndmask_b32_e64 v9, 0, v17, s[50:51]
	v_add_u32_e32 v7, v9, v7
	v_mov_b32_e32 v9, v15
; %bb.184:
	s_or_b64 exec, exec, s[54:55]
	v_and_b32_e32 v19, 16, v8
	v_mov_b32_dpp v15, v7 row_bcast:15 row_mask:0xf bank_mask:0xf
	v_mov_b32_dpp v17, v13 row_bcast:15 row_mask:0xf bank_mask:0xf
	v_cmp_ne_u32_e64 s[50:51], 0, v19
	s_and_saveexec_b64 s[54:55], s[50:51]
; %bb.185:
	v_and_b32_e32 v13, 1, v9
	v_and_b32_e32 v17, 1, v17
	v_cmp_eq_u32_e64 s[50:51], 1, v13
	s_nop 1
	v_cndmask_b32_e64 v17, v17, 1, s[50:51]
	v_cmp_eq_u16_e64 s[50:51], 0, v9
	v_or_b32_sdwa v13, v6, v17 dst_sel:DWORD dst_unused:UNUSED_PAD src0_sel:DWORD src1_sel:WORD_0
	s_nop 0
	v_cndmask_b32_e64 v9, 0, v15, s[50:51]
	v_add_u32_e32 v7, v9, v7
	v_mov_b32_e32 v9, v17
; %bb.186:
	s_or_b64 exec, exec, s[54:55]
	v_mov_b32_dpp v13, v13 row_bcast:31 row_mask:0xf bank_mask:0xf
	v_and_b32_e32 v17, 1, v9
	v_and_b32_e32 v13, 1, v13
	v_cmp_eq_u32_e64 s[50:51], 1, v17
	v_mov_b32_e32 v17, 0
	v_cmp_eq_u16_sdwa s[54:55], v9, v17 src0_sel:BYTE_0 src1_sel:DWORD
	v_cndmask_b32_e64 v13, v13, 1, s[50:51]
	v_cmp_lt_u32_e64 s[50:51], 31, v8
	v_mov_b32_dpp v15, v7 row_bcast:31 row_mask:0xf bank_mask:0xf
	s_movk_i32 s60, 0xff
	v_cndmask_b32_e64 v9, v9, v13, s[50:51]
	s_and_b64 s[50:51], s[50:51], s[54:55]
	v_cndmask_b32_e64 v13, 0, v15, s[50:51]
	v_add_u32_e32 v7, v13, v7
	v_add_u32_e32 v13, -1, v8
	v_and_b32_e32 v15, 64, v8
	v_cmp_lt_i32_e64 s[50:51], v13, v15
	v_and_or_b32 v6, v9, s60, v6
	s_nop 0
	v_cndmask_b32_e64 v8, v13, v8, s[50:51]
	v_lshlrev_b32_e32 v8, 2, v8
	ds_bpermute_b32 v7, v8, v7
	ds_bpermute_b32 v6, v8, v6
	v_cmp_eq_u16_sdwa s[50:51], v3, v17 src0_sel:BYTE_0 src1_sel:DWORD
	; wave barrier
	s_waitcnt lgkmcnt(1)
	s_nop 0
	v_cndmask_b32_e64 v3, 0, v7, s[50:51]
	v_add_u32_e32 v2, v3, v2
	s_waitcnt lgkmcnt(0)
	v_and_b32_e32 v3, 1, v6
	v_cmp_eq_u32_e64 s[50:51], 1, v5
	v_cndmask_b32_e32 v5, v2, v79, vcc
	s_nop 0
	v_cndmask_b32_e64 v3, v3, 1, s[50:51]
	v_cndmask_b32_e32 v4, v3, v4, vcc
	ds_write_b32 v1, v5
	ds_write_b8 v1, v4 offset:4
	; wave barrier
	ds_read_u8 v6, v1 offset:12
	ds_read2_b32 v[2:3], v1 offset0:2 offset1:4
	ds_read_u8 v7, v1 offset:20
	ds_read_b32 v8, v1 offset:24
	ds_read_u8 v9, v1 offset:28
	s_waitcnt lgkmcnt(4)
	v_cmp_eq_u16_e64 s[50:51], 0, v6
	s_nop 1
	v_cndmask_b32_e64 v5, 0, v5, s[50:51]
	s_waitcnt lgkmcnt(3)
	v_add_u32_e32 v2, v5, v2
	v_and_b32_e32 v5, 1, v6
	v_cmp_eq_u32_e64 s[50:51], 1, v5
	s_nop 1
	v_cndmask_b32_e64 v4, v4, 1, s[50:51]
	s_waitcnt lgkmcnt(2)
	v_cmp_eq_u16_e64 s[50:51], 0, v7
	ds_write_b8 v1, v4 offset:12
	s_nop 0
	v_cndmask_b32_e64 v5, 0, v2, s[50:51]
	v_add_u32_e32 v3, v5, v3
	v_and_b32_e32 v5, 1, v7
	v_cmp_eq_u32_e64 s[50:51], 1, v5
	s_nop 1
	v_cndmask_b32_e64 v4, v4, 1, s[50:51]
	s_waitcnt lgkmcnt(1)
	v_cmp_eq_u16_e64 s[50:51], 0, v9
	ds_write2_b32 v1, v2, v3 offset0:2 offset1:4
	ds_write_b8 v1, v4 offset:20
	v_cndmask_b32_e64 v2, 0, v3, s[50:51]
	v_and_b32_e32 v3, 1, v9
	v_add_u32_e32 v2, v2, v8
	v_cmp_eq_u32_e64 s[50:51], 1, v3
	s_nop 1
	v_cndmask_b32_e64 v3, v4, 1, s[50:51]
	ds_write_b32 v1, v2 offset:24
	ds_write_b8 v1, v3 offset:28
.LBB220_187:
	s_or_b64 exec, exec, s[52:53]
	v_mov_b32_e32 v1, v79
	s_waitcnt lgkmcnt(0)
	s_barrier
	s_and_saveexec_b64 s[50:51], s[2:3]
	s_cbranch_execnz .LBB220_265
; %bb.188:
	s_or_b64 exec, exec, s[50:51]
	s_and_saveexec_b64 s[50:51], s[2:3]
	s_cbranch_execnz .LBB220_266
.LBB220_189:
	s_or_b64 exec, exec, s[50:51]
	s_and_saveexec_b64 s[2:3], vcc
	s_cbranch_execz .LBB220_191
.LBB220_190:
	v_mov_b32_e32 v5, 0
	ds_read_b32 v2, v5 offset:2096
	ds_read_u8 v3, v5 offset:2100
	s_add_u32 s4, s68, 0x400
	s_addc_u32 s5, s69, 0
	v_mov_b32_e32 v4, 2
	v_mov_b64_e32 v[6:7], s[4:5]
	s_waitcnt lgkmcnt(0)
	;;#ASMSTART
	global_store_dwordx4 v[6:7], v[2:5] off sc1	
s_waitcnt vmcnt(0)
	;;#ASMEND
.LBB220_191:
	s_or_b64 exec, exec, s[2:3]
	v_mov_b32_e32 v80, v10
.LBB220_192:
	s_add_u32 s2, s58, s72
	s_addc_u32 s3, s59, s73
	s_add_u32 s2, s2, s56
	s_addc_u32 s3, s3, s57
	s_and_b64 vcc, exec, s[0:1]
	s_cbranch_vccz .LBB220_238
; %bb.193:
	s_movk_i32 s0, 0x5c
	v_mul_i32_i24_e32 v26, 0xffffffa8, v0
	s_waitcnt lgkmcnt(0)
	v_mul_u32_u24_e32 v1, 0x5c, v0
	v_mad_u32_u24 v2, v0, s0, v26
	s_barrier
	ds_write2_b32 v1, v80, v58 offset1:1
	ds_write2_b32 v1, v59, v60 offset0:2 offset1:3
	ds_write2_b32 v1, v61, v62 offset0:4 offset1:5
	;; [unrolled: 1-line block ×10, first 2 shown]
	ds_write_b32 v1, v79 offset:88
	s_waitcnt lgkmcnt(0)
	s_barrier
	ds_read2st64_b32 v[24:25], v2 offset0:4 offset1:8
	ds_read2st64_b32 v[22:23], v2 offset0:12 offset1:16
	;; [unrolled: 1-line block ×11, first 2 shown]
	s_add_i32 s33, s33, s70
	v_mov_b32_e32 v55, 0
	v_lshl_add_u64 v[4:5], s[2:3], 0, v[54:55]
	v_cmp_gt_u32_e32 vcc, s33, v0
	s_and_saveexec_b64 s[0:1], vcc
	s_cbranch_execz .LBB220_195
; %bb.194:
	v_add_u32_e32 v1, v1, v26
	ds_read_b32 v1, v1
	s_waitcnt lgkmcnt(0)
	flat_store_dword v[4:5], v1
.LBB220_195:
	s_or_b64 exec, exec, s[0:1]
	v_or_b32_e32 v1, 0x100, v0
	v_cmp_gt_u32_e32 vcc, s33, v1
	s_and_saveexec_b64 s[0:1], vcc
	s_cbranch_execz .LBB220_197
; %bb.196:
	s_waitcnt lgkmcnt(0)
	flat_store_dword v[4:5], v24 offset:1024
.LBB220_197:
	s_or_b64 exec, exec, s[0:1]
	v_or_b32_e32 v1, 0x200, v0
	v_cmp_gt_u32_e32 vcc, s33, v1
	s_and_saveexec_b64 s[0:1], vcc
	s_cbranch_execz .LBB220_199
; %bb.198:
	s_waitcnt lgkmcnt(0)
	flat_store_dword v[4:5], v25 offset:2048
.LBB220_199:
	;; [unrolled: 9-line block ×3, first 2 shown]
	s_or_b64 exec, exec, s[0:1]
	v_or_b32_e32 v1, 0x400, v0
	v_cmp_gt_u32_e32 vcc, s33, v1
	s_and_saveexec_b64 s[0:1], vcc
	s_cbranch_execz .LBB220_203
; %bb.202:
	s_waitcnt lgkmcnt(0)
	v_add_co_u32_e32 v24, vcc, 0x1000, v4
	s_nop 1
	v_addc_co_u32_e32 v25, vcc, 0, v5, vcc
	flat_store_dword v[24:25], v23
.LBB220_203:
	s_or_b64 exec, exec, s[0:1]
	v_or_b32_e32 v1, 0x500, v0
	v_cmp_gt_u32_e32 vcc, s33, v1
	s_and_saveexec_b64 s[0:1], vcc
	s_cbranch_execz .LBB220_205
; %bb.204:
	s_waitcnt lgkmcnt(0)
	v_add_co_u32_e32 v22, vcc, 0x1000, v4
	s_nop 1
	v_addc_co_u32_e32 v23, vcc, 0, v5, vcc
	flat_store_dword v[22:23], v20 offset:1024
.LBB220_205:
	s_or_b64 exec, exec, s[0:1]
	v_or_b32_e32 v1, 0x600, v0
	v_cmp_gt_u32_e32 vcc, s33, v1
	s_and_saveexec_b64 s[0:1], vcc
	s_cbranch_execz .LBB220_207
; %bb.206:
	s_waitcnt lgkmcnt(0)
	v_add_co_u32_e32 v22, vcc, 0x1000, v4
	s_nop 1
	v_addc_co_u32_e32 v23, vcc, 0, v5, vcc
	flat_store_dword v[22:23], v21 offset:2048
.LBB220_207:
	s_or_b64 exec, exec, s[0:1]
	v_or_b32_e32 v1, 0x700, v0
	v_cmp_gt_u32_e32 vcc, s33, v1
	s_and_saveexec_b64 s[0:1], vcc
	s_cbranch_execz .LBB220_209
; %bb.208:
	s_waitcnt lgkmcnt(0)
	v_add_co_u32_e32 v20, vcc, 0x1000, v4
	s_nop 1
	v_addc_co_u32_e32 v21, vcc, 0, v5, vcc
	flat_store_dword v[20:21], v18 offset:3072
.LBB220_209:
	s_or_b64 exec, exec, s[0:1]
	v_or_b32_e32 v1, 0x800, v0
	v_cmp_gt_u32_e32 vcc, s33, v1
	s_and_saveexec_b64 s[0:1], vcc
	s_cbranch_execz .LBB220_211
; %bb.210:
	s_waitcnt lgkmcnt(0)
	v_add_co_u32_e32 v20, vcc, 0x2000, v4
	s_nop 1
	v_addc_co_u32_e32 v21, vcc, 0, v5, vcc
	flat_store_dword v[20:21], v19
.LBB220_211:
	s_or_b64 exec, exec, s[0:1]
	v_or_b32_e32 v1, 0x900, v0
	v_cmp_gt_u32_e32 vcc, s33, v1
	s_and_saveexec_b64 s[0:1], vcc
	s_cbranch_execz .LBB220_213
; %bb.212:
	s_waitcnt lgkmcnt(0)
	v_add_co_u32_e32 v18, vcc, 0x2000, v4
	s_nop 1
	v_addc_co_u32_e32 v19, vcc, 0, v5, vcc
	flat_store_dword v[18:19], v16 offset:1024
.LBB220_213:
	s_or_b64 exec, exec, s[0:1]
	v_or_b32_e32 v1, 0xa00, v0
	v_cmp_gt_u32_e32 vcc, s33, v1
	s_and_saveexec_b64 s[0:1], vcc
	s_cbranch_execz .LBB220_215
; %bb.214:
	s_waitcnt lgkmcnt(0)
	v_add_co_u32_e32 v18, vcc, 0x2000, v4
	s_nop 1
	v_addc_co_u32_e32 v19, vcc, 0, v5, vcc
	flat_store_dword v[18:19], v17 offset:2048
.LBB220_215:
	s_or_b64 exec, exec, s[0:1]
	v_or_b32_e32 v1, 0xb00, v0
	v_cmp_gt_u32_e32 vcc, s33, v1
	s_and_saveexec_b64 s[0:1], vcc
	s_cbranch_execz .LBB220_217
; %bb.216:
	s_waitcnt lgkmcnt(0)
	v_add_co_u32_e32 v16, vcc, 0x2000, v4
	s_nop 1
	v_addc_co_u32_e32 v17, vcc, 0, v5, vcc
	flat_store_dword v[16:17], v14 offset:3072
.LBB220_217:
	;; [unrolled: 48-line block ×4, first 2 shown]
	s_or_b64 exec, exec, s[0:1]
	v_or_b32_e32 v1, 0x1400, v0
	v_cmp_gt_u32_e32 vcc, s33, v1
	s_and_saveexec_b64 s[0:1], vcc
	s_cbranch_execz .LBB220_235
; %bb.234:
	s_waitcnt lgkmcnt(0)
	v_add_co_u32_e32 v8, vcc, 0x5000, v4
	s_nop 1
	v_addc_co_u32_e32 v9, vcc, 0, v5, vcc
	flat_store_dword v[8:9], v7
.LBB220_235:
	s_or_b64 exec, exec, s[0:1]
	v_or_b32_e32 v1, 0x1500, v0
	v_cmp_gt_u32_e32 vcc, s33, v1
	s_and_saveexec_b64 s[0:1], vcc
	s_cbranch_execz .LBB220_237
; %bb.236:
	v_add_co_u32_e32 v4, vcc, 0x5000, v4
	s_nop 1
	v_addc_co_u32_e32 v5, vcc, 0, v5, vcc
	s_waitcnt lgkmcnt(0)
	flat_store_dword v[4:5], v2 offset:1024
.LBB220_237:
	s_or_b64 exec, exec, s[0:1]
	s_waitcnt lgkmcnt(0)
	v_or_b32_e32 v2, 0x1600, v0
	v_mov_b32_e32 v1, v55
	v_cmp_gt_u32_e64 s[0:1], s33, v2
	s_branch .LBB220_240
.LBB220_238:
	s_mov_b64 s[0:1], 0
                                        ; implicit-def: $vgpr3
	s_cbranch_execz .LBB220_240
; %bb.239:
	s_waitcnt lgkmcnt(0)
	v_mul_u32_u24_e32 v1, 0x5c, v0
	s_barrier
	s_movk_i32 s4, 0x5c
	ds_write2_b32 v1, v80, v58 offset1:1
	ds_write2_b32 v1, v59, v60 offset0:2 offset1:3
	ds_write2_b32 v1, v61, v62 offset0:4 offset1:5
	;; [unrolled: 1-line block ×10, first 2 shown]
	ds_write_b32 v1, v79 offset:88
	v_mov_b32_e32 v1, 0
	v_mul_i32_i24_e32 v2, 0xffffffa8, v0
	v_mad_u32_u24 v2, v0, s4, v2
	v_mov_b32_e32 v55, v1
	s_waitcnt lgkmcnt(0)
	s_barrier
	ds_read2st64_b32 v[4:5], v2 offset1:4
	ds_read2st64_b32 v[6:7], v2 offset0:8 offset1:12
	ds_read2st64_b32 v[8:9], v2 offset0:16 offset1:20
	;; [unrolled: 1-line block ×10, first 2 shown]
	ds_read_b32 v3, v2 offset:22528
	v_lshl_add_u64 v[26:27], s[2:3], 0, v[54:55]
	s_movk_i32 s4, 0x1000
	s_waitcnt lgkmcnt(0)
	flat_store_dword v[26:27], v4
	flat_store_dword v[26:27], v5 offset:1024
	flat_store_dword v[26:27], v6 offset:2048
	;; [unrolled: 1-line block ×3, first 2 shown]
	v_add_co_u32_e32 v4, vcc, s4, v26
	s_movk_i32 s4, 0x2000
	s_nop 0
	v_addc_co_u32_e32 v5, vcc, 0, v27, vcc
	flat_store_dword v[4:5], v8
	flat_store_dword v[4:5], v9 offset:1024
	flat_store_dword v[4:5], v10 offset:2048
	;; [unrolled: 1-line block ×3, first 2 shown]
	v_add_co_u32_e32 v4, vcc, s4, v26
	s_movk_i32 s4, 0x3000
	s_nop 0
	v_addc_co_u32_e32 v5, vcc, 0, v27, vcc
	flat_store_dword v[4:5], v12
	flat_store_dword v[4:5], v13 offset:1024
	flat_store_dword v[4:5], v14 offset:2048
	;; [unrolled: 1-line block ×3, first 2 shown]
	v_add_co_u32_e32 v4, vcc, s4, v26
	s_or_b64 s[0:1], s[0:1], exec
	s_nop 0
	v_addc_co_u32_e32 v5, vcc, 0, v27, vcc
	flat_store_dword v[4:5], v16
	flat_store_dword v[4:5], v17 offset:1024
	flat_store_dword v[4:5], v18 offset:2048
	flat_store_dword v[4:5], v19 offset:3072
	v_add_co_u32_e32 v4, vcc, 0x4000, v26
	s_nop 1
	v_addc_co_u32_e32 v5, vcc, 0, v27, vcc
	flat_store_dword v[4:5], v20
	flat_store_dword v[4:5], v21 offset:1024
	flat_store_dword v[4:5], v22 offset:2048
	;; [unrolled: 1-line block ×3, first 2 shown]
	v_add_co_u32_e32 v4, vcc, 0x5000, v26
	s_nop 1
	v_addc_co_u32_e32 v5, vcc, 0, v27, vcc
	flat_store_dword v[4:5], v24
	flat_store_dword v[4:5], v25 offset:1024
.LBB220_240:
	s_and_saveexec_b64 s[4:5], s[0:1]
	s_cbranch_execnz .LBB220_242
; %bb.241:
	s_endpgm
.LBB220_242:
	s_waitcnt lgkmcnt(0)
	v_lshl_add_u64 v[0:1], v[0:1], 2, s[2:3]
	v_add_co_u32_e32 v0, vcc, 0x5000, v0
	s_nop 1
	v_addc_co_u32_e32 v1, vcc, 0, v1, vcc
	flat_store_dword v[0:1], v3 offset:2048
	s_endpgm
.LBB220_243:
	v_lshl_add_u64 v[30:31], s[52:53], 0, v[2:3]
	flat_load_dword v29, v[30:31]
	s_or_b64 exec, exec, s[60:61]
                                        ; implicit-def: $vgpr30
	s_and_saveexec_b64 s[50:51], s[4:5]
	s_cbranch_execz .LBB220_55
.LBB220_244:
	v_mov_b32_e32 v3, 0
	v_lshl_add_u64 v[30:31], s[52:53], 0, v[2:3]
	flat_load_dword v30, v[30:31] offset:1024
	s_or_b64 exec, exec, s[50:51]
                                        ; implicit-def: $vgpr31
	s_and_saveexec_b64 s[4:5], s[6:7]
	s_cbranch_execz .LBB220_56
.LBB220_245:
	v_mov_b32_e32 v3, 0
	v_lshl_add_u64 v[32:33], s[52:53], 0, v[2:3]
	flat_load_dword v31, v[32:33] offset:2048
	s_or_b64 exec, exec, s[4:5]
                                        ; implicit-def: $vgpr3
	s_and_saveexec_b64 s[4:5], s[8:9]
	s_cbranch_execz .LBB220_57
.LBB220_246:
	v_mov_b32_e32 v3, 0
	v_lshl_add_u64 v[32:33], s[52:53], 0, v[2:3]
	flat_load_dword v3, v[32:33] offset:3072
	s_or_b64 exec, exec, s[4:5]
                                        ; implicit-def: $vgpr32
	s_and_saveexec_b64 s[4:5], s[10:11]
	s_cbranch_execz .LBB220_58
.LBB220_247:
	v_lshlrev_b32_e32 v32, 2, v10
	v_mov_b32_e32 v33, 0
	v_lshl_add_u64 v[32:33], s[52:53], 0, v[32:33]
	flat_load_dword v32, v[32:33]
	s_or_b64 exec, exec, s[4:5]
                                        ; implicit-def: $vgpr10
	s_and_saveexec_b64 s[4:5], s[12:13]
	s_cbranch_execz .LBB220_59
.LBB220_248:
	v_lshlrev_b32_e32 v10, 2, v11
	v_mov_b32_e32 v11, 0
	v_lshl_add_u64 v[10:11], s[52:53], 0, v[10:11]
	flat_load_dword v10, v[10:11]
	s_or_b64 exec, exec, s[4:5]
                                        ; implicit-def: $vgpr11
	s_and_saveexec_b64 s[4:5], s[14:15]
	s_cbranch_execz .LBB220_60
.LBB220_249:
	v_lshlrev_b32_e32 v34, 2, v12
	v_mov_b32_e32 v35, 0
	v_lshl_add_u64 v[34:35], s[52:53], 0, v[34:35]
	flat_load_dword v11, v[34:35]
	s_or_b64 exec, exec, s[4:5]
                                        ; implicit-def: $vgpr12
	s_and_saveexec_b64 s[4:5], s[16:17]
	s_cbranch_execz .LBB220_61
.LBB220_250:
	v_lshlrev_b32_e32 v12, 2, v13
	v_mov_b32_e32 v13, 0
	v_lshl_add_u64 v[12:13], s[52:53], 0, v[12:13]
	flat_load_dword v12, v[12:13]
	s_or_b64 exec, exec, s[4:5]
                                        ; implicit-def: $vgpr13
	s_and_saveexec_b64 s[4:5], s[18:19]
	s_cbranch_execz .LBB220_62
.LBB220_251:
	v_lshlrev_b32_e32 v34, 2, v14
	v_mov_b32_e32 v35, 0
	v_lshl_add_u64 v[34:35], s[52:53], 0, v[34:35]
	flat_load_dword v13, v[34:35]
	s_or_b64 exec, exec, s[4:5]
                                        ; implicit-def: $vgpr14
	s_and_saveexec_b64 s[4:5], s[20:21]
	s_cbranch_execz .LBB220_63
.LBB220_252:
	v_lshlrev_b32_e32 v14, 2, v15
	v_mov_b32_e32 v15, 0
	v_lshl_add_u64 v[14:15], s[52:53], 0, v[14:15]
	flat_load_dword v14, v[14:15]
	s_or_b64 exec, exec, s[4:5]
                                        ; implicit-def: $vgpr15
	s_and_saveexec_b64 s[4:5], s[22:23]
	s_cbranch_execz .LBB220_64
.LBB220_253:
	v_lshlrev_b32_e32 v34, 2, v16
	v_mov_b32_e32 v35, 0
	v_lshl_add_u64 v[34:35], s[52:53], 0, v[34:35]
	flat_load_dword v15, v[34:35]
	s_or_b64 exec, exec, s[4:5]
                                        ; implicit-def: $vgpr16
	s_and_saveexec_b64 s[4:5], s[24:25]
	s_cbranch_execz .LBB220_65
.LBB220_254:
	v_lshlrev_b32_e32 v16, 2, v17
	v_mov_b32_e32 v17, 0
	v_lshl_add_u64 v[16:17], s[52:53], 0, v[16:17]
	flat_load_dword v16, v[16:17]
	s_or_b64 exec, exec, s[4:5]
                                        ; implicit-def: $vgpr17
	s_and_saveexec_b64 s[4:5], s[26:27]
	s_cbranch_execz .LBB220_66
.LBB220_255:
	v_lshlrev_b32_e32 v34, 2, v18
	v_mov_b32_e32 v35, 0
	v_lshl_add_u64 v[34:35], s[52:53], 0, v[34:35]
	flat_load_dword v17, v[34:35]
	s_or_b64 exec, exec, s[4:5]
                                        ; implicit-def: $vgpr18
	s_and_saveexec_b64 s[4:5], s[28:29]
	s_cbranch_execz .LBB220_67
.LBB220_256:
	v_lshlrev_b32_e32 v18, 2, v19
	v_mov_b32_e32 v19, 0
	v_lshl_add_u64 v[18:19], s[52:53], 0, v[18:19]
	flat_load_dword v18, v[18:19]
	s_or_b64 exec, exec, s[4:5]
                                        ; implicit-def: $vgpr19
	s_and_saveexec_b64 s[4:5], s[30:31]
	s_cbranch_execz .LBB220_68
.LBB220_257:
	v_lshlrev_b32_e32 v34, 2, v20
	v_mov_b32_e32 v35, 0
	v_lshl_add_u64 v[34:35], s[52:53], 0, v[34:35]
	flat_load_dword v19, v[34:35]
	s_or_b64 exec, exec, s[4:5]
                                        ; implicit-def: $vgpr20
	s_and_saveexec_b64 s[4:5], s[34:35]
	s_cbranch_execz .LBB220_69
.LBB220_258:
	v_lshlrev_b32_e32 v20, 2, v21
	v_mov_b32_e32 v21, 0
	v_lshl_add_u64 v[20:21], s[52:53], 0, v[20:21]
	flat_load_dword v20, v[20:21]
	s_or_b64 exec, exec, s[4:5]
                                        ; implicit-def: $vgpr21
	s_and_saveexec_b64 s[4:5], s[36:37]
	s_cbranch_execz .LBB220_70
.LBB220_259:
	v_lshlrev_b32_e32 v34, 2, v22
	v_mov_b32_e32 v35, 0
	v_lshl_add_u64 v[34:35], s[52:53], 0, v[34:35]
	flat_load_dword v21, v[34:35]
	s_or_b64 exec, exec, s[4:5]
                                        ; implicit-def: $vgpr22
	s_and_saveexec_b64 s[4:5], s[38:39]
	s_cbranch_execz .LBB220_71
.LBB220_260:
	v_lshlrev_b32_e32 v22, 2, v23
	v_mov_b32_e32 v23, 0
	v_lshl_add_u64 v[22:23], s[52:53], 0, v[22:23]
	flat_load_dword v22, v[22:23]
	s_or_b64 exec, exec, s[4:5]
                                        ; implicit-def: $vgpr23
	s_and_saveexec_b64 s[4:5], s[40:41]
	s_cbranch_execz .LBB220_72
.LBB220_261:
	v_lshlrev_b32_e32 v34, 2, v24
	v_mov_b32_e32 v35, 0
	v_lshl_add_u64 v[34:35], s[52:53], 0, v[34:35]
	flat_load_dword v23, v[34:35]
	s_or_b64 exec, exec, s[4:5]
                                        ; implicit-def: $vgpr24
	s_and_saveexec_b64 s[4:5], s[42:43]
	s_cbranch_execz .LBB220_73
.LBB220_262:
	v_lshlrev_b32_e32 v24, 2, v25
	v_mov_b32_e32 v25, 0
	v_lshl_add_u64 v[24:25], s[52:53], 0, v[24:25]
	flat_load_dword v24, v[24:25]
	s_or_b64 exec, exec, s[4:5]
                                        ; implicit-def: $vgpr25
	s_and_saveexec_b64 s[4:5], s[44:45]
	s_cbranch_execz .LBB220_74
.LBB220_263:
	v_lshlrev_b32_e32 v34, 2, v26
	v_mov_b32_e32 v35, 0
	v_lshl_add_u64 v[34:35], s[52:53], 0, v[34:35]
	flat_load_dword v25, v[34:35]
	s_or_b64 exec, exec, s[4:5]
                                        ; implicit-def: $vgpr26
	s_and_saveexec_b64 s[4:5], s[46:47]
	s_cbranch_execz .LBB220_75
.LBB220_264:
	v_lshlrev_b32_e32 v26, 2, v27
	v_mov_b32_e32 v27, 0
	v_lshl_add_u64 v[26:27], s[52:53], 0, v[26:27]
	flat_load_dword v26, v[26:27]
	s_or_b64 exec, exec, s[4:5]
                                        ; implicit-def: $vgpr27
	s_and_saveexec_b64 s[4:5], s[48:49]
	s_cbranch_execnz .LBB220_76
	s_branch .LBB220_77
.LBB220_265:
	v_add_u32_e32 v1, -1, v0
	v_lshrrev_b32_e32 v2, 5, v1
	v_add_lshl_u32 v1, v2, v1, 3
	ds_read_b32 v1, v1
	s_or_b64 exec, exec, s[50:51]
	s_and_saveexec_b64 s[50:51], s[2:3]
	s_cbranch_execz .LBB220_189
.LBB220_266:
	v_and_b32_e32 v3, 0xff, v11
	v_mov_b32_e32 v2, 0
	v_cmp_eq_u64_e64 s[2:3], 0, v[2:3]
	;;#ASMSTART
	;;#ASMEND
	s_waitcnt lgkmcnt(0)
	s_nop 0
	v_cndmask_b32_e64 v1, 0, v1, s[2:3]
	v_add_u32_e32 v10, v1, v10
	v_cndmask_b32_e64 v1, 0, v10, s[4:5]
	v_add_u32_e32 v58, v1, v12
	;; [unrolled: 2-line block ×23, first 2 shown]
	s_or_b64 exec, exec, s[50:51]
	s_and_saveexec_b64 s[2:3], vcc
	s_cbranch_execnz .LBB220_190
	s_branch .LBB220_191
.LBB220_267:
                                        ; implicit-def: $sgpr60_sgpr61
	s_branch .LBB220_50
.LBB220_268:
                                        ; implicit-def: $sgpr4_sgpr5
	s_branch .LBB220_126
	.section	.rodata,"a",@progbits
	.p2align	6, 0x0
	.amdhsa_kernel _ZN7rocprim17ROCPRIM_400000_NS6detail17trampoline_kernelINS0_14default_configENS1_27scan_by_key_config_selectorIiiEEZZNS1_16scan_by_key_implILNS1_25lookback_scan_determinismE0ELb0ES3_N6thrust23THRUST_200600_302600_NS6detail15normal_iteratorINS9_10device_ptrIiEEEESE_SE_iNS9_4plusIvEENS9_8equal_toIiEEiEE10hipError_tPvRmT2_T3_T4_T5_mT6_T7_P12ihipStream_tbENKUlT_T0_E_clISt17integral_constantIbLb1EESY_IbLb0EEEEDaSU_SV_EUlSU_E_NS1_11comp_targetILNS1_3genE5ELNS1_11target_archE942ELNS1_3gpuE9ELNS1_3repE0EEENS1_30default_config_static_selectorELNS0_4arch9wavefront6targetE1EEEvT1_
		.amdhsa_group_segment_fixed_size 25600
		.amdhsa_private_segment_fixed_size 0
		.amdhsa_kernarg_size 112
		.amdhsa_user_sgpr_count 2
		.amdhsa_user_sgpr_dispatch_ptr 0
		.amdhsa_user_sgpr_queue_ptr 0
		.amdhsa_user_sgpr_kernarg_segment_ptr 1
		.amdhsa_user_sgpr_dispatch_id 0
		.amdhsa_user_sgpr_kernarg_preload_length 0
		.amdhsa_user_sgpr_kernarg_preload_offset 0
		.amdhsa_user_sgpr_private_segment_size 0
		.amdhsa_uses_dynamic_stack 0
		.amdhsa_enable_private_segment 0
		.amdhsa_system_sgpr_workgroup_id_x 1
		.amdhsa_system_sgpr_workgroup_id_y 0
		.amdhsa_system_sgpr_workgroup_id_z 0
		.amdhsa_system_sgpr_workgroup_info 0
		.amdhsa_system_vgpr_workitem_id 0
		.amdhsa_next_free_vgpr 81
		.amdhsa_next_free_sgpr 82
		.amdhsa_accum_offset 84
		.amdhsa_reserve_vcc 1
		.amdhsa_float_round_mode_32 0
		.amdhsa_float_round_mode_16_64 0
		.amdhsa_float_denorm_mode_32 3
		.amdhsa_float_denorm_mode_16_64 3
		.amdhsa_dx10_clamp 1
		.amdhsa_ieee_mode 1
		.amdhsa_fp16_overflow 0
		.amdhsa_tg_split 0
		.amdhsa_exception_fp_ieee_invalid_op 0
		.amdhsa_exception_fp_denorm_src 0
		.amdhsa_exception_fp_ieee_div_zero 0
		.amdhsa_exception_fp_ieee_overflow 0
		.amdhsa_exception_fp_ieee_underflow 0
		.amdhsa_exception_fp_ieee_inexact 0
		.amdhsa_exception_int_div_zero 0
	.end_amdhsa_kernel
	.section	.text._ZN7rocprim17ROCPRIM_400000_NS6detail17trampoline_kernelINS0_14default_configENS1_27scan_by_key_config_selectorIiiEEZZNS1_16scan_by_key_implILNS1_25lookback_scan_determinismE0ELb0ES3_N6thrust23THRUST_200600_302600_NS6detail15normal_iteratorINS9_10device_ptrIiEEEESE_SE_iNS9_4plusIvEENS9_8equal_toIiEEiEE10hipError_tPvRmT2_T3_T4_T5_mT6_T7_P12ihipStream_tbENKUlT_T0_E_clISt17integral_constantIbLb1EESY_IbLb0EEEEDaSU_SV_EUlSU_E_NS1_11comp_targetILNS1_3genE5ELNS1_11target_archE942ELNS1_3gpuE9ELNS1_3repE0EEENS1_30default_config_static_selectorELNS0_4arch9wavefront6targetE1EEEvT1_,"axG",@progbits,_ZN7rocprim17ROCPRIM_400000_NS6detail17trampoline_kernelINS0_14default_configENS1_27scan_by_key_config_selectorIiiEEZZNS1_16scan_by_key_implILNS1_25lookback_scan_determinismE0ELb0ES3_N6thrust23THRUST_200600_302600_NS6detail15normal_iteratorINS9_10device_ptrIiEEEESE_SE_iNS9_4plusIvEENS9_8equal_toIiEEiEE10hipError_tPvRmT2_T3_T4_T5_mT6_T7_P12ihipStream_tbENKUlT_T0_E_clISt17integral_constantIbLb1EESY_IbLb0EEEEDaSU_SV_EUlSU_E_NS1_11comp_targetILNS1_3genE5ELNS1_11target_archE942ELNS1_3gpuE9ELNS1_3repE0EEENS1_30default_config_static_selectorELNS0_4arch9wavefront6targetE1EEEvT1_,comdat
.Lfunc_end220:
	.size	_ZN7rocprim17ROCPRIM_400000_NS6detail17trampoline_kernelINS0_14default_configENS1_27scan_by_key_config_selectorIiiEEZZNS1_16scan_by_key_implILNS1_25lookback_scan_determinismE0ELb0ES3_N6thrust23THRUST_200600_302600_NS6detail15normal_iteratorINS9_10device_ptrIiEEEESE_SE_iNS9_4plusIvEENS9_8equal_toIiEEiEE10hipError_tPvRmT2_T3_T4_T5_mT6_T7_P12ihipStream_tbENKUlT_T0_E_clISt17integral_constantIbLb1EESY_IbLb0EEEEDaSU_SV_EUlSU_E_NS1_11comp_targetILNS1_3genE5ELNS1_11target_archE942ELNS1_3gpuE9ELNS1_3repE0EEENS1_30default_config_static_selectorELNS0_4arch9wavefront6targetE1EEEvT1_, .Lfunc_end220-_ZN7rocprim17ROCPRIM_400000_NS6detail17trampoline_kernelINS0_14default_configENS1_27scan_by_key_config_selectorIiiEEZZNS1_16scan_by_key_implILNS1_25lookback_scan_determinismE0ELb0ES3_N6thrust23THRUST_200600_302600_NS6detail15normal_iteratorINS9_10device_ptrIiEEEESE_SE_iNS9_4plusIvEENS9_8equal_toIiEEiEE10hipError_tPvRmT2_T3_T4_T5_mT6_T7_P12ihipStream_tbENKUlT_T0_E_clISt17integral_constantIbLb1EESY_IbLb0EEEEDaSU_SV_EUlSU_E_NS1_11comp_targetILNS1_3genE5ELNS1_11target_archE942ELNS1_3gpuE9ELNS1_3repE0EEENS1_30default_config_static_selectorELNS0_4arch9wavefront6targetE1EEEvT1_
                                        ; -- End function
	.section	.AMDGPU.csdata,"",@progbits
; Kernel info:
; codeLenInByte = 15588
; NumSgprs: 88
; NumVgprs: 81
; NumAgprs: 0
; TotalNumVgprs: 81
; ScratchSize: 0
; MemoryBound: 0
; FloatMode: 240
; IeeeMode: 1
; LDSByteSize: 25600 bytes/workgroup (compile time only)
; SGPRBlocks: 10
; VGPRBlocks: 10
; NumSGPRsForWavesPerEU: 88
; NumVGPRsForWavesPerEU: 81
; AccumOffset: 84
; Occupancy: 2
; WaveLimiterHint : 1
; COMPUTE_PGM_RSRC2:SCRATCH_EN: 0
; COMPUTE_PGM_RSRC2:USER_SGPR: 2
; COMPUTE_PGM_RSRC2:TRAP_HANDLER: 0
; COMPUTE_PGM_RSRC2:TGID_X_EN: 1
; COMPUTE_PGM_RSRC2:TGID_Y_EN: 0
; COMPUTE_PGM_RSRC2:TGID_Z_EN: 0
; COMPUTE_PGM_RSRC2:TIDIG_COMP_CNT: 0
; COMPUTE_PGM_RSRC3_GFX90A:ACCUM_OFFSET: 20
; COMPUTE_PGM_RSRC3_GFX90A:TG_SPLIT: 0
	.section	.text._ZN7rocprim17ROCPRIM_400000_NS6detail17trampoline_kernelINS0_14default_configENS1_27scan_by_key_config_selectorIiiEEZZNS1_16scan_by_key_implILNS1_25lookback_scan_determinismE0ELb0ES3_N6thrust23THRUST_200600_302600_NS6detail15normal_iteratorINS9_10device_ptrIiEEEESE_SE_iNS9_4plusIvEENS9_8equal_toIiEEiEE10hipError_tPvRmT2_T3_T4_T5_mT6_T7_P12ihipStream_tbENKUlT_T0_E_clISt17integral_constantIbLb1EESY_IbLb0EEEEDaSU_SV_EUlSU_E_NS1_11comp_targetILNS1_3genE4ELNS1_11target_archE910ELNS1_3gpuE8ELNS1_3repE0EEENS1_30default_config_static_selectorELNS0_4arch9wavefront6targetE1EEEvT1_,"axG",@progbits,_ZN7rocprim17ROCPRIM_400000_NS6detail17trampoline_kernelINS0_14default_configENS1_27scan_by_key_config_selectorIiiEEZZNS1_16scan_by_key_implILNS1_25lookback_scan_determinismE0ELb0ES3_N6thrust23THRUST_200600_302600_NS6detail15normal_iteratorINS9_10device_ptrIiEEEESE_SE_iNS9_4plusIvEENS9_8equal_toIiEEiEE10hipError_tPvRmT2_T3_T4_T5_mT6_T7_P12ihipStream_tbENKUlT_T0_E_clISt17integral_constantIbLb1EESY_IbLb0EEEEDaSU_SV_EUlSU_E_NS1_11comp_targetILNS1_3genE4ELNS1_11target_archE910ELNS1_3gpuE8ELNS1_3repE0EEENS1_30default_config_static_selectorELNS0_4arch9wavefront6targetE1EEEvT1_,comdat
	.protected	_ZN7rocprim17ROCPRIM_400000_NS6detail17trampoline_kernelINS0_14default_configENS1_27scan_by_key_config_selectorIiiEEZZNS1_16scan_by_key_implILNS1_25lookback_scan_determinismE0ELb0ES3_N6thrust23THRUST_200600_302600_NS6detail15normal_iteratorINS9_10device_ptrIiEEEESE_SE_iNS9_4plusIvEENS9_8equal_toIiEEiEE10hipError_tPvRmT2_T3_T4_T5_mT6_T7_P12ihipStream_tbENKUlT_T0_E_clISt17integral_constantIbLb1EESY_IbLb0EEEEDaSU_SV_EUlSU_E_NS1_11comp_targetILNS1_3genE4ELNS1_11target_archE910ELNS1_3gpuE8ELNS1_3repE0EEENS1_30default_config_static_selectorELNS0_4arch9wavefront6targetE1EEEvT1_ ; -- Begin function _ZN7rocprim17ROCPRIM_400000_NS6detail17trampoline_kernelINS0_14default_configENS1_27scan_by_key_config_selectorIiiEEZZNS1_16scan_by_key_implILNS1_25lookback_scan_determinismE0ELb0ES3_N6thrust23THRUST_200600_302600_NS6detail15normal_iteratorINS9_10device_ptrIiEEEESE_SE_iNS9_4plusIvEENS9_8equal_toIiEEiEE10hipError_tPvRmT2_T3_T4_T5_mT6_T7_P12ihipStream_tbENKUlT_T0_E_clISt17integral_constantIbLb1EESY_IbLb0EEEEDaSU_SV_EUlSU_E_NS1_11comp_targetILNS1_3genE4ELNS1_11target_archE910ELNS1_3gpuE8ELNS1_3repE0EEENS1_30default_config_static_selectorELNS0_4arch9wavefront6targetE1EEEvT1_
	.globl	_ZN7rocprim17ROCPRIM_400000_NS6detail17trampoline_kernelINS0_14default_configENS1_27scan_by_key_config_selectorIiiEEZZNS1_16scan_by_key_implILNS1_25lookback_scan_determinismE0ELb0ES3_N6thrust23THRUST_200600_302600_NS6detail15normal_iteratorINS9_10device_ptrIiEEEESE_SE_iNS9_4plusIvEENS9_8equal_toIiEEiEE10hipError_tPvRmT2_T3_T4_T5_mT6_T7_P12ihipStream_tbENKUlT_T0_E_clISt17integral_constantIbLb1EESY_IbLb0EEEEDaSU_SV_EUlSU_E_NS1_11comp_targetILNS1_3genE4ELNS1_11target_archE910ELNS1_3gpuE8ELNS1_3repE0EEENS1_30default_config_static_selectorELNS0_4arch9wavefront6targetE1EEEvT1_
	.p2align	8
	.type	_ZN7rocprim17ROCPRIM_400000_NS6detail17trampoline_kernelINS0_14default_configENS1_27scan_by_key_config_selectorIiiEEZZNS1_16scan_by_key_implILNS1_25lookback_scan_determinismE0ELb0ES3_N6thrust23THRUST_200600_302600_NS6detail15normal_iteratorINS9_10device_ptrIiEEEESE_SE_iNS9_4plusIvEENS9_8equal_toIiEEiEE10hipError_tPvRmT2_T3_T4_T5_mT6_T7_P12ihipStream_tbENKUlT_T0_E_clISt17integral_constantIbLb1EESY_IbLb0EEEEDaSU_SV_EUlSU_E_NS1_11comp_targetILNS1_3genE4ELNS1_11target_archE910ELNS1_3gpuE8ELNS1_3repE0EEENS1_30default_config_static_selectorELNS0_4arch9wavefront6targetE1EEEvT1_,@function
_ZN7rocprim17ROCPRIM_400000_NS6detail17trampoline_kernelINS0_14default_configENS1_27scan_by_key_config_selectorIiiEEZZNS1_16scan_by_key_implILNS1_25lookback_scan_determinismE0ELb0ES3_N6thrust23THRUST_200600_302600_NS6detail15normal_iteratorINS9_10device_ptrIiEEEESE_SE_iNS9_4plusIvEENS9_8equal_toIiEEiEE10hipError_tPvRmT2_T3_T4_T5_mT6_T7_P12ihipStream_tbENKUlT_T0_E_clISt17integral_constantIbLb1EESY_IbLb0EEEEDaSU_SV_EUlSU_E_NS1_11comp_targetILNS1_3genE4ELNS1_11target_archE910ELNS1_3gpuE8ELNS1_3repE0EEENS1_30default_config_static_selectorELNS0_4arch9wavefront6targetE1EEEvT1_: ; @_ZN7rocprim17ROCPRIM_400000_NS6detail17trampoline_kernelINS0_14default_configENS1_27scan_by_key_config_selectorIiiEEZZNS1_16scan_by_key_implILNS1_25lookback_scan_determinismE0ELb0ES3_N6thrust23THRUST_200600_302600_NS6detail15normal_iteratorINS9_10device_ptrIiEEEESE_SE_iNS9_4plusIvEENS9_8equal_toIiEEiEE10hipError_tPvRmT2_T3_T4_T5_mT6_T7_P12ihipStream_tbENKUlT_T0_E_clISt17integral_constantIbLb1EESY_IbLb0EEEEDaSU_SV_EUlSU_E_NS1_11comp_targetILNS1_3genE4ELNS1_11target_archE910ELNS1_3gpuE8ELNS1_3repE0EEENS1_30default_config_static_selectorELNS0_4arch9wavefront6targetE1EEEvT1_
; %bb.0:
	.section	.rodata,"a",@progbits
	.p2align	6, 0x0
	.amdhsa_kernel _ZN7rocprim17ROCPRIM_400000_NS6detail17trampoline_kernelINS0_14default_configENS1_27scan_by_key_config_selectorIiiEEZZNS1_16scan_by_key_implILNS1_25lookback_scan_determinismE0ELb0ES3_N6thrust23THRUST_200600_302600_NS6detail15normal_iteratorINS9_10device_ptrIiEEEESE_SE_iNS9_4plusIvEENS9_8equal_toIiEEiEE10hipError_tPvRmT2_T3_T4_T5_mT6_T7_P12ihipStream_tbENKUlT_T0_E_clISt17integral_constantIbLb1EESY_IbLb0EEEEDaSU_SV_EUlSU_E_NS1_11comp_targetILNS1_3genE4ELNS1_11target_archE910ELNS1_3gpuE8ELNS1_3repE0EEENS1_30default_config_static_selectorELNS0_4arch9wavefront6targetE1EEEvT1_
		.amdhsa_group_segment_fixed_size 0
		.amdhsa_private_segment_fixed_size 0
		.amdhsa_kernarg_size 112
		.amdhsa_user_sgpr_count 2
		.amdhsa_user_sgpr_dispatch_ptr 0
		.amdhsa_user_sgpr_queue_ptr 0
		.amdhsa_user_sgpr_kernarg_segment_ptr 1
		.amdhsa_user_sgpr_dispatch_id 0
		.amdhsa_user_sgpr_kernarg_preload_length 0
		.amdhsa_user_sgpr_kernarg_preload_offset 0
		.amdhsa_user_sgpr_private_segment_size 0
		.amdhsa_uses_dynamic_stack 0
		.amdhsa_enable_private_segment 0
		.amdhsa_system_sgpr_workgroup_id_x 1
		.amdhsa_system_sgpr_workgroup_id_y 0
		.amdhsa_system_sgpr_workgroup_id_z 0
		.amdhsa_system_sgpr_workgroup_info 0
		.amdhsa_system_vgpr_workitem_id 0
		.amdhsa_next_free_vgpr 1
		.amdhsa_next_free_sgpr 0
		.amdhsa_accum_offset 4
		.amdhsa_reserve_vcc 0
		.amdhsa_float_round_mode_32 0
		.amdhsa_float_round_mode_16_64 0
		.amdhsa_float_denorm_mode_32 3
		.amdhsa_float_denorm_mode_16_64 3
		.amdhsa_dx10_clamp 1
		.amdhsa_ieee_mode 1
		.amdhsa_fp16_overflow 0
		.amdhsa_tg_split 0
		.amdhsa_exception_fp_ieee_invalid_op 0
		.amdhsa_exception_fp_denorm_src 0
		.amdhsa_exception_fp_ieee_div_zero 0
		.amdhsa_exception_fp_ieee_overflow 0
		.amdhsa_exception_fp_ieee_underflow 0
		.amdhsa_exception_fp_ieee_inexact 0
		.amdhsa_exception_int_div_zero 0
	.end_amdhsa_kernel
	.section	.text._ZN7rocprim17ROCPRIM_400000_NS6detail17trampoline_kernelINS0_14default_configENS1_27scan_by_key_config_selectorIiiEEZZNS1_16scan_by_key_implILNS1_25lookback_scan_determinismE0ELb0ES3_N6thrust23THRUST_200600_302600_NS6detail15normal_iteratorINS9_10device_ptrIiEEEESE_SE_iNS9_4plusIvEENS9_8equal_toIiEEiEE10hipError_tPvRmT2_T3_T4_T5_mT6_T7_P12ihipStream_tbENKUlT_T0_E_clISt17integral_constantIbLb1EESY_IbLb0EEEEDaSU_SV_EUlSU_E_NS1_11comp_targetILNS1_3genE4ELNS1_11target_archE910ELNS1_3gpuE8ELNS1_3repE0EEENS1_30default_config_static_selectorELNS0_4arch9wavefront6targetE1EEEvT1_,"axG",@progbits,_ZN7rocprim17ROCPRIM_400000_NS6detail17trampoline_kernelINS0_14default_configENS1_27scan_by_key_config_selectorIiiEEZZNS1_16scan_by_key_implILNS1_25lookback_scan_determinismE0ELb0ES3_N6thrust23THRUST_200600_302600_NS6detail15normal_iteratorINS9_10device_ptrIiEEEESE_SE_iNS9_4plusIvEENS9_8equal_toIiEEiEE10hipError_tPvRmT2_T3_T4_T5_mT6_T7_P12ihipStream_tbENKUlT_T0_E_clISt17integral_constantIbLb1EESY_IbLb0EEEEDaSU_SV_EUlSU_E_NS1_11comp_targetILNS1_3genE4ELNS1_11target_archE910ELNS1_3gpuE8ELNS1_3repE0EEENS1_30default_config_static_selectorELNS0_4arch9wavefront6targetE1EEEvT1_,comdat
.Lfunc_end221:
	.size	_ZN7rocprim17ROCPRIM_400000_NS6detail17trampoline_kernelINS0_14default_configENS1_27scan_by_key_config_selectorIiiEEZZNS1_16scan_by_key_implILNS1_25lookback_scan_determinismE0ELb0ES3_N6thrust23THRUST_200600_302600_NS6detail15normal_iteratorINS9_10device_ptrIiEEEESE_SE_iNS9_4plusIvEENS9_8equal_toIiEEiEE10hipError_tPvRmT2_T3_T4_T5_mT6_T7_P12ihipStream_tbENKUlT_T0_E_clISt17integral_constantIbLb1EESY_IbLb0EEEEDaSU_SV_EUlSU_E_NS1_11comp_targetILNS1_3genE4ELNS1_11target_archE910ELNS1_3gpuE8ELNS1_3repE0EEENS1_30default_config_static_selectorELNS0_4arch9wavefront6targetE1EEEvT1_, .Lfunc_end221-_ZN7rocprim17ROCPRIM_400000_NS6detail17trampoline_kernelINS0_14default_configENS1_27scan_by_key_config_selectorIiiEEZZNS1_16scan_by_key_implILNS1_25lookback_scan_determinismE0ELb0ES3_N6thrust23THRUST_200600_302600_NS6detail15normal_iteratorINS9_10device_ptrIiEEEESE_SE_iNS9_4plusIvEENS9_8equal_toIiEEiEE10hipError_tPvRmT2_T3_T4_T5_mT6_T7_P12ihipStream_tbENKUlT_T0_E_clISt17integral_constantIbLb1EESY_IbLb0EEEEDaSU_SV_EUlSU_E_NS1_11comp_targetILNS1_3genE4ELNS1_11target_archE910ELNS1_3gpuE8ELNS1_3repE0EEENS1_30default_config_static_selectorELNS0_4arch9wavefront6targetE1EEEvT1_
                                        ; -- End function
	.section	.AMDGPU.csdata,"",@progbits
; Kernel info:
; codeLenInByte = 0
; NumSgprs: 6
; NumVgprs: 0
; NumAgprs: 0
; TotalNumVgprs: 0
; ScratchSize: 0
; MemoryBound: 0
; FloatMode: 240
; IeeeMode: 1
; LDSByteSize: 0 bytes/workgroup (compile time only)
; SGPRBlocks: 0
; VGPRBlocks: 0
; NumSGPRsForWavesPerEU: 6
; NumVGPRsForWavesPerEU: 1
; AccumOffset: 4
; Occupancy: 8
; WaveLimiterHint : 0
; COMPUTE_PGM_RSRC2:SCRATCH_EN: 0
; COMPUTE_PGM_RSRC2:USER_SGPR: 2
; COMPUTE_PGM_RSRC2:TRAP_HANDLER: 0
; COMPUTE_PGM_RSRC2:TGID_X_EN: 1
; COMPUTE_PGM_RSRC2:TGID_Y_EN: 0
; COMPUTE_PGM_RSRC2:TGID_Z_EN: 0
; COMPUTE_PGM_RSRC2:TIDIG_COMP_CNT: 0
; COMPUTE_PGM_RSRC3_GFX90A:ACCUM_OFFSET: 0
; COMPUTE_PGM_RSRC3_GFX90A:TG_SPLIT: 0
	.section	.text._ZN7rocprim17ROCPRIM_400000_NS6detail17trampoline_kernelINS0_14default_configENS1_27scan_by_key_config_selectorIiiEEZZNS1_16scan_by_key_implILNS1_25lookback_scan_determinismE0ELb0ES3_N6thrust23THRUST_200600_302600_NS6detail15normal_iteratorINS9_10device_ptrIiEEEESE_SE_iNS9_4plusIvEENS9_8equal_toIiEEiEE10hipError_tPvRmT2_T3_T4_T5_mT6_T7_P12ihipStream_tbENKUlT_T0_E_clISt17integral_constantIbLb1EESY_IbLb0EEEEDaSU_SV_EUlSU_E_NS1_11comp_targetILNS1_3genE3ELNS1_11target_archE908ELNS1_3gpuE7ELNS1_3repE0EEENS1_30default_config_static_selectorELNS0_4arch9wavefront6targetE1EEEvT1_,"axG",@progbits,_ZN7rocprim17ROCPRIM_400000_NS6detail17trampoline_kernelINS0_14default_configENS1_27scan_by_key_config_selectorIiiEEZZNS1_16scan_by_key_implILNS1_25lookback_scan_determinismE0ELb0ES3_N6thrust23THRUST_200600_302600_NS6detail15normal_iteratorINS9_10device_ptrIiEEEESE_SE_iNS9_4plusIvEENS9_8equal_toIiEEiEE10hipError_tPvRmT2_T3_T4_T5_mT6_T7_P12ihipStream_tbENKUlT_T0_E_clISt17integral_constantIbLb1EESY_IbLb0EEEEDaSU_SV_EUlSU_E_NS1_11comp_targetILNS1_3genE3ELNS1_11target_archE908ELNS1_3gpuE7ELNS1_3repE0EEENS1_30default_config_static_selectorELNS0_4arch9wavefront6targetE1EEEvT1_,comdat
	.protected	_ZN7rocprim17ROCPRIM_400000_NS6detail17trampoline_kernelINS0_14default_configENS1_27scan_by_key_config_selectorIiiEEZZNS1_16scan_by_key_implILNS1_25lookback_scan_determinismE0ELb0ES3_N6thrust23THRUST_200600_302600_NS6detail15normal_iteratorINS9_10device_ptrIiEEEESE_SE_iNS9_4plusIvEENS9_8equal_toIiEEiEE10hipError_tPvRmT2_T3_T4_T5_mT6_T7_P12ihipStream_tbENKUlT_T0_E_clISt17integral_constantIbLb1EESY_IbLb0EEEEDaSU_SV_EUlSU_E_NS1_11comp_targetILNS1_3genE3ELNS1_11target_archE908ELNS1_3gpuE7ELNS1_3repE0EEENS1_30default_config_static_selectorELNS0_4arch9wavefront6targetE1EEEvT1_ ; -- Begin function _ZN7rocprim17ROCPRIM_400000_NS6detail17trampoline_kernelINS0_14default_configENS1_27scan_by_key_config_selectorIiiEEZZNS1_16scan_by_key_implILNS1_25lookback_scan_determinismE0ELb0ES3_N6thrust23THRUST_200600_302600_NS6detail15normal_iteratorINS9_10device_ptrIiEEEESE_SE_iNS9_4plusIvEENS9_8equal_toIiEEiEE10hipError_tPvRmT2_T3_T4_T5_mT6_T7_P12ihipStream_tbENKUlT_T0_E_clISt17integral_constantIbLb1EESY_IbLb0EEEEDaSU_SV_EUlSU_E_NS1_11comp_targetILNS1_3genE3ELNS1_11target_archE908ELNS1_3gpuE7ELNS1_3repE0EEENS1_30default_config_static_selectorELNS0_4arch9wavefront6targetE1EEEvT1_
	.globl	_ZN7rocprim17ROCPRIM_400000_NS6detail17trampoline_kernelINS0_14default_configENS1_27scan_by_key_config_selectorIiiEEZZNS1_16scan_by_key_implILNS1_25lookback_scan_determinismE0ELb0ES3_N6thrust23THRUST_200600_302600_NS6detail15normal_iteratorINS9_10device_ptrIiEEEESE_SE_iNS9_4plusIvEENS9_8equal_toIiEEiEE10hipError_tPvRmT2_T3_T4_T5_mT6_T7_P12ihipStream_tbENKUlT_T0_E_clISt17integral_constantIbLb1EESY_IbLb0EEEEDaSU_SV_EUlSU_E_NS1_11comp_targetILNS1_3genE3ELNS1_11target_archE908ELNS1_3gpuE7ELNS1_3repE0EEENS1_30default_config_static_selectorELNS0_4arch9wavefront6targetE1EEEvT1_
	.p2align	8
	.type	_ZN7rocprim17ROCPRIM_400000_NS6detail17trampoline_kernelINS0_14default_configENS1_27scan_by_key_config_selectorIiiEEZZNS1_16scan_by_key_implILNS1_25lookback_scan_determinismE0ELb0ES3_N6thrust23THRUST_200600_302600_NS6detail15normal_iteratorINS9_10device_ptrIiEEEESE_SE_iNS9_4plusIvEENS9_8equal_toIiEEiEE10hipError_tPvRmT2_T3_T4_T5_mT6_T7_P12ihipStream_tbENKUlT_T0_E_clISt17integral_constantIbLb1EESY_IbLb0EEEEDaSU_SV_EUlSU_E_NS1_11comp_targetILNS1_3genE3ELNS1_11target_archE908ELNS1_3gpuE7ELNS1_3repE0EEENS1_30default_config_static_selectorELNS0_4arch9wavefront6targetE1EEEvT1_,@function
_ZN7rocprim17ROCPRIM_400000_NS6detail17trampoline_kernelINS0_14default_configENS1_27scan_by_key_config_selectorIiiEEZZNS1_16scan_by_key_implILNS1_25lookback_scan_determinismE0ELb0ES3_N6thrust23THRUST_200600_302600_NS6detail15normal_iteratorINS9_10device_ptrIiEEEESE_SE_iNS9_4plusIvEENS9_8equal_toIiEEiEE10hipError_tPvRmT2_T3_T4_T5_mT6_T7_P12ihipStream_tbENKUlT_T0_E_clISt17integral_constantIbLb1EESY_IbLb0EEEEDaSU_SV_EUlSU_E_NS1_11comp_targetILNS1_3genE3ELNS1_11target_archE908ELNS1_3gpuE7ELNS1_3repE0EEENS1_30default_config_static_selectorELNS0_4arch9wavefront6targetE1EEEvT1_: ; @_ZN7rocprim17ROCPRIM_400000_NS6detail17trampoline_kernelINS0_14default_configENS1_27scan_by_key_config_selectorIiiEEZZNS1_16scan_by_key_implILNS1_25lookback_scan_determinismE0ELb0ES3_N6thrust23THRUST_200600_302600_NS6detail15normal_iteratorINS9_10device_ptrIiEEEESE_SE_iNS9_4plusIvEENS9_8equal_toIiEEiEE10hipError_tPvRmT2_T3_T4_T5_mT6_T7_P12ihipStream_tbENKUlT_T0_E_clISt17integral_constantIbLb1EESY_IbLb0EEEEDaSU_SV_EUlSU_E_NS1_11comp_targetILNS1_3genE3ELNS1_11target_archE908ELNS1_3gpuE7ELNS1_3repE0EEENS1_30default_config_static_selectorELNS0_4arch9wavefront6targetE1EEEvT1_
; %bb.0:
	.section	.rodata,"a",@progbits
	.p2align	6, 0x0
	.amdhsa_kernel _ZN7rocprim17ROCPRIM_400000_NS6detail17trampoline_kernelINS0_14default_configENS1_27scan_by_key_config_selectorIiiEEZZNS1_16scan_by_key_implILNS1_25lookback_scan_determinismE0ELb0ES3_N6thrust23THRUST_200600_302600_NS6detail15normal_iteratorINS9_10device_ptrIiEEEESE_SE_iNS9_4plusIvEENS9_8equal_toIiEEiEE10hipError_tPvRmT2_T3_T4_T5_mT6_T7_P12ihipStream_tbENKUlT_T0_E_clISt17integral_constantIbLb1EESY_IbLb0EEEEDaSU_SV_EUlSU_E_NS1_11comp_targetILNS1_3genE3ELNS1_11target_archE908ELNS1_3gpuE7ELNS1_3repE0EEENS1_30default_config_static_selectorELNS0_4arch9wavefront6targetE1EEEvT1_
		.amdhsa_group_segment_fixed_size 0
		.amdhsa_private_segment_fixed_size 0
		.amdhsa_kernarg_size 112
		.amdhsa_user_sgpr_count 2
		.amdhsa_user_sgpr_dispatch_ptr 0
		.amdhsa_user_sgpr_queue_ptr 0
		.amdhsa_user_sgpr_kernarg_segment_ptr 1
		.amdhsa_user_sgpr_dispatch_id 0
		.amdhsa_user_sgpr_kernarg_preload_length 0
		.amdhsa_user_sgpr_kernarg_preload_offset 0
		.amdhsa_user_sgpr_private_segment_size 0
		.amdhsa_uses_dynamic_stack 0
		.amdhsa_enable_private_segment 0
		.amdhsa_system_sgpr_workgroup_id_x 1
		.amdhsa_system_sgpr_workgroup_id_y 0
		.amdhsa_system_sgpr_workgroup_id_z 0
		.amdhsa_system_sgpr_workgroup_info 0
		.amdhsa_system_vgpr_workitem_id 0
		.amdhsa_next_free_vgpr 1
		.amdhsa_next_free_sgpr 0
		.amdhsa_accum_offset 4
		.amdhsa_reserve_vcc 0
		.amdhsa_float_round_mode_32 0
		.amdhsa_float_round_mode_16_64 0
		.amdhsa_float_denorm_mode_32 3
		.amdhsa_float_denorm_mode_16_64 3
		.amdhsa_dx10_clamp 1
		.amdhsa_ieee_mode 1
		.amdhsa_fp16_overflow 0
		.amdhsa_tg_split 0
		.amdhsa_exception_fp_ieee_invalid_op 0
		.amdhsa_exception_fp_denorm_src 0
		.amdhsa_exception_fp_ieee_div_zero 0
		.amdhsa_exception_fp_ieee_overflow 0
		.amdhsa_exception_fp_ieee_underflow 0
		.amdhsa_exception_fp_ieee_inexact 0
		.amdhsa_exception_int_div_zero 0
	.end_amdhsa_kernel
	.section	.text._ZN7rocprim17ROCPRIM_400000_NS6detail17trampoline_kernelINS0_14default_configENS1_27scan_by_key_config_selectorIiiEEZZNS1_16scan_by_key_implILNS1_25lookback_scan_determinismE0ELb0ES3_N6thrust23THRUST_200600_302600_NS6detail15normal_iteratorINS9_10device_ptrIiEEEESE_SE_iNS9_4plusIvEENS9_8equal_toIiEEiEE10hipError_tPvRmT2_T3_T4_T5_mT6_T7_P12ihipStream_tbENKUlT_T0_E_clISt17integral_constantIbLb1EESY_IbLb0EEEEDaSU_SV_EUlSU_E_NS1_11comp_targetILNS1_3genE3ELNS1_11target_archE908ELNS1_3gpuE7ELNS1_3repE0EEENS1_30default_config_static_selectorELNS0_4arch9wavefront6targetE1EEEvT1_,"axG",@progbits,_ZN7rocprim17ROCPRIM_400000_NS6detail17trampoline_kernelINS0_14default_configENS1_27scan_by_key_config_selectorIiiEEZZNS1_16scan_by_key_implILNS1_25lookback_scan_determinismE0ELb0ES3_N6thrust23THRUST_200600_302600_NS6detail15normal_iteratorINS9_10device_ptrIiEEEESE_SE_iNS9_4plusIvEENS9_8equal_toIiEEiEE10hipError_tPvRmT2_T3_T4_T5_mT6_T7_P12ihipStream_tbENKUlT_T0_E_clISt17integral_constantIbLb1EESY_IbLb0EEEEDaSU_SV_EUlSU_E_NS1_11comp_targetILNS1_3genE3ELNS1_11target_archE908ELNS1_3gpuE7ELNS1_3repE0EEENS1_30default_config_static_selectorELNS0_4arch9wavefront6targetE1EEEvT1_,comdat
.Lfunc_end222:
	.size	_ZN7rocprim17ROCPRIM_400000_NS6detail17trampoline_kernelINS0_14default_configENS1_27scan_by_key_config_selectorIiiEEZZNS1_16scan_by_key_implILNS1_25lookback_scan_determinismE0ELb0ES3_N6thrust23THRUST_200600_302600_NS6detail15normal_iteratorINS9_10device_ptrIiEEEESE_SE_iNS9_4plusIvEENS9_8equal_toIiEEiEE10hipError_tPvRmT2_T3_T4_T5_mT6_T7_P12ihipStream_tbENKUlT_T0_E_clISt17integral_constantIbLb1EESY_IbLb0EEEEDaSU_SV_EUlSU_E_NS1_11comp_targetILNS1_3genE3ELNS1_11target_archE908ELNS1_3gpuE7ELNS1_3repE0EEENS1_30default_config_static_selectorELNS0_4arch9wavefront6targetE1EEEvT1_, .Lfunc_end222-_ZN7rocprim17ROCPRIM_400000_NS6detail17trampoline_kernelINS0_14default_configENS1_27scan_by_key_config_selectorIiiEEZZNS1_16scan_by_key_implILNS1_25lookback_scan_determinismE0ELb0ES3_N6thrust23THRUST_200600_302600_NS6detail15normal_iteratorINS9_10device_ptrIiEEEESE_SE_iNS9_4plusIvEENS9_8equal_toIiEEiEE10hipError_tPvRmT2_T3_T4_T5_mT6_T7_P12ihipStream_tbENKUlT_T0_E_clISt17integral_constantIbLb1EESY_IbLb0EEEEDaSU_SV_EUlSU_E_NS1_11comp_targetILNS1_3genE3ELNS1_11target_archE908ELNS1_3gpuE7ELNS1_3repE0EEENS1_30default_config_static_selectorELNS0_4arch9wavefront6targetE1EEEvT1_
                                        ; -- End function
	.section	.AMDGPU.csdata,"",@progbits
; Kernel info:
; codeLenInByte = 0
; NumSgprs: 6
; NumVgprs: 0
; NumAgprs: 0
; TotalNumVgprs: 0
; ScratchSize: 0
; MemoryBound: 0
; FloatMode: 240
; IeeeMode: 1
; LDSByteSize: 0 bytes/workgroup (compile time only)
; SGPRBlocks: 0
; VGPRBlocks: 0
; NumSGPRsForWavesPerEU: 6
; NumVGPRsForWavesPerEU: 1
; AccumOffset: 4
; Occupancy: 8
; WaveLimiterHint : 0
; COMPUTE_PGM_RSRC2:SCRATCH_EN: 0
; COMPUTE_PGM_RSRC2:USER_SGPR: 2
; COMPUTE_PGM_RSRC2:TRAP_HANDLER: 0
; COMPUTE_PGM_RSRC2:TGID_X_EN: 1
; COMPUTE_PGM_RSRC2:TGID_Y_EN: 0
; COMPUTE_PGM_RSRC2:TGID_Z_EN: 0
; COMPUTE_PGM_RSRC2:TIDIG_COMP_CNT: 0
; COMPUTE_PGM_RSRC3_GFX90A:ACCUM_OFFSET: 0
; COMPUTE_PGM_RSRC3_GFX90A:TG_SPLIT: 0
	.section	.text._ZN7rocprim17ROCPRIM_400000_NS6detail17trampoline_kernelINS0_14default_configENS1_27scan_by_key_config_selectorIiiEEZZNS1_16scan_by_key_implILNS1_25lookback_scan_determinismE0ELb0ES3_N6thrust23THRUST_200600_302600_NS6detail15normal_iteratorINS9_10device_ptrIiEEEESE_SE_iNS9_4plusIvEENS9_8equal_toIiEEiEE10hipError_tPvRmT2_T3_T4_T5_mT6_T7_P12ihipStream_tbENKUlT_T0_E_clISt17integral_constantIbLb1EESY_IbLb0EEEEDaSU_SV_EUlSU_E_NS1_11comp_targetILNS1_3genE2ELNS1_11target_archE906ELNS1_3gpuE6ELNS1_3repE0EEENS1_30default_config_static_selectorELNS0_4arch9wavefront6targetE1EEEvT1_,"axG",@progbits,_ZN7rocprim17ROCPRIM_400000_NS6detail17trampoline_kernelINS0_14default_configENS1_27scan_by_key_config_selectorIiiEEZZNS1_16scan_by_key_implILNS1_25lookback_scan_determinismE0ELb0ES3_N6thrust23THRUST_200600_302600_NS6detail15normal_iteratorINS9_10device_ptrIiEEEESE_SE_iNS9_4plusIvEENS9_8equal_toIiEEiEE10hipError_tPvRmT2_T3_T4_T5_mT6_T7_P12ihipStream_tbENKUlT_T0_E_clISt17integral_constantIbLb1EESY_IbLb0EEEEDaSU_SV_EUlSU_E_NS1_11comp_targetILNS1_3genE2ELNS1_11target_archE906ELNS1_3gpuE6ELNS1_3repE0EEENS1_30default_config_static_selectorELNS0_4arch9wavefront6targetE1EEEvT1_,comdat
	.protected	_ZN7rocprim17ROCPRIM_400000_NS6detail17trampoline_kernelINS0_14default_configENS1_27scan_by_key_config_selectorIiiEEZZNS1_16scan_by_key_implILNS1_25lookback_scan_determinismE0ELb0ES3_N6thrust23THRUST_200600_302600_NS6detail15normal_iteratorINS9_10device_ptrIiEEEESE_SE_iNS9_4plusIvEENS9_8equal_toIiEEiEE10hipError_tPvRmT2_T3_T4_T5_mT6_T7_P12ihipStream_tbENKUlT_T0_E_clISt17integral_constantIbLb1EESY_IbLb0EEEEDaSU_SV_EUlSU_E_NS1_11comp_targetILNS1_3genE2ELNS1_11target_archE906ELNS1_3gpuE6ELNS1_3repE0EEENS1_30default_config_static_selectorELNS0_4arch9wavefront6targetE1EEEvT1_ ; -- Begin function _ZN7rocprim17ROCPRIM_400000_NS6detail17trampoline_kernelINS0_14default_configENS1_27scan_by_key_config_selectorIiiEEZZNS1_16scan_by_key_implILNS1_25lookback_scan_determinismE0ELb0ES3_N6thrust23THRUST_200600_302600_NS6detail15normal_iteratorINS9_10device_ptrIiEEEESE_SE_iNS9_4plusIvEENS9_8equal_toIiEEiEE10hipError_tPvRmT2_T3_T4_T5_mT6_T7_P12ihipStream_tbENKUlT_T0_E_clISt17integral_constantIbLb1EESY_IbLb0EEEEDaSU_SV_EUlSU_E_NS1_11comp_targetILNS1_3genE2ELNS1_11target_archE906ELNS1_3gpuE6ELNS1_3repE0EEENS1_30default_config_static_selectorELNS0_4arch9wavefront6targetE1EEEvT1_
	.globl	_ZN7rocprim17ROCPRIM_400000_NS6detail17trampoline_kernelINS0_14default_configENS1_27scan_by_key_config_selectorIiiEEZZNS1_16scan_by_key_implILNS1_25lookback_scan_determinismE0ELb0ES3_N6thrust23THRUST_200600_302600_NS6detail15normal_iteratorINS9_10device_ptrIiEEEESE_SE_iNS9_4plusIvEENS9_8equal_toIiEEiEE10hipError_tPvRmT2_T3_T4_T5_mT6_T7_P12ihipStream_tbENKUlT_T0_E_clISt17integral_constantIbLb1EESY_IbLb0EEEEDaSU_SV_EUlSU_E_NS1_11comp_targetILNS1_3genE2ELNS1_11target_archE906ELNS1_3gpuE6ELNS1_3repE0EEENS1_30default_config_static_selectorELNS0_4arch9wavefront6targetE1EEEvT1_
	.p2align	8
	.type	_ZN7rocprim17ROCPRIM_400000_NS6detail17trampoline_kernelINS0_14default_configENS1_27scan_by_key_config_selectorIiiEEZZNS1_16scan_by_key_implILNS1_25lookback_scan_determinismE0ELb0ES3_N6thrust23THRUST_200600_302600_NS6detail15normal_iteratorINS9_10device_ptrIiEEEESE_SE_iNS9_4plusIvEENS9_8equal_toIiEEiEE10hipError_tPvRmT2_T3_T4_T5_mT6_T7_P12ihipStream_tbENKUlT_T0_E_clISt17integral_constantIbLb1EESY_IbLb0EEEEDaSU_SV_EUlSU_E_NS1_11comp_targetILNS1_3genE2ELNS1_11target_archE906ELNS1_3gpuE6ELNS1_3repE0EEENS1_30default_config_static_selectorELNS0_4arch9wavefront6targetE1EEEvT1_,@function
_ZN7rocprim17ROCPRIM_400000_NS6detail17trampoline_kernelINS0_14default_configENS1_27scan_by_key_config_selectorIiiEEZZNS1_16scan_by_key_implILNS1_25lookback_scan_determinismE0ELb0ES3_N6thrust23THRUST_200600_302600_NS6detail15normal_iteratorINS9_10device_ptrIiEEEESE_SE_iNS9_4plusIvEENS9_8equal_toIiEEiEE10hipError_tPvRmT2_T3_T4_T5_mT6_T7_P12ihipStream_tbENKUlT_T0_E_clISt17integral_constantIbLb1EESY_IbLb0EEEEDaSU_SV_EUlSU_E_NS1_11comp_targetILNS1_3genE2ELNS1_11target_archE906ELNS1_3gpuE6ELNS1_3repE0EEENS1_30default_config_static_selectorELNS0_4arch9wavefront6targetE1EEEvT1_: ; @_ZN7rocprim17ROCPRIM_400000_NS6detail17trampoline_kernelINS0_14default_configENS1_27scan_by_key_config_selectorIiiEEZZNS1_16scan_by_key_implILNS1_25lookback_scan_determinismE0ELb0ES3_N6thrust23THRUST_200600_302600_NS6detail15normal_iteratorINS9_10device_ptrIiEEEESE_SE_iNS9_4plusIvEENS9_8equal_toIiEEiEE10hipError_tPvRmT2_T3_T4_T5_mT6_T7_P12ihipStream_tbENKUlT_T0_E_clISt17integral_constantIbLb1EESY_IbLb0EEEEDaSU_SV_EUlSU_E_NS1_11comp_targetILNS1_3genE2ELNS1_11target_archE906ELNS1_3gpuE6ELNS1_3repE0EEENS1_30default_config_static_selectorELNS0_4arch9wavefront6targetE1EEEvT1_
; %bb.0:
	.section	.rodata,"a",@progbits
	.p2align	6, 0x0
	.amdhsa_kernel _ZN7rocprim17ROCPRIM_400000_NS6detail17trampoline_kernelINS0_14default_configENS1_27scan_by_key_config_selectorIiiEEZZNS1_16scan_by_key_implILNS1_25lookback_scan_determinismE0ELb0ES3_N6thrust23THRUST_200600_302600_NS6detail15normal_iteratorINS9_10device_ptrIiEEEESE_SE_iNS9_4plusIvEENS9_8equal_toIiEEiEE10hipError_tPvRmT2_T3_T4_T5_mT6_T7_P12ihipStream_tbENKUlT_T0_E_clISt17integral_constantIbLb1EESY_IbLb0EEEEDaSU_SV_EUlSU_E_NS1_11comp_targetILNS1_3genE2ELNS1_11target_archE906ELNS1_3gpuE6ELNS1_3repE0EEENS1_30default_config_static_selectorELNS0_4arch9wavefront6targetE1EEEvT1_
		.amdhsa_group_segment_fixed_size 0
		.amdhsa_private_segment_fixed_size 0
		.amdhsa_kernarg_size 112
		.amdhsa_user_sgpr_count 2
		.amdhsa_user_sgpr_dispatch_ptr 0
		.amdhsa_user_sgpr_queue_ptr 0
		.amdhsa_user_sgpr_kernarg_segment_ptr 1
		.amdhsa_user_sgpr_dispatch_id 0
		.amdhsa_user_sgpr_kernarg_preload_length 0
		.amdhsa_user_sgpr_kernarg_preload_offset 0
		.amdhsa_user_sgpr_private_segment_size 0
		.amdhsa_uses_dynamic_stack 0
		.amdhsa_enable_private_segment 0
		.amdhsa_system_sgpr_workgroup_id_x 1
		.amdhsa_system_sgpr_workgroup_id_y 0
		.amdhsa_system_sgpr_workgroup_id_z 0
		.amdhsa_system_sgpr_workgroup_info 0
		.amdhsa_system_vgpr_workitem_id 0
		.amdhsa_next_free_vgpr 1
		.amdhsa_next_free_sgpr 0
		.amdhsa_accum_offset 4
		.amdhsa_reserve_vcc 0
		.amdhsa_float_round_mode_32 0
		.amdhsa_float_round_mode_16_64 0
		.amdhsa_float_denorm_mode_32 3
		.amdhsa_float_denorm_mode_16_64 3
		.amdhsa_dx10_clamp 1
		.amdhsa_ieee_mode 1
		.amdhsa_fp16_overflow 0
		.amdhsa_tg_split 0
		.amdhsa_exception_fp_ieee_invalid_op 0
		.amdhsa_exception_fp_denorm_src 0
		.amdhsa_exception_fp_ieee_div_zero 0
		.amdhsa_exception_fp_ieee_overflow 0
		.amdhsa_exception_fp_ieee_underflow 0
		.amdhsa_exception_fp_ieee_inexact 0
		.amdhsa_exception_int_div_zero 0
	.end_amdhsa_kernel
	.section	.text._ZN7rocprim17ROCPRIM_400000_NS6detail17trampoline_kernelINS0_14default_configENS1_27scan_by_key_config_selectorIiiEEZZNS1_16scan_by_key_implILNS1_25lookback_scan_determinismE0ELb0ES3_N6thrust23THRUST_200600_302600_NS6detail15normal_iteratorINS9_10device_ptrIiEEEESE_SE_iNS9_4plusIvEENS9_8equal_toIiEEiEE10hipError_tPvRmT2_T3_T4_T5_mT6_T7_P12ihipStream_tbENKUlT_T0_E_clISt17integral_constantIbLb1EESY_IbLb0EEEEDaSU_SV_EUlSU_E_NS1_11comp_targetILNS1_3genE2ELNS1_11target_archE906ELNS1_3gpuE6ELNS1_3repE0EEENS1_30default_config_static_selectorELNS0_4arch9wavefront6targetE1EEEvT1_,"axG",@progbits,_ZN7rocprim17ROCPRIM_400000_NS6detail17trampoline_kernelINS0_14default_configENS1_27scan_by_key_config_selectorIiiEEZZNS1_16scan_by_key_implILNS1_25lookback_scan_determinismE0ELb0ES3_N6thrust23THRUST_200600_302600_NS6detail15normal_iteratorINS9_10device_ptrIiEEEESE_SE_iNS9_4plusIvEENS9_8equal_toIiEEiEE10hipError_tPvRmT2_T3_T4_T5_mT6_T7_P12ihipStream_tbENKUlT_T0_E_clISt17integral_constantIbLb1EESY_IbLb0EEEEDaSU_SV_EUlSU_E_NS1_11comp_targetILNS1_3genE2ELNS1_11target_archE906ELNS1_3gpuE6ELNS1_3repE0EEENS1_30default_config_static_selectorELNS0_4arch9wavefront6targetE1EEEvT1_,comdat
.Lfunc_end223:
	.size	_ZN7rocprim17ROCPRIM_400000_NS6detail17trampoline_kernelINS0_14default_configENS1_27scan_by_key_config_selectorIiiEEZZNS1_16scan_by_key_implILNS1_25lookback_scan_determinismE0ELb0ES3_N6thrust23THRUST_200600_302600_NS6detail15normal_iteratorINS9_10device_ptrIiEEEESE_SE_iNS9_4plusIvEENS9_8equal_toIiEEiEE10hipError_tPvRmT2_T3_T4_T5_mT6_T7_P12ihipStream_tbENKUlT_T0_E_clISt17integral_constantIbLb1EESY_IbLb0EEEEDaSU_SV_EUlSU_E_NS1_11comp_targetILNS1_3genE2ELNS1_11target_archE906ELNS1_3gpuE6ELNS1_3repE0EEENS1_30default_config_static_selectorELNS0_4arch9wavefront6targetE1EEEvT1_, .Lfunc_end223-_ZN7rocprim17ROCPRIM_400000_NS6detail17trampoline_kernelINS0_14default_configENS1_27scan_by_key_config_selectorIiiEEZZNS1_16scan_by_key_implILNS1_25lookback_scan_determinismE0ELb0ES3_N6thrust23THRUST_200600_302600_NS6detail15normal_iteratorINS9_10device_ptrIiEEEESE_SE_iNS9_4plusIvEENS9_8equal_toIiEEiEE10hipError_tPvRmT2_T3_T4_T5_mT6_T7_P12ihipStream_tbENKUlT_T0_E_clISt17integral_constantIbLb1EESY_IbLb0EEEEDaSU_SV_EUlSU_E_NS1_11comp_targetILNS1_3genE2ELNS1_11target_archE906ELNS1_3gpuE6ELNS1_3repE0EEENS1_30default_config_static_selectorELNS0_4arch9wavefront6targetE1EEEvT1_
                                        ; -- End function
	.section	.AMDGPU.csdata,"",@progbits
; Kernel info:
; codeLenInByte = 0
; NumSgprs: 6
; NumVgprs: 0
; NumAgprs: 0
; TotalNumVgprs: 0
; ScratchSize: 0
; MemoryBound: 0
; FloatMode: 240
; IeeeMode: 1
; LDSByteSize: 0 bytes/workgroup (compile time only)
; SGPRBlocks: 0
; VGPRBlocks: 0
; NumSGPRsForWavesPerEU: 6
; NumVGPRsForWavesPerEU: 1
; AccumOffset: 4
; Occupancy: 8
; WaveLimiterHint : 0
; COMPUTE_PGM_RSRC2:SCRATCH_EN: 0
; COMPUTE_PGM_RSRC2:USER_SGPR: 2
; COMPUTE_PGM_RSRC2:TRAP_HANDLER: 0
; COMPUTE_PGM_RSRC2:TGID_X_EN: 1
; COMPUTE_PGM_RSRC2:TGID_Y_EN: 0
; COMPUTE_PGM_RSRC2:TGID_Z_EN: 0
; COMPUTE_PGM_RSRC2:TIDIG_COMP_CNT: 0
; COMPUTE_PGM_RSRC3_GFX90A:ACCUM_OFFSET: 0
; COMPUTE_PGM_RSRC3_GFX90A:TG_SPLIT: 0
	.section	.text._ZN7rocprim17ROCPRIM_400000_NS6detail17trampoline_kernelINS0_14default_configENS1_27scan_by_key_config_selectorIiiEEZZNS1_16scan_by_key_implILNS1_25lookback_scan_determinismE0ELb0ES3_N6thrust23THRUST_200600_302600_NS6detail15normal_iteratorINS9_10device_ptrIiEEEESE_SE_iNS9_4plusIvEENS9_8equal_toIiEEiEE10hipError_tPvRmT2_T3_T4_T5_mT6_T7_P12ihipStream_tbENKUlT_T0_E_clISt17integral_constantIbLb1EESY_IbLb0EEEEDaSU_SV_EUlSU_E_NS1_11comp_targetILNS1_3genE10ELNS1_11target_archE1200ELNS1_3gpuE4ELNS1_3repE0EEENS1_30default_config_static_selectorELNS0_4arch9wavefront6targetE1EEEvT1_,"axG",@progbits,_ZN7rocprim17ROCPRIM_400000_NS6detail17trampoline_kernelINS0_14default_configENS1_27scan_by_key_config_selectorIiiEEZZNS1_16scan_by_key_implILNS1_25lookback_scan_determinismE0ELb0ES3_N6thrust23THRUST_200600_302600_NS6detail15normal_iteratorINS9_10device_ptrIiEEEESE_SE_iNS9_4plusIvEENS9_8equal_toIiEEiEE10hipError_tPvRmT2_T3_T4_T5_mT6_T7_P12ihipStream_tbENKUlT_T0_E_clISt17integral_constantIbLb1EESY_IbLb0EEEEDaSU_SV_EUlSU_E_NS1_11comp_targetILNS1_3genE10ELNS1_11target_archE1200ELNS1_3gpuE4ELNS1_3repE0EEENS1_30default_config_static_selectorELNS0_4arch9wavefront6targetE1EEEvT1_,comdat
	.protected	_ZN7rocprim17ROCPRIM_400000_NS6detail17trampoline_kernelINS0_14default_configENS1_27scan_by_key_config_selectorIiiEEZZNS1_16scan_by_key_implILNS1_25lookback_scan_determinismE0ELb0ES3_N6thrust23THRUST_200600_302600_NS6detail15normal_iteratorINS9_10device_ptrIiEEEESE_SE_iNS9_4plusIvEENS9_8equal_toIiEEiEE10hipError_tPvRmT2_T3_T4_T5_mT6_T7_P12ihipStream_tbENKUlT_T0_E_clISt17integral_constantIbLb1EESY_IbLb0EEEEDaSU_SV_EUlSU_E_NS1_11comp_targetILNS1_3genE10ELNS1_11target_archE1200ELNS1_3gpuE4ELNS1_3repE0EEENS1_30default_config_static_selectorELNS0_4arch9wavefront6targetE1EEEvT1_ ; -- Begin function _ZN7rocprim17ROCPRIM_400000_NS6detail17trampoline_kernelINS0_14default_configENS1_27scan_by_key_config_selectorIiiEEZZNS1_16scan_by_key_implILNS1_25lookback_scan_determinismE0ELb0ES3_N6thrust23THRUST_200600_302600_NS6detail15normal_iteratorINS9_10device_ptrIiEEEESE_SE_iNS9_4plusIvEENS9_8equal_toIiEEiEE10hipError_tPvRmT2_T3_T4_T5_mT6_T7_P12ihipStream_tbENKUlT_T0_E_clISt17integral_constantIbLb1EESY_IbLb0EEEEDaSU_SV_EUlSU_E_NS1_11comp_targetILNS1_3genE10ELNS1_11target_archE1200ELNS1_3gpuE4ELNS1_3repE0EEENS1_30default_config_static_selectorELNS0_4arch9wavefront6targetE1EEEvT1_
	.globl	_ZN7rocprim17ROCPRIM_400000_NS6detail17trampoline_kernelINS0_14default_configENS1_27scan_by_key_config_selectorIiiEEZZNS1_16scan_by_key_implILNS1_25lookback_scan_determinismE0ELb0ES3_N6thrust23THRUST_200600_302600_NS6detail15normal_iteratorINS9_10device_ptrIiEEEESE_SE_iNS9_4plusIvEENS9_8equal_toIiEEiEE10hipError_tPvRmT2_T3_T4_T5_mT6_T7_P12ihipStream_tbENKUlT_T0_E_clISt17integral_constantIbLb1EESY_IbLb0EEEEDaSU_SV_EUlSU_E_NS1_11comp_targetILNS1_3genE10ELNS1_11target_archE1200ELNS1_3gpuE4ELNS1_3repE0EEENS1_30default_config_static_selectorELNS0_4arch9wavefront6targetE1EEEvT1_
	.p2align	8
	.type	_ZN7rocprim17ROCPRIM_400000_NS6detail17trampoline_kernelINS0_14default_configENS1_27scan_by_key_config_selectorIiiEEZZNS1_16scan_by_key_implILNS1_25lookback_scan_determinismE0ELb0ES3_N6thrust23THRUST_200600_302600_NS6detail15normal_iteratorINS9_10device_ptrIiEEEESE_SE_iNS9_4plusIvEENS9_8equal_toIiEEiEE10hipError_tPvRmT2_T3_T4_T5_mT6_T7_P12ihipStream_tbENKUlT_T0_E_clISt17integral_constantIbLb1EESY_IbLb0EEEEDaSU_SV_EUlSU_E_NS1_11comp_targetILNS1_3genE10ELNS1_11target_archE1200ELNS1_3gpuE4ELNS1_3repE0EEENS1_30default_config_static_selectorELNS0_4arch9wavefront6targetE1EEEvT1_,@function
_ZN7rocprim17ROCPRIM_400000_NS6detail17trampoline_kernelINS0_14default_configENS1_27scan_by_key_config_selectorIiiEEZZNS1_16scan_by_key_implILNS1_25lookback_scan_determinismE0ELb0ES3_N6thrust23THRUST_200600_302600_NS6detail15normal_iteratorINS9_10device_ptrIiEEEESE_SE_iNS9_4plusIvEENS9_8equal_toIiEEiEE10hipError_tPvRmT2_T3_T4_T5_mT6_T7_P12ihipStream_tbENKUlT_T0_E_clISt17integral_constantIbLb1EESY_IbLb0EEEEDaSU_SV_EUlSU_E_NS1_11comp_targetILNS1_3genE10ELNS1_11target_archE1200ELNS1_3gpuE4ELNS1_3repE0EEENS1_30default_config_static_selectorELNS0_4arch9wavefront6targetE1EEEvT1_: ; @_ZN7rocprim17ROCPRIM_400000_NS6detail17trampoline_kernelINS0_14default_configENS1_27scan_by_key_config_selectorIiiEEZZNS1_16scan_by_key_implILNS1_25lookback_scan_determinismE0ELb0ES3_N6thrust23THRUST_200600_302600_NS6detail15normal_iteratorINS9_10device_ptrIiEEEESE_SE_iNS9_4plusIvEENS9_8equal_toIiEEiEE10hipError_tPvRmT2_T3_T4_T5_mT6_T7_P12ihipStream_tbENKUlT_T0_E_clISt17integral_constantIbLb1EESY_IbLb0EEEEDaSU_SV_EUlSU_E_NS1_11comp_targetILNS1_3genE10ELNS1_11target_archE1200ELNS1_3gpuE4ELNS1_3repE0EEENS1_30default_config_static_selectorELNS0_4arch9wavefront6targetE1EEEvT1_
; %bb.0:
	.section	.rodata,"a",@progbits
	.p2align	6, 0x0
	.amdhsa_kernel _ZN7rocprim17ROCPRIM_400000_NS6detail17trampoline_kernelINS0_14default_configENS1_27scan_by_key_config_selectorIiiEEZZNS1_16scan_by_key_implILNS1_25lookback_scan_determinismE0ELb0ES3_N6thrust23THRUST_200600_302600_NS6detail15normal_iteratorINS9_10device_ptrIiEEEESE_SE_iNS9_4plusIvEENS9_8equal_toIiEEiEE10hipError_tPvRmT2_T3_T4_T5_mT6_T7_P12ihipStream_tbENKUlT_T0_E_clISt17integral_constantIbLb1EESY_IbLb0EEEEDaSU_SV_EUlSU_E_NS1_11comp_targetILNS1_3genE10ELNS1_11target_archE1200ELNS1_3gpuE4ELNS1_3repE0EEENS1_30default_config_static_selectorELNS0_4arch9wavefront6targetE1EEEvT1_
		.amdhsa_group_segment_fixed_size 0
		.amdhsa_private_segment_fixed_size 0
		.amdhsa_kernarg_size 112
		.amdhsa_user_sgpr_count 2
		.amdhsa_user_sgpr_dispatch_ptr 0
		.amdhsa_user_sgpr_queue_ptr 0
		.amdhsa_user_sgpr_kernarg_segment_ptr 1
		.amdhsa_user_sgpr_dispatch_id 0
		.amdhsa_user_sgpr_kernarg_preload_length 0
		.amdhsa_user_sgpr_kernarg_preload_offset 0
		.amdhsa_user_sgpr_private_segment_size 0
		.amdhsa_uses_dynamic_stack 0
		.amdhsa_enable_private_segment 0
		.amdhsa_system_sgpr_workgroup_id_x 1
		.amdhsa_system_sgpr_workgroup_id_y 0
		.amdhsa_system_sgpr_workgroup_id_z 0
		.amdhsa_system_sgpr_workgroup_info 0
		.amdhsa_system_vgpr_workitem_id 0
		.amdhsa_next_free_vgpr 1
		.amdhsa_next_free_sgpr 0
		.amdhsa_accum_offset 4
		.amdhsa_reserve_vcc 0
		.amdhsa_float_round_mode_32 0
		.amdhsa_float_round_mode_16_64 0
		.amdhsa_float_denorm_mode_32 3
		.amdhsa_float_denorm_mode_16_64 3
		.amdhsa_dx10_clamp 1
		.amdhsa_ieee_mode 1
		.amdhsa_fp16_overflow 0
		.amdhsa_tg_split 0
		.amdhsa_exception_fp_ieee_invalid_op 0
		.amdhsa_exception_fp_denorm_src 0
		.amdhsa_exception_fp_ieee_div_zero 0
		.amdhsa_exception_fp_ieee_overflow 0
		.amdhsa_exception_fp_ieee_underflow 0
		.amdhsa_exception_fp_ieee_inexact 0
		.amdhsa_exception_int_div_zero 0
	.end_amdhsa_kernel
	.section	.text._ZN7rocprim17ROCPRIM_400000_NS6detail17trampoline_kernelINS0_14default_configENS1_27scan_by_key_config_selectorIiiEEZZNS1_16scan_by_key_implILNS1_25lookback_scan_determinismE0ELb0ES3_N6thrust23THRUST_200600_302600_NS6detail15normal_iteratorINS9_10device_ptrIiEEEESE_SE_iNS9_4plusIvEENS9_8equal_toIiEEiEE10hipError_tPvRmT2_T3_T4_T5_mT6_T7_P12ihipStream_tbENKUlT_T0_E_clISt17integral_constantIbLb1EESY_IbLb0EEEEDaSU_SV_EUlSU_E_NS1_11comp_targetILNS1_3genE10ELNS1_11target_archE1200ELNS1_3gpuE4ELNS1_3repE0EEENS1_30default_config_static_selectorELNS0_4arch9wavefront6targetE1EEEvT1_,"axG",@progbits,_ZN7rocprim17ROCPRIM_400000_NS6detail17trampoline_kernelINS0_14default_configENS1_27scan_by_key_config_selectorIiiEEZZNS1_16scan_by_key_implILNS1_25lookback_scan_determinismE0ELb0ES3_N6thrust23THRUST_200600_302600_NS6detail15normal_iteratorINS9_10device_ptrIiEEEESE_SE_iNS9_4plusIvEENS9_8equal_toIiEEiEE10hipError_tPvRmT2_T3_T4_T5_mT6_T7_P12ihipStream_tbENKUlT_T0_E_clISt17integral_constantIbLb1EESY_IbLb0EEEEDaSU_SV_EUlSU_E_NS1_11comp_targetILNS1_3genE10ELNS1_11target_archE1200ELNS1_3gpuE4ELNS1_3repE0EEENS1_30default_config_static_selectorELNS0_4arch9wavefront6targetE1EEEvT1_,comdat
.Lfunc_end224:
	.size	_ZN7rocprim17ROCPRIM_400000_NS6detail17trampoline_kernelINS0_14default_configENS1_27scan_by_key_config_selectorIiiEEZZNS1_16scan_by_key_implILNS1_25lookback_scan_determinismE0ELb0ES3_N6thrust23THRUST_200600_302600_NS6detail15normal_iteratorINS9_10device_ptrIiEEEESE_SE_iNS9_4plusIvEENS9_8equal_toIiEEiEE10hipError_tPvRmT2_T3_T4_T5_mT6_T7_P12ihipStream_tbENKUlT_T0_E_clISt17integral_constantIbLb1EESY_IbLb0EEEEDaSU_SV_EUlSU_E_NS1_11comp_targetILNS1_3genE10ELNS1_11target_archE1200ELNS1_3gpuE4ELNS1_3repE0EEENS1_30default_config_static_selectorELNS0_4arch9wavefront6targetE1EEEvT1_, .Lfunc_end224-_ZN7rocprim17ROCPRIM_400000_NS6detail17trampoline_kernelINS0_14default_configENS1_27scan_by_key_config_selectorIiiEEZZNS1_16scan_by_key_implILNS1_25lookback_scan_determinismE0ELb0ES3_N6thrust23THRUST_200600_302600_NS6detail15normal_iteratorINS9_10device_ptrIiEEEESE_SE_iNS9_4plusIvEENS9_8equal_toIiEEiEE10hipError_tPvRmT2_T3_T4_T5_mT6_T7_P12ihipStream_tbENKUlT_T0_E_clISt17integral_constantIbLb1EESY_IbLb0EEEEDaSU_SV_EUlSU_E_NS1_11comp_targetILNS1_3genE10ELNS1_11target_archE1200ELNS1_3gpuE4ELNS1_3repE0EEENS1_30default_config_static_selectorELNS0_4arch9wavefront6targetE1EEEvT1_
                                        ; -- End function
	.section	.AMDGPU.csdata,"",@progbits
; Kernel info:
; codeLenInByte = 0
; NumSgprs: 6
; NumVgprs: 0
; NumAgprs: 0
; TotalNumVgprs: 0
; ScratchSize: 0
; MemoryBound: 0
; FloatMode: 240
; IeeeMode: 1
; LDSByteSize: 0 bytes/workgroup (compile time only)
; SGPRBlocks: 0
; VGPRBlocks: 0
; NumSGPRsForWavesPerEU: 6
; NumVGPRsForWavesPerEU: 1
; AccumOffset: 4
; Occupancy: 8
; WaveLimiterHint : 0
; COMPUTE_PGM_RSRC2:SCRATCH_EN: 0
; COMPUTE_PGM_RSRC2:USER_SGPR: 2
; COMPUTE_PGM_RSRC2:TRAP_HANDLER: 0
; COMPUTE_PGM_RSRC2:TGID_X_EN: 1
; COMPUTE_PGM_RSRC2:TGID_Y_EN: 0
; COMPUTE_PGM_RSRC2:TGID_Z_EN: 0
; COMPUTE_PGM_RSRC2:TIDIG_COMP_CNT: 0
; COMPUTE_PGM_RSRC3_GFX90A:ACCUM_OFFSET: 0
; COMPUTE_PGM_RSRC3_GFX90A:TG_SPLIT: 0
	.section	.text._ZN7rocprim17ROCPRIM_400000_NS6detail17trampoline_kernelINS0_14default_configENS1_27scan_by_key_config_selectorIiiEEZZNS1_16scan_by_key_implILNS1_25lookback_scan_determinismE0ELb0ES3_N6thrust23THRUST_200600_302600_NS6detail15normal_iteratorINS9_10device_ptrIiEEEESE_SE_iNS9_4plusIvEENS9_8equal_toIiEEiEE10hipError_tPvRmT2_T3_T4_T5_mT6_T7_P12ihipStream_tbENKUlT_T0_E_clISt17integral_constantIbLb1EESY_IbLb0EEEEDaSU_SV_EUlSU_E_NS1_11comp_targetILNS1_3genE9ELNS1_11target_archE1100ELNS1_3gpuE3ELNS1_3repE0EEENS1_30default_config_static_selectorELNS0_4arch9wavefront6targetE1EEEvT1_,"axG",@progbits,_ZN7rocprim17ROCPRIM_400000_NS6detail17trampoline_kernelINS0_14default_configENS1_27scan_by_key_config_selectorIiiEEZZNS1_16scan_by_key_implILNS1_25lookback_scan_determinismE0ELb0ES3_N6thrust23THRUST_200600_302600_NS6detail15normal_iteratorINS9_10device_ptrIiEEEESE_SE_iNS9_4plusIvEENS9_8equal_toIiEEiEE10hipError_tPvRmT2_T3_T4_T5_mT6_T7_P12ihipStream_tbENKUlT_T0_E_clISt17integral_constantIbLb1EESY_IbLb0EEEEDaSU_SV_EUlSU_E_NS1_11comp_targetILNS1_3genE9ELNS1_11target_archE1100ELNS1_3gpuE3ELNS1_3repE0EEENS1_30default_config_static_selectorELNS0_4arch9wavefront6targetE1EEEvT1_,comdat
	.protected	_ZN7rocprim17ROCPRIM_400000_NS6detail17trampoline_kernelINS0_14default_configENS1_27scan_by_key_config_selectorIiiEEZZNS1_16scan_by_key_implILNS1_25lookback_scan_determinismE0ELb0ES3_N6thrust23THRUST_200600_302600_NS6detail15normal_iteratorINS9_10device_ptrIiEEEESE_SE_iNS9_4plusIvEENS9_8equal_toIiEEiEE10hipError_tPvRmT2_T3_T4_T5_mT6_T7_P12ihipStream_tbENKUlT_T0_E_clISt17integral_constantIbLb1EESY_IbLb0EEEEDaSU_SV_EUlSU_E_NS1_11comp_targetILNS1_3genE9ELNS1_11target_archE1100ELNS1_3gpuE3ELNS1_3repE0EEENS1_30default_config_static_selectorELNS0_4arch9wavefront6targetE1EEEvT1_ ; -- Begin function _ZN7rocprim17ROCPRIM_400000_NS6detail17trampoline_kernelINS0_14default_configENS1_27scan_by_key_config_selectorIiiEEZZNS1_16scan_by_key_implILNS1_25lookback_scan_determinismE0ELb0ES3_N6thrust23THRUST_200600_302600_NS6detail15normal_iteratorINS9_10device_ptrIiEEEESE_SE_iNS9_4plusIvEENS9_8equal_toIiEEiEE10hipError_tPvRmT2_T3_T4_T5_mT6_T7_P12ihipStream_tbENKUlT_T0_E_clISt17integral_constantIbLb1EESY_IbLb0EEEEDaSU_SV_EUlSU_E_NS1_11comp_targetILNS1_3genE9ELNS1_11target_archE1100ELNS1_3gpuE3ELNS1_3repE0EEENS1_30default_config_static_selectorELNS0_4arch9wavefront6targetE1EEEvT1_
	.globl	_ZN7rocprim17ROCPRIM_400000_NS6detail17trampoline_kernelINS0_14default_configENS1_27scan_by_key_config_selectorIiiEEZZNS1_16scan_by_key_implILNS1_25lookback_scan_determinismE0ELb0ES3_N6thrust23THRUST_200600_302600_NS6detail15normal_iteratorINS9_10device_ptrIiEEEESE_SE_iNS9_4plusIvEENS9_8equal_toIiEEiEE10hipError_tPvRmT2_T3_T4_T5_mT6_T7_P12ihipStream_tbENKUlT_T0_E_clISt17integral_constantIbLb1EESY_IbLb0EEEEDaSU_SV_EUlSU_E_NS1_11comp_targetILNS1_3genE9ELNS1_11target_archE1100ELNS1_3gpuE3ELNS1_3repE0EEENS1_30default_config_static_selectorELNS0_4arch9wavefront6targetE1EEEvT1_
	.p2align	8
	.type	_ZN7rocprim17ROCPRIM_400000_NS6detail17trampoline_kernelINS0_14default_configENS1_27scan_by_key_config_selectorIiiEEZZNS1_16scan_by_key_implILNS1_25lookback_scan_determinismE0ELb0ES3_N6thrust23THRUST_200600_302600_NS6detail15normal_iteratorINS9_10device_ptrIiEEEESE_SE_iNS9_4plusIvEENS9_8equal_toIiEEiEE10hipError_tPvRmT2_T3_T4_T5_mT6_T7_P12ihipStream_tbENKUlT_T0_E_clISt17integral_constantIbLb1EESY_IbLb0EEEEDaSU_SV_EUlSU_E_NS1_11comp_targetILNS1_3genE9ELNS1_11target_archE1100ELNS1_3gpuE3ELNS1_3repE0EEENS1_30default_config_static_selectorELNS0_4arch9wavefront6targetE1EEEvT1_,@function
_ZN7rocprim17ROCPRIM_400000_NS6detail17trampoline_kernelINS0_14default_configENS1_27scan_by_key_config_selectorIiiEEZZNS1_16scan_by_key_implILNS1_25lookback_scan_determinismE0ELb0ES3_N6thrust23THRUST_200600_302600_NS6detail15normal_iteratorINS9_10device_ptrIiEEEESE_SE_iNS9_4plusIvEENS9_8equal_toIiEEiEE10hipError_tPvRmT2_T3_T4_T5_mT6_T7_P12ihipStream_tbENKUlT_T0_E_clISt17integral_constantIbLb1EESY_IbLb0EEEEDaSU_SV_EUlSU_E_NS1_11comp_targetILNS1_3genE9ELNS1_11target_archE1100ELNS1_3gpuE3ELNS1_3repE0EEENS1_30default_config_static_selectorELNS0_4arch9wavefront6targetE1EEEvT1_: ; @_ZN7rocprim17ROCPRIM_400000_NS6detail17trampoline_kernelINS0_14default_configENS1_27scan_by_key_config_selectorIiiEEZZNS1_16scan_by_key_implILNS1_25lookback_scan_determinismE0ELb0ES3_N6thrust23THRUST_200600_302600_NS6detail15normal_iteratorINS9_10device_ptrIiEEEESE_SE_iNS9_4plusIvEENS9_8equal_toIiEEiEE10hipError_tPvRmT2_T3_T4_T5_mT6_T7_P12ihipStream_tbENKUlT_T0_E_clISt17integral_constantIbLb1EESY_IbLb0EEEEDaSU_SV_EUlSU_E_NS1_11comp_targetILNS1_3genE9ELNS1_11target_archE1100ELNS1_3gpuE3ELNS1_3repE0EEENS1_30default_config_static_selectorELNS0_4arch9wavefront6targetE1EEEvT1_
; %bb.0:
	.section	.rodata,"a",@progbits
	.p2align	6, 0x0
	.amdhsa_kernel _ZN7rocprim17ROCPRIM_400000_NS6detail17trampoline_kernelINS0_14default_configENS1_27scan_by_key_config_selectorIiiEEZZNS1_16scan_by_key_implILNS1_25lookback_scan_determinismE0ELb0ES3_N6thrust23THRUST_200600_302600_NS6detail15normal_iteratorINS9_10device_ptrIiEEEESE_SE_iNS9_4plusIvEENS9_8equal_toIiEEiEE10hipError_tPvRmT2_T3_T4_T5_mT6_T7_P12ihipStream_tbENKUlT_T0_E_clISt17integral_constantIbLb1EESY_IbLb0EEEEDaSU_SV_EUlSU_E_NS1_11comp_targetILNS1_3genE9ELNS1_11target_archE1100ELNS1_3gpuE3ELNS1_3repE0EEENS1_30default_config_static_selectorELNS0_4arch9wavefront6targetE1EEEvT1_
		.amdhsa_group_segment_fixed_size 0
		.amdhsa_private_segment_fixed_size 0
		.amdhsa_kernarg_size 112
		.amdhsa_user_sgpr_count 2
		.amdhsa_user_sgpr_dispatch_ptr 0
		.amdhsa_user_sgpr_queue_ptr 0
		.amdhsa_user_sgpr_kernarg_segment_ptr 1
		.amdhsa_user_sgpr_dispatch_id 0
		.amdhsa_user_sgpr_kernarg_preload_length 0
		.amdhsa_user_sgpr_kernarg_preload_offset 0
		.amdhsa_user_sgpr_private_segment_size 0
		.amdhsa_uses_dynamic_stack 0
		.amdhsa_enable_private_segment 0
		.amdhsa_system_sgpr_workgroup_id_x 1
		.amdhsa_system_sgpr_workgroup_id_y 0
		.amdhsa_system_sgpr_workgroup_id_z 0
		.amdhsa_system_sgpr_workgroup_info 0
		.amdhsa_system_vgpr_workitem_id 0
		.amdhsa_next_free_vgpr 1
		.amdhsa_next_free_sgpr 0
		.amdhsa_accum_offset 4
		.amdhsa_reserve_vcc 0
		.amdhsa_float_round_mode_32 0
		.amdhsa_float_round_mode_16_64 0
		.amdhsa_float_denorm_mode_32 3
		.amdhsa_float_denorm_mode_16_64 3
		.amdhsa_dx10_clamp 1
		.amdhsa_ieee_mode 1
		.amdhsa_fp16_overflow 0
		.amdhsa_tg_split 0
		.amdhsa_exception_fp_ieee_invalid_op 0
		.amdhsa_exception_fp_denorm_src 0
		.amdhsa_exception_fp_ieee_div_zero 0
		.amdhsa_exception_fp_ieee_overflow 0
		.amdhsa_exception_fp_ieee_underflow 0
		.amdhsa_exception_fp_ieee_inexact 0
		.amdhsa_exception_int_div_zero 0
	.end_amdhsa_kernel
	.section	.text._ZN7rocprim17ROCPRIM_400000_NS6detail17trampoline_kernelINS0_14default_configENS1_27scan_by_key_config_selectorIiiEEZZNS1_16scan_by_key_implILNS1_25lookback_scan_determinismE0ELb0ES3_N6thrust23THRUST_200600_302600_NS6detail15normal_iteratorINS9_10device_ptrIiEEEESE_SE_iNS9_4plusIvEENS9_8equal_toIiEEiEE10hipError_tPvRmT2_T3_T4_T5_mT6_T7_P12ihipStream_tbENKUlT_T0_E_clISt17integral_constantIbLb1EESY_IbLb0EEEEDaSU_SV_EUlSU_E_NS1_11comp_targetILNS1_3genE9ELNS1_11target_archE1100ELNS1_3gpuE3ELNS1_3repE0EEENS1_30default_config_static_selectorELNS0_4arch9wavefront6targetE1EEEvT1_,"axG",@progbits,_ZN7rocprim17ROCPRIM_400000_NS6detail17trampoline_kernelINS0_14default_configENS1_27scan_by_key_config_selectorIiiEEZZNS1_16scan_by_key_implILNS1_25lookback_scan_determinismE0ELb0ES3_N6thrust23THRUST_200600_302600_NS6detail15normal_iteratorINS9_10device_ptrIiEEEESE_SE_iNS9_4plusIvEENS9_8equal_toIiEEiEE10hipError_tPvRmT2_T3_T4_T5_mT6_T7_P12ihipStream_tbENKUlT_T0_E_clISt17integral_constantIbLb1EESY_IbLb0EEEEDaSU_SV_EUlSU_E_NS1_11comp_targetILNS1_3genE9ELNS1_11target_archE1100ELNS1_3gpuE3ELNS1_3repE0EEENS1_30default_config_static_selectorELNS0_4arch9wavefront6targetE1EEEvT1_,comdat
.Lfunc_end225:
	.size	_ZN7rocprim17ROCPRIM_400000_NS6detail17trampoline_kernelINS0_14default_configENS1_27scan_by_key_config_selectorIiiEEZZNS1_16scan_by_key_implILNS1_25lookback_scan_determinismE0ELb0ES3_N6thrust23THRUST_200600_302600_NS6detail15normal_iteratorINS9_10device_ptrIiEEEESE_SE_iNS9_4plusIvEENS9_8equal_toIiEEiEE10hipError_tPvRmT2_T3_T4_T5_mT6_T7_P12ihipStream_tbENKUlT_T0_E_clISt17integral_constantIbLb1EESY_IbLb0EEEEDaSU_SV_EUlSU_E_NS1_11comp_targetILNS1_3genE9ELNS1_11target_archE1100ELNS1_3gpuE3ELNS1_3repE0EEENS1_30default_config_static_selectorELNS0_4arch9wavefront6targetE1EEEvT1_, .Lfunc_end225-_ZN7rocprim17ROCPRIM_400000_NS6detail17trampoline_kernelINS0_14default_configENS1_27scan_by_key_config_selectorIiiEEZZNS1_16scan_by_key_implILNS1_25lookback_scan_determinismE0ELb0ES3_N6thrust23THRUST_200600_302600_NS6detail15normal_iteratorINS9_10device_ptrIiEEEESE_SE_iNS9_4plusIvEENS9_8equal_toIiEEiEE10hipError_tPvRmT2_T3_T4_T5_mT6_T7_P12ihipStream_tbENKUlT_T0_E_clISt17integral_constantIbLb1EESY_IbLb0EEEEDaSU_SV_EUlSU_E_NS1_11comp_targetILNS1_3genE9ELNS1_11target_archE1100ELNS1_3gpuE3ELNS1_3repE0EEENS1_30default_config_static_selectorELNS0_4arch9wavefront6targetE1EEEvT1_
                                        ; -- End function
	.section	.AMDGPU.csdata,"",@progbits
; Kernel info:
; codeLenInByte = 0
; NumSgprs: 6
; NumVgprs: 0
; NumAgprs: 0
; TotalNumVgprs: 0
; ScratchSize: 0
; MemoryBound: 0
; FloatMode: 240
; IeeeMode: 1
; LDSByteSize: 0 bytes/workgroup (compile time only)
; SGPRBlocks: 0
; VGPRBlocks: 0
; NumSGPRsForWavesPerEU: 6
; NumVGPRsForWavesPerEU: 1
; AccumOffset: 4
; Occupancy: 8
; WaveLimiterHint : 0
; COMPUTE_PGM_RSRC2:SCRATCH_EN: 0
; COMPUTE_PGM_RSRC2:USER_SGPR: 2
; COMPUTE_PGM_RSRC2:TRAP_HANDLER: 0
; COMPUTE_PGM_RSRC2:TGID_X_EN: 1
; COMPUTE_PGM_RSRC2:TGID_Y_EN: 0
; COMPUTE_PGM_RSRC2:TGID_Z_EN: 0
; COMPUTE_PGM_RSRC2:TIDIG_COMP_CNT: 0
; COMPUTE_PGM_RSRC3_GFX90A:ACCUM_OFFSET: 0
; COMPUTE_PGM_RSRC3_GFX90A:TG_SPLIT: 0
	.section	.text._ZN7rocprim17ROCPRIM_400000_NS6detail17trampoline_kernelINS0_14default_configENS1_27scan_by_key_config_selectorIiiEEZZNS1_16scan_by_key_implILNS1_25lookback_scan_determinismE0ELb0ES3_N6thrust23THRUST_200600_302600_NS6detail15normal_iteratorINS9_10device_ptrIiEEEESE_SE_iNS9_4plusIvEENS9_8equal_toIiEEiEE10hipError_tPvRmT2_T3_T4_T5_mT6_T7_P12ihipStream_tbENKUlT_T0_E_clISt17integral_constantIbLb1EESY_IbLb0EEEEDaSU_SV_EUlSU_E_NS1_11comp_targetILNS1_3genE8ELNS1_11target_archE1030ELNS1_3gpuE2ELNS1_3repE0EEENS1_30default_config_static_selectorELNS0_4arch9wavefront6targetE1EEEvT1_,"axG",@progbits,_ZN7rocprim17ROCPRIM_400000_NS6detail17trampoline_kernelINS0_14default_configENS1_27scan_by_key_config_selectorIiiEEZZNS1_16scan_by_key_implILNS1_25lookback_scan_determinismE0ELb0ES3_N6thrust23THRUST_200600_302600_NS6detail15normal_iteratorINS9_10device_ptrIiEEEESE_SE_iNS9_4plusIvEENS9_8equal_toIiEEiEE10hipError_tPvRmT2_T3_T4_T5_mT6_T7_P12ihipStream_tbENKUlT_T0_E_clISt17integral_constantIbLb1EESY_IbLb0EEEEDaSU_SV_EUlSU_E_NS1_11comp_targetILNS1_3genE8ELNS1_11target_archE1030ELNS1_3gpuE2ELNS1_3repE0EEENS1_30default_config_static_selectorELNS0_4arch9wavefront6targetE1EEEvT1_,comdat
	.protected	_ZN7rocprim17ROCPRIM_400000_NS6detail17trampoline_kernelINS0_14default_configENS1_27scan_by_key_config_selectorIiiEEZZNS1_16scan_by_key_implILNS1_25lookback_scan_determinismE0ELb0ES3_N6thrust23THRUST_200600_302600_NS6detail15normal_iteratorINS9_10device_ptrIiEEEESE_SE_iNS9_4plusIvEENS9_8equal_toIiEEiEE10hipError_tPvRmT2_T3_T4_T5_mT6_T7_P12ihipStream_tbENKUlT_T0_E_clISt17integral_constantIbLb1EESY_IbLb0EEEEDaSU_SV_EUlSU_E_NS1_11comp_targetILNS1_3genE8ELNS1_11target_archE1030ELNS1_3gpuE2ELNS1_3repE0EEENS1_30default_config_static_selectorELNS0_4arch9wavefront6targetE1EEEvT1_ ; -- Begin function _ZN7rocprim17ROCPRIM_400000_NS6detail17trampoline_kernelINS0_14default_configENS1_27scan_by_key_config_selectorIiiEEZZNS1_16scan_by_key_implILNS1_25lookback_scan_determinismE0ELb0ES3_N6thrust23THRUST_200600_302600_NS6detail15normal_iteratorINS9_10device_ptrIiEEEESE_SE_iNS9_4plusIvEENS9_8equal_toIiEEiEE10hipError_tPvRmT2_T3_T4_T5_mT6_T7_P12ihipStream_tbENKUlT_T0_E_clISt17integral_constantIbLb1EESY_IbLb0EEEEDaSU_SV_EUlSU_E_NS1_11comp_targetILNS1_3genE8ELNS1_11target_archE1030ELNS1_3gpuE2ELNS1_3repE0EEENS1_30default_config_static_selectorELNS0_4arch9wavefront6targetE1EEEvT1_
	.globl	_ZN7rocprim17ROCPRIM_400000_NS6detail17trampoline_kernelINS0_14default_configENS1_27scan_by_key_config_selectorIiiEEZZNS1_16scan_by_key_implILNS1_25lookback_scan_determinismE0ELb0ES3_N6thrust23THRUST_200600_302600_NS6detail15normal_iteratorINS9_10device_ptrIiEEEESE_SE_iNS9_4plusIvEENS9_8equal_toIiEEiEE10hipError_tPvRmT2_T3_T4_T5_mT6_T7_P12ihipStream_tbENKUlT_T0_E_clISt17integral_constantIbLb1EESY_IbLb0EEEEDaSU_SV_EUlSU_E_NS1_11comp_targetILNS1_3genE8ELNS1_11target_archE1030ELNS1_3gpuE2ELNS1_3repE0EEENS1_30default_config_static_selectorELNS0_4arch9wavefront6targetE1EEEvT1_
	.p2align	8
	.type	_ZN7rocprim17ROCPRIM_400000_NS6detail17trampoline_kernelINS0_14default_configENS1_27scan_by_key_config_selectorIiiEEZZNS1_16scan_by_key_implILNS1_25lookback_scan_determinismE0ELb0ES3_N6thrust23THRUST_200600_302600_NS6detail15normal_iteratorINS9_10device_ptrIiEEEESE_SE_iNS9_4plusIvEENS9_8equal_toIiEEiEE10hipError_tPvRmT2_T3_T4_T5_mT6_T7_P12ihipStream_tbENKUlT_T0_E_clISt17integral_constantIbLb1EESY_IbLb0EEEEDaSU_SV_EUlSU_E_NS1_11comp_targetILNS1_3genE8ELNS1_11target_archE1030ELNS1_3gpuE2ELNS1_3repE0EEENS1_30default_config_static_selectorELNS0_4arch9wavefront6targetE1EEEvT1_,@function
_ZN7rocprim17ROCPRIM_400000_NS6detail17trampoline_kernelINS0_14default_configENS1_27scan_by_key_config_selectorIiiEEZZNS1_16scan_by_key_implILNS1_25lookback_scan_determinismE0ELb0ES3_N6thrust23THRUST_200600_302600_NS6detail15normal_iteratorINS9_10device_ptrIiEEEESE_SE_iNS9_4plusIvEENS9_8equal_toIiEEiEE10hipError_tPvRmT2_T3_T4_T5_mT6_T7_P12ihipStream_tbENKUlT_T0_E_clISt17integral_constantIbLb1EESY_IbLb0EEEEDaSU_SV_EUlSU_E_NS1_11comp_targetILNS1_3genE8ELNS1_11target_archE1030ELNS1_3gpuE2ELNS1_3repE0EEENS1_30default_config_static_selectorELNS0_4arch9wavefront6targetE1EEEvT1_: ; @_ZN7rocprim17ROCPRIM_400000_NS6detail17trampoline_kernelINS0_14default_configENS1_27scan_by_key_config_selectorIiiEEZZNS1_16scan_by_key_implILNS1_25lookback_scan_determinismE0ELb0ES3_N6thrust23THRUST_200600_302600_NS6detail15normal_iteratorINS9_10device_ptrIiEEEESE_SE_iNS9_4plusIvEENS9_8equal_toIiEEiEE10hipError_tPvRmT2_T3_T4_T5_mT6_T7_P12ihipStream_tbENKUlT_T0_E_clISt17integral_constantIbLb1EESY_IbLb0EEEEDaSU_SV_EUlSU_E_NS1_11comp_targetILNS1_3genE8ELNS1_11target_archE1030ELNS1_3gpuE2ELNS1_3repE0EEENS1_30default_config_static_selectorELNS0_4arch9wavefront6targetE1EEEvT1_
; %bb.0:
	.section	.rodata,"a",@progbits
	.p2align	6, 0x0
	.amdhsa_kernel _ZN7rocprim17ROCPRIM_400000_NS6detail17trampoline_kernelINS0_14default_configENS1_27scan_by_key_config_selectorIiiEEZZNS1_16scan_by_key_implILNS1_25lookback_scan_determinismE0ELb0ES3_N6thrust23THRUST_200600_302600_NS6detail15normal_iteratorINS9_10device_ptrIiEEEESE_SE_iNS9_4plusIvEENS9_8equal_toIiEEiEE10hipError_tPvRmT2_T3_T4_T5_mT6_T7_P12ihipStream_tbENKUlT_T0_E_clISt17integral_constantIbLb1EESY_IbLb0EEEEDaSU_SV_EUlSU_E_NS1_11comp_targetILNS1_3genE8ELNS1_11target_archE1030ELNS1_3gpuE2ELNS1_3repE0EEENS1_30default_config_static_selectorELNS0_4arch9wavefront6targetE1EEEvT1_
		.amdhsa_group_segment_fixed_size 0
		.amdhsa_private_segment_fixed_size 0
		.amdhsa_kernarg_size 112
		.amdhsa_user_sgpr_count 2
		.amdhsa_user_sgpr_dispatch_ptr 0
		.amdhsa_user_sgpr_queue_ptr 0
		.amdhsa_user_sgpr_kernarg_segment_ptr 1
		.amdhsa_user_sgpr_dispatch_id 0
		.amdhsa_user_sgpr_kernarg_preload_length 0
		.amdhsa_user_sgpr_kernarg_preload_offset 0
		.amdhsa_user_sgpr_private_segment_size 0
		.amdhsa_uses_dynamic_stack 0
		.amdhsa_enable_private_segment 0
		.amdhsa_system_sgpr_workgroup_id_x 1
		.amdhsa_system_sgpr_workgroup_id_y 0
		.amdhsa_system_sgpr_workgroup_id_z 0
		.amdhsa_system_sgpr_workgroup_info 0
		.amdhsa_system_vgpr_workitem_id 0
		.amdhsa_next_free_vgpr 1
		.amdhsa_next_free_sgpr 0
		.amdhsa_accum_offset 4
		.amdhsa_reserve_vcc 0
		.amdhsa_float_round_mode_32 0
		.amdhsa_float_round_mode_16_64 0
		.amdhsa_float_denorm_mode_32 3
		.amdhsa_float_denorm_mode_16_64 3
		.amdhsa_dx10_clamp 1
		.amdhsa_ieee_mode 1
		.amdhsa_fp16_overflow 0
		.amdhsa_tg_split 0
		.amdhsa_exception_fp_ieee_invalid_op 0
		.amdhsa_exception_fp_denorm_src 0
		.amdhsa_exception_fp_ieee_div_zero 0
		.amdhsa_exception_fp_ieee_overflow 0
		.amdhsa_exception_fp_ieee_underflow 0
		.amdhsa_exception_fp_ieee_inexact 0
		.amdhsa_exception_int_div_zero 0
	.end_amdhsa_kernel
	.section	.text._ZN7rocprim17ROCPRIM_400000_NS6detail17trampoline_kernelINS0_14default_configENS1_27scan_by_key_config_selectorIiiEEZZNS1_16scan_by_key_implILNS1_25lookback_scan_determinismE0ELb0ES3_N6thrust23THRUST_200600_302600_NS6detail15normal_iteratorINS9_10device_ptrIiEEEESE_SE_iNS9_4plusIvEENS9_8equal_toIiEEiEE10hipError_tPvRmT2_T3_T4_T5_mT6_T7_P12ihipStream_tbENKUlT_T0_E_clISt17integral_constantIbLb1EESY_IbLb0EEEEDaSU_SV_EUlSU_E_NS1_11comp_targetILNS1_3genE8ELNS1_11target_archE1030ELNS1_3gpuE2ELNS1_3repE0EEENS1_30default_config_static_selectorELNS0_4arch9wavefront6targetE1EEEvT1_,"axG",@progbits,_ZN7rocprim17ROCPRIM_400000_NS6detail17trampoline_kernelINS0_14default_configENS1_27scan_by_key_config_selectorIiiEEZZNS1_16scan_by_key_implILNS1_25lookback_scan_determinismE0ELb0ES3_N6thrust23THRUST_200600_302600_NS6detail15normal_iteratorINS9_10device_ptrIiEEEESE_SE_iNS9_4plusIvEENS9_8equal_toIiEEiEE10hipError_tPvRmT2_T3_T4_T5_mT6_T7_P12ihipStream_tbENKUlT_T0_E_clISt17integral_constantIbLb1EESY_IbLb0EEEEDaSU_SV_EUlSU_E_NS1_11comp_targetILNS1_3genE8ELNS1_11target_archE1030ELNS1_3gpuE2ELNS1_3repE0EEENS1_30default_config_static_selectorELNS0_4arch9wavefront6targetE1EEEvT1_,comdat
.Lfunc_end226:
	.size	_ZN7rocprim17ROCPRIM_400000_NS6detail17trampoline_kernelINS0_14default_configENS1_27scan_by_key_config_selectorIiiEEZZNS1_16scan_by_key_implILNS1_25lookback_scan_determinismE0ELb0ES3_N6thrust23THRUST_200600_302600_NS6detail15normal_iteratorINS9_10device_ptrIiEEEESE_SE_iNS9_4plusIvEENS9_8equal_toIiEEiEE10hipError_tPvRmT2_T3_T4_T5_mT6_T7_P12ihipStream_tbENKUlT_T0_E_clISt17integral_constantIbLb1EESY_IbLb0EEEEDaSU_SV_EUlSU_E_NS1_11comp_targetILNS1_3genE8ELNS1_11target_archE1030ELNS1_3gpuE2ELNS1_3repE0EEENS1_30default_config_static_selectorELNS0_4arch9wavefront6targetE1EEEvT1_, .Lfunc_end226-_ZN7rocprim17ROCPRIM_400000_NS6detail17trampoline_kernelINS0_14default_configENS1_27scan_by_key_config_selectorIiiEEZZNS1_16scan_by_key_implILNS1_25lookback_scan_determinismE0ELb0ES3_N6thrust23THRUST_200600_302600_NS6detail15normal_iteratorINS9_10device_ptrIiEEEESE_SE_iNS9_4plusIvEENS9_8equal_toIiEEiEE10hipError_tPvRmT2_T3_T4_T5_mT6_T7_P12ihipStream_tbENKUlT_T0_E_clISt17integral_constantIbLb1EESY_IbLb0EEEEDaSU_SV_EUlSU_E_NS1_11comp_targetILNS1_3genE8ELNS1_11target_archE1030ELNS1_3gpuE2ELNS1_3repE0EEENS1_30default_config_static_selectorELNS0_4arch9wavefront6targetE1EEEvT1_
                                        ; -- End function
	.section	.AMDGPU.csdata,"",@progbits
; Kernel info:
; codeLenInByte = 0
; NumSgprs: 6
; NumVgprs: 0
; NumAgprs: 0
; TotalNumVgprs: 0
; ScratchSize: 0
; MemoryBound: 0
; FloatMode: 240
; IeeeMode: 1
; LDSByteSize: 0 bytes/workgroup (compile time only)
; SGPRBlocks: 0
; VGPRBlocks: 0
; NumSGPRsForWavesPerEU: 6
; NumVGPRsForWavesPerEU: 1
; AccumOffset: 4
; Occupancy: 8
; WaveLimiterHint : 0
; COMPUTE_PGM_RSRC2:SCRATCH_EN: 0
; COMPUTE_PGM_RSRC2:USER_SGPR: 2
; COMPUTE_PGM_RSRC2:TRAP_HANDLER: 0
; COMPUTE_PGM_RSRC2:TGID_X_EN: 1
; COMPUTE_PGM_RSRC2:TGID_Y_EN: 0
; COMPUTE_PGM_RSRC2:TGID_Z_EN: 0
; COMPUTE_PGM_RSRC2:TIDIG_COMP_CNT: 0
; COMPUTE_PGM_RSRC3_GFX90A:ACCUM_OFFSET: 0
; COMPUTE_PGM_RSRC3_GFX90A:TG_SPLIT: 0
	.section	.text._ZN7rocprim17ROCPRIM_400000_NS6detail17trampoline_kernelINS0_14default_configENS1_27scan_by_key_config_selectorIiiEEZZNS1_16scan_by_key_implILNS1_25lookback_scan_determinismE0ELb0ES3_N6thrust23THRUST_200600_302600_NS6detail15normal_iteratorINS9_10device_ptrIiEEEESE_SE_iNS9_4plusIvEENS9_8equal_toIiEEiEE10hipError_tPvRmT2_T3_T4_T5_mT6_T7_P12ihipStream_tbENKUlT_T0_E_clISt17integral_constantIbLb0EESY_IbLb1EEEEDaSU_SV_EUlSU_E_NS1_11comp_targetILNS1_3genE0ELNS1_11target_archE4294967295ELNS1_3gpuE0ELNS1_3repE0EEENS1_30default_config_static_selectorELNS0_4arch9wavefront6targetE1EEEvT1_,"axG",@progbits,_ZN7rocprim17ROCPRIM_400000_NS6detail17trampoline_kernelINS0_14default_configENS1_27scan_by_key_config_selectorIiiEEZZNS1_16scan_by_key_implILNS1_25lookback_scan_determinismE0ELb0ES3_N6thrust23THRUST_200600_302600_NS6detail15normal_iteratorINS9_10device_ptrIiEEEESE_SE_iNS9_4plusIvEENS9_8equal_toIiEEiEE10hipError_tPvRmT2_T3_T4_T5_mT6_T7_P12ihipStream_tbENKUlT_T0_E_clISt17integral_constantIbLb0EESY_IbLb1EEEEDaSU_SV_EUlSU_E_NS1_11comp_targetILNS1_3genE0ELNS1_11target_archE4294967295ELNS1_3gpuE0ELNS1_3repE0EEENS1_30default_config_static_selectorELNS0_4arch9wavefront6targetE1EEEvT1_,comdat
	.protected	_ZN7rocprim17ROCPRIM_400000_NS6detail17trampoline_kernelINS0_14default_configENS1_27scan_by_key_config_selectorIiiEEZZNS1_16scan_by_key_implILNS1_25lookback_scan_determinismE0ELb0ES3_N6thrust23THRUST_200600_302600_NS6detail15normal_iteratorINS9_10device_ptrIiEEEESE_SE_iNS9_4plusIvEENS9_8equal_toIiEEiEE10hipError_tPvRmT2_T3_T4_T5_mT6_T7_P12ihipStream_tbENKUlT_T0_E_clISt17integral_constantIbLb0EESY_IbLb1EEEEDaSU_SV_EUlSU_E_NS1_11comp_targetILNS1_3genE0ELNS1_11target_archE4294967295ELNS1_3gpuE0ELNS1_3repE0EEENS1_30default_config_static_selectorELNS0_4arch9wavefront6targetE1EEEvT1_ ; -- Begin function _ZN7rocprim17ROCPRIM_400000_NS6detail17trampoline_kernelINS0_14default_configENS1_27scan_by_key_config_selectorIiiEEZZNS1_16scan_by_key_implILNS1_25lookback_scan_determinismE0ELb0ES3_N6thrust23THRUST_200600_302600_NS6detail15normal_iteratorINS9_10device_ptrIiEEEESE_SE_iNS9_4plusIvEENS9_8equal_toIiEEiEE10hipError_tPvRmT2_T3_T4_T5_mT6_T7_P12ihipStream_tbENKUlT_T0_E_clISt17integral_constantIbLb0EESY_IbLb1EEEEDaSU_SV_EUlSU_E_NS1_11comp_targetILNS1_3genE0ELNS1_11target_archE4294967295ELNS1_3gpuE0ELNS1_3repE0EEENS1_30default_config_static_selectorELNS0_4arch9wavefront6targetE1EEEvT1_
	.globl	_ZN7rocprim17ROCPRIM_400000_NS6detail17trampoline_kernelINS0_14default_configENS1_27scan_by_key_config_selectorIiiEEZZNS1_16scan_by_key_implILNS1_25lookback_scan_determinismE0ELb0ES3_N6thrust23THRUST_200600_302600_NS6detail15normal_iteratorINS9_10device_ptrIiEEEESE_SE_iNS9_4plusIvEENS9_8equal_toIiEEiEE10hipError_tPvRmT2_T3_T4_T5_mT6_T7_P12ihipStream_tbENKUlT_T0_E_clISt17integral_constantIbLb0EESY_IbLb1EEEEDaSU_SV_EUlSU_E_NS1_11comp_targetILNS1_3genE0ELNS1_11target_archE4294967295ELNS1_3gpuE0ELNS1_3repE0EEENS1_30default_config_static_selectorELNS0_4arch9wavefront6targetE1EEEvT1_
	.p2align	8
	.type	_ZN7rocprim17ROCPRIM_400000_NS6detail17trampoline_kernelINS0_14default_configENS1_27scan_by_key_config_selectorIiiEEZZNS1_16scan_by_key_implILNS1_25lookback_scan_determinismE0ELb0ES3_N6thrust23THRUST_200600_302600_NS6detail15normal_iteratorINS9_10device_ptrIiEEEESE_SE_iNS9_4plusIvEENS9_8equal_toIiEEiEE10hipError_tPvRmT2_T3_T4_T5_mT6_T7_P12ihipStream_tbENKUlT_T0_E_clISt17integral_constantIbLb0EESY_IbLb1EEEEDaSU_SV_EUlSU_E_NS1_11comp_targetILNS1_3genE0ELNS1_11target_archE4294967295ELNS1_3gpuE0ELNS1_3repE0EEENS1_30default_config_static_selectorELNS0_4arch9wavefront6targetE1EEEvT1_,@function
_ZN7rocprim17ROCPRIM_400000_NS6detail17trampoline_kernelINS0_14default_configENS1_27scan_by_key_config_selectorIiiEEZZNS1_16scan_by_key_implILNS1_25lookback_scan_determinismE0ELb0ES3_N6thrust23THRUST_200600_302600_NS6detail15normal_iteratorINS9_10device_ptrIiEEEESE_SE_iNS9_4plusIvEENS9_8equal_toIiEEiEE10hipError_tPvRmT2_T3_T4_T5_mT6_T7_P12ihipStream_tbENKUlT_T0_E_clISt17integral_constantIbLb0EESY_IbLb1EEEEDaSU_SV_EUlSU_E_NS1_11comp_targetILNS1_3genE0ELNS1_11target_archE4294967295ELNS1_3gpuE0ELNS1_3repE0EEENS1_30default_config_static_selectorELNS0_4arch9wavefront6targetE1EEEvT1_: ; @_ZN7rocprim17ROCPRIM_400000_NS6detail17trampoline_kernelINS0_14default_configENS1_27scan_by_key_config_selectorIiiEEZZNS1_16scan_by_key_implILNS1_25lookback_scan_determinismE0ELb0ES3_N6thrust23THRUST_200600_302600_NS6detail15normal_iteratorINS9_10device_ptrIiEEEESE_SE_iNS9_4plusIvEENS9_8equal_toIiEEiEE10hipError_tPvRmT2_T3_T4_T5_mT6_T7_P12ihipStream_tbENKUlT_T0_E_clISt17integral_constantIbLb0EESY_IbLb1EEEEDaSU_SV_EUlSU_E_NS1_11comp_targetILNS1_3genE0ELNS1_11target_archE4294967295ELNS1_3gpuE0ELNS1_3repE0EEENS1_30default_config_static_selectorELNS0_4arch9wavefront6targetE1EEEvT1_
; %bb.0:
	.section	.rodata,"a",@progbits
	.p2align	6, 0x0
	.amdhsa_kernel _ZN7rocprim17ROCPRIM_400000_NS6detail17trampoline_kernelINS0_14default_configENS1_27scan_by_key_config_selectorIiiEEZZNS1_16scan_by_key_implILNS1_25lookback_scan_determinismE0ELb0ES3_N6thrust23THRUST_200600_302600_NS6detail15normal_iteratorINS9_10device_ptrIiEEEESE_SE_iNS9_4plusIvEENS9_8equal_toIiEEiEE10hipError_tPvRmT2_T3_T4_T5_mT6_T7_P12ihipStream_tbENKUlT_T0_E_clISt17integral_constantIbLb0EESY_IbLb1EEEEDaSU_SV_EUlSU_E_NS1_11comp_targetILNS1_3genE0ELNS1_11target_archE4294967295ELNS1_3gpuE0ELNS1_3repE0EEENS1_30default_config_static_selectorELNS0_4arch9wavefront6targetE1EEEvT1_
		.amdhsa_group_segment_fixed_size 0
		.amdhsa_private_segment_fixed_size 0
		.amdhsa_kernarg_size 112
		.amdhsa_user_sgpr_count 2
		.amdhsa_user_sgpr_dispatch_ptr 0
		.amdhsa_user_sgpr_queue_ptr 0
		.amdhsa_user_sgpr_kernarg_segment_ptr 1
		.amdhsa_user_sgpr_dispatch_id 0
		.amdhsa_user_sgpr_kernarg_preload_length 0
		.amdhsa_user_sgpr_kernarg_preload_offset 0
		.amdhsa_user_sgpr_private_segment_size 0
		.amdhsa_uses_dynamic_stack 0
		.amdhsa_enable_private_segment 0
		.amdhsa_system_sgpr_workgroup_id_x 1
		.amdhsa_system_sgpr_workgroup_id_y 0
		.amdhsa_system_sgpr_workgroup_id_z 0
		.amdhsa_system_sgpr_workgroup_info 0
		.amdhsa_system_vgpr_workitem_id 0
		.amdhsa_next_free_vgpr 1
		.amdhsa_next_free_sgpr 0
		.amdhsa_accum_offset 4
		.amdhsa_reserve_vcc 0
		.amdhsa_float_round_mode_32 0
		.amdhsa_float_round_mode_16_64 0
		.amdhsa_float_denorm_mode_32 3
		.amdhsa_float_denorm_mode_16_64 3
		.amdhsa_dx10_clamp 1
		.amdhsa_ieee_mode 1
		.amdhsa_fp16_overflow 0
		.amdhsa_tg_split 0
		.amdhsa_exception_fp_ieee_invalid_op 0
		.amdhsa_exception_fp_denorm_src 0
		.amdhsa_exception_fp_ieee_div_zero 0
		.amdhsa_exception_fp_ieee_overflow 0
		.amdhsa_exception_fp_ieee_underflow 0
		.amdhsa_exception_fp_ieee_inexact 0
		.amdhsa_exception_int_div_zero 0
	.end_amdhsa_kernel
	.section	.text._ZN7rocprim17ROCPRIM_400000_NS6detail17trampoline_kernelINS0_14default_configENS1_27scan_by_key_config_selectorIiiEEZZNS1_16scan_by_key_implILNS1_25lookback_scan_determinismE0ELb0ES3_N6thrust23THRUST_200600_302600_NS6detail15normal_iteratorINS9_10device_ptrIiEEEESE_SE_iNS9_4plusIvEENS9_8equal_toIiEEiEE10hipError_tPvRmT2_T3_T4_T5_mT6_T7_P12ihipStream_tbENKUlT_T0_E_clISt17integral_constantIbLb0EESY_IbLb1EEEEDaSU_SV_EUlSU_E_NS1_11comp_targetILNS1_3genE0ELNS1_11target_archE4294967295ELNS1_3gpuE0ELNS1_3repE0EEENS1_30default_config_static_selectorELNS0_4arch9wavefront6targetE1EEEvT1_,"axG",@progbits,_ZN7rocprim17ROCPRIM_400000_NS6detail17trampoline_kernelINS0_14default_configENS1_27scan_by_key_config_selectorIiiEEZZNS1_16scan_by_key_implILNS1_25lookback_scan_determinismE0ELb0ES3_N6thrust23THRUST_200600_302600_NS6detail15normal_iteratorINS9_10device_ptrIiEEEESE_SE_iNS9_4plusIvEENS9_8equal_toIiEEiEE10hipError_tPvRmT2_T3_T4_T5_mT6_T7_P12ihipStream_tbENKUlT_T0_E_clISt17integral_constantIbLb0EESY_IbLb1EEEEDaSU_SV_EUlSU_E_NS1_11comp_targetILNS1_3genE0ELNS1_11target_archE4294967295ELNS1_3gpuE0ELNS1_3repE0EEENS1_30default_config_static_selectorELNS0_4arch9wavefront6targetE1EEEvT1_,comdat
.Lfunc_end227:
	.size	_ZN7rocprim17ROCPRIM_400000_NS6detail17trampoline_kernelINS0_14default_configENS1_27scan_by_key_config_selectorIiiEEZZNS1_16scan_by_key_implILNS1_25lookback_scan_determinismE0ELb0ES3_N6thrust23THRUST_200600_302600_NS6detail15normal_iteratorINS9_10device_ptrIiEEEESE_SE_iNS9_4plusIvEENS9_8equal_toIiEEiEE10hipError_tPvRmT2_T3_T4_T5_mT6_T7_P12ihipStream_tbENKUlT_T0_E_clISt17integral_constantIbLb0EESY_IbLb1EEEEDaSU_SV_EUlSU_E_NS1_11comp_targetILNS1_3genE0ELNS1_11target_archE4294967295ELNS1_3gpuE0ELNS1_3repE0EEENS1_30default_config_static_selectorELNS0_4arch9wavefront6targetE1EEEvT1_, .Lfunc_end227-_ZN7rocprim17ROCPRIM_400000_NS6detail17trampoline_kernelINS0_14default_configENS1_27scan_by_key_config_selectorIiiEEZZNS1_16scan_by_key_implILNS1_25lookback_scan_determinismE0ELb0ES3_N6thrust23THRUST_200600_302600_NS6detail15normal_iteratorINS9_10device_ptrIiEEEESE_SE_iNS9_4plusIvEENS9_8equal_toIiEEiEE10hipError_tPvRmT2_T3_T4_T5_mT6_T7_P12ihipStream_tbENKUlT_T0_E_clISt17integral_constantIbLb0EESY_IbLb1EEEEDaSU_SV_EUlSU_E_NS1_11comp_targetILNS1_3genE0ELNS1_11target_archE4294967295ELNS1_3gpuE0ELNS1_3repE0EEENS1_30default_config_static_selectorELNS0_4arch9wavefront6targetE1EEEvT1_
                                        ; -- End function
	.section	.AMDGPU.csdata,"",@progbits
; Kernel info:
; codeLenInByte = 0
; NumSgprs: 6
; NumVgprs: 0
; NumAgprs: 0
; TotalNumVgprs: 0
; ScratchSize: 0
; MemoryBound: 0
; FloatMode: 240
; IeeeMode: 1
; LDSByteSize: 0 bytes/workgroup (compile time only)
; SGPRBlocks: 0
; VGPRBlocks: 0
; NumSGPRsForWavesPerEU: 6
; NumVGPRsForWavesPerEU: 1
; AccumOffset: 4
; Occupancy: 8
; WaveLimiterHint : 0
; COMPUTE_PGM_RSRC2:SCRATCH_EN: 0
; COMPUTE_PGM_RSRC2:USER_SGPR: 2
; COMPUTE_PGM_RSRC2:TRAP_HANDLER: 0
; COMPUTE_PGM_RSRC2:TGID_X_EN: 1
; COMPUTE_PGM_RSRC2:TGID_Y_EN: 0
; COMPUTE_PGM_RSRC2:TGID_Z_EN: 0
; COMPUTE_PGM_RSRC2:TIDIG_COMP_CNT: 0
; COMPUTE_PGM_RSRC3_GFX90A:ACCUM_OFFSET: 0
; COMPUTE_PGM_RSRC3_GFX90A:TG_SPLIT: 0
	.section	.text._ZN7rocprim17ROCPRIM_400000_NS6detail17trampoline_kernelINS0_14default_configENS1_27scan_by_key_config_selectorIiiEEZZNS1_16scan_by_key_implILNS1_25lookback_scan_determinismE0ELb0ES3_N6thrust23THRUST_200600_302600_NS6detail15normal_iteratorINS9_10device_ptrIiEEEESE_SE_iNS9_4plusIvEENS9_8equal_toIiEEiEE10hipError_tPvRmT2_T3_T4_T5_mT6_T7_P12ihipStream_tbENKUlT_T0_E_clISt17integral_constantIbLb0EESY_IbLb1EEEEDaSU_SV_EUlSU_E_NS1_11comp_targetILNS1_3genE10ELNS1_11target_archE1201ELNS1_3gpuE5ELNS1_3repE0EEENS1_30default_config_static_selectorELNS0_4arch9wavefront6targetE1EEEvT1_,"axG",@progbits,_ZN7rocprim17ROCPRIM_400000_NS6detail17trampoline_kernelINS0_14default_configENS1_27scan_by_key_config_selectorIiiEEZZNS1_16scan_by_key_implILNS1_25lookback_scan_determinismE0ELb0ES3_N6thrust23THRUST_200600_302600_NS6detail15normal_iteratorINS9_10device_ptrIiEEEESE_SE_iNS9_4plusIvEENS9_8equal_toIiEEiEE10hipError_tPvRmT2_T3_T4_T5_mT6_T7_P12ihipStream_tbENKUlT_T0_E_clISt17integral_constantIbLb0EESY_IbLb1EEEEDaSU_SV_EUlSU_E_NS1_11comp_targetILNS1_3genE10ELNS1_11target_archE1201ELNS1_3gpuE5ELNS1_3repE0EEENS1_30default_config_static_selectorELNS0_4arch9wavefront6targetE1EEEvT1_,comdat
	.protected	_ZN7rocprim17ROCPRIM_400000_NS6detail17trampoline_kernelINS0_14default_configENS1_27scan_by_key_config_selectorIiiEEZZNS1_16scan_by_key_implILNS1_25lookback_scan_determinismE0ELb0ES3_N6thrust23THRUST_200600_302600_NS6detail15normal_iteratorINS9_10device_ptrIiEEEESE_SE_iNS9_4plusIvEENS9_8equal_toIiEEiEE10hipError_tPvRmT2_T3_T4_T5_mT6_T7_P12ihipStream_tbENKUlT_T0_E_clISt17integral_constantIbLb0EESY_IbLb1EEEEDaSU_SV_EUlSU_E_NS1_11comp_targetILNS1_3genE10ELNS1_11target_archE1201ELNS1_3gpuE5ELNS1_3repE0EEENS1_30default_config_static_selectorELNS0_4arch9wavefront6targetE1EEEvT1_ ; -- Begin function _ZN7rocprim17ROCPRIM_400000_NS6detail17trampoline_kernelINS0_14default_configENS1_27scan_by_key_config_selectorIiiEEZZNS1_16scan_by_key_implILNS1_25lookback_scan_determinismE0ELb0ES3_N6thrust23THRUST_200600_302600_NS6detail15normal_iteratorINS9_10device_ptrIiEEEESE_SE_iNS9_4plusIvEENS9_8equal_toIiEEiEE10hipError_tPvRmT2_T3_T4_T5_mT6_T7_P12ihipStream_tbENKUlT_T0_E_clISt17integral_constantIbLb0EESY_IbLb1EEEEDaSU_SV_EUlSU_E_NS1_11comp_targetILNS1_3genE10ELNS1_11target_archE1201ELNS1_3gpuE5ELNS1_3repE0EEENS1_30default_config_static_selectorELNS0_4arch9wavefront6targetE1EEEvT1_
	.globl	_ZN7rocprim17ROCPRIM_400000_NS6detail17trampoline_kernelINS0_14default_configENS1_27scan_by_key_config_selectorIiiEEZZNS1_16scan_by_key_implILNS1_25lookback_scan_determinismE0ELb0ES3_N6thrust23THRUST_200600_302600_NS6detail15normal_iteratorINS9_10device_ptrIiEEEESE_SE_iNS9_4plusIvEENS9_8equal_toIiEEiEE10hipError_tPvRmT2_T3_T4_T5_mT6_T7_P12ihipStream_tbENKUlT_T0_E_clISt17integral_constantIbLb0EESY_IbLb1EEEEDaSU_SV_EUlSU_E_NS1_11comp_targetILNS1_3genE10ELNS1_11target_archE1201ELNS1_3gpuE5ELNS1_3repE0EEENS1_30default_config_static_selectorELNS0_4arch9wavefront6targetE1EEEvT1_
	.p2align	8
	.type	_ZN7rocprim17ROCPRIM_400000_NS6detail17trampoline_kernelINS0_14default_configENS1_27scan_by_key_config_selectorIiiEEZZNS1_16scan_by_key_implILNS1_25lookback_scan_determinismE0ELb0ES3_N6thrust23THRUST_200600_302600_NS6detail15normal_iteratorINS9_10device_ptrIiEEEESE_SE_iNS9_4plusIvEENS9_8equal_toIiEEiEE10hipError_tPvRmT2_T3_T4_T5_mT6_T7_P12ihipStream_tbENKUlT_T0_E_clISt17integral_constantIbLb0EESY_IbLb1EEEEDaSU_SV_EUlSU_E_NS1_11comp_targetILNS1_3genE10ELNS1_11target_archE1201ELNS1_3gpuE5ELNS1_3repE0EEENS1_30default_config_static_selectorELNS0_4arch9wavefront6targetE1EEEvT1_,@function
_ZN7rocprim17ROCPRIM_400000_NS6detail17trampoline_kernelINS0_14default_configENS1_27scan_by_key_config_selectorIiiEEZZNS1_16scan_by_key_implILNS1_25lookback_scan_determinismE0ELb0ES3_N6thrust23THRUST_200600_302600_NS6detail15normal_iteratorINS9_10device_ptrIiEEEESE_SE_iNS9_4plusIvEENS9_8equal_toIiEEiEE10hipError_tPvRmT2_T3_T4_T5_mT6_T7_P12ihipStream_tbENKUlT_T0_E_clISt17integral_constantIbLb0EESY_IbLb1EEEEDaSU_SV_EUlSU_E_NS1_11comp_targetILNS1_3genE10ELNS1_11target_archE1201ELNS1_3gpuE5ELNS1_3repE0EEENS1_30default_config_static_selectorELNS0_4arch9wavefront6targetE1EEEvT1_: ; @_ZN7rocprim17ROCPRIM_400000_NS6detail17trampoline_kernelINS0_14default_configENS1_27scan_by_key_config_selectorIiiEEZZNS1_16scan_by_key_implILNS1_25lookback_scan_determinismE0ELb0ES3_N6thrust23THRUST_200600_302600_NS6detail15normal_iteratorINS9_10device_ptrIiEEEESE_SE_iNS9_4plusIvEENS9_8equal_toIiEEiEE10hipError_tPvRmT2_T3_T4_T5_mT6_T7_P12ihipStream_tbENKUlT_T0_E_clISt17integral_constantIbLb0EESY_IbLb1EEEEDaSU_SV_EUlSU_E_NS1_11comp_targetILNS1_3genE10ELNS1_11target_archE1201ELNS1_3gpuE5ELNS1_3repE0EEENS1_30default_config_static_selectorELNS0_4arch9wavefront6targetE1EEEvT1_
; %bb.0:
	.section	.rodata,"a",@progbits
	.p2align	6, 0x0
	.amdhsa_kernel _ZN7rocprim17ROCPRIM_400000_NS6detail17trampoline_kernelINS0_14default_configENS1_27scan_by_key_config_selectorIiiEEZZNS1_16scan_by_key_implILNS1_25lookback_scan_determinismE0ELb0ES3_N6thrust23THRUST_200600_302600_NS6detail15normal_iteratorINS9_10device_ptrIiEEEESE_SE_iNS9_4plusIvEENS9_8equal_toIiEEiEE10hipError_tPvRmT2_T3_T4_T5_mT6_T7_P12ihipStream_tbENKUlT_T0_E_clISt17integral_constantIbLb0EESY_IbLb1EEEEDaSU_SV_EUlSU_E_NS1_11comp_targetILNS1_3genE10ELNS1_11target_archE1201ELNS1_3gpuE5ELNS1_3repE0EEENS1_30default_config_static_selectorELNS0_4arch9wavefront6targetE1EEEvT1_
		.amdhsa_group_segment_fixed_size 0
		.amdhsa_private_segment_fixed_size 0
		.amdhsa_kernarg_size 112
		.amdhsa_user_sgpr_count 2
		.amdhsa_user_sgpr_dispatch_ptr 0
		.amdhsa_user_sgpr_queue_ptr 0
		.amdhsa_user_sgpr_kernarg_segment_ptr 1
		.amdhsa_user_sgpr_dispatch_id 0
		.amdhsa_user_sgpr_kernarg_preload_length 0
		.amdhsa_user_sgpr_kernarg_preload_offset 0
		.amdhsa_user_sgpr_private_segment_size 0
		.amdhsa_uses_dynamic_stack 0
		.amdhsa_enable_private_segment 0
		.amdhsa_system_sgpr_workgroup_id_x 1
		.amdhsa_system_sgpr_workgroup_id_y 0
		.amdhsa_system_sgpr_workgroup_id_z 0
		.amdhsa_system_sgpr_workgroup_info 0
		.amdhsa_system_vgpr_workitem_id 0
		.amdhsa_next_free_vgpr 1
		.amdhsa_next_free_sgpr 0
		.amdhsa_accum_offset 4
		.amdhsa_reserve_vcc 0
		.amdhsa_float_round_mode_32 0
		.amdhsa_float_round_mode_16_64 0
		.amdhsa_float_denorm_mode_32 3
		.amdhsa_float_denorm_mode_16_64 3
		.amdhsa_dx10_clamp 1
		.amdhsa_ieee_mode 1
		.amdhsa_fp16_overflow 0
		.amdhsa_tg_split 0
		.amdhsa_exception_fp_ieee_invalid_op 0
		.amdhsa_exception_fp_denorm_src 0
		.amdhsa_exception_fp_ieee_div_zero 0
		.amdhsa_exception_fp_ieee_overflow 0
		.amdhsa_exception_fp_ieee_underflow 0
		.amdhsa_exception_fp_ieee_inexact 0
		.amdhsa_exception_int_div_zero 0
	.end_amdhsa_kernel
	.section	.text._ZN7rocprim17ROCPRIM_400000_NS6detail17trampoline_kernelINS0_14default_configENS1_27scan_by_key_config_selectorIiiEEZZNS1_16scan_by_key_implILNS1_25lookback_scan_determinismE0ELb0ES3_N6thrust23THRUST_200600_302600_NS6detail15normal_iteratorINS9_10device_ptrIiEEEESE_SE_iNS9_4plusIvEENS9_8equal_toIiEEiEE10hipError_tPvRmT2_T3_T4_T5_mT6_T7_P12ihipStream_tbENKUlT_T0_E_clISt17integral_constantIbLb0EESY_IbLb1EEEEDaSU_SV_EUlSU_E_NS1_11comp_targetILNS1_3genE10ELNS1_11target_archE1201ELNS1_3gpuE5ELNS1_3repE0EEENS1_30default_config_static_selectorELNS0_4arch9wavefront6targetE1EEEvT1_,"axG",@progbits,_ZN7rocprim17ROCPRIM_400000_NS6detail17trampoline_kernelINS0_14default_configENS1_27scan_by_key_config_selectorIiiEEZZNS1_16scan_by_key_implILNS1_25lookback_scan_determinismE0ELb0ES3_N6thrust23THRUST_200600_302600_NS6detail15normal_iteratorINS9_10device_ptrIiEEEESE_SE_iNS9_4plusIvEENS9_8equal_toIiEEiEE10hipError_tPvRmT2_T3_T4_T5_mT6_T7_P12ihipStream_tbENKUlT_T0_E_clISt17integral_constantIbLb0EESY_IbLb1EEEEDaSU_SV_EUlSU_E_NS1_11comp_targetILNS1_3genE10ELNS1_11target_archE1201ELNS1_3gpuE5ELNS1_3repE0EEENS1_30default_config_static_selectorELNS0_4arch9wavefront6targetE1EEEvT1_,comdat
.Lfunc_end228:
	.size	_ZN7rocprim17ROCPRIM_400000_NS6detail17trampoline_kernelINS0_14default_configENS1_27scan_by_key_config_selectorIiiEEZZNS1_16scan_by_key_implILNS1_25lookback_scan_determinismE0ELb0ES3_N6thrust23THRUST_200600_302600_NS6detail15normal_iteratorINS9_10device_ptrIiEEEESE_SE_iNS9_4plusIvEENS9_8equal_toIiEEiEE10hipError_tPvRmT2_T3_T4_T5_mT6_T7_P12ihipStream_tbENKUlT_T0_E_clISt17integral_constantIbLb0EESY_IbLb1EEEEDaSU_SV_EUlSU_E_NS1_11comp_targetILNS1_3genE10ELNS1_11target_archE1201ELNS1_3gpuE5ELNS1_3repE0EEENS1_30default_config_static_selectorELNS0_4arch9wavefront6targetE1EEEvT1_, .Lfunc_end228-_ZN7rocprim17ROCPRIM_400000_NS6detail17trampoline_kernelINS0_14default_configENS1_27scan_by_key_config_selectorIiiEEZZNS1_16scan_by_key_implILNS1_25lookback_scan_determinismE0ELb0ES3_N6thrust23THRUST_200600_302600_NS6detail15normal_iteratorINS9_10device_ptrIiEEEESE_SE_iNS9_4plusIvEENS9_8equal_toIiEEiEE10hipError_tPvRmT2_T3_T4_T5_mT6_T7_P12ihipStream_tbENKUlT_T0_E_clISt17integral_constantIbLb0EESY_IbLb1EEEEDaSU_SV_EUlSU_E_NS1_11comp_targetILNS1_3genE10ELNS1_11target_archE1201ELNS1_3gpuE5ELNS1_3repE0EEENS1_30default_config_static_selectorELNS0_4arch9wavefront6targetE1EEEvT1_
                                        ; -- End function
	.section	.AMDGPU.csdata,"",@progbits
; Kernel info:
; codeLenInByte = 0
; NumSgprs: 6
; NumVgprs: 0
; NumAgprs: 0
; TotalNumVgprs: 0
; ScratchSize: 0
; MemoryBound: 0
; FloatMode: 240
; IeeeMode: 1
; LDSByteSize: 0 bytes/workgroup (compile time only)
; SGPRBlocks: 0
; VGPRBlocks: 0
; NumSGPRsForWavesPerEU: 6
; NumVGPRsForWavesPerEU: 1
; AccumOffset: 4
; Occupancy: 8
; WaveLimiterHint : 0
; COMPUTE_PGM_RSRC2:SCRATCH_EN: 0
; COMPUTE_PGM_RSRC2:USER_SGPR: 2
; COMPUTE_PGM_RSRC2:TRAP_HANDLER: 0
; COMPUTE_PGM_RSRC2:TGID_X_EN: 1
; COMPUTE_PGM_RSRC2:TGID_Y_EN: 0
; COMPUTE_PGM_RSRC2:TGID_Z_EN: 0
; COMPUTE_PGM_RSRC2:TIDIG_COMP_CNT: 0
; COMPUTE_PGM_RSRC3_GFX90A:ACCUM_OFFSET: 0
; COMPUTE_PGM_RSRC3_GFX90A:TG_SPLIT: 0
	.section	.text._ZN7rocprim17ROCPRIM_400000_NS6detail17trampoline_kernelINS0_14default_configENS1_27scan_by_key_config_selectorIiiEEZZNS1_16scan_by_key_implILNS1_25lookback_scan_determinismE0ELb0ES3_N6thrust23THRUST_200600_302600_NS6detail15normal_iteratorINS9_10device_ptrIiEEEESE_SE_iNS9_4plusIvEENS9_8equal_toIiEEiEE10hipError_tPvRmT2_T3_T4_T5_mT6_T7_P12ihipStream_tbENKUlT_T0_E_clISt17integral_constantIbLb0EESY_IbLb1EEEEDaSU_SV_EUlSU_E_NS1_11comp_targetILNS1_3genE5ELNS1_11target_archE942ELNS1_3gpuE9ELNS1_3repE0EEENS1_30default_config_static_selectorELNS0_4arch9wavefront6targetE1EEEvT1_,"axG",@progbits,_ZN7rocprim17ROCPRIM_400000_NS6detail17trampoline_kernelINS0_14default_configENS1_27scan_by_key_config_selectorIiiEEZZNS1_16scan_by_key_implILNS1_25lookback_scan_determinismE0ELb0ES3_N6thrust23THRUST_200600_302600_NS6detail15normal_iteratorINS9_10device_ptrIiEEEESE_SE_iNS9_4plusIvEENS9_8equal_toIiEEiEE10hipError_tPvRmT2_T3_T4_T5_mT6_T7_P12ihipStream_tbENKUlT_T0_E_clISt17integral_constantIbLb0EESY_IbLb1EEEEDaSU_SV_EUlSU_E_NS1_11comp_targetILNS1_3genE5ELNS1_11target_archE942ELNS1_3gpuE9ELNS1_3repE0EEENS1_30default_config_static_selectorELNS0_4arch9wavefront6targetE1EEEvT1_,comdat
	.protected	_ZN7rocprim17ROCPRIM_400000_NS6detail17trampoline_kernelINS0_14default_configENS1_27scan_by_key_config_selectorIiiEEZZNS1_16scan_by_key_implILNS1_25lookback_scan_determinismE0ELb0ES3_N6thrust23THRUST_200600_302600_NS6detail15normal_iteratorINS9_10device_ptrIiEEEESE_SE_iNS9_4plusIvEENS9_8equal_toIiEEiEE10hipError_tPvRmT2_T3_T4_T5_mT6_T7_P12ihipStream_tbENKUlT_T0_E_clISt17integral_constantIbLb0EESY_IbLb1EEEEDaSU_SV_EUlSU_E_NS1_11comp_targetILNS1_3genE5ELNS1_11target_archE942ELNS1_3gpuE9ELNS1_3repE0EEENS1_30default_config_static_selectorELNS0_4arch9wavefront6targetE1EEEvT1_ ; -- Begin function _ZN7rocprim17ROCPRIM_400000_NS6detail17trampoline_kernelINS0_14default_configENS1_27scan_by_key_config_selectorIiiEEZZNS1_16scan_by_key_implILNS1_25lookback_scan_determinismE0ELb0ES3_N6thrust23THRUST_200600_302600_NS6detail15normal_iteratorINS9_10device_ptrIiEEEESE_SE_iNS9_4plusIvEENS9_8equal_toIiEEiEE10hipError_tPvRmT2_T3_T4_T5_mT6_T7_P12ihipStream_tbENKUlT_T0_E_clISt17integral_constantIbLb0EESY_IbLb1EEEEDaSU_SV_EUlSU_E_NS1_11comp_targetILNS1_3genE5ELNS1_11target_archE942ELNS1_3gpuE9ELNS1_3repE0EEENS1_30default_config_static_selectorELNS0_4arch9wavefront6targetE1EEEvT1_
	.globl	_ZN7rocprim17ROCPRIM_400000_NS6detail17trampoline_kernelINS0_14default_configENS1_27scan_by_key_config_selectorIiiEEZZNS1_16scan_by_key_implILNS1_25lookback_scan_determinismE0ELb0ES3_N6thrust23THRUST_200600_302600_NS6detail15normal_iteratorINS9_10device_ptrIiEEEESE_SE_iNS9_4plusIvEENS9_8equal_toIiEEiEE10hipError_tPvRmT2_T3_T4_T5_mT6_T7_P12ihipStream_tbENKUlT_T0_E_clISt17integral_constantIbLb0EESY_IbLb1EEEEDaSU_SV_EUlSU_E_NS1_11comp_targetILNS1_3genE5ELNS1_11target_archE942ELNS1_3gpuE9ELNS1_3repE0EEENS1_30default_config_static_selectorELNS0_4arch9wavefront6targetE1EEEvT1_
	.p2align	8
	.type	_ZN7rocprim17ROCPRIM_400000_NS6detail17trampoline_kernelINS0_14default_configENS1_27scan_by_key_config_selectorIiiEEZZNS1_16scan_by_key_implILNS1_25lookback_scan_determinismE0ELb0ES3_N6thrust23THRUST_200600_302600_NS6detail15normal_iteratorINS9_10device_ptrIiEEEESE_SE_iNS9_4plusIvEENS9_8equal_toIiEEiEE10hipError_tPvRmT2_T3_T4_T5_mT6_T7_P12ihipStream_tbENKUlT_T0_E_clISt17integral_constantIbLb0EESY_IbLb1EEEEDaSU_SV_EUlSU_E_NS1_11comp_targetILNS1_3genE5ELNS1_11target_archE942ELNS1_3gpuE9ELNS1_3repE0EEENS1_30default_config_static_selectorELNS0_4arch9wavefront6targetE1EEEvT1_,@function
_ZN7rocprim17ROCPRIM_400000_NS6detail17trampoline_kernelINS0_14default_configENS1_27scan_by_key_config_selectorIiiEEZZNS1_16scan_by_key_implILNS1_25lookback_scan_determinismE0ELb0ES3_N6thrust23THRUST_200600_302600_NS6detail15normal_iteratorINS9_10device_ptrIiEEEESE_SE_iNS9_4plusIvEENS9_8equal_toIiEEiEE10hipError_tPvRmT2_T3_T4_T5_mT6_T7_P12ihipStream_tbENKUlT_T0_E_clISt17integral_constantIbLb0EESY_IbLb1EEEEDaSU_SV_EUlSU_E_NS1_11comp_targetILNS1_3genE5ELNS1_11target_archE942ELNS1_3gpuE9ELNS1_3repE0EEENS1_30default_config_static_selectorELNS0_4arch9wavefront6targetE1EEEvT1_: ; @_ZN7rocprim17ROCPRIM_400000_NS6detail17trampoline_kernelINS0_14default_configENS1_27scan_by_key_config_selectorIiiEEZZNS1_16scan_by_key_implILNS1_25lookback_scan_determinismE0ELb0ES3_N6thrust23THRUST_200600_302600_NS6detail15normal_iteratorINS9_10device_ptrIiEEEESE_SE_iNS9_4plusIvEENS9_8equal_toIiEEiEE10hipError_tPvRmT2_T3_T4_T5_mT6_T7_P12ihipStream_tbENKUlT_T0_E_clISt17integral_constantIbLb0EESY_IbLb1EEEEDaSU_SV_EUlSU_E_NS1_11comp_targetILNS1_3genE5ELNS1_11target_archE942ELNS1_3gpuE9ELNS1_3repE0EEENS1_30default_config_static_selectorELNS0_4arch9wavefront6targetE1EEEvT1_
; %bb.0:
	s_load_dwordx4 s[72:75], s[0:1], 0x28
	s_load_dwordx2 s[76:77], s[0:1], 0x38
	v_cmp_ne_u32_e64 s[4:5], 0, v0
	v_cmp_eq_u32_e64 s[54:55], 0, v0
	s_and_saveexec_b64 s[2:3], s[54:55]
	s_cbranch_execz .LBB229_4
; %bb.1:
	s_mov_b64 s[8:9], exec
	v_mbcnt_lo_u32_b32 v1, s8, 0
	v_mbcnt_hi_u32_b32 v1, s9, v1
	v_cmp_eq_u32_e32 vcc, 0, v1
                                        ; implicit-def: $vgpr2
	s_and_saveexec_b64 s[6:7], vcc
	s_cbranch_execz .LBB229_3
; %bb.2:
	s_load_dwordx2 s[10:11], s[0:1], 0x68
	s_bcnt1_i32_b64 s8, s[8:9]
	v_mov_b32_e32 v2, 0
	v_mov_b32_e32 v3, s8
	s_waitcnt lgkmcnt(0)
	global_atomic_add v2, v2, v3, s[10:11] sc0
.LBB229_3:
	s_or_b64 exec, exec, s[6:7]
	s_waitcnt vmcnt(0)
	v_readfirstlane_b32 s6, v2
	v_mov_b32_e32 v2, 0
	s_nop 0
	v_add_u32_e32 v1, s6, v1
	ds_write_b32 v2, v1
.LBB229_4:
	s_or_b64 exec, exec, s[2:3]
	s_load_dwordx8 s[56:63], s[0:1], 0x0
	s_load_dword s2, s[0:1], 0x40
	s_load_dwordx8 s[64:71], s[0:1], 0x48
	v_mov_b32_e32 v1, 0
	s_waitcnt lgkmcnt(0)
	s_barrier
	ds_read_b32 v1, v1
	s_lshl_b64 s[58:59], s[58:59], 2
	s_add_u32 s3, s56, s58
	s_addc_u32 s6, s57, s59
	s_add_u32 s7, s60, s58
	s_mul_i32 s0, s77, s2
	s_mul_hi_u32 s1, s76, s2
	s_addc_u32 s8, s61, s59
	s_add_i32 s9, s1, s0
	s_waitcnt lgkmcnt(0)
	v_readfirstlane_b32 s75, v1
	s_cmp_lg_u64 s[68:69], 0
	s_mov_b32 s1, 0
	s_mul_i32 s0, s75, 0x1700
	s_cselect_b64 s[78:79], -1, 0
	s_lshl_b64 s[56:57], s[0:1], 2
	s_add_u32 s68, s3, s56
	s_addc_u32 s69, s6, s57
	s_add_u32 s60, s7, s56
	s_mul_i32 s2, s76, s2
	s_addc_u32 s61, s8, s57
	s_add_u32 s80, s2, s75
	s_addc_u32 s81, s9, 0
	s_add_u32 s0, s64, -1
	s_addc_u32 s1, s65, -1
	v_mov_b64_e32 v[2:3], s[0:1]
	v_cmp_ge_u64_e64 s[2:3], s[80:81], v[2:3]
	s_mov_b64 s[10:11], 0
	s_mov_b64 s[6:7], -1
	s_and_b64 vcc, exec, s[2:3]
	s_mul_i32 s33, s0, 0xffffe900
	s_barrier
	s_barrier
	s_cbranch_vccz .LBB229_126
; %bb.5:
	v_mov_b64_e32 v[2:3], s[68:69]
	flat_load_dword v1, v[2:3]
	s_add_i32 s84, s33, s74
	v_cmp_gt_u32_e64 s[6:7], s84, v0
	s_waitcnt vmcnt(0) lgkmcnt(0)
	v_mov_b32_e32 v4, v1
	s_and_saveexec_b64 s[0:1], s[6:7]
	s_cbranch_execz .LBB229_7
; %bb.6:
	v_lshlrev_b32_e32 v2, 2, v0
	v_mov_b32_e32 v3, 0
	v_lshl_add_u64 v[2:3], s[68:69], 0, v[2:3]
	flat_load_dword v4, v[2:3]
.LBB229_7:
	s_or_b64 exec, exec, s[0:1]
	v_or_b32_e32 v2, 0x100, v0
	v_cmp_gt_u32_e64 s[8:9], s84, v2
	v_mov_b32_e32 v5, v1
	s_and_saveexec_b64 s[0:1], s[8:9]
	s_cbranch_execz .LBB229_9
; %bb.8:
	v_lshlrev_b32_e32 v2, 2, v0
	v_mov_b32_e32 v3, 0
	v_lshl_add_u64 v[2:3], s[68:69], 0, v[2:3]
	flat_load_dword v5, v[2:3] offset:1024
.LBB229_9:
	s_or_b64 exec, exec, s[0:1]
	v_or_b32_e32 v2, 0x200, v0
	v_cmp_gt_u32_e64 s[10:11], s84, v2
	v_mov_b32_e32 v6, v1
	s_and_saveexec_b64 s[0:1], s[10:11]
	s_cbranch_execz .LBB229_11
; %bb.10:
	v_lshlrev_b32_e32 v2, 2, v0
	v_mov_b32_e32 v3, 0
	v_lshl_add_u64 v[2:3], s[68:69], 0, v[2:3]
	flat_load_dword v6, v[2:3] offset:2048
.LBB229_11:
	;; [unrolled: 12-line block ×3, first 2 shown]
	s_or_b64 exec, exec, s[0:1]
	v_or_b32_e32 v2, 0x400, v0
	v_cmp_gt_u32_e64 s[14:15], s84, v2
	v_lshlrev_b32_e32 v2, 2, v2
	v_mov_b32_e32 v3, v1
	s_and_saveexec_b64 s[0:1], s[14:15]
	s_cbranch_execz .LBB229_15
; %bb.14:
	v_mov_b32_e32 v3, 0
	v_lshl_add_u64 v[8:9], s[68:69], 0, v[2:3]
	flat_load_dword v3, v[8:9]
.LBB229_15:
	s_or_b64 exec, exec, s[0:1]
	v_or_b32_e32 v8, 0x500, v0
	v_cmp_gt_u32_e64 s[16:17], s84, v8
	v_lshlrev_b32_e32 v10, 2, v8
	v_mov_b32_e32 v8, v1
	s_and_saveexec_b64 s[0:1], s[16:17]
	s_cbranch_execz .LBB229_17
; %bb.16:
	v_mov_b32_e32 v11, 0
	v_lshl_add_u64 v[8:9], s[68:69], 0, v[10:11]
	flat_load_dword v8, v[8:9]
.LBB229_17:
	;; [unrolled: 12-line block ×18, first 2 shown]
	s_or_b64 exec, exec, s[0:1]
	v_or_b32_e32 v41, 0x1600, v0
	v_cmp_gt_u32_e64 s[52:53], s84, v41
	v_lshlrev_b32_e32 v46, 2, v41
	s_and_saveexec_b64 s[0:1], s[52:53]
	s_cbranch_execz .LBB229_51
; %bb.50:
	v_mov_b32_e32 v47, 0
	v_lshl_add_u64 v[44:45], s[68:69], 0, v[46:47]
	flat_load_dword v1, v[44:45]
.LBB229_51:
	s_or_b64 exec, exec, s[0:1]
	v_lshlrev_b32_e32 v44, 2, v0
	s_movk_i32 s0, 0x58
	s_waitcnt vmcnt(0) lgkmcnt(0)
	ds_write2st64_b32 v44, v4, v5 offset1:4
	ds_write2st64_b32 v44, v6, v7 offset0:8 offset1:12
	ds_write2st64_b32 v44, v3, v8 offset0:16 offset1:20
	;; [unrolled: 1-line block ×10, first 2 shown]
	ds_write_b32 v44, v1 offset:22528
	v_mad_u32_u24 v1, v0, s0, v44
	s_waitcnt lgkmcnt(0)
	s_barrier
	ds_read2_b32 v[68:69], v1 offset1:1
	ds_read2_b32 v[66:67], v1 offset0:2 offset1:3
	ds_read2_b32 v[64:65], v1 offset0:4 offset1:5
	;; [unrolled: 1-line block ×10, first 2 shown]
	ds_read_b32 v72, v1 offset:88
	s_cmp_eq_u64 s[80:81], 0
	s_mov_b64 s[0:1], s[68:69]
	s_cbranch_scc1 .LBB229_55
; %bb.52:
	s_andn2_b64 vcc, exec, s[78:79]
	s_cbranch_vccnz .LBB229_267
; %bb.53:
	s_lshl_b64 s[0:1], s[80:81], 2
	s_add_u32 s0, s70, s0
	s_addc_u32 s1, s71, s1
	s_add_u32 s0, s0, -4
	s_addc_u32 s1, s1, -1
	s_cbranch_execnz .LBB229_55
.LBB229_54:
	s_add_u32 s0, s68, -4
	s_addc_u32 s1, s69, -1
.LBB229_55:
	v_mov_b64_e32 v[48:49], s[0:1]
	flat_load_dword v70, v[48:49]
	s_movk_i32 s0, 0xffa8
	v_mad_i32_i24 v3, v0, s0, v1
	s_waitcnt lgkmcnt(0)
	ds_write_b32 v3, v72 offset:23552
	s_waitcnt lgkmcnt(0)
	s_barrier
	s_and_saveexec_b64 s[0:1], s[4:5]
	s_cbranch_execz .LBB229_57
; %bb.56:
	v_mul_i32_i24_e32 v3, 0xffffffa8, v0
	v_add_u32_e32 v3, v1, v3
	s_waitcnt vmcnt(0)
	ds_read_b32 v70, v3 offset:23548
.LBB229_57:
	s_or_b64 exec, exec, s[0:1]
	v_mov_b32_e32 v45, 0
	s_waitcnt lgkmcnt(0)
	s_barrier
	s_waitcnt lgkmcnt(0)
                                        ; implicit-def: $vgpr48
	s_and_saveexec_b64 s[0:1], s[6:7]
	s_cbranch_execnz .LBB229_243
; %bb.58:
	s_or_b64 exec, exec, s[0:1]
                                        ; implicit-def: $vgpr49
	s_and_saveexec_b64 s[0:1], s[8:9]
	s_cbranch_execnz .LBB229_244
.LBB229_59:
	s_or_b64 exec, exec, s[0:1]
                                        ; implicit-def: $vgpr50
	s_and_saveexec_b64 s[0:1], s[10:11]
	s_cbranch_execnz .LBB229_245
.LBB229_60:
	s_or_b64 exec, exec, s[0:1]
                                        ; implicit-def: $vgpr45
	s_and_saveexec_b64 s[0:1], s[12:13]
	s_cbranch_execnz .LBB229_246
.LBB229_61:
	s_or_b64 exec, exec, s[0:1]
                                        ; implicit-def: $vgpr3
	s_and_saveexec_b64 s[0:1], s[14:15]
	s_cbranch_execnz .LBB229_247
.LBB229_62:
	s_or_b64 exec, exec, s[0:1]
                                        ; implicit-def: $vgpr2
	s_and_saveexec_b64 s[0:1], s[16:17]
	s_cbranch_execnz .LBB229_248
.LBB229_63:
	s_or_b64 exec, exec, s[0:1]
                                        ; implicit-def: $vgpr10
	s_and_saveexec_b64 s[0:1], s[18:19]
	s_cbranch_execnz .LBB229_249
.LBB229_64:
	s_or_b64 exec, exec, s[0:1]
                                        ; implicit-def: $vgpr11
	s_and_saveexec_b64 s[0:1], s[20:21]
	s_cbranch_execnz .LBB229_250
.LBB229_65:
	s_or_b64 exec, exec, s[0:1]
                                        ; implicit-def: $vgpr12
	s_and_saveexec_b64 s[0:1], s[22:23]
	s_cbranch_execnz .LBB229_251
.LBB229_66:
	s_or_b64 exec, exec, s[0:1]
                                        ; implicit-def: $vgpr13
	s_and_saveexec_b64 s[0:1], s[24:25]
	s_cbranch_execnz .LBB229_252
.LBB229_67:
	s_or_b64 exec, exec, s[0:1]
                                        ; implicit-def: $vgpr14
	s_and_saveexec_b64 s[0:1], s[26:27]
	s_cbranch_execnz .LBB229_253
.LBB229_68:
	s_or_b64 exec, exec, s[0:1]
                                        ; implicit-def: $vgpr15
	s_and_saveexec_b64 s[0:1], s[28:29]
	s_cbranch_execnz .LBB229_254
.LBB229_69:
	s_or_b64 exec, exec, s[0:1]
                                        ; implicit-def: $vgpr16
	s_and_saveexec_b64 s[0:1], s[30:31]
	s_cbranch_execnz .LBB229_255
.LBB229_70:
	s_or_b64 exec, exec, s[0:1]
                                        ; implicit-def: $vgpr17
	s_and_saveexec_b64 s[0:1], s[34:35]
	s_cbranch_execnz .LBB229_256
.LBB229_71:
	s_or_b64 exec, exec, s[0:1]
                                        ; implicit-def: $vgpr18
	s_and_saveexec_b64 s[0:1], s[36:37]
	s_cbranch_execnz .LBB229_257
.LBB229_72:
	s_or_b64 exec, exec, s[0:1]
                                        ; implicit-def: $vgpr19
	s_and_saveexec_b64 s[0:1], s[38:39]
	s_cbranch_execnz .LBB229_258
.LBB229_73:
	s_or_b64 exec, exec, s[0:1]
                                        ; implicit-def: $vgpr20
	s_and_saveexec_b64 s[0:1], s[40:41]
	s_cbranch_execnz .LBB229_259
.LBB229_74:
	s_or_b64 exec, exec, s[0:1]
                                        ; implicit-def: $vgpr21
	s_and_saveexec_b64 s[0:1], s[42:43]
	s_cbranch_execnz .LBB229_260
.LBB229_75:
	s_or_b64 exec, exec, s[0:1]
                                        ; implicit-def: $vgpr22
	s_and_saveexec_b64 s[0:1], s[44:45]
	s_cbranch_execnz .LBB229_261
.LBB229_76:
	s_or_b64 exec, exec, s[0:1]
                                        ; implicit-def: $vgpr23
	s_and_saveexec_b64 s[0:1], s[46:47]
	s_cbranch_execnz .LBB229_262
.LBB229_77:
	s_or_b64 exec, exec, s[0:1]
                                        ; implicit-def: $vgpr24
	s_and_saveexec_b64 s[0:1], s[48:49]
	s_cbranch_execnz .LBB229_263
.LBB229_78:
	s_or_b64 exec, exec, s[0:1]
                                        ; implicit-def: $vgpr25
	s_and_saveexec_b64 s[0:1], s[50:51]
	s_cbranch_execnz .LBB229_264
.LBB229_79:
	s_or_b64 exec, exec, s[0:1]
                                        ; implicit-def: $vgpr26
	s_and_saveexec_b64 s[0:1], s[52:53]
	s_cbranch_execz .LBB229_81
.LBB229_80:
	v_mov_b32_e32 v47, 0
	v_lshl_add_u64 v[26:27], s[60:61], 0, v[46:47]
	flat_load_dword v26, v[26:27]
.LBB229_81:
	s_or_b64 exec, exec, s[0:1]
	v_mul_u32_u24_e32 v73, 23, v0
	s_waitcnt vmcnt(0) lgkmcnt(0)
	ds_write2st64_b32 v44, v48, v49 offset1:4
	ds_write2st64_b32 v44, v50, v45 offset0:8 offset1:12
	ds_write2st64_b32 v44, v3, v2 offset0:16 offset1:20
	;; [unrolled: 1-line block ×10, first 2 shown]
	ds_write_b32 v44, v26 offset:22528
	v_mov_b64_e32 v[10:11], 0
	v_cmp_gt_u32_e32 vcc, s84, v73
	s_mov_b64 s[10:11], 0
	s_mov_b64 s[6:7], 0
	v_mov_b64_e32 v[12:13], v[10:11]
	v_mov_b64_e32 v[14:15], v[10:11]
	;; [unrolled: 1-line block ×21, first 2 shown]
	s_waitcnt lgkmcnt(0)
	s_barrier
	s_waitcnt lgkmcnt(0)
                                        ; implicit-def: $sgpr0_sgpr1
                                        ; implicit-def: $vgpr3
	s_and_saveexec_b64 s[8:9], vcc
	s_cbranch_execz .LBB229_125
; %bb.82:
	ds_read_b32 v10, v1
	v_add_u32_e32 v2, 1, v73
	v_cmp_ne_u32_e32 vcc, v70, v68
	v_mov_b64_e32 v[12:13], 0
	s_mov_b64 s[12:13], 0
	v_cndmask_b32_e64 v11, 0, 1, vcc
	v_cmp_gt_u32_e32 vcc, s84, v2
	s_mov_b64 s[0:1], 0
	v_mov_b64_e32 v[14:15], v[12:13]
	v_mov_b64_e32 v[16:17], v[12:13]
	;; [unrolled: 1-line block ×20, first 2 shown]
                                        ; implicit-def: $sgpr14_sgpr15
                                        ; implicit-def: $vgpr3
	s_and_saveexec_b64 s[10:11], vcc
	s_cbranch_execz .LBB229_124
; %bb.83:
	ds_read2_b32 v[70:71], v1 offset0:1 offset1:2
	v_add_u32_e32 v2, 2, v73
	v_cmp_ne_u32_e32 vcc, v68, v69
	v_mov_b64_e32 v[14:15], 0
	s_mov_b64 s[16:17], 0
	v_cndmask_b32_e64 v13, 0, 1, vcc
	v_cmp_gt_u32_e32 vcc, s84, v2
	s_waitcnt lgkmcnt(0)
	v_mov_b32_e32 v12, v70
	v_mov_b64_e32 v[16:17], v[14:15]
	v_mov_b64_e32 v[18:19], v[14:15]
	;; [unrolled: 1-line block ×19, first 2 shown]
                                        ; implicit-def: $sgpr14_sgpr15
                                        ; implicit-def: $vgpr3
	s_and_saveexec_b64 s[12:13], vcc
	s_cbranch_execz .LBB229_123
; %bb.84:
	v_add_u32_e32 v2, 3, v73
	v_cmp_ne_u32_e32 vcc, v69, v66
	v_mov_b64_e32 v[16:17], 0
	v_mov_b32_e32 v14, v71
	v_cndmask_b32_e64 v15, 0, 1, vcc
	v_cmp_gt_u32_e32 vcc, s84, v2
	v_mov_b64_e32 v[18:19], v[16:17]
	v_mov_b64_e32 v[20:21], v[16:17]
	;; [unrolled: 1-line block ×18, first 2 shown]
                                        ; implicit-def: $sgpr18_sgpr19
                                        ; implicit-def: $vgpr3
	s_and_saveexec_b64 s[14:15], vcc
	s_cbranch_execz .LBB229_122
; %bb.85:
	ds_read2_b32 v[68:69], v1 offset0:3 offset1:4
	v_add_u32_e32 v2, 4, v73
	v_cmp_ne_u32_e32 vcc, v66, v67
	v_mov_b64_e32 v[18:19], 0
	s_mov_b64 s[20:21], 0
	v_cndmask_b32_e64 v17, 0, 1, vcc
	v_cmp_gt_u32_e32 vcc, s84, v2
	s_waitcnt lgkmcnt(0)
	v_mov_b32_e32 v16, v68
	v_mov_b64_e32 v[20:21], v[18:19]
	v_mov_b64_e32 v[22:23], v[18:19]
	;; [unrolled: 1-line block ×17, first 2 shown]
                                        ; implicit-def: $sgpr18_sgpr19
                                        ; implicit-def: $vgpr3
	s_and_saveexec_b64 s[16:17], vcc
	s_cbranch_execz .LBB229_121
; %bb.86:
	v_add_u32_e32 v2, 5, v73
	v_cmp_ne_u32_e32 vcc, v67, v64
	v_mov_b64_e32 v[20:21], 0
	v_mov_b32_e32 v18, v69
	v_cndmask_b32_e64 v19, 0, 1, vcc
	v_cmp_gt_u32_e32 vcc, s84, v2
	v_mov_b64_e32 v[22:23], v[20:21]
	v_mov_b64_e32 v[24:25], v[20:21]
	;; [unrolled: 1-line block ×16, first 2 shown]
                                        ; implicit-def: $sgpr22_sgpr23
                                        ; implicit-def: $vgpr3
	s_and_saveexec_b64 s[18:19], vcc
	s_cbranch_execz .LBB229_120
; %bb.87:
	ds_read2_b32 v[66:67], v1 offset0:5 offset1:6
	v_add_u32_e32 v2, 6, v73
	v_cmp_ne_u32_e32 vcc, v64, v65
	v_mov_b64_e32 v[22:23], 0
	s_mov_b64 s[24:25], 0
	v_cndmask_b32_e64 v21, 0, 1, vcc
	v_cmp_gt_u32_e32 vcc, s84, v2
	s_waitcnt lgkmcnt(0)
	v_mov_b32_e32 v20, v66
	v_mov_b64_e32 v[24:25], v[22:23]
	v_mov_b64_e32 v[26:27], v[22:23]
	;; [unrolled: 1-line block ×15, first 2 shown]
                                        ; implicit-def: $sgpr22_sgpr23
                                        ; implicit-def: $vgpr3
	s_and_saveexec_b64 s[20:21], vcc
	s_cbranch_execz .LBB229_119
; %bb.88:
	v_add_u32_e32 v2, 7, v73
	v_cmp_ne_u32_e32 vcc, v65, v62
	v_mov_b64_e32 v[24:25], 0
	v_mov_b32_e32 v22, v67
	v_cndmask_b32_e64 v23, 0, 1, vcc
	v_cmp_gt_u32_e32 vcc, s84, v2
	v_mov_b64_e32 v[26:27], v[24:25]
	v_mov_b64_e32 v[28:29], v[24:25]
	;; [unrolled: 1-line block ×14, first 2 shown]
                                        ; implicit-def: $sgpr26_sgpr27
                                        ; implicit-def: $vgpr3
	s_and_saveexec_b64 s[22:23], vcc
	s_cbranch_execz .LBB229_118
; %bb.89:
	ds_read2_b32 v[64:65], v1 offset0:7 offset1:8
	v_add_u32_e32 v2, 8, v73
	v_cmp_ne_u32_e32 vcc, v62, v63
	v_mov_b64_e32 v[26:27], 0
	s_mov_b64 s[28:29], 0
	v_cndmask_b32_e64 v25, 0, 1, vcc
	v_cmp_gt_u32_e32 vcc, s84, v2
	s_waitcnt lgkmcnt(0)
	v_mov_b32_e32 v24, v64
	v_mov_b64_e32 v[28:29], v[26:27]
	v_mov_b64_e32 v[30:31], v[26:27]
	;; [unrolled: 1-line block ×13, first 2 shown]
                                        ; implicit-def: $sgpr26_sgpr27
                                        ; implicit-def: $vgpr3
	s_and_saveexec_b64 s[24:25], vcc
	s_cbranch_execz .LBB229_117
; %bb.90:
	v_add_u32_e32 v2, 9, v73
	v_cmp_ne_u32_e32 vcc, v63, v60
	v_mov_b64_e32 v[28:29], 0
	v_mov_b32_e32 v26, v65
	v_cndmask_b32_e64 v27, 0, 1, vcc
	v_cmp_gt_u32_e32 vcc, s84, v2
	v_mov_b64_e32 v[30:31], v[28:29]
	v_mov_b64_e32 v[32:33], v[28:29]
	;; [unrolled: 1-line block ×12, first 2 shown]
                                        ; implicit-def: $sgpr30_sgpr31
                                        ; implicit-def: $vgpr3
	s_and_saveexec_b64 s[26:27], vcc
	s_cbranch_execz .LBB229_116
; %bb.91:
	ds_read2_b32 v[62:63], v1 offset0:9 offset1:10
	v_add_u32_e32 v2, 10, v73
	v_cmp_ne_u32_e32 vcc, v60, v61
	v_mov_b64_e32 v[30:31], 0
	s_mov_b64 s[34:35], 0
	v_cndmask_b32_e64 v29, 0, 1, vcc
	v_cmp_gt_u32_e32 vcc, s84, v2
	s_waitcnt lgkmcnt(0)
	v_mov_b32_e32 v28, v62
	v_mov_b64_e32 v[32:33], v[30:31]
	v_mov_b64_e32 v[34:35], v[30:31]
	;; [unrolled: 1-line block ×11, first 2 shown]
                                        ; implicit-def: $sgpr30_sgpr31
                                        ; implicit-def: $vgpr3
	s_and_saveexec_b64 s[28:29], vcc
	s_cbranch_execz .LBB229_115
; %bb.92:
	v_add_u32_e32 v2, 11, v73
	v_cmp_ne_u32_e32 vcc, v61, v58
	v_mov_b64_e32 v[32:33], 0
	v_mov_b32_e32 v30, v63
	v_cndmask_b32_e64 v31, 0, 1, vcc
	v_cmp_gt_u32_e32 vcc, s84, v2
	v_mov_b64_e32 v[34:35], v[32:33]
	v_mov_b64_e32 v[36:37], v[32:33]
	;; [unrolled: 1-line block ×10, first 2 shown]
                                        ; implicit-def: $sgpr36_sgpr37
                                        ; implicit-def: $vgpr3
	s_and_saveexec_b64 s[30:31], vcc
	s_cbranch_execz .LBB229_114
; %bb.93:
	ds_read2_b32 v[60:61], v1 offset0:11 offset1:12
	v_add_u32_e32 v2, 12, v73
	v_cmp_ne_u32_e32 vcc, v58, v59
	v_mov_b64_e32 v[34:35], 0
	s_mov_b64 s[38:39], 0
	v_cndmask_b32_e64 v33, 0, 1, vcc
	v_cmp_gt_u32_e32 vcc, s84, v2
	s_waitcnt lgkmcnt(0)
	v_mov_b32_e32 v32, v60
	v_mov_b64_e32 v[36:37], v[34:35]
	v_mov_b64_e32 v[38:39], v[34:35]
	;; [unrolled: 1-line block ×9, first 2 shown]
                                        ; implicit-def: $sgpr36_sgpr37
                                        ; implicit-def: $vgpr3
	s_and_saveexec_b64 s[34:35], vcc
	s_cbranch_execz .LBB229_113
; %bb.94:
	v_add_u32_e32 v2, 13, v73
	v_cmp_ne_u32_e32 vcc, v59, v56
	v_mov_b64_e32 v[36:37], 0
	v_mov_b32_e32 v34, v61
	v_cndmask_b32_e64 v35, 0, 1, vcc
	v_cmp_gt_u32_e32 vcc, s84, v2
	v_mov_b64_e32 v[38:39], v[36:37]
	v_mov_b64_e32 v[40:41], v[36:37]
	;; [unrolled: 1-line block ×8, first 2 shown]
                                        ; implicit-def: $sgpr40_sgpr41
                                        ; implicit-def: $vgpr3
	s_and_saveexec_b64 s[36:37], vcc
	s_cbranch_execz .LBB229_112
; %bb.95:
	ds_read2_b32 v[58:59], v1 offset0:13 offset1:14
	v_add_u32_e32 v2, 14, v73
	v_cmp_ne_u32_e32 vcc, v56, v57
	v_mov_b64_e32 v[38:39], 0
	s_mov_b64 s[42:43], 0
	v_cndmask_b32_e64 v37, 0, 1, vcc
	v_cmp_gt_u32_e32 vcc, s84, v2
	s_waitcnt lgkmcnt(0)
	v_mov_b32_e32 v36, v58
	v_mov_b64_e32 v[40:41], v[38:39]
	v_mov_b64_e32 v[42:43], v[38:39]
	;; [unrolled: 1-line block ×7, first 2 shown]
                                        ; implicit-def: $sgpr40_sgpr41
                                        ; implicit-def: $vgpr3
	s_and_saveexec_b64 s[38:39], vcc
	s_cbranch_execz .LBB229_111
; %bb.96:
	v_add_u32_e32 v2, 15, v73
	v_cmp_ne_u32_e32 vcc, v57, v54
	v_mov_b64_e32 v[40:41], 0
	v_mov_b32_e32 v38, v59
	v_cndmask_b32_e64 v39, 0, 1, vcc
	v_cmp_gt_u32_e32 vcc, s84, v2
	v_mov_b64_e32 v[42:43], v[40:41]
	v_mov_b64_e32 v[44:45], v[40:41]
	v_mov_b64_e32 v[46:47], v[40:41]
	v_mov_b64_e32 v[48:49], v[40:41]
	v_mov_b64_e32 v[50:51], v[40:41]
	v_mov_b64_e32 v[52:53], v[40:41]
                                        ; implicit-def: $sgpr44_sgpr45
                                        ; implicit-def: $vgpr3
	s_and_saveexec_b64 s[40:41], vcc
	s_cbranch_execz .LBB229_110
; %bb.97:
	ds_read2_b32 v[56:57], v1 offset0:15 offset1:16
	v_add_u32_e32 v2, 16, v73
	v_cmp_ne_u32_e32 vcc, v54, v55
	v_mov_b64_e32 v[42:43], 0
	s_mov_b64 s[46:47], 0
	v_cndmask_b32_e64 v41, 0, 1, vcc
	v_cmp_gt_u32_e32 vcc, s84, v2
	s_waitcnt lgkmcnt(0)
	v_mov_b32_e32 v40, v56
	v_mov_b64_e32 v[44:45], v[42:43]
	v_mov_b64_e32 v[46:47], v[42:43]
	;; [unrolled: 1-line block ×5, first 2 shown]
                                        ; implicit-def: $sgpr44_sgpr45
                                        ; implicit-def: $vgpr3
	s_and_saveexec_b64 s[42:43], vcc
	s_cbranch_execz .LBB229_109
; %bb.98:
	v_add_u32_e32 v2, 17, v73
	v_cmp_ne_u32_e32 vcc, v55, v8
	v_mov_b64_e32 v[44:45], 0
	v_mov_b32_e32 v42, v57
	v_cndmask_b32_e64 v43, 0, 1, vcc
	v_cmp_gt_u32_e32 vcc, s84, v2
	v_mov_b64_e32 v[46:47], v[44:45]
	v_mov_b64_e32 v[48:49], v[44:45]
	v_mov_b64_e32 v[50:51], v[44:45]
	v_mov_b64_e32 v[52:53], v[44:45]
                                        ; implicit-def: $sgpr48_sgpr49
                                        ; implicit-def: $vgpr3
	s_and_saveexec_b64 s[44:45], vcc
	s_cbranch_execz .LBB229_108
; %bb.99:
	ds_read2_b32 v[54:55], v1 offset0:17 offset1:18
	v_add_u32_e32 v2, 18, v73
	v_cmp_ne_u32_e32 vcc, v8, v9
	v_mov_b64_e32 v[46:47], 0
	s_mov_b64 s[50:51], 0
	v_cndmask_b32_e64 v45, 0, 1, vcc
	v_cmp_gt_u32_e32 vcc, s84, v2
	s_waitcnt lgkmcnt(0)
	v_mov_b32_e32 v44, v54
	v_mov_b64_e32 v[48:49], v[46:47]
	v_mov_b64_e32 v[50:51], v[46:47]
	;; [unrolled: 1-line block ×3, first 2 shown]
                                        ; implicit-def: $sgpr48_sgpr49
                                        ; implicit-def: $vgpr3
	s_and_saveexec_b64 s[46:47], vcc
	s_cbranch_execz .LBB229_107
; %bb.100:
	v_add_u32_e32 v2, 19, v73
	v_cmp_ne_u32_e32 vcc, v9, v6
	v_mov_b64_e32 v[48:49], 0
	v_mov_b32_e32 v46, v55
	v_cndmask_b32_e64 v47, 0, 1, vcc
	v_cmp_gt_u32_e32 vcc, s84, v2
	v_mov_b64_e32 v[50:51], v[48:49]
	v_mov_b64_e32 v[52:53], v[48:49]
                                        ; implicit-def: $sgpr52_sgpr53
                                        ; implicit-def: $vgpr3
	s_and_saveexec_b64 s[48:49], vcc
	s_cbranch_execz .LBB229_106
; %bb.101:
	ds_read2_b32 v[8:9], v1 offset0:19 offset1:20
	v_add_u32_e32 v2, 20, v73
	v_cmp_ne_u32_e32 vcc, v6, v7
	v_mov_b64_e32 v[50:51], 0
	s_mov_b64 s[52:53], 0
	v_cndmask_b32_e64 v49, 0, 1, vcc
	v_cmp_gt_u32_e32 vcc, s84, v2
	s_waitcnt lgkmcnt(0)
	v_mov_b32_e32 v48, v8
	v_mov_b64_e32 v[52:53], v[50:51]
                                        ; implicit-def: $sgpr64_sgpr65
                                        ; implicit-def: $vgpr3
	s_and_saveexec_b64 s[50:51], vcc
	s_cbranch_execz .LBB229_105
; %bb.102:
	v_add_u32_e32 v2, 21, v73
	v_cmp_ne_u32_e32 vcc, v7, v4
	v_mov_b32_e32 v50, v9
	v_mov_b64_e32 v[52:53], 0
	v_cndmask_b32_e64 v51, 0, 1, vcc
	v_cmp_gt_u32_e32 vcc, s84, v2
                                        ; implicit-def: $sgpr64_sgpr65
                                        ; implicit-def: $vgpr3
	s_and_saveexec_b64 s[0:1], vcc
	s_xor_b64 s[82:83], exec, s[0:1]
	s_cbranch_execz .LBB229_104
; %bb.103:
	ds_read2_b32 v[2:3], v1 offset0:21 offset1:22
	v_add_u32_e32 v1, 22, v73
	v_cmp_ne_u32_e64 s[0:1], v4, v5
	v_cmp_ne_u32_e32 vcc, v5, v72
	s_and_b64 s[64:65], vcc, exec
	v_cndmask_b32_e64 v53, 0, 1, s[0:1]
	v_cmp_gt_u32_e64 s[0:1], s84, v1
	s_waitcnt lgkmcnt(0)
	v_mov_b32_e32 v52, v2
	s_and_b64 s[52:53], s[0:1], exec
.LBB229_104:
	s_or_b64 exec, exec, s[82:83]
	s_and_b64 s[64:65], s[64:65], exec
	s_and_b64 s[0:1], s[52:53], exec
.LBB229_105:
	s_or_b64 exec, exec, s[50:51]
	s_and_b64 s[52:53], s[64:65], exec
	s_and_b64 s[50:51], s[0:1], exec
.LBB229_106:
	s_or_b64 exec, exec, s[48:49]
	s_and_b64 s[48:49], s[52:53], exec
	s_and_b64 s[0:1], s[50:51], exec
.LBB229_107:
	s_or_b64 exec, exec, s[46:47]
	s_and_b64 s[48:49], s[48:49], exec
	s_and_b64 s[46:47], s[0:1], exec
.LBB229_108:
	s_or_b64 exec, exec, s[44:45]
	s_and_b64 s[44:45], s[48:49], exec
	s_and_b64 s[0:1], s[46:47], exec
.LBB229_109:
	s_or_b64 exec, exec, s[42:43]
	s_and_b64 s[44:45], s[44:45], exec
	s_and_b64 s[42:43], s[0:1], exec
.LBB229_110:
	s_or_b64 exec, exec, s[40:41]
	s_and_b64 s[40:41], s[44:45], exec
	s_and_b64 s[0:1], s[42:43], exec
.LBB229_111:
	s_or_b64 exec, exec, s[38:39]
	s_and_b64 s[40:41], s[40:41], exec
	s_and_b64 s[38:39], s[0:1], exec
.LBB229_112:
	s_or_b64 exec, exec, s[36:37]
	s_and_b64 s[36:37], s[40:41], exec
	s_and_b64 s[0:1], s[38:39], exec
.LBB229_113:
	s_or_b64 exec, exec, s[34:35]
	s_and_b64 s[36:37], s[36:37], exec
	s_and_b64 s[34:35], s[0:1], exec
.LBB229_114:
	s_or_b64 exec, exec, s[30:31]
	s_and_b64 s[30:31], s[36:37], exec
	s_and_b64 s[0:1], s[34:35], exec
.LBB229_115:
	s_or_b64 exec, exec, s[28:29]
	s_and_b64 s[30:31], s[30:31], exec
	s_and_b64 s[28:29], s[0:1], exec
.LBB229_116:
	s_or_b64 exec, exec, s[26:27]
	s_and_b64 s[26:27], s[30:31], exec
	s_and_b64 s[0:1], s[28:29], exec
.LBB229_117:
	s_or_b64 exec, exec, s[24:25]
	s_and_b64 s[26:27], s[26:27], exec
	s_and_b64 s[24:25], s[0:1], exec
.LBB229_118:
	s_or_b64 exec, exec, s[22:23]
	s_and_b64 s[22:23], s[26:27], exec
	s_and_b64 s[0:1], s[24:25], exec
.LBB229_119:
	s_or_b64 exec, exec, s[20:21]
	s_and_b64 s[22:23], s[22:23], exec
	s_and_b64 s[20:21], s[0:1], exec
.LBB229_120:
	s_or_b64 exec, exec, s[18:19]
	s_and_b64 s[18:19], s[22:23], exec
	s_and_b64 s[0:1], s[20:21], exec
.LBB229_121:
	s_or_b64 exec, exec, s[16:17]
	s_and_b64 s[18:19], s[18:19], exec
	s_and_b64 s[16:17], s[0:1], exec
.LBB229_122:
	s_or_b64 exec, exec, s[14:15]
	s_and_b64 s[14:15], s[18:19], exec
	s_and_b64 s[0:1], s[16:17], exec
.LBB229_123:
	s_or_b64 exec, exec, s[12:13]
	s_and_b64 s[14:15], s[14:15], exec
	s_and_b64 s[12:13], s[0:1], exec
.LBB229_124:
	s_or_b64 exec, exec, s[10:11]
	s_and_b64 s[0:1], s[14:15], exec
	s_and_b64 s[10:11], s[12:13], exec
.LBB229_125:
	s_or_b64 exec, exec, s[8:9]
	s_mov_b64 s[8:9], 0
	s_and_b64 vcc, exec, s[6:7]
	v_lshlrev_b32_e32 v54, 2, v0
	s_cbranch_vccnz .LBB229_127
	s_branch .LBB229_135
.LBB229_126:
                                        ; implicit-def: $sgpr0_sgpr1
                                        ; implicit-def: $vgpr3
                                        ; implicit-def: $vgpr10_vgpr11
                                        ; implicit-def: $vgpr12_vgpr13
                                        ; implicit-def: $vgpr14_vgpr15
                                        ; implicit-def: $vgpr16_vgpr17
                                        ; implicit-def: $vgpr18_vgpr19
                                        ; implicit-def: $vgpr20_vgpr21
                                        ; implicit-def: $vgpr22_vgpr23
                                        ; implicit-def: $vgpr24_vgpr25
                                        ; implicit-def: $vgpr26_vgpr27
                                        ; implicit-def: $vgpr28_vgpr29
                                        ; implicit-def: $vgpr30_vgpr31
                                        ; implicit-def: $vgpr32_vgpr33
                                        ; implicit-def: $vgpr34_vgpr35
                                        ; implicit-def: $vgpr36_vgpr37
                                        ; implicit-def: $vgpr38_vgpr39
                                        ; implicit-def: $vgpr40_vgpr41
                                        ; implicit-def: $vgpr42_vgpr43
                                        ; implicit-def: $vgpr44_vgpr45
                                        ; implicit-def: $vgpr46_vgpr47
                                        ; implicit-def: $vgpr48_vgpr49
                                        ; implicit-def: $vgpr50_vgpr51
                                        ; implicit-def: $vgpr52_vgpr53
                                        ; implicit-def: $sgpr8_sgpr9
	s_and_b64 vcc, exec, s[6:7]
	v_lshlrev_b32_e32 v54, 2, v0
	s_cbranch_vccz .LBB229_135
.LBB229_127:
	v_mov_b32_e32 v55, 0
	v_lshl_add_u64 v[2:3], s[68:69], 0, v[54:55]
	v_add_co_u32_e32 v4, vcc, 0x1000, v2
	s_movk_i32 s0, 0x58
	s_nop 0
	v_addc_co_u32_e32 v5, vcc, 0, v3, vcc
	flat_load_dword v8, v[2:3]
	flat_load_dword v9, v[2:3] offset:1024
	s_waitcnt lgkmcnt(0)
	flat_load_dword v10, v[2:3] offset:2048
	flat_load_dword v11, v[2:3] offset:3072
	flat_load_dword v12, v[4:5]
	flat_load_dword v13, v[4:5] offset:1024
	flat_load_dword v14, v[4:5] offset:2048
	;; [unrolled: 1-line block ×3, first 2 shown]
	v_add_co_u32_e32 v4, vcc, 0x2000, v2
	v_mad_u32_u24 v1, v0, s0, v54
	s_nop 0
	v_addc_co_u32_e32 v5, vcc, 0, v3, vcc
	v_add_co_u32_e32 v6, vcc, 0x3000, v2
	s_cmp_eq_u64 s[80:81], 0
	s_nop 0
	v_addc_co_u32_e32 v7, vcc, 0, v3, vcc
	flat_load_dword v16, v[4:5]
	flat_load_dword v17, v[4:5] offset:1024
	flat_load_dword v18, v[4:5] offset:2048
	;; [unrolled: 1-line block ×3, first 2 shown]
	flat_load_dword v20, v[6:7]
	flat_load_dword v21, v[6:7] offset:1024
	flat_load_dword v22, v[6:7] offset:2048
	;; [unrolled: 1-line block ×3, first 2 shown]
	v_add_co_u32_e32 v4, vcc, 0x4000, v2
	s_nop 1
	v_addc_co_u32_e32 v5, vcc, 0, v3, vcc
	v_add_co_u32_e32 v2, vcc, 0x5000, v2
	s_nop 1
	v_addc_co_u32_e32 v3, vcc, 0, v3, vcc
	flat_load_dword v6, v[4:5]
	flat_load_dword v7, v[4:5] offset:1024
	flat_load_dword v24, v[4:5] offset:2048
	;; [unrolled: 1-line block ×3, first 2 shown]
	flat_load_dword v26, v[2:3]
	flat_load_dword v27, v[2:3] offset:1024
	flat_load_dword v28, v[2:3] offset:2048
	s_waitcnt vmcnt(0)
	ds_write2st64_b32 v54, v8, v9 offset1:4
	s_waitcnt lgkmcnt(0)
	ds_write2st64_b32 v54, v10, v11 offset0:8 offset1:12
	ds_write2st64_b32 v54, v12, v13 offset0:16 offset1:20
	;; [unrolled: 1-line block ×10, first 2 shown]
	ds_write_b32 v54, v28 offset:22528
	s_waitcnt lgkmcnt(0)
	s_barrier
	ds_read2_b32 v[2:3], v1 offset1:1
	ds_read2_b32 v[18:19], v1 offset0:2 offset1:3
	ds_read2_b32 v[22:23], v1 offset0:4 offset1:5
	;; [unrolled: 1-line block ×10, first 2 shown]
	ds_read_b32 v10, v1 offset:88
	s_cbranch_scc1 .LBB229_132
; %bb.128:
	s_andn2_b64 vcc, exec, s[78:79]
	s_cbranch_vccnz .LBB229_268
; %bb.129:
	s_lshl_b64 s[0:1], s[80:81], 2
	s_add_u32 s0, s70, s0
	s_addc_u32 s1, s71, s1
	s_add_u32 s0, s0, -4
	s_addc_u32 s1, s1, -1
	s_cbranch_execnz .LBB229_131
.LBB229_130:
	s_add_u32 s0, s68, -4
	s_addc_u32 s1, s69, -1
.LBB229_131:
	s_mov_b64 s[68:69], s[0:1]
.LBB229_132:
	v_mov_b64_e32 v[12:13], s[68:69]
	flat_load_dword v11, v[12:13]
	s_movk_i32 s0, 0xffa8
	v_mad_i32_i24 v12, v0, s0, v1
	s_waitcnt lgkmcnt(0)
	ds_write_b32 v12, v10 offset:23552
	s_waitcnt lgkmcnt(0)
	s_barrier
	s_and_saveexec_b64 s[0:1], s[4:5]
	s_cbranch_execz .LBB229_134
; %bb.133:
	s_waitcnt vmcnt(0)
	v_mul_i32_i24_e32 v11, 0xffffffa8, v0
	v_add_u32_e32 v11, v1, v11
	ds_read_b32 v11, v11 offset:23548
.LBB229_134:
	s_or_b64 exec, exec, s[0:1]
	v_mov_b32_e32 v55, 0
	v_lshl_add_u64 v[12:13], s[60:61], 0, v[54:55]
	s_movk_i32 s0, 0x1000
	v_add_co_u32_e32 v14, vcc, s0, v12
	s_movk_i32 s0, 0x2000
	s_nop 0
	v_addc_co_u32_e32 v15, vcc, 0, v13, vcc
	s_waitcnt lgkmcnt(0)
	s_barrier
	flat_load_dword v20, v[12:13]
	flat_load_dword v21, v[12:13] offset:1024
	flat_load_dword v24, v[12:13] offset:2048
	;; [unrolled: 1-line block ×3, first 2 shown]
	flat_load_dword v28, v[14:15]
	flat_load_dword v29, v[14:15] offset:1024
	flat_load_dword v32, v[14:15] offset:2048
	;; [unrolled: 1-line block ×3, first 2 shown]
	v_add_co_u32_e32 v14, vcc, s0, v12
	s_movk_i32 s0, 0x3000
	s_nop 0
	v_addc_co_u32_e32 v15, vcc, 0, v13, vcc
	v_add_co_u32_e32 v16, vcc, s0, v12
	s_movk_i32 s0, 0x4000
	s_nop 0
	v_addc_co_u32_e32 v17, vcc, 0, v13, vcc
	flat_load_dword v36, v[14:15]
	flat_load_dword v37, v[14:15] offset:1024
	flat_load_dword v40, v[14:15] offset:2048
	;; [unrolled: 1-line block ×3, first 2 shown]
	flat_load_dword v44, v[16:17]
	flat_load_dword v45, v[16:17] offset:1024
	flat_load_dword v46, v[16:17] offset:2048
	;; [unrolled: 1-line block ×3, first 2 shown]
	v_add_co_u32_e32 v14, vcc, s0, v12
	s_movk_i32 s0, 0x5000
	s_nop 0
	v_addc_co_u32_e32 v15, vcc, 0, v13, vcc
	v_add_co_u32_e32 v12, vcc, s0, v12
	v_cmp_ne_u32_e64 s[0:1], v5, v10
	s_nop 0
	v_addc_co_u32_e32 v13, vcc, 0, v13, vcc
	flat_load_dword v16, v[14:15]
	flat_load_dword v17, v[14:15] offset:1024
	flat_load_dword v48, v[14:15] offset:2048
	;; [unrolled: 1-line block ×3, first 2 shown]
	flat_load_dword v50, v[12:13]
	flat_load_dword v51, v[12:13] offset:1024
	flat_load_dword v52, v[12:13] offset:2048
	s_waitcnt vmcnt(0)
	v_cmp_ne_u32_e32 vcc, v11, v2
	s_mov_b64 s[10:11], -1
                                        ; implicit-def: $sgpr8_sgpr9
	s_waitcnt lgkmcnt(0)
	ds_write2st64_b32 v54, v20, v21 offset1:4
	ds_write2st64_b32 v54, v24, v25 offset0:8 offset1:12
	ds_write2st64_b32 v54, v28, v29 offset0:16 offset1:20
	;; [unrolled: 1-line block ×10, first 2 shown]
	ds_write_b32 v54, v52 offset:22528
	v_cndmask_b32_e64 v11, 0, 1, vcc
	v_cmp_ne_u32_e32 vcc, v2, v3
	s_waitcnt lgkmcnt(0)
	s_barrier
	v_cndmask_b32_e64 v13, 0, 1, vcc
	v_cmp_ne_u32_e32 vcc, v3, v18
	ds_read2_b32 v[16:17], v1 offset1:1
	ds_read2_b32 v[20:21], v1 offset0:2 offset1:3
	ds_read2_b32 v[24:25], v1 offset0:4 offset1:5
	;; [unrolled: 1-line block ×10, first 2 shown]
	ds_read_b32 v3, v1 offset:88
	v_cndmask_b32_e64 v15, 0, 1, vcc
	v_cmp_ne_u32_e32 vcc, v18, v19
	s_waitcnt lgkmcnt(11)
	v_mov_b32_e32 v12, v17
	v_mov_b32_e32 v10, v16
	v_cndmask_b32_e64 v17, 0, 1, vcc
	v_cmp_ne_u32_e32 vcc, v19, v22
	s_waitcnt lgkmcnt(10)
	v_mov_b32_e32 v16, v21
	v_mov_b32_e32 v14, v20
	;; [unrolled: 5-line block ×5, first 2 shown]
	v_cndmask_b32_e64 v25, 0, 1, vcc
	v_cmp_ne_u32_e32 vcc, v27, v30
	s_waitcnt lgkmcnt(6)
	v_mov_b32_e32 v32, v37
	s_waitcnt lgkmcnt(2)
	v_mov_b32_e32 v48, v51
	v_cndmask_b32_e64 v27, 0, 1, vcc
	v_cmp_ne_u32_e32 vcc, v30, v31
	v_mov_b32_e32 v30, v36
	v_mov_b32_e32 v36, v41
	v_cndmask_b32_e64 v29, 0, 1, vcc
	v_cmp_ne_u32_e32 vcc, v31, v34
	s_waitcnt lgkmcnt(1)
	v_mov_b32_e32 v52, v57
	v_cndmask_b32_e64 v31, 0, 1, vcc
	v_cmp_ne_u32_e32 vcc, v34, v35
	v_mov_b32_e32 v34, v40
	v_mov_b32_e32 v40, v45
	v_cndmask_b32_e64 v33, 0, 1, vcc
	v_cmp_ne_u32_e32 vcc, v35, v38
	s_nop 1
	v_cndmask_b32_e64 v35, 0, 1, vcc
	v_cmp_ne_u32_e32 vcc, v38, v39
	v_mov_b32_e32 v38, v44
	v_mov_b32_e32 v44, v47
	v_cndmask_b32_e64 v37, 0, 1, vcc
	v_cmp_ne_u32_e32 vcc, v39, v42
	s_nop 1
	v_cndmask_b32_e64 v39, 0, 1, vcc
	v_cmp_ne_u32_e32 vcc, v42, v43
	v_mov_b32_e32 v42, v46
	v_mov_b32_e32 v46, v50
	v_cndmask_b32_e64 v41, 0, 1, vcc
	v_cmp_ne_u32_e32 vcc, v43, v8
	v_mov_b32_e32 v50, v56
	s_nop 0
	v_cndmask_b32_e64 v43, 0, 1, vcc
	v_cmp_ne_u32_e32 vcc, v8, v9
	s_nop 1
	v_cndmask_b32_e64 v45, 0, 1, vcc
	v_cmp_ne_u32_e32 vcc, v9, v6
	;; [unrolled: 3-line block ×5, first 2 shown]
	s_nop 1
	v_cndmask_b32_e64 v53, 0, 1, vcc
.LBB229_135:
	v_mov_b64_e32 v[56:57], s[8:9]
	s_and_saveexec_b64 s[6:7], s[10:11]
	s_cbranch_execz .LBB229_137
; %bb.136:
	v_cndmask_b32_e64 v57, 0, 1, s[0:1]
	s_waitcnt lgkmcnt(0)
	v_mov_b32_e32 v56, v3
.LBB229_137:
	s_or_b64 exec, exec, s[6:7]
	s_mov_b32 s0, 0
	s_cmp_lg_u32 s75, 0
	v_or_b32_e32 v55, v57, v53
	v_lshrrev_b32_e32 v1, 5, v0
	v_cmp_gt_u32_e32 vcc, 64, v0
	s_waitcnt lgkmcnt(0)
	s_barrier
	s_cbranch_scc0 .LBB229_172
; %bb.138:
	s_mov_b32 s1, 1
	v_cmp_gt_u64_e64 s[6:7], s[0:1], v[12:13]
	v_cmp_gt_u64_e64 s[8:9], s[0:1], v[14:15]
	v_cmp_gt_u64_e64 s[10:11], s[0:1], v[16:17]
	v_cndmask_b32_e64 v2, 0, v10, s[6:7]
	v_add_u32_e32 v2, v2, v12
	v_cndmask_b32_e64 v2, 0, v2, s[8:9]
	v_add_u32_e32 v2, v2, v14
	v_cndmask_b32_e64 v2, 0, v2, s[10:11]
	v_add_u32_e32 v2, v2, v16
	v_cmp_gt_u64_e64 s[12:13], s[0:1], v[18:19]
	v_cmp_gt_u64_e64 s[14:15], s[0:1], v[20:21]
	v_cmp_gt_u64_e64 s[16:17], s[0:1], v[22:23]
	v_cndmask_b32_e64 v2, 0, v2, s[12:13]
	v_add_u32_e32 v2, v2, v18
	v_cndmask_b32_e64 v2, 0, v2, s[14:15]
	v_add_u32_e32 v2, v2, v20
	v_cndmask_b32_e64 v2, 0, v2, s[16:17]
	v_add_u32_e32 v2, v2, v22
	;; [unrolled: 9-line block ×7, first 2 shown]
	v_cmp_gt_u64_e64 s[50:51], s[0:1], v[56:57]
	s_nop 1
	v_cndmask_b32_e64 v2, 0, v2, s[50:51]
	v_add_u32_e32 v62, v2, v56
	v_or3_b32 v2, v55, v51, v49
	v_or3_b32 v2, v2, v47, v45
	;; [unrolled: 1-line block ×10, first 2 shown]
	v_and_b32_e32 v2, 1, v2
	v_cmp_eq_u32_e64 s[0:1], 1, v2
	v_add_lshl_u32 v2, v1, v0, 3
	s_nop 0
	v_cndmask_b32_e64 v63, v11, 1, s[0:1]
	ds_write_b32 v2, v62
	ds_write_b8 v2, v63 offset:4
	s_waitcnt lgkmcnt(0)
	s_barrier
	s_and_saveexec_b64 s[52:53], vcc
	s_cbranch_execz .LBB229_150
; %bb.139:
	v_lshrrev_b32_e32 v2, 3, v0
	v_add_lshl_u32 v4, v2, v54, 3
	ds_read2_b32 v[6:7], v4 offset0:2 offset1:4
	ds_read_b64 v[2:3], v4
	ds_read_u8 v8, v4 offset:12
	ds_read_u8 v9, v4 offset:20
	ds_read_b32 v58, v4 offset:24
	ds_read_u8 v59, v4 offset:28
	v_mov_b32_e32 v60, 0
	s_waitcnt lgkmcnt(3)
	v_cmp_eq_u16_sdwa s[0:1], v8, v60 src0_sel:BYTE_0 src1_sel:DWORD
	v_and_b32_e32 v5, 1, v3
	s_nop 0
	v_cndmask_b32_e64 v61, 0, v2, s[0:1]
	v_add_u32_e32 v6, v61, v6
	s_waitcnt lgkmcnt(2)
	v_cmp_eq_u16_sdwa s[0:1], v9, v60 src0_sel:BYTE_0 src1_sel:DWORD
	s_nop 1
	v_cndmask_b32_e64 v6, 0, v6, s[0:1]
	v_add_u32_e32 v6, v6, v7
	s_waitcnt lgkmcnt(0)
	v_cmp_eq_u16_e64 s[0:1], 0, v59
	s_nop 1
	v_cndmask_b32_e64 v6, 0, v6, s[0:1]
	v_add_u32_e32 v7, v6, v58
	v_or_b32_e32 v6, v59, v9
	v_or_b32_e32 v6, v6, v8
	v_and_b32_e32 v6, 1, v6
	v_cmp_eq_u32_e64 s[0:1], 1, v6
	v_mbcnt_lo_u32_b32 v8, -1, 0
	v_and_b32_e32 v6, 0xffffff00, v3
	v_cndmask_b32_e64 v9, v5, 1, s[0:1]
	v_mbcnt_hi_u32_b32 v8, -1, v8
	v_and_b32_e32 v59, 15, v8
	v_or_b32_sdwa v58, v6, v9 dst_sel:DWORD dst_unused:UNUSED_PAD src0_sel:DWORD src1_sel:WORD_0
	v_mov_b32_dpp v60, v7 row_shr:1 row_mask:0xf bank_mask:0xf
	v_cmp_ne_u32_e64 s[0:1], 0, v59
	v_mov_b32_dpp v61, v58 row_shr:1 row_mask:0xf bank_mask:0xf
	s_and_saveexec_b64 s[60:61], s[0:1]
; %bb.140:
	v_and_b32_e32 v58, 1, v9
	v_and_b32_e32 v61, 1, v61
	v_cmp_eq_u32_e64 s[0:1], 1, v58
	s_nop 1
	v_cndmask_b32_e64 v61, v61, 1, s[0:1]
	v_cmp_eq_u16_e64 s[0:1], 0, v9
	v_or_b32_sdwa v58, v6, v61 dst_sel:DWORD dst_unused:UNUSED_PAD src0_sel:DWORD src1_sel:WORD_0
	s_nop 0
	v_cndmask_b32_e64 v9, 0, v60, s[0:1]
	v_add_u32_e32 v7, v9, v7
	v_mov_b32_e32 v9, v61
; %bb.141:
	s_or_b64 exec, exec, s[60:61]
	v_mov_b32_dpp v60, v7 row_shr:2 row_mask:0xf bank_mask:0xf
	v_mov_b32_dpp v61, v58 row_shr:2 row_mask:0xf bank_mask:0xf
	v_cmp_lt_u32_e64 s[0:1], 1, v59
	s_and_saveexec_b64 s[60:61], s[0:1]
; %bb.142:
	v_and_b32_e32 v58, 1, v9
	v_and_b32_e32 v61, 1, v61
	v_cmp_eq_u32_e64 s[0:1], 1, v58
	s_nop 1
	v_cndmask_b32_e64 v61, v61, 1, s[0:1]
	v_cmp_eq_u16_e64 s[0:1], 0, v9
	v_or_b32_sdwa v58, v6, v61 dst_sel:DWORD dst_unused:UNUSED_PAD src0_sel:DWORD src1_sel:WORD_0
	s_nop 0
	v_cndmask_b32_e64 v9, 0, v60, s[0:1]
	v_add_u32_e32 v7, v9, v7
	v_mov_b32_e32 v9, v61
; %bb.143:
	s_or_b64 exec, exec, s[60:61]
	v_mov_b32_dpp v60, v7 row_shr:4 row_mask:0xf bank_mask:0xf
	v_mov_b32_dpp v61, v58 row_shr:4 row_mask:0xf bank_mask:0xf
	v_cmp_lt_u32_e64 s[0:1], 3, v59
	;; [unrolled: 18-line block ×3, first 2 shown]
	s_and_saveexec_b64 s[60:61], s[0:1]
; %bb.146:
	v_and_b32_e32 v58, 1, v9
	v_and_b32_e32 v59, 1, v61
	v_cmp_eq_u32_e64 s[0:1], 1, v58
	s_nop 1
	v_cndmask_b32_e64 v59, v59, 1, s[0:1]
	v_cmp_eq_u16_e64 s[0:1], 0, v9
	v_or_b32_sdwa v58, v6, v59 dst_sel:DWORD dst_unused:UNUSED_PAD src0_sel:DWORD src1_sel:WORD_0
	s_nop 0
	v_cndmask_b32_e64 v9, 0, v60, s[0:1]
	v_add_u32_e32 v7, v9, v7
	v_mov_b32_e32 v9, v59
; %bb.147:
	s_or_b64 exec, exec, s[60:61]
	v_and_b32_e32 v61, 16, v8
	v_mov_b32_dpp v59, v7 row_bcast:15 row_mask:0xf bank_mask:0xf
	v_mov_b32_dpp v60, v58 row_bcast:15 row_mask:0xf bank_mask:0xf
	v_cmp_ne_u32_e64 s[0:1], 0, v61
	s_and_saveexec_b64 s[60:61], s[0:1]
; %bb.148:
	v_and_b32_e32 v58, 1, v9
	v_and_b32_e32 v60, 1, v60
	v_cmp_eq_u32_e64 s[0:1], 1, v58
	s_nop 1
	v_cndmask_b32_e64 v60, v60, 1, s[0:1]
	v_cmp_eq_u16_e64 s[0:1], 0, v9
	v_or_b32_sdwa v58, v6, v60 dst_sel:DWORD dst_unused:UNUSED_PAD src0_sel:DWORD src1_sel:WORD_0
	s_nop 0
	v_cndmask_b32_e64 v9, 0, v59, s[0:1]
	v_add_u32_e32 v7, v9, v7
	v_mov_b32_e32 v9, v60
; %bb.149:
	s_or_b64 exec, exec, s[60:61]
	v_mov_b32_dpp v58, v58 row_bcast:31 row_mask:0xf bank_mask:0xf
	v_and_b32_e32 v60, 1, v9
	v_and_b32_e32 v58, 1, v58
	v_cmp_eq_u32_e64 s[0:1], 1, v60
	v_mov_b32_e32 v60, 0
	v_cmp_eq_u16_sdwa s[60:61], v9, v60 src0_sel:BYTE_0 src1_sel:DWORD
	v_cndmask_b32_e64 v58, v58, 1, s[0:1]
	v_cmp_lt_u32_e64 s[0:1], 31, v8
	v_mov_b32_dpp v59, v7 row_bcast:31 row_mask:0xf bank_mask:0xf
	s_movk_i32 s64, 0xff
	v_cndmask_b32_e64 v9, v9, v58, s[0:1]
	s_and_b64 s[0:1], s[0:1], s[60:61]
	v_cndmask_b32_e64 v58, 0, v59, s[0:1]
	v_add_u32_e32 v7, v58, v7
	v_add_u32_e32 v58, -1, v8
	v_and_b32_e32 v59, 64, v8
	v_cmp_lt_i32_e64 s[0:1], v58, v59
	v_and_or_b32 v6, v9, s64, v6
	s_nop 0
	v_cndmask_b32_e64 v8, v58, v8, s[0:1]
	v_lshlrev_b32_e32 v8, 2, v8
	ds_bpermute_b32 v7, v8, v7
	ds_bpermute_b32 v6, v8, v6
	v_cmp_eq_u16_sdwa s[0:1], v3, v60 src0_sel:BYTE_0 src1_sel:DWORD
	; wave barrier
	s_waitcnt lgkmcnt(1)
	s_nop 0
	v_cndmask_b32_e64 v3, 0, v7, s[0:1]
	v_add_u32_e32 v2, v3, v2
	s_waitcnt lgkmcnt(0)
	v_and_b32_e32 v3, 1, v6
	v_cmp_eq_u32_e64 s[0:1], 1, v5
	v_cndmask_b32_e64 v5, v2, v62, s[54:55]
	s_nop 0
	v_cndmask_b32_e64 v3, v3, 1, s[0:1]
	v_cndmask_b32_e64 v6, v3, v63, s[54:55]
	ds_write_b32 v4, v5
	ds_write_b8 v4, v6 offset:4
	; wave barrier
	ds_read_u8 v7, v4 offset:12
	ds_read2_b32 v[2:3], v4 offset0:2 offset1:4
	ds_read_u8 v8, v4 offset:20
	ds_read_b32 v9, v4 offset:24
	ds_read_u8 v58, v4 offset:28
	s_waitcnt lgkmcnt(4)
	v_cmp_eq_u16_e64 s[0:1], 0, v7
	s_nop 1
	v_cndmask_b32_e64 v5, 0, v5, s[0:1]
	s_waitcnt lgkmcnt(3)
	v_add_u32_e32 v2, v5, v2
	v_and_b32_e32 v5, 1, v7
	v_cmp_eq_u32_e64 s[0:1], 1, v5
	s_nop 1
	v_cndmask_b32_e64 v5, v6, 1, s[0:1]
	s_waitcnt lgkmcnt(2)
	v_cmp_eq_u16_e64 s[0:1], 0, v8
	ds_write_b8 v4, v5 offset:12
	s_nop 0
	v_cndmask_b32_e64 v6, 0, v2, s[0:1]
	v_add_u32_e32 v3, v6, v3
	v_and_b32_e32 v6, 1, v8
	v_cmp_eq_u32_e64 s[0:1], 1, v6
	s_nop 1
	v_cndmask_b32_e64 v5, v5, 1, s[0:1]
	s_waitcnt lgkmcnt(1)
	v_cmp_eq_u16_e64 s[0:1], 0, v58
	ds_write2_b32 v4, v2, v3 offset0:2 offset1:4
	ds_write_b8 v4, v5 offset:20
	v_cndmask_b32_e64 v2, 0, v3, s[0:1]
	v_and_b32_e32 v3, 1, v58
	v_add_u32_e32 v2, v2, v9
	v_cmp_eq_u32_e64 s[0:1], 1, v3
	s_nop 1
	v_cndmask_b32_e64 v3, v5, 1, s[0:1]
	ds_write_b32 v4, v2 offset:24
	ds_write_b8 v4, v3 offset:28
.LBB229_150:
	s_or_b64 exec, exec, s[52:53]
	s_waitcnt lgkmcnt(0)
	s_barrier
	s_and_saveexec_b64 s[0:1], s[4:5]
	s_cbranch_execz .LBB229_152
; %bb.151:
	v_add_u32_e32 v2, -1, v0
	v_lshrrev_b32_e32 v3, 5, v2
	v_add_lshl_u32 v2, v3, v2, 3
	ds_read_b32 v62, v2
	ds_read_u8 v63, v2 offset:4
.LBB229_152:
	s_or_b64 exec, exec, s[0:1]
	s_and_saveexec_b64 s[60:61], vcc
	s_cbranch_execz .LBB229_171
; %bb.153:
	v_mov_b32_e32 v5, 0
	ds_read_b64 v[2:3], v5 offset:2096
	v_mbcnt_lo_u32_b32 v4, -1, 0
	v_mbcnt_hi_u32_b32 v73, -1, v4
	s_mov_b32 s65, 0
	v_cmp_eq_u32_e64 s[52:53], 0, v73
	s_waitcnt lgkmcnt(0)
	v_readfirstlane_b32 s70, v3
	s_and_saveexec_b64 s[0:1], s[52:53]
	s_cbranch_execz .LBB229_155
; %bb.154:
	s_add_i32 s64, s75, 64
	s_lshl_b64 s[68:69], s[64:65], 4
	s_add_u32 s68, s72, s68
	s_addc_u32 s69, s73, s69
	s_and_b32 s79, s70, 0xff000000
	s_mov_b32 s78, s65
	s_and_b32 s81, s70, 0xff0000
	s_mov_b32 s80, s65
	s_or_b64 s[78:79], s[80:81], s[78:79]
	s_and_b32 s81, s70, 0xff00
	s_or_b64 s[78:79], s[78:79], s[80:81]
	s_and_b32 s81, s70, 0xff
	s_or_b64 s[64:65], s[78:79], s[80:81]
	v_mov_b32_e32 v3, s65
	v_mov_b32_e32 v4, 1
	v_mov_b64_e32 v[6:7], s[68:69]
	;;#ASMSTART
	global_store_dwordx4 v[6:7], v[2:5] off sc1	
s_waitcnt vmcnt(0)
	;;#ASMEND
.LBB229_155:
	s_or_b64 exec, exec, s[0:1]
	v_xad_u32 v58, v73, -1, s75
	v_add_u32_e32 v4, 64, v58
	v_lshl_add_u64 v[60:61], v[4:5], 4, s[72:73]
	;;#ASMSTART
	global_load_dwordx4 v[6:9], v[60:61] off sc1	
s_waitcnt vmcnt(0)
	;;#ASMEND
	s_nop 0
	v_and_b32_e32 v3, 0xff0000, v6
	v_and_b32_e32 v4, 0xff000000, v6
	;; [unrolled: 1-line block ×3, first 2 shown]
	v_or_b32_sdwa v3, v6, v3 dst_sel:DWORD dst_unused:UNUSED_PAD src0_sel:WORD_0 src1_sel:DWORD
	v_or3_b32 v7, 0, 0, v7
	v_or3_b32 v6, v3, v4, 0
	v_cmp_eq_u16_sdwa s[64:65], v8, v5 src0_sel:BYTE_0 src1_sel:DWORD
	s_and_saveexec_b64 s[0:1], s[64:65]
	s_cbranch_execz .LBB229_159
; %bb.156:
	s_mov_b64 s[64:65], 0
	v_mov_b32_e32 v3, 0
.LBB229_157:                            ; =>This Inner Loop Header: Depth=1
	;;#ASMSTART
	global_load_dwordx4 v[6:9], v[60:61] off sc1	
s_waitcnt vmcnt(0)
	;;#ASMEND
	s_nop 0
	v_cmp_ne_u16_sdwa s[68:69], v8, v3 src0_sel:BYTE_0 src1_sel:DWORD
	s_or_b64 s[64:65], s[68:69], s[64:65]
	s_andn2_b64 exec, exec, s[64:65]
	s_cbranch_execnz .LBB229_157
; %bb.158:
	s_or_b64 exec, exec, s[64:65]
	v_and_b32_e32 v7, 0xff, v7
.LBB229_159:
	s_or_b64 exec, exec, s[0:1]
	v_mov_b32_e32 v3, 2
	v_cmp_eq_u16_sdwa s[0:1], v8, v3 src0_sel:BYTE_0 src1_sel:DWORD
	v_lshlrev_b64 v[4:5], v73, -1
	v_and_b32_e32 v64, 63, v73
	v_and_b32_e32 v9, s1, v5
	v_or_b32_e32 v9, 0x80000000, v9
	v_and_b32_e32 v59, s0, v4
	v_ffbl_b32_e32 v9, v9
	v_add_u32_e32 v9, 32, v9
	v_ffbl_b32_e32 v59, v59
	v_cmp_ne_u32_e32 vcc, 63, v64
	v_min_u32_e32 v9, v59, v9
	s_mov_b32 s64, 0
	v_addc_co_u32_e32 v59, vcc, 0, v73, vcc
	v_lshlrev_b32_e32 v65, 2, v59
	ds_bpermute_b32 v59, v65, v7
	ds_bpermute_b32 v60, v65, v6
	v_and_b32_e32 v61, 1, v7
	s_mov_b32 s65, 1
	v_cmp_eq_u32_e32 vcc, 1, v61
	s_waitcnt lgkmcnt(1)
	v_and_b32_e32 v59, 1, v59
	v_cmp_lt_u32_e64 s[0:1], v64, v9
	v_cndmask_b32_e64 v59, v59, 1, vcc
	v_cmp_gt_u64_e32 vcc, s[64:65], v[6:7]
	s_and_b64 vcc, s[0:1], vcc
	v_and_b32_e32 v61, 0xffff, v59
	v_cndmask_b32_e64 v68, v7, v59, s[0:1]
	s_waitcnt lgkmcnt(0)
	v_cndmask_b32_e32 v59, 0, v60, vcc
	v_cmp_gt_u32_e32 vcc, 62, v64
	v_cndmask_b32_e64 v7, v7, v61, s[0:1]
	v_add_u32_e32 v6, v59, v6
	v_cndmask_b32_e64 v60, 0, 1, vcc
	v_lshlrev_b32_e32 v60, 1, v60
	v_add_lshl_u32 v66, v60, v73, 2
	ds_bpermute_b32 v60, v66, v7
	ds_bpermute_b32 v61, v66, v6
	v_and_b32_e32 v59, 1, v68
	v_cmp_eq_u32_e32 vcc, 1, v59
	v_mov_b32_e32 v59, 0
	s_waitcnt lgkmcnt(1)
	v_and_b32_e32 v60, 1, v60
	v_add_u32_e32 v67, 2, v64
	v_cndmask_b32_e64 v60, v60, 1, vcc
	v_cmp_eq_u16_sdwa vcc, v68, v59 src0_sel:BYTE_0 src1_sel:DWORD
	v_and_b32_e32 v69, 0xffff, v60
	v_add_u32_e32 v77, 32, v64
	s_waitcnt lgkmcnt(0)
	v_cndmask_b32_e32 v61, 0, v61, vcc
	v_cmp_gt_u32_e32 vcc, v67, v9
	s_nop 1
	v_cndmask_b32_e32 v60, v60, v68, vcc
	v_cndmask_b32_e64 v61, v61, 0, vcc
	v_cndmask_b32_e32 v7, v69, v7, vcc
	v_cmp_gt_u32_e32 vcc, 60, v64
	v_add_u32_e32 v6, v61, v6
	v_and_b32_e32 v71, 1, v60
	v_cndmask_b32_e64 v68, 0, 1, vcc
	v_lshlrev_b32_e32 v68, 2, v68
	v_add_lshl_u32 v68, v68, v73, 2
	ds_bpermute_b32 v70, v68, v7
	ds_bpermute_b32 v61, v68, v6
	v_cmp_eq_u32_e32 vcc, 1, v71
	v_add_u32_e32 v69, 4, v64
	s_waitcnt lgkmcnt(1)
	v_and_b32_e32 v70, 1, v70
	v_cndmask_b32_e64 v70, v70, 1, vcc
	v_cmp_eq_u16_sdwa vcc, v60, v59 src0_sel:BYTE_0 src1_sel:DWORD
	v_and_b32_e32 v71, 0xffff, v70
	s_waitcnt lgkmcnt(0)
	v_cndmask_b32_e32 v61, 0, v61, vcc
	v_cmp_gt_u32_e32 vcc, v69, v9
	s_nop 1
	v_cndmask_b32_e32 v60, v70, v60, vcc
	v_cndmask_b32_e64 v61, v61, 0, vcc
	v_cndmask_b32_e32 v7, v71, v7, vcc
	v_cmp_gt_u32_e32 vcc, 56, v64
	v_add_u32_e32 v6, v61, v6
	v_and_b32_e32 v74, 1, v60
	v_cndmask_b32_e64 v70, 0, 1, vcc
	v_lshlrev_b32_e32 v70, 3, v70
	v_add_lshl_u32 v70, v70, v73, 2
	ds_bpermute_b32 v72, v70, v7
	ds_bpermute_b32 v61, v70, v6
	v_cmp_eq_u32_e32 vcc, 1, v74
	v_add_u32_e32 v71, 8, v64
	s_waitcnt lgkmcnt(1)
	v_and_b32_e32 v72, 1, v72
	v_cndmask_b32_e64 v72, v72, 1, vcc
	v_cmp_eq_u16_sdwa vcc, v60, v59 src0_sel:BYTE_0 src1_sel:DWORD
	v_and_b32_e32 v74, 0xffff, v72
	;; [unrolled: 22-line block ×3, first 2 shown]
	s_waitcnt lgkmcnt(0)
	v_cndmask_b32_e32 v61, 0, v61, vcc
	v_cmp_gt_u32_e32 vcc, v74, v9
	s_nop 1
	v_cndmask_b32_e32 v60, v75, v60, vcc
	v_cndmask_b32_e64 v61, v61, 0, vcc
	v_cndmask_b32_e32 v7, v76, v7, vcc
	v_cmp_gt_u32_e32 vcc, 32, v64
	v_add_u32_e32 v6, v61, v6
	s_nop 0
	v_cndmask_b32_e64 v75, 0, 1, vcc
	v_lshlrev_b32_e32 v75, 5, v75
	v_add_lshl_u32 v76, v75, v73, 2
	ds_bpermute_b32 v7, v76, v7
	ds_bpermute_b32 v61, v76, v6
	v_and_b32_e32 v73, 1, v60
	v_cmp_eq_u32_e32 vcc, 1, v73
	s_waitcnt lgkmcnt(1)
	v_and_b32_e32 v7, 1, v7
	v_cndmask_b32_e64 v7, v7, 1, vcc
	v_cmp_eq_u16_sdwa vcc, v60, v59 src0_sel:BYTE_0 src1_sel:DWORD
	s_waitcnt lgkmcnt(0)
	s_nop 0
	v_cndmask_b32_e32 v61, 0, v61, vcc
	v_cmp_gt_u32_e32 vcc, v77, v9
	s_nop 1
	v_cndmask_b32_e64 v9, v61, 0, vcc
	v_cndmask_b32_e32 v7, v7, v60, vcc
	v_add_u32_e32 v6, v9, v6
	s_branch .LBB229_161
.LBB229_160:                            ;   in Loop: Header=BB229_161 Depth=1
	s_or_b64 exec, exec, s[0:1]
	v_cmp_eq_u16_sdwa s[0:1], v8, v3 src0_sel:BYTE_0 src1_sel:DWORD
	ds_bpermute_b32 v61, v65, v7
	v_and_b32_e32 v78, 1, v7
	v_and_b32_e32 v9, s1, v5
	v_or_b32_e32 v9, 0x80000000, v9
	v_and_b32_e32 v60, s0, v4
	v_ffbl_b32_e32 v9, v9
	v_add_u32_e32 v9, 32, v9
	v_ffbl_b32_e32 v60, v60
	v_min_u32_e32 v9, v60, v9
	ds_bpermute_b32 v60, v65, v6
	s_waitcnt lgkmcnt(1)
	v_and_b32_e32 v61, 1, v61
	v_cmp_eq_u32_e32 vcc, 1, v78
	v_cmp_lt_u32_e64 s[0:1], v64, v9
	v_subrev_u32_e32 v58, 64, v58
	v_cndmask_b32_e64 v61, v61, 1, vcc
	v_cmp_gt_u64_e32 vcc, s[64:65], v[6:7]
	v_and_b32_e32 v78, 0xffff, v61
	v_cndmask_b32_e64 v61, v7, v61, s[0:1]
	v_cndmask_b32_e64 v7, v7, v78, s[0:1]
	s_and_b64 vcc, s[0:1], vcc
	ds_bpermute_b32 v78, v66, v7
	s_waitcnt lgkmcnt(1)
	v_cndmask_b32_e32 v60, 0, v60, vcc
	v_add_u32_e32 v6, v60, v6
	ds_bpermute_b32 v60, v66, v6
	v_and_b32_e32 v79, 1, v61
	s_waitcnt lgkmcnt(1)
	v_and_b32_e32 v78, 1, v78
	v_cmp_eq_u32_e32 vcc, 1, v79
	s_nop 1
	v_cndmask_b32_e64 v78, v78, 1, vcc
	v_cmp_eq_u16_sdwa vcc, v61, v59 src0_sel:BYTE_0 src1_sel:DWORD
	v_and_b32_e32 v79, 0xffff, v78
	s_waitcnt lgkmcnt(0)
	v_cndmask_b32_e32 v60, 0, v60, vcc
	v_cmp_gt_u32_e32 vcc, v67, v9
	s_nop 1
	v_cndmask_b32_e32 v7, v79, v7, vcc
	v_cndmask_b32_e32 v61, v78, v61, vcc
	ds_bpermute_b32 v78, v68, v7
	v_cndmask_b32_e64 v60, v60, 0, vcc
	v_add_u32_e32 v6, v60, v6
	ds_bpermute_b32 v60, v68, v6
	v_and_b32_e32 v79, 1, v61
	s_waitcnt lgkmcnt(1)
	v_and_b32_e32 v78, 1, v78
	v_cmp_eq_u32_e32 vcc, 1, v79
	s_nop 1
	v_cndmask_b32_e64 v78, v78, 1, vcc
	v_cmp_eq_u16_sdwa vcc, v61, v59 src0_sel:BYTE_0 src1_sel:DWORD
	v_and_b32_e32 v79, 0xffff, v78
	s_waitcnt lgkmcnt(0)
	v_cndmask_b32_e32 v60, 0, v60, vcc
	v_cmp_gt_u32_e32 vcc, v69, v9
	s_nop 1
	v_cndmask_b32_e32 v7, v79, v7, vcc
	v_cndmask_b32_e32 v61, v78, v61, vcc
	ds_bpermute_b32 v78, v70, v7
	v_cndmask_b32_e64 v60, v60, 0, vcc
	;; [unrolled: 18-line block ×3, first 2 shown]
	v_add_u32_e32 v6, v60, v6
	ds_bpermute_b32 v60, v72, v6
	v_and_b32_e32 v79, 1, v61
	s_waitcnt lgkmcnt(1)
	v_and_b32_e32 v78, 1, v78
	v_cmp_eq_u32_e32 vcc, 1, v79
	s_nop 1
	v_cndmask_b32_e64 v78, v78, 1, vcc
	v_cmp_eq_u16_sdwa vcc, v61, v59 src0_sel:BYTE_0 src1_sel:DWORD
	v_and_b32_e32 v79, 0xffff, v78
	s_waitcnt lgkmcnt(0)
	v_cndmask_b32_e32 v60, 0, v60, vcc
	v_cmp_gt_u32_e32 vcc, v74, v9
	s_nop 1
	v_cndmask_b32_e64 v60, v60, 0, vcc
	v_cndmask_b32_e32 v7, v79, v7, vcc
	ds_bpermute_b32 v7, v76, v7
	v_add_u32_e32 v6, v60, v6
	ds_bpermute_b32 v60, v76, v6
	v_cndmask_b32_e32 v61, v78, v61, vcc
	v_and_b32_e32 v78, 1, v61
	v_cmp_eq_u32_e32 vcc, 1, v78
	s_waitcnt lgkmcnt(1)
	s_nop 0
	v_cndmask_b32_e64 v7, v7, 1, vcc
	v_cmp_eq_u16_sdwa vcc, v61, v59 src0_sel:BYTE_0 src1_sel:DWORD
	s_waitcnt lgkmcnt(0)
	s_nop 0
	v_cndmask_b32_e32 v60, 0, v60, vcc
	v_cmp_gt_u32_e32 vcc, v77, v9
	s_nop 1
	v_cndmask_b32_e64 v9, v60, 0, vcc
	v_cndmask_b32_e32 v7, v7, v61, vcc
	v_add_u32_e32 v6, v9, v6
	v_cmp_eq_u16_sdwa vcc, v73, v59 src0_sel:BYTE_0 src1_sel:DWORD
	v_and_b32_e32 v9, 1, v73
	v_and_b32_e32 v7, 1, v7
	v_cndmask_b32_e32 v6, 0, v6, vcc
	v_cmp_eq_u32_e32 vcc, 1, v9
	v_add_u32_e32 v6, v6, v75
	s_nop 0
	v_cndmask_b32_e64 v7, v7, 1, vcc
.LBB229_161:                            ; =>This Loop Header: Depth=1
                                        ;     Child Loop BB229_164 Depth 2
	v_cmp_ne_u16_sdwa s[0:1], v8, v3 src0_sel:BYTE_0 src1_sel:DWORD
	v_mov_b32_e32 v73, v7
	v_mov_b32_e32 v75, v6
	v_cndmask_b32_e64 v7, 0, 1, s[0:1]
	;;#ASMSTART
	;;#ASMEND
	s_nop 0
	v_cmp_ne_u32_e32 vcc, 0, v7
	s_cmp_lg_u64 vcc, exec
	s_cbranch_scc1 .LBB229_166
; %bb.162:                              ;   in Loop: Header=BB229_161 Depth=1
	v_lshl_add_u64 v[60:61], v[58:59], 4, s[72:73]
	;;#ASMSTART
	global_load_dwordx4 v[6:9], v[60:61] off sc1	
s_waitcnt vmcnt(0)
	;;#ASMEND
	s_nop 0
	v_and_b32_e32 v9, 0xff0000, v6
	v_and_b32_e32 v78, 0xff000000, v6
	;; [unrolled: 1-line block ×3, first 2 shown]
	v_or_b32_sdwa v6, v6, v9 dst_sel:DWORD dst_unused:UNUSED_PAD src0_sel:WORD_0 src1_sel:DWORD
	v_or3_b32 v7, 0, 0, v7
	v_or3_b32 v6, v6, v78, 0
	v_cmp_eq_u16_sdwa s[68:69], v8, v59 src0_sel:BYTE_0 src1_sel:DWORD
	s_and_saveexec_b64 s[0:1], s[68:69]
	s_cbranch_execz .LBB229_160
; %bb.163:                              ;   in Loop: Header=BB229_161 Depth=1
	s_mov_b64 s[68:69], 0
.LBB229_164:                            ;   Parent Loop BB229_161 Depth=1
                                        ; =>  This Inner Loop Header: Depth=2
	;;#ASMSTART
	global_load_dwordx4 v[6:9], v[60:61] off sc1	
s_waitcnt vmcnt(0)
	;;#ASMEND
	s_nop 0
	v_cmp_ne_u16_sdwa s[78:79], v8, v59 src0_sel:BYTE_0 src1_sel:DWORD
	s_or_b64 s[68:69], s[78:79], s[68:69]
	s_andn2_b64 exec, exec, s[68:69]
	s_cbranch_execnz .LBB229_164
; %bb.165:                              ;   in Loop: Header=BB229_161 Depth=1
	s_or_b64 exec, exec, s[68:69]
	v_and_b32_e32 v7, 0xff, v7
	s_branch .LBB229_160
.LBB229_166:                            ;   in Loop: Header=BB229_161 Depth=1
                                        ; implicit-def: $vgpr7
                                        ; implicit-def: $vgpr6
                                        ; implicit-def: $vgpr8
	s_cbranch_execz .LBB229_161
; %bb.167:
	s_and_saveexec_b64 s[0:1], s[52:53]
	s_cbranch_execz .LBB229_169
; %bb.168:
	s_and_b32 s52, s70, 0xff
	s_cmp_eq_u32 s52, 0
	s_cselect_b64 vcc, -1, 0
	s_bitcmp1_b32 s70, 0
	s_mov_b32 s53, 0
	s_cselect_b64 s[64:65], -1, 0
	s_add_i32 s52, s75, 64
	s_lshl_b64 s[52:53], s[52:53], 4
	v_cndmask_b32_e32 v3, 0, v75, vcc
	s_add_u32 s52, s72, s52
	v_add_u32_e32 v2, v3, v2
	v_and_b32_e32 v3, 1, v73
	s_addc_u32 s53, s73, s53
	v_mov_b32_e32 v5, 0
	v_cndmask_b32_e64 v3, v3, 1, s[64:65]
	v_mov_b32_e32 v4, 2
	v_mov_b64_e32 v[6:7], s[52:53]
	;;#ASMSTART
	global_store_dwordx4 v[6:7], v[2:5] off sc1	
s_waitcnt vmcnt(0)
	;;#ASMEND
.LBB229_169:
	s_or_b64 exec, exec, s[0:1]
	s_and_b64 exec, exec, s[54:55]
	s_cbranch_execz .LBB229_171
; %bb.170:
	v_mov_b32_e32 v2, 0
	ds_write_b32 v2, v75
	ds_write_b8 v2, v73 offset:4
.LBB229_171:
	s_or_b64 exec, exec, s[60:61]
	s_mov_b32 s0, 0
	v_mov_b32_e32 v2, 0
	s_mov_b32 s1, 1
	s_waitcnt lgkmcnt(0)
	s_barrier
	ds_read_b32 v3, v2
	v_cmp_gt_u64_e32 vcc, s[0:1], v[10:11]
	v_and_b32_e32 v5, 1, v11
	v_and_b32_e32 v6, 1, v63
	v_cndmask_b32_e32 v4, 0, v62, vcc
	v_cmp_eq_u32_e32 vcc, 1, v5
	v_cndmask_b32_e64 v4, v4, 0, s[54:55]
	s_nop 0
	v_cndmask_b32_e64 v5, v6, 1, vcc
	v_cndmask_b32_e64 v5, v5, v11, s[54:55]
	v_cmp_eq_u16_sdwa vcc, v5, v2 src0_sel:BYTE_0 src1_sel:DWORD
	s_waitcnt lgkmcnt(0)
	s_nop 0
	v_cndmask_b32_e32 v2, 0, v3, vcc
	v_add3_u32 v80, v4, v10, v2
	v_cndmask_b32_e64 v2, 0, v80, s[6:7]
	v_add_u32_e32 v58, v2, v12
	v_cndmask_b32_e64 v2, 0, v58, s[8:9]
	v_add_u32_e32 v59, v2, v14
	;; [unrolled: 2-line block ×22, first 2 shown]
	s_branch .LBB229_192
.LBB229_172:
                                        ; implicit-def: $vgpr78
                                        ; implicit-def: $vgpr77
                                        ; implicit-def: $vgpr76
                                        ; implicit-def: $vgpr75
                                        ; implicit-def: $vgpr74
                                        ; implicit-def: $vgpr73
                                        ; implicit-def: $vgpr72
                                        ; implicit-def: $vgpr71
                                        ; implicit-def: $vgpr70
                                        ; implicit-def: $vgpr69
                                        ; implicit-def: $vgpr68
                                        ; implicit-def: $vgpr67
                                        ; implicit-def: $vgpr66
                                        ; implicit-def: $vgpr65
                                        ; implicit-def: $vgpr64
                                        ; implicit-def: $vgpr63
                                        ; implicit-def: $vgpr62
                                        ; implicit-def: $vgpr61
                                        ; implicit-def: $vgpr60
                                        ; implicit-def: $vgpr59
                                        ; implicit-def: $vgpr58
                                        ; implicit-def: $vgpr80
                                        ; implicit-def: $vgpr79
	s_cbranch_execz .LBB229_192
; %bb.173:
	s_cmp_lg_u64 s[76:77], 0
	s_cselect_b32 s9, s67, 0
	s_cselect_b32 s8, s66, 0
	s_cmp_lg_u64 s[8:9], 0
	s_cselect_b64 s[6:7], -1, 0
	s_mov_b32 s0, 0
	s_and_b64 s[10:11], s[54:55], s[6:7]
	s_and_saveexec_b64 s[6:7], s[10:11]
	s_cbranch_execz .LBB229_175
; %bb.174:
	v_mov_b32_e32 v2, 0
	global_load_dword v4, v2, s[8:9]
	global_load_ubyte v5, v2, s[8:9] offset:4
	s_mov_b32 s1, 1
	v_and_b32_e32 v3, 1, v11
	v_cmp_gt_u64_e32 vcc, s[0:1], v[10:11]
	s_waitcnt vmcnt(0)
	v_and_b32_e32 v5, 1, v5
	v_cndmask_b32_e32 v4, 0, v4, vcc
	v_cmp_eq_u64_e32 vcc, 0, v[2:3]
	v_add_u32_e32 v10, v4, v10
	s_nop 0
	v_cndmask_b32_e32 v11, 1, v5, vcc
.LBB229_175:
	s_or_b64 exec, exec, s[6:7]
	s_mov_b32 s1, 1
	v_cmp_gt_u64_e32 vcc, s[0:1], v[12:13]
	v_cmp_gt_u64_e64 s[6:7], s[0:1], v[14:15]
	v_cmp_gt_u64_e64 s[8:9], s[0:1], v[16:17]
	v_cndmask_b32_e32 v2, 0, v10, vcc
	v_add_u32_e32 v58, v2, v12
	v_cndmask_b32_e64 v2, 0, v58, s[6:7]
	v_add_u32_e32 v59, v2, v14
	v_cndmask_b32_e64 v2, 0, v59, s[8:9]
	v_add_u32_e32 v60, v2, v16
	v_cmp_gt_u64_e64 s[10:11], s[0:1], v[18:19]
	v_cmp_gt_u64_e64 s[12:13], s[0:1], v[20:21]
	v_cmp_gt_u64_e64 s[14:15], s[0:1], v[22:23]
	v_cndmask_b32_e64 v2, 0, v60, s[10:11]
	v_add_u32_e32 v61, v2, v18
	v_cndmask_b32_e64 v2, 0, v61, s[12:13]
	v_add_u32_e32 v62, v2, v20
	v_cndmask_b32_e64 v2, 0, v62, s[14:15]
	v_add_u32_e32 v63, v2, v22
	v_cmp_gt_u64_e64 s[16:17], s[0:1], v[24:25]
	v_cmp_gt_u64_e64 s[18:19], s[0:1], v[26:27]
	v_cmp_gt_u64_e64 s[20:21], s[0:1], v[28:29]
	v_cndmask_b32_e64 v2, 0, v63, s[16:17]
	;; [unrolled: 9-line block ×6, first 2 shown]
	v_add_u32_e32 v76, v2, v48
	v_cndmask_b32_e64 v2, 0, v76, s[44:45]
	v_add_u32_e32 v77, v2, v50
	v_cndmask_b32_e64 v2, 0, v77, s[46:47]
	v_add_u32_e32 v78, v2, v52
	v_cmp_gt_u64_e64 s[48:49], s[0:1], v[56:57]
	v_add_lshl_u32 v1, v1, v0, 3
	s_nop 0
	v_cndmask_b32_e64 v2, 0, v78, s[48:49]
	v_add_u32_e32 v79, v2, v56
	v_or3_b32 v2, v55, v51, v49
	v_or3_b32 v2, v2, v47, v45
	;; [unrolled: 1-line block ×10, first 2 shown]
	v_and_b32_e32 v2, 1, v2
	v_cmp_eq_u32_e64 s[0:1], 1, v2
	s_nop 1
	v_cndmask_b32_e64 v4, v11, 1, s[0:1]
	v_cmp_gt_u32_e64 s[0:1], 64, v0
	ds_write_b32 v1, v79
	ds_write_b8 v1, v4 offset:4
	s_waitcnt lgkmcnt(0)
	s_barrier
	s_and_saveexec_b64 s[50:51], s[0:1]
	s_cbranch_execz .LBB229_187
; %bb.176:
	v_lshrrev_b32_e32 v1, 3, v0
	v_add_lshl_u32 v1, v1, v54, 3
	ds_read2_b32 v[6:7], v1 offset0:2 offset1:4
	ds_read_b64 v[2:3], v1
	ds_read_u8 v8, v1 offset:12
	ds_read_u8 v9, v1 offset:20
	ds_read_b32 v13, v1 offset:24
	ds_read_u8 v15, v1 offset:28
	v_mov_b32_e32 v17, 0
	s_waitcnt lgkmcnt(3)
	v_cmp_eq_u16_sdwa s[0:1], v8, v17 src0_sel:BYTE_0 src1_sel:DWORD
	v_and_b32_e32 v5, 1, v3
	s_nop 0
	v_cndmask_b32_e64 v19, 0, v2, s[0:1]
	v_add_u32_e32 v6, v19, v6
	s_waitcnt lgkmcnt(2)
	v_cmp_eq_u16_sdwa s[0:1], v9, v17 src0_sel:BYTE_0 src1_sel:DWORD
	s_nop 1
	v_cndmask_b32_e64 v6, 0, v6, s[0:1]
	v_add_u32_e32 v6, v6, v7
	s_waitcnt lgkmcnt(0)
	v_cmp_eq_u16_e64 s[0:1], 0, v15
	s_nop 1
	v_cndmask_b32_e64 v6, 0, v6, s[0:1]
	v_add_u32_e32 v7, v6, v13
	v_or_b32_e32 v6, v15, v9
	v_or_b32_e32 v6, v6, v8
	v_and_b32_e32 v6, 1, v6
	v_cmp_eq_u32_e64 s[0:1], 1, v6
	v_mbcnt_lo_u32_b32 v8, -1, 0
	v_and_b32_e32 v6, 0xffffff00, v3
	v_cndmask_b32_e64 v9, v5, 1, s[0:1]
	v_mbcnt_hi_u32_b32 v8, -1, v8
	v_and_b32_e32 v15, 15, v8
	v_or_b32_sdwa v13, v6, v9 dst_sel:DWORD dst_unused:UNUSED_PAD src0_sel:DWORD src1_sel:WORD_0
	v_mov_b32_dpp v17, v7 row_shr:1 row_mask:0xf bank_mask:0xf
	v_cmp_ne_u32_e64 s[0:1], 0, v15
	v_mov_b32_dpp v19, v13 row_shr:1 row_mask:0xf bank_mask:0xf
	s_and_saveexec_b64 s[52:53], s[0:1]
; %bb.177:
	v_and_b32_e32 v13, 1, v9
	v_and_b32_e32 v19, 1, v19
	v_cmp_eq_u32_e64 s[0:1], 1, v13
	s_nop 1
	v_cndmask_b32_e64 v19, v19, 1, s[0:1]
	v_cmp_eq_u16_e64 s[0:1], 0, v9
	v_or_b32_sdwa v13, v6, v19 dst_sel:DWORD dst_unused:UNUSED_PAD src0_sel:DWORD src1_sel:WORD_0
	s_nop 0
	v_cndmask_b32_e64 v9, 0, v17, s[0:1]
	v_add_u32_e32 v7, v9, v7
	v_mov_b32_e32 v9, v19
; %bb.178:
	s_or_b64 exec, exec, s[52:53]
	v_mov_b32_dpp v17, v7 row_shr:2 row_mask:0xf bank_mask:0xf
	v_mov_b32_dpp v19, v13 row_shr:2 row_mask:0xf bank_mask:0xf
	v_cmp_lt_u32_e64 s[0:1], 1, v15
	s_and_saveexec_b64 s[52:53], s[0:1]
; %bb.179:
	v_and_b32_e32 v13, 1, v9
	v_and_b32_e32 v19, 1, v19
	v_cmp_eq_u32_e64 s[0:1], 1, v13
	s_nop 1
	v_cndmask_b32_e64 v19, v19, 1, s[0:1]
	v_cmp_eq_u16_e64 s[0:1], 0, v9
	v_or_b32_sdwa v13, v6, v19 dst_sel:DWORD dst_unused:UNUSED_PAD src0_sel:DWORD src1_sel:WORD_0
	s_nop 0
	v_cndmask_b32_e64 v9, 0, v17, s[0:1]
	v_add_u32_e32 v7, v9, v7
	v_mov_b32_e32 v9, v19
; %bb.180:
	s_or_b64 exec, exec, s[52:53]
	v_mov_b32_dpp v17, v7 row_shr:4 row_mask:0xf bank_mask:0xf
	v_mov_b32_dpp v19, v13 row_shr:4 row_mask:0xf bank_mask:0xf
	v_cmp_lt_u32_e64 s[0:1], 3, v15
	;; [unrolled: 18-line block ×3, first 2 shown]
	s_and_saveexec_b64 s[52:53], s[0:1]
; %bb.183:
	v_and_b32_e32 v13, 1, v9
	v_and_b32_e32 v15, 1, v19
	v_cmp_eq_u32_e64 s[0:1], 1, v13
	s_nop 1
	v_cndmask_b32_e64 v15, v15, 1, s[0:1]
	v_cmp_eq_u16_e64 s[0:1], 0, v9
	v_or_b32_sdwa v13, v6, v15 dst_sel:DWORD dst_unused:UNUSED_PAD src0_sel:DWORD src1_sel:WORD_0
	s_nop 0
	v_cndmask_b32_e64 v9, 0, v17, s[0:1]
	v_add_u32_e32 v7, v9, v7
	v_mov_b32_e32 v9, v15
; %bb.184:
	s_or_b64 exec, exec, s[52:53]
	v_and_b32_e32 v19, 16, v8
	v_mov_b32_dpp v15, v7 row_bcast:15 row_mask:0xf bank_mask:0xf
	v_mov_b32_dpp v17, v13 row_bcast:15 row_mask:0xf bank_mask:0xf
	v_cmp_ne_u32_e64 s[0:1], 0, v19
	s_and_saveexec_b64 s[52:53], s[0:1]
; %bb.185:
	v_and_b32_e32 v13, 1, v9
	v_and_b32_e32 v17, 1, v17
	v_cmp_eq_u32_e64 s[0:1], 1, v13
	s_nop 1
	v_cndmask_b32_e64 v17, v17, 1, s[0:1]
	v_cmp_eq_u16_e64 s[0:1], 0, v9
	v_or_b32_sdwa v13, v6, v17 dst_sel:DWORD dst_unused:UNUSED_PAD src0_sel:DWORD src1_sel:WORD_0
	s_nop 0
	v_cndmask_b32_e64 v9, 0, v15, s[0:1]
	v_add_u32_e32 v7, v9, v7
	v_mov_b32_e32 v9, v17
; %bb.186:
	s_or_b64 exec, exec, s[52:53]
	v_mov_b32_dpp v13, v13 row_bcast:31 row_mask:0xf bank_mask:0xf
	v_and_b32_e32 v17, 1, v9
	v_and_b32_e32 v13, 1, v13
	v_cmp_eq_u32_e64 s[0:1], 1, v17
	v_mov_b32_e32 v17, 0
	v_cmp_eq_u16_sdwa s[52:53], v9, v17 src0_sel:BYTE_0 src1_sel:DWORD
	v_cndmask_b32_e64 v13, v13, 1, s[0:1]
	v_cmp_lt_u32_e64 s[0:1], 31, v8
	v_mov_b32_dpp v15, v7 row_bcast:31 row_mask:0xf bank_mask:0xf
	s_movk_i32 s60, 0xff
	v_cndmask_b32_e64 v9, v9, v13, s[0:1]
	s_and_b64 s[0:1], s[0:1], s[52:53]
	v_cndmask_b32_e64 v13, 0, v15, s[0:1]
	v_add_u32_e32 v7, v13, v7
	v_add_u32_e32 v13, -1, v8
	v_and_b32_e32 v15, 64, v8
	v_cmp_lt_i32_e64 s[0:1], v13, v15
	v_and_or_b32 v6, v9, s60, v6
	s_nop 0
	v_cndmask_b32_e64 v8, v13, v8, s[0:1]
	v_lshlrev_b32_e32 v8, 2, v8
	ds_bpermute_b32 v7, v8, v7
	ds_bpermute_b32 v6, v8, v6
	v_cmp_eq_u16_sdwa s[0:1], v3, v17 src0_sel:BYTE_0 src1_sel:DWORD
	; wave barrier
	s_waitcnt lgkmcnt(1)
	s_nop 0
	v_cndmask_b32_e64 v3, 0, v7, s[0:1]
	v_add_u32_e32 v2, v3, v2
	s_waitcnt lgkmcnt(0)
	v_and_b32_e32 v3, 1, v6
	v_cmp_eq_u32_e64 s[0:1], 1, v5
	v_cndmask_b32_e64 v5, v2, v79, s[54:55]
	s_nop 0
	v_cndmask_b32_e64 v3, v3, 1, s[0:1]
	v_cndmask_b32_e64 v4, v3, v4, s[54:55]
	ds_write_b32 v1, v5
	ds_write_b8 v1, v4 offset:4
	; wave barrier
	ds_read_u8 v6, v1 offset:12
	ds_read2_b32 v[2:3], v1 offset0:2 offset1:4
	ds_read_u8 v7, v1 offset:20
	ds_read_b32 v8, v1 offset:24
	ds_read_u8 v9, v1 offset:28
	s_waitcnt lgkmcnt(4)
	v_cmp_eq_u16_e64 s[0:1], 0, v6
	s_nop 1
	v_cndmask_b32_e64 v5, 0, v5, s[0:1]
	s_waitcnt lgkmcnt(3)
	v_add_u32_e32 v2, v5, v2
	v_and_b32_e32 v5, 1, v6
	v_cmp_eq_u32_e64 s[0:1], 1, v5
	s_nop 1
	v_cndmask_b32_e64 v4, v4, 1, s[0:1]
	s_waitcnt lgkmcnt(2)
	v_cmp_eq_u16_e64 s[0:1], 0, v7
	ds_write_b8 v1, v4 offset:12
	s_nop 0
	v_cndmask_b32_e64 v5, 0, v2, s[0:1]
	v_add_u32_e32 v3, v5, v3
	v_and_b32_e32 v5, 1, v7
	v_cmp_eq_u32_e64 s[0:1], 1, v5
	s_nop 1
	v_cndmask_b32_e64 v4, v4, 1, s[0:1]
	s_waitcnt lgkmcnt(1)
	v_cmp_eq_u16_e64 s[0:1], 0, v9
	ds_write2_b32 v1, v2, v3 offset0:2 offset1:4
	ds_write_b8 v1, v4 offset:20
	v_cndmask_b32_e64 v2, 0, v3, s[0:1]
	v_and_b32_e32 v3, 1, v9
	v_add_u32_e32 v2, v2, v8
	v_cmp_eq_u32_e64 s[0:1], 1, v3
	s_nop 1
	v_cndmask_b32_e64 v3, v4, 1, s[0:1]
	ds_write_b32 v1, v2 offset:24
	ds_write_b8 v1, v3 offset:28
.LBB229_187:
	s_or_b64 exec, exec, s[50:51]
	v_mov_b32_e32 v1, v79
	s_waitcnt lgkmcnt(0)
	s_barrier
	s_and_saveexec_b64 s[0:1], s[4:5]
	s_cbranch_execnz .LBB229_265
; %bb.188:
	s_or_b64 exec, exec, s[0:1]
	s_and_saveexec_b64 s[50:51], s[4:5]
	s_cbranch_execnz .LBB229_266
.LBB229_189:
	s_or_b64 exec, exec, s[50:51]
	s_and_saveexec_b64 s[0:1], s[54:55]
	s_cbranch_execz .LBB229_191
.LBB229_190:
	v_mov_b32_e32 v5, 0
	ds_read_b32 v2, v5 offset:2096
	ds_read_u8 v3, v5 offset:2100
	s_add_u32 s4, s72, 0x400
	s_addc_u32 s5, s73, 0
	v_mov_b32_e32 v4, 2
	v_mov_b64_e32 v[6:7], s[4:5]
	s_waitcnt lgkmcnt(0)
	;;#ASMSTART
	global_store_dwordx4 v[6:7], v[2:5] off sc1	
s_waitcnt vmcnt(0)
	;;#ASMEND
.LBB229_191:
	s_or_b64 exec, exec, s[0:1]
	v_mov_b32_e32 v80, v10
.LBB229_192:
	s_add_u32 s0, s62, s58
	s_addc_u32 s1, s63, s59
	s_add_u32 s0, s0, s56
	s_addc_u32 s1, s1, s57
	s_and_b64 vcc, exec, s[2:3]
	s_cbranch_vccz .LBB229_238
; %bb.193:
	s_movk_i32 s2, 0x5c
	v_mul_i32_i24_e32 v26, 0xffffffa8, v0
	s_waitcnt lgkmcnt(0)
	v_mul_u32_u24_e32 v1, 0x5c, v0
	v_mad_u32_u24 v2, v0, s2, v26
	s_barrier
	ds_write2_b32 v1, v80, v58 offset1:1
	ds_write2_b32 v1, v59, v60 offset0:2 offset1:3
	ds_write2_b32 v1, v61, v62 offset0:4 offset1:5
	;; [unrolled: 1-line block ×10, first 2 shown]
	ds_write_b32 v1, v79 offset:88
	s_waitcnt lgkmcnt(0)
	s_barrier
	ds_read2st64_b32 v[24:25], v2 offset0:4 offset1:8
	ds_read2st64_b32 v[22:23], v2 offset0:12 offset1:16
	;; [unrolled: 1-line block ×11, first 2 shown]
	s_add_i32 s33, s33, s74
	v_mov_b32_e32 v55, 0
	v_lshl_add_u64 v[4:5], s[0:1], 0, v[54:55]
	v_cmp_gt_u32_e32 vcc, s33, v0
	s_and_saveexec_b64 s[2:3], vcc
	s_cbranch_execz .LBB229_195
; %bb.194:
	v_add_u32_e32 v1, v1, v26
	ds_read_b32 v1, v1
	s_waitcnt lgkmcnt(0)
	flat_store_dword v[4:5], v1
.LBB229_195:
	s_or_b64 exec, exec, s[2:3]
	v_or_b32_e32 v1, 0x100, v0
	v_cmp_gt_u32_e32 vcc, s33, v1
	s_and_saveexec_b64 s[2:3], vcc
	s_cbranch_execz .LBB229_197
; %bb.196:
	s_waitcnt lgkmcnt(0)
	flat_store_dword v[4:5], v24 offset:1024
.LBB229_197:
	s_or_b64 exec, exec, s[2:3]
	v_or_b32_e32 v1, 0x200, v0
	v_cmp_gt_u32_e32 vcc, s33, v1
	s_and_saveexec_b64 s[2:3], vcc
	s_cbranch_execz .LBB229_199
; %bb.198:
	s_waitcnt lgkmcnt(0)
	flat_store_dword v[4:5], v25 offset:2048
.LBB229_199:
	;; [unrolled: 9-line block ×3, first 2 shown]
	s_or_b64 exec, exec, s[2:3]
	v_or_b32_e32 v1, 0x400, v0
	v_cmp_gt_u32_e32 vcc, s33, v1
	s_and_saveexec_b64 s[2:3], vcc
	s_cbranch_execz .LBB229_203
; %bb.202:
	s_waitcnt lgkmcnt(0)
	v_add_co_u32_e32 v24, vcc, 0x1000, v4
	s_nop 1
	v_addc_co_u32_e32 v25, vcc, 0, v5, vcc
	flat_store_dword v[24:25], v23
.LBB229_203:
	s_or_b64 exec, exec, s[2:3]
	v_or_b32_e32 v1, 0x500, v0
	v_cmp_gt_u32_e32 vcc, s33, v1
	s_and_saveexec_b64 s[2:3], vcc
	s_cbranch_execz .LBB229_205
; %bb.204:
	s_waitcnt lgkmcnt(0)
	v_add_co_u32_e32 v22, vcc, 0x1000, v4
	s_nop 1
	v_addc_co_u32_e32 v23, vcc, 0, v5, vcc
	flat_store_dword v[22:23], v20 offset:1024
.LBB229_205:
	s_or_b64 exec, exec, s[2:3]
	v_or_b32_e32 v1, 0x600, v0
	v_cmp_gt_u32_e32 vcc, s33, v1
	s_and_saveexec_b64 s[2:3], vcc
	s_cbranch_execz .LBB229_207
; %bb.206:
	s_waitcnt lgkmcnt(0)
	v_add_co_u32_e32 v22, vcc, 0x1000, v4
	s_nop 1
	v_addc_co_u32_e32 v23, vcc, 0, v5, vcc
	flat_store_dword v[22:23], v21 offset:2048
.LBB229_207:
	s_or_b64 exec, exec, s[2:3]
	v_or_b32_e32 v1, 0x700, v0
	v_cmp_gt_u32_e32 vcc, s33, v1
	s_and_saveexec_b64 s[2:3], vcc
	s_cbranch_execz .LBB229_209
; %bb.208:
	s_waitcnt lgkmcnt(0)
	v_add_co_u32_e32 v20, vcc, 0x1000, v4
	s_nop 1
	v_addc_co_u32_e32 v21, vcc, 0, v5, vcc
	flat_store_dword v[20:21], v18 offset:3072
.LBB229_209:
	s_or_b64 exec, exec, s[2:3]
	v_or_b32_e32 v1, 0x800, v0
	v_cmp_gt_u32_e32 vcc, s33, v1
	s_and_saveexec_b64 s[2:3], vcc
	s_cbranch_execz .LBB229_211
; %bb.210:
	s_waitcnt lgkmcnt(0)
	v_add_co_u32_e32 v20, vcc, 0x2000, v4
	s_nop 1
	v_addc_co_u32_e32 v21, vcc, 0, v5, vcc
	flat_store_dword v[20:21], v19
.LBB229_211:
	s_or_b64 exec, exec, s[2:3]
	v_or_b32_e32 v1, 0x900, v0
	v_cmp_gt_u32_e32 vcc, s33, v1
	s_and_saveexec_b64 s[2:3], vcc
	s_cbranch_execz .LBB229_213
; %bb.212:
	s_waitcnt lgkmcnt(0)
	v_add_co_u32_e32 v18, vcc, 0x2000, v4
	s_nop 1
	v_addc_co_u32_e32 v19, vcc, 0, v5, vcc
	flat_store_dword v[18:19], v16 offset:1024
.LBB229_213:
	s_or_b64 exec, exec, s[2:3]
	v_or_b32_e32 v1, 0xa00, v0
	v_cmp_gt_u32_e32 vcc, s33, v1
	s_and_saveexec_b64 s[2:3], vcc
	s_cbranch_execz .LBB229_215
; %bb.214:
	s_waitcnt lgkmcnt(0)
	v_add_co_u32_e32 v18, vcc, 0x2000, v4
	s_nop 1
	v_addc_co_u32_e32 v19, vcc, 0, v5, vcc
	flat_store_dword v[18:19], v17 offset:2048
.LBB229_215:
	s_or_b64 exec, exec, s[2:3]
	v_or_b32_e32 v1, 0xb00, v0
	v_cmp_gt_u32_e32 vcc, s33, v1
	s_and_saveexec_b64 s[2:3], vcc
	s_cbranch_execz .LBB229_217
; %bb.216:
	s_waitcnt lgkmcnt(0)
	v_add_co_u32_e32 v16, vcc, 0x2000, v4
	s_nop 1
	v_addc_co_u32_e32 v17, vcc, 0, v5, vcc
	flat_store_dword v[16:17], v14 offset:3072
.LBB229_217:
	;; [unrolled: 48-line block ×4, first 2 shown]
	s_or_b64 exec, exec, s[2:3]
	v_or_b32_e32 v1, 0x1400, v0
	v_cmp_gt_u32_e32 vcc, s33, v1
	s_and_saveexec_b64 s[2:3], vcc
	s_cbranch_execz .LBB229_235
; %bb.234:
	s_waitcnt lgkmcnt(0)
	v_add_co_u32_e32 v8, vcc, 0x5000, v4
	s_nop 1
	v_addc_co_u32_e32 v9, vcc, 0, v5, vcc
	flat_store_dword v[8:9], v7
.LBB229_235:
	s_or_b64 exec, exec, s[2:3]
	v_or_b32_e32 v1, 0x1500, v0
	v_cmp_gt_u32_e32 vcc, s33, v1
	s_and_saveexec_b64 s[2:3], vcc
	s_cbranch_execz .LBB229_237
; %bb.236:
	v_add_co_u32_e32 v4, vcc, 0x5000, v4
	s_nop 1
	v_addc_co_u32_e32 v5, vcc, 0, v5, vcc
	s_waitcnt lgkmcnt(0)
	flat_store_dword v[4:5], v2 offset:1024
.LBB229_237:
	s_or_b64 exec, exec, s[2:3]
	s_waitcnt lgkmcnt(0)
	v_or_b32_e32 v2, 0x1600, v0
	v_mov_b32_e32 v1, v55
	v_cmp_gt_u32_e64 s[2:3], s33, v2
	s_branch .LBB229_240
.LBB229_238:
	s_mov_b64 s[2:3], 0
                                        ; implicit-def: $vgpr3
	s_cbranch_execz .LBB229_240
; %bb.239:
	s_waitcnt lgkmcnt(0)
	v_mul_u32_u24_e32 v1, 0x5c, v0
	s_barrier
	s_movk_i32 s4, 0x5c
	ds_write2_b32 v1, v80, v58 offset1:1
	ds_write2_b32 v1, v59, v60 offset0:2 offset1:3
	ds_write2_b32 v1, v61, v62 offset0:4 offset1:5
	;; [unrolled: 1-line block ×10, first 2 shown]
	ds_write_b32 v1, v79 offset:88
	v_mov_b32_e32 v1, 0
	v_mul_i32_i24_e32 v2, 0xffffffa8, v0
	v_mad_u32_u24 v2, v0, s4, v2
	v_mov_b32_e32 v55, v1
	s_waitcnt lgkmcnt(0)
	s_barrier
	ds_read2st64_b32 v[4:5], v2 offset1:4
	ds_read2st64_b32 v[6:7], v2 offset0:8 offset1:12
	ds_read2st64_b32 v[8:9], v2 offset0:16 offset1:20
	ds_read2st64_b32 v[10:11], v2 offset0:24 offset1:28
	ds_read2st64_b32 v[12:13], v2 offset0:32 offset1:36
	ds_read2st64_b32 v[14:15], v2 offset0:40 offset1:44
	ds_read2st64_b32 v[16:17], v2 offset0:48 offset1:52
	ds_read2st64_b32 v[18:19], v2 offset0:56 offset1:60
	ds_read2st64_b32 v[20:21], v2 offset0:64 offset1:68
	ds_read2st64_b32 v[22:23], v2 offset0:72 offset1:76
	ds_read2st64_b32 v[24:25], v2 offset0:80 offset1:84
	ds_read_b32 v3, v2 offset:22528
	v_lshl_add_u64 v[26:27], s[0:1], 0, v[54:55]
	s_movk_i32 s4, 0x1000
	s_waitcnt lgkmcnt(0)
	flat_store_dword v[26:27], v4
	flat_store_dword v[26:27], v5 offset:1024
	flat_store_dword v[26:27], v6 offset:2048
	;; [unrolled: 1-line block ×3, first 2 shown]
	v_add_co_u32_e32 v4, vcc, s4, v26
	s_movk_i32 s4, 0x2000
	s_nop 0
	v_addc_co_u32_e32 v5, vcc, 0, v27, vcc
	flat_store_dword v[4:5], v8
	flat_store_dword v[4:5], v9 offset:1024
	flat_store_dword v[4:5], v10 offset:2048
	;; [unrolled: 1-line block ×3, first 2 shown]
	v_add_co_u32_e32 v4, vcc, s4, v26
	s_movk_i32 s4, 0x3000
	s_nop 0
	v_addc_co_u32_e32 v5, vcc, 0, v27, vcc
	flat_store_dword v[4:5], v12
	flat_store_dword v[4:5], v13 offset:1024
	flat_store_dword v[4:5], v14 offset:2048
	;; [unrolled: 1-line block ×3, first 2 shown]
	v_add_co_u32_e32 v4, vcc, s4, v26
	s_or_b64 s[2:3], s[2:3], exec
	s_nop 0
	v_addc_co_u32_e32 v5, vcc, 0, v27, vcc
	flat_store_dword v[4:5], v16
	flat_store_dword v[4:5], v17 offset:1024
	flat_store_dword v[4:5], v18 offset:2048
	;; [unrolled: 1-line block ×3, first 2 shown]
	v_add_co_u32_e32 v4, vcc, 0x4000, v26
	s_nop 1
	v_addc_co_u32_e32 v5, vcc, 0, v27, vcc
	flat_store_dword v[4:5], v20
	flat_store_dword v[4:5], v21 offset:1024
	flat_store_dword v[4:5], v22 offset:2048
	;; [unrolled: 1-line block ×3, first 2 shown]
	v_add_co_u32_e32 v4, vcc, 0x5000, v26
	s_nop 1
	v_addc_co_u32_e32 v5, vcc, 0, v27, vcc
	flat_store_dword v[4:5], v24
	flat_store_dword v[4:5], v25 offset:1024
.LBB229_240:
	s_and_saveexec_b64 s[4:5], s[2:3]
	s_cbranch_execnz .LBB229_242
; %bb.241:
	s_endpgm
.LBB229_242:
	s_waitcnt lgkmcnt(0)
	v_lshl_add_u64 v[0:1], v[0:1], 2, s[0:1]
	v_add_co_u32_e32 v0, vcc, 0x5000, v0
	s_nop 1
	v_addc_co_u32_e32 v1, vcc, 0, v1, vcc
	flat_store_dword v[0:1], v3 offset:2048
	s_endpgm
.LBB229_243:
	v_lshl_add_u64 v[48:49], s[60:61], 0, v[44:45]
	flat_load_dword v48, v[48:49]
	s_or_b64 exec, exec, s[0:1]
                                        ; implicit-def: $vgpr49
	s_and_saveexec_b64 s[0:1], s[8:9]
	s_cbranch_execz .LBB229_59
.LBB229_244:
	v_mov_b32_e32 v45, 0
	v_lshl_add_u64 v[50:51], s[60:61], 0, v[44:45]
	flat_load_dword v49, v[50:51] offset:1024
	s_or_b64 exec, exec, s[0:1]
                                        ; implicit-def: $vgpr50
	s_and_saveexec_b64 s[0:1], s[10:11]
	s_cbranch_execz .LBB229_60
.LBB229_245:
	v_mov_b32_e32 v45, 0
	v_lshl_add_u64 v[50:51], s[60:61], 0, v[44:45]
	flat_load_dword v50, v[50:51] offset:2048
	s_or_b64 exec, exec, s[0:1]
                                        ; implicit-def: $vgpr45
	s_and_saveexec_b64 s[0:1], s[12:13]
	s_cbranch_execz .LBB229_61
.LBB229_246:
	v_mov_b32_e32 v45, 0
	v_lshl_add_u64 v[52:53], s[60:61], 0, v[44:45]
	flat_load_dword v45, v[52:53] offset:3072
	s_or_b64 exec, exec, s[0:1]
                                        ; implicit-def: $vgpr3
	s_and_saveexec_b64 s[0:1], s[14:15]
	s_cbranch_execz .LBB229_62
.LBB229_247:
	v_mov_b32_e32 v3, 0
	v_lshl_add_u64 v[2:3], s[60:61], 0, v[2:3]
	flat_load_dword v3, v[2:3]
	s_or_b64 exec, exec, s[0:1]
                                        ; implicit-def: $vgpr2
	s_and_saveexec_b64 s[0:1], s[16:17]
	s_cbranch_execz .LBB229_63
.LBB229_248:
	v_mov_b32_e32 v11, 0
	v_lshl_add_u64 v[10:11], s[60:61], 0, v[10:11]
	flat_load_dword v2, v[10:11]
	s_or_b64 exec, exec, s[0:1]
                                        ; implicit-def: $vgpr10
	s_and_saveexec_b64 s[0:1], s[18:19]
	s_cbranch_execz .LBB229_64
.LBB229_249:
	v_mov_b32_e32 v13, 0
	v_lshl_add_u64 v[10:11], s[60:61], 0, v[12:13]
	flat_load_dword v10, v[10:11]
	s_or_b64 exec, exec, s[0:1]
                                        ; implicit-def: $vgpr11
	s_and_saveexec_b64 s[0:1], s[20:21]
	s_cbranch_execz .LBB229_65
.LBB229_250:
	v_mov_b32_e32 v15, 0
	v_lshl_add_u64 v[12:13], s[60:61], 0, v[14:15]
	flat_load_dword v11, v[12:13]
	s_or_b64 exec, exec, s[0:1]
                                        ; implicit-def: $vgpr12
	s_and_saveexec_b64 s[0:1], s[22:23]
	s_cbranch_execz .LBB229_66
.LBB229_251:
	v_mov_b32_e32 v17, 0
	v_lshl_add_u64 v[12:13], s[60:61], 0, v[16:17]
	flat_load_dword v12, v[12:13]
	s_or_b64 exec, exec, s[0:1]
                                        ; implicit-def: $vgpr13
	s_and_saveexec_b64 s[0:1], s[24:25]
	s_cbranch_execz .LBB229_67
.LBB229_252:
	v_mov_b32_e32 v19, 0
	v_lshl_add_u64 v[14:15], s[60:61], 0, v[18:19]
	flat_load_dword v13, v[14:15]
	s_or_b64 exec, exec, s[0:1]
                                        ; implicit-def: $vgpr14
	s_and_saveexec_b64 s[0:1], s[26:27]
	s_cbranch_execz .LBB229_68
.LBB229_253:
	v_mov_b32_e32 v21, 0
	v_lshl_add_u64 v[14:15], s[60:61], 0, v[20:21]
	flat_load_dword v14, v[14:15]
	s_or_b64 exec, exec, s[0:1]
                                        ; implicit-def: $vgpr15
	s_and_saveexec_b64 s[0:1], s[28:29]
	s_cbranch_execz .LBB229_69
.LBB229_254:
	v_mov_b32_e32 v23, 0
	v_lshl_add_u64 v[16:17], s[60:61], 0, v[22:23]
	flat_load_dword v15, v[16:17]
	s_or_b64 exec, exec, s[0:1]
                                        ; implicit-def: $vgpr16
	s_and_saveexec_b64 s[0:1], s[30:31]
	s_cbranch_execz .LBB229_70
.LBB229_255:
	v_mov_b32_e32 v25, 0
	v_lshl_add_u64 v[16:17], s[60:61], 0, v[24:25]
	flat_load_dword v16, v[16:17]
	s_or_b64 exec, exec, s[0:1]
                                        ; implicit-def: $vgpr17
	s_and_saveexec_b64 s[0:1], s[34:35]
	s_cbranch_execz .LBB229_71
.LBB229_256:
	v_mov_b32_e32 v27, 0
	v_lshl_add_u64 v[18:19], s[60:61], 0, v[26:27]
	flat_load_dword v17, v[18:19]
	s_or_b64 exec, exec, s[0:1]
                                        ; implicit-def: $vgpr18
	s_and_saveexec_b64 s[0:1], s[36:37]
	s_cbranch_execz .LBB229_72
.LBB229_257:
	v_mov_b32_e32 v29, 0
	v_lshl_add_u64 v[18:19], s[60:61], 0, v[28:29]
	flat_load_dword v18, v[18:19]
	s_or_b64 exec, exec, s[0:1]
                                        ; implicit-def: $vgpr19
	s_and_saveexec_b64 s[0:1], s[38:39]
	s_cbranch_execz .LBB229_73
.LBB229_258:
	v_mov_b32_e32 v31, 0
	v_lshl_add_u64 v[20:21], s[60:61], 0, v[30:31]
	flat_load_dword v19, v[20:21]
	s_or_b64 exec, exec, s[0:1]
                                        ; implicit-def: $vgpr20
	s_and_saveexec_b64 s[0:1], s[40:41]
	s_cbranch_execz .LBB229_74
.LBB229_259:
	v_mov_b32_e32 v33, 0
	v_lshl_add_u64 v[20:21], s[60:61], 0, v[32:33]
	flat_load_dword v20, v[20:21]
	s_or_b64 exec, exec, s[0:1]
                                        ; implicit-def: $vgpr21
	s_and_saveexec_b64 s[0:1], s[42:43]
	s_cbranch_execz .LBB229_75
.LBB229_260:
	v_mov_b32_e32 v35, 0
	v_lshl_add_u64 v[22:23], s[60:61], 0, v[34:35]
	flat_load_dword v21, v[22:23]
	s_or_b64 exec, exec, s[0:1]
                                        ; implicit-def: $vgpr22
	s_and_saveexec_b64 s[0:1], s[44:45]
	s_cbranch_execz .LBB229_76
.LBB229_261:
	v_mov_b32_e32 v37, 0
	v_lshl_add_u64 v[22:23], s[60:61], 0, v[36:37]
	flat_load_dword v22, v[22:23]
	s_or_b64 exec, exec, s[0:1]
                                        ; implicit-def: $vgpr23
	s_and_saveexec_b64 s[0:1], s[46:47]
	s_cbranch_execz .LBB229_77
.LBB229_262:
	v_mov_b32_e32 v39, 0
	v_lshl_add_u64 v[24:25], s[60:61], 0, v[38:39]
	flat_load_dword v23, v[24:25]
	s_or_b64 exec, exec, s[0:1]
                                        ; implicit-def: $vgpr24
	s_and_saveexec_b64 s[0:1], s[48:49]
	s_cbranch_execz .LBB229_78
.LBB229_263:
	v_mov_b32_e32 v41, 0
	v_lshl_add_u64 v[24:25], s[60:61], 0, v[40:41]
	flat_load_dword v24, v[24:25]
	s_or_b64 exec, exec, s[0:1]
                                        ; implicit-def: $vgpr25
	s_and_saveexec_b64 s[0:1], s[50:51]
	s_cbranch_execz .LBB229_79
.LBB229_264:
	v_mov_b32_e32 v43, 0
	v_lshl_add_u64 v[26:27], s[60:61], 0, v[42:43]
	flat_load_dword v25, v[26:27]
	s_or_b64 exec, exec, s[0:1]
                                        ; implicit-def: $vgpr26
	s_and_saveexec_b64 s[0:1], s[52:53]
	s_cbranch_execnz .LBB229_80
	s_branch .LBB229_81
.LBB229_265:
	v_add_u32_e32 v1, -1, v0
	v_lshrrev_b32_e32 v2, 5, v1
	v_add_lshl_u32 v1, v2, v1, 3
	ds_read_b32 v1, v1
	s_or_b64 exec, exec, s[0:1]
	s_and_saveexec_b64 s[50:51], s[4:5]
	s_cbranch_execz .LBB229_189
.LBB229_266:
	v_and_b32_e32 v3, 0xff, v11
	v_mov_b32_e32 v2, 0
	v_cmp_eq_u64_e64 s[0:1], 0, v[2:3]
	;;#ASMSTART
	;;#ASMEND
	s_waitcnt lgkmcnt(0)
	s_nop 0
	v_cndmask_b32_e64 v1, 0, v1, s[0:1]
	v_add_u32_e32 v10, v1, v10
	v_cndmask_b32_e32 v1, 0, v10, vcc
	v_add_u32_e32 v58, v1, v12
	v_cndmask_b32_e64 v1, 0, v58, s[6:7]
	v_add_u32_e32 v59, v1, v14
	v_cndmask_b32_e64 v1, 0, v59, s[8:9]
	v_add_u32_e32 v60, v1, v16
	v_cndmask_b32_e64 v1, 0, v60, s[10:11]
	v_add_u32_e32 v61, v1, v18
	v_cndmask_b32_e64 v1, 0, v61, s[12:13]
	v_add_u32_e32 v62, v1, v20
	v_cndmask_b32_e64 v1, 0, v62, s[14:15]
	v_add_u32_e32 v63, v1, v22
	v_cndmask_b32_e64 v1, 0, v63, s[16:17]
	v_add_u32_e32 v64, v1, v24
	v_cndmask_b32_e64 v1, 0, v64, s[18:19]
	v_add_u32_e32 v65, v1, v26
	v_cndmask_b32_e64 v1, 0, v65, s[20:21]
	v_add_u32_e32 v66, v1, v28
	v_cndmask_b32_e64 v1, 0, v66, s[22:23]
	v_add_u32_e32 v67, v1, v30
	v_cndmask_b32_e64 v1, 0, v67, s[24:25]
	v_add_u32_e32 v68, v1, v32
	v_cndmask_b32_e64 v1, 0, v68, s[26:27]
	v_add_u32_e32 v69, v1, v34
	v_cndmask_b32_e64 v1, 0, v69, s[28:29]
	v_add_u32_e32 v70, v1, v36
	v_cndmask_b32_e64 v1, 0, v70, s[30:31]
	v_add_u32_e32 v71, v1, v38
	v_cndmask_b32_e64 v1, 0, v71, s[34:35]
	v_add_u32_e32 v72, v1, v40
	v_cndmask_b32_e64 v1, 0, v72, s[36:37]
	v_add_u32_e32 v73, v1, v42
	v_cndmask_b32_e64 v1, 0, v73, s[38:39]
	v_add_u32_e32 v74, v1, v44
	v_cndmask_b32_e64 v1, 0, v74, s[40:41]
	v_add_u32_e32 v75, v1, v46
	v_cndmask_b32_e64 v1, 0, v75, s[42:43]
	v_add_u32_e32 v76, v1, v48
	v_cndmask_b32_e64 v1, 0, v76, s[44:45]
	v_add_u32_e32 v77, v1, v50
	v_cndmask_b32_e64 v1, 0, v77, s[46:47]
	v_add_u32_e32 v78, v1, v52
	v_cndmask_b32_e64 v1, 0, v78, s[48:49]
	v_add_u32_e32 v79, v1, v56
	s_or_b64 exec, exec, s[50:51]
	s_and_saveexec_b64 s[0:1], s[54:55]
	s_cbranch_execnz .LBB229_190
	s_branch .LBB229_191
.LBB229_267:
                                        ; implicit-def: $sgpr0_sgpr1
	s_branch .LBB229_54
.LBB229_268:
                                        ; implicit-def: $sgpr0_sgpr1
	s_branch .LBB229_130
	.section	.rodata,"a",@progbits
	.p2align	6, 0x0
	.amdhsa_kernel _ZN7rocprim17ROCPRIM_400000_NS6detail17trampoline_kernelINS0_14default_configENS1_27scan_by_key_config_selectorIiiEEZZNS1_16scan_by_key_implILNS1_25lookback_scan_determinismE0ELb0ES3_N6thrust23THRUST_200600_302600_NS6detail15normal_iteratorINS9_10device_ptrIiEEEESE_SE_iNS9_4plusIvEENS9_8equal_toIiEEiEE10hipError_tPvRmT2_T3_T4_T5_mT6_T7_P12ihipStream_tbENKUlT_T0_E_clISt17integral_constantIbLb0EESY_IbLb1EEEEDaSU_SV_EUlSU_E_NS1_11comp_targetILNS1_3genE5ELNS1_11target_archE942ELNS1_3gpuE9ELNS1_3repE0EEENS1_30default_config_static_selectorELNS0_4arch9wavefront6targetE1EEEvT1_
		.amdhsa_group_segment_fixed_size 25600
		.amdhsa_private_segment_fixed_size 0
		.amdhsa_kernarg_size 112
		.amdhsa_user_sgpr_count 2
		.amdhsa_user_sgpr_dispatch_ptr 0
		.amdhsa_user_sgpr_queue_ptr 0
		.amdhsa_user_sgpr_kernarg_segment_ptr 1
		.amdhsa_user_sgpr_dispatch_id 0
		.amdhsa_user_sgpr_kernarg_preload_length 0
		.amdhsa_user_sgpr_kernarg_preload_offset 0
		.amdhsa_user_sgpr_private_segment_size 0
		.amdhsa_uses_dynamic_stack 0
		.amdhsa_enable_private_segment 0
		.amdhsa_system_sgpr_workgroup_id_x 1
		.amdhsa_system_sgpr_workgroup_id_y 0
		.amdhsa_system_sgpr_workgroup_id_z 0
		.amdhsa_system_sgpr_workgroup_info 0
		.amdhsa_system_vgpr_workitem_id 0
		.amdhsa_next_free_vgpr 81
		.amdhsa_next_free_sgpr 85
		.amdhsa_accum_offset 84
		.amdhsa_reserve_vcc 1
		.amdhsa_float_round_mode_32 0
		.amdhsa_float_round_mode_16_64 0
		.amdhsa_float_denorm_mode_32 3
		.amdhsa_float_denorm_mode_16_64 3
		.amdhsa_dx10_clamp 1
		.amdhsa_ieee_mode 1
		.amdhsa_fp16_overflow 0
		.amdhsa_tg_split 0
		.amdhsa_exception_fp_ieee_invalid_op 0
		.amdhsa_exception_fp_denorm_src 0
		.amdhsa_exception_fp_ieee_div_zero 0
		.amdhsa_exception_fp_ieee_overflow 0
		.amdhsa_exception_fp_ieee_underflow 0
		.amdhsa_exception_fp_ieee_inexact 0
		.amdhsa_exception_int_div_zero 0
	.end_amdhsa_kernel
	.section	.text._ZN7rocprim17ROCPRIM_400000_NS6detail17trampoline_kernelINS0_14default_configENS1_27scan_by_key_config_selectorIiiEEZZNS1_16scan_by_key_implILNS1_25lookback_scan_determinismE0ELb0ES3_N6thrust23THRUST_200600_302600_NS6detail15normal_iteratorINS9_10device_ptrIiEEEESE_SE_iNS9_4plusIvEENS9_8equal_toIiEEiEE10hipError_tPvRmT2_T3_T4_T5_mT6_T7_P12ihipStream_tbENKUlT_T0_E_clISt17integral_constantIbLb0EESY_IbLb1EEEEDaSU_SV_EUlSU_E_NS1_11comp_targetILNS1_3genE5ELNS1_11target_archE942ELNS1_3gpuE9ELNS1_3repE0EEENS1_30default_config_static_selectorELNS0_4arch9wavefront6targetE1EEEvT1_,"axG",@progbits,_ZN7rocprim17ROCPRIM_400000_NS6detail17trampoline_kernelINS0_14default_configENS1_27scan_by_key_config_selectorIiiEEZZNS1_16scan_by_key_implILNS1_25lookback_scan_determinismE0ELb0ES3_N6thrust23THRUST_200600_302600_NS6detail15normal_iteratorINS9_10device_ptrIiEEEESE_SE_iNS9_4plusIvEENS9_8equal_toIiEEiEE10hipError_tPvRmT2_T3_T4_T5_mT6_T7_P12ihipStream_tbENKUlT_T0_E_clISt17integral_constantIbLb0EESY_IbLb1EEEEDaSU_SV_EUlSU_E_NS1_11comp_targetILNS1_3genE5ELNS1_11target_archE942ELNS1_3gpuE9ELNS1_3repE0EEENS1_30default_config_static_selectorELNS0_4arch9wavefront6targetE1EEEvT1_,comdat
.Lfunc_end229:
	.size	_ZN7rocprim17ROCPRIM_400000_NS6detail17trampoline_kernelINS0_14default_configENS1_27scan_by_key_config_selectorIiiEEZZNS1_16scan_by_key_implILNS1_25lookback_scan_determinismE0ELb0ES3_N6thrust23THRUST_200600_302600_NS6detail15normal_iteratorINS9_10device_ptrIiEEEESE_SE_iNS9_4plusIvEENS9_8equal_toIiEEiEE10hipError_tPvRmT2_T3_T4_T5_mT6_T7_P12ihipStream_tbENKUlT_T0_E_clISt17integral_constantIbLb0EESY_IbLb1EEEEDaSU_SV_EUlSU_E_NS1_11comp_targetILNS1_3genE5ELNS1_11target_archE942ELNS1_3gpuE9ELNS1_3repE0EEENS1_30default_config_static_selectorELNS0_4arch9wavefront6targetE1EEEvT1_, .Lfunc_end229-_ZN7rocprim17ROCPRIM_400000_NS6detail17trampoline_kernelINS0_14default_configENS1_27scan_by_key_config_selectorIiiEEZZNS1_16scan_by_key_implILNS1_25lookback_scan_determinismE0ELb0ES3_N6thrust23THRUST_200600_302600_NS6detail15normal_iteratorINS9_10device_ptrIiEEEESE_SE_iNS9_4plusIvEENS9_8equal_toIiEEiEE10hipError_tPvRmT2_T3_T4_T5_mT6_T7_P12ihipStream_tbENKUlT_T0_E_clISt17integral_constantIbLb0EESY_IbLb1EEEEDaSU_SV_EUlSU_E_NS1_11comp_targetILNS1_3genE5ELNS1_11target_archE942ELNS1_3gpuE9ELNS1_3repE0EEENS1_30default_config_static_selectorELNS0_4arch9wavefront6targetE1EEEvT1_
                                        ; -- End function
	.section	.AMDGPU.csdata,"",@progbits
; Kernel info:
; codeLenInByte = 15516
; NumSgprs: 91
; NumVgprs: 81
; NumAgprs: 0
; TotalNumVgprs: 81
; ScratchSize: 0
; MemoryBound: 0
; FloatMode: 240
; IeeeMode: 1
; LDSByteSize: 25600 bytes/workgroup (compile time only)
; SGPRBlocks: 11
; VGPRBlocks: 10
; NumSGPRsForWavesPerEU: 91
; NumVGPRsForWavesPerEU: 81
; AccumOffset: 84
; Occupancy: 2
; WaveLimiterHint : 1
; COMPUTE_PGM_RSRC2:SCRATCH_EN: 0
; COMPUTE_PGM_RSRC2:USER_SGPR: 2
; COMPUTE_PGM_RSRC2:TRAP_HANDLER: 0
; COMPUTE_PGM_RSRC2:TGID_X_EN: 1
; COMPUTE_PGM_RSRC2:TGID_Y_EN: 0
; COMPUTE_PGM_RSRC2:TGID_Z_EN: 0
; COMPUTE_PGM_RSRC2:TIDIG_COMP_CNT: 0
; COMPUTE_PGM_RSRC3_GFX90A:ACCUM_OFFSET: 20
; COMPUTE_PGM_RSRC3_GFX90A:TG_SPLIT: 0
	.section	.text._ZN7rocprim17ROCPRIM_400000_NS6detail17trampoline_kernelINS0_14default_configENS1_27scan_by_key_config_selectorIiiEEZZNS1_16scan_by_key_implILNS1_25lookback_scan_determinismE0ELb0ES3_N6thrust23THRUST_200600_302600_NS6detail15normal_iteratorINS9_10device_ptrIiEEEESE_SE_iNS9_4plusIvEENS9_8equal_toIiEEiEE10hipError_tPvRmT2_T3_T4_T5_mT6_T7_P12ihipStream_tbENKUlT_T0_E_clISt17integral_constantIbLb0EESY_IbLb1EEEEDaSU_SV_EUlSU_E_NS1_11comp_targetILNS1_3genE4ELNS1_11target_archE910ELNS1_3gpuE8ELNS1_3repE0EEENS1_30default_config_static_selectorELNS0_4arch9wavefront6targetE1EEEvT1_,"axG",@progbits,_ZN7rocprim17ROCPRIM_400000_NS6detail17trampoline_kernelINS0_14default_configENS1_27scan_by_key_config_selectorIiiEEZZNS1_16scan_by_key_implILNS1_25lookback_scan_determinismE0ELb0ES3_N6thrust23THRUST_200600_302600_NS6detail15normal_iteratorINS9_10device_ptrIiEEEESE_SE_iNS9_4plusIvEENS9_8equal_toIiEEiEE10hipError_tPvRmT2_T3_T4_T5_mT6_T7_P12ihipStream_tbENKUlT_T0_E_clISt17integral_constantIbLb0EESY_IbLb1EEEEDaSU_SV_EUlSU_E_NS1_11comp_targetILNS1_3genE4ELNS1_11target_archE910ELNS1_3gpuE8ELNS1_3repE0EEENS1_30default_config_static_selectorELNS0_4arch9wavefront6targetE1EEEvT1_,comdat
	.protected	_ZN7rocprim17ROCPRIM_400000_NS6detail17trampoline_kernelINS0_14default_configENS1_27scan_by_key_config_selectorIiiEEZZNS1_16scan_by_key_implILNS1_25lookback_scan_determinismE0ELb0ES3_N6thrust23THRUST_200600_302600_NS6detail15normal_iteratorINS9_10device_ptrIiEEEESE_SE_iNS9_4plusIvEENS9_8equal_toIiEEiEE10hipError_tPvRmT2_T3_T4_T5_mT6_T7_P12ihipStream_tbENKUlT_T0_E_clISt17integral_constantIbLb0EESY_IbLb1EEEEDaSU_SV_EUlSU_E_NS1_11comp_targetILNS1_3genE4ELNS1_11target_archE910ELNS1_3gpuE8ELNS1_3repE0EEENS1_30default_config_static_selectorELNS0_4arch9wavefront6targetE1EEEvT1_ ; -- Begin function _ZN7rocprim17ROCPRIM_400000_NS6detail17trampoline_kernelINS0_14default_configENS1_27scan_by_key_config_selectorIiiEEZZNS1_16scan_by_key_implILNS1_25lookback_scan_determinismE0ELb0ES3_N6thrust23THRUST_200600_302600_NS6detail15normal_iteratorINS9_10device_ptrIiEEEESE_SE_iNS9_4plusIvEENS9_8equal_toIiEEiEE10hipError_tPvRmT2_T3_T4_T5_mT6_T7_P12ihipStream_tbENKUlT_T0_E_clISt17integral_constantIbLb0EESY_IbLb1EEEEDaSU_SV_EUlSU_E_NS1_11comp_targetILNS1_3genE4ELNS1_11target_archE910ELNS1_3gpuE8ELNS1_3repE0EEENS1_30default_config_static_selectorELNS0_4arch9wavefront6targetE1EEEvT1_
	.globl	_ZN7rocprim17ROCPRIM_400000_NS6detail17trampoline_kernelINS0_14default_configENS1_27scan_by_key_config_selectorIiiEEZZNS1_16scan_by_key_implILNS1_25lookback_scan_determinismE0ELb0ES3_N6thrust23THRUST_200600_302600_NS6detail15normal_iteratorINS9_10device_ptrIiEEEESE_SE_iNS9_4plusIvEENS9_8equal_toIiEEiEE10hipError_tPvRmT2_T3_T4_T5_mT6_T7_P12ihipStream_tbENKUlT_T0_E_clISt17integral_constantIbLb0EESY_IbLb1EEEEDaSU_SV_EUlSU_E_NS1_11comp_targetILNS1_3genE4ELNS1_11target_archE910ELNS1_3gpuE8ELNS1_3repE0EEENS1_30default_config_static_selectorELNS0_4arch9wavefront6targetE1EEEvT1_
	.p2align	8
	.type	_ZN7rocprim17ROCPRIM_400000_NS6detail17trampoline_kernelINS0_14default_configENS1_27scan_by_key_config_selectorIiiEEZZNS1_16scan_by_key_implILNS1_25lookback_scan_determinismE0ELb0ES3_N6thrust23THRUST_200600_302600_NS6detail15normal_iteratorINS9_10device_ptrIiEEEESE_SE_iNS9_4plusIvEENS9_8equal_toIiEEiEE10hipError_tPvRmT2_T3_T4_T5_mT6_T7_P12ihipStream_tbENKUlT_T0_E_clISt17integral_constantIbLb0EESY_IbLb1EEEEDaSU_SV_EUlSU_E_NS1_11comp_targetILNS1_3genE4ELNS1_11target_archE910ELNS1_3gpuE8ELNS1_3repE0EEENS1_30default_config_static_selectorELNS0_4arch9wavefront6targetE1EEEvT1_,@function
_ZN7rocprim17ROCPRIM_400000_NS6detail17trampoline_kernelINS0_14default_configENS1_27scan_by_key_config_selectorIiiEEZZNS1_16scan_by_key_implILNS1_25lookback_scan_determinismE0ELb0ES3_N6thrust23THRUST_200600_302600_NS6detail15normal_iteratorINS9_10device_ptrIiEEEESE_SE_iNS9_4plusIvEENS9_8equal_toIiEEiEE10hipError_tPvRmT2_T3_T4_T5_mT6_T7_P12ihipStream_tbENKUlT_T0_E_clISt17integral_constantIbLb0EESY_IbLb1EEEEDaSU_SV_EUlSU_E_NS1_11comp_targetILNS1_3genE4ELNS1_11target_archE910ELNS1_3gpuE8ELNS1_3repE0EEENS1_30default_config_static_selectorELNS0_4arch9wavefront6targetE1EEEvT1_: ; @_ZN7rocprim17ROCPRIM_400000_NS6detail17trampoline_kernelINS0_14default_configENS1_27scan_by_key_config_selectorIiiEEZZNS1_16scan_by_key_implILNS1_25lookback_scan_determinismE0ELb0ES3_N6thrust23THRUST_200600_302600_NS6detail15normal_iteratorINS9_10device_ptrIiEEEESE_SE_iNS9_4plusIvEENS9_8equal_toIiEEiEE10hipError_tPvRmT2_T3_T4_T5_mT6_T7_P12ihipStream_tbENKUlT_T0_E_clISt17integral_constantIbLb0EESY_IbLb1EEEEDaSU_SV_EUlSU_E_NS1_11comp_targetILNS1_3genE4ELNS1_11target_archE910ELNS1_3gpuE8ELNS1_3repE0EEENS1_30default_config_static_selectorELNS0_4arch9wavefront6targetE1EEEvT1_
; %bb.0:
	.section	.rodata,"a",@progbits
	.p2align	6, 0x0
	.amdhsa_kernel _ZN7rocprim17ROCPRIM_400000_NS6detail17trampoline_kernelINS0_14default_configENS1_27scan_by_key_config_selectorIiiEEZZNS1_16scan_by_key_implILNS1_25lookback_scan_determinismE0ELb0ES3_N6thrust23THRUST_200600_302600_NS6detail15normal_iteratorINS9_10device_ptrIiEEEESE_SE_iNS9_4plusIvEENS9_8equal_toIiEEiEE10hipError_tPvRmT2_T3_T4_T5_mT6_T7_P12ihipStream_tbENKUlT_T0_E_clISt17integral_constantIbLb0EESY_IbLb1EEEEDaSU_SV_EUlSU_E_NS1_11comp_targetILNS1_3genE4ELNS1_11target_archE910ELNS1_3gpuE8ELNS1_3repE0EEENS1_30default_config_static_selectorELNS0_4arch9wavefront6targetE1EEEvT1_
		.amdhsa_group_segment_fixed_size 0
		.amdhsa_private_segment_fixed_size 0
		.amdhsa_kernarg_size 112
		.amdhsa_user_sgpr_count 2
		.amdhsa_user_sgpr_dispatch_ptr 0
		.amdhsa_user_sgpr_queue_ptr 0
		.amdhsa_user_sgpr_kernarg_segment_ptr 1
		.amdhsa_user_sgpr_dispatch_id 0
		.amdhsa_user_sgpr_kernarg_preload_length 0
		.amdhsa_user_sgpr_kernarg_preload_offset 0
		.amdhsa_user_sgpr_private_segment_size 0
		.amdhsa_uses_dynamic_stack 0
		.amdhsa_enable_private_segment 0
		.amdhsa_system_sgpr_workgroup_id_x 1
		.amdhsa_system_sgpr_workgroup_id_y 0
		.amdhsa_system_sgpr_workgroup_id_z 0
		.amdhsa_system_sgpr_workgroup_info 0
		.amdhsa_system_vgpr_workitem_id 0
		.amdhsa_next_free_vgpr 1
		.amdhsa_next_free_sgpr 0
		.amdhsa_accum_offset 4
		.amdhsa_reserve_vcc 0
		.amdhsa_float_round_mode_32 0
		.amdhsa_float_round_mode_16_64 0
		.amdhsa_float_denorm_mode_32 3
		.amdhsa_float_denorm_mode_16_64 3
		.amdhsa_dx10_clamp 1
		.amdhsa_ieee_mode 1
		.amdhsa_fp16_overflow 0
		.amdhsa_tg_split 0
		.amdhsa_exception_fp_ieee_invalid_op 0
		.amdhsa_exception_fp_denorm_src 0
		.amdhsa_exception_fp_ieee_div_zero 0
		.amdhsa_exception_fp_ieee_overflow 0
		.amdhsa_exception_fp_ieee_underflow 0
		.amdhsa_exception_fp_ieee_inexact 0
		.amdhsa_exception_int_div_zero 0
	.end_amdhsa_kernel
	.section	.text._ZN7rocprim17ROCPRIM_400000_NS6detail17trampoline_kernelINS0_14default_configENS1_27scan_by_key_config_selectorIiiEEZZNS1_16scan_by_key_implILNS1_25lookback_scan_determinismE0ELb0ES3_N6thrust23THRUST_200600_302600_NS6detail15normal_iteratorINS9_10device_ptrIiEEEESE_SE_iNS9_4plusIvEENS9_8equal_toIiEEiEE10hipError_tPvRmT2_T3_T4_T5_mT6_T7_P12ihipStream_tbENKUlT_T0_E_clISt17integral_constantIbLb0EESY_IbLb1EEEEDaSU_SV_EUlSU_E_NS1_11comp_targetILNS1_3genE4ELNS1_11target_archE910ELNS1_3gpuE8ELNS1_3repE0EEENS1_30default_config_static_selectorELNS0_4arch9wavefront6targetE1EEEvT1_,"axG",@progbits,_ZN7rocprim17ROCPRIM_400000_NS6detail17trampoline_kernelINS0_14default_configENS1_27scan_by_key_config_selectorIiiEEZZNS1_16scan_by_key_implILNS1_25lookback_scan_determinismE0ELb0ES3_N6thrust23THRUST_200600_302600_NS6detail15normal_iteratorINS9_10device_ptrIiEEEESE_SE_iNS9_4plusIvEENS9_8equal_toIiEEiEE10hipError_tPvRmT2_T3_T4_T5_mT6_T7_P12ihipStream_tbENKUlT_T0_E_clISt17integral_constantIbLb0EESY_IbLb1EEEEDaSU_SV_EUlSU_E_NS1_11comp_targetILNS1_3genE4ELNS1_11target_archE910ELNS1_3gpuE8ELNS1_3repE0EEENS1_30default_config_static_selectorELNS0_4arch9wavefront6targetE1EEEvT1_,comdat
.Lfunc_end230:
	.size	_ZN7rocprim17ROCPRIM_400000_NS6detail17trampoline_kernelINS0_14default_configENS1_27scan_by_key_config_selectorIiiEEZZNS1_16scan_by_key_implILNS1_25lookback_scan_determinismE0ELb0ES3_N6thrust23THRUST_200600_302600_NS6detail15normal_iteratorINS9_10device_ptrIiEEEESE_SE_iNS9_4plusIvEENS9_8equal_toIiEEiEE10hipError_tPvRmT2_T3_T4_T5_mT6_T7_P12ihipStream_tbENKUlT_T0_E_clISt17integral_constantIbLb0EESY_IbLb1EEEEDaSU_SV_EUlSU_E_NS1_11comp_targetILNS1_3genE4ELNS1_11target_archE910ELNS1_3gpuE8ELNS1_3repE0EEENS1_30default_config_static_selectorELNS0_4arch9wavefront6targetE1EEEvT1_, .Lfunc_end230-_ZN7rocprim17ROCPRIM_400000_NS6detail17trampoline_kernelINS0_14default_configENS1_27scan_by_key_config_selectorIiiEEZZNS1_16scan_by_key_implILNS1_25lookback_scan_determinismE0ELb0ES3_N6thrust23THRUST_200600_302600_NS6detail15normal_iteratorINS9_10device_ptrIiEEEESE_SE_iNS9_4plusIvEENS9_8equal_toIiEEiEE10hipError_tPvRmT2_T3_T4_T5_mT6_T7_P12ihipStream_tbENKUlT_T0_E_clISt17integral_constantIbLb0EESY_IbLb1EEEEDaSU_SV_EUlSU_E_NS1_11comp_targetILNS1_3genE4ELNS1_11target_archE910ELNS1_3gpuE8ELNS1_3repE0EEENS1_30default_config_static_selectorELNS0_4arch9wavefront6targetE1EEEvT1_
                                        ; -- End function
	.section	.AMDGPU.csdata,"",@progbits
; Kernel info:
; codeLenInByte = 0
; NumSgprs: 6
; NumVgprs: 0
; NumAgprs: 0
; TotalNumVgprs: 0
; ScratchSize: 0
; MemoryBound: 0
; FloatMode: 240
; IeeeMode: 1
; LDSByteSize: 0 bytes/workgroup (compile time only)
; SGPRBlocks: 0
; VGPRBlocks: 0
; NumSGPRsForWavesPerEU: 6
; NumVGPRsForWavesPerEU: 1
; AccumOffset: 4
; Occupancy: 8
; WaveLimiterHint : 0
; COMPUTE_PGM_RSRC2:SCRATCH_EN: 0
; COMPUTE_PGM_RSRC2:USER_SGPR: 2
; COMPUTE_PGM_RSRC2:TRAP_HANDLER: 0
; COMPUTE_PGM_RSRC2:TGID_X_EN: 1
; COMPUTE_PGM_RSRC2:TGID_Y_EN: 0
; COMPUTE_PGM_RSRC2:TGID_Z_EN: 0
; COMPUTE_PGM_RSRC2:TIDIG_COMP_CNT: 0
; COMPUTE_PGM_RSRC3_GFX90A:ACCUM_OFFSET: 0
; COMPUTE_PGM_RSRC3_GFX90A:TG_SPLIT: 0
	.section	.text._ZN7rocprim17ROCPRIM_400000_NS6detail17trampoline_kernelINS0_14default_configENS1_27scan_by_key_config_selectorIiiEEZZNS1_16scan_by_key_implILNS1_25lookback_scan_determinismE0ELb0ES3_N6thrust23THRUST_200600_302600_NS6detail15normal_iteratorINS9_10device_ptrIiEEEESE_SE_iNS9_4plusIvEENS9_8equal_toIiEEiEE10hipError_tPvRmT2_T3_T4_T5_mT6_T7_P12ihipStream_tbENKUlT_T0_E_clISt17integral_constantIbLb0EESY_IbLb1EEEEDaSU_SV_EUlSU_E_NS1_11comp_targetILNS1_3genE3ELNS1_11target_archE908ELNS1_3gpuE7ELNS1_3repE0EEENS1_30default_config_static_selectorELNS0_4arch9wavefront6targetE1EEEvT1_,"axG",@progbits,_ZN7rocprim17ROCPRIM_400000_NS6detail17trampoline_kernelINS0_14default_configENS1_27scan_by_key_config_selectorIiiEEZZNS1_16scan_by_key_implILNS1_25lookback_scan_determinismE0ELb0ES3_N6thrust23THRUST_200600_302600_NS6detail15normal_iteratorINS9_10device_ptrIiEEEESE_SE_iNS9_4plusIvEENS9_8equal_toIiEEiEE10hipError_tPvRmT2_T3_T4_T5_mT6_T7_P12ihipStream_tbENKUlT_T0_E_clISt17integral_constantIbLb0EESY_IbLb1EEEEDaSU_SV_EUlSU_E_NS1_11comp_targetILNS1_3genE3ELNS1_11target_archE908ELNS1_3gpuE7ELNS1_3repE0EEENS1_30default_config_static_selectorELNS0_4arch9wavefront6targetE1EEEvT1_,comdat
	.protected	_ZN7rocprim17ROCPRIM_400000_NS6detail17trampoline_kernelINS0_14default_configENS1_27scan_by_key_config_selectorIiiEEZZNS1_16scan_by_key_implILNS1_25lookback_scan_determinismE0ELb0ES3_N6thrust23THRUST_200600_302600_NS6detail15normal_iteratorINS9_10device_ptrIiEEEESE_SE_iNS9_4plusIvEENS9_8equal_toIiEEiEE10hipError_tPvRmT2_T3_T4_T5_mT6_T7_P12ihipStream_tbENKUlT_T0_E_clISt17integral_constantIbLb0EESY_IbLb1EEEEDaSU_SV_EUlSU_E_NS1_11comp_targetILNS1_3genE3ELNS1_11target_archE908ELNS1_3gpuE7ELNS1_3repE0EEENS1_30default_config_static_selectorELNS0_4arch9wavefront6targetE1EEEvT1_ ; -- Begin function _ZN7rocprim17ROCPRIM_400000_NS6detail17trampoline_kernelINS0_14default_configENS1_27scan_by_key_config_selectorIiiEEZZNS1_16scan_by_key_implILNS1_25lookback_scan_determinismE0ELb0ES3_N6thrust23THRUST_200600_302600_NS6detail15normal_iteratorINS9_10device_ptrIiEEEESE_SE_iNS9_4plusIvEENS9_8equal_toIiEEiEE10hipError_tPvRmT2_T3_T4_T5_mT6_T7_P12ihipStream_tbENKUlT_T0_E_clISt17integral_constantIbLb0EESY_IbLb1EEEEDaSU_SV_EUlSU_E_NS1_11comp_targetILNS1_3genE3ELNS1_11target_archE908ELNS1_3gpuE7ELNS1_3repE0EEENS1_30default_config_static_selectorELNS0_4arch9wavefront6targetE1EEEvT1_
	.globl	_ZN7rocprim17ROCPRIM_400000_NS6detail17trampoline_kernelINS0_14default_configENS1_27scan_by_key_config_selectorIiiEEZZNS1_16scan_by_key_implILNS1_25lookback_scan_determinismE0ELb0ES3_N6thrust23THRUST_200600_302600_NS6detail15normal_iteratorINS9_10device_ptrIiEEEESE_SE_iNS9_4plusIvEENS9_8equal_toIiEEiEE10hipError_tPvRmT2_T3_T4_T5_mT6_T7_P12ihipStream_tbENKUlT_T0_E_clISt17integral_constantIbLb0EESY_IbLb1EEEEDaSU_SV_EUlSU_E_NS1_11comp_targetILNS1_3genE3ELNS1_11target_archE908ELNS1_3gpuE7ELNS1_3repE0EEENS1_30default_config_static_selectorELNS0_4arch9wavefront6targetE1EEEvT1_
	.p2align	8
	.type	_ZN7rocprim17ROCPRIM_400000_NS6detail17trampoline_kernelINS0_14default_configENS1_27scan_by_key_config_selectorIiiEEZZNS1_16scan_by_key_implILNS1_25lookback_scan_determinismE0ELb0ES3_N6thrust23THRUST_200600_302600_NS6detail15normal_iteratorINS9_10device_ptrIiEEEESE_SE_iNS9_4plusIvEENS9_8equal_toIiEEiEE10hipError_tPvRmT2_T3_T4_T5_mT6_T7_P12ihipStream_tbENKUlT_T0_E_clISt17integral_constantIbLb0EESY_IbLb1EEEEDaSU_SV_EUlSU_E_NS1_11comp_targetILNS1_3genE3ELNS1_11target_archE908ELNS1_3gpuE7ELNS1_3repE0EEENS1_30default_config_static_selectorELNS0_4arch9wavefront6targetE1EEEvT1_,@function
_ZN7rocprim17ROCPRIM_400000_NS6detail17trampoline_kernelINS0_14default_configENS1_27scan_by_key_config_selectorIiiEEZZNS1_16scan_by_key_implILNS1_25lookback_scan_determinismE0ELb0ES3_N6thrust23THRUST_200600_302600_NS6detail15normal_iteratorINS9_10device_ptrIiEEEESE_SE_iNS9_4plusIvEENS9_8equal_toIiEEiEE10hipError_tPvRmT2_T3_T4_T5_mT6_T7_P12ihipStream_tbENKUlT_T0_E_clISt17integral_constantIbLb0EESY_IbLb1EEEEDaSU_SV_EUlSU_E_NS1_11comp_targetILNS1_3genE3ELNS1_11target_archE908ELNS1_3gpuE7ELNS1_3repE0EEENS1_30default_config_static_selectorELNS0_4arch9wavefront6targetE1EEEvT1_: ; @_ZN7rocprim17ROCPRIM_400000_NS6detail17trampoline_kernelINS0_14default_configENS1_27scan_by_key_config_selectorIiiEEZZNS1_16scan_by_key_implILNS1_25lookback_scan_determinismE0ELb0ES3_N6thrust23THRUST_200600_302600_NS6detail15normal_iteratorINS9_10device_ptrIiEEEESE_SE_iNS9_4plusIvEENS9_8equal_toIiEEiEE10hipError_tPvRmT2_T3_T4_T5_mT6_T7_P12ihipStream_tbENKUlT_T0_E_clISt17integral_constantIbLb0EESY_IbLb1EEEEDaSU_SV_EUlSU_E_NS1_11comp_targetILNS1_3genE3ELNS1_11target_archE908ELNS1_3gpuE7ELNS1_3repE0EEENS1_30default_config_static_selectorELNS0_4arch9wavefront6targetE1EEEvT1_
; %bb.0:
	.section	.rodata,"a",@progbits
	.p2align	6, 0x0
	.amdhsa_kernel _ZN7rocprim17ROCPRIM_400000_NS6detail17trampoline_kernelINS0_14default_configENS1_27scan_by_key_config_selectorIiiEEZZNS1_16scan_by_key_implILNS1_25lookback_scan_determinismE0ELb0ES3_N6thrust23THRUST_200600_302600_NS6detail15normal_iteratorINS9_10device_ptrIiEEEESE_SE_iNS9_4plusIvEENS9_8equal_toIiEEiEE10hipError_tPvRmT2_T3_T4_T5_mT6_T7_P12ihipStream_tbENKUlT_T0_E_clISt17integral_constantIbLb0EESY_IbLb1EEEEDaSU_SV_EUlSU_E_NS1_11comp_targetILNS1_3genE3ELNS1_11target_archE908ELNS1_3gpuE7ELNS1_3repE0EEENS1_30default_config_static_selectorELNS0_4arch9wavefront6targetE1EEEvT1_
		.amdhsa_group_segment_fixed_size 0
		.amdhsa_private_segment_fixed_size 0
		.amdhsa_kernarg_size 112
		.amdhsa_user_sgpr_count 2
		.amdhsa_user_sgpr_dispatch_ptr 0
		.amdhsa_user_sgpr_queue_ptr 0
		.amdhsa_user_sgpr_kernarg_segment_ptr 1
		.amdhsa_user_sgpr_dispatch_id 0
		.amdhsa_user_sgpr_kernarg_preload_length 0
		.amdhsa_user_sgpr_kernarg_preload_offset 0
		.amdhsa_user_sgpr_private_segment_size 0
		.amdhsa_uses_dynamic_stack 0
		.amdhsa_enable_private_segment 0
		.amdhsa_system_sgpr_workgroup_id_x 1
		.amdhsa_system_sgpr_workgroup_id_y 0
		.amdhsa_system_sgpr_workgroup_id_z 0
		.amdhsa_system_sgpr_workgroup_info 0
		.amdhsa_system_vgpr_workitem_id 0
		.amdhsa_next_free_vgpr 1
		.amdhsa_next_free_sgpr 0
		.amdhsa_accum_offset 4
		.amdhsa_reserve_vcc 0
		.amdhsa_float_round_mode_32 0
		.amdhsa_float_round_mode_16_64 0
		.amdhsa_float_denorm_mode_32 3
		.amdhsa_float_denorm_mode_16_64 3
		.amdhsa_dx10_clamp 1
		.amdhsa_ieee_mode 1
		.amdhsa_fp16_overflow 0
		.amdhsa_tg_split 0
		.amdhsa_exception_fp_ieee_invalid_op 0
		.amdhsa_exception_fp_denorm_src 0
		.amdhsa_exception_fp_ieee_div_zero 0
		.amdhsa_exception_fp_ieee_overflow 0
		.amdhsa_exception_fp_ieee_underflow 0
		.amdhsa_exception_fp_ieee_inexact 0
		.amdhsa_exception_int_div_zero 0
	.end_amdhsa_kernel
	.section	.text._ZN7rocprim17ROCPRIM_400000_NS6detail17trampoline_kernelINS0_14default_configENS1_27scan_by_key_config_selectorIiiEEZZNS1_16scan_by_key_implILNS1_25lookback_scan_determinismE0ELb0ES3_N6thrust23THRUST_200600_302600_NS6detail15normal_iteratorINS9_10device_ptrIiEEEESE_SE_iNS9_4plusIvEENS9_8equal_toIiEEiEE10hipError_tPvRmT2_T3_T4_T5_mT6_T7_P12ihipStream_tbENKUlT_T0_E_clISt17integral_constantIbLb0EESY_IbLb1EEEEDaSU_SV_EUlSU_E_NS1_11comp_targetILNS1_3genE3ELNS1_11target_archE908ELNS1_3gpuE7ELNS1_3repE0EEENS1_30default_config_static_selectorELNS0_4arch9wavefront6targetE1EEEvT1_,"axG",@progbits,_ZN7rocprim17ROCPRIM_400000_NS6detail17trampoline_kernelINS0_14default_configENS1_27scan_by_key_config_selectorIiiEEZZNS1_16scan_by_key_implILNS1_25lookback_scan_determinismE0ELb0ES3_N6thrust23THRUST_200600_302600_NS6detail15normal_iteratorINS9_10device_ptrIiEEEESE_SE_iNS9_4plusIvEENS9_8equal_toIiEEiEE10hipError_tPvRmT2_T3_T4_T5_mT6_T7_P12ihipStream_tbENKUlT_T0_E_clISt17integral_constantIbLb0EESY_IbLb1EEEEDaSU_SV_EUlSU_E_NS1_11comp_targetILNS1_3genE3ELNS1_11target_archE908ELNS1_3gpuE7ELNS1_3repE0EEENS1_30default_config_static_selectorELNS0_4arch9wavefront6targetE1EEEvT1_,comdat
.Lfunc_end231:
	.size	_ZN7rocprim17ROCPRIM_400000_NS6detail17trampoline_kernelINS0_14default_configENS1_27scan_by_key_config_selectorIiiEEZZNS1_16scan_by_key_implILNS1_25lookback_scan_determinismE0ELb0ES3_N6thrust23THRUST_200600_302600_NS6detail15normal_iteratorINS9_10device_ptrIiEEEESE_SE_iNS9_4plusIvEENS9_8equal_toIiEEiEE10hipError_tPvRmT2_T3_T4_T5_mT6_T7_P12ihipStream_tbENKUlT_T0_E_clISt17integral_constantIbLb0EESY_IbLb1EEEEDaSU_SV_EUlSU_E_NS1_11comp_targetILNS1_3genE3ELNS1_11target_archE908ELNS1_3gpuE7ELNS1_3repE0EEENS1_30default_config_static_selectorELNS0_4arch9wavefront6targetE1EEEvT1_, .Lfunc_end231-_ZN7rocprim17ROCPRIM_400000_NS6detail17trampoline_kernelINS0_14default_configENS1_27scan_by_key_config_selectorIiiEEZZNS1_16scan_by_key_implILNS1_25lookback_scan_determinismE0ELb0ES3_N6thrust23THRUST_200600_302600_NS6detail15normal_iteratorINS9_10device_ptrIiEEEESE_SE_iNS9_4plusIvEENS9_8equal_toIiEEiEE10hipError_tPvRmT2_T3_T4_T5_mT6_T7_P12ihipStream_tbENKUlT_T0_E_clISt17integral_constantIbLb0EESY_IbLb1EEEEDaSU_SV_EUlSU_E_NS1_11comp_targetILNS1_3genE3ELNS1_11target_archE908ELNS1_3gpuE7ELNS1_3repE0EEENS1_30default_config_static_selectorELNS0_4arch9wavefront6targetE1EEEvT1_
                                        ; -- End function
	.section	.AMDGPU.csdata,"",@progbits
; Kernel info:
; codeLenInByte = 0
; NumSgprs: 6
; NumVgprs: 0
; NumAgprs: 0
; TotalNumVgprs: 0
; ScratchSize: 0
; MemoryBound: 0
; FloatMode: 240
; IeeeMode: 1
; LDSByteSize: 0 bytes/workgroup (compile time only)
; SGPRBlocks: 0
; VGPRBlocks: 0
; NumSGPRsForWavesPerEU: 6
; NumVGPRsForWavesPerEU: 1
; AccumOffset: 4
; Occupancy: 8
; WaveLimiterHint : 0
; COMPUTE_PGM_RSRC2:SCRATCH_EN: 0
; COMPUTE_PGM_RSRC2:USER_SGPR: 2
; COMPUTE_PGM_RSRC2:TRAP_HANDLER: 0
; COMPUTE_PGM_RSRC2:TGID_X_EN: 1
; COMPUTE_PGM_RSRC2:TGID_Y_EN: 0
; COMPUTE_PGM_RSRC2:TGID_Z_EN: 0
; COMPUTE_PGM_RSRC2:TIDIG_COMP_CNT: 0
; COMPUTE_PGM_RSRC3_GFX90A:ACCUM_OFFSET: 0
; COMPUTE_PGM_RSRC3_GFX90A:TG_SPLIT: 0
	.section	.text._ZN7rocprim17ROCPRIM_400000_NS6detail17trampoline_kernelINS0_14default_configENS1_27scan_by_key_config_selectorIiiEEZZNS1_16scan_by_key_implILNS1_25lookback_scan_determinismE0ELb0ES3_N6thrust23THRUST_200600_302600_NS6detail15normal_iteratorINS9_10device_ptrIiEEEESE_SE_iNS9_4plusIvEENS9_8equal_toIiEEiEE10hipError_tPvRmT2_T3_T4_T5_mT6_T7_P12ihipStream_tbENKUlT_T0_E_clISt17integral_constantIbLb0EESY_IbLb1EEEEDaSU_SV_EUlSU_E_NS1_11comp_targetILNS1_3genE2ELNS1_11target_archE906ELNS1_3gpuE6ELNS1_3repE0EEENS1_30default_config_static_selectorELNS0_4arch9wavefront6targetE1EEEvT1_,"axG",@progbits,_ZN7rocprim17ROCPRIM_400000_NS6detail17trampoline_kernelINS0_14default_configENS1_27scan_by_key_config_selectorIiiEEZZNS1_16scan_by_key_implILNS1_25lookback_scan_determinismE0ELb0ES3_N6thrust23THRUST_200600_302600_NS6detail15normal_iteratorINS9_10device_ptrIiEEEESE_SE_iNS9_4plusIvEENS9_8equal_toIiEEiEE10hipError_tPvRmT2_T3_T4_T5_mT6_T7_P12ihipStream_tbENKUlT_T0_E_clISt17integral_constantIbLb0EESY_IbLb1EEEEDaSU_SV_EUlSU_E_NS1_11comp_targetILNS1_3genE2ELNS1_11target_archE906ELNS1_3gpuE6ELNS1_3repE0EEENS1_30default_config_static_selectorELNS0_4arch9wavefront6targetE1EEEvT1_,comdat
	.protected	_ZN7rocprim17ROCPRIM_400000_NS6detail17trampoline_kernelINS0_14default_configENS1_27scan_by_key_config_selectorIiiEEZZNS1_16scan_by_key_implILNS1_25lookback_scan_determinismE0ELb0ES3_N6thrust23THRUST_200600_302600_NS6detail15normal_iteratorINS9_10device_ptrIiEEEESE_SE_iNS9_4plusIvEENS9_8equal_toIiEEiEE10hipError_tPvRmT2_T3_T4_T5_mT6_T7_P12ihipStream_tbENKUlT_T0_E_clISt17integral_constantIbLb0EESY_IbLb1EEEEDaSU_SV_EUlSU_E_NS1_11comp_targetILNS1_3genE2ELNS1_11target_archE906ELNS1_3gpuE6ELNS1_3repE0EEENS1_30default_config_static_selectorELNS0_4arch9wavefront6targetE1EEEvT1_ ; -- Begin function _ZN7rocprim17ROCPRIM_400000_NS6detail17trampoline_kernelINS0_14default_configENS1_27scan_by_key_config_selectorIiiEEZZNS1_16scan_by_key_implILNS1_25lookback_scan_determinismE0ELb0ES3_N6thrust23THRUST_200600_302600_NS6detail15normal_iteratorINS9_10device_ptrIiEEEESE_SE_iNS9_4plusIvEENS9_8equal_toIiEEiEE10hipError_tPvRmT2_T3_T4_T5_mT6_T7_P12ihipStream_tbENKUlT_T0_E_clISt17integral_constantIbLb0EESY_IbLb1EEEEDaSU_SV_EUlSU_E_NS1_11comp_targetILNS1_3genE2ELNS1_11target_archE906ELNS1_3gpuE6ELNS1_3repE0EEENS1_30default_config_static_selectorELNS0_4arch9wavefront6targetE1EEEvT1_
	.globl	_ZN7rocprim17ROCPRIM_400000_NS6detail17trampoline_kernelINS0_14default_configENS1_27scan_by_key_config_selectorIiiEEZZNS1_16scan_by_key_implILNS1_25lookback_scan_determinismE0ELb0ES3_N6thrust23THRUST_200600_302600_NS6detail15normal_iteratorINS9_10device_ptrIiEEEESE_SE_iNS9_4plusIvEENS9_8equal_toIiEEiEE10hipError_tPvRmT2_T3_T4_T5_mT6_T7_P12ihipStream_tbENKUlT_T0_E_clISt17integral_constantIbLb0EESY_IbLb1EEEEDaSU_SV_EUlSU_E_NS1_11comp_targetILNS1_3genE2ELNS1_11target_archE906ELNS1_3gpuE6ELNS1_3repE0EEENS1_30default_config_static_selectorELNS0_4arch9wavefront6targetE1EEEvT1_
	.p2align	8
	.type	_ZN7rocprim17ROCPRIM_400000_NS6detail17trampoline_kernelINS0_14default_configENS1_27scan_by_key_config_selectorIiiEEZZNS1_16scan_by_key_implILNS1_25lookback_scan_determinismE0ELb0ES3_N6thrust23THRUST_200600_302600_NS6detail15normal_iteratorINS9_10device_ptrIiEEEESE_SE_iNS9_4plusIvEENS9_8equal_toIiEEiEE10hipError_tPvRmT2_T3_T4_T5_mT6_T7_P12ihipStream_tbENKUlT_T0_E_clISt17integral_constantIbLb0EESY_IbLb1EEEEDaSU_SV_EUlSU_E_NS1_11comp_targetILNS1_3genE2ELNS1_11target_archE906ELNS1_3gpuE6ELNS1_3repE0EEENS1_30default_config_static_selectorELNS0_4arch9wavefront6targetE1EEEvT1_,@function
_ZN7rocprim17ROCPRIM_400000_NS6detail17trampoline_kernelINS0_14default_configENS1_27scan_by_key_config_selectorIiiEEZZNS1_16scan_by_key_implILNS1_25lookback_scan_determinismE0ELb0ES3_N6thrust23THRUST_200600_302600_NS6detail15normal_iteratorINS9_10device_ptrIiEEEESE_SE_iNS9_4plusIvEENS9_8equal_toIiEEiEE10hipError_tPvRmT2_T3_T4_T5_mT6_T7_P12ihipStream_tbENKUlT_T0_E_clISt17integral_constantIbLb0EESY_IbLb1EEEEDaSU_SV_EUlSU_E_NS1_11comp_targetILNS1_3genE2ELNS1_11target_archE906ELNS1_3gpuE6ELNS1_3repE0EEENS1_30default_config_static_selectorELNS0_4arch9wavefront6targetE1EEEvT1_: ; @_ZN7rocprim17ROCPRIM_400000_NS6detail17trampoline_kernelINS0_14default_configENS1_27scan_by_key_config_selectorIiiEEZZNS1_16scan_by_key_implILNS1_25lookback_scan_determinismE0ELb0ES3_N6thrust23THRUST_200600_302600_NS6detail15normal_iteratorINS9_10device_ptrIiEEEESE_SE_iNS9_4plusIvEENS9_8equal_toIiEEiEE10hipError_tPvRmT2_T3_T4_T5_mT6_T7_P12ihipStream_tbENKUlT_T0_E_clISt17integral_constantIbLb0EESY_IbLb1EEEEDaSU_SV_EUlSU_E_NS1_11comp_targetILNS1_3genE2ELNS1_11target_archE906ELNS1_3gpuE6ELNS1_3repE0EEENS1_30default_config_static_selectorELNS0_4arch9wavefront6targetE1EEEvT1_
; %bb.0:
	.section	.rodata,"a",@progbits
	.p2align	6, 0x0
	.amdhsa_kernel _ZN7rocprim17ROCPRIM_400000_NS6detail17trampoline_kernelINS0_14default_configENS1_27scan_by_key_config_selectorIiiEEZZNS1_16scan_by_key_implILNS1_25lookback_scan_determinismE0ELb0ES3_N6thrust23THRUST_200600_302600_NS6detail15normal_iteratorINS9_10device_ptrIiEEEESE_SE_iNS9_4plusIvEENS9_8equal_toIiEEiEE10hipError_tPvRmT2_T3_T4_T5_mT6_T7_P12ihipStream_tbENKUlT_T0_E_clISt17integral_constantIbLb0EESY_IbLb1EEEEDaSU_SV_EUlSU_E_NS1_11comp_targetILNS1_3genE2ELNS1_11target_archE906ELNS1_3gpuE6ELNS1_3repE0EEENS1_30default_config_static_selectorELNS0_4arch9wavefront6targetE1EEEvT1_
		.amdhsa_group_segment_fixed_size 0
		.amdhsa_private_segment_fixed_size 0
		.amdhsa_kernarg_size 112
		.amdhsa_user_sgpr_count 2
		.amdhsa_user_sgpr_dispatch_ptr 0
		.amdhsa_user_sgpr_queue_ptr 0
		.amdhsa_user_sgpr_kernarg_segment_ptr 1
		.amdhsa_user_sgpr_dispatch_id 0
		.amdhsa_user_sgpr_kernarg_preload_length 0
		.amdhsa_user_sgpr_kernarg_preload_offset 0
		.amdhsa_user_sgpr_private_segment_size 0
		.amdhsa_uses_dynamic_stack 0
		.amdhsa_enable_private_segment 0
		.amdhsa_system_sgpr_workgroup_id_x 1
		.amdhsa_system_sgpr_workgroup_id_y 0
		.amdhsa_system_sgpr_workgroup_id_z 0
		.amdhsa_system_sgpr_workgroup_info 0
		.amdhsa_system_vgpr_workitem_id 0
		.amdhsa_next_free_vgpr 1
		.amdhsa_next_free_sgpr 0
		.amdhsa_accum_offset 4
		.amdhsa_reserve_vcc 0
		.amdhsa_float_round_mode_32 0
		.amdhsa_float_round_mode_16_64 0
		.amdhsa_float_denorm_mode_32 3
		.amdhsa_float_denorm_mode_16_64 3
		.amdhsa_dx10_clamp 1
		.amdhsa_ieee_mode 1
		.amdhsa_fp16_overflow 0
		.amdhsa_tg_split 0
		.amdhsa_exception_fp_ieee_invalid_op 0
		.amdhsa_exception_fp_denorm_src 0
		.amdhsa_exception_fp_ieee_div_zero 0
		.amdhsa_exception_fp_ieee_overflow 0
		.amdhsa_exception_fp_ieee_underflow 0
		.amdhsa_exception_fp_ieee_inexact 0
		.amdhsa_exception_int_div_zero 0
	.end_amdhsa_kernel
	.section	.text._ZN7rocprim17ROCPRIM_400000_NS6detail17trampoline_kernelINS0_14default_configENS1_27scan_by_key_config_selectorIiiEEZZNS1_16scan_by_key_implILNS1_25lookback_scan_determinismE0ELb0ES3_N6thrust23THRUST_200600_302600_NS6detail15normal_iteratorINS9_10device_ptrIiEEEESE_SE_iNS9_4plusIvEENS9_8equal_toIiEEiEE10hipError_tPvRmT2_T3_T4_T5_mT6_T7_P12ihipStream_tbENKUlT_T0_E_clISt17integral_constantIbLb0EESY_IbLb1EEEEDaSU_SV_EUlSU_E_NS1_11comp_targetILNS1_3genE2ELNS1_11target_archE906ELNS1_3gpuE6ELNS1_3repE0EEENS1_30default_config_static_selectorELNS0_4arch9wavefront6targetE1EEEvT1_,"axG",@progbits,_ZN7rocprim17ROCPRIM_400000_NS6detail17trampoline_kernelINS0_14default_configENS1_27scan_by_key_config_selectorIiiEEZZNS1_16scan_by_key_implILNS1_25lookback_scan_determinismE0ELb0ES3_N6thrust23THRUST_200600_302600_NS6detail15normal_iteratorINS9_10device_ptrIiEEEESE_SE_iNS9_4plusIvEENS9_8equal_toIiEEiEE10hipError_tPvRmT2_T3_T4_T5_mT6_T7_P12ihipStream_tbENKUlT_T0_E_clISt17integral_constantIbLb0EESY_IbLb1EEEEDaSU_SV_EUlSU_E_NS1_11comp_targetILNS1_3genE2ELNS1_11target_archE906ELNS1_3gpuE6ELNS1_3repE0EEENS1_30default_config_static_selectorELNS0_4arch9wavefront6targetE1EEEvT1_,comdat
.Lfunc_end232:
	.size	_ZN7rocprim17ROCPRIM_400000_NS6detail17trampoline_kernelINS0_14default_configENS1_27scan_by_key_config_selectorIiiEEZZNS1_16scan_by_key_implILNS1_25lookback_scan_determinismE0ELb0ES3_N6thrust23THRUST_200600_302600_NS6detail15normal_iteratorINS9_10device_ptrIiEEEESE_SE_iNS9_4plusIvEENS9_8equal_toIiEEiEE10hipError_tPvRmT2_T3_T4_T5_mT6_T7_P12ihipStream_tbENKUlT_T0_E_clISt17integral_constantIbLb0EESY_IbLb1EEEEDaSU_SV_EUlSU_E_NS1_11comp_targetILNS1_3genE2ELNS1_11target_archE906ELNS1_3gpuE6ELNS1_3repE0EEENS1_30default_config_static_selectorELNS0_4arch9wavefront6targetE1EEEvT1_, .Lfunc_end232-_ZN7rocprim17ROCPRIM_400000_NS6detail17trampoline_kernelINS0_14default_configENS1_27scan_by_key_config_selectorIiiEEZZNS1_16scan_by_key_implILNS1_25lookback_scan_determinismE0ELb0ES3_N6thrust23THRUST_200600_302600_NS6detail15normal_iteratorINS9_10device_ptrIiEEEESE_SE_iNS9_4plusIvEENS9_8equal_toIiEEiEE10hipError_tPvRmT2_T3_T4_T5_mT6_T7_P12ihipStream_tbENKUlT_T0_E_clISt17integral_constantIbLb0EESY_IbLb1EEEEDaSU_SV_EUlSU_E_NS1_11comp_targetILNS1_3genE2ELNS1_11target_archE906ELNS1_3gpuE6ELNS1_3repE0EEENS1_30default_config_static_selectorELNS0_4arch9wavefront6targetE1EEEvT1_
                                        ; -- End function
	.section	.AMDGPU.csdata,"",@progbits
; Kernel info:
; codeLenInByte = 0
; NumSgprs: 6
; NumVgprs: 0
; NumAgprs: 0
; TotalNumVgprs: 0
; ScratchSize: 0
; MemoryBound: 0
; FloatMode: 240
; IeeeMode: 1
; LDSByteSize: 0 bytes/workgroup (compile time only)
; SGPRBlocks: 0
; VGPRBlocks: 0
; NumSGPRsForWavesPerEU: 6
; NumVGPRsForWavesPerEU: 1
; AccumOffset: 4
; Occupancy: 8
; WaveLimiterHint : 0
; COMPUTE_PGM_RSRC2:SCRATCH_EN: 0
; COMPUTE_PGM_RSRC2:USER_SGPR: 2
; COMPUTE_PGM_RSRC2:TRAP_HANDLER: 0
; COMPUTE_PGM_RSRC2:TGID_X_EN: 1
; COMPUTE_PGM_RSRC2:TGID_Y_EN: 0
; COMPUTE_PGM_RSRC2:TGID_Z_EN: 0
; COMPUTE_PGM_RSRC2:TIDIG_COMP_CNT: 0
; COMPUTE_PGM_RSRC3_GFX90A:ACCUM_OFFSET: 0
; COMPUTE_PGM_RSRC3_GFX90A:TG_SPLIT: 0
	.section	.text._ZN7rocprim17ROCPRIM_400000_NS6detail17trampoline_kernelINS0_14default_configENS1_27scan_by_key_config_selectorIiiEEZZNS1_16scan_by_key_implILNS1_25lookback_scan_determinismE0ELb0ES3_N6thrust23THRUST_200600_302600_NS6detail15normal_iteratorINS9_10device_ptrIiEEEESE_SE_iNS9_4plusIvEENS9_8equal_toIiEEiEE10hipError_tPvRmT2_T3_T4_T5_mT6_T7_P12ihipStream_tbENKUlT_T0_E_clISt17integral_constantIbLb0EESY_IbLb1EEEEDaSU_SV_EUlSU_E_NS1_11comp_targetILNS1_3genE10ELNS1_11target_archE1200ELNS1_3gpuE4ELNS1_3repE0EEENS1_30default_config_static_selectorELNS0_4arch9wavefront6targetE1EEEvT1_,"axG",@progbits,_ZN7rocprim17ROCPRIM_400000_NS6detail17trampoline_kernelINS0_14default_configENS1_27scan_by_key_config_selectorIiiEEZZNS1_16scan_by_key_implILNS1_25lookback_scan_determinismE0ELb0ES3_N6thrust23THRUST_200600_302600_NS6detail15normal_iteratorINS9_10device_ptrIiEEEESE_SE_iNS9_4plusIvEENS9_8equal_toIiEEiEE10hipError_tPvRmT2_T3_T4_T5_mT6_T7_P12ihipStream_tbENKUlT_T0_E_clISt17integral_constantIbLb0EESY_IbLb1EEEEDaSU_SV_EUlSU_E_NS1_11comp_targetILNS1_3genE10ELNS1_11target_archE1200ELNS1_3gpuE4ELNS1_3repE0EEENS1_30default_config_static_selectorELNS0_4arch9wavefront6targetE1EEEvT1_,comdat
	.protected	_ZN7rocprim17ROCPRIM_400000_NS6detail17trampoline_kernelINS0_14default_configENS1_27scan_by_key_config_selectorIiiEEZZNS1_16scan_by_key_implILNS1_25lookback_scan_determinismE0ELb0ES3_N6thrust23THRUST_200600_302600_NS6detail15normal_iteratorINS9_10device_ptrIiEEEESE_SE_iNS9_4plusIvEENS9_8equal_toIiEEiEE10hipError_tPvRmT2_T3_T4_T5_mT6_T7_P12ihipStream_tbENKUlT_T0_E_clISt17integral_constantIbLb0EESY_IbLb1EEEEDaSU_SV_EUlSU_E_NS1_11comp_targetILNS1_3genE10ELNS1_11target_archE1200ELNS1_3gpuE4ELNS1_3repE0EEENS1_30default_config_static_selectorELNS0_4arch9wavefront6targetE1EEEvT1_ ; -- Begin function _ZN7rocprim17ROCPRIM_400000_NS6detail17trampoline_kernelINS0_14default_configENS1_27scan_by_key_config_selectorIiiEEZZNS1_16scan_by_key_implILNS1_25lookback_scan_determinismE0ELb0ES3_N6thrust23THRUST_200600_302600_NS6detail15normal_iteratorINS9_10device_ptrIiEEEESE_SE_iNS9_4plusIvEENS9_8equal_toIiEEiEE10hipError_tPvRmT2_T3_T4_T5_mT6_T7_P12ihipStream_tbENKUlT_T0_E_clISt17integral_constantIbLb0EESY_IbLb1EEEEDaSU_SV_EUlSU_E_NS1_11comp_targetILNS1_3genE10ELNS1_11target_archE1200ELNS1_3gpuE4ELNS1_3repE0EEENS1_30default_config_static_selectorELNS0_4arch9wavefront6targetE1EEEvT1_
	.globl	_ZN7rocprim17ROCPRIM_400000_NS6detail17trampoline_kernelINS0_14default_configENS1_27scan_by_key_config_selectorIiiEEZZNS1_16scan_by_key_implILNS1_25lookback_scan_determinismE0ELb0ES3_N6thrust23THRUST_200600_302600_NS6detail15normal_iteratorINS9_10device_ptrIiEEEESE_SE_iNS9_4plusIvEENS9_8equal_toIiEEiEE10hipError_tPvRmT2_T3_T4_T5_mT6_T7_P12ihipStream_tbENKUlT_T0_E_clISt17integral_constantIbLb0EESY_IbLb1EEEEDaSU_SV_EUlSU_E_NS1_11comp_targetILNS1_3genE10ELNS1_11target_archE1200ELNS1_3gpuE4ELNS1_3repE0EEENS1_30default_config_static_selectorELNS0_4arch9wavefront6targetE1EEEvT1_
	.p2align	8
	.type	_ZN7rocprim17ROCPRIM_400000_NS6detail17trampoline_kernelINS0_14default_configENS1_27scan_by_key_config_selectorIiiEEZZNS1_16scan_by_key_implILNS1_25lookback_scan_determinismE0ELb0ES3_N6thrust23THRUST_200600_302600_NS6detail15normal_iteratorINS9_10device_ptrIiEEEESE_SE_iNS9_4plusIvEENS9_8equal_toIiEEiEE10hipError_tPvRmT2_T3_T4_T5_mT6_T7_P12ihipStream_tbENKUlT_T0_E_clISt17integral_constantIbLb0EESY_IbLb1EEEEDaSU_SV_EUlSU_E_NS1_11comp_targetILNS1_3genE10ELNS1_11target_archE1200ELNS1_3gpuE4ELNS1_3repE0EEENS1_30default_config_static_selectorELNS0_4arch9wavefront6targetE1EEEvT1_,@function
_ZN7rocprim17ROCPRIM_400000_NS6detail17trampoline_kernelINS0_14default_configENS1_27scan_by_key_config_selectorIiiEEZZNS1_16scan_by_key_implILNS1_25lookback_scan_determinismE0ELb0ES3_N6thrust23THRUST_200600_302600_NS6detail15normal_iteratorINS9_10device_ptrIiEEEESE_SE_iNS9_4plusIvEENS9_8equal_toIiEEiEE10hipError_tPvRmT2_T3_T4_T5_mT6_T7_P12ihipStream_tbENKUlT_T0_E_clISt17integral_constantIbLb0EESY_IbLb1EEEEDaSU_SV_EUlSU_E_NS1_11comp_targetILNS1_3genE10ELNS1_11target_archE1200ELNS1_3gpuE4ELNS1_3repE0EEENS1_30default_config_static_selectorELNS0_4arch9wavefront6targetE1EEEvT1_: ; @_ZN7rocprim17ROCPRIM_400000_NS6detail17trampoline_kernelINS0_14default_configENS1_27scan_by_key_config_selectorIiiEEZZNS1_16scan_by_key_implILNS1_25lookback_scan_determinismE0ELb0ES3_N6thrust23THRUST_200600_302600_NS6detail15normal_iteratorINS9_10device_ptrIiEEEESE_SE_iNS9_4plusIvEENS9_8equal_toIiEEiEE10hipError_tPvRmT2_T3_T4_T5_mT6_T7_P12ihipStream_tbENKUlT_T0_E_clISt17integral_constantIbLb0EESY_IbLb1EEEEDaSU_SV_EUlSU_E_NS1_11comp_targetILNS1_3genE10ELNS1_11target_archE1200ELNS1_3gpuE4ELNS1_3repE0EEENS1_30default_config_static_selectorELNS0_4arch9wavefront6targetE1EEEvT1_
; %bb.0:
	.section	.rodata,"a",@progbits
	.p2align	6, 0x0
	.amdhsa_kernel _ZN7rocprim17ROCPRIM_400000_NS6detail17trampoline_kernelINS0_14default_configENS1_27scan_by_key_config_selectorIiiEEZZNS1_16scan_by_key_implILNS1_25lookback_scan_determinismE0ELb0ES3_N6thrust23THRUST_200600_302600_NS6detail15normal_iteratorINS9_10device_ptrIiEEEESE_SE_iNS9_4plusIvEENS9_8equal_toIiEEiEE10hipError_tPvRmT2_T3_T4_T5_mT6_T7_P12ihipStream_tbENKUlT_T0_E_clISt17integral_constantIbLb0EESY_IbLb1EEEEDaSU_SV_EUlSU_E_NS1_11comp_targetILNS1_3genE10ELNS1_11target_archE1200ELNS1_3gpuE4ELNS1_3repE0EEENS1_30default_config_static_selectorELNS0_4arch9wavefront6targetE1EEEvT1_
		.amdhsa_group_segment_fixed_size 0
		.amdhsa_private_segment_fixed_size 0
		.amdhsa_kernarg_size 112
		.amdhsa_user_sgpr_count 2
		.amdhsa_user_sgpr_dispatch_ptr 0
		.amdhsa_user_sgpr_queue_ptr 0
		.amdhsa_user_sgpr_kernarg_segment_ptr 1
		.amdhsa_user_sgpr_dispatch_id 0
		.amdhsa_user_sgpr_kernarg_preload_length 0
		.amdhsa_user_sgpr_kernarg_preload_offset 0
		.amdhsa_user_sgpr_private_segment_size 0
		.amdhsa_uses_dynamic_stack 0
		.amdhsa_enable_private_segment 0
		.amdhsa_system_sgpr_workgroup_id_x 1
		.amdhsa_system_sgpr_workgroup_id_y 0
		.amdhsa_system_sgpr_workgroup_id_z 0
		.amdhsa_system_sgpr_workgroup_info 0
		.amdhsa_system_vgpr_workitem_id 0
		.amdhsa_next_free_vgpr 1
		.amdhsa_next_free_sgpr 0
		.amdhsa_accum_offset 4
		.amdhsa_reserve_vcc 0
		.amdhsa_float_round_mode_32 0
		.amdhsa_float_round_mode_16_64 0
		.amdhsa_float_denorm_mode_32 3
		.amdhsa_float_denorm_mode_16_64 3
		.amdhsa_dx10_clamp 1
		.amdhsa_ieee_mode 1
		.amdhsa_fp16_overflow 0
		.amdhsa_tg_split 0
		.amdhsa_exception_fp_ieee_invalid_op 0
		.amdhsa_exception_fp_denorm_src 0
		.amdhsa_exception_fp_ieee_div_zero 0
		.amdhsa_exception_fp_ieee_overflow 0
		.amdhsa_exception_fp_ieee_underflow 0
		.amdhsa_exception_fp_ieee_inexact 0
		.amdhsa_exception_int_div_zero 0
	.end_amdhsa_kernel
	.section	.text._ZN7rocprim17ROCPRIM_400000_NS6detail17trampoline_kernelINS0_14default_configENS1_27scan_by_key_config_selectorIiiEEZZNS1_16scan_by_key_implILNS1_25lookback_scan_determinismE0ELb0ES3_N6thrust23THRUST_200600_302600_NS6detail15normal_iteratorINS9_10device_ptrIiEEEESE_SE_iNS9_4plusIvEENS9_8equal_toIiEEiEE10hipError_tPvRmT2_T3_T4_T5_mT6_T7_P12ihipStream_tbENKUlT_T0_E_clISt17integral_constantIbLb0EESY_IbLb1EEEEDaSU_SV_EUlSU_E_NS1_11comp_targetILNS1_3genE10ELNS1_11target_archE1200ELNS1_3gpuE4ELNS1_3repE0EEENS1_30default_config_static_selectorELNS0_4arch9wavefront6targetE1EEEvT1_,"axG",@progbits,_ZN7rocprim17ROCPRIM_400000_NS6detail17trampoline_kernelINS0_14default_configENS1_27scan_by_key_config_selectorIiiEEZZNS1_16scan_by_key_implILNS1_25lookback_scan_determinismE0ELb0ES3_N6thrust23THRUST_200600_302600_NS6detail15normal_iteratorINS9_10device_ptrIiEEEESE_SE_iNS9_4plusIvEENS9_8equal_toIiEEiEE10hipError_tPvRmT2_T3_T4_T5_mT6_T7_P12ihipStream_tbENKUlT_T0_E_clISt17integral_constantIbLb0EESY_IbLb1EEEEDaSU_SV_EUlSU_E_NS1_11comp_targetILNS1_3genE10ELNS1_11target_archE1200ELNS1_3gpuE4ELNS1_3repE0EEENS1_30default_config_static_selectorELNS0_4arch9wavefront6targetE1EEEvT1_,comdat
.Lfunc_end233:
	.size	_ZN7rocprim17ROCPRIM_400000_NS6detail17trampoline_kernelINS0_14default_configENS1_27scan_by_key_config_selectorIiiEEZZNS1_16scan_by_key_implILNS1_25lookback_scan_determinismE0ELb0ES3_N6thrust23THRUST_200600_302600_NS6detail15normal_iteratorINS9_10device_ptrIiEEEESE_SE_iNS9_4plusIvEENS9_8equal_toIiEEiEE10hipError_tPvRmT2_T3_T4_T5_mT6_T7_P12ihipStream_tbENKUlT_T0_E_clISt17integral_constantIbLb0EESY_IbLb1EEEEDaSU_SV_EUlSU_E_NS1_11comp_targetILNS1_3genE10ELNS1_11target_archE1200ELNS1_3gpuE4ELNS1_3repE0EEENS1_30default_config_static_selectorELNS0_4arch9wavefront6targetE1EEEvT1_, .Lfunc_end233-_ZN7rocprim17ROCPRIM_400000_NS6detail17trampoline_kernelINS0_14default_configENS1_27scan_by_key_config_selectorIiiEEZZNS1_16scan_by_key_implILNS1_25lookback_scan_determinismE0ELb0ES3_N6thrust23THRUST_200600_302600_NS6detail15normal_iteratorINS9_10device_ptrIiEEEESE_SE_iNS9_4plusIvEENS9_8equal_toIiEEiEE10hipError_tPvRmT2_T3_T4_T5_mT6_T7_P12ihipStream_tbENKUlT_T0_E_clISt17integral_constantIbLb0EESY_IbLb1EEEEDaSU_SV_EUlSU_E_NS1_11comp_targetILNS1_3genE10ELNS1_11target_archE1200ELNS1_3gpuE4ELNS1_3repE0EEENS1_30default_config_static_selectorELNS0_4arch9wavefront6targetE1EEEvT1_
                                        ; -- End function
	.section	.AMDGPU.csdata,"",@progbits
; Kernel info:
; codeLenInByte = 0
; NumSgprs: 6
; NumVgprs: 0
; NumAgprs: 0
; TotalNumVgprs: 0
; ScratchSize: 0
; MemoryBound: 0
; FloatMode: 240
; IeeeMode: 1
; LDSByteSize: 0 bytes/workgroup (compile time only)
; SGPRBlocks: 0
; VGPRBlocks: 0
; NumSGPRsForWavesPerEU: 6
; NumVGPRsForWavesPerEU: 1
; AccumOffset: 4
; Occupancy: 8
; WaveLimiterHint : 0
; COMPUTE_PGM_RSRC2:SCRATCH_EN: 0
; COMPUTE_PGM_RSRC2:USER_SGPR: 2
; COMPUTE_PGM_RSRC2:TRAP_HANDLER: 0
; COMPUTE_PGM_RSRC2:TGID_X_EN: 1
; COMPUTE_PGM_RSRC2:TGID_Y_EN: 0
; COMPUTE_PGM_RSRC2:TGID_Z_EN: 0
; COMPUTE_PGM_RSRC2:TIDIG_COMP_CNT: 0
; COMPUTE_PGM_RSRC3_GFX90A:ACCUM_OFFSET: 0
; COMPUTE_PGM_RSRC3_GFX90A:TG_SPLIT: 0
	.section	.text._ZN7rocprim17ROCPRIM_400000_NS6detail17trampoline_kernelINS0_14default_configENS1_27scan_by_key_config_selectorIiiEEZZNS1_16scan_by_key_implILNS1_25lookback_scan_determinismE0ELb0ES3_N6thrust23THRUST_200600_302600_NS6detail15normal_iteratorINS9_10device_ptrIiEEEESE_SE_iNS9_4plusIvEENS9_8equal_toIiEEiEE10hipError_tPvRmT2_T3_T4_T5_mT6_T7_P12ihipStream_tbENKUlT_T0_E_clISt17integral_constantIbLb0EESY_IbLb1EEEEDaSU_SV_EUlSU_E_NS1_11comp_targetILNS1_3genE9ELNS1_11target_archE1100ELNS1_3gpuE3ELNS1_3repE0EEENS1_30default_config_static_selectorELNS0_4arch9wavefront6targetE1EEEvT1_,"axG",@progbits,_ZN7rocprim17ROCPRIM_400000_NS6detail17trampoline_kernelINS0_14default_configENS1_27scan_by_key_config_selectorIiiEEZZNS1_16scan_by_key_implILNS1_25lookback_scan_determinismE0ELb0ES3_N6thrust23THRUST_200600_302600_NS6detail15normal_iteratorINS9_10device_ptrIiEEEESE_SE_iNS9_4plusIvEENS9_8equal_toIiEEiEE10hipError_tPvRmT2_T3_T4_T5_mT6_T7_P12ihipStream_tbENKUlT_T0_E_clISt17integral_constantIbLb0EESY_IbLb1EEEEDaSU_SV_EUlSU_E_NS1_11comp_targetILNS1_3genE9ELNS1_11target_archE1100ELNS1_3gpuE3ELNS1_3repE0EEENS1_30default_config_static_selectorELNS0_4arch9wavefront6targetE1EEEvT1_,comdat
	.protected	_ZN7rocprim17ROCPRIM_400000_NS6detail17trampoline_kernelINS0_14default_configENS1_27scan_by_key_config_selectorIiiEEZZNS1_16scan_by_key_implILNS1_25lookback_scan_determinismE0ELb0ES3_N6thrust23THRUST_200600_302600_NS6detail15normal_iteratorINS9_10device_ptrIiEEEESE_SE_iNS9_4plusIvEENS9_8equal_toIiEEiEE10hipError_tPvRmT2_T3_T4_T5_mT6_T7_P12ihipStream_tbENKUlT_T0_E_clISt17integral_constantIbLb0EESY_IbLb1EEEEDaSU_SV_EUlSU_E_NS1_11comp_targetILNS1_3genE9ELNS1_11target_archE1100ELNS1_3gpuE3ELNS1_3repE0EEENS1_30default_config_static_selectorELNS0_4arch9wavefront6targetE1EEEvT1_ ; -- Begin function _ZN7rocprim17ROCPRIM_400000_NS6detail17trampoline_kernelINS0_14default_configENS1_27scan_by_key_config_selectorIiiEEZZNS1_16scan_by_key_implILNS1_25lookback_scan_determinismE0ELb0ES3_N6thrust23THRUST_200600_302600_NS6detail15normal_iteratorINS9_10device_ptrIiEEEESE_SE_iNS9_4plusIvEENS9_8equal_toIiEEiEE10hipError_tPvRmT2_T3_T4_T5_mT6_T7_P12ihipStream_tbENKUlT_T0_E_clISt17integral_constantIbLb0EESY_IbLb1EEEEDaSU_SV_EUlSU_E_NS1_11comp_targetILNS1_3genE9ELNS1_11target_archE1100ELNS1_3gpuE3ELNS1_3repE0EEENS1_30default_config_static_selectorELNS0_4arch9wavefront6targetE1EEEvT1_
	.globl	_ZN7rocprim17ROCPRIM_400000_NS6detail17trampoline_kernelINS0_14default_configENS1_27scan_by_key_config_selectorIiiEEZZNS1_16scan_by_key_implILNS1_25lookback_scan_determinismE0ELb0ES3_N6thrust23THRUST_200600_302600_NS6detail15normal_iteratorINS9_10device_ptrIiEEEESE_SE_iNS9_4plusIvEENS9_8equal_toIiEEiEE10hipError_tPvRmT2_T3_T4_T5_mT6_T7_P12ihipStream_tbENKUlT_T0_E_clISt17integral_constantIbLb0EESY_IbLb1EEEEDaSU_SV_EUlSU_E_NS1_11comp_targetILNS1_3genE9ELNS1_11target_archE1100ELNS1_3gpuE3ELNS1_3repE0EEENS1_30default_config_static_selectorELNS0_4arch9wavefront6targetE1EEEvT1_
	.p2align	8
	.type	_ZN7rocprim17ROCPRIM_400000_NS6detail17trampoline_kernelINS0_14default_configENS1_27scan_by_key_config_selectorIiiEEZZNS1_16scan_by_key_implILNS1_25lookback_scan_determinismE0ELb0ES3_N6thrust23THRUST_200600_302600_NS6detail15normal_iteratorINS9_10device_ptrIiEEEESE_SE_iNS9_4plusIvEENS9_8equal_toIiEEiEE10hipError_tPvRmT2_T3_T4_T5_mT6_T7_P12ihipStream_tbENKUlT_T0_E_clISt17integral_constantIbLb0EESY_IbLb1EEEEDaSU_SV_EUlSU_E_NS1_11comp_targetILNS1_3genE9ELNS1_11target_archE1100ELNS1_3gpuE3ELNS1_3repE0EEENS1_30default_config_static_selectorELNS0_4arch9wavefront6targetE1EEEvT1_,@function
_ZN7rocprim17ROCPRIM_400000_NS6detail17trampoline_kernelINS0_14default_configENS1_27scan_by_key_config_selectorIiiEEZZNS1_16scan_by_key_implILNS1_25lookback_scan_determinismE0ELb0ES3_N6thrust23THRUST_200600_302600_NS6detail15normal_iteratorINS9_10device_ptrIiEEEESE_SE_iNS9_4plusIvEENS9_8equal_toIiEEiEE10hipError_tPvRmT2_T3_T4_T5_mT6_T7_P12ihipStream_tbENKUlT_T0_E_clISt17integral_constantIbLb0EESY_IbLb1EEEEDaSU_SV_EUlSU_E_NS1_11comp_targetILNS1_3genE9ELNS1_11target_archE1100ELNS1_3gpuE3ELNS1_3repE0EEENS1_30default_config_static_selectorELNS0_4arch9wavefront6targetE1EEEvT1_: ; @_ZN7rocprim17ROCPRIM_400000_NS6detail17trampoline_kernelINS0_14default_configENS1_27scan_by_key_config_selectorIiiEEZZNS1_16scan_by_key_implILNS1_25lookback_scan_determinismE0ELb0ES3_N6thrust23THRUST_200600_302600_NS6detail15normal_iteratorINS9_10device_ptrIiEEEESE_SE_iNS9_4plusIvEENS9_8equal_toIiEEiEE10hipError_tPvRmT2_T3_T4_T5_mT6_T7_P12ihipStream_tbENKUlT_T0_E_clISt17integral_constantIbLb0EESY_IbLb1EEEEDaSU_SV_EUlSU_E_NS1_11comp_targetILNS1_3genE9ELNS1_11target_archE1100ELNS1_3gpuE3ELNS1_3repE0EEENS1_30default_config_static_selectorELNS0_4arch9wavefront6targetE1EEEvT1_
; %bb.0:
	.section	.rodata,"a",@progbits
	.p2align	6, 0x0
	.amdhsa_kernel _ZN7rocprim17ROCPRIM_400000_NS6detail17trampoline_kernelINS0_14default_configENS1_27scan_by_key_config_selectorIiiEEZZNS1_16scan_by_key_implILNS1_25lookback_scan_determinismE0ELb0ES3_N6thrust23THRUST_200600_302600_NS6detail15normal_iteratorINS9_10device_ptrIiEEEESE_SE_iNS9_4plusIvEENS9_8equal_toIiEEiEE10hipError_tPvRmT2_T3_T4_T5_mT6_T7_P12ihipStream_tbENKUlT_T0_E_clISt17integral_constantIbLb0EESY_IbLb1EEEEDaSU_SV_EUlSU_E_NS1_11comp_targetILNS1_3genE9ELNS1_11target_archE1100ELNS1_3gpuE3ELNS1_3repE0EEENS1_30default_config_static_selectorELNS0_4arch9wavefront6targetE1EEEvT1_
		.amdhsa_group_segment_fixed_size 0
		.amdhsa_private_segment_fixed_size 0
		.amdhsa_kernarg_size 112
		.amdhsa_user_sgpr_count 2
		.amdhsa_user_sgpr_dispatch_ptr 0
		.amdhsa_user_sgpr_queue_ptr 0
		.amdhsa_user_sgpr_kernarg_segment_ptr 1
		.amdhsa_user_sgpr_dispatch_id 0
		.amdhsa_user_sgpr_kernarg_preload_length 0
		.amdhsa_user_sgpr_kernarg_preload_offset 0
		.amdhsa_user_sgpr_private_segment_size 0
		.amdhsa_uses_dynamic_stack 0
		.amdhsa_enable_private_segment 0
		.amdhsa_system_sgpr_workgroup_id_x 1
		.amdhsa_system_sgpr_workgroup_id_y 0
		.amdhsa_system_sgpr_workgroup_id_z 0
		.amdhsa_system_sgpr_workgroup_info 0
		.amdhsa_system_vgpr_workitem_id 0
		.amdhsa_next_free_vgpr 1
		.amdhsa_next_free_sgpr 0
		.amdhsa_accum_offset 4
		.amdhsa_reserve_vcc 0
		.amdhsa_float_round_mode_32 0
		.amdhsa_float_round_mode_16_64 0
		.amdhsa_float_denorm_mode_32 3
		.amdhsa_float_denorm_mode_16_64 3
		.amdhsa_dx10_clamp 1
		.amdhsa_ieee_mode 1
		.amdhsa_fp16_overflow 0
		.amdhsa_tg_split 0
		.amdhsa_exception_fp_ieee_invalid_op 0
		.amdhsa_exception_fp_denorm_src 0
		.amdhsa_exception_fp_ieee_div_zero 0
		.amdhsa_exception_fp_ieee_overflow 0
		.amdhsa_exception_fp_ieee_underflow 0
		.amdhsa_exception_fp_ieee_inexact 0
		.amdhsa_exception_int_div_zero 0
	.end_amdhsa_kernel
	.section	.text._ZN7rocprim17ROCPRIM_400000_NS6detail17trampoline_kernelINS0_14default_configENS1_27scan_by_key_config_selectorIiiEEZZNS1_16scan_by_key_implILNS1_25lookback_scan_determinismE0ELb0ES3_N6thrust23THRUST_200600_302600_NS6detail15normal_iteratorINS9_10device_ptrIiEEEESE_SE_iNS9_4plusIvEENS9_8equal_toIiEEiEE10hipError_tPvRmT2_T3_T4_T5_mT6_T7_P12ihipStream_tbENKUlT_T0_E_clISt17integral_constantIbLb0EESY_IbLb1EEEEDaSU_SV_EUlSU_E_NS1_11comp_targetILNS1_3genE9ELNS1_11target_archE1100ELNS1_3gpuE3ELNS1_3repE0EEENS1_30default_config_static_selectorELNS0_4arch9wavefront6targetE1EEEvT1_,"axG",@progbits,_ZN7rocprim17ROCPRIM_400000_NS6detail17trampoline_kernelINS0_14default_configENS1_27scan_by_key_config_selectorIiiEEZZNS1_16scan_by_key_implILNS1_25lookback_scan_determinismE0ELb0ES3_N6thrust23THRUST_200600_302600_NS6detail15normal_iteratorINS9_10device_ptrIiEEEESE_SE_iNS9_4plusIvEENS9_8equal_toIiEEiEE10hipError_tPvRmT2_T3_T4_T5_mT6_T7_P12ihipStream_tbENKUlT_T0_E_clISt17integral_constantIbLb0EESY_IbLb1EEEEDaSU_SV_EUlSU_E_NS1_11comp_targetILNS1_3genE9ELNS1_11target_archE1100ELNS1_3gpuE3ELNS1_3repE0EEENS1_30default_config_static_selectorELNS0_4arch9wavefront6targetE1EEEvT1_,comdat
.Lfunc_end234:
	.size	_ZN7rocprim17ROCPRIM_400000_NS6detail17trampoline_kernelINS0_14default_configENS1_27scan_by_key_config_selectorIiiEEZZNS1_16scan_by_key_implILNS1_25lookback_scan_determinismE0ELb0ES3_N6thrust23THRUST_200600_302600_NS6detail15normal_iteratorINS9_10device_ptrIiEEEESE_SE_iNS9_4plusIvEENS9_8equal_toIiEEiEE10hipError_tPvRmT2_T3_T4_T5_mT6_T7_P12ihipStream_tbENKUlT_T0_E_clISt17integral_constantIbLb0EESY_IbLb1EEEEDaSU_SV_EUlSU_E_NS1_11comp_targetILNS1_3genE9ELNS1_11target_archE1100ELNS1_3gpuE3ELNS1_3repE0EEENS1_30default_config_static_selectorELNS0_4arch9wavefront6targetE1EEEvT1_, .Lfunc_end234-_ZN7rocprim17ROCPRIM_400000_NS6detail17trampoline_kernelINS0_14default_configENS1_27scan_by_key_config_selectorIiiEEZZNS1_16scan_by_key_implILNS1_25lookback_scan_determinismE0ELb0ES3_N6thrust23THRUST_200600_302600_NS6detail15normal_iteratorINS9_10device_ptrIiEEEESE_SE_iNS9_4plusIvEENS9_8equal_toIiEEiEE10hipError_tPvRmT2_T3_T4_T5_mT6_T7_P12ihipStream_tbENKUlT_T0_E_clISt17integral_constantIbLb0EESY_IbLb1EEEEDaSU_SV_EUlSU_E_NS1_11comp_targetILNS1_3genE9ELNS1_11target_archE1100ELNS1_3gpuE3ELNS1_3repE0EEENS1_30default_config_static_selectorELNS0_4arch9wavefront6targetE1EEEvT1_
                                        ; -- End function
	.section	.AMDGPU.csdata,"",@progbits
; Kernel info:
; codeLenInByte = 0
; NumSgprs: 6
; NumVgprs: 0
; NumAgprs: 0
; TotalNumVgprs: 0
; ScratchSize: 0
; MemoryBound: 0
; FloatMode: 240
; IeeeMode: 1
; LDSByteSize: 0 bytes/workgroup (compile time only)
; SGPRBlocks: 0
; VGPRBlocks: 0
; NumSGPRsForWavesPerEU: 6
; NumVGPRsForWavesPerEU: 1
; AccumOffset: 4
; Occupancy: 8
; WaveLimiterHint : 0
; COMPUTE_PGM_RSRC2:SCRATCH_EN: 0
; COMPUTE_PGM_RSRC2:USER_SGPR: 2
; COMPUTE_PGM_RSRC2:TRAP_HANDLER: 0
; COMPUTE_PGM_RSRC2:TGID_X_EN: 1
; COMPUTE_PGM_RSRC2:TGID_Y_EN: 0
; COMPUTE_PGM_RSRC2:TGID_Z_EN: 0
; COMPUTE_PGM_RSRC2:TIDIG_COMP_CNT: 0
; COMPUTE_PGM_RSRC3_GFX90A:ACCUM_OFFSET: 0
; COMPUTE_PGM_RSRC3_GFX90A:TG_SPLIT: 0
	.section	.text._ZN7rocprim17ROCPRIM_400000_NS6detail17trampoline_kernelINS0_14default_configENS1_27scan_by_key_config_selectorIiiEEZZNS1_16scan_by_key_implILNS1_25lookback_scan_determinismE0ELb0ES3_N6thrust23THRUST_200600_302600_NS6detail15normal_iteratorINS9_10device_ptrIiEEEESE_SE_iNS9_4plusIvEENS9_8equal_toIiEEiEE10hipError_tPvRmT2_T3_T4_T5_mT6_T7_P12ihipStream_tbENKUlT_T0_E_clISt17integral_constantIbLb0EESY_IbLb1EEEEDaSU_SV_EUlSU_E_NS1_11comp_targetILNS1_3genE8ELNS1_11target_archE1030ELNS1_3gpuE2ELNS1_3repE0EEENS1_30default_config_static_selectorELNS0_4arch9wavefront6targetE1EEEvT1_,"axG",@progbits,_ZN7rocprim17ROCPRIM_400000_NS6detail17trampoline_kernelINS0_14default_configENS1_27scan_by_key_config_selectorIiiEEZZNS1_16scan_by_key_implILNS1_25lookback_scan_determinismE0ELb0ES3_N6thrust23THRUST_200600_302600_NS6detail15normal_iteratorINS9_10device_ptrIiEEEESE_SE_iNS9_4plusIvEENS9_8equal_toIiEEiEE10hipError_tPvRmT2_T3_T4_T5_mT6_T7_P12ihipStream_tbENKUlT_T0_E_clISt17integral_constantIbLb0EESY_IbLb1EEEEDaSU_SV_EUlSU_E_NS1_11comp_targetILNS1_3genE8ELNS1_11target_archE1030ELNS1_3gpuE2ELNS1_3repE0EEENS1_30default_config_static_selectorELNS0_4arch9wavefront6targetE1EEEvT1_,comdat
	.protected	_ZN7rocprim17ROCPRIM_400000_NS6detail17trampoline_kernelINS0_14default_configENS1_27scan_by_key_config_selectorIiiEEZZNS1_16scan_by_key_implILNS1_25lookback_scan_determinismE0ELb0ES3_N6thrust23THRUST_200600_302600_NS6detail15normal_iteratorINS9_10device_ptrIiEEEESE_SE_iNS9_4plusIvEENS9_8equal_toIiEEiEE10hipError_tPvRmT2_T3_T4_T5_mT6_T7_P12ihipStream_tbENKUlT_T0_E_clISt17integral_constantIbLb0EESY_IbLb1EEEEDaSU_SV_EUlSU_E_NS1_11comp_targetILNS1_3genE8ELNS1_11target_archE1030ELNS1_3gpuE2ELNS1_3repE0EEENS1_30default_config_static_selectorELNS0_4arch9wavefront6targetE1EEEvT1_ ; -- Begin function _ZN7rocprim17ROCPRIM_400000_NS6detail17trampoline_kernelINS0_14default_configENS1_27scan_by_key_config_selectorIiiEEZZNS1_16scan_by_key_implILNS1_25lookback_scan_determinismE0ELb0ES3_N6thrust23THRUST_200600_302600_NS6detail15normal_iteratorINS9_10device_ptrIiEEEESE_SE_iNS9_4plusIvEENS9_8equal_toIiEEiEE10hipError_tPvRmT2_T3_T4_T5_mT6_T7_P12ihipStream_tbENKUlT_T0_E_clISt17integral_constantIbLb0EESY_IbLb1EEEEDaSU_SV_EUlSU_E_NS1_11comp_targetILNS1_3genE8ELNS1_11target_archE1030ELNS1_3gpuE2ELNS1_3repE0EEENS1_30default_config_static_selectorELNS0_4arch9wavefront6targetE1EEEvT1_
	.globl	_ZN7rocprim17ROCPRIM_400000_NS6detail17trampoline_kernelINS0_14default_configENS1_27scan_by_key_config_selectorIiiEEZZNS1_16scan_by_key_implILNS1_25lookback_scan_determinismE0ELb0ES3_N6thrust23THRUST_200600_302600_NS6detail15normal_iteratorINS9_10device_ptrIiEEEESE_SE_iNS9_4plusIvEENS9_8equal_toIiEEiEE10hipError_tPvRmT2_T3_T4_T5_mT6_T7_P12ihipStream_tbENKUlT_T0_E_clISt17integral_constantIbLb0EESY_IbLb1EEEEDaSU_SV_EUlSU_E_NS1_11comp_targetILNS1_3genE8ELNS1_11target_archE1030ELNS1_3gpuE2ELNS1_3repE0EEENS1_30default_config_static_selectorELNS0_4arch9wavefront6targetE1EEEvT1_
	.p2align	8
	.type	_ZN7rocprim17ROCPRIM_400000_NS6detail17trampoline_kernelINS0_14default_configENS1_27scan_by_key_config_selectorIiiEEZZNS1_16scan_by_key_implILNS1_25lookback_scan_determinismE0ELb0ES3_N6thrust23THRUST_200600_302600_NS6detail15normal_iteratorINS9_10device_ptrIiEEEESE_SE_iNS9_4plusIvEENS9_8equal_toIiEEiEE10hipError_tPvRmT2_T3_T4_T5_mT6_T7_P12ihipStream_tbENKUlT_T0_E_clISt17integral_constantIbLb0EESY_IbLb1EEEEDaSU_SV_EUlSU_E_NS1_11comp_targetILNS1_3genE8ELNS1_11target_archE1030ELNS1_3gpuE2ELNS1_3repE0EEENS1_30default_config_static_selectorELNS0_4arch9wavefront6targetE1EEEvT1_,@function
_ZN7rocprim17ROCPRIM_400000_NS6detail17trampoline_kernelINS0_14default_configENS1_27scan_by_key_config_selectorIiiEEZZNS1_16scan_by_key_implILNS1_25lookback_scan_determinismE0ELb0ES3_N6thrust23THRUST_200600_302600_NS6detail15normal_iteratorINS9_10device_ptrIiEEEESE_SE_iNS9_4plusIvEENS9_8equal_toIiEEiEE10hipError_tPvRmT2_T3_T4_T5_mT6_T7_P12ihipStream_tbENKUlT_T0_E_clISt17integral_constantIbLb0EESY_IbLb1EEEEDaSU_SV_EUlSU_E_NS1_11comp_targetILNS1_3genE8ELNS1_11target_archE1030ELNS1_3gpuE2ELNS1_3repE0EEENS1_30default_config_static_selectorELNS0_4arch9wavefront6targetE1EEEvT1_: ; @_ZN7rocprim17ROCPRIM_400000_NS6detail17trampoline_kernelINS0_14default_configENS1_27scan_by_key_config_selectorIiiEEZZNS1_16scan_by_key_implILNS1_25lookback_scan_determinismE0ELb0ES3_N6thrust23THRUST_200600_302600_NS6detail15normal_iteratorINS9_10device_ptrIiEEEESE_SE_iNS9_4plusIvEENS9_8equal_toIiEEiEE10hipError_tPvRmT2_T3_T4_T5_mT6_T7_P12ihipStream_tbENKUlT_T0_E_clISt17integral_constantIbLb0EESY_IbLb1EEEEDaSU_SV_EUlSU_E_NS1_11comp_targetILNS1_3genE8ELNS1_11target_archE1030ELNS1_3gpuE2ELNS1_3repE0EEENS1_30default_config_static_selectorELNS0_4arch9wavefront6targetE1EEEvT1_
; %bb.0:
	.section	.rodata,"a",@progbits
	.p2align	6, 0x0
	.amdhsa_kernel _ZN7rocprim17ROCPRIM_400000_NS6detail17trampoline_kernelINS0_14default_configENS1_27scan_by_key_config_selectorIiiEEZZNS1_16scan_by_key_implILNS1_25lookback_scan_determinismE0ELb0ES3_N6thrust23THRUST_200600_302600_NS6detail15normal_iteratorINS9_10device_ptrIiEEEESE_SE_iNS9_4plusIvEENS9_8equal_toIiEEiEE10hipError_tPvRmT2_T3_T4_T5_mT6_T7_P12ihipStream_tbENKUlT_T0_E_clISt17integral_constantIbLb0EESY_IbLb1EEEEDaSU_SV_EUlSU_E_NS1_11comp_targetILNS1_3genE8ELNS1_11target_archE1030ELNS1_3gpuE2ELNS1_3repE0EEENS1_30default_config_static_selectorELNS0_4arch9wavefront6targetE1EEEvT1_
		.amdhsa_group_segment_fixed_size 0
		.amdhsa_private_segment_fixed_size 0
		.amdhsa_kernarg_size 112
		.amdhsa_user_sgpr_count 2
		.amdhsa_user_sgpr_dispatch_ptr 0
		.amdhsa_user_sgpr_queue_ptr 0
		.amdhsa_user_sgpr_kernarg_segment_ptr 1
		.amdhsa_user_sgpr_dispatch_id 0
		.amdhsa_user_sgpr_kernarg_preload_length 0
		.amdhsa_user_sgpr_kernarg_preload_offset 0
		.amdhsa_user_sgpr_private_segment_size 0
		.amdhsa_uses_dynamic_stack 0
		.amdhsa_enable_private_segment 0
		.amdhsa_system_sgpr_workgroup_id_x 1
		.amdhsa_system_sgpr_workgroup_id_y 0
		.amdhsa_system_sgpr_workgroup_id_z 0
		.amdhsa_system_sgpr_workgroup_info 0
		.amdhsa_system_vgpr_workitem_id 0
		.amdhsa_next_free_vgpr 1
		.amdhsa_next_free_sgpr 0
		.amdhsa_accum_offset 4
		.amdhsa_reserve_vcc 0
		.amdhsa_float_round_mode_32 0
		.amdhsa_float_round_mode_16_64 0
		.amdhsa_float_denorm_mode_32 3
		.amdhsa_float_denorm_mode_16_64 3
		.amdhsa_dx10_clamp 1
		.amdhsa_ieee_mode 1
		.amdhsa_fp16_overflow 0
		.amdhsa_tg_split 0
		.amdhsa_exception_fp_ieee_invalid_op 0
		.amdhsa_exception_fp_denorm_src 0
		.amdhsa_exception_fp_ieee_div_zero 0
		.amdhsa_exception_fp_ieee_overflow 0
		.amdhsa_exception_fp_ieee_underflow 0
		.amdhsa_exception_fp_ieee_inexact 0
		.amdhsa_exception_int_div_zero 0
	.end_amdhsa_kernel
	.section	.text._ZN7rocprim17ROCPRIM_400000_NS6detail17trampoline_kernelINS0_14default_configENS1_27scan_by_key_config_selectorIiiEEZZNS1_16scan_by_key_implILNS1_25lookback_scan_determinismE0ELb0ES3_N6thrust23THRUST_200600_302600_NS6detail15normal_iteratorINS9_10device_ptrIiEEEESE_SE_iNS9_4plusIvEENS9_8equal_toIiEEiEE10hipError_tPvRmT2_T3_T4_T5_mT6_T7_P12ihipStream_tbENKUlT_T0_E_clISt17integral_constantIbLb0EESY_IbLb1EEEEDaSU_SV_EUlSU_E_NS1_11comp_targetILNS1_3genE8ELNS1_11target_archE1030ELNS1_3gpuE2ELNS1_3repE0EEENS1_30default_config_static_selectorELNS0_4arch9wavefront6targetE1EEEvT1_,"axG",@progbits,_ZN7rocprim17ROCPRIM_400000_NS6detail17trampoline_kernelINS0_14default_configENS1_27scan_by_key_config_selectorIiiEEZZNS1_16scan_by_key_implILNS1_25lookback_scan_determinismE0ELb0ES3_N6thrust23THRUST_200600_302600_NS6detail15normal_iteratorINS9_10device_ptrIiEEEESE_SE_iNS9_4plusIvEENS9_8equal_toIiEEiEE10hipError_tPvRmT2_T3_T4_T5_mT6_T7_P12ihipStream_tbENKUlT_T0_E_clISt17integral_constantIbLb0EESY_IbLb1EEEEDaSU_SV_EUlSU_E_NS1_11comp_targetILNS1_3genE8ELNS1_11target_archE1030ELNS1_3gpuE2ELNS1_3repE0EEENS1_30default_config_static_selectorELNS0_4arch9wavefront6targetE1EEEvT1_,comdat
.Lfunc_end235:
	.size	_ZN7rocprim17ROCPRIM_400000_NS6detail17trampoline_kernelINS0_14default_configENS1_27scan_by_key_config_selectorIiiEEZZNS1_16scan_by_key_implILNS1_25lookback_scan_determinismE0ELb0ES3_N6thrust23THRUST_200600_302600_NS6detail15normal_iteratorINS9_10device_ptrIiEEEESE_SE_iNS9_4plusIvEENS9_8equal_toIiEEiEE10hipError_tPvRmT2_T3_T4_T5_mT6_T7_P12ihipStream_tbENKUlT_T0_E_clISt17integral_constantIbLb0EESY_IbLb1EEEEDaSU_SV_EUlSU_E_NS1_11comp_targetILNS1_3genE8ELNS1_11target_archE1030ELNS1_3gpuE2ELNS1_3repE0EEENS1_30default_config_static_selectorELNS0_4arch9wavefront6targetE1EEEvT1_, .Lfunc_end235-_ZN7rocprim17ROCPRIM_400000_NS6detail17trampoline_kernelINS0_14default_configENS1_27scan_by_key_config_selectorIiiEEZZNS1_16scan_by_key_implILNS1_25lookback_scan_determinismE0ELb0ES3_N6thrust23THRUST_200600_302600_NS6detail15normal_iteratorINS9_10device_ptrIiEEEESE_SE_iNS9_4plusIvEENS9_8equal_toIiEEiEE10hipError_tPvRmT2_T3_T4_T5_mT6_T7_P12ihipStream_tbENKUlT_T0_E_clISt17integral_constantIbLb0EESY_IbLb1EEEEDaSU_SV_EUlSU_E_NS1_11comp_targetILNS1_3genE8ELNS1_11target_archE1030ELNS1_3gpuE2ELNS1_3repE0EEENS1_30default_config_static_selectorELNS0_4arch9wavefront6targetE1EEEvT1_
                                        ; -- End function
	.section	.AMDGPU.csdata,"",@progbits
; Kernel info:
; codeLenInByte = 0
; NumSgprs: 6
; NumVgprs: 0
; NumAgprs: 0
; TotalNumVgprs: 0
; ScratchSize: 0
; MemoryBound: 0
; FloatMode: 240
; IeeeMode: 1
; LDSByteSize: 0 bytes/workgroup (compile time only)
; SGPRBlocks: 0
; VGPRBlocks: 0
; NumSGPRsForWavesPerEU: 6
; NumVGPRsForWavesPerEU: 1
; AccumOffset: 4
; Occupancy: 8
; WaveLimiterHint : 0
; COMPUTE_PGM_RSRC2:SCRATCH_EN: 0
; COMPUTE_PGM_RSRC2:USER_SGPR: 2
; COMPUTE_PGM_RSRC2:TRAP_HANDLER: 0
; COMPUTE_PGM_RSRC2:TGID_X_EN: 1
; COMPUTE_PGM_RSRC2:TGID_Y_EN: 0
; COMPUTE_PGM_RSRC2:TGID_Z_EN: 0
; COMPUTE_PGM_RSRC2:TIDIG_COMP_CNT: 0
; COMPUTE_PGM_RSRC3_GFX90A:ACCUM_OFFSET: 0
; COMPUTE_PGM_RSRC3_GFX90A:TG_SPLIT: 0
	.section	.text._ZN6thrust23THRUST_200600_302600_NS11hip_rocprim14__parallel_for6kernelILj256ENS1_20__uninitialized_fill7functorINS0_10device_ptrIsEEsEEmLj1EEEvT0_T1_SA_,"axG",@progbits,_ZN6thrust23THRUST_200600_302600_NS11hip_rocprim14__parallel_for6kernelILj256ENS1_20__uninitialized_fill7functorINS0_10device_ptrIsEEsEEmLj1EEEvT0_T1_SA_,comdat
	.protected	_ZN6thrust23THRUST_200600_302600_NS11hip_rocprim14__parallel_for6kernelILj256ENS1_20__uninitialized_fill7functorINS0_10device_ptrIsEEsEEmLj1EEEvT0_T1_SA_ ; -- Begin function _ZN6thrust23THRUST_200600_302600_NS11hip_rocprim14__parallel_for6kernelILj256ENS1_20__uninitialized_fill7functorINS0_10device_ptrIsEEsEEmLj1EEEvT0_T1_SA_
	.globl	_ZN6thrust23THRUST_200600_302600_NS11hip_rocprim14__parallel_for6kernelILj256ENS1_20__uninitialized_fill7functorINS0_10device_ptrIsEEsEEmLj1EEEvT0_T1_SA_
	.p2align	8
	.type	_ZN6thrust23THRUST_200600_302600_NS11hip_rocprim14__parallel_for6kernelILj256ENS1_20__uninitialized_fill7functorINS0_10device_ptrIsEEsEEmLj1EEEvT0_T1_SA_,@function
_ZN6thrust23THRUST_200600_302600_NS11hip_rocprim14__parallel_for6kernelILj256ENS1_20__uninitialized_fill7functorINS0_10device_ptrIsEEsEEmLj1EEEvT0_T1_SA_: ; @_ZN6thrust23THRUST_200600_302600_NS11hip_rocprim14__parallel_for6kernelILj256ENS1_20__uninitialized_fill7functorINS0_10device_ptrIsEEsEEmLj1EEEvT0_T1_SA_
; %bb.0:
	s_load_dwordx4 s[4:7], s[0:1], 0x10
	s_lshl_b32 s2, s2, 8
	v_mov_b64_e32 v[2:3], 0x100
	s_waitcnt lgkmcnt(0)
	s_add_u32 s2, s2, s6
	s_addc_u32 s3, 0, s7
	s_sub_u32 s4, s4, s2
	s_subb_u32 s5, s5, s3
	v_cmp_lt_u64_e32 vcc, s[4:5], v[2:3]
	s_cbranch_vccz .LBB236_2
; %bb.1:
	v_cmp_gt_u32_e32 vcc, s4, v0
	s_and_b64 s[4:5], vcc, exec
	s_cbranch_execz .LBB236_3
	s_branch .LBB236_4
.LBB236_2:
	s_mov_b64 s[4:5], 0
.LBB236_3:
	s_or_b64 s[4:5], s[4:5], exec
.LBB236_4:
	s_and_saveexec_b64 s[6:7], s[4:5]
	s_cbranch_execnz .LBB236_6
; %bb.5:
	s_endpgm
.LBB236_6:
	s_load_dwordx2 s[4:5], s[0:1], 0x0
	s_load_dword s6, s[0:1], 0x8
	s_lshl_b64 s[0:1], s[2:3], 1
	v_mov_b32_e32 v1, 0
	s_waitcnt lgkmcnt(0)
	s_add_u32 s0, s4, s0
	s_addc_u32 s1, s5, s1
	v_lshl_add_u64 v[0:1], v[0:1], 1, s[0:1]
	v_mov_b32_e32 v2, s6
	flat_store_short v[0:1], v2
	s_endpgm
	.section	.rodata,"a",@progbits
	.p2align	6, 0x0
	.amdhsa_kernel _ZN6thrust23THRUST_200600_302600_NS11hip_rocprim14__parallel_for6kernelILj256ENS1_20__uninitialized_fill7functorINS0_10device_ptrIsEEsEEmLj1EEEvT0_T1_SA_
		.amdhsa_group_segment_fixed_size 0
		.amdhsa_private_segment_fixed_size 0
		.amdhsa_kernarg_size 32
		.amdhsa_user_sgpr_count 2
		.amdhsa_user_sgpr_dispatch_ptr 0
		.amdhsa_user_sgpr_queue_ptr 0
		.amdhsa_user_sgpr_kernarg_segment_ptr 1
		.amdhsa_user_sgpr_dispatch_id 0
		.amdhsa_user_sgpr_kernarg_preload_length 0
		.amdhsa_user_sgpr_kernarg_preload_offset 0
		.amdhsa_user_sgpr_private_segment_size 0
		.amdhsa_uses_dynamic_stack 0
		.amdhsa_enable_private_segment 0
		.amdhsa_system_sgpr_workgroup_id_x 1
		.amdhsa_system_sgpr_workgroup_id_y 0
		.amdhsa_system_sgpr_workgroup_id_z 0
		.amdhsa_system_sgpr_workgroup_info 0
		.amdhsa_system_vgpr_workitem_id 0
		.amdhsa_next_free_vgpr 4
		.amdhsa_next_free_sgpr 8
		.amdhsa_accum_offset 4
		.amdhsa_reserve_vcc 1
		.amdhsa_float_round_mode_32 0
		.amdhsa_float_round_mode_16_64 0
		.amdhsa_float_denorm_mode_32 3
		.amdhsa_float_denorm_mode_16_64 3
		.amdhsa_dx10_clamp 1
		.amdhsa_ieee_mode 1
		.amdhsa_fp16_overflow 0
		.amdhsa_tg_split 0
		.amdhsa_exception_fp_ieee_invalid_op 0
		.amdhsa_exception_fp_denorm_src 0
		.amdhsa_exception_fp_ieee_div_zero 0
		.amdhsa_exception_fp_ieee_overflow 0
		.amdhsa_exception_fp_ieee_underflow 0
		.amdhsa_exception_fp_ieee_inexact 0
		.amdhsa_exception_int_div_zero 0
	.end_amdhsa_kernel
	.section	.text._ZN6thrust23THRUST_200600_302600_NS11hip_rocprim14__parallel_for6kernelILj256ENS1_20__uninitialized_fill7functorINS0_10device_ptrIsEEsEEmLj1EEEvT0_T1_SA_,"axG",@progbits,_ZN6thrust23THRUST_200600_302600_NS11hip_rocprim14__parallel_for6kernelILj256ENS1_20__uninitialized_fill7functorINS0_10device_ptrIsEEsEEmLj1EEEvT0_T1_SA_,comdat
.Lfunc_end236:
	.size	_ZN6thrust23THRUST_200600_302600_NS11hip_rocprim14__parallel_for6kernelILj256ENS1_20__uninitialized_fill7functorINS0_10device_ptrIsEEsEEmLj1EEEvT0_T1_SA_, .Lfunc_end236-_ZN6thrust23THRUST_200600_302600_NS11hip_rocprim14__parallel_for6kernelILj256ENS1_20__uninitialized_fill7functorINS0_10device_ptrIsEEsEEmLj1EEEvT0_T1_SA_
                                        ; -- End function
	.section	.AMDGPU.csdata,"",@progbits
; Kernel info:
; codeLenInByte = 144
; NumSgprs: 14
; NumVgprs: 4
; NumAgprs: 0
; TotalNumVgprs: 4
; ScratchSize: 0
; MemoryBound: 0
; FloatMode: 240
; IeeeMode: 1
; LDSByteSize: 0 bytes/workgroup (compile time only)
; SGPRBlocks: 1
; VGPRBlocks: 0
; NumSGPRsForWavesPerEU: 14
; NumVGPRsForWavesPerEU: 4
; AccumOffset: 4
; Occupancy: 8
; WaveLimiterHint : 0
; COMPUTE_PGM_RSRC2:SCRATCH_EN: 0
; COMPUTE_PGM_RSRC2:USER_SGPR: 2
; COMPUTE_PGM_RSRC2:TRAP_HANDLER: 0
; COMPUTE_PGM_RSRC2:TGID_X_EN: 1
; COMPUTE_PGM_RSRC2:TGID_Y_EN: 0
; COMPUTE_PGM_RSRC2:TGID_Z_EN: 0
; COMPUTE_PGM_RSRC2:TIDIG_COMP_CNT: 0
; COMPUTE_PGM_RSRC3_GFX90A:ACCUM_OFFSET: 0
; COMPUTE_PGM_RSRC3_GFX90A:TG_SPLIT: 0
	.section	.text._ZN7rocprim17ROCPRIM_400000_NS6detail30init_device_scan_by_key_kernelINS1_19lookback_scan_stateINS0_5tupleIJsbEEELb0ELb1EEEN6thrust23THRUST_200600_302600_NS6detail15normal_iteratorINS8_10device_ptrIsEEEEjNS1_16block_id_wrapperIjLb0EEEEEvT_jjPNSG_10value_typeET0_PNSt15iterator_traitsISJ_E10value_typeEmT1_T2_,"axG",@progbits,_ZN7rocprim17ROCPRIM_400000_NS6detail30init_device_scan_by_key_kernelINS1_19lookback_scan_stateINS0_5tupleIJsbEEELb0ELb1EEEN6thrust23THRUST_200600_302600_NS6detail15normal_iteratorINS8_10device_ptrIsEEEEjNS1_16block_id_wrapperIjLb0EEEEEvT_jjPNSG_10value_typeET0_PNSt15iterator_traitsISJ_E10value_typeEmT1_T2_,comdat
	.protected	_ZN7rocprim17ROCPRIM_400000_NS6detail30init_device_scan_by_key_kernelINS1_19lookback_scan_stateINS0_5tupleIJsbEEELb0ELb1EEEN6thrust23THRUST_200600_302600_NS6detail15normal_iteratorINS8_10device_ptrIsEEEEjNS1_16block_id_wrapperIjLb0EEEEEvT_jjPNSG_10value_typeET0_PNSt15iterator_traitsISJ_E10value_typeEmT1_T2_ ; -- Begin function _ZN7rocprim17ROCPRIM_400000_NS6detail30init_device_scan_by_key_kernelINS1_19lookback_scan_stateINS0_5tupleIJsbEEELb0ELb1EEEN6thrust23THRUST_200600_302600_NS6detail15normal_iteratorINS8_10device_ptrIsEEEEjNS1_16block_id_wrapperIjLb0EEEEEvT_jjPNSG_10value_typeET0_PNSt15iterator_traitsISJ_E10value_typeEmT1_T2_
	.globl	_ZN7rocprim17ROCPRIM_400000_NS6detail30init_device_scan_by_key_kernelINS1_19lookback_scan_stateINS0_5tupleIJsbEEELb0ELb1EEEN6thrust23THRUST_200600_302600_NS6detail15normal_iteratorINS8_10device_ptrIsEEEEjNS1_16block_id_wrapperIjLb0EEEEEvT_jjPNSG_10value_typeET0_PNSt15iterator_traitsISJ_E10value_typeEmT1_T2_
	.p2align	8
	.type	_ZN7rocprim17ROCPRIM_400000_NS6detail30init_device_scan_by_key_kernelINS1_19lookback_scan_stateINS0_5tupleIJsbEEELb0ELb1EEEN6thrust23THRUST_200600_302600_NS6detail15normal_iteratorINS8_10device_ptrIsEEEEjNS1_16block_id_wrapperIjLb0EEEEEvT_jjPNSG_10value_typeET0_PNSt15iterator_traitsISJ_E10value_typeEmT1_T2_,@function
_ZN7rocprim17ROCPRIM_400000_NS6detail30init_device_scan_by_key_kernelINS1_19lookback_scan_stateINS0_5tupleIJsbEEELb0ELb1EEEN6thrust23THRUST_200600_302600_NS6detail15normal_iteratorINS8_10device_ptrIsEEEEjNS1_16block_id_wrapperIjLb0EEEEEvT_jjPNSG_10value_typeET0_PNSt15iterator_traitsISJ_E10value_typeEmT1_T2_: ; @_ZN7rocprim17ROCPRIM_400000_NS6detail30init_device_scan_by_key_kernelINS1_19lookback_scan_stateINS0_5tupleIJsbEEELb0ELb1EEEN6thrust23THRUST_200600_302600_NS6detail15normal_iteratorINS8_10device_ptrIsEEEEjNS1_16block_id_wrapperIjLb0EEEEEvT_jjPNSG_10value_typeET0_PNSt15iterator_traitsISJ_E10value_typeEmT1_T2_
; %bb.0:
	s_load_dword s3, s[0:1], 0x44
	s_load_dwordx8 s[4:11], s[0:1], 0x0
	s_load_dword s14, s[0:1], 0x38
	s_waitcnt lgkmcnt(0)
	s_and_b32 s15, s3, 0xffff
	s_mul_i32 s2, s2, s15
	s_cmp_eq_u64 s[8:9], 0
	v_add_u32_e32 v0, s2, v0
	s_cbranch_scc1 .LBB237_6
; %bb.1:
	s_cmp_lt_u32 s7, s6
	s_cselect_b32 s2, s7, 0
	s_mov_b32 s13, 0
	v_cmp_eq_u32_e32 vcc, s2, v0
	s_and_saveexec_b64 s[2:3], vcc
	s_cbranch_execz .LBB237_5
; %bb.2:
	s_add_i32 s12, s7, 64
	s_lshl_b64 s[12:13], s[12:13], 3
	s_add_u32 s12, s4, s12
	s_addc_u32 s13, s5, s13
	v_mov_b32_e32 v4, 0
	global_load_dwordx2 v[2:3], v4, s[12:13] sc1
	s_waitcnt vmcnt(0)
	v_and_b32_e32 v5, 0xff, v3
	v_cmp_ne_u64_e32 vcc, 0, v[4:5]
	s_cbranch_vccnz .LBB237_4
.LBB237_3:                              ; =>This Inner Loop Header: Depth=1
	global_load_dwordx2 v[2:3], v4, s[12:13] sc1
	s_waitcnt vmcnt(0)
	v_and_b32_e32 v5, 0xff, v3
	v_cmp_eq_u64_e32 vcc, 0, v[4:5]
	s_cbranch_vccnz .LBB237_3
.LBB237_4:
	v_mov_b32_e32 v1, 0
	global_store_short v1, v2, s[8:9]
	global_store_byte_d16_hi v1, v2, s[8:9] offset:2
.LBB237_5:
	s_or_b64 exec, exec, s[2:3]
.LBB237_6:
	v_cmp_gt_u32_e32 vcc, s6, v0
	s_and_saveexec_b64 s[2:3], vcc
	s_cbranch_execz .LBB237_8
; %bb.7:
	v_add_u32_e32 v2, 64, v0
	v_mov_b32_e32 v3, 0
	v_lshl_add_u64 v[4:5], v[2:3], 3, s[4:5]
	v_mov_b32_e32 v2, v3
	global_store_dwordx2 v[4:5], v[2:3], off
.LBB237_8:
	s_or_b64 exec, exec, s[2:3]
	v_cmp_gt_u32_e32 vcc, 64, v0
	v_mov_b32_e32 v1, 0
	s_and_saveexec_b64 s[2:3], vcc
	s_cbranch_execz .LBB237_10
; %bb.9:
	v_lshl_add_u64 v[2:3], v[0:1], 3, s[4:5]
	v_mov_b32_e32 v5, 0xff
	v_mov_b32_e32 v4, v1
	global_store_dwordx2 v[2:3], v[4:5], off
.LBB237_10:
	s_or_b64 exec, exec, s[2:3]
	s_load_dwordx2 s[2:3], s[0:1], 0x28
	s_waitcnt lgkmcnt(0)
	v_cmp_gt_u64_e32 vcc, s[2:3], v[0:1]
	s_and_saveexec_b64 s[4:5], vcc
	s_cbranch_execz .LBB237_13
; %bb.11:
	s_load_dword s12, s[0:1], 0x30
	s_load_dwordx2 s[6:7], s[0:1], 0x20
	s_mov_b32 s5, 0
	s_mov_b32 s1, s5
	s_mul_i32 s0, s14, s15
	s_waitcnt lgkmcnt(0)
	s_add_i32 s4, s12, -1
	s_lshl_b64 s[4:5], s[4:5], 1
	s_add_u32 s4, s10, s4
	v_mad_u64_u32 v[2:3], s[8:9], s12, v0, 0
	s_addc_u32 s5, s11, s5
	v_lshl_add_u64 v[2:3], v[2:3], 1, s[4:5]
	s_mul_hi_u32 s5, s12, s0
	s_mul_i32 s4, s12, s0
	s_lshl_b64 s[4:5], s[4:5], 1
	v_lshl_add_u64 v[4:5], v[0:1], 1, s[6:7]
	s_lshl_b64 s[6:7], s[0:1], 1
	s_mov_b64 s[8:9], 0
.LBB237_12:                             ; =>This Inner Loop Header: Depth=1
	global_load_ushort v6, v[2:3], off
	v_lshl_add_u64 v[0:1], v[0:1], 0, s[0:1]
	v_cmp_le_u64_e32 vcc, s[2:3], v[0:1]
	v_lshl_add_u64 v[2:3], v[2:3], 0, s[4:5]
	s_or_b64 s[8:9], vcc, s[8:9]
	s_waitcnt vmcnt(0)
	global_store_short v[4:5], v6, off
	v_lshl_add_u64 v[4:5], v[4:5], 0, s[6:7]
	s_andn2_b64 exec, exec, s[8:9]
	s_cbranch_execnz .LBB237_12
.LBB237_13:
	s_endpgm
	.section	.rodata,"a",@progbits
	.p2align	6, 0x0
	.amdhsa_kernel _ZN7rocprim17ROCPRIM_400000_NS6detail30init_device_scan_by_key_kernelINS1_19lookback_scan_stateINS0_5tupleIJsbEEELb0ELb1EEEN6thrust23THRUST_200600_302600_NS6detail15normal_iteratorINS8_10device_ptrIsEEEEjNS1_16block_id_wrapperIjLb0EEEEEvT_jjPNSG_10value_typeET0_PNSt15iterator_traitsISJ_E10value_typeEmT1_T2_
		.amdhsa_group_segment_fixed_size 0
		.amdhsa_private_segment_fixed_size 0
		.amdhsa_kernarg_size 312
		.amdhsa_user_sgpr_count 2
		.amdhsa_user_sgpr_dispatch_ptr 0
		.amdhsa_user_sgpr_queue_ptr 0
		.amdhsa_user_sgpr_kernarg_segment_ptr 1
		.amdhsa_user_sgpr_dispatch_id 0
		.amdhsa_user_sgpr_kernarg_preload_length 0
		.amdhsa_user_sgpr_kernarg_preload_offset 0
		.amdhsa_user_sgpr_private_segment_size 0
		.amdhsa_uses_dynamic_stack 0
		.amdhsa_enable_private_segment 0
		.amdhsa_system_sgpr_workgroup_id_x 1
		.amdhsa_system_sgpr_workgroup_id_y 0
		.amdhsa_system_sgpr_workgroup_id_z 0
		.amdhsa_system_sgpr_workgroup_info 0
		.amdhsa_system_vgpr_workitem_id 0
		.amdhsa_next_free_vgpr 7
		.amdhsa_next_free_sgpr 16
		.amdhsa_accum_offset 8
		.amdhsa_reserve_vcc 1
		.amdhsa_float_round_mode_32 0
		.amdhsa_float_round_mode_16_64 0
		.amdhsa_float_denorm_mode_32 3
		.amdhsa_float_denorm_mode_16_64 3
		.amdhsa_dx10_clamp 1
		.amdhsa_ieee_mode 1
		.amdhsa_fp16_overflow 0
		.amdhsa_tg_split 0
		.amdhsa_exception_fp_ieee_invalid_op 0
		.amdhsa_exception_fp_denorm_src 0
		.amdhsa_exception_fp_ieee_div_zero 0
		.amdhsa_exception_fp_ieee_overflow 0
		.amdhsa_exception_fp_ieee_underflow 0
		.amdhsa_exception_fp_ieee_inexact 0
		.amdhsa_exception_int_div_zero 0
	.end_amdhsa_kernel
	.section	.text._ZN7rocprim17ROCPRIM_400000_NS6detail30init_device_scan_by_key_kernelINS1_19lookback_scan_stateINS0_5tupleIJsbEEELb0ELb1EEEN6thrust23THRUST_200600_302600_NS6detail15normal_iteratorINS8_10device_ptrIsEEEEjNS1_16block_id_wrapperIjLb0EEEEEvT_jjPNSG_10value_typeET0_PNSt15iterator_traitsISJ_E10value_typeEmT1_T2_,"axG",@progbits,_ZN7rocprim17ROCPRIM_400000_NS6detail30init_device_scan_by_key_kernelINS1_19lookback_scan_stateINS0_5tupleIJsbEEELb0ELb1EEEN6thrust23THRUST_200600_302600_NS6detail15normal_iteratorINS8_10device_ptrIsEEEEjNS1_16block_id_wrapperIjLb0EEEEEvT_jjPNSG_10value_typeET0_PNSt15iterator_traitsISJ_E10value_typeEmT1_T2_,comdat
.Lfunc_end237:
	.size	_ZN7rocprim17ROCPRIM_400000_NS6detail30init_device_scan_by_key_kernelINS1_19lookback_scan_stateINS0_5tupleIJsbEEELb0ELb1EEEN6thrust23THRUST_200600_302600_NS6detail15normal_iteratorINS8_10device_ptrIsEEEEjNS1_16block_id_wrapperIjLb0EEEEEvT_jjPNSG_10value_typeET0_PNSt15iterator_traitsISJ_E10value_typeEmT1_T2_, .Lfunc_end237-_ZN7rocprim17ROCPRIM_400000_NS6detail30init_device_scan_by_key_kernelINS1_19lookback_scan_stateINS0_5tupleIJsbEEELb0ELb1EEEN6thrust23THRUST_200600_302600_NS6detail15normal_iteratorINS8_10device_ptrIsEEEEjNS1_16block_id_wrapperIjLb0EEEEEvT_jjPNSG_10value_typeET0_PNSt15iterator_traitsISJ_E10value_typeEmT1_T2_
                                        ; -- End function
	.section	.AMDGPU.csdata,"",@progbits
; Kernel info:
; codeLenInByte = 448
; NumSgprs: 22
; NumVgprs: 7
; NumAgprs: 0
; TotalNumVgprs: 7
; ScratchSize: 0
; MemoryBound: 0
; FloatMode: 240
; IeeeMode: 1
; LDSByteSize: 0 bytes/workgroup (compile time only)
; SGPRBlocks: 2
; VGPRBlocks: 0
; NumSGPRsForWavesPerEU: 22
; NumVGPRsForWavesPerEU: 7
; AccumOffset: 8
; Occupancy: 8
; WaveLimiterHint : 0
; COMPUTE_PGM_RSRC2:SCRATCH_EN: 0
; COMPUTE_PGM_RSRC2:USER_SGPR: 2
; COMPUTE_PGM_RSRC2:TRAP_HANDLER: 0
; COMPUTE_PGM_RSRC2:TGID_X_EN: 1
; COMPUTE_PGM_RSRC2:TGID_Y_EN: 0
; COMPUTE_PGM_RSRC2:TGID_Z_EN: 0
; COMPUTE_PGM_RSRC2:TIDIG_COMP_CNT: 0
; COMPUTE_PGM_RSRC3_GFX90A:ACCUM_OFFSET: 1
; COMPUTE_PGM_RSRC3_GFX90A:TG_SPLIT: 0
	.section	.text._ZN7rocprim17ROCPRIM_400000_NS6detail30init_device_scan_by_key_kernelINS1_19lookback_scan_stateINS0_5tupleIJsbEEELb0ELb1EEENS1_16block_id_wrapperIjLb0EEEEEvT_jjPNS9_10value_typeET0_,"axG",@progbits,_ZN7rocprim17ROCPRIM_400000_NS6detail30init_device_scan_by_key_kernelINS1_19lookback_scan_stateINS0_5tupleIJsbEEELb0ELb1EEENS1_16block_id_wrapperIjLb0EEEEEvT_jjPNS9_10value_typeET0_,comdat
	.protected	_ZN7rocprim17ROCPRIM_400000_NS6detail30init_device_scan_by_key_kernelINS1_19lookback_scan_stateINS0_5tupleIJsbEEELb0ELb1EEENS1_16block_id_wrapperIjLb0EEEEEvT_jjPNS9_10value_typeET0_ ; -- Begin function _ZN7rocprim17ROCPRIM_400000_NS6detail30init_device_scan_by_key_kernelINS1_19lookback_scan_stateINS0_5tupleIJsbEEELb0ELb1EEENS1_16block_id_wrapperIjLb0EEEEEvT_jjPNS9_10value_typeET0_
	.globl	_ZN7rocprim17ROCPRIM_400000_NS6detail30init_device_scan_by_key_kernelINS1_19lookback_scan_stateINS0_5tupleIJsbEEELb0ELb1EEENS1_16block_id_wrapperIjLb0EEEEEvT_jjPNS9_10value_typeET0_
	.p2align	8
	.type	_ZN7rocprim17ROCPRIM_400000_NS6detail30init_device_scan_by_key_kernelINS1_19lookback_scan_stateINS0_5tupleIJsbEEELb0ELb1EEENS1_16block_id_wrapperIjLb0EEEEEvT_jjPNS9_10value_typeET0_,@function
_ZN7rocprim17ROCPRIM_400000_NS6detail30init_device_scan_by_key_kernelINS1_19lookback_scan_stateINS0_5tupleIJsbEEELb0ELb1EEENS1_16block_id_wrapperIjLb0EEEEEvT_jjPNS9_10value_typeET0_: ; @_ZN7rocprim17ROCPRIM_400000_NS6detail30init_device_scan_by_key_kernelINS1_19lookback_scan_stateINS0_5tupleIJsbEEELb0ELb1EEENS1_16block_id_wrapperIjLb0EEEEEvT_jjPNS9_10value_typeET0_
; %bb.0:
	s_load_dword s3, s[0:1], 0x2c
	s_load_dwordx2 s[8:9], s[0:1], 0x10
	s_load_dwordx4 s[4:7], s[0:1], 0x0
	s_waitcnt lgkmcnt(0)
	s_and_b32 s0, s3, 0xffff
	s_mul_i32 s2, s2, s0
	s_cmp_eq_u64 s[8:9], 0
	v_add_u32_e32 v0, s2, v0
	s_cbranch_scc1 .LBB238_6
; %bb.1:
	s_cmp_lt_u32 s7, s6
	s_cselect_b32 s0, s7, 0
	s_mov_b32 s3, 0
	v_cmp_eq_u32_e32 vcc, s0, v0
	s_and_saveexec_b64 s[0:1], vcc
	s_cbranch_execz .LBB238_5
; %bb.2:
	s_add_i32 s2, s7, 64
	s_lshl_b64 s[2:3], s[2:3], 3
	s_add_u32 s2, s4, s2
	s_addc_u32 s3, s5, s3
	v_mov_b32_e32 v4, 0
	global_load_dwordx2 v[2:3], v4, s[2:3] sc1
	s_waitcnt vmcnt(0)
	v_and_b32_e32 v5, 0xff, v3
	v_cmp_ne_u64_e32 vcc, 0, v[4:5]
	s_cbranch_vccnz .LBB238_4
.LBB238_3:                              ; =>This Inner Loop Header: Depth=1
	global_load_dwordx2 v[2:3], v4, s[2:3] sc1
	s_waitcnt vmcnt(0)
	v_and_b32_e32 v5, 0xff, v3
	v_cmp_eq_u64_e32 vcc, 0, v[4:5]
	s_cbranch_vccnz .LBB238_3
.LBB238_4:
	v_mov_b32_e32 v1, 0
	global_store_short v1, v2, s[8:9]
	global_store_byte_d16_hi v1, v2, s[8:9] offset:2
.LBB238_5:
	s_or_b64 exec, exec, s[0:1]
.LBB238_6:
	v_cmp_gt_u32_e32 vcc, s6, v0
	s_and_saveexec_b64 s[0:1], vcc
	s_cbranch_execnz .LBB238_9
; %bb.7:
	s_or_b64 exec, exec, s[0:1]
	v_cmp_gt_u32_e32 vcc, 64, v0
	s_and_saveexec_b64 s[0:1], vcc
	s_cbranch_execnz .LBB238_10
.LBB238_8:
	s_endpgm
.LBB238_9:
	v_add_u32_e32 v2, 64, v0
	v_mov_b32_e32 v3, 0
	v_lshl_add_u64 v[4:5], v[2:3], 3, s[4:5]
	v_mov_b32_e32 v2, v3
	global_store_dwordx2 v[4:5], v[2:3], off
	s_or_b64 exec, exec, s[0:1]
	v_cmp_gt_u32_e32 vcc, 64, v0
	s_and_saveexec_b64 s[0:1], vcc
	s_cbranch_execz .LBB238_8
.LBB238_10:
	v_mov_b32_e32 v1, 0
	v_lshl_add_u64 v[2:3], v[0:1], 3, s[4:5]
	v_mov_b32_e32 v5, 0xff
	v_mov_b32_e32 v4, v1
	global_store_dwordx2 v[2:3], v[4:5], off
	s_endpgm
	.section	.rodata,"a",@progbits
	.p2align	6, 0x0
	.amdhsa_kernel _ZN7rocprim17ROCPRIM_400000_NS6detail30init_device_scan_by_key_kernelINS1_19lookback_scan_stateINS0_5tupleIJsbEEELb0ELb1EEENS1_16block_id_wrapperIjLb0EEEEEvT_jjPNS9_10value_typeET0_
		.amdhsa_group_segment_fixed_size 0
		.amdhsa_private_segment_fixed_size 0
		.amdhsa_kernarg_size 288
		.amdhsa_user_sgpr_count 2
		.amdhsa_user_sgpr_dispatch_ptr 0
		.amdhsa_user_sgpr_queue_ptr 0
		.amdhsa_user_sgpr_kernarg_segment_ptr 1
		.amdhsa_user_sgpr_dispatch_id 0
		.amdhsa_user_sgpr_kernarg_preload_length 0
		.amdhsa_user_sgpr_kernarg_preload_offset 0
		.amdhsa_user_sgpr_private_segment_size 0
		.amdhsa_uses_dynamic_stack 0
		.amdhsa_enable_private_segment 0
		.amdhsa_system_sgpr_workgroup_id_x 1
		.amdhsa_system_sgpr_workgroup_id_y 0
		.amdhsa_system_sgpr_workgroup_id_z 0
		.amdhsa_system_sgpr_workgroup_info 0
		.amdhsa_system_vgpr_workitem_id 0
		.amdhsa_next_free_vgpr 6
		.amdhsa_next_free_sgpr 10
		.amdhsa_accum_offset 8
		.amdhsa_reserve_vcc 1
		.amdhsa_float_round_mode_32 0
		.amdhsa_float_round_mode_16_64 0
		.amdhsa_float_denorm_mode_32 3
		.amdhsa_float_denorm_mode_16_64 3
		.amdhsa_dx10_clamp 1
		.amdhsa_ieee_mode 1
		.amdhsa_fp16_overflow 0
		.amdhsa_tg_split 0
		.amdhsa_exception_fp_ieee_invalid_op 0
		.amdhsa_exception_fp_denorm_src 0
		.amdhsa_exception_fp_ieee_div_zero 0
		.amdhsa_exception_fp_ieee_overflow 0
		.amdhsa_exception_fp_ieee_underflow 0
		.amdhsa_exception_fp_ieee_inexact 0
		.amdhsa_exception_int_div_zero 0
	.end_amdhsa_kernel
	.section	.text._ZN7rocprim17ROCPRIM_400000_NS6detail30init_device_scan_by_key_kernelINS1_19lookback_scan_stateINS0_5tupleIJsbEEELb0ELb1EEENS1_16block_id_wrapperIjLb0EEEEEvT_jjPNS9_10value_typeET0_,"axG",@progbits,_ZN7rocprim17ROCPRIM_400000_NS6detail30init_device_scan_by_key_kernelINS1_19lookback_scan_stateINS0_5tupleIJsbEEELb0ELb1EEENS1_16block_id_wrapperIjLb0EEEEEvT_jjPNS9_10value_typeET0_,comdat
.Lfunc_end238:
	.size	_ZN7rocprim17ROCPRIM_400000_NS6detail30init_device_scan_by_key_kernelINS1_19lookback_scan_stateINS0_5tupleIJsbEEELb0ELb1EEENS1_16block_id_wrapperIjLb0EEEEEvT_jjPNS9_10value_typeET0_, .Lfunc_end238-_ZN7rocprim17ROCPRIM_400000_NS6detail30init_device_scan_by_key_kernelINS1_19lookback_scan_stateINS0_5tupleIJsbEEELb0ELb1EEENS1_16block_id_wrapperIjLb0EEEEEvT_jjPNS9_10value_typeET0_
                                        ; -- End function
	.section	.AMDGPU.csdata,"",@progbits
; Kernel info:
; codeLenInByte = 288
; NumSgprs: 16
; NumVgprs: 6
; NumAgprs: 0
; TotalNumVgprs: 6
; ScratchSize: 0
; MemoryBound: 0
; FloatMode: 240
; IeeeMode: 1
; LDSByteSize: 0 bytes/workgroup (compile time only)
; SGPRBlocks: 1
; VGPRBlocks: 0
; NumSGPRsForWavesPerEU: 16
; NumVGPRsForWavesPerEU: 6
; AccumOffset: 8
; Occupancy: 8
; WaveLimiterHint : 0
; COMPUTE_PGM_RSRC2:SCRATCH_EN: 0
; COMPUTE_PGM_RSRC2:USER_SGPR: 2
; COMPUTE_PGM_RSRC2:TRAP_HANDLER: 0
; COMPUTE_PGM_RSRC2:TGID_X_EN: 1
; COMPUTE_PGM_RSRC2:TGID_Y_EN: 0
; COMPUTE_PGM_RSRC2:TGID_Z_EN: 0
; COMPUTE_PGM_RSRC2:TIDIG_COMP_CNT: 0
; COMPUTE_PGM_RSRC3_GFX90A:ACCUM_OFFSET: 1
; COMPUTE_PGM_RSRC3_GFX90A:TG_SPLIT: 0
	.section	.text._ZN7rocprim17ROCPRIM_400000_NS6detail17trampoline_kernelINS0_14default_configENS1_27scan_by_key_config_selectorIssEEZZNS1_16scan_by_key_implILNS1_25lookback_scan_determinismE0ELb0ES3_N6thrust23THRUST_200600_302600_NS6detail15normal_iteratorINS9_10device_ptrIsEEEESE_SE_sNS9_4plusIvEENS9_8equal_toIvEEsEE10hipError_tPvRmT2_T3_T4_T5_mT6_T7_P12ihipStream_tbENKUlT_T0_E_clISt17integral_constantIbLb0EESZ_EEDaSU_SV_EUlSU_E_NS1_11comp_targetILNS1_3genE0ELNS1_11target_archE4294967295ELNS1_3gpuE0ELNS1_3repE0EEENS1_30default_config_static_selectorELNS0_4arch9wavefront6targetE1EEEvT1_,"axG",@progbits,_ZN7rocprim17ROCPRIM_400000_NS6detail17trampoline_kernelINS0_14default_configENS1_27scan_by_key_config_selectorIssEEZZNS1_16scan_by_key_implILNS1_25lookback_scan_determinismE0ELb0ES3_N6thrust23THRUST_200600_302600_NS6detail15normal_iteratorINS9_10device_ptrIsEEEESE_SE_sNS9_4plusIvEENS9_8equal_toIvEEsEE10hipError_tPvRmT2_T3_T4_T5_mT6_T7_P12ihipStream_tbENKUlT_T0_E_clISt17integral_constantIbLb0EESZ_EEDaSU_SV_EUlSU_E_NS1_11comp_targetILNS1_3genE0ELNS1_11target_archE4294967295ELNS1_3gpuE0ELNS1_3repE0EEENS1_30default_config_static_selectorELNS0_4arch9wavefront6targetE1EEEvT1_,comdat
	.protected	_ZN7rocprim17ROCPRIM_400000_NS6detail17trampoline_kernelINS0_14default_configENS1_27scan_by_key_config_selectorIssEEZZNS1_16scan_by_key_implILNS1_25lookback_scan_determinismE0ELb0ES3_N6thrust23THRUST_200600_302600_NS6detail15normal_iteratorINS9_10device_ptrIsEEEESE_SE_sNS9_4plusIvEENS9_8equal_toIvEEsEE10hipError_tPvRmT2_T3_T4_T5_mT6_T7_P12ihipStream_tbENKUlT_T0_E_clISt17integral_constantIbLb0EESZ_EEDaSU_SV_EUlSU_E_NS1_11comp_targetILNS1_3genE0ELNS1_11target_archE4294967295ELNS1_3gpuE0ELNS1_3repE0EEENS1_30default_config_static_selectorELNS0_4arch9wavefront6targetE1EEEvT1_ ; -- Begin function _ZN7rocprim17ROCPRIM_400000_NS6detail17trampoline_kernelINS0_14default_configENS1_27scan_by_key_config_selectorIssEEZZNS1_16scan_by_key_implILNS1_25lookback_scan_determinismE0ELb0ES3_N6thrust23THRUST_200600_302600_NS6detail15normal_iteratorINS9_10device_ptrIsEEEESE_SE_sNS9_4plusIvEENS9_8equal_toIvEEsEE10hipError_tPvRmT2_T3_T4_T5_mT6_T7_P12ihipStream_tbENKUlT_T0_E_clISt17integral_constantIbLb0EESZ_EEDaSU_SV_EUlSU_E_NS1_11comp_targetILNS1_3genE0ELNS1_11target_archE4294967295ELNS1_3gpuE0ELNS1_3repE0EEENS1_30default_config_static_selectorELNS0_4arch9wavefront6targetE1EEEvT1_
	.globl	_ZN7rocprim17ROCPRIM_400000_NS6detail17trampoline_kernelINS0_14default_configENS1_27scan_by_key_config_selectorIssEEZZNS1_16scan_by_key_implILNS1_25lookback_scan_determinismE0ELb0ES3_N6thrust23THRUST_200600_302600_NS6detail15normal_iteratorINS9_10device_ptrIsEEEESE_SE_sNS9_4plusIvEENS9_8equal_toIvEEsEE10hipError_tPvRmT2_T3_T4_T5_mT6_T7_P12ihipStream_tbENKUlT_T0_E_clISt17integral_constantIbLb0EESZ_EEDaSU_SV_EUlSU_E_NS1_11comp_targetILNS1_3genE0ELNS1_11target_archE4294967295ELNS1_3gpuE0ELNS1_3repE0EEENS1_30default_config_static_selectorELNS0_4arch9wavefront6targetE1EEEvT1_
	.p2align	8
	.type	_ZN7rocprim17ROCPRIM_400000_NS6detail17trampoline_kernelINS0_14default_configENS1_27scan_by_key_config_selectorIssEEZZNS1_16scan_by_key_implILNS1_25lookback_scan_determinismE0ELb0ES3_N6thrust23THRUST_200600_302600_NS6detail15normal_iteratorINS9_10device_ptrIsEEEESE_SE_sNS9_4plusIvEENS9_8equal_toIvEEsEE10hipError_tPvRmT2_T3_T4_T5_mT6_T7_P12ihipStream_tbENKUlT_T0_E_clISt17integral_constantIbLb0EESZ_EEDaSU_SV_EUlSU_E_NS1_11comp_targetILNS1_3genE0ELNS1_11target_archE4294967295ELNS1_3gpuE0ELNS1_3repE0EEENS1_30default_config_static_selectorELNS0_4arch9wavefront6targetE1EEEvT1_,@function
_ZN7rocprim17ROCPRIM_400000_NS6detail17trampoline_kernelINS0_14default_configENS1_27scan_by_key_config_selectorIssEEZZNS1_16scan_by_key_implILNS1_25lookback_scan_determinismE0ELb0ES3_N6thrust23THRUST_200600_302600_NS6detail15normal_iteratorINS9_10device_ptrIsEEEESE_SE_sNS9_4plusIvEENS9_8equal_toIvEEsEE10hipError_tPvRmT2_T3_T4_T5_mT6_T7_P12ihipStream_tbENKUlT_T0_E_clISt17integral_constantIbLb0EESZ_EEDaSU_SV_EUlSU_E_NS1_11comp_targetILNS1_3genE0ELNS1_11target_archE4294967295ELNS1_3gpuE0ELNS1_3repE0EEENS1_30default_config_static_selectorELNS0_4arch9wavefront6targetE1EEEvT1_: ; @_ZN7rocprim17ROCPRIM_400000_NS6detail17trampoline_kernelINS0_14default_configENS1_27scan_by_key_config_selectorIssEEZZNS1_16scan_by_key_implILNS1_25lookback_scan_determinismE0ELb0ES3_N6thrust23THRUST_200600_302600_NS6detail15normal_iteratorINS9_10device_ptrIsEEEESE_SE_sNS9_4plusIvEENS9_8equal_toIvEEsEE10hipError_tPvRmT2_T3_T4_T5_mT6_T7_P12ihipStream_tbENKUlT_T0_E_clISt17integral_constantIbLb0EESZ_EEDaSU_SV_EUlSU_E_NS1_11comp_targetILNS1_3genE0ELNS1_11target_archE4294967295ELNS1_3gpuE0ELNS1_3repE0EEENS1_30default_config_static_selectorELNS0_4arch9wavefront6targetE1EEEvT1_
; %bb.0:
	.section	.rodata,"a",@progbits
	.p2align	6, 0x0
	.amdhsa_kernel _ZN7rocprim17ROCPRIM_400000_NS6detail17trampoline_kernelINS0_14default_configENS1_27scan_by_key_config_selectorIssEEZZNS1_16scan_by_key_implILNS1_25lookback_scan_determinismE0ELb0ES3_N6thrust23THRUST_200600_302600_NS6detail15normal_iteratorINS9_10device_ptrIsEEEESE_SE_sNS9_4plusIvEENS9_8equal_toIvEEsEE10hipError_tPvRmT2_T3_T4_T5_mT6_T7_P12ihipStream_tbENKUlT_T0_E_clISt17integral_constantIbLb0EESZ_EEDaSU_SV_EUlSU_E_NS1_11comp_targetILNS1_3genE0ELNS1_11target_archE4294967295ELNS1_3gpuE0ELNS1_3repE0EEENS1_30default_config_static_selectorELNS0_4arch9wavefront6targetE1EEEvT1_
		.amdhsa_group_segment_fixed_size 0
		.amdhsa_private_segment_fixed_size 0
		.amdhsa_kernarg_size 112
		.amdhsa_user_sgpr_count 2
		.amdhsa_user_sgpr_dispatch_ptr 0
		.amdhsa_user_sgpr_queue_ptr 0
		.amdhsa_user_sgpr_kernarg_segment_ptr 1
		.amdhsa_user_sgpr_dispatch_id 0
		.amdhsa_user_sgpr_kernarg_preload_length 0
		.amdhsa_user_sgpr_kernarg_preload_offset 0
		.amdhsa_user_sgpr_private_segment_size 0
		.amdhsa_uses_dynamic_stack 0
		.amdhsa_enable_private_segment 0
		.amdhsa_system_sgpr_workgroup_id_x 1
		.amdhsa_system_sgpr_workgroup_id_y 0
		.amdhsa_system_sgpr_workgroup_id_z 0
		.amdhsa_system_sgpr_workgroup_info 0
		.amdhsa_system_vgpr_workitem_id 0
		.amdhsa_next_free_vgpr 1
		.amdhsa_next_free_sgpr 0
		.amdhsa_accum_offset 4
		.amdhsa_reserve_vcc 0
		.amdhsa_float_round_mode_32 0
		.amdhsa_float_round_mode_16_64 0
		.amdhsa_float_denorm_mode_32 3
		.amdhsa_float_denorm_mode_16_64 3
		.amdhsa_dx10_clamp 1
		.amdhsa_ieee_mode 1
		.amdhsa_fp16_overflow 0
		.amdhsa_tg_split 0
		.amdhsa_exception_fp_ieee_invalid_op 0
		.amdhsa_exception_fp_denorm_src 0
		.amdhsa_exception_fp_ieee_div_zero 0
		.amdhsa_exception_fp_ieee_overflow 0
		.amdhsa_exception_fp_ieee_underflow 0
		.amdhsa_exception_fp_ieee_inexact 0
		.amdhsa_exception_int_div_zero 0
	.end_amdhsa_kernel
	.section	.text._ZN7rocprim17ROCPRIM_400000_NS6detail17trampoline_kernelINS0_14default_configENS1_27scan_by_key_config_selectorIssEEZZNS1_16scan_by_key_implILNS1_25lookback_scan_determinismE0ELb0ES3_N6thrust23THRUST_200600_302600_NS6detail15normal_iteratorINS9_10device_ptrIsEEEESE_SE_sNS9_4plusIvEENS9_8equal_toIvEEsEE10hipError_tPvRmT2_T3_T4_T5_mT6_T7_P12ihipStream_tbENKUlT_T0_E_clISt17integral_constantIbLb0EESZ_EEDaSU_SV_EUlSU_E_NS1_11comp_targetILNS1_3genE0ELNS1_11target_archE4294967295ELNS1_3gpuE0ELNS1_3repE0EEENS1_30default_config_static_selectorELNS0_4arch9wavefront6targetE1EEEvT1_,"axG",@progbits,_ZN7rocprim17ROCPRIM_400000_NS6detail17trampoline_kernelINS0_14default_configENS1_27scan_by_key_config_selectorIssEEZZNS1_16scan_by_key_implILNS1_25lookback_scan_determinismE0ELb0ES3_N6thrust23THRUST_200600_302600_NS6detail15normal_iteratorINS9_10device_ptrIsEEEESE_SE_sNS9_4plusIvEENS9_8equal_toIvEEsEE10hipError_tPvRmT2_T3_T4_T5_mT6_T7_P12ihipStream_tbENKUlT_T0_E_clISt17integral_constantIbLb0EESZ_EEDaSU_SV_EUlSU_E_NS1_11comp_targetILNS1_3genE0ELNS1_11target_archE4294967295ELNS1_3gpuE0ELNS1_3repE0EEENS1_30default_config_static_selectorELNS0_4arch9wavefront6targetE1EEEvT1_,comdat
.Lfunc_end239:
	.size	_ZN7rocprim17ROCPRIM_400000_NS6detail17trampoline_kernelINS0_14default_configENS1_27scan_by_key_config_selectorIssEEZZNS1_16scan_by_key_implILNS1_25lookback_scan_determinismE0ELb0ES3_N6thrust23THRUST_200600_302600_NS6detail15normal_iteratorINS9_10device_ptrIsEEEESE_SE_sNS9_4plusIvEENS9_8equal_toIvEEsEE10hipError_tPvRmT2_T3_T4_T5_mT6_T7_P12ihipStream_tbENKUlT_T0_E_clISt17integral_constantIbLb0EESZ_EEDaSU_SV_EUlSU_E_NS1_11comp_targetILNS1_3genE0ELNS1_11target_archE4294967295ELNS1_3gpuE0ELNS1_3repE0EEENS1_30default_config_static_selectorELNS0_4arch9wavefront6targetE1EEEvT1_, .Lfunc_end239-_ZN7rocprim17ROCPRIM_400000_NS6detail17trampoline_kernelINS0_14default_configENS1_27scan_by_key_config_selectorIssEEZZNS1_16scan_by_key_implILNS1_25lookback_scan_determinismE0ELb0ES3_N6thrust23THRUST_200600_302600_NS6detail15normal_iteratorINS9_10device_ptrIsEEEESE_SE_sNS9_4plusIvEENS9_8equal_toIvEEsEE10hipError_tPvRmT2_T3_T4_T5_mT6_T7_P12ihipStream_tbENKUlT_T0_E_clISt17integral_constantIbLb0EESZ_EEDaSU_SV_EUlSU_E_NS1_11comp_targetILNS1_3genE0ELNS1_11target_archE4294967295ELNS1_3gpuE0ELNS1_3repE0EEENS1_30default_config_static_selectorELNS0_4arch9wavefront6targetE1EEEvT1_
                                        ; -- End function
	.section	.AMDGPU.csdata,"",@progbits
; Kernel info:
; codeLenInByte = 0
; NumSgprs: 6
; NumVgprs: 0
; NumAgprs: 0
; TotalNumVgprs: 0
; ScratchSize: 0
; MemoryBound: 0
; FloatMode: 240
; IeeeMode: 1
; LDSByteSize: 0 bytes/workgroup (compile time only)
; SGPRBlocks: 0
; VGPRBlocks: 0
; NumSGPRsForWavesPerEU: 6
; NumVGPRsForWavesPerEU: 1
; AccumOffset: 4
; Occupancy: 8
; WaveLimiterHint : 0
; COMPUTE_PGM_RSRC2:SCRATCH_EN: 0
; COMPUTE_PGM_RSRC2:USER_SGPR: 2
; COMPUTE_PGM_RSRC2:TRAP_HANDLER: 0
; COMPUTE_PGM_RSRC2:TGID_X_EN: 1
; COMPUTE_PGM_RSRC2:TGID_Y_EN: 0
; COMPUTE_PGM_RSRC2:TGID_Z_EN: 0
; COMPUTE_PGM_RSRC2:TIDIG_COMP_CNT: 0
; COMPUTE_PGM_RSRC3_GFX90A:ACCUM_OFFSET: 0
; COMPUTE_PGM_RSRC3_GFX90A:TG_SPLIT: 0
	.section	.text._ZN7rocprim17ROCPRIM_400000_NS6detail17trampoline_kernelINS0_14default_configENS1_27scan_by_key_config_selectorIssEEZZNS1_16scan_by_key_implILNS1_25lookback_scan_determinismE0ELb0ES3_N6thrust23THRUST_200600_302600_NS6detail15normal_iteratorINS9_10device_ptrIsEEEESE_SE_sNS9_4plusIvEENS9_8equal_toIvEEsEE10hipError_tPvRmT2_T3_T4_T5_mT6_T7_P12ihipStream_tbENKUlT_T0_E_clISt17integral_constantIbLb0EESZ_EEDaSU_SV_EUlSU_E_NS1_11comp_targetILNS1_3genE10ELNS1_11target_archE1201ELNS1_3gpuE5ELNS1_3repE0EEENS1_30default_config_static_selectorELNS0_4arch9wavefront6targetE1EEEvT1_,"axG",@progbits,_ZN7rocprim17ROCPRIM_400000_NS6detail17trampoline_kernelINS0_14default_configENS1_27scan_by_key_config_selectorIssEEZZNS1_16scan_by_key_implILNS1_25lookback_scan_determinismE0ELb0ES3_N6thrust23THRUST_200600_302600_NS6detail15normal_iteratorINS9_10device_ptrIsEEEESE_SE_sNS9_4plusIvEENS9_8equal_toIvEEsEE10hipError_tPvRmT2_T3_T4_T5_mT6_T7_P12ihipStream_tbENKUlT_T0_E_clISt17integral_constantIbLb0EESZ_EEDaSU_SV_EUlSU_E_NS1_11comp_targetILNS1_3genE10ELNS1_11target_archE1201ELNS1_3gpuE5ELNS1_3repE0EEENS1_30default_config_static_selectorELNS0_4arch9wavefront6targetE1EEEvT1_,comdat
	.protected	_ZN7rocprim17ROCPRIM_400000_NS6detail17trampoline_kernelINS0_14default_configENS1_27scan_by_key_config_selectorIssEEZZNS1_16scan_by_key_implILNS1_25lookback_scan_determinismE0ELb0ES3_N6thrust23THRUST_200600_302600_NS6detail15normal_iteratorINS9_10device_ptrIsEEEESE_SE_sNS9_4plusIvEENS9_8equal_toIvEEsEE10hipError_tPvRmT2_T3_T4_T5_mT6_T7_P12ihipStream_tbENKUlT_T0_E_clISt17integral_constantIbLb0EESZ_EEDaSU_SV_EUlSU_E_NS1_11comp_targetILNS1_3genE10ELNS1_11target_archE1201ELNS1_3gpuE5ELNS1_3repE0EEENS1_30default_config_static_selectorELNS0_4arch9wavefront6targetE1EEEvT1_ ; -- Begin function _ZN7rocprim17ROCPRIM_400000_NS6detail17trampoline_kernelINS0_14default_configENS1_27scan_by_key_config_selectorIssEEZZNS1_16scan_by_key_implILNS1_25lookback_scan_determinismE0ELb0ES3_N6thrust23THRUST_200600_302600_NS6detail15normal_iteratorINS9_10device_ptrIsEEEESE_SE_sNS9_4plusIvEENS9_8equal_toIvEEsEE10hipError_tPvRmT2_T3_T4_T5_mT6_T7_P12ihipStream_tbENKUlT_T0_E_clISt17integral_constantIbLb0EESZ_EEDaSU_SV_EUlSU_E_NS1_11comp_targetILNS1_3genE10ELNS1_11target_archE1201ELNS1_3gpuE5ELNS1_3repE0EEENS1_30default_config_static_selectorELNS0_4arch9wavefront6targetE1EEEvT1_
	.globl	_ZN7rocprim17ROCPRIM_400000_NS6detail17trampoline_kernelINS0_14default_configENS1_27scan_by_key_config_selectorIssEEZZNS1_16scan_by_key_implILNS1_25lookback_scan_determinismE0ELb0ES3_N6thrust23THRUST_200600_302600_NS6detail15normal_iteratorINS9_10device_ptrIsEEEESE_SE_sNS9_4plusIvEENS9_8equal_toIvEEsEE10hipError_tPvRmT2_T3_T4_T5_mT6_T7_P12ihipStream_tbENKUlT_T0_E_clISt17integral_constantIbLb0EESZ_EEDaSU_SV_EUlSU_E_NS1_11comp_targetILNS1_3genE10ELNS1_11target_archE1201ELNS1_3gpuE5ELNS1_3repE0EEENS1_30default_config_static_selectorELNS0_4arch9wavefront6targetE1EEEvT1_
	.p2align	8
	.type	_ZN7rocprim17ROCPRIM_400000_NS6detail17trampoline_kernelINS0_14default_configENS1_27scan_by_key_config_selectorIssEEZZNS1_16scan_by_key_implILNS1_25lookback_scan_determinismE0ELb0ES3_N6thrust23THRUST_200600_302600_NS6detail15normal_iteratorINS9_10device_ptrIsEEEESE_SE_sNS9_4plusIvEENS9_8equal_toIvEEsEE10hipError_tPvRmT2_T3_T4_T5_mT6_T7_P12ihipStream_tbENKUlT_T0_E_clISt17integral_constantIbLb0EESZ_EEDaSU_SV_EUlSU_E_NS1_11comp_targetILNS1_3genE10ELNS1_11target_archE1201ELNS1_3gpuE5ELNS1_3repE0EEENS1_30default_config_static_selectorELNS0_4arch9wavefront6targetE1EEEvT1_,@function
_ZN7rocprim17ROCPRIM_400000_NS6detail17trampoline_kernelINS0_14default_configENS1_27scan_by_key_config_selectorIssEEZZNS1_16scan_by_key_implILNS1_25lookback_scan_determinismE0ELb0ES3_N6thrust23THRUST_200600_302600_NS6detail15normal_iteratorINS9_10device_ptrIsEEEESE_SE_sNS9_4plusIvEENS9_8equal_toIvEEsEE10hipError_tPvRmT2_T3_T4_T5_mT6_T7_P12ihipStream_tbENKUlT_T0_E_clISt17integral_constantIbLb0EESZ_EEDaSU_SV_EUlSU_E_NS1_11comp_targetILNS1_3genE10ELNS1_11target_archE1201ELNS1_3gpuE5ELNS1_3repE0EEENS1_30default_config_static_selectorELNS0_4arch9wavefront6targetE1EEEvT1_: ; @_ZN7rocprim17ROCPRIM_400000_NS6detail17trampoline_kernelINS0_14default_configENS1_27scan_by_key_config_selectorIssEEZZNS1_16scan_by_key_implILNS1_25lookback_scan_determinismE0ELb0ES3_N6thrust23THRUST_200600_302600_NS6detail15normal_iteratorINS9_10device_ptrIsEEEESE_SE_sNS9_4plusIvEENS9_8equal_toIvEEsEE10hipError_tPvRmT2_T3_T4_T5_mT6_T7_P12ihipStream_tbENKUlT_T0_E_clISt17integral_constantIbLb0EESZ_EEDaSU_SV_EUlSU_E_NS1_11comp_targetILNS1_3genE10ELNS1_11target_archE1201ELNS1_3gpuE5ELNS1_3repE0EEENS1_30default_config_static_selectorELNS0_4arch9wavefront6targetE1EEEvT1_
; %bb.0:
	.section	.rodata,"a",@progbits
	.p2align	6, 0x0
	.amdhsa_kernel _ZN7rocprim17ROCPRIM_400000_NS6detail17trampoline_kernelINS0_14default_configENS1_27scan_by_key_config_selectorIssEEZZNS1_16scan_by_key_implILNS1_25lookback_scan_determinismE0ELb0ES3_N6thrust23THRUST_200600_302600_NS6detail15normal_iteratorINS9_10device_ptrIsEEEESE_SE_sNS9_4plusIvEENS9_8equal_toIvEEsEE10hipError_tPvRmT2_T3_T4_T5_mT6_T7_P12ihipStream_tbENKUlT_T0_E_clISt17integral_constantIbLb0EESZ_EEDaSU_SV_EUlSU_E_NS1_11comp_targetILNS1_3genE10ELNS1_11target_archE1201ELNS1_3gpuE5ELNS1_3repE0EEENS1_30default_config_static_selectorELNS0_4arch9wavefront6targetE1EEEvT1_
		.amdhsa_group_segment_fixed_size 0
		.amdhsa_private_segment_fixed_size 0
		.amdhsa_kernarg_size 112
		.amdhsa_user_sgpr_count 2
		.amdhsa_user_sgpr_dispatch_ptr 0
		.amdhsa_user_sgpr_queue_ptr 0
		.amdhsa_user_sgpr_kernarg_segment_ptr 1
		.amdhsa_user_sgpr_dispatch_id 0
		.amdhsa_user_sgpr_kernarg_preload_length 0
		.amdhsa_user_sgpr_kernarg_preload_offset 0
		.amdhsa_user_sgpr_private_segment_size 0
		.amdhsa_uses_dynamic_stack 0
		.amdhsa_enable_private_segment 0
		.amdhsa_system_sgpr_workgroup_id_x 1
		.amdhsa_system_sgpr_workgroup_id_y 0
		.amdhsa_system_sgpr_workgroup_id_z 0
		.amdhsa_system_sgpr_workgroup_info 0
		.amdhsa_system_vgpr_workitem_id 0
		.amdhsa_next_free_vgpr 1
		.amdhsa_next_free_sgpr 0
		.amdhsa_accum_offset 4
		.amdhsa_reserve_vcc 0
		.amdhsa_float_round_mode_32 0
		.amdhsa_float_round_mode_16_64 0
		.amdhsa_float_denorm_mode_32 3
		.amdhsa_float_denorm_mode_16_64 3
		.amdhsa_dx10_clamp 1
		.amdhsa_ieee_mode 1
		.amdhsa_fp16_overflow 0
		.amdhsa_tg_split 0
		.amdhsa_exception_fp_ieee_invalid_op 0
		.amdhsa_exception_fp_denorm_src 0
		.amdhsa_exception_fp_ieee_div_zero 0
		.amdhsa_exception_fp_ieee_overflow 0
		.amdhsa_exception_fp_ieee_underflow 0
		.amdhsa_exception_fp_ieee_inexact 0
		.amdhsa_exception_int_div_zero 0
	.end_amdhsa_kernel
	.section	.text._ZN7rocprim17ROCPRIM_400000_NS6detail17trampoline_kernelINS0_14default_configENS1_27scan_by_key_config_selectorIssEEZZNS1_16scan_by_key_implILNS1_25lookback_scan_determinismE0ELb0ES3_N6thrust23THRUST_200600_302600_NS6detail15normal_iteratorINS9_10device_ptrIsEEEESE_SE_sNS9_4plusIvEENS9_8equal_toIvEEsEE10hipError_tPvRmT2_T3_T4_T5_mT6_T7_P12ihipStream_tbENKUlT_T0_E_clISt17integral_constantIbLb0EESZ_EEDaSU_SV_EUlSU_E_NS1_11comp_targetILNS1_3genE10ELNS1_11target_archE1201ELNS1_3gpuE5ELNS1_3repE0EEENS1_30default_config_static_selectorELNS0_4arch9wavefront6targetE1EEEvT1_,"axG",@progbits,_ZN7rocprim17ROCPRIM_400000_NS6detail17trampoline_kernelINS0_14default_configENS1_27scan_by_key_config_selectorIssEEZZNS1_16scan_by_key_implILNS1_25lookback_scan_determinismE0ELb0ES3_N6thrust23THRUST_200600_302600_NS6detail15normal_iteratorINS9_10device_ptrIsEEEESE_SE_sNS9_4plusIvEENS9_8equal_toIvEEsEE10hipError_tPvRmT2_T3_T4_T5_mT6_T7_P12ihipStream_tbENKUlT_T0_E_clISt17integral_constantIbLb0EESZ_EEDaSU_SV_EUlSU_E_NS1_11comp_targetILNS1_3genE10ELNS1_11target_archE1201ELNS1_3gpuE5ELNS1_3repE0EEENS1_30default_config_static_selectorELNS0_4arch9wavefront6targetE1EEEvT1_,comdat
.Lfunc_end240:
	.size	_ZN7rocprim17ROCPRIM_400000_NS6detail17trampoline_kernelINS0_14default_configENS1_27scan_by_key_config_selectorIssEEZZNS1_16scan_by_key_implILNS1_25lookback_scan_determinismE0ELb0ES3_N6thrust23THRUST_200600_302600_NS6detail15normal_iteratorINS9_10device_ptrIsEEEESE_SE_sNS9_4plusIvEENS9_8equal_toIvEEsEE10hipError_tPvRmT2_T3_T4_T5_mT6_T7_P12ihipStream_tbENKUlT_T0_E_clISt17integral_constantIbLb0EESZ_EEDaSU_SV_EUlSU_E_NS1_11comp_targetILNS1_3genE10ELNS1_11target_archE1201ELNS1_3gpuE5ELNS1_3repE0EEENS1_30default_config_static_selectorELNS0_4arch9wavefront6targetE1EEEvT1_, .Lfunc_end240-_ZN7rocprim17ROCPRIM_400000_NS6detail17trampoline_kernelINS0_14default_configENS1_27scan_by_key_config_selectorIssEEZZNS1_16scan_by_key_implILNS1_25lookback_scan_determinismE0ELb0ES3_N6thrust23THRUST_200600_302600_NS6detail15normal_iteratorINS9_10device_ptrIsEEEESE_SE_sNS9_4plusIvEENS9_8equal_toIvEEsEE10hipError_tPvRmT2_T3_T4_T5_mT6_T7_P12ihipStream_tbENKUlT_T0_E_clISt17integral_constantIbLb0EESZ_EEDaSU_SV_EUlSU_E_NS1_11comp_targetILNS1_3genE10ELNS1_11target_archE1201ELNS1_3gpuE5ELNS1_3repE0EEENS1_30default_config_static_selectorELNS0_4arch9wavefront6targetE1EEEvT1_
                                        ; -- End function
	.section	.AMDGPU.csdata,"",@progbits
; Kernel info:
; codeLenInByte = 0
; NumSgprs: 6
; NumVgprs: 0
; NumAgprs: 0
; TotalNumVgprs: 0
; ScratchSize: 0
; MemoryBound: 0
; FloatMode: 240
; IeeeMode: 1
; LDSByteSize: 0 bytes/workgroup (compile time only)
; SGPRBlocks: 0
; VGPRBlocks: 0
; NumSGPRsForWavesPerEU: 6
; NumVGPRsForWavesPerEU: 1
; AccumOffset: 4
; Occupancy: 8
; WaveLimiterHint : 0
; COMPUTE_PGM_RSRC2:SCRATCH_EN: 0
; COMPUTE_PGM_RSRC2:USER_SGPR: 2
; COMPUTE_PGM_RSRC2:TRAP_HANDLER: 0
; COMPUTE_PGM_RSRC2:TGID_X_EN: 1
; COMPUTE_PGM_RSRC2:TGID_Y_EN: 0
; COMPUTE_PGM_RSRC2:TGID_Z_EN: 0
; COMPUTE_PGM_RSRC2:TIDIG_COMP_CNT: 0
; COMPUTE_PGM_RSRC3_GFX90A:ACCUM_OFFSET: 0
; COMPUTE_PGM_RSRC3_GFX90A:TG_SPLIT: 0
	.section	.text._ZN7rocprim17ROCPRIM_400000_NS6detail17trampoline_kernelINS0_14default_configENS1_27scan_by_key_config_selectorIssEEZZNS1_16scan_by_key_implILNS1_25lookback_scan_determinismE0ELb0ES3_N6thrust23THRUST_200600_302600_NS6detail15normal_iteratorINS9_10device_ptrIsEEEESE_SE_sNS9_4plusIvEENS9_8equal_toIvEEsEE10hipError_tPvRmT2_T3_T4_T5_mT6_T7_P12ihipStream_tbENKUlT_T0_E_clISt17integral_constantIbLb0EESZ_EEDaSU_SV_EUlSU_E_NS1_11comp_targetILNS1_3genE5ELNS1_11target_archE942ELNS1_3gpuE9ELNS1_3repE0EEENS1_30default_config_static_selectorELNS0_4arch9wavefront6targetE1EEEvT1_,"axG",@progbits,_ZN7rocprim17ROCPRIM_400000_NS6detail17trampoline_kernelINS0_14default_configENS1_27scan_by_key_config_selectorIssEEZZNS1_16scan_by_key_implILNS1_25lookback_scan_determinismE0ELb0ES3_N6thrust23THRUST_200600_302600_NS6detail15normal_iteratorINS9_10device_ptrIsEEEESE_SE_sNS9_4plusIvEENS9_8equal_toIvEEsEE10hipError_tPvRmT2_T3_T4_T5_mT6_T7_P12ihipStream_tbENKUlT_T0_E_clISt17integral_constantIbLb0EESZ_EEDaSU_SV_EUlSU_E_NS1_11comp_targetILNS1_3genE5ELNS1_11target_archE942ELNS1_3gpuE9ELNS1_3repE0EEENS1_30default_config_static_selectorELNS0_4arch9wavefront6targetE1EEEvT1_,comdat
	.protected	_ZN7rocprim17ROCPRIM_400000_NS6detail17trampoline_kernelINS0_14default_configENS1_27scan_by_key_config_selectorIssEEZZNS1_16scan_by_key_implILNS1_25lookback_scan_determinismE0ELb0ES3_N6thrust23THRUST_200600_302600_NS6detail15normal_iteratorINS9_10device_ptrIsEEEESE_SE_sNS9_4plusIvEENS9_8equal_toIvEEsEE10hipError_tPvRmT2_T3_T4_T5_mT6_T7_P12ihipStream_tbENKUlT_T0_E_clISt17integral_constantIbLb0EESZ_EEDaSU_SV_EUlSU_E_NS1_11comp_targetILNS1_3genE5ELNS1_11target_archE942ELNS1_3gpuE9ELNS1_3repE0EEENS1_30default_config_static_selectorELNS0_4arch9wavefront6targetE1EEEvT1_ ; -- Begin function _ZN7rocprim17ROCPRIM_400000_NS6detail17trampoline_kernelINS0_14default_configENS1_27scan_by_key_config_selectorIssEEZZNS1_16scan_by_key_implILNS1_25lookback_scan_determinismE0ELb0ES3_N6thrust23THRUST_200600_302600_NS6detail15normal_iteratorINS9_10device_ptrIsEEEESE_SE_sNS9_4plusIvEENS9_8equal_toIvEEsEE10hipError_tPvRmT2_T3_T4_T5_mT6_T7_P12ihipStream_tbENKUlT_T0_E_clISt17integral_constantIbLb0EESZ_EEDaSU_SV_EUlSU_E_NS1_11comp_targetILNS1_3genE5ELNS1_11target_archE942ELNS1_3gpuE9ELNS1_3repE0EEENS1_30default_config_static_selectorELNS0_4arch9wavefront6targetE1EEEvT1_
	.globl	_ZN7rocprim17ROCPRIM_400000_NS6detail17trampoline_kernelINS0_14default_configENS1_27scan_by_key_config_selectorIssEEZZNS1_16scan_by_key_implILNS1_25lookback_scan_determinismE0ELb0ES3_N6thrust23THRUST_200600_302600_NS6detail15normal_iteratorINS9_10device_ptrIsEEEESE_SE_sNS9_4plusIvEENS9_8equal_toIvEEsEE10hipError_tPvRmT2_T3_T4_T5_mT6_T7_P12ihipStream_tbENKUlT_T0_E_clISt17integral_constantIbLb0EESZ_EEDaSU_SV_EUlSU_E_NS1_11comp_targetILNS1_3genE5ELNS1_11target_archE942ELNS1_3gpuE9ELNS1_3repE0EEENS1_30default_config_static_selectorELNS0_4arch9wavefront6targetE1EEEvT1_
	.p2align	8
	.type	_ZN7rocprim17ROCPRIM_400000_NS6detail17trampoline_kernelINS0_14default_configENS1_27scan_by_key_config_selectorIssEEZZNS1_16scan_by_key_implILNS1_25lookback_scan_determinismE0ELb0ES3_N6thrust23THRUST_200600_302600_NS6detail15normal_iteratorINS9_10device_ptrIsEEEESE_SE_sNS9_4plusIvEENS9_8equal_toIvEEsEE10hipError_tPvRmT2_T3_T4_T5_mT6_T7_P12ihipStream_tbENKUlT_T0_E_clISt17integral_constantIbLb0EESZ_EEDaSU_SV_EUlSU_E_NS1_11comp_targetILNS1_3genE5ELNS1_11target_archE942ELNS1_3gpuE9ELNS1_3repE0EEENS1_30default_config_static_selectorELNS0_4arch9wavefront6targetE1EEEvT1_,@function
_ZN7rocprim17ROCPRIM_400000_NS6detail17trampoline_kernelINS0_14default_configENS1_27scan_by_key_config_selectorIssEEZZNS1_16scan_by_key_implILNS1_25lookback_scan_determinismE0ELb0ES3_N6thrust23THRUST_200600_302600_NS6detail15normal_iteratorINS9_10device_ptrIsEEEESE_SE_sNS9_4plusIvEENS9_8equal_toIvEEsEE10hipError_tPvRmT2_T3_T4_T5_mT6_T7_P12ihipStream_tbENKUlT_T0_E_clISt17integral_constantIbLb0EESZ_EEDaSU_SV_EUlSU_E_NS1_11comp_targetILNS1_3genE5ELNS1_11target_archE942ELNS1_3gpuE9ELNS1_3repE0EEENS1_30default_config_static_selectorELNS0_4arch9wavefront6targetE1EEEvT1_: ; @_ZN7rocprim17ROCPRIM_400000_NS6detail17trampoline_kernelINS0_14default_configENS1_27scan_by_key_config_selectorIssEEZZNS1_16scan_by_key_implILNS1_25lookback_scan_determinismE0ELb0ES3_N6thrust23THRUST_200600_302600_NS6detail15normal_iteratorINS9_10device_ptrIsEEEESE_SE_sNS9_4plusIvEENS9_8equal_toIvEEsEE10hipError_tPvRmT2_T3_T4_T5_mT6_T7_P12ihipStream_tbENKUlT_T0_E_clISt17integral_constantIbLb0EESZ_EEDaSU_SV_EUlSU_E_NS1_11comp_targetILNS1_3genE5ELNS1_11target_archE942ELNS1_3gpuE9ELNS1_3repE0EEENS1_30default_config_static_selectorELNS0_4arch9wavefront6targetE1EEEvT1_
; %bb.0:
	s_load_dwordx8 s[52:59], s[0:1], 0x0
	s_load_dwordx4 s[68:71], s[0:1], 0x28
	s_load_dwordx2 s[74:75], s[0:1], 0x38
	s_load_dword s3, s[0:1], 0x40
	s_load_dwordx8 s[60:67], s[0:1], 0x48
	s_waitcnt lgkmcnt(0)
	s_lshl_b64 s[72:73], s[54:55], 1
	s_add_u32 s4, s52, s72
	s_addc_u32 s5, s53, s73
	s_add_u32 s6, s56, s72
	s_mul_i32 s0, s75, s3
	s_mul_hi_u32 s1, s74, s3
	s_addc_u32 s7, s57, s73
	s_add_i32 s8, s1, s0
	s_cmp_lg_u64 s[64:65], 0
	s_mul_i32 s0, s2, 0x1800
	s_mov_b32 s1, 0
	s_cselect_b64 s[76:77], -1, 0
	s_lshl_b64 s[64:65], s[0:1], 1
	s_add_u32 s56, s4, s64
	s_addc_u32 s57, s5, s65
	s_add_u32 s54, s6, s64
	s_mul_i32 s3, s74, s3
	s_addc_u32 s55, s7, s65
	s_add_u32 s78, s3, s2
	s_addc_u32 s79, s8, 0
	s_add_u32 s4, s60, -1
	s_addc_u32 s5, s61, -1
	v_mov_b64_e32 v[2:3], s[4:5]
	v_cmp_ge_u64_e64 s[0:1], s[78:79], v[2:3]
	s_mov_b64 s[12:13], 0
	s_mov_b64 s[6:7], -1
	s_and_b64 vcc, exec, s[0:1]
	s_mul_i32 s33, s4, 0xffffe800
	s_barrier
	s_cbranch_vccz .LBB241_127
; %bb.1:
	v_mov_b64_e32 v[2:3], s[56:57]
	flat_load_ushort v1, v[2:3]
	s_add_i32 s3, s33, s70
	v_cmp_gt_u32_e64 s[52:53], s3, v0
	s_waitcnt vmcnt(0) lgkmcnt(0)
	v_mov_b32_e32 v22, v1
	s_and_saveexec_b64 s[4:5], s[52:53]
	s_cbranch_execz .LBB241_3
; %bb.2:
	v_lshlrev_b32_e32 v2, 1, v0
	v_mov_b32_e32 v3, 0
	v_lshl_add_u64 v[2:3], s[56:57], 0, v[2:3]
	flat_load_ushort v22, v[2:3]
.LBB241_3:
	s_or_b64 exec, exec, s[4:5]
	v_or_b32_e32 v2, 0x100, v0
	v_cmp_gt_u32_e64 s[4:5], s3, v2
	v_mov_b32_e32 v23, v1
	s_and_saveexec_b64 s[6:7], s[4:5]
	s_cbranch_execz .LBB241_5
; %bb.4:
	v_lshlrev_b32_e32 v2, 1, v0
	v_mov_b32_e32 v3, 0
	v_lshl_add_u64 v[2:3], s[56:57], 0, v[2:3]
	flat_load_ushort v23, v[2:3] offset:512
.LBB241_5:
	s_or_b64 exec, exec, s[6:7]
	v_or_b32_e32 v2, 0x200, v0
	v_cmp_gt_u32_e64 s[6:7], s3, v2
	v_mov_b32_e32 v24, v1
	s_and_saveexec_b64 s[8:9], s[6:7]
	s_cbranch_execz .LBB241_7
; %bb.6:
	v_lshlrev_b32_e32 v2, 1, v0
	v_mov_b32_e32 v3, 0
	v_lshl_add_u64 v[2:3], s[56:57], 0, v[2:3]
	flat_load_ushort v24, v[2:3] offset:1024
.LBB241_7:
	;; [unrolled: 12-line block ×7, first 2 shown]
	s_or_b64 exec, exec, s[18:19]
	v_or_b32_e32 v2, 0x800, v0
	v_cmp_gt_u32_e64 s[18:19], s3, v2
	v_lshlrev_b32_e32 v2, 1, v2
	v_mov_b32_e32 v3, v1
	s_and_saveexec_b64 s[20:21], s[18:19]
	s_cbranch_execz .LBB241_19
; %bb.18:
	v_mov_b32_e32 v3, 0
	v_lshl_add_u64 v[4:5], s[56:57], 0, v[2:3]
	flat_load_ushort v3, v[4:5]
.LBB241_19:
	s_or_b64 exec, exec, s[20:21]
	v_or_b32_e32 v4, 0x900, v0
	v_cmp_gt_u32_e64 s[20:21], s3, v4
	v_lshlrev_b32_e32 v4, 1, v4
	v_mov_b32_e32 v5, v1
	s_and_saveexec_b64 s[22:23], s[20:21]
	s_cbranch_execz .LBB241_21
; %bb.20:
	v_mov_b32_e32 v5, 0
	v_lshl_add_u64 v[6:7], s[56:57], 0, v[4:5]
	flat_load_ushort v5, v[6:7]
.LBB241_21:
	;; [unrolled: 12-line block ×15, first 2 shown]
	s_or_b64 exec, exec, s[50:51]
	v_or_b32_e32 v36, 0x1700, v0
	v_cmp_gt_u32_e64 s[50:51], s3, v36
	v_lshlrev_b32_e32 v46, 1, v36
	s_and_saveexec_b64 s[60:61], s[50:51]
	s_cbranch_execz .LBB241_49
; %bb.48:
	v_mov_b32_e32 v47, 0
	v_lshl_add_u64 v[36:37], s[56:57], 0, v[46:47]
	flat_load_ushort v1, v[36:37]
.LBB241_49:
	s_or_b64 exec, exec, s[60:61]
	v_lshlrev_b32_e32 v36, 1, v0
	v_mad_u32_u24 v48, v0, 46, v36
	s_waitcnt vmcnt(0) lgkmcnt(0)
	ds_write_b16 v36, v22
	ds_write_b16 v36, v23 offset:512
	ds_write_b16 v36, v24 offset:1024
	;; [unrolled: 1-line block ×23, first 2 shown]
	s_waitcnt lgkmcnt(0)
	s_barrier
	ds_read_b128 v[30:33], v48
	ds_read_b128 v[26:29], v48 offset:16
	ds_read_b128 v[22:25], v48 offset:32
	s_cmp_eq_u64 s[78:79], 0
	s_mov_b64 s[60:61], s[56:57]
	s_cbranch_scc1 .LBB241_53
; %bb.50:
	s_andn2_b64 vcc, exec, s[76:77]
	s_cbranch_vccnz .LBB241_313
; %bb.51:
	s_lshl_b64 s[60:61], s[78:79], 1
	s_add_u32 s60, s66, s60
	s_addc_u32 s61, s67, s61
	s_add_u32 s60, s60, -2
	s_addc_u32 s61, s61, -1
	s_cbranch_execnz .LBB241_53
.LBB241_52:
	s_add_u32 s60, s56, -2
	s_addc_u32 s61, s57, -1
.LBB241_53:
	v_mov_b64_e32 v[50:51], s[60:61]
	flat_load_ushort v50, v[50:51]
	s_movk_i32 s60, 0xffd2
	s_waitcnt lgkmcnt(0)
	v_lshrrev_b32_e32 v49, 16, v25
	v_mad_i32_i24 v1, v0, s60, v48
	v_cmp_ne_u32_e32 vcc, 0, v0
	ds_write_b16 v1, v49 offset:12288
	s_waitcnt lgkmcnt(0)
	s_barrier
	s_and_saveexec_b64 s[60:61], vcc
	s_cbranch_execz .LBB241_55
; %bb.54:
	v_mul_i32_i24_e32 v1, 0xffffffd2, v0
	v_add_u32_e32 v1, v48, v1
	s_waitcnt vmcnt(0)
	ds_read_u16 v50, v1 offset:12286
.LBB241_55:
	s_or_b64 exec, exec, s[60:61]
	v_mov_b32_e32 v37, 0
	s_waitcnt lgkmcnt(0)
	s_barrier
	s_waitcnt lgkmcnt(0)
                                        ; implicit-def: $vgpr1
	s_and_saveexec_b64 s[60:61], s[52:53]
	s_cbranch_execnz .LBB241_290
; %bb.56:
	s_or_b64 exec, exec, s[60:61]
                                        ; implicit-def: $vgpr51
	s_and_saveexec_b64 s[52:53], s[4:5]
	s_cbranch_execnz .LBB241_291
.LBB241_57:
	s_or_b64 exec, exec, s[52:53]
                                        ; implicit-def: $vgpr52
	s_and_saveexec_b64 s[4:5], s[6:7]
	s_cbranch_execnz .LBB241_292
.LBB241_58:
	s_or_b64 exec, exec, s[4:5]
                                        ; implicit-def: $vgpr53
	s_and_saveexec_b64 s[4:5], s[8:9]
	s_cbranch_execnz .LBB241_293
.LBB241_59:
	s_or_b64 exec, exec, s[4:5]
                                        ; implicit-def: $vgpr54
	s_and_saveexec_b64 s[4:5], s[10:11]
	s_cbranch_execnz .LBB241_294
.LBB241_60:
	s_or_b64 exec, exec, s[4:5]
                                        ; implicit-def: $vgpr55
	s_and_saveexec_b64 s[4:5], s[12:13]
	s_cbranch_execnz .LBB241_295
.LBB241_61:
	s_or_b64 exec, exec, s[4:5]
                                        ; implicit-def: $vgpr56
	s_and_saveexec_b64 s[4:5], s[14:15]
	s_cbranch_execnz .LBB241_296
.LBB241_62:
	s_or_b64 exec, exec, s[4:5]
                                        ; implicit-def: $vgpr37
	s_and_saveexec_b64 s[4:5], s[16:17]
	s_cbranch_execnz .LBB241_297
.LBB241_63:
	s_or_b64 exec, exec, s[4:5]
                                        ; implicit-def: $vgpr3
	s_and_saveexec_b64 s[4:5], s[18:19]
	s_cbranch_execnz .LBB241_298
.LBB241_64:
	s_or_b64 exec, exec, s[4:5]
                                        ; implicit-def: $vgpr2
	s_and_saveexec_b64 s[4:5], s[20:21]
	s_cbranch_execnz .LBB241_299
.LBB241_65:
	s_or_b64 exec, exec, s[4:5]
                                        ; implicit-def: $vgpr4
	s_and_saveexec_b64 s[4:5], s[22:23]
	s_cbranch_execnz .LBB241_300
.LBB241_66:
	s_or_b64 exec, exec, s[4:5]
                                        ; implicit-def: $vgpr5
	s_and_saveexec_b64 s[4:5], s[24:25]
	s_cbranch_execnz .LBB241_301
.LBB241_67:
	s_or_b64 exec, exec, s[4:5]
                                        ; implicit-def: $vgpr6
	s_and_saveexec_b64 s[4:5], s[26:27]
	s_cbranch_execnz .LBB241_302
.LBB241_68:
	s_or_b64 exec, exec, s[4:5]
                                        ; implicit-def: $vgpr7
	s_and_saveexec_b64 s[4:5], s[28:29]
	s_cbranch_execnz .LBB241_303
.LBB241_69:
	s_or_b64 exec, exec, s[4:5]
                                        ; implicit-def: $vgpr8
	s_and_saveexec_b64 s[4:5], s[30:31]
	s_cbranch_execnz .LBB241_304
.LBB241_70:
	s_or_b64 exec, exec, s[4:5]
                                        ; implicit-def: $vgpr9
	s_and_saveexec_b64 s[4:5], s[34:35]
	s_cbranch_execnz .LBB241_305
.LBB241_71:
	s_or_b64 exec, exec, s[4:5]
                                        ; implicit-def: $vgpr10
	s_and_saveexec_b64 s[4:5], s[36:37]
	s_cbranch_execnz .LBB241_306
.LBB241_72:
	s_or_b64 exec, exec, s[4:5]
                                        ; implicit-def: $vgpr11
	s_and_saveexec_b64 s[4:5], s[38:39]
	s_cbranch_execnz .LBB241_307
.LBB241_73:
	s_or_b64 exec, exec, s[4:5]
                                        ; implicit-def: $vgpr12
	s_and_saveexec_b64 s[4:5], s[40:41]
	s_cbranch_execnz .LBB241_308
.LBB241_74:
	s_or_b64 exec, exec, s[4:5]
                                        ; implicit-def: $vgpr13
	s_and_saveexec_b64 s[4:5], s[42:43]
	s_cbranch_execnz .LBB241_309
.LBB241_75:
	s_or_b64 exec, exec, s[4:5]
                                        ; implicit-def: $vgpr14
	s_and_saveexec_b64 s[4:5], s[44:45]
	s_cbranch_execnz .LBB241_310
.LBB241_76:
	s_or_b64 exec, exec, s[4:5]
                                        ; implicit-def: $vgpr15
	s_and_saveexec_b64 s[4:5], s[46:47]
	s_cbranch_execnz .LBB241_311
.LBB241_77:
	s_or_b64 exec, exec, s[4:5]
                                        ; implicit-def: $vgpr16
	s_and_saveexec_b64 s[4:5], s[48:49]
	s_cbranch_execnz .LBB241_312
.LBB241_78:
	s_or_b64 exec, exec, s[4:5]
                                        ; implicit-def: $vgpr17
	s_and_saveexec_b64 s[4:5], s[50:51]
	s_cbranch_execz .LBB241_80
.LBB241_79:
	v_mov_b32_e32 v47, 0
	v_lshl_add_u64 v[18:19], s[54:55], 0, v[46:47]
	flat_load_ushort v17, v[18:19]
.LBB241_80:
	s_or_b64 exec, exec, s[4:5]
	s_mov_b32 s8, 0
	s_mov_b32 s9, s8
	s_waitcnt vmcnt(0) lgkmcnt(0)
	ds_write_b16 v36, v1
	ds_write_b16 v36, v51 offset:512
	ds_write_b16 v36, v52 offset:1024
	ds_write_b16 v36, v53 offset:1536
	ds_write_b16 v36, v54 offset:2048
	ds_write_b16 v36, v55 offset:2560
	ds_write_b16 v36, v56 offset:3072
	ds_write_b16 v36, v37 offset:3584
	ds_write_b16 v36, v3 offset:4096
	ds_write_b16 v36, v2 offset:4608
	ds_write_b16 v36, v4 offset:5120
	ds_write_b16 v36, v5 offset:5632
	ds_write_b16 v36, v6 offset:6144
	ds_write_b16 v36, v7 offset:6656
	ds_write_b16 v36, v8 offset:7168
	ds_write_b16 v36, v9 offset:7680
	ds_write_b16 v36, v10 offset:8192
	ds_write_b16 v36, v11 offset:8704
	ds_write_b16 v36, v12 offset:9216
	ds_write_b16 v36, v13 offset:9728
	ds_write_b16 v36, v14 offset:10240
	ds_write_b16 v36, v15 offset:10752
	ds_write_b16 v36, v16 offset:11264
	ds_write_b16 v36, v17 offset:11776
	s_mov_b32 s10, s8
	s_mov_b32 s11, s8
	;; [unrolled: 1-line block ×6, first 2 shown]
	v_mov_b64_e32 v[2:3], s[8:9]
	s_mov_b32 s18, s8
	s_mov_b32 s19, s8
	v_mov_b64_e32 v[8:9], s[14:15]
	v_mul_u32_u24_e32 v41, 24, v0
	s_mov_b32 s16, s8
	s_mov_b32 s17, s8
	v_mov_b64_e32 v[20:21], s[18:19]
	v_mov_b64_e32 v[4:5], s[10:11]
	;; [unrolled: 1-line block ×4, first 2 shown]
	v_cmp_gt_u32_e32 vcc, s3, v41
	s_mov_b64 s[6:7], 0
	v_mov_b64_e32 v[18:19], s[16:17]
	v_mov_b32_e32 v1, 0
	s_mov_b64 s[12:13], 0
	v_mov_b64_e32 v[14:15], v[6:7]
	v_mov_b64_e32 v[12:13], v[4:5]
	;; [unrolled: 1-line block ×3, first 2 shown]
	v_mov_b32_e32 v38, 0
	v_mov_b32_e32 v39, 0
	s_waitcnt lgkmcnt(0)
	s_barrier
	s_waitcnt lgkmcnt(0)
                                        ; implicit-def: $sgpr4_sgpr5
                                        ; implicit-def: $vgpr40
	s_and_saveexec_b64 s[10:11], vcc
	s_cbranch_execz .LBB241_126
; %bb.81:
	ds_read_u16 v1, v48
	v_cmp_ne_u16_e32 vcc, v50, v30
	s_mov_b32 s12, 0
	v_or_b32_e32 v2, 1, v41
	v_cndmask_b32_e64 v3, 0, 1, vcc
	s_mov_b32 s13, s12
	v_cmp_gt_u32_e32 vcc, s3, v2
	s_waitcnt lgkmcnt(0)
	v_lshl_or_b32 v1, v3, 16, v1
	s_mov_b32 s14, s12
	s_mov_b32 s15, s12
	s_mov_b32 s16, s12
	s_mov_b32 s17, s12
	s_mov_b32 s18, s12
	s_mov_b32 s19, s12
	v_mov_b64_e32 v[2:3], s[12:13]
	s_mov_b32 s24, s12
	s_mov_b32 s25, s12
	v_mov_b64_e32 v[8:9], s[18:19]
	s_mov_b32 s26, s12
	s_mov_b32 s27, s12
	v_mov_b64_e32 v[18:19], s[24:25]
	v_mov_b64_e32 v[4:5], s[14:15]
	;; [unrolled: 1-line block ×4, first 2 shown]
	s_mov_b64 s[22:23], 0
	v_mov_b64_e32 v[20:21], s[26:27]
	v_mov_b32_e32 v38, 0
	v_mov_b64_e32 v[14:15], v[6:7]
	v_mov_b64_e32 v[12:13], v[4:5]
	;; [unrolled: 1-line block ×3, first 2 shown]
	v_mov_b32_e32 v39, 0
                                        ; implicit-def: $sgpr24_sgpr25
                                        ; implicit-def: $vgpr40
	s_and_saveexec_b64 s[20:21], vcc
	s_cbranch_execz .LBB241_125
; %bb.82:
	ds_read_b128 v[34:37], v48 offset:2
	v_or_b32_e32 v2, 2, v41
	v_cmp_ne_u16_sdwa s[4:5], v30, v30 src0_sel:DWORD src1_sel:WORD_1
	v_cmp_gt_u32_e32 vcc, s3, v2
	v_mov_b32_e32 v19, 0
	v_cndmask_b32_e64 v3, 0, 1, s[4:5]
	s_waitcnt lgkmcnt(0)
	v_and_b32_e32 v2, 0xffff, v34
	v_lshl_or_b32 v18, v3, 16, v2
	v_mov_b64_e32 v[2:3], s[12:13]
	v_mov_b64_e32 v[8:9], s[18:19]
	;; [unrolled: 1-line block ×5, first 2 shown]
	v_mov_b32_e32 v20, v19
	v_mov_b32_e32 v21, v19
	s_mov_b64 s[4:5], 0
	v_mov_b64_e32 v[14:15], v[6:7]
	v_mov_b64_e32 v[12:13], v[4:5]
	;; [unrolled: 1-line block ×3, first 2 shown]
	v_mov_b32_e32 v38, v19
	v_mov_b32_e32 v39, v19
                                        ; implicit-def: $sgpr12_sgpr13
                                        ; implicit-def: $vgpr40
	s_and_saveexec_b64 s[22:23], vcc
	s_cbranch_execz .LBB241_124
; %bb.83:
	v_cmp_ne_u16_sdwa s[4:5], v30, v31 src0_sel:WORD_1 src1_sel:DWORD
	s_mov_b32 s12, 0
	v_or_b32_e32 v2, 3, v41
	v_cndmask_b32_e64 v3, 0, 1, s[4:5]
	s_mov_b32 s13, s12
	v_alignbit_b32 v19, v3, v34, 16
	v_cmp_gt_u32_e32 vcc, s3, v2
	s_mov_b32 s14, s12
	s_mov_b32 s15, s12
	;; [unrolled: 1-line block ×6, first 2 shown]
	v_mov_b64_e32 v[2:3], s[12:13]
	v_mov_b64_e32 v[8:9], s[18:19]
	v_mov_b32_e32 v20, 0
	v_mov_b64_e32 v[4:5], s[14:15]
	v_mov_b64_e32 v[6:7], s[16:17]
	;; [unrolled: 1-line block ×3, first 2 shown]
	v_mov_b32_e32 v21, v20
	s_mov_b64 s[4:5], 0
	v_mov_b64_e32 v[14:15], v[6:7]
	v_mov_b64_e32 v[12:13], v[4:5]
	;; [unrolled: 1-line block ×3, first 2 shown]
	v_mov_b32_e32 v38, v20
	v_mov_b32_e32 v39, v20
                                        ; implicit-def: $sgpr26_sgpr27
                                        ; implicit-def: $vgpr40
	s_and_saveexec_b64 s[24:25], vcc
	s_cbranch_execz .LBB241_123
; %bb.84:
	v_cmp_ne_u16_sdwa s[4:5], v31, v31 src0_sel:DWORD src1_sel:WORD_1
	v_and_b32_e32 v2, 0xffff, v35
	v_or_b32_e32 v3, 4, v41
	v_cndmask_b32_e64 v4, 0, 1, s[4:5]
	v_lshl_or_b32 v20, v4, 16, v2
	v_cmp_gt_u32_e32 vcc, s3, v3
	v_mov_b64_e32 v[2:3], s[12:13]
	v_mov_b64_e32 v[8:9], s[18:19]
	;; [unrolled: 1-line block ×5, first 2 shown]
	v_mov_b32_e32 v21, s12
	s_mov_b64 s[4:5], 0
	v_mov_b32_e32 v38, 0
	v_mov_b64_e32 v[14:15], v[6:7]
	v_mov_b64_e32 v[12:13], v[4:5]
	;; [unrolled: 1-line block ×3, first 2 shown]
	v_mov_b32_e32 v39, 0
                                        ; implicit-def: $sgpr12_sgpr13
                                        ; implicit-def: $vgpr40
	s_and_saveexec_b64 s[26:27], vcc
	s_cbranch_execz .LBB241_122
; %bb.85:
	v_cmp_ne_u16_sdwa s[4:5], v31, v32 src0_sel:WORD_1 src1_sel:DWORD
	s_mov_b32 s12, 0
	v_or_b32_e32 v2, 5, v41
	v_cndmask_b32_e64 v3, 0, 1, s[4:5]
	s_mov_b32 s13, s12
	v_alignbit_b32 v21, v3, v35, 16
	v_cmp_gt_u32_e32 vcc, s3, v2
	s_mov_b32 s14, s12
	s_mov_b32 s15, s12
	;; [unrolled: 1-line block ×6, first 2 shown]
	v_mov_b64_e32 v[2:3], s[12:13]
	v_mov_b64_e32 v[8:9], s[18:19]
	;; [unrolled: 1-line block ×5, first 2 shown]
	s_mov_b64 s[4:5], 0
	v_mov_b32_e32 v38, 0
	v_mov_b64_e32 v[14:15], v[6:7]
	v_mov_b64_e32 v[12:13], v[4:5]
	;; [unrolled: 1-line block ×3, first 2 shown]
	v_mov_b32_e32 v39, 0
                                        ; implicit-def: $sgpr30_sgpr31
                                        ; implicit-def: $vgpr40
	s_and_saveexec_b64 s[28:29], vcc
	s_cbranch_execz .LBB241_121
; %bb.86:
	v_cmp_ne_u16_sdwa s[4:5], v32, v32 src0_sel:DWORD src1_sel:WORD_1
	v_and_b32_e32 v2, 0xffff, v36
	v_or_b32_e32 v3, 6, v41
	v_cndmask_b32_e64 v4, 0, 1, s[4:5]
	v_lshl_or_b32 v38, v4, 16, v2
	v_cmp_gt_u32_e32 vcc, s3, v3
	v_mov_b64_e32 v[2:3], s[12:13]
	v_mov_b64_e32 v[8:9], s[18:19]
	;; [unrolled: 1-line block ×5, first 2 shown]
	s_mov_b64 s[4:5], 0
	v_mov_b32_e32 v39, 0
	v_mov_b64_e32 v[14:15], v[6:7]
	v_mov_b64_e32 v[12:13], v[4:5]
	v_mov_b64_e32 v[10:11], v[2:3]
                                        ; implicit-def: $sgpr12_sgpr13
                                        ; implicit-def: $vgpr40
	s_and_saveexec_b64 s[30:31], vcc
	s_cbranch_execz .LBB241_120
; %bb.87:
	s_mov_b32 s12, 0
	v_or_b32_e32 v3, 7, v41
	v_cmp_ne_u16_sdwa s[4:5], v32, v33 src0_sel:WORD_1 src1_sel:DWORD
	s_mov_b32 s13, s12
	v_cmp_gt_u32_e32 vcc, s3, v3
	v_cndmask_b32_e64 v2, 0, 1, s[4:5]
	v_mov_b32_e32 v3, 0
	s_mov_b32 s14, s12
	s_mov_b32 s15, s12
	;; [unrolled: 1-line block ×6, first 2 shown]
	v_mov_b64_e32 v[10:11], s[12:13]
	v_alignbit_b32 v2, v2, v36, 16
	v_mov_b32_e32 v4, v3
	v_mov_b32_e32 v5, v3
	;; [unrolled: 1-line block ×6, first 2 shown]
	s_mov_b64 s[4:5], 0
	v_mov_b64_e32 v[12:13], s[14:15]
	v_mov_b64_e32 v[14:15], s[16:17]
	;; [unrolled: 1-line block ×3, first 2 shown]
	v_mov_b32_e32 v39, v3
                                        ; implicit-def: $sgpr36_sgpr37
                                        ; implicit-def: $vgpr40
	s_and_saveexec_b64 s[34:35], vcc
	s_cbranch_execz .LBB241_119
; %bb.88:
	v_add_u32_e32 v4, 8, v41
	v_cmp_ne_u16_sdwa s[4:5], v33, v33 src0_sel:DWORD src1_sel:WORD_1
	v_and_b32_e32 v3, 0xffff, v37
	v_cmp_gt_u32_e32 vcc, s3, v4
	v_cndmask_b32_e64 v5, 0, 1, s[4:5]
	v_mov_b32_e32 v4, 0
	v_mov_b64_e32 v[10:11], s[12:13]
	v_lshl_or_b32 v3, v5, 16, v3
	v_mov_b32_e32 v5, v4
	v_mov_b32_e32 v6, v4
	;; [unrolled: 1-line block ×5, first 2 shown]
	s_mov_b64 s[4:5], 0
	v_mov_b64_e32 v[12:13], s[14:15]
	v_mov_b64_e32 v[14:15], s[16:17]
	;; [unrolled: 1-line block ×3, first 2 shown]
	v_mov_b32_e32 v39, v4
                                        ; implicit-def: $sgpr12_sgpr13
                                        ; implicit-def: $vgpr40
	s_and_saveexec_b64 s[36:37], vcc
	s_cbranch_execz .LBB241_118
; %bb.89:
	s_mov_b32 s12, 0
	v_add_u32_e32 v5, 9, v41
	v_cmp_ne_u16_sdwa s[4:5], v33, v26 src0_sel:WORD_1 src1_sel:DWORD
	s_mov_b32 s13, s12
	v_cmp_gt_u32_e32 vcc, s3, v5
	v_cndmask_b32_e64 v4, 0, 1, s[4:5]
	v_mov_b32_e32 v5, 0
	s_mov_b32 s14, s12
	s_mov_b32 s15, s12
	;; [unrolled: 1-line block ×6, first 2 shown]
	v_mov_b64_e32 v[10:11], s[12:13]
	v_alignbit_b32 v4, v4, v37, 16
	v_mov_b32_e32 v6, v5
	v_mov_b32_e32 v7, v5
	;; [unrolled: 1-line block ×4, first 2 shown]
	s_mov_b64 s[4:5], 0
	v_mov_b64_e32 v[12:13], s[14:15]
	v_mov_b64_e32 v[14:15], s[16:17]
	;; [unrolled: 1-line block ×3, first 2 shown]
	v_mov_b32_e32 v39, v5
                                        ; implicit-def: $sgpr40_sgpr41
                                        ; implicit-def: $vgpr40
	s_and_saveexec_b64 s[38:39], vcc
	s_cbranch_execz .LBB241_117
; %bb.90:
	ds_read_b128 v[30:33], v48 offset:18
	v_add_u32_e32 v5, 10, v41
	v_cmp_ne_u16_sdwa s[4:5], v26, v26 src0_sel:DWORD src1_sel:WORD_1
	v_cmp_gt_u32_e32 vcc, s3, v5
	v_mov_b64_e32 v[10:11], s[12:13]
	v_cndmask_b32_e64 v6, 0, 1, s[4:5]
	s_waitcnt lgkmcnt(0)
	v_and_b32_e32 v5, 0xffff, v30
	v_lshl_or_b32 v5, v6, 16, v5
	v_mov_b32_e32 v6, 0
	v_mov_b32_e32 v7, v6
	;; [unrolled: 1-line block ×4, first 2 shown]
	s_mov_b64 s[4:5], 0
	v_mov_b64_e32 v[12:13], s[14:15]
	v_mov_b64_e32 v[14:15], s[16:17]
	;; [unrolled: 1-line block ×3, first 2 shown]
	v_mov_b32_e32 v39, v6
                                        ; implicit-def: $sgpr12_sgpr13
                                        ; implicit-def: $vgpr40
	s_and_saveexec_b64 s[40:41], vcc
	s_cbranch_execz .LBB241_116
; %bb.91:
	s_mov_b32 s12, 0
	v_add_u32_e32 v7, 11, v41
	v_cmp_ne_u16_sdwa s[4:5], v26, v27 src0_sel:WORD_1 src1_sel:DWORD
	s_mov_b32 s13, s12
	v_cmp_gt_u32_e32 vcc, s3, v7
	v_cndmask_b32_e64 v6, 0, 1, s[4:5]
	v_mov_b32_e32 v7, 0
	s_mov_b32 s14, s12
	s_mov_b32 s15, s12
	;; [unrolled: 1-line block ×6, first 2 shown]
	v_mov_b64_e32 v[10:11], s[12:13]
	v_alignbit_b32 v6, v6, v30, 16
	v_mov_b32_e32 v8, v7
	v_mov_b32_e32 v9, v7
	s_mov_b64 s[4:5], 0
	v_mov_b64_e32 v[12:13], s[14:15]
	v_mov_b64_e32 v[14:15], s[16:17]
	;; [unrolled: 1-line block ×3, first 2 shown]
	v_mov_b32_e32 v39, v7
                                        ; implicit-def: $sgpr44_sgpr45
                                        ; implicit-def: $vgpr40
	s_and_saveexec_b64 s[42:43], vcc
	s_cbranch_execz .LBB241_115
; %bb.92:
	v_add_u32_e32 v8, 12, v41
	v_cmp_ne_u16_sdwa s[4:5], v27, v27 src0_sel:DWORD src1_sel:WORD_1
	v_and_b32_e32 v7, 0xffff, v31
	v_cmp_gt_u32_e32 vcc, s3, v8
	v_cndmask_b32_e64 v9, 0, 1, s[4:5]
	v_mov_b32_e32 v8, 0
	v_mov_b64_e32 v[10:11], s[12:13]
	v_lshl_or_b32 v7, v9, 16, v7
	v_mov_b32_e32 v9, v8
	s_mov_b64 s[4:5], 0
	v_mov_b64_e32 v[12:13], s[14:15]
	v_mov_b64_e32 v[14:15], s[16:17]
	;; [unrolled: 1-line block ×3, first 2 shown]
	v_mov_b32_e32 v39, v8
                                        ; implicit-def: $sgpr12_sgpr13
                                        ; implicit-def: $vgpr40
	s_and_saveexec_b64 s[44:45], vcc
	s_cbranch_execz .LBB241_114
; %bb.93:
	s_mov_b32 s12, 0
	v_cmp_ne_u16_sdwa s[4:5], v27, v28 src0_sel:WORD_1 src1_sel:DWORD
	s_mov_b32 s13, s12
	v_add_u32_e32 v9, 13, v41
	v_cndmask_b32_e64 v8, 0, 1, s[4:5]
	s_mov_b32 s14, s12
	s_mov_b32 s15, s12
	;; [unrolled: 1-line block ×6, first 2 shown]
	v_mov_b64_e32 v[10:11], s[12:13]
	v_alignbit_b32 v8, v8, v31, 16
	v_cmp_gt_u32_e32 vcc, s3, v9
	v_mov_b32_e32 v9, s12
	s_mov_b64 s[4:5], 0
	v_mov_b64_e32 v[12:13], s[14:15]
	v_mov_b64_e32 v[14:15], s[16:17]
	;; [unrolled: 1-line block ×3, first 2 shown]
	v_mov_b32_e32 v39, 0
                                        ; implicit-def: $sgpr48_sgpr49
                                        ; implicit-def: $vgpr40
	s_and_saveexec_b64 s[46:47], vcc
	s_cbranch_execz .LBB241_113
; %bb.94:
	v_cmp_ne_u16_sdwa s[4:5], v28, v28 src0_sel:DWORD src1_sel:WORD_1
	v_and_b32_e32 v9, 0xffff, v32
	v_add_u32_e32 v10, 14, v41
	v_cndmask_b32_e64 v11, 0, 1, s[4:5]
	v_lshl_or_b32 v9, v11, 16, v9
	v_cmp_gt_u32_e32 vcc, s3, v10
	v_mov_b64_e32 v[10:11], s[12:13]
	s_mov_b64 s[4:5], 0
	v_mov_b64_e32 v[12:13], s[14:15]
	v_mov_b64_e32 v[14:15], s[16:17]
	;; [unrolled: 1-line block ×3, first 2 shown]
	v_mov_b32_e32 v39, 0
                                        ; implicit-def: $sgpr14_sgpr15
                                        ; implicit-def: $vgpr40
	s_and_saveexec_b64 s[12:13], vcc
	s_cbranch_execz .LBB241_112
; %bb.95:
	v_cmp_ne_u16_sdwa s[4:5], v28, v29 src0_sel:WORD_1 src1_sel:DWORD
	s_mov_b32 s80, 0
	v_add_u32_e32 v10, 15, v41
	v_cndmask_b32_e64 v11, 0, 1, s[4:5]
	s_mov_b32 s81, s80
	v_alignbit_b32 v39, v11, v32, 16
	v_cmp_gt_u32_e32 vcc, s3, v10
	s_mov_b32 s82, s80
	s_mov_b32 s83, s80
	s_mov_b32 s84, s80
	s_mov_b32 s85, s80
	s_mov_b32 s86, s80
	s_mov_b32 s87, s80
	v_mov_b64_e32 v[10:11], s[80:81]
	s_mov_b64 s[4:5], 0
	v_mov_b64_e32 v[12:13], s[82:83]
	v_mov_b64_e32 v[14:15], s[84:85]
	;; [unrolled: 1-line block ×3, first 2 shown]
                                        ; implicit-def: $sgpr16_sgpr17
                                        ; implicit-def: $vgpr40
	s_and_saveexec_b64 s[14:15], vcc
	s_cbranch_execz .LBB241_111
; %bb.96:
	v_cmp_ne_u16_sdwa s[4:5], v29, v29 src0_sel:DWORD src1_sel:WORD_1
	v_and_b32_e32 v10, 0xffff, v33
	v_add_u32_e32 v11, 16, v41
	v_cndmask_b32_e64 v12, 0, 1, s[4:5]
	v_lshl_or_b32 v10, v12, 16, v10
	v_mov_b32_e32 v12, 0
	v_cmp_gt_u32_e32 vcc, s3, v11
	v_mov_b32_e32 v11, v12
	v_mov_b32_e32 v13, v12
	;; [unrolled: 1-line block ×6, first 2 shown]
	s_mov_b64 s[4:5], 0
                                        ; implicit-def: $sgpr18_sgpr19
                                        ; implicit-def: $vgpr40
	s_and_saveexec_b64 s[16:17], vcc
	s_cbranch_execz .LBB241_110
; %bb.97:
	v_cmp_ne_u16_sdwa s[4:5], v29, v22 src0_sel:WORD_1 src1_sel:DWORD
	v_add_u32_e32 v13, 17, v41
	v_cmp_gt_u32_e32 vcc, s3, v13
	v_cndmask_b32_e64 v11, 0, 1, s[4:5]
	v_alignbit_b32 v11, v11, v33, 16
	v_mov_b32_e32 v13, v12
	v_mov_b32_e32 v14, v12
	;; [unrolled: 1-line block ×5, first 2 shown]
	s_mov_b64 s[4:5], 0
                                        ; implicit-def: $sgpr48_sgpr49
                                        ; implicit-def: $vgpr40
	s_and_saveexec_b64 s[18:19], vcc
	s_cbranch_execz .LBB241_109
; %bb.98:
	ds_read_b96 v[26:28], v48 offset:34
	v_add_u32_e32 v12, 18, v41
	v_cmp_ne_u16_sdwa s[4:5], v22, v22 src0_sel:DWORD src1_sel:WORD_1
	v_cmp_gt_u32_e32 vcc, s3, v12
	v_mov_b32_e32 v14, 0
	v_cndmask_b32_e64 v13, 0, 1, s[4:5]
	s_waitcnt lgkmcnt(0)
	v_and_b32_e32 v12, 0xffff, v26
	v_lshl_or_b32 v12, v13, 16, v12
	v_mov_b32_e32 v13, v14
	v_mov_b32_e32 v15, v14
	;; [unrolled: 1-line block ×4, first 2 shown]
	s_mov_b64 s[4:5], 0
                                        ; implicit-def: $sgpr50_sgpr51
                                        ; implicit-def: $vgpr40
	s_and_saveexec_b64 s[48:49], vcc
	s_cbranch_execz .LBB241_108
; %bb.99:
	v_cmp_ne_u16_sdwa s[4:5], v22, v23 src0_sel:WORD_1 src1_sel:DWORD
	v_add_u32_e32 v15, 19, v41
	v_cmp_gt_u32_e32 vcc, s3, v15
	v_cndmask_b32_e64 v13, 0, 1, s[4:5]
	v_alignbit_b32 v13, v13, v26, 16
	v_mov_b32_e32 v15, v14
	v_mov_b32_e32 v16, v14
	;; [unrolled: 1-line block ×3, first 2 shown]
	s_mov_b64 s[4:5], 0
                                        ; implicit-def: $sgpr52_sgpr53
                                        ; implicit-def: $vgpr40
	s_and_saveexec_b64 s[50:51], vcc
	s_cbranch_execz .LBB241_107
; %bb.100:
	v_cmp_ne_u16_sdwa s[4:5], v23, v23 src0_sel:DWORD src1_sel:WORD_1
	v_and_b32_e32 v14, 0xffff, v27
	v_add_u32_e32 v15, 20, v41
	v_cndmask_b32_e64 v16, 0, 1, s[4:5]
	v_lshl_or_b32 v14, v16, 16, v14
	v_mov_b32_e32 v16, 0
	v_cmp_gt_u32_e32 vcc, s3, v15
	v_mov_b32_e32 v15, v16
	v_mov_b32_e32 v17, v16
	s_mov_b64 s[4:5], 0
                                        ; implicit-def: $sgpr60_sgpr61
                                        ; implicit-def: $vgpr40
	s_and_saveexec_b64 s[52:53], vcc
	s_cbranch_execz .LBB241_106
; %bb.101:
	v_cmp_ne_u16_sdwa s[4:5], v23, v24 src0_sel:WORD_1 src1_sel:DWORD
	v_add_u32_e32 v17, 21, v41
	v_cmp_gt_u32_e32 vcc, s3, v17
	v_cndmask_b32_e64 v15, 0, 1, s[4:5]
	v_alignbit_b32 v15, v15, v27, 16
	s_mov_b32 s9, 0
	v_mov_b32_e32 v17, v16
	s_mov_b64 s[4:5], 0
                                        ; implicit-def: $sgpr80_sgpr81
                                        ; implicit-def: $vgpr40
	s_and_saveexec_b64 s[60:61], vcc
	s_cbranch_execz .LBB241_105
; %bb.102:
	v_cmp_ne_u16_sdwa s[4:5], v24, v24 src0_sel:DWORD src1_sel:WORD_1
	v_and_b32_e32 v16, 0xffff, v28
	v_add_u32_e32 v17, 22, v41
	v_cndmask_b32_e64 v22, 0, 1, s[4:5]
	v_lshl_or_b32 v16, v22, 16, v16
	v_cmp_gt_u32_e32 vcc, s3, v17
	v_mov_b32_e32 v17, s9
	s_mov_b64 s[4:5], 0
                                        ; implicit-def: $sgpr80_sgpr81
                                        ; implicit-def: $vgpr40
	s_and_saveexec_b64 s[82:83], vcc
	s_xor_b64 s[82:83], exec, s[82:83]
	s_cbranch_execz .LBB241_104
; %bb.103:
	ds_read_u16 v40, v48 offset:46
	v_add_u32_e32 v22, 23, v41
	v_cmp_ne_u16_sdwa s[4:5], v24, v25 src0_sel:WORD_1 src1_sel:DWORD
	v_cmp_ne_u16_e32 vcc, v25, v49
	s_and_b64 s[80:81], vcc, exec
	v_cndmask_b32_e64 v17, 0, 1, s[4:5]
	v_cmp_gt_u32_e64 s[4:5], s3, v22
	v_alignbit_b32 v17, v17, v28, 16
	s_and_b64 s[4:5], s[4:5], exec
.LBB241_104:
	s_or_b64 exec, exec, s[82:83]
	s_and_b64 s[80:81], s[80:81], exec
	s_and_b64 s[4:5], s[4:5], exec
.LBB241_105:
	s_or_b64 exec, exec, s[60:61]
	s_and_b64 s[60:61], s[80:81], exec
	s_and_b64 s[4:5], s[4:5], exec
.LBB241_106:
	s_or_b64 exec, exec, s[52:53]
	s_and_b64 s[52:53], s[60:61], exec
	s_and_b64 s[4:5], s[4:5], exec
.LBB241_107:
	s_or_b64 exec, exec, s[50:51]
	s_and_b64 s[50:51], s[52:53], exec
	s_and_b64 s[4:5], s[4:5], exec
.LBB241_108:
	s_or_b64 exec, exec, s[48:49]
	s_and_b64 s[48:49], s[50:51], exec
	s_and_b64 s[4:5], s[4:5], exec
.LBB241_109:
	s_or_b64 exec, exec, s[18:19]
	s_and_b64 s[18:19], s[48:49], exec
	s_and_b64 s[4:5], s[4:5], exec
.LBB241_110:
	s_or_b64 exec, exec, s[16:17]
	s_and_b64 s[16:17], s[18:19], exec
	s_and_b64 s[4:5], s[4:5], exec
.LBB241_111:
	s_or_b64 exec, exec, s[14:15]
	s_and_b64 s[14:15], s[16:17], exec
	s_and_b64 s[4:5], s[4:5], exec
.LBB241_112:
	s_or_b64 exec, exec, s[12:13]
	s_and_b64 s[48:49], s[14:15], exec
	s_and_b64 s[4:5], s[4:5], exec
.LBB241_113:
	s_or_b64 exec, exec, s[46:47]
	s_and_b64 s[12:13], s[48:49], exec
	s_and_b64 s[4:5], s[4:5], exec
.LBB241_114:
	s_or_b64 exec, exec, s[44:45]
	s_and_b64 s[44:45], s[12:13], exec
	s_and_b64 s[4:5], s[4:5], exec
.LBB241_115:
	s_or_b64 exec, exec, s[42:43]
	s_and_b64 s[12:13], s[44:45], exec
	s_and_b64 s[4:5], s[4:5], exec
.LBB241_116:
	s_or_b64 exec, exec, s[40:41]
	s_and_b64 s[40:41], s[12:13], exec
	s_and_b64 s[4:5], s[4:5], exec
.LBB241_117:
	s_or_b64 exec, exec, s[38:39]
	s_and_b64 s[12:13], s[40:41], exec
	s_and_b64 s[4:5], s[4:5], exec
.LBB241_118:
	s_or_b64 exec, exec, s[36:37]
	s_and_b64 s[36:37], s[12:13], exec
	s_and_b64 s[4:5], s[4:5], exec
.LBB241_119:
	s_or_b64 exec, exec, s[34:35]
	s_and_b64 s[12:13], s[36:37], exec
	s_and_b64 s[4:5], s[4:5], exec
.LBB241_120:
	s_or_b64 exec, exec, s[30:31]
	s_and_b64 s[30:31], s[12:13], exec
	s_and_b64 s[4:5], s[4:5], exec
.LBB241_121:
	s_or_b64 exec, exec, s[28:29]
	s_and_b64 s[12:13], s[30:31], exec
	s_and_b64 s[4:5], s[4:5], exec
.LBB241_122:
	s_or_b64 exec, exec, s[26:27]
	s_and_b64 s[26:27], s[12:13], exec
	s_and_b64 s[4:5], s[4:5], exec
.LBB241_123:
	s_or_b64 exec, exec, s[24:25]
	s_and_b64 s[12:13], s[26:27], exec
	s_and_b64 s[4:5], s[4:5], exec
.LBB241_124:
	s_or_b64 exec, exec, s[22:23]
	s_and_b64 s[24:25], s[12:13], exec
	s_and_b64 s[22:23], s[4:5], exec
.LBB241_125:
	s_or_b64 exec, exec, s[20:21]
	s_and_b64 s[4:5], s[24:25], exec
	s_and_b64 s[12:13], s[22:23], exec
.LBB241_126:
	s_or_b64 exec, exec, s[10:11]
	s_and_b64 vcc, exec, s[6:7]
	v_lshlrev_b32_e32 v22, 1, v0
	s_cbranch_vccnz .LBB241_128
	s_branch .LBB241_136
.LBB241_127:
                                        ; implicit-def: $sgpr4_sgpr5
                                        ; implicit-def: $vgpr18_vgpr19_vgpr20_vgpr21
                                        ; implicit-def: $vgpr2_vgpr3_vgpr4_vgpr5_vgpr6_vgpr7_vgpr8_vgpr9
                                        ; implicit-def: $vgpr10_vgpr11_vgpr12_vgpr13_vgpr14_vgpr15_vgpr16_vgpr17
                                        ; implicit-def: $vgpr40
                                        ; implicit-def: $vgpr1
                                        ; implicit-def: $vgpr38
                                        ; implicit-def: $vgpr39
                                        ; implicit-def: $sgpr8
	s_and_b64 vcc, exec, s[6:7]
	v_lshlrev_b32_e32 v22, 1, v0
	s_cbranch_vccz .LBB241_136
.LBB241_128:
	v_mov_b32_e32 v23, 0
	v_lshl_add_u64 v[2:3], s[56:57], 0, v[22:23]
	v_add_co_u32_e32 v4, vcc, 0x1000, v2
	flat_load_ushort v1, v[2:3]
	flat_load_ushort v6, v[2:3] offset:512
	flat_load_ushort v7, v[2:3] offset:1024
	;; [unrolled: 1-line block ×7, first 2 shown]
	v_addc_co_u32_e32 v5, vcc, 0, v3, vcc
	v_add_co_u32_e32 v2, vcc, 0x2000, v2
	flat_load_ushort v13, v[4:5]
	flat_load_ushort v14, v[4:5] offset:512
	flat_load_ushort v15, v[4:5] offset:1024
	;; [unrolled: 1-line block ×7, first 2 shown]
	v_addc_co_u32_e32 v3, vcc, 0, v3, vcc
	flat_load_ushort v5, v[2:3]
	flat_load_ushort v21, v[2:3] offset:512
	flat_load_ushort v23, v[2:3] offset:1024
	;; [unrolled: 1-line block ×7, first 2 shown]
	v_mad_u32_u24 v4, v0, 46, v22
	s_cmp_eq_u64 s[78:79], 0
	s_waitcnt vmcnt(0) lgkmcnt(0)
	ds_write_b16 v22, v1
	ds_write_b16 v22, v6 offset:512
	ds_write_b16 v22, v7 offset:1024
	;; [unrolled: 1-line block ×23, first 2 shown]
	s_waitcnt lgkmcnt(0)
	s_barrier
	ds_read_b64 v[2:3], v4
	ds_read_u16 v5, v4 offset:8
	ds_read_b128 v[10:13], v4 offset:10
	ds_read_u16 v14, v4 offset:26
	ds_read_b32 v15, v4 offset:44
	ds_read2_b32 v[26:27], v4 offset0:9 offset1:10
	ds_read2_b32 v[24:25], v4 offset0:7 offset1:8
	s_cbranch_scc1 .LBB241_133
; %bb.129:
	s_andn2_b64 vcc, exec, s[76:77]
	s_cbranch_vccnz .LBB241_314
; %bb.130:
	s_lshl_b64 s[4:5], s[78:79], 1
	s_add_u32 s3, s66, s4
	s_addc_u32 s5, s67, s5
	s_add_u32 s4, s3, -2
	s_addc_u32 s5, s5, -1
	s_cbranch_execnz .LBB241_132
.LBB241_131:
	s_add_u32 s4, s56, -2
	s_addc_u32 s5, s57, -1
.LBB241_132:
	s_mov_b64 s[56:57], s[4:5]
.LBB241_133:
	v_mov_b64_e32 v[6:7], s[56:57]
	flat_load_ushort v6, v[6:7]
	s_movk_i32 s3, 0xffd2
	s_waitcnt lgkmcnt(0)
	v_lshrrev_b32_e32 v1, 16, v15
	v_mad_i32_i24 v7, v0, s3, v4
	v_cmp_ne_u32_e32 vcc, 0, v0
	ds_write_b16 v7, v1 offset:12288
	s_waitcnt lgkmcnt(0)
	s_barrier
	s_and_saveexec_b64 s[4:5], vcc
	s_cbranch_execz .LBB241_135
; %bb.134:
	s_waitcnt vmcnt(0)
	v_mul_i32_i24_e32 v6, 0xffffffd2, v0
	v_add_u32_e32 v6, v4, v6
	ds_read_u16 v6, v6 offset:12286
.LBB241_135:
	s_or_b64 exec, exec, s[4:5]
	v_mov_b32_e32 v23, 0
	v_lshl_add_u64 v[8:9], s[54:55], 0, v[22:23]
	s_movk_i32 s3, 0x1000
	v_add_co_u32_e32 v16, vcc, s3, v8
	s_movk_i32 s3, 0x2000
	s_nop 0
	v_addc_co_u32_e32 v17, vcc, 0, v9, vcc
	s_waitcnt lgkmcnt(0)
	s_barrier
	flat_load_ushort v7, v[8:9]
	flat_load_ushort v18, v[8:9] offset:512
	flat_load_ushort v19, v[8:9] offset:1024
	;; [unrolled: 1-line block ×7, first 2 shown]
	v_add_co_u32_e32 v8, vcc, s3, v8
	flat_load_ushort v30, v[16:17]
	flat_load_ushort v31, v[16:17] offset:512
	flat_load_ushort v32, v[16:17] offset:1024
	;; [unrolled: 1-line block ×7, first 2 shown]
	v_addc_co_u32_e32 v9, vcc, 0, v9, vcc
	flat_load_ushort v16, v[8:9]
	flat_load_ushort v17, v[8:9] offset:512
	flat_load_ushort v38, v[8:9] offset:1024
	;; [unrolled: 1-line block ×7, first 2 shown]
	s_waitcnt vmcnt(0)
	v_cmp_ne_u16_e32 vcc, v6, v2
	v_cmp_ne_u16_sdwa s[6:7], v3, v5 src0_sel:WORD_1 src1_sel:DWORD
	v_cmp_ne_u16_e64 s[4:5], v15, v1
	v_cndmask_b32_e64 v1, 0, 1, vcc
	v_cndmask_b32_e64 v9, 0, 1, s[6:7]
	v_cmp_ne_u16_sdwa s[6:7], v2, v3 src0_sel:WORD_1 src1_sel:DWORD
	v_cmp_ne_u16_e32 vcc, v5, v10
	s_mov_b64 s[12:13], -1
	v_cndmask_b32_e64 v44, 0, 1, s[6:7]
	v_cmp_ne_u16_sdwa s[6:7], v3, v3 src0_sel:DWORD src1_sel:WORD_1
                                        ; implicit-def: $sgpr8
	s_waitcnt lgkmcnt(0)
	ds_write_b16 v22, v7
	ds_write_b16 v22, v18 offset:512
	ds_write_b16 v22, v19 offset:1024
	;; [unrolled: 1-line block ×23, first 2 shown]
	s_waitcnt lgkmcnt(0)
	s_barrier
	ds_read_b96 v[6:8], v4
	ds_read_b128 v[28:31], v4 offset:30
	ds_read_u16 v40, v4 offset:46
	ds_read2_b32 v[16:17], v4 offset0:3 offset1:4
	v_cndmask_b32_e64 v3, 0, 1, s[6:7]
	v_cmp_ne_u16_sdwa s[6:7], v2, v2 src0_sel:DWORD src1_sel:WORD_1
	s_waitcnt lgkmcnt(3)
	v_and_b32_e32 v19, 0xffff, v6
	v_and_b32_e32 v23, 0xffff, v7
	v_lshl_or_b32 v1, v1, 16, v19
	v_lshl_or_b32 v19, v44, 16, v23
	ds_read_u16 v23, v4 offset:28
	ds_read2_b32 v[32:33], v4 offset0:5 offset1:6
	v_cndmask_b32_e64 v2, 0, 1, s[6:7]
	v_cmp_ne_u16_sdwa s[6:7], v13, v13 src0_sel:DWORD src1_sel:WORD_1
	v_alignbit_b32 v18, v2, v6, 16
	v_cndmask_b32_e64 v2, 0, 1, vcc
	s_waitcnt lgkmcnt(0)
	v_and_b32_e32 v5, 0xffff, v33
	v_cndmask_b32_e64 v6, 0, 1, s[6:7]
	v_cmp_ne_u16_sdwa s[6:7], v12, v12 src0_sel:DWORD src1_sel:WORD_1
	v_and_b32_e32 v21, 0xffff, v8
	v_alignbit_b32 v38, v2, v8, 16
	v_and_b32_e32 v4, 0xffff, v32
	v_lshl_or_b32 v8, v6, 16, v5
	v_cndmask_b32_e64 v5, 0, 1, s[6:7]
	v_cmp_ne_u16_sdwa s[6:7], v11, v11 src0_sel:DWORD src1_sel:WORD_1
	v_alignbit_b32 v20, v3, v7, 16
	v_and_b32_e32 v3, 0xffff, v17
	v_lshl_or_b32 v6, v5, 16, v4
	v_cndmask_b32_e64 v4, 0, 1, s[6:7]
	v_cmp_ne_u16_sdwa s[6:7], v10, v10 src0_sel:DWORD src1_sel:WORD_1
	v_and_b32_e32 v2, 0xffff, v16
	v_lshl_or_b32 v4, v4, 16, v3
	v_cndmask_b32_e64 v3, 0, 1, s[6:7]
	v_cmp_ne_u16_sdwa s[6:7], v13, v14 src0_sel:WORD_1 src1_sel:DWORD
	v_lshl_or_b32 v2, v3, 16, v2
	v_lshl_or_b32 v21, v9, 16, v21
	v_cndmask_b32_e64 v3, 0, 1, s[6:7]
	v_cmp_ne_u16_sdwa s[6:7], v12, v13 src0_sel:WORD_1 src1_sel:DWORD
	v_alignbit_b32 v9, v3, v33, 16
	v_cmp_ne_u16_e32 vcc, v14, v24
	v_cndmask_b32_e64 v3, 0, 1, s[6:7]
	v_cmp_ne_u16_sdwa s[6:7], v11, v12 src0_sel:WORD_1 src1_sel:DWORD
	v_alignbit_b32 v7, v3, v32, 16
	v_and_b32_e32 v13, 0xffff, v31
	v_cndmask_b32_e64 v3, 0, 1, s[6:7]
	v_cmp_ne_u16_sdwa s[6:7], v10, v11 src0_sel:WORD_1 src1_sel:DWORD
	v_alignbit_b32 v5, v3, v17, 16
	v_and_b32_e32 v12, 0xffff, v30
	v_cndmask_b32_e64 v3, 0, 1, s[6:7]
	v_cmp_ne_u16_sdwa s[6:7], v27, v27 src0_sel:DWORD src1_sel:WORD_1
	v_alignbit_b32 v3, v3, v16, 16
	v_cndmask_b32_e64 v10, 0, 1, vcc
	v_cndmask_b32_e64 v14, 0, 1, s[6:7]
	v_cmp_ne_u16_sdwa s[6:7], v26, v26 src0_sel:DWORD src1_sel:WORD_1
	v_lshl_or_b32 v16, v14, 16, v13
	v_and_b32_e32 v11, 0xffff, v29
	v_cndmask_b32_e64 v13, 0, 1, s[6:7]
	v_cmp_ne_u16_sdwa s[6:7], v25, v25 src0_sel:DWORD src1_sel:WORD_1
	v_lshl_or_b32 v14, v13, 16, v12
	v_lshl_or_b32 v39, v10, 16, v23
	v_cndmask_b32_e64 v12, 0, 1, s[6:7]
	v_cmp_ne_u16_sdwa s[6:7], v24, v24 src0_sel:DWORD src1_sel:WORD_1
	v_and_b32_e32 v10, 0xffff, v28
	v_lshl_or_b32 v12, v12, 16, v11
	v_cndmask_b32_e64 v11, 0, 1, s[6:7]
	v_cmp_ne_u16_sdwa s[6:7], v27, v15 src0_sel:WORD_1 src1_sel:DWORD
	v_lshl_or_b32 v10, v11, 16, v10
	s_nop 0
	v_cndmask_b32_e64 v11, 0, 1, s[6:7]
	v_cmp_ne_u16_sdwa s[6:7], v26, v27 src0_sel:WORD_1 src1_sel:DWORD
	v_alignbit_b32 v17, v11, v31, 16
	s_nop 0
	v_cndmask_b32_e64 v11, 0, 1, s[6:7]
	v_cmp_ne_u16_sdwa s[6:7], v25, v26 src0_sel:WORD_1 src1_sel:DWORD
	v_alignbit_b32 v15, v11, v30, 16
	;; [unrolled: 4-line block ×3, first 2 shown]
	s_nop 0
	v_cndmask_b32_e64 v11, 0, 1, s[6:7]
	v_alignbit_b32 v11, v11, v28, 16
.LBB241_136:
	v_mov_b32_e32 v23, s8
	s_and_saveexec_b64 s[6:7], s[12:13]
	s_cbranch_execz .LBB241_138
; %bb.137:
	v_mov_b32_e32 v23, 0x10000
	v_cndmask_b32_e64 v23, 0, v23, s[4:5]
	s_waitcnt lgkmcnt(0)
	v_or_b32_sdwa v23, v23, v40 dst_sel:DWORD dst_unused:UNUSED_PAD src0_sel:DWORD src1_sel:WORD_0
.LBB241_138:
	s_or_b64 exec, exec, s[6:7]
	s_cmp_lg_u32 s2, 0
	v_mbcnt_lo_u32_b32 v34, -1, 0
	s_waitcnt lgkmcnt(0)
	s_barrier
	s_cbranch_scc0 .LBB241_205
; %bb.139:
	s_mov_b32 s3, 0x10000
	v_cmp_gt_u32_e64 s[52:53], s3, v18
	v_cmp_gt_u32_e64 s[4:5], s3, v19
	v_cmp_gt_u32_e64 s[6:7], s3, v20
	v_cndmask_b32_e64 v24, 0, v1, s[52:53]
	v_add_u16_e32 v24, v24, v18
	v_cndmask_b32_e64 v24, 0, v24, s[4:5]
	v_add_u16_e32 v24, v24, v19
	v_cndmask_b32_e64 v24, 0, v24, s[6:7]
	v_add_u16_e32 v24, v24, v20
	v_cmp_gt_u32_e64 s[8:9], s3, v21
	v_cmp_gt_u32_e64 s[10:11], s3, v38
	v_cmp_gt_u32_e64 s[12:13], s3, v2
	v_cndmask_b32_e64 v24, 0, v24, s[8:9]
	v_add_u16_e32 v24, v24, v21
	v_cndmask_b32_e64 v24, 0, v24, s[10:11]
	v_add_u16_e32 v24, v24, v38
	v_cndmask_b32_e64 v24, 0, v24, s[12:13]
	v_add_u16_e32 v24, v24, v2
	;; [unrolled: 9-line block ×5, first 2 shown]
	v_cmp_gt_u32_e64 s[34:35], s3, v11
	v_cmp_gt_u32_e64 s[36:37], s3, v12
	v_or3_b32 v25, v23, v17, v16
	v_cndmask_b32_e64 v24, 0, v24, s[34:35]
	v_add_u16_e32 v24, v24, v11
	v_cndmask_b32_e64 v24, 0, v24, s[36:37]
	v_add_u16_e32 v24, v24, v12
	v_cmp_gt_u32_e64 s[38:39], s3, v13
	v_or3_b32 v25, v25, v15, v14
	v_or3_b32 v25, v25, v13, v12
	v_cndmask_b32_e64 v24, 0, v24, s[38:39]
	v_add_u16_e32 v24, v24, v13
	v_cmp_gt_u32_e64 s[40:41], s3, v14
	v_or3_b32 v25, v25, v11, v10
	v_or3_b32 v25, v25, v39, v9
	;; [unrolled: 5-line block ×5, first 2 shown]
	v_cndmask_b32_e64 v24, 0, v24, s[46:47]
	v_add_u16_e32 v24, v24, v17
	v_cmp_gt_u32_e64 s[48:49], s3, v23
	v_and_b32_e32 v25, 0x10000, v25
	v_lshrrev_b32_e32 v35, 16, v1
	v_cndmask_b32_e64 v26, 0, v24, s[48:49]
	v_cmp_ne_u32_e32 vcc, 0, v25
	v_add_u16_e32 v24, v26, v23
	v_mbcnt_hi_u32_b32 v27, -1, v34
	v_cndmask_b32_e64 v25, v35, 1, vcc
	v_add_u16_e32 v26, v26, v23
	v_and_b32_e32 v29, 15, v27
	v_lshl_or_b32 v26, v25, 16, v26
	v_cmp_ne_u32_e32 vcc, 0, v29
	s_nop 0
	v_mov_b32_dpp v28, v26 row_shr:1 row_mask:0xf bank_mask:0xf
	s_and_saveexec_b64 s[50:51], vcc
	s_cbranch_execz .LBB241_141
; %bb.140:
	v_cmp_eq_u32_e32 vcc, 0, v25
	v_and_b32_e32 v25, 1, v25
	v_mov_b32_e32 v31, 1
	v_cndmask_b32_e32 v26, 0, v28, vcc
	v_and_b32_sdwa v28, v28, v31 dst_sel:DWORD dst_unused:UNUSED_PAD src0_sel:WORD_1 src1_sel:DWORD
	v_cmp_eq_u32_e32 vcc, 1, v25
	v_add_u16_e32 v30, v26, v24
	v_add_u16_e32 v24, v26, v24
	v_cndmask_b32_e64 v25, v28, 1, vcc
	v_lshlrev_b32_e32 v28, 16, v25
	v_or_b32_e32 v26, v28, v24
	v_mov_b32_e32 v24, v30
.LBB241_141:
	s_or_b64 exec, exec, s[50:51]
	v_lshrrev_b32_e32 v28, 16, v26
	v_mov_b32_dpp v30, v26 row_shr:2 row_mask:0xf bank_mask:0xf
	v_cmp_lt_u32_e32 vcc, 1, v29
	s_and_saveexec_b64 s[50:51], vcc
	s_cbranch_execz .LBB241_143
; %bb.142:
	v_cmp_gt_u32_e32 vcc, s3, v26
	v_and_b32_e32 v25, 0x10000, v26
	v_mov_b32_e32 v26, 1
	v_cndmask_b32_e32 v28, 0, v30, vcc
	v_and_b32_sdwa v26, v30, v26 dst_sel:DWORD dst_unused:UNUSED_PAD src0_sel:WORD_1 src1_sel:DWORD
	v_cmp_ne_u32_e32 vcc, 0, v25
	v_add_u16_e32 v31, v28, v24
	v_add_u16_e32 v24, v28, v24
	v_cndmask_b32_e64 v25, v26, 1, vcc
	v_lshlrev_b32_e32 v26, 16, v25
	v_or_b32_e32 v26, v26, v24
	v_mov_b32_e32 v28, v25
	v_mov_b32_e32 v24, v31
.LBB241_143:
	s_or_b64 exec, exec, s[50:51]
	v_mov_b32_dpp v30, v26 row_shr:4 row_mask:0xf bank_mask:0xf
	v_cmp_lt_u32_e32 vcc, 3, v29
	s_and_saveexec_b64 s[50:51], vcc
	s_cbranch_execz .LBB241_145
; %bb.144:
	v_mov_b32_e32 v25, 0
	v_cmp_eq_u16_sdwa vcc, v28, v25 src0_sel:BYTE_0 src1_sel:DWORD
	v_and_b32_e32 v25, 1, v28
	v_mov_b32_e32 v28, 1
	v_cndmask_b32_e32 v26, 0, v30, vcc
	v_and_b32_sdwa v28, v30, v28 dst_sel:DWORD dst_unused:UNUSED_PAD src0_sel:WORD_1 src1_sel:DWORD
	v_cmp_eq_u32_e32 vcc, 1, v25
	v_add_u16_e32 v31, v26, v24
	v_add_u16_e32 v24, v26, v24
	v_cndmask_b32_e64 v25, v28, 1, vcc
	v_lshlrev_b32_e32 v28, 16, v25
	v_or_b32_e32 v26, v28, v24
	v_mov_b32_e32 v28, v25
	v_mov_b32_e32 v24, v31
.LBB241_145:
	s_or_b64 exec, exec, s[50:51]
	v_mov_b32_dpp v30, v26 row_shr:8 row_mask:0xf bank_mask:0xf
	v_cmp_lt_u32_e32 vcc, 7, v29
	s_and_saveexec_b64 s[50:51], vcc
	s_cbranch_execz .LBB241_147
; %bb.146:
	v_mov_b32_e32 v25, 0
	v_cmp_eq_u16_sdwa vcc, v28, v25 src0_sel:BYTE_0 src1_sel:DWORD
	v_and_b32_e32 v25, 1, v28
	v_mov_b32_e32 v28, 1
	v_cndmask_b32_e32 v26, 0, v30, vcc
	v_and_b32_sdwa v28, v30, v28 dst_sel:DWORD dst_unused:UNUSED_PAD src0_sel:WORD_1 src1_sel:DWORD
	v_cmp_eq_u32_e32 vcc, 1, v25
	v_add_u16_e32 v29, v26, v24
	v_add_u16_e32 v24, v26, v24
	v_cndmask_b32_e64 v25, v28, 1, vcc
	v_lshlrev_b32_e32 v28, 16, v25
	v_or_b32_e32 v26, v28, v24
	v_mov_b32_e32 v28, v25
	v_mov_b32_e32 v24, v29
.LBB241_147:
	s_or_b64 exec, exec, s[50:51]
	v_and_b32_e32 v30, 16, v27
	v_mov_b32_dpp v29, v26 row_bcast:15 row_mask:0xf bank_mask:0xf
	v_cmp_ne_u32_e32 vcc, 0, v30
	s_and_saveexec_b64 s[50:51], vcc
	s_cbranch_execz .LBB241_149
; %bb.148:
	v_mov_b32_e32 v25, 0
	v_cmp_eq_u16_sdwa vcc, v28, v25 src0_sel:BYTE_0 src1_sel:DWORD
	v_and_b32_e32 v25, 1, v28
	v_mov_b32_e32 v28, 1
	v_cndmask_b32_e32 v26, 0, v29, vcc
	v_and_b32_sdwa v28, v29, v28 dst_sel:DWORD dst_unused:UNUSED_PAD src0_sel:WORD_1 src1_sel:DWORD
	v_cmp_eq_u32_e32 vcc, 1, v25
	v_add_u16_e32 v30, v26, v24
	v_add_u16_e32 v24, v26, v24
	v_cndmask_b32_e64 v25, v28, 1, vcc
	v_lshlrev_b32_e32 v28, 16, v25
	v_or_b32_e32 v26, v28, v24
	v_mov_b32_e32 v24, v30
	v_mov_b32_e32 v28, v25
.LBB241_149:
	s_or_b64 exec, exec, s[50:51]
	v_mov_b32_dpp v26, v26 row_bcast:31 row_mask:0xf bank_mask:0xf
	v_cmp_lt_u32_e32 vcc, 31, v27
	s_and_saveexec_b64 s[50:51], vcc
; %bb.150:
	v_mov_b32_e32 v25, 0
	v_cmp_eq_u16_sdwa vcc, v28, v25 src0_sel:BYTE_0 src1_sel:DWORD
	s_nop 1
	v_cndmask_b32_e32 v25, 0, v26, vcc
	v_add_u16_e32 v24, v25, v24
	v_and_b32_e32 v25, 1, v28
	v_mov_b32_e32 v28, 1
	v_and_b32_sdwa v26, v26, v28 dst_sel:DWORD dst_unused:UNUSED_PAD src0_sel:WORD_1 src1_sel:DWORD
	v_cmp_eq_u32_e32 vcc, 1, v25
	s_nop 1
	v_cndmask_b32_e64 v25, v26, 1, vcc
; %bb.151:
	s_or_b64 exec, exec, s[50:51]
	v_or_b32_e32 v28, 63, v0
	v_lshrrev_b32_e32 v26, 6, v0
	v_cmp_eq_u32_e32 vcc, v28, v0
	s_and_saveexec_b64 s[50:51], vcc
	s_cbranch_execz .LBB241_153
; %bb.152:
	v_lshlrev_b32_e32 v28, 2, v26
	ds_write_b16 v28, v24
	ds_write_b8 v28, v25 offset:2
.LBB241_153:
	s_or_b64 exec, exec, s[50:51]
	v_cmp_gt_u32_e32 vcc, 4, v0
	s_waitcnt lgkmcnt(0)
	s_barrier
	s_and_saveexec_b64 s[50:51], vcc
	s_cbranch_execz .LBB241_159
; %bb.154:
	v_lshlrev_b32_e32 v28, 2, v0
	ds_read_b32 v29, v28
	v_and_b32_e32 v32, 3, v27
	v_cmp_ne_u32_e32 vcc, 0, v32
	s_waitcnt lgkmcnt(0)
	v_lshrrev_b32_e32 v31, 16, v29
	v_mov_b32_dpp v33, v29 row_shr:1 row_mask:0xf bank_mask:0xf
	v_mov_b32_e32 v30, v29
	s_and_saveexec_b64 s[54:55], vcc
	s_cbranch_execz .LBB241_156
; %bb.155:
	v_mov_b32_e32 v30, 0
	v_cmp_eq_u16_sdwa vcc, v31, v30 src0_sel:BYTE_0 src1_sel:DWORD
	v_and_b32_e32 v31, 0x10000, v29
	v_mov_b32_e32 v40, 1
	v_cndmask_b32_e32 v37, 0, v33, vcc
	v_and_b32_sdwa v33, v33, v40 dst_sel:DWORD dst_unused:UNUSED_PAD src0_sel:WORD_1 src1_sel:DWORD
	v_cmp_ne_u32_e32 vcc, 0, v31
	v_and_b32_e32 v36, 0xff000000, v29
	v_add_u16_e32 v30, v37, v29
	v_cndmask_b32_e64 v31, v33, 1, vcc
	v_lshlrev_b32_e32 v33, 16, v31
	v_add_u16_e32 v29, v37, v29
	v_or3_b32 v29, v33, v36, v29
.LBB241_156:
	s_or_b64 exec, exec, s[54:55]
	s_nop 0
	v_mov_b32_dpp v33, v29 row_shr:2 row_mask:0xf bank_mask:0xf
	v_cmp_lt_u32_e32 vcc, 1, v32
	s_and_saveexec_b64 s[54:55], vcc
; %bb.157:
	v_and_b32_e32 v31, 0xff0000, v29
	v_cmp_eq_u32_e32 vcc, 0, v31
	v_and_b32_e32 v29, 0x10000, v29
	s_nop 0
	v_cndmask_b32_e32 v31, 0, v33, vcc
	v_add_u16_e32 v30, v31, v30
	v_mov_b32_e32 v31, 1
	v_and_b32_sdwa v31, v33, v31 dst_sel:DWORD dst_unused:UNUSED_PAD src0_sel:WORD_1 src1_sel:DWORD
	v_cmp_eq_u32_e32 vcc, 0, v29
	s_nop 1
	v_cndmask_b32_e32 v31, 1, v31, vcc
; %bb.158:
	s_or_b64 exec, exec, s[54:55]
	ds_write_b16 v28, v30
	ds_write_b8 v28, v31 offset:2
.LBB241_159:
	s_or_b64 exec, exec, s[50:51]
	v_cmp_gt_u32_e32 vcc, 64, v0
	v_cmp_lt_u32_e64 s[50:51], 63, v0
	v_mov_b32_e32 v36, 0
	v_mov_b32_e32 v37, 0
	s_waitcnt lgkmcnt(0)
	s_barrier
	s_and_saveexec_b64 s[54:55], s[50:51]
	s_cbranch_execz .LBB241_161
; %bb.160:
	v_lshl_add_u32 v26, v26, 2, -4
	ds_read_u16 v36, v26
	ds_read_u8 v37, v26 offset:2
	v_mov_b32_e32 v28, 0
	v_and_b32_e32 v29, 1, v25
	v_cmp_eq_u16_sdwa s[50:51], v25, v28 src0_sel:BYTE_0 src1_sel:DWORD
	s_waitcnt lgkmcnt(1)
	s_nop 0
	v_cndmask_b32_e64 v25, 0, v36, s[50:51]
	v_cmp_eq_u32_e64 s[50:51], 1, v29
	v_add_u16_e32 v24, v25, v24
	s_waitcnt lgkmcnt(0)
	v_cndmask_b32_e64 v25, v37, 1, s[50:51]
.LBB241_161:
	s_or_b64 exec, exec, s[54:55]
	v_and_b32_e32 v25, 0xff, v25
	v_and_b32_e32 v24, 0xffff, v24
	v_lshl_or_b32 v24, v25, 16, v24
	v_add_u32_e32 v25, -1, v27
	v_and_b32_e32 v26, 64, v27
	v_cmp_lt_i32_e64 s[50:51], v25, v26
	s_nop 1
	v_cndmask_b32_e64 v25, v25, v27, s[50:51]
	v_lshlrev_b32_e32 v25, 2, v25
	ds_bpermute_b32 v40, v25, v24
	v_cmp_eq_u32_e64 s[50:51], 0, v27
	s_and_saveexec_b64 s[54:55], vcc
	s_cbranch_execz .LBB241_204
; %bb.162:
	v_mov_b32_e32 v31, 0
	ds_read_b32 v24, v31 offset:12
	s_and_saveexec_b64 s[56:57], s[50:51]
	s_cbranch_execz .LBB241_164
; %bb.163:
	s_add_i32 s60, s2, 64
	s_mov_b32 s61, 0
	s_lshl_b64 s[60:61], s[60:61], 3
	s_add_u32 s60, s68, s60
	v_mov_b32_e32 v25, 1
	s_addc_u32 s61, s69, s61
	s_waitcnt lgkmcnt(0)
	global_store_dwordx2 v31, v[24:25], s[60:61] sc1
.LBB241_164:
	s_or_b64 exec, exec, s[56:57]
	v_xad_u32 v26, v27, -1, s2
	v_add_u32_e32 v30, 64, v26
	v_lshl_add_u64 v[32:33], v[30:31], 3, s[68:69]
	global_load_dwordx2 v[28:29], v[32:33], off sc1
	s_waitcnt vmcnt(0)
	v_cmp_eq_u16_sdwa s[60:61], v29, v31 src0_sel:BYTE_0 src1_sel:DWORD
	s_and_saveexec_b64 s[56:57], s[60:61]
	s_cbranch_execz .LBB241_168
; %bb.165:
	s_mov_b64 s[60:61], 0
	v_mov_b32_e32 v25, 0
.LBB241_166:                            ; =>This Inner Loop Header: Depth=1
	global_load_dwordx2 v[28:29], v[32:33], off sc1
	s_waitcnt vmcnt(0)
	v_cmp_ne_u16_sdwa s[66:67], v29, v25 src0_sel:BYTE_0 src1_sel:DWORD
	s_or_b64 s[60:61], s[66:67], s[60:61]
	s_andn2_b64 exec, exec, s[60:61]
	s_cbranch_execnz .LBB241_166
; %bb.167:
	s_or_b64 exec, exec, s[60:61]
.LBB241_168:
	s_or_b64 exec, exec, s[56:57]
	v_mov_b32_e32 v25, 2
	v_cmp_eq_u16_sdwa s[56:57], v29, v25 src0_sel:BYTE_0 src1_sel:DWORD
	v_lshlrev_b64 v[30:31], v27, -1
	v_and_b32_e32 v52, 0xffffff, v28
	v_and_b32_e32 v25, s57, v31
	v_or_b32_e32 v25, 0x80000000, v25
	v_ffbl_b32_e32 v25, v25
	v_add_u32_e32 v33, 32, v25
	v_and_b32_e32 v25, 63, v27
	v_cmp_ne_u32_e32 vcc, 63, v25
	v_and_b32_e32 v32, s56, v30
	v_ffbl_b32_e32 v32, v32
	v_addc_co_u32_e32 v41, vcc, 0, v27, vcc
	v_lshlrev_b32_e32 v41, 2, v41
	ds_bpermute_b32 v42, v41, v52
	v_min_u32_e32 v33, v32, v33
	v_lshrrev_b32_e32 v32, 16, v28
	v_cmp_lt_u32_e32 vcc, v25, v33
	v_bfe_u32 v50, v28, 16, 8
	s_and_saveexec_b64 s[56:57], vcc
	s_cbranch_execz .LBB241_170
; %bb.169:
	v_and_b32_e32 v32, 0xff0000, v28
	v_cmp_eq_u32_e32 vcc, 0, v32
	v_and_b32_e32 v32, 0x10000, v32
	v_mov_b32_e32 v45, 1
	s_waitcnt lgkmcnt(0)
	v_cndmask_b32_e32 v43, 0, v42, vcc
	v_and_b32_sdwa v42, v42, v45 dst_sel:DWORD dst_unused:UNUSED_PAD src0_sel:WORD_1 src1_sel:DWORD
	v_cmp_ne_u32_e32 vcc, 0, v32
	v_add_u16_e32 v44, v43, v28
	v_add_u16_e32 v28, v43, v28
	v_cndmask_b32_e64 v32, v42, 1, vcc
	v_lshlrev_b32_e32 v42, 16, v32
	v_or_b32_e32 v52, v42, v28
	v_mov_b32_e32 v28, v44
	v_mov_b32_e32 v50, v32
.LBB241_170:
	s_or_b64 exec, exec, s[56:57]
	v_cmp_gt_u32_e32 vcc, 62, v25
	v_add_u32_e32 v43, 2, v25
	s_waitcnt lgkmcnt(0)
	v_cndmask_b32_e64 v42, 0, 1, vcc
	v_lshlrev_b32_e32 v42, 1, v42
	v_add_lshl_u32 v42, v42, v27, 2
	ds_bpermute_b32 v44, v42, v52
	v_cmp_le_u32_e32 vcc, v43, v33
	s_and_saveexec_b64 s[56:57], vcc
	s_cbranch_execz .LBB241_172
; %bb.171:
	v_cmp_eq_u16_e32 vcc, 0, v50
	v_and_b32_e32 v32, 1, v50
	v_mov_b32_e32 v47, 1
	s_waitcnt lgkmcnt(0)
	v_cndmask_b32_e32 v45, 0, v44, vcc
	v_and_b32_sdwa v44, v44, v47 dst_sel:DWORD dst_unused:UNUSED_PAD src0_sel:WORD_1 src1_sel:DWORD
	v_cmp_eq_u32_e32 vcc, 1, v32
	v_add_u16_e32 v46, v45, v28
	v_add_u16_e32 v28, v45, v28
	v_cndmask_b32_e64 v32, v44, 1, vcc
	v_lshlrev_b32_e32 v44, 16, v32
	v_or_b32_e32 v52, v44, v28
	v_mov_b32_e32 v28, v46
	v_mov_b32_e32 v50, v32
.LBB241_172:
	s_or_b64 exec, exec, s[56:57]
	v_cmp_gt_u32_e32 vcc, 60, v25
	v_add_u32_e32 v45, 4, v25
	s_waitcnt lgkmcnt(0)
	v_cndmask_b32_e64 v44, 0, 1, vcc
	v_lshlrev_b32_e32 v44, 2, v44
	v_add_lshl_u32 v44, v44, v27, 2
	ds_bpermute_b32 v46, v44, v52
	v_cmp_le_u32_e32 vcc, v45, v33
	s_and_saveexec_b64 s[56:57], vcc
	s_cbranch_execz .LBB241_174
; %bb.173:
	v_cmp_eq_u16_e32 vcc, 0, v50
	v_and_b32_e32 v32, 1, v50
	v_mov_b32_e32 v49, 1
	s_waitcnt lgkmcnt(0)
	v_cndmask_b32_e32 v47, 0, v46, vcc
	v_and_b32_sdwa v46, v46, v49 dst_sel:DWORD dst_unused:UNUSED_PAD src0_sel:WORD_1 src1_sel:DWORD
	v_cmp_eq_u32_e32 vcc, 1, v32
	v_add_u16_e32 v48, v47, v28
	v_add_u16_e32 v28, v47, v28
	v_cndmask_b32_e64 v32, v46, 1, vcc
	v_lshlrev_b32_e32 v46, 16, v32
	v_or_b32_e32 v52, v46, v28
	v_mov_b32_e32 v28, v48
	v_mov_b32_e32 v50, v32
.LBB241_174:
	s_or_b64 exec, exec, s[56:57]
	v_cmp_gt_u32_e32 vcc, 56, v25
	v_add_u32_e32 v47, 8, v25
	s_waitcnt lgkmcnt(0)
	v_cndmask_b32_e64 v46, 0, 1, vcc
	v_lshlrev_b32_e32 v46, 3, v46
	v_add_lshl_u32 v46, v46, v27, 2
	ds_bpermute_b32 v48, v46, v52
	v_cmp_le_u32_e32 vcc, v47, v33
	s_and_saveexec_b64 s[56:57], vcc
	s_cbranch_execz .LBB241_176
; %bb.175:
	v_cmp_eq_u16_e32 vcc, 0, v50
	v_and_b32_e32 v32, 1, v50
	v_mov_b32_e32 v50, 1
	s_waitcnt lgkmcnt(0)
	v_cndmask_b32_e32 v49, 0, v48, vcc
	v_and_b32_sdwa v48, v48, v50 dst_sel:DWORD dst_unused:UNUSED_PAD src0_sel:WORD_1 src1_sel:DWORD
	v_cmp_eq_u32_e32 vcc, 1, v32
	v_add_u16_e32 v51, v49, v28
	v_add_u16_e32 v28, v49, v28
	v_cndmask_b32_e64 v32, v48, 1, vcc
	v_lshlrev_b32_e32 v48, 16, v32
	v_or_b32_e32 v52, v48, v28
	v_mov_b32_e32 v28, v51
	v_mov_b32_e32 v50, v32
.LBB241_176:
	s_or_b64 exec, exec, s[56:57]
	v_cmp_gt_u32_e32 vcc, 48, v25
	v_add_u32_e32 v49, 16, v25
	s_waitcnt lgkmcnt(0)
	v_cndmask_b32_e64 v48, 0, 1, vcc
	v_lshlrev_b32_e32 v48, 4, v48
	v_add_lshl_u32 v48, v48, v27, 2
	ds_bpermute_b32 v51, v48, v52
	v_cmp_le_u32_e32 vcc, v49, v33
	s_and_saveexec_b64 s[56:57], vcc
	s_cbranch_execz .LBB241_178
; %bb.177:
	v_cmp_eq_u16_e32 vcc, 0, v50
	v_and_b32_e32 v32, 1, v50
	v_mov_b32_e32 v50, 1
	s_waitcnt lgkmcnt(0)
	v_cndmask_b32_e32 v52, 0, v51, vcc
	v_and_b32_sdwa v50, v51, v50 dst_sel:DWORD dst_unused:UNUSED_PAD src0_sel:WORD_1 src1_sel:DWORD
	v_cmp_eq_u32_e32 vcc, 1, v32
	v_add_u16_e32 v53, v52, v28
	v_add_u16_e32 v28, v52, v28
	v_cndmask_b32_e64 v32, v50, 1, vcc
	v_lshlrev_b32_e32 v50, 16, v32
	v_or_b32_e32 v52, v50, v28
	v_mov_b32_e32 v28, v53
	v_mov_b32_e32 v50, v32
.LBB241_178:
	s_or_b64 exec, exec, s[56:57]
	v_cmp_gt_u32_e32 vcc, 32, v25
	v_add_u32_e32 v53, 32, v25
	s_waitcnt lgkmcnt(0)
	v_cndmask_b32_e64 v51, 0, 1, vcc
	v_lshlrev_b32_e32 v51, 5, v51
	v_add_lshl_u32 v51, v51, v27, 2
	ds_bpermute_b32 v27, v51, v52
	v_cmp_le_u32_e32 vcc, v53, v33
	s_and_saveexec_b64 s[56:57], vcc
	s_cbranch_execz .LBB241_180
; %bb.179:
	v_cmp_eq_u16_e32 vcc, 0, v50
	v_mov_b32_e32 v33, 1
	s_waitcnt lgkmcnt(0)
	v_cndmask_b32_e32 v32, 0, v27, vcc
	v_add_u16_e32 v28, v32, v28
	v_and_b32_e32 v32, 1, v50
	v_and_b32_sdwa v27, v27, v33 dst_sel:DWORD dst_unused:UNUSED_PAD src0_sel:WORD_1 src1_sel:DWORD
	v_cmp_eq_u32_e32 vcc, 1, v32
	s_nop 1
	v_cndmask_b32_e64 v32, v27, 1, vcc
.LBB241_180:
	s_or_b64 exec, exec, s[56:57]
	s_waitcnt lgkmcnt(0)
	v_mov_b32_e32 v27, 0
	v_mov_b32_e32 v54, 2
	;; [unrolled: 1-line block ×3, first 2 shown]
	s_branch .LBB241_182
.LBB241_181:                            ;   in Loop: Header=BB241_182 Depth=1
	s_or_b64 exec, exec, s[56:57]
	v_cmp_eq_u16_sdwa vcc, v50, v27 src0_sel:BYTE_0 src1_sel:DWORD
	v_and_b32_e32 v32, 1, v50
	v_and_b32_e32 v33, 1, v33
	v_cndmask_b32_e32 v28, 0, v28, vcc
	v_cmp_eq_u32_e32 vcc, 1, v32
	v_subrev_u32_e32 v26, 64, v26
	v_add_u16_e32 v28, v28, v52
	v_cndmask_b32_e64 v32, v33, 1, vcc
.LBB241_182:                            ; =>This Loop Header: Depth=1
                                        ;     Child Loop BB241_185 Depth 2
	v_cmp_ne_u16_sdwa s[56:57], v29, v54 src0_sel:BYTE_0 src1_sel:DWORD
	v_mov_b32_e32 v50, v32
	v_mov_b32_e32 v52, v28
	v_cndmask_b32_e64 v29, 0, 1, s[56:57]
	;;#ASMSTART
	;;#ASMEND
	s_nop 0
	v_cmp_ne_u32_e32 vcc, 0, v29
	s_cmp_lg_u64 vcc, exec
	s_cbranch_scc1 .LBB241_199
; %bb.183:                              ;   in Loop: Header=BB241_182 Depth=1
	v_lshl_add_u64 v[32:33], v[26:27], 3, s[68:69]
	global_load_dwordx2 v[28:29], v[32:33], off sc1
	s_waitcnt vmcnt(0)
	v_cmp_eq_u16_sdwa s[60:61], v29, v27 src0_sel:BYTE_0 src1_sel:DWORD
	s_and_saveexec_b64 s[56:57], s[60:61]
	s_cbranch_execz .LBB241_187
; %bb.184:                              ;   in Loop: Header=BB241_182 Depth=1
	s_mov_b64 s[60:61], 0
.LBB241_185:                            ;   Parent Loop BB241_182 Depth=1
                                        ; =>  This Inner Loop Header: Depth=2
	global_load_dwordx2 v[28:29], v[32:33], off sc1
	s_waitcnt vmcnt(0)
	v_cmp_ne_u16_sdwa s[66:67], v29, v27 src0_sel:BYTE_0 src1_sel:DWORD
	s_or_b64 s[60:61], s[66:67], s[60:61]
	s_andn2_b64 exec, exec, s[60:61]
	s_cbranch_execnz .LBB241_185
; %bb.186:                              ;   in Loop: Header=BB241_182 Depth=1
	s_or_b64 exec, exec, s[60:61]
.LBB241_187:                            ;   in Loop: Header=BB241_182 Depth=1
	s_or_b64 exec, exec, s[56:57]
	v_cmp_eq_u16_sdwa s[56:57], v29, v54 src0_sel:BYTE_0 src1_sel:DWORD
	s_waitcnt lgkmcnt(0)
	v_and_b32_e32 v57, 0xffffff, v28
	ds_bpermute_b32 v58, v41, v57
	v_and_b32_e32 v32, s57, v31
	v_or_b32_e32 v32, 0x80000000, v32
	v_and_b32_e32 v33, s56, v30
	v_ffbl_b32_e32 v32, v32
	v_add_u32_e32 v32, 32, v32
	v_ffbl_b32_e32 v33, v33
	v_min_u32_e32 v32, v33, v32
	v_lshrrev_b32_e32 v33, 16, v28
	v_cmp_lt_u32_e32 vcc, v25, v32
	v_bfe_u32 v56, v28, 16, 8
	s_and_saveexec_b64 s[56:57], vcc
	s_cbranch_execz .LBB241_189
; %bb.188:                              ;   in Loop: Header=BB241_182 Depth=1
	v_and_b32_e32 v33, 0xff0000, v28
	v_cmp_eq_u32_e32 vcc, 0, v33
	v_and_b32_e32 v33, 0x10000, v33
	s_waitcnt lgkmcnt(0)
	v_and_b32_sdwa v57, v58, v55 dst_sel:DWORD dst_unused:UNUSED_PAD src0_sel:WORD_1 src1_sel:DWORD
	v_cndmask_b32_e32 v56, 0, v58, vcc
	v_cmp_ne_u32_e32 vcc, 0, v33
	v_add_u16_e32 v59, v56, v28
	v_add_u16_e32 v28, v56, v28
	v_cndmask_b32_e64 v33, v57, 1, vcc
	v_lshlrev_b32_e32 v57, 16, v33
	v_or_b32_e32 v57, v57, v28
	v_mov_b32_e32 v28, v59
	v_mov_b32_e32 v56, v33
.LBB241_189:                            ;   in Loop: Header=BB241_182 Depth=1
	s_or_b64 exec, exec, s[56:57]
	s_waitcnt lgkmcnt(0)
	ds_bpermute_b32 v58, v42, v57
	v_cmp_le_u32_e32 vcc, v43, v32
	s_and_saveexec_b64 s[56:57], vcc
	s_cbranch_execz .LBB241_191
; %bb.190:                              ;   in Loop: Header=BB241_182 Depth=1
	v_cmp_eq_u16_e32 vcc, 0, v56
	v_and_b32_e32 v33, 1, v56
	s_waitcnt lgkmcnt(0)
	v_and_b32_sdwa v56, v58, v55 dst_sel:DWORD dst_unused:UNUSED_PAD src0_sel:WORD_1 src1_sel:DWORD
	v_cndmask_b32_e32 v57, 0, v58, vcc
	v_cmp_eq_u32_e32 vcc, 1, v33
	v_add_u16_e32 v59, v57, v28
	v_add_u16_e32 v28, v57, v28
	v_cndmask_b32_e64 v33, v56, 1, vcc
	v_lshlrev_b32_e32 v56, 16, v33
	v_or_b32_e32 v57, v56, v28
	v_mov_b32_e32 v28, v59
	v_mov_b32_e32 v56, v33
.LBB241_191:                            ;   in Loop: Header=BB241_182 Depth=1
	s_or_b64 exec, exec, s[56:57]
	s_waitcnt lgkmcnt(0)
	ds_bpermute_b32 v58, v44, v57
	v_cmp_le_u32_e32 vcc, v45, v32
	s_and_saveexec_b64 s[56:57], vcc
	s_cbranch_execz .LBB241_193
; %bb.192:                              ;   in Loop: Header=BB241_182 Depth=1
	v_cmp_eq_u16_e32 vcc, 0, v56
	v_and_b32_e32 v33, 1, v56
	s_waitcnt lgkmcnt(0)
	v_and_b32_sdwa v56, v58, v55 dst_sel:DWORD dst_unused:UNUSED_PAD src0_sel:WORD_1 src1_sel:DWORD
	v_cndmask_b32_e32 v57, 0, v58, vcc
	v_cmp_eq_u32_e32 vcc, 1, v33
	v_add_u16_e32 v59, v57, v28
	v_add_u16_e32 v28, v57, v28
	v_cndmask_b32_e64 v33, v56, 1, vcc
	v_lshlrev_b32_e32 v56, 16, v33
	v_or_b32_e32 v57, v56, v28
	v_mov_b32_e32 v28, v59
	v_mov_b32_e32 v56, v33
.LBB241_193:                            ;   in Loop: Header=BB241_182 Depth=1
	s_or_b64 exec, exec, s[56:57]
	s_waitcnt lgkmcnt(0)
	ds_bpermute_b32 v58, v46, v57
	v_cmp_le_u32_e32 vcc, v47, v32
	s_and_saveexec_b64 s[56:57], vcc
	s_cbranch_execz .LBB241_195
; %bb.194:                              ;   in Loop: Header=BB241_182 Depth=1
	v_cmp_eq_u16_e32 vcc, 0, v56
	v_and_b32_e32 v33, 1, v56
	s_waitcnt lgkmcnt(0)
	v_and_b32_sdwa v56, v58, v55 dst_sel:DWORD dst_unused:UNUSED_PAD src0_sel:WORD_1 src1_sel:DWORD
	v_cndmask_b32_e32 v57, 0, v58, vcc
	v_cmp_eq_u32_e32 vcc, 1, v33
	v_add_u16_e32 v59, v57, v28
	v_add_u16_e32 v28, v57, v28
	v_cndmask_b32_e64 v33, v56, 1, vcc
	v_lshlrev_b32_e32 v56, 16, v33
	v_or_b32_e32 v57, v56, v28
	v_mov_b32_e32 v28, v59
	v_mov_b32_e32 v56, v33
.LBB241_195:                            ;   in Loop: Header=BB241_182 Depth=1
	s_or_b64 exec, exec, s[56:57]
	s_waitcnt lgkmcnt(0)
	ds_bpermute_b32 v58, v48, v57
	v_cmp_le_u32_e32 vcc, v49, v32
	s_and_saveexec_b64 s[56:57], vcc
	s_cbranch_execz .LBB241_197
; %bb.196:                              ;   in Loop: Header=BB241_182 Depth=1
	v_cmp_eq_u16_e32 vcc, 0, v56
	v_and_b32_e32 v33, 1, v56
	s_waitcnt lgkmcnt(0)
	v_and_b32_sdwa v56, v58, v55 dst_sel:DWORD dst_unused:UNUSED_PAD src0_sel:WORD_1 src1_sel:DWORD
	v_cndmask_b32_e32 v57, 0, v58, vcc
	v_cmp_eq_u32_e32 vcc, 1, v33
	v_add_u16_e32 v59, v57, v28
	v_add_u16_e32 v28, v57, v28
	v_cndmask_b32_e64 v33, v56, 1, vcc
	v_lshlrev_b32_e32 v56, 16, v33
	v_or_b32_e32 v57, v56, v28
	v_mov_b32_e32 v28, v59
	v_mov_b32_e32 v56, v33
.LBB241_197:                            ;   in Loop: Header=BB241_182 Depth=1
	s_or_b64 exec, exec, s[56:57]
	ds_bpermute_b32 v57, v51, v57
	v_cmp_le_u32_e32 vcc, v53, v32
	s_and_saveexec_b64 s[56:57], vcc
	s_cbranch_execz .LBB241_181
; %bb.198:                              ;   in Loop: Header=BB241_182 Depth=1
	v_cmp_eq_u16_e32 vcc, 0, v56
	s_waitcnt lgkmcnt(0)
	v_lshrrev_b32_e32 v33, 16, v57
	v_cndmask_b32_e32 v32, 0, v57, vcc
	v_add_u16_e32 v28, v32, v28
	v_and_b32_e32 v32, 1, v56
	v_cmp_eq_u32_e32 vcc, 1, v32
	s_nop 1
	v_cndmask_b32_e64 v33, v33, 1, vcc
	s_branch .LBB241_181
.LBB241_199:                            ;   in Loop: Header=BB241_182 Depth=1
                                        ; implicit-def: $vgpr32
                                        ; implicit-def: $vgpr28
	s_cbranch_execz .LBB241_182
; %bb.200:
	s_and_saveexec_b64 s[56:57], s[50:51]
	s_cbranch_execz .LBB241_202
; %bb.201:
	v_and_b32_e32 v25, 0xff0000, v24
	s_mov_b32 s3, 0
	v_cmp_eq_u32_e32 vcc, 0, v25
	v_and_b32_e32 v26, 0x10000, v24
	v_mov_b32_e32 v27, 1
	s_add_i32 s2, s2, 64
	v_cndmask_b32_e32 v25, 0, v52, vcc
	v_and_b32_sdwa v27, v50, v27 dst_sel:WORD_1 dst_unused:UNUSED_PAD src0_sel:DWORD src1_sel:DWORD
	v_mov_b32_e32 v28, 0x10000
	v_cmp_eq_u32_e32 vcc, 0, v26
	s_lshl_b64 s[2:3], s[2:3], 3
	s_add_u32 s2, s68, s2
	v_cndmask_b32_e32 v26, v28, v27, vcc
	v_add_u16_e32 v24, v25, v24
	s_addc_u32 s3, s69, s3
	v_mov_b32_e32 v27, 0
	v_or_b32_e32 v24, v26, v24
	v_mov_b32_e32 v25, 2
	global_store_dwordx2 v27, v[24:25], s[2:3] sc1
.LBB241_202:
	s_or_b64 exec, exec, s[56:57]
	v_cmp_eq_u32_e32 vcc, 0, v0
	s_and_b64 exec, exec, vcc
	s_cbranch_execz .LBB241_204
; %bb.203:
	v_mov_b32_e32 v24, 0
	ds_write_b16 v24, v52 offset:12
	ds_write_b8 v24, v50 offset:14
.LBB241_204:
	s_or_b64 exec, exec, s[54:55]
	s_waitcnt lgkmcnt(0)
	v_lshrrev_b32_e32 v24, 16, v40
	v_mov_b32_e32 v26, 0
	s_mov_b32 s2, 0x10000
	v_cndmask_b32_e64 v24, v24, v37, s[50:51]
	v_cndmask_b32_e64 v25, v40, v36, s[50:51]
	s_barrier
	ds_read_b32 v27, v26 offset:12
	v_cmp_gt_u32_e32 vcc, s2, v1
	v_and_b32_e32 v28, 0x10000, v1
	v_and_b32_e32 v24, 1, v24
	v_cndmask_b32_e32 v25, 0, v25, vcc
	v_cmp_ne_u32_e32 vcc, 0, v28
	s_nop 1
	v_cndmask_b32_e64 v24, v24, 1, vcc
	v_cmp_eq_u32_e32 vcc, 0, v0
	s_nop 1
	v_cndmask_b32_e32 v24, v24, v35, vcc
	v_cndmask_b32_e64 v25, v25, 0, vcc
	v_cmp_eq_u16_sdwa vcc, v24, v26 src0_sel:BYTE_0 src1_sel:DWORD
	v_add_u16_e32 v25, v25, v1
	s_waitcnt lgkmcnt(0)
	v_cndmask_b32_e32 v24, 0, v27, vcc
	v_add_u16_e32 v50, v25, v24
	v_cndmask_b32_e64 v24, 0, v50, s[52:53]
	v_add_u16_e32 v24, v24, v18
	v_cndmask_b32_e64 v25, 0, v24, s[4:5]
	;; [unrolled: 2-line block ×23, first 2 shown]
	v_add_u16_e32 v49, v49, v23
	s_branch .LBB241_235
.LBB241_205:
                                        ; implicit-def: $vgpr50
                                        ; implicit-def: $vgpr24
                                        ; implicit-def: $vgpr25
                                        ; implicit-def: $vgpr26
                                        ; implicit-def: $vgpr27
                                        ; implicit-def: $vgpr28
                                        ; implicit-def: $vgpr29
                                        ; implicit-def: $vgpr31
                                        ; implicit-def: $vgpr30
                                        ; implicit-def: $vgpr32
                                        ; implicit-def: $vgpr33
                                        ; implicit-def: $vgpr35
                                        ; implicit-def: $vgpr36
                                        ; implicit-def: $vgpr37
                                        ; implicit-def: $vgpr40
                                        ; implicit-def: $vgpr42
                                        ; implicit-def: $vgpr41
                                        ; implicit-def: $vgpr43
                                        ; implicit-def: $vgpr44
                                        ; implicit-def: $vgpr45
                                        ; implicit-def: $vgpr46
                                        ; implicit-def: $vgpr47
                                        ; implicit-def: $vgpr48
                                        ; implicit-def: $vgpr49
	s_cbranch_execz .LBB241_235
; %bb.206:
	s_cmp_lg_u64 s[74:75], 0
	s_cselect_b32 s5, s63, 0
	s_cselect_b32 s4, s62, 0
	s_cmp_lg_u64 s[4:5], 0
	s_cselect_b64 s[6:7], -1, 0
	v_cmp_eq_u32_e32 vcc, 0, v0
	v_cmp_ne_u32_e64 s[2:3], 0, v0
	s_and_b64 s[8:9], vcc, s[6:7]
	s_and_saveexec_b64 s[6:7], s[8:9]
	s_cbranch_execz .LBB241_208
; %bb.207:
	v_mov_b32_e32 v24, 0
	global_load_ushort v25, v24, s[4:5]
	global_load_ubyte v26, v24, s[4:5] offset:2
	s_mov_b32 s4, 0x10000
	v_and_b32_e32 v24, 0x10000, v1
	v_mov_b32_e32 v27, 1
	v_cmp_gt_u32_e64 s[4:5], s4, v1
	v_mov_b32_e32 v28, 0x10000
	s_waitcnt vmcnt(0)
	v_and_b32_sdwa v26, v26, v27 dst_sel:WORD_1 dst_unused:UNUSED_PAD src0_sel:DWORD src1_sel:DWORD
	v_cndmask_b32_e64 v25, 0, v25, s[4:5]
	v_cmp_eq_u32_e64 s[4:5], 0, v24
	v_add_u16_e32 v1, v25, v1
	s_nop 0
	v_cndmask_b32_e64 v24, v28, v26, s[4:5]
	v_or_b32_e32 v1, v24, v1
.LBB241_208:
	s_or_b64 exec, exec, s[6:7]
	s_mov_b32 s50, 0x10000
	v_cmp_gt_u32_e64 s[4:5], s50, v18
	v_cmp_gt_u32_e64 s[6:7], s50, v19
	;; [unrolled: 1-line block ×3, first 2 shown]
	v_cndmask_b32_e64 v24, 0, v1, s[4:5]
	v_add_u16_e32 v24, v24, v18
	v_cndmask_b32_e64 v25, 0, v24, s[6:7]
	v_add_u16_e32 v25, v25, v19
	v_bfe_u32 v28, v19, 16, 1
	v_mov_b32_e32 v53, 1
	v_cndmask_b32_e64 v26, 0, v25, s[8:9]
	v_lshlrev_b16_e32 v28, 1, v28
	v_and_b32_sdwa v29, v18, v53 dst_sel:DWORD dst_unused:UNUSED_PAD src0_sel:WORD_1 src1_sel:DWORD
	v_add_u16_e32 v26, v26, v20
	v_cmp_gt_u32_e64 s[10:11], s50, v21
	v_or_b32_e32 v28, v29, v28
	v_bfe_u32 v29, v21, 16, 1
	v_and_b32_sdwa v30, v20, v53 dst_sel:DWORD dst_unused:UNUSED_PAD src0_sel:WORD_1 src1_sel:DWORD
	v_cndmask_b32_e64 v27, 0, v26, s[10:11]
	v_lshlrev_b16_e32 v29, 3, v29
	v_lshlrev_b16_e32 v30, 2, v30
	v_add_u16_e32 v27, v27, v21
	v_or_b32_e32 v29, v29, v30
	v_cmp_gt_u32_e64 s[12:13], s50, v38
	v_or_b32_e32 v49, v28, v29
	v_and_b32_e32 v29, 0x10000, v38
	v_cndmask_b32_e64 v28, 0, v27, s[12:13]
	v_add_u16_e32 v28, v28, v38
	v_cmp_gt_u32_e64 s[14:15], s50, v2
	v_cmp_ne_u32_e64 s[52:53], 0, v29
	v_cmp_gt_u32_e64 s[16:17], s50, v3
	v_cndmask_b32_e64 v29, 0, v28, s[14:15]
	v_add_u16_e32 v29, v29, v2
	v_cndmask_b32_e64 v30, 0, v29, s[16:17]
	v_add_u16_e32 v31, v30, v3
	v_cmp_gt_u32_e64 s[18:19], s50, v4
	v_cmp_gt_u32_e64 s[20:21], s50, v5
	;; [unrolled: 1-line block ×3, first 2 shown]
	v_cndmask_b32_e64 v30, 0, v31, s[18:19]
	v_add_u16_e32 v30, v30, v4
	v_cndmask_b32_e64 v32, 0, v30, s[20:21]
	v_add_u16_e32 v32, v32, v5
	;; [unrolled: 2-line block ×3, first 2 shown]
	v_cmp_gt_u32_e64 s[24:25], s50, v7
	v_cmp_gt_u32_e64 s[26:27], s50, v8
	;; [unrolled: 1-line block ×3, first 2 shown]
	v_cndmask_b32_e64 v35, 0, v33, s[24:25]
	v_add_u16_e32 v35, v35, v7
	v_cndmask_b32_e64 v36, 0, v35, s[26:27]
	v_add_u16_e32 v36, v36, v8
	;; [unrolled: 2-line block ×3, first 2 shown]
	v_cmp_gt_u32_e64 s[30:31], s50, v39
	v_and_b32_e32 v41, 0x10000, v39
	v_cmp_gt_u32_e64 s[34:35], s50, v10
	v_cndmask_b32_e64 v40, 0, v37, s[30:31]
	v_add_u16_e32 v40, v40, v39
	v_cmp_ne_u32_e64 s[54:55], 0, v41
	v_cndmask_b32_e64 v41, 0, v40, s[34:35]
	v_add_u16_e32 v42, v41, v10
	v_cmp_gt_u32_e64 s[36:37], s50, v11
	v_cmp_gt_u32_e64 s[38:39], s50, v12
	v_and_b32_e32 v52, 0x10000, v23
	v_cndmask_b32_e64 v41, 0, v42, s[36:37]
	v_add_u16_e32 v41, v41, v11
	v_cndmask_b32_e64 v43, 0, v41, s[38:39]
	v_add_u16_e32 v43, v43, v12
	v_cmp_gt_u32_e64 s[40:41], s50, v13
	v_cmp_ne_u32_e64 s[56:57], 0, v52
	v_or_b32_e32 v52, v16, v8
	v_or_b32_e32 v55, v17, v9
	v_or_b32_e32 v57, v15, v7
	v_cndmask_b32_e64 v44, 0, v43, s[40:41]
	v_or_b32_e32 v56, v14, v6
	v_or_b32_e32 v58, v12, v4
	v_or_b32_e32 v59, v13, v5
	v_or_b32_e32 v61, v11, v3
	v_bfe_u32 v57, v57, 16, 1
	v_bfe_u32 v55, v55, 16, 1
	v_and_b32_sdwa v52, v52, v53 dst_sel:DWORD dst_unused:UNUSED_PAD src0_sel:WORD_1 src1_sel:DWORD
	v_add_u16_e32 v44, v44, v13
	v_cmp_gt_u32_e64 s[42:43], s50, v14
	v_or_b32_e32 v60, v10, v2
	v_bfe_u32 v61, v61, 16, 1
	v_bfe_u32 v59, v59, 16, 1
	v_and_b32_sdwa v58, v58, v53 dst_sel:DWORD dst_unused:UNUSED_PAD src0_sel:WORD_1 src1_sel:DWORD
	v_lshlrev_b16_e32 v57, 1, v57
	v_and_b32_sdwa v56, v56, v53 dst_sel:DWORD dst_unused:UNUSED_PAD src0_sel:WORD_1 src1_sel:DWORD
	v_lshlrev_b16_e32 v55, 3, v55
	v_lshlrev_b16_e32 v52, 2, v52
	v_cndmask_b32_e64 v45, 0, v44, s[42:43]
	v_lshlrev_b16_e32 v61, 1, v61
	v_and_b32_sdwa v60, v60, v53 dst_sel:DWORD dst_unused:UNUSED_PAD src0_sel:WORD_1 src1_sel:DWORD
	v_lshlrev_b16_e32 v59, 3, v59
	v_lshlrev_b16_e32 v58, 2, v58
	v_or_b32_e32 v56, v56, v57
	v_or_b32_e32 v52, v55, v52
	v_add_u16_e32 v45, v45, v14
	v_cmp_gt_u32_e64 s[44:45], s50, v15
	v_or_b32_e32 v60, v60, v61
	v_or_b32_e32 v58, v59, v58
	;; [unrolled: 1-line block ×3, first 2 shown]
	v_cndmask_b32_e64 v46, 0, v45, s[44:45]
	v_or_b32_e32 v58, v60, v58
	v_lshlrev_b16_e32 v52, 4, v52
	v_add_u16_e32 v46, v46, v15
	v_cmp_gt_u32_e64 s[46:47], s50, v16
	v_or_b32_e32 v52, v58, v52
	v_or_b32_e32 v49, v52, v49
	v_cndmask_b32_e64 v47, 0, v46, s[46:47]
	v_mov_b32_e32 v52, 0
	v_add_u16_e32 v47, v47, v16
	v_cmp_gt_u32_e64 s[48:49], s50, v17
	v_cmp_ne_u16_sdwa s[60:61], v49, v52 src0_sel:BYTE_0 src1_sel:DWORD
	s_or_b64 s[56:57], s[56:57], s[60:61]
	v_cndmask_b32_e64 v48, 0, v47, s[48:49]
	v_add_u16_e32 v48, v48, v17
	v_cmp_gt_u32_e64 s[50:51], s50, v23
	s_or_b64 s[54:55], s[56:57], s[54:55]
	v_lshrrev_b32_e32 v50, 16, v1
	v_cndmask_b32_e64 v54, 0, v48, s[50:51]
	s_or_b64 s[52:53], s[54:55], s[52:53]
	v_cndmask_b32_e64 v52, v50, 1, s[52:53]
	v_mbcnt_hi_u32_b32 v34, -1, v34
	v_add_u16_e32 v49, v54, v23
	v_add_u16_e32 v51, v54, v23
	v_and_b32_e32 v55, 15, v34
	v_lshl_or_b32 v54, v52, 16, v49
	v_cmp_ne_u32_e64 s[52:53], 0, v55
	s_nop 0
	v_mov_b32_dpp v56, v54 row_shr:1 row_mask:0xf bank_mask:0xf
	s_and_saveexec_b64 s[54:55], s[52:53]
; %bb.209:
	v_cmp_eq_u32_e64 s[52:53], 0, v52
	v_and_b32_e32 v52, 1, v52
	v_and_b32_sdwa v53, v56, v53 dst_sel:DWORD dst_unused:UNUSED_PAD src0_sel:WORD_1 src1_sel:DWORD
	v_cndmask_b32_e64 v54, 0, v56, s[52:53]
	v_cmp_eq_u32_e64 s[52:53], 1, v52
	v_add_u16_e32 v57, v51, v54
	v_add_u16_e32 v51, v51, v54
	v_cndmask_b32_e64 v52, v53, 1, s[52:53]
	v_lshlrev_b32_e32 v53, 16, v52
	v_or_b32_e32 v54, v53, v51
	v_mov_b32_e32 v51, v57
; %bb.210:
	s_or_b64 exec, exec, s[54:55]
	v_lshrrev_b32_e32 v53, 16, v54
	v_mov_b32_dpp v56, v54 row_shr:2 row_mask:0xf bank_mask:0xf
	v_cmp_lt_u32_e64 s[52:53], 1, v55
	s_and_saveexec_b64 s[54:55], s[52:53]
	s_cbranch_execz .LBB241_212
; %bb.211:
	s_mov_b32 s52, 0x10000
	v_cmp_gt_u32_e64 s[52:53], s52, v54
	v_and_b32_e32 v52, 0x10000, v54
	v_mov_b32_e32 v54, 1
	v_cndmask_b32_e64 v53, 0, v56, s[52:53]
	v_and_b32_sdwa v54, v56, v54 dst_sel:DWORD dst_unused:UNUSED_PAD src0_sel:WORD_1 src1_sel:DWORD
	v_cmp_ne_u32_e64 s[52:53], 0, v52
	v_add_u16_e32 v57, v53, v51
	v_add_u16_e32 v51, v53, v51
	v_cndmask_b32_e64 v52, v54, 1, s[52:53]
	v_lshlrev_b32_e32 v54, 16, v52
	v_or_b32_e32 v54, v54, v51
	v_mov_b32_e32 v53, v52
	v_mov_b32_e32 v51, v57
.LBB241_212:
	s_or_b64 exec, exec, s[54:55]
	v_mov_b32_dpp v56, v54 row_shr:4 row_mask:0xf bank_mask:0xf
	v_cmp_lt_u32_e64 s[52:53], 3, v55
	s_and_saveexec_b64 s[54:55], s[52:53]
	s_cbranch_execz .LBB241_214
; %bb.213:
	v_mov_b32_e32 v52, 0
	v_cmp_eq_u16_sdwa s[52:53], v53, v52 src0_sel:BYTE_0 src1_sel:DWORD
	v_and_b32_e32 v52, 1, v53
	v_mov_b32_e32 v53, 1
	v_cndmask_b32_e64 v54, 0, v56, s[52:53]
	v_and_b32_sdwa v53, v56, v53 dst_sel:DWORD dst_unused:UNUSED_PAD src0_sel:WORD_1 src1_sel:DWORD
	v_cmp_eq_u32_e64 s[52:53], 1, v52
	v_add_u16_e32 v57, v54, v51
	v_add_u16_e32 v51, v54, v51
	v_cndmask_b32_e64 v52, v53, 1, s[52:53]
	v_lshlrev_b32_e32 v53, 16, v52
	v_or_b32_e32 v54, v53, v51
	v_mov_b32_e32 v53, v52
	v_mov_b32_e32 v51, v57
.LBB241_214:
	s_or_b64 exec, exec, s[54:55]
	v_mov_b32_dpp v56, v54 row_shr:8 row_mask:0xf bank_mask:0xf
	v_cmp_lt_u32_e64 s[52:53], 7, v55
	s_and_saveexec_b64 s[54:55], s[52:53]
	s_cbranch_execz .LBB241_216
; %bb.215:
	v_mov_b32_e32 v52, 0
	v_cmp_eq_u16_sdwa s[52:53], v53, v52 src0_sel:BYTE_0 src1_sel:DWORD
	v_and_b32_e32 v52, 1, v53
	v_mov_b32_e32 v53, 1
	v_cndmask_b32_e64 v54, 0, v56, s[52:53]
	v_and_b32_sdwa v53, v56, v53 dst_sel:DWORD dst_unused:UNUSED_PAD src0_sel:WORD_1 src1_sel:DWORD
	v_cmp_eq_u32_e64 s[52:53], 1, v52
	v_add_u16_e32 v55, v54, v51
	v_add_u16_e32 v51, v54, v51
	v_cndmask_b32_e64 v52, v53, 1, s[52:53]
	v_lshlrev_b32_e32 v53, 16, v52
	v_or_b32_e32 v54, v53, v51
	v_mov_b32_e32 v53, v52
	v_mov_b32_e32 v51, v55
.LBB241_216:
	s_or_b64 exec, exec, s[54:55]
	v_and_b32_e32 v56, 16, v34
	v_mov_b32_dpp v55, v54 row_bcast:15 row_mask:0xf bank_mask:0xf
	v_cmp_ne_u32_e64 s[52:53], 0, v56
	s_and_saveexec_b64 s[54:55], s[52:53]
	s_cbranch_execz .LBB241_218
; %bb.217:
	v_mov_b32_e32 v52, 0
	v_cmp_eq_u16_sdwa s[52:53], v53, v52 src0_sel:BYTE_0 src1_sel:DWORD
	v_and_b32_e32 v52, 1, v53
	v_mov_b32_e32 v53, 1
	v_cndmask_b32_e64 v54, 0, v55, s[52:53]
	v_and_b32_sdwa v53, v55, v53 dst_sel:DWORD dst_unused:UNUSED_PAD src0_sel:WORD_1 src1_sel:DWORD
	v_cmp_eq_u32_e64 s[52:53], 1, v52
	v_add_u16_e32 v56, v54, v51
	v_add_u16_e32 v51, v54, v51
	v_cndmask_b32_e64 v52, v53, 1, s[52:53]
	v_lshlrev_b32_e32 v53, 16, v52
	v_or_b32_e32 v54, v53, v51
	v_mov_b32_e32 v51, v56
	v_mov_b32_e32 v53, v52
.LBB241_218:
	s_or_b64 exec, exec, s[54:55]
	v_mov_b32_dpp v54, v54 row_bcast:31 row_mask:0xf bank_mask:0xf
	v_cmp_lt_u32_e64 s[52:53], 31, v34
	s_and_saveexec_b64 s[54:55], s[52:53]
; %bb.219:
	v_mov_b32_e32 v52, 0
	v_cmp_eq_u16_sdwa s[52:53], v53, v52 src0_sel:BYTE_0 src1_sel:DWORD
	s_nop 1
	v_cndmask_b32_e64 v52, 0, v54, s[52:53]
	v_add_u16_e32 v51, v52, v51
	v_and_b32_e32 v52, 1, v53
	v_mov_b32_e32 v53, 1
	v_and_b32_sdwa v53, v54, v53 dst_sel:DWORD dst_unused:UNUSED_PAD src0_sel:WORD_1 src1_sel:DWORD
	v_cmp_eq_u32_e64 s[52:53], 1, v52
	s_nop 1
	v_cndmask_b32_e64 v52, v53, 1, s[52:53]
; %bb.220:
	s_or_b64 exec, exec, s[54:55]
	v_or_b32_e32 v54, 63, v0
	v_lshrrev_b32_e32 v53, 6, v0
	v_cmp_eq_u32_e64 s[52:53], v54, v0
	s_and_saveexec_b64 s[54:55], s[52:53]
	s_cbranch_execz .LBB241_222
; %bb.221:
	v_lshlrev_b32_e32 v54, 2, v53
	ds_write_b16 v54, v51
	ds_write_b8 v54, v52 offset:2
.LBB241_222:
	s_or_b64 exec, exec, s[54:55]
	v_cmp_gt_u32_e64 s[52:53], 4, v0
	s_waitcnt lgkmcnt(0)
	s_barrier
	s_and_saveexec_b64 s[54:55], s[52:53]
	s_cbranch_execz .LBB241_228
; %bb.223:
	v_lshlrev_b32_e32 v54, 2, v0
	ds_read_b32 v55, v54
	v_and_b32_e32 v58, 3, v34
	v_cmp_ne_u32_e64 s[52:53], 0, v58
	s_waitcnt lgkmcnt(0)
	v_lshrrev_b32_e32 v57, 16, v55
	v_mov_b32_dpp v59, v55 row_shr:1 row_mask:0xf bank_mask:0xf
	v_mov_b32_e32 v56, v55
	s_and_saveexec_b64 s[56:57], s[52:53]
	s_cbranch_execz .LBB241_225
; %bb.224:
	v_mov_b32_e32 v56, 0
	v_cmp_eq_u16_sdwa s[52:53], v57, v56 src0_sel:BYTE_0 src1_sel:DWORD
	v_and_b32_e32 v57, 0x10000, v55
	v_mov_b32_e32 v62, 1
	v_cndmask_b32_e64 v61, 0, v59, s[52:53]
	v_and_b32_sdwa v59, v59, v62 dst_sel:DWORD dst_unused:UNUSED_PAD src0_sel:WORD_1 src1_sel:DWORD
	v_cmp_ne_u32_e64 s[52:53], 0, v57
	v_and_b32_e32 v60, 0xff000000, v55
	v_add_u16_e32 v56, v61, v55
	v_cndmask_b32_e64 v57, v59, 1, s[52:53]
	v_lshlrev_b32_e32 v59, 16, v57
	v_add_u16_e32 v55, v61, v55
	v_or3_b32 v55, v59, v60, v55
.LBB241_225:
	s_or_b64 exec, exec, s[56:57]
	s_nop 0
	v_mov_b32_dpp v59, v55 row_shr:2 row_mask:0xf bank_mask:0xf
	v_cmp_lt_u32_e64 s[52:53], 1, v58
	s_and_saveexec_b64 s[56:57], s[52:53]
; %bb.226:
	v_and_b32_e32 v57, 0xff0000, v55
	v_cmp_eq_u32_e64 s[52:53], 0, v57
	v_and_b32_e32 v55, 0x10000, v55
	s_nop 0
	v_cndmask_b32_e64 v57, 0, v59, s[52:53]
	v_add_u16_e32 v56, v57, v56
	v_mov_b32_e32 v57, 1
	v_and_b32_sdwa v57, v59, v57 dst_sel:DWORD dst_unused:UNUSED_PAD src0_sel:WORD_1 src1_sel:DWORD
	v_cmp_eq_u32_e64 s[52:53], 0, v55
	s_nop 1
	v_cndmask_b32_e64 v57, 1, v57, s[52:53]
; %bb.227:
	s_or_b64 exec, exec, s[56:57]
	ds_write_b16 v54, v56
	ds_write_b8 v54, v57 offset:2
.LBB241_228:
	s_or_b64 exec, exec, s[54:55]
	v_cmp_lt_u32_e64 s[52:53], 63, v0
	v_mov_b32_e32 v54, 0
	s_waitcnt lgkmcnt(0)
	s_barrier
	s_and_saveexec_b64 s[54:55], s[52:53]
	s_cbranch_execz .LBB241_230
; %bb.229:
	v_lshl_add_u32 v53, v53, 2, -4
	ds_read_u16 v54, v53
	ds_read_u8 v53, v53 offset:2
	v_mov_b32_e32 v55, 0
	v_and_b32_e32 v56, 1, v52
	v_cmp_eq_u16_sdwa s[52:53], v52, v55 src0_sel:BYTE_0 src1_sel:DWORD
	s_waitcnt lgkmcnt(1)
	s_nop 0
	v_cndmask_b32_e64 v52, 0, v54, s[52:53]
	v_cmp_eq_u32_e64 s[52:53], 1, v56
	v_add_u16_e32 v51, v52, v51
	s_waitcnt lgkmcnt(0)
	v_cndmask_b32_e64 v52, v53, 1, s[52:53]
.LBB241_230:
	s_or_b64 exec, exec, s[54:55]
	v_and_b32_e32 v52, 0xff, v52
	v_and_b32_e32 v51, 0xffff, v51
	v_lshl_or_b32 v51, v52, 16, v51
	v_add_u32_e32 v52, -1, v34
	v_and_b32_e32 v53, 64, v34
	v_cmp_lt_i32_e64 s[52:53], v52, v53
	s_nop 1
	v_cndmask_b32_e64 v52, v52, v34, s[52:53]
	v_lshlrev_b32_e32 v52, 2, v52
	ds_bpermute_b32 v51, v52, v51
	s_and_saveexec_b64 s[52:53], s[2:3]
	s_cbranch_execz .LBB241_232
; %bb.231:
	v_cmp_eq_u32_e64 s[2:3], 0, v34
	v_and_b32_e32 v25, 0xff0000, v1
	v_mov_b32_e32 v50, 0
	s_waitcnt lgkmcnt(0)
	v_cndmask_b32_e64 v24, v51, v54, s[2:3]
	v_and_b32_e32 v24, 0xffff, v24
	v_cmp_eq_u32_e64 s[2:3], 0, v25
	;;#ASMSTART
	;;#ASMEND
	s_nop 1
	v_cndmask_b32_e64 v24, 0, v24, s[2:3]
	v_add_u32_e32 v1, v24, v1
	v_cndmask_b32_e64 v24, 0, v1, s[4:5]
	v_add_u16_e32 v24, v24, v18
	v_cndmask_b32_e64 v18, 0, v24, s[6:7]
	v_add_u16_e32 v25, v18, v19
	;; [unrolled: 2-line block ×23, first 2 shown]
.LBB241_232:
	s_or_b64 exec, exec, s[52:53]
	s_and_saveexec_b64 s[2:3], vcc
	s_cbranch_execz .LBB241_234
; %bb.233:
	v_mov_b32_e32 v4, 0
	ds_read_u8 v2, v4 offset:14
	ds_read_u16 v3, v4 offset:12
	s_waitcnt lgkmcnt(1)
	v_lshlrev_b32_e32 v2, 16, v2
	s_waitcnt lgkmcnt(0)
	v_or_b32_e32 v2, v2, v3
	v_mov_b32_e32 v3, 2
	global_store_dwordx2 v4, v[2:3], s[68:69] offset:512 sc1
.LBB241_234:
	s_or_b64 exec, exec, s[2:3]
	v_lshl_or_b32 v50, v50, 16, v1
.LBB241_235:
	s_add_u32 s2, s58, s72
	s_addc_u32 s3, s59, s73
	s_add_u32 s2, s2, s64
	s_addc_u32 s3, s3, s65
	s_and_b64 vcc, exec, s[0:1]
	v_mul_u32_u24_e32 v4, 24, v0
	s_cbranch_vccz .LBB241_285
; %bb.236:
	s_add_i32 s33, s33, s70
	v_cmp_le_u32_e32 vcc, s33, v4
	v_or_b32_e32 v8, 1, v4
	v_or_b32_e32 v7, 2, v4
	;; [unrolled: 1-line block ×7, first 2 shown]
	s_and_saveexec_b64 s[0:1], vcc
	s_xor_b64 s[0:1], exec, s[0:1]
; %bb.237:
	v_or_b32_e32 v8, 1, v4
	v_or_b32_e32 v7, 2, v4
	;; [unrolled: 1-line block ×7, first 2 shown]
; %bb.238:
	s_andn2_saveexec_b64 s[0:1], s[0:1]
	s_or_b64 exec, exec, s[0:1]
	v_lshlrev_b32_e32 v39, 1, v4
	v_lshlrev_b32_e32 v8, 1, v8
	;; [unrolled: 1-line block ×4, first 2 shown]
	s_mov_b32 s0, 0x5040100
	s_waitcnt lgkmcnt(0)
	s_barrier
	ds_write_b16 v39, v50
	ds_write_b16 v8, v24
	ds_write_b16 v7, v25
	ds_write_b16 v6, v26
	v_lshlrev_b32_e32 v5, 1, v5
	v_lshlrev_b32_e32 v3, 1, v3
	;; [unrolled: 1-line block ×4, first 2 shown]
	v_perm_b32 v9, v42, v40, s0
	v_perm_b32 v8, v37, v36, s0
	;; [unrolled: 1-line block ×4, first 2 shown]
	ds_write_b16 v5, v27
	ds_write_b16 v3, v28
	;; [unrolled: 1-line block ×4, first 2 shown]
	ds_write_b128 v39, v[6:9] offset:16
	v_perm_b32 v9, v49, v48, s0
	v_perm_b32 v8, v47, v46, s0
	;; [unrolled: 1-line block ×4, first 2 shown]
	s_movk_i32 s0, 0xffd2
	v_mad_i32_i24 v2, v0, s0, v39
	ds_write_b128 v39, v[6:9] offset:32
	s_waitcnt lgkmcnt(0)
	s_barrier
	ds_read_u16 v53, v2 offset:512
	ds_read_u16 v52, v2 offset:1024
	;; [unrolled: 1-line block ×23, first 2 shown]
	v_mov_b32_e32 v23, 0
	v_lshl_add_u64 v[2:3], s[2:3], 0, v[22:23]
	v_cmp_gt_u32_e32 vcc, s33, v0
	s_and_saveexec_b64 s[0:1], vcc
	s_cbranch_execz .LBB241_240
; %bb.239:
	v_mul_i32_i24_e32 v54, 0xffffffd2, v0
	v_add_u32_e32 v39, v39, v54
	ds_read_u16 v39, v39
	s_waitcnt lgkmcnt(0)
	flat_store_short v[2:3], v39
.LBB241_240:
	s_or_b64 exec, exec, s[0:1]
	v_or_b32_e32 v39, 0x100, v0
	v_cmp_gt_u32_e32 vcc, s33, v39
	s_and_saveexec_b64 s[0:1], vcc
	s_cbranch_execz .LBB241_242
; %bb.241:
	s_waitcnt lgkmcnt(0)
	flat_store_short v[2:3], v53 offset:512
.LBB241_242:
	s_or_b64 exec, exec, s[0:1]
	v_or_b32_e32 v39, 0x200, v0
	v_cmp_gt_u32_e32 vcc, s33, v39
	s_and_saveexec_b64 s[0:1], vcc
	s_cbranch_execz .LBB241_244
; %bb.243:
	s_waitcnt lgkmcnt(0)
	flat_store_short v[2:3], v52 offset:1024
.LBB241_244:
	;; [unrolled: 9-line block ×4, first 2 shown]
	s_or_b64 exec, exec, s[0:1]
	s_waitcnt lgkmcnt(0)
	v_or_b32_e32 v38, 0x500, v0
	v_cmp_gt_u32_e32 vcc, s33, v38
	s_and_saveexec_b64 s[0:1], vcc
	s_cbranch_execz .LBB241_250
; %bb.249:
	flat_store_short v[2:3], v34 offset:2560
.LBB241_250:
	s_or_b64 exec, exec, s[0:1]
	v_or_b32_e32 v34, 0x600, v0
	v_cmp_gt_u32_e32 vcc, s33, v34
	s_and_saveexec_b64 s[0:1], vcc
	s_cbranch_execz .LBB241_252
; %bb.251:
	flat_store_short v[2:3], v21 offset:3072
.LBB241_252:
	s_or_b64 exec, exec, s[0:1]
	;; [unrolled: 8-line block ×3, first 2 shown]
	v_or_b32_e32 v20, 0x800, v0
	v_cmp_gt_u32_e32 vcc, s33, v20
	s_and_saveexec_b64 s[0:1], vcc
	s_cbranch_execz .LBB241_256
; %bb.255:
	v_add_co_u32_e32 v20, vcc, 0x1000, v2
	s_nop 1
	v_addc_co_u32_e32 v21, vcc, 0, v3, vcc
	flat_store_short v[20:21], v19
.LBB241_256:
	s_or_b64 exec, exec, s[0:1]
	v_or_b32_e32 v19, 0x900, v0
	v_cmp_gt_u32_e32 vcc, s33, v19
	s_and_saveexec_b64 s[0:1], vcc
	s_cbranch_execz .LBB241_258
; %bb.257:
	v_add_co_u32_e32 v20, vcc, 0x1000, v2
	s_nop 1
	v_addc_co_u32_e32 v21, vcc, 0, v3, vcc
	flat_store_short v[20:21], v18 offset:512
.LBB241_258:
	s_or_b64 exec, exec, s[0:1]
	v_or_b32_e32 v18, 0xa00, v0
	v_cmp_gt_u32_e32 vcc, s33, v18
	s_and_saveexec_b64 s[0:1], vcc
	s_cbranch_execz .LBB241_260
; %bb.259:
	v_add_co_u32_e32 v18, vcc, 0x1000, v2
	s_nop 1
	v_addc_co_u32_e32 v19, vcc, 0, v3, vcc
	flat_store_short v[18:19], v17 offset:1024
.LBB241_260:
	;; [unrolled: 11-line block ×7, first 2 shown]
	s_or_b64 exec, exec, s[0:1]
	v_or_b32_e32 v12, 0x1000, v0
	v_cmp_gt_u32_e32 vcc, s33, v12
	s_and_saveexec_b64 s[0:1], vcc
	s_cbranch_execz .LBB241_272
; %bb.271:
	v_add_co_u32_e32 v12, vcc, 0x2000, v2
	s_nop 1
	v_addc_co_u32_e32 v13, vcc, 0, v3, vcc
	flat_store_short v[12:13], v11
.LBB241_272:
	s_or_b64 exec, exec, s[0:1]
	v_or_b32_e32 v11, 0x1100, v0
	v_cmp_gt_u32_e32 vcc, s33, v11
	s_and_saveexec_b64 s[0:1], vcc
	s_cbranch_execz .LBB241_274
; %bb.273:
	v_add_co_u32_e32 v12, vcc, 0x2000, v2
	s_nop 1
	v_addc_co_u32_e32 v13, vcc, 0, v3, vcc
	flat_store_short v[12:13], v10 offset:512
.LBB241_274:
	s_or_b64 exec, exec, s[0:1]
	v_or_b32_e32 v10, 0x1200, v0
	v_cmp_gt_u32_e32 vcc, s33, v10
	s_and_saveexec_b64 s[0:1], vcc
	s_cbranch_execz .LBB241_276
; %bb.275:
	v_add_co_u32_e32 v10, vcc, 0x2000, v2
	s_nop 1
	v_addc_co_u32_e32 v11, vcc, 0, v3, vcc
	flat_store_short v[10:11], v9 offset:1024
.LBB241_276:
	;; [unrolled: 11-line block ×6, first 2 shown]
	s_or_b64 exec, exec, s[0:1]
	v_or_b32_e32 v2, 0x1700, v0
	v_mov_b32_e32 v1, v23
	v_cmp_gt_u32_e64 s[0:1], s33, v2
	s_branch .LBB241_287
.LBB241_285:
	s_mov_b64 s[0:1], 0
                                        ; implicit-def: $vgpr5
	s_cbranch_execz .LBB241_287
; %bb.286:
	s_mov_b32 s4, 0x5040100
	v_lshlrev_b32_e32 v6, 1, v4
	v_perm_b32 v5, v31, v29, s4
	v_perm_b32 v4, v28, v27, s4
	;; [unrolled: 1-line block ×4, first 2 shown]
	s_waitcnt lgkmcnt(0)
	s_barrier
	ds_write_b128 v6, v[2:5]
	v_perm_b32 v5, v42, v40, s4
	v_perm_b32 v4, v37, v36, s4
	;; [unrolled: 1-line block ×4, first 2 shown]
	ds_write_b128 v6, v[2:5] offset:16
	v_perm_b32 v4, v47, v46, s4
	v_perm_b32 v3, v45, v44, s4
	;; [unrolled: 1-line block ×4, first 2 shown]
	v_mov_b32_e32 v1, 0
	s_movk_i32 s4, 0xffd2
	ds_write_b128 v6, v[2:5] offset:32
	v_mad_i32_i24 v2, v0, s4, v6
	v_mov_b32_e32 v23, v1
	s_waitcnt lgkmcnt(0)
	s_barrier
	ds_read_u16 v4, v2
	ds_read_u16 v6, v2 offset:512
	ds_read_u16 v7, v2 offset:1024
	;; [unrolled: 1-line block ×23, first 2 shown]
	v_lshl_add_u64 v[2:3], s[2:3], 0, v[22:23]
	s_movk_i32 s4, 0x1000
	s_waitcnt lgkmcnt(0)
	flat_store_short v[2:3], v4
	flat_store_short v[2:3], v6 offset:512
	flat_store_short v[2:3], v7 offset:1024
	;; [unrolled: 1-line block ×7, first 2 shown]
	v_add_co_u32_e32 v6, vcc, s4, v2
	s_or_b64 s[0:1], s[0:1], exec
	s_nop 0
	v_addc_co_u32_e32 v7, vcc, 0, v3, vcc
	v_add_co_u32_e32 v2, vcc, 0x2000, v2
	flat_store_short v[6:7], v13
	flat_store_short v[6:7], v14 offset:512
	flat_store_short v[6:7], v15 offset:1024
	;; [unrolled: 1-line block ×7, first 2 shown]
	v_addc_co_u32_e32 v3, vcc, 0, v3, vcc
	flat_store_short v[2:3], v21
	flat_store_short v[2:3], v24 offset:512
	flat_store_short v[2:3], v25 offset:1024
	;; [unrolled: 1-line block ×6, first 2 shown]
.LBB241_287:
	s_and_saveexec_b64 s[4:5], s[0:1]
	s_cbranch_execnz .LBB241_289
; %bb.288:
	s_endpgm
.LBB241_289:
	v_lshl_add_u64 v[0:1], v[0:1], 1, s[2:3]
	v_add_co_u32_e32 v0, vcc, 0x2000, v0
	s_nop 1
	v_addc_co_u32_e32 v1, vcc, 0, v1, vcc
	flat_store_short v[0:1], v5 offset:3584
	s_endpgm
.LBB241_290:
	v_lshl_add_u64 v[52:53], s[54:55], 0, v[36:37]
	flat_load_ushort v1, v[52:53]
	s_or_b64 exec, exec, s[60:61]
                                        ; implicit-def: $vgpr51
	s_and_saveexec_b64 s[52:53], s[4:5]
	s_cbranch_execz .LBB241_57
.LBB241_291:
	v_mov_b32_e32 v37, 0
	v_lshl_add_u64 v[52:53], s[54:55], 0, v[36:37]
	flat_load_ushort v51, v[52:53] offset:512
	s_or_b64 exec, exec, s[52:53]
                                        ; implicit-def: $vgpr52
	s_and_saveexec_b64 s[4:5], s[6:7]
	s_cbranch_execz .LBB241_58
.LBB241_292:
	v_mov_b32_e32 v37, 0
	v_lshl_add_u64 v[52:53], s[54:55], 0, v[36:37]
	flat_load_ushort v52, v[52:53] offset:1024
	s_or_b64 exec, exec, s[4:5]
                                        ; implicit-def: $vgpr53
	s_and_saveexec_b64 s[4:5], s[8:9]
	s_cbranch_execz .LBB241_59
.LBB241_293:
	v_mov_b32_e32 v37, 0
	v_lshl_add_u64 v[54:55], s[54:55], 0, v[36:37]
	flat_load_ushort v53, v[54:55] offset:1536
	s_or_b64 exec, exec, s[4:5]
                                        ; implicit-def: $vgpr54
	s_and_saveexec_b64 s[4:5], s[10:11]
	s_cbranch_execz .LBB241_60
.LBB241_294:
	v_mov_b32_e32 v37, 0
	v_lshl_add_u64 v[54:55], s[54:55], 0, v[36:37]
	flat_load_ushort v54, v[54:55] offset:2048
	s_or_b64 exec, exec, s[4:5]
                                        ; implicit-def: $vgpr55
	s_and_saveexec_b64 s[4:5], s[12:13]
	s_cbranch_execz .LBB241_61
.LBB241_295:
	v_mov_b32_e32 v37, 0
	v_lshl_add_u64 v[56:57], s[54:55], 0, v[36:37]
	flat_load_ushort v55, v[56:57] offset:2560
	s_or_b64 exec, exec, s[4:5]
                                        ; implicit-def: $vgpr56
	s_and_saveexec_b64 s[4:5], s[14:15]
	s_cbranch_execz .LBB241_62
.LBB241_296:
	v_mov_b32_e32 v37, 0
	v_lshl_add_u64 v[56:57], s[54:55], 0, v[36:37]
	flat_load_ushort v56, v[56:57] offset:3072
	s_or_b64 exec, exec, s[4:5]
                                        ; implicit-def: $vgpr37
	s_and_saveexec_b64 s[4:5], s[16:17]
	s_cbranch_execz .LBB241_63
.LBB241_297:
	v_mov_b32_e32 v37, 0
	v_lshl_add_u64 v[58:59], s[54:55], 0, v[36:37]
	flat_load_ushort v37, v[58:59] offset:3584
	s_or_b64 exec, exec, s[4:5]
                                        ; implicit-def: $vgpr3
	s_and_saveexec_b64 s[4:5], s[18:19]
	s_cbranch_execz .LBB241_64
.LBB241_298:
	v_mov_b32_e32 v3, 0
	v_lshl_add_u64 v[2:3], s[54:55], 0, v[2:3]
	flat_load_ushort v3, v[2:3]
	s_or_b64 exec, exec, s[4:5]
                                        ; implicit-def: $vgpr2
	s_and_saveexec_b64 s[4:5], s[20:21]
	s_cbranch_execz .LBB241_65
.LBB241_299:
	v_mov_b32_e32 v5, 0
	v_lshl_add_u64 v[4:5], s[54:55], 0, v[4:5]
	flat_load_ushort v2, v[4:5]
	s_or_b64 exec, exec, s[4:5]
                                        ; implicit-def: $vgpr4
	s_and_saveexec_b64 s[4:5], s[22:23]
	s_cbranch_execz .LBB241_66
.LBB241_300:
	v_mov_b32_e32 v7, 0
	v_lshl_add_u64 v[4:5], s[54:55], 0, v[6:7]
	flat_load_ushort v4, v[4:5]
	s_or_b64 exec, exec, s[4:5]
                                        ; implicit-def: $vgpr5
	s_and_saveexec_b64 s[4:5], s[24:25]
	s_cbranch_execz .LBB241_67
.LBB241_301:
	v_mov_b32_e32 v9, 0
	v_lshl_add_u64 v[6:7], s[54:55], 0, v[8:9]
	flat_load_ushort v5, v[6:7]
	s_or_b64 exec, exec, s[4:5]
                                        ; implicit-def: $vgpr6
	s_and_saveexec_b64 s[4:5], s[26:27]
	s_cbranch_execz .LBB241_68
.LBB241_302:
	v_mov_b32_e32 v11, 0
	v_lshl_add_u64 v[6:7], s[54:55], 0, v[10:11]
	flat_load_ushort v6, v[6:7]
	s_or_b64 exec, exec, s[4:5]
                                        ; implicit-def: $vgpr7
	s_and_saveexec_b64 s[4:5], s[28:29]
	s_cbranch_execz .LBB241_69
.LBB241_303:
	v_mov_b32_e32 v13, 0
	v_lshl_add_u64 v[8:9], s[54:55], 0, v[12:13]
	flat_load_ushort v7, v[8:9]
	s_or_b64 exec, exec, s[4:5]
                                        ; implicit-def: $vgpr8
	s_and_saveexec_b64 s[4:5], s[30:31]
	s_cbranch_execz .LBB241_70
.LBB241_304:
	v_mov_b32_e32 v15, 0
	v_lshl_add_u64 v[8:9], s[54:55], 0, v[14:15]
	flat_load_ushort v8, v[8:9]
	s_or_b64 exec, exec, s[4:5]
                                        ; implicit-def: $vgpr9
	s_and_saveexec_b64 s[4:5], s[34:35]
	s_cbranch_execz .LBB241_71
.LBB241_305:
	v_mov_b32_e32 v17, 0
	v_lshl_add_u64 v[10:11], s[54:55], 0, v[16:17]
	flat_load_ushort v9, v[10:11]
	s_or_b64 exec, exec, s[4:5]
                                        ; implicit-def: $vgpr10
	s_and_saveexec_b64 s[4:5], s[36:37]
	s_cbranch_execz .LBB241_72
.LBB241_306:
	v_mov_b32_e32 v19, 0
	v_lshl_add_u64 v[10:11], s[54:55], 0, v[18:19]
	flat_load_ushort v10, v[10:11]
	s_or_b64 exec, exec, s[4:5]
                                        ; implicit-def: $vgpr11
	s_and_saveexec_b64 s[4:5], s[38:39]
	s_cbranch_execz .LBB241_73
.LBB241_307:
	v_mov_b32_e32 v21, 0
	v_lshl_add_u64 v[12:13], s[54:55], 0, v[20:21]
	flat_load_ushort v11, v[12:13]
	s_or_b64 exec, exec, s[4:5]
                                        ; implicit-def: $vgpr12
	s_and_saveexec_b64 s[4:5], s[40:41]
	s_cbranch_execz .LBB241_74
.LBB241_308:
	v_mov_b32_e32 v35, 0
	v_lshl_add_u64 v[12:13], s[54:55], 0, v[34:35]
	flat_load_ushort v12, v[12:13]
	s_or_b64 exec, exec, s[4:5]
                                        ; implicit-def: $vgpr13
	s_and_saveexec_b64 s[4:5], s[42:43]
	s_cbranch_execz .LBB241_75
.LBB241_309:
	v_mov_b32_e32 v39, 0
	v_lshl_add_u64 v[14:15], s[54:55], 0, v[38:39]
	flat_load_ushort v13, v[14:15]
	s_or_b64 exec, exec, s[4:5]
                                        ; implicit-def: $vgpr14
	s_and_saveexec_b64 s[4:5], s[44:45]
	s_cbranch_execz .LBB241_76
.LBB241_310:
	v_mov_b32_e32 v41, 0
	v_lshl_add_u64 v[14:15], s[54:55], 0, v[40:41]
	flat_load_ushort v14, v[14:15]
	s_or_b64 exec, exec, s[4:5]
                                        ; implicit-def: $vgpr15
	s_and_saveexec_b64 s[4:5], s[46:47]
	s_cbranch_execz .LBB241_77
.LBB241_311:
	v_mov_b32_e32 v43, 0
	v_lshl_add_u64 v[16:17], s[54:55], 0, v[42:43]
	flat_load_ushort v15, v[16:17]
	s_or_b64 exec, exec, s[4:5]
                                        ; implicit-def: $vgpr16
	s_and_saveexec_b64 s[4:5], s[48:49]
	s_cbranch_execz .LBB241_78
.LBB241_312:
	v_mov_b32_e32 v45, 0
	v_lshl_add_u64 v[16:17], s[54:55], 0, v[44:45]
	flat_load_ushort v16, v[16:17]
	s_or_b64 exec, exec, s[4:5]
                                        ; implicit-def: $vgpr17
	s_and_saveexec_b64 s[4:5], s[50:51]
	s_cbranch_execnz .LBB241_79
	s_branch .LBB241_80
.LBB241_313:
                                        ; implicit-def: $sgpr60_sgpr61
	s_branch .LBB241_52
.LBB241_314:
                                        ; implicit-def: $sgpr4_sgpr5
	s_branch .LBB241_131
	.section	.rodata,"a",@progbits
	.p2align	6, 0x0
	.amdhsa_kernel _ZN7rocprim17ROCPRIM_400000_NS6detail17trampoline_kernelINS0_14default_configENS1_27scan_by_key_config_selectorIssEEZZNS1_16scan_by_key_implILNS1_25lookback_scan_determinismE0ELb0ES3_N6thrust23THRUST_200600_302600_NS6detail15normal_iteratorINS9_10device_ptrIsEEEESE_SE_sNS9_4plusIvEENS9_8equal_toIvEEsEE10hipError_tPvRmT2_T3_T4_T5_mT6_T7_P12ihipStream_tbENKUlT_T0_E_clISt17integral_constantIbLb0EESZ_EEDaSU_SV_EUlSU_E_NS1_11comp_targetILNS1_3genE5ELNS1_11target_archE942ELNS1_3gpuE9ELNS1_3repE0EEENS1_30default_config_static_selectorELNS0_4arch9wavefront6targetE1EEEvT1_
		.amdhsa_group_segment_fixed_size 13312
		.amdhsa_private_segment_fixed_size 0
		.amdhsa_kernarg_size 112
		.amdhsa_user_sgpr_count 2
		.amdhsa_user_sgpr_dispatch_ptr 0
		.amdhsa_user_sgpr_queue_ptr 0
		.amdhsa_user_sgpr_kernarg_segment_ptr 1
		.amdhsa_user_sgpr_dispatch_id 0
		.amdhsa_user_sgpr_kernarg_preload_length 0
		.amdhsa_user_sgpr_kernarg_preload_offset 0
		.amdhsa_user_sgpr_private_segment_size 0
		.amdhsa_uses_dynamic_stack 0
		.amdhsa_enable_private_segment 0
		.amdhsa_system_sgpr_workgroup_id_x 1
		.amdhsa_system_sgpr_workgroup_id_y 0
		.amdhsa_system_sgpr_workgroup_id_z 0
		.amdhsa_system_sgpr_workgroup_info 0
		.amdhsa_system_vgpr_workitem_id 0
		.amdhsa_next_free_vgpr 63
		.amdhsa_next_free_sgpr 88
		.amdhsa_accum_offset 64
		.amdhsa_reserve_vcc 1
		.amdhsa_float_round_mode_32 0
		.amdhsa_float_round_mode_16_64 0
		.amdhsa_float_denorm_mode_32 3
		.amdhsa_float_denorm_mode_16_64 3
		.amdhsa_dx10_clamp 1
		.amdhsa_ieee_mode 1
		.amdhsa_fp16_overflow 0
		.amdhsa_tg_split 0
		.amdhsa_exception_fp_ieee_invalid_op 0
		.amdhsa_exception_fp_denorm_src 0
		.amdhsa_exception_fp_ieee_div_zero 0
		.amdhsa_exception_fp_ieee_overflow 0
		.amdhsa_exception_fp_ieee_underflow 0
		.amdhsa_exception_fp_ieee_inexact 0
		.amdhsa_exception_int_div_zero 0
	.end_amdhsa_kernel
	.section	.text._ZN7rocprim17ROCPRIM_400000_NS6detail17trampoline_kernelINS0_14default_configENS1_27scan_by_key_config_selectorIssEEZZNS1_16scan_by_key_implILNS1_25lookback_scan_determinismE0ELb0ES3_N6thrust23THRUST_200600_302600_NS6detail15normal_iteratorINS9_10device_ptrIsEEEESE_SE_sNS9_4plusIvEENS9_8equal_toIvEEsEE10hipError_tPvRmT2_T3_T4_T5_mT6_T7_P12ihipStream_tbENKUlT_T0_E_clISt17integral_constantIbLb0EESZ_EEDaSU_SV_EUlSU_E_NS1_11comp_targetILNS1_3genE5ELNS1_11target_archE942ELNS1_3gpuE9ELNS1_3repE0EEENS1_30default_config_static_selectorELNS0_4arch9wavefront6targetE1EEEvT1_,"axG",@progbits,_ZN7rocprim17ROCPRIM_400000_NS6detail17trampoline_kernelINS0_14default_configENS1_27scan_by_key_config_selectorIssEEZZNS1_16scan_by_key_implILNS1_25lookback_scan_determinismE0ELb0ES3_N6thrust23THRUST_200600_302600_NS6detail15normal_iteratorINS9_10device_ptrIsEEEESE_SE_sNS9_4plusIvEENS9_8equal_toIvEEsEE10hipError_tPvRmT2_T3_T4_T5_mT6_T7_P12ihipStream_tbENKUlT_T0_E_clISt17integral_constantIbLb0EESZ_EEDaSU_SV_EUlSU_E_NS1_11comp_targetILNS1_3genE5ELNS1_11target_archE942ELNS1_3gpuE9ELNS1_3repE0EEENS1_30default_config_static_selectorELNS0_4arch9wavefront6targetE1EEEvT1_,comdat
.Lfunc_end241:
	.size	_ZN7rocprim17ROCPRIM_400000_NS6detail17trampoline_kernelINS0_14default_configENS1_27scan_by_key_config_selectorIssEEZZNS1_16scan_by_key_implILNS1_25lookback_scan_determinismE0ELb0ES3_N6thrust23THRUST_200600_302600_NS6detail15normal_iteratorINS9_10device_ptrIsEEEESE_SE_sNS9_4plusIvEENS9_8equal_toIvEEsEE10hipError_tPvRmT2_T3_T4_T5_mT6_T7_P12ihipStream_tbENKUlT_T0_E_clISt17integral_constantIbLb0EESZ_EEDaSU_SV_EUlSU_E_NS1_11comp_targetILNS1_3genE5ELNS1_11target_archE942ELNS1_3gpuE9ELNS1_3repE0EEENS1_30default_config_static_selectorELNS0_4arch9wavefront6targetE1EEEvT1_, .Lfunc_end241-_ZN7rocprim17ROCPRIM_400000_NS6detail17trampoline_kernelINS0_14default_configENS1_27scan_by_key_config_selectorIssEEZZNS1_16scan_by_key_implILNS1_25lookback_scan_determinismE0ELb0ES3_N6thrust23THRUST_200600_302600_NS6detail15normal_iteratorINS9_10device_ptrIsEEEESE_SE_sNS9_4plusIvEENS9_8equal_toIvEEsEE10hipError_tPvRmT2_T3_T4_T5_mT6_T7_P12ihipStream_tbENKUlT_T0_E_clISt17integral_constantIbLb0EESZ_EEDaSU_SV_EUlSU_E_NS1_11comp_targetILNS1_3genE5ELNS1_11target_archE942ELNS1_3gpuE9ELNS1_3repE0EEENS1_30default_config_static_selectorELNS0_4arch9wavefront6targetE1EEEvT1_
                                        ; -- End function
	.section	.AMDGPU.csdata,"",@progbits
; Kernel info:
; codeLenInByte = 16116
; NumSgprs: 94
; NumVgprs: 63
; NumAgprs: 0
; TotalNumVgprs: 63
; ScratchSize: 0
; MemoryBound: 0
; FloatMode: 240
; IeeeMode: 1
; LDSByteSize: 13312 bytes/workgroup (compile time only)
; SGPRBlocks: 11
; VGPRBlocks: 7
; NumSGPRsForWavesPerEU: 94
; NumVGPRsForWavesPerEU: 63
; AccumOffset: 64
; Occupancy: 4
; WaveLimiterHint : 1
; COMPUTE_PGM_RSRC2:SCRATCH_EN: 0
; COMPUTE_PGM_RSRC2:USER_SGPR: 2
; COMPUTE_PGM_RSRC2:TRAP_HANDLER: 0
; COMPUTE_PGM_RSRC2:TGID_X_EN: 1
; COMPUTE_PGM_RSRC2:TGID_Y_EN: 0
; COMPUTE_PGM_RSRC2:TGID_Z_EN: 0
; COMPUTE_PGM_RSRC2:TIDIG_COMP_CNT: 0
; COMPUTE_PGM_RSRC3_GFX90A:ACCUM_OFFSET: 15
; COMPUTE_PGM_RSRC3_GFX90A:TG_SPLIT: 0
	.section	.text._ZN7rocprim17ROCPRIM_400000_NS6detail17trampoline_kernelINS0_14default_configENS1_27scan_by_key_config_selectorIssEEZZNS1_16scan_by_key_implILNS1_25lookback_scan_determinismE0ELb0ES3_N6thrust23THRUST_200600_302600_NS6detail15normal_iteratorINS9_10device_ptrIsEEEESE_SE_sNS9_4plusIvEENS9_8equal_toIvEEsEE10hipError_tPvRmT2_T3_T4_T5_mT6_T7_P12ihipStream_tbENKUlT_T0_E_clISt17integral_constantIbLb0EESZ_EEDaSU_SV_EUlSU_E_NS1_11comp_targetILNS1_3genE4ELNS1_11target_archE910ELNS1_3gpuE8ELNS1_3repE0EEENS1_30default_config_static_selectorELNS0_4arch9wavefront6targetE1EEEvT1_,"axG",@progbits,_ZN7rocprim17ROCPRIM_400000_NS6detail17trampoline_kernelINS0_14default_configENS1_27scan_by_key_config_selectorIssEEZZNS1_16scan_by_key_implILNS1_25lookback_scan_determinismE0ELb0ES3_N6thrust23THRUST_200600_302600_NS6detail15normal_iteratorINS9_10device_ptrIsEEEESE_SE_sNS9_4plusIvEENS9_8equal_toIvEEsEE10hipError_tPvRmT2_T3_T4_T5_mT6_T7_P12ihipStream_tbENKUlT_T0_E_clISt17integral_constantIbLb0EESZ_EEDaSU_SV_EUlSU_E_NS1_11comp_targetILNS1_3genE4ELNS1_11target_archE910ELNS1_3gpuE8ELNS1_3repE0EEENS1_30default_config_static_selectorELNS0_4arch9wavefront6targetE1EEEvT1_,comdat
	.protected	_ZN7rocprim17ROCPRIM_400000_NS6detail17trampoline_kernelINS0_14default_configENS1_27scan_by_key_config_selectorIssEEZZNS1_16scan_by_key_implILNS1_25lookback_scan_determinismE0ELb0ES3_N6thrust23THRUST_200600_302600_NS6detail15normal_iteratorINS9_10device_ptrIsEEEESE_SE_sNS9_4plusIvEENS9_8equal_toIvEEsEE10hipError_tPvRmT2_T3_T4_T5_mT6_T7_P12ihipStream_tbENKUlT_T0_E_clISt17integral_constantIbLb0EESZ_EEDaSU_SV_EUlSU_E_NS1_11comp_targetILNS1_3genE4ELNS1_11target_archE910ELNS1_3gpuE8ELNS1_3repE0EEENS1_30default_config_static_selectorELNS0_4arch9wavefront6targetE1EEEvT1_ ; -- Begin function _ZN7rocprim17ROCPRIM_400000_NS6detail17trampoline_kernelINS0_14default_configENS1_27scan_by_key_config_selectorIssEEZZNS1_16scan_by_key_implILNS1_25lookback_scan_determinismE0ELb0ES3_N6thrust23THRUST_200600_302600_NS6detail15normal_iteratorINS9_10device_ptrIsEEEESE_SE_sNS9_4plusIvEENS9_8equal_toIvEEsEE10hipError_tPvRmT2_T3_T4_T5_mT6_T7_P12ihipStream_tbENKUlT_T0_E_clISt17integral_constantIbLb0EESZ_EEDaSU_SV_EUlSU_E_NS1_11comp_targetILNS1_3genE4ELNS1_11target_archE910ELNS1_3gpuE8ELNS1_3repE0EEENS1_30default_config_static_selectorELNS0_4arch9wavefront6targetE1EEEvT1_
	.globl	_ZN7rocprim17ROCPRIM_400000_NS6detail17trampoline_kernelINS0_14default_configENS1_27scan_by_key_config_selectorIssEEZZNS1_16scan_by_key_implILNS1_25lookback_scan_determinismE0ELb0ES3_N6thrust23THRUST_200600_302600_NS6detail15normal_iteratorINS9_10device_ptrIsEEEESE_SE_sNS9_4plusIvEENS9_8equal_toIvEEsEE10hipError_tPvRmT2_T3_T4_T5_mT6_T7_P12ihipStream_tbENKUlT_T0_E_clISt17integral_constantIbLb0EESZ_EEDaSU_SV_EUlSU_E_NS1_11comp_targetILNS1_3genE4ELNS1_11target_archE910ELNS1_3gpuE8ELNS1_3repE0EEENS1_30default_config_static_selectorELNS0_4arch9wavefront6targetE1EEEvT1_
	.p2align	8
	.type	_ZN7rocprim17ROCPRIM_400000_NS6detail17trampoline_kernelINS0_14default_configENS1_27scan_by_key_config_selectorIssEEZZNS1_16scan_by_key_implILNS1_25lookback_scan_determinismE0ELb0ES3_N6thrust23THRUST_200600_302600_NS6detail15normal_iteratorINS9_10device_ptrIsEEEESE_SE_sNS9_4plusIvEENS9_8equal_toIvEEsEE10hipError_tPvRmT2_T3_T4_T5_mT6_T7_P12ihipStream_tbENKUlT_T0_E_clISt17integral_constantIbLb0EESZ_EEDaSU_SV_EUlSU_E_NS1_11comp_targetILNS1_3genE4ELNS1_11target_archE910ELNS1_3gpuE8ELNS1_3repE0EEENS1_30default_config_static_selectorELNS0_4arch9wavefront6targetE1EEEvT1_,@function
_ZN7rocprim17ROCPRIM_400000_NS6detail17trampoline_kernelINS0_14default_configENS1_27scan_by_key_config_selectorIssEEZZNS1_16scan_by_key_implILNS1_25lookback_scan_determinismE0ELb0ES3_N6thrust23THRUST_200600_302600_NS6detail15normal_iteratorINS9_10device_ptrIsEEEESE_SE_sNS9_4plusIvEENS9_8equal_toIvEEsEE10hipError_tPvRmT2_T3_T4_T5_mT6_T7_P12ihipStream_tbENKUlT_T0_E_clISt17integral_constantIbLb0EESZ_EEDaSU_SV_EUlSU_E_NS1_11comp_targetILNS1_3genE4ELNS1_11target_archE910ELNS1_3gpuE8ELNS1_3repE0EEENS1_30default_config_static_selectorELNS0_4arch9wavefront6targetE1EEEvT1_: ; @_ZN7rocprim17ROCPRIM_400000_NS6detail17trampoline_kernelINS0_14default_configENS1_27scan_by_key_config_selectorIssEEZZNS1_16scan_by_key_implILNS1_25lookback_scan_determinismE0ELb0ES3_N6thrust23THRUST_200600_302600_NS6detail15normal_iteratorINS9_10device_ptrIsEEEESE_SE_sNS9_4plusIvEENS9_8equal_toIvEEsEE10hipError_tPvRmT2_T3_T4_T5_mT6_T7_P12ihipStream_tbENKUlT_T0_E_clISt17integral_constantIbLb0EESZ_EEDaSU_SV_EUlSU_E_NS1_11comp_targetILNS1_3genE4ELNS1_11target_archE910ELNS1_3gpuE8ELNS1_3repE0EEENS1_30default_config_static_selectorELNS0_4arch9wavefront6targetE1EEEvT1_
; %bb.0:
	.section	.rodata,"a",@progbits
	.p2align	6, 0x0
	.amdhsa_kernel _ZN7rocprim17ROCPRIM_400000_NS6detail17trampoline_kernelINS0_14default_configENS1_27scan_by_key_config_selectorIssEEZZNS1_16scan_by_key_implILNS1_25lookback_scan_determinismE0ELb0ES3_N6thrust23THRUST_200600_302600_NS6detail15normal_iteratorINS9_10device_ptrIsEEEESE_SE_sNS9_4plusIvEENS9_8equal_toIvEEsEE10hipError_tPvRmT2_T3_T4_T5_mT6_T7_P12ihipStream_tbENKUlT_T0_E_clISt17integral_constantIbLb0EESZ_EEDaSU_SV_EUlSU_E_NS1_11comp_targetILNS1_3genE4ELNS1_11target_archE910ELNS1_3gpuE8ELNS1_3repE0EEENS1_30default_config_static_selectorELNS0_4arch9wavefront6targetE1EEEvT1_
		.amdhsa_group_segment_fixed_size 0
		.amdhsa_private_segment_fixed_size 0
		.amdhsa_kernarg_size 112
		.amdhsa_user_sgpr_count 2
		.amdhsa_user_sgpr_dispatch_ptr 0
		.amdhsa_user_sgpr_queue_ptr 0
		.amdhsa_user_sgpr_kernarg_segment_ptr 1
		.amdhsa_user_sgpr_dispatch_id 0
		.amdhsa_user_sgpr_kernarg_preload_length 0
		.amdhsa_user_sgpr_kernarg_preload_offset 0
		.amdhsa_user_sgpr_private_segment_size 0
		.amdhsa_uses_dynamic_stack 0
		.amdhsa_enable_private_segment 0
		.amdhsa_system_sgpr_workgroup_id_x 1
		.amdhsa_system_sgpr_workgroup_id_y 0
		.amdhsa_system_sgpr_workgroup_id_z 0
		.amdhsa_system_sgpr_workgroup_info 0
		.amdhsa_system_vgpr_workitem_id 0
		.amdhsa_next_free_vgpr 1
		.amdhsa_next_free_sgpr 0
		.amdhsa_accum_offset 4
		.amdhsa_reserve_vcc 0
		.amdhsa_float_round_mode_32 0
		.amdhsa_float_round_mode_16_64 0
		.amdhsa_float_denorm_mode_32 3
		.amdhsa_float_denorm_mode_16_64 3
		.amdhsa_dx10_clamp 1
		.amdhsa_ieee_mode 1
		.amdhsa_fp16_overflow 0
		.amdhsa_tg_split 0
		.amdhsa_exception_fp_ieee_invalid_op 0
		.amdhsa_exception_fp_denorm_src 0
		.amdhsa_exception_fp_ieee_div_zero 0
		.amdhsa_exception_fp_ieee_overflow 0
		.amdhsa_exception_fp_ieee_underflow 0
		.amdhsa_exception_fp_ieee_inexact 0
		.amdhsa_exception_int_div_zero 0
	.end_amdhsa_kernel
	.section	.text._ZN7rocprim17ROCPRIM_400000_NS6detail17trampoline_kernelINS0_14default_configENS1_27scan_by_key_config_selectorIssEEZZNS1_16scan_by_key_implILNS1_25lookback_scan_determinismE0ELb0ES3_N6thrust23THRUST_200600_302600_NS6detail15normal_iteratorINS9_10device_ptrIsEEEESE_SE_sNS9_4plusIvEENS9_8equal_toIvEEsEE10hipError_tPvRmT2_T3_T4_T5_mT6_T7_P12ihipStream_tbENKUlT_T0_E_clISt17integral_constantIbLb0EESZ_EEDaSU_SV_EUlSU_E_NS1_11comp_targetILNS1_3genE4ELNS1_11target_archE910ELNS1_3gpuE8ELNS1_3repE0EEENS1_30default_config_static_selectorELNS0_4arch9wavefront6targetE1EEEvT1_,"axG",@progbits,_ZN7rocprim17ROCPRIM_400000_NS6detail17trampoline_kernelINS0_14default_configENS1_27scan_by_key_config_selectorIssEEZZNS1_16scan_by_key_implILNS1_25lookback_scan_determinismE0ELb0ES3_N6thrust23THRUST_200600_302600_NS6detail15normal_iteratorINS9_10device_ptrIsEEEESE_SE_sNS9_4plusIvEENS9_8equal_toIvEEsEE10hipError_tPvRmT2_T3_T4_T5_mT6_T7_P12ihipStream_tbENKUlT_T0_E_clISt17integral_constantIbLb0EESZ_EEDaSU_SV_EUlSU_E_NS1_11comp_targetILNS1_3genE4ELNS1_11target_archE910ELNS1_3gpuE8ELNS1_3repE0EEENS1_30default_config_static_selectorELNS0_4arch9wavefront6targetE1EEEvT1_,comdat
.Lfunc_end242:
	.size	_ZN7rocprim17ROCPRIM_400000_NS6detail17trampoline_kernelINS0_14default_configENS1_27scan_by_key_config_selectorIssEEZZNS1_16scan_by_key_implILNS1_25lookback_scan_determinismE0ELb0ES3_N6thrust23THRUST_200600_302600_NS6detail15normal_iteratorINS9_10device_ptrIsEEEESE_SE_sNS9_4plusIvEENS9_8equal_toIvEEsEE10hipError_tPvRmT2_T3_T4_T5_mT6_T7_P12ihipStream_tbENKUlT_T0_E_clISt17integral_constantIbLb0EESZ_EEDaSU_SV_EUlSU_E_NS1_11comp_targetILNS1_3genE4ELNS1_11target_archE910ELNS1_3gpuE8ELNS1_3repE0EEENS1_30default_config_static_selectorELNS0_4arch9wavefront6targetE1EEEvT1_, .Lfunc_end242-_ZN7rocprim17ROCPRIM_400000_NS6detail17trampoline_kernelINS0_14default_configENS1_27scan_by_key_config_selectorIssEEZZNS1_16scan_by_key_implILNS1_25lookback_scan_determinismE0ELb0ES3_N6thrust23THRUST_200600_302600_NS6detail15normal_iteratorINS9_10device_ptrIsEEEESE_SE_sNS9_4plusIvEENS9_8equal_toIvEEsEE10hipError_tPvRmT2_T3_T4_T5_mT6_T7_P12ihipStream_tbENKUlT_T0_E_clISt17integral_constantIbLb0EESZ_EEDaSU_SV_EUlSU_E_NS1_11comp_targetILNS1_3genE4ELNS1_11target_archE910ELNS1_3gpuE8ELNS1_3repE0EEENS1_30default_config_static_selectorELNS0_4arch9wavefront6targetE1EEEvT1_
                                        ; -- End function
	.section	.AMDGPU.csdata,"",@progbits
; Kernel info:
; codeLenInByte = 0
; NumSgprs: 6
; NumVgprs: 0
; NumAgprs: 0
; TotalNumVgprs: 0
; ScratchSize: 0
; MemoryBound: 0
; FloatMode: 240
; IeeeMode: 1
; LDSByteSize: 0 bytes/workgroup (compile time only)
; SGPRBlocks: 0
; VGPRBlocks: 0
; NumSGPRsForWavesPerEU: 6
; NumVGPRsForWavesPerEU: 1
; AccumOffset: 4
; Occupancy: 8
; WaveLimiterHint : 0
; COMPUTE_PGM_RSRC2:SCRATCH_EN: 0
; COMPUTE_PGM_RSRC2:USER_SGPR: 2
; COMPUTE_PGM_RSRC2:TRAP_HANDLER: 0
; COMPUTE_PGM_RSRC2:TGID_X_EN: 1
; COMPUTE_PGM_RSRC2:TGID_Y_EN: 0
; COMPUTE_PGM_RSRC2:TGID_Z_EN: 0
; COMPUTE_PGM_RSRC2:TIDIG_COMP_CNT: 0
; COMPUTE_PGM_RSRC3_GFX90A:ACCUM_OFFSET: 0
; COMPUTE_PGM_RSRC3_GFX90A:TG_SPLIT: 0
	.section	.text._ZN7rocprim17ROCPRIM_400000_NS6detail17trampoline_kernelINS0_14default_configENS1_27scan_by_key_config_selectorIssEEZZNS1_16scan_by_key_implILNS1_25lookback_scan_determinismE0ELb0ES3_N6thrust23THRUST_200600_302600_NS6detail15normal_iteratorINS9_10device_ptrIsEEEESE_SE_sNS9_4plusIvEENS9_8equal_toIvEEsEE10hipError_tPvRmT2_T3_T4_T5_mT6_T7_P12ihipStream_tbENKUlT_T0_E_clISt17integral_constantIbLb0EESZ_EEDaSU_SV_EUlSU_E_NS1_11comp_targetILNS1_3genE3ELNS1_11target_archE908ELNS1_3gpuE7ELNS1_3repE0EEENS1_30default_config_static_selectorELNS0_4arch9wavefront6targetE1EEEvT1_,"axG",@progbits,_ZN7rocprim17ROCPRIM_400000_NS6detail17trampoline_kernelINS0_14default_configENS1_27scan_by_key_config_selectorIssEEZZNS1_16scan_by_key_implILNS1_25lookback_scan_determinismE0ELb0ES3_N6thrust23THRUST_200600_302600_NS6detail15normal_iteratorINS9_10device_ptrIsEEEESE_SE_sNS9_4plusIvEENS9_8equal_toIvEEsEE10hipError_tPvRmT2_T3_T4_T5_mT6_T7_P12ihipStream_tbENKUlT_T0_E_clISt17integral_constantIbLb0EESZ_EEDaSU_SV_EUlSU_E_NS1_11comp_targetILNS1_3genE3ELNS1_11target_archE908ELNS1_3gpuE7ELNS1_3repE0EEENS1_30default_config_static_selectorELNS0_4arch9wavefront6targetE1EEEvT1_,comdat
	.protected	_ZN7rocprim17ROCPRIM_400000_NS6detail17trampoline_kernelINS0_14default_configENS1_27scan_by_key_config_selectorIssEEZZNS1_16scan_by_key_implILNS1_25lookback_scan_determinismE0ELb0ES3_N6thrust23THRUST_200600_302600_NS6detail15normal_iteratorINS9_10device_ptrIsEEEESE_SE_sNS9_4plusIvEENS9_8equal_toIvEEsEE10hipError_tPvRmT2_T3_T4_T5_mT6_T7_P12ihipStream_tbENKUlT_T0_E_clISt17integral_constantIbLb0EESZ_EEDaSU_SV_EUlSU_E_NS1_11comp_targetILNS1_3genE3ELNS1_11target_archE908ELNS1_3gpuE7ELNS1_3repE0EEENS1_30default_config_static_selectorELNS0_4arch9wavefront6targetE1EEEvT1_ ; -- Begin function _ZN7rocprim17ROCPRIM_400000_NS6detail17trampoline_kernelINS0_14default_configENS1_27scan_by_key_config_selectorIssEEZZNS1_16scan_by_key_implILNS1_25lookback_scan_determinismE0ELb0ES3_N6thrust23THRUST_200600_302600_NS6detail15normal_iteratorINS9_10device_ptrIsEEEESE_SE_sNS9_4plusIvEENS9_8equal_toIvEEsEE10hipError_tPvRmT2_T3_T4_T5_mT6_T7_P12ihipStream_tbENKUlT_T0_E_clISt17integral_constantIbLb0EESZ_EEDaSU_SV_EUlSU_E_NS1_11comp_targetILNS1_3genE3ELNS1_11target_archE908ELNS1_3gpuE7ELNS1_3repE0EEENS1_30default_config_static_selectorELNS0_4arch9wavefront6targetE1EEEvT1_
	.globl	_ZN7rocprim17ROCPRIM_400000_NS6detail17trampoline_kernelINS0_14default_configENS1_27scan_by_key_config_selectorIssEEZZNS1_16scan_by_key_implILNS1_25lookback_scan_determinismE0ELb0ES3_N6thrust23THRUST_200600_302600_NS6detail15normal_iteratorINS9_10device_ptrIsEEEESE_SE_sNS9_4plusIvEENS9_8equal_toIvEEsEE10hipError_tPvRmT2_T3_T4_T5_mT6_T7_P12ihipStream_tbENKUlT_T0_E_clISt17integral_constantIbLb0EESZ_EEDaSU_SV_EUlSU_E_NS1_11comp_targetILNS1_3genE3ELNS1_11target_archE908ELNS1_3gpuE7ELNS1_3repE0EEENS1_30default_config_static_selectorELNS0_4arch9wavefront6targetE1EEEvT1_
	.p2align	8
	.type	_ZN7rocprim17ROCPRIM_400000_NS6detail17trampoline_kernelINS0_14default_configENS1_27scan_by_key_config_selectorIssEEZZNS1_16scan_by_key_implILNS1_25lookback_scan_determinismE0ELb0ES3_N6thrust23THRUST_200600_302600_NS6detail15normal_iteratorINS9_10device_ptrIsEEEESE_SE_sNS9_4plusIvEENS9_8equal_toIvEEsEE10hipError_tPvRmT2_T3_T4_T5_mT6_T7_P12ihipStream_tbENKUlT_T0_E_clISt17integral_constantIbLb0EESZ_EEDaSU_SV_EUlSU_E_NS1_11comp_targetILNS1_3genE3ELNS1_11target_archE908ELNS1_3gpuE7ELNS1_3repE0EEENS1_30default_config_static_selectorELNS0_4arch9wavefront6targetE1EEEvT1_,@function
_ZN7rocprim17ROCPRIM_400000_NS6detail17trampoline_kernelINS0_14default_configENS1_27scan_by_key_config_selectorIssEEZZNS1_16scan_by_key_implILNS1_25lookback_scan_determinismE0ELb0ES3_N6thrust23THRUST_200600_302600_NS6detail15normal_iteratorINS9_10device_ptrIsEEEESE_SE_sNS9_4plusIvEENS9_8equal_toIvEEsEE10hipError_tPvRmT2_T3_T4_T5_mT6_T7_P12ihipStream_tbENKUlT_T0_E_clISt17integral_constantIbLb0EESZ_EEDaSU_SV_EUlSU_E_NS1_11comp_targetILNS1_3genE3ELNS1_11target_archE908ELNS1_3gpuE7ELNS1_3repE0EEENS1_30default_config_static_selectorELNS0_4arch9wavefront6targetE1EEEvT1_: ; @_ZN7rocprim17ROCPRIM_400000_NS6detail17trampoline_kernelINS0_14default_configENS1_27scan_by_key_config_selectorIssEEZZNS1_16scan_by_key_implILNS1_25lookback_scan_determinismE0ELb0ES3_N6thrust23THRUST_200600_302600_NS6detail15normal_iteratorINS9_10device_ptrIsEEEESE_SE_sNS9_4plusIvEENS9_8equal_toIvEEsEE10hipError_tPvRmT2_T3_T4_T5_mT6_T7_P12ihipStream_tbENKUlT_T0_E_clISt17integral_constantIbLb0EESZ_EEDaSU_SV_EUlSU_E_NS1_11comp_targetILNS1_3genE3ELNS1_11target_archE908ELNS1_3gpuE7ELNS1_3repE0EEENS1_30default_config_static_selectorELNS0_4arch9wavefront6targetE1EEEvT1_
; %bb.0:
	.section	.rodata,"a",@progbits
	.p2align	6, 0x0
	.amdhsa_kernel _ZN7rocprim17ROCPRIM_400000_NS6detail17trampoline_kernelINS0_14default_configENS1_27scan_by_key_config_selectorIssEEZZNS1_16scan_by_key_implILNS1_25lookback_scan_determinismE0ELb0ES3_N6thrust23THRUST_200600_302600_NS6detail15normal_iteratorINS9_10device_ptrIsEEEESE_SE_sNS9_4plusIvEENS9_8equal_toIvEEsEE10hipError_tPvRmT2_T3_T4_T5_mT6_T7_P12ihipStream_tbENKUlT_T0_E_clISt17integral_constantIbLb0EESZ_EEDaSU_SV_EUlSU_E_NS1_11comp_targetILNS1_3genE3ELNS1_11target_archE908ELNS1_3gpuE7ELNS1_3repE0EEENS1_30default_config_static_selectorELNS0_4arch9wavefront6targetE1EEEvT1_
		.amdhsa_group_segment_fixed_size 0
		.amdhsa_private_segment_fixed_size 0
		.amdhsa_kernarg_size 112
		.amdhsa_user_sgpr_count 2
		.amdhsa_user_sgpr_dispatch_ptr 0
		.amdhsa_user_sgpr_queue_ptr 0
		.amdhsa_user_sgpr_kernarg_segment_ptr 1
		.amdhsa_user_sgpr_dispatch_id 0
		.amdhsa_user_sgpr_kernarg_preload_length 0
		.amdhsa_user_sgpr_kernarg_preload_offset 0
		.amdhsa_user_sgpr_private_segment_size 0
		.amdhsa_uses_dynamic_stack 0
		.amdhsa_enable_private_segment 0
		.amdhsa_system_sgpr_workgroup_id_x 1
		.amdhsa_system_sgpr_workgroup_id_y 0
		.amdhsa_system_sgpr_workgroup_id_z 0
		.amdhsa_system_sgpr_workgroup_info 0
		.amdhsa_system_vgpr_workitem_id 0
		.amdhsa_next_free_vgpr 1
		.amdhsa_next_free_sgpr 0
		.amdhsa_accum_offset 4
		.amdhsa_reserve_vcc 0
		.amdhsa_float_round_mode_32 0
		.amdhsa_float_round_mode_16_64 0
		.amdhsa_float_denorm_mode_32 3
		.amdhsa_float_denorm_mode_16_64 3
		.amdhsa_dx10_clamp 1
		.amdhsa_ieee_mode 1
		.amdhsa_fp16_overflow 0
		.amdhsa_tg_split 0
		.amdhsa_exception_fp_ieee_invalid_op 0
		.amdhsa_exception_fp_denorm_src 0
		.amdhsa_exception_fp_ieee_div_zero 0
		.amdhsa_exception_fp_ieee_overflow 0
		.amdhsa_exception_fp_ieee_underflow 0
		.amdhsa_exception_fp_ieee_inexact 0
		.amdhsa_exception_int_div_zero 0
	.end_amdhsa_kernel
	.section	.text._ZN7rocprim17ROCPRIM_400000_NS6detail17trampoline_kernelINS0_14default_configENS1_27scan_by_key_config_selectorIssEEZZNS1_16scan_by_key_implILNS1_25lookback_scan_determinismE0ELb0ES3_N6thrust23THRUST_200600_302600_NS6detail15normal_iteratorINS9_10device_ptrIsEEEESE_SE_sNS9_4plusIvEENS9_8equal_toIvEEsEE10hipError_tPvRmT2_T3_T4_T5_mT6_T7_P12ihipStream_tbENKUlT_T0_E_clISt17integral_constantIbLb0EESZ_EEDaSU_SV_EUlSU_E_NS1_11comp_targetILNS1_3genE3ELNS1_11target_archE908ELNS1_3gpuE7ELNS1_3repE0EEENS1_30default_config_static_selectorELNS0_4arch9wavefront6targetE1EEEvT1_,"axG",@progbits,_ZN7rocprim17ROCPRIM_400000_NS6detail17trampoline_kernelINS0_14default_configENS1_27scan_by_key_config_selectorIssEEZZNS1_16scan_by_key_implILNS1_25lookback_scan_determinismE0ELb0ES3_N6thrust23THRUST_200600_302600_NS6detail15normal_iteratorINS9_10device_ptrIsEEEESE_SE_sNS9_4plusIvEENS9_8equal_toIvEEsEE10hipError_tPvRmT2_T3_T4_T5_mT6_T7_P12ihipStream_tbENKUlT_T0_E_clISt17integral_constantIbLb0EESZ_EEDaSU_SV_EUlSU_E_NS1_11comp_targetILNS1_3genE3ELNS1_11target_archE908ELNS1_3gpuE7ELNS1_3repE0EEENS1_30default_config_static_selectorELNS0_4arch9wavefront6targetE1EEEvT1_,comdat
.Lfunc_end243:
	.size	_ZN7rocprim17ROCPRIM_400000_NS6detail17trampoline_kernelINS0_14default_configENS1_27scan_by_key_config_selectorIssEEZZNS1_16scan_by_key_implILNS1_25lookback_scan_determinismE0ELb0ES3_N6thrust23THRUST_200600_302600_NS6detail15normal_iteratorINS9_10device_ptrIsEEEESE_SE_sNS9_4plusIvEENS9_8equal_toIvEEsEE10hipError_tPvRmT2_T3_T4_T5_mT6_T7_P12ihipStream_tbENKUlT_T0_E_clISt17integral_constantIbLb0EESZ_EEDaSU_SV_EUlSU_E_NS1_11comp_targetILNS1_3genE3ELNS1_11target_archE908ELNS1_3gpuE7ELNS1_3repE0EEENS1_30default_config_static_selectorELNS0_4arch9wavefront6targetE1EEEvT1_, .Lfunc_end243-_ZN7rocprim17ROCPRIM_400000_NS6detail17trampoline_kernelINS0_14default_configENS1_27scan_by_key_config_selectorIssEEZZNS1_16scan_by_key_implILNS1_25lookback_scan_determinismE0ELb0ES3_N6thrust23THRUST_200600_302600_NS6detail15normal_iteratorINS9_10device_ptrIsEEEESE_SE_sNS9_4plusIvEENS9_8equal_toIvEEsEE10hipError_tPvRmT2_T3_T4_T5_mT6_T7_P12ihipStream_tbENKUlT_T0_E_clISt17integral_constantIbLb0EESZ_EEDaSU_SV_EUlSU_E_NS1_11comp_targetILNS1_3genE3ELNS1_11target_archE908ELNS1_3gpuE7ELNS1_3repE0EEENS1_30default_config_static_selectorELNS0_4arch9wavefront6targetE1EEEvT1_
                                        ; -- End function
	.section	.AMDGPU.csdata,"",@progbits
; Kernel info:
; codeLenInByte = 0
; NumSgprs: 6
; NumVgprs: 0
; NumAgprs: 0
; TotalNumVgprs: 0
; ScratchSize: 0
; MemoryBound: 0
; FloatMode: 240
; IeeeMode: 1
; LDSByteSize: 0 bytes/workgroup (compile time only)
; SGPRBlocks: 0
; VGPRBlocks: 0
; NumSGPRsForWavesPerEU: 6
; NumVGPRsForWavesPerEU: 1
; AccumOffset: 4
; Occupancy: 8
; WaveLimiterHint : 0
; COMPUTE_PGM_RSRC2:SCRATCH_EN: 0
; COMPUTE_PGM_RSRC2:USER_SGPR: 2
; COMPUTE_PGM_RSRC2:TRAP_HANDLER: 0
; COMPUTE_PGM_RSRC2:TGID_X_EN: 1
; COMPUTE_PGM_RSRC2:TGID_Y_EN: 0
; COMPUTE_PGM_RSRC2:TGID_Z_EN: 0
; COMPUTE_PGM_RSRC2:TIDIG_COMP_CNT: 0
; COMPUTE_PGM_RSRC3_GFX90A:ACCUM_OFFSET: 0
; COMPUTE_PGM_RSRC3_GFX90A:TG_SPLIT: 0
	.section	.text._ZN7rocprim17ROCPRIM_400000_NS6detail17trampoline_kernelINS0_14default_configENS1_27scan_by_key_config_selectorIssEEZZNS1_16scan_by_key_implILNS1_25lookback_scan_determinismE0ELb0ES3_N6thrust23THRUST_200600_302600_NS6detail15normal_iteratorINS9_10device_ptrIsEEEESE_SE_sNS9_4plusIvEENS9_8equal_toIvEEsEE10hipError_tPvRmT2_T3_T4_T5_mT6_T7_P12ihipStream_tbENKUlT_T0_E_clISt17integral_constantIbLb0EESZ_EEDaSU_SV_EUlSU_E_NS1_11comp_targetILNS1_3genE2ELNS1_11target_archE906ELNS1_3gpuE6ELNS1_3repE0EEENS1_30default_config_static_selectorELNS0_4arch9wavefront6targetE1EEEvT1_,"axG",@progbits,_ZN7rocprim17ROCPRIM_400000_NS6detail17trampoline_kernelINS0_14default_configENS1_27scan_by_key_config_selectorIssEEZZNS1_16scan_by_key_implILNS1_25lookback_scan_determinismE0ELb0ES3_N6thrust23THRUST_200600_302600_NS6detail15normal_iteratorINS9_10device_ptrIsEEEESE_SE_sNS9_4plusIvEENS9_8equal_toIvEEsEE10hipError_tPvRmT2_T3_T4_T5_mT6_T7_P12ihipStream_tbENKUlT_T0_E_clISt17integral_constantIbLb0EESZ_EEDaSU_SV_EUlSU_E_NS1_11comp_targetILNS1_3genE2ELNS1_11target_archE906ELNS1_3gpuE6ELNS1_3repE0EEENS1_30default_config_static_selectorELNS0_4arch9wavefront6targetE1EEEvT1_,comdat
	.protected	_ZN7rocprim17ROCPRIM_400000_NS6detail17trampoline_kernelINS0_14default_configENS1_27scan_by_key_config_selectorIssEEZZNS1_16scan_by_key_implILNS1_25lookback_scan_determinismE0ELb0ES3_N6thrust23THRUST_200600_302600_NS6detail15normal_iteratorINS9_10device_ptrIsEEEESE_SE_sNS9_4plusIvEENS9_8equal_toIvEEsEE10hipError_tPvRmT2_T3_T4_T5_mT6_T7_P12ihipStream_tbENKUlT_T0_E_clISt17integral_constantIbLb0EESZ_EEDaSU_SV_EUlSU_E_NS1_11comp_targetILNS1_3genE2ELNS1_11target_archE906ELNS1_3gpuE6ELNS1_3repE0EEENS1_30default_config_static_selectorELNS0_4arch9wavefront6targetE1EEEvT1_ ; -- Begin function _ZN7rocprim17ROCPRIM_400000_NS6detail17trampoline_kernelINS0_14default_configENS1_27scan_by_key_config_selectorIssEEZZNS1_16scan_by_key_implILNS1_25lookback_scan_determinismE0ELb0ES3_N6thrust23THRUST_200600_302600_NS6detail15normal_iteratorINS9_10device_ptrIsEEEESE_SE_sNS9_4plusIvEENS9_8equal_toIvEEsEE10hipError_tPvRmT2_T3_T4_T5_mT6_T7_P12ihipStream_tbENKUlT_T0_E_clISt17integral_constantIbLb0EESZ_EEDaSU_SV_EUlSU_E_NS1_11comp_targetILNS1_3genE2ELNS1_11target_archE906ELNS1_3gpuE6ELNS1_3repE0EEENS1_30default_config_static_selectorELNS0_4arch9wavefront6targetE1EEEvT1_
	.globl	_ZN7rocprim17ROCPRIM_400000_NS6detail17trampoline_kernelINS0_14default_configENS1_27scan_by_key_config_selectorIssEEZZNS1_16scan_by_key_implILNS1_25lookback_scan_determinismE0ELb0ES3_N6thrust23THRUST_200600_302600_NS6detail15normal_iteratorINS9_10device_ptrIsEEEESE_SE_sNS9_4plusIvEENS9_8equal_toIvEEsEE10hipError_tPvRmT2_T3_T4_T5_mT6_T7_P12ihipStream_tbENKUlT_T0_E_clISt17integral_constantIbLb0EESZ_EEDaSU_SV_EUlSU_E_NS1_11comp_targetILNS1_3genE2ELNS1_11target_archE906ELNS1_3gpuE6ELNS1_3repE0EEENS1_30default_config_static_selectorELNS0_4arch9wavefront6targetE1EEEvT1_
	.p2align	8
	.type	_ZN7rocprim17ROCPRIM_400000_NS6detail17trampoline_kernelINS0_14default_configENS1_27scan_by_key_config_selectorIssEEZZNS1_16scan_by_key_implILNS1_25lookback_scan_determinismE0ELb0ES3_N6thrust23THRUST_200600_302600_NS6detail15normal_iteratorINS9_10device_ptrIsEEEESE_SE_sNS9_4plusIvEENS9_8equal_toIvEEsEE10hipError_tPvRmT2_T3_T4_T5_mT6_T7_P12ihipStream_tbENKUlT_T0_E_clISt17integral_constantIbLb0EESZ_EEDaSU_SV_EUlSU_E_NS1_11comp_targetILNS1_3genE2ELNS1_11target_archE906ELNS1_3gpuE6ELNS1_3repE0EEENS1_30default_config_static_selectorELNS0_4arch9wavefront6targetE1EEEvT1_,@function
_ZN7rocprim17ROCPRIM_400000_NS6detail17trampoline_kernelINS0_14default_configENS1_27scan_by_key_config_selectorIssEEZZNS1_16scan_by_key_implILNS1_25lookback_scan_determinismE0ELb0ES3_N6thrust23THRUST_200600_302600_NS6detail15normal_iteratorINS9_10device_ptrIsEEEESE_SE_sNS9_4plusIvEENS9_8equal_toIvEEsEE10hipError_tPvRmT2_T3_T4_T5_mT6_T7_P12ihipStream_tbENKUlT_T0_E_clISt17integral_constantIbLb0EESZ_EEDaSU_SV_EUlSU_E_NS1_11comp_targetILNS1_3genE2ELNS1_11target_archE906ELNS1_3gpuE6ELNS1_3repE0EEENS1_30default_config_static_selectorELNS0_4arch9wavefront6targetE1EEEvT1_: ; @_ZN7rocprim17ROCPRIM_400000_NS6detail17trampoline_kernelINS0_14default_configENS1_27scan_by_key_config_selectorIssEEZZNS1_16scan_by_key_implILNS1_25lookback_scan_determinismE0ELb0ES3_N6thrust23THRUST_200600_302600_NS6detail15normal_iteratorINS9_10device_ptrIsEEEESE_SE_sNS9_4plusIvEENS9_8equal_toIvEEsEE10hipError_tPvRmT2_T3_T4_T5_mT6_T7_P12ihipStream_tbENKUlT_T0_E_clISt17integral_constantIbLb0EESZ_EEDaSU_SV_EUlSU_E_NS1_11comp_targetILNS1_3genE2ELNS1_11target_archE906ELNS1_3gpuE6ELNS1_3repE0EEENS1_30default_config_static_selectorELNS0_4arch9wavefront6targetE1EEEvT1_
; %bb.0:
	.section	.rodata,"a",@progbits
	.p2align	6, 0x0
	.amdhsa_kernel _ZN7rocprim17ROCPRIM_400000_NS6detail17trampoline_kernelINS0_14default_configENS1_27scan_by_key_config_selectorIssEEZZNS1_16scan_by_key_implILNS1_25lookback_scan_determinismE0ELb0ES3_N6thrust23THRUST_200600_302600_NS6detail15normal_iteratorINS9_10device_ptrIsEEEESE_SE_sNS9_4plusIvEENS9_8equal_toIvEEsEE10hipError_tPvRmT2_T3_T4_T5_mT6_T7_P12ihipStream_tbENKUlT_T0_E_clISt17integral_constantIbLb0EESZ_EEDaSU_SV_EUlSU_E_NS1_11comp_targetILNS1_3genE2ELNS1_11target_archE906ELNS1_3gpuE6ELNS1_3repE0EEENS1_30default_config_static_selectorELNS0_4arch9wavefront6targetE1EEEvT1_
		.amdhsa_group_segment_fixed_size 0
		.amdhsa_private_segment_fixed_size 0
		.amdhsa_kernarg_size 112
		.amdhsa_user_sgpr_count 2
		.amdhsa_user_sgpr_dispatch_ptr 0
		.amdhsa_user_sgpr_queue_ptr 0
		.amdhsa_user_sgpr_kernarg_segment_ptr 1
		.amdhsa_user_sgpr_dispatch_id 0
		.amdhsa_user_sgpr_kernarg_preload_length 0
		.amdhsa_user_sgpr_kernarg_preload_offset 0
		.amdhsa_user_sgpr_private_segment_size 0
		.amdhsa_uses_dynamic_stack 0
		.amdhsa_enable_private_segment 0
		.amdhsa_system_sgpr_workgroup_id_x 1
		.amdhsa_system_sgpr_workgroup_id_y 0
		.amdhsa_system_sgpr_workgroup_id_z 0
		.amdhsa_system_sgpr_workgroup_info 0
		.amdhsa_system_vgpr_workitem_id 0
		.amdhsa_next_free_vgpr 1
		.amdhsa_next_free_sgpr 0
		.amdhsa_accum_offset 4
		.amdhsa_reserve_vcc 0
		.amdhsa_float_round_mode_32 0
		.amdhsa_float_round_mode_16_64 0
		.amdhsa_float_denorm_mode_32 3
		.amdhsa_float_denorm_mode_16_64 3
		.amdhsa_dx10_clamp 1
		.amdhsa_ieee_mode 1
		.amdhsa_fp16_overflow 0
		.amdhsa_tg_split 0
		.amdhsa_exception_fp_ieee_invalid_op 0
		.amdhsa_exception_fp_denorm_src 0
		.amdhsa_exception_fp_ieee_div_zero 0
		.amdhsa_exception_fp_ieee_overflow 0
		.amdhsa_exception_fp_ieee_underflow 0
		.amdhsa_exception_fp_ieee_inexact 0
		.amdhsa_exception_int_div_zero 0
	.end_amdhsa_kernel
	.section	.text._ZN7rocprim17ROCPRIM_400000_NS6detail17trampoline_kernelINS0_14default_configENS1_27scan_by_key_config_selectorIssEEZZNS1_16scan_by_key_implILNS1_25lookback_scan_determinismE0ELb0ES3_N6thrust23THRUST_200600_302600_NS6detail15normal_iteratorINS9_10device_ptrIsEEEESE_SE_sNS9_4plusIvEENS9_8equal_toIvEEsEE10hipError_tPvRmT2_T3_T4_T5_mT6_T7_P12ihipStream_tbENKUlT_T0_E_clISt17integral_constantIbLb0EESZ_EEDaSU_SV_EUlSU_E_NS1_11comp_targetILNS1_3genE2ELNS1_11target_archE906ELNS1_3gpuE6ELNS1_3repE0EEENS1_30default_config_static_selectorELNS0_4arch9wavefront6targetE1EEEvT1_,"axG",@progbits,_ZN7rocprim17ROCPRIM_400000_NS6detail17trampoline_kernelINS0_14default_configENS1_27scan_by_key_config_selectorIssEEZZNS1_16scan_by_key_implILNS1_25lookback_scan_determinismE0ELb0ES3_N6thrust23THRUST_200600_302600_NS6detail15normal_iteratorINS9_10device_ptrIsEEEESE_SE_sNS9_4plusIvEENS9_8equal_toIvEEsEE10hipError_tPvRmT2_T3_T4_T5_mT6_T7_P12ihipStream_tbENKUlT_T0_E_clISt17integral_constantIbLb0EESZ_EEDaSU_SV_EUlSU_E_NS1_11comp_targetILNS1_3genE2ELNS1_11target_archE906ELNS1_3gpuE6ELNS1_3repE0EEENS1_30default_config_static_selectorELNS0_4arch9wavefront6targetE1EEEvT1_,comdat
.Lfunc_end244:
	.size	_ZN7rocprim17ROCPRIM_400000_NS6detail17trampoline_kernelINS0_14default_configENS1_27scan_by_key_config_selectorIssEEZZNS1_16scan_by_key_implILNS1_25lookback_scan_determinismE0ELb0ES3_N6thrust23THRUST_200600_302600_NS6detail15normal_iteratorINS9_10device_ptrIsEEEESE_SE_sNS9_4plusIvEENS9_8equal_toIvEEsEE10hipError_tPvRmT2_T3_T4_T5_mT6_T7_P12ihipStream_tbENKUlT_T0_E_clISt17integral_constantIbLb0EESZ_EEDaSU_SV_EUlSU_E_NS1_11comp_targetILNS1_3genE2ELNS1_11target_archE906ELNS1_3gpuE6ELNS1_3repE0EEENS1_30default_config_static_selectorELNS0_4arch9wavefront6targetE1EEEvT1_, .Lfunc_end244-_ZN7rocprim17ROCPRIM_400000_NS6detail17trampoline_kernelINS0_14default_configENS1_27scan_by_key_config_selectorIssEEZZNS1_16scan_by_key_implILNS1_25lookback_scan_determinismE0ELb0ES3_N6thrust23THRUST_200600_302600_NS6detail15normal_iteratorINS9_10device_ptrIsEEEESE_SE_sNS9_4plusIvEENS9_8equal_toIvEEsEE10hipError_tPvRmT2_T3_T4_T5_mT6_T7_P12ihipStream_tbENKUlT_T0_E_clISt17integral_constantIbLb0EESZ_EEDaSU_SV_EUlSU_E_NS1_11comp_targetILNS1_3genE2ELNS1_11target_archE906ELNS1_3gpuE6ELNS1_3repE0EEENS1_30default_config_static_selectorELNS0_4arch9wavefront6targetE1EEEvT1_
                                        ; -- End function
	.section	.AMDGPU.csdata,"",@progbits
; Kernel info:
; codeLenInByte = 0
; NumSgprs: 6
; NumVgprs: 0
; NumAgprs: 0
; TotalNumVgprs: 0
; ScratchSize: 0
; MemoryBound: 0
; FloatMode: 240
; IeeeMode: 1
; LDSByteSize: 0 bytes/workgroup (compile time only)
; SGPRBlocks: 0
; VGPRBlocks: 0
; NumSGPRsForWavesPerEU: 6
; NumVGPRsForWavesPerEU: 1
; AccumOffset: 4
; Occupancy: 8
; WaveLimiterHint : 0
; COMPUTE_PGM_RSRC2:SCRATCH_EN: 0
; COMPUTE_PGM_RSRC2:USER_SGPR: 2
; COMPUTE_PGM_RSRC2:TRAP_HANDLER: 0
; COMPUTE_PGM_RSRC2:TGID_X_EN: 1
; COMPUTE_PGM_RSRC2:TGID_Y_EN: 0
; COMPUTE_PGM_RSRC2:TGID_Z_EN: 0
; COMPUTE_PGM_RSRC2:TIDIG_COMP_CNT: 0
; COMPUTE_PGM_RSRC3_GFX90A:ACCUM_OFFSET: 0
; COMPUTE_PGM_RSRC3_GFX90A:TG_SPLIT: 0
	.section	.text._ZN7rocprim17ROCPRIM_400000_NS6detail17trampoline_kernelINS0_14default_configENS1_27scan_by_key_config_selectorIssEEZZNS1_16scan_by_key_implILNS1_25lookback_scan_determinismE0ELb0ES3_N6thrust23THRUST_200600_302600_NS6detail15normal_iteratorINS9_10device_ptrIsEEEESE_SE_sNS9_4plusIvEENS9_8equal_toIvEEsEE10hipError_tPvRmT2_T3_T4_T5_mT6_T7_P12ihipStream_tbENKUlT_T0_E_clISt17integral_constantIbLb0EESZ_EEDaSU_SV_EUlSU_E_NS1_11comp_targetILNS1_3genE10ELNS1_11target_archE1200ELNS1_3gpuE4ELNS1_3repE0EEENS1_30default_config_static_selectorELNS0_4arch9wavefront6targetE1EEEvT1_,"axG",@progbits,_ZN7rocprim17ROCPRIM_400000_NS6detail17trampoline_kernelINS0_14default_configENS1_27scan_by_key_config_selectorIssEEZZNS1_16scan_by_key_implILNS1_25lookback_scan_determinismE0ELb0ES3_N6thrust23THRUST_200600_302600_NS6detail15normal_iteratorINS9_10device_ptrIsEEEESE_SE_sNS9_4plusIvEENS9_8equal_toIvEEsEE10hipError_tPvRmT2_T3_T4_T5_mT6_T7_P12ihipStream_tbENKUlT_T0_E_clISt17integral_constantIbLb0EESZ_EEDaSU_SV_EUlSU_E_NS1_11comp_targetILNS1_3genE10ELNS1_11target_archE1200ELNS1_3gpuE4ELNS1_3repE0EEENS1_30default_config_static_selectorELNS0_4arch9wavefront6targetE1EEEvT1_,comdat
	.protected	_ZN7rocprim17ROCPRIM_400000_NS6detail17trampoline_kernelINS0_14default_configENS1_27scan_by_key_config_selectorIssEEZZNS1_16scan_by_key_implILNS1_25lookback_scan_determinismE0ELb0ES3_N6thrust23THRUST_200600_302600_NS6detail15normal_iteratorINS9_10device_ptrIsEEEESE_SE_sNS9_4plusIvEENS9_8equal_toIvEEsEE10hipError_tPvRmT2_T3_T4_T5_mT6_T7_P12ihipStream_tbENKUlT_T0_E_clISt17integral_constantIbLb0EESZ_EEDaSU_SV_EUlSU_E_NS1_11comp_targetILNS1_3genE10ELNS1_11target_archE1200ELNS1_3gpuE4ELNS1_3repE0EEENS1_30default_config_static_selectorELNS0_4arch9wavefront6targetE1EEEvT1_ ; -- Begin function _ZN7rocprim17ROCPRIM_400000_NS6detail17trampoline_kernelINS0_14default_configENS1_27scan_by_key_config_selectorIssEEZZNS1_16scan_by_key_implILNS1_25lookback_scan_determinismE0ELb0ES3_N6thrust23THRUST_200600_302600_NS6detail15normal_iteratorINS9_10device_ptrIsEEEESE_SE_sNS9_4plusIvEENS9_8equal_toIvEEsEE10hipError_tPvRmT2_T3_T4_T5_mT6_T7_P12ihipStream_tbENKUlT_T0_E_clISt17integral_constantIbLb0EESZ_EEDaSU_SV_EUlSU_E_NS1_11comp_targetILNS1_3genE10ELNS1_11target_archE1200ELNS1_3gpuE4ELNS1_3repE0EEENS1_30default_config_static_selectorELNS0_4arch9wavefront6targetE1EEEvT1_
	.globl	_ZN7rocprim17ROCPRIM_400000_NS6detail17trampoline_kernelINS0_14default_configENS1_27scan_by_key_config_selectorIssEEZZNS1_16scan_by_key_implILNS1_25lookback_scan_determinismE0ELb0ES3_N6thrust23THRUST_200600_302600_NS6detail15normal_iteratorINS9_10device_ptrIsEEEESE_SE_sNS9_4plusIvEENS9_8equal_toIvEEsEE10hipError_tPvRmT2_T3_T4_T5_mT6_T7_P12ihipStream_tbENKUlT_T0_E_clISt17integral_constantIbLb0EESZ_EEDaSU_SV_EUlSU_E_NS1_11comp_targetILNS1_3genE10ELNS1_11target_archE1200ELNS1_3gpuE4ELNS1_3repE0EEENS1_30default_config_static_selectorELNS0_4arch9wavefront6targetE1EEEvT1_
	.p2align	8
	.type	_ZN7rocprim17ROCPRIM_400000_NS6detail17trampoline_kernelINS0_14default_configENS1_27scan_by_key_config_selectorIssEEZZNS1_16scan_by_key_implILNS1_25lookback_scan_determinismE0ELb0ES3_N6thrust23THRUST_200600_302600_NS6detail15normal_iteratorINS9_10device_ptrIsEEEESE_SE_sNS9_4plusIvEENS9_8equal_toIvEEsEE10hipError_tPvRmT2_T3_T4_T5_mT6_T7_P12ihipStream_tbENKUlT_T0_E_clISt17integral_constantIbLb0EESZ_EEDaSU_SV_EUlSU_E_NS1_11comp_targetILNS1_3genE10ELNS1_11target_archE1200ELNS1_3gpuE4ELNS1_3repE0EEENS1_30default_config_static_selectorELNS0_4arch9wavefront6targetE1EEEvT1_,@function
_ZN7rocprim17ROCPRIM_400000_NS6detail17trampoline_kernelINS0_14default_configENS1_27scan_by_key_config_selectorIssEEZZNS1_16scan_by_key_implILNS1_25lookback_scan_determinismE0ELb0ES3_N6thrust23THRUST_200600_302600_NS6detail15normal_iteratorINS9_10device_ptrIsEEEESE_SE_sNS9_4plusIvEENS9_8equal_toIvEEsEE10hipError_tPvRmT2_T3_T4_T5_mT6_T7_P12ihipStream_tbENKUlT_T0_E_clISt17integral_constantIbLb0EESZ_EEDaSU_SV_EUlSU_E_NS1_11comp_targetILNS1_3genE10ELNS1_11target_archE1200ELNS1_3gpuE4ELNS1_3repE0EEENS1_30default_config_static_selectorELNS0_4arch9wavefront6targetE1EEEvT1_: ; @_ZN7rocprim17ROCPRIM_400000_NS6detail17trampoline_kernelINS0_14default_configENS1_27scan_by_key_config_selectorIssEEZZNS1_16scan_by_key_implILNS1_25lookback_scan_determinismE0ELb0ES3_N6thrust23THRUST_200600_302600_NS6detail15normal_iteratorINS9_10device_ptrIsEEEESE_SE_sNS9_4plusIvEENS9_8equal_toIvEEsEE10hipError_tPvRmT2_T3_T4_T5_mT6_T7_P12ihipStream_tbENKUlT_T0_E_clISt17integral_constantIbLb0EESZ_EEDaSU_SV_EUlSU_E_NS1_11comp_targetILNS1_3genE10ELNS1_11target_archE1200ELNS1_3gpuE4ELNS1_3repE0EEENS1_30default_config_static_selectorELNS0_4arch9wavefront6targetE1EEEvT1_
; %bb.0:
	.section	.rodata,"a",@progbits
	.p2align	6, 0x0
	.amdhsa_kernel _ZN7rocprim17ROCPRIM_400000_NS6detail17trampoline_kernelINS0_14default_configENS1_27scan_by_key_config_selectorIssEEZZNS1_16scan_by_key_implILNS1_25lookback_scan_determinismE0ELb0ES3_N6thrust23THRUST_200600_302600_NS6detail15normal_iteratorINS9_10device_ptrIsEEEESE_SE_sNS9_4plusIvEENS9_8equal_toIvEEsEE10hipError_tPvRmT2_T3_T4_T5_mT6_T7_P12ihipStream_tbENKUlT_T0_E_clISt17integral_constantIbLb0EESZ_EEDaSU_SV_EUlSU_E_NS1_11comp_targetILNS1_3genE10ELNS1_11target_archE1200ELNS1_3gpuE4ELNS1_3repE0EEENS1_30default_config_static_selectorELNS0_4arch9wavefront6targetE1EEEvT1_
		.amdhsa_group_segment_fixed_size 0
		.amdhsa_private_segment_fixed_size 0
		.amdhsa_kernarg_size 112
		.amdhsa_user_sgpr_count 2
		.amdhsa_user_sgpr_dispatch_ptr 0
		.amdhsa_user_sgpr_queue_ptr 0
		.amdhsa_user_sgpr_kernarg_segment_ptr 1
		.amdhsa_user_sgpr_dispatch_id 0
		.amdhsa_user_sgpr_kernarg_preload_length 0
		.amdhsa_user_sgpr_kernarg_preload_offset 0
		.amdhsa_user_sgpr_private_segment_size 0
		.amdhsa_uses_dynamic_stack 0
		.amdhsa_enable_private_segment 0
		.amdhsa_system_sgpr_workgroup_id_x 1
		.amdhsa_system_sgpr_workgroup_id_y 0
		.amdhsa_system_sgpr_workgroup_id_z 0
		.amdhsa_system_sgpr_workgroup_info 0
		.amdhsa_system_vgpr_workitem_id 0
		.amdhsa_next_free_vgpr 1
		.amdhsa_next_free_sgpr 0
		.amdhsa_accum_offset 4
		.amdhsa_reserve_vcc 0
		.amdhsa_float_round_mode_32 0
		.amdhsa_float_round_mode_16_64 0
		.amdhsa_float_denorm_mode_32 3
		.amdhsa_float_denorm_mode_16_64 3
		.amdhsa_dx10_clamp 1
		.amdhsa_ieee_mode 1
		.amdhsa_fp16_overflow 0
		.amdhsa_tg_split 0
		.amdhsa_exception_fp_ieee_invalid_op 0
		.amdhsa_exception_fp_denorm_src 0
		.amdhsa_exception_fp_ieee_div_zero 0
		.amdhsa_exception_fp_ieee_overflow 0
		.amdhsa_exception_fp_ieee_underflow 0
		.amdhsa_exception_fp_ieee_inexact 0
		.amdhsa_exception_int_div_zero 0
	.end_amdhsa_kernel
	.section	.text._ZN7rocprim17ROCPRIM_400000_NS6detail17trampoline_kernelINS0_14default_configENS1_27scan_by_key_config_selectorIssEEZZNS1_16scan_by_key_implILNS1_25lookback_scan_determinismE0ELb0ES3_N6thrust23THRUST_200600_302600_NS6detail15normal_iteratorINS9_10device_ptrIsEEEESE_SE_sNS9_4plusIvEENS9_8equal_toIvEEsEE10hipError_tPvRmT2_T3_T4_T5_mT6_T7_P12ihipStream_tbENKUlT_T0_E_clISt17integral_constantIbLb0EESZ_EEDaSU_SV_EUlSU_E_NS1_11comp_targetILNS1_3genE10ELNS1_11target_archE1200ELNS1_3gpuE4ELNS1_3repE0EEENS1_30default_config_static_selectorELNS0_4arch9wavefront6targetE1EEEvT1_,"axG",@progbits,_ZN7rocprim17ROCPRIM_400000_NS6detail17trampoline_kernelINS0_14default_configENS1_27scan_by_key_config_selectorIssEEZZNS1_16scan_by_key_implILNS1_25lookback_scan_determinismE0ELb0ES3_N6thrust23THRUST_200600_302600_NS6detail15normal_iteratorINS9_10device_ptrIsEEEESE_SE_sNS9_4plusIvEENS9_8equal_toIvEEsEE10hipError_tPvRmT2_T3_T4_T5_mT6_T7_P12ihipStream_tbENKUlT_T0_E_clISt17integral_constantIbLb0EESZ_EEDaSU_SV_EUlSU_E_NS1_11comp_targetILNS1_3genE10ELNS1_11target_archE1200ELNS1_3gpuE4ELNS1_3repE0EEENS1_30default_config_static_selectorELNS0_4arch9wavefront6targetE1EEEvT1_,comdat
.Lfunc_end245:
	.size	_ZN7rocprim17ROCPRIM_400000_NS6detail17trampoline_kernelINS0_14default_configENS1_27scan_by_key_config_selectorIssEEZZNS1_16scan_by_key_implILNS1_25lookback_scan_determinismE0ELb0ES3_N6thrust23THRUST_200600_302600_NS6detail15normal_iteratorINS9_10device_ptrIsEEEESE_SE_sNS9_4plusIvEENS9_8equal_toIvEEsEE10hipError_tPvRmT2_T3_T4_T5_mT6_T7_P12ihipStream_tbENKUlT_T0_E_clISt17integral_constantIbLb0EESZ_EEDaSU_SV_EUlSU_E_NS1_11comp_targetILNS1_3genE10ELNS1_11target_archE1200ELNS1_3gpuE4ELNS1_3repE0EEENS1_30default_config_static_selectorELNS0_4arch9wavefront6targetE1EEEvT1_, .Lfunc_end245-_ZN7rocprim17ROCPRIM_400000_NS6detail17trampoline_kernelINS0_14default_configENS1_27scan_by_key_config_selectorIssEEZZNS1_16scan_by_key_implILNS1_25lookback_scan_determinismE0ELb0ES3_N6thrust23THRUST_200600_302600_NS6detail15normal_iteratorINS9_10device_ptrIsEEEESE_SE_sNS9_4plusIvEENS9_8equal_toIvEEsEE10hipError_tPvRmT2_T3_T4_T5_mT6_T7_P12ihipStream_tbENKUlT_T0_E_clISt17integral_constantIbLb0EESZ_EEDaSU_SV_EUlSU_E_NS1_11comp_targetILNS1_3genE10ELNS1_11target_archE1200ELNS1_3gpuE4ELNS1_3repE0EEENS1_30default_config_static_selectorELNS0_4arch9wavefront6targetE1EEEvT1_
                                        ; -- End function
	.section	.AMDGPU.csdata,"",@progbits
; Kernel info:
; codeLenInByte = 0
; NumSgprs: 6
; NumVgprs: 0
; NumAgprs: 0
; TotalNumVgprs: 0
; ScratchSize: 0
; MemoryBound: 0
; FloatMode: 240
; IeeeMode: 1
; LDSByteSize: 0 bytes/workgroup (compile time only)
; SGPRBlocks: 0
; VGPRBlocks: 0
; NumSGPRsForWavesPerEU: 6
; NumVGPRsForWavesPerEU: 1
; AccumOffset: 4
; Occupancy: 8
; WaveLimiterHint : 0
; COMPUTE_PGM_RSRC2:SCRATCH_EN: 0
; COMPUTE_PGM_RSRC2:USER_SGPR: 2
; COMPUTE_PGM_RSRC2:TRAP_HANDLER: 0
; COMPUTE_PGM_RSRC2:TGID_X_EN: 1
; COMPUTE_PGM_RSRC2:TGID_Y_EN: 0
; COMPUTE_PGM_RSRC2:TGID_Z_EN: 0
; COMPUTE_PGM_RSRC2:TIDIG_COMP_CNT: 0
; COMPUTE_PGM_RSRC3_GFX90A:ACCUM_OFFSET: 0
; COMPUTE_PGM_RSRC3_GFX90A:TG_SPLIT: 0
	.section	.text._ZN7rocprim17ROCPRIM_400000_NS6detail17trampoline_kernelINS0_14default_configENS1_27scan_by_key_config_selectorIssEEZZNS1_16scan_by_key_implILNS1_25lookback_scan_determinismE0ELb0ES3_N6thrust23THRUST_200600_302600_NS6detail15normal_iteratorINS9_10device_ptrIsEEEESE_SE_sNS9_4plusIvEENS9_8equal_toIvEEsEE10hipError_tPvRmT2_T3_T4_T5_mT6_T7_P12ihipStream_tbENKUlT_T0_E_clISt17integral_constantIbLb0EESZ_EEDaSU_SV_EUlSU_E_NS1_11comp_targetILNS1_3genE9ELNS1_11target_archE1100ELNS1_3gpuE3ELNS1_3repE0EEENS1_30default_config_static_selectorELNS0_4arch9wavefront6targetE1EEEvT1_,"axG",@progbits,_ZN7rocprim17ROCPRIM_400000_NS6detail17trampoline_kernelINS0_14default_configENS1_27scan_by_key_config_selectorIssEEZZNS1_16scan_by_key_implILNS1_25lookback_scan_determinismE0ELb0ES3_N6thrust23THRUST_200600_302600_NS6detail15normal_iteratorINS9_10device_ptrIsEEEESE_SE_sNS9_4plusIvEENS9_8equal_toIvEEsEE10hipError_tPvRmT2_T3_T4_T5_mT6_T7_P12ihipStream_tbENKUlT_T0_E_clISt17integral_constantIbLb0EESZ_EEDaSU_SV_EUlSU_E_NS1_11comp_targetILNS1_3genE9ELNS1_11target_archE1100ELNS1_3gpuE3ELNS1_3repE0EEENS1_30default_config_static_selectorELNS0_4arch9wavefront6targetE1EEEvT1_,comdat
	.protected	_ZN7rocprim17ROCPRIM_400000_NS6detail17trampoline_kernelINS0_14default_configENS1_27scan_by_key_config_selectorIssEEZZNS1_16scan_by_key_implILNS1_25lookback_scan_determinismE0ELb0ES3_N6thrust23THRUST_200600_302600_NS6detail15normal_iteratorINS9_10device_ptrIsEEEESE_SE_sNS9_4plusIvEENS9_8equal_toIvEEsEE10hipError_tPvRmT2_T3_T4_T5_mT6_T7_P12ihipStream_tbENKUlT_T0_E_clISt17integral_constantIbLb0EESZ_EEDaSU_SV_EUlSU_E_NS1_11comp_targetILNS1_3genE9ELNS1_11target_archE1100ELNS1_3gpuE3ELNS1_3repE0EEENS1_30default_config_static_selectorELNS0_4arch9wavefront6targetE1EEEvT1_ ; -- Begin function _ZN7rocprim17ROCPRIM_400000_NS6detail17trampoline_kernelINS0_14default_configENS1_27scan_by_key_config_selectorIssEEZZNS1_16scan_by_key_implILNS1_25lookback_scan_determinismE0ELb0ES3_N6thrust23THRUST_200600_302600_NS6detail15normal_iteratorINS9_10device_ptrIsEEEESE_SE_sNS9_4plusIvEENS9_8equal_toIvEEsEE10hipError_tPvRmT2_T3_T4_T5_mT6_T7_P12ihipStream_tbENKUlT_T0_E_clISt17integral_constantIbLb0EESZ_EEDaSU_SV_EUlSU_E_NS1_11comp_targetILNS1_3genE9ELNS1_11target_archE1100ELNS1_3gpuE3ELNS1_3repE0EEENS1_30default_config_static_selectorELNS0_4arch9wavefront6targetE1EEEvT1_
	.globl	_ZN7rocprim17ROCPRIM_400000_NS6detail17trampoline_kernelINS0_14default_configENS1_27scan_by_key_config_selectorIssEEZZNS1_16scan_by_key_implILNS1_25lookback_scan_determinismE0ELb0ES3_N6thrust23THRUST_200600_302600_NS6detail15normal_iteratorINS9_10device_ptrIsEEEESE_SE_sNS9_4plusIvEENS9_8equal_toIvEEsEE10hipError_tPvRmT2_T3_T4_T5_mT6_T7_P12ihipStream_tbENKUlT_T0_E_clISt17integral_constantIbLb0EESZ_EEDaSU_SV_EUlSU_E_NS1_11comp_targetILNS1_3genE9ELNS1_11target_archE1100ELNS1_3gpuE3ELNS1_3repE0EEENS1_30default_config_static_selectorELNS0_4arch9wavefront6targetE1EEEvT1_
	.p2align	8
	.type	_ZN7rocprim17ROCPRIM_400000_NS6detail17trampoline_kernelINS0_14default_configENS1_27scan_by_key_config_selectorIssEEZZNS1_16scan_by_key_implILNS1_25lookback_scan_determinismE0ELb0ES3_N6thrust23THRUST_200600_302600_NS6detail15normal_iteratorINS9_10device_ptrIsEEEESE_SE_sNS9_4plusIvEENS9_8equal_toIvEEsEE10hipError_tPvRmT2_T3_T4_T5_mT6_T7_P12ihipStream_tbENKUlT_T0_E_clISt17integral_constantIbLb0EESZ_EEDaSU_SV_EUlSU_E_NS1_11comp_targetILNS1_3genE9ELNS1_11target_archE1100ELNS1_3gpuE3ELNS1_3repE0EEENS1_30default_config_static_selectorELNS0_4arch9wavefront6targetE1EEEvT1_,@function
_ZN7rocprim17ROCPRIM_400000_NS6detail17trampoline_kernelINS0_14default_configENS1_27scan_by_key_config_selectorIssEEZZNS1_16scan_by_key_implILNS1_25lookback_scan_determinismE0ELb0ES3_N6thrust23THRUST_200600_302600_NS6detail15normal_iteratorINS9_10device_ptrIsEEEESE_SE_sNS9_4plusIvEENS9_8equal_toIvEEsEE10hipError_tPvRmT2_T3_T4_T5_mT6_T7_P12ihipStream_tbENKUlT_T0_E_clISt17integral_constantIbLb0EESZ_EEDaSU_SV_EUlSU_E_NS1_11comp_targetILNS1_3genE9ELNS1_11target_archE1100ELNS1_3gpuE3ELNS1_3repE0EEENS1_30default_config_static_selectorELNS0_4arch9wavefront6targetE1EEEvT1_: ; @_ZN7rocprim17ROCPRIM_400000_NS6detail17trampoline_kernelINS0_14default_configENS1_27scan_by_key_config_selectorIssEEZZNS1_16scan_by_key_implILNS1_25lookback_scan_determinismE0ELb0ES3_N6thrust23THRUST_200600_302600_NS6detail15normal_iteratorINS9_10device_ptrIsEEEESE_SE_sNS9_4plusIvEENS9_8equal_toIvEEsEE10hipError_tPvRmT2_T3_T4_T5_mT6_T7_P12ihipStream_tbENKUlT_T0_E_clISt17integral_constantIbLb0EESZ_EEDaSU_SV_EUlSU_E_NS1_11comp_targetILNS1_3genE9ELNS1_11target_archE1100ELNS1_3gpuE3ELNS1_3repE0EEENS1_30default_config_static_selectorELNS0_4arch9wavefront6targetE1EEEvT1_
; %bb.0:
	.section	.rodata,"a",@progbits
	.p2align	6, 0x0
	.amdhsa_kernel _ZN7rocprim17ROCPRIM_400000_NS6detail17trampoline_kernelINS0_14default_configENS1_27scan_by_key_config_selectorIssEEZZNS1_16scan_by_key_implILNS1_25lookback_scan_determinismE0ELb0ES3_N6thrust23THRUST_200600_302600_NS6detail15normal_iteratorINS9_10device_ptrIsEEEESE_SE_sNS9_4plusIvEENS9_8equal_toIvEEsEE10hipError_tPvRmT2_T3_T4_T5_mT6_T7_P12ihipStream_tbENKUlT_T0_E_clISt17integral_constantIbLb0EESZ_EEDaSU_SV_EUlSU_E_NS1_11comp_targetILNS1_3genE9ELNS1_11target_archE1100ELNS1_3gpuE3ELNS1_3repE0EEENS1_30default_config_static_selectorELNS0_4arch9wavefront6targetE1EEEvT1_
		.amdhsa_group_segment_fixed_size 0
		.amdhsa_private_segment_fixed_size 0
		.amdhsa_kernarg_size 112
		.amdhsa_user_sgpr_count 2
		.amdhsa_user_sgpr_dispatch_ptr 0
		.amdhsa_user_sgpr_queue_ptr 0
		.amdhsa_user_sgpr_kernarg_segment_ptr 1
		.amdhsa_user_sgpr_dispatch_id 0
		.amdhsa_user_sgpr_kernarg_preload_length 0
		.amdhsa_user_sgpr_kernarg_preload_offset 0
		.amdhsa_user_sgpr_private_segment_size 0
		.amdhsa_uses_dynamic_stack 0
		.amdhsa_enable_private_segment 0
		.amdhsa_system_sgpr_workgroup_id_x 1
		.amdhsa_system_sgpr_workgroup_id_y 0
		.amdhsa_system_sgpr_workgroup_id_z 0
		.amdhsa_system_sgpr_workgroup_info 0
		.amdhsa_system_vgpr_workitem_id 0
		.amdhsa_next_free_vgpr 1
		.amdhsa_next_free_sgpr 0
		.amdhsa_accum_offset 4
		.amdhsa_reserve_vcc 0
		.amdhsa_float_round_mode_32 0
		.amdhsa_float_round_mode_16_64 0
		.amdhsa_float_denorm_mode_32 3
		.amdhsa_float_denorm_mode_16_64 3
		.amdhsa_dx10_clamp 1
		.amdhsa_ieee_mode 1
		.amdhsa_fp16_overflow 0
		.amdhsa_tg_split 0
		.amdhsa_exception_fp_ieee_invalid_op 0
		.amdhsa_exception_fp_denorm_src 0
		.amdhsa_exception_fp_ieee_div_zero 0
		.amdhsa_exception_fp_ieee_overflow 0
		.amdhsa_exception_fp_ieee_underflow 0
		.amdhsa_exception_fp_ieee_inexact 0
		.amdhsa_exception_int_div_zero 0
	.end_amdhsa_kernel
	.section	.text._ZN7rocprim17ROCPRIM_400000_NS6detail17trampoline_kernelINS0_14default_configENS1_27scan_by_key_config_selectorIssEEZZNS1_16scan_by_key_implILNS1_25lookback_scan_determinismE0ELb0ES3_N6thrust23THRUST_200600_302600_NS6detail15normal_iteratorINS9_10device_ptrIsEEEESE_SE_sNS9_4plusIvEENS9_8equal_toIvEEsEE10hipError_tPvRmT2_T3_T4_T5_mT6_T7_P12ihipStream_tbENKUlT_T0_E_clISt17integral_constantIbLb0EESZ_EEDaSU_SV_EUlSU_E_NS1_11comp_targetILNS1_3genE9ELNS1_11target_archE1100ELNS1_3gpuE3ELNS1_3repE0EEENS1_30default_config_static_selectorELNS0_4arch9wavefront6targetE1EEEvT1_,"axG",@progbits,_ZN7rocprim17ROCPRIM_400000_NS6detail17trampoline_kernelINS0_14default_configENS1_27scan_by_key_config_selectorIssEEZZNS1_16scan_by_key_implILNS1_25lookback_scan_determinismE0ELb0ES3_N6thrust23THRUST_200600_302600_NS6detail15normal_iteratorINS9_10device_ptrIsEEEESE_SE_sNS9_4plusIvEENS9_8equal_toIvEEsEE10hipError_tPvRmT2_T3_T4_T5_mT6_T7_P12ihipStream_tbENKUlT_T0_E_clISt17integral_constantIbLb0EESZ_EEDaSU_SV_EUlSU_E_NS1_11comp_targetILNS1_3genE9ELNS1_11target_archE1100ELNS1_3gpuE3ELNS1_3repE0EEENS1_30default_config_static_selectorELNS0_4arch9wavefront6targetE1EEEvT1_,comdat
.Lfunc_end246:
	.size	_ZN7rocprim17ROCPRIM_400000_NS6detail17trampoline_kernelINS0_14default_configENS1_27scan_by_key_config_selectorIssEEZZNS1_16scan_by_key_implILNS1_25lookback_scan_determinismE0ELb0ES3_N6thrust23THRUST_200600_302600_NS6detail15normal_iteratorINS9_10device_ptrIsEEEESE_SE_sNS9_4plusIvEENS9_8equal_toIvEEsEE10hipError_tPvRmT2_T3_T4_T5_mT6_T7_P12ihipStream_tbENKUlT_T0_E_clISt17integral_constantIbLb0EESZ_EEDaSU_SV_EUlSU_E_NS1_11comp_targetILNS1_3genE9ELNS1_11target_archE1100ELNS1_3gpuE3ELNS1_3repE0EEENS1_30default_config_static_selectorELNS0_4arch9wavefront6targetE1EEEvT1_, .Lfunc_end246-_ZN7rocprim17ROCPRIM_400000_NS6detail17trampoline_kernelINS0_14default_configENS1_27scan_by_key_config_selectorIssEEZZNS1_16scan_by_key_implILNS1_25lookback_scan_determinismE0ELb0ES3_N6thrust23THRUST_200600_302600_NS6detail15normal_iteratorINS9_10device_ptrIsEEEESE_SE_sNS9_4plusIvEENS9_8equal_toIvEEsEE10hipError_tPvRmT2_T3_T4_T5_mT6_T7_P12ihipStream_tbENKUlT_T0_E_clISt17integral_constantIbLb0EESZ_EEDaSU_SV_EUlSU_E_NS1_11comp_targetILNS1_3genE9ELNS1_11target_archE1100ELNS1_3gpuE3ELNS1_3repE0EEENS1_30default_config_static_selectorELNS0_4arch9wavefront6targetE1EEEvT1_
                                        ; -- End function
	.section	.AMDGPU.csdata,"",@progbits
; Kernel info:
; codeLenInByte = 0
; NumSgprs: 6
; NumVgprs: 0
; NumAgprs: 0
; TotalNumVgprs: 0
; ScratchSize: 0
; MemoryBound: 0
; FloatMode: 240
; IeeeMode: 1
; LDSByteSize: 0 bytes/workgroup (compile time only)
; SGPRBlocks: 0
; VGPRBlocks: 0
; NumSGPRsForWavesPerEU: 6
; NumVGPRsForWavesPerEU: 1
; AccumOffset: 4
; Occupancy: 8
; WaveLimiterHint : 0
; COMPUTE_PGM_RSRC2:SCRATCH_EN: 0
; COMPUTE_PGM_RSRC2:USER_SGPR: 2
; COMPUTE_PGM_RSRC2:TRAP_HANDLER: 0
; COMPUTE_PGM_RSRC2:TGID_X_EN: 1
; COMPUTE_PGM_RSRC2:TGID_Y_EN: 0
; COMPUTE_PGM_RSRC2:TGID_Z_EN: 0
; COMPUTE_PGM_RSRC2:TIDIG_COMP_CNT: 0
; COMPUTE_PGM_RSRC3_GFX90A:ACCUM_OFFSET: 0
; COMPUTE_PGM_RSRC3_GFX90A:TG_SPLIT: 0
	.section	.text._ZN7rocprim17ROCPRIM_400000_NS6detail17trampoline_kernelINS0_14default_configENS1_27scan_by_key_config_selectorIssEEZZNS1_16scan_by_key_implILNS1_25lookback_scan_determinismE0ELb0ES3_N6thrust23THRUST_200600_302600_NS6detail15normal_iteratorINS9_10device_ptrIsEEEESE_SE_sNS9_4plusIvEENS9_8equal_toIvEEsEE10hipError_tPvRmT2_T3_T4_T5_mT6_T7_P12ihipStream_tbENKUlT_T0_E_clISt17integral_constantIbLb0EESZ_EEDaSU_SV_EUlSU_E_NS1_11comp_targetILNS1_3genE8ELNS1_11target_archE1030ELNS1_3gpuE2ELNS1_3repE0EEENS1_30default_config_static_selectorELNS0_4arch9wavefront6targetE1EEEvT1_,"axG",@progbits,_ZN7rocprim17ROCPRIM_400000_NS6detail17trampoline_kernelINS0_14default_configENS1_27scan_by_key_config_selectorIssEEZZNS1_16scan_by_key_implILNS1_25lookback_scan_determinismE0ELb0ES3_N6thrust23THRUST_200600_302600_NS6detail15normal_iteratorINS9_10device_ptrIsEEEESE_SE_sNS9_4plusIvEENS9_8equal_toIvEEsEE10hipError_tPvRmT2_T3_T4_T5_mT6_T7_P12ihipStream_tbENKUlT_T0_E_clISt17integral_constantIbLb0EESZ_EEDaSU_SV_EUlSU_E_NS1_11comp_targetILNS1_3genE8ELNS1_11target_archE1030ELNS1_3gpuE2ELNS1_3repE0EEENS1_30default_config_static_selectorELNS0_4arch9wavefront6targetE1EEEvT1_,comdat
	.protected	_ZN7rocprim17ROCPRIM_400000_NS6detail17trampoline_kernelINS0_14default_configENS1_27scan_by_key_config_selectorIssEEZZNS1_16scan_by_key_implILNS1_25lookback_scan_determinismE0ELb0ES3_N6thrust23THRUST_200600_302600_NS6detail15normal_iteratorINS9_10device_ptrIsEEEESE_SE_sNS9_4plusIvEENS9_8equal_toIvEEsEE10hipError_tPvRmT2_T3_T4_T5_mT6_T7_P12ihipStream_tbENKUlT_T0_E_clISt17integral_constantIbLb0EESZ_EEDaSU_SV_EUlSU_E_NS1_11comp_targetILNS1_3genE8ELNS1_11target_archE1030ELNS1_3gpuE2ELNS1_3repE0EEENS1_30default_config_static_selectorELNS0_4arch9wavefront6targetE1EEEvT1_ ; -- Begin function _ZN7rocprim17ROCPRIM_400000_NS6detail17trampoline_kernelINS0_14default_configENS1_27scan_by_key_config_selectorIssEEZZNS1_16scan_by_key_implILNS1_25lookback_scan_determinismE0ELb0ES3_N6thrust23THRUST_200600_302600_NS6detail15normal_iteratorINS9_10device_ptrIsEEEESE_SE_sNS9_4plusIvEENS9_8equal_toIvEEsEE10hipError_tPvRmT2_T3_T4_T5_mT6_T7_P12ihipStream_tbENKUlT_T0_E_clISt17integral_constantIbLb0EESZ_EEDaSU_SV_EUlSU_E_NS1_11comp_targetILNS1_3genE8ELNS1_11target_archE1030ELNS1_3gpuE2ELNS1_3repE0EEENS1_30default_config_static_selectorELNS0_4arch9wavefront6targetE1EEEvT1_
	.globl	_ZN7rocprim17ROCPRIM_400000_NS6detail17trampoline_kernelINS0_14default_configENS1_27scan_by_key_config_selectorIssEEZZNS1_16scan_by_key_implILNS1_25lookback_scan_determinismE0ELb0ES3_N6thrust23THRUST_200600_302600_NS6detail15normal_iteratorINS9_10device_ptrIsEEEESE_SE_sNS9_4plusIvEENS9_8equal_toIvEEsEE10hipError_tPvRmT2_T3_T4_T5_mT6_T7_P12ihipStream_tbENKUlT_T0_E_clISt17integral_constantIbLb0EESZ_EEDaSU_SV_EUlSU_E_NS1_11comp_targetILNS1_3genE8ELNS1_11target_archE1030ELNS1_3gpuE2ELNS1_3repE0EEENS1_30default_config_static_selectorELNS0_4arch9wavefront6targetE1EEEvT1_
	.p2align	8
	.type	_ZN7rocprim17ROCPRIM_400000_NS6detail17trampoline_kernelINS0_14default_configENS1_27scan_by_key_config_selectorIssEEZZNS1_16scan_by_key_implILNS1_25lookback_scan_determinismE0ELb0ES3_N6thrust23THRUST_200600_302600_NS6detail15normal_iteratorINS9_10device_ptrIsEEEESE_SE_sNS9_4plusIvEENS9_8equal_toIvEEsEE10hipError_tPvRmT2_T3_T4_T5_mT6_T7_P12ihipStream_tbENKUlT_T0_E_clISt17integral_constantIbLb0EESZ_EEDaSU_SV_EUlSU_E_NS1_11comp_targetILNS1_3genE8ELNS1_11target_archE1030ELNS1_3gpuE2ELNS1_3repE0EEENS1_30default_config_static_selectorELNS0_4arch9wavefront6targetE1EEEvT1_,@function
_ZN7rocprim17ROCPRIM_400000_NS6detail17trampoline_kernelINS0_14default_configENS1_27scan_by_key_config_selectorIssEEZZNS1_16scan_by_key_implILNS1_25lookback_scan_determinismE0ELb0ES3_N6thrust23THRUST_200600_302600_NS6detail15normal_iteratorINS9_10device_ptrIsEEEESE_SE_sNS9_4plusIvEENS9_8equal_toIvEEsEE10hipError_tPvRmT2_T3_T4_T5_mT6_T7_P12ihipStream_tbENKUlT_T0_E_clISt17integral_constantIbLb0EESZ_EEDaSU_SV_EUlSU_E_NS1_11comp_targetILNS1_3genE8ELNS1_11target_archE1030ELNS1_3gpuE2ELNS1_3repE0EEENS1_30default_config_static_selectorELNS0_4arch9wavefront6targetE1EEEvT1_: ; @_ZN7rocprim17ROCPRIM_400000_NS6detail17trampoline_kernelINS0_14default_configENS1_27scan_by_key_config_selectorIssEEZZNS1_16scan_by_key_implILNS1_25lookback_scan_determinismE0ELb0ES3_N6thrust23THRUST_200600_302600_NS6detail15normal_iteratorINS9_10device_ptrIsEEEESE_SE_sNS9_4plusIvEENS9_8equal_toIvEEsEE10hipError_tPvRmT2_T3_T4_T5_mT6_T7_P12ihipStream_tbENKUlT_T0_E_clISt17integral_constantIbLb0EESZ_EEDaSU_SV_EUlSU_E_NS1_11comp_targetILNS1_3genE8ELNS1_11target_archE1030ELNS1_3gpuE2ELNS1_3repE0EEENS1_30default_config_static_selectorELNS0_4arch9wavefront6targetE1EEEvT1_
; %bb.0:
	.section	.rodata,"a",@progbits
	.p2align	6, 0x0
	.amdhsa_kernel _ZN7rocprim17ROCPRIM_400000_NS6detail17trampoline_kernelINS0_14default_configENS1_27scan_by_key_config_selectorIssEEZZNS1_16scan_by_key_implILNS1_25lookback_scan_determinismE0ELb0ES3_N6thrust23THRUST_200600_302600_NS6detail15normal_iteratorINS9_10device_ptrIsEEEESE_SE_sNS9_4plusIvEENS9_8equal_toIvEEsEE10hipError_tPvRmT2_T3_T4_T5_mT6_T7_P12ihipStream_tbENKUlT_T0_E_clISt17integral_constantIbLb0EESZ_EEDaSU_SV_EUlSU_E_NS1_11comp_targetILNS1_3genE8ELNS1_11target_archE1030ELNS1_3gpuE2ELNS1_3repE0EEENS1_30default_config_static_selectorELNS0_4arch9wavefront6targetE1EEEvT1_
		.amdhsa_group_segment_fixed_size 0
		.amdhsa_private_segment_fixed_size 0
		.amdhsa_kernarg_size 112
		.amdhsa_user_sgpr_count 2
		.amdhsa_user_sgpr_dispatch_ptr 0
		.amdhsa_user_sgpr_queue_ptr 0
		.amdhsa_user_sgpr_kernarg_segment_ptr 1
		.amdhsa_user_sgpr_dispatch_id 0
		.amdhsa_user_sgpr_kernarg_preload_length 0
		.amdhsa_user_sgpr_kernarg_preload_offset 0
		.amdhsa_user_sgpr_private_segment_size 0
		.amdhsa_uses_dynamic_stack 0
		.amdhsa_enable_private_segment 0
		.amdhsa_system_sgpr_workgroup_id_x 1
		.amdhsa_system_sgpr_workgroup_id_y 0
		.amdhsa_system_sgpr_workgroup_id_z 0
		.amdhsa_system_sgpr_workgroup_info 0
		.amdhsa_system_vgpr_workitem_id 0
		.amdhsa_next_free_vgpr 1
		.amdhsa_next_free_sgpr 0
		.amdhsa_accum_offset 4
		.amdhsa_reserve_vcc 0
		.amdhsa_float_round_mode_32 0
		.amdhsa_float_round_mode_16_64 0
		.amdhsa_float_denorm_mode_32 3
		.amdhsa_float_denorm_mode_16_64 3
		.amdhsa_dx10_clamp 1
		.amdhsa_ieee_mode 1
		.amdhsa_fp16_overflow 0
		.amdhsa_tg_split 0
		.amdhsa_exception_fp_ieee_invalid_op 0
		.amdhsa_exception_fp_denorm_src 0
		.amdhsa_exception_fp_ieee_div_zero 0
		.amdhsa_exception_fp_ieee_overflow 0
		.amdhsa_exception_fp_ieee_underflow 0
		.amdhsa_exception_fp_ieee_inexact 0
		.amdhsa_exception_int_div_zero 0
	.end_amdhsa_kernel
	.section	.text._ZN7rocprim17ROCPRIM_400000_NS6detail17trampoline_kernelINS0_14default_configENS1_27scan_by_key_config_selectorIssEEZZNS1_16scan_by_key_implILNS1_25lookback_scan_determinismE0ELb0ES3_N6thrust23THRUST_200600_302600_NS6detail15normal_iteratorINS9_10device_ptrIsEEEESE_SE_sNS9_4plusIvEENS9_8equal_toIvEEsEE10hipError_tPvRmT2_T3_T4_T5_mT6_T7_P12ihipStream_tbENKUlT_T0_E_clISt17integral_constantIbLb0EESZ_EEDaSU_SV_EUlSU_E_NS1_11comp_targetILNS1_3genE8ELNS1_11target_archE1030ELNS1_3gpuE2ELNS1_3repE0EEENS1_30default_config_static_selectorELNS0_4arch9wavefront6targetE1EEEvT1_,"axG",@progbits,_ZN7rocprim17ROCPRIM_400000_NS6detail17trampoline_kernelINS0_14default_configENS1_27scan_by_key_config_selectorIssEEZZNS1_16scan_by_key_implILNS1_25lookback_scan_determinismE0ELb0ES3_N6thrust23THRUST_200600_302600_NS6detail15normal_iteratorINS9_10device_ptrIsEEEESE_SE_sNS9_4plusIvEENS9_8equal_toIvEEsEE10hipError_tPvRmT2_T3_T4_T5_mT6_T7_P12ihipStream_tbENKUlT_T0_E_clISt17integral_constantIbLb0EESZ_EEDaSU_SV_EUlSU_E_NS1_11comp_targetILNS1_3genE8ELNS1_11target_archE1030ELNS1_3gpuE2ELNS1_3repE0EEENS1_30default_config_static_selectorELNS0_4arch9wavefront6targetE1EEEvT1_,comdat
.Lfunc_end247:
	.size	_ZN7rocprim17ROCPRIM_400000_NS6detail17trampoline_kernelINS0_14default_configENS1_27scan_by_key_config_selectorIssEEZZNS1_16scan_by_key_implILNS1_25lookback_scan_determinismE0ELb0ES3_N6thrust23THRUST_200600_302600_NS6detail15normal_iteratorINS9_10device_ptrIsEEEESE_SE_sNS9_4plusIvEENS9_8equal_toIvEEsEE10hipError_tPvRmT2_T3_T4_T5_mT6_T7_P12ihipStream_tbENKUlT_T0_E_clISt17integral_constantIbLb0EESZ_EEDaSU_SV_EUlSU_E_NS1_11comp_targetILNS1_3genE8ELNS1_11target_archE1030ELNS1_3gpuE2ELNS1_3repE0EEENS1_30default_config_static_selectorELNS0_4arch9wavefront6targetE1EEEvT1_, .Lfunc_end247-_ZN7rocprim17ROCPRIM_400000_NS6detail17trampoline_kernelINS0_14default_configENS1_27scan_by_key_config_selectorIssEEZZNS1_16scan_by_key_implILNS1_25lookback_scan_determinismE0ELb0ES3_N6thrust23THRUST_200600_302600_NS6detail15normal_iteratorINS9_10device_ptrIsEEEESE_SE_sNS9_4plusIvEENS9_8equal_toIvEEsEE10hipError_tPvRmT2_T3_T4_T5_mT6_T7_P12ihipStream_tbENKUlT_T0_E_clISt17integral_constantIbLb0EESZ_EEDaSU_SV_EUlSU_E_NS1_11comp_targetILNS1_3genE8ELNS1_11target_archE1030ELNS1_3gpuE2ELNS1_3repE0EEENS1_30default_config_static_selectorELNS0_4arch9wavefront6targetE1EEEvT1_
                                        ; -- End function
	.section	.AMDGPU.csdata,"",@progbits
; Kernel info:
; codeLenInByte = 0
; NumSgprs: 6
; NumVgprs: 0
; NumAgprs: 0
; TotalNumVgprs: 0
; ScratchSize: 0
; MemoryBound: 0
; FloatMode: 240
; IeeeMode: 1
; LDSByteSize: 0 bytes/workgroup (compile time only)
; SGPRBlocks: 0
; VGPRBlocks: 0
; NumSGPRsForWavesPerEU: 6
; NumVGPRsForWavesPerEU: 1
; AccumOffset: 4
; Occupancy: 8
; WaveLimiterHint : 0
; COMPUTE_PGM_RSRC2:SCRATCH_EN: 0
; COMPUTE_PGM_RSRC2:USER_SGPR: 2
; COMPUTE_PGM_RSRC2:TRAP_HANDLER: 0
; COMPUTE_PGM_RSRC2:TGID_X_EN: 1
; COMPUTE_PGM_RSRC2:TGID_Y_EN: 0
; COMPUTE_PGM_RSRC2:TGID_Z_EN: 0
; COMPUTE_PGM_RSRC2:TIDIG_COMP_CNT: 0
; COMPUTE_PGM_RSRC3_GFX90A:ACCUM_OFFSET: 0
; COMPUTE_PGM_RSRC3_GFX90A:TG_SPLIT: 0
	.section	.text._ZN7rocprim17ROCPRIM_400000_NS6detail30init_device_scan_by_key_kernelINS1_19lookback_scan_stateINS0_5tupleIJsbEEELb1ELb1EEEN6thrust23THRUST_200600_302600_NS6detail15normal_iteratorINS8_10device_ptrIsEEEEjNS1_16block_id_wrapperIjLb1EEEEEvT_jjPNSG_10value_typeET0_PNSt15iterator_traitsISJ_E10value_typeEmT1_T2_,"axG",@progbits,_ZN7rocprim17ROCPRIM_400000_NS6detail30init_device_scan_by_key_kernelINS1_19lookback_scan_stateINS0_5tupleIJsbEEELb1ELb1EEEN6thrust23THRUST_200600_302600_NS6detail15normal_iteratorINS8_10device_ptrIsEEEEjNS1_16block_id_wrapperIjLb1EEEEEvT_jjPNSG_10value_typeET0_PNSt15iterator_traitsISJ_E10value_typeEmT1_T2_,comdat
	.protected	_ZN7rocprim17ROCPRIM_400000_NS6detail30init_device_scan_by_key_kernelINS1_19lookback_scan_stateINS0_5tupleIJsbEEELb1ELb1EEEN6thrust23THRUST_200600_302600_NS6detail15normal_iteratorINS8_10device_ptrIsEEEEjNS1_16block_id_wrapperIjLb1EEEEEvT_jjPNSG_10value_typeET0_PNSt15iterator_traitsISJ_E10value_typeEmT1_T2_ ; -- Begin function _ZN7rocprim17ROCPRIM_400000_NS6detail30init_device_scan_by_key_kernelINS1_19lookback_scan_stateINS0_5tupleIJsbEEELb1ELb1EEEN6thrust23THRUST_200600_302600_NS6detail15normal_iteratorINS8_10device_ptrIsEEEEjNS1_16block_id_wrapperIjLb1EEEEEvT_jjPNSG_10value_typeET0_PNSt15iterator_traitsISJ_E10value_typeEmT1_T2_
	.globl	_ZN7rocprim17ROCPRIM_400000_NS6detail30init_device_scan_by_key_kernelINS1_19lookback_scan_stateINS0_5tupleIJsbEEELb1ELb1EEEN6thrust23THRUST_200600_302600_NS6detail15normal_iteratorINS8_10device_ptrIsEEEEjNS1_16block_id_wrapperIjLb1EEEEEvT_jjPNSG_10value_typeET0_PNSt15iterator_traitsISJ_E10value_typeEmT1_T2_
	.p2align	8
	.type	_ZN7rocprim17ROCPRIM_400000_NS6detail30init_device_scan_by_key_kernelINS1_19lookback_scan_stateINS0_5tupleIJsbEEELb1ELb1EEEN6thrust23THRUST_200600_302600_NS6detail15normal_iteratorINS8_10device_ptrIsEEEEjNS1_16block_id_wrapperIjLb1EEEEEvT_jjPNSG_10value_typeET0_PNSt15iterator_traitsISJ_E10value_typeEmT1_T2_,@function
_ZN7rocprim17ROCPRIM_400000_NS6detail30init_device_scan_by_key_kernelINS1_19lookback_scan_stateINS0_5tupleIJsbEEELb1ELb1EEEN6thrust23THRUST_200600_302600_NS6detail15normal_iteratorINS8_10device_ptrIsEEEEjNS1_16block_id_wrapperIjLb1EEEEEvT_jjPNSG_10value_typeET0_PNSt15iterator_traitsISJ_E10value_typeEmT1_T2_: ; @_ZN7rocprim17ROCPRIM_400000_NS6detail30init_device_scan_by_key_kernelINS1_19lookback_scan_stateINS0_5tupleIJsbEEELb1ELb1EEEN6thrust23THRUST_200600_302600_NS6detail15normal_iteratorINS8_10device_ptrIsEEEEjNS1_16block_id_wrapperIjLb1EEEEEvT_jjPNSG_10value_typeET0_PNSt15iterator_traitsISJ_E10value_typeEmT1_T2_
; %bb.0:
	s_load_dword s3, s[0:1], 0x4c
	s_load_dwordx8 s[4:11], s[0:1], 0x0
	s_load_dword s14, s[0:1], 0x40
	s_waitcnt lgkmcnt(0)
	s_and_b32 s15, s3, 0xffff
	s_mul_i32 s2, s2, s15
	s_cmp_eq_u64 s[8:9], 0
	v_add_u32_e32 v0, s2, v0
	s_cbranch_scc1 .LBB248_9
; %bb.1:
	s_cmp_lt_u32 s7, s6
	s_cselect_b32 s2, s7, 0
	s_mov_b32 s13, 0
	v_cmp_eq_u32_e32 vcc, s2, v0
	s_and_saveexec_b64 s[2:3], vcc
	s_cbranch_execz .LBB248_8
; %bb.2:
	s_add_i32 s12, s7, 64
	s_lshl_b64 s[12:13], s[12:13], 3
	s_add_u32 s12, s4, s12
	s_addc_u32 s13, s5, s13
	v_mov_b32_e32 v2, 0
	global_load_dwordx2 v[4:5], v2, s[12:13] sc1
	s_waitcnt vmcnt(0)
	v_and_b32_e32 v3, 0xff, v5
	v_cmp_ne_u64_e32 vcc, 0, v[2:3]
	s_cbranch_vccnz .LBB248_7
; %bb.3:
	s_mov_b32 s7, 1
.LBB248_4:                              ; =>This Loop Header: Depth=1
                                        ;     Child Loop BB248_5 Depth 2
	s_max_u32 s16, s7, 1
.LBB248_5:                              ;   Parent Loop BB248_4 Depth=1
                                        ; =>  This Inner Loop Header: Depth=2
	s_add_i32 s16, s16, -1
	s_cmp_eq_u32 s16, 0
	s_sleep 1
	s_cbranch_scc0 .LBB248_5
; %bb.6:                                ;   in Loop: Header=BB248_4 Depth=1
	global_load_dwordx2 v[4:5], v2, s[12:13] sc1
	s_cmp_lt_u32 s7, 32
	s_cselect_b64 s[16:17], -1, 0
	s_cmp_lg_u64 s[16:17], 0
	s_addc_u32 s7, s7, 0
	s_waitcnt vmcnt(0)
	v_and_b32_e32 v3, 0xff, v5
	v_cmp_ne_u64_e32 vcc, 0, v[2:3]
	s_cbranch_vccz .LBB248_4
.LBB248_7:
	v_mov_b32_e32 v1, 0
	global_store_short v1, v4, s[8:9]
	global_store_byte_d16_hi v1, v4, s[8:9] offset:2
.LBB248_8:
	s_or_b64 exec, exec, s[2:3]
.LBB248_9:
	v_cmp_eq_u32_e32 vcc, 0, v0
	s_and_saveexec_b64 s[2:3], vcc
	s_cbranch_execz .LBB248_11
; %bb.10:
	s_load_dwordx2 s[8:9], s[0:1], 0x38
	v_mov_b32_e32 v1, 0
	s_waitcnt lgkmcnt(0)
	global_store_dword v1, v1, s[8:9]
.LBB248_11:
	s_or_b64 exec, exec, s[2:3]
	v_cmp_gt_u32_e32 vcc, s6, v0
	s_and_saveexec_b64 s[2:3], vcc
	s_cbranch_execz .LBB248_13
; %bb.12:
	v_add_u32_e32 v2, 64, v0
	v_mov_b32_e32 v3, 0
	v_lshl_add_u64 v[4:5], v[2:3], 3, s[4:5]
	v_mov_b32_e32 v2, v3
	global_store_dwordx2 v[4:5], v[2:3], off
.LBB248_13:
	s_or_b64 exec, exec, s[2:3]
	v_cmp_gt_u32_e32 vcc, 64, v0
	v_mov_b32_e32 v1, 0
	s_and_saveexec_b64 s[2:3], vcc
	s_cbranch_execz .LBB248_15
; %bb.14:
	v_lshl_add_u64 v[2:3], v[0:1], 3, s[4:5]
	v_mov_b32_e32 v5, 0xff
	v_mov_b32_e32 v4, v1
	global_store_dwordx2 v[2:3], v[4:5], off
.LBB248_15:
	s_or_b64 exec, exec, s[2:3]
	s_load_dwordx2 s[2:3], s[0:1], 0x28
	s_waitcnt lgkmcnt(0)
	v_cmp_gt_u64_e32 vcc, s[2:3], v[0:1]
	s_and_saveexec_b64 s[4:5], vcc
	s_cbranch_execz .LBB248_18
; %bb.16:
	s_load_dword s12, s[0:1], 0x30
	s_load_dwordx2 s[6:7], s[0:1], 0x20
	s_mov_b32 s5, 0
	s_mov_b32 s1, s5
	s_mul_i32 s0, s14, s15
	s_waitcnt lgkmcnt(0)
	s_add_i32 s4, s12, -1
	s_lshl_b64 s[4:5], s[4:5], 1
	s_add_u32 s4, s10, s4
	v_mad_u64_u32 v[2:3], s[8:9], s12, v0, 0
	s_addc_u32 s5, s11, s5
	v_lshl_add_u64 v[2:3], v[2:3], 1, s[4:5]
	s_mul_hi_u32 s5, s12, s0
	s_mul_i32 s4, s12, s0
	s_lshl_b64 s[4:5], s[4:5], 1
	v_lshl_add_u64 v[4:5], v[0:1], 1, s[6:7]
	s_lshl_b64 s[6:7], s[0:1], 1
	s_mov_b64 s[8:9], 0
.LBB248_17:                             ; =>This Inner Loop Header: Depth=1
	global_load_ushort v6, v[2:3], off
	v_lshl_add_u64 v[0:1], v[0:1], 0, s[0:1]
	v_cmp_le_u64_e32 vcc, s[2:3], v[0:1]
	v_lshl_add_u64 v[2:3], v[2:3], 0, s[4:5]
	s_or_b64 s[8:9], vcc, s[8:9]
	s_waitcnt vmcnt(0)
	global_store_short v[4:5], v6, off
	v_lshl_add_u64 v[4:5], v[4:5], 0, s[6:7]
	s_andn2_b64 exec, exec, s[8:9]
	s_cbranch_execnz .LBB248_17
.LBB248_18:
	s_endpgm
	.section	.rodata,"a",@progbits
	.p2align	6, 0x0
	.amdhsa_kernel _ZN7rocprim17ROCPRIM_400000_NS6detail30init_device_scan_by_key_kernelINS1_19lookback_scan_stateINS0_5tupleIJsbEEELb1ELb1EEEN6thrust23THRUST_200600_302600_NS6detail15normal_iteratorINS8_10device_ptrIsEEEEjNS1_16block_id_wrapperIjLb1EEEEEvT_jjPNSG_10value_typeET0_PNSt15iterator_traitsISJ_E10value_typeEmT1_T2_
		.amdhsa_group_segment_fixed_size 0
		.amdhsa_private_segment_fixed_size 0
		.amdhsa_kernarg_size 320
		.amdhsa_user_sgpr_count 2
		.amdhsa_user_sgpr_dispatch_ptr 0
		.amdhsa_user_sgpr_queue_ptr 0
		.amdhsa_user_sgpr_kernarg_segment_ptr 1
		.amdhsa_user_sgpr_dispatch_id 0
		.amdhsa_user_sgpr_kernarg_preload_length 0
		.amdhsa_user_sgpr_kernarg_preload_offset 0
		.amdhsa_user_sgpr_private_segment_size 0
		.amdhsa_uses_dynamic_stack 0
		.amdhsa_enable_private_segment 0
		.amdhsa_system_sgpr_workgroup_id_x 1
		.amdhsa_system_sgpr_workgroup_id_y 0
		.amdhsa_system_sgpr_workgroup_id_z 0
		.amdhsa_system_sgpr_workgroup_info 0
		.amdhsa_system_vgpr_workitem_id 0
		.amdhsa_next_free_vgpr 7
		.amdhsa_next_free_sgpr 18
		.amdhsa_accum_offset 8
		.amdhsa_reserve_vcc 1
		.amdhsa_float_round_mode_32 0
		.amdhsa_float_round_mode_16_64 0
		.amdhsa_float_denorm_mode_32 3
		.amdhsa_float_denorm_mode_16_64 3
		.amdhsa_dx10_clamp 1
		.amdhsa_ieee_mode 1
		.amdhsa_fp16_overflow 0
		.amdhsa_tg_split 0
		.amdhsa_exception_fp_ieee_invalid_op 0
		.amdhsa_exception_fp_denorm_src 0
		.amdhsa_exception_fp_ieee_div_zero 0
		.amdhsa_exception_fp_ieee_overflow 0
		.amdhsa_exception_fp_ieee_underflow 0
		.amdhsa_exception_fp_ieee_inexact 0
		.amdhsa_exception_int_div_zero 0
	.end_amdhsa_kernel
	.section	.text._ZN7rocprim17ROCPRIM_400000_NS6detail30init_device_scan_by_key_kernelINS1_19lookback_scan_stateINS0_5tupleIJsbEEELb1ELb1EEEN6thrust23THRUST_200600_302600_NS6detail15normal_iteratorINS8_10device_ptrIsEEEEjNS1_16block_id_wrapperIjLb1EEEEEvT_jjPNSG_10value_typeET0_PNSt15iterator_traitsISJ_E10value_typeEmT1_T2_,"axG",@progbits,_ZN7rocprim17ROCPRIM_400000_NS6detail30init_device_scan_by_key_kernelINS1_19lookback_scan_stateINS0_5tupleIJsbEEELb1ELb1EEEN6thrust23THRUST_200600_302600_NS6detail15normal_iteratorINS8_10device_ptrIsEEEEjNS1_16block_id_wrapperIjLb1EEEEEvT_jjPNSG_10value_typeET0_PNSt15iterator_traitsISJ_E10value_typeEmT1_T2_,comdat
.Lfunc_end248:
	.size	_ZN7rocprim17ROCPRIM_400000_NS6detail30init_device_scan_by_key_kernelINS1_19lookback_scan_stateINS0_5tupleIJsbEEELb1ELb1EEEN6thrust23THRUST_200600_302600_NS6detail15normal_iteratorINS8_10device_ptrIsEEEEjNS1_16block_id_wrapperIjLb1EEEEEvT_jjPNSG_10value_typeET0_PNSt15iterator_traitsISJ_E10value_typeEmT1_T2_, .Lfunc_end248-_ZN7rocprim17ROCPRIM_400000_NS6detail30init_device_scan_by_key_kernelINS1_19lookback_scan_stateINS0_5tupleIJsbEEELb1ELb1EEEN6thrust23THRUST_200600_302600_NS6detail15normal_iteratorINS8_10device_ptrIsEEEEjNS1_16block_id_wrapperIjLb1EEEEEvT_jjPNSG_10value_typeET0_PNSt15iterator_traitsISJ_E10value_typeEmT1_T2_
                                        ; -- End function
	.section	.AMDGPU.csdata,"",@progbits
; Kernel info:
; codeLenInByte = 528
; NumSgprs: 24
; NumVgprs: 7
; NumAgprs: 0
; TotalNumVgprs: 7
; ScratchSize: 0
; MemoryBound: 0
; FloatMode: 240
; IeeeMode: 1
; LDSByteSize: 0 bytes/workgroup (compile time only)
; SGPRBlocks: 2
; VGPRBlocks: 0
; NumSGPRsForWavesPerEU: 24
; NumVGPRsForWavesPerEU: 7
; AccumOffset: 8
; Occupancy: 8
; WaveLimiterHint : 0
; COMPUTE_PGM_RSRC2:SCRATCH_EN: 0
; COMPUTE_PGM_RSRC2:USER_SGPR: 2
; COMPUTE_PGM_RSRC2:TRAP_HANDLER: 0
; COMPUTE_PGM_RSRC2:TGID_X_EN: 1
; COMPUTE_PGM_RSRC2:TGID_Y_EN: 0
; COMPUTE_PGM_RSRC2:TGID_Z_EN: 0
; COMPUTE_PGM_RSRC2:TIDIG_COMP_CNT: 0
; COMPUTE_PGM_RSRC3_GFX90A:ACCUM_OFFSET: 1
; COMPUTE_PGM_RSRC3_GFX90A:TG_SPLIT: 0
	.section	.text._ZN7rocprim17ROCPRIM_400000_NS6detail30init_device_scan_by_key_kernelINS1_19lookback_scan_stateINS0_5tupleIJsbEEELb1ELb1EEENS1_16block_id_wrapperIjLb1EEEEEvT_jjPNS9_10value_typeET0_,"axG",@progbits,_ZN7rocprim17ROCPRIM_400000_NS6detail30init_device_scan_by_key_kernelINS1_19lookback_scan_stateINS0_5tupleIJsbEEELb1ELb1EEENS1_16block_id_wrapperIjLb1EEEEEvT_jjPNS9_10value_typeET0_,comdat
	.protected	_ZN7rocprim17ROCPRIM_400000_NS6detail30init_device_scan_by_key_kernelINS1_19lookback_scan_stateINS0_5tupleIJsbEEELb1ELb1EEENS1_16block_id_wrapperIjLb1EEEEEvT_jjPNS9_10value_typeET0_ ; -- Begin function _ZN7rocprim17ROCPRIM_400000_NS6detail30init_device_scan_by_key_kernelINS1_19lookback_scan_stateINS0_5tupleIJsbEEELb1ELb1EEENS1_16block_id_wrapperIjLb1EEEEEvT_jjPNS9_10value_typeET0_
	.globl	_ZN7rocprim17ROCPRIM_400000_NS6detail30init_device_scan_by_key_kernelINS1_19lookback_scan_stateINS0_5tupleIJsbEEELb1ELb1EEENS1_16block_id_wrapperIjLb1EEEEEvT_jjPNS9_10value_typeET0_
	.p2align	8
	.type	_ZN7rocprim17ROCPRIM_400000_NS6detail30init_device_scan_by_key_kernelINS1_19lookback_scan_stateINS0_5tupleIJsbEEELb1ELb1EEENS1_16block_id_wrapperIjLb1EEEEEvT_jjPNS9_10value_typeET0_,@function
_ZN7rocprim17ROCPRIM_400000_NS6detail30init_device_scan_by_key_kernelINS1_19lookback_scan_stateINS0_5tupleIJsbEEELb1ELb1EEENS1_16block_id_wrapperIjLb1EEEEEvT_jjPNS9_10value_typeET0_: ; @_ZN7rocprim17ROCPRIM_400000_NS6detail30init_device_scan_by_key_kernelINS1_19lookback_scan_stateINS0_5tupleIJsbEEELb1ELb1EEENS1_16block_id_wrapperIjLb1EEEEEvT_jjPNS9_10value_typeET0_
; %bb.0:
	s_load_dword s3, s[0:1], 0x2c
	s_load_dwordx8 s[4:11], s[0:1], 0x0
	s_waitcnt lgkmcnt(0)
	s_and_b32 s0, s3, 0xffff
	s_mul_i32 s2, s2, s0
	s_cmp_eq_u64 s[8:9], 0
	v_add_u32_e32 v0, s2, v0
	s_cbranch_scc1 .LBB249_9
; %bb.1:
	s_cmp_lt_u32 s7, s6
	s_cselect_b32 s0, s7, 0
	s_mov_b32 s3, 0
	v_cmp_eq_u32_e32 vcc, s0, v0
	s_and_saveexec_b64 s[0:1], vcc
	s_cbranch_execz .LBB249_8
; %bb.2:
	s_add_i32 s2, s7, 64
	s_lshl_b64 s[2:3], s[2:3], 3
	s_add_u32 s2, s4, s2
	s_addc_u32 s3, s5, s3
	v_mov_b32_e32 v2, 0
	global_load_dwordx2 v[4:5], v2, s[2:3] sc1
	s_waitcnt vmcnt(0)
	v_and_b32_e32 v3, 0xff, v5
	v_cmp_ne_u64_e32 vcc, 0, v[2:3]
	s_cbranch_vccnz .LBB249_7
; %bb.3:
	s_mov_b32 s7, 1
.LBB249_4:                              ; =>This Loop Header: Depth=1
                                        ;     Child Loop BB249_5 Depth 2
	s_max_u32 s12, s7, 1
.LBB249_5:                              ;   Parent Loop BB249_4 Depth=1
                                        ; =>  This Inner Loop Header: Depth=2
	s_add_i32 s12, s12, -1
	s_cmp_eq_u32 s12, 0
	s_sleep 1
	s_cbranch_scc0 .LBB249_5
; %bb.6:                                ;   in Loop: Header=BB249_4 Depth=1
	global_load_dwordx2 v[4:5], v2, s[2:3] sc1
	s_cmp_lt_u32 s7, 32
	s_cselect_b64 s[12:13], -1, 0
	s_cmp_lg_u64 s[12:13], 0
	s_addc_u32 s7, s7, 0
	s_waitcnt vmcnt(0)
	v_and_b32_e32 v3, 0xff, v5
	v_cmp_ne_u64_e32 vcc, 0, v[2:3]
	s_cbranch_vccz .LBB249_4
.LBB249_7:
	v_mov_b32_e32 v1, 0
	global_store_short v1, v4, s[8:9]
	global_store_byte_d16_hi v1, v4, s[8:9] offset:2
.LBB249_8:
	s_or_b64 exec, exec, s[0:1]
.LBB249_9:
	v_cmp_eq_u32_e32 vcc, 0, v0
	s_and_saveexec_b64 s[0:1], vcc
	s_cbranch_execnz .LBB249_13
; %bb.10:
	s_or_b64 exec, exec, s[0:1]
	v_cmp_gt_u32_e32 vcc, s6, v0
	s_and_saveexec_b64 s[0:1], vcc
	s_cbranch_execnz .LBB249_14
.LBB249_11:
	s_or_b64 exec, exec, s[0:1]
	v_cmp_gt_u32_e32 vcc, 64, v0
	s_and_saveexec_b64 s[0:1], vcc
	s_cbranch_execnz .LBB249_15
.LBB249_12:
	s_endpgm
.LBB249_13:
	v_mov_b32_e32 v1, 0
	global_store_dword v1, v1, s[10:11]
	s_or_b64 exec, exec, s[0:1]
	v_cmp_gt_u32_e32 vcc, s6, v0
	s_and_saveexec_b64 s[0:1], vcc
	s_cbranch_execz .LBB249_11
.LBB249_14:
	v_add_u32_e32 v2, 64, v0
	v_mov_b32_e32 v3, 0
	v_lshl_add_u64 v[4:5], v[2:3], 3, s[4:5]
	v_mov_b32_e32 v2, v3
	global_store_dwordx2 v[4:5], v[2:3], off
	s_or_b64 exec, exec, s[0:1]
	v_cmp_gt_u32_e32 vcc, 64, v0
	s_and_saveexec_b64 s[0:1], vcc
	s_cbranch_execz .LBB249_12
.LBB249_15:
	v_mov_b32_e32 v1, 0
	v_lshl_add_u64 v[2:3], v[0:1], 3, s[4:5]
	v_mov_b32_e32 v5, 0xff
	v_mov_b32_e32 v4, v1
	global_store_dwordx2 v[2:3], v[4:5], off
	s_endpgm
	.section	.rodata,"a",@progbits
	.p2align	6, 0x0
	.amdhsa_kernel _ZN7rocprim17ROCPRIM_400000_NS6detail30init_device_scan_by_key_kernelINS1_19lookback_scan_stateINS0_5tupleIJsbEEELb1ELb1EEENS1_16block_id_wrapperIjLb1EEEEEvT_jjPNS9_10value_typeET0_
		.amdhsa_group_segment_fixed_size 0
		.amdhsa_private_segment_fixed_size 0
		.amdhsa_kernarg_size 288
		.amdhsa_user_sgpr_count 2
		.amdhsa_user_sgpr_dispatch_ptr 0
		.amdhsa_user_sgpr_queue_ptr 0
		.amdhsa_user_sgpr_kernarg_segment_ptr 1
		.amdhsa_user_sgpr_dispatch_id 0
		.amdhsa_user_sgpr_kernarg_preload_length 0
		.amdhsa_user_sgpr_kernarg_preload_offset 0
		.amdhsa_user_sgpr_private_segment_size 0
		.amdhsa_uses_dynamic_stack 0
		.amdhsa_enable_private_segment 0
		.amdhsa_system_sgpr_workgroup_id_x 1
		.amdhsa_system_sgpr_workgroup_id_y 0
		.amdhsa_system_sgpr_workgroup_id_z 0
		.amdhsa_system_sgpr_workgroup_info 0
		.amdhsa_system_vgpr_workitem_id 0
		.amdhsa_next_free_vgpr 6
		.amdhsa_next_free_sgpr 14
		.amdhsa_accum_offset 8
		.amdhsa_reserve_vcc 1
		.amdhsa_float_round_mode_32 0
		.amdhsa_float_round_mode_16_64 0
		.amdhsa_float_denorm_mode_32 3
		.amdhsa_float_denorm_mode_16_64 3
		.amdhsa_dx10_clamp 1
		.amdhsa_ieee_mode 1
		.amdhsa_fp16_overflow 0
		.amdhsa_tg_split 0
		.amdhsa_exception_fp_ieee_invalid_op 0
		.amdhsa_exception_fp_denorm_src 0
		.amdhsa_exception_fp_ieee_div_zero 0
		.amdhsa_exception_fp_ieee_overflow 0
		.amdhsa_exception_fp_ieee_underflow 0
		.amdhsa_exception_fp_ieee_inexact 0
		.amdhsa_exception_int_div_zero 0
	.end_amdhsa_kernel
	.section	.text._ZN7rocprim17ROCPRIM_400000_NS6detail30init_device_scan_by_key_kernelINS1_19lookback_scan_stateINS0_5tupleIJsbEEELb1ELb1EEENS1_16block_id_wrapperIjLb1EEEEEvT_jjPNS9_10value_typeET0_,"axG",@progbits,_ZN7rocprim17ROCPRIM_400000_NS6detail30init_device_scan_by_key_kernelINS1_19lookback_scan_stateINS0_5tupleIJsbEEELb1ELb1EEENS1_16block_id_wrapperIjLb1EEEEEvT_jjPNS9_10value_typeET0_,comdat
.Lfunc_end249:
	.size	_ZN7rocprim17ROCPRIM_400000_NS6detail30init_device_scan_by_key_kernelINS1_19lookback_scan_stateINS0_5tupleIJsbEEELb1ELb1EEENS1_16block_id_wrapperIjLb1EEEEEvT_jjPNS9_10value_typeET0_, .Lfunc_end249-_ZN7rocprim17ROCPRIM_400000_NS6detail30init_device_scan_by_key_kernelINS1_19lookback_scan_stateINS0_5tupleIJsbEEELb1ELb1EEENS1_16block_id_wrapperIjLb1EEEEEvT_jjPNS9_10value_typeET0_
                                        ; -- End function
	.section	.AMDGPU.csdata,"",@progbits
; Kernel info:
; codeLenInByte = 364
; NumSgprs: 20
; NumVgprs: 6
; NumAgprs: 0
; TotalNumVgprs: 6
; ScratchSize: 0
; MemoryBound: 0
; FloatMode: 240
; IeeeMode: 1
; LDSByteSize: 0 bytes/workgroup (compile time only)
; SGPRBlocks: 2
; VGPRBlocks: 0
; NumSGPRsForWavesPerEU: 20
; NumVGPRsForWavesPerEU: 6
; AccumOffset: 8
; Occupancy: 8
; WaveLimiterHint : 0
; COMPUTE_PGM_RSRC2:SCRATCH_EN: 0
; COMPUTE_PGM_RSRC2:USER_SGPR: 2
; COMPUTE_PGM_RSRC2:TRAP_HANDLER: 0
; COMPUTE_PGM_RSRC2:TGID_X_EN: 1
; COMPUTE_PGM_RSRC2:TGID_Y_EN: 0
; COMPUTE_PGM_RSRC2:TGID_Z_EN: 0
; COMPUTE_PGM_RSRC2:TIDIG_COMP_CNT: 0
; COMPUTE_PGM_RSRC3_GFX90A:ACCUM_OFFSET: 1
; COMPUTE_PGM_RSRC3_GFX90A:TG_SPLIT: 0
	.section	.text._ZN7rocprim17ROCPRIM_400000_NS6detail17trampoline_kernelINS0_14default_configENS1_27scan_by_key_config_selectorIssEEZZNS1_16scan_by_key_implILNS1_25lookback_scan_determinismE0ELb0ES3_N6thrust23THRUST_200600_302600_NS6detail15normal_iteratorINS9_10device_ptrIsEEEESE_SE_sNS9_4plusIvEENS9_8equal_toIvEEsEE10hipError_tPvRmT2_T3_T4_T5_mT6_T7_P12ihipStream_tbENKUlT_T0_E_clISt17integral_constantIbLb1EESZ_EEDaSU_SV_EUlSU_E_NS1_11comp_targetILNS1_3genE0ELNS1_11target_archE4294967295ELNS1_3gpuE0ELNS1_3repE0EEENS1_30default_config_static_selectorELNS0_4arch9wavefront6targetE1EEEvT1_,"axG",@progbits,_ZN7rocprim17ROCPRIM_400000_NS6detail17trampoline_kernelINS0_14default_configENS1_27scan_by_key_config_selectorIssEEZZNS1_16scan_by_key_implILNS1_25lookback_scan_determinismE0ELb0ES3_N6thrust23THRUST_200600_302600_NS6detail15normal_iteratorINS9_10device_ptrIsEEEESE_SE_sNS9_4plusIvEENS9_8equal_toIvEEsEE10hipError_tPvRmT2_T3_T4_T5_mT6_T7_P12ihipStream_tbENKUlT_T0_E_clISt17integral_constantIbLb1EESZ_EEDaSU_SV_EUlSU_E_NS1_11comp_targetILNS1_3genE0ELNS1_11target_archE4294967295ELNS1_3gpuE0ELNS1_3repE0EEENS1_30default_config_static_selectorELNS0_4arch9wavefront6targetE1EEEvT1_,comdat
	.protected	_ZN7rocprim17ROCPRIM_400000_NS6detail17trampoline_kernelINS0_14default_configENS1_27scan_by_key_config_selectorIssEEZZNS1_16scan_by_key_implILNS1_25lookback_scan_determinismE0ELb0ES3_N6thrust23THRUST_200600_302600_NS6detail15normal_iteratorINS9_10device_ptrIsEEEESE_SE_sNS9_4plusIvEENS9_8equal_toIvEEsEE10hipError_tPvRmT2_T3_T4_T5_mT6_T7_P12ihipStream_tbENKUlT_T0_E_clISt17integral_constantIbLb1EESZ_EEDaSU_SV_EUlSU_E_NS1_11comp_targetILNS1_3genE0ELNS1_11target_archE4294967295ELNS1_3gpuE0ELNS1_3repE0EEENS1_30default_config_static_selectorELNS0_4arch9wavefront6targetE1EEEvT1_ ; -- Begin function _ZN7rocprim17ROCPRIM_400000_NS6detail17trampoline_kernelINS0_14default_configENS1_27scan_by_key_config_selectorIssEEZZNS1_16scan_by_key_implILNS1_25lookback_scan_determinismE0ELb0ES3_N6thrust23THRUST_200600_302600_NS6detail15normal_iteratorINS9_10device_ptrIsEEEESE_SE_sNS9_4plusIvEENS9_8equal_toIvEEsEE10hipError_tPvRmT2_T3_T4_T5_mT6_T7_P12ihipStream_tbENKUlT_T0_E_clISt17integral_constantIbLb1EESZ_EEDaSU_SV_EUlSU_E_NS1_11comp_targetILNS1_3genE0ELNS1_11target_archE4294967295ELNS1_3gpuE0ELNS1_3repE0EEENS1_30default_config_static_selectorELNS0_4arch9wavefront6targetE1EEEvT1_
	.globl	_ZN7rocprim17ROCPRIM_400000_NS6detail17trampoline_kernelINS0_14default_configENS1_27scan_by_key_config_selectorIssEEZZNS1_16scan_by_key_implILNS1_25lookback_scan_determinismE0ELb0ES3_N6thrust23THRUST_200600_302600_NS6detail15normal_iteratorINS9_10device_ptrIsEEEESE_SE_sNS9_4plusIvEENS9_8equal_toIvEEsEE10hipError_tPvRmT2_T3_T4_T5_mT6_T7_P12ihipStream_tbENKUlT_T0_E_clISt17integral_constantIbLb1EESZ_EEDaSU_SV_EUlSU_E_NS1_11comp_targetILNS1_3genE0ELNS1_11target_archE4294967295ELNS1_3gpuE0ELNS1_3repE0EEENS1_30default_config_static_selectorELNS0_4arch9wavefront6targetE1EEEvT1_
	.p2align	8
	.type	_ZN7rocprim17ROCPRIM_400000_NS6detail17trampoline_kernelINS0_14default_configENS1_27scan_by_key_config_selectorIssEEZZNS1_16scan_by_key_implILNS1_25lookback_scan_determinismE0ELb0ES3_N6thrust23THRUST_200600_302600_NS6detail15normal_iteratorINS9_10device_ptrIsEEEESE_SE_sNS9_4plusIvEENS9_8equal_toIvEEsEE10hipError_tPvRmT2_T3_T4_T5_mT6_T7_P12ihipStream_tbENKUlT_T0_E_clISt17integral_constantIbLb1EESZ_EEDaSU_SV_EUlSU_E_NS1_11comp_targetILNS1_3genE0ELNS1_11target_archE4294967295ELNS1_3gpuE0ELNS1_3repE0EEENS1_30default_config_static_selectorELNS0_4arch9wavefront6targetE1EEEvT1_,@function
_ZN7rocprim17ROCPRIM_400000_NS6detail17trampoline_kernelINS0_14default_configENS1_27scan_by_key_config_selectorIssEEZZNS1_16scan_by_key_implILNS1_25lookback_scan_determinismE0ELb0ES3_N6thrust23THRUST_200600_302600_NS6detail15normal_iteratorINS9_10device_ptrIsEEEESE_SE_sNS9_4plusIvEENS9_8equal_toIvEEsEE10hipError_tPvRmT2_T3_T4_T5_mT6_T7_P12ihipStream_tbENKUlT_T0_E_clISt17integral_constantIbLb1EESZ_EEDaSU_SV_EUlSU_E_NS1_11comp_targetILNS1_3genE0ELNS1_11target_archE4294967295ELNS1_3gpuE0ELNS1_3repE0EEENS1_30default_config_static_selectorELNS0_4arch9wavefront6targetE1EEEvT1_: ; @_ZN7rocprim17ROCPRIM_400000_NS6detail17trampoline_kernelINS0_14default_configENS1_27scan_by_key_config_selectorIssEEZZNS1_16scan_by_key_implILNS1_25lookback_scan_determinismE0ELb0ES3_N6thrust23THRUST_200600_302600_NS6detail15normal_iteratorINS9_10device_ptrIsEEEESE_SE_sNS9_4plusIvEENS9_8equal_toIvEEsEE10hipError_tPvRmT2_T3_T4_T5_mT6_T7_P12ihipStream_tbENKUlT_T0_E_clISt17integral_constantIbLb1EESZ_EEDaSU_SV_EUlSU_E_NS1_11comp_targetILNS1_3genE0ELNS1_11target_archE4294967295ELNS1_3gpuE0ELNS1_3repE0EEENS1_30default_config_static_selectorELNS0_4arch9wavefront6targetE1EEEvT1_
; %bb.0:
	.section	.rodata,"a",@progbits
	.p2align	6, 0x0
	.amdhsa_kernel _ZN7rocprim17ROCPRIM_400000_NS6detail17trampoline_kernelINS0_14default_configENS1_27scan_by_key_config_selectorIssEEZZNS1_16scan_by_key_implILNS1_25lookback_scan_determinismE0ELb0ES3_N6thrust23THRUST_200600_302600_NS6detail15normal_iteratorINS9_10device_ptrIsEEEESE_SE_sNS9_4plusIvEENS9_8equal_toIvEEsEE10hipError_tPvRmT2_T3_T4_T5_mT6_T7_P12ihipStream_tbENKUlT_T0_E_clISt17integral_constantIbLb1EESZ_EEDaSU_SV_EUlSU_E_NS1_11comp_targetILNS1_3genE0ELNS1_11target_archE4294967295ELNS1_3gpuE0ELNS1_3repE0EEENS1_30default_config_static_selectorELNS0_4arch9wavefront6targetE1EEEvT1_
		.amdhsa_group_segment_fixed_size 0
		.amdhsa_private_segment_fixed_size 0
		.amdhsa_kernarg_size 112
		.amdhsa_user_sgpr_count 2
		.amdhsa_user_sgpr_dispatch_ptr 0
		.amdhsa_user_sgpr_queue_ptr 0
		.amdhsa_user_sgpr_kernarg_segment_ptr 1
		.amdhsa_user_sgpr_dispatch_id 0
		.amdhsa_user_sgpr_kernarg_preload_length 0
		.amdhsa_user_sgpr_kernarg_preload_offset 0
		.amdhsa_user_sgpr_private_segment_size 0
		.amdhsa_uses_dynamic_stack 0
		.amdhsa_enable_private_segment 0
		.amdhsa_system_sgpr_workgroup_id_x 1
		.amdhsa_system_sgpr_workgroup_id_y 0
		.amdhsa_system_sgpr_workgroup_id_z 0
		.amdhsa_system_sgpr_workgroup_info 0
		.amdhsa_system_vgpr_workitem_id 0
		.amdhsa_next_free_vgpr 1
		.amdhsa_next_free_sgpr 0
		.amdhsa_accum_offset 4
		.amdhsa_reserve_vcc 0
		.amdhsa_float_round_mode_32 0
		.amdhsa_float_round_mode_16_64 0
		.amdhsa_float_denorm_mode_32 3
		.amdhsa_float_denorm_mode_16_64 3
		.amdhsa_dx10_clamp 1
		.amdhsa_ieee_mode 1
		.amdhsa_fp16_overflow 0
		.amdhsa_tg_split 0
		.amdhsa_exception_fp_ieee_invalid_op 0
		.amdhsa_exception_fp_denorm_src 0
		.amdhsa_exception_fp_ieee_div_zero 0
		.amdhsa_exception_fp_ieee_overflow 0
		.amdhsa_exception_fp_ieee_underflow 0
		.amdhsa_exception_fp_ieee_inexact 0
		.amdhsa_exception_int_div_zero 0
	.end_amdhsa_kernel
	.section	.text._ZN7rocprim17ROCPRIM_400000_NS6detail17trampoline_kernelINS0_14default_configENS1_27scan_by_key_config_selectorIssEEZZNS1_16scan_by_key_implILNS1_25lookback_scan_determinismE0ELb0ES3_N6thrust23THRUST_200600_302600_NS6detail15normal_iteratorINS9_10device_ptrIsEEEESE_SE_sNS9_4plusIvEENS9_8equal_toIvEEsEE10hipError_tPvRmT2_T3_T4_T5_mT6_T7_P12ihipStream_tbENKUlT_T0_E_clISt17integral_constantIbLb1EESZ_EEDaSU_SV_EUlSU_E_NS1_11comp_targetILNS1_3genE0ELNS1_11target_archE4294967295ELNS1_3gpuE0ELNS1_3repE0EEENS1_30default_config_static_selectorELNS0_4arch9wavefront6targetE1EEEvT1_,"axG",@progbits,_ZN7rocprim17ROCPRIM_400000_NS6detail17trampoline_kernelINS0_14default_configENS1_27scan_by_key_config_selectorIssEEZZNS1_16scan_by_key_implILNS1_25lookback_scan_determinismE0ELb0ES3_N6thrust23THRUST_200600_302600_NS6detail15normal_iteratorINS9_10device_ptrIsEEEESE_SE_sNS9_4plusIvEENS9_8equal_toIvEEsEE10hipError_tPvRmT2_T3_T4_T5_mT6_T7_P12ihipStream_tbENKUlT_T0_E_clISt17integral_constantIbLb1EESZ_EEDaSU_SV_EUlSU_E_NS1_11comp_targetILNS1_3genE0ELNS1_11target_archE4294967295ELNS1_3gpuE0ELNS1_3repE0EEENS1_30default_config_static_selectorELNS0_4arch9wavefront6targetE1EEEvT1_,comdat
.Lfunc_end250:
	.size	_ZN7rocprim17ROCPRIM_400000_NS6detail17trampoline_kernelINS0_14default_configENS1_27scan_by_key_config_selectorIssEEZZNS1_16scan_by_key_implILNS1_25lookback_scan_determinismE0ELb0ES3_N6thrust23THRUST_200600_302600_NS6detail15normal_iteratorINS9_10device_ptrIsEEEESE_SE_sNS9_4plusIvEENS9_8equal_toIvEEsEE10hipError_tPvRmT2_T3_T4_T5_mT6_T7_P12ihipStream_tbENKUlT_T0_E_clISt17integral_constantIbLb1EESZ_EEDaSU_SV_EUlSU_E_NS1_11comp_targetILNS1_3genE0ELNS1_11target_archE4294967295ELNS1_3gpuE0ELNS1_3repE0EEENS1_30default_config_static_selectorELNS0_4arch9wavefront6targetE1EEEvT1_, .Lfunc_end250-_ZN7rocprim17ROCPRIM_400000_NS6detail17trampoline_kernelINS0_14default_configENS1_27scan_by_key_config_selectorIssEEZZNS1_16scan_by_key_implILNS1_25lookback_scan_determinismE0ELb0ES3_N6thrust23THRUST_200600_302600_NS6detail15normal_iteratorINS9_10device_ptrIsEEEESE_SE_sNS9_4plusIvEENS9_8equal_toIvEEsEE10hipError_tPvRmT2_T3_T4_T5_mT6_T7_P12ihipStream_tbENKUlT_T0_E_clISt17integral_constantIbLb1EESZ_EEDaSU_SV_EUlSU_E_NS1_11comp_targetILNS1_3genE0ELNS1_11target_archE4294967295ELNS1_3gpuE0ELNS1_3repE0EEENS1_30default_config_static_selectorELNS0_4arch9wavefront6targetE1EEEvT1_
                                        ; -- End function
	.section	.AMDGPU.csdata,"",@progbits
; Kernel info:
; codeLenInByte = 0
; NumSgprs: 6
; NumVgprs: 0
; NumAgprs: 0
; TotalNumVgprs: 0
; ScratchSize: 0
; MemoryBound: 0
; FloatMode: 240
; IeeeMode: 1
; LDSByteSize: 0 bytes/workgroup (compile time only)
; SGPRBlocks: 0
; VGPRBlocks: 0
; NumSGPRsForWavesPerEU: 6
; NumVGPRsForWavesPerEU: 1
; AccumOffset: 4
; Occupancy: 8
; WaveLimiterHint : 0
; COMPUTE_PGM_RSRC2:SCRATCH_EN: 0
; COMPUTE_PGM_RSRC2:USER_SGPR: 2
; COMPUTE_PGM_RSRC2:TRAP_HANDLER: 0
; COMPUTE_PGM_RSRC2:TGID_X_EN: 1
; COMPUTE_PGM_RSRC2:TGID_Y_EN: 0
; COMPUTE_PGM_RSRC2:TGID_Z_EN: 0
; COMPUTE_PGM_RSRC2:TIDIG_COMP_CNT: 0
; COMPUTE_PGM_RSRC3_GFX90A:ACCUM_OFFSET: 0
; COMPUTE_PGM_RSRC3_GFX90A:TG_SPLIT: 0
	.section	.text._ZN7rocprim17ROCPRIM_400000_NS6detail17trampoline_kernelINS0_14default_configENS1_27scan_by_key_config_selectorIssEEZZNS1_16scan_by_key_implILNS1_25lookback_scan_determinismE0ELb0ES3_N6thrust23THRUST_200600_302600_NS6detail15normal_iteratorINS9_10device_ptrIsEEEESE_SE_sNS9_4plusIvEENS9_8equal_toIvEEsEE10hipError_tPvRmT2_T3_T4_T5_mT6_T7_P12ihipStream_tbENKUlT_T0_E_clISt17integral_constantIbLb1EESZ_EEDaSU_SV_EUlSU_E_NS1_11comp_targetILNS1_3genE10ELNS1_11target_archE1201ELNS1_3gpuE5ELNS1_3repE0EEENS1_30default_config_static_selectorELNS0_4arch9wavefront6targetE1EEEvT1_,"axG",@progbits,_ZN7rocprim17ROCPRIM_400000_NS6detail17trampoline_kernelINS0_14default_configENS1_27scan_by_key_config_selectorIssEEZZNS1_16scan_by_key_implILNS1_25lookback_scan_determinismE0ELb0ES3_N6thrust23THRUST_200600_302600_NS6detail15normal_iteratorINS9_10device_ptrIsEEEESE_SE_sNS9_4plusIvEENS9_8equal_toIvEEsEE10hipError_tPvRmT2_T3_T4_T5_mT6_T7_P12ihipStream_tbENKUlT_T0_E_clISt17integral_constantIbLb1EESZ_EEDaSU_SV_EUlSU_E_NS1_11comp_targetILNS1_3genE10ELNS1_11target_archE1201ELNS1_3gpuE5ELNS1_3repE0EEENS1_30default_config_static_selectorELNS0_4arch9wavefront6targetE1EEEvT1_,comdat
	.protected	_ZN7rocprim17ROCPRIM_400000_NS6detail17trampoline_kernelINS0_14default_configENS1_27scan_by_key_config_selectorIssEEZZNS1_16scan_by_key_implILNS1_25lookback_scan_determinismE0ELb0ES3_N6thrust23THRUST_200600_302600_NS6detail15normal_iteratorINS9_10device_ptrIsEEEESE_SE_sNS9_4plusIvEENS9_8equal_toIvEEsEE10hipError_tPvRmT2_T3_T4_T5_mT6_T7_P12ihipStream_tbENKUlT_T0_E_clISt17integral_constantIbLb1EESZ_EEDaSU_SV_EUlSU_E_NS1_11comp_targetILNS1_3genE10ELNS1_11target_archE1201ELNS1_3gpuE5ELNS1_3repE0EEENS1_30default_config_static_selectorELNS0_4arch9wavefront6targetE1EEEvT1_ ; -- Begin function _ZN7rocprim17ROCPRIM_400000_NS6detail17trampoline_kernelINS0_14default_configENS1_27scan_by_key_config_selectorIssEEZZNS1_16scan_by_key_implILNS1_25lookback_scan_determinismE0ELb0ES3_N6thrust23THRUST_200600_302600_NS6detail15normal_iteratorINS9_10device_ptrIsEEEESE_SE_sNS9_4plusIvEENS9_8equal_toIvEEsEE10hipError_tPvRmT2_T3_T4_T5_mT6_T7_P12ihipStream_tbENKUlT_T0_E_clISt17integral_constantIbLb1EESZ_EEDaSU_SV_EUlSU_E_NS1_11comp_targetILNS1_3genE10ELNS1_11target_archE1201ELNS1_3gpuE5ELNS1_3repE0EEENS1_30default_config_static_selectorELNS0_4arch9wavefront6targetE1EEEvT1_
	.globl	_ZN7rocprim17ROCPRIM_400000_NS6detail17trampoline_kernelINS0_14default_configENS1_27scan_by_key_config_selectorIssEEZZNS1_16scan_by_key_implILNS1_25lookback_scan_determinismE0ELb0ES3_N6thrust23THRUST_200600_302600_NS6detail15normal_iteratorINS9_10device_ptrIsEEEESE_SE_sNS9_4plusIvEENS9_8equal_toIvEEsEE10hipError_tPvRmT2_T3_T4_T5_mT6_T7_P12ihipStream_tbENKUlT_T0_E_clISt17integral_constantIbLb1EESZ_EEDaSU_SV_EUlSU_E_NS1_11comp_targetILNS1_3genE10ELNS1_11target_archE1201ELNS1_3gpuE5ELNS1_3repE0EEENS1_30default_config_static_selectorELNS0_4arch9wavefront6targetE1EEEvT1_
	.p2align	8
	.type	_ZN7rocprim17ROCPRIM_400000_NS6detail17trampoline_kernelINS0_14default_configENS1_27scan_by_key_config_selectorIssEEZZNS1_16scan_by_key_implILNS1_25lookback_scan_determinismE0ELb0ES3_N6thrust23THRUST_200600_302600_NS6detail15normal_iteratorINS9_10device_ptrIsEEEESE_SE_sNS9_4plusIvEENS9_8equal_toIvEEsEE10hipError_tPvRmT2_T3_T4_T5_mT6_T7_P12ihipStream_tbENKUlT_T0_E_clISt17integral_constantIbLb1EESZ_EEDaSU_SV_EUlSU_E_NS1_11comp_targetILNS1_3genE10ELNS1_11target_archE1201ELNS1_3gpuE5ELNS1_3repE0EEENS1_30default_config_static_selectorELNS0_4arch9wavefront6targetE1EEEvT1_,@function
_ZN7rocprim17ROCPRIM_400000_NS6detail17trampoline_kernelINS0_14default_configENS1_27scan_by_key_config_selectorIssEEZZNS1_16scan_by_key_implILNS1_25lookback_scan_determinismE0ELb0ES3_N6thrust23THRUST_200600_302600_NS6detail15normal_iteratorINS9_10device_ptrIsEEEESE_SE_sNS9_4plusIvEENS9_8equal_toIvEEsEE10hipError_tPvRmT2_T3_T4_T5_mT6_T7_P12ihipStream_tbENKUlT_T0_E_clISt17integral_constantIbLb1EESZ_EEDaSU_SV_EUlSU_E_NS1_11comp_targetILNS1_3genE10ELNS1_11target_archE1201ELNS1_3gpuE5ELNS1_3repE0EEENS1_30default_config_static_selectorELNS0_4arch9wavefront6targetE1EEEvT1_: ; @_ZN7rocprim17ROCPRIM_400000_NS6detail17trampoline_kernelINS0_14default_configENS1_27scan_by_key_config_selectorIssEEZZNS1_16scan_by_key_implILNS1_25lookback_scan_determinismE0ELb0ES3_N6thrust23THRUST_200600_302600_NS6detail15normal_iteratorINS9_10device_ptrIsEEEESE_SE_sNS9_4plusIvEENS9_8equal_toIvEEsEE10hipError_tPvRmT2_T3_T4_T5_mT6_T7_P12ihipStream_tbENKUlT_T0_E_clISt17integral_constantIbLb1EESZ_EEDaSU_SV_EUlSU_E_NS1_11comp_targetILNS1_3genE10ELNS1_11target_archE1201ELNS1_3gpuE5ELNS1_3repE0EEENS1_30default_config_static_selectorELNS0_4arch9wavefront6targetE1EEEvT1_
; %bb.0:
	.section	.rodata,"a",@progbits
	.p2align	6, 0x0
	.amdhsa_kernel _ZN7rocprim17ROCPRIM_400000_NS6detail17trampoline_kernelINS0_14default_configENS1_27scan_by_key_config_selectorIssEEZZNS1_16scan_by_key_implILNS1_25lookback_scan_determinismE0ELb0ES3_N6thrust23THRUST_200600_302600_NS6detail15normal_iteratorINS9_10device_ptrIsEEEESE_SE_sNS9_4plusIvEENS9_8equal_toIvEEsEE10hipError_tPvRmT2_T3_T4_T5_mT6_T7_P12ihipStream_tbENKUlT_T0_E_clISt17integral_constantIbLb1EESZ_EEDaSU_SV_EUlSU_E_NS1_11comp_targetILNS1_3genE10ELNS1_11target_archE1201ELNS1_3gpuE5ELNS1_3repE0EEENS1_30default_config_static_selectorELNS0_4arch9wavefront6targetE1EEEvT1_
		.amdhsa_group_segment_fixed_size 0
		.amdhsa_private_segment_fixed_size 0
		.amdhsa_kernarg_size 112
		.amdhsa_user_sgpr_count 2
		.amdhsa_user_sgpr_dispatch_ptr 0
		.amdhsa_user_sgpr_queue_ptr 0
		.amdhsa_user_sgpr_kernarg_segment_ptr 1
		.amdhsa_user_sgpr_dispatch_id 0
		.amdhsa_user_sgpr_kernarg_preload_length 0
		.amdhsa_user_sgpr_kernarg_preload_offset 0
		.amdhsa_user_sgpr_private_segment_size 0
		.amdhsa_uses_dynamic_stack 0
		.amdhsa_enable_private_segment 0
		.amdhsa_system_sgpr_workgroup_id_x 1
		.amdhsa_system_sgpr_workgroup_id_y 0
		.amdhsa_system_sgpr_workgroup_id_z 0
		.amdhsa_system_sgpr_workgroup_info 0
		.amdhsa_system_vgpr_workitem_id 0
		.amdhsa_next_free_vgpr 1
		.amdhsa_next_free_sgpr 0
		.amdhsa_accum_offset 4
		.amdhsa_reserve_vcc 0
		.amdhsa_float_round_mode_32 0
		.amdhsa_float_round_mode_16_64 0
		.amdhsa_float_denorm_mode_32 3
		.amdhsa_float_denorm_mode_16_64 3
		.amdhsa_dx10_clamp 1
		.amdhsa_ieee_mode 1
		.amdhsa_fp16_overflow 0
		.amdhsa_tg_split 0
		.amdhsa_exception_fp_ieee_invalid_op 0
		.amdhsa_exception_fp_denorm_src 0
		.amdhsa_exception_fp_ieee_div_zero 0
		.amdhsa_exception_fp_ieee_overflow 0
		.amdhsa_exception_fp_ieee_underflow 0
		.amdhsa_exception_fp_ieee_inexact 0
		.amdhsa_exception_int_div_zero 0
	.end_amdhsa_kernel
	.section	.text._ZN7rocprim17ROCPRIM_400000_NS6detail17trampoline_kernelINS0_14default_configENS1_27scan_by_key_config_selectorIssEEZZNS1_16scan_by_key_implILNS1_25lookback_scan_determinismE0ELb0ES3_N6thrust23THRUST_200600_302600_NS6detail15normal_iteratorINS9_10device_ptrIsEEEESE_SE_sNS9_4plusIvEENS9_8equal_toIvEEsEE10hipError_tPvRmT2_T3_T4_T5_mT6_T7_P12ihipStream_tbENKUlT_T0_E_clISt17integral_constantIbLb1EESZ_EEDaSU_SV_EUlSU_E_NS1_11comp_targetILNS1_3genE10ELNS1_11target_archE1201ELNS1_3gpuE5ELNS1_3repE0EEENS1_30default_config_static_selectorELNS0_4arch9wavefront6targetE1EEEvT1_,"axG",@progbits,_ZN7rocprim17ROCPRIM_400000_NS6detail17trampoline_kernelINS0_14default_configENS1_27scan_by_key_config_selectorIssEEZZNS1_16scan_by_key_implILNS1_25lookback_scan_determinismE0ELb0ES3_N6thrust23THRUST_200600_302600_NS6detail15normal_iteratorINS9_10device_ptrIsEEEESE_SE_sNS9_4plusIvEENS9_8equal_toIvEEsEE10hipError_tPvRmT2_T3_T4_T5_mT6_T7_P12ihipStream_tbENKUlT_T0_E_clISt17integral_constantIbLb1EESZ_EEDaSU_SV_EUlSU_E_NS1_11comp_targetILNS1_3genE10ELNS1_11target_archE1201ELNS1_3gpuE5ELNS1_3repE0EEENS1_30default_config_static_selectorELNS0_4arch9wavefront6targetE1EEEvT1_,comdat
.Lfunc_end251:
	.size	_ZN7rocprim17ROCPRIM_400000_NS6detail17trampoline_kernelINS0_14default_configENS1_27scan_by_key_config_selectorIssEEZZNS1_16scan_by_key_implILNS1_25lookback_scan_determinismE0ELb0ES3_N6thrust23THRUST_200600_302600_NS6detail15normal_iteratorINS9_10device_ptrIsEEEESE_SE_sNS9_4plusIvEENS9_8equal_toIvEEsEE10hipError_tPvRmT2_T3_T4_T5_mT6_T7_P12ihipStream_tbENKUlT_T0_E_clISt17integral_constantIbLb1EESZ_EEDaSU_SV_EUlSU_E_NS1_11comp_targetILNS1_3genE10ELNS1_11target_archE1201ELNS1_3gpuE5ELNS1_3repE0EEENS1_30default_config_static_selectorELNS0_4arch9wavefront6targetE1EEEvT1_, .Lfunc_end251-_ZN7rocprim17ROCPRIM_400000_NS6detail17trampoline_kernelINS0_14default_configENS1_27scan_by_key_config_selectorIssEEZZNS1_16scan_by_key_implILNS1_25lookback_scan_determinismE0ELb0ES3_N6thrust23THRUST_200600_302600_NS6detail15normal_iteratorINS9_10device_ptrIsEEEESE_SE_sNS9_4plusIvEENS9_8equal_toIvEEsEE10hipError_tPvRmT2_T3_T4_T5_mT6_T7_P12ihipStream_tbENKUlT_T0_E_clISt17integral_constantIbLb1EESZ_EEDaSU_SV_EUlSU_E_NS1_11comp_targetILNS1_3genE10ELNS1_11target_archE1201ELNS1_3gpuE5ELNS1_3repE0EEENS1_30default_config_static_selectorELNS0_4arch9wavefront6targetE1EEEvT1_
                                        ; -- End function
	.section	.AMDGPU.csdata,"",@progbits
; Kernel info:
; codeLenInByte = 0
; NumSgprs: 6
; NumVgprs: 0
; NumAgprs: 0
; TotalNumVgprs: 0
; ScratchSize: 0
; MemoryBound: 0
; FloatMode: 240
; IeeeMode: 1
; LDSByteSize: 0 bytes/workgroup (compile time only)
; SGPRBlocks: 0
; VGPRBlocks: 0
; NumSGPRsForWavesPerEU: 6
; NumVGPRsForWavesPerEU: 1
; AccumOffset: 4
; Occupancy: 8
; WaveLimiterHint : 0
; COMPUTE_PGM_RSRC2:SCRATCH_EN: 0
; COMPUTE_PGM_RSRC2:USER_SGPR: 2
; COMPUTE_PGM_RSRC2:TRAP_HANDLER: 0
; COMPUTE_PGM_RSRC2:TGID_X_EN: 1
; COMPUTE_PGM_RSRC2:TGID_Y_EN: 0
; COMPUTE_PGM_RSRC2:TGID_Z_EN: 0
; COMPUTE_PGM_RSRC2:TIDIG_COMP_CNT: 0
; COMPUTE_PGM_RSRC3_GFX90A:ACCUM_OFFSET: 0
; COMPUTE_PGM_RSRC3_GFX90A:TG_SPLIT: 0
	.section	.text._ZN7rocprim17ROCPRIM_400000_NS6detail17trampoline_kernelINS0_14default_configENS1_27scan_by_key_config_selectorIssEEZZNS1_16scan_by_key_implILNS1_25lookback_scan_determinismE0ELb0ES3_N6thrust23THRUST_200600_302600_NS6detail15normal_iteratorINS9_10device_ptrIsEEEESE_SE_sNS9_4plusIvEENS9_8equal_toIvEEsEE10hipError_tPvRmT2_T3_T4_T5_mT6_T7_P12ihipStream_tbENKUlT_T0_E_clISt17integral_constantIbLb1EESZ_EEDaSU_SV_EUlSU_E_NS1_11comp_targetILNS1_3genE5ELNS1_11target_archE942ELNS1_3gpuE9ELNS1_3repE0EEENS1_30default_config_static_selectorELNS0_4arch9wavefront6targetE1EEEvT1_,"axG",@progbits,_ZN7rocprim17ROCPRIM_400000_NS6detail17trampoline_kernelINS0_14default_configENS1_27scan_by_key_config_selectorIssEEZZNS1_16scan_by_key_implILNS1_25lookback_scan_determinismE0ELb0ES3_N6thrust23THRUST_200600_302600_NS6detail15normal_iteratorINS9_10device_ptrIsEEEESE_SE_sNS9_4plusIvEENS9_8equal_toIvEEsEE10hipError_tPvRmT2_T3_T4_T5_mT6_T7_P12ihipStream_tbENKUlT_T0_E_clISt17integral_constantIbLb1EESZ_EEDaSU_SV_EUlSU_E_NS1_11comp_targetILNS1_3genE5ELNS1_11target_archE942ELNS1_3gpuE9ELNS1_3repE0EEENS1_30default_config_static_selectorELNS0_4arch9wavefront6targetE1EEEvT1_,comdat
	.protected	_ZN7rocprim17ROCPRIM_400000_NS6detail17trampoline_kernelINS0_14default_configENS1_27scan_by_key_config_selectorIssEEZZNS1_16scan_by_key_implILNS1_25lookback_scan_determinismE0ELb0ES3_N6thrust23THRUST_200600_302600_NS6detail15normal_iteratorINS9_10device_ptrIsEEEESE_SE_sNS9_4plusIvEENS9_8equal_toIvEEsEE10hipError_tPvRmT2_T3_T4_T5_mT6_T7_P12ihipStream_tbENKUlT_T0_E_clISt17integral_constantIbLb1EESZ_EEDaSU_SV_EUlSU_E_NS1_11comp_targetILNS1_3genE5ELNS1_11target_archE942ELNS1_3gpuE9ELNS1_3repE0EEENS1_30default_config_static_selectorELNS0_4arch9wavefront6targetE1EEEvT1_ ; -- Begin function _ZN7rocprim17ROCPRIM_400000_NS6detail17trampoline_kernelINS0_14default_configENS1_27scan_by_key_config_selectorIssEEZZNS1_16scan_by_key_implILNS1_25lookback_scan_determinismE0ELb0ES3_N6thrust23THRUST_200600_302600_NS6detail15normal_iteratorINS9_10device_ptrIsEEEESE_SE_sNS9_4plusIvEENS9_8equal_toIvEEsEE10hipError_tPvRmT2_T3_T4_T5_mT6_T7_P12ihipStream_tbENKUlT_T0_E_clISt17integral_constantIbLb1EESZ_EEDaSU_SV_EUlSU_E_NS1_11comp_targetILNS1_3genE5ELNS1_11target_archE942ELNS1_3gpuE9ELNS1_3repE0EEENS1_30default_config_static_selectorELNS0_4arch9wavefront6targetE1EEEvT1_
	.globl	_ZN7rocprim17ROCPRIM_400000_NS6detail17trampoline_kernelINS0_14default_configENS1_27scan_by_key_config_selectorIssEEZZNS1_16scan_by_key_implILNS1_25lookback_scan_determinismE0ELb0ES3_N6thrust23THRUST_200600_302600_NS6detail15normal_iteratorINS9_10device_ptrIsEEEESE_SE_sNS9_4plusIvEENS9_8equal_toIvEEsEE10hipError_tPvRmT2_T3_T4_T5_mT6_T7_P12ihipStream_tbENKUlT_T0_E_clISt17integral_constantIbLb1EESZ_EEDaSU_SV_EUlSU_E_NS1_11comp_targetILNS1_3genE5ELNS1_11target_archE942ELNS1_3gpuE9ELNS1_3repE0EEENS1_30default_config_static_selectorELNS0_4arch9wavefront6targetE1EEEvT1_
	.p2align	8
	.type	_ZN7rocprim17ROCPRIM_400000_NS6detail17trampoline_kernelINS0_14default_configENS1_27scan_by_key_config_selectorIssEEZZNS1_16scan_by_key_implILNS1_25lookback_scan_determinismE0ELb0ES3_N6thrust23THRUST_200600_302600_NS6detail15normal_iteratorINS9_10device_ptrIsEEEESE_SE_sNS9_4plusIvEENS9_8equal_toIvEEsEE10hipError_tPvRmT2_T3_T4_T5_mT6_T7_P12ihipStream_tbENKUlT_T0_E_clISt17integral_constantIbLb1EESZ_EEDaSU_SV_EUlSU_E_NS1_11comp_targetILNS1_3genE5ELNS1_11target_archE942ELNS1_3gpuE9ELNS1_3repE0EEENS1_30default_config_static_selectorELNS0_4arch9wavefront6targetE1EEEvT1_,@function
_ZN7rocprim17ROCPRIM_400000_NS6detail17trampoline_kernelINS0_14default_configENS1_27scan_by_key_config_selectorIssEEZZNS1_16scan_by_key_implILNS1_25lookback_scan_determinismE0ELb0ES3_N6thrust23THRUST_200600_302600_NS6detail15normal_iteratorINS9_10device_ptrIsEEEESE_SE_sNS9_4plusIvEENS9_8equal_toIvEEsEE10hipError_tPvRmT2_T3_T4_T5_mT6_T7_P12ihipStream_tbENKUlT_T0_E_clISt17integral_constantIbLb1EESZ_EEDaSU_SV_EUlSU_E_NS1_11comp_targetILNS1_3genE5ELNS1_11target_archE942ELNS1_3gpuE9ELNS1_3repE0EEENS1_30default_config_static_selectorELNS0_4arch9wavefront6targetE1EEEvT1_: ; @_ZN7rocprim17ROCPRIM_400000_NS6detail17trampoline_kernelINS0_14default_configENS1_27scan_by_key_config_selectorIssEEZZNS1_16scan_by_key_implILNS1_25lookback_scan_determinismE0ELb0ES3_N6thrust23THRUST_200600_302600_NS6detail15normal_iteratorINS9_10device_ptrIsEEEESE_SE_sNS9_4plusIvEENS9_8equal_toIvEEsEE10hipError_tPvRmT2_T3_T4_T5_mT6_T7_P12ihipStream_tbENKUlT_T0_E_clISt17integral_constantIbLb1EESZ_EEDaSU_SV_EUlSU_E_NS1_11comp_targetILNS1_3genE5ELNS1_11target_archE942ELNS1_3gpuE9ELNS1_3repE0EEENS1_30default_config_static_selectorELNS0_4arch9wavefront6targetE1EEEvT1_
; %bb.0:
	s_load_dwordx4 s[76:79], s[0:1], 0x28
	s_load_dwordx2 s[80:81], s[0:1], 0x38
	v_cmp_ne_u32_e64 s[4:5], 0, v0
	v_cmp_eq_u32_e64 s[56:57], 0, v0
	s_and_saveexec_b64 s[2:3], s[56:57]
	s_cbranch_execz .LBB252_4
; %bb.1:
	s_mov_b64 s[8:9], exec
	v_mbcnt_lo_u32_b32 v1, s8, 0
	v_mbcnt_hi_u32_b32 v1, s9, v1
	v_cmp_eq_u32_e32 vcc, 0, v1
                                        ; implicit-def: $vgpr2
	s_and_saveexec_b64 s[6:7], vcc
	s_cbranch_execz .LBB252_3
; %bb.2:
	s_load_dwordx2 s[10:11], s[0:1], 0x68
	s_bcnt1_i32_b64 s8, s[8:9]
	v_mov_b32_e32 v2, 0
	v_mov_b32_e32 v3, s8
	s_waitcnt lgkmcnt(0)
	global_atomic_add v2, v2, v3, s[10:11] sc0
.LBB252_3:
	s_or_b64 exec, exec, s[6:7]
	s_waitcnt vmcnt(0)
	v_readfirstlane_b32 s6, v2
	v_mov_b32_e32 v2, 0
	s_nop 0
	v_add_u32_e32 v1, s6, v1
	ds_write_b32 v2, v1
.LBB252_4:
	s_or_b64 exec, exec, s[2:3]
	s_load_dwordx8 s[60:67], s[0:1], 0x0
	s_load_dword s2, s[0:1], 0x40
	s_load_dwordx8 s[68:75], s[0:1], 0x48
	v_mov_b32_e32 v1, 0
	s_waitcnt lgkmcnt(0)
	s_barrier
	ds_read_b32 v1, v1
	s_lshl_b64 s[58:59], s[62:63], 1
	s_add_u32 s3, s60, s58
	s_addc_u32 s6, s61, s59
	s_add_u32 s7, s64, s58
	s_mul_i32 s0, s81, s2
	s_mul_hi_u32 s1, s80, s2
	s_addc_u32 s8, s65, s59
	s_add_i32 s9, s1, s0
	s_waitcnt lgkmcnt(0)
	v_readfirstlane_b32 s79, v1
	s_cmp_lg_u64 s[72:73], 0
	s_mov_b32 s1, 0
	s_mul_i32 s0, s79, 0x1800
	s_cselect_b64 s[72:73], -1, 0
	s_lshl_b64 s[60:61], s[0:1], 1
	s_add_u32 s64, s3, s60
	s_addc_u32 s65, s6, s61
	s_add_u32 s62, s7, s60
	s_mul_i32 s2, s80, s2
	s_addc_u32 s63, s8, s61
	s_add_u32 s82, s2, s79
	s_addc_u32 s83, s9, 0
	s_add_u32 s0, s68, -1
	s_addc_u32 s1, s69, -1
	v_mov_b64_e32 v[2:3], s[0:1]
	v_cmp_ge_u64_e64 s[2:3], s[82:83], v[2:3]
	s_mov_b64 s[12:13], 0
	s_mov_b64 s[6:7], -1
	s_and_b64 vcc, exec, s[2:3]
	s_mul_i32 s33, s0, 0xffffe800
	s_barrier
	s_barrier
	s_cbranch_vccz .LBB252_131
; %bb.5:
	v_mov_b64_e32 v[2:3], s[64:65]
	flat_load_ushort v3, v[2:3]
	s_add_i32 s86, s33, s78
	v_cmp_gt_u32_e64 s[6:7], s86, v0
	s_waitcnt vmcnt(0) lgkmcnt(0)
	v_mov_b32_e32 v19, v3
	s_and_saveexec_b64 s[0:1], s[6:7]
	s_cbranch_execz .LBB252_7
; %bb.6:
	v_lshlrev_b32_e32 v4, 1, v0
	v_mov_b32_e32 v5, 0
	v_lshl_add_u64 v[4:5], s[64:65], 0, v[4:5]
	flat_load_ushort v19, v[4:5]
.LBB252_7:
	s_or_b64 exec, exec, s[0:1]
	v_or_b32_e32 v1, 0x100, v0
	v_cmp_gt_u32_e64 s[8:9], s86, v1
	v_mov_b32_e32 v20, v3
	s_and_saveexec_b64 s[0:1], s[8:9]
	s_cbranch_execz .LBB252_9
; %bb.8:
	v_lshlrev_b32_e32 v4, 1, v0
	v_mov_b32_e32 v5, 0
	v_lshl_add_u64 v[4:5], s[64:65], 0, v[4:5]
	flat_load_ushort v20, v[4:5] offset:512
.LBB252_9:
	s_or_b64 exec, exec, s[0:1]
	v_or_b32_e32 v1, 0x200, v0
	v_cmp_gt_u32_e64 s[10:11], s86, v1
	v_mov_b32_e32 v21, v3
	s_and_saveexec_b64 s[0:1], s[10:11]
	s_cbranch_execz .LBB252_11
; %bb.10:
	v_lshlrev_b32_e32 v4, 1, v0
	v_mov_b32_e32 v5, 0
	v_lshl_add_u64 v[4:5], s[64:65], 0, v[4:5]
	flat_load_ushort v21, v[4:5] offset:1024
.LBB252_11:
	;; [unrolled: 12-line block ×7, first 2 shown]
	s_or_b64 exec, exec, s[0:1]
	v_or_b32_e32 v1, 0x800, v0
	v_cmp_gt_u32_e64 s[22:23], s86, v1
	v_mov_b32_e32 v27, v3
	s_and_saveexec_b64 s[0:1], s[22:23]
	s_cbranch_execz .LBB252_23
; %bb.22:
	v_lshlrev_b32_e32 v4, 1, v1
	v_mov_b32_e32 v5, 0
	v_lshl_add_u64 v[4:5], s[64:65], 0, v[4:5]
	flat_load_ushort v27, v[4:5]
.LBB252_23:
	s_or_b64 exec, exec, s[0:1]
	v_or_b32_e32 v4, 0x900, v0
	v_cmp_gt_u32_e64 s[24:25], s86, v4
	v_mov_b32_e32 v28, v3
	s_and_saveexec_b64 s[0:1], s[24:25]
	s_cbranch_execz .LBB252_25
; %bb.24:
	v_lshlrev_b32_e32 v6, 1, v4
	v_mov_b32_e32 v7, 0
	v_lshl_add_u64 v[6:7], s[64:65], 0, v[6:7]
	flat_load_ushort v28, v[6:7]
.LBB252_25:
	;; [unrolled: 12-line block ×15, first 2 shown]
	s_or_b64 exec, exec, s[0:1]
	v_or_b32_e32 v18, 0x1700, v0
	v_cmp_gt_u32_e64 s[54:55], s86, v18
	s_and_saveexec_b64 s[0:1], s[54:55]
	s_cbranch_execz .LBB252_53
; %bb.52:
	v_lshlrev_b32_e32 v2, 1, v18
	v_mov_b32_e32 v3, 0
	v_lshl_add_u64 v[2:3], s[64:65], 0, v[2:3]
	flat_load_ushort v3, v[2:3]
.LBB252_53:
	s_or_b64 exec, exec, s[0:1]
	v_lshlrev_b32_e32 v2, 1, v0
	s_waitcnt vmcnt(0) lgkmcnt(0)
	ds_write_b16 v2, v19
	ds_write_b16 v2, v20 offset:512
	ds_write_b16 v2, v21 offset:1024
	;; [unrolled: 1-line block ×23, first 2 shown]
	v_mad_u32_u24 v40, v0, 46, v2
	s_waitcnt lgkmcnt(0)
	s_barrier
	ds_read_b128 v[30:33], v40
	ds_read_b128 v[26:29], v40 offset:16
	ds_read_b128 v[22:25], v40 offset:32
	s_cmp_eq_u64 s[82:83], 0
	s_mov_b64 s[0:1], s[64:65]
	s_cbranch_scc1 .LBB252_57
; %bb.54:
	s_andn2_b64 vcc, exec, s[72:73]
	s_cbranch_vccnz .LBB252_323
; %bb.55:
	s_lshl_b64 s[0:1], s[82:83], 1
	s_add_u32 s0, s74, s0
	s_addc_u32 s1, s75, s1
	s_add_u32 s0, s0, -2
	s_addc_u32 s1, s1, -1
	s_cbranch_execnz .LBB252_57
.LBB252_56:
	s_add_u32 s0, s64, -2
	s_addc_u32 s1, s65, -1
.LBB252_57:
	v_mov_b64_e32 v[20:21], s[0:1]
	flat_load_ushort v34, v[20:21]
	s_movk_i32 s0, 0xffd2
	s_waitcnt lgkmcnt(0)
	v_lshrrev_b32_e32 v41, 16, v25
	v_mad_i32_i24 v3, v0, s0, v40
	ds_write_b16 v3, v41 offset:12288
	s_waitcnt lgkmcnt(0)
	s_barrier
	s_and_saveexec_b64 s[0:1], s[4:5]
	s_cbranch_execz .LBB252_59
; %bb.58:
	v_mul_i32_i24_e32 v3, 0xffffffd2, v0
	v_add_u32_e32 v3, v40, v3
	s_waitcnt vmcnt(0)
	ds_read_u16 v34, v3 offset:12286
.LBB252_59:
	s_or_b64 exec, exec, s[0:1]
	v_mov_b32_e32 v3, 0
	s_waitcnt lgkmcnt(0)
	s_barrier
	s_waitcnt lgkmcnt(0)
                                        ; implicit-def: $vgpr19
	s_and_saveexec_b64 s[0:1], s[6:7]
	s_cbranch_execnz .LBB252_300
; %bb.60:
	s_or_b64 exec, exec, s[0:1]
                                        ; implicit-def: $vgpr20
	s_and_saveexec_b64 s[0:1], s[8:9]
	s_cbranch_execnz .LBB252_301
.LBB252_61:
	s_or_b64 exec, exec, s[0:1]
                                        ; implicit-def: $vgpr21
	s_and_saveexec_b64 s[0:1], s[10:11]
	s_cbranch_execnz .LBB252_302
.LBB252_62:
	s_or_b64 exec, exec, s[0:1]
                                        ; implicit-def: $vgpr35
	s_and_saveexec_b64 s[0:1], s[12:13]
	s_cbranch_execnz .LBB252_303
.LBB252_63:
	s_or_b64 exec, exec, s[0:1]
                                        ; implicit-def: $vgpr36
	s_and_saveexec_b64 s[0:1], s[14:15]
	s_cbranch_execnz .LBB252_304
.LBB252_64:
	s_or_b64 exec, exec, s[0:1]
                                        ; implicit-def: $vgpr37
	s_and_saveexec_b64 s[0:1], s[16:17]
	s_cbranch_execnz .LBB252_305
.LBB252_65:
	s_or_b64 exec, exec, s[0:1]
                                        ; implicit-def: $vgpr38
	s_and_saveexec_b64 s[0:1], s[18:19]
	s_cbranch_execnz .LBB252_306
.LBB252_66:
	s_or_b64 exec, exec, s[0:1]
                                        ; implicit-def: $vgpr3
	s_and_saveexec_b64 s[0:1], s[20:21]
	s_cbranch_execnz .LBB252_307
.LBB252_67:
	s_or_b64 exec, exec, s[0:1]
                                        ; implicit-def: $vgpr39
	s_and_saveexec_b64 s[0:1], s[22:23]
	s_cbranch_execnz .LBB252_308
.LBB252_68:
	s_or_b64 exec, exec, s[0:1]
                                        ; implicit-def: $vgpr1
	s_and_saveexec_b64 s[0:1], s[24:25]
	s_cbranch_execnz .LBB252_309
.LBB252_69:
	s_or_b64 exec, exec, s[0:1]
                                        ; implicit-def: $vgpr4
	s_and_saveexec_b64 s[0:1], s[26:27]
	s_cbranch_execnz .LBB252_310
.LBB252_70:
	s_or_b64 exec, exec, s[0:1]
                                        ; implicit-def: $vgpr5
	s_and_saveexec_b64 s[0:1], s[28:29]
	s_cbranch_execnz .LBB252_311
.LBB252_71:
	s_or_b64 exec, exec, s[0:1]
                                        ; implicit-def: $vgpr6
	s_and_saveexec_b64 s[0:1], s[30:31]
	s_cbranch_execnz .LBB252_312
.LBB252_72:
	s_or_b64 exec, exec, s[0:1]
                                        ; implicit-def: $vgpr7
	s_and_saveexec_b64 s[0:1], s[34:35]
	s_cbranch_execnz .LBB252_313
.LBB252_73:
	s_or_b64 exec, exec, s[0:1]
                                        ; implicit-def: $vgpr8
	s_and_saveexec_b64 s[0:1], s[36:37]
	s_cbranch_execnz .LBB252_314
.LBB252_74:
	s_or_b64 exec, exec, s[0:1]
                                        ; implicit-def: $vgpr9
	s_and_saveexec_b64 s[0:1], s[38:39]
	s_cbranch_execnz .LBB252_315
.LBB252_75:
	s_or_b64 exec, exec, s[0:1]
                                        ; implicit-def: $vgpr10
	s_and_saveexec_b64 s[0:1], s[40:41]
	s_cbranch_execnz .LBB252_316
.LBB252_76:
	s_or_b64 exec, exec, s[0:1]
                                        ; implicit-def: $vgpr11
	s_and_saveexec_b64 s[0:1], s[42:43]
	s_cbranch_execnz .LBB252_317
.LBB252_77:
	s_or_b64 exec, exec, s[0:1]
                                        ; implicit-def: $vgpr12
	s_and_saveexec_b64 s[0:1], s[44:45]
	s_cbranch_execnz .LBB252_318
.LBB252_78:
	s_or_b64 exec, exec, s[0:1]
                                        ; implicit-def: $vgpr13
	s_and_saveexec_b64 s[0:1], s[46:47]
	s_cbranch_execnz .LBB252_319
.LBB252_79:
	s_or_b64 exec, exec, s[0:1]
                                        ; implicit-def: $vgpr14
	s_and_saveexec_b64 s[0:1], s[48:49]
	s_cbranch_execnz .LBB252_320
.LBB252_80:
	s_or_b64 exec, exec, s[0:1]
                                        ; implicit-def: $vgpr15
	s_and_saveexec_b64 s[0:1], s[50:51]
	s_cbranch_execnz .LBB252_321
.LBB252_81:
	s_or_b64 exec, exec, s[0:1]
                                        ; implicit-def: $vgpr16
	s_and_saveexec_b64 s[0:1], s[52:53]
	s_cbranch_execnz .LBB252_322
.LBB252_82:
	s_or_b64 exec, exec, s[0:1]
                                        ; implicit-def: $vgpr17
	s_and_saveexec_b64 s[0:1], s[54:55]
	s_cbranch_execz .LBB252_84
.LBB252_83:
	v_lshlrev_b32_e32 v42, 1, v18
	v_mov_b32_e32 v43, 0
	v_lshl_add_u64 v[42:43], s[62:63], 0, v[42:43]
	flat_load_ushort v17, v[42:43]
.LBB252_84:
	s_or_b64 exec, exec, s[0:1]
	s_mov_b32 s8, 0
	s_mov_b32 s9, s8
	s_waitcnt vmcnt(0) lgkmcnt(0)
	ds_write_b16 v2, v19
	ds_write_b16 v2, v20 offset:512
	ds_write_b16 v2, v21 offset:1024
	;; [unrolled: 1-line block ×23, first 2 shown]
	s_mov_b32 s10, s8
	s_mov_b32 s11, s8
	;; [unrolled: 1-line block ×6, first 2 shown]
	v_mov_b64_e32 v[2:3], s[8:9]
	s_mov_b32 s18, s8
	s_mov_b32 s19, s8
	v_mov_b64_e32 v[8:9], s[14:15]
	v_mul_u32_u24_e32 v43, 24, v0
	s_mov_b32 s16, s8
	s_mov_b32 s17, s8
	v_mov_b64_e32 v[20:21], s[18:19]
	v_mov_b64_e32 v[4:5], s[10:11]
	;; [unrolled: 1-line block ×4, first 2 shown]
	v_cmp_gt_u32_e32 vcc, s86, v43
	s_mov_b64 s[6:7], 0
	v_mov_b64_e32 v[18:19], s[16:17]
	v_mov_b32_e32 v1, 0
	s_mov_b64 s[12:13], 0
	v_mov_b64_e32 v[14:15], v[6:7]
	v_mov_b64_e32 v[12:13], v[4:5]
	;; [unrolled: 1-line block ×3, first 2 shown]
	v_mov_b32_e32 v38, 0
	v_mov_b32_e32 v39, 0
	s_waitcnt lgkmcnt(0)
	s_barrier
	s_waitcnt lgkmcnt(0)
                                        ; implicit-def: $sgpr0_sgpr1
                                        ; implicit-def: $vgpr42
	s_and_saveexec_b64 s[10:11], vcc
	s_cbranch_execz .LBB252_130
; %bb.85:
	ds_read_u16 v1, v40
	v_cmp_ne_u16_e32 vcc, v34, v30
	s_mov_b32 s12, 0
	v_or_b32_e32 v2, 1, v43
	v_cndmask_b32_e64 v3, 0, 1, vcc
	s_mov_b32 s13, s12
	v_cmp_gt_u32_e32 vcc, s86, v2
	s_waitcnt lgkmcnt(0)
	v_lshl_or_b32 v1, v3, 16, v1
	s_mov_b32 s14, s12
	s_mov_b32 s15, s12
	;; [unrolled: 1-line block ×6, first 2 shown]
	v_mov_b64_e32 v[2:3], s[12:13]
	s_mov_b32 s24, s12
	s_mov_b32 s25, s12
	v_mov_b64_e32 v[8:9], s[18:19]
	s_mov_b32 s26, s12
	s_mov_b32 s27, s12
	v_mov_b64_e32 v[18:19], s[24:25]
	v_mov_b64_e32 v[4:5], s[14:15]
	;; [unrolled: 1-line block ×4, first 2 shown]
	s_mov_b64 s[22:23], 0
	v_mov_b64_e32 v[20:21], s[26:27]
	v_mov_b32_e32 v38, 0
	v_mov_b64_e32 v[14:15], v[6:7]
	v_mov_b64_e32 v[12:13], v[4:5]
	;; [unrolled: 1-line block ×3, first 2 shown]
	v_mov_b32_e32 v39, 0
                                        ; implicit-def: $sgpr24_sgpr25
                                        ; implicit-def: $vgpr42
	s_and_saveexec_b64 s[20:21], vcc
	s_cbranch_execz .LBB252_129
; %bb.86:
	ds_read_b128 v[34:37], v40 offset:2
	v_or_b32_e32 v2, 2, v43
	v_cmp_ne_u16_sdwa s[0:1], v30, v30 src0_sel:DWORD src1_sel:WORD_1
	v_cmp_gt_u32_e32 vcc, s86, v2
	v_mov_b32_e32 v19, 0
	v_cndmask_b32_e64 v3, 0, 1, s[0:1]
	s_waitcnt lgkmcnt(0)
	v_and_b32_e32 v2, 0xffff, v34
	v_lshl_or_b32 v18, v3, 16, v2
	v_mov_b64_e32 v[2:3], s[12:13]
	v_mov_b64_e32 v[8:9], s[18:19]
	;; [unrolled: 1-line block ×5, first 2 shown]
	v_mov_b32_e32 v20, v19
	v_mov_b32_e32 v21, v19
	s_mov_b64 s[0:1], 0
	v_mov_b64_e32 v[14:15], v[6:7]
	v_mov_b64_e32 v[12:13], v[4:5]
	;; [unrolled: 1-line block ×3, first 2 shown]
	v_mov_b32_e32 v38, v19
	v_mov_b32_e32 v39, v19
                                        ; implicit-def: $sgpr12_sgpr13
                                        ; implicit-def: $vgpr42
	s_and_saveexec_b64 s[22:23], vcc
	s_cbranch_execz .LBB252_128
; %bb.87:
	v_cmp_ne_u16_sdwa s[0:1], v30, v31 src0_sel:WORD_1 src1_sel:DWORD
	s_mov_b32 s12, 0
	v_or_b32_e32 v2, 3, v43
	v_cndmask_b32_e64 v3, 0, 1, s[0:1]
	s_mov_b32 s13, s12
	v_alignbit_b32 v19, v3, v34, 16
	v_cmp_gt_u32_e32 vcc, s86, v2
	s_mov_b32 s14, s12
	s_mov_b32 s15, s12
	;; [unrolled: 1-line block ×6, first 2 shown]
	v_mov_b64_e32 v[2:3], s[12:13]
	v_mov_b64_e32 v[8:9], s[18:19]
	v_mov_b32_e32 v20, 0
	v_mov_b64_e32 v[4:5], s[14:15]
	v_mov_b64_e32 v[6:7], s[16:17]
	;; [unrolled: 1-line block ×3, first 2 shown]
	v_mov_b32_e32 v21, v20
	s_mov_b64 s[0:1], 0
	v_mov_b64_e32 v[14:15], v[6:7]
	v_mov_b64_e32 v[12:13], v[4:5]
	;; [unrolled: 1-line block ×3, first 2 shown]
	v_mov_b32_e32 v38, v20
	v_mov_b32_e32 v39, v20
                                        ; implicit-def: $sgpr26_sgpr27
                                        ; implicit-def: $vgpr42
	s_and_saveexec_b64 s[24:25], vcc
	s_cbranch_execz .LBB252_127
; %bb.88:
	v_cmp_ne_u16_sdwa s[0:1], v31, v31 src0_sel:DWORD src1_sel:WORD_1
	v_and_b32_e32 v2, 0xffff, v35
	v_or_b32_e32 v3, 4, v43
	v_cndmask_b32_e64 v4, 0, 1, s[0:1]
	v_lshl_or_b32 v20, v4, 16, v2
	v_cmp_gt_u32_e32 vcc, s86, v3
	v_mov_b64_e32 v[2:3], s[12:13]
	v_mov_b64_e32 v[8:9], s[18:19]
	;; [unrolled: 1-line block ×5, first 2 shown]
	v_mov_b32_e32 v21, s12
	s_mov_b64 s[0:1], 0
	v_mov_b32_e32 v38, 0
	v_mov_b64_e32 v[14:15], v[6:7]
	v_mov_b64_e32 v[12:13], v[4:5]
	;; [unrolled: 1-line block ×3, first 2 shown]
	v_mov_b32_e32 v39, 0
                                        ; implicit-def: $sgpr12_sgpr13
                                        ; implicit-def: $vgpr42
	s_and_saveexec_b64 s[26:27], vcc
	s_cbranch_execz .LBB252_126
; %bb.89:
	v_cmp_ne_u16_sdwa s[0:1], v31, v32 src0_sel:WORD_1 src1_sel:DWORD
	s_mov_b32 s12, 0
	v_or_b32_e32 v2, 5, v43
	v_cndmask_b32_e64 v3, 0, 1, s[0:1]
	s_mov_b32 s13, s12
	v_alignbit_b32 v21, v3, v35, 16
	v_cmp_gt_u32_e32 vcc, s86, v2
	s_mov_b32 s14, s12
	s_mov_b32 s15, s12
	;; [unrolled: 1-line block ×6, first 2 shown]
	v_mov_b64_e32 v[2:3], s[12:13]
	v_mov_b64_e32 v[8:9], s[18:19]
	;; [unrolled: 1-line block ×5, first 2 shown]
	s_mov_b64 s[0:1], 0
	v_mov_b32_e32 v38, 0
	v_mov_b64_e32 v[14:15], v[6:7]
	v_mov_b64_e32 v[12:13], v[4:5]
	;; [unrolled: 1-line block ×3, first 2 shown]
	v_mov_b32_e32 v39, 0
                                        ; implicit-def: $sgpr30_sgpr31
                                        ; implicit-def: $vgpr42
	s_and_saveexec_b64 s[28:29], vcc
	s_cbranch_execz .LBB252_125
; %bb.90:
	v_cmp_ne_u16_sdwa s[0:1], v32, v32 src0_sel:DWORD src1_sel:WORD_1
	v_and_b32_e32 v2, 0xffff, v36
	v_or_b32_e32 v3, 6, v43
	v_cndmask_b32_e64 v4, 0, 1, s[0:1]
	v_lshl_or_b32 v38, v4, 16, v2
	v_cmp_gt_u32_e32 vcc, s86, v3
	v_mov_b64_e32 v[2:3], s[12:13]
	v_mov_b64_e32 v[8:9], s[18:19]
	v_mov_b64_e32 v[4:5], s[14:15]
	v_mov_b64_e32 v[6:7], s[16:17]
	v_mov_b64_e32 v[16:17], v[8:9]
	s_mov_b64 s[0:1], 0
	v_mov_b32_e32 v39, 0
	v_mov_b64_e32 v[14:15], v[6:7]
	v_mov_b64_e32 v[12:13], v[4:5]
	;; [unrolled: 1-line block ×3, first 2 shown]
                                        ; implicit-def: $sgpr12_sgpr13
                                        ; implicit-def: $vgpr42
	s_and_saveexec_b64 s[30:31], vcc
	s_cbranch_execz .LBB252_124
; %bb.91:
	s_mov_b32 s12, 0
	v_or_b32_e32 v3, 7, v43
	v_cmp_ne_u16_sdwa s[0:1], v32, v33 src0_sel:WORD_1 src1_sel:DWORD
	s_mov_b32 s13, s12
	v_cmp_gt_u32_e32 vcc, s86, v3
	v_cndmask_b32_e64 v2, 0, 1, s[0:1]
	v_mov_b32_e32 v3, 0
	s_mov_b32 s14, s12
	s_mov_b32 s15, s12
	;; [unrolled: 1-line block ×6, first 2 shown]
	v_mov_b64_e32 v[10:11], s[12:13]
	v_alignbit_b32 v2, v2, v36, 16
	v_mov_b32_e32 v4, v3
	v_mov_b32_e32 v5, v3
	;; [unrolled: 1-line block ×6, first 2 shown]
	s_mov_b64 s[0:1], 0
	v_mov_b64_e32 v[12:13], s[14:15]
	v_mov_b64_e32 v[14:15], s[16:17]
	;; [unrolled: 1-line block ×3, first 2 shown]
	v_mov_b32_e32 v39, v3
                                        ; implicit-def: $sgpr36_sgpr37
                                        ; implicit-def: $vgpr42
	s_and_saveexec_b64 s[34:35], vcc
	s_cbranch_execz .LBB252_123
; %bb.92:
	v_add_u32_e32 v4, 8, v43
	v_cmp_ne_u16_sdwa s[0:1], v33, v33 src0_sel:DWORD src1_sel:WORD_1
	v_and_b32_e32 v3, 0xffff, v37
	v_cmp_gt_u32_e32 vcc, s86, v4
	v_cndmask_b32_e64 v5, 0, 1, s[0:1]
	v_mov_b32_e32 v4, 0
	v_mov_b64_e32 v[10:11], s[12:13]
	v_lshl_or_b32 v3, v5, 16, v3
	v_mov_b32_e32 v5, v4
	v_mov_b32_e32 v6, v4
	v_mov_b32_e32 v7, v4
	v_mov_b32_e32 v8, v4
	v_mov_b32_e32 v9, v4
	s_mov_b64 s[0:1], 0
	v_mov_b64_e32 v[12:13], s[14:15]
	v_mov_b64_e32 v[14:15], s[16:17]
	;; [unrolled: 1-line block ×3, first 2 shown]
	v_mov_b32_e32 v39, v4
                                        ; implicit-def: $sgpr12_sgpr13
                                        ; implicit-def: $vgpr42
	s_and_saveexec_b64 s[36:37], vcc
	s_cbranch_execz .LBB252_122
; %bb.93:
	s_mov_b32 s12, 0
	v_add_u32_e32 v5, 9, v43
	v_cmp_ne_u16_sdwa s[0:1], v33, v26 src0_sel:WORD_1 src1_sel:DWORD
	s_mov_b32 s13, s12
	v_cmp_gt_u32_e32 vcc, s86, v5
	v_cndmask_b32_e64 v4, 0, 1, s[0:1]
	v_mov_b32_e32 v5, 0
	s_mov_b32 s14, s12
	s_mov_b32 s15, s12
	;; [unrolled: 1-line block ×6, first 2 shown]
	v_mov_b64_e32 v[10:11], s[12:13]
	v_alignbit_b32 v4, v4, v37, 16
	v_mov_b32_e32 v6, v5
	v_mov_b32_e32 v7, v5
	;; [unrolled: 1-line block ×4, first 2 shown]
	s_mov_b64 s[0:1], 0
	v_mov_b64_e32 v[12:13], s[14:15]
	v_mov_b64_e32 v[14:15], s[16:17]
	;; [unrolled: 1-line block ×3, first 2 shown]
	v_mov_b32_e32 v39, v5
                                        ; implicit-def: $sgpr40_sgpr41
                                        ; implicit-def: $vgpr42
	s_and_saveexec_b64 s[38:39], vcc
	s_cbranch_execz .LBB252_121
; %bb.94:
	ds_read_b128 v[30:33], v40 offset:18
	v_add_u32_e32 v5, 10, v43
	v_cmp_ne_u16_sdwa s[0:1], v26, v26 src0_sel:DWORD src1_sel:WORD_1
	v_cmp_gt_u32_e32 vcc, s86, v5
	v_mov_b64_e32 v[10:11], s[12:13]
	v_cndmask_b32_e64 v6, 0, 1, s[0:1]
	s_waitcnt lgkmcnt(0)
	v_and_b32_e32 v5, 0xffff, v30
	v_lshl_or_b32 v5, v6, 16, v5
	v_mov_b32_e32 v6, 0
	v_mov_b32_e32 v7, v6
	v_mov_b32_e32 v8, v6
	v_mov_b32_e32 v9, v6
	s_mov_b64 s[0:1], 0
	v_mov_b64_e32 v[12:13], s[14:15]
	v_mov_b64_e32 v[14:15], s[16:17]
	;; [unrolled: 1-line block ×3, first 2 shown]
	v_mov_b32_e32 v39, v6
                                        ; implicit-def: $sgpr12_sgpr13
                                        ; implicit-def: $vgpr42
	s_and_saveexec_b64 s[40:41], vcc
	s_cbranch_execz .LBB252_120
; %bb.95:
	s_mov_b32 s12, 0
	v_add_u32_e32 v7, 11, v43
	v_cmp_ne_u16_sdwa s[0:1], v26, v27 src0_sel:WORD_1 src1_sel:DWORD
	s_mov_b32 s13, s12
	v_cmp_gt_u32_e32 vcc, s86, v7
	v_cndmask_b32_e64 v6, 0, 1, s[0:1]
	v_mov_b32_e32 v7, 0
	s_mov_b32 s14, s12
	s_mov_b32 s15, s12
	;; [unrolled: 1-line block ×6, first 2 shown]
	v_mov_b64_e32 v[10:11], s[12:13]
	v_alignbit_b32 v6, v6, v30, 16
	v_mov_b32_e32 v8, v7
	v_mov_b32_e32 v9, v7
	s_mov_b64 s[0:1], 0
	v_mov_b64_e32 v[12:13], s[14:15]
	v_mov_b64_e32 v[14:15], s[16:17]
	;; [unrolled: 1-line block ×3, first 2 shown]
	v_mov_b32_e32 v39, v7
                                        ; implicit-def: $sgpr44_sgpr45
                                        ; implicit-def: $vgpr42
	s_and_saveexec_b64 s[42:43], vcc
	s_cbranch_execz .LBB252_119
; %bb.96:
	v_add_u32_e32 v8, 12, v43
	v_cmp_ne_u16_sdwa s[0:1], v27, v27 src0_sel:DWORD src1_sel:WORD_1
	v_and_b32_e32 v7, 0xffff, v31
	v_cmp_gt_u32_e32 vcc, s86, v8
	v_cndmask_b32_e64 v9, 0, 1, s[0:1]
	v_mov_b32_e32 v8, 0
	v_mov_b64_e32 v[10:11], s[12:13]
	v_lshl_or_b32 v7, v9, 16, v7
	v_mov_b32_e32 v9, v8
	s_mov_b64 s[0:1], 0
	v_mov_b64_e32 v[12:13], s[14:15]
	v_mov_b64_e32 v[14:15], s[16:17]
	;; [unrolled: 1-line block ×3, first 2 shown]
	v_mov_b32_e32 v39, v8
                                        ; implicit-def: $sgpr12_sgpr13
                                        ; implicit-def: $vgpr42
	s_and_saveexec_b64 s[44:45], vcc
	s_cbranch_execz .LBB252_118
; %bb.97:
	s_mov_b32 s12, 0
	v_cmp_ne_u16_sdwa s[0:1], v27, v28 src0_sel:WORD_1 src1_sel:DWORD
	s_mov_b32 s13, s12
	v_add_u32_e32 v9, 13, v43
	v_cndmask_b32_e64 v8, 0, 1, s[0:1]
	s_mov_b32 s14, s12
	s_mov_b32 s15, s12
	;; [unrolled: 1-line block ×6, first 2 shown]
	v_mov_b64_e32 v[10:11], s[12:13]
	v_alignbit_b32 v8, v8, v31, 16
	v_cmp_gt_u32_e32 vcc, s86, v9
	v_mov_b32_e32 v9, s12
	s_mov_b64 s[0:1], 0
	v_mov_b64_e32 v[12:13], s[14:15]
	v_mov_b64_e32 v[14:15], s[16:17]
	;; [unrolled: 1-line block ×3, first 2 shown]
	v_mov_b32_e32 v39, 0
                                        ; implicit-def: $sgpr48_sgpr49
                                        ; implicit-def: $vgpr42
	s_and_saveexec_b64 s[46:47], vcc
	s_cbranch_execz .LBB252_117
; %bb.98:
	v_cmp_ne_u16_sdwa s[0:1], v28, v28 src0_sel:DWORD src1_sel:WORD_1
	v_and_b32_e32 v9, 0xffff, v32
	v_add_u32_e32 v10, 14, v43
	v_cndmask_b32_e64 v11, 0, 1, s[0:1]
	v_lshl_or_b32 v9, v11, 16, v9
	v_cmp_gt_u32_e32 vcc, s86, v10
	v_mov_b64_e32 v[10:11], s[12:13]
	s_mov_b64 s[0:1], 0
	v_mov_b64_e32 v[12:13], s[14:15]
	v_mov_b64_e32 v[14:15], s[16:17]
	v_mov_b64_e32 v[16:17], s[18:19]
	v_mov_b32_e32 v39, 0
                                        ; implicit-def: $sgpr14_sgpr15
                                        ; implicit-def: $vgpr42
	s_and_saveexec_b64 s[12:13], vcc
	s_cbranch_execz .LBB252_116
; %bb.99:
	v_cmp_ne_u16_sdwa s[0:1], v28, v29 src0_sel:WORD_1 src1_sel:DWORD
	s_mov_b32 s48, 0
	v_add_u32_e32 v10, 15, v43
	v_cndmask_b32_e64 v11, 0, 1, s[0:1]
	s_mov_b32 s49, s48
	v_alignbit_b32 v39, v11, v32, 16
	v_cmp_gt_u32_e32 vcc, s86, v10
	s_mov_b32 s50, s48
	s_mov_b32 s51, s48
	s_mov_b32 s52, s48
	s_mov_b32 s53, s48
	s_mov_b32 s54, s48
	s_mov_b32 s55, s48
	v_mov_b64_e32 v[10:11], s[48:49]
	s_mov_b64 s[0:1], 0
	v_mov_b64_e32 v[12:13], s[50:51]
	v_mov_b64_e32 v[14:15], s[52:53]
	;; [unrolled: 1-line block ×3, first 2 shown]
                                        ; implicit-def: $sgpr16_sgpr17
                                        ; implicit-def: $vgpr42
	s_and_saveexec_b64 s[14:15], vcc
	s_cbranch_execz .LBB252_115
; %bb.100:
	v_cmp_ne_u16_sdwa s[0:1], v29, v29 src0_sel:DWORD src1_sel:WORD_1
	v_and_b32_e32 v10, 0xffff, v33
	v_add_u32_e32 v11, 16, v43
	v_cndmask_b32_e64 v12, 0, 1, s[0:1]
	v_lshl_or_b32 v10, v12, 16, v10
	v_mov_b32_e32 v12, 0
	v_cmp_gt_u32_e32 vcc, s86, v11
	v_mov_b32_e32 v11, v12
	v_mov_b32_e32 v13, v12
	;; [unrolled: 1-line block ×6, first 2 shown]
	s_mov_b64 s[0:1], 0
                                        ; implicit-def: $sgpr18_sgpr19
                                        ; implicit-def: $vgpr42
	s_and_saveexec_b64 s[16:17], vcc
	s_cbranch_execz .LBB252_114
; %bb.101:
	v_cmp_ne_u16_sdwa s[0:1], v29, v22 src0_sel:WORD_1 src1_sel:DWORD
	v_add_u32_e32 v13, 17, v43
	v_cmp_gt_u32_e32 vcc, s86, v13
	v_cndmask_b32_e64 v11, 0, 1, s[0:1]
	v_alignbit_b32 v11, v11, v33, 16
	v_mov_b32_e32 v13, v12
	v_mov_b32_e32 v14, v12
	;; [unrolled: 1-line block ×5, first 2 shown]
	s_mov_b64 s[0:1], 0
                                        ; implicit-def: $sgpr48_sgpr49
                                        ; implicit-def: $vgpr42
	s_and_saveexec_b64 s[18:19], vcc
	s_cbranch_execz .LBB252_113
; %bb.102:
	ds_read_b96 v[26:28], v40 offset:34
	v_add_u32_e32 v12, 18, v43
	v_cmp_ne_u16_sdwa s[0:1], v22, v22 src0_sel:DWORD src1_sel:WORD_1
	v_cmp_gt_u32_e32 vcc, s86, v12
	v_mov_b32_e32 v14, 0
	v_cndmask_b32_e64 v13, 0, 1, s[0:1]
	s_waitcnt lgkmcnt(0)
	v_and_b32_e32 v12, 0xffff, v26
	v_lshl_or_b32 v12, v13, 16, v12
	v_mov_b32_e32 v13, v14
	v_mov_b32_e32 v15, v14
	;; [unrolled: 1-line block ×4, first 2 shown]
	s_mov_b64 s[0:1], 0
                                        ; implicit-def: $sgpr50_sgpr51
                                        ; implicit-def: $vgpr42
	s_and_saveexec_b64 s[48:49], vcc
	s_cbranch_execz .LBB252_112
; %bb.103:
	v_cmp_ne_u16_sdwa s[0:1], v22, v23 src0_sel:WORD_1 src1_sel:DWORD
	v_add_u32_e32 v15, 19, v43
	v_cmp_gt_u32_e32 vcc, s86, v15
	v_cndmask_b32_e64 v13, 0, 1, s[0:1]
	v_alignbit_b32 v13, v13, v26, 16
	v_mov_b32_e32 v15, v14
	v_mov_b32_e32 v16, v14
	;; [unrolled: 1-line block ×3, first 2 shown]
	s_mov_b64 s[0:1], 0
                                        ; implicit-def: $sgpr52_sgpr53
                                        ; implicit-def: $vgpr42
	s_and_saveexec_b64 s[50:51], vcc
	s_cbranch_execz .LBB252_111
; %bb.104:
	v_cmp_ne_u16_sdwa s[0:1], v23, v23 src0_sel:DWORD src1_sel:WORD_1
	v_and_b32_e32 v14, 0xffff, v27
	v_add_u32_e32 v15, 20, v43
	v_cndmask_b32_e64 v16, 0, 1, s[0:1]
	v_lshl_or_b32 v14, v16, 16, v14
	v_mov_b32_e32 v16, 0
	v_cmp_gt_u32_e32 vcc, s86, v15
	v_mov_b32_e32 v15, v16
	v_mov_b32_e32 v17, v16
	s_mov_b64 s[0:1], 0
                                        ; implicit-def: $sgpr54_sgpr55
                                        ; implicit-def: $vgpr42
	s_and_saveexec_b64 s[52:53], vcc
	s_cbranch_execz .LBB252_110
; %bb.105:
	v_cmp_ne_u16_sdwa s[0:1], v23, v24 src0_sel:WORD_1 src1_sel:DWORD
	v_add_u32_e32 v17, 21, v43
	v_cmp_gt_u32_e32 vcc, s86, v17
	v_cndmask_b32_e64 v15, 0, 1, s[0:1]
	v_alignbit_b32 v15, v15, v27, 16
	s_mov_b32 s9, 0
	v_mov_b32_e32 v17, v16
	s_mov_b64 s[0:1], 0
                                        ; implicit-def: $sgpr68_sgpr69
                                        ; implicit-def: $vgpr42
	s_and_saveexec_b64 s[54:55], vcc
	s_cbranch_execz .LBB252_109
; %bb.106:
	v_cmp_ne_u16_sdwa s[0:1], v24, v24 src0_sel:DWORD src1_sel:WORD_1
	v_and_b32_e32 v16, 0xffff, v28
	v_add_u32_e32 v17, 22, v43
	v_cndmask_b32_e64 v22, 0, 1, s[0:1]
	v_lshl_or_b32 v16, v22, 16, v16
	v_cmp_gt_u32_e32 vcc, s86, v17
	v_mov_b32_e32 v17, s9
	s_mov_b64 s[0:1], 0
                                        ; implicit-def: $sgpr68_sgpr69
                                        ; implicit-def: $vgpr42
	s_and_saveexec_b64 s[84:85], vcc
	s_xor_b64 s[84:85], exec, s[84:85]
	s_cbranch_execz .LBB252_108
; %bb.107:
	ds_read_u16 v42, v40 offset:46
	v_add_u32_e32 v22, 23, v43
	v_cmp_ne_u16_sdwa s[0:1], v24, v25 src0_sel:WORD_1 src1_sel:DWORD
	v_cmp_ne_u16_e32 vcc, v25, v41
	s_and_b64 s[68:69], vcc, exec
	v_cndmask_b32_e64 v17, 0, 1, s[0:1]
	v_cmp_gt_u32_e64 s[0:1], s86, v22
	v_alignbit_b32 v17, v17, v28, 16
	s_and_b64 s[0:1], s[0:1], exec
.LBB252_108:
	s_or_b64 exec, exec, s[84:85]
	s_and_b64 s[68:69], s[68:69], exec
	s_and_b64 s[0:1], s[0:1], exec
.LBB252_109:
	s_or_b64 exec, exec, s[54:55]
	s_and_b64 s[54:55], s[68:69], exec
	s_and_b64 s[0:1], s[0:1], exec
.LBB252_110:
	s_or_b64 exec, exec, s[52:53]
	s_and_b64 s[52:53], s[54:55], exec
	s_and_b64 s[0:1], s[0:1], exec
.LBB252_111:
	s_or_b64 exec, exec, s[50:51]
	s_and_b64 s[50:51], s[52:53], exec
	s_and_b64 s[0:1], s[0:1], exec
.LBB252_112:
	s_or_b64 exec, exec, s[48:49]
	s_and_b64 s[48:49], s[50:51], exec
	s_and_b64 s[0:1], s[0:1], exec
.LBB252_113:
	s_or_b64 exec, exec, s[18:19]
	s_and_b64 s[18:19], s[48:49], exec
	s_and_b64 s[0:1], s[0:1], exec
.LBB252_114:
	s_or_b64 exec, exec, s[16:17]
	s_and_b64 s[16:17], s[18:19], exec
	s_and_b64 s[0:1], s[0:1], exec
.LBB252_115:
	s_or_b64 exec, exec, s[14:15]
	s_and_b64 s[14:15], s[16:17], exec
	s_and_b64 s[0:1], s[0:1], exec
.LBB252_116:
	s_or_b64 exec, exec, s[12:13]
	s_and_b64 s[48:49], s[14:15], exec
	s_and_b64 s[0:1], s[0:1], exec
.LBB252_117:
	s_or_b64 exec, exec, s[46:47]
	s_and_b64 s[12:13], s[48:49], exec
	s_and_b64 s[0:1], s[0:1], exec
.LBB252_118:
	s_or_b64 exec, exec, s[44:45]
	s_and_b64 s[44:45], s[12:13], exec
	s_and_b64 s[0:1], s[0:1], exec
.LBB252_119:
	s_or_b64 exec, exec, s[42:43]
	s_and_b64 s[12:13], s[44:45], exec
	s_and_b64 s[0:1], s[0:1], exec
.LBB252_120:
	s_or_b64 exec, exec, s[40:41]
	s_and_b64 s[40:41], s[12:13], exec
	s_and_b64 s[0:1], s[0:1], exec
.LBB252_121:
	s_or_b64 exec, exec, s[38:39]
	s_and_b64 s[12:13], s[40:41], exec
	s_and_b64 s[0:1], s[0:1], exec
.LBB252_122:
	s_or_b64 exec, exec, s[36:37]
	s_and_b64 s[36:37], s[12:13], exec
	s_and_b64 s[0:1], s[0:1], exec
.LBB252_123:
	s_or_b64 exec, exec, s[34:35]
	s_and_b64 s[12:13], s[36:37], exec
	s_and_b64 s[0:1], s[0:1], exec
.LBB252_124:
	s_or_b64 exec, exec, s[30:31]
	s_and_b64 s[30:31], s[12:13], exec
	s_and_b64 s[0:1], s[0:1], exec
.LBB252_125:
	s_or_b64 exec, exec, s[28:29]
	s_and_b64 s[12:13], s[30:31], exec
	s_and_b64 s[0:1], s[0:1], exec
.LBB252_126:
	s_or_b64 exec, exec, s[26:27]
	s_and_b64 s[26:27], s[12:13], exec
	s_and_b64 s[0:1], s[0:1], exec
.LBB252_127:
	s_or_b64 exec, exec, s[24:25]
	s_and_b64 s[12:13], s[26:27], exec
	s_and_b64 s[0:1], s[0:1], exec
.LBB252_128:
	s_or_b64 exec, exec, s[22:23]
	s_and_b64 s[24:25], s[12:13], exec
	s_and_b64 s[22:23], s[0:1], exec
.LBB252_129:
	s_or_b64 exec, exec, s[20:21]
	s_and_b64 s[0:1], s[24:25], exec
	s_and_b64 s[12:13], s[22:23], exec
.LBB252_130:
	s_or_b64 exec, exec, s[10:11]
	s_and_b64 vcc, exec, s[6:7]
	v_lshlrev_b32_e32 v22, 1, v0
	s_cbranch_vccnz .LBB252_132
	s_branch .LBB252_140
.LBB252_131:
                                        ; implicit-def: $sgpr0_sgpr1
                                        ; implicit-def: $vgpr18_vgpr19_vgpr20_vgpr21
                                        ; implicit-def: $vgpr2_vgpr3_vgpr4_vgpr5_vgpr6_vgpr7_vgpr8_vgpr9
                                        ; implicit-def: $vgpr10_vgpr11_vgpr12_vgpr13_vgpr14_vgpr15_vgpr16_vgpr17
                                        ; implicit-def: $vgpr42
                                        ; implicit-def: $vgpr1
                                        ; implicit-def: $vgpr38
                                        ; implicit-def: $vgpr39
                                        ; implicit-def: $sgpr8
	s_and_b64 vcc, exec, s[6:7]
	v_lshlrev_b32_e32 v22, 1, v0
	s_cbranch_vccz .LBB252_140
.LBB252_132:
	v_mov_b32_e32 v23, 0
	v_lshl_add_u64 v[2:3], s[64:65], 0, v[22:23]
	v_add_co_u32_e32 v4, vcc, 0x1000, v2
	flat_load_ushort v1, v[2:3]
	flat_load_ushort v6, v[2:3] offset:512
	flat_load_ushort v7, v[2:3] offset:1024
	;; [unrolled: 1-line block ×7, first 2 shown]
	v_addc_co_u32_e32 v5, vcc, 0, v3, vcc
	v_add_co_u32_e32 v2, vcc, 0x2000, v2
	flat_load_ushort v13, v[4:5]
	flat_load_ushort v14, v[4:5] offset:512
	flat_load_ushort v15, v[4:5] offset:1024
	;; [unrolled: 1-line block ×7, first 2 shown]
	v_addc_co_u32_e32 v3, vcc, 0, v3, vcc
	flat_load_ushort v5, v[2:3]
	flat_load_ushort v21, v[2:3] offset:512
	flat_load_ushort v23, v[2:3] offset:1024
	flat_load_ushort v24, v[2:3] offset:1536
	flat_load_ushort v25, v[2:3] offset:2048
	flat_load_ushort v26, v[2:3] offset:2560
	flat_load_ushort v27, v[2:3] offset:3072
	flat_load_ushort v28, v[2:3] offset:3584
	v_mad_u32_u24 v4, v0, 46, v22
	s_cmp_eq_u64 s[82:83], 0
	s_waitcnt vmcnt(0) lgkmcnt(0)
	ds_write_b16 v22, v1
	ds_write_b16 v22, v6 offset:512
	ds_write_b16 v22, v7 offset:1024
	;; [unrolled: 1-line block ×23, first 2 shown]
	s_waitcnt lgkmcnt(0)
	s_barrier
	ds_read_b64 v[2:3], v4
	ds_read_u16 v5, v4 offset:8
	ds_read_b128 v[10:13], v4 offset:10
	ds_read_u16 v14, v4 offset:26
	ds_read_b32 v15, v4 offset:44
	ds_read2_b32 v[26:27], v4 offset0:9 offset1:10
	ds_read2_b32 v[24:25], v4 offset0:7 offset1:8
	s_cbranch_scc1 .LBB252_137
; %bb.133:
	s_andn2_b64 vcc, exec, s[72:73]
	s_cbranch_vccnz .LBB252_324
; %bb.134:
	s_lshl_b64 s[0:1], s[82:83], 1
	s_add_u32 s0, s74, s0
	s_addc_u32 s1, s75, s1
	s_add_u32 s0, s0, -2
	s_addc_u32 s1, s1, -1
	s_cbranch_execnz .LBB252_136
.LBB252_135:
	s_add_u32 s0, s64, -2
	s_addc_u32 s1, s65, -1
.LBB252_136:
	s_mov_b64 s[64:65], s[0:1]
.LBB252_137:
	v_mov_b64_e32 v[6:7], s[64:65]
	flat_load_ushort v6, v[6:7]
	s_movk_i32 s0, 0xffd2
	s_waitcnt lgkmcnt(0)
	v_lshrrev_b32_e32 v1, 16, v15
	v_mad_i32_i24 v7, v0, s0, v4
	ds_write_b16 v7, v1 offset:12288
	s_waitcnt lgkmcnt(0)
	s_barrier
	s_and_saveexec_b64 s[0:1], s[4:5]
	s_cbranch_execz .LBB252_139
; %bb.138:
	s_waitcnt vmcnt(0)
	v_mul_i32_i24_e32 v6, 0xffffffd2, v0
	v_add_u32_e32 v6, v4, v6
	ds_read_u16 v6, v6 offset:12286
.LBB252_139:
	s_or_b64 exec, exec, s[0:1]
	v_mov_b32_e32 v23, 0
	v_lshl_add_u64 v[8:9], s[62:63], 0, v[22:23]
	s_movk_i32 s0, 0x1000
	v_add_co_u32_e32 v16, vcc, s0, v8
	s_movk_i32 s0, 0x2000
	s_nop 0
	v_addc_co_u32_e32 v17, vcc, 0, v9, vcc
	s_waitcnt lgkmcnt(0)
	s_barrier
	flat_load_ushort v7, v[8:9]
	flat_load_ushort v18, v[8:9] offset:512
	flat_load_ushort v19, v[8:9] offset:1024
	;; [unrolled: 1-line block ×7, first 2 shown]
	v_add_co_u32_e32 v8, vcc, s0, v8
	flat_load_ushort v30, v[16:17]
	flat_load_ushort v31, v[16:17] offset:512
	flat_load_ushort v32, v[16:17] offset:1024
	;; [unrolled: 1-line block ×7, first 2 shown]
	v_addc_co_u32_e32 v9, vcc, 0, v9, vcc
	flat_load_ushort v16, v[8:9]
	flat_load_ushort v17, v[8:9] offset:512
	flat_load_ushort v38, v[8:9] offset:1024
	;; [unrolled: 1-line block ×7, first 2 shown]
	s_waitcnt vmcnt(0)
	v_cmp_ne_u16_e32 vcc, v6, v2
	v_cmp_ne_u16_sdwa s[6:7], v3, v5 src0_sel:WORD_1 src1_sel:DWORD
	v_cmp_ne_u16_e64 s[0:1], v15, v1
	v_cndmask_b32_e64 v1, 0, 1, vcc
	v_cndmask_b32_e64 v9, 0, 1, s[6:7]
	v_cmp_ne_u16_sdwa s[6:7], v2, v3 src0_sel:WORD_1 src1_sel:DWORD
	v_cmp_ne_u16_e32 vcc, v5, v10
	s_mov_b64 s[12:13], -1
	v_cndmask_b32_e64 v44, 0, 1, s[6:7]
	v_cmp_ne_u16_sdwa s[6:7], v3, v3 src0_sel:DWORD src1_sel:WORD_1
                                        ; implicit-def: $sgpr8
	s_waitcnt lgkmcnt(0)
	ds_write_b16 v22, v7
	ds_write_b16 v22, v18 offset:512
	ds_write_b16 v22, v19 offset:1024
	;; [unrolled: 1-line block ×23, first 2 shown]
	s_waitcnt lgkmcnt(0)
	s_barrier
	ds_read_b96 v[6:8], v4
	ds_read_b128 v[28:31], v4 offset:30
	ds_read_u16 v42, v4 offset:46
	ds_read2_b32 v[16:17], v4 offset0:3 offset1:4
	v_cndmask_b32_e64 v3, 0, 1, s[6:7]
	v_cmp_ne_u16_sdwa s[6:7], v2, v2 src0_sel:DWORD src1_sel:WORD_1
	s_waitcnt lgkmcnt(3)
	v_and_b32_e32 v19, 0xffff, v6
	v_and_b32_e32 v23, 0xffff, v7
	v_lshl_or_b32 v1, v1, 16, v19
	v_lshl_or_b32 v19, v44, 16, v23
	ds_read_u16 v23, v4 offset:28
	ds_read2_b32 v[32:33], v4 offset0:5 offset1:6
	v_cndmask_b32_e64 v2, 0, 1, s[6:7]
	v_cmp_ne_u16_sdwa s[6:7], v13, v13 src0_sel:DWORD src1_sel:WORD_1
	v_alignbit_b32 v18, v2, v6, 16
	v_cndmask_b32_e64 v2, 0, 1, vcc
	s_waitcnt lgkmcnt(0)
	v_and_b32_e32 v5, 0xffff, v33
	v_cndmask_b32_e64 v6, 0, 1, s[6:7]
	v_cmp_ne_u16_sdwa s[6:7], v12, v12 src0_sel:DWORD src1_sel:WORD_1
	v_and_b32_e32 v21, 0xffff, v8
	v_alignbit_b32 v38, v2, v8, 16
	v_and_b32_e32 v4, 0xffff, v32
	v_lshl_or_b32 v8, v6, 16, v5
	v_cndmask_b32_e64 v5, 0, 1, s[6:7]
	v_cmp_ne_u16_sdwa s[6:7], v11, v11 src0_sel:DWORD src1_sel:WORD_1
	v_alignbit_b32 v20, v3, v7, 16
	v_and_b32_e32 v3, 0xffff, v17
	v_lshl_or_b32 v6, v5, 16, v4
	v_cndmask_b32_e64 v4, 0, 1, s[6:7]
	v_cmp_ne_u16_sdwa s[6:7], v10, v10 src0_sel:DWORD src1_sel:WORD_1
	v_and_b32_e32 v2, 0xffff, v16
	v_lshl_or_b32 v4, v4, 16, v3
	v_cndmask_b32_e64 v3, 0, 1, s[6:7]
	v_cmp_ne_u16_sdwa s[6:7], v13, v14 src0_sel:WORD_1 src1_sel:DWORD
	v_lshl_or_b32 v2, v3, 16, v2
	v_lshl_or_b32 v21, v9, 16, v21
	v_cndmask_b32_e64 v3, 0, 1, s[6:7]
	v_cmp_ne_u16_sdwa s[6:7], v12, v13 src0_sel:WORD_1 src1_sel:DWORD
	v_alignbit_b32 v9, v3, v33, 16
	v_cmp_ne_u16_e32 vcc, v14, v24
	v_cndmask_b32_e64 v3, 0, 1, s[6:7]
	v_cmp_ne_u16_sdwa s[6:7], v11, v12 src0_sel:WORD_1 src1_sel:DWORD
	v_alignbit_b32 v7, v3, v32, 16
	v_and_b32_e32 v13, 0xffff, v31
	v_cndmask_b32_e64 v3, 0, 1, s[6:7]
	v_cmp_ne_u16_sdwa s[6:7], v10, v11 src0_sel:WORD_1 src1_sel:DWORD
	v_alignbit_b32 v5, v3, v17, 16
	v_and_b32_e32 v12, 0xffff, v30
	v_cndmask_b32_e64 v3, 0, 1, s[6:7]
	v_cmp_ne_u16_sdwa s[6:7], v27, v27 src0_sel:DWORD src1_sel:WORD_1
	v_alignbit_b32 v3, v3, v16, 16
	v_cndmask_b32_e64 v10, 0, 1, vcc
	v_cndmask_b32_e64 v14, 0, 1, s[6:7]
	v_cmp_ne_u16_sdwa s[6:7], v26, v26 src0_sel:DWORD src1_sel:WORD_1
	v_lshl_or_b32 v16, v14, 16, v13
	v_and_b32_e32 v11, 0xffff, v29
	v_cndmask_b32_e64 v13, 0, 1, s[6:7]
	v_cmp_ne_u16_sdwa s[6:7], v25, v25 src0_sel:DWORD src1_sel:WORD_1
	v_lshl_or_b32 v14, v13, 16, v12
	v_lshl_or_b32 v39, v10, 16, v23
	v_cndmask_b32_e64 v12, 0, 1, s[6:7]
	v_cmp_ne_u16_sdwa s[6:7], v24, v24 src0_sel:DWORD src1_sel:WORD_1
	v_and_b32_e32 v10, 0xffff, v28
	v_lshl_or_b32 v12, v12, 16, v11
	v_cndmask_b32_e64 v11, 0, 1, s[6:7]
	v_cmp_ne_u16_sdwa s[6:7], v27, v15 src0_sel:WORD_1 src1_sel:DWORD
	v_lshl_or_b32 v10, v11, 16, v10
	s_nop 0
	v_cndmask_b32_e64 v11, 0, 1, s[6:7]
	v_cmp_ne_u16_sdwa s[6:7], v26, v27 src0_sel:WORD_1 src1_sel:DWORD
	v_alignbit_b32 v17, v11, v31, 16
	s_nop 0
	v_cndmask_b32_e64 v11, 0, 1, s[6:7]
	v_cmp_ne_u16_sdwa s[6:7], v25, v26 src0_sel:WORD_1 src1_sel:DWORD
	v_alignbit_b32 v15, v11, v30, 16
	;; [unrolled: 4-line block ×3, first 2 shown]
	s_nop 0
	v_cndmask_b32_e64 v11, 0, 1, s[6:7]
	v_alignbit_b32 v11, v11, v28, 16
.LBB252_140:
	v_mov_b32_e32 v23, s8
	s_and_saveexec_b64 s[6:7], s[12:13]
	s_cbranch_execz .LBB252_142
; %bb.141:
	v_mov_b32_e32 v23, 0x10000
	v_cndmask_b32_e64 v23, 0, v23, s[0:1]
	s_waitcnt lgkmcnt(0)
	v_or_b32_sdwa v23, v23, v42 dst_sel:DWORD dst_unused:UNUSED_PAD src0_sel:DWORD src1_sel:WORD_0
.LBB252_142:
	s_or_b64 exec, exec, s[6:7]
	s_cmp_lg_u32 s79, 0
	v_mbcnt_lo_u32_b32 v34, -1, 0
	s_waitcnt lgkmcnt(0)
	s_barrier
	s_cbranch_scc0 .LBB252_213
; %bb.143:
	s_mov_b32 s0, 0x10000
	v_cmp_gt_u32_e64 s[6:7], s0, v18
	v_cmp_gt_u32_e64 s[8:9], s0, v19
	v_cmp_gt_u32_e64 s[10:11], s0, v20
	v_cndmask_b32_e64 v24, 0, v1, s[6:7]
	v_add_u16_e32 v24, v24, v18
	v_cndmask_b32_e64 v24, 0, v24, s[8:9]
	v_add_u16_e32 v24, v24, v19
	v_cndmask_b32_e64 v24, 0, v24, s[10:11]
	v_add_u16_e32 v24, v24, v20
	v_cmp_gt_u32_e64 s[12:13], s0, v21
	v_cmp_gt_u32_e64 s[14:15], s0, v38
	v_cmp_gt_u32_e64 s[16:17], s0, v2
	v_cndmask_b32_e64 v24, 0, v24, s[12:13]
	v_add_u16_e32 v24, v24, v21
	v_cndmask_b32_e64 v24, 0, v24, s[14:15]
	v_add_u16_e32 v24, v24, v38
	v_cndmask_b32_e64 v24, 0, v24, s[16:17]
	v_add_u16_e32 v24, v24, v2
	;; [unrolled: 9-line block ×5, first 2 shown]
	v_cmp_gt_u32_e64 s[38:39], s0, v11
	v_cmp_gt_u32_e64 s[40:41], s0, v12
	v_or3_b32 v25, v23, v17, v16
	v_cndmask_b32_e64 v24, 0, v24, s[38:39]
	v_add_u16_e32 v24, v24, v11
	v_cndmask_b32_e64 v24, 0, v24, s[40:41]
	v_add_u16_e32 v24, v24, v12
	v_cmp_gt_u32_e64 s[42:43], s0, v13
	v_or3_b32 v25, v25, v15, v14
	v_or3_b32 v25, v25, v13, v12
	v_cndmask_b32_e64 v24, 0, v24, s[42:43]
	v_add_u16_e32 v24, v24, v13
	v_cmp_gt_u32_e64 s[44:45], s0, v14
	v_or3_b32 v25, v25, v11, v10
	v_or3_b32 v25, v25, v39, v9
	;; [unrolled: 5-line block ×5, first 2 shown]
	v_cndmask_b32_e64 v24, 0, v24, s[50:51]
	v_add_u16_e32 v24, v24, v17
	v_cmp_gt_u32_e64 s[52:53], s0, v23
	v_and_b32_e32 v25, 0x10000, v25
	v_lshrrev_b32_e32 v35, 16, v1
	v_cndmask_b32_e64 v26, 0, v24, s[52:53]
	v_cmp_ne_u32_e32 vcc, 0, v25
	v_add_u16_e32 v24, v26, v23
	v_mbcnt_hi_u32_b32 v27, -1, v34
	v_cndmask_b32_e64 v25, v35, 1, vcc
	v_add_u16_e32 v26, v26, v23
	v_and_b32_e32 v29, 15, v27
	v_lshl_or_b32 v26, v25, 16, v26
	v_cmp_ne_u32_e32 vcc, 0, v29
	s_nop 0
	v_mov_b32_dpp v28, v26 row_shr:1 row_mask:0xf bank_mask:0xf
	s_and_saveexec_b64 s[0:1], vcc
	s_cbranch_execz .LBB252_145
; %bb.144:
	v_cmp_eq_u32_e32 vcc, 0, v25
	v_and_b32_e32 v25, 1, v25
	v_mov_b32_e32 v31, 1
	v_cndmask_b32_e32 v26, 0, v28, vcc
	v_and_b32_sdwa v28, v28, v31 dst_sel:DWORD dst_unused:UNUSED_PAD src0_sel:WORD_1 src1_sel:DWORD
	v_cmp_eq_u32_e32 vcc, 1, v25
	v_add_u16_e32 v30, v26, v24
	v_add_u16_e32 v24, v26, v24
	v_cndmask_b32_e64 v25, v28, 1, vcc
	v_lshlrev_b32_e32 v28, 16, v25
	v_or_b32_e32 v26, v28, v24
	v_mov_b32_e32 v24, v30
.LBB252_145:
	s_or_b64 exec, exec, s[0:1]
	v_lshrrev_b32_e32 v28, 16, v26
	v_mov_b32_dpp v30, v26 row_shr:2 row_mask:0xf bank_mask:0xf
	v_cmp_lt_u32_e32 vcc, 1, v29
	s_and_saveexec_b64 s[0:1], vcc
	s_cbranch_execz .LBB252_147
; %bb.146:
	s_mov_b32 s54, 0x10000
	v_cmp_gt_u32_e32 vcc, s54, v26
	v_and_b32_e32 v25, 0x10000, v26
	v_mov_b32_e32 v26, 1
	v_cndmask_b32_e32 v28, 0, v30, vcc
	v_and_b32_sdwa v26, v30, v26 dst_sel:DWORD dst_unused:UNUSED_PAD src0_sel:WORD_1 src1_sel:DWORD
	v_cmp_ne_u32_e32 vcc, 0, v25
	v_add_u16_e32 v31, v28, v24
	v_add_u16_e32 v24, v28, v24
	v_cndmask_b32_e64 v25, v26, 1, vcc
	v_lshlrev_b32_e32 v26, 16, v25
	v_or_b32_e32 v26, v26, v24
	v_mov_b32_e32 v28, v25
	v_mov_b32_e32 v24, v31
.LBB252_147:
	s_or_b64 exec, exec, s[0:1]
	v_mov_b32_dpp v30, v26 row_shr:4 row_mask:0xf bank_mask:0xf
	v_cmp_lt_u32_e32 vcc, 3, v29
	s_and_saveexec_b64 s[0:1], vcc
	s_cbranch_execz .LBB252_149
; %bb.148:
	v_mov_b32_e32 v25, 0
	v_cmp_eq_u16_sdwa vcc, v28, v25 src0_sel:BYTE_0 src1_sel:DWORD
	v_and_b32_e32 v25, 1, v28
	v_mov_b32_e32 v28, 1
	v_cndmask_b32_e32 v26, 0, v30, vcc
	v_and_b32_sdwa v28, v30, v28 dst_sel:DWORD dst_unused:UNUSED_PAD src0_sel:WORD_1 src1_sel:DWORD
	v_cmp_eq_u32_e32 vcc, 1, v25
	v_add_u16_e32 v31, v26, v24
	v_add_u16_e32 v24, v26, v24
	v_cndmask_b32_e64 v25, v28, 1, vcc
	v_lshlrev_b32_e32 v28, 16, v25
	v_or_b32_e32 v26, v28, v24
	v_mov_b32_e32 v28, v25
	v_mov_b32_e32 v24, v31
.LBB252_149:
	s_or_b64 exec, exec, s[0:1]
	v_mov_b32_dpp v30, v26 row_shr:8 row_mask:0xf bank_mask:0xf
	v_cmp_lt_u32_e32 vcc, 7, v29
	s_and_saveexec_b64 s[0:1], vcc
	s_cbranch_execz .LBB252_151
; %bb.150:
	v_mov_b32_e32 v25, 0
	v_cmp_eq_u16_sdwa vcc, v28, v25 src0_sel:BYTE_0 src1_sel:DWORD
	v_and_b32_e32 v25, 1, v28
	v_mov_b32_e32 v28, 1
	v_cndmask_b32_e32 v26, 0, v30, vcc
	v_and_b32_sdwa v28, v30, v28 dst_sel:DWORD dst_unused:UNUSED_PAD src0_sel:WORD_1 src1_sel:DWORD
	v_cmp_eq_u32_e32 vcc, 1, v25
	v_add_u16_e32 v29, v26, v24
	v_add_u16_e32 v24, v26, v24
	v_cndmask_b32_e64 v25, v28, 1, vcc
	v_lshlrev_b32_e32 v28, 16, v25
	v_or_b32_e32 v26, v28, v24
	v_mov_b32_e32 v28, v25
	v_mov_b32_e32 v24, v29
.LBB252_151:
	s_or_b64 exec, exec, s[0:1]
	v_and_b32_e32 v30, 16, v27
	v_mov_b32_dpp v29, v26 row_bcast:15 row_mask:0xf bank_mask:0xf
	v_cmp_ne_u32_e32 vcc, 0, v30
	s_and_saveexec_b64 s[0:1], vcc
	s_cbranch_execz .LBB252_153
; %bb.152:
	v_mov_b32_e32 v25, 0
	v_cmp_eq_u16_sdwa vcc, v28, v25 src0_sel:BYTE_0 src1_sel:DWORD
	v_and_b32_e32 v25, 1, v28
	v_mov_b32_e32 v28, 1
	v_cndmask_b32_e32 v26, 0, v29, vcc
	v_and_b32_sdwa v28, v29, v28 dst_sel:DWORD dst_unused:UNUSED_PAD src0_sel:WORD_1 src1_sel:DWORD
	v_cmp_eq_u32_e32 vcc, 1, v25
	v_add_u16_e32 v30, v26, v24
	v_add_u16_e32 v24, v26, v24
	v_cndmask_b32_e64 v25, v28, 1, vcc
	v_lshlrev_b32_e32 v28, 16, v25
	v_or_b32_e32 v26, v28, v24
	v_mov_b32_e32 v24, v30
	v_mov_b32_e32 v28, v25
.LBB252_153:
	s_or_b64 exec, exec, s[0:1]
	v_mov_b32_dpp v26, v26 row_bcast:31 row_mask:0xf bank_mask:0xf
	v_cmp_lt_u32_e32 vcc, 31, v27
	s_and_saveexec_b64 s[0:1], vcc
; %bb.154:
	v_mov_b32_e32 v25, 0
	v_cmp_eq_u16_sdwa vcc, v28, v25 src0_sel:BYTE_0 src1_sel:DWORD
	s_nop 1
	v_cndmask_b32_e32 v25, 0, v26, vcc
	v_add_u16_e32 v24, v25, v24
	v_and_b32_e32 v25, 1, v28
	v_mov_b32_e32 v28, 1
	v_and_b32_sdwa v26, v26, v28 dst_sel:DWORD dst_unused:UNUSED_PAD src0_sel:WORD_1 src1_sel:DWORD
	v_cmp_eq_u32_e32 vcc, 1, v25
	s_nop 1
	v_cndmask_b32_e64 v25, v26, 1, vcc
; %bb.155:
	s_or_b64 exec, exec, s[0:1]
	v_or_b32_e32 v28, 63, v0
	v_lshrrev_b32_e32 v26, 6, v0
	v_cmp_eq_u32_e32 vcc, v28, v0
	s_and_saveexec_b64 s[0:1], vcc
	s_cbranch_execz .LBB252_157
; %bb.156:
	v_lshlrev_b32_e32 v28, 2, v26
	ds_write_b16 v28, v24
	ds_write_b8 v28, v25 offset:2
.LBB252_157:
	s_or_b64 exec, exec, s[0:1]
	v_cmp_gt_u32_e32 vcc, 4, v0
	s_waitcnt lgkmcnt(0)
	s_barrier
	s_and_saveexec_b64 s[0:1], vcc
	s_cbranch_execz .LBB252_163
; %bb.158:
	v_lshlrev_b32_e32 v28, 2, v0
	ds_read_b32 v29, v28
	v_and_b32_e32 v32, 3, v27
	v_cmp_ne_u32_e32 vcc, 0, v32
	s_waitcnt lgkmcnt(0)
	v_lshrrev_b32_e32 v31, 16, v29
	v_mov_b32_dpp v33, v29 row_shr:1 row_mask:0xf bank_mask:0xf
	v_mov_b32_e32 v30, v29
	s_and_saveexec_b64 s[54:55], vcc
	s_cbranch_execz .LBB252_160
; %bb.159:
	v_mov_b32_e32 v30, 0
	v_cmp_eq_u16_sdwa vcc, v31, v30 src0_sel:BYTE_0 src1_sel:DWORD
	v_and_b32_e32 v31, 0x10000, v29
	v_mov_b32_e32 v40, 1
	v_cndmask_b32_e32 v37, 0, v33, vcc
	v_and_b32_sdwa v33, v33, v40 dst_sel:DWORD dst_unused:UNUSED_PAD src0_sel:WORD_1 src1_sel:DWORD
	v_cmp_ne_u32_e32 vcc, 0, v31
	v_and_b32_e32 v36, 0xff000000, v29
	v_add_u16_e32 v30, v37, v29
	v_cndmask_b32_e64 v31, v33, 1, vcc
	v_lshlrev_b32_e32 v33, 16, v31
	v_add_u16_e32 v29, v37, v29
	v_or3_b32 v29, v33, v36, v29
.LBB252_160:
	s_or_b64 exec, exec, s[54:55]
	s_nop 0
	v_mov_b32_dpp v33, v29 row_shr:2 row_mask:0xf bank_mask:0xf
	v_cmp_lt_u32_e32 vcc, 1, v32
	s_and_saveexec_b64 s[54:55], vcc
; %bb.161:
	v_and_b32_e32 v31, 0xff0000, v29
	v_cmp_eq_u32_e32 vcc, 0, v31
	v_and_b32_e32 v29, 0x10000, v29
	s_nop 0
	v_cndmask_b32_e32 v31, 0, v33, vcc
	v_add_u16_e32 v30, v31, v30
	v_mov_b32_e32 v31, 1
	v_and_b32_sdwa v31, v33, v31 dst_sel:DWORD dst_unused:UNUSED_PAD src0_sel:WORD_1 src1_sel:DWORD
	v_cmp_eq_u32_e32 vcc, 0, v29
	s_nop 1
	v_cndmask_b32_e32 v31, 1, v31, vcc
; %bb.162:
	s_or_b64 exec, exec, s[54:55]
	ds_write_b16 v28, v30
	ds_write_b8 v28, v31 offset:2
.LBB252_163:
	s_or_b64 exec, exec, s[0:1]
	v_cmp_gt_u32_e32 vcc, 64, v0
	v_cmp_lt_u32_e64 s[0:1], 63, v0
	v_mov_b32_e32 v36, 0
	v_mov_b32_e32 v37, 0
	s_waitcnt lgkmcnt(0)
	s_barrier
	s_and_saveexec_b64 s[54:55], s[0:1]
	s_cbranch_execz .LBB252_165
; %bb.164:
	v_lshl_add_u32 v26, v26, 2, -4
	ds_read_u16 v36, v26
	ds_read_u8 v37, v26 offset:2
	v_mov_b32_e32 v28, 0
	v_and_b32_e32 v29, 1, v25
	v_cmp_eq_u16_sdwa s[0:1], v25, v28 src0_sel:BYTE_0 src1_sel:DWORD
	s_waitcnt lgkmcnt(1)
	s_nop 0
	v_cndmask_b32_e64 v25, 0, v36, s[0:1]
	v_cmp_eq_u32_e64 s[0:1], 1, v29
	v_add_u16_e32 v24, v25, v24
	s_waitcnt lgkmcnt(0)
	v_cndmask_b32_e64 v25, v37, 1, s[0:1]
.LBB252_165:
	s_or_b64 exec, exec, s[54:55]
	v_and_b32_e32 v25, 0xff, v25
	v_and_b32_e32 v24, 0xffff, v24
	v_lshl_or_b32 v24, v25, 16, v24
	v_add_u32_e32 v25, -1, v27
	v_and_b32_e32 v26, 64, v27
	v_cmp_lt_i32_e64 s[0:1], v25, v26
	v_cmp_eq_u32_e64 s[54:55], 0, v27
	s_nop 0
	v_cndmask_b32_e64 v25, v25, v27, s[0:1]
	v_lshlrev_b32_e32 v25, 2, v25
	ds_bpermute_b32 v40, v25, v24
	s_and_saveexec_b64 s[0:1], vcc
	s_cbranch_execz .LBB252_212
; %bb.166:
	v_mov_b32_e32 v33, 0
	ds_read_b32 v24, v33 offset:12
	s_and_saveexec_b64 s[62:63], s[54:55]
	s_cbranch_execz .LBB252_168
; %bb.167:
	s_add_i32 s64, s79, 64
	s_mov_b32 s65, 0
	s_lshl_b64 s[64:65], s[64:65], 3
	s_add_u32 s64, s76, s64
	v_mov_b32_e32 v25, 1
	s_addc_u32 s65, s77, s65
	s_waitcnt lgkmcnt(0)
	global_store_dwordx2 v33, v[24:25], s[64:65] sc1
.LBB252_168:
	s_or_b64 exec, exec, s[62:63]
	v_xad_u32 v26, v27, -1, s79
	v_add_u32_e32 v32, 64, v26
	v_lshl_add_u64 v[30:31], v[32:33], 3, s[76:77]
	global_load_dwordx2 v[28:29], v[30:31], off sc1
	s_waitcnt vmcnt(0)
	v_cmp_eq_u16_sdwa s[64:65], v29, v33 src0_sel:BYTE_0 src1_sel:DWORD
	s_and_saveexec_b64 s[62:63], s[64:65]
	s_cbranch_execz .LBB252_174
; %bb.169:
	s_mov_b32 s68, 1
	s_mov_b64 s[64:65], 0
	v_mov_b32_e32 v25, 0
.LBB252_170:                            ; =>This Loop Header: Depth=1
                                        ;     Child Loop BB252_171 Depth 2
	s_max_u32 s69, s68, 1
.LBB252_171:                            ;   Parent Loop BB252_170 Depth=1
                                        ; =>  This Inner Loop Header: Depth=2
	s_add_i32 s69, s69, -1
	s_cmp_eq_u32 s69, 0
	s_sleep 1
	s_cbranch_scc0 .LBB252_171
; %bb.172:                              ;   in Loop: Header=BB252_170 Depth=1
	global_load_dwordx2 v[28:29], v[30:31], off sc1
	s_cmp_lt_u32 s68, 32
	s_cselect_b64 s[72:73], -1, 0
	s_cmp_lg_u64 s[72:73], 0
	s_addc_u32 s68, s68, 0
	s_waitcnt vmcnt(0)
	v_cmp_ne_u16_sdwa s[72:73], v29, v25 src0_sel:BYTE_0 src1_sel:DWORD
	s_or_b64 s[64:65], s[72:73], s[64:65]
	s_andn2_b64 exec, exec, s[64:65]
	s_cbranch_execnz .LBB252_170
; %bb.173:
	s_or_b64 exec, exec, s[64:65]
.LBB252_174:
	s_or_b64 exec, exec, s[62:63]
	v_mov_b32_e32 v25, 2
	v_cmp_eq_u16_sdwa s[62:63], v29, v25 src0_sel:BYTE_0 src1_sel:DWORD
	v_lshlrev_b64 v[30:31], v27, -1
	v_and_b32_e32 v52, 0xffffff, v28
	v_and_b32_e32 v25, s63, v31
	v_or_b32_e32 v25, 0x80000000, v25
	v_ffbl_b32_e32 v25, v25
	v_add_u32_e32 v33, 32, v25
	v_and_b32_e32 v25, 63, v27
	v_cmp_ne_u32_e32 vcc, 63, v25
	v_and_b32_e32 v32, s62, v30
	v_ffbl_b32_e32 v32, v32
	v_addc_co_u32_e32 v41, vcc, 0, v27, vcc
	v_lshlrev_b32_e32 v41, 2, v41
	ds_bpermute_b32 v42, v41, v52
	v_min_u32_e32 v33, v32, v33
	v_lshrrev_b32_e32 v32, 16, v28
	v_cmp_lt_u32_e32 vcc, v25, v33
	v_bfe_u32 v50, v28, 16, 8
	s_and_saveexec_b64 s[62:63], vcc
	s_cbranch_execz .LBB252_176
; %bb.175:
	v_and_b32_e32 v32, 0xff0000, v28
	v_cmp_eq_u32_e32 vcc, 0, v32
	v_and_b32_e32 v32, 0x10000, v32
	v_mov_b32_e32 v45, 1
	s_waitcnt lgkmcnt(0)
	v_cndmask_b32_e32 v43, 0, v42, vcc
	v_and_b32_sdwa v42, v42, v45 dst_sel:DWORD dst_unused:UNUSED_PAD src0_sel:WORD_1 src1_sel:DWORD
	v_cmp_ne_u32_e32 vcc, 0, v32
	v_add_u16_e32 v44, v43, v28
	v_add_u16_e32 v28, v43, v28
	v_cndmask_b32_e64 v32, v42, 1, vcc
	v_lshlrev_b32_e32 v42, 16, v32
	v_or_b32_e32 v52, v42, v28
	v_mov_b32_e32 v28, v44
	v_mov_b32_e32 v50, v32
.LBB252_176:
	s_or_b64 exec, exec, s[62:63]
	v_cmp_gt_u32_e32 vcc, 62, v25
	v_add_u32_e32 v43, 2, v25
	s_waitcnt lgkmcnt(0)
	v_cndmask_b32_e64 v42, 0, 1, vcc
	v_lshlrev_b32_e32 v42, 1, v42
	v_add_lshl_u32 v42, v42, v27, 2
	ds_bpermute_b32 v44, v42, v52
	v_cmp_le_u32_e32 vcc, v43, v33
	s_and_saveexec_b64 s[62:63], vcc
	s_cbranch_execz .LBB252_178
; %bb.177:
	v_cmp_eq_u16_e32 vcc, 0, v50
	v_and_b32_e32 v32, 1, v50
	v_mov_b32_e32 v47, 1
	s_waitcnt lgkmcnt(0)
	v_cndmask_b32_e32 v45, 0, v44, vcc
	v_and_b32_sdwa v44, v44, v47 dst_sel:DWORD dst_unused:UNUSED_PAD src0_sel:WORD_1 src1_sel:DWORD
	v_cmp_eq_u32_e32 vcc, 1, v32
	v_add_u16_e32 v46, v45, v28
	v_add_u16_e32 v28, v45, v28
	v_cndmask_b32_e64 v32, v44, 1, vcc
	v_lshlrev_b32_e32 v44, 16, v32
	v_or_b32_e32 v52, v44, v28
	v_mov_b32_e32 v28, v46
	v_mov_b32_e32 v50, v32
.LBB252_178:
	s_or_b64 exec, exec, s[62:63]
	v_cmp_gt_u32_e32 vcc, 60, v25
	v_add_u32_e32 v45, 4, v25
	s_waitcnt lgkmcnt(0)
	v_cndmask_b32_e64 v44, 0, 1, vcc
	v_lshlrev_b32_e32 v44, 2, v44
	v_add_lshl_u32 v44, v44, v27, 2
	ds_bpermute_b32 v46, v44, v52
	v_cmp_le_u32_e32 vcc, v45, v33
	s_and_saveexec_b64 s[62:63], vcc
	s_cbranch_execz .LBB252_180
; %bb.179:
	v_cmp_eq_u16_e32 vcc, 0, v50
	v_and_b32_e32 v32, 1, v50
	v_mov_b32_e32 v49, 1
	s_waitcnt lgkmcnt(0)
	v_cndmask_b32_e32 v47, 0, v46, vcc
	v_and_b32_sdwa v46, v46, v49 dst_sel:DWORD dst_unused:UNUSED_PAD src0_sel:WORD_1 src1_sel:DWORD
	v_cmp_eq_u32_e32 vcc, 1, v32
	v_add_u16_e32 v48, v47, v28
	v_add_u16_e32 v28, v47, v28
	v_cndmask_b32_e64 v32, v46, 1, vcc
	v_lshlrev_b32_e32 v46, 16, v32
	v_or_b32_e32 v52, v46, v28
	v_mov_b32_e32 v28, v48
	v_mov_b32_e32 v50, v32
.LBB252_180:
	;; [unrolled: 27-line block ×4, first 2 shown]
	s_or_b64 exec, exec, s[62:63]
	v_cmp_gt_u32_e32 vcc, 32, v25
	s_waitcnt lgkmcnt(0)
	s_nop 0
	v_cndmask_b32_e64 v51, 0, 1, vcc
	v_lshlrev_b32_e32 v51, 5, v51
	v_add_lshl_u32 v51, v51, v27, 2
	ds_bpermute_b32 v27, v51, v52
	v_add_u32_e32 v52, 32, v25
	v_cmp_le_u32_e32 vcc, v52, v33
	s_and_saveexec_b64 s[62:63], vcc
	s_cbranch_execz .LBB252_186
; %bb.185:
	v_cmp_eq_u16_e32 vcc, 0, v50
	v_mov_b32_e32 v33, 1
	s_waitcnt lgkmcnt(0)
	v_cndmask_b32_e32 v32, 0, v27, vcc
	v_add_u16_e32 v28, v32, v28
	v_and_b32_e32 v32, 1, v50
	v_and_b32_sdwa v27, v27, v33 dst_sel:DWORD dst_unused:UNUSED_PAD src0_sel:WORD_1 src1_sel:DWORD
	v_cmp_eq_u32_e32 vcc, 1, v32
	s_nop 1
	v_cndmask_b32_e64 v32, v27, 1, vcc
.LBB252_186:
	s_or_b64 exec, exec, s[62:63]
	s_waitcnt lgkmcnt(0)
	v_mov_b32_e32 v27, 0
	v_mov_b32_e32 v54, 2
	;; [unrolled: 1-line block ×3, first 2 shown]
	s_branch .LBB252_188
.LBB252_187:                            ;   in Loop: Header=BB252_188 Depth=1
	s_or_b64 exec, exec, s[62:63]
	v_cmp_eq_u16_sdwa vcc, v50, v27 src0_sel:BYTE_0 src1_sel:DWORD
	v_and_b32_e32 v32, 1, v50
	v_and_b32_e32 v33, 1, v33
	v_cndmask_b32_e32 v28, 0, v28, vcc
	v_cmp_eq_u32_e32 vcc, 1, v32
	v_subrev_u32_e32 v26, 64, v26
	v_add_u16_e32 v28, v28, v53
	v_cndmask_b32_e64 v32, v33, 1, vcc
.LBB252_188:                            ; =>This Loop Header: Depth=1
                                        ;     Child Loop BB252_191 Depth 2
                                        ;       Child Loop BB252_192 Depth 3
	v_cmp_ne_u16_sdwa s[62:63], v29, v54 src0_sel:BYTE_0 src1_sel:DWORD
	v_mov_b32_e32 v50, v32
	v_mov_b32_e32 v53, v28
	v_cndmask_b32_e64 v29, 0, 1, s[62:63]
	;;#ASMSTART
	;;#ASMEND
	s_nop 0
	v_cmp_ne_u32_e32 vcc, 0, v29
	s_cmp_lg_u64 vcc, exec
	s_cbranch_scc1 .LBB252_207
; %bb.189:                              ;   in Loop: Header=BB252_188 Depth=1
	v_lshl_add_u64 v[32:33], v[26:27], 3, s[76:77]
	global_load_dwordx2 v[28:29], v[32:33], off sc1
	s_waitcnt vmcnt(0)
	v_cmp_eq_u16_sdwa s[64:65], v29, v27 src0_sel:BYTE_0 src1_sel:DWORD
	s_and_saveexec_b64 s[62:63], s[64:65]
	s_cbranch_execz .LBB252_195
; %bb.190:                              ;   in Loop: Header=BB252_188 Depth=1
	s_mov_b32 s68, 1
	s_mov_b64 s[64:65], 0
.LBB252_191:                            ;   Parent Loop BB252_188 Depth=1
                                        ; =>  This Loop Header: Depth=2
                                        ;       Child Loop BB252_192 Depth 3
	s_max_u32 s69, s68, 1
.LBB252_192:                            ;   Parent Loop BB252_188 Depth=1
                                        ;     Parent Loop BB252_191 Depth=2
                                        ; =>    This Inner Loop Header: Depth=3
	s_add_i32 s69, s69, -1
	s_cmp_eq_u32 s69, 0
	s_sleep 1
	s_cbranch_scc0 .LBB252_192
; %bb.193:                              ;   in Loop: Header=BB252_191 Depth=2
	global_load_dwordx2 v[28:29], v[32:33], off sc1
	s_cmp_lt_u32 s68, 32
	s_cselect_b64 s[72:73], -1, 0
	s_cmp_lg_u64 s[72:73], 0
	s_addc_u32 s68, s68, 0
	s_waitcnt vmcnt(0)
	v_cmp_ne_u16_sdwa s[72:73], v29, v27 src0_sel:BYTE_0 src1_sel:DWORD
	s_or_b64 s[64:65], s[72:73], s[64:65]
	s_andn2_b64 exec, exec, s[64:65]
	s_cbranch_execnz .LBB252_191
; %bb.194:                              ;   in Loop: Header=BB252_188 Depth=1
	s_or_b64 exec, exec, s[64:65]
.LBB252_195:                            ;   in Loop: Header=BB252_188 Depth=1
	s_or_b64 exec, exec, s[62:63]
	v_cmp_eq_u16_sdwa s[62:63], v29, v54 src0_sel:BYTE_0 src1_sel:DWORD
	s_waitcnt lgkmcnt(0)
	v_and_b32_e32 v57, 0xffffff, v28
	ds_bpermute_b32 v58, v41, v57
	v_and_b32_e32 v32, s63, v31
	v_or_b32_e32 v32, 0x80000000, v32
	v_and_b32_e32 v33, s62, v30
	v_ffbl_b32_e32 v32, v32
	v_add_u32_e32 v32, 32, v32
	v_ffbl_b32_e32 v33, v33
	v_min_u32_e32 v32, v33, v32
	v_lshrrev_b32_e32 v33, 16, v28
	v_cmp_lt_u32_e32 vcc, v25, v32
	v_bfe_u32 v56, v28, 16, 8
	s_and_saveexec_b64 s[62:63], vcc
	s_cbranch_execz .LBB252_197
; %bb.196:                              ;   in Loop: Header=BB252_188 Depth=1
	v_and_b32_e32 v33, 0xff0000, v28
	v_cmp_eq_u32_e32 vcc, 0, v33
	v_and_b32_e32 v33, 0x10000, v33
	s_waitcnt lgkmcnt(0)
	v_and_b32_sdwa v57, v58, v55 dst_sel:DWORD dst_unused:UNUSED_PAD src0_sel:WORD_1 src1_sel:DWORD
	v_cndmask_b32_e32 v56, 0, v58, vcc
	v_cmp_ne_u32_e32 vcc, 0, v33
	v_add_u16_e32 v59, v56, v28
	v_add_u16_e32 v28, v56, v28
	v_cndmask_b32_e64 v33, v57, 1, vcc
	v_lshlrev_b32_e32 v57, 16, v33
	v_or_b32_e32 v57, v57, v28
	v_mov_b32_e32 v28, v59
	v_mov_b32_e32 v56, v33
.LBB252_197:                            ;   in Loop: Header=BB252_188 Depth=1
	s_or_b64 exec, exec, s[62:63]
	s_waitcnt lgkmcnt(0)
	ds_bpermute_b32 v58, v42, v57
	v_cmp_le_u32_e32 vcc, v43, v32
	s_and_saveexec_b64 s[62:63], vcc
	s_cbranch_execz .LBB252_199
; %bb.198:                              ;   in Loop: Header=BB252_188 Depth=1
	v_cmp_eq_u16_e32 vcc, 0, v56
	v_and_b32_e32 v33, 1, v56
	s_waitcnt lgkmcnt(0)
	v_and_b32_sdwa v56, v58, v55 dst_sel:DWORD dst_unused:UNUSED_PAD src0_sel:WORD_1 src1_sel:DWORD
	v_cndmask_b32_e32 v57, 0, v58, vcc
	v_cmp_eq_u32_e32 vcc, 1, v33
	v_add_u16_e32 v59, v57, v28
	v_add_u16_e32 v28, v57, v28
	v_cndmask_b32_e64 v33, v56, 1, vcc
	v_lshlrev_b32_e32 v56, 16, v33
	v_or_b32_e32 v57, v56, v28
	v_mov_b32_e32 v28, v59
	v_mov_b32_e32 v56, v33
.LBB252_199:                            ;   in Loop: Header=BB252_188 Depth=1
	s_or_b64 exec, exec, s[62:63]
	s_waitcnt lgkmcnt(0)
	ds_bpermute_b32 v58, v44, v57
	v_cmp_le_u32_e32 vcc, v45, v32
	s_and_saveexec_b64 s[62:63], vcc
	s_cbranch_execz .LBB252_201
; %bb.200:                              ;   in Loop: Header=BB252_188 Depth=1
	v_cmp_eq_u16_e32 vcc, 0, v56
	v_and_b32_e32 v33, 1, v56
	s_waitcnt lgkmcnt(0)
	v_and_b32_sdwa v56, v58, v55 dst_sel:DWORD dst_unused:UNUSED_PAD src0_sel:WORD_1 src1_sel:DWORD
	v_cndmask_b32_e32 v57, 0, v58, vcc
	v_cmp_eq_u32_e32 vcc, 1, v33
	v_add_u16_e32 v59, v57, v28
	v_add_u16_e32 v28, v57, v28
	v_cndmask_b32_e64 v33, v56, 1, vcc
	v_lshlrev_b32_e32 v56, 16, v33
	v_or_b32_e32 v57, v56, v28
	v_mov_b32_e32 v28, v59
	v_mov_b32_e32 v56, v33
.LBB252_201:                            ;   in Loop: Header=BB252_188 Depth=1
	;; [unrolled: 21-line block ×4, first 2 shown]
	s_or_b64 exec, exec, s[62:63]
	ds_bpermute_b32 v57, v51, v57
	v_cmp_le_u32_e32 vcc, v52, v32
	s_and_saveexec_b64 s[62:63], vcc
	s_cbranch_execz .LBB252_187
; %bb.206:                              ;   in Loop: Header=BB252_188 Depth=1
	v_cmp_eq_u16_e32 vcc, 0, v56
	s_waitcnt lgkmcnt(0)
	v_lshrrev_b32_e32 v33, 16, v57
	v_cndmask_b32_e32 v32, 0, v57, vcc
	v_add_u16_e32 v28, v32, v28
	v_and_b32_e32 v32, 1, v56
	v_cmp_eq_u32_e32 vcc, 1, v32
	s_nop 1
	v_cndmask_b32_e64 v33, v33, 1, vcc
	s_branch .LBB252_187
.LBB252_207:                            ;   in Loop: Header=BB252_188 Depth=1
                                        ; implicit-def: $vgpr32
                                        ; implicit-def: $vgpr28
	s_cbranch_execz .LBB252_188
; %bb.208:
	s_and_saveexec_b64 s[62:63], s[54:55]
	s_cbranch_execz .LBB252_210
; %bb.209:
	v_and_b32_e32 v25, 0xff0000, v24
	s_mov_b32 s65, 0
	v_cmp_eq_u32_e32 vcc, 0, v25
	v_and_b32_e32 v26, 0x10000, v24
	v_mov_b32_e32 v27, 1
	s_add_i32 s64, s79, 64
	v_cndmask_b32_e32 v25, 0, v53, vcc
	v_and_b32_sdwa v27, v50, v27 dst_sel:WORD_1 dst_unused:UNUSED_PAD src0_sel:DWORD src1_sel:DWORD
	v_mov_b32_e32 v28, 0x10000
	v_cmp_eq_u32_e32 vcc, 0, v26
	s_lshl_b64 s[64:65], s[64:65], 3
	s_add_u32 s64, s76, s64
	v_cndmask_b32_e32 v26, v28, v27, vcc
	v_add_u16_e32 v24, v25, v24
	s_addc_u32 s65, s77, s65
	v_mov_b32_e32 v27, 0
	v_or_b32_e32 v24, v26, v24
	v_mov_b32_e32 v25, 2
	global_store_dwordx2 v27, v[24:25], s[64:65] sc1
.LBB252_210:
	s_or_b64 exec, exec, s[62:63]
	s_and_b64 exec, exec, s[56:57]
	s_cbranch_execz .LBB252_212
; %bb.211:
	v_mov_b32_e32 v24, 0
	ds_write_b16 v24, v53 offset:12
	ds_write_b8 v24, v50 offset:14
.LBB252_212:
	s_or_b64 exec, exec, s[0:1]
	s_waitcnt lgkmcnt(0)
	v_lshrrev_b32_e32 v24, 16, v40
	v_mov_b32_e32 v26, 0
	s_mov_b32 s0, 0x10000
	v_cndmask_b32_e64 v24, v24, v37, s[54:55]
	v_cndmask_b32_e64 v25, v40, v36, s[54:55]
	s_barrier
	ds_read_b32 v27, v26 offset:12
	v_cmp_gt_u32_e32 vcc, s0, v1
	v_and_b32_e32 v28, 0x10000, v1
	v_and_b32_e32 v24, 1, v24
	v_cndmask_b32_e32 v25, 0, v25, vcc
	v_cmp_ne_u32_e32 vcc, 0, v28
	v_cndmask_b32_e64 v25, v25, 0, s[56:57]
	v_add_u16_e32 v25, v25, v1
	v_cndmask_b32_e64 v24, v24, 1, vcc
	v_cndmask_b32_e64 v24, v24, v35, s[56:57]
	v_cmp_eq_u16_sdwa vcc, v24, v26 src0_sel:BYTE_0 src1_sel:DWORD
	s_waitcnt lgkmcnt(0)
	s_nop 0
	v_cndmask_b32_e32 v24, 0, v27, vcc
	v_add_u16_e32 v50, v25, v24
	v_cndmask_b32_e64 v24, 0, v50, s[6:7]
	v_add_u16_e32 v24, v24, v18
	v_cndmask_b32_e64 v25, 0, v24, s[8:9]
	;; [unrolled: 2-line block ×23, first 2 shown]
	v_add_u16_e32 v49, v49, v23
	s_branch .LBB252_243
.LBB252_213:
                                        ; implicit-def: $vgpr50
                                        ; implicit-def: $vgpr24
                                        ; implicit-def: $vgpr25
                                        ; implicit-def: $vgpr26
                                        ; implicit-def: $vgpr27
                                        ; implicit-def: $vgpr28
                                        ; implicit-def: $vgpr29
                                        ; implicit-def: $vgpr31
                                        ; implicit-def: $vgpr30
                                        ; implicit-def: $vgpr32
                                        ; implicit-def: $vgpr33
                                        ; implicit-def: $vgpr35
                                        ; implicit-def: $vgpr36
                                        ; implicit-def: $vgpr37
                                        ; implicit-def: $vgpr40
                                        ; implicit-def: $vgpr42
                                        ; implicit-def: $vgpr41
                                        ; implicit-def: $vgpr43
                                        ; implicit-def: $vgpr44
                                        ; implicit-def: $vgpr45
                                        ; implicit-def: $vgpr46
                                        ; implicit-def: $vgpr47
                                        ; implicit-def: $vgpr48
                                        ; implicit-def: $vgpr49
	s_cbranch_execz .LBB252_243
; %bb.214:
	s_cmp_lg_u64 s[80:81], 0
	s_cselect_b32 s7, s71, 0
	s_cselect_b32 s6, s70, 0
	s_cmp_lg_u64 s[6:7], 0
	s_cselect_b64 s[0:1], -1, 0
	s_and_b64 s[8:9], s[56:57], s[0:1]
	s_and_saveexec_b64 s[0:1], s[8:9]
	s_cbranch_execz .LBB252_216
; %bb.215:
	v_mov_b32_e32 v24, 0
	global_load_ushort v25, v24, s[6:7]
	global_load_ubyte v26, v24, s[6:7] offset:2
	s_mov_b32 s6, 0x10000
	v_and_b32_e32 v24, 0x10000, v1
	v_mov_b32_e32 v27, 1
	v_cmp_gt_u32_e32 vcc, s6, v1
	v_mov_b32_e32 v28, 0x10000
	s_waitcnt vmcnt(0)
	v_and_b32_sdwa v26, v26, v27 dst_sel:WORD_1 dst_unused:UNUSED_PAD src0_sel:DWORD src1_sel:DWORD
	v_cndmask_b32_e32 v25, 0, v25, vcc
	v_cmp_eq_u32_e32 vcc, 0, v24
	v_add_u16_e32 v1, v25, v1
	s_nop 0
	v_cndmask_b32_e32 v24, v28, v26, vcc
	v_or_b32_e32 v1, v24, v1
.LBB252_216:
	s_or_b64 exec, exec, s[0:1]
	s_mov_b32 s50, 0x10000
	v_cmp_gt_u32_e32 vcc, s50, v18
	v_cmp_gt_u32_e64 s[6:7], s50, v19
	v_cmp_gt_u32_e64 s[8:9], s50, v20
	v_cndmask_b32_e32 v24, 0, v1, vcc
	v_add_u16_e32 v24, v24, v18
	v_cndmask_b32_e64 v25, 0, v24, s[6:7]
	v_add_u16_e32 v25, v25, v19
	v_bfe_u32 v28, v19, 16, 1
	v_mov_b32_e32 v53, 1
	v_cndmask_b32_e64 v26, 0, v25, s[8:9]
	v_lshlrev_b16_e32 v28, 1, v28
	v_and_b32_sdwa v29, v18, v53 dst_sel:DWORD dst_unused:UNUSED_PAD src0_sel:WORD_1 src1_sel:DWORD
	v_add_u16_e32 v26, v26, v20
	v_cmp_gt_u32_e64 s[10:11], s50, v21
	v_or_b32_e32 v28, v29, v28
	v_bfe_u32 v29, v21, 16, 1
	v_and_b32_sdwa v30, v20, v53 dst_sel:DWORD dst_unused:UNUSED_PAD src0_sel:WORD_1 src1_sel:DWORD
	v_cndmask_b32_e64 v27, 0, v26, s[10:11]
	v_lshlrev_b16_e32 v29, 3, v29
	v_lshlrev_b16_e32 v30, 2, v30
	v_add_u16_e32 v27, v27, v21
	v_or_b32_e32 v29, v29, v30
	v_cmp_gt_u32_e64 s[12:13], s50, v38
	v_or_b32_e32 v49, v28, v29
	v_and_b32_e32 v29, 0x10000, v38
	v_cndmask_b32_e64 v28, 0, v27, s[12:13]
	v_add_u16_e32 v28, v28, v38
	v_cmp_gt_u32_e64 s[14:15], s50, v2
	v_cmp_ne_u32_e64 s[0:1], 0, v29
	v_cmp_gt_u32_e64 s[16:17], s50, v3
	v_cndmask_b32_e64 v29, 0, v28, s[14:15]
	v_add_u16_e32 v29, v29, v2
	v_cndmask_b32_e64 v30, 0, v29, s[16:17]
	v_add_u16_e32 v31, v30, v3
	v_cmp_gt_u32_e64 s[18:19], s50, v4
	v_cmp_gt_u32_e64 s[20:21], s50, v5
	v_cmp_gt_u32_e64 s[22:23], s50, v6
	v_cndmask_b32_e64 v30, 0, v31, s[18:19]
	v_add_u16_e32 v30, v30, v4
	v_cndmask_b32_e64 v32, 0, v30, s[20:21]
	v_add_u16_e32 v32, v32, v5
	;; [unrolled: 2-line block ×3, first 2 shown]
	v_cmp_gt_u32_e64 s[24:25], s50, v7
	v_cmp_gt_u32_e64 s[26:27], s50, v8
	;; [unrolled: 1-line block ×3, first 2 shown]
	v_cndmask_b32_e64 v35, 0, v33, s[24:25]
	v_add_u16_e32 v35, v35, v7
	v_cndmask_b32_e64 v36, 0, v35, s[26:27]
	v_add_u16_e32 v36, v36, v8
	v_cndmask_b32_e64 v37, 0, v36, s[28:29]
	v_add_u16_e32 v37, v37, v9
	v_cmp_gt_u32_e64 s[30:31], s50, v39
	v_and_b32_e32 v41, 0x10000, v39
	v_cmp_gt_u32_e64 s[34:35], s50, v10
	v_cndmask_b32_e64 v40, 0, v37, s[30:31]
	v_add_u16_e32 v40, v40, v39
	v_cmp_ne_u32_e64 s[52:53], 0, v41
	v_cndmask_b32_e64 v41, 0, v40, s[34:35]
	v_add_u16_e32 v42, v41, v10
	v_cmp_gt_u32_e64 s[36:37], s50, v11
	v_cmp_gt_u32_e64 s[38:39], s50, v12
	v_and_b32_e32 v52, 0x10000, v23
	v_cndmask_b32_e64 v41, 0, v42, s[36:37]
	v_add_u16_e32 v41, v41, v11
	v_cndmask_b32_e64 v43, 0, v41, s[38:39]
	v_add_u16_e32 v43, v43, v12
	v_cmp_gt_u32_e64 s[40:41], s50, v13
	v_cmp_ne_u32_e64 s[54:55], 0, v52
	v_or_b32_e32 v52, v16, v8
	v_or_b32_e32 v55, v17, v9
	;; [unrolled: 1-line block ×3, first 2 shown]
	v_cndmask_b32_e64 v44, 0, v43, s[40:41]
	v_or_b32_e32 v56, v14, v6
	v_or_b32_e32 v58, v12, v4
	;; [unrolled: 1-line block ×4, first 2 shown]
	v_bfe_u32 v57, v57, 16, 1
	v_bfe_u32 v55, v55, 16, 1
	v_and_b32_sdwa v52, v52, v53 dst_sel:DWORD dst_unused:UNUSED_PAD src0_sel:WORD_1 src1_sel:DWORD
	v_add_u16_e32 v44, v44, v13
	v_cmp_gt_u32_e64 s[42:43], s50, v14
	v_or_b32_e32 v60, v10, v2
	v_bfe_u32 v61, v61, 16, 1
	v_bfe_u32 v59, v59, 16, 1
	v_and_b32_sdwa v58, v58, v53 dst_sel:DWORD dst_unused:UNUSED_PAD src0_sel:WORD_1 src1_sel:DWORD
	v_lshlrev_b16_e32 v57, 1, v57
	v_and_b32_sdwa v56, v56, v53 dst_sel:DWORD dst_unused:UNUSED_PAD src0_sel:WORD_1 src1_sel:DWORD
	v_lshlrev_b16_e32 v55, 3, v55
	v_lshlrev_b16_e32 v52, 2, v52
	v_cndmask_b32_e64 v45, 0, v44, s[42:43]
	v_lshlrev_b16_e32 v61, 1, v61
	v_and_b32_sdwa v60, v60, v53 dst_sel:DWORD dst_unused:UNUSED_PAD src0_sel:WORD_1 src1_sel:DWORD
	v_lshlrev_b16_e32 v59, 3, v59
	v_lshlrev_b16_e32 v58, 2, v58
	v_or_b32_e32 v56, v56, v57
	v_or_b32_e32 v52, v55, v52
	v_add_u16_e32 v45, v45, v14
	v_cmp_gt_u32_e64 s[44:45], s50, v15
	v_or_b32_e32 v60, v60, v61
	v_or_b32_e32 v58, v59, v58
	;; [unrolled: 1-line block ×3, first 2 shown]
	v_cndmask_b32_e64 v46, 0, v45, s[44:45]
	v_or_b32_e32 v58, v60, v58
	v_lshlrev_b16_e32 v52, 4, v52
	v_add_u16_e32 v46, v46, v15
	v_cmp_gt_u32_e64 s[46:47], s50, v16
	v_or_b32_e32 v52, v58, v52
	v_or_b32_e32 v49, v52, v49
	v_cndmask_b32_e64 v47, 0, v46, s[46:47]
	v_mov_b32_e32 v52, 0
	v_add_u16_e32 v47, v47, v16
	v_cmp_gt_u32_e64 s[48:49], s50, v17
	v_cmp_ne_u16_sdwa s[62:63], v49, v52 src0_sel:BYTE_0 src1_sel:DWORD
	s_or_b64 s[54:55], s[54:55], s[62:63]
	v_cndmask_b32_e64 v48, 0, v47, s[48:49]
	v_add_u16_e32 v48, v48, v17
	v_cmp_gt_u32_e64 s[50:51], s50, v23
	s_or_b64 s[52:53], s[54:55], s[52:53]
	v_lshrrev_b32_e32 v50, 16, v1
	v_cndmask_b32_e64 v54, 0, v48, s[50:51]
	s_or_b64 s[0:1], s[52:53], s[0:1]
	v_cndmask_b32_e64 v52, v50, 1, s[0:1]
	v_mbcnt_hi_u32_b32 v34, -1, v34
	v_add_u16_e32 v49, v54, v23
	v_add_u16_e32 v51, v54, v23
	v_and_b32_e32 v55, 15, v34
	v_lshl_or_b32 v54, v52, 16, v49
	v_cmp_ne_u32_e64 s[0:1], 0, v55
	s_nop 0
	v_mov_b32_dpp v56, v54 row_shr:1 row_mask:0xf bank_mask:0xf
	s_and_saveexec_b64 s[52:53], s[0:1]
; %bb.217:
	v_cmp_eq_u32_e64 s[0:1], 0, v52
	v_and_b32_e32 v52, 1, v52
	v_and_b32_sdwa v53, v56, v53 dst_sel:DWORD dst_unused:UNUSED_PAD src0_sel:WORD_1 src1_sel:DWORD
	v_cndmask_b32_e64 v54, 0, v56, s[0:1]
	v_cmp_eq_u32_e64 s[0:1], 1, v52
	v_add_u16_e32 v57, v51, v54
	v_add_u16_e32 v51, v51, v54
	v_cndmask_b32_e64 v52, v53, 1, s[0:1]
	v_lshlrev_b32_e32 v53, 16, v52
	v_or_b32_e32 v54, v53, v51
	v_mov_b32_e32 v51, v57
; %bb.218:
	s_or_b64 exec, exec, s[52:53]
	v_lshrrev_b32_e32 v53, 16, v54
	v_mov_b32_dpp v56, v54 row_shr:2 row_mask:0xf bank_mask:0xf
	v_cmp_lt_u32_e64 s[0:1], 1, v55
	s_and_saveexec_b64 s[52:53], s[0:1]
	s_cbranch_execz .LBB252_220
; %bb.219:
	s_mov_b32 s0, 0x10000
	v_cmp_gt_u32_e64 s[0:1], s0, v54
	v_and_b32_e32 v52, 0x10000, v54
	v_mov_b32_e32 v54, 1
	v_cndmask_b32_e64 v53, 0, v56, s[0:1]
	v_and_b32_sdwa v54, v56, v54 dst_sel:DWORD dst_unused:UNUSED_PAD src0_sel:WORD_1 src1_sel:DWORD
	v_cmp_ne_u32_e64 s[0:1], 0, v52
	v_add_u16_e32 v57, v53, v51
	v_add_u16_e32 v51, v53, v51
	v_cndmask_b32_e64 v52, v54, 1, s[0:1]
	v_lshlrev_b32_e32 v54, 16, v52
	v_or_b32_e32 v54, v54, v51
	v_mov_b32_e32 v53, v52
	v_mov_b32_e32 v51, v57
.LBB252_220:
	s_or_b64 exec, exec, s[52:53]
	v_mov_b32_dpp v56, v54 row_shr:4 row_mask:0xf bank_mask:0xf
	v_cmp_lt_u32_e64 s[0:1], 3, v55
	s_and_saveexec_b64 s[52:53], s[0:1]
	s_cbranch_execz .LBB252_222
; %bb.221:
	v_mov_b32_e32 v52, 0
	v_cmp_eq_u16_sdwa s[0:1], v53, v52 src0_sel:BYTE_0 src1_sel:DWORD
	v_and_b32_e32 v52, 1, v53
	v_mov_b32_e32 v53, 1
	v_cndmask_b32_e64 v54, 0, v56, s[0:1]
	v_and_b32_sdwa v53, v56, v53 dst_sel:DWORD dst_unused:UNUSED_PAD src0_sel:WORD_1 src1_sel:DWORD
	v_cmp_eq_u32_e64 s[0:1], 1, v52
	v_add_u16_e32 v57, v54, v51
	v_add_u16_e32 v51, v54, v51
	v_cndmask_b32_e64 v52, v53, 1, s[0:1]
	v_lshlrev_b32_e32 v53, 16, v52
	v_or_b32_e32 v54, v53, v51
	v_mov_b32_e32 v53, v52
	v_mov_b32_e32 v51, v57
.LBB252_222:
	s_or_b64 exec, exec, s[52:53]
	v_mov_b32_dpp v56, v54 row_shr:8 row_mask:0xf bank_mask:0xf
	v_cmp_lt_u32_e64 s[0:1], 7, v55
	s_and_saveexec_b64 s[52:53], s[0:1]
	s_cbranch_execz .LBB252_224
; %bb.223:
	v_mov_b32_e32 v52, 0
	v_cmp_eq_u16_sdwa s[0:1], v53, v52 src0_sel:BYTE_0 src1_sel:DWORD
	v_and_b32_e32 v52, 1, v53
	v_mov_b32_e32 v53, 1
	v_cndmask_b32_e64 v54, 0, v56, s[0:1]
	v_and_b32_sdwa v53, v56, v53 dst_sel:DWORD dst_unused:UNUSED_PAD src0_sel:WORD_1 src1_sel:DWORD
	v_cmp_eq_u32_e64 s[0:1], 1, v52
	v_add_u16_e32 v55, v54, v51
	v_add_u16_e32 v51, v54, v51
	v_cndmask_b32_e64 v52, v53, 1, s[0:1]
	v_lshlrev_b32_e32 v53, 16, v52
	v_or_b32_e32 v54, v53, v51
	v_mov_b32_e32 v53, v52
	v_mov_b32_e32 v51, v55
.LBB252_224:
	s_or_b64 exec, exec, s[52:53]
	v_and_b32_e32 v56, 16, v34
	v_mov_b32_dpp v55, v54 row_bcast:15 row_mask:0xf bank_mask:0xf
	v_cmp_ne_u32_e64 s[0:1], 0, v56
	s_and_saveexec_b64 s[52:53], s[0:1]
	s_cbranch_execz .LBB252_226
; %bb.225:
	v_mov_b32_e32 v52, 0
	v_cmp_eq_u16_sdwa s[0:1], v53, v52 src0_sel:BYTE_0 src1_sel:DWORD
	v_and_b32_e32 v52, 1, v53
	v_mov_b32_e32 v53, 1
	v_cndmask_b32_e64 v54, 0, v55, s[0:1]
	v_and_b32_sdwa v53, v55, v53 dst_sel:DWORD dst_unused:UNUSED_PAD src0_sel:WORD_1 src1_sel:DWORD
	v_cmp_eq_u32_e64 s[0:1], 1, v52
	v_add_u16_e32 v56, v54, v51
	v_add_u16_e32 v51, v54, v51
	v_cndmask_b32_e64 v52, v53, 1, s[0:1]
	v_lshlrev_b32_e32 v53, 16, v52
	v_or_b32_e32 v54, v53, v51
	v_mov_b32_e32 v51, v56
	v_mov_b32_e32 v53, v52
.LBB252_226:
	s_or_b64 exec, exec, s[52:53]
	v_mov_b32_dpp v54, v54 row_bcast:31 row_mask:0xf bank_mask:0xf
	v_cmp_lt_u32_e64 s[0:1], 31, v34
	s_and_saveexec_b64 s[52:53], s[0:1]
; %bb.227:
	v_mov_b32_e32 v52, 0
	v_cmp_eq_u16_sdwa s[0:1], v53, v52 src0_sel:BYTE_0 src1_sel:DWORD
	s_nop 1
	v_cndmask_b32_e64 v52, 0, v54, s[0:1]
	v_add_u16_e32 v51, v52, v51
	v_and_b32_e32 v52, 1, v53
	v_mov_b32_e32 v53, 1
	v_and_b32_sdwa v53, v54, v53 dst_sel:DWORD dst_unused:UNUSED_PAD src0_sel:WORD_1 src1_sel:DWORD
	v_cmp_eq_u32_e64 s[0:1], 1, v52
	s_nop 1
	v_cndmask_b32_e64 v52, v53, 1, s[0:1]
; %bb.228:
	s_or_b64 exec, exec, s[52:53]
	v_or_b32_e32 v54, 63, v0
	v_lshrrev_b32_e32 v53, 6, v0
	v_cmp_eq_u32_e64 s[0:1], v54, v0
	s_and_saveexec_b64 s[52:53], s[0:1]
	s_cbranch_execz .LBB252_230
; %bb.229:
	v_lshlrev_b32_e32 v54, 2, v53
	ds_write_b16 v54, v51
	ds_write_b8 v54, v52 offset:2
.LBB252_230:
	s_or_b64 exec, exec, s[52:53]
	v_cmp_gt_u32_e64 s[0:1], 4, v0
	s_waitcnt lgkmcnt(0)
	s_barrier
	s_and_saveexec_b64 s[52:53], s[0:1]
	s_cbranch_execz .LBB252_236
; %bb.231:
	v_lshlrev_b32_e32 v54, 2, v0
	ds_read_b32 v55, v54
	v_and_b32_e32 v58, 3, v34
	v_cmp_ne_u32_e64 s[0:1], 0, v58
	s_waitcnt lgkmcnt(0)
	v_lshrrev_b32_e32 v57, 16, v55
	v_mov_b32_dpp v59, v55 row_shr:1 row_mask:0xf bank_mask:0xf
	v_mov_b32_e32 v56, v55
	s_and_saveexec_b64 s[54:55], s[0:1]
	s_cbranch_execz .LBB252_233
; %bb.232:
	v_mov_b32_e32 v56, 0
	v_cmp_eq_u16_sdwa s[0:1], v57, v56 src0_sel:BYTE_0 src1_sel:DWORD
	v_and_b32_e32 v57, 0x10000, v55
	v_mov_b32_e32 v62, 1
	v_cndmask_b32_e64 v61, 0, v59, s[0:1]
	v_and_b32_sdwa v59, v59, v62 dst_sel:DWORD dst_unused:UNUSED_PAD src0_sel:WORD_1 src1_sel:DWORD
	v_cmp_ne_u32_e64 s[0:1], 0, v57
	v_and_b32_e32 v60, 0xff000000, v55
	v_add_u16_e32 v56, v61, v55
	v_cndmask_b32_e64 v57, v59, 1, s[0:1]
	v_lshlrev_b32_e32 v59, 16, v57
	v_add_u16_e32 v55, v61, v55
	v_or3_b32 v55, v59, v60, v55
.LBB252_233:
	s_or_b64 exec, exec, s[54:55]
	s_nop 0
	v_mov_b32_dpp v59, v55 row_shr:2 row_mask:0xf bank_mask:0xf
	v_cmp_lt_u32_e64 s[0:1], 1, v58
	s_and_saveexec_b64 s[54:55], s[0:1]
; %bb.234:
	v_and_b32_e32 v57, 0xff0000, v55
	v_cmp_eq_u32_e64 s[0:1], 0, v57
	v_and_b32_e32 v55, 0x10000, v55
	s_nop 0
	v_cndmask_b32_e64 v57, 0, v59, s[0:1]
	v_add_u16_e32 v56, v57, v56
	v_mov_b32_e32 v57, 1
	v_and_b32_sdwa v57, v59, v57 dst_sel:DWORD dst_unused:UNUSED_PAD src0_sel:WORD_1 src1_sel:DWORD
	v_cmp_eq_u32_e64 s[0:1], 0, v55
	s_nop 1
	v_cndmask_b32_e64 v57, 1, v57, s[0:1]
; %bb.235:
	s_or_b64 exec, exec, s[54:55]
	ds_write_b16 v54, v56
	ds_write_b8 v54, v57 offset:2
.LBB252_236:
	s_or_b64 exec, exec, s[52:53]
	v_cmp_lt_u32_e64 s[0:1], 63, v0
	v_mov_b32_e32 v54, 0
	s_waitcnt lgkmcnt(0)
	s_barrier
	s_and_saveexec_b64 s[52:53], s[0:1]
	s_cbranch_execz .LBB252_238
; %bb.237:
	v_lshl_add_u32 v53, v53, 2, -4
	ds_read_u16 v54, v53
	ds_read_u8 v53, v53 offset:2
	v_mov_b32_e32 v55, 0
	v_and_b32_e32 v56, 1, v52
	v_cmp_eq_u16_sdwa s[0:1], v52, v55 src0_sel:BYTE_0 src1_sel:DWORD
	s_waitcnt lgkmcnt(1)
	s_nop 0
	v_cndmask_b32_e64 v52, 0, v54, s[0:1]
	v_cmp_eq_u32_e64 s[0:1], 1, v56
	v_add_u16_e32 v51, v52, v51
	s_waitcnt lgkmcnt(0)
	v_cndmask_b32_e64 v52, v53, 1, s[0:1]
.LBB252_238:
	s_or_b64 exec, exec, s[52:53]
	v_and_b32_e32 v52, 0xff, v52
	v_and_b32_e32 v51, 0xffff, v51
	v_lshl_or_b32 v51, v52, 16, v51
	v_add_u32_e32 v52, -1, v34
	v_and_b32_e32 v53, 64, v34
	v_cmp_lt_i32_e64 s[0:1], v52, v53
	s_nop 1
	v_cndmask_b32_e64 v52, v52, v34, s[0:1]
	v_lshlrev_b32_e32 v52, 2, v52
	ds_bpermute_b32 v51, v52, v51
	s_and_saveexec_b64 s[52:53], s[4:5]
	s_cbranch_execz .LBB252_240
; %bb.239:
	v_cmp_eq_u32_e64 s[0:1], 0, v34
	v_and_b32_e32 v25, 0xff0000, v1
	v_mov_b32_e32 v50, 0
	s_waitcnt lgkmcnt(0)
	v_cndmask_b32_e64 v24, v51, v54, s[0:1]
	v_and_b32_e32 v24, 0xffff, v24
	v_cmp_eq_u32_e64 s[0:1], 0, v25
	;;#ASMSTART
	;;#ASMEND
	s_nop 1
	v_cndmask_b32_e64 v24, 0, v24, s[0:1]
	v_add_u32_e32 v1, v24, v1
	v_cndmask_b32_e32 v24, 0, v1, vcc
	v_add_u16_e32 v24, v24, v18
	v_cndmask_b32_e64 v18, 0, v24, s[6:7]
	v_add_u16_e32 v25, v18, v19
	v_cndmask_b32_e64 v18, 0, v25, s[8:9]
	;; [unrolled: 2-line block ×22, first 2 shown]
	v_add_u16_e32 v49, v2, v23
.LBB252_240:
	s_or_b64 exec, exec, s[52:53]
	s_and_saveexec_b64 s[0:1], s[56:57]
	s_cbranch_execz .LBB252_242
; %bb.241:
	v_mov_b32_e32 v4, 0
	ds_read_u8 v2, v4 offset:14
	ds_read_u16 v3, v4 offset:12
	s_waitcnt lgkmcnt(1)
	v_lshlrev_b32_e32 v2, 16, v2
	s_waitcnt lgkmcnt(0)
	v_or_b32_e32 v2, v2, v3
	v_mov_b32_e32 v3, 2
	global_store_dwordx2 v4, v[2:3], s[76:77] offset:512 sc1
.LBB252_242:
	s_or_b64 exec, exec, s[0:1]
	v_lshl_or_b32 v50, v50, 16, v1
.LBB252_243:
	s_add_u32 s0, s66, s58
	s_addc_u32 s1, s67, s59
	s_add_u32 s0, s0, s60
	s_addc_u32 s1, s1, s61
	s_and_b64 vcc, exec, s[2:3]
	v_mul_u32_u24_e32 v4, 24, v0
	s_cbranch_vccz .LBB252_295
; %bb.244:
	s_add_i32 s33, s33, s78
	v_cmp_le_u32_e32 vcc, s33, v4
                                        ; implicit-def: $vgpr1
                                        ; implicit-def: $vgpr2
                                        ; implicit-def: $vgpr3
                                        ; implicit-def: $vgpr5
                                        ; implicit-def: $vgpr6
                                        ; implicit-def: $vgpr7
                                        ; implicit-def: $vgpr8
	s_and_saveexec_b64 s[2:3], vcc
	s_xor_b64 s[2:3], exec, s[2:3]
; %bb.245:
	v_or_b32_e32 v1, 1, v4
	v_or_b32_e32 v2, 2, v4
	;; [unrolled: 1-line block ×7, first 2 shown]
; %bb.246:
	s_andn2_saveexec_b64 s[2:3], s[2:3]
; %bb.247:
	v_or_b32_e32 v1, 1, v4
	v_or_b32_e32 v2, 2, v4
	;; [unrolled: 1-line block ×7, first 2 shown]
; %bb.248:
	s_or_b64 exec, exec, s[2:3]
	v_lshlrev_b32_e32 v39, 1, v4
	v_lshlrev_b32_e32 v1, 1, v1
	s_waitcnt lgkmcnt(0)
	s_barrier
	ds_write_b16 v39, v50
	ds_write_b16 v1, v24
	v_lshlrev_b32_e32 v1, 1, v2
	ds_write_b16 v1, v25
	v_lshlrev_b32_e32 v1, 1, v3
	ds_write_b16 v1, v26
	v_lshlrev_b32_e32 v1, 1, v5
	ds_write_b16 v1, v27
	v_lshlrev_b32_e32 v1, 1, v6
	ds_write_b16 v1, v28
	v_lshlrev_b32_e32 v1, 1, v7
	s_mov_b32 s2, 0x5040100
	ds_write_b16 v1, v29
	v_lshlrev_b32_e32 v1, 1, v8
	v_perm_b32 v9, v42, v40, s2
	v_perm_b32 v8, v37, v36, s2
	;; [unrolled: 1-line block ×4, first 2 shown]
	ds_write_b16 v1, v31
	ds_write_b128 v39, v[6:9] offset:16
	v_perm_b32 v9, v49, v48, s2
	v_perm_b32 v8, v47, v46, s2
	;; [unrolled: 1-line block ×4, first 2 shown]
	s_movk_i32 s2, 0xffd2
	v_mad_i32_i24 v2, v0, s2, v39
	ds_write_b128 v39, v[6:9] offset:32
	s_waitcnt lgkmcnt(0)
	s_barrier
	ds_read_u16 v53, v2 offset:512
	ds_read_u16 v52, v2 offset:1024
	;; [unrolled: 1-line block ×23, first 2 shown]
	v_mov_b32_e32 v23, 0
	v_lshl_add_u64 v[2:3], s[0:1], 0, v[22:23]
	v_cmp_gt_u32_e32 vcc, s33, v0
	s_and_saveexec_b64 s[2:3], vcc
	s_cbranch_execz .LBB252_250
; %bb.249:
	v_mul_i32_i24_e32 v54, 0xffffffd2, v0
	v_add_u32_e32 v39, v39, v54
	ds_read_u16 v39, v39
	s_waitcnt lgkmcnt(0)
	flat_store_short v[2:3], v39
.LBB252_250:
	s_or_b64 exec, exec, s[2:3]
	v_or_b32_e32 v39, 0x100, v0
	v_cmp_gt_u32_e32 vcc, s33, v39
	s_and_saveexec_b64 s[2:3], vcc
	s_cbranch_execz .LBB252_252
; %bb.251:
	s_waitcnt lgkmcnt(0)
	flat_store_short v[2:3], v53 offset:512
.LBB252_252:
	s_or_b64 exec, exec, s[2:3]
	v_or_b32_e32 v39, 0x200, v0
	v_cmp_gt_u32_e32 vcc, s33, v39
	s_and_saveexec_b64 s[2:3], vcc
	s_cbranch_execz .LBB252_254
; %bb.253:
	s_waitcnt lgkmcnt(0)
	flat_store_short v[2:3], v52 offset:1024
.LBB252_254:
	s_or_b64 exec, exec, s[2:3]
	v_or_b32_e32 v39, 0x300, v0
	v_cmp_gt_u32_e32 vcc, s33, v39
	s_and_saveexec_b64 s[2:3], vcc
	s_cbranch_execz .LBB252_256
; %bb.255:
	s_waitcnt lgkmcnt(0)
	flat_store_short v[2:3], v51 offset:1536
.LBB252_256:
	s_or_b64 exec, exec, s[2:3]
	v_or_b32_e32 v39, 0x400, v0
	v_cmp_gt_u32_e32 vcc, s33, v39
	s_and_saveexec_b64 s[2:3], vcc
	s_cbranch_execz .LBB252_258
; %bb.257:
	s_waitcnt lgkmcnt(0)
	flat_store_short v[2:3], v38 offset:2048
.LBB252_258:
	s_or_b64 exec, exec, s[2:3]
	s_waitcnt lgkmcnt(0)
	v_or_b32_e32 v38, 0x500, v0
	v_cmp_gt_u32_e32 vcc, s33, v38
	s_and_saveexec_b64 s[2:3], vcc
	s_cbranch_execz .LBB252_260
; %bb.259:
	flat_store_short v[2:3], v34 offset:2560
.LBB252_260:
	s_or_b64 exec, exec, s[2:3]
	v_or_b32_e32 v34, 0x600, v0
	v_cmp_gt_u32_e32 vcc, s33, v34
	s_and_saveexec_b64 s[2:3], vcc
	s_cbranch_execz .LBB252_262
; %bb.261:
	flat_store_short v[2:3], v21 offset:3072
.LBB252_262:
	s_or_b64 exec, exec, s[2:3]
	;; [unrolled: 8-line block ×3, first 2 shown]
	v_or_b32_e32 v20, 0x800, v0
	v_cmp_gt_u32_e32 vcc, s33, v20
	s_and_saveexec_b64 s[2:3], vcc
	s_cbranch_execz .LBB252_266
; %bb.265:
	v_add_co_u32_e32 v20, vcc, 0x1000, v2
	s_nop 1
	v_addc_co_u32_e32 v21, vcc, 0, v3, vcc
	flat_store_short v[20:21], v19
.LBB252_266:
	s_or_b64 exec, exec, s[2:3]
	v_or_b32_e32 v19, 0x900, v0
	v_cmp_gt_u32_e32 vcc, s33, v19
	s_and_saveexec_b64 s[2:3], vcc
	s_cbranch_execz .LBB252_268
; %bb.267:
	v_add_co_u32_e32 v20, vcc, 0x1000, v2
	s_nop 1
	v_addc_co_u32_e32 v21, vcc, 0, v3, vcc
	flat_store_short v[20:21], v18 offset:512
.LBB252_268:
	s_or_b64 exec, exec, s[2:3]
	v_or_b32_e32 v18, 0xa00, v0
	v_cmp_gt_u32_e32 vcc, s33, v18
	s_and_saveexec_b64 s[2:3], vcc
	s_cbranch_execz .LBB252_270
; %bb.269:
	v_add_co_u32_e32 v18, vcc, 0x1000, v2
	s_nop 1
	v_addc_co_u32_e32 v19, vcc, 0, v3, vcc
	flat_store_short v[18:19], v17 offset:1024
.LBB252_270:
	;; [unrolled: 11-line block ×7, first 2 shown]
	s_or_b64 exec, exec, s[2:3]
	v_or_b32_e32 v12, 0x1000, v0
	v_cmp_gt_u32_e32 vcc, s33, v12
	s_and_saveexec_b64 s[2:3], vcc
	s_cbranch_execz .LBB252_282
; %bb.281:
	v_add_co_u32_e32 v12, vcc, 0x2000, v2
	s_nop 1
	v_addc_co_u32_e32 v13, vcc, 0, v3, vcc
	flat_store_short v[12:13], v11
.LBB252_282:
	s_or_b64 exec, exec, s[2:3]
	v_or_b32_e32 v11, 0x1100, v0
	v_cmp_gt_u32_e32 vcc, s33, v11
	s_and_saveexec_b64 s[2:3], vcc
	s_cbranch_execz .LBB252_284
; %bb.283:
	v_add_co_u32_e32 v12, vcc, 0x2000, v2
	s_nop 1
	v_addc_co_u32_e32 v13, vcc, 0, v3, vcc
	flat_store_short v[12:13], v10 offset:512
.LBB252_284:
	s_or_b64 exec, exec, s[2:3]
	v_or_b32_e32 v10, 0x1200, v0
	v_cmp_gt_u32_e32 vcc, s33, v10
	s_and_saveexec_b64 s[2:3], vcc
	s_cbranch_execz .LBB252_286
; %bb.285:
	v_add_co_u32_e32 v10, vcc, 0x2000, v2
	s_nop 1
	v_addc_co_u32_e32 v11, vcc, 0, v3, vcc
	flat_store_short v[10:11], v9 offset:1024
.LBB252_286:
	;; [unrolled: 11-line block ×6, first 2 shown]
	s_or_b64 exec, exec, s[2:3]
	v_or_b32_e32 v2, 0x1700, v0
	v_mov_b32_e32 v1, v23
	v_cmp_gt_u32_e64 s[2:3], s33, v2
	s_branch .LBB252_297
.LBB252_295:
	s_mov_b64 s[2:3], 0
                                        ; implicit-def: $vgpr5
	s_cbranch_execz .LBB252_297
; %bb.296:
	s_mov_b32 s4, 0x5040100
	v_lshlrev_b32_e32 v6, 1, v4
	v_perm_b32 v5, v31, v29, s4
	v_perm_b32 v4, v28, v27, s4
	;; [unrolled: 1-line block ×4, first 2 shown]
	s_waitcnt lgkmcnt(0)
	s_barrier
	ds_write_b128 v6, v[2:5]
	v_perm_b32 v5, v42, v40, s4
	v_perm_b32 v4, v37, v36, s4
	;; [unrolled: 1-line block ×4, first 2 shown]
	ds_write_b128 v6, v[2:5] offset:16
	v_perm_b32 v4, v47, v46, s4
	v_perm_b32 v3, v45, v44, s4
	;; [unrolled: 1-line block ×4, first 2 shown]
	v_mov_b32_e32 v1, 0
	s_movk_i32 s4, 0xffd2
	ds_write_b128 v6, v[2:5] offset:32
	v_mad_i32_i24 v2, v0, s4, v6
	v_mov_b32_e32 v23, v1
	s_waitcnt lgkmcnt(0)
	s_barrier
	ds_read_u16 v4, v2
	ds_read_u16 v6, v2 offset:512
	ds_read_u16 v7, v2 offset:1024
	;; [unrolled: 1-line block ×23, first 2 shown]
	v_lshl_add_u64 v[2:3], s[0:1], 0, v[22:23]
	s_movk_i32 s4, 0x1000
	s_waitcnt lgkmcnt(0)
	flat_store_short v[2:3], v4
	flat_store_short v[2:3], v6 offset:512
	flat_store_short v[2:3], v7 offset:1024
	;; [unrolled: 1-line block ×7, first 2 shown]
	v_add_co_u32_e32 v6, vcc, s4, v2
	s_or_b64 s[2:3], s[2:3], exec
	s_nop 0
	v_addc_co_u32_e32 v7, vcc, 0, v3, vcc
	v_add_co_u32_e32 v2, vcc, 0x2000, v2
	flat_store_short v[6:7], v13
	flat_store_short v[6:7], v14 offset:512
	flat_store_short v[6:7], v15 offset:1024
	;; [unrolled: 1-line block ×7, first 2 shown]
	v_addc_co_u32_e32 v3, vcc, 0, v3, vcc
	flat_store_short v[2:3], v21
	flat_store_short v[2:3], v24 offset:512
	flat_store_short v[2:3], v25 offset:1024
	;; [unrolled: 1-line block ×6, first 2 shown]
.LBB252_297:
	s_and_saveexec_b64 s[4:5], s[2:3]
	s_cbranch_execnz .LBB252_299
; %bb.298:
	s_endpgm
.LBB252_299:
	v_lshl_add_u64 v[0:1], v[0:1], 1, s[0:1]
	v_add_co_u32_e32 v0, vcc, 0x2000, v0
	s_nop 1
	v_addc_co_u32_e32 v1, vcc, 0, v1, vcc
	flat_store_short v[0:1], v5 offset:3584
	s_endpgm
.LBB252_300:
	v_lshl_add_u64 v[20:21], s[62:63], 0, v[2:3]
	flat_load_ushort v19, v[20:21]
	s_or_b64 exec, exec, s[0:1]
                                        ; implicit-def: $vgpr20
	s_and_saveexec_b64 s[0:1], s[8:9]
	s_cbranch_execz .LBB252_61
.LBB252_301:
	v_mov_b32_e32 v3, 0
	v_lshl_add_u64 v[20:21], s[62:63], 0, v[2:3]
	flat_load_ushort v20, v[20:21] offset:512
	s_or_b64 exec, exec, s[0:1]
                                        ; implicit-def: $vgpr21
	s_and_saveexec_b64 s[0:1], s[10:11]
	s_cbranch_execz .LBB252_62
.LBB252_302:
	v_mov_b32_e32 v3, 0
	v_lshl_add_u64 v[36:37], s[62:63], 0, v[2:3]
	flat_load_ushort v21, v[36:37] offset:1024
	s_or_b64 exec, exec, s[0:1]
                                        ; implicit-def: $vgpr35
	s_and_saveexec_b64 s[0:1], s[12:13]
	s_cbranch_execz .LBB252_63
.LBB252_303:
	v_mov_b32_e32 v3, 0
	v_lshl_add_u64 v[36:37], s[62:63], 0, v[2:3]
	flat_load_ushort v35, v[36:37] offset:1536
	s_or_b64 exec, exec, s[0:1]
                                        ; implicit-def: $vgpr36
	s_and_saveexec_b64 s[0:1], s[14:15]
	s_cbranch_execz .LBB252_64
.LBB252_304:
	v_mov_b32_e32 v3, 0
	v_lshl_add_u64 v[36:37], s[62:63], 0, v[2:3]
	flat_load_ushort v36, v[36:37] offset:2048
	s_or_b64 exec, exec, s[0:1]
                                        ; implicit-def: $vgpr37
	s_and_saveexec_b64 s[0:1], s[16:17]
	s_cbranch_execz .LBB252_65
.LBB252_305:
	v_mov_b32_e32 v3, 0
	v_lshl_add_u64 v[38:39], s[62:63], 0, v[2:3]
	flat_load_ushort v37, v[38:39] offset:2560
	s_or_b64 exec, exec, s[0:1]
                                        ; implicit-def: $vgpr38
	s_and_saveexec_b64 s[0:1], s[18:19]
	s_cbranch_execz .LBB252_66
.LBB252_306:
	v_mov_b32_e32 v3, 0
	v_lshl_add_u64 v[38:39], s[62:63], 0, v[2:3]
	flat_load_ushort v38, v[38:39] offset:3072
	s_or_b64 exec, exec, s[0:1]
                                        ; implicit-def: $vgpr3
	s_and_saveexec_b64 s[0:1], s[20:21]
	s_cbranch_execz .LBB252_67
.LBB252_307:
	v_mov_b32_e32 v3, 0
	v_lshl_add_u64 v[42:43], s[62:63], 0, v[2:3]
	flat_load_ushort v3, v[42:43] offset:3584
	s_or_b64 exec, exec, s[0:1]
                                        ; implicit-def: $vgpr39
	s_and_saveexec_b64 s[0:1], s[22:23]
	s_cbranch_execz .LBB252_68
.LBB252_308:
	v_lshlrev_b32_e32 v42, 1, v1
	v_mov_b32_e32 v43, 0
	v_lshl_add_u64 v[42:43], s[62:63], 0, v[42:43]
	flat_load_ushort v39, v[42:43]
	s_or_b64 exec, exec, s[0:1]
                                        ; implicit-def: $vgpr1
	s_and_saveexec_b64 s[0:1], s[24:25]
	s_cbranch_execz .LBB252_69
.LBB252_309:
	v_lshlrev_b32_e32 v42, 1, v4
	v_mov_b32_e32 v43, 0
	v_lshl_add_u64 v[42:43], s[62:63], 0, v[42:43]
	flat_load_ushort v1, v[42:43]
	s_or_b64 exec, exec, s[0:1]
                                        ; implicit-def: $vgpr4
	s_and_saveexec_b64 s[0:1], s[26:27]
	s_cbranch_execz .LBB252_70
.LBB252_310:
	v_lshlrev_b32_e32 v4, 1, v5
	v_mov_b32_e32 v5, 0
	v_lshl_add_u64 v[4:5], s[62:63], 0, v[4:5]
	flat_load_ushort v4, v[4:5]
	s_or_b64 exec, exec, s[0:1]
                                        ; implicit-def: $vgpr5
	s_and_saveexec_b64 s[0:1], s[28:29]
	s_cbranch_execz .LBB252_71
.LBB252_311:
	v_lshlrev_b32_e32 v42, 1, v6
	v_mov_b32_e32 v43, 0
	v_lshl_add_u64 v[42:43], s[62:63], 0, v[42:43]
	flat_load_ushort v5, v[42:43]
	s_or_b64 exec, exec, s[0:1]
                                        ; implicit-def: $vgpr6
	s_and_saveexec_b64 s[0:1], s[30:31]
	s_cbranch_execz .LBB252_72
.LBB252_312:
	v_lshlrev_b32_e32 v6, 1, v7
	v_mov_b32_e32 v7, 0
	v_lshl_add_u64 v[6:7], s[62:63], 0, v[6:7]
	flat_load_ushort v6, v[6:7]
	s_or_b64 exec, exec, s[0:1]
                                        ; implicit-def: $vgpr7
	s_and_saveexec_b64 s[0:1], s[34:35]
	s_cbranch_execz .LBB252_73
.LBB252_313:
	v_lshlrev_b32_e32 v42, 1, v8
	v_mov_b32_e32 v43, 0
	v_lshl_add_u64 v[42:43], s[62:63], 0, v[42:43]
	flat_load_ushort v7, v[42:43]
	s_or_b64 exec, exec, s[0:1]
                                        ; implicit-def: $vgpr8
	s_and_saveexec_b64 s[0:1], s[36:37]
	s_cbranch_execz .LBB252_74
.LBB252_314:
	v_lshlrev_b32_e32 v8, 1, v9
	v_mov_b32_e32 v9, 0
	v_lshl_add_u64 v[8:9], s[62:63], 0, v[8:9]
	flat_load_ushort v8, v[8:9]
	s_or_b64 exec, exec, s[0:1]
                                        ; implicit-def: $vgpr9
	s_and_saveexec_b64 s[0:1], s[38:39]
	s_cbranch_execz .LBB252_75
.LBB252_315:
	v_lshlrev_b32_e32 v42, 1, v10
	v_mov_b32_e32 v43, 0
	v_lshl_add_u64 v[42:43], s[62:63], 0, v[42:43]
	flat_load_ushort v9, v[42:43]
	s_or_b64 exec, exec, s[0:1]
                                        ; implicit-def: $vgpr10
	s_and_saveexec_b64 s[0:1], s[40:41]
	s_cbranch_execz .LBB252_76
.LBB252_316:
	v_lshlrev_b32_e32 v10, 1, v11
	v_mov_b32_e32 v11, 0
	v_lshl_add_u64 v[10:11], s[62:63], 0, v[10:11]
	flat_load_ushort v10, v[10:11]
	s_or_b64 exec, exec, s[0:1]
                                        ; implicit-def: $vgpr11
	s_and_saveexec_b64 s[0:1], s[42:43]
	s_cbranch_execz .LBB252_77
.LBB252_317:
	v_lshlrev_b32_e32 v42, 1, v12
	v_mov_b32_e32 v43, 0
	v_lshl_add_u64 v[42:43], s[62:63], 0, v[42:43]
	flat_load_ushort v11, v[42:43]
	s_or_b64 exec, exec, s[0:1]
                                        ; implicit-def: $vgpr12
	s_and_saveexec_b64 s[0:1], s[44:45]
	s_cbranch_execz .LBB252_78
.LBB252_318:
	v_lshlrev_b32_e32 v12, 1, v13
	v_mov_b32_e32 v13, 0
	v_lshl_add_u64 v[12:13], s[62:63], 0, v[12:13]
	flat_load_ushort v12, v[12:13]
	s_or_b64 exec, exec, s[0:1]
                                        ; implicit-def: $vgpr13
	s_and_saveexec_b64 s[0:1], s[46:47]
	s_cbranch_execz .LBB252_79
.LBB252_319:
	v_lshlrev_b32_e32 v42, 1, v14
	v_mov_b32_e32 v43, 0
	v_lshl_add_u64 v[42:43], s[62:63], 0, v[42:43]
	flat_load_ushort v13, v[42:43]
	s_or_b64 exec, exec, s[0:1]
                                        ; implicit-def: $vgpr14
	s_and_saveexec_b64 s[0:1], s[48:49]
	s_cbranch_execz .LBB252_80
.LBB252_320:
	v_lshlrev_b32_e32 v14, 1, v15
	v_mov_b32_e32 v15, 0
	v_lshl_add_u64 v[14:15], s[62:63], 0, v[14:15]
	flat_load_ushort v14, v[14:15]
	s_or_b64 exec, exec, s[0:1]
                                        ; implicit-def: $vgpr15
	s_and_saveexec_b64 s[0:1], s[50:51]
	s_cbranch_execz .LBB252_81
.LBB252_321:
	v_lshlrev_b32_e32 v42, 1, v16
	v_mov_b32_e32 v43, 0
	v_lshl_add_u64 v[42:43], s[62:63], 0, v[42:43]
	flat_load_ushort v15, v[42:43]
	s_or_b64 exec, exec, s[0:1]
                                        ; implicit-def: $vgpr16
	s_and_saveexec_b64 s[0:1], s[52:53]
	s_cbranch_execz .LBB252_82
.LBB252_322:
	v_lshlrev_b32_e32 v16, 1, v17
	v_mov_b32_e32 v17, 0
	v_lshl_add_u64 v[16:17], s[62:63], 0, v[16:17]
	flat_load_ushort v16, v[16:17]
	s_or_b64 exec, exec, s[0:1]
                                        ; implicit-def: $vgpr17
	s_and_saveexec_b64 s[0:1], s[54:55]
	s_cbranch_execnz .LBB252_83
	s_branch .LBB252_84
.LBB252_323:
                                        ; implicit-def: $sgpr0_sgpr1
	s_branch .LBB252_56
.LBB252_324:
                                        ; implicit-def: $sgpr0_sgpr1
	s_branch .LBB252_135
	.section	.rodata,"a",@progbits
	.p2align	6, 0x0
	.amdhsa_kernel _ZN7rocprim17ROCPRIM_400000_NS6detail17trampoline_kernelINS0_14default_configENS1_27scan_by_key_config_selectorIssEEZZNS1_16scan_by_key_implILNS1_25lookback_scan_determinismE0ELb0ES3_N6thrust23THRUST_200600_302600_NS6detail15normal_iteratorINS9_10device_ptrIsEEEESE_SE_sNS9_4plusIvEENS9_8equal_toIvEEsEE10hipError_tPvRmT2_T3_T4_T5_mT6_T7_P12ihipStream_tbENKUlT_T0_E_clISt17integral_constantIbLb1EESZ_EEDaSU_SV_EUlSU_E_NS1_11comp_targetILNS1_3genE5ELNS1_11target_archE942ELNS1_3gpuE9ELNS1_3repE0EEENS1_30default_config_static_selectorELNS0_4arch9wavefront6targetE1EEEvT1_
		.amdhsa_group_segment_fixed_size 13312
		.amdhsa_private_segment_fixed_size 0
		.amdhsa_kernarg_size 112
		.amdhsa_user_sgpr_count 2
		.amdhsa_user_sgpr_dispatch_ptr 0
		.amdhsa_user_sgpr_queue_ptr 0
		.amdhsa_user_sgpr_kernarg_segment_ptr 1
		.amdhsa_user_sgpr_dispatch_id 0
		.amdhsa_user_sgpr_kernarg_preload_length 0
		.amdhsa_user_sgpr_kernarg_preload_offset 0
		.amdhsa_user_sgpr_private_segment_size 0
		.amdhsa_uses_dynamic_stack 0
		.amdhsa_enable_private_segment 0
		.amdhsa_system_sgpr_workgroup_id_x 1
		.amdhsa_system_sgpr_workgroup_id_y 0
		.amdhsa_system_sgpr_workgroup_id_z 0
		.amdhsa_system_sgpr_workgroup_info 0
		.amdhsa_system_vgpr_workitem_id 0
		.amdhsa_next_free_vgpr 63
		.amdhsa_next_free_sgpr 87
		.amdhsa_accum_offset 64
		.amdhsa_reserve_vcc 1
		.amdhsa_float_round_mode_32 0
		.amdhsa_float_round_mode_16_64 0
		.amdhsa_float_denorm_mode_32 3
		.amdhsa_float_denorm_mode_16_64 3
		.amdhsa_dx10_clamp 1
		.amdhsa_ieee_mode 1
		.amdhsa_fp16_overflow 0
		.amdhsa_tg_split 0
		.amdhsa_exception_fp_ieee_invalid_op 0
		.amdhsa_exception_fp_denorm_src 0
		.amdhsa_exception_fp_ieee_div_zero 0
		.amdhsa_exception_fp_ieee_overflow 0
		.amdhsa_exception_fp_ieee_underflow 0
		.amdhsa_exception_fp_ieee_inexact 0
		.amdhsa_exception_int_div_zero 0
	.end_amdhsa_kernel
	.section	.text._ZN7rocprim17ROCPRIM_400000_NS6detail17trampoline_kernelINS0_14default_configENS1_27scan_by_key_config_selectorIssEEZZNS1_16scan_by_key_implILNS1_25lookback_scan_determinismE0ELb0ES3_N6thrust23THRUST_200600_302600_NS6detail15normal_iteratorINS9_10device_ptrIsEEEESE_SE_sNS9_4plusIvEENS9_8equal_toIvEEsEE10hipError_tPvRmT2_T3_T4_T5_mT6_T7_P12ihipStream_tbENKUlT_T0_E_clISt17integral_constantIbLb1EESZ_EEDaSU_SV_EUlSU_E_NS1_11comp_targetILNS1_3genE5ELNS1_11target_archE942ELNS1_3gpuE9ELNS1_3repE0EEENS1_30default_config_static_selectorELNS0_4arch9wavefront6targetE1EEEvT1_,"axG",@progbits,_ZN7rocprim17ROCPRIM_400000_NS6detail17trampoline_kernelINS0_14default_configENS1_27scan_by_key_config_selectorIssEEZZNS1_16scan_by_key_implILNS1_25lookback_scan_determinismE0ELb0ES3_N6thrust23THRUST_200600_302600_NS6detail15normal_iteratorINS9_10device_ptrIsEEEESE_SE_sNS9_4plusIvEENS9_8equal_toIvEEsEE10hipError_tPvRmT2_T3_T4_T5_mT6_T7_P12ihipStream_tbENKUlT_T0_E_clISt17integral_constantIbLb1EESZ_EEDaSU_SV_EUlSU_E_NS1_11comp_targetILNS1_3genE5ELNS1_11target_archE942ELNS1_3gpuE9ELNS1_3repE0EEENS1_30default_config_static_selectorELNS0_4arch9wavefront6targetE1EEEvT1_,comdat
.Lfunc_end252:
	.size	_ZN7rocprim17ROCPRIM_400000_NS6detail17trampoline_kernelINS0_14default_configENS1_27scan_by_key_config_selectorIssEEZZNS1_16scan_by_key_implILNS1_25lookback_scan_determinismE0ELb0ES3_N6thrust23THRUST_200600_302600_NS6detail15normal_iteratorINS9_10device_ptrIsEEEESE_SE_sNS9_4plusIvEENS9_8equal_toIvEEsEE10hipError_tPvRmT2_T3_T4_T5_mT6_T7_P12ihipStream_tbENKUlT_T0_E_clISt17integral_constantIbLb1EESZ_EEDaSU_SV_EUlSU_E_NS1_11comp_targetILNS1_3genE5ELNS1_11target_archE942ELNS1_3gpuE9ELNS1_3repE0EEENS1_30default_config_static_selectorELNS0_4arch9wavefront6targetE1EEEvT1_, .Lfunc_end252-_ZN7rocprim17ROCPRIM_400000_NS6detail17trampoline_kernelINS0_14default_configENS1_27scan_by_key_config_selectorIssEEZZNS1_16scan_by_key_implILNS1_25lookback_scan_determinismE0ELb0ES3_N6thrust23THRUST_200600_302600_NS6detail15normal_iteratorINS9_10device_ptrIsEEEESE_SE_sNS9_4plusIvEENS9_8equal_toIvEEsEE10hipError_tPvRmT2_T3_T4_T5_mT6_T7_P12ihipStream_tbENKUlT_T0_E_clISt17integral_constantIbLb1EESZ_EEDaSU_SV_EUlSU_E_NS1_11comp_targetILNS1_3genE5ELNS1_11target_archE942ELNS1_3gpuE9ELNS1_3repE0EEENS1_30default_config_static_selectorELNS0_4arch9wavefront6targetE1EEEvT1_
                                        ; -- End function
	.section	.AMDGPU.csdata,"",@progbits
; Kernel info:
; codeLenInByte = 16368
; NumSgprs: 93
; NumVgprs: 63
; NumAgprs: 0
; TotalNumVgprs: 63
; ScratchSize: 0
; MemoryBound: 0
; FloatMode: 240
; IeeeMode: 1
; LDSByteSize: 13312 bytes/workgroup (compile time only)
; SGPRBlocks: 11
; VGPRBlocks: 7
; NumSGPRsForWavesPerEU: 93
; NumVGPRsForWavesPerEU: 63
; AccumOffset: 64
; Occupancy: 4
; WaveLimiterHint : 1
; COMPUTE_PGM_RSRC2:SCRATCH_EN: 0
; COMPUTE_PGM_RSRC2:USER_SGPR: 2
; COMPUTE_PGM_RSRC2:TRAP_HANDLER: 0
; COMPUTE_PGM_RSRC2:TGID_X_EN: 1
; COMPUTE_PGM_RSRC2:TGID_Y_EN: 0
; COMPUTE_PGM_RSRC2:TGID_Z_EN: 0
; COMPUTE_PGM_RSRC2:TIDIG_COMP_CNT: 0
; COMPUTE_PGM_RSRC3_GFX90A:ACCUM_OFFSET: 15
; COMPUTE_PGM_RSRC3_GFX90A:TG_SPLIT: 0
	.section	.text._ZN7rocprim17ROCPRIM_400000_NS6detail17trampoline_kernelINS0_14default_configENS1_27scan_by_key_config_selectorIssEEZZNS1_16scan_by_key_implILNS1_25lookback_scan_determinismE0ELb0ES3_N6thrust23THRUST_200600_302600_NS6detail15normal_iteratorINS9_10device_ptrIsEEEESE_SE_sNS9_4plusIvEENS9_8equal_toIvEEsEE10hipError_tPvRmT2_T3_T4_T5_mT6_T7_P12ihipStream_tbENKUlT_T0_E_clISt17integral_constantIbLb1EESZ_EEDaSU_SV_EUlSU_E_NS1_11comp_targetILNS1_3genE4ELNS1_11target_archE910ELNS1_3gpuE8ELNS1_3repE0EEENS1_30default_config_static_selectorELNS0_4arch9wavefront6targetE1EEEvT1_,"axG",@progbits,_ZN7rocprim17ROCPRIM_400000_NS6detail17trampoline_kernelINS0_14default_configENS1_27scan_by_key_config_selectorIssEEZZNS1_16scan_by_key_implILNS1_25lookback_scan_determinismE0ELb0ES3_N6thrust23THRUST_200600_302600_NS6detail15normal_iteratorINS9_10device_ptrIsEEEESE_SE_sNS9_4plusIvEENS9_8equal_toIvEEsEE10hipError_tPvRmT2_T3_T4_T5_mT6_T7_P12ihipStream_tbENKUlT_T0_E_clISt17integral_constantIbLb1EESZ_EEDaSU_SV_EUlSU_E_NS1_11comp_targetILNS1_3genE4ELNS1_11target_archE910ELNS1_3gpuE8ELNS1_3repE0EEENS1_30default_config_static_selectorELNS0_4arch9wavefront6targetE1EEEvT1_,comdat
	.protected	_ZN7rocprim17ROCPRIM_400000_NS6detail17trampoline_kernelINS0_14default_configENS1_27scan_by_key_config_selectorIssEEZZNS1_16scan_by_key_implILNS1_25lookback_scan_determinismE0ELb0ES3_N6thrust23THRUST_200600_302600_NS6detail15normal_iteratorINS9_10device_ptrIsEEEESE_SE_sNS9_4plusIvEENS9_8equal_toIvEEsEE10hipError_tPvRmT2_T3_T4_T5_mT6_T7_P12ihipStream_tbENKUlT_T0_E_clISt17integral_constantIbLb1EESZ_EEDaSU_SV_EUlSU_E_NS1_11comp_targetILNS1_3genE4ELNS1_11target_archE910ELNS1_3gpuE8ELNS1_3repE0EEENS1_30default_config_static_selectorELNS0_4arch9wavefront6targetE1EEEvT1_ ; -- Begin function _ZN7rocprim17ROCPRIM_400000_NS6detail17trampoline_kernelINS0_14default_configENS1_27scan_by_key_config_selectorIssEEZZNS1_16scan_by_key_implILNS1_25lookback_scan_determinismE0ELb0ES3_N6thrust23THRUST_200600_302600_NS6detail15normal_iteratorINS9_10device_ptrIsEEEESE_SE_sNS9_4plusIvEENS9_8equal_toIvEEsEE10hipError_tPvRmT2_T3_T4_T5_mT6_T7_P12ihipStream_tbENKUlT_T0_E_clISt17integral_constantIbLb1EESZ_EEDaSU_SV_EUlSU_E_NS1_11comp_targetILNS1_3genE4ELNS1_11target_archE910ELNS1_3gpuE8ELNS1_3repE0EEENS1_30default_config_static_selectorELNS0_4arch9wavefront6targetE1EEEvT1_
	.globl	_ZN7rocprim17ROCPRIM_400000_NS6detail17trampoline_kernelINS0_14default_configENS1_27scan_by_key_config_selectorIssEEZZNS1_16scan_by_key_implILNS1_25lookback_scan_determinismE0ELb0ES3_N6thrust23THRUST_200600_302600_NS6detail15normal_iteratorINS9_10device_ptrIsEEEESE_SE_sNS9_4plusIvEENS9_8equal_toIvEEsEE10hipError_tPvRmT2_T3_T4_T5_mT6_T7_P12ihipStream_tbENKUlT_T0_E_clISt17integral_constantIbLb1EESZ_EEDaSU_SV_EUlSU_E_NS1_11comp_targetILNS1_3genE4ELNS1_11target_archE910ELNS1_3gpuE8ELNS1_3repE0EEENS1_30default_config_static_selectorELNS0_4arch9wavefront6targetE1EEEvT1_
	.p2align	8
	.type	_ZN7rocprim17ROCPRIM_400000_NS6detail17trampoline_kernelINS0_14default_configENS1_27scan_by_key_config_selectorIssEEZZNS1_16scan_by_key_implILNS1_25lookback_scan_determinismE0ELb0ES3_N6thrust23THRUST_200600_302600_NS6detail15normal_iteratorINS9_10device_ptrIsEEEESE_SE_sNS9_4plusIvEENS9_8equal_toIvEEsEE10hipError_tPvRmT2_T3_T4_T5_mT6_T7_P12ihipStream_tbENKUlT_T0_E_clISt17integral_constantIbLb1EESZ_EEDaSU_SV_EUlSU_E_NS1_11comp_targetILNS1_3genE4ELNS1_11target_archE910ELNS1_3gpuE8ELNS1_3repE0EEENS1_30default_config_static_selectorELNS0_4arch9wavefront6targetE1EEEvT1_,@function
_ZN7rocprim17ROCPRIM_400000_NS6detail17trampoline_kernelINS0_14default_configENS1_27scan_by_key_config_selectorIssEEZZNS1_16scan_by_key_implILNS1_25lookback_scan_determinismE0ELb0ES3_N6thrust23THRUST_200600_302600_NS6detail15normal_iteratorINS9_10device_ptrIsEEEESE_SE_sNS9_4plusIvEENS9_8equal_toIvEEsEE10hipError_tPvRmT2_T3_T4_T5_mT6_T7_P12ihipStream_tbENKUlT_T0_E_clISt17integral_constantIbLb1EESZ_EEDaSU_SV_EUlSU_E_NS1_11comp_targetILNS1_3genE4ELNS1_11target_archE910ELNS1_3gpuE8ELNS1_3repE0EEENS1_30default_config_static_selectorELNS0_4arch9wavefront6targetE1EEEvT1_: ; @_ZN7rocprim17ROCPRIM_400000_NS6detail17trampoline_kernelINS0_14default_configENS1_27scan_by_key_config_selectorIssEEZZNS1_16scan_by_key_implILNS1_25lookback_scan_determinismE0ELb0ES3_N6thrust23THRUST_200600_302600_NS6detail15normal_iteratorINS9_10device_ptrIsEEEESE_SE_sNS9_4plusIvEENS9_8equal_toIvEEsEE10hipError_tPvRmT2_T3_T4_T5_mT6_T7_P12ihipStream_tbENKUlT_T0_E_clISt17integral_constantIbLb1EESZ_EEDaSU_SV_EUlSU_E_NS1_11comp_targetILNS1_3genE4ELNS1_11target_archE910ELNS1_3gpuE8ELNS1_3repE0EEENS1_30default_config_static_selectorELNS0_4arch9wavefront6targetE1EEEvT1_
; %bb.0:
	.section	.rodata,"a",@progbits
	.p2align	6, 0x0
	.amdhsa_kernel _ZN7rocprim17ROCPRIM_400000_NS6detail17trampoline_kernelINS0_14default_configENS1_27scan_by_key_config_selectorIssEEZZNS1_16scan_by_key_implILNS1_25lookback_scan_determinismE0ELb0ES3_N6thrust23THRUST_200600_302600_NS6detail15normal_iteratorINS9_10device_ptrIsEEEESE_SE_sNS9_4plusIvEENS9_8equal_toIvEEsEE10hipError_tPvRmT2_T3_T4_T5_mT6_T7_P12ihipStream_tbENKUlT_T0_E_clISt17integral_constantIbLb1EESZ_EEDaSU_SV_EUlSU_E_NS1_11comp_targetILNS1_3genE4ELNS1_11target_archE910ELNS1_3gpuE8ELNS1_3repE0EEENS1_30default_config_static_selectorELNS0_4arch9wavefront6targetE1EEEvT1_
		.amdhsa_group_segment_fixed_size 0
		.amdhsa_private_segment_fixed_size 0
		.amdhsa_kernarg_size 112
		.amdhsa_user_sgpr_count 2
		.amdhsa_user_sgpr_dispatch_ptr 0
		.amdhsa_user_sgpr_queue_ptr 0
		.amdhsa_user_sgpr_kernarg_segment_ptr 1
		.amdhsa_user_sgpr_dispatch_id 0
		.amdhsa_user_sgpr_kernarg_preload_length 0
		.amdhsa_user_sgpr_kernarg_preload_offset 0
		.amdhsa_user_sgpr_private_segment_size 0
		.amdhsa_uses_dynamic_stack 0
		.amdhsa_enable_private_segment 0
		.amdhsa_system_sgpr_workgroup_id_x 1
		.amdhsa_system_sgpr_workgroup_id_y 0
		.amdhsa_system_sgpr_workgroup_id_z 0
		.amdhsa_system_sgpr_workgroup_info 0
		.amdhsa_system_vgpr_workitem_id 0
		.amdhsa_next_free_vgpr 1
		.amdhsa_next_free_sgpr 0
		.amdhsa_accum_offset 4
		.amdhsa_reserve_vcc 0
		.amdhsa_float_round_mode_32 0
		.amdhsa_float_round_mode_16_64 0
		.amdhsa_float_denorm_mode_32 3
		.amdhsa_float_denorm_mode_16_64 3
		.amdhsa_dx10_clamp 1
		.amdhsa_ieee_mode 1
		.amdhsa_fp16_overflow 0
		.amdhsa_tg_split 0
		.amdhsa_exception_fp_ieee_invalid_op 0
		.amdhsa_exception_fp_denorm_src 0
		.amdhsa_exception_fp_ieee_div_zero 0
		.amdhsa_exception_fp_ieee_overflow 0
		.amdhsa_exception_fp_ieee_underflow 0
		.amdhsa_exception_fp_ieee_inexact 0
		.amdhsa_exception_int_div_zero 0
	.end_amdhsa_kernel
	.section	.text._ZN7rocprim17ROCPRIM_400000_NS6detail17trampoline_kernelINS0_14default_configENS1_27scan_by_key_config_selectorIssEEZZNS1_16scan_by_key_implILNS1_25lookback_scan_determinismE0ELb0ES3_N6thrust23THRUST_200600_302600_NS6detail15normal_iteratorINS9_10device_ptrIsEEEESE_SE_sNS9_4plusIvEENS9_8equal_toIvEEsEE10hipError_tPvRmT2_T3_T4_T5_mT6_T7_P12ihipStream_tbENKUlT_T0_E_clISt17integral_constantIbLb1EESZ_EEDaSU_SV_EUlSU_E_NS1_11comp_targetILNS1_3genE4ELNS1_11target_archE910ELNS1_3gpuE8ELNS1_3repE0EEENS1_30default_config_static_selectorELNS0_4arch9wavefront6targetE1EEEvT1_,"axG",@progbits,_ZN7rocprim17ROCPRIM_400000_NS6detail17trampoline_kernelINS0_14default_configENS1_27scan_by_key_config_selectorIssEEZZNS1_16scan_by_key_implILNS1_25lookback_scan_determinismE0ELb0ES3_N6thrust23THRUST_200600_302600_NS6detail15normal_iteratorINS9_10device_ptrIsEEEESE_SE_sNS9_4plusIvEENS9_8equal_toIvEEsEE10hipError_tPvRmT2_T3_T4_T5_mT6_T7_P12ihipStream_tbENKUlT_T0_E_clISt17integral_constantIbLb1EESZ_EEDaSU_SV_EUlSU_E_NS1_11comp_targetILNS1_3genE4ELNS1_11target_archE910ELNS1_3gpuE8ELNS1_3repE0EEENS1_30default_config_static_selectorELNS0_4arch9wavefront6targetE1EEEvT1_,comdat
.Lfunc_end253:
	.size	_ZN7rocprim17ROCPRIM_400000_NS6detail17trampoline_kernelINS0_14default_configENS1_27scan_by_key_config_selectorIssEEZZNS1_16scan_by_key_implILNS1_25lookback_scan_determinismE0ELb0ES3_N6thrust23THRUST_200600_302600_NS6detail15normal_iteratorINS9_10device_ptrIsEEEESE_SE_sNS9_4plusIvEENS9_8equal_toIvEEsEE10hipError_tPvRmT2_T3_T4_T5_mT6_T7_P12ihipStream_tbENKUlT_T0_E_clISt17integral_constantIbLb1EESZ_EEDaSU_SV_EUlSU_E_NS1_11comp_targetILNS1_3genE4ELNS1_11target_archE910ELNS1_3gpuE8ELNS1_3repE0EEENS1_30default_config_static_selectorELNS0_4arch9wavefront6targetE1EEEvT1_, .Lfunc_end253-_ZN7rocprim17ROCPRIM_400000_NS6detail17trampoline_kernelINS0_14default_configENS1_27scan_by_key_config_selectorIssEEZZNS1_16scan_by_key_implILNS1_25lookback_scan_determinismE0ELb0ES3_N6thrust23THRUST_200600_302600_NS6detail15normal_iteratorINS9_10device_ptrIsEEEESE_SE_sNS9_4plusIvEENS9_8equal_toIvEEsEE10hipError_tPvRmT2_T3_T4_T5_mT6_T7_P12ihipStream_tbENKUlT_T0_E_clISt17integral_constantIbLb1EESZ_EEDaSU_SV_EUlSU_E_NS1_11comp_targetILNS1_3genE4ELNS1_11target_archE910ELNS1_3gpuE8ELNS1_3repE0EEENS1_30default_config_static_selectorELNS0_4arch9wavefront6targetE1EEEvT1_
                                        ; -- End function
	.section	.AMDGPU.csdata,"",@progbits
; Kernel info:
; codeLenInByte = 0
; NumSgprs: 6
; NumVgprs: 0
; NumAgprs: 0
; TotalNumVgprs: 0
; ScratchSize: 0
; MemoryBound: 0
; FloatMode: 240
; IeeeMode: 1
; LDSByteSize: 0 bytes/workgroup (compile time only)
; SGPRBlocks: 0
; VGPRBlocks: 0
; NumSGPRsForWavesPerEU: 6
; NumVGPRsForWavesPerEU: 1
; AccumOffset: 4
; Occupancy: 8
; WaveLimiterHint : 0
; COMPUTE_PGM_RSRC2:SCRATCH_EN: 0
; COMPUTE_PGM_RSRC2:USER_SGPR: 2
; COMPUTE_PGM_RSRC2:TRAP_HANDLER: 0
; COMPUTE_PGM_RSRC2:TGID_X_EN: 1
; COMPUTE_PGM_RSRC2:TGID_Y_EN: 0
; COMPUTE_PGM_RSRC2:TGID_Z_EN: 0
; COMPUTE_PGM_RSRC2:TIDIG_COMP_CNT: 0
; COMPUTE_PGM_RSRC3_GFX90A:ACCUM_OFFSET: 0
; COMPUTE_PGM_RSRC3_GFX90A:TG_SPLIT: 0
	.section	.text._ZN7rocprim17ROCPRIM_400000_NS6detail17trampoline_kernelINS0_14default_configENS1_27scan_by_key_config_selectorIssEEZZNS1_16scan_by_key_implILNS1_25lookback_scan_determinismE0ELb0ES3_N6thrust23THRUST_200600_302600_NS6detail15normal_iteratorINS9_10device_ptrIsEEEESE_SE_sNS9_4plusIvEENS9_8equal_toIvEEsEE10hipError_tPvRmT2_T3_T4_T5_mT6_T7_P12ihipStream_tbENKUlT_T0_E_clISt17integral_constantIbLb1EESZ_EEDaSU_SV_EUlSU_E_NS1_11comp_targetILNS1_3genE3ELNS1_11target_archE908ELNS1_3gpuE7ELNS1_3repE0EEENS1_30default_config_static_selectorELNS0_4arch9wavefront6targetE1EEEvT1_,"axG",@progbits,_ZN7rocprim17ROCPRIM_400000_NS6detail17trampoline_kernelINS0_14default_configENS1_27scan_by_key_config_selectorIssEEZZNS1_16scan_by_key_implILNS1_25lookback_scan_determinismE0ELb0ES3_N6thrust23THRUST_200600_302600_NS6detail15normal_iteratorINS9_10device_ptrIsEEEESE_SE_sNS9_4plusIvEENS9_8equal_toIvEEsEE10hipError_tPvRmT2_T3_T4_T5_mT6_T7_P12ihipStream_tbENKUlT_T0_E_clISt17integral_constantIbLb1EESZ_EEDaSU_SV_EUlSU_E_NS1_11comp_targetILNS1_3genE3ELNS1_11target_archE908ELNS1_3gpuE7ELNS1_3repE0EEENS1_30default_config_static_selectorELNS0_4arch9wavefront6targetE1EEEvT1_,comdat
	.protected	_ZN7rocprim17ROCPRIM_400000_NS6detail17trampoline_kernelINS0_14default_configENS1_27scan_by_key_config_selectorIssEEZZNS1_16scan_by_key_implILNS1_25lookback_scan_determinismE0ELb0ES3_N6thrust23THRUST_200600_302600_NS6detail15normal_iteratorINS9_10device_ptrIsEEEESE_SE_sNS9_4plusIvEENS9_8equal_toIvEEsEE10hipError_tPvRmT2_T3_T4_T5_mT6_T7_P12ihipStream_tbENKUlT_T0_E_clISt17integral_constantIbLb1EESZ_EEDaSU_SV_EUlSU_E_NS1_11comp_targetILNS1_3genE3ELNS1_11target_archE908ELNS1_3gpuE7ELNS1_3repE0EEENS1_30default_config_static_selectorELNS0_4arch9wavefront6targetE1EEEvT1_ ; -- Begin function _ZN7rocprim17ROCPRIM_400000_NS6detail17trampoline_kernelINS0_14default_configENS1_27scan_by_key_config_selectorIssEEZZNS1_16scan_by_key_implILNS1_25lookback_scan_determinismE0ELb0ES3_N6thrust23THRUST_200600_302600_NS6detail15normal_iteratorINS9_10device_ptrIsEEEESE_SE_sNS9_4plusIvEENS9_8equal_toIvEEsEE10hipError_tPvRmT2_T3_T4_T5_mT6_T7_P12ihipStream_tbENKUlT_T0_E_clISt17integral_constantIbLb1EESZ_EEDaSU_SV_EUlSU_E_NS1_11comp_targetILNS1_3genE3ELNS1_11target_archE908ELNS1_3gpuE7ELNS1_3repE0EEENS1_30default_config_static_selectorELNS0_4arch9wavefront6targetE1EEEvT1_
	.globl	_ZN7rocprim17ROCPRIM_400000_NS6detail17trampoline_kernelINS0_14default_configENS1_27scan_by_key_config_selectorIssEEZZNS1_16scan_by_key_implILNS1_25lookback_scan_determinismE0ELb0ES3_N6thrust23THRUST_200600_302600_NS6detail15normal_iteratorINS9_10device_ptrIsEEEESE_SE_sNS9_4plusIvEENS9_8equal_toIvEEsEE10hipError_tPvRmT2_T3_T4_T5_mT6_T7_P12ihipStream_tbENKUlT_T0_E_clISt17integral_constantIbLb1EESZ_EEDaSU_SV_EUlSU_E_NS1_11comp_targetILNS1_3genE3ELNS1_11target_archE908ELNS1_3gpuE7ELNS1_3repE0EEENS1_30default_config_static_selectorELNS0_4arch9wavefront6targetE1EEEvT1_
	.p2align	8
	.type	_ZN7rocprim17ROCPRIM_400000_NS6detail17trampoline_kernelINS0_14default_configENS1_27scan_by_key_config_selectorIssEEZZNS1_16scan_by_key_implILNS1_25lookback_scan_determinismE0ELb0ES3_N6thrust23THRUST_200600_302600_NS6detail15normal_iteratorINS9_10device_ptrIsEEEESE_SE_sNS9_4plusIvEENS9_8equal_toIvEEsEE10hipError_tPvRmT2_T3_T4_T5_mT6_T7_P12ihipStream_tbENKUlT_T0_E_clISt17integral_constantIbLb1EESZ_EEDaSU_SV_EUlSU_E_NS1_11comp_targetILNS1_3genE3ELNS1_11target_archE908ELNS1_3gpuE7ELNS1_3repE0EEENS1_30default_config_static_selectorELNS0_4arch9wavefront6targetE1EEEvT1_,@function
_ZN7rocprim17ROCPRIM_400000_NS6detail17trampoline_kernelINS0_14default_configENS1_27scan_by_key_config_selectorIssEEZZNS1_16scan_by_key_implILNS1_25lookback_scan_determinismE0ELb0ES3_N6thrust23THRUST_200600_302600_NS6detail15normal_iteratorINS9_10device_ptrIsEEEESE_SE_sNS9_4plusIvEENS9_8equal_toIvEEsEE10hipError_tPvRmT2_T3_T4_T5_mT6_T7_P12ihipStream_tbENKUlT_T0_E_clISt17integral_constantIbLb1EESZ_EEDaSU_SV_EUlSU_E_NS1_11comp_targetILNS1_3genE3ELNS1_11target_archE908ELNS1_3gpuE7ELNS1_3repE0EEENS1_30default_config_static_selectorELNS0_4arch9wavefront6targetE1EEEvT1_: ; @_ZN7rocprim17ROCPRIM_400000_NS6detail17trampoline_kernelINS0_14default_configENS1_27scan_by_key_config_selectorIssEEZZNS1_16scan_by_key_implILNS1_25lookback_scan_determinismE0ELb0ES3_N6thrust23THRUST_200600_302600_NS6detail15normal_iteratorINS9_10device_ptrIsEEEESE_SE_sNS9_4plusIvEENS9_8equal_toIvEEsEE10hipError_tPvRmT2_T3_T4_T5_mT6_T7_P12ihipStream_tbENKUlT_T0_E_clISt17integral_constantIbLb1EESZ_EEDaSU_SV_EUlSU_E_NS1_11comp_targetILNS1_3genE3ELNS1_11target_archE908ELNS1_3gpuE7ELNS1_3repE0EEENS1_30default_config_static_selectorELNS0_4arch9wavefront6targetE1EEEvT1_
; %bb.0:
	.section	.rodata,"a",@progbits
	.p2align	6, 0x0
	.amdhsa_kernel _ZN7rocprim17ROCPRIM_400000_NS6detail17trampoline_kernelINS0_14default_configENS1_27scan_by_key_config_selectorIssEEZZNS1_16scan_by_key_implILNS1_25lookback_scan_determinismE0ELb0ES3_N6thrust23THRUST_200600_302600_NS6detail15normal_iteratorINS9_10device_ptrIsEEEESE_SE_sNS9_4plusIvEENS9_8equal_toIvEEsEE10hipError_tPvRmT2_T3_T4_T5_mT6_T7_P12ihipStream_tbENKUlT_T0_E_clISt17integral_constantIbLb1EESZ_EEDaSU_SV_EUlSU_E_NS1_11comp_targetILNS1_3genE3ELNS1_11target_archE908ELNS1_3gpuE7ELNS1_3repE0EEENS1_30default_config_static_selectorELNS0_4arch9wavefront6targetE1EEEvT1_
		.amdhsa_group_segment_fixed_size 0
		.amdhsa_private_segment_fixed_size 0
		.amdhsa_kernarg_size 112
		.amdhsa_user_sgpr_count 2
		.amdhsa_user_sgpr_dispatch_ptr 0
		.amdhsa_user_sgpr_queue_ptr 0
		.amdhsa_user_sgpr_kernarg_segment_ptr 1
		.amdhsa_user_sgpr_dispatch_id 0
		.amdhsa_user_sgpr_kernarg_preload_length 0
		.amdhsa_user_sgpr_kernarg_preload_offset 0
		.amdhsa_user_sgpr_private_segment_size 0
		.amdhsa_uses_dynamic_stack 0
		.amdhsa_enable_private_segment 0
		.amdhsa_system_sgpr_workgroup_id_x 1
		.amdhsa_system_sgpr_workgroup_id_y 0
		.amdhsa_system_sgpr_workgroup_id_z 0
		.amdhsa_system_sgpr_workgroup_info 0
		.amdhsa_system_vgpr_workitem_id 0
		.amdhsa_next_free_vgpr 1
		.amdhsa_next_free_sgpr 0
		.amdhsa_accum_offset 4
		.amdhsa_reserve_vcc 0
		.amdhsa_float_round_mode_32 0
		.amdhsa_float_round_mode_16_64 0
		.amdhsa_float_denorm_mode_32 3
		.amdhsa_float_denorm_mode_16_64 3
		.amdhsa_dx10_clamp 1
		.amdhsa_ieee_mode 1
		.amdhsa_fp16_overflow 0
		.amdhsa_tg_split 0
		.amdhsa_exception_fp_ieee_invalid_op 0
		.amdhsa_exception_fp_denorm_src 0
		.amdhsa_exception_fp_ieee_div_zero 0
		.amdhsa_exception_fp_ieee_overflow 0
		.amdhsa_exception_fp_ieee_underflow 0
		.amdhsa_exception_fp_ieee_inexact 0
		.amdhsa_exception_int_div_zero 0
	.end_amdhsa_kernel
	.section	.text._ZN7rocprim17ROCPRIM_400000_NS6detail17trampoline_kernelINS0_14default_configENS1_27scan_by_key_config_selectorIssEEZZNS1_16scan_by_key_implILNS1_25lookback_scan_determinismE0ELb0ES3_N6thrust23THRUST_200600_302600_NS6detail15normal_iteratorINS9_10device_ptrIsEEEESE_SE_sNS9_4plusIvEENS9_8equal_toIvEEsEE10hipError_tPvRmT2_T3_T4_T5_mT6_T7_P12ihipStream_tbENKUlT_T0_E_clISt17integral_constantIbLb1EESZ_EEDaSU_SV_EUlSU_E_NS1_11comp_targetILNS1_3genE3ELNS1_11target_archE908ELNS1_3gpuE7ELNS1_3repE0EEENS1_30default_config_static_selectorELNS0_4arch9wavefront6targetE1EEEvT1_,"axG",@progbits,_ZN7rocprim17ROCPRIM_400000_NS6detail17trampoline_kernelINS0_14default_configENS1_27scan_by_key_config_selectorIssEEZZNS1_16scan_by_key_implILNS1_25lookback_scan_determinismE0ELb0ES3_N6thrust23THRUST_200600_302600_NS6detail15normal_iteratorINS9_10device_ptrIsEEEESE_SE_sNS9_4plusIvEENS9_8equal_toIvEEsEE10hipError_tPvRmT2_T3_T4_T5_mT6_T7_P12ihipStream_tbENKUlT_T0_E_clISt17integral_constantIbLb1EESZ_EEDaSU_SV_EUlSU_E_NS1_11comp_targetILNS1_3genE3ELNS1_11target_archE908ELNS1_3gpuE7ELNS1_3repE0EEENS1_30default_config_static_selectorELNS0_4arch9wavefront6targetE1EEEvT1_,comdat
.Lfunc_end254:
	.size	_ZN7rocprim17ROCPRIM_400000_NS6detail17trampoline_kernelINS0_14default_configENS1_27scan_by_key_config_selectorIssEEZZNS1_16scan_by_key_implILNS1_25lookback_scan_determinismE0ELb0ES3_N6thrust23THRUST_200600_302600_NS6detail15normal_iteratorINS9_10device_ptrIsEEEESE_SE_sNS9_4plusIvEENS9_8equal_toIvEEsEE10hipError_tPvRmT2_T3_T4_T5_mT6_T7_P12ihipStream_tbENKUlT_T0_E_clISt17integral_constantIbLb1EESZ_EEDaSU_SV_EUlSU_E_NS1_11comp_targetILNS1_3genE3ELNS1_11target_archE908ELNS1_3gpuE7ELNS1_3repE0EEENS1_30default_config_static_selectorELNS0_4arch9wavefront6targetE1EEEvT1_, .Lfunc_end254-_ZN7rocprim17ROCPRIM_400000_NS6detail17trampoline_kernelINS0_14default_configENS1_27scan_by_key_config_selectorIssEEZZNS1_16scan_by_key_implILNS1_25lookback_scan_determinismE0ELb0ES3_N6thrust23THRUST_200600_302600_NS6detail15normal_iteratorINS9_10device_ptrIsEEEESE_SE_sNS9_4plusIvEENS9_8equal_toIvEEsEE10hipError_tPvRmT2_T3_T4_T5_mT6_T7_P12ihipStream_tbENKUlT_T0_E_clISt17integral_constantIbLb1EESZ_EEDaSU_SV_EUlSU_E_NS1_11comp_targetILNS1_3genE3ELNS1_11target_archE908ELNS1_3gpuE7ELNS1_3repE0EEENS1_30default_config_static_selectorELNS0_4arch9wavefront6targetE1EEEvT1_
                                        ; -- End function
	.section	.AMDGPU.csdata,"",@progbits
; Kernel info:
; codeLenInByte = 0
; NumSgprs: 6
; NumVgprs: 0
; NumAgprs: 0
; TotalNumVgprs: 0
; ScratchSize: 0
; MemoryBound: 0
; FloatMode: 240
; IeeeMode: 1
; LDSByteSize: 0 bytes/workgroup (compile time only)
; SGPRBlocks: 0
; VGPRBlocks: 0
; NumSGPRsForWavesPerEU: 6
; NumVGPRsForWavesPerEU: 1
; AccumOffset: 4
; Occupancy: 8
; WaveLimiterHint : 0
; COMPUTE_PGM_RSRC2:SCRATCH_EN: 0
; COMPUTE_PGM_RSRC2:USER_SGPR: 2
; COMPUTE_PGM_RSRC2:TRAP_HANDLER: 0
; COMPUTE_PGM_RSRC2:TGID_X_EN: 1
; COMPUTE_PGM_RSRC2:TGID_Y_EN: 0
; COMPUTE_PGM_RSRC2:TGID_Z_EN: 0
; COMPUTE_PGM_RSRC2:TIDIG_COMP_CNT: 0
; COMPUTE_PGM_RSRC3_GFX90A:ACCUM_OFFSET: 0
; COMPUTE_PGM_RSRC3_GFX90A:TG_SPLIT: 0
	.section	.text._ZN7rocprim17ROCPRIM_400000_NS6detail17trampoline_kernelINS0_14default_configENS1_27scan_by_key_config_selectorIssEEZZNS1_16scan_by_key_implILNS1_25lookback_scan_determinismE0ELb0ES3_N6thrust23THRUST_200600_302600_NS6detail15normal_iteratorINS9_10device_ptrIsEEEESE_SE_sNS9_4plusIvEENS9_8equal_toIvEEsEE10hipError_tPvRmT2_T3_T4_T5_mT6_T7_P12ihipStream_tbENKUlT_T0_E_clISt17integral_constantIbLb1EESZ_EEDaSU_SV_EUlSU_E_NS1_11comp_targetILNS1_3genE2ELNS1_11target_archE906ELNS1_3gpuE6ELNS1_3repE0EEENS1_30default_config_static_selectorELNS0_4arch9wavefront6targetE1EEEvT1_,"axG",@progbits,_ZN7rocprim17ROCPRIM_400000_NS6detail17trampoline_kernelINS0_14default_configENS1_27scan_by_key_config_selectorIssEEZZNS1_16scan_by_key_implILNS1_25lookback_scan_determinismE0ELb0ES3_N6thrust23THRUST_200600_302600_NS6detail15normal_iteratorINS9_10device_ptrIsEEEESE_SE_sNS9_4plusIvEENS9_8equal_toIvEEsEE10hipError_tPvRmT2_T3_T4_T5_mT6_T7_P12ihipStream_tbENKUlT_T0_E_clISt17integral_constantIbLb1EESZ_EEDaSU_SV_EUlSU_E_NS1_11comp_targetILNS1_3genE2ELNS1_11target_archE906ELNS1_3gpuE6ELNS1_3repE0EEENS1_30default_config_static_selectorELNS0_4arch9wavefront6targetE1EEEvT1_,comdat
	.protected	_ZN7rocprim17ROCPRIM_400000_NS6detail17trampoline_kernelINS0_14default_configENS1_27scan_by_key_config_selectorIssEEZZNS1_16scan_by_key_implILNS1_25lookback_scan_determinismE0ELb0ES3_N6thrust23THRUST_200600_302600_NS6detail15normal_iteratorINS9_10device_ptrIsEEEESE_SE_sNS9_4plusIvEENS9_8equal_toIvEEsEE10hipError_tPvRmT2_T3_T4_T5_mT6_T7_P12ihipStream_tbENKUlT_T0_E_clISt17integral_constantIbLb1EESZ_EEDaSU_SV_EUlSU_E_NS1_11comp_targetILNS1_3genE2ELNS1_11target_archE906ELNS1_3gpuE6ELNS1_3repE0EEENS1_30default_config_static_selectorELNS0_4arch9wavefront6targetE1EEEvT1_ ; -- Begin function _ZN7rocprim17ROCPRIM_400000_NS6detail17trampoline_kernelINS0_14default_configENS1_27scan_by_key_config_selectorIssEEZZNS1_16scan_by_key_implILNS1_25lookback_scan_determinismE0ELb0ES3_N6thrust23THRUST_200600_302600_NS6detail15normal_iteratorINS9_10device_ptrIsEEEESE_SE_sNS9_4plusIvEENS9_8equal_toIvEEsEE10hipError_tPvRmT2_T3_T4_T5_mT6_T7_P12ihipStream_tbENKUlT_T0_E_clISt17integral_constantIbLb1EESZ_EEDaSU_SV_EUlSU_E_NS1_11comp_targetILNS1_3genE2ELNS1_11target_archE906ELNS1_3gpuE6ELNS1_3repE0EEENS1_30default_config_static_selectorELNS0_4arch9wavefront6targetE1EEEvT1_
	.globl	_ZN7rocprim17ROCPRIM_400000_NS6detail17trampoline_kernelINS0_14default_configENS1_27scan_by_key_config_selectorIssEEZZNS1_16scan_by_key_implILNS1_25lookback_scan_determinismE0ELb0ES3_N6thrust23THRUST_200600_302600_NS6detail15normal_iteratorINS9_10device_ptrIsEEEESE_SE_sNS9_4plusIvEENS9_8equal_toIvEEsEE10hipError_tPvRmT2_T3_T4_T5_mT6_T7_P12ihipStream_tbENKUlT_T0_E_clISt17integral_constantIbLb1EESZ_EEDaSU_SV_EUlSU_E_NS1_11comp_targetILNS1_3genE2ELNS1_11target_archE906ELNS1_3gpuE6ELNS1_3repE0EEENS1_30default_config_static_selectorELNS0_4arch9wavefront6targetE1EEEvT1_
	.p2align	8
	.type	_ZN7rocprim17ROCPRIM_400000_NS6detail17trampoline_kernelINS0_14default_configENS1_27scan_by_key_config_selectorIssEEZZNS1_16scan_by_key_implILNS1_25lookback_scan_determinismE0ELb0ES3_N6thrust23THRUST_200600_302600_NS6detail15normal_iteratorINS9_10device_ptrIsEEEESE_SE_sNS9_4plusIvEENS9_8equal_toIvEEsEE10hipError_tPvRmT2_T3_T4_T5_mT6_T7_P12ihipStream_tbENKUlT_T0_E_clISt17integral_constantIbLb1EESZ_EEDaSU_SV_EUlSU_E_NS1_11comp_targetILNS1_3genE2ELNS1_11target_archE906ELNS1_3gpuE6ELNS1_3repE0EEENS1_30default_config_static_selectorELNS0_4arch9wavefront6targetE1EEEvT1_,@function
_ZN7rocprim17ROCPRIM_400000_NS6detail17trampoline_kernelINS0_14default_configENS1_27scan_by_key_config_selectorIssEEZZNS1_16scan_by_key_implILNS1_25lookback_scan_determinismE0ELb0ES3_N6thrust23THRUST_200600_302600_NS6detail15normal_iteratorINS9_10device_ptrIsEEEESE_SE_sNS9_4plusIvEENS9_8equal_toIvEEsEE10hipError_tPvRmT2_T3_T4_T5_mT6_T7_P12ihipStream_tbENKUlT_T0_E_clISt17integral_constantIbLb1EESZ_EEDaSU_SV_EUlSU_E_NS1_11comp_targetILNS1_3genE2ELNS1_11target_archE906ELNS1_3gpuE6ELNS1_3repE0EEENS1_30default_config_static_selectorELNS0_4arch9wavefront6targetE1EEEvT1_: ; @_ZN7rocprim17ROCPRIM_400000_NS6detail17trampoline_kernelINS0_14default_configENS1_27scan_by_key_config_selectorIssEEZZNS1_16scan_by_key_implILNS1_25lookback_scan_determinismE0ELb0ES3_N6thrust23THRUST_200600_302600_NS6detail15normal_iteratorINS9_10device_ptrIsEEEESE_SE_sNS9_4plusIvEENS9_8equal_toIvEEsEE10hipError_tPvRmT2_T3_T4_T5_mT6_T7_P12ihipStream_tbENKUlT_T0_E_clISt17integral_constantIbLb1EESZ_EEDaSU_SV_EUlSU_E_NS1_11comp_targetILNS1_3genE2ELNS1_11target_archE906ELNS1_3gpuE6ELNS1_3repE0EEENS1_30default_config_static_selectorELNS0_4arch9wavefront6targetE1EEEvT1_
; %bb.0:
	.section	.rodata,"a",@progbits
	.p2align	6, 0x0
	.amdhsa_kernel _ZN7rocprim17ROCPRIM_400000_NS6detail17trampoline_kernelINS0_14default_configENS1_27scan_by_key_config_selectorIssEEZZNS1_16scan_by_key_implILNS1_25lookback_scan_determinismE0ELb0ES3_N6thrust23THRUST_200600_302600_NS6detail15normal_iteratorINS9_10device_ptrIsEEEESE_SE_sNS9_4plusIvEENS9_8equal_toIvEEsEE10hipError_tPvRmT2_T3_T4_T5_mT6_T7_P12ihipStream_tbENKUlT_T0_E_clISt17integral_constantIbLb1EESZ_EEDaSU_SV_EUlSU_E_NS1_11comp_targetILNS1_3genE2ELNS1_11target_archE906ELNS1_3gpuE6ELNS1_3repE0EEENS1_30default_config_static_selectorELNS0_4arch9wavefront6targetE1EEEvT1_
		.amdhsa_group_segment_fixed_size 0
		.amdhsa_private_segment_fixed_size 0
		.amdhsa_kernarg_size 112
		.amdhsa_user_sgpr_count 2
		.amdhsa_user_sgpr_dispatch_ptr 0
		.amdhsa_user_sgpr_queue_ptr 0
		.amdhsa_user_sgpr_kernarg_segment_ptr 1
		.amdhsa_user_sgpr_dispatch_id 0
		.amdhsa_user_sgpr_kernarg_preload_length 0
		.amdhsa_user_sgpr_kernarg_preload_offset 0
		.amdhsa_user_sgpr_private_segment_size 0
		.amdhsa_uses_dynamic_stack 0
		.amdhsa_enable_private_segment 0
		.amdhsa_system_sgpr_workgroup_id_x 1
		.amdhsa_system_sgpr_workgroup_id_y 0
		.amdhsa_system_sgpr_workgroup_id_z 0
		.amdhsa_system_sgpr_workgroup_info 0
		.amdhsa_system_vgpr_workitem_id 0
		.amdhsa_next_free_vgpr 1
		.amdhsa_next_free_sgpr 0
		.amdhsa_accum_offset 4
		.amdhsa_reserve_vcc 0
		.amdhsa_float_round_mode_32 0
		.amdhsa_float_round_mode_16_64 0
		.amdhsa_float_denorm_mode_32 3
		.amdhsa_float_denorm_mode_16_64 3
		.amdhsa_dx10_clamp 1
		.amdhsa_ieee_mode 1
		.amdhsa_fp16_overflow 0
		.amdhsa_tg_split 0
		.amdhsa_exception_fp_ieee_invalid_op 0
		.amdhsa_exception_fp_denorm_src 0
		.amdhsa_exception_fp_ieee_div_zero 0
		.amdhsa_exception_fp_ieee_overflow 0
		.amdhsa_exception_fp_ieee_underflow 0
		.amdhsa_exception_fp_ieee_inexact 0
		.amdhsa_exception_int_div_zero 0
	.end_amdhsa_kernel
	.section	.text._ZN7rocprim17ROCPRIM_400000_NS6detail17trampoline_kernelINS0_14default_configENS1_27scan_by_key_config_selectorIssEEZZNS1_16scan_by_key_implILNS1_25lookback_scan_determinismE0ELb0ES3_N6thrust23THRUST_200600_302600_NS6detail15normal_iteratorINS9_10device_ptrIsEEEESE_SE_sNS9_4plusIvEENS9_8equal_toIvEEsEE10hipError_tPvRmT2_T3_T4_T5_mT6_T7_P12ihipStream_tbENKUlT_T0_E_clISt17integral_constantIbLb1EESZ_EEDaSU_SV_EUlSU_E_NS1_11comp_targetILNS1_3genE2ELNS1_11target_archE906ELNS1_3gpuE6ELNS1_3repE0EEENS1_30default_config_static_selectorELNS0_4arch9wavefront6targetE1EEEvT1_,"axG",@progbits,_ZN7rocprim17ROCPRIM_400000_NS6detail17trampoline_kernelINS0_14default_configENS1_27scan_by_key_config_selectorIssEEZZNS1_16scan_by_key_implILNS1_25lookback_scan_determinismE0ELb0ES3_N6thrust23THRUST_200600_302600_NS6detail15normal_iteratorINS9_10device_ptrIsEEEESE_SE_sNS9_4plusIvEENS9_8equal_toIvEEsEE10hipError_tPvRmT2_T3_T4_T5_mT6_T7_P12ihipStream_tbENKUlT_T0_E_clISt17integral_constantIbLb1EESZ_EEDaSU_SV_EUlSU_E_NS1_11comp_targetILNS1_3genE2ELNS1_11target_archE906ELNS1_3gpuE6ELNS1_3repE0EEENS1_30default_config_static_selectorELNS0_4arch9wavefront6targetE1EEEvT1_,comdat
.Lfunc_end255:
	.size	_ZN7rocprim17ROCPRIM_400000_NS6detail17trampoline_kernelINS0_14default_configENS1_27scan_by_key_config_selectorIssEEZZNS1_16scan_by_key_implILNS1_25lookback_scan_determinismE0ELb0ES3_N6thrust23THRUST_200600_302600_NS6detail15normal_iteratorINS9_10device_ptrIsEEEESE_SE_sNS9_4plusIvEENS9_8equal_toIvEEsEE10hipError_tPvRmT2_T3_T4_T5_mT6_T7_P12ihipStream_tbENKUlT_T0_E_clISt17integral_constantIbLb1EESZ_EEDaSU_SV_EUlSU_E_NS1_11comp_targetILNS1_3genE2ELNS1_11target_archE906ELNS1_3gpuE6ELNS1_3repE0EEENS1_30default_config_static_selectorELNS0_4arch9wavefront6targetE1EEEvT1_, .Lfunc_end255-_ZN7rocprim17ROCPRIM_400000_NS6detail17trampoline_kernelINS0_14default_configENS1_27scan_by_key_config_selectorIssEEZZNS1_16scan_by_key_implILNS1_25lookback_scan_determinismE0ELb0ES3_N6thrust23THRUST_200600_302600_NS6detail15normal_iteratorINS9_10device_ptrIsEEEESE_SE_sNS9_4plusIvEENS9_8equal_toIvEEsEE10hipError_tPvRmT2_T3_T4_T5_mT6_T7_P12ihipStream_tbENKUlT_T0_E_clISt17integral_constantIbLb1EESZ_EEDaSU_SV_EUlSU_E_NS1_11comp_targetILNS1_3genE2ELNS1_11target_archE906ELNS1_3gpuE6ELNS1_3repE0EEENS1_30default_config_static_selectorELNS0_4arch9wavefront6targetE1EEEvT1_
                                        ; -- End function
	.section	.AMDGPU.csdata,"",@progbits
; Kernel info:
; codeLenInByte = 0
; NumSgprs: 6
; NumVgprs: 0
; NumAgprs: 0
; TotalNumVgprs: 0
; ScratchSize: 0
; MemoryBound: 0
; FloatMode: 240
; IeeeMode: 1
; LDSByteSize: 0 bytes/workgroup (compile time only)
; SGPRBlocks: 0
; VGPRBlocks: 0
; NumSGPRsForWavesPerEU: 6
; NumVGPRsForWavesPerEU: 1
; AccumOffset: 4
; Occupancy: 8
; WaveLimiterHint : 0
; COMPUTE_PGM_RSRC2:SCRATCH_EN: 0
; COMPUTE_PGM_RSRC2:USER_SGPR: 2
; COMPUTE_PGM_RSRC2:TRAP_HANDLER: 0
; COMPUTE_PGM_RSRC2:TGID_X_EN: 1
; COMPUTE_PGM_RSRC2:TGID_Y_EN: 0
; COMPUTE_PGM_RSRC2:TGID_Z_EN: 0
; COMPUTE_PGM_RSRC2:TIDIG_COMP_CNT: 0
; COMPUTE_PGM_RSRC3_GFX90A:ACCUM_OFFSET: 0
; COMPUTE_PGM_RSRC3_GFX90A:TG_SPLIT: 0
	.section	.text._ZN7rocprim17ROCPRIM_400000_NS6detail17trampoline_kernelINS0_14default_configENS1_27scan_by_key_config_selectorIssEEZZNS1_16scan_by_key_implILNS1_25lookback_scan_determinismE0ELb0ES3_N6thrust23THRUST_200600_302600_NS6detail15normal_iteratorINS9_10device_ptrIsEEEESE_SE_sNS9_4plusIvEENS9_8equal_toIvEEsEE10hipError_tPvRmT2_T3_T4_T5_mT6_T7_P12ihipStream_tbENKUlT_T0_E_clISt17integral_constantIbLb1EESZ_EEDaSU_SV_EUlSU_E_NS1_11comp_targetILNS1_3genE10ELNS1_11target_archE1200ELNS1_3gpuE4ELNS1_3repE0EEENS1_30default_config_static_selectorELNS0_4arch9wavefront6targetE1EEEvT1_,"axG",@progbits,_ZN7rocprim17ROCPRIM_400000_NS6detail17trampoline_kernelINS0_14default_configENS1_27scan_by_key_config_selectorIssEEZZNS1_16scan_by_key_implILNS1_25lookback_scan_determinismE0ELb0ES3_N6thrust23THRUST_200600_302600_NS6detail15normal_iteratorINS9_10device_ptrIsEEEESE_SE_sNS9_4plusIvEENS9_8equal_toIvEEsEE10hipError_tPvRmT2_T3_T4_T5_mT6_T7_P12ihipStream_tbENKUlT_T0_E_clISt17integral_constantIbLb1EESZ_EEDaSU_SV_EUlSU_E_NS1_11comp_targetILNS1_3genE10ELNS1_11target_archE1200ELNS1_3gpuE4ELNS1_3repE0EEENS1_30default_config_static_selectorELNS0_4arch9wavefront6targetE1EEEvT1_,comdat
	.protected	_ZN7rocprim17ROCPRIM_400000_NS6detail17trampoline_kernelINS0_14default_configENS1_27scan_by_key_config_selectorIssEEZZNS1_16scan_by_key_implILNS1_25lookback_scan_determinismE0ELb0ES3_N6thrust23THRUST_200600_302600_NS6detail15normal_iteratorINS9_10device_ptrIsEEEESE_SE_sNS9_4plusIvEENS9_8equal_toIvEEsEE10hipError_tPvRmT2_T3_T4_T5_mT6_T7_P12ihipStream_tbENKUlT_T0_E_clISt17integral_constantIbLb1EESZ_EEDaSU_SV_EUlSU_E_NS1_11comp_targetILNS1_3genE10ELNS1_11target_archE1200ELNS1_3gpuE4ELNS1_3repE0EEENS1_30default_config_static_selectorELNS0_4arch9wavefront6targetE1EEEvT1_ ; -- Begin function _ZN7rocprim17ROCPRIM_400000_NS6detail17trampoline_kernelINS0_14default_configENS1_27scan_by_key_config_selectorIssEEZZNS1_16scan_by_key_implILNS1_25lookback_scan_determinismE0ELb0ES3_N6thrust23THRUST_200600_302600_NS6detail15normal_iteratorINS9_10device_ptrIsEEEESE_SE_sNS9_4plusIvEENS9_8equal_toIvEEsEE10hipError_tPvRmT2_T3_T4_T5_mT6_T7_P12ihipStream_tbENKUlT_T0_E_clISt17integral_constantIbLb1EESZ_EEDaSU_SV_EUlSU_E_NS1_11comp_targetILNS1_3genE10ELNS1_11target_archE1200ELNS1_3gpuE4ELNS1_3repE0EEENS1_30default_config_static_selectorELNS0_4arch9wavefront6targetE1EEEvT1_
	.globl	_ZN7rocprim17ROCPRIM_400000_NS6detail17trampoline_kernelINS0_14default_configENS1_27scan_by_key_config_selectorIssEEZZNS1_16scan_by_key_implILNS1_25lookback_scan_determinismE0ELb0ES3_N6thrust23THRUST_200600_302600_NS6detail15normal_iteratorINS9_10device_ptrIsEEEESE_SE_sNS9_4plusIvEENS9_8equal_toIvEEsEE10hipError_tPvRmT2_T3_T4_T5_mT6_T7_P12ihipStream_tbENKUlT_T0_E_clISt17integral_constantIbLb1EESZ_EEDaSU_SV_EUlSU_E_NS1_11comp_targetILNS1_3genE10ELNS1_11target_archE1200ELNS1_3gpuE4ELNS1_3repE0EEENS1_30default_config_static_selectorELNS0_4arch9wavefront6targetE1EEEvT1_
	.p2align	8
	.type	_ZN7rocprim17ROCPRIM_400000_NS6detail17trampoline_kernelINS0_14default_configENS1_27scan_by_key_config_selectorIssEEZZNS1_16scan_by_key_implILNS1_25lookback_scan_determinismE0ELb0ES3_N6thrust23THRUST_200600_302600_NS6detail15normal_iteratorINS9_10device_ptrIsEEEESE_SE_sNS9_4plusIvEENS9_8equal_toIvEEsEE10hipError_tPvRmT2_T3_T4_T5_mT6_T7_P12ihipStream_tbENKUlT_T0_E_clISt17integral_constantIbLb1EESZ_EEDaSU_SV_EUlSU_E_NS1_11comp_targetILNS1_3genE10ELNS1_11target_archE1200ELNS1_3gpuE4ELNS1_3repE0EEENS1_30default_config_static_selectorELNS0_4arch9wavefront6targetE1EEEvT1_,@function
_ZN7rocprim17ROCPRIM_400000_NS6detail17trampoline_kernelINS0_14default_configENS1_27scan_by_key_config_selectorIssEEZZNS1_16scan_by_key_implILNS1_25lookback_scan_determinismE0ELb0ES3_N6thrust23THRUST_200600_302600_NS6detail15normal_iteratorINS9_10device_ptrIsEEEESE_SE_sNS9_4plusIvEENS9_8equal_toIvEEsEE10hipError_tPvRmT2_T3_T4_T5_mT6_T7_P12ihipStream_tbENKUlT_T0_E_clISt17integral_constantIbLb1EESZ_EEDaSU_SV_EUlSU_E_NS1_11comp_targetILNS1_3genE10ELNS1_11target_archE1200ELNS1_3gpuE4ELNS1_3repE0EEENS1_30default_config_static_selectorELNS0_4arch9wavefront6targetE1EEEvT1_: ; @_ZN7rocprim17ROCPRIM_400000_NS6detail17trampoline_kernelINS0_14default_configENS1_27scan_by_key_config_selectorIssEEZZNS1_16scan_by_key_implILNS1_25lookback_scan_determinismE0ELb0ES3_N6thrust23THRUST_200600_302600_NS6detail15normal_iteratorINS9_10device_ptrIsEEEESE_SE_sNS9_4plusIvEENS9_8equal_toIvEEsEE10hipError_tPvRmT2_T3_T4_T5_mT6_T7_P12ihipStream_tbENKUlT_T0_E_clISt17integral_constantIbLb1EESZ_EEDaSU_SV_EUlSU_E_NS1_11comp_targetILNS1_3genE10ELNS1_11target_archE1200ELNS1_3gpuE4ELNS1_3repE0EEENS1_30default_config_static_selectorELNS0_4arch9wavefront6targetE1EEEvT1_
; %bb.0:
	.section	.rodata,"a",@progbits
	.p2align	6, 0x0
	.amdhsa_kernel _ZN7rocprim17ROCPRIM_400000_NS6detail17trampoline_kernelINS0_14default_configENS1_27scan_by_key_config_selectorIssEEZZNS1_16scan_by_key_implILNS1_25lookback_scan_determinismE0ELb0ES3_N6thrust23THRUST_200600_302600_NS6detail15normal_iteratorINS9_10device_ptrIsEEEESE_SE_sNS9_4plusIvEENS9_8equal_toIvEEsEE10hipError_tPvRmT2_T3_T4_T5_mT6_T7_P12ihipStream_tbENKUlT_T0_E_clISt17integral_constantIbLb1EESZ_EEDaSU_SV_EUlSU_E_NS1_11comp_targetILNS1_3genE10ELNS1_11target_archE1200ELNS1_3gpuE4ELNS1_3repE0EEENS1_30default_config_static_selectorELNS0_4arch9wavefront6targetE1EEEvT1_
		.amdhsa_group_segment_fixed_size 0
		.amdhsa_private_segment_fixed_size 0
		.amdhsa_kernarg_size 112
		.amdhsa_user_sgpr_count 2
		.amdhsa_user_sgpr_dispatch_ptr 0
		.amdhsa_user_sgpr_queue_ptr 0
		.amdhsa_user_sgpr_kernarg_segment_ptr 1
		.amdhsa_user_sgpr_dispatch_id 0
		.amdhsa_user_sgpr_kernarg_preload_length 0
		.amdhsa_user_sgpr_kernarg_preload_offset 0
		.amdhsa_user_sgpr_private_segment_size 0
		.amdhsa_uses_dynamic_stack 0
		.amdhsa_enable_private_segment 0
		.amdhsa_system_sgpr_workgroup_id_x 1
		.amdhsa_system_sgpr_workgroup_id_y 0
		.amdhsa_system_sgpr_workgroup_id_z 0
		.amdhsa_system_sgpr_workgroup_info 0
		.amdhsa_system_vgpr_workitem_id 0
		.amdhsa_next_free_vgpr 1
		.amdhsa_next_free_sgpr 0
		.amdhsa_accum_offset 4
		.amdhsa_reserve_vcc 0
		.amdhsa_float_round_mode_32 0
		.amdhsa_float_round_mode_16_64 0
		.amdhsa_float_denorm_mode_32 3
		.amdhsa_float_denorm_mode_16_64 3
		.amdhsa_dx10_clamp 1
		.amdhsa_ieee_mode 1
		.amdhsa_fp16_overflow 0
		.amdhsa_tg_split 0
		.amdhsa_exception_fp_ieee_invalid_op 0
		.amdhsa_exception_fp_denorm_src 0
		.amdhsa_exception_fp_ieee_div_zero 0
		.amdhsa_exception_fp_ieee_overflow 0
		.amdhsa_exception_fp_ieee_underflow 0
		.amdhsa_exception_fp_ieee_inexact 0
		.amdhsa_exception_int_div_zero 0
	.end_amdhsa_kernel
	.section	.text._ZN7rocprim17ROCPRIM_400000_NS6detail17trampoline_kernelINS0_14default_configENS1_27scan_by_key_config_selectorIssEEZZNS1_16scan_by_key_implILNS1_25lookback_scan_determinismE0ELb0ES3_N6thrust23THRUST_200600_302600_NS6detail15normal_iteratorINS9_10device_ptrIsEEEESE_SE_sNS9_4plusIvEENS9_8equal_toIvEEsEE10hipError_tPvRmT2_T3_T4_T5_mT6_T7_P12ihipStream_tbENKUlT_T0_E_clISt17integral_constantIbLb1EESZ_EEDaSU_SV_EUlSU_E_NS1_11comp_targetILNS1_3genE10ELNS1_11target_archE1200ELNS1_3gpuE4ELNS1_3repE0EEENS1_30default_config_static_selectorELNS0_4arch9wavefront6targetE1EEEvT1_,"axG",@progbits,_ZN7rocprim17ROCPRIM_400000_NS6detail17trampoline_kernelINS0_14default_configENS1_27scan_by_key_config_selectorIssEEZZNS1_16scan_by_key_implILNS1_25lookback_scan_determinismE0ELb0ES3_N6thrust23THRUST_200600_302600_NS6detail15normal_iteratorINS9_10device_ptrIsEEEESE_SE_sNS9_4plusIvEENS9_8equal_toIvEEsEE10hipError_tPvRmT2_T3_T4_T5_mT6_T7_P12ihipStream_tbENKUlT_T0_E_clISt17integral_constantIbLb1EESZ_EEDaSU_SV_EUlSU_E_NS1_11comp_targetILNS1_3genE10ELNS1_11target_archE1200ELNS1_3gpuE4ELNS1_3repE0EEENS1_30default_config_static_selectorELNS0_4arch9wavefront6targetE1EEEvT1_,comdat
.Lfunc_end256:
	.size	_ZN7rocprim17ROCPRIM_400000_NS6detail17trampoline_kernelINS0_14default_configENS1_27scan_by_key_config_selectorIssEEZZNS1_16scan_by_key_implILNS1_25lookback_scan_determinismE0ELb0ES3_N6thrust23THRUST_200600_302600_NS6detail15normal_iteratorINS9_10device_ptrIsEEEESE_SE_sNS9_4plusIvEENS9_8equal_toIvEEsEE10hipError_tPvRmT2_T3_T4_T5_mT6_T7_P12ihipStream_tbENKUlT_T0_E_clISt17integral_constantIbLb1EESZ_EEDaSU_SV_EUlSU_E_NS1_11comp_targetILNS1_3genE10ELNS1_11target_archE1200ELNS1_3gpuE4ELNS1_3repE0EEENS1_30default_config_static_selectorELNS0_4arch9wavefront6targetE1EEEvT1_, .Lfunc_end256-_ZN7rocprim17ROCPRIM_400000_NS6detail17trampoline_kernelINS0_14default_configENS1_27scan_by_key_config_selectorIssEEZZNS1_16scan_by_key_implILNS1_25lookback_scan_determinismE0ELb0ES3_N6thrust23THRUST_200600_302600_NS6detail15normal_iteratorINS9_10device_ptrIsEEEESE_SE_sNS9_4plusIvEENS9_8equal_toIvEEsEE10hipError_tPvRmT2_T3_T4_T5_mT6_T7_P12ihipStream_tbENKUlT_T0_E_clISt17integral_constantIbLb1EESZ_EEDaSU_SV_EUlSU_E_NS1_11comp_targetILNS1_3genE10ELNS1_11target_archE1200ELNS1_3gpuE4ELNS1_3repE0EEENS1_30default_config_static_selectorELNS0_4arch9wavefront6targetE1EEEvT1_
                                        ; -- End function
	.section	.AMDGPU.csdata,"",@progbits
; Kernel info:
; codeLenInByte = 0
; NumSgprs: 6
; NumVgprs: 0
; NumAgprs: 0
; TotalNumVgprs: 0
; ScratchSize: 0
; MemoryBound: 0
; FloatMode: 240
; IeeeMode: 1
; LDSByteSize: 0 bytes/workgroup (compile time only)
; SGPRBlocks: 0
; VGPRBlocks: 0
; NumSGPRsForWavesPerEU: 6
; NumVGPRsForWavesPerEU: 1
; AccumOffset: 4
; Occupancy: 8
; WaveLimiterHint : 0
; COMPUTE_PGM_RSRC2:SCRATCH_EN: 0
; COMPUTE_PGM_RSRC2:USER_SGPR: 2
; COMPUTE_PGM_RSRC2:TRAP_HANDLER: 0
; COMPUTE_PGM_RSRC2:TGID_X_EN: 1
; COMPUTE_PGM_RSRC2:TGID_Y_EN: 0
; COMPUTE_PGM_RSRC2:TGID_Z_EN: 0
; COMPUTE_PGM_RSRC2:TIDIG_COMP_CNT: 0
; COMPUTE_PGM_RSRC3_GFX90A:ACCUM_OFFSET: 0
; COMPUTE_PGM_RSRC3_GFX90A:TG_SPLIT: 0
	.section	.text._ZN7rocprim17ROCPRIM_400000_NS6detail17trampoline_kernelINS0_14default_configENS1_27scan_by_key_config_selectorIssEEZZNS1_16scan_by_key_implILNS1_25lookback_scan_determinismE0ELb0ES3_N6thrust23THRUST_200600_302600_NS6detail15normal_iteratorINS9_10device_ptrIsEEEESE_SE_sNS9_4plusIvEENS9_8equal_toIvEEsEE10hipError_tPvRmT2_T3_T4_T5_mT6_T7_P12ihipStream_tbENKUlT_T0_E_clISt17integral_constantIbLb1EESZ_EEDaSU_SV_EUlSU_E_NS1_11comp_targetILNS1_3genE9ELNS1_11target_archE1100ELNS1_3gpuE3ELNS1_3repE0EEENS1_30default_config_static_selectorELNS0_4arch9wavefront6targetE1EEEvT1_,"axG",@progbits,_ZN7rocprim17ROCPRIM_400000_NS6detail17trampoline_kernelINS0_14default_configENS1_27scan_by_key_config_selectorIssEEZZNS1_16scan_by_key_implILNS1_25lookback_scan_determinismE0ELb0ES3_N6thrust23THRUST_200600_302600_NS6detail15normal_iteratorINS9_10device_ptrIsEEEESE_SE_sNS9_4plusIvEENS9_8equal_toIvEEsEE10hipError_tPvRmT2_T3_T4_T5_mT6_T7_P12ihipStream_tbENKUlT_T0_E_clISt17integral_constantIbLb1EESZ_EEDaSU_SV_EUlSU_E_NS1_11comp_targetILNS1_3genE9ELNS1_11target_archE1100ELNS1_3gpuE3ELNS1_3repE0EEENS1_30default_config_static_selectorELNS0_4arch9wavefront6targetE1EEEvT1_,comdat
	.protected	_ZN7rocprim17ROCPRIM_400000_NS6detail17trampoline_kernelINS0_14default_configENS1_27scan_by_key_config_selectorIssEEZZNS1_16scan_by_key_implILNS1_25lookback_scan_determinismE0ELb0ES3_N6thrust23THRUST_200600_302600_NS6detail15normal_iteratorINS9_10device_ptrIsEEEESE_SE_sNS9_4plusIvEENS9_8equal_toIvEEsEE10hipError_tPvRmT2_T3_T4_T5_mT6_T7_P12ihipStream_tbENKUlT_T0_E_clISt17integral_constantIbLb1EESZ_EEDaSU_SV_EUlSU_E_NS1_11comp_targetILNS1_3genE9ELNS1_11target_archE1100ELNS1_3gpuE3ELNS1_3repE0EEENS1_30default_config_static_selectorELNS0_4arch9wavefront6targetE1EEEvT1_ ; -- Begin function _ZN7rocprim17ROCPRIM_400000_NS6detail17trampoline_kernelINS0_14default_configENS1_27scan_by_key_config_selectorIssEEZZNS1_16scan_by_key_implILNS1_25lookback_scan_determinismE0ELb0ES3_N6thrust23THRUST_200600_302600_NS6detail15normal_iteratorINS9_10device_ptrIsEEEESE_SE_sNS9_4plusIvEENS9_8equal_toIvEEsEE10hipError_tPvRmT2_T3_T4_T5_mT6_T7_P12ihipStream_tbENKUlT_T0_E_clISt17integral_constantIbLb1EESZ_EEDaSU_SV_EUlSU_E_NS1_11comp_targetILNS1_3genE9ELNS1_11target_archE1100ELNS1_3gpuE3ELNS1_3repE0EEENS1_30default_config_static_selectorELNS0_4arch9wavefront6targetE1EEEvT1_
	.globl	_ZN7rocprim17ROCPRIM_400000_NS6detail17trampoline_kernelINS0_14default_configENS1_27scan_by_key_config_selectorIssEEZZNS1_16scan_by_key_implILNS1_25lookback_scan_determinismE0ELb0ES3_N6thrust23THRUST_200600_302600_NS6detail15normal_iteratorINS9_10device_ptrIsEEEESE_SE_sNS9_4plusIvEENS9_8equal_toIvEEsEE10hipError_tPvRmT2_T3_T4_T5_mT6_T7_P12ihipStream_tbENKUlT_T0_E_clISt17integral_constantIbLb1EESZ_EEDaSU_SV_EUlSU_E_NS1_11comp_targetILNS1_3genE9ELNS1_11target_archE1100ELNS1_3gpuE3ELNS1_3repE0EEENS1_30default_config_static_selectorELNS0_4arch9wavefront6targetE1EEEvT1_
	.p2align	8
	.type	_ZN7rocprim17ROCPRIM_400000_NS6detail17trampoline_kernelINS0_14default_configENS1_27scan_by_key_config_selectorIssEEZZNS1_16scan_by_key_implILNS1_25lookback_scan_determinismE0ELb0ES3_N6thrust23THRUST_200600_302600_NS6detail15normal_iteratorINS9_10device_ptrIsEEEESE_SE_sNS9_4plusIvEENS9_8equal_toIvEEsEE10hipError_tPvRmT2_T3_T4_T5_mT6_T7_P12ihipStream_tbENKUlT_T0_E_clISt17integral_constantIbLb1EESZ_EEDaSU_SV_EUlSU_E_NS1_11comp_targetILNS1_3genE9ELNS1_11target_archE1100ELNS1_3gpuE3ELNS1_3repE0EEENS1_30default_config_static_selectorELNS0_4arch9wavefront6targetE1EEEvT1_,@function
_ZN7rocprim17ROCPRIM_400000_NS6detail17trampoline_kernelINS0_14default_configENS1_27scan_by_key_config_selectorIssEEZZNS1_16scan_by_key_implILNS1_25lookback_scan_determinismE0ELb0ES3_N6thrust23THRUST_200600_302600_NS6detail15normal_iteratorINS9_10device_ptrIsEEEESE_SE_sNS9_4plusIvEENS9_8equal_toIvEEsEE10hipError_tPvRmT2_T3_T4_T5_mT6_T7_P12ihipStream_tbENKUlT_T0_E_clISt17integral_constantIbLb1EESZ_EEDaSU_SV_EUlSU_E_NS1_11comp_targetILNS1_3genE9ELNS1_11target_archE1100ELNS1_3gpuE3ELNS1_3repE0EEENS1_30default_config_static_selectorELNS0_4arch9wavefront6targetE1EEEvT1_: ; @_ZN7rocprim17ROCPRIM_400000_NS6detail17trampoline_kernelINS0_14default_configENS1_27scan_by_key_config_selectorIssEEZZNS1_16scan_by_key_implILNS1_25lookback_scan_determinismE0ELb0ES3_N6thrust23THRUST_200600_302600_NS6detail15normal_iteratorINS9_10device_ptrIsEEEESE_SE_sNS9_4plusIvEENS9_8equal_toIvEEsEE10hipError_tPvRmT2_T3_T4_T5_mT6_T7_P12ihipStream_tbENKUlT_T0_E_clISt17integral_constantIbLb1EESZ_EEDaSU_SV_EUlSU_E_NS1_11comp_targetILNS1_3genE9ELNS1_11target_archE1100ELNS1_3gpuE3ELNS1_3repE0EEENS1_30default_config_static_selectorELNS0_4arch9wavefront6targetE1EEEvT1_
; %bb.0:
	.section	.rodata,"a",@progbits
	.p2align	6, 0x0
	.amdhsa_kernel _ZN7rocprim17ROCPRIM_400000_NS6detail17trampoline_kernelINS0_14default_configENS1_27scan_by_key_config_selectorIssEEZZNS1_16scan_by_key_implILNS1_25lookback_scan_determinismE0ELb0ES3_N6thrust23THRUST_200600_302600_NS6detail15normal_iteratorINS9_10device_ptrIsEEEESE_SE_sNS9_4plusIvEENS9_8equal_toIvEEsEE10hipError_tPvRmT2_T3_T4_T5_mT6_T7_P12ihipStream_tbENKUlT_T0_E_clISt17integral_constantIbLb1EESZ_EEDaSU_SV_EUlSU_E_NS1_11comp_targetILNS1_3genE9ELNS1_11target_archE1100ELNS1_3gpuE3ELNS1_3repE0EEENS1_30default_config_static_selectorELNS0_4arch9wavefront6targetE1EEEvT1_
		.amdhsa_group_segment_fixed_size 0
		.amdhsa_private_segment_fixed_size 0
		.amdhsa_kernarg_size 112
		.amdhsa_user_sgpr_count 2
		.amdhsa_user_sgpr_dispatch_ptr 0
		.amdhsa_user_sgpr_queue_ptr 0
		.amdhsa_user_sgpr_kernarg_segment_ptr 1
		.amdhsa_user_sgpr_dispatch_id 0
		.amdhsa_user_sgpr_kernarg_preload_length 0
		.amdhsa_user_sgpr_kernarg_preload_offset 0
		.amdhsa_user_sgpr_private_segment_size 0
		.amdhsa_uses_dynamic_stack 0
		.amdhsa_enable_private_segment 0
		.amdhsa_system_sgpr_workgroup_id_x 1
		.amdhsa_system_sgpr_workgroup_id_y 0
		.amdhsa_system_sgpr_workgroup_id_z 0
		.amdhsa_system_sgpr_workgroup_info 0
		.amdhsa_system_vgpr_workitem_id 0
		.amdhsa_next_free_vgpr 1
		.amdhsa_next_free_sgpr 0
		.amdhsa_accum_offset 4
		.amdhsa_reserve_vcc 0
		.amdhsa_float_round_mode_32 0
		.amdhsa_float_round_mode_16_64 0
		.amdhsa_float_denorm_mode_32 3
		.amdhsa_float_denorm_mode_16_64 3
		.amdhsa_dx10_clamp 1
		.amdhsa_ieee_mode 1
		.amdhsa_fp16_overflow 0
		.amdhsa_tg_split 0
		.amdhsa_exception_fp_ieee_invalid_op 0
		.amdhsa_exception_fp_denorm_src 0
		.amdhsa_exception_fp_ieee_div_zero 0
		.amdhsa_exception_fp_ieee_overflow 0
		.amdhsa_exception_fp_ieee_underflow 0
		.amdhsa_exception_fp_ieee_inexact 0
		.amdhsa_exception_int_div_zero 0
	.end_amdhsa_kernel
	.section	.text._ZN7rocprim17ROCPRIM_400000_NS6detail17trampoline_kernelINS0_14default_configENS1_27scan_by_key_config_selectorIssEEZZNS1_16scan_by_key_implILNS1_25lookback_scan_determinismE0ELb0ES3_N6thrust23THRUST_200600_302600_NS6detail15normal_iteratorINS9_10device_ptrIsEEEESE_SE_sNS9_4plusIvEENS9_8equal_toIvEEsEE10hipError_tPvRmT2_T3_T4_T5_mT6_T7_P12ihipStream_tbENKUlT_T0_E_clISt17integral_constantIbLb1EESZ_EEDaSU_SV_EUlSU_E_NS1_11comp_targetILNS1_3genE9ELNS1_11target_archE1100ELNS1_3gpuE3ELNS1_3repE0EEENS1_30default_config_static_selectorELNS0_4arch9wavefront6targetE1EEEvT1_,"axG",@progbits,_ZN7rocprim17ROCPRIM_400000_NS6detail17trampoline_kernelINS0_14default_configENS1_27scan_by_key_config_selectorIssEEZZNS1_16scan_by_key_implILNS1_25lookback_scan_determinismE0ELb0ES3_N6thrust23THRUST_200600_302600_NS6detail15normal_iteratorINS9_10device_ptrIsEEEESE_SE_sNS9_4plusIvEENS9_8equal_toIvEEsEE10hipError_tPvRmT2_T3_T4_T5_mT6_T7_P12ihipStream_tbENKUlT_T0_E_clISt17integral_constantIbLb1EESZ_EEDaSU_SV_EUlSU_E_NS1_11comp_targetILNS1_3genE9ELNS1_11target_archE1100ELNS1_3gpuE3ELNS1_3repE0EEENS1_30default_config_static_selectorELNS0_4arch9wavefront6targetE1EEEvT1_,comdat
.Lfunc_end257:
	.size	_ZN7rocprim17ROCPRIM_400000_NS6detail17trampoline_kernelINS0_14default_configENS1_27scan_by_key_config_selectorIssEEZZNS1_16scan_by_key_implILNS1_25lookback_scan_determinismE0ELb0ES3_N6thrust23THRUST_200600_302600_NS6detail15normal_iteratorINS9_10device_ptrIsEEEESE_SE_sNS9_4plusIvEENS9_8equal_toIvEEsEE10hipError_tPvRmT2_T3_T4_T5_mT6_T7_P12ihipStream_tbENKUlT_T0_E_clISt17integral_constantIbLb1EESZ_EEDaSU_SV_EUlSU_E_NS1_11comp_targetILNS1_3genE9ELNS1_11target_archE1100ELNS1_3gpuE3ELNS1_3repE0EEENS1_30default_config_static_selectorELNS0_4arch9wavefront6targetE1EEEvT1_, .Lfunc_end257-_ZN7rocprim17ROCPRIM_400000_NS6detail17trampoline_kernelINS0_14default_configENS1_27scan_by_key_config_selectorIssEEZZNS1_16scan_by_key_implILNS1_25lookback_scan_determinismE0ELb0ES3_N6thrust23THRUST_200600_302600_NS6detail15normal_iteratorINS9_10device_ptrIsEEEESE_SE_sNS9_4plusIvEENS9_8equal_toIvEEsEE10hipError_tPvRmT2_T3_T4_T5_mT6_T7_P12ihipStream_tbENKUlT_T0_E_clISt17integral_constantIbLb1EESZ_EEDaSU_SV_EUlSU_E_NS1_11comp_targetILNS1_3genE9ELNS1_11target_archE1100ELNS1_3gpuE3ELNS1_3repE0EEENS1_30default_config_static_selectorELNS0_4arch9wavefront6targetE1EEEvT1_
                                        ; -- End function
	.section	.AMDGPU.csdata,"",@progbits
; Kernel info:
; codeLenInByte = 0
; NumSgprs: 6
; NumVgprs: 0
; NumAgprs: 0
; TotalNumVgprs: 0
; ScratchSize: 0
; MemoryBound: 0
; FloatMode: 240
; IeeeMode: 1
; LDSByteSize: 0 bytes/workgroup (compile time only)
; SGPRBlocks: 0
; VGPRBlocks: 0
; NumSGPRsForWavesPerEU: 6
; NumVGPRsForWavesPerEU: 1
; AccumOffset: 4
; Occupancy: 8
; WaveLimiterHint : 0
; COMPUTE_PGM_RSRC2:SCRATCH_EN: 0
; COMPUTE_PGM_RSRC2:USER_SGPR: 2
; COMPUTE_PGM_RSRC2:TRAP_HANDLER: 0
; COMPUTE_PGM_RSRC2:TGID_X_EN: 1
; COMPUTE_PGM_RSRC2:TGID_Y_EN: 0
; COMPUTE_PGM_RSRC2:TGID_Z_EN: 0
; COMPUTE_PGM_RSRC2:TIDIG_COMP_CNT: 0
; COMPUTE_PGM_RSRC3_GFX90A:ACCUM_OFFSET: 0
; COMPUTE_PGM_RSRC3_GFX90A:TG_SPLIT: 0
	.section	.text._ZN7rocprim17ROCPRIM_400000_NS6detail17trampoline_kernelINS0_14default_configENS1_27scan_by_key_config_selectorIssEEZZNS1_16scan_by_key_implILNS1_25lookback_scan_determinismE0ELb0ES3_N6thrust23THRUST_200600_302600_NS6detail15normal_iteratorINS9_10device_ptrIsEEEESE_SE_sNS9_4plusIvEENS9_8equal_toIvEEsEE10hipError_tPvRmT2_T3_T4_T5_mT6_T7_P12ihipStream_tbENKUlT_T0_E_clISt17integral_constantIbLb1EESZ_EEDaSU_SV_EUlSU_E_NS1_11comp_targetILNS1_3genE8ELNS1_11target_archE1030ELNS1_3gpuE2ELNS1_3repE0EEENS1_30default_config_static_selectorELNS0_4arch9wavefront6targetE1EEEvT1_,"axG",@progbits,_ZN7rocprim17ROCPRIM_400000_NS6detail17trampoline_kernelINS0_14default_configENS1_27scan_by_key_config_selectorIssEEZZNS1_16scan_by_key_implILNS1_25lookback_scan_determinismE0ELb0ES3_N6thrust23THRUST_200600_302600_NS6detail15normal_iteratorINS9_10device_ptrIsEEEESE_SE_sNS9_4plusIvEENS9_8equal_toIvEEsEE10hipError_tPvRmT2_T3_T4_T5_mT6_T7_P12ihipStream_tbENKUlT_T0_E_clISt17integral_constantIbLb1EESZ_EEDaSU_SV_EUlSU_E_NS1_11comp_targetILNS1_3genE8ELNS1_11target_archE1030ELNS1_3gpuE2ELNS1_3repE0EEENS1_30default_config_static_selectorELNS0_4arch9wavefront6targetE1EEEvT1_,comdat
	.protected	_ZN7rocprim17ROCPRIM_400000_NS6detail17trampoline_kernelINS0_14default_configENS1_27scan_by_key_config_selectorIssEEZZNS1_16scan_by_key_implILNS1_25lookback_scan_determinismE0ELb0ES3_N6thrust23THRUST_200600_302600_NS6detail15normal_iteratorINS9_10device_ptrIsEEEESE_SE_sNS9_4plusIvEENS9_8equal_toIvEEsEE10hipError_tPvRmT2_T3_T4_T5_mT6_T7_P12ihipStream_tbENKUlT_T0_E_clISt17integral_constantIbLb1EESZ_EEDaSU_SV_EUlSU_E_NS1_11comp_targetILNS1_3genE8ELNS1_11target_archE1030ELNS1_3gpuE2ELNS1_3repE0EEENS1_30default_config_static_selectorELNS0_4arch9wavefront6targetE1EEEvT1_ ; -- Begin function _ZN7rocprim17ROCPRIM_400000_NS6detail17trampoline_kernelINS0_14default_configENS1_27scan_by_key_config_selectorIssEEZZNS1_16scan_by_key_implILNS1_25lookback_scan_determinismE0ELb0ES3_N6thrust23THRUST_200600_302600_NS6detail15normal_iteratorINS9_10device_ptrIsEEEESE_SE_sNS9_4plusIvEENS9_8equal_toIvEEsEE10hipError_tPvRmT2_T3_T4_T5_mT6_T7_P12ihipStream_tbENKUlT_T0_E_clISt17integral_constantIbLb1EESZ_EEDaSU_SV_EUlSU_E_NS1_11comp_targetILNS1_3genE8ELNS1_11target_archE1030ELNS1_3gpuE2ELNS1_3repE0EEENS1_30default_config_static_selectorELNS0_4arch9wavefront6targetE1EEEvT1_
	.globl	_ZN7rocprim17ROCPRIM_400000_NS6detail17trampoline_kernelINS0_14default_configENS1_27scan_by_key_config_selectorIssEEZZNS1_16scan_by_key_implILNS1_25lookback_scan_determinismE0ELb0ES3_N6thrust23THRUST_200600_302600_NS6detail15normal_iteratorINS9_10device_ptrIsEEEESE_SE_sNS9_4plusIvEENS9_8equal_toIvEEsEE10hipError_tPvRmT2_T3_T4_T5_mT6_T7_P12ihipStream_tbENKUlT_T0_E_clISt17integral_constantIbLb1EESZ_EEDaSU_SV_EUlSU_E_NS1_11comp_targetILNS1_3genE8ELNS1_11target_archE1030ELNS1_3gpuE2ELNS1_3repE0EEENS1_30default_config_static_selectorELNS0_4arch9wavefront6targetE1EEEvT1_
	.p2align	8
	.type	_ZN7rocprim17ROCPRIM_400000_NS6detail17trampoline_kernelINS0_14default_configENS1_27scan_by_key_config_selectorIssEEZZNS1_16scan_by_key_implILNS1_25lookback_scan_determinismE0ELb0ES3_N6thrust23THRUST_200600_302600_NS6detail15normal_iteratorINS9_10device_ptrIsEEEESE_SE_sNS9_4plusIvEENS9_8equal_toIvEEsEE10hipError_tPvRmT2_T3_T4_T5_mT6_T7_P12ihipStream_tbENKUlT_T0_E_clISt17integral_constantIbLb1EESZ_EEDaSU_SV_EUlSU_E_NS1_11comp_targetILNS1_3genE8ELNS1_11target_archE1030ELNS1_3gpuE2ELNS1_3repE0EEENS1_30default_config_static_selectorELNS0_4arch9wavefront6targetE1EEEvT1_,@function
_ZN7rocprim17ROCPRIM_400000_NS6detail17trampoline_kernelINS0_14default_configENS1_27scan_by_key_config_selectorIssEEZZNS1_16scan_by_key_implILNS1_25lookback_scan_determinismE0ELb0ES3_N6thrust23THRUST_200600_302600_NS6detail15normal_iteratorINS9_10device_ptrIsEEEESE_SE_sNS9_4plusIvEENS9_8equal_toIvEEsEE10hipError_tPvRmT2_T3_T4_T5_mT6_T7_P12ihipStream_tbENKUlT_T0_E_clISt17integral_constantIbLb1EESZ_EEDaSU_SV_EUlSU_E_NS1_11comp_targetILNS1_3genE8ELNS1_11target_archE1030ELNS1_3gpuE2ELNS1_3repE0EEENS1_30default_config_static_selectorELNS0_4arch9wavefront6targetE1EEEvT1_: ; @_ZN7rocprim17ROCPRIM_400000_NS6detail17trampoline_kernelINS0_14default_configENS1_27scan_by_key_config_selectorIssEEZZNS1_16scan_by_key_implILNS1_25lookback_scan_determinismE0ELb0ES3_N6thrust23THRUST_200600_302600_NS6detail15normal_iteratorINS9_10device_ptrIsEEEESE_SE_sNS9_4plusIvEENS9_8equal_toIvEEsEE10hipError_tPvRmT2_T3_T4_T5_mT6_T7_P12ihipStream_tbENKUlT_T0_E_clISt17integral_constantIbLb1EESZ_EEDaSU_SV_EUlSU_E_NS1_11comp_targetILNS1_3genE8ELNS1_11target_archE1030ELNS1_3gpuE2ELNS1_3repE0EEENS1_30default_config_static_selectorELNS0_4arch9wavefront6targetE1EEEvT1_
; %bb.0:
	.section	.rodata,"a",@progbits
	.p2align	6, 0x0
	.amdhsa_kernel _ZN7rocprim17ROCPRIM_400000_NS6detail17trampoline_kernelINS0_14default_configENS1_27scan_by_key_config_selectorIssEEZZNS1_16scan_by_key_implILNS1_25lookback_scan_determinismE0ELb0ES3_N6thrust23THRUST_200600_302600_NS6detail15normal_iteratorINS9_10device_ptrIsEEEESE_SE_sNS9_4plusIvEENS9_8equal_toIvEEsEE10hipError_tPvRmT2_T3_T4_T5_mT6_T7_P12ihipStream_tbENKUlT_T0_E_clISt17integral_constantIbLb1EESZ_EEDaSU_SV_EUlSU_E_NS1_11comp_targetILNS1_3genE8ELNS1_11target_archE1030ELNS1_3gpuE2ELNS1_3repE0EEENS1_30default_config_static_selectorELNS0_4arch9wavefront6targetE1EEEvT1_
		.amdhsa_group_segment_fixed_size 0
		.amdhsa_private_segment_fixed_size 0
		.amdhsa_kernarg_size 112
		.amdhsa_user_sgpr_count 2
		.amdhsa_user_sgpr_dispatch_ptr 0
		.amdhsa_user_sgpr_queue_ptr 0
		.amdhsa_user_sgpr_kernarg_segment_ptr 1
		.amdhsa_user_sgpr_dispatch_id 0
		.amdhsa_user_sgpr_kernarg_preload_length 0
		.amdhsa_user_sgpr_kernarg_preload_offset 0
		.amdhsa_user_sgpr_private_segment_size 0
		.amdhsa_uses_dynamic_stack 0
		.amdhsa_enable_private_segment 0
		.amdhsa_system_sgpr_workgroup_id_x 1
		.amdhsa_system_sgpr_workgroup_id_y 0
		.amdhsa_system_sgpr_workgroup_id_z 0
		.amdhsa_system_sgpr_workgroup_info 0
		.amdhsa_system_vgpr_workitem_id 0
		.amdhsa_next_free_vgpr 1
		.amdhsa_next_free_sgpr 0
		.amdhsa_accum_offset 4
		.amdhsa_reserve_vcc 0
		.amdhsa_float_round_mode_32 0
		.amdhsa_float_round_mode_16_64 0
		.amdhsa_float_denorm_mode_32 3
		.amdhsa_float_denorm_mode_16_64 3
		.amdhsa_dx10_clamp 1
		.amdhsa_ieee_mode 1
		.amdhsa_fp16_overflow 0
		.amdhsa_tg_split 0
		.amdhsa_exception_fp_ieee_invalid_op 0
		.amdhsa_exception_fp_denorm_src 0
		.amdhsa_exception_fp_ieee_div_zero 0
		.amdhsa_exception_fp_ieee_overflow 0
		.amdhsa_exception_fp_ieee_underflow 0
		.amdhsa_exception_fp_ieee_inexact 0
		.amdhsa_exception_int_div_zero 0
	.end_amdhsa_kernel
	.section	.text._ZN7rocprim17ROCPRIM_400000_NS6detail17trampoline_kernelINS0_14default_configENS1_27scan_by_key_config_selectorIssEEZZNS1_16scan_by_key_implILNS1_25lookback_scan_determinismE0ELb0ES3_N6thrust23THRUST_200600_302600_NS6detail15normal_iteratorINS9_10device_ptrIsEEEESE_SE_sNS9_4plusIvEENS9_8equal_toIvEEsEE10hipError_tPvRmT2_T3_T4_T5_mT6_T7_P12ihipStream_tbENKUlT_T0_E_clISt17integral_constantIbLb1EESZ_EEDaSU_SV_EUlSU_E_NS1_11comp_targetILNS1_3genE8ELNS1_11target_archE1030ELNS1_3gpuE2ELNS1_3repE0EEENS1_30default_config_static_selectorELNS0_4arch9wavefront6targetE1EEEvT1_,"axG",@progbits,_ZN7rocprim17ROCPRIM_400000_NS6detail17trampoline_kernelINS0_14default_configENS1_27scan_by_key_config_selectorIssEEZZNS1_16scan_by_key_implILNS1_25lookback_scan_determinismE0ELb0ES3_N6thrust23THRUST_200600_302600_NS6detail15normal_iteratorINS9_10device_ptrIsEEEESE_SE_sNS9_4plusIvEENS9_8equal_toIvEEsEE10hipError_tPvRmT2_T3_T4_T5_mT6_T7_P12ihipStream_tbENKUlT_T0_E_clISt17integral_constantIbLb1EESZ_EEDaSU_SV_EUlSU_E_NS1_11comp_targetILNS1_3genE8ELNS1_11target_archE1030ELNS1_3gpuE2ELNS1_3repE0EEENS1_30default_config_static_selectorELNS0_4arch9wavefront6targetE1EEEvT1_,comdat
.Lfunc_end258:
	.size	_ZN7rocprim17ROCPRIM_400000_NS6detail17trampoline_kernelINS0_14default_configENS1_27scan_by_key_config_selectorIssEEZZNS1_16scan_by_key_implILNS1_25lookback_scan_determinismE0ELb0ES3_N6thrust23THRUST_200600_302600_NS6detail15normal_iteratorINS9_10device_ptrIsEEEESE_SE_sNS9_4plusIvEENS9_8equal_toIvEEsEE10hipError_tPvRmT2_T3_T4_T5_mT6_T7_P12ihipStream_tbENKUlT_T0_E_clISt17integral_constantIbLb1EESZ_EEDaSU_SV_EUlSU_E_NS1_11comp_targetILNS1_3genE8ELNS1_11target_archE1030ELNS1_3gpuE2ELNS1_3repE0EEENS1_30default_config_static_selectorELNS0_4arch9wavefront6targetE1EEEvT1_, .Lfunc_end258-_ZN7rocprim17ROCPRIM_400000_NS6detail17trampoline_kernelINS0_14default_configENS1_27scan_by_key_config_selectorIssEEZZNS1_16scan_by_key_implILNS1_25lookback_scan_determinismE0ELb0ES3_N6thrust23THRUST_200600_302600_NS6detail15normal_iteratorINS9_10device_ptrIsEEEESE_SE_sNS9_4plusIvEENS9_8equal_toIvEEsEE10hipError_tPvRmT2_T3_T4_T5_mT6_T7_P12ihipStream_tbENKUlT_T0_E_clISt17integral_constantIbLb1EESZ_EEDaSU_SV_EUlSU_E_NS1_11comp_targetILNS1_3genE8ELNS1_11target_archE1030ELNS1_3gpuE2ELNS1_3repE0EEENS1_30default_config_static_selectorELNS0_4arch9wavefront6targetE1EEEvT1_
                                        ; -- End function
	.section	.AMDGPU.csdata,"",@progbits
; Kernel info:
; codeLenInByte = 0
; NumSgprs: 6
; NumVgprs: 0
; NumAgprs: 0
; TotalNumVgprs: 0
; ScratchSize: 0
; MemoryBound: 0
; FloatMode: 240
; IeeeMode: 1
; LDSByteSize: 0 bytes/workgroup (compile time only)
; SGPRBlocks: 0
; VGPRBlocks: 0
; NumSGPRsForWavesPerEU: 6
; NumVGPRsForWavesPerEU: 1
; AccumOffset: 4
; Occupancy: 8
; WaveLimiterHint : 0
; COMPUTE_PGM_RSRC2:SCRATCH_EN: 0
; COMPUTE_PGM_RSRC2:USER_SGPR: 2
; COMPUTE_PGM_RSRC2:TRAP_HANDLER: 0
; COMPUTE_PGM_RSRC2:TGID_X_EN: 1
; COMPUTE_PGM_RSRC2:TGID_Y_EN: 0
; COMPUTE_PGM_RSRC2:TGID_Z_EN: 0
; COMPUTE_PGM_RSRC2:TIDIG_COMP_CNT: 0
; COMPUTE_PGM_RSRC3_GFX90A:ACCUM_OFFSET: 0
; COMPUTE_PGM_RSRC3_GFX90A:TG_SPLIT: 0
	.section	.text._ZN7rocprim17ROCPRIM_400000_NS6detail30init_device_scan_by_key_kernelINS1_19lookback_scan_stateINS0_5tupleIJsbEEELb1ELb1EEEN6thrust23THRUST_200600_302600_NS6detail15normal_iteratorINS8_10device_ptrIsEEEEjNS1_16block_id_wrapperIjLb0EEEEEvT_jjPNSG_10value_typeET0_PNSt15iterator_traitsISJ_E10value_typeEmT1_T2_,"axG",@progbits,_ZN7rocprim17ROCPRIM_400000_NS6detail30init_device_scan_by_key_kernelINS1_19lookback_scan_stateINS0_5tupleIJsbEEELb1ELb1EEEN6thrust23THRUST_200600_302600_NS6detail15normal_iteratorINS8_10device_ptrIsEEEEjNS1_16block_id_wrapperIjLb0EEEEEvT_jjPNSG_10value_typeET0_PNSt15iterator_traitsISJ_E10value_typeEmT1_T2_,comdat
	.protected	_ZN7rocprim17ROCPRIM_400000_NS6detail30init_device_scan_by_key_kernelINS1_19lookback_scan_stateINS0_5tupleIJsbEEELb1ELb1EEEN6thrust23THRUST_200600_302600_NS6detail15normal_iteratorINS8_10device_ptrIsEEEEjNS1_16block_id_wrapperIjLb0EEEEEvT_jjPNSG_10value_typeET0_PNSt15iterator_traitsISJ_E10value_typeEmT1_T2_ ; -- Begin function _ZN7rocprim17ROCPRIM_400000_NS6detail30init_device_scan_by_key_kernelINS1_19lookback_scan_stateINS0_5tupleIJsbEEELb1ELb1EEEN6thrust23THRUST_200600_302600_NS6detail15normal_iteratorINS8_10device_ptrIsEEEEjNS1_16block_id_wrapperIjLb0EEEEEvT_jjPNSG_10value_typeET0_PNSt15iterator_traitsISJ_E10value_typeEmT1_T2_
	.globl	_ZN7rocprim17ROCPRIM_400000_NS6detail30init_device_scan_by_key_kernelINS1_19lookback_scan_stateINS0_5tupleIJsbEEELb1ELb1EEEN6thrust23THRUST_200600_302600_NS6detail15normal_iteratorINS8_10device_ptrIsEEEEjNS1_16block_id_wrapperIjLb0EEEEEvT_jjPNSG_10value_typeET0_PNSt15iterator_traitsISJ_E10value_typeEmT1_T2_
	.p2align	8
	.type	_ZN7rocprim17ROCPRIM_400000_NS6detail30init_device_scan_by_key_kernelINS1_19lookback_scan_stateINS0_5tupleIJsbEEELb1ELb1EEEN6thrust23THRUST_200600_302600_NS6detail15normal_iteratorINS8_10device_ptrIsEEEEjNS1_16block_id_wrapperIjLb0EEEEEvT_jjPNSG_10value_typeET0_PNSt15iterator_traitsISJ_E10value_typeEmT1_T2_,@function
_ZN7rocprim17ROCPRIM_400000_NS6detail30init_device_scan_by_key_kernelINS1_19lookback_scan_stateINS0_5tupleIJsbEEELb1ELb1EEEN6thrust23THRUST_200600_302600_NS6detail15normal_iteratorINS8_10device_ptrIsEEEEjNS1_16block_id_wrapperIjLb0EEEEEvT_jjPNSG_10value_typeET0_PNSt15iterator_traitsISJ_E10value_typeEmT1_T2_: ; @_ZN7rocprim17ROCPRIM_400000_NS6detail30init_device_scan_by_key_kernelINS1_19lookback_scan_stateINS0_5tupleIJsbEEELb1ELb1EEEN6thrust23THRUST_200600_302600_NS6detail15normal_iteratorINS8_10device_ptrIsEEEEjNS1_16block_id_wrapperIjLb0EEEEEvT_jjPNSG_10value_typeET0_PNSt15iterator_traitsISJ_E10value_typeEmT1_T2_
; %bb.0:
	s_load_dword s3, s[0:1], 0x44
	s_load_dwordx8 s[4:11], s[0:1], 0x0
	s_load_dword s14, s[0:1], 0x38
	s_waitcnt lgkmcnt(0)
	s_and_b32 s15, s3, 0xffff
	s_mul_i32 s2, s2, s15
	s_cmp_eq_u64 s[8:9], 0
	v_add_u32_e32 v0, s2, v0
	s_cbranch_scc1 .LBB259_9
; %bb.1:
	s_cmp_lt_u32 s7, s6
	s_cselect_b32 s2, s7, 0
	s_mov_b32 s13, 0
	v_cmp_eq_u32_e32 vcc, s2, v0
	s_and_saveexec_b64 s[2:3], vcc
	s_cbranch_execz .LBB259_8
; %bb.2:
	s_add_i32 s12, s7, 64
	s_lshl_b64 s[12:13], s[12:13], 3
	s_add_u32 s12, s4, s12
	s_addc_u32 s13, s5, s13
	v_mov_b32_e32 v2, 0
	global_load_dwordx2 v[4:5], v2, s[12:13] sc1
	s_waitcnt vmcnt(0)
	v_and_b32_e32 v3, 0xff, v5
	v_cmp_ne_u64_e32 vcc, 0, v[2:3]
	s_cbranch_vccnz .LBB259_7
; %bb.3:
	s_mov_b32 s7, 1
.LBB259_4:                              ; =>This Loop Header: Depth=1
                                        ;     Child Loop BB259_5 Depth 2
	s_max_u32 s16, s7, 1
.LBB259_5:                              ;   Parent Loop BB259_4 Depth=1
                                        ; =>  This Inner Loop Header: Depth=2
	s_add_i32 s16, s16, -1
	s_cmp_eq_u32 s16, 0
	s_sleep 1
	s_cbranch_scc0 .LBB259_5
; %bb.6:                                ;   in Loop: Header=BB259_4 Depth=1
	global_load_dwordx2 v[4:5], v2, s[12:13] sc1
	s_cmp_lt_u32 s7, 32
	s_cselect_b64 s[16:17], -1, 0
	s_cmp_lg_u64 s[16:17], 0
	s_addc_u32 s7, s7, 0
	s_waitcnt vmcnt(0)
	v_and_b32_e32 v3, 0xff, v5
	v_cmp_ne_u64_e32 vcc, 0, v[2:3]
	s_cbranch_vccz .LBB259_4
.LBB259_7:
	v_mov_b32_e32 v1, 0
	global_store_short v1, v4, s[8:9]
	global_store_byte_d16_hi v1, v4, s[8:9] offset:2
.LBB259_8:
	s_or_b64 exec, exec, s[2:3]
.LBB259_9:
	v_cmp_gt_u32_e32 vcc, s6, v0
	s_and_saveexec_b64 s[2:3], vcc
	s_cbranch_execz .LBB259_11
; %bb.10:
	v_add_u32_e32 v2, 64, v0
	v_mov_b32_e32 v3, 0
	v_lshl_add_u64 v[4:5], v[2:3], 3, s[4:5]
	v_mov_b32_e32 v2, v3
	global_store_dwordx2 v[4:5], v[2:3], off
.LBB259_11:
	s_or_b64 exec, exec, s[2:3]
	v_cmp_gt_u32_e32 vcc, 64, v0
	v_mov_b32_e32 v1, 0
	s_and_saveexec_b64 s[2:3], vcc
	s_cbranch_execz .LBB259_13
; %bb.12:
	v_lshl_add_u64 v[2:3], v[0:1], 3, s[4:5]
	v_mov_b32_e32 v5, 0xff
	v_mov_b32_e32 v4, v1
	global_store_dwordx2 v[2:3], v[4:5], off
.LBB259_13:
	s_or_b64 exec, exec, s[2:3]
	s_load_dwordx2 s[2:3], s[0:1], 0x28
	s_waitcnt lgkmcnt(0)
	v_cmp_gt_u64_e32 vcc, s[2:3], v[0:1]
	s_and_saveexec_b64 s[4:5], vcc
	s_cbranch_execz .LBB259_16
; %bb.14:
	s_load_dword s12, s[0:1], 0x30
	s_load_dwordx2 s[6:7], s[0:1], 0x20
	s_mov_b32 s5, 0
	s_mov_b32 s1, s5
	s_mul_i32 s0, s14, s15
	s_waitcnt lgkmcnt(0)
	s_add_i32 s4, s12, -1
	s_lshl_b64 s[4:5], s[4:5], 1
	s_add_u32 s4, s10, s4
	v_mad_u64_u32 v[2:3], s[8:9], s12, v0, 0
	s_addc_u32 s5, s11, s5
	v_lshl_add_u64 v[2:3], v[2:3], 1, s[4:5]
	s_mul_hi_u32 s5, s12, s0
	s_mul_i32 s4, s12, s0
	s_lshl_b64 s[4:5], s[4:5], 1
	v_lshl_add_u64 v[4:5], v[0:1], 1, s[6:7]
	s_lshl_b64 s[6:7], s[0:1], 1
	s_mov_b64 s[8:9], 0
.LBB259_15:                             ; =>This Inner Loop Header: Depth=1
	global_load_ushort v6, v[2:3], off
	v_lshl_add_u64 v[0:1], v[0:1], 0, s[0:1]
	v_cmp_le_u64_e32 vcc, s[2:3], v[0:1]
	v_lshl_add_u64 v[2:3], v[2:3], 0, s[4:5]
	s_or_b64 s[8:9], vcc, s[8:9]
	s_waitcnt vmcnt(0)
	global_store_short v[4:5], v6, off
	v_lshl_add_u64 v[4:5], v[4:5], 0, s[6:7]
	s_andn2_b64 exec, exec, s[8:9]
	s_cbranch_execnz .LBB259_15
.LBB259_16:
	s_endpgm
	.section	.rodata,"a",@progbits
	.p2align	6, 0x0
	.amdhsa_kernel _ZN7rocprim17ROCPRIM_400000_NS6detail30init_device_scan_by_key_kernelINS1_19lookback_scan_stateINS0_5tupleIJsbEEELb1ELb1EEEN6thrust23THRUST_200600_302600_NS6detail15normal_iteratorINS8_10device_ptrIsEEEEjNS1_16block_id_wrapperIjLb0EEEEEvT_jjPNSG_10value_typeET0_PNSt15iterator_traitsISJ_E10value_typeEmT1_T2_
		.amdhsa_group_segment_fixed_size 0
		.amdhsa_private_segment_fixed_size 0
		.amdhsa_kernarg_size 312
		.amdhsa_user_sgpr_count 2
		.amdhsa_user_sgpr_dispatch_ptr 0
		.amdhsa_user_sgpr_queue_ptr 0
		.amdhsa_user_sgpr_kernarg_segment_ptr 1
		.amdhsa_user_sgpr_dispatch_id 0
		.amdhsa_user_sgpr_kernarg_preload_length 0
		.amdhsa_user_sgpr_kernarg_preload_offset 0
		.amdhsa_user_sgpr_private_segment_size 0
		.amdhsa_uses_dynamic_stack 0
		.amdhsa_enable_private_segment 0
		.amdhsa_system_sgpr_workgroup_id_x 1
		.amdhsa_system_sgpr_workgroup_id_y 0
		.amdhsa_system_sgpr_workgroup_id_z 0
		.amdhsa_system_sgpr_workgroup_info 0
		.amdhsa_system_vgpr_workitem_id 0
		.amdhsa_next_free_vgpr 7
		.amdhsa_next_free_sgpr 18
		.amdhsa_accum_offset 8
		.amdhsa_reserve_vcc 1
		.amdhsa_float_round_mode_32 0
		.amdhsa_float_round_mode_16_64 0
		.amdhsa_float_denorm_mode_32 3
		.amdhsa_float_denorm_mode_16_64 3
		.amdhsa_dx10_clamp 1
		.amdhsa_ieee_mode 1
		.amdhsa_fp16_overflow 0
		.amdhsa_tg_split 0
		.amdhsa_exception_fp_ieee_invalid_op 0
		.amdhsa_exception_fp_denorm_src 0
		.amdhsa_exception_fp_ieee_div_zero 0
		.amdhsa_exception_fp_ieee_overflow 0
		.amdhsa_exception_fp_ieee_underflow 0
		.amdhsa_exception_fp_ieee_inexact 0
		.amdhsa_exception_int_div_zero 0
	.end_amdhsa_kernel
	.section	.text._ZN7rocprim17ROCPRIM_400000_NS6detail30init_device_scan_by_key_kernelINS1_19lookback_scan_stateINS0_5tupleIJsbEEELb1ELb1EEEN6thrust23THRUST_200600_302600_NS6detail15normal_iteratorINS8_10device_ptrIsEEEEjNS1_16block_id_wrapperIjLb0EEEEEvT_jjPNSG_10value_typeET0_PNSt15iterator_traitsISJ_E10value_typeEmT1_T2_,"axG",@progbits,_ZN7rocprim17ROCPRIM_400000_NS6detail30init_device_scan_by_key_kernelINS1_19lookback_scan_stateINS0_5tupleIJsbEEELb1ELb1EEEN6thrust23THRUST_200600_302600_NS6detail15normal_iteratorINS8_10device_ptrIsEEEEjNS1_16block_id_wrapperIjLb0EEEEEvT_jjPNSG_10value_typeET0_PNSt15iterator_traitsISJ_E10value_typeEmT1_T2_,comdat
.Lfunc_end259:
	.size	_ZN7rocprim17ROCPRIM_400000_NS6detail30init_device_scan_by_key_kernelINS1_19lookback_scan_stateINS0_5tupleIJsbEEELb1ELb1EEEN6thrust23THRUST_200600_302600_NS6detail15normal_iteratorINS8_10device_ptrIsEEEEjNS1_16block_id_wrapperIjLb0EEEEEvT_jjPNSG_10value_typeET0_PNSt15iterator_traitsISJ_E10value_typeEmT1_T2_, .Lfunc_end259-_ZN7rocprim17ROCPRIM_400000_NS6detail30init_device_scan_by_key_kernelINS1_19lookback_scan_stateINS0_5tupleIJsbEEELb1ELb1EEEN6thrust23THRUST_200600_302600_NS6detail15normal_iteratorINS8_10device_ptrIsEEEEjNS1_16block_id_wrapperIjLb0EEEEEvT_jjPNSG_10value_typeET0_PNSt15iterator_traitsISJ_E10value_typeEmT1_T2_
                                        ; -- End function
	.section	.AMDGPU.csdata,"",@progbits
; Kernel info:
; codeLenInByte = 488
; NumSgprs: 24
; NumVgprs: 7
; NumAgprs: 0
; TotalNumVgprs: 7
; ScratchSize: 0
; MemoryBound: 0
; FloatMode: 240
; IeeeMode: 1
; LDSByteSize: 0 bytes/workgroup (compile time only)
; SGPRBlocks: 2
; VGPRBlocks: 0
; NumSGPRsForWavesPerEU: 24
; NumVGPRsForWavesPerEU: 7
; AccumOffset: 8
; Occupancy: 8
; WaveLimiterHint : 0
; COMPUTE_PGM_RSRC2:SCRATCH_EN: 0
; COMPUTE_PGM_RSRC2:USER_SGPR: 2
; COMPUTE_PGM_RSRC2:TRAP_HANDLER: 0
; COMPUTE_PGM_RSRC2:TGID_X_EN: 1
; COMPUTE_PGM_RSRC2:TGID_Y_EN: 0
; COMPUTE_PGM_RSRC2:TGID_Z_EN: 0
; COMPUTE_PGM_RSRC2:TIDIG_COMP_CNT: 0
; COMPUTE_PGM_RSRC3_GFX90A:ACCUM_OFFSET: 1
; COMPUTE_PGM_RSRC3_GFX90A:TG_SPLIT: 0
	.section	.text._ZN7rocprim17ROCPRIM_400000_NS6detail30init_device_scan_by_key_kernelINS1_19lookback_scan_stateINS0_5tupleIJsbEEELb1ELb1EEENS1_16block_id_wrapperIjLb0EEEEEvT_jjPNS9_10value_typeET0_,"axG",@progbits,_ZN7rocprim17ROCPRIM_400000_NS6detail30init_device_scan_by_key_kernelINS1_19lookback_scan_stateINS0_5tupleIJsbEEELb1ELb1EEENS1_16block_id_wrapperIjLb0EEEEEvT_jjPNS9_10value_typeET0_,comdat
	.protected	_ZN7rocprim17ROCPRIM_400000_NS6detail30init_device_scan_by_key_kernelINS1_19lookback_scan_stateINS0_5tupleIJsbEEELb1ELb1EEENS1_16block_id_wrapperIjLb0EEEEEvT_jjPNS9_10value_typeET0_ ; -- Begin function _ZN7rocprim17ROCPRIM_400000_NS6detail30init_device_scan_by_key_kernelINS1_19lookback_scan_stateINS0_5tupleIJsbEEELb1ELb1EEENS1_16block_id_wrapperIjLb0EEEEEvT_jjPNS9_10value_typeET0_
	.globl	_ZN7rocprim17ROCPRIM_400000_NS6detail30init_device_scan_by_key_kernelINS1_19lookback_scan_stateINS0_5tupleIJsbEEELb1ELb1EEENS1_16block_id_wrapperIjLb0EEEEEvT_jjPNS9_10value_typeET0_
	.p2align	8
	.type	_ZN7rocprim17ROCPRIM_400000_NS6detail30init_device_scan_by_key_kernelINS1_19lookback_scan_stateINS0_5tupleIJsbEEELb1ELb1EEENS1_16block_id_wrapperIjLb0EEEEEvT_jjPNS9_10value_typeET0_,@function
_ZN7rocprim17ROCPRIM_400000_NS6detail30init_device_scan_by_key_kernelINS1_19lookback_scan_stateINS0_5tupleIJsbEEELb1ELb1EEENS1_16block_id_wrapperIjLb0EEEEEvT_jjPNS9_10value_typeET0_: ; @_ZN7rocprim17ROCPRIM_400000_NS6detail30init_device_scan_by_key_kernelINS1_19lookback_scan_stateINS0_5tupleIJsbEEELb1ELb1EEENS1_16block_id_wrapperIjLb0EEEEEvT_jjPNS9_10value_typeET0_
; %bb.0:
	s_load_dword s3, s[0:1], 0x2c
	s_load_dwordx2 s[8:9], s[0:1], 0x10
	s_load_dwordx4 s[4:7], s[0:1], 0x0
	s_waitcnt lgkmcnt(0)
	s_and_b32 s0, s3, 0xffff
	s_mul_i32 s2, s2, s0
	s_cmp_eq_u64 s[8:9], 0
	v_add_u32_e32 v0, s2, v0
	s_cbranch_scc1 .LBB260_9
; %bb.1:
	s_cmp_lt_u32 s7, s6
	s_cselect_b32 s0, s7, 0
	s_mov_b32 s3, 0
	v_cmp_eq_u32_e32 vcc, s0, v0
	s_and_saveexec_b64 s[0:1], vcc
	s_cbranch_execz .LBB260_8
; %bb.2:
	s_add_i32 s2, s7, 64
	s_lshl_b64 s[2:3], s[2:3], 3
	s_add_u32 s2, s4, s2
	s_addc_u32 s3, s5, s3
	v_mov_b32_e32 v2, 0
	global_load_dwordx2 v[4:5], v2, s[2:3] sc1
	s_waitcnt vmcnt(0)
	v_and_b32_e32 v3, 0xff, v5
	v_cmp_ne_u64_e32 vcc, 0, v[2:3]
	s_cbranch_vccnz .LBB260_7
; %bb.3:
	s_mov_b32 s7, 1
.LBB260_4:                              ; =>This Loop Header: Depth=1
                                        ;     Child Loop BB260_5 Depth 2
	s_max_u32 s10, s7, 1
.LBB260_5:                              ;   Parent Loop BB260_4 Depth=1
                                        ; =>  This Inner Loop Header: Depth=2
	s_add_i32 s10, s10, -1
	s_cmp_eq_u32 s10, 0
	s_sleep 1
	s_cbranch_scc0 .LBB260_5
; %bb.6:                                ;   in Loop: Header=BB260_4 Depth=1
	global_load_dwordx2 v[4:5], v2, s[2:3] sc1
	s_cmp_lt_u32 s7, 32
	s_cselect_b64 s[10:11], -1, 0
	s_cmp_lg_u64 s[10:11], 0
	s_addc_u32 s7, s7, 0
	s_waitcnt vmcnt(0)
	v_and_b32_e32 v3, 0xff, v5
	v_cmp_ne_u64_e32 vcc, 0, v[2:3]
	s_cbranch_vccz .LBB260_4
.LBB260_7:
	v_mov_b32_e32 v1, 0
	global_store_short v1, v4, s[8:9]
	global_store_byte_d16_hi v1, v4, s[8:9] offset:2
.LBB260_8:
	s_or_b64 exec, exec, s[0:1]
.LBB260_9:
	v_cmp_gt_u32_e32 vcc, s6, v0
	s_and_saveexec_b64 s[0:1], vcc
	s_cbranch_execnz .LBB260_12
; %bb.10:
	s_or_b64 exec, exec, s[0:1]
	v_cmp_gt_u32_e32 vcc, 64, v0
	s_and_saveexec_b64 s[0:1], vcc
	s_cbranch_execnz .LBB260_13
.LBB260_11:
	s_endpgm
.LBB260_12:
	v_add_u32_e32 v2, 64, v0
	v_mov_b32_e32 v3, 0
	v_lshl_add_u64 v[4:5], v[2:3], 3, s[4:5]
	v_mov_b32_e32 v2, v3
	global_store_dwordx2 v[4:5], v[2:3], off
	s_or_b64 exec, exec, s[0:1]
	v_cmp_gt_u32_e32 vcc, 64, v0
	s_and_saveexec_b64 s[0:1], vcc
	s_cbranch_execz .LBB260_11
.LBB260_13:
	v_mov_b32_e32 v1, 0
	v_lshl_add_u64 v[2:3], v[0:1], 3, s[4:5]
	v_mov_b32_e32 v5, 0xff
	v_mov_b32_e32 v4, v1
	global_store_dwordx2 v[2:3], v[4:5], off
	s_endpgm
	.section	.rodata,"a",@progbits
	.p2align	6, 0x0
	.amdhsa_kernel _ZN7rocprim17ROCPRIM_400000_NS6detail30init_device_scan_by_key_kernelINS1_19lookback_scan_stateINS0_5tupleIJsbEEELb1ELb1EEENS1_16block_id_wrapperIjLb0EEEEEvT_jjPNS9_10value_typeET0_
		.amdhsa_group_segment_fixed_size 0
		.amdhsa_private_segment_fixed_size 0
		.amdhsa_kernarg_size 288
		.amdhsa_user_sgpr_count 2
		.amdhsa_user_sgpr_dispatch_ptr 0
		.amdhsa_user_sgpr_queue_ptr 0
		.amdhsa_user_sgpr_kernarg_segment_ptr 1
		.amdhsa_user_sgpr_dispatch_id 0
		.amdhsa_user_sgpr_kernarg_preload_length 0
		.amdhsa_user_sgpr_kernarg_preload_offset 0
		.amdhsa_user_sgpr_private_segment_size 0
		.amdhsa_uses_dynamic_stack 0
		.amdhsa_enable_private_segment 0
		.amdhsa_system_sgpr_workgroup_id_x 1
		.amdhsa_system_sgpr_workgroup_id_y 0
		.amdhsa_system_sgpr_workgroup_id_z 0
		.amdhsa_system_sgpr_workgroup_info 0
		.amdhsa_system_vgpr_workitem_id 0
		.amdhsa_next_free_vgpr 6
		.amdhsa_next_free_sgpr 12
		.amdhsa_accum_offset 8
		.amdhsa_reserve_vcc 1
		.amdhsa_float_round_mode_32 0
		.amdhsa_float_round_mode_16_64 0
		.amdhsa_float_denorm_mode_32 3
		.amdhsa_float_denorm_mode_16_64 3
		.amdhsa_dx10_clamp 1
		.amdhsa_ieee_mode 1
		.amdhsa_fp16_overflow 0
		.amdhsa_tg_split 0
		.amdhsa_exception_fp_ieee_invalid_op 0
		.amdhsa_exception_fp_denorm_src 0
		.amdhsa_exception_fp_ieee_div_zero 0
		.amdhsa_exception_fp_ieee_overflow 0
		.amdhsa_exception_fp_ieee_underflow 0
		.amdhsa_exception_fp_ieee_inexact 0
		.amdhsa_exception_int_div_zero 0
	.end_amdhsa_kernel
	.section	.text._ZN7rocprim17ROCPRIM_400000_NS6detail30init_device_scan_by_key_kernelINS1_19lookback_scan_stateINS0_5tupleIJsbEEELb1ELb1EEENS1_16block_id_wrapperIjLb0EEEEEvT_jjPNS9_10value_typeET0_,"axG",@progbits,_ZN7rocprim17ROCPRIM_400000_NS6detail30init_device_scan_by_key_kernelINS1_19lookback_scan_stateINS0_5tupleIJsbEEELb1ELb1EEENS1_16block_id_wrapperIjLb0EEEEEvT_jjPNS9_10value_typeET0_,comdat
.Lfunc_end260:
	.size	_ZN7rocprim17ROCPRIM_400000_NS6detail30init_device_scan_by_key_kernelINS1_19lookback_scan_stateINS0_5tupleIJsbEEELb1ELb1EEENS1_16block_id_wrapperIjLb0EEEEEvT_jjPNS9_10value_typeET0_, .Lfunc_end260-_ZN7rocprim17ROCPRIM_400000_NS6detail30init_device_scan_by_key_kernelINS1_19lookback_scan_stateINS0_5tupleIJsbEEELb1ELb1EEENS1_16block_id_wrapperIjLb0EEEEEvT_jjPNS9_10value_typeET0_
                                        ; -- End function
	.section	.AMDGPU.csdata,"",@progbits
; Kernel info:
; codeLenInByte = 328
; NumSgprs: 18
; NumVgprs: 6
; NumAgprs: 0
; TotalNumVgprs: 6
; ScratchSize: 0
; MemoryBound: 0
; FloatMode: 240
; IeeeMode: 1
; LDSByteSize: 0 bytes/workgroup (compile time only)
; SGPRBlocks: 2
; VGPRBlocks: 0
; NumSGPRsForWavesPerEU: 18
; NumVGPRsForWavesPerEU: 6
; AccumOffset: 8
; Occupancy: 8
; WaveLimiterHint : 0
; COMPUTE_PGM_RSRC2:SCRATCH_EN: 0
; COMPUTE_PGM_RSRC2:USER_SGPR: 2
; COMPUTE_PGM_RSRC2:TRAP_HANDLER: 0
; COMPUTE_PGM_RSRC2:TGID_X_EN: 1
; COMPUTE_PGM_RSRC2:TGID_Y_EN: 0
; COMPUTE_PGM_RSRC2:TGID_Z_EN: 0
; COMPUTE_PGM_RSRC2:TIDIG_COMP_CNT: 0
; COMPUTE_PGM_RSRC3_GFX90A:ACCUM_OFFSET: 1
; COMPUTE_PGM_RSRC3_GFX90A:TG_SPLIT: 0
	.section	.text._ZN7rocprim17ROCPRIM_400000_NS6detail17trampoline_kernelINS0_14default_configENS1_27scan_by_key_config_selectorIssEEZZNS1_16scan_by_key_implILNS1_25lookback_scan_determinismE0ELb0ES3_N6thrust23THRUST_200600_302600_NS6detail15normal_iteratorINS9_10device_ptrIsEEEESE_SE_sNS9_4plusIvEENS9_8equal_toIvEEsEE10hipError_tPvRmT2_T3_T4_T5_mT6_T7_P12ihipStream_tbENKUlT_T0_E_clISt17integral_constantIbLb1EESY_IbLb0EEEEDaSU_SV_EUlSU_E_NS1_11comp_targetILNS1_3genE0ELNS1_11target_archE4294967295ELNS1_3gpuE0ELNS1_3repE0EEENS1_30default_config_static_selectorELNS0_4arch9wavefront6targetE1EEEvT1_,"axG",@progbits,_ZN7rocprim17ROCPRIM_400000_NS6detail17trampoline_kernelINS0_14default_configENS1_27scan_by_key_config_selectorIssEEZZNS1_16scan_by_key_implILNS1_25lookback_scan_determinismE0ELb0ES3_N6thrust23THRUST_200600_302600_NS6detail15normal_iteratorINS9_10device_ptrIsEEEESE_SE_sNS9_4plusIvEENS9_8equal_toIvEEsEE10hipError_tPvRmT2_T3_T4_T5_mT6_T7_P12ihipStream_tbENKUlT_T0_E_clISt17integral_constantIbLb1EESY_IbLb0EEEEDaSU_SV_EUlSU_E_NS1_11comp_targetILNS1_3genE0ELNS1_11target_archE4294967295ELNS1_3gpuE0ELNS1_3repE0EEENS1_30default_config_static_selectorELNS0_4arch9wavefront6targetE1EEEvT1_,comdat
	.protected	_ZN7rocprim17ROCPRIM_400000_NS6detail17trampoline_kernelINS0_14default_configENS1_27scan_by_key_config_selectorIssEEZZNS1_16scan_by_key_implILNS1_25lookback_scan_determinismE0ELb0ES3_N6thrust23THRUST_200600_302600_NS6detail15normal_iteratorINS9_10device_ptrIsEEEESE_SE_sNS9_4plusIvEENS9_8equal_toIvEEsEE10hipError_tPvRmT2_T3_T4_T5_mT6_T7_P12ihipStream_tbENKUlT_T0_E_clISt17integral_constantIbLb1EESY_IbLb0EEEEDaSU_SV_EUlSU_E_NS1_11comp_targetILNS1_3genE0ELNS1_11target_archE4294967295ELNS1_3gpuE0ELNS1_3repE0EEENS1_30default_config_static_selectorELNS0_4arch9wavefront6targetE1EEEvT1_ ; -- Begin function _ZN7rocprim17ROCPRIM_400000_NS6detail17trampoline_kernelINS0_14default_configENS1_27scan_by_key_config_selectorIssEEZZNS1_16scan_by_key_implILNS1_25lookback_scan_determinismE0ELb0ES3_N6thrust23THRUST_200600_302600_NS6detail15normal_iteratorINS9_10device_ptrIsEEEESE_SE_sNS9_4plusIvEENS9_8equal_toIvEEsEE10hipError_tPvRmT2_T3_T4_T5_mT6_T7_P12ihipStream_tbENKUlT_T0_E_clISt17integral_constantIbLb1EESY_IbLb0EEEEDaSU_SV_EUlSU_E_NS1_11comp_targetILNS1_3genE0ELNS1_11target_archE4294967295ELNS1_3gpuE0ELNS1_3repE0EEENS1_30default_config_static_selectorELNS0_4arch9wavefront6targetE1EEEvT1_
	.globl	_ZN7rocprim17ROCPRIM_400000_NS6detail17trampoline_kernelINS0_14default_configENS1_27scan_by_key_config_selectorIssEEZZNS1_16scan_by_key_implILNS1_25lookback_scan_determinismE0ELb0ES3_N6thrust23THRUST_200600_302600_NS6detail15normal_iteratorINS9_10device_ptrIsEEEESE_SE_sNS9_4plusIvEENS9_8equal_toIvEEsEE10hipError_tPvRmT2_T3_T4_T5_mT6_T7_P12ihipStream_tbENKUlT_T0_E_clISt17integral_constantIbLb1EESY_IbLb0EEEEDaSU_SV_EUlSU_E_NS1_11comp_targetILNS1_3genE0ELNS1_11target_archE4294967295ELNS1_3gpuE0ELNS1_3repE0EEENS1_30default_config_static_selectorELNS0_4arch9wavefront6targetE1EEEvT1_
	.p2align	8
	.type	_ZN7rocprim17ROCPRIM_400000_NS6detail17trampoline_kernelINS0_14default_configENS1_27scan_by_key_config_selectorIssEEZZNS1_16scan_by_key_implILNS1_25lookback_scan_determinismE0ELb0ES3_N6thrust23THRUST_200600_302600_NS6detail15normal_iteratorINS9_10device_ptrIsEEEESE_SE_sNS9_4plusIvEENS9_8equal_toIvEEsEE10hipError_tPvRmT2_T3_T4_T5_mT6_T7_P12ihipStream_tbENKUlT_T0_E_clISt17integral_constantIbLb1EESY_IbLb0EEEEDaSU_SV_EUlSU_E_NS1_11comp_targetILNS1_3genE0ELNS1_11target_archE4294967295ELNS1_3gpuE0ELNS1_3repE0EEENS1_30default_config_static_selectorELNS0_4arch9wavefront6targetE1EEEvT1_,@function
_ZN7rocprim17ROCPRIM_400000_NS6detail17trampoline_kernelINS0_14default_configENS1_27scan_by_key_config_selectorIssEEZZNS1_16scan_by_key_implILNS1_25lookback_scan_determinismE0ELb0ES3_N6thrust23THRUST_200600_302600_NS6detail15normal_iteratorINS9_10device_ptrIsEEEESE_SE_sNS9_4plusIvEENS9_8equal_toIvEEsEE10hipError_tPvRmT2_T3_T4_T5_mT6_T7_P12ihipStream_tbENKUlT_T0_E_clISt17integral_constantIbLb1EESY_IbLb0EEEEDaSU_SV_EUlSU_E_NS1_11comp_targetILNS1_3genE0ELNS1_11target_archE4294967295ELNS1_3gpuE0ELNS1_3repE0EEENS1_30default_config_static_selectorELNS0_4arch9wavefront6targetE1EEEvT1_: ; @_ZN7rocprim17ROCPRIM_400000_NS6detail17trampoline_kernelINS0_14default_configENS1_27scan_by_key_config_selectorIssEEZZNS1_16scan_by_key_implILNS1_25lookback_scan_determinismE0ELb0ES3_N6thrust23THRUST_200600_302600_NS6detail15normal_iteratorINS9_10device_ptrIsEEEESE_SE_sNS9_4plusIvEENS9_8equal_toIvEEsEE10hipError_tPvRmT2_T3_T4_T5_mT6_T7_P12ihipStream_tbENKUlT_T0_E_clISt17integral_constantIbLb1EESY_IbLb0EEEEDaSU_SV_EUlSU_E_NS1_11comp_targetILNS1_3genE0ELNS1_11target_archE4294967295ELNS1_3gpuE0ELNS1_3repE0EEENS1_30default_config_static_selectorELNS0_4arch9wavefront6targetE1EEEvT1_
; %bb.0:
	.section	.rodata,"a",@progbits
	.p2align	6, 0x0
	.amdhsa_kernel _ZN7rocprim17ROCPRIM_400000_NS6detail17trampoline_kernelINS0_14default_configENS1_27scan_by_key_config_selectorIssEEZZNS1_16scan_by_key_implILNS1_25lookback_scan_determinismE0ELb0ES3_N6thrust23THRUST_200600_302600_NS6detail15normal_iteratorINS9_10device_ptrIsEEEESE_SE_sNS9_4plusIvEENS9_8equal_toIvEEsEE10hipError_tPvRmT2_T3_T4_T5_mT6_T7_P12ihipStream_tbENKUlT_T0_E_clISt17integral_constantIbLb1EESY_IbLb0EEEEDaSU_SV_EUlSU_E_NS1_11comp_targetILNS1_3genE0ELNS1_11target_archE4294967295ELNS1_3gpuE0ELNS1_3repE0EEENS1_30default_config_static_selectorELNS0_4arch9wavefront6targetE1EEEvT1_
		.amdhsa_group_segment_fixed_size 0
		.amdhsa_private_segment_fixed_size 0
		.amdhsa_kernarg_size 112
		.amdhsa_user_sgpr_count 2
		.amdhsa_user_sgpr_dispatch_ptr 0
		.amdhsa_user_sgpr_queue_ptr 0
		.amdhsa_user_sgpr_kernarg_segment_ptr 1
		.amdhsa_user_sgpr_dispatch_id 0
		.amdhsa_user_sgpr_kernarg_preload_length 0
		.amdhsa_user_sgpr_kernarg_preload_offset 0
		.amdhsa_user_sgpr_private_segment_size 0
		.amdhsa_uses_dynamic_stack 0
		.amdhsa_enable_private_segment 0
		.amdhsa_system_sgpr_workgroup_id_x 1
		.amdhsa_system_sgpr_workgroup_id_y 0
		.amdhsa_system_sgpr_workgroup_id_z 0
		.amdhsa_system_sgpr_workgroup_info 0
		.amdhsa_system_vgpr_workitem_id 0
		.amdhsa_next_free_vgpr 1
		.amdhsa_next_free_sgpr 0
		.amdhsa_accum_offset 4
		.amdhsa_reserve_vcc 0
		.amdhsa_float_round_mode_32 0
		.amdhsa_float_round_mode_16_64 0
		.amdhsa_float_denorm_mode_32 3
		.amdhsa_float_denorm_mode_16_64 3
		.amdhsa_dx10_clamp 1
		.amdhsa_ieee_mode 1
		.amdhsa_fp16_overflow 0
		.amdhsa_tg_split 0
		.amdhsa_exception_fp_ieee_invalid_op 0
		.amdhsa_exception_fp_denorm_src 0
		.amdhsa_exception_fp_ieee_div_zero 0
		.amdhsa_exception_fp_ieee_overflow 0
		.amdhsa_exception_fp_ieee_underflow 0
		.amdhsa_exception_fp_ieee_inexact 0
		.amdhsa_exception_int_div_zero 0
	.end_amdhsa_kernel
	.section	.text._ZN7rocprim17ROCPRIM_400000_NS6detail17trampoline_kernelINS0_14default_configENS1_27scan_by_key_config_selectorIssEEZZNS1_16scan_by_key_implILNS1_25lookback_scan_determinismE0ELb0ES3_N6thrust23THRUST_200600_302600_NS6detail15normal_iteratorINS9_10device_ptrIsEEEESE_SE_sNS9_4plusIvEENS9_8equal_toIvEEsEE10hipError_tPvRmT2_T3_T4_T5_mT6_T7_P12ihipStream_tbENKUlT_T0_E_clISt17integral_constantIbLb1EESY_IbLb0EEEEDaSU_SV_EUlSU_E_NS1_11comp_targetILNS1_3genE0ELNS1_11target_archE4294967295ELNS1_3gpuE0ELNS1_3repE0EEENS1_30default_config_static_selectorELNS0_4arch9wavefront6targetE1EEEvT1_,"axG",@progbits,_ZN7rocprim17ROCPRIM_400000_NS6detail17trampoline_kernelINS0_14default_configENS1_27scan_by_key_config_selectorIssEEZZNS1_16scan_by_key_implILNS1_25lookback_scan_determinismE0ELb0ES3_N6thrust23THRUST_200600_302600_NS6detail15normal_iteratorINS9_10device_ptrIsEEEESE_SE_sNS9_4plusIvEENS9_8equal_toIvEEsEE10hipError_tPvRmT2_T3_T4_T5_mT6_T7_P12ihipStream_tbENKUlT_T0_E_clISt17integral_constantIbLb1EESY_IbLb0EEEEDaSU_SV_EUlSU_E_NS1_11comp_targetILNS1_3genE0ELNS1_11target_archE4294967295ELNS1_3gpuE0ELNS1_3repE0EEENS1_30default_config_static_selectorELNS0_4arch9wavefront6targetE1EEEvT1_,comdat
.Lfunc_end261:
	.size	_ZN7rocprim17ROCPRIM_400000_NS6detail17trampoline_kernelINS0_14default_configENS1_27scan_by_key_config_selectorIssEEZZNS1_16scan_by_key_implILNS1_25lookback_scan_determinismE0ELb0ES3_N6thrust23THRUST_200600_302600_NS6detail15normal_iteratorINS9_10device_ptrIsEEEESE_SE_sNS9_4plusIvEENS9_8equal_toIvEEsEE10hipError_tPvRmT2_T3_T4_T5_mT6_T7_P12ihipStream_tbENKUlT_T0_E_clISt17integral_constantIbLb1EESY_IbLb0EEEEDaSU_SV_EUlSU_E_NS1_11comp_targetILNS1_3genE0ELNS1_11target_archE4294967295ELNS1_3gpuE0ELNS1_3repE0EEENS1_30default_config_static_selectorELNS0_4arch9wavefront6targetE1EEEvT1_, .Lfunc_end261-_ZN7rocprim17ROCPRIM_400000_NS6detail17trampoline_kernelINS0_14default_configENS1_27scan_by_key_config_selectorIssEEZZNS1_16scan_by_key_implILNS1_25lookback_scan_determinismE0ELb0ES3_N6thrust23THRUST_200600_302600_NS6detail15normal_iteratorINS9_10device_ptrIsEEEESE_SE_sNS9_4plusIvEENS9_8equal_toIvEEsEE10hipError_tPvRmT2_T3_T4_T5_mT6_T7_P12ihipStream_tbENKUlT_T0_E_clISt17integral_constantIbLb1EESY_IbLb0EEEEDaSU_SV_EUlSU_E_NS1_11comp_targetILNS1_3genE0ELNS1_11target_archE4294967295ELNS1_3gpuE0ELNS1_3repE0EEENS1_30default_config_static_selectorELNS0_4arch9wavefront6targetE1EEEvT1_
                                        ; -- End function
	.section	.AMDGPU.csdata,"",@progbits
; Kernel info:
; codeLenInByte = 0
; NumSgprs: 6
; NumVgprs: 0
; NumAgprs: 0
; TotalNumVgprs: 0
; ScratchSize: 0
; MemoryBound: 0
; FloatMode: 240
; IeeeMode: 1
; LDSByteSize: 0 bytes/workgroup (compile time only)
; SGPRBlocks: 0
; VGPRBlocks: 0
; NumSGPRsForWavesPerEU: 6
; NumVGPRsForWavesPerEU: 1
; AccumOffset: 4
; Occupancy: 8
; WaveLimiterHint : 0
; COMPUTE_PGM_RSRC2:SCRATCH_EN: 0
; COMPUTE_PGM_RSRC2:USER_SGPR: 2
; COMPUTE_PGM_RSRC2:TRAP_HANDLER: 0
; COMPUTE_PGM_RSRC2:TGID_X_EN: 1
; COMPUTE_PGM_RSRC2:TGID_Y_EN: 0
; COMPUTE_PGM_RSRC2:TGID_Z_EN: 0
; COMPUTE_PGM_RSRC2:TIDIG_COMP_CNT: 0
; COMPUTE_PGM_RSRC3_GFX90A:ACCUM_OFFSET: 0
; COMPUTE_PGM_RSRC3_GFX90A:TG_SPLIT: 0
	.section	.text._ZN7rocprim17ROCPRIM_400000_NS6detail17trampoline_kernelINS0_14default_configENS1_27scan_by_key_config_selectorIssEEZZNS1_16scan_by_key_implILNS1_25lookback_scan_determinismE0ELb0ES3_N6thrust23THRUST_200600_302600_NS6detail15normal_iteratorINS9_10device_ptrIsEEEESE_SE_sNS9_4plusIvEENS9_8equal_toIvEEsEE10hipError_tPvRmT2_T3_T4_T5_mT6_T7_P12ihipStream_tbENKUlT_T0_E_clISt17integral_constantIbLb1EESY_IbLb0EEEEDaSU_SV_EUlSU_E_NS1_11comp_targetILNS1_3genE10ELNS1_11target_archE1201ELNS1_3gpuE5ELNS1_3repE0EEENS1_30default_config_static_selectorELNS0_4arch9wavefront6targetE1EEEvT1_,"axG",@progbits,_ZN7rocprim17ROCPRIM_400000_NS6detail17trampoline_kernelINS0_14default_configENS1_27scan_by_key_config_selectorIssEEZZNS1_16scan_by_key_implILNS1_25lookback_scan_determinismE0ELb0ES3_N6thrust23THRUST_200600_302600_NS6detail15normal_iteratorINS9_10device_ptrIsEEEESE_SE_sNS9_4plusIvEENS9_8equal_toIvEEsEE10hipError_tPvRmT2_T3_T4_T5_mT6_T7_P12ihipStream_tbENKUlT_T0_E_clISt17integral_constantIbLb1EESY_IbLb0EEEEDaSU_SV_EUlSU_E_NS1_11comp_targetILNS1_3genE10ELNS1_11target_archE1201ELNS1_3gpuE5ELNS1_3repE0EEENS1_30default_config_static_selectorELNS0_4arch9wavefront6targetE1EEEvT1_,comdat
	.protected	_ZN7rocprim17ROCPRIM_400000_NS6detail17trampoline_kernelINS0_14default_configENS1_27scan_by_key_config_selectorIssEEZZNS1_16scan_by_key_implILNS1_25lookback_scan_determinismE0ELb0ES3_N6thrust23THRUST_200600_302600_NS6detail15normal_iteratorINS9_10device_ptrIsEEEESE_SE_sNS9_4plusIvEENS9_8equal_toIvEEsEE10hipError_tPvRmT2_T3_T4_T5_mT6_T7_P12ihipStream_tbENKUlT_T0_E_clISt17integral_constantIbLb1EESY_IbLb0EEEEDaSU_SV_EUlSU_E_NS1_11comp_targetILNS1_3genE10ELNS1_11target_archE1201ELNS1_3gpuE5ELNS1_3repE0EEENS1_30default_config_static_selectorELNS0_4arch9wavefront6targetE1EEEvT1_ ; -- Begin function _ZN7rocprim17ROCPRIM_400000_NS6detail17trampoline_kernelINS0_14default_configENS1_27scan_by_key_config_selectorIssEEZZNS1_16scan_by_key_implILNS1_25lookback_scan_determinismE0ELb0ES3_N6thrust23THRUST_200600_302600_NS6detail15normal_iteratorINS9_10device_ptrIsEEEESE_SE_sNS9_4plusIvEENS9_8equal_toIvEEsEE10hipError_tPvRmT2_T3_T4_T5_mT6_T7_P12ihipStream_tbENKUlT_T0_E_clISt17integral_constantIbLb1EESY_IbLb0EEEEDaSU_SV_EUlSU_E_NS1_11comp_targetILNS1_3genE10ELNS1_11target_archE1201ELNS1_3gpuE5ELNS1_3repE0EEENS1_30default_config_static_selectorELNS0_4arch9wavefront6targetE1EEEvT1_
	.globl	_ZN7rocprim17ROCPRIM_400000_NS6detail17trampoline_kernelINS0_14default_configENS1_27scan_by_key_config_selectorIssEEZZNS1_16scan_by_key_implILNS1_25lookback_scan_determinismE0ELb0ES3_N6thrust23THRUST_200600_302600_NS6detail15normal_iteratorINS9_10device_ptrIsEEEESE_SE_sNS9_4plusIvEENS9_8equal_toIvEEsEE10hipError_tPvRmT2_T3_T4_T5_mT6_T7_P12ihipStream_tbENKUlT_T0_E_clISt17integral_constantIbLb1EESY_IbLb0EEEEDaSU_SV_EUlSU_E_NS1_11comp_targetILNS1_3genE10ELNS1_11target_archE1201ELNS1_3gpuE5ELNS1_3repE0EEENS1_30default_config_static_selectorELNS0_4arch9wavefront6targetE1EEEvT1_
	.p2align	8
	.type	_ZN7rocprim17ROCPRIM_400000_NS6detail17trampoline_kernelINS0_14default_configENS1_27scan_by_key_config_selectorIssEEZZNS1_16scan_by_key_implILNS1_25lookback_scan_determinismE0ELb0ES3_N6thrust23THRUST_200600_302600_NS6detail15normal_iteratorINS9_10device_ptrIsEEEESE_SE_sNS9_4plusIvEENS9_8equal_toIvEEsEE10hipError_tPvRmT2_T3_T4_T5_mT6_T7_P12ihipStream_tbENKUlT_T0_E_clISt17integral_constantIbLb1EESY_IbLb0EEEEDaSU_SV_EUlSU_E_NS1_11comp_targetILNS1_3genE10ELNS1_11target_archE1201ELNS1_3gpuE5ELNS1_3repE0EEENS1_30default_config_static_selectorELNS0_4arch9wavefront6targetE1EEEvT1_,@function
_ZN7rocprim17ROCPRIM_400000_NS6detail17trampoline_kernelINS0_14default_configENS1_27scan_by_key_config_selectorIssEEZZNS1_16scan_by_key_implILNS1_25lookback_scan_determinismE0ELb0ES3_N6thrust23THRUST_200600_302600_NS6detail15normal_iteratorINS9_10device_ptrIsEEEESE_SE_sNS9_4plusIvEENS9_8equal_toIvEEsEE10hipError_tPvRmT2_T3_T4_T5_mT6_T7_P12ihipStream_tbENKUlT_T0_E_clISt17integral_constantIbLb1EESY_IbLb0EEEEDaSU_SV_EUlSU_E_NS1_11comp_targetILNS1_3genE10ELNS1_11target_archE1201ELNS1_3gpuE5ELNS1_3repE0EEENS1_30default_config_static_selectorELNS0_4arch9wavefront6targetE1EEEvT1_: ; @_ZN7rocprim17ROCPRIM_400000_NS6detail17trampoline_kernelINS0_14default_configENS1_27scan_by_key_config_selectorIssEEZZNS1_16scan_by_key_implILNS1_25lookback_scan_determinismE0ELb0ES3_N6thrust23THRUST_200600_302600_NS6detail15normal_iteratorINS9_10device_ptrIsEEEESE_SE_sNS9_4plusIvEENS9_8equal_toIvEEsEE10hipError_tPvRmT2_T3_T4_T5_mT6_T7_P12ihipStream_tbENKUlT_T0_E_clISt17integral_constantIbLb1EESY_IbLb0EEEEDaSU_SV_EUlSU_E_NS1_11comp_targetILNS1_3genE10ELNS1_11target_archE1201ELNS1_3gpuE5ELNS1_3repE0EEENS1_30default_config_static_selectorELNS0_4arch9wavefront6targetE1EEEvT1_
; %bb.0:
	.section	.rodata,"a",@progbits
	.p2align	6, 0x0
	.amdhsa_kernel _ZN7rocprim17ROCPRIM_400000_NS6detail17trampoline_kernelINS0_14default_configENS1_27scan_by_key_config_selectorIssEEZZNS1_16scan_by_key_implILNS1_25lookback_scan_determinismE0ELb0ES3_N6thrust23THRUST_200600_302600_NS6detail15normal_iteratorINS9_10device_ptrIsEEEESE_SE_sNS9_4plusIvEENS9_8equal_toIvEEsEE10hipError_tPvRmT2_T3_T4_T5_mT6_T7_P12ihipStream_tbENKUlT_T0_E_clISt17integral_constantIbLb1EESY_IbLb0EEEEDaSU_SV_EUlSU_E_NS1_11comp_targetILNS1_3genE10ELNS1_11target_archE1201ELNS1_3gpuE5ELNS1_3repE0EEENS1_30default_config_static_selectorELNS0_4arch9wavefront6targetE1EEEvT1_
		.amdhsa_group_segment_fixed_size 0
		.amdhsa_private_segment_fixed_size 0
		.amdhsa_kernarg_size 112
		.amdhsa_user_sgpr_count 2
		.amdhsa_user_sgpr_dispatch_ptr 0
		.amdhsa_user_sgpr_queue_ptr 0
		.amdhsa_user_sgpr_kernarg_segment_ptr 1
		.amdhsa_user_sgpr_dispatch_id 0
		.amdhsa_user_sgpr_kernarg_preload_length 0
		.amdhsa_user_sgpr_kernarg_preload_offset 0
		.amdhsa_user_sgpr_private_segment_size 0
		.amdhsa_uses_dynamic_stack 0
		.amdhsa_enable_private_segment 0
		.amdhsa_system_sgpr_workgroup_id_x 1
		.amdhsa_system_sgpr_workgroup_id_y 0
		.amdhsa_system_sgpr_workgroup_id_z 0
		.amdhsa_system_sgpr_workgroup_info 0
		.amdhsa_system_vgpr_workitem_id 0
		.amdhsa_next_free_vgpr 1
		.amdhsa_next_free_sgpr 0
		.amdhsa_accum_offset 4
		.amdhsa_reserve_vcc 0
		.amdhsa_float_round_mode_32 0
		.amdhsa_float_round_mode_16_64 0
		.amdhsa_float_denorm_mode_32 3
		.amdhsa_float_denorm_mode_16_64 3
		.amdhsa_dx10_clamp 1
		.amdhsa_ieee_mode 1
		.amdhsa_fp16_overflow 0
		.amdhsa_tg_split 0
		.amdhsa_exception_fp_ieee_invalid_op 0
		.amdhsa_exception_fp_denorm_src 0
		.amdhsa_exception_fp_ieee_div_zero 0
		.amdhsa_exception_fp_ieee_overflow 0
		.amdhsa_exception_fp_ieee_underflow 0
		.amdhsa_exception_fp_ieee_inexact 0
		.amdhsa_exception_int_div_zero 0
	.end_amdhsa_kernel
	.section	.text._ZN7rocprim17ROCPRIM_400000_NS6detail17trampoline_kernelINS0_14default_configENS1_27scan_by_key_config_selectorIssEEZZNS1_16scan_by_key_implILNS1_25lookback_scan_determinismE0ELb0ES3_N6thrust23THRUST_200600_302600_NS6detail15normal_iteratorINS9_10device_ptrIsEEEESE_SE_sNS9_4plusIvEENS9_8equal_toIvEEsEE10hipError_tPvRmT2_T3_T4_T5_mT6_T7_P12ihipStream_tbENKUlT_T0_E_clISt17integral_constantIbLb1EESY_IbLb0EEEEDaSU_SV_EUlSU_E_NS1_11comp_targetILNS1_3genE10ELNS1_11target_archE1201ELNS1_3gpuE5ELNS1_3repE0EEENS1_30default_config_static_selectorELNS0_4arch9wavefront6targetE1EEEvT1_,"axG",@progbits,_ZN7rocprim17ROCPRIM_400000_NS6detail17trampoline_kernelINS0_14default_configENS1_27scan_by_key_config_selectorIssEEZZNS1_16scan_by_key_implILNS1_25lookback_scan_determinismE0ELb0ES3_N6thrust23THRUST_200600_302600_NS6detail15normal_iteratorINS9_10device_ptrIsEEEESE_SE_sNS9_4plusIvEENS9_8equal_toIvEEsEE10hipError_tPvRmT2_T3_T4_T5_mT6_T7_P12ihipStream_tbENKUlT_T0_E_clISt17integral_constantIbLb1EESY_IbLb0EEEEDaSU_SV_EUlSU_E_NS1_11comp_targetILNS1_3genE10ELNS1_11target_archE1201ELNS1_3gpuE5ELNS1_3repE0EEENS1_30default_config_static_selectorELNS0_4arch9wavefront6targetE1EEEvT1_,comdat
.Lfunc_end262:
	.size	_ZN7rocprim17ROCPRIM_400000_NS6detail17trampoline_kernelINS0_14default_configENS1_27scan_by_key_config_selectorIssEEZZNS1_16scan_by_key_implILNS1_25lookback_scan_determinismE0ELb0ES3_N6thrust23THRUST_200600_302600_NS6detail15normal_iteratorINS9_10device_ptrIsEEEESE_SE_sNS9_4plusIvEENS9_8equal_toIvEEsEE10hipError_tPvRmT2_T3_T4_T5_mT6_T7_P12ihipStream_tbENKUlT_T0_E_clISt17integral_constantIbLb1EESY_IbLb0EEEEDaSU_SV_EUlSU_E_NS1_11comp_targetILNS1_3genE10ELNS1_11target_archE1201ELNS1_3gpuE5ELNS1_3repE0EEENS1_30default_config_static_selectorELNS0_4arch9wavefront6targetE1EEEvT1_, .Lfunc_end262-_ZN7rocprim17ROCPRIM_400000_NS6detail17trampoline_kernelINS0_14default_configENS1_27scan_by_key_config_selectorIssEEZZNS1_16scan_by_key_implILNS1_25lookback_scan_determinismE0ELb0ES3_N6thrust23THRUST_200600_302600_NS6detail15normal_iteratorINS9_10device_ptrIsEEEESE_SE_sNS9_4plusIvEENS9_8equal_toIvEEsEE10hipError_tPvRmT2_T3_T4_T5_mT6_T7_P12ihipStream_tbENKUlT_T0_E_clISt17integral_constantIbLb1EESY_IbLb0EEEEDaSU_SV_EUlSU_E_NS1_11comp_targetILNS1_3genE10ELNS1_11target_archE1201ELNS1_3gpuE5ELNS1_3repE0EEENS1_30default_config_static_selectorELNS0_4arch9wavefront6targetE1EEEvT1_
                                        ; -- End function
	.section	.AMDGPU.csdata,"",@progbits
; Kernel info:
; codeLenInByte = 0
; NumSgprs: 6
; NumVgprs: 0
; NumAgprs: 0
; TotalNumVgprs: 0
; ScratchSize: 0
; MemoryBound: 0
; FloatMode: 240
; IeeeMode: 1
; LDSByteSize: 0 bytes/workgroup (compile time only)
; SGPRBlocks: 0
; VGPRBlocks: 0
; NumSGPRsForWavesPerEU: 6
; NumVGPRsForWavesPerEU: 1
; AccumOffset: 4
; Occupancy: 8
; WaveLimiterHint : 0
; COMPUTE_PGM_RSRC2:SCRATCH_EN: 0
; COMPUTE_PGM_RSRC2:USER_SGPR: 2
; COMPUTE_PGM_RSRC2:TRAP_HANDLER: 0
; COMPUTE_PGM_RSRC2:TGID_X_EN: 1
; COMPUTE_PGM_RSRC2:TGID_Y_EN: 0
; COMPUTE_PGM_RSRC2:TGID_Z_EN: 0
; COMPUTE_PGM_RSRC2:TIDIG_COMP_CNT: 0
; COMPUTE_PGM_RSRC3_GFX90A:ACCUM_OFFSET: 0
; COMPUTE_PGM_RSRC3_GFX90A:TG_SPLIT: 0
	.section	.text._ZN7rocprim17ROCPRIM_400000_NS6detail17trampoline_kernelINS0_14default_configENS1_27scan_by_key_config_selectorIssEEZZNS1_16scan_by_key_implILNS1_25lookback_scan_determinismE0ELb0ES3_N6thrust23THRUST_200600_302600_NS6detail15normal_iteratorINS9_10device_ptrIsEEEESE_SE_sNS9_4plusIvEENS9_8equal_toIvEEsEE10hipError_tPvRmT2_T3_T4_T5_mT6_T7_P12ihipStream_tbENKUlT_T0_E_clISt17integral_constantIbLb1EESY_IbLb0EEEEDaSU_SV_EUlSU_E_NS1_11comp_targetILNS1_3genE5ELNS1_11target_archE942ELNS1_3gpuE9ELNS1_3repE0EEENS1_30default_config_static_selectorELNS0_4arch9wavefront6targetE1EEEvT1_,"axG",@progbits,_ZN7rocprim17ROCPRIM_400000_NS6detail17trampoline_kernelINS0_14default_configENS1_27scan_by_key_config_selectorIssEEZZNS1_16scan_by_key_implILNS1_25lookback_scan_determinismE0ELb0ES3_N6thrust23THRUST_200600_302600_NS6detail15normal_iteratorINS9_10device_ptrIsEEEESE_SE_sNS9_4plusIvEENS9_8equal_toIvEEsEE10hipError_tPvRmT2_T3_T4_T5_mT6_T7_P12ihipStream_tbENKUlT_T0_E_clISt17integral_constantIbLb1EESY_IbLb0EEEEDaSU_SV_EUlSU_E_NS1_11comp_targetILNS1_3genE5ELNS1_11target_archE942ELNS1_3gpuE9ELNS1_3repE0EEENS1_30default_config_static_selectorELNS0_4arch9wavefront6targetE1EEEvT1_,comdat
	.protected	_ZN7rocprim17ROCPRIM_400000_NS6detail17trampoline_kernelINS0_14default_configENS1_27scan_by_key_config_selectorIssEEZZNS1_16scan_by_key_implILNS1_25lookback_scan_determinismE0ELb0ES3_N6thrust23THRUST_200600_302600_NS6detail15normal_iteratorINS9_10device_ptrIsEEEESE_SE_sNS9_4plusIvEENS9_8equal_toIvEEsEE10hipError_tPvRmT2_T3_T4_T5_mT6_T7_P12ihipStream_tbENKUlT_T0_E_clISt17integral_constantIbLb1EESY_IbLb0EEEEDaSU_SV_EUlSU_E_NS1_11comp_targetILNS1_3genE5ELNS1_11target_archE942ELNS1_3gpuE9ELNS1_3repE0EEENS1_30default_config_static_selectorELNS0_4arch9wavefront6targetE1EEEvT1_ ; -- Begin function _ZN7rocprim17ROCPRIM_400000_NS6detail17trampoline_kernelINS0_14default_configENS1_27scan_by_key_config_selectorIssEEZZNS1_16scan_by_key_implILNS1_25lookback_scan_determinismE0ELb0ES3_N6thrust23THRUST_200600_302600_NS6detail15normal_iteratorINS9_10device_ptrIsEEEESE_SE_sNS9_4plusIvEENS9_8equal_toIvEEsEE10hipError_tPvRmT2_T3_T4_T5_mT6_T7_P12ihipStream_tbENKUlT_T0_E_clISt17integral_constantIbLb1EESY_IbLb0EEEEDaSU_SV_EUlSU_E_NS1_11comp_targetILNS1_3genE5ELNS1_11target_archE942ELNS1_3gpuE9ELNS1_3repE0EEENS1_30default_config_static_selectorELNS0_4arch9wavefront6targetE1EEEvT1_
	.globl	_ZN7rocprim17ROCPRIM_400000_NS6detail17trampoline_kernelINS0_14default_configENS1_27scan_by_key_config_selectorIssEEZZNS1_16scan_by_key_implILNS1_25lookback_scan_determinismE0ELb0ES3_N6thrust23THRUST_200600_302600_NS6detail15normal_iteratorINS9_10device_ptrIsEEEESE_SE_sNS9_4plusIvEENS9_8equal_toIvEEsEE10hipError_tPvRmT2_T3_T4_T5_mT6_T7_P12ihipStream_tbENKUlT_T0_E_clISt17integral_constantIbLb1EESY_IbLb0EEEEDaSU_SV_EUlSU_E_NS1_11comp_targetILNS1_3genE5ELNS1_11target_archE942ELNS1_3gpuE9ELNS1_3repE0EEENS1_30default_config_static_selectorELNS0_4arch9wavefront6targetE1EEEvT1_
	.p2align	8
	.type	_ZN7rocprim17ROCPRIM_400000_NS6detail17trampoline_kernelINS0_14default_configENS1_27scan_by_key_config_selectorIssEEZZNS1_16scan_by_key_implILNS1_25lookback_scan_determinismE0ELb0ES3_N6thrust23THRUST_200600_302600_NS6detail15normal_iteratorINS9_10device_ptrIsEEEESE_SE_sNS9_4plusIvEENS9_8equal_toIvEEsEE10hipError_tPvRmT2_T3_T4_T5_mT6_T7_P12ihipStream_tbENKUlT_T0_E_clISt17integral_constantIbLb1EESY_IbLb0EEEEDaSU_SV_EUlSU_E_NS1_11comp_targetILNS1_3genE5ELNS1_11target_archE942ELNS1_3gpuE9ELNS1_3repE0EEENS1_30default_config_static_selectorELNS0_4arch9wavefront6targetE1EEEvT1_,@function
_ZN7rocprim17ROCPRIM_400000_NS6detail17trampoline_kernelINS0_14default_configENS1_27scan_by_key_config_selectorIssEEZZNS1_16scan_by_key_implILNS1_25lookback_scan_determinismE0ELb0ES3_N6thrust23THRUST_200600_302600_NS6detail15normal_iteratorINS9_10device_ptrIsEEEESE_SE_sNS9_4plusIvEENS9_8equal_toIvEEsEE10hipError_tPvRmT2_T3_T4_T5_mT6_T7_P12ihipStream_tbENKUlT_T0_E_clISt17integral_constantIbLb1EESY_IbLb0EEEEDaSU_SV_EUlSU_E_NS1_11comp_targetILNS1_3genE5ELNS1_11target_archE942ELNS1_3gpuE9ELNS1_3repE0EEENS1_30default_config_static_selectorELNS0_4arch9wavefront6targetE1EEEvT1_: ; @_ZN7rocprim17ROCPRIM_400000_NS6detail17trampoline_kernelINS0_14default_configENS1_27scan_by_key_config_selectorIssEEZZNS1_16scan_by_key_implILNS1_25lookback_scan_determinismE0ELb0ES3_N6thrust23THRUST_200600_302600_NS6detail15normal_iteratorINS9_10device_ptrIsEEEESE_SE_sNS9_4plusIvEENS9_8equal_toIvEEsEE10hipError_tPvRmT2_T3_T4_T5_mT6_T7_P12ihipStream_tbENKUlT_T0_E_clISt17integral_constantIbLb1EESY_IbLb0EEEEDaSU_SV_EUlSU_E_NS1_11comp_targetILNS1_3genE5ELNS1_11target_archE942ELNS1_3gpuE9ELNS1_3repE0EEENS1_30default_config_static_selectorELNS0_4arch9wavefront6targetE1EEEvT1_
; %bb.0:
	s_load_dwordx8 s[52:59], s[0:1], 0x0
	s_load_dwordx4 s[68:71], s[0:1], 0x28
	s_load_dwordx2 s[74:75], s[0:1], 0x38
	s_load_dword s3, s[0:1], 0x40
	s_load_dwordx8 s[60:67], s[0:1], 0x48
	s_waitcnt lgkmcnt(0)
	s_lshl_b64 s[72:73], s[54:55], 1
	s_add_u32 s4, s52, s72
	s_addc_u32 s5, s53, s73
	s_add_u32 s6, s56, s72
	s_mul_i32 s0, s75, s3
	s_mul_hi_u32 s1, s74, s3
	s_addc_u32 s7, s57, s73
	s_add_i32 s8, s1, s0
	s_cmp_lg_u64 s[64:65], 0
	s_mul_i32 s0, s2, 0x1800
	s_mov_b32 s1, 0
	s_cselect_b64 s[76:77], -1, 0
	s_lshl_b64 s[64:65], s[0:1], 1
	s_add_u32 s56, s4, s64
	s_addc_u32 s57, s5, s65
	s_add_u32 s54, s6, s64
	s_mul_i32 s3, s74, s3
	s_addc_u32 s55, s7, s65
	s_add_u32 s78, s3, s2
	s_addc_u32 s79, s8, 0
	s_add_u32 s4, s60, -1
	s_addc_u32 s5, s61, -1
	v_mov_b64_e32 v[2:3], s[4:5]
	v_cmp_ge_u64_e64 s[0:1], s[78:79], v[2:3]
	s_mov_b64 s[12:13], 0
	s_mov_b64 s[6:7], -1
	s_and_b64 vcc, exec, s[0:1]
	s_mul_i32 s33, s4, 0xffffe800
	s_barrier
	s_cbranch_vccz .LBB263_127
; %bb.1:
	v_mov_b64_e32 v[2:3], s[56:57]
	flat_load_ushort v3, v[2:3]
	s_add_i32 s3, s33, s70
	v_cmp_gt_u32_e64 s[52:53], s3, v0
	s_waitcnt vmcnt(0) lgkmcnt(0)
	v_mov_b32_e32 v19, v3
	s_and_saveexec_b64 s[4:5], s[52:53]
	s_cbranch_execz .LBB263_3
; %bb.2:
	v_lshlrev_b32_e32 v4, 1, v0
	v_mov_b32_e32 v5, 0
	v_lshl_add_u64 v[4:5], s[56:57], 0, v[4:5]
	flat_load_ushort v19, v[4:5]
.LBB263_3:
	s_or_b64 exec, exec, s[4:5]
	v_or_b32_e32 v1, 0x100, v0
	v_cmp_gt_u32_e64 s[4:5], s3, v1
	v_mov_b32_e32 v20, v3
	s_and_saveexec_b64 s[6:7], s[4:5]
	s_cbranch_execz .LBB263_5
; %bb.4:
	v_lshlrev_b32_e32 v4, 1, v0
	v_mov_b32_e32 v5, 0
	v_lshl_add_u64 v[4:5], s[56:57], 0, v[4:5]
	flat_load_ushort v20, v[4:5] offset:512
.LBB263_5:
	s_or_b64 exec, exec, s[6:7]
	v_or_b32_e32 v1, 0x200, v0
	v_cmp_gt_u32_e64 s[6:7], s3, v1
	v_mov_b32_e32 v21, v3
	s_and_saveexec_b64 s[8:9], s[6:7]
	s_cbranch_execz .LBB263_7
; %bb.6:
	v_lshlrev_b32_e32 v4, 1, v0
	v_mov_b32_e32 v5, 0
	v_lshl_add_u64 v[4:5], s[56:57], 0, v[4:5]
	flat_load_ushort v21, v[4:5] offset:1024
.LBB263_7:
	;; [unrolled: 12-line block ×7, first 2 shown]
	s_or_b64 exec, exec, s[18:19]
	v_or_b32_e32 v1, 0x800, v0
	v_cmp_gt_u32_e64 s[18:19], s3, v1
	v_mov_b32_e32 v27, v3
	s_and_saveexec_b64 s[20:21], s[18:19]
	s_cbranch_execz .LBB263_19
; %bb.18:
	v_lshlrev_b32_e32 v4, 1, v1
	v_mov_b32_e32 v5, 0
	v_lshl_add_u64 v[4:5], s[56:57], 0, v[4:5]
	flat_load_ushort v27, v[4:5]
.LBB263_19:
	s_or_b64 exec, exec, s[20:21]
	v_or_b32_e32 v4, 0x900, v0
	v_cmp_gt_u32_e64 s[20:21], s3, v4
	v_mov_b32_e32 v28, v3
	s_and_saveexec_b64 s[22:23], s[20:21]
	s_cbranch_execz .LBB263_21
; %bb.20:
	v_lshlrev_b32_e32 v6, 1, v4
	v_mov_b32_e32 v7, 0
	v_lshl_add_u64 v[6:7], s[56:57], 0, v[6:7]
	flat_load_ushort v28, v[6:7]
.LBB263_21:
	;; [unrolled: 12-line block ×15, first 2 shown]
	s_or_b64 exec, exec, s[50:51]
	v_or_b32_e32 v18, 0x1700, v0
	v_cmp_gt_u32_e64 s[50:51], s3, v18
	s_and_saveexec_b64 s[60:61], s[50:51]
	s_cbranch_execz .LBB263_49
; %bb.48:
	v_lshlrev_b32_e32 v2, 1, v18
	v_mov_b32_e32 v3, 0
	v_lshl_add_u64 v[2:3], s[56:57], 0, v[2:3]
	flat_load_ushort v3, v[2:3]
.LBB263_49:
	s_or_b64 exec, exec, s[60:61]
	v_lshlrev_b32_e32 v2, 1, v0
	s_waitcnt vmcnt(0) lgkmcnt(0)
	ds_write_b16 v2, v19
	ds_write_b16 v2, v20 offset:512
	ds_write_b16 v2, v21 offset:1024
	;; [unrolled: 1-line block ×23, first 2 shown]
	v_mad_u32_u24 v40, v0, 46, v2
	s_waitcnt lgkmcnt(0)
	s_barrier
	ds_read_b128 v[30:33], v40
	ds_read_b128 v[26:29], v40 offset:16
	ds_read_b128 v[22:25], v40 offset:32
	s_cmp_eq_u64 s[78:79], 0
	s_mov_b64 s[60:61], s[56:57]
	s_cbranch_scc1 .LBB263_53
; %bb.50:
	s_andn2_b64 vcc, exec, s[76:77]
	s_cbranch_vccnz .LBB263_319
; %bb.51:
	s_lshl_b64 s[60:61], s[78:79], 1
	s_add_u32 s60, s66, s60
	s_addc_u32 s61, s67, s61
	s_add_u32 s60, s60, -2
	s_addc_u32 s61, s61, -1
	s_cbranch_execnz .LBB263_53
.LBB263_52:
	s_add_u32 s60, s56, -2
	s_addc_u32 s61, s57, -1
.LBB263_53:
	v_mov_b64_e32 v[20:21], s[60:61]
	flat_load_ushort v34, v[20:21]
	s_movk_i32 s60, 0xffd2
	s_waitcnt lgkmcnt(0)
	v_lshrrev_b32_e32 v41, 16, v25
	v_mad_i32_i24 v3, v0, s60, v40
	v_cmp_ne_u32_e32 vcc, 0, v0
	ds_write_b16 v3, v41 offset:12288
	s_waitcnt lgkmcnt(0)
	s_barrier
	s_and_saveexec_b64 s[60:61], vcc
	s_cbranch_execz .LBB263_55
; %bb.54:
	v_mul_i32_i24_e32 v3, 0xffffffd2, v0
	v_add_u32_e32 v3, v40, v3
	s_waitcnt vmcnt(0)
	ds_read_u16 v34, v3 offset:12286
.LBB263_55:
	s_or_b64 exec, exec, s[60:61]
	v_mov_b32_e32 v3, 0
	s_waitcnt lgkmcnt(0)
	s_barrier
	s_waitcnt lgkmcnt(0)
                                        ; implicit-def: $vgpr19
	s_and_saveexec_b64 s[60:61], s[52:53]
	s_cbranch_execnz .LBB263_296
; %bb.56:
	s_or_b64 exec, exec, s[60:61]
                                        ; implicit-def: $vgpr20
	s_and_saveexec_b64 s[52:53], s[4:5]
	s_cbranch_execnz .LBB263_297
.LBB263_57:
	s_or_b64 exec, exec, s[52:53]
                                        ; implicit-def: $vgpr21
	s_and_saveexec_b64 s[4:5], s[6:7]
	s_cbranch_execnz .LBB263_298
.LBB263_58:
	s_or_b64 exec, exec, s[4:5]
                                        ; implicit-def: $vgpr35
	s_and_saveexec_b64 s[4:5], s[8:9]
	s_cbranch_execnz .LBB263_299
.LBB263_59:
	s_or_b64 exec, exec, s[4:5]
                                        ; implicit-def: $vgpr36
	s_and_saveexec_b64 s[4:5], s[10:11]
	s_cbranch_execnz .LBB263_300
.LBB263_60:
	s_or_b64 exec, exec, s[4:5]
                                        ; implicit-def: $vgpr37
	s_and_saveexec_b64 s[4:5], s[12:13]
	s_cbranch_execnz .LBB263_301
.LBB263_61:
	s_or_b64 exec, exec, s[4:5]
                                        ; implicit-def: $vgpr38
	s_and_saveexec_b64 s[4:5], s[14:15]
	s_cbranch_execnz .LBB263_302
.LBB263_62:
	s_or_b64 exec, exec, s[4:5]
                                        ; implicit-def: $vgpr3
	s_and_saveexec_b64 s[4:5], s[16:17]
	s_cbranch_execnz .LBB263_303
.LBB263_63:
	s_or_b64 exec, exec, s[4:5]
                                        ; implicit-def: $vgpr39
	s_and_saveexec_b64 s[4:5], s[18:19]
	s_cbranch_execnz .LBB263_304
.LBB263_64:
	s_or_b64 exec, exec, s[4:5]
                                        ; implicit-def: $vgpr1
	s_and_saveexec_b64 s[4:5], s[20:21]
	s_cbranch_execnz .LBB263_305
.LBB263_65:
	s_or_b64 exec, exec, s[4:5]
                                        ; implicit-def: $vgpr4
	s_and_saveexec_b64 s[4:5], s[22:23]
	s_cbranch_execnz .LBB263_306
.LBB263_66:
	s_or_b64 exec, exec, s[4:5]
                                        ; implicit-def: $vgpr5
	s_and_saveexec_b64 s[4:5], s[24:25]
	s_cbranch_execnz .LBB263_307
.LBB263_67:
	s_or_b64 exec, exec, s[4:5]
                                        ; implicit-def: $vgpr6
	s_and_saveexec_b64 s[4:5], s[26:27]
	s_cbranch_execnz .LBB263_308
.LBB263_68:
	s_or_b64 exec, exec, s[4:5]
                                        ; implicit-def: $vgpr7
	s_and_saveexec_b64 s[4:5], s[28:29]
	s_cbranch_execnz .LBB263_309
.LBB263_69:
	s_or_b64 exec, exec, s[4:5]
                                        ; implicit-def: $vgpr8
	s_and_saveexec_b64 s[4:5], s[30:31]
	s_cbranch_execnz .LBB263_310
.LBB263_70:
	s_or_b64 exec, exec, s[4:5]
                                        ; implicit-def: $vgpr9
	s_and_saveexec_b64 s[4:5], s[34:35]
	s_cbranch_execnz .LBB263_311
.LBB263_71:
	s_or_b64 exec, exec, s[4:5]
                                        ; implicit-def: $vgpr10
	s_and_saveexec_b64 s[4:5], s[36:37]
	s_cbranch_execnz .LBB263_312
.LBB263_72:
	s_or_b64 exec, exec, s[4:5]
                                        ; implicit-def: $vgpr11
	s_and_saveexec_b64 s[4:5], s[38:39]
	s_cbranch_execnz .LBB263_313
.LBB263_73:
	s_or_b64 exec, exec, s[4:5]
                                        ; implicit-def: $vgpr12
	s_and_saveexec_b64 s[4:5], s[40:41]
	s_cbranch_execnz .LBB263_314
.LBB263_74:
	s_or_b64 exec, exec, s[4:5]
                                        ; implicit-def: $vgpr13
	s_and_saveexec_b64 s[4:5], s[42:43]
	s_cbranch_execnz .LBB263_315
.LBB263_75:
	s_or_b64 exec, exec, s[4:5]
                                        ; implicit-def: $vgpr14
	s_and_saveexec_b64 s[4:5], s[44:45]
	s_cbranch_execnz .LBB263_316
.LBB263_76:
	s_or_b64 exec, exec, s[4:5]
                                        ; implicit-def: $vgpr15
	s_and_saveexec_b64 s[4:5], s[46:47]
	s_cbranch_execnz .LBB263_317
.LBB263_77:
	s_or_b64 exec, exec, s[4:5]
                                        ; implicit-def: $vgpr16
	s_and_saveexec_b64 s[4:5], s[48:49]
	s_cbranch_execnz .LBB263_318
.LBB263_78:
	s_or_b64 exec, exec, s[4:5]
                                        ; implicit-def: $vgpr17
	s_and_saveexec_b64 s[4:5], s[50:51]
	s_cbranch_execz .LBB263_80
.LBB263_79:
	v_lshlrev_b32_e32 v42, 1, v18
	v_mov_b32_e32 v43, 0
	v_lshl_add_u64 v[42:43], s[54:55], 0, v[42:43]
	flat_load_ushort v17, v[42:43]
.LBB263_80:
	s_or_b64 exec, exec, s[4:5]
	s_mov_b32 s8, 0
	s_mov_b32 s9, s8
	s_waitcnt vmcnt(0) lgkmcnt(0)
	ds_write_b16 v2, v19
	ds_write_b16 v2, v20 offset:512
	ds_write_b16 v2, v21 offset:1024
	;; [unrolled: 1-line block ×23, first 2 shown]
	s_mov_b32 s10, s8
	s_mov_b32 s11, s8
	;; [unrolled: 1-line block ×6, first 2 shown]
	v_mov_b64_e32 v[2:3], s[8:9]
	s_mov_b32 s18, s8
	s_mov_b32 s19, s8
	v_mov_b64_e32 v[8:9], s[14:15]
	v_mul_u32_u24_e32 v43, 24, v0
	s_mov_b32 s16, s8
	s_mov_b32 s17, s8
	v_mov_b64_e32 v[20:21], s[18:19]
	v_mov_b64_e32 v[4:5], s[10:11]
	;; [unrolled: 1-line block ×4, first 2 shown]
	v_cmp_gt_u32_e32 vcc, s3, v43
	s_mov_b64 s[6:7], 0
	v_mov_b64_e32 v[18:19], s[16:17]
	v_mov_b32_e32 v1, 0
	s_mov_b64 s[12:13], 0
	v_mov_b64_e32 v[14:15], v[6:7]
	v_mov_b64_e32 v[12:13], v[4:5]
	;; [unrolled: 1-line block ×3, first 2 shown]
	v_mov_b32_e32 v38, 0
	v_mov_b32_e32 v39, 0
	s_waitcnt lgkmcnt(0)
	s_barrier
	s_waitcnt lgkmcnt(0)
                                        ; implicit-def: $sgpr4_sgpr5
                                        ; implicit-def: $vgpr42
	s_and_saveexec_b64 s[10:11], vcc
	s_cbranch_execz .LBB263_126
; %bb.81:
	ds_read_u16 v1, v40
	v_cmp_ne_u16_e32 vcc, v34, v30
	s_mov_b32 s12, 0
	v_or_b32_e32 v2, 1, v43
	v_cndmask_b32_e64 v3, 0, 1, vcc
	s_mov_b32 s13, s12
	v_cmp_gt_u32_e32 vcc, s3, v2
	s_waitcnt lgkmcnt(0)
	v_lshl_or_b32 v1, v3, 16, v1
	s_mov_b32 s14, s12
	s_mov_b32 s15, s12
	;; [unrolled: 1-line block ×6, first 2 shown]
	v_mov_b64_e32 v[2:3], s[12:13]
	s_mov_b32 s24, s12
	s_mov_b32 s25, s12
	v_mov_b64_e32 v[8:9], s[18:19]
	s_mov_b32 s26, s12
	s_mov_b32 s27, s12
	v_mov_b64_e32 v[18:19], s[24:25]
	v_mov_b64_e32 v[4:5], s[14:15]
	;; [unrolled: 1-line block ×4, first 2 shown]
	s_mov_b64 s[22:23], 0
	v_mov_b64_e32 v[20:21], s[26:27]
	v_mov_b32_e32 v38, 0
	v_mov_b64_e32 v[14:15], v[6:7]
	v_mov_b64_e32 v[12:13], v[4:5]
	;; [unrolled: 1-line block ×3, first 2 shown]
	v_mov_b32_e32 v39, 0
                                        ; implicit-def: $sgpr24_sgpr25
                                        ; implicit-def: $vgpr42
	s_and_saveexec_b64 s[20:21], vcc
	s_cbranch_execz .LBB263_125
; %bb.82:
	ds_read_b128 v[34:37], v40 offset:2
	v_or_b32_e32 v2, 2, v43
	v_cmp_ne_u16_sdwa s[4:5], v30, v30 src0_sel:DWORD src1_sel:WORD_1
	v_cmp_gt_u32_e32 vcc, s3, v2
	v_mov_b32_e32 v19, 0
	v_cndmask_b32_e64 v3, 0, 1, s[4:5]
	s_waitcnt lgkmcnt(0)
	v_and_b32_e32 v2, 0xffff, v34
	v_lshl_or_b32 v18, v3, 16, v2
	v_mov_b64_e32 v[2:3], s[12:13]
	v_mov_b64_e32 v[8:9], s[18:19]
	;; [unrolled: 1-line block ×5, first 2 shown]
	v_mov_b32_e32 v20, v19
	v_mov_b32_e32 v21, v19
	s_mov_b64 s[4:5], 0
	v_mov_b64_e32 v[14:15], v[6:7]
	v_mov_b64_e32 v[12:13], v[4:5]
	;; [unrolled: 1-line block ×3, first 2 shown]
	v_mov_b32_e32 v38, v19
	v_mov_b32_e32 v39, v19
                                        ; implicit-def: $sgpr12_sgpr13
                                        ; implicit-def: $vgpr42
	s_and_saveexec_b64 s[22:23], vcc
	s_cbranch_execz .LBB263_124
; %bb.83:
	v_cmp_ne_u16_sdwa s[4:5], v30, v31 src0_sel:WORD_1 src1_sel:DWORD
	s_mov_b32 s12, 0
	v_or_b32_e32 v2, 3, v43
	v_cndmask_b32_e64 v3, 0, 1, s[4:5]
	s_mov_b32 s13, s12
	v_alignbit_b32 v19, v3, v34, 16
	v_cmp_gt_u32_e32 vcc, s3, v2
	s_mov_b32 s14, s12
	s_mov_b32 s15, s12
	;; [unrolled: 1-line block ×6, first 2 shown]
	v_mov_b64_e32 v[2:3], s[12:13]
	v_mov_b64_e32 v[8:9], s[18:19]
	v_mov_b32_e32 v20, 0
	v_mov_b64_e32 v[4:5], s[14:15]
	v_mov_b64_e32 v[6:7], s[16:17]
	;; [unrolled: 1-line block ×3, first 2 shown]
	v_mov_b32_e32 v21, v20
	s_mov_b64 s[4:5], 0
	v_mov_b64_e32 v[14:15], v[6:7]
	v_mov_b64_e32 v[12:13], v[4:5]
	;; [unrolled: 1-line block ×3, first 2 shown]
	v_mov_b32_e32 v38, v20
	v_mov_b32_e32 v39, v20
                                        ; implicit-def: $sgpr26_sgpr27
                                        ; implicit-def: $vgpr42
	s_and_saveexec_b64 s[24:25], vcc
	s_cbranch_execz .LBB263_123
; %bb.84:
	v_cmp_ne_u16_sdwa s[4:5], v31, v31 src0_sel:DWORD src1_sel:WORD_1
	v_and_b32_e32 v2, 0xffff, v35
	v_or_b32_e32 v3, 4, v43
	v_cndmask_b32_e64 v4, 0, 1, s[4:5]
	v_lshl_or_b32 v20, v4, 16, v2
	v_cmp_gt_u32_e32 vcc, s3, v3
	v_mov_b64_e32 v[2:3], s[12:13]
	v_mov_b64_e32 v[8:9], s[18:19]
	;; [unrolled: 1-line block ×5, first 2 shown]
	v_mov_b32_e32 v21, s12
	s_mov_b64 s[4:5], 0
	v_mov_b32_e32 v38, 0
	v_mov_b64_e32 v[14:15], v[6:7]
	v_mov_b64_e32 v[12:13], v[4:5]
	;; [unrolled: 1-line block ×3, first 2 shown]
	v_mov_b32_e32 v39, 0
                                        ; implicit-def: $sgpr12_sgpr13
                                        ; implicit-def: $vgpr42
	s_and_saveexec_b64 s[26:27], vcc
	s_cbranch_execz .LBB263_122
; %bb.85:
	v_cmp_ne_u16_sdwa s[4:5], v31, v32 src0_sel:WORD_1 src1_sel:DWORD
	s_mov_b32 s12, 0
	v_or_b32_e32 v2, 5, v43
	v_cndmask_b32_e64 v3, 0, 1, s[4:5]
	s_mov_b32 s13, s12
	v_alignbit_b32 v21, v3, v35, 16
	v_cmp_gt_u32_e32 vcc, s3, v2
	s_mov_b32 s14, s12
	s_mov_b32 s15, s12
	;; [unrolled: 1-line block ×6, first 2 shown]
	v_mov_b64_e32 v[2:3], s[12:13]
	v_mov_b64_e32 v[8:9], s[18:19]
	;; [unrolled: 1-line block ×5, first 2 shown]
	s_mov_b64 s[4:5], 0
	v_mov_b32_e32 v38, 0
	v_mov_b64_e32 v[14:15], v[6:7]
	v_mov_b64_e32 v[12:13], v[4:5]
	;; [unrolled: 1-line block ×3, first 2 shown]
	v_mov_b32_e32 v39, 0
                                        ; implicit-def: $sgpr30_sgpr31
                                        ; implicit-def: $vgpr42
	s_and_saveexec_b64 s[28:29], vcc
	s_cbranch_execz .LBB263_121
; %bb.86:
	v_cmp_ne_u16_sdwa s[4:5], v32, v32 src0_sel:DWORD src1_sel:WORD_1
	v_and_b32_e32 v2, 0xffff, v36
	v_or_b32_e32 v3, 6, v43
	v_cndmask_b32_e64 v4, 0, 1, s[4:5]
	v_lshl_or_b32 v38, v4, 16, v2
	v_cmp_gt_u32_e32 vcc, s3, v3
	v_mov_b64_e32 v[2:3], s[12:13]
	v_mov_b64_e32 v[8:9], s[18:19]
	;; [unrolled: 1-line block ×5, first 2 shown]
	s_mov_b64 s[4:5], 0
	v_mov_b32_e32 v39, 0
	v_mov_b64_e32 v[14:15], v[6:7]
	v_mov_b64_e32 v[12:13], v[4:5]
	;; [unrolled: 1-line block ×3, first 2 shown]
                                        ; implicit-def: $sgpr12_sgpr13
                                        ; implicit-def: $vgpr42
	s_and_saveexec_b64 s[30:31], vcc
	s_cbranch_execz .LBB263_120
; %bb.87:
	s_mov_b32 s12, 0
	v_or_b32_e32 v3, 7, v43
	v_cmp_ne_u16_sdwa s[4:5], v32, v33 src0_sel:WORD_1 src1_sel:DWORD
	s_mov_b32 s13, s12
	v_cmp_gt_u32_e32 vcc, s3, v3
	v_cndmask_b32_e64 v2, 0, 1, s[4:5]
	v_mov_b32_e32 v3, 0
	s_mov_b32 s14, s12
	s_mov_b32 s15, s12
	;; [unrolled: 1-line block ×6, first 2 shown]
	v_mov_b64_e32 v[10:11], s[12:13]
	v_alignbit_b32 v2, v2, v36, 16
	v_mov_b32_e32 v4, v3
	v_mov_b32_e32 v5, v3
	;; [unrolled: 1-line block ×6, first 2 shown]
	s_mov_b64 s[4:5], 0
	v_mov_b64_e32 v[12:13], s[14:15]
	v_mov_b64_e32 v[14:15], s[16:17]
	;; [unrolled: 1-line block ×3, first 2 shown]
	v_mov_b32_e32 v39, v3
                                        ; implicit-def: $sgpr36_sgpr37
                                        ; implicit-def: $vgpr42
	s_and_saveexec_b64 s[34:35], vcc
	s_cbranch_execz .LBB263_119
; %bb.88:
	v_add_u32_e32 v4, 8, v43
	v_cmp_ne_u16_sdwa s[4:5], v33, v33 src0_sel:DWORD src1_sel:WORD_1
	v_and_b32_e32 v3, 0xffff, v37
	v_cmp_gt_u32_e32 vcc, s3, v4
	v_cndmask_b32_e64 v5, 0, 1, s[4:5]
	v_mov_b32_e32 v4, 0
	v_mov_b64_e32 v[10:11], s[12:13]
	v_lshl_or_b32 v3, v5, 16, v3
	v_mov_b32_e32 v5, v4
	v_mov_b32_e32 v6, v4
	;; [unrolled: 1-line block ×5, first 2 shown]
	s_mov_b64 s[4:5], 0
	v_mov_b64_e32 v[12:13], s[14:15]
	v_mov_b64_e32 v[14:15], s[16:17]
	;; [unrolled: 1-line block ×3, first 2 shown]
	v_mov_b32_e32 v39, v4
                                        ; implicit-def: $sgpr12_sgpr13
                                        ; implicit-def: $vgpr42
	s_and_saveexec_b64 s[36:37], vcc
	s_cbranch_execz .LBB263_118
; %bb.89:
	s_mov_b32 s12, 0
	v_add_u32_e32 v5, 9, v43
	v_cmp_ne_u16_sdwa s[4:5], v33, v26 src0_sel:WORD_1 src1_sel:DWORD
	s_mov_b32 s13, s12
	v_cmp_gt_u32_e32 vcc, s3, v5
	v_cndmask_b32_e64 v4, 0, 1, s[4:5]
	v_mov_b32_e32 v5, 0
	s_mov_b32 s14, s12
	s_mov_b32 s15, s12
	;; [unrolled: 1-line block ×6, first 2 shown]
	v_mov_b64_e32 v[10:11], s[12:13]
	v_alignbit_b32 v4, v4, v37, 16
	v_mov_b32_e32 v6, v5
	v_mov_b32_e32 v7, v5
	;; [unrolled: 1-line block ×4, first 2 shown]
	s_mov_b64 s[4:5], 0
	v_mov_b64_e32 v[12:13], s[14:15]
	v_mov_b64_e32 v[14:15], s[16:17]
	;; [unrolled: 1-line block ×3, first 2 shown]
	v_mov_b32_e32 v39, v5
                                        ; implicit-def: $sgpr40_sgpr41
                                        ; implicit-def: $vgpr42
	s_and_saveexec_b64 s[38:39], vcc
	s_cbranch_execz .LBB263_117
; %bb.90:
	ds_read_b128 v[30:33], v40 offset:18
	v_add_u32_e32 v5, 10, v43
	v_cmp_ne_u16_sdwa s[4:5], v26, v26 src0_sel:DWORD src1_sel:WORD_1
	v_cmp_gt_u32_e32 vcc, s3, v5
	v_mov_b64_e32 v[10:11], s[12:13]
	v_cndmask_b32_e64 v6, 0, 1, s[4:5]
	s_waitcnt lgkmcnt(0)
	v_and_b32_e32 v5, 0xffff, v30
	v_lshl_or_b32 v5, v6, 16, v5
	v_mov_b32_e32 v6, 0
	v_mov_b32_e32 v7, v6
	;; [unrolled: 1-line block ×4, first 2 shown]
	s_mov_b64 s[4:5], 0
	v_mov_b64_e32 v[12:13], s[14:15]
	v_mov_b64_e32 v[14:15], s[16:17]
	;; [unrolled: 1-line block ×3, first 2 shown]
	v_mov_b32_e32 v39, v6
                                        ; implicit-def: $sgpr12_sgpr13
                                        ; implicit-def: $vgpr42
	s_and_saveexec_b64 s[40:41], vcc
	s_cbranch_execz .LBB263_116
; %bb.91:
	s_mov_b32 s12, 0
	v_add_u32_e32 v7, 11, v43
	v_cmp_ne_u16_sdwa s[4:5], v26, v27 src0_sel:WORD_1 src1_sel:DWORD
	s_mov_b32 s13, s12
	v_cmp_gt_u32_e32 vcc, s3, v7
	v_cndmask_b32_e64 v6, 0, 1, s[4:5]
	v_mov_b32_e32 v7, 0
	s_mov_b32 s14, s12
	s_mov_b32 s15, s12
	;; [unrolled: 1-line block ×6, first 2 shown]
	v_mov_b64_e32 v[10:11], s[12:13]
	v_alignbit_b32 v6, v6, v30, 16
	v_mov_b32_e32 v8, v7
	v_mov_b32_e32 v9, v7
	s_mov_b64 s[4:5], 0
	v_mov_b64_e32 v[12:13], s[14:15]
	v_mov_b64_e32 v[14:15], s[16:17]
	v_mov_b64_e32 v[16:17], s[18:19]
	v_mov_b32_e32 v39, v7
                                        ; implicit-def: $sgpr44_sgpr45
                                        ; implicit-def: $vgpr42
	s_and_saveexec_b64 s[42:43], vcc
	s_cbranch_execz .LBB263_115
; %bb.92:
	v_add_u32_e32 v8, 12, v43
	v_cmp_ne_u16_sdwa s[4:5], v27, v27 src0_sel:DWORD src1_sel:WORD_1
	v_and_b32_e32 v7, 0xffff, v31
	v_cmp_gt_u32_e32 vcc, s3, v8
	v_cndmask_b32_e64 v9, 0, 1, s[4:5]
	v_mov_b32_e32 v8, 0
	v_mov_b64_e32 v[10:11], s[12:13]
	v_lshl_or_b32 v7, v9, 16, v7
	v_mov_b32_e32 v9, v8
	s_mov_b64 s[4:5], 0
	v_mov_b64_e32 v[12:13], s[14:15]
	v_mov_b64_e32 v[14:15], s[16:17]
	;; [unrolled: 1-line block ×3, first 2 shown]
	v_mov_b32_e32 v39, v8
                                        ; implicit-def: $sgpr12_sgpr13
                                        ; implicit-def: $vgpr42
	s_and_saveexec_b64 s[44:45], vcc
	s_cbranch_execz .LBB263_114
; %bb.93:
	s_mov_b32 s12, 0
	v_cmp_ne_u16_sdwa s[4:5], v27, v28 src0_sel:WORD_1 src1_sel:DWORD
	s_mov_b32 s13, s12
	v_add_u32_e32 v9, 13, v43
	v_cndmask_b32_e64 v8, 0, 1, s[4:5]
	s_mov_b32 s14, s12
	s_mov_b32 s15, s12
	;; [unrolled: 1-line block ×6, first 2 shown]
	v_mov_b64_e32 v[10:11], s[12:13]
	v_alignbit_b32 v8, v8, v31, 16
	v_cmp_gt_u32_e32 vcc, s3, v9
	v_mov_b32_e32 v9, s12
	s_mov_b64 s[4:5], 0
	v_mov_b64_e32 v[12:13], s[14:15]
	v_mov_b64_e32 v[14:15], s[16:17]
	;; [unrolled: 1-line block ×3, first 2 shown]
	v_mov_b32_e32 v39, 0
                                        ; implicit-def: $sgpr48_sgpr49
                                        ; implicit-def: $vgpr42
	s_and_saveexec_b64 s[46:47], vcc
	s_cbranch_execz .LBB263_113
; %bb.94:
	v_cmp_ne_u16_sdwa s[4:5], v28, v28 src0_sel:DWORD src1_sel:WORD_1
	v_and_b32_e32 v9, 0xffff, v32
	v_add_u32_e32 v10, 14, v43
	v_cndmask_b32_e64 v11, 0, 1, s[4:5]
	v_lshl_or_b32 v9, v11, 16, v9
	v_cmp_gt_u32_e32 vcc, s3, v10
	v_mov_b64_e32 v[10:11], s[12:13]
	s_mov_b64 s[4:5], 0
	v_mov_b64_e32 v[12:13], s[14:15]
	v_mov_b64_e32 v[14:15], s[16:17]
	;; [unrolled: 1-line block ×3, first 2 shown]
	v_mov_b32_e32 v39, 0
                                        ; implicit-def: $sgpr14_sgpr15
                                        ; implicit-def: $vgpr42
	s_and_saveexec_b64 s[12:13], vcc
	s_cbranch_execz .LBB263_112
; %bb.95:
	v_cmp_ne_u16_sdwa s[4:5], v28, v29 src0_sel:WORD_1 src1_sel:DWORD
	s_mov_b32 s80, 0
	v_add_u32_e32 v10, 15, v43
	v_cndmask_b32_e64 v11, 0, 1, s[4:5]
	s_mov_b32 s81, s80
	v_alignbit_b32 v39, v11, v32, 16
	v_cmp_gt_u32_e32 vcc, s3, v10
	s_mov_b32 s82, s80
	s_mov_b32 s83, s80
	;; [unrolled: 1-line block ×6, first 2 shown]
	v_mov_b64_e32 v[10:11], s[80:81]
	s_mov_b64 s[4:5], 0
	v_mov_b64_e32 v[12:13], s[82:83]
	v_mov_b64_e32 v[14:15], s[84:85]
	;; [unrolled: 1-line block ×3, first 2 shown]
                                        ; implicit-def: $sgpr16_sgpr17
                                        ; implicit-def: $vgpr42
	s_and_saveexec_b64 s[14:15], vcc
	s_cbranch_execz .LBB263_111
; %bb.96:
	v_cmp_ne_u16_sdwa s[4:5], v29, v29 src0_sel:DWORD src1_sel:WORD_1
	v_and_b32_e32 v10, 0xffff, v33
	v_add_u32_e32 v11, 16, v43
	v_cndmask_b32_e64 v12, 0, 1, s[4:5]
	v_lshl_or_b32 v10, v12, 16, v10
	v_mov_b32_e32 v12, 0
	v_cmp_gt_u32_e32 vcc, s3, v11
	v_mov_b32_e32 v11, v12
	v_mov_b32_e32 v13, v12
	;; [unrolled: 1-line block ×6, first 2 shown]
	s_mov_b64 s[4:5], 0
                                        ; implicit-def: $sgpr18_sgpr19
                                        ; implicit-def: $vgpr42
	s_and_saveexec_b64 s[16:17], vcc
	s_cbranch_execz .LBB263_110
; %bb.97:
	v_cmp_ne_u16_sdwa s[4:5], v29, v22 src0_sel:WORD_1 src1_sel:DWORD
	v_add_u32_e32 v13, 17, v43
	v_cmp_gt_u32_e32 vcc, s3, v13
	v_cndmask_b32_e64 v11, 0, 1, s[4:5]
	v_alignbit_b32 v11, v11, v33, 16
	v_mov_b32_e32 v13, v12
	v_mov_b32_e32 v14, v12
	;; [unrolled: 1-line block ×5, first 2 shown]
	s_mov_b64 s[4:5], 0
                                        ; implicit-def: $sgpr48_sgpr49
                                        ; implicit-def: $vgpr42
	s_and_saveexec_b64 s[18:19], vcc
	s_cbranch_execz .LBB263_109
; %bb.98:
	ds_read_b96 v[26:28], v40 offset:34
	v_add_u32_e32 v12, 18, v43
	v_cmp_ne_u16_sdwa s[4:5], v22, v22 src0_sel:DWORD src1_sel:WORD_1
	v_cmp_gt_u32_e32 vcc, s3, v12
	v_mov_b32_e32 v14, 0
	v_cndmask_b32_e64 v13, 0, 1, s[4:5]
	s_waitcnt lgkmcnt(0)
	v_and_b32_e32 v12, 0xffff, v26
	v_lshl_or_b32 v12, v13, 16, v12
	v_mov_b32_e32 v13, v14
	v_mov_b32_e32 v15, v14
	;; [unrolled: 1-line block ×4, first 2 shown]
	s_mov_b64 s[4:5], 0
                                        ; implicit-def: $sgpr50_sgpr51
                                        ; implicit-def: $vgpr42
	s_and_saveexec_b64 s[48:49], vcc
	s_cbranch_execz .LBB263_108
; %bb.99:
	v_cmp_ne_u16_sdwa s[4:5], v22, v23 src0_sel:WORD_1 src1_sel:DWORD
	v_add_u32_e32 v15, 19, v43
	v_cmp_gt_u32_e32 vcc, s3, v15
	v_cndmask_b32_e64 v13, 0, 1, s[4:5]
	v_alignbit_b32 v13, v13, v26, 16
	v_mov_b32_e32 v15, v14
	v_mov_b32_e32 v16, v14
	;; [unrolled: 1-line block ×3, first 2 shown]
	s_mov_b64 s[4:5], 0
                                        ; implicit-def: $sgpr52_sgpr53
                                        ; implicit-def: $vgpr42
	s_and_saveexec_b64 s[50:51], vcc
	s_cbranch_execz .LBB263_107
; %bb.100:
	v_cmp_ne_u16_sdwa s[4:5], v23, v23 src0_sel:DWORD src1_sel:WORD_1
	v_and_b32_e32 v14, 0xffff, v27
	v_add_u32_e32 v15, 20, v43
	v_cndmask_b32_e64 v16, 0, 1, s[4:5]
	v_lshl_or_b32 v14, v16, 16, v14
	v_mov_b32_e32 v16, 0
	v_cmp_gt_u32_e32 vcc, s3, v15
	v_mov_b32_e32 v15, v16
	v_mov_b32_e32 v17, v16
	s_mov_b64 s[4:5], 0
                                        ; implicit-def: $sgpr60_sgpr61
                                        ; implicit-def: $vgpr42
	s_and_saveexec_b64 s[52:53], vcc
	s_cbranch_execz .LBB263_106
; %bb.101:
	v_cmp_ne_u16_sdwa s[4:5], v23, v24 src0_sel:WORD_1 src1_sel:DWORD
	v_add_u32_e32 v17, 21, v43
	v_cmp_gt_u32_e32 vcc, s3, v17
	v_cndmask_b32_e64 v15, 0, 1, s[4:5]
	v_alignbit_b32 v15, v15, v27, 16
	s_mov_b32 s9, 0
	v_mov_b32_e32 v17, v16
	s_mov_b64 s[4:5], 0
                                        ; implicit-def: $sgpr80_sgpr81
                                        ; implicit-def: $vgpr42
	s_and_saveexec_b64 s[60:61], vcc
	s_cbranch_execz .LBB263_105
; %bb.102:
	v_cmp_ne_u16_sdwa s[4:5], v24, v24 src0_sel:DWORD src1_sel:WORD_1
	v_and_b32_e32 v16, 0xffff, v28
	v_add_u32_e32 v17, 22, v43
	v_cndmask_b32_e64 v22, 0, 1, s[4:5]
	v_lshl_or_b32 v16, v22, 16, v16
	v_cmp_gt_u32_e32 vcc, s3, v17
	v_mov_b32_e32 v17, s9
	s_mov_b64 s[4:5], 0
                                        ; implicit-def: $sgpr80_sgpr81
                                        ; implicit-def: $vgpr42
	s_and_saveexec_b64 s[82:83], vcc
	s_xor_b64 s[82:83], exec, s[82:83]
	s_cbranch_execz .LBB263_104
; %bb.103:
	ds_read_u16 v42, v40 offset:46
	v_add_u32_e32 v22, 23, v43
	v_cmp_ne_u16_sdwa s[4:5], v24, v25 src0_sel:WORD_1 src1_sel:DWORD
	v_cmp_ne_u16_e32 vcc, v25, v41
	s_and_b64 s[80:81], vcc, exec
	v_cndmask_b32_e64 v17, 0, 1, s[4:5]
	v_cmp_gt_u32_e64 s[4:5], s3, v22
	v_alignbit_b32 v17, v17, v28, 16
	s_and_b64 s[4:5], s[4:5], exec
.LBB263_104:
	s_or_b64 exec, exec, s[82:83]
	s_and_b64 s[80:81], s[80:81], exec
	s_and_b64 s[4:5], s[4:5], exec
.LBB263_105:
	s_or_b64 exec, exec, s[60:61]
	s_and_b64 s[60:61], s[80:81], exec
	s_and_b64 s[4:5], s[4:5], exec
.LBB263_106:
	s_or_b64 exec, exec, s[52:53]
	s_and_b64 s[52:53], s[60:61], exec
	s_and_b64 s[4:5], s[4:5], exec
.LBB263_107:
	s_or_b64 exec, exec, s[50:51]
	s_and_b64 s[50:51], s[52:53], exec
	s_and_b64 s[4:5], s[4:5], exec
.LBB263_108:
	s_or_b64 exec, exec, s[48:49]
	s_and_b64 s[48:49], s[50:51], exec
	s_and_b64 s[4:5], s[4:5], exec
.LBB263_109:
	s_or_b64 exec, exec, s[18:19]
	s_and_b64 s[18:19], s[48:49], exec
	s_and_b64 s[4:5], s[4:5], exec
.LBB263_110:
	s_or_b64 exec, exec, s[16:17]
	s_and_b64 s[16:17], s[18:19], exec
	s_and_b64 s[4:5], s[4:5], exec
.LBB263_111:
	s_or_b64 exec, exec, s[14:15]
	s_and_b64 s[14:15], s[16:17], exec
	s_and_b64 s[4:5], s[4:5], exec
.LBB263_112:
	s_or_b64 exec, exec, s[12:13]
	s_and_b64 s[48:49], s[14:15], exec
	s_and_b64 s[4:5], s[4:5], exec
.LBB263_113:
	s_or_b64 exec, exec, s[46:47]
	s_and_b64 s[12:13], s[48:49], exec
	s_and_b64 s[4:5], s[4:5], exec
.LBB263_114:
	s_or_b64 exec, exec, s[44:45]
	s_and_b64 s[44:45], s[12:13], exec
	s_and_b64 s[4:5], s[4:5], exec
.LBB263_115:
	s_or_b64 exec, exec, s[42:43]
	s_and_b64 s[12:13], s[44:45], exec
	s_and_b64 s[4:5], s[4:5], exec
.LBB263_116:
	s_or_b64 exec, exec, s[40:41]
	s_and_b64 s[40:41], s[12:13], exec
	s_and_b64 s[4:5], s[4:5], exec
.LBB263_117:
	s_or_b64 exec, exec, s[38:39]
	s_and_b64 s[12:13], s[40:41], exec
	s_and_b64 s[4:5], s[4:5], exec
.LBB263_118:
	s_or_b64 exec, exec, s[36:37]
	s_and_b64 s[36:37], s[12:13], exec
	s_and_b64 s[4:5], s[4:5], exec
.LBB263_119:
	s_or_b64 exec, exec, s[34:35]
	s_and_b64 s[12:13], s[36:37], exec
	s_and_b64 s[4:5], s[4:5], exec
.LBB263_120:
	s_or_b64 exec, exec, s[30:31]
	s_and_b64 s[30:31], s[12:13], exec
	s_and_b64 s[4:5], s[4:5], exec
.LBB263_121:
	s_or_b64 exec, exec, s[28:29]
	s_and_b64 s[12:13], s[30:31], exec
	s_and_b64 s[4:5], s[4:5], exec
.LBB263_122:
	s_or_b64 exec, exec, s[26:27]
	s_and_b64 s[26:27], s[12:13], exec
	s_and_b64 s[4:5], s[4:5], exec
.LBB263_123:
	s_or_b64 exec, exec, s[24:25]
	s_and_b64 s[12:13], s[26:27], exec
	s_and_b64 s[4:5], s[4:5], exec
.LBB263_124:
	s_or_b64 exec, exec, s[22:23]
	s_and_b64 s[24:25], s[12:13], exec
	s_and_b64 s[22:23], s[4:5], exec
.LBB263_125:
	s_or_b64 exec, exec, s[20:21]
	s_and_b64 s[4:5], s[24:25], exec
	s_and_b64 s[12:13], s[22:23], exec
.LBB263_126:
	s_or_b64 exec, exec, s[10:11]
	s_and_b64 vcc, exec, s[6:7]
	v_lshlrev_b32_e32 v22, 1, v0
	s_cbranch_vccnz .LBB263_128
	s_branch .LBB263_136
.LBB263_127:
                                        ; implicit-def: $sgpr4_sgpr5
                                        ; implicit-def: $vgpr18_vgpr19_vgpr20_vgpr21
                                        ; implicit-def: $vgpr2_vgpr3_vgpr4_vgpr5_vgpr6_vgpr7_vgpr8_vgpr9
                                        ; implicit-def: $vgpr10_vgpr11_vgpr12_vgpr13_vgpr14_vgpr15_vgpr16_vgpr17
                                        ; implicit-def: $vgpr42
                                        ; implicit-def: $vgpr1
                                        ; implicit-def: $vgpr38
                                        ; implicit-def: $vgpr39
                                        ; implicit-def: $sgpr8
	s_and_b64 vcc, exec, s[6:7]
	v_lshlrev_b32_e32 v22, 1, v0
	s_cbranch_vccz .LBB263_136
.LBB263_128:
	v_mov_b32_e32 v23, 0
	v_lshl_add_u64 v[2:3], s[56:57], 0, v[22:23]
	v_add_co_u32_e32 v4, vcc, 0x1000, v2
	flat_load_ushort v1, v[2:3]
	flat_load_ushort v6, v[2:3] offset:512
	flat_load_ushort v7, v[2:3] offset:1024
	;; [unrolled: 1-line block ×7, first 2 shown]
	v_addc_co_u32_e32 v5, vcc, 0, v3, vcc
	v_add_co_u32_e32 v2, vcc, 0x2000, v2
	flat_load_ushort v13, v[4:5]
	flat_load_ushort v14, v[4:5] offset:512
	flat_load_ushort v15, v[4:5] offset:1024
	;; [unrolled: 1-line block ×7, first 2 shown]
	v_addc_co_u32_e32 v3, vcc, 0, v3, vcc
	flat_load_ushort v5, v[2:3]
	flat_load_ushort v21, v[2:3] offset:512
	flat_load_ushort v23, v[2:3] offset:1024
	;; [unrolled: 1-line block ×7, first 2 shown]
	v_mad_u32_u24 v4, v0, 46, v22
	s_cmp_eq_u64 s[78:79], 0
	s_waitcnt vmcnt(0) lgkmcnt(0)
	ds_write_b16 v22, v1
	ds_write_b16 v22, v6 offset:512
	ds_write_b16 v22, v7 offset:1024
	;; [unrolled: 1-line block ×23, first 2 shown]
	s_waitcnt lgkmcnt(0)
	s_barrier
	ds_read_b64 v[2:3], v4
	ds_read_u16 v5, v4 offset:8
	ds_read_b128 v[10:13], v4 offset:10
	ds_read_u16 v14, v4 offset:26
	ds_read_b32 v15, v4 offset:44
	ds_read2_b32 v[26:27], v4 offset0:9 offset1:10
	ds_read2_b32 v[24:25], v4 offset0:7 offset1:8
	s_cbranch_scc1 .LBB263_133
; %bb.129:
	s_andn2_b64 vcc, exec, s[76:77]
	s_cbranch_vccnz .LBB263_320
; %bb.130:
	s_lshl_b64 s[4:5], s[78:79], 1
	s_add_u32 s3, s66, s4
	s_addc_u32 s5, s67, s5
	s_add_u32 s4, s3, -2
	s_addc_u32 s5, s5, -1
	s_cbranch_execnz .LBB263_132
.LBB263_131:
	s_add_u32 s4, s56, -2
	s_addc_u32 s5, s57, -1
.LBB263_132:
	s_mov_b64 s[56:57], s[4:5]
.LBB263_133:
	v_mov_b64_e32 v[6:7], s[56:57]
	flat_load_ushort v6, v[6:7]
	s_movk_i32 s3, 0xffd2
	s_waitcnt lgkmcnt(0)
	v_lshrrev_b32_e32 v1, 16, v15
	v_mad_i32_i24 v7, v0, s3, v4
	v_cmp_ne_u32_e32 vcc, 0, v0
	ds_write_b16 v7, v1 offset:12288
	s_waitcnt lgkmcnt(0)
	s_barrier
	s_and_saveexec_b64 s[4:5], vcc
	s_cbranch_execz .LBB263_135
; %bb.134:
	s_waitcnt vmcnt(0)
	v_mul_i32_i24_e32 v6, 0xffffffd2, v0
	v_add_u32_e32 v6, v4, v6
	ds_read_u16 v6, v6 offset:12286
.LBB263_135:
	s_or_b64 exec, exec, s[4:5]
	v_mov_b32_e32 v23, 0
	v_lshl_add_u64 v[8:9], s[54:55], 0, v[22:23]
	s_movk_i32 s3, 0x1000
	v_add_co_u32_e32 v16, vcc, s3, v8
	s_movk_i32 s3, 0x2000
	s_nop 0
	v_addc_co_u32_e32 v17, vcc, 0, v9, vcc
	s_waitcnt lgkmcnt(0)
	s_barrier
	flat_load_ushort v7, v[8:9]
	flat_load_ushort v18, v[8:9] offset:512
	flat_load_ushort v19, v[8:9] offset:1024
	;; [unrolled: 1-line block ×7, first 2 shown]
	v_add_co_u32_e32 v8, vcc, s3, v8
	flat_load_ushort v30, v[16:17]
	flat_load_ushort v31, v[16:17] offset:512
	flat_load_ushort v32, v[16:17] offset:1024
	;; [unrolled: 1-line block ×7, first 2 shown]
	v_addc_co_u32_e32 v9, vcc, 0, v9, vcc
	flat_load_ushort v16, v[8:9]
	flat_load_ushort v17, v[8:9] offset:512
	flat_load_ushort v38, v[8:9] offset:1024
	;; [unrolled: 1-line block ×7, first 2 shown]
	s_waitcnt vmcnt(0)
	v_cmp_ne_u16_e32 vcc, v6, v2
	v_cmp_ne_u16_sdwa s[6:7], v3, v5 src0_sel:WORD_1 src1_sel:DWORD
	v_cmp_ne_u16_e64 s[4:5], v15, v1
	v_cndmask_b32_e64 v1, 0, 1, vcc
	v_cndmask_b32_e64 v9, 0, 1, s[6:7]
	v_cmp_ne_u16_sdwa s[6:7], v2, v3 src0_sel:WORD_1 src1_sel:DWORD
	v_cmp_ne_u16_e32 vcc, v5, v10
	s_mov_b64 s[12:13], -1
	v_cndmask_b32_e64 v44, 0, 1, s[6:7]
	v_cmp_ne_u16_sdwa s[6:7], v3, v3 src0_sel:DWORD src1_sel:WORD_1
                                        ; implicit-def: $sgpr8
	s_waitcnt lgkmcnt(0)
	ds_write_b16 v22, v7
	ds_write_b16 v22, v18 offset:512
	ds_write_b16 v22, v19 offset:1024
	;; [unrolled: 1-line block ×23, first 2 shown]
	s_waitcnt lgkmcnt(0)
	s_barrier
	ds_read_b96 v[6:8], v4
	ds_read_b128 v[28:31], v4 offset:30
	ds_read_u16 v42, v4 offset:46
	ds_read2_b32 v[16:17], v4 offset0:3 offset1:4
	v_cndmask_b32_e64 v3, 0, 1, s[6:7]
	v_cmp_ne_u16_sdwa s[6:7], v2, v2 src0_sel:DWORD src1_sel:WORD_1
	s_waitcnt lgkmcnt(3)
	v_and_b32_e32 v19, 0xffff, v6
	v_and_b32_e32 v23, 0xffff, v7
	v_lshl_or_b32 v1, v1, 16, v19
	v_lshl_or_b32 v19, v44, 16, v23
	ds_read_u16 v23, v4 offset:28
	ds_read2_b32 v[32:33], v4 offset0:5 offset1:6
	v_cndmask_b32_e64 v2, 0, 1, s[6:7]
	v_cmp_ne_u16_sdwa s[6:7], v13, v13 src0_sel:DWORD src1_sel:WORD_1
	v_alignbit_b32 v18, v2, v6, 16
	v_cndmask_b32_e64 v2, 0, 1, vcc
	s_waitcnt lgkmcnt(0)
	v_and_b32_e32 v5, 0xffff, v33
	v_cndmask_b32_e64 v6, 0, 1, s[6:7]
	v_cmp_ne_u16_sdwa s[6:7], v12, v12 src0_sel:DWORD src1_sel:WORD_1
	v_and_b32_e32 v21, 0xffff, v8
	v_alignbit_b32 v38, v2, v8, 16
	v_and_b32_e32 v4, 0xffff, v32
	v_lshl_or_b32 v8, v6, 16, v5
	v_cndmask_b32_e64 v5, 0, 1, s[6:7]
	v_cmp_ne_u16_sdwa s[6:7], v11, v11 src0_sel:DWORD src1_sel:WORD_1
	v_alignbit_b32 v20, v3, v7, 16
	v_and_b32_e32 v3, 0xffff, v17
	v_lshl_or_b32 v6, v5, 16, v4
	v_cndmask_b32_e64 v4, 0, 1, s[6:7]
	v_cmp_ne_u16_sdwa s[6:7], v10, v10 src0_sel:DWORD src1_sel:WORD_1
	v_and_b32_e32 v2, 0xffff, v16
	v_lshl_or_b32 v4, v4, 16, v3
	v_cndmask_b32_e64 v3, 0, 1, s[6:7]
	v_cmp_ne_u16_sdwa s[6:7], v13, v14 src0_sel:WORD_1 src1_sel:DWORD
	v_lshl_or_b32 v2, v3, 16, v2
	v_lshl_or_b32 v21, v9, 16, v21
	v_cndmask_b32_e64 v3, 0, 1, s[6:7]
	v_cmp_ne_u16_sdwa s[6:7], v12, v13 src0_sel:WORD_1 src1_sel:DWORD
	v_alignbit_b32 v9, v3, v33, 16
	v_cmp_ne_u16_e32 vcc, v14, v24
	v_cndmask_b32_e64 v3, 0, 1, s[6:7]
	v_cmp_ne_u16_sdwa s[6:7], v11, v12 src0_sel:WORD_1 src1_sel:DWORD
	v_alignbit_b32 v7, v3, v32, 16
	v_and_b32_e32 v13, 0xffff, v31
	v_cndmask_b32_e64 v3, 0, 1, s[6:7]
	v_cmp_ne_u16_sdwa s[6:7], v10, v11 src0_sel:WORD_1 src1_sel:DWORD
	v_alignbit_b32 v5, v3, v17, 16
	v_and_b32_e32 v12, 0xffff, v30
	v_cndmask_b32_e64 v3, 0, 1, s[6:7]
	v_cmp_ne_u16_sdwa s[6:7], v27, v27 src0_sel:DWORD src1_sel:WORD_1
	v_alignbit_b32 v3, v3, v16, 16
	v_cndmask_b32_e64 v10, 0, 1, vcc
	v_cndmask_b32_e64 v14, 0, 1, s[6:7]
	v_cmp_ne_u16_sdwa s[6:7], v26, v26 src0_sel:DWORD src1_sel:WORD_1
	v_lshl_or_b32 v16, v14, 16, v13
	v_and_b32_e32 v11, 0xffff, v29
	v_cndmask_b32_e64 v13, 0, 1, s[6:7]
	v_cmp_ne_u16_sdwa s[6:7], v25, v25 src0_sel:DWORD src1_sel:WORD_1
	v_lshl_or_b32 v14, v13, 16, v12
	v_lshl_or_b32 v39, v10, 16, v23
	v_cndmask_b32_e64 v12, 0, 1, s[6:7]
	v_cmp_ne_u16_sdwa s[6:7], v24, v24 src0_sel:DWORD src1_sel:WORD_1
	v_and_b32_e32 v10, 0xffff, v28
	v_lshl_or_b32 v12, v12, 16, v11
	v_cndmask_b32_e64 v11, 0, 1, s[6:7]
	v_cmp_ne_u16_sdwa s[6:7], v27, v15 src0_sel:WORD_1 src1_sel:DWORD
	v_lshl_or_b32 v10, v11, 16, v10
	s_nop 0
	v_cndmask_b32_e64 v11, 0, 1, s[6:7]
	v_cmp_ne_u16_sdwa s[6:7], v26, v27 src0_sel:WORD_1 src1_sel:DWORD
	v_alignbit_b32 v17, v11, v31, 16
	s_nop 0
	v_cndmask_b32_e64 v11, 0, 1, s[6:7]
	v_cmp_ne_u16_sdwa s[6:7], v25, v26 src0_sel:WORD_1 src1_sel:DWORD
	v_alignbit_b32 v15, v11, v30, 16
	;; [unrolled: 4-line block ×3, first 2 shown]
	s_nop 0
	v_cndmask_b32_e64 v11, 0, 1, s[6:7]
	v_alignbit_b32 v11, v11, v28, 16
.LBB263_136:
	v_mov_b32_e32 v23, s8
	s_and_saveexec_b64 s[6:7], s[12:13]
	s_cbranch_execz .LBB263_138
; %bb.137:
	v_mov_b32_e32 v23, 0x10000
	v_cndmask_b32_e64 v23, 0, v23, s[4:5]
	s_waitcnt lgkmcnt(0)
	v_or_b32_sdwa v23, v23, v42 dst_sel:DWORD dst_unused:UNUSED_PAD src0_sel:DWORD src1_sel:WORD_0
.LBB263_138:
	s_or_b64 exec, exec, s[6:7]
	s_cmp_lg_u32 s2, 0
	v_mbcnt_lo_u32_b32 v34, -1, 0
	s_waitcnt lgkmcnt(0)
	s_barrier
	s_cbranch_scc0 .LBB263_209
; %bb.139:
	s_mov_b32 s3, 0x10000
	v_cmp_gt_u32_e64 s[52:53], s3, v18
	v_cmp_gt_u32_e64 s[4:5], s3, v19
	v_cmp_gt_u32_e64 s[6:7], s3, v20
	v_cndmask_b32_e64 v24, 0, v1, s[52:53]
	v_add_u16_e32 v24, v24, v18
	v_cndmask_b32_e64 v24, 0, v24, s[4:5]
	v_add_u16_e32 v24, v24, v19
	v_cndmask_b32_e64 v24, 0, v24, s[6:7]
	v_add_u16_e32 v24, v24, v20
	v_cmp_gt_u32_e64 s[8:9], s3, v21
	v_cmp_gt_u32_e64 s[10:11], s3, v38
	v_cmp_gt_u32_e64 s[12:13], s3, v2
	v_cndmask_b32_e64 v24, 0, v24, s[8:9]
	v_add_u16_e32 v24, v24, v21
	v_cndmask_b32_e64 v24, 0, v24, s[10:11]
	v_add_u16_e32 v24, v24, v38
	v_cndmask_b32_e64 v24, 0, v24, s[12:13]
	v_add_u16_e32 v24, v24, v2
	;; [unrolled: 9-line block ×5, first 2 shown]
	v_cmp_gt_u32_e64 s[34:35], s3, v11
	v_cmp_gt_u32_e64 s[36:37], s3, v12
	v_or3_b32 v25, v23, v17, v16
	v_cndmask_b32_e64 v24, 0, v24, s[34:35]
	v_add_u16_e32 v24, v24, v11
	v_cndmask_b32_e64 v24, 0, v24, s[36:37]
	v_add_u16_e32 v24, v24, v12
	v_cmp_gt_u32_e64 s[38:39], s3, v13
	v_or3_b32 v25, v25, v15, v14
	v_or3_b32 v25, v25, v13, v12
	v_cndmask_b32_e64 v24, 0, v24, s[38:39]
	v_add_u16_e32 v24, v24, v13
	v_cmp_gt_u32_e64 s[40:41], s3, v14
	v_or3_b32 v25, v25, v11, v10
	v_or3_b32 v25, v25, v39, v9
	;; [unrolled: 5-line block ×5, first 2 shown]
	v_cndmask_b32_e64 v24, 0, v24, s[46:47]
	v_add_u16_e32 v24, v24, v17
	v_cmp_gt_u32_e64 s[48:49], s3, v23
	v_and_b32_e32 v25, 0x10000, v25
	v_lshrrev_b32_e32 v35, 16, v1
	v_cndmask_b32_e64 v26, 0, v24, s[48:49]
	v_cmp_ne_u32_e32 vcc, 0, v25
	v_add_u16_e32 v24, v26, v23
	v_mbcnt_hi_u32_b32 v27, -1, v34
	v_cndmask_b32_e64 v25, v35, 1, vcc
	v_add_u16_e32 v26, v26, v23
	v_and_b32_e32 v29, 15, v27
	v_lshl_or_b32 v26, v25, 16, v26
	v_cmp_ne_u32_e32 vcc, 0, v29
	s_nop 0
	v_mov_b32_dpp v28, v26 row_shr:1 row_mask:0xf bank_mask:0xf
	s_and_saveexec_b64 s[50:51], vcc
	s_cbranch_execz .LBB263_141
; %bb.140:
	v_cmp_eq_u32_e32 vcc, 0, v25
	v_and_b32_e32 v25, 1, v25
	v_mov_b32_e32 v31, 1
	v_cndmask_b32_e32 v26, 0, v28, vcc
	v_and_b32_sdwa v28, v28, v31 dst_sel:DWORD dst_unused:UNUSED_PAD src0_sel:WORD_1 src1_sel:DWORD
	v_cmp_eq_u32_e32 vcc, 1, v25
	v_add_u16_e32 v30, v26, v24
	v_add_u16_e32 v24, v26, v24
	v_cndmask_b32_e64 v25, v28, 1, vcc
	v_lshlrev_b32_e32 v28, 16, v25
	v_or_b32_e32 v26, v28, v24
	v_mov_b32_e32 v24, v30
.LBB263_141:
	s_or_b64 exec, exec, s[50:51]
	v_lshrrev_b32_e32 v28, 16, v26
	v_mov_b32_dpp v30, v26 row_shr:2 row_mask:0xf bank_mask:0xf
	v_cmp_lt_u32_e32 vcc, 1, v29
	s_and_saveexec_b64 s[50:51], vcc
	s_cbranch_execz .LBB263_143
; %bb.142:
	v_cmp_gt_u32_e32 vcc, s3, v26
	v_and_b32_e32 v25, 0x10000, v26
	v_mov_b32_e32 v26, 1
	v_cndmask_b32_e32 v28, 0, v30, vcc
	v_and_b32_sdwa v26, v30, v26 dst_sel:DWORD dst_unused:UNUSED_PAD src0_sel:WORD_1 src1_sel:DWORD
	v_cmp_ne_u32_e32 vcc, 0, v25
	v_add_u16_e32 v31, v28, v24
	v_add_u16_e32 v24, v28, v24
	v_cndmask_b32_e64 v25, v26, 1, vcc
	v_lshlrev_b32_e32 v26, 16, v25
	v_or_b32_e32 v26, v26, v24
	v_mov_b32_e32 v28, v25
	v_mov_b32_e32 v24, v31
.LBB263_143:
	s_or_b64 exec, exec, s[50:51]
	v_mov_b32_dpp v30, v26 row_shr:4 row_mask:0xf bank_mask:0xf
	v_cmp_lt_u32_e32 vcc, 3, v29
	s_and_saveexec_b64 s[50:51], vcc
	s_cbranch_execz .LBB263_145
; %bb.144:
	v_mov_b32_e32 v25, 0
	v_cmp_eq_u16_sdwa vcc, v28, v25 src0_sel:BYTE_0 src1_sel:DWORD
	v_and_b32_e32 v25, 1, v28
	v_mov_b32_e32 v28, 1
	v_cndmask_b32_e32 v26, 0, v30, vcc
	v_and_b32_sdwa v28, v30, v28 dst_sel:DWORD dst_unused:UNUSED_PAD src0_sel:WORD_1 src1_sel:DWORD
	v_cmp_eq_u32_e32 vcc, 1, v25
	v_add_u16_e32 v31, v26, v24
	v_add_u16_e32 v24, v26, v24
	v_cndmask_b32_e64 v25, v28, 1, vcc
	v_lshlrev_b32_e32 v28, 16, v25
	v_or_b32_e32 v26, v28, v24
	v_mov_b32_e32 v28, v25
	v_mov_b32_e32 v24, v31
.LBB263_145:
	s_or_b64 exec, exec, s[50:51]
	v_mov_b32_dpp v30, v26 row_shr:8 row_mask:0xf bank_mask:0xf
	v_cmp_lt_u32_e32 vcc, 7, v29
	s_and_saveexec_b64 s[50:51], vcc
	s_cbranch_execz .LBB263_147
; %bb.146:
	v_mov_b32_e32 v25, 0
	v_cmp_eq_u16_sdwa vcc, v28, v25 src0_sel:BYTE_0 src1_sel:DWORD
	v_and_b32_e32 v25, 1, v28
	v_mov_b32_e32 v28, 1
	v_cndmask_b32_e32 v26, 0, v30, vcc
	v_and_b32_sdwa v28, v30, v28 dst_sel:DWORD dst_unused:UNUSED_PAD src0_sel:WORD_1 src1_sel:DWORD
	v_cmp_eq_u32_e32 vcc, 1, v25
	v_add_u16_e32 v29, v26, v24
	v_add_u16_e32 v24, v26, v24
	v_cndmask_b32_e64 v25, v28, 1, vcc
	v_lshlrev_b32_e32 v28, 16, v25
	v_or_b32_e32 v26, v28, v24
	v_mov_b32_e32 v28, v25
	v_mov_b32_e32 v24, v29
.LBB263_147:
	s_or_b64 exec, exec, s[50:51]
	v_and_b32_e32 v30, 16, v27
	v_mov_b32_dpp v29, v26 row_bcast:15 row_mask:0xf bank_mask:0xf
	v_cmp_ne_u32_e32 vcc, 0, v30
	s_and_saveexec_b64 s[50:51], vcc
	s_cbranch_execz .LBB263_149
; %bb.148:
	v_mov_b32_e32 v25, 0
	v_cmp_eq_u16_sdwa vcc, v28, v25 src0_sel:BYTE_0 src1_sel:DWORD
	v_and_b32_e32 v25, 1, v28
	v_mov_b32_e32 v28, 1
	v_cndmask_b32_e32 v26, 0, v29, vcc
	v_and_b32_sdwa v28, v29, v28 dst_sel:DWORD dst_unused:UNUSED_PAD src0_sel:WORD_1 src1_sel:DWORD
	v_cmp_eq_u32_e32 vcc, 1, v25
	v_add_u16_e32 v30, v26, v24
	v_add_u16_e32 v24, v26, v24
	v_cndmask_b32_e64 v25, v28, 1, vcc
	v_lshlrev_b32_e32 v28, 16, v25
	v_or_b32_e32 v26, v28, v24
	v_mov_b32_e32 v24, v30
	v_mov_b32_e32 v28, v25
.LBB263_149:
	s_or_b64 exec, exec, s[50:51]
	v_mov_b32_dpp v26, v26 row_bcast:31 row_mask:0xf bank_mask:0xf
	v_cmp_lt_u32_e32 vcc, 31, v27
	s_and_saveexec_b64 s[50:51], vcc
; %bb.150:
	v_mov_b32_e32 v25, 0
	v_cmp_eq_u16_sdwa vcc, v28, v25 src0_sel:BYTE_0 src1_sel:DWORD
	s_nop 1
	v_cndmask_b32_e32 v25, 0, v26, vcc
	v_add_u16_e32 v24, v25, v24
	v_and_b32_e32 v25, 1, v28
	v_mov_b32_e32 v28, 1
	v_and_b32_sdwa v26, v26, v28 dst_sel:DWORD dst_unused:UNUSED_PAD src0_sel:WORD_1 src1_sel:DWORD
	v_cmp_eq_u32_e32 vcc, 1, v25
	s_nop 1
	v_cndmask_b32_e64 v25, v26, 1, vcc
; %bb.151:
	s_or_b64 exec, exec, s[50:51]
	v_or_b32_e32 v28, 63, v0
	v_lshrrev_b32_e32 v26, 6, v0
	v_cmp_eq_u32_e32 vcc, v28, v0
	s_and_saveexec_b64 s[50:51], vcc
	s_cbranch_execz .LBB263_153
; %bb.152:
	v_lshlrev_b32_e32 v28, 2, v26
	ds_write_b16 v28, v24
	ds_write_b8 v28, v25 offset:2
.LBB263_153:
	s_or_b64 exec, exec, s[50:51]
	v_cmp_gt_u32_e32 vcc, 4, v0
	s_waitcnt lgkmcnt(0)
	s_barrier
	s_and_saveexec_b64 s[50:51], vcc
	s_cbranch_execz .LBB263_159
; %bb.154:
	v_lshlrev_b32_e32 v28, 2, v0
	ds_read_b32 v29, v28
	v_and_b32_e32 v32, 3, v27
	v_cmp_ne_u32_e32 vcc, 0, v32
	s_waitcnt lgkmcnt(0)
	v_lshrrev_b32_e32 v31, 16, v29
	v_mov_b32_dpp v33, v29 row_shr:1 row_mask:0xf bank_mask:0xf
	v_mov_b32_e32 v30, v29
	s_and_saveexec_b64 s[54:55], vcc
	s_cbranch_execz .LBB263_156
; %bb.155:
	v_mov_b32_e32 v30, 0
	v_cmp_eq_u16_sdwa vcc, v31, v30 src0_sel:BYTE_0 src1_sel:DWORD
	v_and_b32_e32 v31, 0x10000, v29
	v_mov_b32_e32 v40, 1
	v_cndmask_b32_e32 v37, 0, v33, vcc
	v_and_b32_sdwa v33, v33, v40 dst_sel:DWORD dst_unused:UNUSED_PAD src0_sel:WORD_1 src1_sel:DWORD
	v_cmp_ne_u32_e32 vcc, 0, v31
	v_and_b32_e32 v36, 0xff000000, v29
	v_add_u16_e32 v30, v37, v29
	v_cndmask_b32_e64 v31, v33, 1, vcc
	v_lshlrev_b32_e32 v33, 16, v31
	v_add_u16_e32 v29, v37, v29
	v_or3_b32 v29, v33, v36, v29
.LBB263_156:
	s_or_b64 exec, exec, s[54:55]
	s_nop 0
	v_mov_b32_dpp v33, v29 row_shr:2 row_mask:0xf bank_mask:0xf
	v_cmp_lt_u32_e32 vcc, 1, v32
	s_and_saveexec_b64 s[54:55], vcc
; %bb.157:
	v_and_b32_e32 v31, 0xff0000, v29
	v_cmp_eq_u32_e32 vcc, 0, v31
	v_and_b32_e32 v29, 0x10000, v29
	s_nop 0
	v_cndmask_b32_e32 v31, 0, v33, vcc
	v_add_u16_e32 v30, v31, v30
	v_mov_b32_e32 v31, 1
	v_and_b32_sdwa v31, v33, v31 dst_sel:DWORD dst_unused:UNUSED_PAD src0_sel:WORD_1 src1_sel:DWORD
	v_cmp_eq_u32_e32 vcc, 0, v29
	s_nop 1
	v_cndmask_b32_e32 v31, 1, v31, vcc
; %bb.158:
	s_or_b64 exec, exec, s[54:55]
	ds_write_b16 v28, v30
	ds_write_b8 v28, v31 offset:2
.LBB263_159:
	s_or_b64 exec, exec, s[50:51]
	v_cmp_gt_u32_e32 vcc, 64, v0
	v_cmp_lt_u32_e64 s[50:51], 63, v0
	v_mov_b32_e32 v36, 0
	v_mov_b32_e32 v37, 0
	s_waitcnt lgkmcnt(0)
	s_barrier
	s_and_saveexec_b64 s[54:55], s[50:51]
	s_cbranch_execz .LBB263_161
; %bb.160:
	v_lshl_add_u32 v26, v26, 2, -4
	ds_read_u16 v36, v26
	ds_read_u8 v37, v26 offset:2
	v_mov_b32_e32 v28, 0
	v_and_b32_e32 v29, 1, v25
	v_cmp_eq_u16_sdwa s[50:51], v25, v28 src0_sel:BYTE_0 src1_sel:DWORD
	s_waitcnt lgkmcnt(1)
	s_nop 0
	v_cndmask_b32_e64 v25, 0, v36, s[50:51]
	v_cmp_eq_u32_e64 s[50:51], 1, v29
	v_add_u16_e32 v24, v25, v24
	s_waitcnt lgkmcnt(0)
	v_cndmask_b32_e64 v25, v37, 1, s[50:51]
.LBB263_161:
	s_or_b64 exec, exec, s[54:55]
	v_and_b32_e32 v25, 0xff, v25
	v_and_b32_e32 v24, 0xffff, v24
	v_lshl_or_b32 v24, v25, 16, v24
	v_add_u32_e32 v25, -1, v27
	v_and_b32_e32 v26, 64, v27
	v_cmp_lt_i32_e64 s[50:51], v25, v26
	s_nop 1
	v_cndmask_b32_e64 v25, v25, v27, s[50:51]
	v_lshlrev_b32_e32 v25, 2, v25
	ds_bpermute_b32 v40, v25, v24
	v_cmp_eq_u32_e64 s[50:51], 0, v27
	s_and_saveexec_b64 s[54:55], vcc
	s_cbranch_execz .LBB263_208
; %bb.162:
	v_mov_b32_e32 v33, 0
	ds_read_b32 v24, v33 offset:12
	s_and_saveexec_b64 s[56:57], s[50:51]
	s_cbranch_execz .LBB263_164
; %bb.163:
	s_add_i32 s60, s2, 64
	s_mov_b32 s61, 0
	s_lshl_b64 s[60:61], s[60:61], 3
	s_add_u32 s60, s68, s60
	v_mov_b32_e32 v25, 1
	s_addc_u32 s61, s69, s61
	s_waitcnt lgkmcnt(0)
	global_store_dwordx2 v33, v[24:25], s[60:61] sc1
.LBB263_164:
	s_or_b64 exec, exec, s[56:57]
	v_xad_u32 v26, v27, -1, s2
	v_add_u32_e32 v32, 64, v26
	v_lshl_add_u64 v[30:31], v[32:33], 3, s[68:69]
	global_load_dwordx2 v[28:29], v[30:31], off sc1
	s_waitcnt vmcnt(0)
	v_cmp_eq_u16_sdwa s[60:61], v29, v33 src0_sel:BYTE_0 src1_sel:DWORD
	s_and_saveexec_b64 s[56:57], s[60:61]
	s_cbranch_execz .LBB263_170
; %bb.165:
	s_mov_b32 s3, 1
	s_mov_b64 s[60:61], 0
	v_mov_b32_e32 v25, 0
.LBB263_166:                            ; =>This Loop Header: Depth=1
                                        ;     Child Loop BB263_167 Depth 2
	s_max_u32 s66, s3, 1
.LBB263_167:                            ;   Parent Loop BB263_166 Depth=1
                                        ; =>  This Inner Loop Header: Depth=2
	s_add_i32 s66, s66, -1
	s_cmp_eq_u32 s66, 0
	s_sleep 1
	s_cbranch_scc0 .LBB263_167
; %bb.168:                              ;   in Loop: Header=BB263_166 Depth=1
	global_load_dwordx2 v[28:29], v[30:31], off sc1
	s_cmp_lt_u32 s3, 32
	s_cselect_b64 s[66:67], -1, 0
	s_cmp_lg_u64 s[66:67], 0
	s_addc_u32 s3, s3, 0
	s_waitcnt vmcnt(0)
	v_cmp_ne_u16_sdwa s[66:67], v29, v25 src0_sel:BYTE_0 src1_sel:DWORD
	s_or_b64 s[60:61], s[66:67], s[60:61]
	s_andn2_b64 exec, exec, s[60:61]
	s_cbranch_execnz .LBB263_166
; %bb.169:
	s_or_b64 exec, exec, s[60:61]
.LBB263_170:
	s_or_b64 exec, exec, s[56:57]
	v_mov_b32_e32 v25, 2
	v_cmp_eq_u16_sdwa s[56:57], v29, v25 src0_sel:BYTE_0 src1_sel:DWORD
	v_lshlrev_b64 v[30:31], v27, -1
	v_and_b32_e32 v52, 0xffffff, v28
	v_and_b32_e32 v25, s57, v31
	v_or_b32_e32 v25, 0x80000000, v25
	v_ffbl_b32_e32 v25, v25
	v_add_u32_e32 v33, 32, v25
	v_and_b32_e32 v25, 63, v27
	v_cmp_ne_u32_e32 vcc, 63, v25
	v_and_b32_e32 v32, s56, v30
	v_ffbl_b32_e32 v32, v32
	v_addc_co_u32_e32 v41, vcc, 0, v27, vcc
	v_lshlrev_b32_e32 v41, 2, v41
	ds_bpermute_b32 v42, v41, v52
	v_min_u32_e32 v33, v32, v33
	v_lshrrev_b32_e32 v32, 16, v28
	v_cmp_lt_u32_e32 vcc, v25, v33
	v_bfe_u32 v50, v28, 16, 8
	s_and_saveexec_b64 s[56:57], vcc
	s_cbranch_execz .LBB263_172
; %bb.171:
	v_and_b32_e32 v32, 0xff0000, v28
	v_cmp_eq_u32_e32 vcc, 0, v32
	v_and_b32_e32 v32, 0x10000, v32
	v_mov_b32_e32 v45, 1
	s_waitcnt lgkmcnt(0)
	v_cndmask_b32_e32 v43, 0, v42, vcc
	v_and_b32_sdwa v42, v42, v45 dst_sel:DWORD dst_unused:UNUSED_PAD src0_sel:WORD_1 src1_sel:DWORD
	v_cmp_ne_u32_e32 vcc, 0, v32
	v_add_u16_e32 v44, v43, v28
	v_add_u16_e32 v28, v43, v28
	v_cndmask_b32_e64 v32, v42, 1, vcc
	v_lshlrev_b32_e32 v42, 16, v32
	v_or_b32_e32 v52, v42, v28
	v_mov_b32_e32 v28, v44
	v_mov_b32_e32 v50, v32
.LBB263_172:
	s_or_b64 exec, exec, s[56:57]
	v_cmp_gt_u32_e32 vcc, 62, v25
	v_add_u32_e32 v43, 2, v25
	s_waitcnt lgkmcnt(0)
	v_cndmask_b32_e64 v42, 0, 1, vcc
	v_lshlrev_b32_e32 v42, 1, v42
	v_add_lshl_u32 v42, v42, v27, 2
	ds_bpermute_b32 v44, v42, v52
	v_cmp_le_u32_e32 vcc, v43, v33
	s_and_saveexec_b64 s[56:57], vcc
	s_cbranch_execz .LBB263_174
; %bb.173:
	v_cmp_eq_u16_e32 vcc, 0, v50
	v_and_b32_e32 v32, 1, v50
	v_mov_b32_e32 v47, 1
	s_waitcnt lgkmcnt(0)
	v_cndmask_b32_e32 v45, 0, v44, vcc
	v_and_b32_sdwa v44, v44, v47 dst_sel:DWORD dst_unused:UNUSED_PAD src0_sel:WORD_1 src1_sel:DWORD
	v_cmp_eq_u32_e32 vcc, 1, v32
	v_add_u16_e32 v46, v45, v28
	v_add_u16_e32 v28, v45, v28
	v_cndmask_b32_e64 v32, v44, 1, vcc
	v_lshlrev_b32_e32 v44, 16, v32
	v_or_b32_e32 v52, v44, v28
	v_mov_b32_e32 v28, v46
	v_mov_b32_e32 v50, v32
.LBB263_174:
	s_or_b64 exec, exec, s[56:57]
	v_cmp_gt_u32_e32 vcc, 60, v25
	v_add_u32_e32 v45, 4, v25
	s_waitcnt lgkmcnt(0)
	v_cndmask_b32_e64 v44, 0, 1, vcc
	v_lshlrev_b32_e32 v44, 2, v44
	v_add_lshl_u32 v44, v44, v27, 2
	ds_bpermute_b32 v46, v44, v52
	v_cmp_le_u32_e32 vcc, v45, v33
	s_and_saveexec_b64 s[56:57], vcc
	s_cbranch_execz .LBB263_176
; %bb.175:
	v_cmp_eq_u16_e32 vcc, 0, v50
	v_and_b32_e32 v32, 1, v50
	v_mov_b32_e32 v49, 1
	s_waitcnt lgkmcnt(0)
	v_cndmask_b32_e32 v47, 0, v46, vcc
	v_and_b32_sdwa v46, v46, v49 dst_sel:DWORD dst_unused:UNUSED_PAD src0_sel:WORD_1 src1_sel:DWORD
	v_cmp_eq_u32_e32 vcc, 1, v32
	v_add_u16_e32 v48, v47, v28
	v_add_u16_e32 v28, v47, v28
	v_cndmask_b32_e64 v32, v46, 1, vcc
	v_lshlrev_b32_e32 v46, 16, v32
	v_or_b32_e32 v52, v46, v28
	v_mov_b32_e32 v28, v48
	v_mov_b32_e32 v50, v32
.LBB263_176:
	;; [unrolled: 27-line block ×4, first 2 shown]
	s_or_b64 exec, exec, s[56:57]
	v_cmp_gt_u32_e32 vcc, 32, v25
	v_add_u32_e32 v53, 32, v25
	s_waitcnt lgkmcnt(0)
	v_cndmask_b32_e64 v51, 0, 1, vcc
	v_lshlrev_b32_e32 v51, 5, v51
	v_add_lshl_u32 v51, v51, v27, 2
	ds_bpermute_b32 v27, v51, v52
	v_cmp_le_u32_e32 vcc, v53, v33
	s_and_saveexec_b64 s[56:57], vcc
	s_cbranch_execz .LBB263_182
; %bb.181:
	v_cmp_eq_u16_e32 vcc, 0, v50
	v_mov_b32_e32 v33, 1
	s_waitcnt lgkmcnt(0)
	v_cndmask_b32_e32 v32, 0, v27, vcc
	v_add_u16_e32 v28, v32, v28
	v_and_b32_e32 v32, 1, v50
	v_and_b32_sdwa v27, v27, v33 dst_sel:DWORD dst_unused:UNUSED_PAD src0_sel:WORD_1 src1_sel:DWORD
	v_cmp_eq_u32_e32 vcc, 1, v32
	s_nop 1
	v_cndmask_b32_e64 v32, v27, 1, vcc
.LBB263_182:
	s_or_b64 exec, exec, s[56:57]
	s_waitcnt lgkmcnt(0)
	v_mov_b32_e32 v27, 0
	v_mov_b32_e32 v54, 2
	;; [unrolled: 1-line block ×3, first 2 shown]
	s_branch .LBB263_184
.LBB263_183:                            ;   in Loop: Header=BB263_184 Depth=1
	s_or_b64 exec, exec, s[56:57]
	v_cmp_eq_u16_sdwa vcc, v50, v27 src0_sel:BYTE_0 src1_sel:DWORD
	v_and_b32_e32 v32, 1, v50
	v_and_b32_e32 v33, 1, v33
	v_cndmask_b32_e32 v28, 0, v28, vcc
	v_cmp_eq_u32_e32 vcc, 1, v32
	v_subrev_u32_e32 v26, 64, v26
	v_add_u16_e32 v28, v28, v52
	v_cndmask_b32_e64 v32, v33, 1, vcc
.LBB263_184:                            ; =>This Loop Header: Depth=1
                                        ;     Child Loop BB263_187 Depth 2
                                        ;       Child Loop BB263_188 Depth 3
	v_cmp_ne_u16_sdwa s[56:57], v29, v54 src0_sel:BYTE_0 src1_sel:DWORD
	v_mov_b32_e32 v50, v32
	v_mov_b32_e32 v52, v28
	v_cndmask_b32_e64 v29, 0, 1, s[56:57]
	;;#ASMSTART
	;;#ASMEND
	s_nop 0
	v_cmp_ne_u32_e32 vcc, 0, v29
	s_cmp_lg_u64 vcc, exec
	s_cbranch_scc1 .LBB263_203
; %bb.185:                              ;   in Loop: Header=BB263_184 Depth=1
	v_lshl_add_u64 v[32:33], v[26:27], 3, s[68:69]
	global_load_dwordx2 v[28:29], v[32:33], off sc1
	s_waitcnt vmcnt(0)
	v_cmp_eq_u16_sdwa s[60:61], v29, v27 src0_sel:BYTE_0 src1_sel:DWORD
	s_and_saveexec_b64 s[56:57], s[60:61]
	s_cbranch_execz .LBB263_191
; %bb.186:                              ;   in Loop: Header=BB263_184 Depth=1
	s_mov_b32 s3, 1
	s_mov_b64 s[60:61], 0
.LBB263_187:                            ;   Parent Loop BB263_184 Depth=1
                                        ; =>  This Loop Header: Depth=2
                                        ;       Child Loop BB263_188 Depth 3
	s_max_u32 s66, s3, 1
.LBB263_188:                            ;   Parent Loop BB263_184 Depth=1
                                        ;     Parent Loop BB263_187 Depth=2
                                        ; =>    This Inner Loop Header: Depth=3
	s_add_i32 s66, s66, -1
	s_cmp_eq_u32 s66, 0
	s_sleep 1
	s_cbranch_scc0 .LBB263_188
; %bb.189:                              ;   in Loop: Header=BB263_187 Depth=2
	global_load_dwordx2 v[28:29], v[32:33], off sc1
	s_cmp_lt_u32 s3, 32
	s_cselect_b64 s[66:67], -1, 0
	s_cmp_lg_u64 s[66:67], 0
	s_addc_u32 s3, s3, 0
	s_waitcnt vmcnt(0)
	v_cmp_ne_u16_sdwa s[66:67], v29, v27 src0_sel:BYTE_0 src1_sel:DWORD
	s_or_b64 s[60:61], s[66:67], s[60:61]
	s_andn2_b64 exec, exec, s[60:61]
	s_cbranch_execnz .LBB263_187
; %bb.190:                              ;   in Loop: Header=BB263_184 Depth=1
	s_or_b64 exec, exec, s[60:61]
.LBB263_191:                            ;   in Loop: Header=BB263_184 Depth=1
	s_or_b64 exec, exec, s[56:57]
	v_cmp_eq_u16_sdwa s[56:57], v29, v54 src0_sel:BYTE_0 src1_sel:DWORD
	s_waitcnt lgkmcnt(0)
	v_and_b32_e32 v57, 0xffffff, v28
	ds_bpermute_b32 v58, v41, v57
	v_and_b32_e32 v32, s57, v31
	v_or_b32_e32 v32, 0x80000000, v32
	v_and_b32_e32 v33, s56, v30
	v_ffbl_b32_e32 v32, v32
	v_add_u32_e32 v32, 32, v32
	v_ffbl_b32_e32 v33, v33
	v_min_u32_e32 v32, v33, v32
	v_lshrrev_b32_e32 v33, 16, v28
	v_cmp_lt_u32_e32 vcc, v25, v32
	v_bfe_u32 v56, v28, 16, 8
	s_and_saveexec_b64 s[56:57], vcc
	s_cbranch_execz .LBB263_193
; %bb.192:                              ;   in Loop: Header=BB263_184 Depth=1
	v_and_b32_e32 v33, 0xff0000, v28
	v_cmp_eq_u32_e32 vcc, 0, v33
	v_and_b32_e32 v33, 0x10000, v33
	s_waitcnt lgkmcnt(0)
	v_and_b32_sdwa v57, v58, v55 dst_sel:DWORD dst_unused:UNUSED_PAD src0_sel:WORD_1 src1_sel:DWORD
	v_cndmask_b32_e32 v56, 0, v58, vcc
	v_cmp_ne_u32_e32 vcc, 0, v33
	v_add_u16_e32 v59, v56, v28
	v_add_u16_e32 v28, v56, v28
	v_cndmask_b32_e64 v33, v57, 1, vcc
	v_lshlrev_b32_e32 v57, 16, v33
	v_or_b32_e32 v57, v57, v28
	v_mov_b32_e32 v28, v59
	v_mov_b32_e32 v56, v33
.LBB263_193:                            ;   in Loop: Header=BB263_184 Depth=1
	s_or_b64 exec, exec, s[56:57]
	s_waitcnt lgkmcnt(0)
	ds_bpermute_b32 v58, v42, v57
	v_cmp_le_u32_e32 vcc, v43, v32
	s_and_saveexec_b64 s[56:57], vcc
	s_cbranch_execz .LBB263_195
; %bb.194:                              ;   in Loop: Header=BB263_184 Depth=1
	v_cmp_eq_u16_e32 vcc, 0, v56
	v_and_b32_e32 v33, 1, v56
	s_waitcnt lgkmcnt(0)
	v_and_b32_sdwa v56, v58, v55 dst_sel:DWORD dst_unused:UNUSED_PAD src0_sel:WORD_1 src1_sel:DWORD
	v_cndmask_b32_e32 v57, 0, v58, vcc
	v_cmp_eq_u32_e32 vcc, 1, v33
	v_add_u16_e32 v59, v57, v28
	v_add_u16_e32 v28, v57, v28
	v_cndmask_b32_e64 v33, v56, 1, vcc
	v_lshlrev_b32_e32 v56, 16, v33
	v_or_b32_e32 v57, v56, v28
	v_mov_b32_e32 v28, v59
	v_mov_b32_e32 v56, v33
.LBB263_195:                            ;   in Loop: Header=BB263_184 Depth=1
	s_or_b64 exec, exec, s[56:57]
	s_waitcnt lgkmcnt(0)
	ds_bpermute_b32 v58, v44, v57
	v_cmp_le_u32_e32 vcc, v45, v32
	s_and_saveexec_b64 s[56:57], vcc
	s_cbranch_execz .LBB263_197
; %bb.196:                              ;   in Loop: Header=BB263_184 Depth=1
	v_cmp_eq_u16_e32 vcc, 0, v56
	v_and_b32_e32 v33, 1, v56
	s_waitcnt lgkmcnt(0)
	v_and_b32_sdwa v56, v58, v55 dst_sel:DWORD dst_unused:UNUSED_PAD src0_sel:WORD_1 src1_sel:DWORD
	v_cndmask_b32_e32 v57, 0, v58, vcc
	v_cmp_eq_u32_e32 vcc, 1, v33
	v_add_u16_e32 v59, v57, v28
	v_add_u16_e32 v28, v57, v28
	v_cndmask_b32_e64 v33, v56, 1, vcc
	v_lshlrev_b32_e32 v56, 16, v33
	v_or_b32_e32 v57, v56, v28
	v_mov_b32_e32 v28, v59
	v_mov_b32_e32 v56, v33
.LBB263_197:                            ;   in Loop: Header=BB263_184 Depth=1
	;; [unrolled: 21-line block ×4, first 2 shown]
	s_or_b64 exec, exec, s[56:57]
	ds_bpermute_b32 v57, v51, v57
	v_cmp_le_u32_e32 vcc, v53, v32
	s_and_saveexec_b64 s[56:57], vcc
	s_cbranch_execz .LBB263_183
; %bb.202:                              ;   in Loop: Header=BB263_184 Depth=1
	v_cmp_eq_u16_e32 vcc, 0, v56
	s_waitcnt lgkmcnt(0)
	v_lshrrev_b32_e32 v33, 16, v57
	v_cndmask_b32_e32 v32, 0, v57, vcc
	v_add_u16_e32 v28, v32, v28
	v_and_b32_e32 v32, 1, v56
	v_cmp_eq_u32_e32 vcc, 1, v32
	s_nop 1
	v_cndmask_b32_e64 v33, v33, 1, vcc
	s_branch .LBB263_183
.LBB263_203:                            ;   in Loop: Header=BB263_184 Depth=1
                                        ; implicit-def: $vgpr32
                                        ; implicit-def: $vgpr28
	s_cbranch_execz .LBB263_184
; %bb.204:
	s_and_saveexec_b64 s[56:57], s[50:51]
	s_cbranch_execz .LBB263_206
; %bb.205:
	v_and_b32_e32 v25, 0xff0000, v24
	s_mov_b32 s3, 0
	v_cmp_eq_u32_e32 vcc, 0, v25
	v_and_b32_e32 v26, 0x10000, v24
	v_mov_b32_e32 v27, 1
	s_add_i32 s2, s2, 64
	v_cndmask_b32_e32 v25, 0, v52, vcc
	v_and_b32_sdwa v27, v50, v27 dst_sel:WORD_1 dst_unused:UNUSED_PAD src0_sel:DWORD src1_sel:DWORD
	v_mov_b32_e32 v28, 0x10000
	v_cmp_eq_u32_e32 vcc, 0, v26
	s_lshl_b64 s[2:3], s[2:3], 3
	s_add_u32 s2, s68, s2
	v_cndmask_b32_e32 v26, v28, v27, vcc
	v_add_u16_e32 v24, v25, v24
	s_addc_u32 s3, s69, s3
	v_mov_b32_e32 v27, 0
	v_or_b32_e32 v24, v26, v24
	v_mov_b32_e32 v25, 2
	global_store_dwordx2 v27, v[24:25], s[2:3] sc1
.LBB263_206:
	s_or_b64 exec, exec, s[56:57]
	v_cmp_eq_u32_e32 vcc, 0, v0
	s_and_b64 exec, exec, vcc
	s_cbranch_execz .LBB263_208
; %bb.207:
	v_mov_b32_e32 v24, 0
	ds_write_b16 v24, v52 offset:12
	ds_write_b8 v24, v50 offset:14
.LBB263_208:
	s_or_b64 exec, exec, s[54:55]
	s_waitcnt lgkmcnt(0)
	v_lshrrev_b32_e32 v24, 16, v40
	v_mov_b32_e32 v26, 0
	s_mov_b32 s2, 0x10000
	v_cndmask_b32_e64 v24, v24, v37, s[50:51]
	v_cndmask_b32_e64 v25, v40, v36, s[50:51]
	s_barrier
	ds_read_b32 v27, v26 offset:12
	v_cmp_gt_u32_e32 vcc, s2, v1
	v_and_b32_e32 v28, 0x10000, v1
	v_and_b32_e32 v24, 1, v24
	v_cndmask_b32_e32 v25, 0, v25, vcc
	v_cmp_ne_u32_e32 vcc, 0, v28
	s_nop 1
	v_cndmask_b32_e64 v24, v24, 1, vcc
	v_cmp_eq_u32_e32 vcc, 0, v0
	s_nop 1
	v_cndmask_b32_e32 v24, v24, v35, vcc
	v_cndmask_b32_e64 v25, v25, 0, vcc
	v_cmp_eq_u16_sdwa vcc, v24, v26 src0_sel:BYTE_0 src1_sel:DWORD
	v_add_u16_e32 v25, v25, v1
	s_waitcnt lgkmcnt(0)
	v_cndmask_b32_e32 v24, 0, v27, vcc
	v_add_u16_e32 v50, v25, v24
	v_cndmask_b32_e64 v24, 0, v50, s[52:53]
	v_add_u16_e32 v24, v24, v18
	v_cndmask_b32_e64 v25, 0, v24, s[4:5]
	;; [unrolled: 2-line block ×23, first 2 shown]
	v_add_u16_e32 v49, v49, v23
	s_branch .LBB263_239
.LBB263_209:
                                        ; implicit-def: $vgpr50
                                        ; implicit-def: $vgpr24
                                        ; implicit-def: $vgpr25
                                        ; implicit-def: $vgpr26
                                        ; implicit-def: $vgpr27
                                        ; implicit-def: $vgpr28
                                        ; implicit-def: $vgpr29
                                        ; implicit-def: $vgpr31
                                        ; implicit-def: $vgpr30
                                        ; implicit-def: $vgpr32
                                        ; implicit-def: $vgpr33
                                        ; implicit-def: $vgpr35
                                        ; implicit-def: $vgpr36
                                        ; implicit-def: $vgpr37
                                        ; implicit-def: $vgpr40
                                        ; implicit-def: $vgpr42
                                        ; implicit-def: $vgpr41
                                        ; implicit-def: $vgpr43
                                        ; implicit-def: $vgpr44
                                        ; implicit-def: $vgpr45
                                        ; implicit-def: $vgpr46
                                        ; implicit-def: $vgpr47
                                        ; implicit-def: $vgpr48
                                        ; implicit-def: $vgpr49
	s_cbranch_execz .LBB263_239
; %bb.210:
	s_cmp_lg_u64 s[74:75], 0
	s_cselect_b32 s5, s63, 0
	s_cselect_b32 s4, s62, 0
	s_cmp_lg_u64 s[4:5], 0
	s_cselect_b64 s[6:7], -1, 0
	v_cmp_eq_u32_e32 vcc, 0, v0
	v_cmp_ne_u32_e64 s[2:3], 0, v0
	s_and_b64 s[8:9], vcc, s[6:7]
	s_and_saveexec_b64 s[6:7], s[8:9]
	s_cbranch_execz .LBB263_212
; %bb.211:
	v_mov_b32_e32 v24, 0
	global_load_ushort v25, v24, s[4:5]
	global_load_ubyte v26, v24, s[4:5] offset:2
	s_mov_b32 s4, 0x10000
	v_and_b32_e32 v24, 0x10000, v1
	v_mov_b32_e32 v27, 1
	v_cmp_gt_u32_e64 s[4:5], s4, v1
	v_mov_b32_e32 v28, 0x10000
	s_waitcnt vmcnt(0)
	v_and_b32_sdwa v26, v26, v27 dst_sel:WORD_1 dst_unused:UNUSED_PAD src0_sel:DWORD src1_sel:DWORD
	v_cndmask_b32_e64 v25, 0, v25, s[4:5]
	v_cmp_eq_u32_e64 s[4:5], 0, v24
	v_add_u16_e32 v1, v25, v1
	s_nop 0
	v_cndmask_b32_e64 v24, v28, v26, s[4:5]
	v_or_b32_e32 v1, v24, v1
.LBB263_212:
	s_or_b64 exec, exec, s[6:7]
	s_mov_b32 s50, 0x10000
	v_cmp_gt_u32_e64 s[4:5], s50, v18
	v_cmp_gt_u32_e64 s[6:7], s50, v19
	;; [unrolled: 1-line block ×3, first 2 shown]
	v_cndmask_b32_e64 v24, 0, v1, s[4:5]
	v_add_u16_e32 v24, v24, v18
	v_cndmask_b32_e64 v25, 0, v24, s[6:7]
	v_add_u16_e32 v25, v25, v19
	v_bfe_u32 v28, v19, 16, 1
	v_mov_b32_e32 v53, 1
	v_cndmask_b32_e64 v26, 0, v25, s[8:9]
	v_lshlrev_b16_e32 v28, 1, v28
	v_and_b32_sdwa v29, v18, v53 dst_sel:DWORD dst_unused:UNUSED_PAD src0_sel:WORD_1 src1_sel:DWORD
	v_add_u16_e32 v26, v26, v20
	v_cmp_gt_u32_e64 s[10:11], s50, v21
	v_or_b32_e32 v28, v29, v28
	v_bfe_u32 v29, v21, 16, 1
	v_and_b32_sdwa v30, v20, v53 dst_sel:DWORD dst_unused:UNUSED_PAD src0_sel:WORD_1 src1_sel:DWORD
	v_cndmask_b32_e64 v27, 0, v26, s[10:11]
	v_lshlrev_b16_e32 v29, 3, v29
	v_lshlrev_b16_e32 v30, 2, v30
	v_add_u16_e32 v27, v27, v21
	v_or_b32_e32 v29, v29, v30
	v_cmp_gt_u32_e64 s[12:13], s50, v38
	v_or_b32_e32 v49, v28, v29
	v_and_b32_e32 v29, 0x10000, v38
	v_cndmask_b32_e64 v28, 0, v27, s[12:13]
	v_add_u16_e32 v28, v28, v38
	v_cmp_gt_u32_e64 s[14:15], s50, v2
	v_cmp_ne_u32_e64 s[52:53], 0, v29
	v_cmp_gt_u32_e64 s[16:17], s50, v3
	v_cndmask_b32_e64 v29, 0, v28, s[14:15]
	v_add_u16_e32 v29, v29, v2
	v_cndmask_b32_e64 v30, 0, v29, s[16:17]
	v_add_u16_e32 v31, v30, v3
	v_cmp_gt_u32_e64 s[18:19], s50, v4
	v_cmp_gt_u32_e64 s[20:21], s50, v5
	;; [unrolled: 1-line block ×3, first 2 shown]
	v_cndmask_b32_e64 v30, 0, v31, s[18:19]
	v_add_u16_e32 v30, v30, v4
	v_cndmask_b32_e64 v32, 0, v30, s[20:21]
	v_add_u16_e32 v32, v32, v5
	;; [unrolled: 2-line block ×3, first 2 shown]
	v_cmp_gt_u32_e64 s[24:25], s50, v7
	v_cmp_gt_u32_e64 s[26:27], s50, v8
	;; [unrolled: 1-line block ×3, first 2 shown]
	v_cndmask_b32_e64 v35, 0, v33, s[24:25]
	v_add_u16_e32 v35, v35, v7
	v_cndmask_b32_e64 v36, 0, v35, s[26:27]
	v_add_u16_e32 v36, v36, v8
	;; [unrolled: 2-line block ×3, first 2 shown]
	v_cmp_gt_u32_e64 s[30:31], s50, v39
	v_and_b32_e32 v41, 0x10000, v39
	v_cmp_gt_u32_e64 s[34:35], s50, v10
	v_cndmask_b32_e64 v40, 0, v37, s[30:31]
	v_add_u16_e32 v40, v40, v39
	v_cmp_ne_u32_e64 s[54:55], 0, v41
	v_cndmask_b32_e64 v41, 0, v40, s[34:35]
	v_add_u16_e32 v42, v41, v10
	v_cmp_gt_u32_e64 s[36:37], s50, v11
	v_cmp_gt_u32_e64 s[38:39], s50, v12
	v_and_b32_e32 v52, 0x10000, v23
	v_cndmask_b32_e64 v41, 0, v42, s[36:37]
	v_add_u16_e32 v41, v41, v11
	v_cndmask_b32_e64 v43, 0, v41, s[38:39]
	v_add_u16_e32 v43, v43, v12
	v_cmp_gt_u32_e64 s[40:41], s50, v13
	v_cmp_ne_u32_e64 s[56:57], 0, v52
	v_or_b32_e32 v52, v16, v8
	v_or_b32_e32 v55, v17, v9
	;; [unrolled: 1-line block ×3, first 2 shown]
	v_cndmask_b32_e64 v44, 0, v43, s[40:41]
	v_or_b32_e32 v56, v14, v6
	v_or_b32_e32 v58, v12, v4
	;; [unrolled: 1-line block ×4, first 2 shown]
	v_bfe_u32 v57, v57, 16, 1
	v_bfe_u32 v55, v55, 16, 1
	v_and_b32_sdwa v52, v52, v53 dst_sel:DWORD dst_unused:UNUSED_PAD src0_sel:WORD_1 src1_sel:DWORD
	v_add_u16_e32 v44, v44, v13
	v_cmp_gt_u32_e64 s[42:43], s50, v14
	v_or_b32_e32 v60, v10, v2
	v_bfe_u32 v61, v61, 16, 1
	v_bfe_u32 v59, v59, 16, 1
	v_and_b32_sdwa v58, v58, v53 dst_sel:DWORD dst_unused:UNUSED_PAD src0_sel:WORD_1 src1_sel:DWORD
	v_lshlrev_b16_e32 v57, 1, v57
	v_and_b32_sdwa v56, v56, v53 dst_sel:DWORD dst_unused:UNUSED_PAD src0_sel:WORD_1 src1_sel:DWORD
	v_lshlrev_b16_e32 v55, 3, v55
	v_lshlrev_b16_e32 v52, 2, v52
	v_cndmask_b32_e64 v45, 0, v44, s[42:43]
	v_lshlrev_b16_e32 v61, 1, v61
	v_and_b32_sdwa v60, v60, v53 dst_sel:DWORD dst_unused:UNUSED_PAD src0_sel:WORD_1 src1_sel:DWORD
	v_lshlrev_b16_e32 v59, 3, v59
	v_lshlrev_b16_e32 v58, 2, v58
	v_or_b32_e32 v56, v56, v57
	v_or_b32_e32 v52, v55, v52
	v_add_u16_e32 v45, v45, v14
	v_cmp_gt_u32_e64 s[44:45], s50, v15
	v_or_b32_e32 v60, v60, v61
	v_or_b32_e32 v58, v59, v58
	;; [unrolled: 1-line block ×3, first 2 shown]
	v_cndmask_b32_e64 v46, 0, v45, s[44:45]
	v_or_b32_e32 v58, v60, v58
	v_lshlrev_b16_e32 v52, 4, v52
	v_add_u16_e32 v46, v46, v15
	v_cmp_gt_u32_e64 s[46:47], s50, v16
	v_or_b32_e32 v52, v58, v52
	v_or_b32_e32 v49, v52, v49
	v_cndmask_b32_e64 v47, 0, v46, s[46:47]
	v_mov_b32_e32 v52, 0
	v_add_u16_e32 v47, v47, v16
	v_cmp_gt_u32_e64 s[48:49], s50, v17
	v_cmp_ne_u16_sdwa s[60:61], v49, v52 src0_sel:BYTE_0 src1_sel:DWORD
	s_or_b64 s[56:57], s[56:57], s[60:61]
	v_cndmask_b32_e64 v48, 0, v47, s[48:49]
	v_add_u16_e32 v48, v48, v17
	v_cmp_gt_u32_e64 s[50:51], s50, v23
	s_or_b64 s[54:55], s[56:57], s[54:55]
	v_lshrrev_b32_e32 v50, 16, v1
	v_cndmask_b32_e64 v54, 0, v48, s[50:51]
	s_or_b64 s[52:53], s[54:55], s[52:53]
	v_cndmask_b32_e64 v52, v50, 1, s[52:53]
	v_mbcnt_hi_u32_b32 v34, -1, v34
	v_add_u16_e32 v49, v54, v23
	v_add_u16_e32 v51, v54, v23
	v_and_b32_e32 v55, 15, v34
	v_lshl_or_b32 v54, v52, 16, v49
	v_cmp_ne_u32_e64 s[52:53], 0, v55
	s_nop 0
	v_mov_b32_dpp v56, v54 row_shr:1 row_mask:0xf bank_mask:0xf
	s_and_saveexec_b64 s[54:55], s[52:53]
; %bb.213:
	v_cmp_eq_u32_e64 s[52:53], 0, v52
	v_and_b32_e32 v52, 1, v52
	v_and_b32_sdwa v53, v56, v53 dst_sel:DWORD dst_unused:UNUSED_PAD src0_sel:WORD_1 src1_sel:DWORD
	v_cndmask_b32_e64 v54, 0, v56, s[52:53]
	v_cmp_eq_u32_e64 s[52:53], 1, v52
	v_add_u16_e32 v57, v51, v54
	v_add_u16_e32 v51, v51, v54
	v_cndmask_b32_e64 v52, v53, 1, s[52:53]
	v_lshlrev_b32_e32 v53, 16, v52
	v_or_b32_e32 v54, v53, v51
	v_mov_b32_e32 v51, v57
; %bb.214:
	s_or_b64 exec, exec, s[54:55]
	v_lshrrev_b32_e32 v53, 16, v54
	v_mov_b32_dpp v56, v54 row_shr:2 row_mask:0xf bank_mask:0xf
	v_cmp_lt_u32_e64 s[52:53], 1, v55
	s_and_saveexec_b64 s[54:55], s[52:53]
	s_cbranch_execz .LBB263_216
; %bb.215:
	s_mov_b32 s52, 0x10000
	v_cmp_gt_u32_e64 s[52:53], s52, v54
	v_and_b32_e32 v52, 0x10000, v54
	v_mov_b32_e32 v54, 1
	v_cndmask_b32_e64 v53, 0, v56, s[52:53]
	v_and_b32_sdwa v54, v56, v54 dst_sel:DWORD dst_unused:UNUSED_PAD src0_sel:WORD_1 src1_sel:DWORD
	v_cmp_ne_u32_e64 s[52:53], 0, v52
	v_add_u16_e32 v57, v53, v51
	v_add_u16_e32 v51, v53, v51
	v_cndmask_b32_e64 v52, v54, 1, s[52:53]
	v_lshlrev_b32_e32 v54, 16, v52
	v_or_b32_e32 v54, v54, v51
	v_mov_b32_e32 v53, v52
	v_mov_b32_e32 v51, v57
.LBB263_216:
	s_or_b64 exec, exec, s[54:55]
	v_mov_b32_dpp v56, v54 row_shr:4 row_mask:0xf bank_mask:0xf
	v_cmp_lt_u32_e64 s[52:53], 3, v55
	s_and_saveexec_b64 s[54:55], s[52:53]
	s_cbranch_execz .LBB263_218
; %bb.217:
	v_mov_b32_e32 v52, 0
	v_cmp_eq_u16_sdwa s[52:53], v53, v52 src0_sel:BYTE_0 src1_sel:DWORD
	v_and_b32_e32 v52, 1, v53
	v_mov_b32_e32 v53, 1
	v_cndmask_b32_e64 v54, 0, v56, s[52:53]
	v_and_b32_sdwa v53, v56, v53 dst_sel:DWORD dst_unused:UNUSED_PAD src0_sel:WORD_1 src1_sel:DWORD
	v_cmp_eq_u32_e64 s[52:53], 1, v52
	v_add_u16_e32 v57, v54, v51
	v_add_u16_e32 v51, v54, v51
	v_cndmask_b32_e64 v52, v53, 1, s[52:53]
	v_lshlrev_b32_e32 v53, 16, v52
	v_or_b32_e32 v54, v53, v51
	v_mov_b32_e32 v53, v52
	v_mov_b32_e32 v51, v57
.LBB263_218:
	s_or_b64 exec, exec, s[54:55]
	v_mov_b32_dpp v56, v54 row_shr:8 row_mask:0xf bank_mask:0xf
	v_cmp_lt_u32_e64 s[52:53], 7, v55
	s_and_saveexec_b64 s[54:55], s[52:53]
	s_cbranch_execz .LBB263_220
; %bb.219:
	v_mov_b32_e32 v52, 0
	v_cmp_eq_u16_sdwa s[52:53], v53, v52 src0_sel:BYTE_0 src1_sel:DWORD
	v_and_b32_e32 v52, 1, v53
	v_mov_b32_e32 v53, 1
	v_cndmask_b32_e64 v54, 0, v56, s[52:53]
	v_and_b32_sdwa v53, v56, v53 dst_sel:DWORD dst_unused:UNUSED_PAD src0_sel:WORD_1 src1_sel:DWORD
	v_cmp_eq_u32_e64 s[52:53], 1, v52
	v_add_u16_e32 v55, v54, v51
	v_add_u16_e32 v51, v54, v51
	v_cndmask_b32_e64 v52, v53, 1, s[52:53]
	v_lshlrev_b32_e32 v53, 16, v52
	v_or_b32_e32 v54, v53, v51
	v_mov_b32_e32 v53, v52
	v_mov_b32_e32 v51, v55
.LBB263_220:
	s_or_b64 exec, exec, s[54:55]
	v_and_b32_e32 v56, 16, v34
	v_mov_b32_dpp v55, v54 row_bcast:15 row_mask:0xf bank_mask:0xf
	v_cmp_ne_u32_e64 s[52:53], 0, v56
	s_and_saveexec_b64 s[54:55], s[52:53]
	s_cbranch_execz .LBB263_222
; %bb.221:
	v_mov_b32_e32 v52, 0
	v_cmp_eq_u16_sdwa s[52:53], v53, v52 src0_sel:BYTE_0 src1_sel:DWORD
	v_and_b32_e32 v52, 1, v53
	v_mov_b32_e32 v53, 1
	v_cndmask_b32_e64 v54, 0, v55, s[52:53]
	v_and_b32_sdwa v53, v55, v53 dst_sel:DWORD dst_unused:UNUSED_PAD src0_sel:WORD_1 src1_sel:DWORD
	v_cmp_eq_u32_e64 s[52:53], 1, v52
	v_add_u16_e32 v56, v54, v51
	v_add_u16_e32 v51, v54, v51
	v_cndmask_b32_e64 v52, v53, 1, s[52:53]
	v_lshlrev_b32_e32 v53, 16, v52
	v_or_b32_e32 v54, v53, v51
	v_mov_b32_e32 v51, v56
	v_mov_b32_e32 v53, v52
.LBB263_222:
	s_or_b64 exec, exec, s[54:55]
	v_mov_b32_dpp v54, v54 row_bcast:31 row_mask:0xf bank_mask:0xf
	v_cmp_lt_u32_e64 s[52:53], 31, v34
	s_and_saveexec_b64 s[54:55], s[52:53]
; %bb.223:
	v_mov_b32_e32 v52, 0
	v_cmp_eq_u16_sdwa s[52:53], v53, v52 src0_sel:BYTE_0 src1_sel:DWORD
	s_nop 1
	v_cndmask_b32_e64 v52, 0, v54, s[52:53]
	v_add_u16_e32 v51, v52, v51
	v_and_b32_e32 v52, 1, v53
	v_mov_b32_e32 v53, 1
	v_and_b32_sdwa v53, v54, v53 dst_sel:DWORD dst_unused:UNUSED_PAD src0_sel:WORD_1 src1_sel:DWORD
	v_cmp_eq_u32_e64 s[52:53], 1, v52
	s_nop 1
	v_cndmask_b32_e64 v52, v53, 1, s[52:53]
; %bb.224:
	s_or_b64 exec, exec, s[54:55]
	v_or_b32_e32 v54, 63, v0
	v_lshrrev_b32_e32 v53, 6, v0
	v_cmp_eq_u32_e64 s[52:53], v54, v0
	s_and_saveexec_b64 s[54:55], s[52:53]
	s_cbranch_execz .LBB263_226
; %bb.225:
	v_lshlrev_b32_e32 v54, 2, v53
	ds_write_b16 v54, v51
	ds_write_b8 v54, v52 offset:2
.LBB263_226:
	s_or_b64 exec, exec, s[54:55]
	v_cmp_gt_u32_e64 s[52:53], 4, v0
	s_waitcnt lgkmcnt(0)
	s_barrier
	s_and_saveexec_b64 s[54:55], s[52:53]
	s_cbranch_execz .LBB263_232
; %bb.227:
	v_lshlrev_b32_e32 v54, 2, v0
	ds_read_b32 v55, v54
	v_and_b32_e32 v58, 3, v34
	v_cmp_ne_u32_e64 s[52:53], 0, v58
	s_waitcnt lgkmcnt(0)
	v_lshrrev_b32_e32 v57, 16, v55
	v_mov_b32_dpp v59, v55 row_shr:1 row_mask:0xf bank_mask:0xf
	v_mov_b32_e32 v56, v55
	s_and_saveexec_b64 s[56:57], s[52:53]
	s_cbranch_execz .LBB263_229
; %bb.228:
	v_mov_b32_e32 v56, 0
	v_cmp_eq_u16_sdwa s[52:53], v57, v56 src0_sel:BYTE_0 src1_sel:DWORD
	v_and_b32_e32 v57, 0x10000, v55
	v_mov_b32_e32 v62, 1
	v_cndmask_b32_e64 v61, 0, v59, s[52:53]
	v_and_b32_sdwa v59, v59, v62 dst_sel:DWORD dst_unused:UNUSED_PAD src0_sel:WORD_1 src1_sel:DWORD
	v_cmp_ne_u32_e64 s[52:53], 0, v57
	v_and_b32_e32 v60, 0xff000000, v55
	v_add_u16_e32 v56, v61, v55
	v_cndmask_b32_e64 v57, v59, 1, s[52:53]
	v_lshlrev_b32_e32 v59, 16, v57
	v_add_u16_e32 v55, v61, v55
	v_or3_b32 v55, v59, v60, v55
.LBB263_229:
	s_or_b64 exec, exec, s[56:57]
	s_nop 0
	v_mov_b32_dpp v59, v55 row_shr:2 row_mask:0xf bank_mask:0xf
	v_cmp_lt_u32_e64 s[52:53], 1, v58
	s_and_saveexec_b64 s[56:57], s[52:53]
; %bb.230:
	v_and_b32_e32 v57, 0xff0000, v55
	v_cmp_eq_u32_e64 s[52:53], 0, v57
	v_and_b32_e32 v55, 0x10000, v55
	s_nop 0
	v_cndmask_b32_e64 v57, 0, v59, s[52:53]
	v_add_u16_e32 v56, v57, v56
	v_mov_b32_e32 v57, 1
	v_and_b32_sdwa v57, v59, v57 dst_sel:DWORD dst_unused:UNUSED_PAD src0_sel:WORD_1 src1_sel:DWORD
	v_cmp_eq_u32_e64 s[52:53], 0, v55
	s_nop 1
	v_cndmask_b32_e64 v57, 1, v57, s[52:53]
; %bb.231:
	s_or_b64 exec, exec, s[56:57]
	ds_write_b16 v54, v56
	ds_write_b8 v54, v57 offset:2
.LBB263_232:
	s_or_b64 exec, exec, s[54:55]
	v_cmp_lt_u32_e64 s[52:53], 63, v0
	v_mov_b32_e32 v54, 0
	s_waitcnt lgkmcnt(0)
	s_barrier
	s_and_saveexec_b64 s[54:55], s[52:53]
	s_cbranch_execz .LBB263_234
; %bb.233:
	v_lshl_add_u32 v53, v53, 2, -4
	ds_read_u16 v54, v53
	ds_read_u8 v53, v53 offset:2
	v_mov_b32_e32 v55, 0
	v_and_b32_e32 v56, 1, v52
	v_cmp_eq_u16_sdwa s[52:53], v52, v55 src0_sel:BYTE_0 src1_sel:DWORD
	s_waitcnt lgkmcnt(1)
	s_nop 0
	v_cndmask_b32_e64 v52, 0, v54, s[52:53]
	v_cmp_eq_u32_e64 s[52:53], 1, v56
	v_add_u16_e32 v51, v52, v51
	s_waitcnt lgkmcnt(0)
	v_cndmask_b32_e64 v52, v53, 1, s[52:53]
.LBB263_234:
	s_or_b64 exec, exec, s[54:55]
	v_and_b32_e32 v52, 0xff, v52
	v_and_b32_e32 v51, 0xffff, v51
	v_lshl_or_b32 v51, v52, 16, v51
	v_add_u32_e32 v52, -1, v34
	v_and_b32_e32 v53, 64, v34
	v_cmp_lt_i32_e64 s[52:53], v52, v53
	s_nop 1
	v_cndmask_b32_e64 v52, v52, v34, s[52:53]
	v_lshlrev_b32_e32 v52, 2, v52
	ds_bpermute_b32 v51, v52, v51
	s_and_saveexec_b64 s[52:53], s[2:3]
	s_cbranch_execz .LBB263_236
; %bb.235:
	v_cmp_eq_u32_e64 s[2:3], 0, v34
	v_and_b32_e32 v25, 0xff0000, v1
	v_mov_b32_e32 v50, 0
	s_waitcnt lgkmcnt(0)
	v_cndmask_b32_e64 v24, v51, v54, s[2:3]
	v_and_b32_e32 v24, 0xffff, v24
	v_cmp_eq_u32_e64 s[2:3], 0, v25
	;;#ASMSTART
	;;#ASMEND
	s_nop 1
	v_cndmask_b32_e64 v24, 0, v24, s[2:3]
	v_add_u32_e32 v1, v24, v1
	v_cndmask_b32_e64 v24, 0, v1, s[4:5]
	v_add_u16_e32 v24, v24, v18
	v_cndmask_b32_e64 v18, 0, v24, s[6:7]
	v_add_u16_e32 v25, v18, v19
	;; [unrolled: 2-line block ×23, first 2 shown]
.LBB263_236:
	s_or_b64 exec, exec, s[52:53]
	s_and_saveexec_b64 s[2:3], vcc
	s_cbranch_execz .LBB263_238
; %bb.237:
	v_mov_b32_e32 v4, 0
	ds_read_u8 v2, v4 offset:14
	ds_read_u16 v3, v4 offset:12
	s_waitcnt lgkmcnt(1)
	v_lshlrev_b32_e32 v2, 16, v2
	s_waitcnt lgkmcnt(0)
	v_or_b32_e32 v2, v2, v3
	v_mov_b32_e32 v3, 2
	global_store_dwordx2 v4, v[2:3], s[68:69] offset:512 sc1
.LBB263_238:
	s_or_b64 exec, exec, s[2:3]
	v_lshl_or_b32 v50, v50, 16, v1
.LBB263_239:
	s_add_u32 s2, s58, s72
	s_addc_u32 s3, s59, s73
	s_add_u32 s2, s2, s64
	s_addc_u32 s3, s3, s65
	s_and_b64 vcc, exec, s[0:1]
	v_mul_u32_u24_e32 v4, 24, v0
	s_cbranch_vccz .LBB263_291
; %bb.240:
	s_add_i32 s33, s33, s70
	v_cmp_le_u32_e32 vcc, s33, v4
                                        ; implicit-def: $vgpr1
                                        ; implicit-def: $vgpr2
                                        ; implicit-def: $vgpr3
                                        ; implicit-def: $vgpr5
                                        ; implicit-def: $vgpr6
                                        ; implicit-def: $vgpr7
                                        ; implicit-def: $vgpr8
	s_and_saveexec_b64 s[0:1], vcc
	s_xor_b64 s[0:1], exec, s[0:1]
; %bb.241:
	v_or_b32_e32 v1, 1, v4
	v_or_b32_e32 v2, 2, v4
	;; [unrolled: 1-line block ×7, first 2 shown]
; %bb.242:
	s_andn2_saveexec_b64 s[0:1], s[0:1]
; %bb.243:
	v_or_b32_e32 v1, 1, v4
	v_or_b32_e32 v2, 2, v4
	;; [unrolled: 1-line block ×7, first 2 shown]
; %bb.244:
	s_or_b64 exec, exec, s[0:1]
	v_lshlrev_b32_e32 v39, 1, v4
	v_lshlrev_b32_e32 v1, 1, v1
	s_waitcnt lgkmcnt(0)
	s_barrier
	ds_write_b16 v39, v50
	ds_write_b16 v1, v24
	v_lshlrev_b32_e32 v1, 1, v2
	ds_write_b16 v1, v25
	v_lshlrev_b32_e32 v1, 1, v3
	;; [unrolled: 2-line block ×5, first 2 shown]
	s_mov_b32 s0, 0x5040100
	ds_write_b16 v1, v29
	v_lshlrev_b32_e32 v1, 1, v8
	v_perm_b32 v9, v42, v40, s0
	v_perm_b32 v8, v37, v36, s0
	;; [unrolled: 1-line block ×4, first 2 shown]
	ds_write_b16 v1, v31
	ds_write_b128 v39, v[6:9] offset:16
	v_perm_b32 v9, v49, v48, s0
	v_perm_b32 v8, v47, v46, s0
	;; [unrolled: 1-line block ×4, first 2 shown]
	s_movk_i32 s0, 0xffd2
	v_mad_i32_i24 v2, v0, s0, v39
	ds_write_b128 v39, v[6:9] offset:32
	s_waitcnt lgkmcnt(0)
	s_barrier
	ds_read_u16 v53, v2 offset:512
	ds_read_u16 v52, v2 offset:1024
	;; [unrolled: 1-line block ×23, first 2 shown]
	v_mov_b32_e32 v23, 0
	v_lshl_add_u64 v[2:3], s[2:3], 0, v[22:23]
	v_cmp_gt_u32_e32 vcc, s33, v0
	s_and_saveexec_b64 s[0:1], vcc
	s_cbranch_execz .LBB263_246
; %bb.245:
	v_mul_i32_i24_e32 v54, 0xffffffd2, v0
	v_add_u32_e32 v39, v39, v54
	ds_read_u16 v39, v39
	s_waitcnt lgkmcnt(0)
	flat_store_short v[2:3], v39
.LBB263_246:
	s_or_b64 exec, exec, s[0:1]
	v_or_b32_e32 v39, 0x100, v0
	v_cmp_gt_u32_e32 vcc, s33, v39
	s_and_saveexec_b64 s[0:1], vcc
	s_cbranch_execz .LBB263_248
; %bb.247:
	s_waitcnt lgkmcnt(0)
	flat_store_short v[2:3], v53 offset:512
.LBB263_248:
	s_or_b64 exec, exec, s[0:1]
	v_or_b32_e32 v39, 0x200, v0
	v_cmp_gt_u32_e32 vcc, s33, v39
	s_and_saveexec_b64 s[0:1], vcc
	s_cbranch_execz .LBB263_250
; %bb.249:
	s_waitcnt lgkmcnt(0)
	flat_store_short v[2:3], v52 offset:1024
.LBB263_250:
	;; [unrolled: 9-line block ×4, first 2 shown]
	s_or_b64 exec, exec, s[0:1]
	s_waitcnt lgkmcnt(0)
	v_or_b32_e32 v38, 0x500, v0
	v_cmp_gt_u32_e32 vcc, s33, v38
	s_and_saveexec_b64 s[0:1], vcc
	s_cbranch_execz .LBB263_256
; %bb.255:
	flat_store_short v[2:3], v34 offset:2560
.LBB263_256:
	s_or_b64 exec, exec, s[0:1]
	v_or_b32_e32 v34, 0x600, v0
	v_cmp_gt_u32_e32 vcc, s33, v34
	s_and_saveexec_b64 s[0:1], vcc
	s_cbranch_execz .LBB263_258
; %bb.257:
	flat_store_short v[2:3], v21 offset:3072
.LBB263_258:
	s_or_b64 exec, exec, s[0:1]
	;; [unrolled: 8-line block ×3, first 2 shown]
	v_or_b32_e32 v20, 0x800, v0
	v_cmp_gt_u32_e32 vcc, s33, v20
	s_and_saveexec_b64 s[0:1], vcc
	s_cbranch_execz .LBB263_262
; %bb.261:
	v_add_co_u32_e32 v20, vcc, 0x1000, v2
	s_nop 1
	v_addc_co_u32_e32 v21, vcc, 0, v3, vcc
	flat_store_short v[20:21], v19
.LBB263_262:
	s_or_b64 exec, exec, s[0:1]
	v_or_b32_e32 v19, 0x900, v0
	v_cmp_gt_u32_e32 vcc, s33, v19
	s_and_saveexec_b64 s[0:1], vcc
	s_cbranch_execz .LBB263_264
; %bb.263:
	v_add_co_u32_e32 v20, vcc, 0x1000, v2
	s_nop 1
	v_addc_co_u32_e32 v21, vcc, 0, v3, vcc
	flat_store_short v[20:21], v18 offset:512
.LBB263_264:
	s_or_b64 exec, exec, s[0:1]
	v_or_b32_e32 v18, 0xa00, v0
	v_cmp_gt_u32_e32 vcc, s33, v18
	s_and_saveexec_b64 s[0:1], vcc
	s_cbranch_execz .LBB263_266
; %bb.265:
	v_add_co_u32_e32 v18, vcc, 0x1000, v2
	s_nop 1
	v_addc_co_u32_e32 v19, vcc, 0, v3, vcc
	flat_store_short v[18:19], v17 offset:1024
.LBB263_266:
	;; [unrolled: 11-line block ×7, first 2 shown]
	s_or_b64 exec, exec, s[0:1]
	v_or_b32_e32 v12, 0x1000, v0
	v_cmp_gt_u32_e32 vcc, s33, v12
	s_and_saveexec_b64 s[0:1], vcc
	s_cbranch_execz .LBB263_278
; %bb.277:
	v_add_co_u32_e32 v12, vcc, 0x2000, v2
	s_nop 1
	v_addc_co_u32_e32 v13, vcc, 0, v3, vcc
	flat_store_short v[12:13], v11
.LBB263_278:
	s_or_b64 exec, exec, s[0:1]
	v_or_b32_e32 v11, 0x1100, v0
	v_cmp_gt_u32_e32 vcc, s33, v11
	s_and_saveexec_b64 s[0:1], vcc
	s_cbranch_execz .LBB263_280
; %bb.279:
	v_add_co_u32_e32 v12, vcc, 0x2000, v2
	s_nop 1
	v_addc_co_u32_e32 v13, vcc, 0, v3, vcc
	flat_store_short v[12:13], v10 offset:512
.LBB263_280:
	s_or_b64 exec, exec, s[0:1]
	v_or_b32_e32 v10, 0x1200, v0
	v_cmp_gt_u32_e32 vcc, s33, v10
	s_and_saveexec_b64 s[0:1], vcc
	s_cbranch_execz .LBB263_282
; %bb.281:
	v_add_co_u32_e32 v10, vcc, 0x2000, v2
	s_nop 1
	v_addc_co_u32_e32 v11, vcc, 0, v3, vcc
	flat_store_short v[10:11], v9 offset:1024
.LBB263_282:
	;; [unrolled: 11-line block ×6, first 2 shown]
	s_or_b64 exec, exec, s[0:1]
	v_or_b32_e32 v2, 0x1700, v0
	v_mov_b32_e32 v1, v23
	v_cmp_gt_u32_e64 s[0:1], s33, v2
	s_branch .LBB263_293
.LBB263_291:
	s_mov_b64 s[0:1], 0
                                        ; implicit-def: $vgpr5
	s_cbranch_execz .LBB263_293
; %bb.292:
	s_mov_b32 s4, 0x5040100
	v_lshlrev_b32_e32 v6, 1, v4
	v_perm_b32 v5, v31, v29, s4
	v_perm_b32 v4, v28, v27, s4
	;; [unrolled: 1-line block ×4, first 2 shown]
	s_waitcnt lgkmcnt(0)
	s_barrier
	ds_write_b128 v6, v[2:5]
	v_perm_b32 v5, v42, v40, s4
	v_perm_b32 v4, v37, v36, s4
	v_perm_b32 v3, v35, v33, s4
	v_perm_b32 v2, v32, v30, s4
	ds_write_b128 v6, v[2:5] offset:16
	v_perm_b32 v4, v47, v46, s4
	v_perm_b32 v3, v45, v44, s4
	;; [unrolled: 1-line block ×4, first 2 shown]
	v_mov_b32_e32 v1, 0
	s_movk_i32 s4, 0xffd2
	ds_write_b128 v6, v[2:5] offset:32
	v_mad_i32_i24 v2, v0, s4, v6
	v_mov_b32_e32 v23, v1
	s_waitcnt lgkmcnt(0)
	s_barrier
	ds_read_u16 v4, v2
	ds_read_u16 v6, v2 offset:512
	ds_read_u16 v7, v2 offset:1024
	;; [unrolled: 1-line block ×23, first 2 shown]
	v_lshl_add_u64 v[2:3], s[2:3], 0, v[22:23]
	s_movk_i32 s4, 0x1000
	s_waitcnt lgkmcnt(0)
	flat_store_short v[2:3], v4
	flat_store_short v[2:3], v6 offset:512
	flat_store_short v[2:3], v7 offset:1024
	flat_store_short v[2:3], v8 offset:1536
	flat_store_short v[2:3], v9 offset:2048
	flat_store_short v[2:3], v10 offset:2560
	flat_store_short v[2:3], v11 offset:3072
	flat_store_short v[2:3], v12 offset:3584
	v_add_co_u32_e32 v6, vcc, s4, v2
	s_or_b64 s[0:1], s[0:1], exec
	s_nop 0
	v_addc_co_u32_e32 v7, vcc, 0, v3, vcc
	v_add_co_u32_e32 v2, vcc, 0x2000, v2
	flat_store_short v[6:7], v13
	flat_store_short v[6:7], v14 offset:512
	flat_store_short v[6:7], v15 offset:1024
	;; [unrolled: 1-line block ×7, first 2 shown]
	v_addc_co_u32_e32 v3, vcc, 0, v3, vcc
	flat_store_short v[2:3], v21
	flat_store_short v[2:3], v24 offset:512
	flat_store_short v[2:3], v25 offset:1024
	;; [unrolled: 1-line block ×6, first 2 shown]
.LBB263_293:
	s_and_saveexec_b64 s[4:5], s[0:1]
	s_cbranch_execnz .LBB263_295
; %bb.294:
	s_endpgm
.LBB263_295:
	v_lshl_add_u64 v[0:1], v[0:1], 1, s[2:3]
	v_add_co_u32_e32 v0, vcc, 0x2000, v0
	s_nop 1
	v_addc_co_u32_e32 v1, vcc, 0, v1, vcc
	flat_store_short v[0:1], v5 offset:3584
	s_endpgm
.LBB263_296:
	v_lshl_add_u64 v[20:21], s[54:55], 0, v[2:3]
	flat_load_ushort v19, v[20:21]
	s_or_b64 exec, exec, s[60:61]
                                        ; implicit-def: $vgpr20
	s_and_saveexec_b64 s[52:53], s[4:5]
	s_cbranch_execz .LBB263_57
.LBB263_297:
	v_mov_b32_e32 v3, 0
	v_lshl_add_u64 v[20:21], s[54:55], 0, v[2:3]
	flat_load_ushort v20, v[20:21] offset:512
	s_or_b64 exec, exec, s[52:53]
                                        ; implicit-def: $vgpr21
	s_and_saveexec_b64 s[4:5], s[6:7]
	s_cbranch_execz .LBB263_58
.LBB263_298:
	v_mov_b32_e32 v3, 0
	v_lshl_add_u64 v[36:37], s[54:55], 0, v[2:3]
	flat_load_ushort v21, v[36:37] offset:1024
	s_or_b64 exec, exec, s[4:5]
                                        ; implicit-def: $vgpr35
	s_and_saveexec_b64 s[4:5], s[8:9]
	s_cbranch_execz .LBB263_59
.LBB263_299:
	v_mov_b32_e32 v3, 0
	v_lshl_add_u64 v[36:37], s[54:55], 0, v[2:3]
	flat_load_ushort v35, v[36:37] offset:1536
	s_or_b64 exec, exec, s[4:5]
                                        ; implicit-def: $vgpr36
	s_and_saveexec_b64 s[4:5], s[10:11]
	s_cbranch_execz .LBB263_60
.LBB263_300:
	v_mov_b32_e32 v3, 0
	v_lshl_add_u64 v[36:37], s[54:55], 0, v[2:3]
	flat_load_ushort v36, v[36:37] offset:2048
	s_or_b64 exec, exec, s[4:5]
                                        ; implicit-def: $vgpr37
	s_and_saveexec_b64 s[4:5], s[12:13]
	s_cbranch_execz .LBB263_61
.LBB263_301:
	v_mov_b32_e32 v3, 0
	v_lshl_add_u64 v[38:39], s[54:55], 0, v[2:3]
	flat_load_ushort v37, v[38:39] offset:2560
	s_or_b64 exec, exec, s[4:5]
                                        ; implicit-def: $vgpr38
	s_and_saveexec_b64 s[4:5], s[14:15]
	s_cbranch_execz .LBB263_62
.LBB263_302:
	v_mov_b32_e32 v3, 0
	v_lshl_add_u64 v[38:39], s[54:55], 0, v[2:3]
	flat_load_ushort v38, v[38:39] offset:3072
	s_or_b64 exec, exec, s[4:5]
                                        ; implicit-def: $vgpr3
	s_and_saveexec_b64 s[4:5], s[16:17]
	s_cbranch_execz .LBB263_63
.LBB263_303:
	v_mov_b32_e32 v3, 0
	v_lshl_add_u64 v[42:43], s[54:55], 0, v[2:3]
	flat_load_ushort v3, v[42:43] offset:3584
	s_or_b64 exec, exec, s[4:5]
                                        ; implicit-def: $vgpr39
	s_and_saveexec_b64 s[4:5], s[18:19]
	s_cbranch_execz .LBB263_64
.LBB263_304:
	v_lshlrev_b32_e32 v42, 1, v1
	v_mov_b32_e32 v43, 0
	v_lshl_add_u64 v[42:43], s[54:55], 0, v[42:43]
	flat_load_ushort v39, v[42:43]
	s_or_b64 exec, exec, s[4:5]
                                        ; implicit-def: $vgpr1
	s_and_saveexec_b64 s[4:5], s[20:21]
	s_cbranch_execz .LBB263_65
.LBB263_305:
	v_lshlrev_b32_e32 v42, 1, v4
	v_mov_b32_e32 v43, 0
	v_lshl_add_u64 v[42:43], s[54:55], 0, v[42:43]
	flat_load_ushort v1, v[42:43]
	s_or_b64 exec, exec, s[4:5]
                                        ; implicit-def: $vgpr4
	s_and_saveexec_b64 s[4:5], s[22:23]
	s_cbranch_execz .LBB263_66
.LBB263_306:
	v_lshlrev_b32_e32 v4, 1, v5
	v_mov_b32_e32 v5, 0
	v_lshl_add_u64 v[4:5], s[54:55], 0, v[4:5]
	flat_load_ushort v4, v[4:5]
	s_or_b64 exec, exec, s[4:5]
                                        ; implicit-def: $vgpr5
	s_and_saveexec_b64 s[4:5], s[24:25]
	s_cbranch_execz .LBB263_67
.LBB263_307:
	v_lshlrev_b32_e32 v42, 1, v6
	v_mov_b32_e32 v43, 0
	v_lshl_add_u64 v[42:43], s[54:55], 0, v[42:43]
	flat_load_ushort v5, v[42:43]
	s_or_b64 exec, exec, s[4:5]
                                        ; implicit-def: $vgpr6
	s_and_saveexec_b64 s[4:5], s[26:27]
	s_cbranch_execz .LBB263_68
.LBB263_308:
	v_lshlrev_b32_e32 v6, 1, v7
	v_mov_b32_e32 v7, 0
	v_lshl_add_u64 v[6:7], s[54:55], 0, v[6:7]
	flat_load_ushort v6, v[6:7]
	s_or_b64 exec, exec, s[4:5]
                                        ; implicit-def: $vgpr7
	s_and_saveexec_b64 s[4:5], s[28:29]
	s_cbranch_execz .LBB263_69
.LBB263_309:
	v_lshlrev_b32_e32 v42, 1, v8
	v_mov_b32_e32 v43, 0
	v_lshl_add_u64 v[42:43], s[54:55], 0, v[42:43]
	flat_load_ushort v7, v[42:43]
	s_or_b64 exec, exec, s[4:5]
                                        ; implicit-def: $vgpr8
	s_and_saveexec_b64 s[4:5], s[30:31]
	s_cbranch_execz .LBB263_70
.LBB263_310:
	v_lshlrev_b32_e32 v8, 1, v9
	v_mov_b32_e32 v9, 0
	v_lshl_add_u64 v[8:9], s[54:55], 0, v[8:9]
	flat_load_ushort v8, v[8:9]
	s_or_b64 exec, exec, s[4:5]
                                        ; implicit-def: $vgpr9
	s_and_saveexec_b64 s[4:5], s[34:35]
	s_cbranch_execz .LBB263_71
.LBB263_311:
	v_lshlrev_b32_e32 v42, 1, v10
	v_mov_b32_e32 v43, 0
	v_lshl_add_u64 v[42:43], s[54:55], 0, v[42:43]
	flat_load_ushort v9, v[42:43]
	s_or_b64 exec, exec, s[4:5]
                                        ; implicit-def: $vgpr10
	s_and_saveexec_b64 s[4:5], s[36:37]
	s_cbranch_execz .LBB263_72
.LBB263_312:
	v_lshlrev_b32_e32 v10, 1, v11
	v_mov_b32_e32 v11, 0
	v_lshl_add_u64 v[10:11], s[54:55], 0, v[10:11]
	flat_load_ushort v10, v[10:11]
	s_or_b64 exec, exec, s[4:5]
                                        ; implicit-def: $vgpr11
	s_and_saveexec_b64 s[4:5], s[38:39]
	s_cbranch_execz .LBB263_73
.LBB263_313:
	v_lshlrev_b32_e32 v42, 1, v12
	v_mov_b32_e32 v43, 0
	v_lshl_add_u64 v[42:43], s[54:55], 0, v[42:43]
	flat_load_ushort v11, v[42:43]
	s_or_b64 exec, exec, s[4:5]
                                        ; implicit-def: $vgpr12
	s_and_saveexec_b64 s[4:5], s[40:41]
	s_cbranch_execz .LBB263_74
.LBB263_314:
	v_lshlrev_b32_e32 v12, 1, v13
	v_mov_b32_e32 v13, 0
	v_lshl_add_u64 v[12:13], s[54:55], 0, v[12:13]
	flat_load_ushort v12, v[12:13]
	s_or_b64 exec, exec, s[4:5]
                                        ; implicit-def: $vgpr13
	s_and_saveexec_b64 s[4:5], s[42:43]
	s_cbranch_execz .LBB263_75
.LBB263_315:
	v_lshlrev_b32_e32 v42, 1, v14
	v_mov_b32_e32 v43, 0
	v_lshl_add_u64 v[42:43], s[54:55], 0, v[42:43]
	flat_load_ushort v13, v[42:43]
	s_or_b64 exec, exec, s[4:5]
                                        ; implicit-def: $vgpr14
	s_and_saveexec_b64 s[4:5], s[44:45]
	s_cbranch_execz .LBB263_76
.LBB263_316:
	v_lshlrev_b32_e32 v14, 1, v15
	v_mov_b32_e32 v15, 0
	v_lshl_add_u64 v[14:15], s[54:55], 0, v[14:15]
	flat_load_ushort v14, v[14:15]
	s_or_b64 exec, exec, s[4:5]
                                        ; implicit-def: $vgpr15
	s_and_saveexec_b64 s[4:5], s[46:47]
	s_cbranch_execz .LBB263_77
.LBB263_317:
	v_lshlrev_b32_e32 v42, 1, v16
	v_mov_b32_e32 v43, 0
	v_lshl_add_u64 v[42:43], s[54:55], 0, v[42:43]
	flat_load_ushort v15, v[42:43]
	s_or_b64 exec, exec, s[4:5]
                                        ; implicit-def: $vgpr16
	s_and_saveexec_b64 s[4:5], s[48:49]
	s_cbranch_execz .LBB263_78
.LBB263_318:
	v_lshlrev_b32_e32 v16, 1, v17
	v_mov_b32_e32 v17, 0
	v_lshl_add_u64 v[16:17], s[54:55], 0, v[16:17]
	flat_load_ushort v16, v[16:17]
	s_or_b64 exec, exec, s[4:5]
                                        ; implicit-def: $vgpr17
	s_and_saveexec_b64 s[4:5], s[50:51]
	s_cbranch_execnz .LBB263_79
	s_branch .LBB263_80
.LBB263_319:
                                        ; implicit-def: $sgpr60_sgpr61
	s_branch .LBB263_52
.LBB263_320:
                                        ; implicit-def: $sgpr4_sgpr5
	s_branch .LBB263_131
	.section	.rodata,"a",@progbits
	.p2align	6, 0x0
	.amdhsa_kernel _ZN7rocprim17ROCPRIM_400000_NS6detail17trampoline_kernelINS0_14default_configENS1_27scan_by_key_config_selectorIssEEZZNS1_16scan_by_key_implILNS1_25lookback_scan_determinismE0ELb0ES3_N6thrust23THRUST_200600_302600_NS6detail15normal_iteratorINS9_10device_ptrIsEEEESE_SE_sNS9_4plusIvEENS9_8equal_toIvEEsEE10hipError_tPvRmT2_T3_T4_T5_mT6_T7_P12ihipStream_tbENKUlT_T0_E_clISt17integral_constantIbLb1EESY_IbLb0EEEEDaSU_SV_EUlSU_E_NS1_11comp_targetILNS1_3genE5ELNS1_11target_archE942ELNS1_3gpuE9ELNS1_3repE0EEENS1_30default_config_static_selectorELNS0_4arch9wavefront6targetE1EEEvT1_
		.amdhsa_group_segment_fixed_size 13312
		.amdhsa_private_segment_fixed_size 0
		.amdhsa_kernarg_size 112
		.amdhsa_user_sgpr_count 2
		.amdhsa_user_sgpr_dispatch_ptr 0
		.amdhsa_user_sgpr_queue_ptr 0
		.amdhsa_user_sgpr_kernarg_segment_ptr 1
		.amdhsa_user_sgpr_dispatch_id 0
		.amdhsa_user_sgpr_kernarg_preload_length 0
		.amdhsa_user_sgpr_kernarg_preload_offset 0
		.amdhsa_user_sgpr_private_segment_size 0
		.amdhsa_uses_dynamic_stack 0
		.amdhsa_enable_private_segment 0
		.amdhsa_system_sgpr_workgroup_id_x 1
		.amdhsa_system_sgpr_workgroup_id_y 0
		.amdhsa_system_sgpr_workgroup_id_z 0
		.amdhsa_system_sgpr_workgroup_info 0
		.amdhsa_system_vgpr_workitem_id 0
		.amdhsa_next_free_vgpr 63
		.amdhsa_next_free_sgpr 88
		.amdhsa_accum_offset 64
		.amdhsa_reserve_vcc 1
		.amdhsa_float_round_mode_32 0
		.amdhsa_float_round_mode_16_64 0
		.amdhsa_float_denorm_mode_32 3
		.amdhsa_float_denorm_mode_16_64 3
		.amdhsa_dx10_clamp 1
		.amdhsa_ieee_mode 1
		.amdhsa_fp16_overflow 0
		.amdhsa_tg_split 0
		.amdhsa_exception_fp_ieee_invalid_op 0
		.amdhsa_exception_fp_denorm_src 0
		.amdhsa_exception_fp_ieee_div_zero 0
		.amdhsa_exception_fp_ieee_overflow 0
		.amdhsa_exception_fp_ieee_underflow 0
		.amdhsa_exception_fp_ieee_inexact 0
		.amdhsa_exception_int_div_zero 0
	.end_amdhsa_kernel
	.section	.text._ZN7rocprim17ROCPRIM_400000_NS6detail17trampoline_kernelINS0_14default_configENS1_27scan_by_key_config_selectorIssEEZZNS1_16scan_by_key_implILNS1_25lookback_scan_determinismE0ELb0ES3_N6thrust23THRUST_200600_302600_NS6detail15normal_iteratorINS9_10device_ptrIsEEEESE_SE_sNS9_4plusIvEENS9_8equal_toIvEEsEE10hipError_tPvRmT2_T3_T4_T5_mT6_T7_P12ihipStream_tbENKUlT_T0_E_clISt17integral_constantIbLb1EESY_IbLb0EEEEDaSU_SV_EUlSU_E_NS1_11comp_targetILNS1_3genE5ELNS1_11target_archE942ELNS1_3gpuE9ELNS1_3repE0EEENS1_30default_config_static_selectorELNS0_4arch9wavefront6targetE1EEEvT1_,"axG",@progbits,_ZN7rocprim17ROCPRIM_400000_NS6detail17trampoline_kernelINS0_14default_configENS1_27scan_by_key_config_selectorIssEEZZNS1_16scan_by_key_implILNS1_25lookback_scan_determinismE0ELb0ES3_N6thrust23THRUST_200600_302600_NS6detail15normal_iteratorINS9_10device_ptrIsEEEESE_SE_sNS9_4plusIvEENS9_8equal_toIvEEsEE10hipError_tPvRmT2_T3_T4_T5_mT6_T7_P12ihipStream_tbENKUlT_T0_E_clISt17integral_constantIbLb1EESY_IbLb0EEEEDaSU_SV_EUlSU_E_NS1_11comp_targetILNS1_3genE5ELNS1_11target_archE942ELNS1_3gpuE9ELNS1_3repE0EEENS1_30default_config_static_selectorELNS0_4arch9wavefront6targetE1EEEvT1_,comdat
.Lfunc_end263:
	.size	_ZN7rocprim17ROCPRIM_400000_NS6detail17trampoline_kernelINS0_14default_configENS1_27scan_by_key_config_selectorIssEEZZNS1_16scan_by_key_implILNS1_25lookback_scan_determinismE0ELb0ES3_N6thrust23THRUST_200600_302600_NS6detail15normal_iteratorINS9_10device_ptrIsEEEESE_SE_sNS9_4plusIvEENS9_8equal_toIvEEsEE10hipError_tPvRmT2_T3_T4_T5_mT6_T7_P12ihipStream_tbENKUlT_T0_E_clISt17integral_constantIbLb1EESY_IbLb0EEEEDaSU_SV_EUlSU_E_NS1_11comp_targetILNS1_3genE5ELNS1_11target_archE942ELNS1_3gpuE9ELNS1_3repE0EEENS1_30default_config_static_selectorELNS0_4arch9wavefront6targetE1EEEvT1_, .Lfunc_end263-_ZN7rocprim17ROCPRIM_400000_NS6detail17trampoline_kernelINS0_14default_configENS1_27scan_by_key_config_selectorIssEEZZNS1_16scan_by_key_implILNS1_25lookback_scan_determinismE0ELb0ES3_N6thrust23THRUST_200600_302600_NS6detail15normal_iteratorINS9_10device_ptrIsEEEESE_SE_sNS9_4plusIvEENS9_8equal_toIvEEsEE10hipError_tPvRmT2_T3_T4_T5_mT6_T7_P12ihipStream_tbENKUlT_T0_E_clISt17integral_constantIbLb1EESY_IbLb0EEEEDaSU_SV_EUlSU_E_NS1_11comp_targetILNS1_3genE5ELNS1_11target_archE942ELNS1_3gpuE9ELNS1_3repE0EEENS1_30default_config_static_selectorELNS0_4arch9wavefront6targetE1EEEvT1_
                                        ; -- End function
	.section	.AMDGPU.csdata,"",@progbits
; Kernel info:
; codeLenInByte = 16260
; NumSgprs: 94
; NumVgprs: 63
; NumAgprs: 0
; TotalNumVgprs: 63
; ScratchSize: 0
; MemoryBound: 0
; FloatMode: 240
; IeeeMode: 1
; LDSByteSize: 13312 bytes/workgroup (compile time only)
; SGPRBlocks: 11
; VGPRBlocks: 7
; NumSGPRsForWavesPerEU: 94
; NumVGPRsForWavesPerEU: 63
; AccumOffset: 64
; Occupancy: 4
; WaveLimiterHint : 1
; COMPUTE_PGM_RSRC2:SCRATCH_EN: 0
; COMPUTE_PGM_RSRC2:USER_SGPR: 2
; COMPUTE_PGM_RSRC2:TRAP_HANDLER: 0
; COMPUTE_PGM_RSRC2:TGID_X_EN: 1
; COMPUTE_PGM_RSRC2:TGID_Y_EN: 0
; COMPUTE_PGM_RSRC2:TGID_Z_EN: 0
; COMPUTE_PGM_RSRC2:TIDIG_COMP_CNT: 0
; COMPUTE_PGM_RSRC3_GFX90A:ACCUM_OFFSET: 15
; COMPUTE_PGM_RSRC3_GFX90A:TG_SPLIT: 0
	.section	.text._ZN7rocprim17ROCPRIM_400000_NS6detail17trampoline_kernelINS0_14default_configENS1_27scan_by_key_config_selectorIssEEZZNS1_16scan_by_key_implILNS1_25lookback_scan_determinismE0ELb0ES3_N6thrust23THRUST_200600_302600_NS6detail15normal_iteratorINS9_10device_ptrIsEEEESE_SE_sNS9_4plusIvEENS9_8equal_toIvEEsEE10hipError_tPvRmT2_T3_T4_T5_mT6_T7_P12ihipStream_tbENKUlT_T0_E_clISt17integral_constantIbLb1EESY_IbLb0EEEEDaSU_SV_EUlSU_E_NS1_11comp_targetILNS1_3genE4ELNS1_11target_archE910ELNS1_3gpuE8ELNS1_3repE0EEENS1_30default_config_static_selectorELNS0_4arch9wavefront6targetE1EEEvT1_,"axG",@progbits,_ZN7rocprim17ROCPRIM_400000_NS6detail17trampoline_kernelINS0_14default_configENS1_27scan_by_key_config_selectorIssEEZZNS1_16scan_by_key_implILNS1_25lookback_scan_determinismE0ELb0ES3_N6thrust23THRUST_200600_302600_NS6detail15normal_iteratorINS9_10device_ptrIsEEEESE_SE_sNS9_4plusIvEENS9_8equal_toIvEEsEE10hipError_tPvRmT2_T3_T4_T5_mT6_T7_P12ihipStream_tbENKUlT_T0_E_clISt17integral_constantIbLb1EESY_IbLb0EEEEDaSU_SV_EUlSU_E_NS1_11comp_targetILNS1_3genE4ELNS1_11target_archE910ELNS1_3gpuE8ELNS1_3repE0EEENS1_30default_config_static_selectorELNS0_4arch9wavefront6targetE1EEEvT1_,comdat
	.protected	_ZN7rocprim17ROCPRIM_400000_NS6detail17trampoline_kernelINS0_14default_configENS1_27scan_by_key_config_selectorIssEEZZNS1_16scan_by_key_implILNS1_25lookback_scan_determinismE0ELb0ES3_N6thrust23THRUST_200600_302600_NS6detail15normal_iteratorINS9_10device_ptrIsEEEESE_SE_sNS9_4plusIvEENS9_8equal_toIvEEsEE10hipError_tPvRmT2_T3_T4_T5_mT6_T7_P12ihipStream_tbENKUlT_T0_E_clISt17integral_constantIbLb1EESY_IbLb0EEEEDaSU_SV_EUlSU_E_NS1_11comp_targetILNS1_3genE4ELNS1_11target_archE910ELNS1_3gpuE8ELNS1_3repE0EEENS1_30default_config_static_selectorELNS0_4arch9wavefront6targetE1EEEvT1_ ; -- Begin function _ZN7rocprim17ROCPRIM_400000_NS6detail17trampoline_kernelINS0_14default_configENS1_27scan_by_key_config_selectorIssEEZZNS1_16scan_by_key_implILNS1_25lookback_scan_determinismE0ELb0ES3_N6thrust23THRUST_200600_302600_NS6detail15normal_iteratorINS9_10device_ptrIsEEEESE_SE_sNS9_4plusIvEENS9_8equal_toIvEEsEE10hipError_tPvRmT2_T3_T4_T5_mT6_T7_P12ihipStream_tbENKUlT_T0_E_clISt17integral_constantIbLb1EESY_IbLb0EEEEDaSU_SV_EUlSU_E_NS1_11comp_targetILNS1_3genE4ELNS1_11target_archE910ELNS1_3gpuE8ELNS1_3repE0EEENS1_30default_config_static_selectorELNS0_4arch9wavefront6targetE1EEEvT1_
	.globl	_ZN7rocprim17ROCPRIM_400000_NS6detail17trampoline_kernelINS0_14default_configENS1_27scan_by_key_config_selectorIssEEZZNS1_16scan_by_key_implILNS1_25lookback_scan_determinismE0ELb0ES3_N6thrust23THRUST_200600_302600_NS6detail15normal_iteratorINS9_10device_ptrIsEEEESE_SE_sNS9_4plusIvEENS9_8equal_toIvEEsEE10hipError_tPvRmT2_T3_T4_T5_mT6_T7_P12ihipStream_tbENKUlT_T0_E_clISt17integral_constantIbLb1EESY_IbLb0EEEEDaSU_SV_EUlSU_E_NS1_11comp_targetILNS1_3genE4ELNS1_11target_archE910ELNS1_3gpuE8ELNS1_3repE0EEENS1_30default_config_static_selectorELNS0_4arch9wavefront6targetE1EEEvT1_
	.p2align	8
	.type	_ZN7rocprim17ROCPRIM_400000_NS6detail17trampoline_kernelINS0_14default_configENS1_27scan_by_key_config_selectorIssEEZZNS1_16scan_by_key_implILNS1_25lookback_scan_determinismE0ELb0ES3_N6thrust23THRUST_200600_302600_NS6detail15normal_iteratorINS9_10device_ptrIsEEEESE_SE_sNS9_4plusIvEENS9_8equal_toIvEEsEE10hipError_tPvRmT2_T3_T4_T5_mT6_T7_P12ihipStream_tbENKUlT_T0_E_clISt17integral_constantIbLb1EESY_IbLb0EEEEDaSU_SV_EUlSU_E_NS1_11comp_targetILNS1_3genE4ELNS1_11target_archE910ELNS1_3gpuE8ELNS1_3repE0EEENS1_30default_config_static_selectorELNS0_4arch9wavefront6targetE1EEEvT1_,@function
_ZN7rocprim17ROCPRIM_400000_NS6detail17trampoline_kernelINS0_14default_configENS1_27scan_by_key_config_selectorIssEEZZNS1_16scan_by_key_implILNS1_25lookback_scan_determinismE0ELb0ES3_N6thrust23THRUST_200600_302600_NS6detail15normal_iteratorINS9_10device_ptrIsEEEESE_SE_sNS9_4plusIvEENS9_8equal_toIvEEsEE10hipError_tPvRmT2_T3_T4_T5_mT6_T7_P12ihipStream_tbENKUlT_T0_E_clISt17integral_constantIbLb1EESY_IbLb0EEEEDaSU_SV_EUlSU_E_NS1_11comp_targetILNS1_3genE4ELNS1_11target_archE910ELNS1_3gpuE8ELNS1_3repE0EEENS1_30default_config_static_selectorELNS0_4arch9wavefront6targetE1EEEvT1_: ; @_ZN7rocprim17ROCPRIM_400000_NS6detail17trampoline_kernelINS0_14default_configENS1_27scan_by_key_config_selectorIssEEZZNS1_16scan_by_key_implILNS1_25lookback_scan_determinismE0ELb0ES3_N6thrust23THRUST_200600_302600_NS6detail15normal_iteratorINS9_10device_ptrIsEEEESE_SE_sNS9_4plusIvEENS9_8equal_toIvEEsEE10hipError_tPvRmT2_T3_T4_T5_mT6_T7_P12ihipStream_tbENKUlT_T0_E_clISt17integral_constantIbLb1EESY_IbLb0EEEEDaSU_SV_EUlSU_E_NS1_11comp_targetILNS1_3genE4ELNS1_11target_archE910ELNS1_3gpuE8ELNS1_3repE0EEENS1_30default_config_static_selectorELNS0_4arch9wavefront6targetE1EEEvT1_
; %bb.0:
	.section	.rodata,"a",@progbits
	.p2align	6, 0x0
	.amdhsa_kernel _ZN7rocprim17ROCPRIM_400000_NS6detail17trampoline_kernelINS0_14default_configENS1_27scan_by_key_config_selectorIssEEZZNS1_16scan_by_key_implILNS1_25lookback_scan_determinismE0ELb0ES3_N6thrust23THRUST_200600_302600_NS6detail15normal_iteratorINS9_10device_ptrIsEEEESE_SE_sNS9_4plusIvEENS9_8equal_toIvEEsEE10hipError_tPvRmT2_T3_T4_T5_mT6_T7_P12ihipStream_tbENKUlT_T0_E_clISt17integral_constantIbLb1EESY_IbLb0EEEEDaSU_SV_EUlSU_E_NS1_11comp_targetILNS1_3genE4ELNS1_11target_archE910ELNS1_3gpuE8ELNS1_3repE0EEENS1_30default_config_static_selectorELNS0_4arch9wavefront6targetE1EEEvT1_
		.amdhsa_group_segment_fixed_size 0
		.amdhsa_private_segment_fixed_size 0
		.amdhsa_kernarg_size 112
		.amdhsa_user_sgpr_count 2
		.amdhsa_user_sgpr_dispatch_ptr 0
		.amdhsa_user_sgpr_queue_ptr 0
		.amdhsa_user_sgpr_kernarg_segment_ptr 1
		.amdhsa_user_sgpr_dispatch_id 0
		.amdhsa_user_sgpr_kernarg_preload_length 0
		.amdhsa_user_sgpr_kernarg_preload_offset 0
		.amdhsa_user_sgpr_private_segment_size 0
		.amdhsa_uses_dynamic_stack 0
		.amdhsa_enable_private_segment 0
		.amdhsa_system_sgpr_workgroup_id_x 1
		.amdhsa_system_sgpr_workgroup_id_y 0
		.amdhsa_system_sgpr_workgroup_id_z 0
		.amdhsa_system_sgpr_workgroup_info 0
		.amdhsa_system_vgpr_workitem_id 0
		.amdhsa_next_free_vgpr 1
		.amdhsa_next_free_sgpr 0
		.amdhsa_accum_offset 4
		.amdhsa_reserve_vcc 0
		.amdhsa_float_round_mode_32 0
		.amdhsa_float_round_mode_16_64 0
		.amdhsa_float_denorm_mode_32 3
		.amdhsa_float_denorm_mode_16_64 3
		.amdhsa_dx10_clamp 1
		.amdhsa_ieee_mode 1
		.amdhsa_fp16_overflow 0
		.amdhsa_tg_split 0
		.amdhsa_exception_fp_ieee_invalid_op 0
		.amdhsa_exception_fp_denorm_src 0
		.amdhsa_exception_fp_ieee_div_zero 0
		.amdhsa_exception_fp_ieee_overflow 0
		.amdhsa_exception_fp_ieee_underflow 0
		.amdhsa_exception_fp_ieee_inexact 0
		.amdhsa_exception_int_div_zero 0
	.end_amdhsa_kernel
	.section	.text._ZN7rocprim17ROCPRIM_400000_NS6detail17trampoline_kernelINS0_14default_configENS1_27scan_by_key_config_selectorIssEEZZNS1_16scan_by_key_implILNS1_25lookback_scan_determinismE0ELb0ES3_N6thrust23THRUST_200600_302600_NS6detail15normal_iteratorINS9_10device_ptrIsEEEESE_SE_sNS9_4plusIvEENS9_8equal_toIvEEsEE10hipError_tPvRmT2_T3_T4_T5_mT6_T7_P12ihipStream_tbENKUlT_T0_E_clISt17integral_constantIbLb1EESY_IbLb0EEEEDaSU_SV_EUlSU_E_NS1_11comp_targetILNS1_3genE4ELNS1_11target_archE910ELNS1_3gpuE8ELNS1_3repE0EEENS1_30default_config_static_selectorELNS0_4arch9wavefront6targetE1EEEvT1_,"axG",@progbits,_ZN7rocprim17ROCPRIM_400000_NS6detail17trampoline_kernelINS0_14default_configENS1_27scan_by_key_config_selectorIssEEZZNS1_16scan_by_key_implILNS1_25lookback_scan_determinismE0ELb0ES3_N6thrust23THRUST_200600_302600_NS6detail15normal_iteratorINS9_10device_ptrIsEEEESE_SE_sNS9_4plusIvEENS9_8equal_toIvEEsEE10hipError_tPvRmT2_T3_T4_T5_mT6_T7_P12ihipStream_tbENKUlT_T0_E_clISt17integral_constantIbLb1EESY_IbLb0EEEEDaSU_SV_EUlSU_E_NS1_11comp_targetILNS1_3genE4ELNS1_11target_archE910ELNS1_3gpuE8ELNS1_3repE0EEENS1_30default_config_static_selectorELNS0_4arch9wavefront6targetE1EEEvT1_,comdat
.Lfunc_end264:
	.size	_ZN7rocprim17ROCPRIM_400000_NS6detail17trampoline_kernelINS0_14default_configENS1_27scan_by_key_config_selectorIssEEZZNS1_16scan_by_key_implILNS1_25lookback_scan_determinismE0ELb0ES3_N6thrust23THRUST_200600_302600_NS6detail15normal_iteratorINS9_10device_ptrIsEEEESE_SE_sNS9_4plusIvEENS9_8equal_toIvEEsEE10hipError_tPvRmT2_T3_T4_T5_mT6_T7_P12ihipStream_tbENKUlT_T0_E_clISt17integral_constantIbLb1EESY_IbLb0EEEEDaSU_SV_EUlSU_E_NS1_11comp_targetILNS1_3genE4ELNS1_11target_archE910ELNS1_3gpuE8ELNS1_3repE0EEENS1_30default_config_static_selectorELNS0_4arch9wavefront6targetE1EEEvT1_, .Lfunc_end264-_ZN7rocprim17ROCPRIM_400000_NS6detail17trampoline_kernelINS0_14default_configENS1_27scan_by_key_config_selectorIssEEZZNS1_16scan_by_key_implILNS1_25lookback_scan_determinismE0ELb0ES3_N6thrust23THRUST_200600_302600_NS6detail15normal_iteratorINS9_10device_ptrIsEEEESE_SE_sNS9_4plusIvEENS9_8equal_toIvEEsEE10hipError_tPvRmT2_T3_T4_T5_mT6_T7_P12ihipStream_tbENKUlT_T0_E_clISt17integral_constantIbLb1EESY_IbLb0EEEEDaSU_SV_EUlSU_E_NS1_11comp_targetILNS1_3genE4ELNS1_11target_archE910ELNS1_3gpuE8ELNS1_3repE0EEENS1_30default_config_static_selectorELNS0_4arch9wavefront6targetE1EEEvT1_
                                        ; -- End function
	.section	.AMDGPU.csdata,"",@progbits
; Kernel info:
; codeLenInByte = 0
; NumSgprs: 6
; NumVgprs: 0
; NumAgprs: 0
; TotalNumVgprs: 0
; ScratchSize: 0
; MemoryBound: 0
; FloatMode: 240
; IeeeMode: 1
; LDSByteSize: 0 bytes/workgroup (compile time only)
; SGPRBlocks: 0
; VGPRBlocks: 0
; NumSGPRsForWavesPerEU: 6
; NumVGPRsForWavesPerEU: 1
; AccumOffset: 4
; Occupancy: 8
; WaveLimiterHint : 0
; COMPUTE_PGM_RSRC2:SCRATCH_EN: 0
; COMPUTE_PGM_RSRC2:USER_SGPR: 2
; COMPUTE_PGM_RSRC2:TRAP_HANDLER: 0
; COMPUTE_PGM_RSRC2:TGID_X_EN: 1
; COMPUTE_PGM_RSRC2:TGID_Y_EN: 0
; COMPUTE_PGM_RSRC2:TGID_Z_EN: 0
; COMPUTE_PGM_RSRC2:TIDIG_COMP_CNT: 0
; COMPUTE_PGM_RSRC3_GFX90A:ACCUM_OFFSET: 0
; COMPUTE_PGM_RSRC3_GFX90A:TG_SPLIT: 0
	.section	.text._ZN7rocprim17ROCPRIM_400000_NS6detail17trampoline_kernelINS0_14default_configENS1_27scan_by_key_config_selectorIssEEZZNS1_16scan_by_key_implILNS1_25lookback_scan_determinismE0ELb0ES3_N6thrust23THRUST_200600_302600_NS6detail15normal_iteratorINS9_10device_ptrIsEEEESE_SE_sNS9_4plusIvEENS9_8equal_toIvEEsEE10hipError_tPvRmT2_T3_T4_T5_mT6_T7_P12ihipStream_tbENKUlT_T0_E_clISt17integral_constantIbLb1EESY_IbLb0EEEEDaSU_SV_EUlSU_E_NS1_11comp_targetILNS1_3genE3ELNS1_11target_archE908ELNS1_3gpuE7ELNS1_3repE0EEENS1_30default_config_static_selectorELNS0_4arch9wavefront6targetE1EEEvT1_,"axG",@progbits,_ZN7rocprim17ROCPRIM_400000_NS6detail17trampoline_kernelINS0_14default_configENS1_27scan_by_key_config_selectorIssEEZZNS1_16scan_by_key_implILNS1_25lookback_scan_determinismE0ELb0ES3_N6thrust23THRUST_200600_302600_NS6detail15normal_iteratorINS9_10device_ptrIsEEEESE_SE_sNS9_4plusIvEENS9_8equal_toIvEEsEE10hipError_tPvRmT2_T3_T4_T5_mT6_T7_P12ihipStream_tbENKUlT_T0_E_clISt17integral_constantIbLb1EESY_IbLb0EEEEDaSU_SV_EUlSU_E_NS1_11comp_targetILNS1_3genE3ELNS1_11target_archE908ELNS1_3gpuE7ELNS1_3repE0EEENS1_30default_config_static_selectorELNS0_4arch9wavefront6targetE1EEEvT1_,comdat
	.protected	_ZN7rocprim17ROCPRIM_400000_NS6detail17trampoline_kernelINS0_14default_configENS1_27scan_by_key_config_selectorIssEEZZNS1_16scan_by_key_implILNS1_25lookback_scan_determinismE0ELb0ES3_N6thrust23THRUST_200600_302600_NS6detail15normal_iteratorINS9_10device_ptrIsEEEESE_SE_sNS9_4plusIvEENS9_8equal_toIvEEsEE10hipError_tPvRmT2_T3_T4_T5_mT6_T7_P12ihipStream_tbENKUlT_T0_E_clISt17integral_constantIbLb1EESY_IbLb0EEEEDaSU_SV_EUlSU_E_NS1_11comp_targetILNS1_3genE3ELNS1_11target_archE908ELNS1_3gpuE7ELNS1_3repE0EEENS1_30default_config_static_selectorELNS0_4arch9wavefront6targetE1EEEvT1_ ; -- Begin function _ZN7rocprim17ROCPRIM_400000_NS6detail17trampoline_kernelINS0_14default_configENS1_27scan_by_key_config_selectorIssEEZZNS1_16scan_by_key_implILNS1_25lookback_scan_determinismE0ELb0ES3_N6thrust23THRUST_200600_302600_NS6detail15normal_iteratorINS9_10device_ptrIsEEEESE_SE_sNS9_4plusIvEENS9_8equal_toIvEEsEE10hipError_tPvRmT2_T3_T4_T5_mT6_T7_P12ihipStream_tbENKUlT_T0_E_clISt17integral_constantIbLb1EESY_IbLb0EEEEDaSU_SV_EUlSU_E_NS1_11comp_targetILNS1_3genE3ELNS1_11target_archE908ELNS1_3gpuE7ELNS1_3repE0EEENS1_30default_config_static_selectorELNS0_4arch9wavefront6targetE1EEEvT1_
	.globl	_ZN7rocprim17ROCPRIM_400000_NS6detail17trampoline_kernelINS0_14default_configENS1_27scan_by_key_config_selectorIssEEZZNS1_16scan_by_key_implILNS1_25lookback_scan_determinismE0ELb0ES3_N6thrust23THRUST_200600_302600_NS6detail15normal_iteratorINS9_10device_ptrIsEEEESE_SE_sNS9_4plusIvEENS9_8equal_toIvEEsEE10hipError_tPvRmT2_T3_T4_T5_mT6_T7_P12ihipStream_tbENKUlT_T0_E_clISt17integral_constantIbLb1EESY_IbLb0EEEEDaSU_SV_EUlSU_E_NS1_11comp_targetILNS1_3genE3ELNS1_11target_archE908ELNS1_3gpuE7ELNS1_3repE0EEENS1_30default_config_static_selectorELNS0_4arch9wavefront6targetE1EEEvT1_
	.p2align	8
	.type	_ZN7rocprim17ROCPRIM_400000_NS6detail17trampoline_kernelINS0_14default_configENS1_27scan_by_key_config_selectorIssEEZZNS1_16scan_by_key_implILNS1_25lookback_scan_determinismE0ELb0ES3_N6thrust23THRUST_200600_302600_NS6detail15normal_iteratorINS9_10device_ptrIsEEEESE_SE_sNS9_4plusIvEENS9_8equal_toIvEEsEE10hipError_tPvRmT2_T3_T4_T5_mT6_T7_P12ihipStream_tbENKUlT_T0_E_clISt17integral_constantIbLb1EESY_IbLb0EEEEDaSU_SV_EUlSU_E_NS1_11comp_targetILNS1_3genE3ELNS1_11target_archE908ELNS1_3gpuE7ELNS1_3repE0EEENS1_30default_config_static_selectorELNS0_4arch9wavefront6targetE1EEEvT1_,@function
_ZN7rocprim17ROCPRIM_400000_NS6detail17trampoline_kernelINS0_14default_configENS1_27scan_by_key_config_selectorIssEEZZNS1_16scan_by_key_implILNS1_25lookback_scan_determinismE0ELb0ES3_N6thrust23THRUST_200600_302600_NS6detail15normal_iteratorINS9_10device_ptrIsEEEESE_SE_sNS9_4plusIvEENS9_8equal_toIvEEsEE10hipError_tPvRmT2_T3_T4_T5_mT6_T7_P12ihipStream_tbENKUlT_T0_E_clISt17integral_constantIbLb1EESY_IbLb0EEEEDaSU_SV_EUlSU_E_NS1_11comp_targetILNS1_3genE3ELNS1_11target_archE908ELNS1_3gpuE7ELNS1_3repE0EEENS1_30default_config_static_selectorELNS0_4arch9wavefront6targetE1EEEvT1_: ; @_ZN7rocprim17ROCPRIM_400000_NS6detail17trampoline_kernelINS0_14default_configENS1_27scan_by_key_config_selectorIssEEZZNS1_16scan_by_key_implILNS1_25lookback_scan_determinismE0ELb0ES3_N6thrust23THRUST_200600_302600_NS6detail15normal_iteratorINS9_10device_ptrIsEEEESE_SE_sNS9_4plusIvEENS9_8equal_toIvEEsEE10hipError_tPvRmT2_T3_T4_T5_mT6_T7_P12ihipStream_tbENKUlT_T0_E_clISt17integral_constantIbLb1EESY_IbLb0EEEEDaSU_SV_EUlSU_E_NS1_11comp_targetILNS1_3genE3ELNS1_11target_archE908ELNS1_3gpuE7ELNS1_3repE0EEENS1_30default_config_static_selectorELNS0_4arch9wavefront6targetE1EEEvT1_
; %bb.0:
	.section	.rodata,"a",@progbits
	.p2align	6, 0x0
	.amdhsa_kernel _ZN7rocprim17ROCPRIM_400000_NS6detail17trampoline_kernelINS0_14default_configENS1_27scan_by_key_config_selectorIssEEZZNS1_16scan_by_key_implILNS1_25lookback_scan_determinismE0ELb0ES3_N6thrust23THRUST_200600_302600_NS6detail15normal_iteratorINS9_10device_ptrIsEEEESE_SE_sNS9_4plusIvEENS9_8equal_toIvEEsEE10hipError_tPvRmT2_T3_T4_T5_mT6_T7_P12ihipStream_tbENKUlT_T0_E_clISt17integral_constantIbLb1EESY_IbLb0EEEEDaSU_SV_EUlSU_E_NS1_11comp_targetILNS1_3genE3ELNS1_11target_archE908ELNS1_3gpuE7ELNS1_3repE0EEENS1_30default_config_static_selectorELNS0_4arch9wavefront6targetE1EEEvT1_
		.amdhsa_group_segment_fixed_size 0
		.amdhsa_private_segment_fixed_size 0
		.amdhsa_kernarg_size 112
		.amdhsa_user_sgpr_count 2
		.amdhsa_user_sgpr_dispatch_ptr 0
		.amdhsa_user_sgpr_queue_ptr 0
		.amdhsa_user_sgpr_kernarg_segment_ptr 1
		.amdhsa_user_sgpr_dispatch_id 0
		.amdhsa_user_sgpr_kernarg_preload_length 0
		.amdhsa_user_sgpr_kernarg_preload_offset 0
		.amdhsa_user_sgpr_private_segment_size 0
		.amdhsa_uses_dynamic_stack 0
		.amdhsa_enable_private_segment 0
		.amdhsa_system_sgpr_workgroup_id_x 1
		.amdhsa_system_sgpr_workgroup_id_y 0
		.amdhsa_system_sgpr_workgroup_id_z 0
		.amdhsa_system_sgpr_workgroup_info 0
		.amdhsa_system_vgpr_workitem_id 0
		.amdhsa_next_free_vgpr 1
		.amdhsa_next_free_sgpr 0
		.amdhsa_accum_offset 4
		.amdhsa_reserve_vcc 0
		.amdhsa_float_round_mode_32 0
		.amdhsa_float_round_mode_16_64 0
		.amdhsa_float_denorm_mode_32 3
		.amdhsa_float_denorm_mode_16_64 3
		.amdhsa_dx10_clamp 1
		.amdhsa_ieee_mode 1
		.amdhsa_fp16_overflow 0
		.amdhsa_tg_split 0
		.amdhsa_exception_fp_ieee_invalid_op 0
		.amdhsa_exception_fp_denorm_src 0
		.amdhsa_exception_fp_ieee_div_zero 0
		.amdhsa_exception_fp_ieee_overflow 0
		.amdhsa_exception_fp_ieee_underflow 0
		.amdhsa_exception_fp_ieee_inexact 0
		.amdhsa_exception_int_div_zero 0
	.end_amdhsa_kernel
	.section	.text._ZN7rocprim17ROCPRIM_400000_NS6detail17trampoline_kernelINS0_14default_configENS1_27scan_by_key_config_selectorIssEEZZNS1_16scan_by_key_implILNS1_25lookback_scan_determinismE0ELb0ES3_N6thrust23THRUST_200600_302600_NS6detail15normal_iteratorINS9_10device_ptrIsEEEESE_SE_sNS9_4plusIvEENS9_8equal_toIvEEsEE10hipError_tPvRmT2_T3_T4_T5_mT6_T7_P12ihipStream_tbENKUlT_T0_E_clISt17integral_constantIbLb1EESY_IbLb0EEEEDaSU_SV_EUlSU_E_NS1_11comp_targetILNS1_3genE3ELNS1_11target_archE908ELNS1_3gpuE7ELNS1_3repE0EEENS1_30default_config_static_selectorELNS0_4arch9wavefront6targetE1EEEvT1_,"axG",@progbits,_ZN7rocprim17ROCPRIM_400000_NS6detail17trampoline_kernelINS0_14default_configENS1_27scan_by_key_config_selectorIssEEZZNS1_16scan_by_key_implILNS1_25lookback_scan_determinismE0ELb0ES3_N6thrust23THRUST_200600_302600_NS6detail15normal_iteratorINS9_10device_ptrIsEEEESE_SE_sNS9_4plusIvEENS9_8equal_toIvEEsEE10hipError_tPvRmT2_T3_T4_T5_mT6_T7_P12ihipStream_tbENKUlT_T0_E_clISt17integral_constantIbLb1EESY_IbLb0EEEEDaSU_SV_EUlSU_E_NS1_11comp_targetILNS1_3genE3ELNS1_11target_archE908ELNS1_3gpuE7ELNS1_3repE0EEENS1_30default_config_static_selectorELNS0_4arch9wavefront6targetE1EEEvT1_,comdat
.Lfunc_end265:
	.size	_ZN7rocprim17ROCPRIM_400000_NS6detail17trampoline_kernelINS0_14default_configENS1_27scan_by_key_config_selectorIssEEZZNS1_16scan_by_key_implILNS1_25lookback_scan_determinismE0ELb0ES3_N6thrust23THRUST_200600_302600_NS6detail15normal_iteratorINS9_10device_ptrIsEEEESE_SE_sNS9_4plusIvEENS9_8equal_toIvEEsEE10hipError_tPvRmT2_T3_T4_T5_mT6_T7_P12ihipStream_tbENKUlT_T0_E_clISt17integral_constantIbLb1EESY_IbLb0EEEEDaSU_SV_EUlSU_E_NS1_11comp_targetILNS1_3genE3ELNS1_11target_archE908ELNS1_3gpuE7ELNS1_3repE0EEENS1_30default_config_static_selectorELNS0_4arch9wavefront6targetE1EEEvT1_, .Lfunc_end265-_ZN7rocprim17ROCPRIM_400000_NS6detail17trampoline_kernelINS0_14default_configENS1_27scan_by_key_config_selectorIssEEZZNS1_16scan_by_key_implILNS1_25lookback_scan_determinismE0ELb0ES3_N6thrust23THRUST_200600_302600_NS6detail15normal_iteratorINS9_10device_ptrIsEEEESE_SE_sNS9_4plusIvEENS9_8equal_toIvEEsEE10hipError_tPvRmT2_T3_T4_T5_mT6_T7_P12ihipStream_tbENKUlT_T0_E_clISt17integral_constantIbLb1EESY_IbLb0EEEEDaSU_SV_EUlSU_E_NS1_11comp_targetILNS1_3genE3ELNS1_11target_archE908ELNS1_3gpuE7ELNS1_3repE0EEENS1_30default_config_static_selectorELNS0_4arch9wavefront6targetE1EEEvT1_
                                        ; -- End function
	.section	.AMDGPU.csdata,"",@progbits
; Kernel info:
; codeLenInByte = 0
; NumSgprs: 6
; NumVgprs: 0
; NumAgprs: 0
; TotalNumVgprs: 0
; ScratchSize: 0
; MemoryBound: 0
; FloatMode: 240
; IeeeMode: 1
; LDSByteSize: 0 bytes/workgroup (compile time only)
; SGPRBlocks: 0
; VGPRBlocks: 0
; NumSGPRsForWavesPerEU: 6
; NumVGPRsForWavesPerEU: 1
; AccumOffset: 4
; Occupancy: 8
; WaveLimiterHint : 0
; COMPUTE_PGM_RSRC2:SCRATCH_EN: 0
; COMPUTE_PGM_RSRC2:USER_SGPR: 2
; COMPUTE_PGM_RSRC2:TRAP_HANDLER: 0
; COMPUTE_PGM_RSRC2:TGID_X_EN: 1
; COMPUTE_PGM_RSRC2:TGID_Y_EN: 0
; COMPUTE_PGM_RSRC2:TGID_Z_EN: 0
; COMPUTE_PGM_RSRC2:TIDIG_COMP_CNT: 0
; COMPUTE_PGM_RSRC3_GFX90A:ACCUM_OFFSET: 0
; COMPUTE_PGM_RSRC3_GFX90A:TG_SPLIT: 0
	.section	.text._ZN7rocprim17ROCPRIM_400000_NS6detail17trampoline_kernelINS0_14default_configENS1_27scan_by_key_config_selectorIssEEZZNS1_16scan_by_key_implILNS1_25lookback_scan_determinismE0ELb0ES3_N6thrust23THRUST_200600_302600_NS6detail15normal_iteratorINS9_10device_ptrIsEEEESE_SE_sNS9_4plusIvEENS9_8equal_toIvEEsEE10hipError_tPvRmT2_T3_T4_T5_mT6_T7_P12ihipStream_tbENKUlT_T0_E_clISt17integral_constantIbLb1EESY_IbLb0EEEEDaSU_SV_EUlSU_E_NS1_11comp_targetILNS1_3genE2ELNS1_11target_archE906ELNS1_3gpuE6ELNS1_3repE0EEENS1_30default_config_static_selectorELNS0_4arch9wavefront6targetE1EEEvT1_,"axG",@progbits,_ZN7rocprim17ROCPRIM_400000_NS6detail17trampoline_kernelINS0_14default_configENS1_27scan_by_key_config_selectorIssEEZZNS1_16scan_by_key_implILNS1_25lookback_scan_determinismE0ELb0ES3_N6thrust23THRUST_200600_302600_NS6detail15normal_iteratorINS9_10device_ptrIsEEEESE_SE_sNS9_4plusIvEENS9_8equal_toIvEEsEE10hipError_tPvRmT2_T3_T4_T5_mT6_T7_P12ihipStream_tbENKUlT_T0_E_clISt17integral_constantIbLb1EESY_IbLb0EEEEDaSU_SV_EUlSU_E_NS1_11comp_targetILNS1_3genE2ELNS1_11target_archE906ELNS1_3gpuE6ELNS1_3repE0EEENS1_30default_config_static_selectorELNS0_4arch9wavefront6targetE1EEEvT1_,comdat
	.protected	_ZN7rocprim17ROCPRIM_400000_NS6detail17trampoline_kernelINS0_14default_configENS1_27scan_by_key_config_selectorIssEEZZNS1_16scan_by_key_implILNS1_25lookback_scan_determinismE0ELb0ES3_N6thrust23THRUST_200600_302600_NS6detail15normal_iteratorINS9_10device_ptrIsEEEESE_SE_sNS9_4plusIvEENS9_8equal_toIvEEsEE10hipError_tPvRmT2_T3_T4_T5_mT6_T7_P12ihipStream_tbENKUlT_T0_E_clISt17integral_constantIbLb1EESY_IbLb0EEEEDaSU_SV_EUlSU_E_NS1_11comp_targetILNS1_3genE2ELNS1_11target_archE906ELNS1_3gpuE6ELNS1_3repE0EEENS1_30default_config_static_selectorELNS0_4arch9wavefront6targetE1EEEvT1_ ; -- Begin function _ZN7rocprim17ROCPRIM_400000_NS6detail17trampoline_kernelINS0_14default_configENS1_27scan_by_key_config_selectorIssEEZZNS1_16scan_by_key_implILNS1_25lookback_scan_determinismE0ELb0ES3_N6thrust23THRUST_200600_302600_NS6detail15normal_iteratorINS9_10device_ptrIsEEEESE_SE_sNS9_4plusIvEENS9_8equal_toIvEEsEE10hipError_tPvRmT2_T3_T4_T5_mT6_T7_P12ihipStream_tbENKUlT_T0_E_clISt17integral_constantIbLb1EESY_IbLb0EEEEDaSU_SV_EUlSU_E_NS1_11comp_targetILNS1_3genE2ELNS1_11target_archE906ELNS1_3gpuE6ELNS1_3repE0EEENS1_30default_config_static_selectorELNS0_4arch9wavefront6targetE1EEEvT1_
	.globl	_ZN7rocprim17ROCPRIM_400000_NS6detail17trampoline_kernelINS0_14default_configENS1_27scan_by_key_config_selectorIssEEZZNS1_16scan_by_key_implILNS1_25lookback_scan_determinismE0ELb0ES3_N6thrust23THRUST_200600_302600_NS6detail15normal_iteratorINS9_10device_ptrIsEEEESE_SE_sNS9_4plusIvEENS9_8equal_toIvEEsEE10hipError_tPvRmT2_T3_T4_T5_mT6_T7_P12ihipStream_tbENKUlT_T0_E_clISt17integral_constantIbLb1EESY_IbLb0EEEEDaSU_SV_EUlSU_E_NS1_11comp_targetILNS1_3genE2ELNS1_11target_archE906ELNS1_3gpuE6ELNS1_3repE0EEENS1_30default_config_static_selectorELNS0_4arch9wavefront6targetE1EEEvT1_
	.p2align	8
	.type	_ZN7rocprim17ROCPRIM_400000_NS6detail17trampoline_kernelINS0_14default_configENS1_27scan_by_key_config_selectorIssEEZZNS1_16scan_by_key_implILNS1_25lookback_scan_determinismE0ELb0ES3_N6thrust23THRUST_200600_302600_NS6detail15normal_iteratorINS9_10device_ptrIsEEEESE_SE_sNS9_4plusIvEENS9_8equal_toIvEEsEE10hipError_tPvRmT2_T3_T4_T5_mT6_T7_P12ihipStream_tbENKUlT_T0_E_clISt17integral_constantIbLb1EESY_IbLb0EEEEDaSU_SV_EUlSU_E_NS1_11comp_targetILNS1_3genE2ELNS1_11target_archE906ELNS1_3gpuE6ELNS1_3repE0EEENS1_30default_config_static_selectorELNS0_4arch9wavefront6targetE1EEEvT1_,@function
_ZN7rocprim17ROCPRIM_400000_NS6detail17trampoline_kernelINS0_14default_configENS1_27scan_by_key_config_selectorIssEEZZNS1_16scan_by_key_implILNS1_25lookback_scan_determinismE0ELb0ES3_N6thrust23THRUST_200600_302600_NS6detail15normal_iteratorINS9_10device_ptrIsEEEESE_SE_sNS9_4plusIvEENS9_8equal_toIvEEsEE10hipError_tPvRmT2_T3_T4_T5_mT6_T7_P12ihipStream_tbENKUlT_T0_E_clISt17integral_constantIbLb1EESY_IbLb0EEEEDaSU_SV_EUlSU_E_NS1_11comp_targetILNS1_3genE2ELNS1_11target_archE906ELNS1_3gpuE6ELNS1_3repE0EEENS1_30default_config_static_selectorELNS0_4arch9wavefront6targetE1EEEvT1_: ; @_ZN7rocprim17ROCPRIM_400000_NS6detail17trampoline_kernelINS0_14default_configENS1_27scan_by_key_config_selectorIssEEZZNS1_16scan_by_key_implILNS1_25lookback_scan_determinismE0ELb0ES3_N6thrust23THRUST_200600_302600_NS6detail15normal_iteratorINS9_10device_ptrIsEEEESE_SE_sNS9_4plusIvEENS9_8equal_toIvEEsEE10hipError_tPvRmT2_T3_T4_T5_mT6_T7_P12ihipStream_tbENKUlT_T0_E_clISt17integral_constantIbLb1EESY_IbLb0EEEEDaSU_SV_EUlSU_E_NS1_11comp_targetILNS1_3genE2ELNS1_11target_archE906ELNS1_3gpuE6ELNS1_3repE0EEENS1_30default_config_static_selectorELNS0_4arch9wavefront6targetE1EEEvT1_
; %bb.0:
	.section	.rodata,"a",@progbits
	.p2align	6, 0x0
	.amdhsa_kernel _ZN7rocprim17ROCPRIM_400000_NS6detail17trampoline_kernelINS0_14default_configENS1_27scan_by_key_config_selectorIssEEZZNS1_16scan_by_key_implILNS1_25lookback_scan_determinismE0ELb0ES3_N6thrust23THRUST_200600_302600_NS6detail15normal_iteratorINS9_10device_ptrIsEEEESE_SE_sNS9_4plusIvEENS9_8equal_toIvEEsEE10hipError_tPvRmT2_T3_T4_T5_mT6_T7_P12ihipStream_tbENKUlT_T0_E_clISt17integral_constantIbLb1EESY_IbLb0EEEEDaSU_SV_EUlSU_E_NS1_11comp_targetILNS1_3genE2ELNS1_11target_archE906ELNS1_3gpuE6ELNS1_3repE0EEENS1_30default_config_static_selectorELNS0_4arch9wavefront6targetE1EEEvT1_
		.amdhsa_group_segment_fixed_size 0
		.amdhsa_private_segment_fixed_size 0
		.amdhsa_kernarg_size 112
		.amdhsa_user_sgpr_count 2
		.amdhsa_user_sgpr_dispatch_ptr 0
		.amdhsa_user_sgpr_queue_ptr 0
		.amdhsa_user_sgpr_kernarg_segment_ptr 1
		.amdhsa_user_sgpr_dispatch_id 0
		.amdhsa_user_sgpr_kernarg_preload_length 0
		.amdhsa_user_sgpr_kernarg_preload_offset 0
		.amdhsa_user_sgpr_private_segment_size 0
		.amdhsa_uses_dynamic_stack 0
		.amdhsa_enable_private_segment 0
		.amdhsa_system_sgpr_workgroup_id_x 1
		.amdhsa_system_sgpr_workgroup_id_y 0
		.amdhsa_system_sgpr_workgroup_id_z 0
		.amdhsa_system_sgpr_workgroup_info 0
		.amdhsa_system_vgpr_workitem_id 0
		.amdhsa_next_free_vgpr 1
		.amdhsa_next_free_sgpr 0
		.amdhsa_accum_offset 4
		.amdhsa_reserve_vcc 0
		.amdhsa_float_round_mode_32 0
		.amdhsa_float_round_mode_16_64 0
		.amdhsa_float_denorm_mode_32 3
		.amdhsa_float_denorm_mode_16_64 3
		.amdhsa_dx10_clamp 1
		.amdhsa_ieee_mode 1
		.amdhsa_fp16_overflow 0
		.amdhsa_tg_split 0
		.amdhsa_exception_fp_ieee_invalid_op 0
		.amdhsa_exception_fp_denorm_src 0
		.amdhsa_exception_fp_ieee_div_zero 0
		.amdhsa_exception_fp_ieee_overflow 0
		.amdhsa_exception_fp_ieee_underflow 0
		.amdhsa_exception_fp_ieee_inexact 0
		.amdhsa_exception_int_div_zero 0
	.end_amdhsa_kernel
	.section	.text._ZN7rocprim17ROCPRIM_400000_NS6detail17trampoline_kernelINS0_14default_configENS1_27scan_by_key_config_selectorIssEEZZNS1_16scan_by_key_implILNS1_25lookback_scan_determinismE0ELb0ES3_N6thrust23THRUST_200600_302600_NS6detail15normal_iteratorINS9_10device_ptrIsEEEESE_SE_sNS9_4plusIvEENS9_8equal_toIvEEsEE10hipError_tPvRmT2_T3_T4_T5_mT6_T7_P12ihipStream_tbENKUlT_T0_E_clISt17integral_constantIbLb1EESY_IbLb0EEEEDaSU_SV_EUlSU_E_NS1_11comp_targetILNS1_3genE2ELNS1_11target_archE906ELNS1_3gpuE6ELNS1_3repE0EEENS1_30default_config_static_selectorELNS0_4arch9wavefront6targetE1EEEvT1_,"axG",@progbits,_ZN7rocprim17ROCPRIM_400000_NS6detail17trampoline_kernelINS0_14default_configENS1_27scan_by_key_config_selectorIssEEZZNS1_16scan_by_key_implILNS1_25lookback_scan_determinismE0ELb0ES3_N6thrust23THRUST_200600_302600_NS6detail15normal_iteratorINS9_10device_ptrIsEEEESE_SE_sNS9_4plusIvEENS9_8equal_toIvEEsEE10hipError_tPvRmT2_T3_T4_T5_mT6_T7_P12ihipStream_tbENKUlT_T0_E_clISt17integral_constantIbLb1EESY_IbLb0EEEEDaSU_SV_EUlSU_E_NS1_11comp_targetILNS1_3genE2ELNS1_11target_archE906ELNS1_3gpuE6ELNS1_3repE0EEENS1_30default_config_static_selectorELNS0_4arch9wavefront6targetE1EEEvT1_,comdat
.Lfunc_end266:
	.size	_ZN7rocprim17ROCPRIM_400000_NS6detail17trampoline_kernelINS0_14default_configENS1_27scan_by_key_config_selectorIssEEZZNS1_16scan_by_key_implILNS1_25lookback_scan_determinismE0ELb0ES3_N6thrust23THRUST_200600_302600_NS6detail15normal_iteratorINS9_10device_ptrIsEEEESE_SE_sNS9_4plusIvEENS9_8equal_toIvEEsEE10hipError_tPvRmT2_T3_T4_T5_mT6_T7_P12ihipStream_tbENKUlT_T0_E_clISt17integral_constantIbLb1EESY_IbLb0EEEEDaSU_SV_EUlSU_E_NS1_11comp_targetILNS1_3genE2ELNS1_11target_archE906ELNS1_3gpuE6ELNS1_3repE0EEENS1_30default_config_static_selectorELNS0_4arch9wavefront6targetE1EEEvT1_, .Lfunc_end266-_ZN7rocprim17ROCPRIM_400000_NS6detail17trampoline_kernelINS0_14default_configENS1_27scan_by_key_config_selectorIssEEZZNS1_16scan_by_key_implILNS1_25lookback_scan_determinismE0ELb0ES3_N6thrust23THRUST_200600_302600_NS6detail15normal_iteratorINS9_10device_ptrIsEEEESE_SE_sNS9_4plusIvEENS9_8equal_toIvEEsEE10hipError_tPvRmT2_T3_T4_T5_mT6_T7_P12ihipStream_tbENKUlT_T0_E_clISt17integral_constantIbLb1EESY_IbLb0EEEEDaSU_SV_EUlSU_E_NS1_11comp_targetILNS1_3genE2ELNS1_11target_archE906ELNS1_3gpuE6ELNS1_3repE0EEENS1_30default_config_static_selectorELNS0_4arch9wavefront6targetE1EEEvT1_
                                        ; -- End function
	.section	.AMDGPU.csdata,"",@progbits
; Kernel info:
; codeLenInByte = 0
; NumSgprs: 6
; NumVgprs: 0
; NumAgprs: 0
; TotalNumVgprs: 0
; ScratchSize: 0
; MemoryBound: 0
; FloatMode: 240
; IeeeMode: 1
; LDSByteSize: 0 bytes/workgroup (compile time only)
; SGPRBlocks: 0
; VGPRBlocks: 0
; NumSGPRsForWavesPerEU: 6
; NumVGPRsForWavesPerEU: 1
; AccumOffset: 4
; Occupancy: 8
; WaveLimiterHint : 0
; COMPUTE_PGM_RSRC2:SCRATCH_EN: 0
; COMPUTE_PGM_RSRC2:USER_SGPR: 2
; COMPUTE_PGM_RSRC2:TRAP_HANDLER: 0
; COMPUTE_PGM_RSRC2:TGID_X_EN: 1
; COMPUTE_PGM_RSRC2:TGID_Y_EN: 0
; COMPUTE_PGM_RSRC2:TGID_Z_EN: 0
; COMPUTE_PGM_RSRC2:TIDIG_COMP_CNT: 0
; COMPUTE_PGM_RSRC3_GFX90A:ACCUM_OFFSET: 0
; COMPUTE_PGM_RSRC3_GFX90A:TG_SPLIT: 0
	.section	.text._ZN7rocprim17ROCPRIM_400000_NS6detail17trampoline_kernelINS0_14default_configENS1_27scan_by_key_config_selectorIssEEZZNS1_16scan_by_key_implILNS1_25lookback_scan_determinismE0ELb0ES3_N6thrust23THRUST_200600_302600_NS6detail15normal_iteratorINS9_10device_ptrIsEEEESE_SE_sNS9_4plusIvEENS9_8equal_toIvEEsEE10hipError_tPvRmT2_T3_T4_T5_mT6_T7_P12ihipStream_tbENKUlT_T0_E_clISt17integral_constantIbLb1EESY_IbLb0EEEEDaSU_SV_EUlSU_E_NS1_11comp_targetILNS1_3genE10ELNS1_11target_archE1200ELNS1_3gpuE4ELNS1_3repE0EEENS1_30default_config_static_selectorELNS0_4arch9wavefront6targetE1EEEvT1_,"axG",@progbits,_ZN7rocprim17ROCPRIM_400000_NS6detail17trampoline_kernelINS0_14default_configENS1_27scan_by_key_config_selectorIssEEZZNS1_16scan_by_key_implILNS1_25lookback_scan_determinismE0ELb0ES3_N6thrust23THRUST_200600_302600_NS6detail15normal_iteratorINS9_10device_ptrIsEEEESE_SE_sNS9_4plusIvEENS9_8equal_toIvEEsEE10hipError_tPvRmT2_T3_T4_T5_mT6_T7_P12ihipStream_tbENKUlT_T0_E_clISt17integral_constantIbLb1EESY_IbLb0EEEEDaSU_SV_EUlSU_E_NS1_11comp_targetILNS1_3genE10ELNS1_11target_archE1200ELNS1_3gpuE4ELNS1_3repE0EEENS1_30default_config_static_selectorELNS0_4arch9wavefront6targetE1EEEvT1_,comdat
	.protected	_ZN7rocprim17ROCPRIM_400000_NS6detail17trampoline_kernelINS0_14default_configENS1_27scan_by_key_config_selectorIssEEZZNS1_16scan_by_key_implILNS1_25lookback_scan_determinismE0ELb0ES3_N6thrust23THRUST_200600_302600_NS6detail15normal_iteratorINS9_10device_ptrIsEEEESE_SE_sNS9_4plusIvEENS9_8equal_toIvEEsEE10hipError_tPvRmT2_T3_T4_T5_mT6_T7_P12ihipStream_tbENKUlT_T0_E_clISt17integral_constantIbLb1EESY_IbLb0EEEEDaSU_SV_EUlSU_E_NS1_11comp_targetILNS1_3genE10ELNS1_11target_archE1200ELNS1_3gpuE4ELNS1_3repE0EEENS1_30default_config_static_selectorELNS0_4arch9wavefront6targetE1EEEvT1_ ; -- Begin function _ZN7rocprim17ROCPRIM_400000_NS6detail17trampoline_kernelINS0_14default_configENS1_27scan_by_key_config_selectorIssEEZZNS1_16scan_by_key_implILNS1_25lookback_scan_determinismE0ELb0ES3_N6thrust23THRUST_200600_302600_NS6detail15normal_iteratorINS9_10device_ptrIsEEEESE_SE_sNS9_4plusIvEENS9_8equal_toIvEEsEE10hipError_tPvRmT2_T3_T4_T5_mT6_T7_P12ihipStream_tbENKUlT_T0_E_clISt17integral_constantIbLb1EESY_IbLb0EEEEDaSU_SV_EUlSU_E_NS1_11comp_targetILNS1_3genE10ELNS1_11target_archE1200ELNS1_3gpuE4ELNS1_3repE0EEENS1_30default_config_static_selectorELNS0_4arch9wavefront6targetE1EEEvT1_
	.globl	_ZN7rocprim17ROCPRIM_400000_NS6detail17trampoline_kernelINS0_14default_configENS1_27scan_by_key_config_selectorIssEEZZNS1_16scan_by_key_implILNS1_25lookback_scan_determinismE0ELb0ES3_N6thrust23THRUST_200600_302600_NS6detail15normal_iteratorINS9_10device_ptrIsEEEESE_SE_sNS9_4plusIvEENS9_8equal_toIvEEsEE10hipError_tPvRmT2_T3_T4_T5_mT6_T7_P12ihipStream_tbENKUlT_T0_E_clISt17integral_constantIbLb1EESY_IbLb0EEEEDaSU_SV_EUlSU_E_NS1_11comp_targetILNS1_3genE10ELNS1_11target_archE1200ELNS1_3gpuE4ELNS1_3repE0EEENS1_30default_config_static_selectorELNS0_4arch9wavefront6targetE1EEEvT1_
	.p2align	8
	.type	_ZN7rocprim17ROCPRIM_400000_NS6detail17trampoline_kernelINS0_14default_configENS1_27scan_by_key_config_selectorIssEEZZNS1_16scan_by_key_implILNS1_25lookback_scan_determinismE0ELb0ES3_N6thrust23THRUST_200600_302600_NS6detail15normal_iteratorINS9_10device_ptrIsEEEESE_SE_sNS9_4plusIvEENS9_8equal_toIvEEsEE10hipError_tPvRmT2_T3_T4_T5_mT6_T7_P12ihipStream_tbENKUlT_T0_E_clISt17integral_constantIbLb1EESY_IbLb0EEEEDaSU_SV_EUlSU_E_NS1_11comp_targetILNS1_3genE10ELNS1_11target_archE1200ELNS1_3gpuE4ELNS1_3repE0EEENS1_30default_config_static_selectorELNS0_4arch9wavefront6targetE1EEEvT1_,@function
_ZN7rocprim17ROCPRIM_400000_NS6detail17trampoline_kernelINS0_14default_configENS1_27scan_by_key_config_selectorIssEEZZNS1_16scan_by_key_implILNS1_25lookback_scan_determinismE0ELb0ES3_N6thrust23THRUST_200600_302600_NS6detail15normal_iteratorINS9_10device_ptrIsEEEESE_SE_sNS9_4plusIvEENS9_8equal_toIvEEsEE10hipError_tPvRmT2_T3_T4_T5_mT6_T7_P12ihipStream_tbENKUlT_T0_E_clISt17integral_constantIbLb1EESY_IbLb0EEEEDaSU_SV_EUlSU_E_NS1_11comp_targetILNS1_3genE10ELNS1_11target_archE1200ELNS1_3gpuE4ELNS1_3repE0EEENS1_30default_config_static_selectorELNS0_4arch9wavefront6targetE1EEEvT1_: ; @_ZN7rocprim17ROCPRIM_400000_NS6detail17trampoline_kernelINS0_14default_configENS1_27scan_by_key_config_selectorIssEEZZNS1_16scan_by_key_implILNS1_25lookback_scan_determinismE0ELb0ES3_N6thrust23THRUST_200600_302600_NS6detail15normal_iteratorINS9_10device_ptrIsEEEESE_SE_sNS9_4plusIvEENS9_8equal_toIvEEsEE10hipError_tPvRmT2_T3_T4_T5_mT6_T7_P12ihipStream_tbENKUlT_T0_E_clISt17integral_constantIbLb1EESY_IbLb0EEEEDaSU_SV_EUlSU_E_NS1_11comp_targetILNS1_3genE10ELNS1_11target_archE1200ELNS1_3gpuE4ELNS1_3repE0EEENS1_30default_config_static_selectorELNS0_4arch9wavefront6targetE1EEEvT1_
; %bb.0:
	.section	.rodata,"a",@progbits
	.p2align	6, 0x0
	.amdhsa_kernel _ZN7rocprim17ROCPRIM_400000_NS6detail17trampoline_kernelINS0_14default_configENS1_27scan_by_key_config_selectorIssEEZZNS1_16scan_by_key_implILNS1_25lookback_scan_determinismE0ELb0ES3_N6thrust23THRUST_200600_302600_NS6detail15normal_iteratorINS9_10device_ptrIsEEEESE_SE_sNS9_4plusIvEENS9_8equal_toIvEEsEE10hipError_tPvRmT2_T3_T4_T5_mT6_T7_P12ihipStream_tbENKUlT_T0_E_clISt17integral_constantIbLb1EESY_IbLb0EEEEDaSU_SV_EUlSU_E_NS1_11comp_targetILNS1_3genE10ELNS1_11target_archE1200ELNS1_3gpuE4ELNS1_3repE0EEENS1_30default_config_static_selectorELNS0_4arch9wavefront6targetE1EEEvT1_
		.amdhsa_group_segment_fixed_size 0
		.amdhsa_private_segment_fixed_size 0
		.amdhsa_kernarg_size 112
		.amdhsa_user_sgpr_count 2
		.amdhsa_user_sgpr_dispatch_ptr 0
		.amdhsa_user_sgpr_queue_ptr 0
		.amdhsa_user_sgpr_kernarg_segment_ptr 1
		.amdhsa_user_sgpr_dispatch_id 0
		.amdhsa_user_sgpr_kernarg_preload_length 0
		.amdhsa_user_sgpr_kernarg_preload_offset 0
		.amdhsa_user_sgpr_private_segment_size 0
		.amdhsa_uses_dynamic_stack 0
		.amdhsa_enable_private_segment 0
		.amdhsa_system_sgpr_workgroup_id_x 1
		.amdhsa_system_sgpr_workgroup_id_y 0
		.amdhsa_system_sgpr_workgroup_id_z 0
		.amdhsa_system_sgpr_workgroup_info 0
		.amdhsa_system_vgpr_workitem_id 0
		.amdhsa_next_free_vgpr 1
		.amdhsa_next_free_sgpr 0
		.amdhsa_accum_offset 4
		.amdhsa_reserve_vcc 0
		.amdhsa_float_round_mode_32 0
		.amdhsa_float_round_mode_16_64 0
		.amdhsa_float_denorm_mode_32 3
		.amdhsa_float_denorm_mode_16_64 3
		.amdhsa_dx10_clamp 1
		.amdhsa_ieee_mode 1
		.amdhsa_fp16_overflow 0
		.amdhsa_tg_split 0
		.amdhsa_exception_fp_ieee_invalid_op 0
		.amdhsa_exception_fp_denorm_src 0
		.amdhsa_exception_fp_ieee_div_zero 0
		.amdhsa_exception_fp_ieee_overflow 0
		.amdhsa_exception_fp_ieee_underflow 0
		.amdhsa_exception_fp_ieee_inexact 0
		.amdhsa_exception_int_div_zero 0
	.end_amdhsa_kernel
	.section	.text._ZN7rocprim17ROCPRIM_400000_NS6detail17trampoline_kernelINS0_14default_configENS1_27scan_by_key_config_selectorIssEEZZNS1_16scan_by_key_implILNS1_25lookback_scan_determinismE0ELb0ES3_N6thrust23THRUST_200600_302600_NS6detail15normal_iteratorINS9_10device_ptrIsEEEESE_SE_sNS9_4plusIvEENS9_8equal_toIvEEsEE10hipError_tPvRmT2_T3_T4_T5_mT6_T7_P12ihipStream_tbENKUlT_T0_E_clISt17integral_constantIbLb1EESY_IbLb0EEEEDaSU_SV_EUlSU_E_NS1_11comp_targetILNS1_3genE10ELNS1_11target_archE1200ELNS1_3gpuE4ELNS1_3repE0EEENS1_30default_config_static_selectorELNS0_4arch9wavefront6targetE1EEEvT1_,"axG",@progbits,_ZN7rocprim17ROCPRIM_400000_NS6detail17trampoline_kernelINS0_14default_configENS1_27scan_by_key_config_selectorIssEEZZNS1_16scan_by_key_implILNS1_25lookback_scan_determinismE0ELb0ES3_N6thrust23THRUST_200600_302600_NS6detail15normal_iteratorINS9_10device_ptrIsEEEESE_SE_sNS9_4plusIvEENS9_8equal_toIvEEsEE10hipError_tPvRmT2_T3_T4_T5_mT6_T7_P12ihipStream_tbENKUlT_T0_E_clISt17integral_constantIbLb1EESY_IbLb0EEEEDaSU_SV_EUlSU_E_NS1_11comp_targetILNS1_3genE10ELNS1_11target_archE1200ELNS1_3gpuE4ELNS1_3repE0EEENS1_30default_config_static_selectorELNS0_4arch9wavefront6targetE1EEEvT1_,comdat
.Lfunc_end267:
	.size	_ZN7rocprim17ROCPRIM_400000_NS6detail17trampoline_kernelINS0_14default_configENS1_27scan_by_key_config_selectorIssEEZZNS1_16scan_by_key_implILNS1_25lookback_scan_determinismE0ELb0ES3_N6thrust23THRUST_200600_302600_NS6detail15normal_iteratorINS9_10device_ptrIsEEEESE_SE_sNS9_4plusIvEENS9_8equal_toIvEEsEE10hipError_tPvRmT2_T3_T4_T5_mT6_T7_P12ihipStream_tbENKUlT_T0_E_clISt17integral_constantIbLb1EESY_IbLb0EEEEDaSU_SV_EUlSU_E_NS1_11comp_targetILNS1_3genE10ELNS1_11target_archE1200ELNS1_3gpuE4ELNS1_3repE0EEENS1_30default_config_static_selectorELNS0_4arch9wavefront6targetE1EEEvT1_, .Lfunc_end267-_ZN7rocprim17ROCPRIM_400000_NS6detail17trampoline_kernelINS0_14default_configENS1_27scan_by_key_config_selectorIssEEZZNS1_16scan_by_key_implILNS1_25lookback_scan_determinismE0ELb0ES3_N6thrust23THRUST_200600_302600_NS6detail15normal_iteratorINS9_10device_ptrIsEEEESE_SE_sNS9_4plusIvEENS9_8equal_toIvEEsEE10hipError_tPvRmT2_T3_T4_T5_mT6_T7_P12ihipStream_tbENKUlT_T0_E_clISt17integral_constantIbLb1EESY_IbLb0EEEEDaSU_SV_EUlSU_E_NS1_11comp_targetILNS1_3genE10ELNS1_11target_archE1200ELNS1_3gpuE4ELNS1_3repE0EEENS1_30default_config_static_selectorELNS0_4arch9wavefront6targetE1EEEvT1_
                                        ; -- End function
	.section	.AMDGPU.csdata,"",@progbits
; Kernel info:
; codeLenInByte = 0
; NumSgprs: 6
; NumVgprs: 0
; NumAgprs: 0
; TotalNumVgprs: 0
; ScratchSize: 0
; MemoryBound: 0
; FloatMode: 240
; IeeeMode: 1
; LDSByteSize: 0 bytes/workgroup (compile time only)
; SGPRBlocks: 0
; VGPRBlocks: 0
; NumSGPRsForWavesPerEU: 6
; NumVGPRsForWavesPerEU: 1
; AccumOffset: 4
; Occupancy: 8
; WaveLimiterHint : 0
; COMPUTE_PGM_RSRC2:SCRATCH_EN: 0
; COMPUTE_PGM_RSRC2:USER_SGPR: 2
; COMPUTE_PGM_RSRC2:TRAP_HANDLER: 0
; COMPUTE_PGM_RSRC2:TGID_X_EN: 1
; COMPUTE_PGM_RSRC2:TGID_Y_EN: 0
; COMPUTE_PGM_RSRC2:TGID_Z_EN: 0
; COMPUTE_PGM_RSRC2:TIDIG_COMP_CNT: 0
; COMPUTE_PGM_RSRC3_GFX90A:ACCUM_OFFSET: 0
; COMPUTE_PGM_RSRC3_GFX90A:TG_SPLIT: 0
	.section	.text._ZN7rocprim17ROCPRIM_400000_NS6detail17trampoline_kernelINS0_14default_configENS1_27scan_by_key_config_selectorIssEEZZNS1_16scan_by_key_implILNS1_25lookback_scan_determinismE0ELb0ES3_N6thrust23THRUST_200600_302600_NS6detail15normal_iteratorINS9_10device_ptrIsEEEESE_SE_sNS9_4plusIvEENS9_8equal_toIvEEsEE10hipError_tPvRmT2_T3_T4_T5_mT6_T7_P12ihipStream_tbENKUlT_T0_E_clISt17integral_constantIbLb1EESY_IbLb0EEEEDaSU_SV_EUlSU_E_NS1_11comp_targetILNS1_3genE9ELNS1_11target_archE1100ELNS1_3gpuE3ELNS1_3repE0EEENS1_30default_config_static_selectorELNS0_4arch9wavefront6targetE1EEEvT1_,"axG",@progbits,_ZN7rocprim17ROCPRIM_400000_NS6detail17trampoline_kernelINS0_14default_configENS1_27scan_by_key_config_selectorIssEEZZNS1_16scan_by_key_implILNS1_25lookback_scan_determinismE0ELb0ES3_N6thrust23THRUST_200600_302600_NS6detail15normal_iteratorINS9_10device_ptrIsEEEESE_SE_sNS9_4plusIvEENS9_8equal_toIvEEsEE10hipError_tPvRmT2_T3_T4_T5_mT6_T7_P12ihipStream_tbENKUlT_T0_E_clISt17integral_constantIbLb1EESY_IbLb0EEEEDaSU_SV_EUlSU_E_NS1_11comp_targetILNS1_3genE9ELNS1_11target_archE1100ELNS1_3gpuE3ELNS1_3repE0EEENS1_30default_config_static_selectorELNS0_4arch9wavefront6targetE1EEEvT1_,comdat
	.protected	_ZN7rocprim17ROCPRIM_400000_NS6detail17trampoline_kernelINS0_14default_configENS1_27scan_by_key_config_selectorIssEEZZNS1_16scan_by_key_implILNS1_25lookback_scan_determinismE0ELb0ES3_N6thrust23THRUST_200600_302600_NS6detail15normal_iteratorINS9_10device_ptrIsEEEESE_SE_sNS9_4plusIvEENS9_8equal_toIvEEsEE10hipError_tPvRmT2_T3_T4_T5_mT6_T7_P12ihipStream_tbENKUlT_T0_E_clISt17integral_constantIbLb1EESY_IbLb0EEEEDaSU_SV_EUlSU_E_NS1_11comp_targetILNS1_3genE9ELNS1_11target_archE1100ELNS1_3gpuE3ELNS1_3repE0EEENS1_30default_config_static_selectorELNS0_4arch9wavefront6targetE1EEEvT1_ ; -- Begin function _ZN7rocprim17ROCPRIM_400000_NS6detail17trampoline_kernelINS0_14default_configENS1_27scan_by_key_config_selectorIssEEZZNS1_16scan_by_key_implILNS1_25lookback_scan_determinismE0ELb0ES3_N6thrust23THRUST_200600_302600_NS6detail15normal_iteratorINS9_10device_ptrIsEEEESE_SE_sNS9_4plusIvEENS9_8equal_toIvEEsEE10hipError_tPvRmT2_T3_T4_T5_mT6_T7_P12ihipStream_tbENKUlT_T0_E_clISt17integral_constantIbLb1EESY_IbLb0EEEEDaSU_SV_EUlSU_E_NS1_11comp_targetILNS1_3genE9ELNS1_11target_archE1100ELNS1_3gpuE3ELNS1_3repE0EEENS1_30default_config_static_selectorELNS0_4arch9wavefront6targetE1EEEvT1_
	.globl	_ZN7rocprim17ROCPRIM_400000_NS6detail17trampoline_kernelINS0_14default_configENS1_27scan_by_key_config_selectorIssEEZZNS1_16scan_by_key_implILNS1_25lookback_scan_determinismE0ELb0ES3_N6thrust23THRUST_200600_302600_NS6detail15normal_iteratorINS9_10device_ptrIsEEEESE_SE_sNS9_4plusIvEENS9_8equal_toIvEEsEE10hipError_tPvRmT2_T3_T4_T5_mT6_T7_P12ihipStream_tbENKUlT_T0_E_clISt17integral_constantIbLb1EESY_IbLb0EEEEDaSU_SV_EUlSU_E_NS1_11comp_targetILNS1_3genE9ELNS1_11target_archE1100ELNS1_3gpuE3ELNS1_3repE0EEENS1_30default_config_static_selectorELNS0_4arch9wavefront6targetE1EEEvT1_
	.p2align	8
	.type	_ZN7rocprim17ROCPRIM_400000_NS6detail17trampoline_kernelINS0_14default_configENS1_27scan_by_key_config_selectorIssEEZZNS1_16scan_by_key_implILNS1_25lookback_scan_determinismE0ELb0ES3_N6thrust23THRUST_200600_302600_NS6detail15normal_iteratorINS9_10device_ptrIsEEEESE_SE_sNS9_4plusIvEENS9_8equal_toIvEEsEE10hipError_tPvRmT2_T3_T4_T5_mT6_T7_P12ihipStream_tbENKUlT_T0_E_clISt17integral_constantIbLb1EESY_IbLb0EEEEDaSU_SV_EUlSU_E_NS1_11comp_targetILNS1_3genE9ELNS1_11target_archE1100ELNS1_3gpuE3ELNS1_3repE0EEENS1_30default_config_static_selectorELNS0_4arch9wavefront6targetE1EEEvT1_,@function
_ZN7rocprim17ROCPRIM_400000_NS6detail17trampoline_kernelINS0_14default_configENS1_27scan_by_key_config_selectorIssEEZZNS1_16scan_by_key_implILNS1_25lookback_scan_determinismE0ELb0ES3_N6thrust23THRUST_200600_302600_NS6detail15normal_iteratorINS9_10device_ptrIsEEEESE_SE_sNS9_4plusIvEENS9_8equal_toIvEEsEE10hipError_tPvRmT2_T3_T4_T5_mT6_T7_P12ihipStream_tbENKUlT_T0_E_clISt17integral_constantIbLb1EESY_IbLb0EEEEDaSU_SV_EUlSU_E_NS1_11comp_targetILNS1_3genE9ELNS1_11target_archE1100ELNS1_3gpuE3ELNS1_3repE0EEENS1_30default_config_static_selectorELNS0_4arch9wavefront6targetE1EEEvT1_: ; @_ZN7rocprim17ROCPRIM_400000_NS6detail17trampoline_kernelINS0_14default_configENS1_27scan_by_key_config_selectorIssEEZZNS1_16scan_by_key_implILNS1_25lookback_scan_determinismE0ELb0ES3_N6thrust23THRUST_200600_302600_NS6detail15normal_iteratorINS9_10device_ptrIsEEEESE_SE_sNS9_4plusIvEENS9_8equal_toIvEEsEE10hipError_tPvRmT2_T3_T4_T5_mT6_T7_P12ihipStream_tbENKUlT_T0_E_clISt17integral_constantIbLb1EESY_IbLb0EEEEDaSU_SV_EUlSU_E_NS1_11comp_targetILNS1_3genE9ELNS1_11target_archE1100ELNS1_3gpuE3ELNS1_3repE0EEENS1_30default_config_static_selectorELNS0_4arch9wavefront6targetE1EEEvT1_
; %bb.0:
	.section	.rodata,"a",@progbits
	.p2align	6, 0x0
	.amdhsa_kernel _ZN7rocprim17ROCPRIM_400000_NS6detail17trampoline_kernelINS0_14default_configENS1_27scan_by_key_config_selectorIssEEZZNS1_16scan_by_key_implILNS1_25lookback_scan_determinismE0ELb0ES3_N6thrust23THRUST_200600_302600_NS6detail15normal_iteratorINS9_10device_ptrIsEEEESE_SE_sNS9_4plusIvEENS9_8equal_toIvEEsEE10hipError_tPvRmT2_T3_T4_T5_mT6_T7_P12ihipStream_tbENKUlT_T0_E_clISt17integral_constantIbLb1EESY_IbLb0EEEEDaSU_SV_EUlSU_E_NS1_11comp_targetILNS1_3genE9ELNS1_11target_archE1100ELNS1_3gpuE3ELNS1_3repE0EEENS1_30default_config_static_selectorELNS0_4arch9wavefront6targetE1EEEvT1_
		.amdhsa_group_segment_fixed_size 0
		.amdhsa_private_segment_fixed_size 0
		.amdhsa_kernarg_size 112
		.amdhsa_user_sgpr_count 2
		.amdhsa_user_sgpr_dispatch_ptr 0
		.amdhsa_user_sgpr_queue_ptr 0
		.amdhsa_user_sgpr_kernarg_segment_ptr 1
		.amdhsa_user_sgpr_dispatch_id 0
		.amdhsa_user_sgpr_kernarg_preload_length 0
		.amdhsa_user_sgpr_kernarg_preload_offset 0
		.amdhsa_user_sgpr_private_segment_size 0
		.amdhsa_uses_dynamic_stack 0
		.amdhsa_enable_private_segment 0
		.amdhsa_system_sgpr_workgroup_id_x 1
		.amdhsa_system_sgpr_workgroup_id_y 0
		.amdhsa_system_sgpr_workgroup_id_z 0
		.amdhsa_system_sgpr_workgroup_info 0
		.amdhsa_system_vgpr_workitem_id 0
		.amdhsa_next_free_vgpr 1
		.amdhsa_next_free_sgpr 0
		.amdhsa_accum_offset 4
		.amdhsa_reserve_vcc 0
		.amdhsa_float_round_mode_32 0
		.amdhsa_float_round_mode_16_64 0
		.amdhsa_float_denorm_mode_32 3
		.amdhsa_float_denorm_mode_16_64 3
		.amdhsa_dx10_clamp 1
		.amdhsa_ieee_mode 1
		.amdhsa_fp16_overflow 0
		.amdhsa_tg_split 0
		.amdhsa_exception_fp_ieee_invalid_op 0
		.amdhsa_exception_fp_denorm_src 0
		.amdhsa_exception_fp_ieee_div_zero 0
		.amdhsa_exception_fp_ieee_overflow 0
		.amdhsa_exception_fp_ieee_underflow 0
		.amdhsa_exception_fp_ieee_inexact 0
		.amdhsa_exception_int_div_zero 0
	.end_amdhsa_kernel
	.section	.text._ZN7rocprim17ROCPRIM_400000_NS6detail17trampoline_kernelINS0_14default_configENS1_27scan_by_key_config_selectorIssEEZZNS1_16scan_by_key_implILNS1_25lookback_scan_determinismE0ELb0ES3_N6thrust23THRUST_200600_302600_NS6detail15normal_iteratorINS9_10device_ptrIsEEEESE_SE_sNS9_4plusIvEENS9_8equal_toIvEEsEE10hipError_tPvRmT2_T3_T4_T5_mT6_T7_P12ihipStream_tbENKUlT_T0_E_clISt17integral_constantIbLb1EESY_IbLb0EEEEDaSU_SV_EUlSU_E_NS1_11comp_targetILNS1_3genE9ELNS1_11target_archE1100ELNS1_3gpuE3ELNS1_3repE0EEENS1_30default_config_static_selectorELNS0_4arch9wavefront6targetE1EEEvT1_,"axG",@progbits,_ZN7rocprim17ROCPRIM_400000_NS6detail17trampoline_kernelINS0_14default_configENS1_27scan_by_key_config_selectorIssEEZZNS1_16scan_by_key_implILNS1_25lookback_scan_determinismE0ELb0ES3_N6thrust23THRUST_200600_302600_NS6detail15normal_iteratorINS9_10device_ptrIsEEEESE_SE_sNS9_4plusIvEENS9_8equal_toIvEEsEE10hipError_tPvRmT2_T3_T4_T5_mT6_T7_P12ihipStream_tbENKUlT_T0_E_clISt17integral_constantIbLb1EESY_IbLb0EEEEDaSU_SV_EUlSU_E_NS1_11comp_targetILNS1_3genE9ELNS1_11target_archE1100ELNS1_3gpuE3ELNS1_3repE0EEENS1_30default_config_static_selectorELNS0_4arch9wavefront6targetE1EEEvT1_,comdat
.Lfunc_end268:
	.size	_ZN7rocprim17ROCPRIM_400000_NS6detail17trampoline_kernelINS0_14default_configENS1_27scan_by_key_config_selectorIssEEZZNS1_16scan_by_key_implILNS1_25lookback_scan_determinismE0ELb0ES3_N6thrust23THRUST_200600_302600_NS6detail15normal_iteratorINS9_10device_ptrIsEEEESE_SE_sNS9_4plusIvEENS9_8equal_toIvEEsEE10hipError_tPvRmT2_T3_T4_T5_mT6_T7_P12ihipStream_tbENKUlT_T0_E_clISt17integral_constantIbLb1EESY_IbLb0EEEEDaSU_SV_EUlSU_E_NS1_11comp_targetILNS1_3genE9ELNS1_11target_archE1100ELNS1_3gpuE3ELNS1_3repE0EEENS1_30default_config_static_selectorELNS0_4arch9wavefront6targetE1EEEvT1_, .Lfunc_end268-_ZN7rocprim17ROCPRIM_400000_NS6detail17trampoline_kernelINS0_14default_configENS1_27scan_by_key_config_selectorIssEEZZNS1_16scan_by_key_implILNS1_25lookback_scan_determinismE0ELb0ES3_N6thrust23THRUST_200600_302600_NS6detail15normal_iteratorINS9_10device_ptrIsEEEESE_SE_sNS9_4plusIvEENS9_8equal_toIvEEsEE10hipError_tPvRmT2_T3_T4_T5_mT6_T7_P12ihipStream_tbENKUlT_T0_E_clISt17integral_constantIbLb1EESY_IbLb0EEEEDaSU_SV_EUlSU_E_NS1_11comp_targetILNS1_3genE9ELNS1_11target_archE1100ELNS1_3gpuE3ELNS1_3repE0EEENS1_30default_config_static_selectorELNS0_4arch9wavefront6targetE1EEEvT1_
                                        ; -- End function
	.section	.AMDGPU.csdata,"",@progbits
; Kernel info:
; codeLenInByte = 0
; NumSgprs: 6
; NumVgprs: 0
; NumAgprs: 0
; TotalNumVgprs: 0
; ScratchSize: 0
; MemoryBound: 0
; FloatMode: 240
; IeeeMode: 1
; LDSByteSize: 0 bytes/workgroup (compile time only)
; SGPRBlocks: 0
; VGPRBlocks: 0
; NumSGPRsForWavesPerEU: 6
; NumVGPRsForWavesPerEU: 1
; AccumOffset: 4
; Occupancy: 8
; WaveLimiterHint : 0
; COMPUTE_PGM_RSRC2:SCRATCH_EN: 0
; COMPUTE_PGM_RSRC2:USER_SGPR: 2
; COMPUTE_PGM_RSRC2:TRAP_HANDLER: 0
; COMPUTE_PGM_RSRC2:TGID_X_EN: 1
; COMPUTE_PGM_RSRC2:TGID_Y_EN: 0
; COMPUTE_PGM_RSRC2:TGID_Z_EN: 0
; COMPUTE_PGM_RSRC2:TIDIG_COMP_CNT: 0
; COMPUTE_PGM_RSRC3_GFX90A:ACCUM_OFFSET: 0
; COMPUTE_PGM_RSRC3_GFX90A:TG_SPLIT: 0
	.section	.text._ZN7rocprim17ROCPRIM_400000_NS6detail17trampoline_kernelINS0_14default_configENS1_27scan_by_key_config_selectorIssEEZZNS1_16scan_by_key_implILNS1_25lookback_scan_determinismE0ELb0ES3_N6thrust23THRUST_200600_302600_NS6detail15normal_iteratorINS9_10device_ptrIsEEEESE_SE_sNS9_4plusIvEENS9_8equal_toIvEEsEE10hipError_tPvRmT2_T3_T4_T5_mT6_T7_P12ihipStream_tbENKUlT_T0_E_clISt17integral_constantIbLb1EESY_IbLb0EEEEDaSU_SV_EUlSU_E_NS1_11comp_targetILNS1_3genE8ELNS1_11target_archE1030ELNS1_3gpuE2ELNS1_3repE0EEENS1_30default_config_static_selectorELNS0_4arch9wavefront6targetE1EEEvT1_,"axG",@progbits,_ZN7rocprim17ROCPRIM_400000_NS6detail17trampoline_kernelINS0_14default_configENS1_27scan_by_key_config_selectorIssEEZZNS1_16scan_by_key_implILNS1_25lookback_scan_determinismE0ELb0ES3_N6thrust23THRUST_200600_302600_NS6detail15normal_iteratorINS9_10device_ptrIsEEEESE_SE_sNS9_4plusIvEENS9_8equal_toIvEEsEE10hipError_tPvRmT2_T3_T4_T5_mT6_T7_P12ihipStream_tbENKUlT_T0_E_clISt17integral_constantIbLb1EESY_IbLb0EEEEDaSU_SV_EUlSU_E_NS1_11comp_targetILNS1_3genE8ELNS1_11target_archE1030ELNS1_3gpuE2ELNS1_3repE0EEENS1_30default_config_static_selectorELNS0_4arch9wavefront6targetE1EEEvT1_,comdat
	.protected	_ZN7rocprim17ROCPRIM_400000_NS6detail17trampoline_kernelINS0_14default_configENS1_27scan_by_key_config_selectorIssEEZZNS1_16scan_by_key_implILNS1_25lookback_scan_determinismE0ELb0ES3_N6thrust23THRUST_200600_302600_NS6detail15normal_iteratorINS9_10device_ptrIsEEEESE_SE_sNS9_4plusIvEENS9_8equal_toIvEEsEE10hipError_tPvRmT2_T3_T4_T5_mT6_T7_P12ihipStream_tbENKUlT_T0_E_clISt17integral_constantIbLb1EESY_IbLb0EEEEDaSU_SV_EUlSU_E_NS1_11comp_targetILNS1_3genE8ELNS1_11target_archE1030ELNS1_3gpuE2ELNS1_3repE0EEENS1_30default_config_static_selectorELNS0_4arch9wavefront6targetE1EEEvT1_ ; -- Begin function _ZN7rocprim17ROCPRIM_400000_NS6detail17trampoline_kernelINS0_14default_configENS1_27scan_by_key_config_selectorIssEEZZNS1_16scan_by_key_implILNS1_25lookback_scan_determinismE0ELb0ES3_N6thrust23THRUST_200600_302600_NS6detail15normal_iteratorINS9_10device_ptrIsEEEESE_SE_sNS9_4plusIvEENS9_8equal_toIvEEsEE10hipError_tPvRmT2_T3_T4_T5_mT6_T7_P12ihipStream_tbENKUlT_T0_E_clISt17integral_constantIbLb1EESY_IbLb0EEEEDaSU_SV_EUlSU_E_NS1_11comp_targetILNS1_3genE8ELNS1_11target_archE1030ELNS1_3gpuE2ELNS1_3repE0EEENS1_30default_config_static_selectorELNS0_4arch9wavefront6targetE1EEEvT1_
	.globl	_ZN7rocprim17ROCPRIM_400000_NS6detail17trampoline_kernelINS0_14default_configENS1_27scan_by_key_config_selectorIssEEZZNS1_16scan_by_key_implILNS1_25lookback_scan_determinismE0ELb0ES3_N6thrust23THRUST_200600_302600_NS6detail15normal_iteratorINS9_10device_ptrIsEEEESE_SE_sNS9_4plusIvEENS9_8equal_toIvEEsEE10hipError_tPvRmT2_T3_T4_T5_mT6_T7_P12ihipStream_tbENKUlT_T0_E_clISt17integral_constantIbLb1EESY_IbLb0EEEEDaSU_SV_EUlSU_E_NS1_11comp_targetILNS1_3genE8ELNS1_11target_archE1030ELNS1_3gpuE2ELNS1_3repE0EEENS1_30default_config_static_selectorELNS0_4arch9wavefront6targetE1EEEvT1_
	.p2align	8
	.type	_ZN7rocprim17ROCPRIM_400000_NS6detail17trampoline_kernelINS0_14default_configENS1_27scan_by_key_config_selectorIssEEZZNS1_16scan_by_key_implILNS1_25lookback_scan_determinismE0ELb0ES3_N6thrust23THRUST_200600_302600_NS6detail15normal_iteratorINS9_10device_ptrIsEEEESE_SE_sNS9_4plusIvEENS9_8equal_toIvEEsEE10hipError_tPvRmT2_T3_T4_T5_mT6_T7_P12ihipStream_tbENKUlT_T0_E_clISt17integral_constantIbLb1EESY_IbLb0EEEEDaSU_SV_EUlSU_E_NS1_11comp_targetILNS1_3genE8ELNS1_11target_archE1030ELNS1_3gpuE2ELNS1_3repE0EEENS1_30default_config_static_selectorELNS0_4arch9wavefront6targetE1EEEvT1_,@function
_ZN7rocprim17ROCPRIM_400000_NS6detail17trampoline_kernelINS0_14default_configENS1_27scan_by_key_config_selectorIssEEZZNS1_16scan_by_key_implILNS1_25lookback_scan_determinismE0ELb0ES3_N6thrust23THRUST_200600_302600_NS6detail15normal_iteratorINS9_10device_ptrIsEEEESE_SE_sNS9_4plusIvEENS9_8equal_toIvEEsEE10hipError_tPvRmT2_T3_T4_T5_mT6_T7_P12ihipStream_tbENKUlT_T0_E_clISt17integral_constantIbLb1EESY_IbLb0EEEEDaSU_SV_EUlSU_E_NS1_11comp_targetILNS1_3genE8ELNS1_11target_archE1030ELNS1_3gpuE2ELNS1_3repE0EEENS1_30default_config_static_selectorELNS0_4arch9wavefront6targetE1EEEvT1_: ; @_ZN7rocprim17ROCPRIM_400000_NS6detail17trampoline_kernelINS0_14default_configENS1_27scan_by_key_config_selectorIssEEZZNS1_16scan_by_key_implILNS1_25lookback_scan_determinismE0ELb0ES3_N6thrust23THRUST_200600_302600_NS6detail15normal_iteratorINS9_10device_ptrIsEEEESE_SE_sNS9_4plusIvEENS9_8equal_toIvEEsEE10hipError_tPvRmT2_T3_T4_T5_mT6_T7_P12ihipStream_tbENKUlT_T0_E_clISt17integral_constantIbLb1EESY_IbLb0EEEEDaSU_SV_EUlSU_E_NS1_11comp_targetILNS1_3genE8ELNS1_11target_archE1030ELNS1_3gpuE2ELNS1_3repE0EEENS1_30default_config_static_selectorELNS0_4arch9wavefront6targetE1EEEvT1_
; %bb.0:
	.section	.rodata,"a",@progbits
	.p2align	6, 0x0
	.amdhsa_kernel _ZN7rocprim17ROCPRIM_400000_NS6detail17trampoline_kernelINS0_14default_configENS1_27scan_by_key_config_selectorIssEEZZNS1_16scan_by_key_implILNS1_25lookback_scan_determinismE0ELb0ES3_N6thrust23THRUST_200600_302600_NS6detail15normal_iteratorINS9_10device_ptrIsEEEESE_SE_sNS9_4plusIvEENS9_8equal_toIvEEsEE10hipError_tPvRmT2_T3_T4_T5_mT6_T7_P12ihipStream_tbENKUlT_T0_E_clISt17integral_constantIbLb1EESY_IbLb0EEEEDaSU_SV_EUlSU_E_NS1_11comp_targetILNS1_3genE8ELNS1_11target_archE1030ELNS1_3gpuE2ELNS1_3repE0EEENS1_30default_config_static_selectorELNS0_4arch9wavefront6targetE1EEEvT1_
		.amdhsa_group_segment_fixed_size 0
		.amdhsa_private_segment_fixed_size 0
		.amdhsa_kernarg_size 112
		.amdhsa_user_sgpr_count 2
		.amdhsa_user_sgpr_dispatch_ptr 0
		.amdhsa_user_sgpr_queue_ptr 0
		.amdhsa_user_sgpr_kernarg_segment_ptr 1
		.amdhsa_user_sgpr_dispatch_id 0
		.amdhsa_user_sgpr_kernarg_preload_length 0
		.amdhsa_user_sgpr_kernarg_preload_offset 0
		.amdhsa_user_sgpr_private_segment_size 0
		.amdhsa_uses_dynamic_stack 0
		.amdhsa_enable_private_segment 0
		.amdhsa_system_sgpr_workgroup_id_x 1
		.amdhsa_system_sgpr_workgroup_id_y 0
		.amdhsa_system_sgpr_workgroup_id_z 0
		.amdhsa_system_sgpr_workgroup_info 0
		.amdhsa_system_vgpr_workitem_id 0
		.amdhsa_next_free_vgpr 1
		.amdhsa_next_free_sgpr 0
		.amdhsa_accum_offset 4
		.amdhsa_reserve_vcc 0
		.amdhsa_float_round_mode_32 0
		.amdhsa_float_round_mode_16_64 0
		.amdhsa_float_denorm_mode_32 3
		.amdhsa_float_denorm_mode_16_64 3
		.amdhsa_dx10_clamp 1
		.amdhsa_ieee_mode 1
		.amdhsa_fp16_overflow 0
		.amdhsa_tg_split 0
		.amdhsa_exception_fp_ieee_invalid_op 0
		.amdhsa_exception_fp_denorm_src 0
		.amdhsa_exception_fp_ieee_div_zero 0
		.amdhsa_exception_fp_ieee_overflow 0
		.amdhsa_exception_fp_ieee_underflow 0
		.amdhsa_exception_fp_ieee_inexact 0
		.amdhsa_exception_int_div_zero 0
	.end_amdhsa_kernel
	.section	.text._ZN7rocprim17ROCPRIM_400000_NS6detail17trampoline_kernelINS0_14default_configENS1_27scan_by_key_config_selectorIssEEZZNS1_16scan_by_key_implILNS1_25lookback_scan_determinismE0ELb0ES3_N6thrust23THRUST_200600_302600_NS6detail15normal_iteratorINS9_10device_ptrIsEEEESE_SE_sNS9_4plusIvEENS9_8equal_toIvEEsEE10hipError_tPvRmT2_T3_T4_T5_mT6_T7_P12ihipStream_tbENKUlT_T0_E_clISt17integral_constantIbLb1EESY_IbLb0EEEEDaSU_SV_EUlSU_E_NS1_11comp_targetILNS1_3genE8ELNS1_11target_archE1030ELNS1_3gpuE2ELNS1_3repE0EEENS1_30default_config_static_selectorELNS0_4arch9wavefront6targetE1EEEvT1_,"axG",@progbits,_ZN7rocprim17ROCPRIM_400000_NS6detail17trampoline_kernelINS0_14default_configENS1_27scan_by_key_config_selectorIssEEZZNS1_16scan_by_key_implILNS1_25lookback_scan_determinismE0ELb0ES3_N6thrust23THRUST_200600_302600_NS6detail15normal_iteratorINS9_10device_ptrIsEEEESE_SE_sNS9_4plusIvEENS9_8equal_toIvEEsEE10hipError_tPvRmT2_T3_T4_T5_mT6_T7_P12ihipStream_tbENKUlT_T0_E_clISt17integral_constantIbLb1EESY_IbLb0EEEEDaSU_SV_EUlSU_E_NS1_11comp_targetILNS1_3genE8ELNS1_11target_archE1030ELNS1_3gpuE2ELNS1_3repE0EEENS1_30default_config_static_selectorELNS0_4arch9wavefront6targetE1EEEvT1_,comdat
.Lfunc_end269:
	.size	_ZN7rocprim17ROCPRIM_400000_NS6detail17trampoline_kernelINS0_14default_configENS1_27scan_by_key_config_selectorIssEEZZNS1_16scan_by_key_implILNS1_25lookback_scan_determinismE0ELb0ES3_N6thrust23THRUST_200600_302600_NS6detail15normal_iteratorINS9_10device_ptrIsEEEESE_SE_sNS9_4plusIvEENS9_8equal_toIvEEsEE10hipError_tPvRmT2_T3_T4_T5_mT6_T7_P12ihipStream_tbENKUlT_T0_E_clISt17integral_constantIbLb1EESY_IbLb0EEEEDaSU_SV_EUlSU_E_NS1_11comp_targetILNS1_3genE8ELNS1_11target_archE1030ELNS1_3gpuE2ELNS1_3repE0EEENS1_30default_config_static_selectorELNS0_4arch9wavefront6targetE1EEEvT1_, .Lfunc_end269-_ZN7rocprim17ROCPRIM_400000_NS6detail17trampoline_kernelINS0_14default_configENS1_27scan_by_key_config_selectorIssEEZZNS1_16scan_by_key_implILNS1_25lookback_scan_determinismE0ELb0ES3_N6thrust23THRUST_200600_302600_NS6detail15normal_iteratorINS9_10device_ptrIsEEEESE_SE_sNS9_4plusIvEENS9_8equal_toIvEEsEE10hipError_tPvRmT2_T3_T4_T5_mT6_T7_P12ihipStream_tbENKUlT_T0_E_clISt17integral_constantIbLb1EESY_IbLb0EEEEDaSU_SV_EUlSU_E_NS1_11comp_targetILNS1_3genE8ELNS1_11target_archE1030ELNS1_3gpuE2ELNS1_3repE0EEENS1_30default_config_static_selectorELNS0_4arch9wavefront6targetE1EEEvT1_
                                        ; -- End function
	.section	.AMDGPU.csdata,"",@progbits
; Kernel info:
; codeLenInByte = 0
; NumSgprs: 6
; NumVgprs: 0
; NumAgprs: 0
; TotalNumVgprs: 0
; ScratchSize: 0
; MemoryBound: 0
; FloatMode: 240
; IeeeMode: 1
; LDSByteSize: 0 bytes/workgroup (compile time only)
; SGPRBlocks: 0
; VGPRBlocks: 0
; NumSGPRsForWavesPerEU: 6
; NumVGPRsForWavesPerEU: 1
; AccumOffset: 4
; Occupancy: 8
; WaveLimiterHint : 0
; COMPUTE_PGM_RSRC2:SCRATCH_EN: 0
; COMPUTE_PGM_RSRC2:USER_SGPR: 2
; COMPUTE_PGM_RSRC2:TRAP_HANDLER: 0
; COMPUTE_PGM_RSRC2:TGID_X_EN: 1
; COMPUTE_PGM_RSRC2:TGID_Y_EN: 0
; COMPUTE_PGM_RSRC2:TGID_Z_EN: 0
; COMPUTE_PGM_RSRC2:TIDIG_COMP_CNT: 0
; COMPUTE_PGM_RSRC3_GFX90A:ACCUM_OFFSET: 0
; COMPUTE_PGM_RSRC3_GFX90A:TG_SPLIT: 0
	.section	.text._ZN7rocprim17ROCPRIM_400000_NS6detail30init_device_scan_by_key_kernelINS1_19lookback_scan_stateINS0_5tupleIJsbEEELb0ELb1EEEN6thrust23THRUST_200600_302600_NS6detail15normal_iteratorINS8_10device_ptrIsEEEEjNS1_16block_id_wrapperIjLb1EEEEEvT_jjPNSG_10value_typeET0_PNSt15iterator_traitsISJ_E10value_typeEmT1_T2_,"axG",@progbits,_ZN7rocprim17ROCPRIM_400000_NS6detail30init_device_scan_by_key_kernelINS1_19lookback_scan_stateINS0_5tupleIJsbEEELb0ELb1EEEN6thrust23THRUST_200600_302600_NS6detail15normal_iteratorINS8_10device_ptrIsEEEEjNS1_16block_id_wrapperIjLb1EEEEEvT_jjPNSG_10value_typeET0_PNSt15iterator_traitsISJ_E10value_typeEmT1_T2_,comdat
	.protected	_ZN7rocprim17ROCPRIM_400000_NS6detail30init_device_scan_by_key_kernelINS1_19lookback_scan_stateINS0_5tupleIJsbEEELb0ELb1EEEN6thrust23THRUST_200600_302600_NS6detail15normal_iteratorINS8_10device_ptrIsEEEEjNS1_16block_id_wrapperIjLb1EEEEEvT_jjPNSG_10value_typeET0_PNSt15iterator_traitsISJ_E10value_typeEmT1_T2_ ; -- Begin function _ZN7rocprim17ROCPRIM_400000_NS6detail30init_device_scan_by_key_kernelINS1_19lookback_scan_stateINS0_5tupleIJsbEEELb0ELb1EEEN6thrust23THRUST_200600_302600_NS6detail15normal_iteratorINS8_10device_ptrIsEEEEjNS1_16block_id_wrapperIjLb1EEEEEvT_jjPNSG_10value_typeET0_PNSt15iterator_traitsISJ_E10value_typeEmT1_T2_
	.globl	_ZN7rocprim17ROCPRIM_400000_NS6detail30init_device_scan_by_key_kernelINS1_19lookback_scan_stateINS0_5tupleIJsbEEELb0ELb1EEEN6thrust23THRUST_200600_302600_NS6detail15normal_iteratorINS8_10device_ptrIsEEEEjNS1_16block_id_wrapperIjLb1EEEEEvT_jjPNSG_10value_typeET0_PNSt15iterator_traitsISJ_E10value_typeEmT1_T2_
	.p2align	8
	.type	_ZN7rocprim17ROCPRIM_400000_NS6detail30init_device_scan_by_key_kernelINS1_19lookback_scan_stateINS0_5tupleIJsbEEELb0ELb1EEEN6thrust23THRUST_200600_302600_NS6detail15normal_iteratorINS8_10device_ptrIsEEEEjNS1_16block_id_wrapperIjLb1EEEEEvT_jjPNSG_10value_typeET0_PNSt15iterator_traitsISJ_E10value_typeEmT1_T2_,@function
_ZN7rocprim17ROCPRIM_400000_NS6detail30init_device_scan_by_key_kernelINS1_19lookback_scan_stateINS0_5tupleIJsbEEELb0ELb1EEEN6thrust23THRUST_200600_302600_NS6detail15normal_iteratorINS8_10device_ptrIsEEEEjNS1_16block_id_wrapperIjLb1EEEEEvT_jjPNSG_10value_typeET0_PNSt15iterator_traitsISJ_E10value_typeEmT1_T2_: ; @_ZN7rocprim17ROCPRIM_400000_NS6detail30init_device_scan_by_key_kernelINS1_19lookback_scan_stateINS0_5tupleIJsbEEELb0ELb1EEEN6thrust23THRUST_200600_302600_NS6detail15normal_iteratorINS8_10device_ptrIsEEEEjNS1_16block_id_wrapperIjLb1EEEEEvT_jjPNSG_10value_typeET0_PNSt15iterator_traitsISJ_E10value_typeEmT1_T2_
; %bb.0:
	s_load_dword s3, s[0:1], 0x4c
	s_load_dwordx8 s[4:11], s[0:1], 0x0
	s_load_dword s14, s[0:1], 0x40
	s_waitcnt lgkmcnt(0)
	s_and_b32 s15, s3, 0xffff
	s_mul_i32 s2, s2, s15
	s_cmp_eq_u64 s[8:9], 0
	v_add_u32_e32 v0, s2, v0
	s_cbranch_scc1 .LBB270_6
; %bb.1:
	s_cmp_lt_u32 s7, s6
	s_cselect_b32 s2, s7, 0
	s_mov_b32 s13, 0
	v_cmp_eq_u32_e32 vcc, s2, v0
	s_and_saveexec_b64 s[2:3], vcc
	s_cbranch_execz .LBB270_5
; %bb.2:
	s_add_i32 s12, s7, 64
	s_lshl_b64 s[12:13], s[12:13], 3
	s_add_u32 s12, s4, s12
	s_addc_u32 s13, s5, s13
	v_mov_b32_e32 v4, 0
	global_load_dwordx2 v[2:3], v4, s[12:13] sc1
	s_waitcnt vmcnt(0)
	v_and_b32_e32 v5, 0xff, v3
	v_cmp_ne_u64_e32 vcc, 0, v[4:5]
	s_cbranch_vccnz .LBB270_4
.LBB270_3:                              ; =>This Inner Loop Header: Depth=1
	global_load_dwordx2 v[2:3], v4, s[12:13] sc1
	s_waitcnt vmcnt(0)
	v_and_b32_e32 v5, 0xff, v3
	v_cmp_eq_u64_e32 vcc, 0, v[4:5]
	s_cbranch_vccnz .LBB270_3
.LBB270_4:
	v_mov_b32_e32 v1, 0
	global_store_short v1, v2, s[8:9]
	global_store_byte_d16_hi v1, v2, s[8:9] offset:2
.LBB270_5:
	s_or_b64 exec, exec, s[2:3]
.LBB270_6:
	v_cmp_eq_u32_e32 vcc, 0, v0
	s_and_saveexec_b64 s[2:3], vcc
	s_cbranch_execz .LBB270_8
; %bb.7:
	s_load_dwordx2 s[8:9], s[0:1], 0x38
	v_mov_b32_e32 v1, 0
	s_waitcnt lgkmcnt(0)
	global_store_dword v1, v1, s[8:9]
.LBB270_8:
	s_or_b64 exec, exec, s[2:3]
	v_cmp_gt_u32_e32 vcc, s6, v0
	s_and_saveexec_b64 s[2:3], vcc
	s_cbranch_execz .LBB270_10
; %bb.9:
	v_add_u32_e32 v2, 64, v0
	v_mov_b32_e32 v3, 0
	v_lshl_add_u64 v[4:5], v[2:3], 3, s[4:5]
	v_mov_b32_e32 v2, v3
	global_store_dwordx2 v[4:5], v[2:3], off
.LBB270_10:
	s_or_b64 exec, exec, s[2:3]
	v_cmp_gt_u32_e32 vcc, 64, v0
	v_mov_b32_e32 v1, 0
	s_and_saveexec_b64 s[2:3], vcc
	s_cbranch_execz .LBB270_12
; %bb.11:
	v_lshl_add_u64 v[2:3], v[0:1], 3, s[4:5]
	v_mov_b32_e32 v5, 0xff
	v_mov_b32_e32 v4, v1
	global_store_dwordx2 v[2:3], v[4:5], off
.LBB270_12:
	s_or_b64 exec, exec, s[2:3]
	s_load_dwordx2 s[2:3], s[0:1], 0x28
	s_waitcnt lgkmcnt(0)
	v_cmp_gt_u64_e32 vcc, s[2:3], v[0:1]
	s_and_saveexec_b64 s[4:5], vcc
	s_cbranch_execz .LBB270_15
; %bb.13:
	s_load_dword s12, s[0:1], 0x30
	s_load_dwordx2 s[6:7], s[0:1], 0x20
	s_mov_b32 s5, 0
	s_mov_b32 s1, s5
	s_mul_i32 s0, s14, s15
	s_waitcnt lgkmcnt(0)
	s_add_i32 s4, s12, -1
	s_lshl_b64 s[4:5], s[4:5], 1
	s_add_u32 s4, s10, s4
	v_mad_u64_u32 v[2:3], s[8:9], s12, v0, 0
	s_addc_u32 s5, s11, s5
	v_lshl_add_u64 v[2:3], v[2:3], 1, s[4:5]
	s_mul_hi_u32 s5, s12, s0
	s_mul_i32 s4, s12, s0
	s_lshl_b64 s[4:5], s[4:5], 1
	v_lshl_add_u64 v[4:5], v[0:1], 1, s[6:7]
	s_lshl_b64 s[6:7], s[0:1], 1
	s_mov_b64 s[8:9], 0
.LBB270_14:                             ; =>This Inner Loop Header: Depth=1
	global_load_ushort v6, v[2:3], off
	v_lshl_add_u64 v[0:1], v[0:1], 0, s[0:1]
	v_cmp_le_u64_e32 vcc, s[2:3], v[0:1]
	v_lshl_add_u64 v[2:3], v[2:3], 0, s[4:5]
	s_or_b64 s[8:9], vcc, s[8:9]
	s_waitcnt vmcnt(0)
	global_store_short v[4:5], v6, off
	v_lshl_add_u64 v[4:5], v[4:5], 0, s[6:7]
	s_andn2_b64 exec, exec, s[8:9]
	s_cbranch_execnz .LBB270_14
.LBB270_15:
	s_endpgm
	.section	.rodata,"a",@progbits
	.p2align	6, 0x0
	.amdhsa_kernel _ZN7rocprim17ROCPRIM_400000_NS6detail30init_device_scan_by_key_kernelINS1_19lookback_scan_stateINS0_5tupleIJsbEEELb0ELb1EEEN6thrust23THRUST_200600_302600_NS6detail15normal_iteratorINS8_10device_ptrIsEEEEjNS1_16block_id_wrapperIjLb1EEEEEvT_jjPNSG_10value_typeET0_PNSt15iterator_traitsISJ_E10value_typeEmT1_T2_
		.amdhsa_group_segment_fixed_size 0
		.amdhsa_private_segment_fixed_size 0
		.amdhsa_kernarg_size 320
		.amdhsa_user_sgpr_count 2
		.amdhsa_user_sgpr_dispatch_ptr 0
		.amdhsa_user_sgpr_queue_ptr 0
		.amdhsa_user_sgpr_kernarg_segment_ptr 1
		.amdhsa_user_sgpr_dispatch_id 0
		.amdhsa_user_sgpr_kernarg_preload_length 0
		.amdhsa_user_sgpr_kernarg_preload_offset 0
		.amdhsa_user_sgpr_private_segment_size 0
		.amdhsa_uses_dynamic_stack 0
		.amdhsa_enable_private_segment 0
		.amdhsa_system_sgpr_workgroup_id_x 1
		.amdhsa_system_sgpr_workgroup_id_y 0
		.amdhsa_system_sgpr_workgroup_id_z 0
		.amdhsa_system_sgpr_workgroup_info 0
		.amdhsa_system_vgpr_workitem_id 0
		.amdhsa_next_free_vgpr 7
		.amdhsa_next_free_sgpr 16
		.amdhsa_accum_offset 8
		.amdhsa_reserve_vcc 1
		.amdhsa_float_round_mode_32 0
		.amdhsa_float_round_mode_16_64 0
		.amdhsa_float_denorm_mode_32 3
		.amdhsa_float_denorm_mode_16_64 3
		.amdhsa_dx10_clamp 1
		.amdhsa_ieee_mode 1
		.amdhsa_fp16_overflow 0
		.amdhsa_tg_split 0
		.amdhsa_exception_fp_ieee_invalid_op 0
		.amdhsa_exception_fp_denorm_src 0
		.amdhsa_exception_fp_ieee_div_zero 0
		.amdhsa_exception_fp_ieee_overflow 0
		.amdhsa_exception_fp_ieee_underflow 0
		.amdhsa_exception_fp_ieee_inexact 0
		.amdhsa_exception_int_div_zero 0
	.end_amdhsa_kernel
	.section	.text._ZN7rocprim17ROCPRIM_400000_NS6detail30init_device_scan_by_key_kernelINS1_19lookback_scan_stateINS0_5tupleIJsbEEELb0ELb1EEEN6thrust23THRUST_200600_302600_NS6detail15normal_iteratorINS8_10device_ptrIsEEEEjNS1_16block_id_wrapperIjLb1EEEEEvT_jjPNSG_10value_typeET0_PNSt15iterator_traitsISJ_E10value_typeEmT1_T2_,"axG",@progbits,_ZN7rocprim17ROCPRIM_400000_NS6detail30init_device_scan_by_key_kernelINS1_19lookback_scan_stateINS0_5tupleIJsbEEELb0ELb1EEEN6thrust23THRUST_200600_302600_NS6detail15normal_iteratorINS8_10device_ptrIsEEEEjNS1_16block_id_wrapperIjLb1EEEEEvT_jjPNSG_10value_typeET0_PNSt15iterator_traitsISJ_E10value_typeEmT1_T2_,comdat
.Lfunc_end270:
	.size	_ZN7rocprim17ROCPRIM_400000_NS6detail30init_device_scan_by_key_kernelINS1_19lookback_scan_stateINS0_5tupleIJsbEEELb0ELb1EEEN6thrust23THRUST_200600_302600_NS6detail15normal_iteratorINS8_10device_ptrIsEEEEjNS1_16block_id_wrapperIjLb1EEEEEvT_jjPNSG_10value_typeET0_PNSt15iterator_traitsISJ_E10value_typeEmT1_T2_, .Lfunc_end270-_ZN7rocprim17ROCPRIM_400000_NS6detail30init_device_scan_by_key_kernelINS1_19lookback_scan_stateINS0_5tupleIJsbEEELb0ELb1EEEN6thrust23THRUST_200600_302600_NS6detail15normal_iteratorINS8_10device_ptrIsEEEEjNS1_16block_id_wrapperIjLb1EEEEEvT_jjPNSG_10value_typeET0_PNSt15iterator_traitsISJ_E10value_typeEmT1_T2_
                                        ; -- End function
	.section	.AMDGPU.csdata,"",@progbits
; Kernel info:
; codeLenInByte = 488
; NumSgprs: 22
; NumVgprs: 7
; NumAgprs: 0
; TotalNumVgprs: 7
; ScratchSize: 0
; MemoryBound: 0
; FloatMode: 240
; IeeeMode: 1
; LDSByteSize: 0 bytes/workgroup (compile time only)
; SGPRBlocks: 2
; VGPRBlocks: 0
; NumSGPRsForWavesPerEU: 22
; NumVGPRsForWavesPerEU: 7
; AccumOffset: 8
; Occupancy: 8
; WaveLimiterHint : 0
; COMPUTE_PGM_RSRC2:SCRATCH_EN: 0
; COMPUTE_PGM_RSRC2:USER_SGPR: 2
; COMPUTE_PGM_RSRC2:TRAP_HANDLER: 0
; COMPUTE_PGM_RSRC2:TGID_X_EN: 1
; COMPUTE_PGM_RSRC2:TGID_Y_EN: 0
; COMPUTE_PGM_RSRC2:TGID_Z_EN: 0
; COMPUTE_PGM_RSRC2:TIDIG_COMP_CNT: 0
; COMPUTE_PGM_RSRC3_GFX90A:ACCUM_OFFSET: 1
; COMPUTE_PGM_RSRC3_GFX90A:TG_SPLIT: 0
	.section	.text._ZN7rocprim17ROCPRIM_400000_NS6detail30init_device_scan_by_key_kernelINS1_19lookback_scan_stateINS0_5tupleIJsbEEELb0ELb1EEENS1_16block_id_wrapperIjLb1EEEEEvT_jjPNS9_10value_typeET0_,"axG",@progbits,_ZN7rocprim17ROCPRIM_400000_NS6detail30init_device_scan_by_key_kernelINS1_19lookback_scan_stateINS0_5tupleIJsbEEELb0ELb1EEENS1_16block_id_wrapperIjLb1EEEEEvT_jjPNS9_10value_typeET0_,comdat
	.protected	_ZN7rocprim17ROCPRIM_400000_NS6detail30init_device_scan_by_key_kernelINS1_19lookback_scan_stateINS0_5tupleIJsbEEELb0ELb1EEENS1_16block_id_wrapperIjLb1EEEEEvT_jjPNS9_10value_typeET0_ ; -- Begin function _ZN7rocprim17ROCPRIM_400000_NS6detail30init_device_scan_by_key_kernelINS1_19lookback_scan_stateINS0_5tupleIJsbEEELb0ELb1EEENS1_16block_id_wrapperIjLb1EEEEEvT_jjPNS9_10value_typeET0_
	.globl	_ZN7rocprim17ROCPRIM_400000_NS6detail30init_device_scan_by_key_kernelINS1_19lookback_scan_stateINS0_5tupleIJsbEEELb0ELb1EEENS1_16block_id_wrapperIjLb1EEEEEvT_jjPNS9_10value_typeET0_
	.p2align	8
	.type	_ZN7rocprim17ROCPRIM_400000_NS6detail30init_device_scan_by_key_kernelINS1_19lookback_scan_stateINS0_5tupleIJsbEEELb0ELb1EEENS1_16block_id_wrapperIjLb1EEEEEvT_jjPNS9_10value_typeET0_,@function
_ZN7rocprim17ROCPRIM_400000_NS6detail30init_device_scan_by_key_kernelINS1_19lookback_scan_stateINS0_5tupleIJsbEEELb0ELb1EEENS1_16block_id_wrapperIjLb1EEEEEvT_jjPNS9_10value_typeET0_: ; @_ZN7rocprim17ROCPRIM_400000_NS6detail30init_device_scan_by_key_kernelINS1_19lookback_scan_stateINS0_5tupleIJsbEEELb0ELb1EEENS1_16block_id_wrapperIjLb1EEEEEvT_jjPNS9_10value_typeET0_
; %bb.0:
	s_load_dword s3, s[0:1], 0x2c
	s_load_dwordx8 s[4:11], s[0:1], 0x0
	s_waitcnt lgkmcnt(0)
	s_and_b32 s0, s3, 0xffff
	s_mul_i32 s2, s2, s0
	s_cmp_eq_u64 s[8:9], 0
	v_add_u32_e32 v0, s2, v0
	s_cbranch_scc1 .LBB271_6
; %bb.1:
	s_cmp_lt_u32 s7, s6
	s_cselect_b32 s0, s7, 0
	s_mov_b32 s3, 0
	v_cmp_eq_u32_e32 vcc, s0, v0
	s_and_saveexec_b64 s[0:1], vcc
	s_cbranch_execz .LBB271_5
; %bb.2:
	s_add_i32 s2, s7, 64
	s_lshl_b64 s[2:3], s[2:3], 3
	s_add_u32 s2, s4, s2
	s_addc_u32 s3, s5, s3
	v_mov_b32_e32 v4, 0
	global_load_dwordx2 v[2:3], v4, s[2:3] sc1
	s_waitcnt vmcnt(0)
	v_and_b32_e32 v5, 0xff, v3
	v_cmp_ne_u64_e32 vcc, 0, v[4:5]
	s_cbranch_vccnz .LBB271_4
.LBB271_3:                              ; =>This Inner Loop Header: Depth=1
	global_load_dwordx2 v[2:3], v4, s[2:3] sc1
	s_waitcnt vmcnt(0)
	v_and_b32_e32 v5, 0xff, v3
	v_cmp_eq_u64_e32 vcc, 0, v[4:5]
	s_cbranch_vccnz .LBB271_3
.LBB271_4:
	v_mov_b32_e32 v1, 0
	global_store_short v1, v2, s[8:9]
	global_store_byte_d16_hi v1, v2, s[8:9] offset:2
.LBB271_5:
	s_or_b64 exec, exec, s[0:1]
.LBB271_6:
	v_cmp_eq_u32_e32 vcc, 0, v0
	s_and_saveexec_b64 s[0:1], vcc
	s_cbranch_execnz .LBB271_10
; %bb.7:
	s_or_b64 exec, exec, s[0:1]
	v_cmp_gt_u32_e32 vcc, s6, v0
	s_and_saveexec_b64 s[0:1], vcc
	s_cbranch_execnz .LBB271_11
.LBB271_8:
	s_or_b64 exec, exec, s[0:1]
	v_cmp_gt_u32_e32 vcc, 64, v0
	s_and_saveexec_b64 s[0:1], vcc
	s_cbranch_execnz .LBB271_12
.LBB271_9:
	s_endpgm
.LBB271_10:
	v_mov_b32_e32 v1, 0
	global_store_dword v1, v1, s[10:11]
	s_or_b64 exec, exec, s[0:1]
	v_cmp_gt_u32_e32 vcc, s6, v0
	s_and_saveexec_b64 s[0:1], vcc
	s_cbranch_execz .LBB271_8
.LBB271_11:
	v_add_u32_e32 v2, 64, v0
	v_mov_b32_e32 v3, 0
	v_lshl_add_u64 v[4:5], v[2:3], 3, s[4:5]
	v_mov_b32_e32 v2, v3
	global_store_dwordx2 v[4:5], v[2:3], off
	s_or_b64 exec, exec, s[0:1]
	v_cmp_gt_u32_e32 vcc, 64, v0
	s_and_saveexec_b64 s[0:1], vcc
	s_cbranch_execz .LBB271_9
.LBB271_12:
	v_mov_b32_e32 v1, 0
	v_lshl_add_u64 v[2:3], v[0:1], 3, s[4:5]
	v_mov_b32_e32 v5, 0xff
	v_mov_b32_e32 v4, v1
	global_store_dwordx2 v[2:3], v[4:5], off
	s_endpgm
	.section	.rodata,"a",@progbits
	.p2align	6, 0x0
	.amdhsa_kernel _ZN7rocprim17ROCPRIM_400000_NS6detail30init_device_scan_by_key_kernelINS1_19lookback_scan_stateINS0_5tupleIJsbEEELb0ELb1EEENS1_16block_id_wrapperIjLb1EEEEEvT_jjPNS9_10value_typeET0_
		.amdhsa_group_segment_fixed_size 0
		.amdhsa_private_segment_fixed_size 0
		.amdhsa_kernarg_size 288
		.amdhsa_user_sgpr_count 2
		.amdhsa_user_sgpr_dispatch_ptr 0
		.amdhsa_user_sgpr_queue_ptr 0
		.amdhsa_user_sgpr_kernarg_segment_ptr 1
		.amdhsa_user_sgpr_dispatch_id 0
		.amdhsa_user_sgpr_kernarg_preload_length 0
		.amdhsa_user_sgpr_kernarg_preload_offset 0
		.amdhsa_user_sgpr_private_segment_size 0
		.amdhsa_uses_dynamic_stack 0
		.amdhsa_enable_private_segment 0
		.amdhsa_system_sgpr_workgroup_id_x 1
		.amdhsa_system_sgpr_workgroup_id_y 0
		.amdhsa_system_sgpr_workgroup_id_z 0
		.amdhsa_system_sgpr_workgroup_info 0
		.amdhsa_system_vgpr_workitem_id 0
		.amdhsa_next_free_vgpr 6
		.amdhsa_next_free_sgpr 12
		.amdhsa_accum_offset 8
		.amdhsa_reserve_vcc 1
		.amdhsa_float_round_mode_32 0
		.amdhsa_float_round_mode_16_64 0
		.amdhsa_float_denorm_mode_32 3
		.amdhsa_float_denorm_mode_16_64 3
		.amdhsa_dx10_clamp 1
		.amdhsa_ieee_mode 1
		.amdhsa_fp16_overflow 0
		.amdhsa_tg_split 0
		.amdhsa_exception_fp_ieee_invalid_op 0
		.amdhsa_exception_fp_denorm_src 0
		.amdhsa_exception_fp_ieee_div_zero 0
		.amdhsa_exception_fp_ieee_overflow 0
		.amdhsa_exception_fp_ieee_underflow 0
		.amdhsa_exception_fp_ieee_inexact 0
		.amdhsa_exception_int_div_zero 0
	.end_amdhsa_kernel
	.section	.text._ZN7rocprim17ROCPRIM_400000_NS6detail30init_device_scan_by_key_kernelINS1_19lookback_scan_stateINS0_5tupleIJsbEEELb0ELb1EEENS1_16block_id_wrapperIjLb1EEEEEvT_jjPNS9_10value_typeET0_,"axG",@progbits,_ZN7rocprim17ROCPRIM_400000_NS6detail30init_device_scan_by_key_kernelINS1_19lookback_scan_stateINS0_5tupleIJsbEEELb0ELb1EEENS1_16block_id_wrapperIjLb1EEEEEvT_jjPNS9_10value_typeET0_,comdat
.Lfunc_end271:
	.size	_ZN7rocprim17ROCPRIM_400000_NS6detail30init_device_scan_by_key_kernelINS1_19lookback_scan_stateINS0_5tupleIJsbEEELb0ELb1EEENS1_16block_id_wrapperIjLb1EEEEEvT_jjPNS9_10value_typeET0_, .Lfunc_end271-_ZN7rocprim17ROCPRIM_400000_NS6detail30init_device_scan_by_key_kernelINS1_19lookback_scan_stateINS0_5tupleIJsbEEELb0ELb1EEENS1_16block_id_wrapperIjLb1EEEEEvT_jjPNS9_10value_typeET0_
                                        ; -- End function
	.section	.AMDGPU.csdata,"",@progbits
; Kernel info:
; codeLenInByte = 324
; NumSgprs: 18
; NumVgprs: 6
; NumAgprs: 0
; TotalNumVgprs: 6
; ScratchSize: 0
; MemoryBound: 0
; FloatMode: 240
; IeeeMode: 1
; LDSByteSize: 0 bytes/workgroup (compile time only)
; SGPRBlocks: 2
; VGPRBlocks: 0
; NumSGPRsForWavesPerEU: 18
; NumVGPRsForWavesPerEU: 6
; AccumOffset: 8
; Occupancy: 8
; WaveLimiterHint : 0
; COMPUTE_PGM_RSRC2:SCRATCH_EN: 0
; COMPUTE_PGM_RSRC2:USER_SGPR: 2
; COMPUTE_PGM_RSRC2:TRAP_HANDLER: 0
; COMPUTE_PGM_RSRC2:TGID_X_EN: 1
; COMPUTE_PGM_RSRC2:TGID_Y_EN: 0
; COMPUTE_PGM_RSRC2:TGID_Z_EN: 0
; COMPUTE_PGM_RSRC2:TIDIG_COMP_CNT: 0
; COMPUTE_PGM_RSRC3_GFX90A:ACCUM_OFFSET: 1
; COMPUTE_PGM_RSRC3_GFX90A:TG_SPLIT: 0
	.section	.text._ZN7rocprim17ROCPRIM_400000_NS6detail17trampoline_kernelINS0_14default_configENS1_27scan_by_key_config_selectorIssEEZZNS1_16scan_by_key_implILNS1_25lookback_scan_determinismE0ELb0ES3_N6thrust23THRUST_200600_302600_NS6detail15normal_iteratorINS9_10device_ptrIsEEEESE_SE_sNS9_4plusIvEENS9_8equal_toIvEEsEE10hipError_tPvRmT2_T3_T4_T5_mT6_T7_P12ihipStream_tbENKUlT_T0_E_clISt17integral_constantIbLb0EESY_IbLb1EEEEDaSU_SV_EUlSU_E_NS1_11comp_targetILNS1_3genE0ELNS1_11target_archE4294967295ELNS1_3gpuE0ELNS1_3repE0EEENS1_30default_config_static_selectorELNS0_4arch9wavefront6targetE1EEEvT1_,"axG",@progbits,_ZN7rocprim17ROCPRIM_400000_NS6detail17trampoline_kernelINS0_14default_configENS1_27scan_by_key_config_selectorIssEEZZNS1_16scan_by_key_implILNS1_25lookback_scan_determinismE0ELb0ES3_N6thrust23THRUST_200600_302600_NS6detail15normal_iteratorINS9_10device_ptrIsEEEESE_SE_sNS9_4plusIvEENS9_8equal_toIvEEsEE10hipError_tPvRmT2_T3_T4_T5_mT6_T7_P12ihipStream_tbENKUlT_T0_E_clISt17integral_constantIbLb0EESY_IbLb1EEEEDaSU_SV_EUlSU_E_NS1_11comp_targetILNS1_3genE0ELNS1_11target_archE4294967295ELNS1_3gpuE0ELNS1_3repE0EEENS1_30default_config_static_selectorELNS0_4arch9wavefront6targetE1EEEvT1_,comdat
	.protected	_ZN7rocprim17ROCPRIM_400000_NS6detail17trampoline_kernelINS0_14default_configENS1_27scan_by_key_config_selectorIssEEZZNS1_16scan_by_key_implILNS1_25lookback_scan_determinismE0ELb0ES3_N6thrust23THRUST_200600_302600_NS6detail15normal_iteratorINS9_10device_ptrIsEEEESE_SE_sNS9_4plusIvEENS9_8equal_toIvEEsEE10hipError_tPvRmT2_T3_T4_T5_mT6_T7_P12ihipStream_tbENKUlT_T0_E_clISt17integral_constantIbLb0EESY_IbLb1EEEEDaSU_SV_EUlSU_E_NS1_11comp_targetILNS1_3genE0ELNS1_11target_archE4294967295ELNS1_3gpuE0ELNS1_3repE0EEENS1_30default_config_static_selectorELNS0_4arch9wavefront6targetE1EEEvT1_ ; -- Begin function _ZN7rocprim17ROCPRIM_400000_NS6detail17trampoline_kernelINS0_14default_configENS1_27scan_by_key_config_selectorIssEEZZNS1_16scan_by_key_implILNS1_25lookback_scan_determinismE0ELb0ES3_N6thrust23THRUST_200600_302600_NS6detail15normal_iteratorINS9_10device_ptrIsEEEESE_SE_sNS9_4plusIvEENS9_8equal_toIvEEsEE10hipError_tPvRmT2_T3_T4_T5_mT6_T7_P12ihipStream_tbENKUlT_T0_E_clISt17integral_constantIbLb0EESY_IbLb1EEEEDaSU_SV_EUlSU_E_NS1_11comp_targetILNS1_3genE0ELNS1_11target_archE4294967295ELNS1_3gpuE0ELNS1_3repE0EEENS1_30default_config_static_selectorELNS0_4arch9wavefront6targetE1EEEvT1_
	.globl	_ZN7rocprim17ROCPRIM_400000_NS6detail17trampoline_kernelINS0_14default_configENS1_27scan_by_key_config_selectorIssEEZZNS1_16scan_by_key_implILNS1_25lookback_scan_determinismE0ELb0ES3_N6thrust23THRUST_200600_302600_NS6detail15normal_iteratorINS9_10device_ptrIsEEEESE_SE_sNS9_4plusIvEENS9_8equal_toIvEEsEE10hipError_tPvRmT2_T3_T4_T5_mT6_T7_P12ihipStream_tbENKUlT_T0_E_clISt17integral_constantIbLb0EESY_IbLb1EEEEDaSU_SV_EUlSU_E_NS1_11comp_targetILNS1_3genE0ELNS1_11target_archE4294967295ELNS1_3gpuE0ELNS1_3repE0EEENS1_30default_config_static_selectorELNS0_4arch9wavefront6targetE1EEEvT1_
	.p2align	8
	.type	_ZN7rocprim17ROCPRIM_400000_NS6detail17trampoline_kernelINS0_14default_configENS1_27scan_by_key_config_selectorIssEEZZNS1_16scan_by_key_implILNS1_25lookback_scan_determinismE0ELb0ES3_N6thrust23THRUST_200600_302600_NS6detail15normal_iteratorINS9_10device_ptrIsEEEESE_SE_sNS9_4plusIvEENS9_8equal_toIvEEsEE10hipError_tPvRmT2_T3_T4_T5_mT6_T7_P12ihipStream_tbENKUlT_T0_E_clISt17integral_constantIbLb0EESY_IbLb1EEEEDaSU_SV_EUlSU_E_NS1_11comp_targetILNS1_3genE0ELNS1_11target_archE4294967295ELNS1_3gpuE0ELNS1_3repE0EEENS1_30default_config_static_selectorELNS0_4arch9wavefront6targetE1EEEvT1_,@function
_ZN7rocprim17ROCPRIM_400000_NS6detail17trampoline_kernelINS0_14default_configENS1_27scan_by_key_config_selectorIssEEZZNS1_16scan_by_key_implILNS1_25lookback_scan_determinismE0ELb0ES3_N6thrust23THRUST_200600_302600_NS6detail15normal_iteratorINS9_10device_ptrIsEEEESE_SE_sNS9_4plusIvEENS9_8equal_toIvEEsEE10hipError_tPvRmT2_T3_T4_T5_mT6_T7_P12ihipStream_tbENKUlT_T0_E_clISt17integral_constantIbLb0EESY_IbLb1EEEEDaSU_SV_EUlSU_E_NS1_11comp_targetILNS1_3genE0ELNS1_11target_archE4294967295ELNS1_3gpuE0ELNS1_3repE0EEENS1_30default_config_static_selectorELNS0_4arch9wavefront6targetE1EEEvT1_: ; @_ZN7rocprim17ROCPRIM_400000_NS6detail17trampoline_kernelINS0_14default_configENS1_27scan_by_key_config_selectorIssEEZZNS1_16scan_by_key_implILNS1_25lookback_scan_determinismE0ELb0ES3_N6thrust23THRUST_200600_302600_NS6detail15normal_iteratorINS9_10device_ptrIsEEEESE_SE_sNS9_4plusIvEENS9_8equal_toIvEEsEE10hipError_tPvRmT2_T3_T4_T5_mT6_T7_P12ihipStream_tbENKUlT_T0_E_clISt17integral_constantIbLb0EESY_IbLb1EEEEDaSU_SV_EUlSU_E_NS1_11comp_targetILNS1_3genE0ELNS1_11target_archE4294967295ELNS1_3gpuE0ELNS1_3repE0EEENS1_30default_config_static_selectorELNS0_4arch9wavefront6targetE1EEEvT1_
; %bb.0:
	.section	.rodata,"a",@progbits
	.p2align	6, 0x0
	.amdhsa_kernel _ZN7rocprim17ROCPRIM_400000_NS6detail17trampoline_kernelINS0_14default_configENS1_27scan_by_key_config_selectorIssEEZZNS1_16scan_by_key_implILNS1_25lookback_scan_determinismE0ELb0ES3_N6thrust23THRUST_200600_302600_NS6detail15normal_iteratorINS9_10device_ptrIsEEEESE_SE_sNS9_4plusIvEENS9_8equal_toIvEEsEE10hipError_tPvRmT2_T3_T4_T5_mT6_T7_P12ihipStream_tbENKUlT_T0_E_clISt17integral_constantIbLb0EESY_IbLb1EEEEDaSU_SV_EUlSU_E_NS1_11comp_targetILNS1_3genE0ELNS1_11target_archE4294967295ELNS1_3gpuE0ELNS1_3repE0EEENS1_30default_config_static_selectorELNS0_4arch9wavefront6targetE1EEEvT1_
		.amdhsa_group_segment_fixed_size 0
		.amdhsa_private_segment_fixed_size 0
		.amdhsa_kernarg_size 112
		.amdhsa_user_sgpr_count 2
		.amdhsa_user_sgpr_dispatch_ptr 0
		.amdhsa_user_sgpr_queue_ptr 0
		.amdhsa_user_sgpr_kernarg_segment_ptr 1
		.amdhsa_user_sgpr_dispatch_id 0
		.amdhsa_user_sgpr_kernarg_preload_length 0
		.amdhsa_user_sgpr_kernarg_preload_offset 0
		.amdhsa_user_sgpr_private_segment_size 0
		.amdhsa_uses_dynamic_stack 0
		.amdhsa_enable_private_segment 0
		.amdhsa_system_sgpr_workgroup_id_x 1
		.amdhsa_system_sgpr_workgroup_id_y 0
		.amdhsa_system_sgpr_workgroup_id_z 0
		.amdhsa_system_sgpr_workgroup_info 0
		.amdhsa_system_vgpr_workitem_id 0
		.amdhsa_next_free_vgpr 1
		.amdhsa_next_free_sgpr 0
		.amdhsa_accum_offset 4
		.amdhsa_reserve_vcc 0
		.amdhsa_float_round_mode_32 0
		.amdhsa_float_round_mode_16_64 0
		.amdhsa_float_denorm_mode_32 3
		.amdhsa_float_denorm_mode_16_64 3
		.amdhsa_dx10_clamp 1
		.amdhsa_ieee_mode 1
		.amdhsa_fp16_overflow 0
		.amdhsa_tg_split 0
		.amdhsa_exception_fp_ieee_invalid_op 0
		.amdhsa_exception_fp_denorm_src 0
		.amdhsa_exception_fp_ieee_div_zero 0
		.amdhsa_exception_fp_ieee_overflow 0
		.amdhsa_exception_fp_ieee_underflow 0
		.amdhsa_exception_fp_ieee_inexact 0
		.amdhsa_exception_int_div_zero 0
	.end_amdhsa_kernel
	.section	.text._ZN7rocprim17ROCPRIM_400000_NS6detail17trampoline_kernelINS0_14default_configENS1_27scan_by_key_config_selectorIssEEZZNS1_16scan_by_key_implILNS1_25lookback_scan_determinismE0ELb0ES3_N6thrust23THRUST_200600_302600_NS6detail15normal_iteratorINS9_10device_ptrIsEEEESE_SE_sNS9_4plusIvEENS9_8equal_toIvEEsEE10hipError_tPvRmT2_T3_T4_T5_mT6_T7_P12ihipStream_tbENKUlT_T0_E_clISt17integral_constantIbLb0EESY_IbLb1EEEEDaSU_SV_EUlSU_E_NS1_11comp_targetILNS1_3genE0ELNS1_11target_archE4294967295ELNS1_3gpuE0ELNS1_3repE0EEENS1_30default_config_static_selectorELNS0_4arch9wavefront6targetE1EEEvT1_,"axG",@progbits,_ZN7rocprim17ROCPRIM_400000_NS6detail17trampoline_kernelINS0_14default_configENS1_27scan_by_key_config_selectorIssEEZZNS1_16scan_by_key_implILNS1_25lookback_scan_determinismE0ELb0ES3_N6thrust23THRUST_200600_302600_NS6detail15normal_iteratorINS9_10device_ptrIsEEEESE_SE_sNS9_4plusIvEENS9_8equal_toIvEEsEE10hipError_tPvRmT2_T3_T4_T5_mT6_T7_P12ihipStream_tbENKUlT_T0_E_clISt17integral_constantIbLb0EESY_IbLb1EEEEDaSU_SV_EUlSU_E_NS1_11comp_targetILNS1_3genE0ELNS1_11target_archE4294967295ELNS1_3gpuE0ELNS1_3repE0EEENS1_30default_config_static_selectorELNS0_4arch9wavefront6targetE1EEEvT1_,comdat
.Lfunc_end272:
	.size	_ZN7rocprim17ROCPRIM_400000_NS6detail17trampoline_kernelINS0_14default_configENS1_27scan_by_key_config_selectorIssEEZZNS1_16scan_by_key_implILNS1_25lookback_scan_determinismE0ELb0ES3_N6thrust23THRUST_200600_302600_NS6detail15normal_iteratorINS9_10device_ptrIsEEEESE_SE_sNS9_4plusIvEENS9_8equal_toIvEEsEE10hipError_tPvRmT2_T3_T4_T5_mT6_T7_P12ihipStream_tbENKUlT_T0_E_clISt17integral_constantIbLb0EESY_IbLb1EEEEDaSU_SV_EUlSU_E_NS1_11comp_targetILNS1_3genE0ELNS1_11target_archE4294967295ELNS1_3gpuE0ELNS1_3repE0EEENS1_30default_config_static_selectorELNS0_4arch9wavefront6targetE1EEEvT1_, .Lfunc_end272-_ZN7rocprim17ROCPRIM_400000_NS6detail17trampoline_kernelINS0_14default_configENS1_27scan_by_key_config_selectorIssEEZZNS1_16scan_by_key_implILNS1_25lookback_scan_determinismE0ELb0ES3_N6thrust23THRUST_200600_302600_NS6detail15normal_iteratorINS9_10device_ptrIsEEEESE_SE_sNS9_4plusIvEENS9_8equal_toIvEEsEE10hipError_tPvRmT2_T3_T4_T5_mT6_T7_P12ihipStream_tbENKUlT_T0_E_clISt17integral_constantIbLb0EESY_IbLb1EEEEDaSU_SV_EUlSU_E_NS1_11comp_targetILNS1_3genE0ELNS1_11target_archE4294967295ELNS1_3gpuE0ELNS1_3repE0EEENS1_30default_config_static_selectorELNS0_4arch9wavefront6targetE1EEEvT1_
                                        ; -- End function
	.section	.AMDGPU.csdata,"",@progbits
; Kernel info:
; codeLenInByte = 0
; NumSgprs: 6
; NumVgprs: 0
; NumAgprs: 0
; TotalNumVgprs: 0
; ScratchSize: 0
; MemoryBound: 0
; FloatMode: 240
; IeeeMode: 1
; LDSByteSize: 0 bytes/workgroup (compile time only)
; SGPRBlocks: 0
; VGPRBlocks: 0
; NumSGPRsForWavesPerEU: 6
; NumVGPRsForWavesPerEU: 1
; AccumOffset: 4
; Occupancy: 8
; WaveLimiterHint : 0
; COMPUTE_PGM_RSRC2:SCRATCH_EN: 0
; COMPUTE_PGM_RSRC2:USER_SGPR: 2
; COMPUTE_PGM_RSRC2:TRAP_HANDLER: 0
; COMPUTE_PGM_RSRC2:TGID_X_EN: 1
; COMPUTE_PGM_RSRC2:TGID_Y_EN: 0
; COMPUTE_PGM_RSRC2:TGID_Z_EN: 0
; COMPUTE_PGM_RSRC2:TIDIG_COMP_CNT: 0
; COMPUTE_PGM_RSRC3_GFX90A:ACCUM_OFFSET: 0
; COMPUTE_PGM_RSRC3_GFX90A:TG_SPLIT: 0
	.section	.text._ZN7rocprim17ROCPRIM_400000_NS6detail17trampoline_kernelINS0_14default_configENS1_27scan_by_key_config_selectorIssEEZZNS1_16scan_by_key_implILNS1_25lookback_scan_determinismE0ELb0ES3_N6thrust23THRUST_200600_302600_NS6detail15normal_iteratorINS9_10device_ptrIsEEEESE_SE_sNS9_4plusIvEENS9_8equal_toIvEEsEE10hipError_tPvRmT2_T3_T4_T5_mT6_T7_P12ihipStream_tbENKUlT_T0_E_clISt17integral_constantIbLb0EESY_IbLb1EEEEDaSU_SV_EUlSU_E_NS1_11comp_targetILNS1_3genE10ELNS1_11target_archE1201ELNS1_3gpuE5ELNS1_3repE0EEENS1_30default_config_static_selectorELNS0_4arch9wavefront6targetE1EEEvT1_,"axG",@progbits,_ZN7rocprim17ROCPRIM_400000_NS6detail17trampoline_kernelINS0_14default_configENS1_27scan_by_key_config_selectorIssEEZZNS1_16scan_by_key_implILNS1_25lookback_scan_determinismE0ELb0ES3_N6thrust23THRUST_200600_302600_NS6detail15normal_iteratorINS9_10device_ptrIsEEEESE_SE_sNS9_4plusIvEENS9_8equal_toIvEEsEE10hipError_tPvRmT2_T3_T4_T5_mT6_T7_P12ihipStream_tbENKUlT_T0_E_clISt17integral_constantIbLb0EESY_IbLb1EEEEDaSU_SV_EUlSU_E_NS1_11comp_targetILNS1_3genE10ELNS1_11target_archE1201ELNS1_3gpuE5ELNS1_3repE0EEENS1_30default_config_static_selectorELNS0_4arch9wavefront6targetE1EEEvT1_,comdat
	.protected	_ZN7rocprim17ROCPRIM_400000_NS6detail17trampoline_kernelINS0_14default_configENS1_27scan_by_key_config_selectorIssEEZZNS1_16scan_by_key_implILNS1_25lookback_scan_determinismE0ELb0ES3_N6thrust23THRUST_200600_302600_NS6detail15normal_iteratorINS9_10device_ptrIsEEEESE_SE_sNS9_4plusIvEENS9_8equal_toIvEEsEE10hipError_tPvRmT2_T3_T4_T5_mT6_T7_P12ihipStream_tbENKUlT_T0_E_clISt17integral_constantIbLb0EESY_IbLb1EEEEDaSU_SV_EUlSU_E_NS1_11comp_targetILNS1_3genE10ELNS1_11target_archE1201ELNS1_3gpuE5ELNS1_3repE0EEENS1_30default_config_static_selectorELNS0_4arch9wavefront6targetE1EEEvT1_ ; -- Begin function _ZN7rocprim17ROCPRIM_400000_NS6detail17trampoline_kernelINS0_14default_configENS1_27scan_by_key_config_selectorIssEEZZNS1_16scan_by_key_implILNS1_25lookback_scan_determinismE0ELb0ES3_N6thrust23THRUST_200600_302600_NS6detail15normal_iteratorINS9_10device_ptrIsEEEESE_SE_sNS9_4plusIvEENS9_8equal_toIvEEsEE10hipError_tPvRmT2_T3_T4_T5_mT6_T7_P12ihipStream_tbENKUlT_T0_E_clISt17integral_constantIbLb0EESY_IbLb1EEEEDaSU_SV_EUlSU_E_NS1_11comp_targetILNS1_3genE10ELNS1_11target_archE1201ELNS1_3gpuE5ELNS1_3repE0EEENS1_30default_config_static_selectorELNS0_4arch9wavefront6targetE1EEEvT1_
	.globl	_ZN7rocprim17ROCPRIM_400000_NS6detail17trampoline_kernelINS0_14default_configENS1_27scan_by_key_config_selectorIssEEZZNS1_16scan_by_key_implILNS1_25lookback_scan_determinismE0ELb0ES3_N6thrust23THRUST_200600_302600_NS6detail15normal_iteratorINS9_10device_ptrIsEEEESE_SE_sNS9_4plusIvEENS9_8equal_toIvEEsEE10hipError_tPvRmT2_T3_T4_T5_mT6_T7_P12ihipStream_tbENKUlT_T0_E_clISt17integral_constantIbLb0EESY_IbLb1EEEEDaSU_SV_EUlSU_E_NS1_11comp_targetILNS1_3genE10ELNS1_11target_archE1201ELNS1_3gpuE5ELNS1_3repE0EEENS1_30default_config_static_selectorELNS0_4arch9wavefront6targetE1EEEvT1_
	.p2align	8
	.type	_ZN7rocprim17ROCPRIM_400000_NS6detail17trampoline_kernelINS0_14default_configENS1_27scan_by_key_config_selectorIssEEZZNS1_16scan_by_key_implILNS1_25lookback_scan_determinismE0ELb0ES3_N6thrust23THRUST_200600_302600_NS6detail15normal_iteratorINS9_10device_ptrIsEEEESE_SE_sNS9_4plusIvEENS9_8equal_toIvEEsEE10hipError_tPvRmT2_T3_T4_T5_mT6_T7_P12ihipStream_tbENKUlT_T0_E_clISt17integral_constantIbLb0EESY_IbLb1EEEEDaSU_SV_EUlSU_E_NS1_11comp_targetILNS1_3genE10ELNS1_11target_archE1201ELNS1_3gpuE5ELNS1_3repE0EEENS1_30default_config_static_selectorELNS0_4arch9wavefront6targetE1EEEvT1_,@function
_ZN7rocprim17ROCPRIM_400000_NS6detail17trampoline_kernelINS0_14default_configENS1_27scan_by_key_config_selectorIssEEZZNS1_16scan_by_key_implILNS1_25lookback_scan_determinismE0ELb0ES3_N6thrust23THRUST_200600_302600_NS6detail15normal_iteratorINS9_10device_ptrIsEEEESE_SE_sNS9_4plusIvEENS9_8equal_toIvEEsEE10hipError_tPvRmT2_T3_T4_T5_mT6_T7_P12ihipStream_tbENKUlT_T0_E_clISt17integral_constantIbLb0EESY_IbLb1EEEEDaSU_SV_EUlSU_E_NS1_11comp_targetILNS1_3genE10ELNS1_11target_archE1201ELNS1_3gpuE5ELNS1_3repE0EEENS1_30default_config_static_selectorELNS0_4arch9wavefront6targetE1EEEvT1_: ; @_ZN7rocprim17ROCPRIM_400000_NS6detail17trampoline_kernelINS0_14default_configENS1_27scan_by_key_config_selectorIssEEZZNS1_16scan_by_key_implILNS1_25lookback_scan_determinismE0ELb0ES3_N6thrust23THRUST_200600_302600_NS6detail15normal_iteratorINS9_10device_ptrIsEEEESE_SE_sNS9_4plusIvEENS9_8equal_toIvEEsEE10hipError_tPvRmT2_T3_T4_T5_mT6_T7_P12ihipStream_tbENKUlT_T0_E_clISt17integral_constantIbLb0EESY_IbLb1EEEEDaSU_SV_EUlSU_E_NS1_11comp_targetILNS1_3genE10ELNS1_11target_archE1201ELNS1_3gpuE5ELNS1_3repE0EEENS1_30default_config_static_selectorELNS0_4arch9wavefront6targetE1EEEvT1_
; %bb.0:
	.section	.rodata,"a",@progbits
	.p2align	6, 0x0
	.amdhsa_kernel _ZN7rocprim17ROCPRIM_400000_NS6detail17trampoline_kernelINS0_14default_configENS1_27scan_by_key_config_selectorIssEEZZNS1_16scan_by_key_implILNS1_25lookback_scan_determinismE0ELb0ES3_N6thrust23THRUST_200600_302600_NS6detail15normal_iteratorINS9_10device_ptrIsEEEESE_SE_sNS9_4plusIvEENS9_8equal_toIvEEsEE10hipError_tPvRmT2_T3_T4_T5_mT6_T7_P12ihipStream_tbENKUlT_T0_E_clISt17integral_constantIbLb0EESY_IbLb1EEEEDaSU_SV_EUlSU_E_NS1_11comp_targetILNS1_3genE10ELNS1_11target_archE1201ELNS1_3gpuE5ELNS1_3repE0EEENS1_30default_config_static_selectorELNS0_4arch9wavefront6targetE1EEEvT1_
		.amdhsa_group_segment_fixed_size 0
		.amdhsa_private_segment_fixed_size 0
		.amdhsa_kernarg_size 112
		.amdhsa_user_sgpr_count 2
		.amdhsa_user_sgpr_dispatch_ptr 0
		.amdhsa_user_sgpr_queue_ptr 0
		.amdhsa_user_sgpr_kernarg_segment_ptr 1
		.amdhsa_user_sgpr_dispatch_id 0
		.amdhsa_user_sgpr_kernarg_preload_length 0
		.amdhsa_user_sgpr_kernarg_preload_offset 0
		.amdhsa_user_sgpr_private_segment_size 0
		.amdhsa_uses_dynamic_stack 0
		.amdhsa_enable_private_segment 0
		.amdhsa_system_sgpr_workgroup_id_x 1
		.amdhsa_system_sgpr_workgroup_id_y 0
		.amdhsa_system_sgpr_workgroup_id_z 0
		.amdhsa_system_sgpr_workgroup_info 0
		.amdhsa_system_vgpr_workitem_id 0
		.amdhsa_next_free_vgpr 1
		.amdhsa_next_free_sgpr 0
		.amdhsa_accum_offset 4
		.amdhsa_reserve_vcc 0
		.amdhsa_float_round_mode_32 0
		.amdhsa_float_round_mode_16_64 0
		.amdhsa_float_denorm_mode_32 3
		.amdhsa_float_denorm_mode_16_64 3
		.amdhsa_dx10_clamp 1
		.amdhsa_ieee_mode 1
		.amdhsa_fp16_overflow 0
		.amdhsa_tg_split 0
		.amdhsa_exception_fp_ieee_invalid_op 0
		.amdhsa_exception_fp_denorm_src 0
		.amdhsa_exception_fp_ieee_div_zero 0
		.amdhsa_exception_fp_ieee_overflow 0
		.amdhsa_exception_fp_ieee_underflow 0
		.amdhsa_exception_fp_ieee_inexact 0
		.amdhsa_exception_int_div_zero 0
	.end_amdhsa_kernel
	.section	.text._ZN7rocprim17ROCPRIM_400000_NS6detail17trampoline_kernelINS0_14default_configENS1_27scan_by_key_config_selectorIssEEZZNS1_16scan_by_key_implILNS1_25lookback_scan_determinismE0ELb0ES3_N6thrust23THRUST_200600_302600_NS6detail15normal_iteratorINS9_10device_ptrIsEEEESE_SE_sNS9_4plusIvEENS9_8equal_toIvEEsEE10hipError_tPvRmT2_T3_T4_T5_mT6_T7_P12ihipStream_tbENKUlT_T0_E_clISt17integral_constantIbLb0EESY_IbLb1EEEEDaSU_SV_EUlSU_E_NS1_11comp_targetILNS1_3genE10ELNS1_11target_archE1201ELNS1_3gpuE5ELNS1_3repE0EEENS1_30default_config_static_selectorELNS0_4arch9wavefront6targetE1EEEvT1_,"axG",@progbits,_ZN7rocprim17ROCPRIM_400000_NS6detail17trampoline_kernelINS0_14default_configENS1_27scan_by_key_config_selectorIssEEZZNS1_16scan_by_key_implILNS1_25lookback_scan_determinismE0ELb0ES3_N6thrust23THRUST_200600_302600_NS6detail15normal_iteratorINS9_10device_ptrIsEEEESE_SE_sNS9_4plusIvEENS9_8equal_toIvEEsEE10hipError_tPvRmT2_T3_T4_T5_mT6_T7_P12ihipStream_tbENKUlT_T0_E_clISt17integral_constantIbLb0EESY_IbLb1EEEEDaSU_SV_EUlSU_E_NS1_11comp_targetILNS1_3genE10ELNS1_11target_archE1201ELNS1_3gpuE5ELNS1_3repE0EEENS1_30default_config_static_selectorELNS0_4arch9wavefront6targetE1EEEvT1_,comdat
.Lfunc_end273:
	.size	_ZN7rocprim17ROCPRIM_400000_NS6detail17trampoline_kernelINS0_14default_configENS1_27scan_by_key_config_selectorIssEEZZNS1_16scan_by_key_implILNS1_25lookback_scan_determinismE0ELb0ES3_N6thrust23THRUST_200600_302600_NS6detail15normal_iteratorINS9_10device_ptrIsEEEESE_SE_sNS9_4plusIvEENS9_8equal_toIvEEsEE10hipError_tPvRmT2_T3_T4_T5_mT6_T7_P12ihipStream_tbENKUlT_T0_E_clISt17integral_constantIbLb0EESY_IbLb1EEEEDaSU_SV_EUlSU_E_NS1_11comp_targetILNS1_3genE10ELNS1_11target_archE1201ELNS1_3gpuE5ELNS1_3repE0EEENS1_30default_config_static_selectorELNS0_4arch9wavefront6targetE1EEEvT1_, .Lfunc_end273-_ZN7rocprim17ROCPRIM_400000_NS6detail17trampoline_kernelINS0_14default_configENS1_27scan_by_key_config_selectorIssEEZZNS1_16scan_by_key_implILNS1_25lookback_scan_determinismE0ELb0ES3_N6thrust23THRUST_200600_302600_NS6detail15normal_iteratorINS9_10device_ptrIsEEEESE_SE_sNS9_4plusIvEENS9_8equal_toIvEEsEE10hipError_tPvRmT2_T3_T4_T5_mT6_T7_P12ihipStream_tbENKUlT_T0_E_clISt17integral_constantIbLb0EESY_IbLb1EEEEDaSU_SV_EUlSU_E_NS1_11comp_targetILNS1_3genE10ELNS1_11target_archE1201ELNS1_3gpuE5ELNS1_3repE0EEENS1_30default_config_static_selectorELNS0_4arch9wavefront6targetE1EEEvT1_
                                        ; -- End function
	.section	.AMDGPU.csdata,"",@progbits
; Kernel info:
; codeLenInByte = 0
; NumSgprs: 6
; NumVgprs: 0
; NumAgprs: 0
; TotalNumVgprs: 0
; ScratchSize: 0
; MemoryBound: 0
; FloatMode: 240
; IeeeMode: 1
; LDSByteSize: 0 bytes/workgroup (compile time only)
; SGPRBlocks: 0
; VGPRBlocks: 0
; NumSGPRsForWavesPerEU: 6
; NumVGPRsForWavesPerEU: 1
; AccumOffset: 4
; Occupancy: 8
; WaveLimiterHint : 0
; COMPUTE_PGM_RSRC2:SCRATCH_EN: 0
; COMPUTE_PGM_RSRC2:USER_SGPR: 2
; COMPUTE_PGM_RSRC2:TRAP_HANDLER: 0
; COMPUTE_PGM_RSRC2:TGID_X_EN: 1
; COMPUTE_PGM_RSRC2:TGID_Y_EN: 0
; COMPUTE_PGM_RSRC2:TGID_Z_EN: 0
; COMPUTE_PGM_RSRC2:TIDIG_COMP_CNT: 0
; COMPUTE_PGM_RSRC3_GFX90A:ACCUM_OFFSET: 0
; COMPUTE_PGM_RSRC3_GFX90A:TG_SPLIT: 0
	.section	.text._ZN7rocprim17ROCPRIM_400000_NS6detail17trampoline_kernelINS0_14default_configENS1_27scan_by_key_config_selectorIssEEZZNS1_16scan_by_key_implILNS1_25lookback_scan_determinismE0ELb0ES3_N6thrust23THRUST_200600_302600_NS6detail15normal_iteratorINS9_10device_ptrIsEEEESE_SE_sNS9_4plusIvEENS9_8equal_toIvEEsEE10hipError_tPvRmT2_T3_T4_T5_mT6_T7_P12ihipStream_tbENKUlT_T0_E_clISt17integral_constantIbLb0EESY_IbLb1EEEEDaSU_SV_EUlSU_E_NS1_11comp_targetILNS1_3genE5ELNS1_11target_archE942ELNS1_3gpuE9ELNS1_3repE0EEENS1_30default_config_static_selectorELNS0_4arch9wavefront6targetE1EEEvT1_,"axG",@progbits,_ZN7rocprim17ROCPRIM_400000_NS6detail17trampoline_kernelINS0_14default_configENS1_27scan_by_key_config_selectorIssEEZZNS1_16scan_by_key_implILNS1_25lookback_scan_determinismE0ELb0ES3_N6thrust23THRUST_200600_302600_NS6detail15normal_iteratorINS9_10device_ptrIsEEEESE_SE_sNS9_4plusIvEENS9_8equal_toIvEEsEE10hipError_tPvRmT2_T3_T4_T5_mT6_T7_P12ihipStream_tbENKUlT_T0_E_clISt17integral_constantIbLb0EESY_IbLb1EEEEDaSU_SV_EUlSU_E_NS1_11comp_targetILNS1_3genE5ELNS1_11target_archE942ELNS1_3gpuE9ELNS1_3repE0EEENS1_30default_config_static_selectorELNS0_4arch9wavefront6targetE1EEEvT1_,comdat
	.protected	_ZN7rocprim17ROCPRIM_400000_NS6detail17trampoline_kernelINS0_14default_configENS1_27scan_by_key_config_selectorIssEEZZNS1_16scan_by_key_implILNS1_25lookback_scan_determinismE0ELb0ES3_N6thrust23THRUST_200600_302600_NS6detail15normal_iteratorINS9_10device_ptrIsEEEESE_SE_sNS9_4plusIvEENS9_8equal_toIvEEsEE10hipError_tPvRmT2_T3_T4_T5_mT6_T7_P12ihipStream_tbENKUlT_T0_E_clISt17integral_constantIbLb0EESY_IbLb1EEEEDaSU_SV_EUlSU_E_NS1_11comp_targetILNS1_3genE5ELNS1_11target_archE942ELNS1_3gpuE9ELNS1_3repE0EEENS1_30default_config_static_selectorELNS0_4arch9wavefront6targetE1EEEvT1_ ; -- Begin function _ZN7rocprim17ROCPRIM_400000_NS6detail17trampoline_kernelINS0_14default_configENS1_27scan_by_key_config_selectorIssEEZZNS1_16scan_by_key_implILNS1_25lookback_scan_determinismE0ELb0ES3_N6thrust23THRUST_200600_302600_NS6detail15normal_iteratorINS9_10device_ptrIsEEEESE_SE_sNS9_4plusIvEENS9_8equal_toIvEEsEE10hipError_tPvRmT2_T3_T4_T5_mT6_T7_P12ihipStream_tbENKUlT_T0_E_clISt17integral_constantIbLb0EESY_IbLb1EEEEDaSU_SV_EUlSU_E_NS1_11comp_targetILNS1_3genE5ELNS1_11target_archE942ELNS1_3gpuE9ELNS1_3repE0EEENS1_30default_config_static_selectorELNS0_4arch9wavefront6targetE1EEEvT1_
	.globl	_ZN7rocprim17ROCPRIM_400000_NS6detail17trampoline_kernelINS0_14default_configENS1_27scan_by_key_config_selectorIssEEZZNS1_16scan_by_key_implILNS1_25lookback_scan_determinismE0ELb0ES3_N6thrust23THRUST_200600_302600_NS6detail15normal_iteratorINS9_10device_ptrIsEEEESE_SE_sNS9_4plusIvEENS9_8equal_toIvEEsEE10hipError_tPvRmT2_T3_T4_T5_mT6_T7_P12ihipStream_tbENKUlT_T0_E_clISt17integral_constantIbLb0EESY_IbLb1EEEEDaSU_SV_EUlSU_E_NS1_11comp_targetILNS1_3genE5ELNS1_11target_archE942ELNS1_3gpuE9ELNS1_3repE0EEENS1_30default_config_static_selectorELNS0_4arch9wavefront6targetE1EEEvT1_
	.p2align	8
	.type	_ZN7rocprim17ROCPRIM_400000_NS6detail17trampoline_kernelINS0_14default_configENS1_27scan_by_key_config_selectorIssEEZZNS1_16scan_by_key_implILNS1_25lookback_scan_determinismE0ELb0ES3_N6thrust23THRUST_200600_302600_NS6detail15normal_iteratorINS9_10device_ptrIsEEEESE_SE_sNS9_4plusIvEENS9_8equal_toIvEEsEE10hipError_tPvRmT2_T3_T4_T5_mT6_T7_P12ihipStream_tbENKUlT_T0_E_clISt17integral_constantIbLb0EESY_IbLb1EEEEDaSU_SV_EUlSU_E_NS1_11comp_targetILNS1_3genE5ELNS1_11target_archE942ELNS1_3gpuE9ELNS1_3repE0EEENS1_30default_config_static_selectorELNS0_4arch9wavefront6targetE1EEEvT1_,@function
_ZN7rocprim17ROCPRIM_400000_NS6detail17trampoline_kernelINS0_14default_configENS1_27scan_by_key_config_selectorIssEEZZNS1_16scan_by_key_implILNS1_25lookback_scan_determinismE0ELb0ES3_N6thrust23THRUST_200600_302600_NS6detail15normal_iteratorINS9_10device_ptrIsEEEESE_SE_sNS9_4plusIvEENS9_8equal_toIvEEsEE10hipError_tPvRmT2_T3_T4_T5_mT6_T7_P12ihipStream_tbENKUlT_T0_E_clISt17integral_constantIbLb0EESY_IbLb1EEEEDaSU_SV_EUlSU_E_NS1_11comp_targetILNS1_3genE5ELNS1_11target_archE942ELNS1_3gpuE9ELNS1_3repE0EEENS1_30default_config_static_selectorELNS0_4arch9wavefront6targetE1EEEvT1_: ; @_ZN7rocprim17ROCPRIM_400000_NS6detail17trampoline_kernelINS0_14default_configENS1_27scan_by_key_config_selectorIssEEZZNS1_16scan_by_key_implILNS1_25lookback_scan_determinismE0ELb0ES3_N6thrust23THRUST_200600_302600_NS6detail15normal_iteratorINS9_10device_ptrIsEEEESE_SE_sNS9_4plusIvEENS9_8equal_toIvEEsEE10hipError_tPvRmT2_T3_T4_T5_mT6_T7_P12ihipStream_tbENKUlT_T0_E_clISt17integral_constantIbLb0EESY_IbLb1EEEEDaSU_SV_EUlSU_E_NS1_11comp_targetILNS1_3genE5ELNS1_11target_archE942ELNS1_3gpuE9ELNS1_3repE0EEENS1_30default_config_static_selectorELNS0_4arch9wavefront6targetE1EEEvT1_
; %bb.0:
	s_load_dwordx4 s[76:79], s[0:1], 0x28
	s_load_dwordx2 s[80:81], s[0:1], 0x38
	v_cmp_ne_u32_e64 s[4:5], 0, v0
	v_cmp_eq_u32_e64 s[56:57], 0, v0
	s_and_saveexec_b64 s[2:3], s[56:57]
	s_cbranch_execz .LBB274_4
; %bb.1:
	s_mov_b64 s[8:9], exec
	v_mbcnt_lo_u32_b32 v1, s8, 0
	v_mbcnt_hi_u32_b32 v1, s9, v1
	v_cmp_eq_u32_e32 vcc, 0, v1
                                        ; implicit-def: $vgpr2
	s_and_saveexec_b64 s[6:7], vcc
	s_cbranch_execz .LBB274_3
; %bb.2:
	s_load_dwordx2 s[10:11], s[0:1], 0x68
	s_bcnt1_i32_b64 s8, s[8:9]
	v_mov_b32_e32 v2, 0
	v_mov_b32_e32 v3, s8
	s_waitcnt lgkmcnt(0)
	global_atomic_add v2, v2, v3, s[10:11] sc0
.LBB274_3:
	s_or_b64 exec, exec, s[6:7]
	s_waitcnt vmcnt(0)
	v_readfirstlane_b32 s6, v2
	v_mov_b32_e32 v2, 0
	s_nop 0
	v_add_u32_e32 v1, s6, v1
	ds_write_b32 v2, v1
.LBB274_4:
	s_or_b64 exec, exec, s[2:3]
	s_load_dwordx8 s[60:67], s[0:1], 0x0
	s_load_dword s2, s[0:1], 0x40
	s_load_dwordx8 s[68:75], s[0:1], 0x48
	v_mov_b32_e32 v1, 0
	s_waitcnt lgkmcnt(0)
	s_barrier
	ds_read_b32 v1, v1
	s_lshl_b64 s[58:59], s[62:63], 1
	s_add_u32 s3, s60, s58
	s_addc_u32 s6, s61, s59
	s_add_u32 s7, s64, s58
	s_mul_i32 s0, s81, s2
	s_mul_hi_u32 s1, s80, s2
	s_addc_u32 s8, s65, s59
	s_add_i32 s9, s1, s0
	s_waitcnt lgkmcnt(0)
	v_readfirstlane_b32 s79, v1
	s_cmp_lg_u64 s[72:73], 0
	s_mov_b32 s1, 0
	s_mul_i32 s0, s79, 0x1800
	s_cselect_b64 s[72:73], -1, 0
	s_lshl_b64 s[60:61], s[0:1], 1
	s_add_u32 s64, s3, s60
	s_addc_u32 s65, s6, s61
	s_add_u32 s62, s7, s60
	s_mul_i32 s2, s80, s2
	s_addc_u32 s63, s8, s61
	s_add_u32 s82, s2, s79
	s_addc_u32 s83, s9, 0
	s_add_u32 s0, s68, -1
	s_addc_u32 s1, s69, -1
	v_mov_b64_e32 v[2:3], s[0:1]
	v_cmp_ge_u64_e64 s[2:3], s[82:83], v[2:3]
	s_mov_b64 s[12:13], 0
	s_mov_b64 s[6:7], -1
	s_and_b64 vcc, exec, s[2:3]
	s_mul_i32 s33, s0, 0xffffe800
	s_barrier
	s_barrier
	s_cbranch_vccz .LBB274_131
; %bb.5:
	v_mov_b64_e32 v[2:3], s[64:65]
	flat_load_ushort v1, v[2:3]
	s_add_i32 s86, s33, s78
	v_cmp_gt_u32_e64 s[6:7], s86, v0
	s_waitcnt vmcnt(0) lgkmcnt(0)
	v_mov_b32_e32 v22, v1
	s_and_saveexec_b64 s[0:1], s[6:7]
	s_cbranch_execz .LBB274_7
; %bb.6:
	v_lshlrev_b32_e32 v2, 1, v0
	v_mov_b32_e32 v3, 0
	v_lshl_add_u64 v[2:3], s[64:65], 0, v[2:3]
	flat_load_ushort v22, v[2:3]
.LBB274_7:
	s_or_b64 exec, exec, s[0:1]
	v_or_b32_e32 v2, 0x100, v0
	v_cmp_gt_u32_e64 s[8:9], s86, v2
	v_mov_b32_e32 v23, v1
	s_and_saveexec_b64 s[0:1], s[8:9]
	s_cbranch_execz .LBB274_9
; %bb.8:
	v_lshlrev_b32_e32 v2, 1, v0
	v_mov_b32_e32 v3, 0
	v_lshl_add_u64 v[2:3], s[64:65], 0, v[2:3]
	flat_load_ushort v23, v[2:3] offset:512
.LBB274_9:
	s_or_b64 exec, exec, s[0:1]
	v_or_b32_e32 v2, 0x200, v0
	v_cmp_gt_u32_e64 s[10:11], s86, v2
	v_mov_b32_e32 v24, v1
	s_and_saveexec_b64 s[0:1], s[10:11]
	s_cbranch_execz .LBB274_11
; %bb.10:
	v_lshlrev_b32_e32 v2, 1, v0
	v_mov_b32_e32 v3, 0
	v_lshl_add_u64 v[2:3], s[64:65], 0, v[2:3]
	flat_load_ushort v24, v[2:3] offset:1024
.LBB274_11:
	;; [unrolled: 12-line block ×7, first 2 shown]
	s_or_b64 exec, exec, s[0:1]
	v_or_b32_e32 v2, 0x800, v0
	v_cmp_gt_u32_e64 s[22:23], s86, v2
	v_lshlrev_b32_e32 v2, 1, v2
	v_mov_b32_e32 v3, v1
	s_and_saveexec_b64 s[0:1], s[22:23]
	s_cbranch_execz .LBB274_23
; %bb.22:
	v_mov_b32_e32 v3, 0
	v_lshl_add_u64 v[4:5], s[64:65], 0, v[2:3]
	flat_load_ushort v3, v[4:5]
.LBB274_23:
	s_or_b64 exec, exec, s[0:1]
	v_or_b32_e32 v4, 0x900, v0
	v_cmp_gt_u32_e64 s[24:25], s86, v4
	v_lshlrev_b32_e32 v4, 1, v4
	v_mov_b32_e32 v5, v1
	s_and_saveexec_b64 s[0:1], s[24:25]
	s_cbranch_execz .LBB274_25
; %bb.24:
	v_mov_b32_e32 v5, 0
	v_lshl_add_u64 v[6:7], s[64:65], 0, v[4:5]
	flat_load_ushort v5, v[6:7]
.LBB274_25:
	s_or_b64 exec, exec, s[0:1]
	v_or_b32_e32 v6, 0xa00, v0
	v_cmp_gt_u32_e64 s[26:27], s86, v6
	v_lshlrev_b32_e32 v6, 1, v6
	v_mov_b32_e32 v7, v1
	s_and_saveexec_b64 s[0:1], s[26:27]
	s_cbranch_execz .LBB274_27
; %bb.26:
	v_mov_b32_e32 v7, 0
	v_lshl_add_u64 v[8:9], s[64:65], 0, v[6:7]
	flat_load_ushort v7, v[8:9]
.LBB274_27:
	s_or_b64 exec, exec, s[0:1]
	v_or_b32_e32 v8, 0xb00, v0
	v_cmp_gt_u32_e64 s[28:29], s86, v8
	v_lshlrev_b32_e32 v8, 1, v8
	v_mov_b32_e32 v9, v1
	s_and_saveexec_b64 s[0:1], s[28:29]
	s_cbranch_execz .LBB274_29
; %bb.28:
	v_mov_b32_e32 v9, 0
	v_lshl_add_u64 v[10:11], s[64:65], 0, v[8:9]
	flat_load_ushort v9, v[10:11]
.LBB274_29:
	s_or_b64 exec, exec, s[0:1]
	v_or_b32_e32 v10, 0xc00, v0
	v_cmp_gt_u32_e64 s[30:31], s86, v10
	v_lshlrev_b32_e32 v10, 1, v10
	v_mov_b32_e32 v11, v1
	s_and_saveexec_b64 s[0:1], s[30:31]
	s_cbranch_execz .LBB274_31
; %bb.30:
	v_mov_b32_e32 v11, 0
	v_lshl_add_u64 v[12:13], s[64:65], 0, v[10:11]
	flat_load_ushort v11, v[12:13]
.LBB274_31:
	s_or_b64 exec, exec, s[0:1]
	v_or_b32_e32 v12, 0xd00, v0
	v_cmp_gt_u32_e64 s[34:35], s86, v12
	v_lshlrev_b32_e32 v12, 1, v12
	v_mov_b32_e32 v13, v1
	s_and_saveexec_b64 s[0:1], s[34:35]
	s_cbranch_execz .LBB274_33
; %bb.32:
	v_mov_b32_e32 v13, 0
	v_lshl_add_u64 v[14:15], s[64:65], 0, v[12:13]
	flat_load_ushort v13, v[14:15]
.LBB274_33:
	s_or_b64 exec, exec, s[0:1]
	v_or_b32_e32 v14, 0xe00, v0
	v_cmp_gt_u32_e64 s[36:37], s86, v14
	v_lshlrev_b32_e32 v14, 1, v14
	v_mov_b32_e32 v15, v1
	s_and_saveexec_b64 s[0:1], s[36:37]
	s_cbranch_execz .LBB274_35
; %bb.34:
	v_mov_b32_e32 v15, 0
	v_lshl_add_u64 v[16:17], s[64:65], 0, v[14:15]
	flat_load_ushort v15, v[16:17]
.LBB274_35:
	s_or_b64 exec, exec, s[0:1]
	v_or_b32_e32 v16, 0xf00, v0
	v_cmp_gt_u32_e64 s[38:39], s86, v16
	v_lshlrev_b32_e32 v16, 1, v16
	v_mov_b32_e32 v17, v1
	s_and_saveexec_b64 s[0:1], s[38:39]
	s_cbranch_execz .LBB274_37
; %bb.36:
	v_mov_b32_e32 v17, 0
	v_lshl_add_u64 v[18:19], s[64:65], 0, v[16:17]
	flat_load_ushort v17, v[18:19]
.LBB274_37:
	s_or_b64 exec, exec, s[0:1]
	v_or_b32_e32 v18, 0x1000, v0
	v_cmp_gt_u32_e64 s[40:41], s86, v18
	v_lshlrev_b32_e32 v18, 1, v18
	v_mov_b32_e32 v19, v1
	s_and_saveexec_b64 s[0:1], s[40:41]
	s_cbranch_execz .LBB274_39
; %bb.38:
	v_mov_b32_e32 v19, 0
	v_lshl_add_u64 v[20:21], s[64:65], 0, v[18:19]
	flat_load_ushort v19, v[20:21]
.LBB274_39:
	s_or_b64 exec, exec, s[0:1]
	v_or_b32_e32 v20, 0x1100, v0
	v_cmp_gt_u32_e64 s[42:43], s86, v20
	v_lshlrev_b32_e32 v20, 1, v20
	v_mov_b32_e32 v21, v1
	s_and_saveexec_b64 s[0:1], s[42:43]
	s_cbranch_execz .LBB274_41
; %bb.40:
	v_mov_b32_e32 v21, 0
	v_lshl_add_u64 v[30:31], s[64:65], 0, v[20:21]
	flat_load_ushort v21, v[30:31]
.LBB274_41:
	s_or_b64 exec, exec, s[0:1]
	v_or_b32_e32 v30, 0x1200, v0
	v_cmp_gt_u32_e64 s[44:45], s86, v30
	v_lshlrev_b32_e32 v34, 1, v30
	v_mov_b32_e32 v30, v1
	s_and_saveexec_b64 s[0:1], s[44:45]
	s_cbranch_execz .LBB274_43
; %bb.42:
	v_mov_b32_e32 v35, 0
	v_lshl_add_u64 v[30:31], s[64:65], 0, v[34:35]
	flat_load_ushort v30, v[30:31]
.LBB274_43:
	s_or_b64 exec, exec, s[0:1]
	v_or_b32_e32 v31, 0x1300, v0
	v_cmp_gt_u32_e64 s[46:47], s86, v31
	v_lshlrev_b32_e32 v38, 1, v31
	v_mov_b32_e32 v31, v1
	s_and_saveexec_b64 s[0:1], s[46:47]
	s_cbranch_execz .LBB274_45
; %bb.44:
	v_mov_b32_e32 v39, 0
	v_lshl_add_u64 v[32:33], s[64:65], 0, v[38:39]
	flat_load_ushort v31, v[32:33]
.LBB274_45:
	s_or_b64 exec, exec, s[0:1]
	v_or_b32_e32 v32, 0x1400, v0
	v_cmp_gt_u32_e64 s[48:49], s86, v32
	v_lshlrev_b32_e32 v40, 1, v32
	v_mov_b32_e32 v32, v1
	s_and_saveexec_b64 s[0:1], s[48:49]
	s_cbranch_execz .LBB274_47
; %bb.46:
	v_mov_b32_e32 v41, 0
	v_lshl_add_u64 v[32:33], s[64:65], 0, v[40:41]
	flat_load_ushort v32, v[32:33]
.LBB274_47:
	s_or_b64 exec, exec, s[0:1]
	v_or_b32_e32 v33, 0x1500, v0
	v_cmp_gt_u32_e64 s[50:51], s86, v33
	v_lshlrev_b32_e32 v42, 1, v33
	v_mov_b32_e32 v33, v1
	s_and_saveexec_b64 s[0:1], s[50:51]
	s_cbranch_execz .LBB274_49
; %bb.48:
	v_mov_b32_e32 v43, 0
	v_lshl_add_u64 v[36:37], s[64:65], 0, v[42:43]
	flat_load_ushort v33, v[36:37]
.LBB274_49:
	s_or_b64 exec, exec, s[0:1]
	v_or_b32_e32 v35, 0x1600, v0
	v_cmp_gt_u32_e64 s[52:53], s86, v35
	v_lshlrev_b32_e32 v44, 1, v35
	v_mov_b32_e32 v35, v1
	s_and_saveexec_b64 s[0:1], s[52:53]
	s_cbranch_execz .LBB274_51
; %bb.50:
	v_mov_b32_e32 v45, 0
	v_lshl_add_u64 v[36:37], s[64:65], 0, v[44:45]
	flat_load_ushort v35, v[36:37]
.LBB274_51:
	s_or_b64 exec, exec, s[0:1]
	v_or_b32_e32 v36, 0x1700, v0
	v_cmp_gt_u32_e64 s[54:55], s86, v36
	v_lshlrev_b32_e32 v46, 1, v36
	s_and_saveexec_b64 s[0:1], s[54:55]
	s_cbranch_execz .LBB274_53
; %bb.52:
	v_mov_b32_e32 v47, 0
	v_lshl_add_u64 v[36:37], s[64:65], 0, v[46:47]
	flat_load_ushort v1, v[36:37]
.LBB274_53:
	s_or_b64 exec, exec, s[0:1]
	v_lshlrev_b32_e32 v36, 1, v0
	v_mad_u32_u24 v48, v0, 46, v36
	s_waitcnt vmcnt(0) lgkmcnt(0)
	ds_write_b16 v36, v22
	ds_write_b16 v36, v23 offset:512
	ds_write_b16 v36, v24 offset:1024
	;; [unrolled: 1-line block ×23, first 2 shown]
	s_waitcnt lgkmcnt(0)
	s_barrier
	ds_read_b128 v[30:33], v48
	ds_read_b128 v[26:29], v48 offset:16
	ds_read_b128 v[22:25], v48 offset:32
	s_cmp_eq_u64 s[82:83], 0
	s_mov_b64 s[0:1], s[64:65]
	s_cbranch_scc1 .LBB274_57
; %bb.54:
	s_andn2_b64 vcc, exec, s[72:73]
	s_cbranch_vccnz .LBB274_317
; %bb.55:
	s_lshl_b64 s[0:1], s[82:83], 1
	s_add_u32 s0, s74, s0
	s_addc_u32 s1, s75, s1
	s_add_u32 s0, s0, -2
	s_addc_u32 s1, s1, -1
	s_cbranch_execnz .LBB274_57
.LBB274_56:
	s_add_u32 s0, s64, -2
	s_addc_u32 s1, s65, -1
.LBB274_57:
	v_mov_b64_e32 v[50:51], s[0:1]
	flat_load_ushort v50, v[50:51]
	s_movk_i32 s0, 0xffd2
	s_waitcnt lgkmcnt(0)
	v_lshrrev_b32_e32 v49, 16, v25
	v_mad_i32_i24 v1, v0, s0, v48
	ds_write_b16 v1, v49 offset:12288
	s_waitcnt lgkmcnt(0)
	s_barrier
	s_and_saveexec_b64 s[0:1], s[4:5]
	s_cbranch_execz .LBB274_59
; %bb.58:
	v_mul_i32_i24_e32 v1, 0xffffffd2, v0
	v_add_u32_e32 v1, v48, v1
	s_waitcnt vmcnt(0)
	ds_read_u16 v50, v1 offset:12286
.LBB274_59:
	s_or_b64 exec, exec, s[0:1]
	v_mov_b32_e32 v37, 0
	s_waitcnt lgkmcnt(0)
	s_barrier
	s_waitcnt lgkmcnt(0)
                                        ; implicit-def: $vgpr1
	s_and_saveexec_b64 s[0:1], s[6:7]
	s_cbranch_execnz .LBB274_294
; %bb.60:
	s_or_b64 exec, exec, s[0:1]
                                        ; implicit-def: $vgpr51
	s_and_saveexec_b64 s[0:1], s[8:9]
	s_cbranch_execnz .LBB274_295
.LBB274_61:
	s_or_b64 exec, exec, s[0:1]
                                        ; implicit-def: $vgpr52
	s_and_saveexec_b64 s[0:1], s[10:11]
	s_cbranch_execnz .LBB274_296
.LBB274_62:
	s_or_b64 exec, exec, s[0:1]
                                        ; implicit-def: $vgpr53
	s_and_saveexec_b64 s[0:1], s[12:13]
	s_cbranch_execnz .LBB274_297
.LBB274_63:
	s_or_b64 exec, exec, s[0:1]
                                        ; implicit-def: $vgpr54
	s_and_saveexec_b64 s[0:1], s[14:15]
	s_cbranch_execnz .LBB274_298
.LBB274_64:
	s_or_b64 exec, exec, s[0:1]
                                        ; implicit-def: $vgpr55
	s_and_saveexec_b64 s[0:1], s[16:17]
	s_cbranch_execnz .LBB274_299
.LBB274_65:
	s_or_b64 exec, exec, s[0:1]
                                        ; implicit-def: $vgpr56
	s_and_saveexec_b64 s[0:1], s[18:19]
	s_cbranch_execnz .LBB274_300
.LBB274_66:
	s_or_b64 exec, exec, s[0:1]
                                        ; implicit-def: $vgpr37
	s_and_saveexec_b64 s[0:1], s[20:21]
	s_cbranch_execnz .LBB274_301
.LBB274_67:
	s_or_b64 exec, exec, s[0:1]
                                        ; implicit-def: $vgpr3
	s_and_saveexec_b64 s[0:1], s[22:23]
	s_cbranch_execnz .LBB274_302
.LBB274_68:
	s_or_b64 exec, exec, s[0:1]
                                        ; implicit-def: $vgpr2
	s_and_saveexec_b64 s[0:1], s[24:25]
	s_cbranch_execnz .LBB274_303
.LBB274_69:
	s_or_b64 exec, exec, s[0:1]
                                        ; implicit-def: $vgpr4
	s_and_saveexec_b64 s[0:1], s[26:27]
	s_cbranch_execnz .LBB274_304
.LBB274_70:
	s_or_b64 exec, exec, s[0:1]
                                        ; implicit-def: $vgpr5
	s_and_saveexec_b64 s[0:1], s[28:29]
	s_cbranch_execnz .LBB274_305
.LBB274_71:
	s_or_b64 exec, exec, s[0:1]
                                        ; implicit-def: $vgpr6
	s_and_saveexec_b64 s[0:1], s[30:31]
	s_cbranch_execnz .LBB274_306
.LBB274_72:
	s_or_b64 exec, exec, s[0:1]
                                        ; implicit-def: $vgpr7
	s_and_saveexec_b64 s[0:1], s[34:35]
	s_cbranch_execnz .LBB274_307
.LBB274_73:
	s_or_b64 exec, exec, s[0:1]
                                        ; implicit-def: $vgpr8
	s_and_saveexec_b64 s[0:1], s[36:37]
	s_cbranch_execnz .LBB274_308
.LBB274_74:
	s_or_b64 exec, exec, s[0:1]
                                        ; implicit-def: $vgpr9
	s_and_saveexec_b64 s[0:1], s[38:39]
	s_cbranch_execnz .LBB274_309
.LBB274_75:
	s_or_b64 exec, exec, s[0:1]
                                        ; implicit-def: $vgpr10
	s_and_saveexec_b64 s[0:1], s[40:41]
	s_cbranch_execnz .LBB274_310
.LBB274_76:
	s_or_b64 exec, exec, s[0:1]
                                        ; implicit-def: $vgpr11
	s_and_saveexec_b64 s[0:1], s[42:43]
	s_cbranch_execnz .LBB274_311
.LBB274_77:
	s_or_b64 exec, exec, s[0:1]
                                        ; implicit-def: $vgpr12
	s_and_saveexec_b64 s[0:1], s[44:45]
	s_cbranch_execnz .LBB274_312
.LBB274_78:
	s_or_b64 exec, exec, s[0:1]
                                        ; implicit-def: $vgpr13
	s_and_saveexec_b64 s[0:1], s[46:47]
	s_cbranch_execnz .LBB274_313
.LBB274_79:
	s_or_b64 exec, exec, s[0:1]
                                        ; implicit-def: $vgpr14
	s_and_saveexec_b64 s[0:1], s[48:49]
	s_cbranch_execnz .LBB274_314
.LBB274_80:
	s_or_b64 exec, exec, s[0:1]
                                        ; implicit-def: $vgpr15
	s_and_saveexec_b64 s[0:1], s[50:51]
	s_cbranch_execnz .LBB274_315
.LBB274_81:
	s_or_b64 exec, exec, s[0:1]
                                        ; implicit-def: $vgpr16
	s_and_saveexec_b64 s[0:1], s[52:53]
	s_cbranch_execnz .LBB274_316
.LBB274_82:
	s_or_b64 exec, exec, s[0:1]
                                        ; implicit-def: $vgpr17
	s_and_saveexec_b64 s[0:1], s[54:55]
	s_cbranch_execz .LBB274_84
.LBB274_83:
	v_mov_b32_e32 v47, 0
	v_lshl_add_u64 v[18:19], s[62:63], 0, v[46:47]
	flat_load_ushort v17, v[18:19]
.LBB274_84:
	s_or_b64 exec, exec, s[0:1]
	s_mov_b32 s8, 0
	s_mov_b32 s9, s8
	s_waitcnt vmcnt(0) lgkmcnt(0)
	ds_write_b16 v36, v1
	ds_write_b16 v36, v51 offset:512
	ds_write_b16 v36, v52 offset:1024
	;; [unrolled: 1-line block ×23, first 2 shown]
	s_mov_b32 s10, s8
	s_mov_b32 s11, s8
	;; [unrolled: 1-line block ×6, first 2 shown]
	v_mov_b64_e32 v[2:3], s[8:9]
	s_mov_b32 s18, s8
	s_mov_b32 s19, s8
	v_mov_b64_e32 v[8:9], s[14:15]
	v_mul_u32_u24_e32 v41, 24, v0
	s_mov_b32 s16, s8
	s_mov_b32 s17, s8
	v_mov_b64_e32 v[20:21], s[18:19]
	v_mov_b64_e32 v[4:5], s[10:11]
	;; [unrolled: 1-line block ×4, first 2 shown]
	v_cmp_gt_u32_e32 vcc, s86, v41
	s_mov_b64 s[6:7], 0
	v_mov_b64_e32 v[18:19], s[16:17]
	v_mov_b32_e32 v1, 0
	s_mov_b64 s[12:13], 0
	v_mov_b64_e32 v[14:15], v[6:7]
	v_mov_b64_e32 v[12:13], v[4:5]
	;; [unrolled: 1-line block ×3, first 2 shown]
	v_mov_b32_e32 v38, 0
	v_mov_b32_e32 v39, 0
	s_waitcnt lgkmcnt(0)
	s_barrier
	s_waitcnt lgkmcnt(0)
                                        ; implicit-def: $sgpr0_sgpr1
                                        ; implicit-def: $vgpr40
	s_and_saveexec_b64 s[10:11], vcc
	s_cbranch_execz .LBB274_130
; %bb.85:
	ds_read_u16 v1, v48
	v_cmp_ne_u16_e32 vcc, v50, v30
	s_mov_b32 s12, 0
	v_or_b32_e32 v2, 1, v41
	v_cndmask_b32_e64 v3, 0, 1, vcc
	s_mov_b32 s13, s12
	v_cmp_gt_u32_e32 vcc, s86, v2
	s_waitcnt lgkmcnt(0)
	v_lshl_or_b32 v1, v3, 16, v1
	s_mov_b32 s14, s12
	s_mov_b32 s15, s12
	;; [unrolled: 1-line block ×6, first 2 shown]
	v_mov_b64_e32 v[2:3], s[12:13]
	s_mov_b32 s24, s12
	s_mov_b32 s25, s12
	v_mov_b64_e32 v[8:9], s[18:19]
	s_mov_b32 s26, s12
	s_mov_b32 s27, s12
	v_mov_b64_e32 v[18:19], s[24:25]
	v_mov_b64_e32 v[4:5], s[14:15]
	;; [unrolled: 1-line block ×4, first 2 shown]
	s_mov_b64 s[22:23], 0
	v_mov_b64_e32 v[20:21], s[26:27]
	v_mov_b32_e32 v38, 0
	v_mov_b64_e32 v[14:15], v[6:7]
	v_mov_b64_e32 v[12:13], v[4:5]
	;; [unrolled: 1-line block ×3, first 2 shown]
	v_mov_b32_e32 v39, 0
                                        ; implicit-def: $sgpr24_sgpr25
                                        ; implicit-def: $vgpr40
	s_and_saveexec_b64 s[20:21], vcc
	s_cbranch_execz .LBB274_129
; %bb.86:
	ds_read_b128 v[34:37], v48 offset:2
	v_or_b32_e32 v2, 2, v41
	v_cmp_ne_u16_sdwa s[0:1], v30, v30 src0_sel:DWORD src1_sel:WORD_1
	v_cmp_gt_u32_e32 vcc, s86, v2
	v_mov_b32_e32 v19, 0
	v_cndmask_b32_e64 v3, 0, 1, s[0:1]
	s_waitcnt lgkmcnt(0)
	v_and_b32_e32 v2, 0xffff, v34
	v_lshl_or_b32 v18, v3, 16, v2
	v_mov_b64_e32 v[2:3], s[12:13]
	v_mov_b64_e32 v[8:9], s[18:19]
	;; [unrolled: 1-line block ×5, first 2 shown]
	v_mov_b32_e32 v20, v19
	v_mov_b32_e32 v21, v19
	s_mov_b64 s[0:1], 0
	v_mov_b64_e32 v[14:15], v[6:7]
	v_mov_b64_e32 v[12:13], v[4:5]
	v_mov_b64_e32 v[10:11], v[2:3]
	v_mov_b32_e32 v38, v19
	v_mov_b32_e32 v39, v19
                                        ; implicit-def: $sgpr12_sgpr13
                                        ; implicit-def: $vgpr40
	s_and_saveexec_b64 s[22:23], vcc
	s_cbranch_execz .LBB274_128
; %bb.87:
	v_cmp_ne_u16_sdwa s[0:1], v30, v31 src0_sel:WORD_1 src1_sel:DWORD
	s_mov_b32 s12, 0
	v_or_b32_e32 v2, 3, v41
	v_cndmask_b32_e64 v3, 0, 1, s[0:1]
	s_mov_b32 s13, s12
	v_alignbit_b32 v19, v3, v34, 16
	v_cmp_gt_u32_e32 vcc, s86, v2
	s_mov_b32 s14, s12
	s_mov_b32 s15, s12
	;; [unrolled: 1-line block ×6, first 2 shown]
	v_mov_b64_e32 v[2:3], s[12:13]
	v_mov_b64_e32 v[8:9], s[18:19]
	v_mov_b32_e32 v20, 0
	v_mov_b64_e32 v[4:5], s[14:15]
	v_mov_b64_e32 v[6:7], s[16:17]
	;; [unrolled: 1-line block ×3, first 2 shown]
	v_mov_b32_e32 v21, v20
	s_mov_b64 s[0:1], 0
	v_mov_b64_e32 v[14:15], v[6:7]
	v_mov_b64_e32 v[12:13], v[4:5]
	;; [unrolled: 1-line block ×3, first 2 shown]
	v_mov_b32_e32 v38, v20
	v_mov_b32_e32 v39, v20
                                        ; implicit-def: $sgpr26_sgpr27
                                        ; implicit-def: $vgpr40
	s_and_saveexec_b64 s[24:25], vcc
	s_cbranch_execz .LBB274_127
; %bb.88:
	v_cmp_ne_u16_sdwa s[0:1], v31, v31 src0_sel:DWORD src1_sel:WORD_1
	v_and_b32_e32 v2, 0xffff, v35
	v_or_b32_e32 v3, 4, v41
	v_cndmask_b32_e64 v4, 0, 1, s[0:1]
	v_lshl_or_b32 v20, v4, 16, v2
	v_cmp_gt_u32_e32 vcc, s86, v3
	v_mov_b64_e32 v[2:3], s[12:13]
	v_mov_b64_e32 v[8:9], s[18:19]
	;; [unrolled: 1-line block ×5, first 2 shown]
	v_mov_b32_e32 v21, s12
	s_mov_b64 s[0:1], 0
	v_mov_b32_e32 v38, 0
	v_mov_b64_e32 v[14:15], v[6:7]
	v_mov_b64_e32 v[12:13], v[4:5]
	;; [unrolled: 1-line block ×3, first 2 shown]
	v_mov_b32_e32 v39, 0
                                        ; implicit-def: $sgpr12_sgpr13
                                        ; implicit-def: $vgpr40
	s_and_saveexec_b64 s[26:27], vcc
	s_cbranch_execz .LBB274_126
; %bb.89:
	v_cmp_ne_u16_sdwa s[0:1], v31, v32 src0_sel:WORD_1 src1_sel:DWORD
	s_mov_b32 s12, 0
	v_or_b32_e32 v2, 5, v41
	v_cndmask_b32_e64 v3, 0, 1, s[0:1]
	s_mov_b32 s13, s12
	v_alignbit_b32 v21, v3, v35, 16
	v_cmp_gt_u32_e32 vcc, s86, v2
	s_mov_b32 s14, s12
	s_mov_b32 s15, s12
	;; [unrolled: 1-line block ×6, first 2 shown]
	v_mov_b64_e32 v[2:3], s[12:13]
	v_mov_b64_e32 v[8:9], s[18:19]
	;; [unrolled: 1-line block ×5, first 2 shown]
	s_mov_b64 s[0:1], 0
	v_mov_b32_e32 v38, 0
	v_mov_b64_e32 v[14:15], v[6:7]
	v_mov_b64_e32 v[12:13], v[4:5]
	;; [unrolled: 1-line block ×3, first 2 shown]
	v_mov_b32_e32 v39, 0
                                        ; implicit-def: $sgpr30_sgpr31
                                        ; implicit-def: $vgpr40
	s_and_saveexec_b64 s[28:29], vcc
	s_cbranch_execz .LBB274_125
; %bb.90:
	v_cmp_ne_u16_sdwa s[0:1], v32, v32 src0_sel:DWORD src1_sel:WORD_1
	v_and_b32_e32 v2, 0xffff, v36
	v_or_b32_e32 v3, 6, v41
	v_cndmask_b32_e64 v4, 0, 1, s[0:1]
	v_lshl_or_b32 v38, v4, 16, v2
	v_cmp_gt_u32_e32 vcc, s86, v3
	v_mov_b64_e32 v[2:3], s[12:13]
	v_mov_b64_e32 v[8:9], s[18:19]
	;; [unrolled: 1-line block ×5, first 2 shown]
	s_mov_b64 s[0:1], 0
	v_mov_b32_e32 v39, 0
	v_mov_b64_e32 v[14:15], v[6:7]
	v_mov_b64_e32 v[12:13], v[4:5]
	;; [unrolled: 1-line block ×3, first 2 shown]
                                        ; implicit-def: $sgpr12_sgpr13
                                        ; implicit-def: $vgpr40
	s_and_saveexec_b64 s[30:31], vcc
	s_cbranch_execz .LBB274_124
; %bb.91:
	s_mov_b32 s12, 0
	v_or_b32_e32 v3, 7, v41
	v_cmp_ne_u16_sdwa s[0:1], v32, v33 src0_sel:WORD_1 src1_sel:DWORD
	s_mov_b32 s13, s12
	v_cmp_gt_u32_e32 vcc, s86, v3
	v_cndmask_b32_e64 v2, 0, 1, s[0:1]
	v_mov_b32_e32 v3, 0
	s_mov_b32 s14, s12
	s_mov_b32 s15, s12
	;; [unrolled: 1-line block ×6, first 2 shown]
	v_mov_b64_e32 v[10:11], s[12:13]
	v_alignbit_b32 v2, v2, v36, 16
	v_mov_b32_e32 v4, v3
	v_mov_b32_e32 v5, v3
	;; [unrolled: 1-line block ×6, first 2 shown]
	s_mov_b64 s[0:1], 0
	v_mov_b64_e32 v[12:13], s[14:15]
	v_mov_b64_e32 v[14:15], s[16:17]
	;; [unrolled: 1-line block ×3, first 2 shown]
	v_mov_b32_e32 v39, v3
                                        ; implicit-def: $sgpr36_sgpr37
                                        ; implicit-def: $vgpr40
	s_and_saveexec_b64 s[34:35], vcc
	s_cbranch_execz .LBB274_123
; %bb.92:
	v_add_u32_e32 v4, 8, v41
	v_cmp_ne_u16_sdwa s[0:1], v33, v33 src0_sel:DWORD src1_sel:WORD_1
	v_and_b32_e32 v3, 0xffff, v37
	v_cmp_gt_u32_e32 vcc, s86, v4
	v_cndmask_b32_e64 v5, 0, 1, s[0:1]
	v_mov_b32_e32 v4, 0
	v_mov_b64_e32 v[10:11], s[12:13]
	v_lshl_or_b32 v3, v5, 16, v3
	v_mov_b32_e32 v5, v4
	v_mov_b32_e32 v6, v4
	;; [unrolled: 1-line block ×5, first 2 shown]
	s_mov_b64 s[0:1], 0
	v_mov_b64_e32 v[12:13], s[14:15]
	v_mov_b64_e32 v[14:15], s[16:17]
	;; [unrolled: 1-line block ×3, first 2 shown]
	v_mov_b32_e32 v39, v4
                                        ; implicit-def: $sgpr12_sgpr13
                                        ; implicit-def: $vgpr40
	s_and_saveexec_b64 s[36:37], vcc
	s_cbranch_execz .LBB274_122
; %bb.93:
	s_mov_b32 s12, 0
	v_add_u32_e32 v5, 9, v41
	v_cmp_ne_u16_sdwa s[0:1], v33, v26 src0_sel:WORD_1 src1_sel:DWORD
	s_mov_b32 s13, s12
	v_cmp_gt_u32_e32 vcc, s86, v5
	v_cndmask_b32_e64 v4, 0, 1, s[0:1]
	v_mov_b32_e32 v5, 0
	s_mov_b32 s14, s12
	s_mov_b32 s15, s12
	;; [unrolled: 1-line block ×6, first 2 shown]
	v_mov_b64_e32 v[10:11], s[12:13]
	v_alignbit_b32 v4, v4, v37, 16
	v_mov_b32_e32 v6, v5
	v_mov_b32_e32 v7, v5
	;; [unrolled: 1-line block ×4, first 2 shown]
	s_mov_b64 s[0:1], 0
	v_mov_b64_e32 v[12:13], s[14:15]
	v_mov_b64_e32 v[14:15], s[16:17]
	;; [unrolled: 1-line block ×3, first 2 shown]
	v_mov_b32_e32 v39, v5
                                        ; implicit-def: $sgpr40_sgpr41
                                        ; implicit-def: $vgpr40
	s_and_saveexec_b64 s[38:39], vcc
	s_cbranch_execz .LBB274_121
; %bb.94:
	ds_read_b128 v[30:33], v48 offset:18
	v_add_u32_e32 v5, 10, v41
	v_cmp_ne_u16_sdwa s[0:1], v26, v26 src0_sel:DWORD src1_sel:WORD_1
	v_cmp_gt_u32_e32 vcc, s86, v5
	v_mov_b64_e32 v[10:11], s[12:13]
	v_cndmask_b32_e64 v6, 0, 1, s[0:1]
	s_waitcnt lgkmcnt(0)
	v_and_b32_e32 v5, 0xffff, v30
	v_lshl_or_b32 v5, v6, 16, v5
	v_mov_b32_e32 v6, 0
	v_mov_b32_e32 v7, v6
	v_mov_b32_e32 v8, v6
	v_mov_b32_e32 v9, v6
	s_mov_b64 s[0:1], 0
	v_mov_b64_e32 v[12:13], s[14:15]
	v_mov_b64_e32 v[14:15], s[16:17]
	;; [unrolled: 1-line block ×3, first 2 shown]
	v_mov_b32_e32 v39, v6
                                        ; implicit-def: $sgpr12_sgpr13
                                        ; implicit-def: $vgpr40
	s_and_saveexec_b64 s[40:41], vcc
	s_cbranch_execz .LBB274_120
; %bb.95:
	s_mov_b32 s12, 0
	v_add_u32_e32 v7, 11, v41
	v_cmp_ne_u16_sdwa s[0:1], v26, v27 src0_sel:WORD_1 src1_sel:DWORD
	s_mov_b32 s13, s12
	v_cmp_gt_u32_e32 vcc, s86, v7
	v_cndmask_b32_e64 v6, 0, 1, s[0:1]
	v_mov_b32_e32 v7, 0
	s_mov_b32 s14, s12
	s_mov_b32 s15, s12
	;; [unrolled: 1-line block ×6, first 2 shown]
	v_mov_b64_e32 v[10:11], s[12:13]
	v_alignbit_b32 v6, v6, v30, 16
	v_mov_b32_e32 v8, v7
	v_mov_b32_e32 v9, v7
	s_mov_b64 s[0:1], 0
	v_mov_b64_e32 v[12:13], s[14:15]
	v_mov_b64_e32 v[14:15], s[16:17]
	;; [unrolled: 1-line block ×3, first 2 shown]
	v_mov_b32_e32 v39, v7
                                        ; implicit-def: $sgpr44_sgpr45
                                        ; implicit-def: $vgpr40
	s_and_saveexec_b64 s[42:43], vcc
	s_cbranch_execz .LBB274_119
; %bb.96:
	v_add_u32_e32 v8, 12, v41
	v_cmp_ne_u16_sdwa s[0:1], v27, v27 src0_sel:DWORD src1_sel:WORD_1
	v_and_b32_e32 v7, 0xffff, v31
	v_cmp_gt_u32_e32 vcc, s86, v8
	v_cndmask_b32_e64 v9, 0, 1, s[0:1]
	v_mov_b32_e32 v8, 0
	v_mov_b64_e32 v[10:11], s[12:13]
	v_lshl_or_b32 v7, v9, 16, v7
	v_mov_b32_e32 v9, v8
	s_mov_b64 s[0:1], 0
	v_mov_b64_e32 v[12:13], s[14:15]
	v_mov_b64_e32 v[14:15], s[16:17]
	;; [unrolled: 1-line block ×3, first 2 shown]
	v_mov_b32_e32 v39, v8
                                        ; implicit-def: $sgpr12_sgpr13
                                        ; implicit-def: $vgpr40
	s_and_saveexec_b64 s[44:45], vcc
	s_cbranch_execz .LBB274_118
; %bb.97:
	s_mov_b32 s12, 0
	v_cmp_ne_u16_sdwa s[0:1], v27, v28 src0_sel:WORD_1 src1_sel:DWORD
	s_mov_b32 s13, s12
	v_add_u32_e32 v9, 13, v41
	v_cndmask_b32_e64 v8, 0, 1, s[0:1]
	s_mov_b32 s14, s12
	s_mov_b32 s15, s12
	;; [unrolled: 1-line block ×6, first 2 shown]
	v_mov_b64_e32 v[10:11], s[12:13]
	v_alignbit_b32 v8, v8, v31, 16
	v_cmp_gt_u32_e32 vcc, s86, v9
	v_mov_b32_e32 v9, s12
	s_mov_b64 s[0:1], 0
	v_mov_b64_e32 v[12:13], s[14:15]
	v_mov_b64_e32 v[14:15], s[16:17]
	;; [unrolled: 1-line block ×3, first 2 shown]
	v_mov_b32_e32 v39, 0
                                        ; implicit-def: $sgpr48_sgpr49
                                        ; implicit-def: $vgpr40
	s_and_saveexec_b64 s[46:47], vcc
	s_cbranch_execz .LBB274_117
; %bb.98:
	v_cmp_ne_u16_sdwa s[0:1], v28, v28 src0_sel:DWORD src1_sel:WORD_1
	v_and_b32_e32 v9, 0xffff, v32
	v_add_u32_e32 v10, 14, v41
	v_cndmask_b32_e64 v11, 0, 1, s[0:1]
	v_lshl_or_b32 v9, v11, 16, v9
	v_cmp_gt_u32_e32 vcc, s86, v10
	v_mov_b64_e32 v[10:11], s[12:13]
	s_mov_b64 s[0:1], 0
	v_mov_b64_e32 v[12:13], s[14:15]
	v_mov_b64_e32 v[14:15], s[16:17]
	v_mov_b64_e32 v[16:17], s[18:19]
	v_mov_b32_e32 v39, 0
                                        ; implicit-def: $sgpr14_sgpr15
                                        ; implicit-def: $vgpr40
	s_and_saveexec_b64 s[12:13], vcc
	s_cbranch_execz .LBB274_116
; %bb.99:
	v_cmp_ne_u16_sdwa s[0:1], v28, v29 src0_sel:WORD_1 src1_sel:DWORD
	s_mov_b32 s48, 0
	v_add_u32_e32 v10, 15, v41
	v_cndmask_b32_e64 v11, 0, 1, s[0:1]
	s_mov_b32 s49, s48
	v_alignbit_b32 v39, v11, v32, 16
	v_cmp_gt_u32_e32 vcc, s86, v10
	s_mov_b32 s50, s48
	s_mov_b32 s51, s48
	;; [unrolled: 1-line block ×6, first 2 shown]
	v_mov_b64_e32 v[10:11], s[48:49]
	s_mov_b64 s[0:1], 0
	v_mov_b64_e32 v[12:13], s[50:51]
	v_mov_b64_e32 v[14:15], s[52:53]
	;; [unrolled: 1-line block ×3, first 2 shown]
                                        ; implicit-def: $sgpr16_sgpr17
                                        ; implicit-def: $vgpr40
	s_and_saveexec_b64 s[14:15], vcc
	s_cbranch_execz .LBB274_115
; %bb.100:
	v_cmp_ne_u16_sdwa s[0:1], v29, v29 src0_sel:DWORD src1_sel:WORD_1
	v_and_b32_e32 v10, 0xffff, v33
	v_add_u32_e32 v11, 16, v41
	v_cndmask_b32_e64 v12, 0, 1, s[0:1]
	v_lshl_or_b32 v10, v12, 16, v10
	v_mov_b32_e32 v12, 0
	v_cmp_gt_u32_e32 vcc, s86, v11
	v_mov_b32_e32 v11, v12
	v_mov_b32_e32 v13, v12
	;; [unrolled: 1-line block ×6, first 2 shown]
	s_mov_b64 s[0:1], 0
                                        ; implicit-def: $sgpr18_sgpr19
                                        ; implicit-def: $vgpr40
	s_and_saveexec_b64 s[16:17], vcc
	s_cbranch_execz .LBB274_114
; %bb.101:
	v_cmp_ne_u16_sdwa s[0:1], v29, v22 src0_sel:WORD_1 src1_sel:DWORD
	v_add_u32_e32 v13, 17, v41
	v_cmp_gt_u32_e32 vcc, s86, v13
	v_cndmask_b32_e64 v11, 0, 1, s[0:1]
	v_alignbit_b32 v11, v11, v33, 16
	v_mov_b32_e32 v13, v12
	v_mov_b32_e32 v14, v12
	v_mov_b32_e32 v15, v12
	v_mov_b32_e32 v16, v12
	v_mov_b32_e32 v17, v12
	s_mov_b64 s[0:1], 0
                                        ; implicit-def: $sgpr48_sgpr49
                                        ; implicit-def: $vgpr40
	s_and_saveexec_b64 s[18:19], vcc
	s_cbranch_execz .LBB274_113
; %bb.102:
	ds_read_b96 v[26:28], v48 offset:34
	v_add_u32_e32 v12, 18, v41
	v_cmp_ne_u16_sdwa s[0:1], v22, v22 src0_sel:DWORD src1_sel:WORD_1
	v_cmp_gt_u32_e32 vcc, s86, v12
	v_mov_b32_e32 v14, 0
	v_cndmask_b32_e64 v13, 0, 1, s[0:1]
	s_waitcnt lgkmcnt(0)
	v_and_b32_e32 v12, 0xffff, v26
	v_lshl_or_b32 v12, v13, 16, v12
	v_mov_b32_e32 v13, v14
	v_mov_b32_e32 v15, v14
	;; [unrolled: 1-line block ×4, first 2 shown]
	s_mov_b64 s[0:1], 0
                                        ; implicit-def: $sgpr50_sgpr51
                                        ; implicit-def: $vgpr40
	s_and_saveexec_b64 s[48:49], vcc
	s_cbranch_execz .LBB274_112
; %bb.103:
	v_cmp_ne_u16_sdwa s[0:1], v22, v23 src0_sel:WORD_1 src1_sel:DWORD
	v_add_u32_e32 v15, 19, v41
	v_cmp_gt_u32_e32 vcc, s86, v15
	v_cndmask_b32_e64 v13, 0, 1, s[0:1]
	v_alignbit_b32 v13, v13, v26, 16
	v_mov_b32_e32 v15, v14
	v_mov_b32_e32 v16, v14
	;; [unrolled: 1-line block ×3, first 2 shown]
	s_mov_b64 s[0:1], 0
                                        ; implicit-def: $sgpr52_sgpr53
                                        ; implicit-def: $vgpr40
	s_and_saveexec_b64 s[50:51], vcc
	s_cbranch_execz .LBB274_111
; %bb.104:
	v_cmp_ne_u16_sdwa s[0:1], v23, v23 src0_sel:DWORD src1_sel:WORD_1
	v_and_b32_e32 v14, 0xffff, v27
	v_add_u32_e32 v15, 20, v41
	v_cndmask_b32_e64 v16, 0, 1, s[0:1]
	v_lshl_or_b32 v14, v16, 16, v14
	v_mov_b32_e32 v16, 0
	v_cmp_gt_u32_e32 vcc, s86, v15
	v_mov_b32_e32 v15, v16
	v_mov_b32_e32 v17, v16
	s_mov_b64 s[0:1], 0
                                        ; implicit-def: $sgpr54_sgpr55
                                        ; implicit-def: $vgpr40
	s_and_saveexec_b64 s[52:53], vcc
	s_cbranch_execz .LBB274_110
; %bb.105:
	v_cmp_ne_u16_sdwa s[0:1], v23, v24 src0_sel:WORD_1 src1_sel:DWORD
	v_add_u32_e32 v17, 21, v41
	v_cmp_gt_u32_e32 vcc, s86, v17
	v_cndmask_b32_e64 v15, 0, 1, s[0:1]
	v_alignbit_b32 v15, v15, v27, 16
	s_mov_b32 s9, 0
	v_mov_b32_e32 v17, v16
	s_mov_b64 s[0:1], 0
                                        ; implicit-def: $sgpr68_sgpr69
                                        ; implicit-def: $vgpr40
	s_and_saveexec_b64 s[54:55], vcc
	s_cbranch_execz .LBB274_109
; %bb.106:
	v_cmp_ne_u16_sdwa s[0:1], v24, v24 src0_sel:DWORD src1_sel:WORD_1
	v_and_b32_e32 v16, 0xffff, v28
	v_add_u32_e32 v17, 22, v41
	v_cndmask_b32_e64 v22, 0, 1, s[0:1]
	v_lshl_or_b32 v16, v22, 16, v16
	v_cmp_gt_u32_e32 vcc, s86, v17
	v_mov_b32_e32 v17, s9
	s_mov_b64 s[0:1], 0
                                        ; implicit-def: $sgpr68_sgpr69
                                        ; implicit-def: $vgpr40
	s_and_saveexec_b64 s[84:85], vcc
	s_xor_b64 s[84:85], exec, s[84:85]
	s_cbranch_execz .LBB274_108
; %bb.107:
	ds_read_u16 v40, v48 offset:46
	v_add_u32_e32 v22, 23, v41
	v_cmp_ne_u16_sdwa s[0:1], v24, v25 src0_sel:WORD_1 src1_sel:DWORD
	v_cmp_ne_u16_e32 vcc, v25, v49
	s_and_b64 s[68:69], vcc, exec
	v_cndmask_b32_e64 v17, 0, 1, s[0:1]
	v_cmp_gt_u32_e64 s[0:1], s86, v22
	v_alignbit_b32 v17, v17, v28, 16
	s_and_b64 s[0:1], s[0:1], exec
.LBB274_108:
	s_or_b64 exec, exec, s[84:85]
	s_and_b64 s[68:69], s[68:69], exec
	s_and_b64 s[0:1], s[0:1], exec
.LBB274_109:
	s_or_b64 exec, exec, s[54:55]
	s_and_b64 s[54:55], s[68:69], exec
	s_and_b64 s[0:1], s[0:1], exec
.LBB274_110:
	s_or_b64 exec, exec, s[52:53]
	s_and_b64 s[52:53], s[54:55], exec
	s_and_b64 s[0:1], s[0:1], exec
.LBB274_111:
	s_or_b64 exec, exec, s[50:51]
	s_and_b64 s[50:51], s[52:53], exec
	s_and_b64 s[0:1], s[0:1], exec
.LBB274_112:
	s_or_b64 exec, exec, s[48:49]
	s_and_b64 s[48:49], s[50:51], exec
	s_and_b64 s[0:1], s[0:1], exec
.LBB274_113:
	s_or_b64 exec, exec, s[18:19]
	s_and_b64 s[18:19], s[48:49], exec
	s_and_b64 s[0:1], s[0:1], exec
.LBB274_114:
	s_or_b64 exec, exec, s[16:17]
	s_and_b64 s[16:17], s[18:19], exec
	s_and_b64 s[0:1], s[0:1], exec
.LBB274_115:
	s_or_b64 exec, exec, s[14:15]
	s_and_b64 s[14:15], s[16:17], exec
	s_and_b64 s[0:1], s[0:1], exec
.LBB274_116:
	s_or_b64 exec, exec, s[12:13]
	s_and_b64 s[48:49], s[14:15], exec
	s_and_b64 s[0:1], s[0:1], exec
.LBB274_117:
	s_or_b64 exec, exec, s[46:47]
	s_and_b64 s[12:13], s[48:49], exec
	s_and_b64 s[0:1], s[0:1], exec
.LBB274_118:
	s_or_b64 exec, exec, s[44:45]
	s_and_b64 s[44:45], s[12:13], exec
	s_and_b64 s[0:1], s[0:1], exec
.LBB274_119:
	s_or_b64 exec, exec, s[42:43]
	s_and_b64 s[12:13], s[44:45], exec
	s_and_b64 s[0:1], s[0:1], exec
.LBB274_120:
	s_or_b64 exec, exec, s[40:41]
	s_and_b64 s[40:41], s[12:13], exec
	s_and_b64 s[0:1], s[0:1], exec
.LBB274_121:
	s_or_b64 exec, exec, s[38:39]
	s_and_b64 s[12:13], s[40:41], exec
	s_and_b64 s[0:1], s[0:1], exec
.LBB274_122:
	s_or_b64 exec, exec, s[36:37]
	s_and_b64 s[36:37], s[12:13], exec
	s_and_b64 s[0:1], s[0:1], exec
.LBB274_123:
	s_or_b64 exec, exec, s[34:35]
	s_and_b64 s[12:13], s[36:37], exec
	s_and_b64 s[0:1], s[0:1], exec
.LBB274_124:
	s_or_b64 exec, exec, s[30:31]
	s_and_b64 s[30:31], s[12:13], exec
	s_and_b64 s[0:1], s[0:1], exec
.LBB274_125:
	s_or_b64 exec, exec, s[28:29]
	s_and_b64 s[12:13], s[30:31], exec
	s_and_b64 s[0:1], s[0:1], exec
.LBB274_126:
	s_or_b64 exec, exec, s[26:27]
	s_and_b64 s[26:27], s[12:13], exec
	s_and_b64 s[0:1], s[0:1], exec
.LBB274_127:
	s_or_b64 exec, exec, s[24:25]
	s_and_b64 s[12:13], s[26:27], exec
	s_and_b64 s[0:1], s[0:1], exec
.LBB274_128:
	s_or_b64 exec, exec, s[22:23]
	s_and_b64 s[24:25], s[12:13], exec
	s_and_b64 s[22:23], s[0:1], exec
.LBB274_129:
	s_or_b64 exec, exec, s[20:21]
	s_and_b64 s[0:1], s[24:25], exec
	s_and_b64 s[12:13], s[22:23], exec
.LBB274_130:
	s_or_b64 exec, exec, s[10:11]
	s_and_b64 vcc, exec, s[6:7]
	v_lshlrev_b32_e32 v22, 1, v0
	s_cbranch_vccnz .LBB274_132
	s_branch .LBB274_140
.LBB274_131:
                                        ; implicit-def: $sgpr0_sgpr1
                                        ; implicit-def: $vgpr18_vgpr19_vgpr20_vgpr21
                                        ; implicit-def: $vgpr2_vgpr3_vgpr4_vgpr5_vgpr6_vgpr7_vgpr8_vgpr9
                                        ; implicit-def: $vgpr10_vgpr11_vgpr12_vgpr13_vgpr14_vgpr15_vgpr16_vgpr17
                                        ; implicit-def: $vgpr40
                                        ; implicit-def: $vgpr1
                                        ; implicit-def: $vgpr38
                                        ; implicit-def: $vgpr39
                                        ; implicit-def: $sgpr8
	s_and_b64 vcc, exec, s[6:7]
	v_lshlrev_b32_e32 v22, 1, v0
	s_cbranch_vccz .LBB274_140
.LBB274_132:
	v_mov_b32_e32 v23, 0
	v_lshl_add_u64 v[2:3], s[64:65], 0, v[22:23]
	v_add_co_u32_e32 v4, vcc, 0x1000, v2
	flat_load_ushort v1, v[2:3]
	flat_load_ushort v6, v[2:3] offset:512
	flat_load_ushort v7, v[2:3] offset:1024
	;; [unrolled: 1-line block ×7, first 2 shown]
	v_addc_co_u32_e32 v5, vcc, 0, v3, vcc
	v_add_co_u32_e32 v2, vcc, 0x2000, v2
	flat_load_ushort v13, v[4:5]
	flat_load_ushort v14, v[4:5] offset:512
	flat_load_ushort v15, v[4:5] offset:1024
	;; [unrolled: 1-line block ×7, first 2 shown]
	v_addc_co_u32_e32 v3, vcc, 0, v3, vcc
	flat_load_ushort v5, v[2:3]
	flat_load_ushort v21, v[2:3] offset:512
	flat_load_ushort v23, v[2:3] offset:1024
	;; [unrolled: 1-line block ×7, first 2 shown]
	v_mad_u32_u24 v4, v0, 46, v22
	s_cmp_eq_u64 s[82:83], 0
	s_waitcnt vmcnt(0) lgkmcnt(0)
	ds_write_b16 v22, v1
	ds_write_b16 v22, v6 offset:512
	ds_write_b16 v22, v7 offset:1024
	;; [unrolled: 1-line block ×23, first 2 shown]
	s_waitcnt lgkmcnt(0)
	s_barrier
	ds_read_b64 v[2:3], v4
	ds_read_u16 v5, v4 offset:8
	ds_read_b128 v[10:13], v4 offset:10
	ds_read_u16 v14, v4 offset:26
	ds_read_b32 v15, v4 offset:44
	ds_read2_b32 v[26:27], v4 offset0:9 offset1:10
	ds_read2_b32 v[24:25], v4 offset0:7 offset1:8
	s_cbranch_scc1 .LBB274_137
; %bb.133:
	s_andn2_b64 vcc, exec, s[72:73]
	s_cbranch_vccnz .LBB274_318
; %bb.134:
	s_lshl_b64 s[0:1], s[82:83], 1
	s_add_u32 s0, s74, s0
	s_addc_u32 s1, s75, s1
	s_add_u32 s0, s0, -2
	s_addc_u32 s1, s1, -1
	s_cbranch_execnz .LBB274_136
.LBB274_135:
	s_add_u32 s0, s64, -2
	s_addc_u32 s1, s65, -1
.LBB274_136:
	s_mov_b64 s[64:65], s[0:1]
.LBB274_137:
	v_mov_b64_e32 v[6:7], s[64:65]
	flat_load_ushort v6, v[6:7]
	s_movk_i32 s0, 0xffd2
	s_waitcnt lgkmcnt(0)
	v_lshrrev_b32_e32 v1, 16, v15
	v_mad_i32_i24 v7, v0, s0, v4
	ds_write_b16 v7, v1 offset:12288
	s_waitcnt lgkmcnt(0)
	s_barrier
	s_and_saveexec_b64 s[0:1], s[4:5]
	s_cbranch_execz .LBB274_139
; %bb.138:
	s_waitcnt vmcnt(0)
	v_mul_i32_i24_e32 v6, 0xffffffd2, v0
	v_add_u32_e32 v6, v4, v6
	ds_read_u16 v6, v6 offset:12286
.LBB274_139:
	s_or_b64 exec, exec, s[0:1]
	v_mov_b32_e32 v23, 0
	v_lshl_add_u64 v[8:9], s[62:63], 0, v[22:23]
	s_movk_i32 s0, 0x1000
	v_add_co_u32_e32 v16, vcc, s0, v8
	s_movk_i32 s0, 0x2000
	s_nop 0
	v_addc_co_u32_e32 v17, vcc, 0, v9, vcc
	s_waitcnt lgkmcnt(0)
	s_barrier
	flat_load_ushort v7, v[8:9]
	flat_load_ushort v18, v[8:9] offset:512
	flat_load_ushort v19, v[8:9] offset:1024
	;; [unrolled: 1-line block ×7, first 2 shown]
	v_add_co_u32_e32 v8, vcc, s0, v8
	flat_load_ushort v30, v[16:17]
	flat_load_ushort v31, v[16:17] offset:512
	flat_load_ushort v32, v[16:17] offset:1024
	;; [unrolled: 1-line block ×7, first 2 shown]
	v_addc_co_u32_e32 v9, vcc, 0, v9, vcc
	flat_load_ushort v16, v[8:9]
	flat_load_ushort v17, v[8:9] offset:512
	flat_load_ushort v38, v[8:9] offset:1024
	;; [unrolled: 1-line block ×7, first 2 shown]
	s_waitcnt vmcnt(0)
	v_cmp_ne_u16_e32 vcc, v6, v2
	v_cmp_ne_u16_sdwa s[6:7], v3, v5 src0_sel:WORD_1 src1_sel:DWORD
	v_cmp_ne_u16_e64 s[0:1], v15, v1
	v_cndmask_b32_e64 v1, 0, 1, vcc
	v_cndmask_b32_e64 v9, 0, 1, s[6:7]
	v_cmp_ne_u16_sdwa s[6:7], v2, v3 src0_sel:WORD_1 src1_sel:DWORD
	v_cmp_ne_u16_e32 vcc, v5, v10
	s_mov_b64 s[12:13], -1
	v_cndmask_b32_e64 v44, 0, 1, s[6:7]
	v_cmp_ne_u16_sdwa s[6:7], v3, v3 src0_sel:DWORD src1_sel:WORD_1
                                        ; implicit-def: $sgpr8
	s_waitcnt lgkmcnt(0)
	ds_write_b16 v22, v7
	ds_write_b16 v22, v18 offset:512
	ds_write_b16 v22, v19 offset:1024
	;; [unrolled: 1-line block ×23, first 2 shown]
	s_waitcnt lgkmcnt(0)
	s_barrier
	ds_read_b96 v[6:8], v4
	ds_read_b128 v[28:31], v4 offset:30
	ds_read_u16 v40, v4 offset:46
	ds_read2_b32 v[16:17], v4 offset0:3 offset1:4
	v_cndmask_b32_e64 v3, 0, 1, s[6:7]
	v_cmp_ne_u16_sdwa s[6:7], v2, v2 src0_sel:DWORD src1_sel:WORD_1
	s_waitcnt lgkmcnt(3)
	v_and_b32_e32 v19, 0xffff, v6
	v_and_b32_e32 v23, 0xffff, v7
	v_lshl_or_b32 v1, v1, 16, v19
	v_lshl_or_b32 v19, v44, 16, v23
	ds_read_u16 v23, v4 offset:28
	ds_read2_b32 v[32:33], v4 offset0:5 offset1:6
	v_cndmask_b32_e64 v2, 0, 1, s[6:7]
	v_cmp_ne_u16_sdwa s[6:7], v13, v13 src0_sel:DWORD src1_sel:WORD_1
	v_alignbit_b32 v18, v2, v6, 16
	v_cndmask_b32_e64 v2, 0, 1, vcc
	s_waitcnt lgkmcnt(0)
	v_and_b32_e32 v5, 0xffff, v33
	v_cndmask_b32_e64 v6, 0, 1, s[6:7]
	v_cmp_ne_u16_sdwa s[6:7], v12, v12 src0_sel:DWORD src1_sel:WORD_1
	v_and_b32_e32 v21, 0xffff, v8
	v_alignbit_b32 v38, v2, v8, 16
	v_and_b32_e32 v4, 0xffff, v32
	v_lshl_or_b32 v8, v6, 16, v5
	v_cndmask_b32_e64 v5, 0, 1, s[6:7]
	v_cmp_ne_u16_sdwa s[6:7], v11, v11 src0_sel:DWORD src1_sel:WORD_1
	v_alignbit_b32 v20, v3, v7, 16
	v_and_b32_e32 v3, 0xffff, v17
	v_lshl_or_b32 v6, v5, 16, v4
	v_cndmask_b32_e64 v4, 0, 1, s[6:7]
	v_cmp_ne_u16_sdwa s[6:7], v10, v10 src0_sel:DWORD src1_sel:WORD_1
	v_and_b32_e32 v2, 0xffff, v16
	v_lshl_or_b32 v4, v4, 16, v3
	v_cndmask_b32_e64 v3, 0, 1, s[6:7]
	v_cmp_ne_u16_sdwa s[6:7], v13, v14 src0_sel:WORD_1 src1_sel:DWORD
	v_lshl_or_b32 v2, v3, 16, v2
	v_lshl_or_b32 v21, v9, 16, v21
	v_cndmask_b32_e64 v3, 0, 1, s[6:7]
	v_cmp_ne_u16_sdwa s[6:7], v12, v13 src0_sel:WORD_1 src1_sel:DWORD
	v_alignbit_b32 v9, v3, v33, 16
	v_cmp_ne_u16_e32 vcc, v14, v24
	v_cndmask_b32_e64 v3, 0, 1, s[6:7]
	v_cmp_ne_u16_sdwa s[6:7], v11, v12 src0_sel:WORD_1 src1_sel:DWORD
	v_alignbit_b32 v7, v3, v32, 16
	v_and_b32_e32 v13, 0xffff, v31
	v_cndmask_b32_e64 v3, 0, 1, s[6:7]
	v_cmp_ne_u16_sdwa s[6:7], v10, v11 src0_sel:WORD_1 src1_sel:DWORD
	v_alignbit_b32 v5, v3, v17, 16
	v_and_b32_e32 v12, 0xffff, v30
	v_cndmask_b32_e64 v3, 0, 1, s[6:7]
	v_cmp_ne_u16_sdwa s[6:7], v27, v27 src0_sel:DWORD src1_sel:WORD_1
	v_alignbit_b32 v3, v3, v16, 16
	v_cndmask_b32_e64 v10, 0, 1, vcc
	v_cndmask_b32_e64 v14, 0, 1, s[6:7]
	v_cmp_ne_u16_sdwa s[6:7], v26, v26 src0_sel:DWORD src1_sel:WORD_1
	v_lshl_or_b32 v16, v14, 16, v13
	v_and_b32_e32 v11, 0xffff, v29
	v_cndmask_b32_e64 v13, 0, 1, s[6:7]
	v_cmp_ne_u16_sdwa s[6:7], v25, v25 src0_sel:DWORD src1_sel:WORD_1
	v_lshl_or_b32 v14, v13, 16, v12
	v_lshl_or_b32 v39, v10, 16, v23
	v_cndmask_b32_e64 v12, 0, 1, s[6:7]
	v_cmp_ne_u16_sdwa s[6:7], v24, v24 src0_sel:DWORD src1_sel:WORD_1
	v_and_b32_e32 v10, 0xffff, v28
	v_lshl_or_b32 v12, v12, 16, v11
	v_cndmask_b32_e64 v11, 0, 1, s[6:7]
	v_cmp_ne_u16_sdwa s[6:7], v27, v15 src0_sel:WORD_1 src1_sel:DWORD
	v_lshl_or_b32 v10, v11, 16, v10
	s_nop 0
	v_cndmask_b32_e64 v11, 0, 1, s[6:7]
	v_cmp_ne_u16_sdwa s[6:7], v26, v27 src0_sel:WORD_1 src1_sel:DWORD
	v_alignbit_b32 v17, v11, v31, 16
	s_nop 0
	v_cndmask_b32_e64 v11, 0, 1, s[6:7]
	v_cmp_ne_u16_sdwa s[6:7], v25, v26 src0_sel:WORD_1 src1_sel:DWORD
	v_alignbit_b32 v15, v11, v30, 16
	;; [unrolled: 4-line block ×3, first 2 shown]
	s_nop 0
	v_cndmask_b32_e64 v11, 0, 1, s[6:7]
	v_alignbit_b32 v11, v11, v28, 16
.LBB274_140:
	v_mov_b32_e32 v23, s8
	s_and_saveexec_b64 s[6:7], s[12:13]
	s_cbranch_execz .LBB274_142
; %bb.141:
	v_mov_b32_e32 v23, 0x10000
	v_cndmask_b32_e64 v23, 0, v23, s[0:1]
	s_waitcnt lgkmcnt(0)
	v_or_b32_sdwa v23, v23, v40 dst_sel:DWORD dst_unused:UNUSED_PAD src0_sel:DWORD src1_sel:WORD_0
.LBB274_142:
	s_or_b64 exec, exec, s[6:7]
	s_cmp_lg_u32 s79, 0
	v_mbcnt_lo_u32_b32 v34, -1, 0
	s_waitcnt lgkmcnt(0)
	s_barrier
	s_cbranch_scc0 .LBB274_209
; %bb.143:
	s_mov_b32 s0, 0x10000
	v_cmp_gt_u32_e64 s[6:7], s0, v18
	v_cmp_gt_u32_e64 s[8:9], s0, v19
	v_cmp_gt_u32_e64 s[10:11], s0, v20
	v_cndmask_b32_e64 v24, 0, v1, s[6:7]
	v_add_u16_e32 v24, v24, v18
	v_cndmask_b32_e64 v24, 0, v24, s[8:9]
	v_add_u16_e32 v24, v24, v19
	v_cndmask_b32_e64 v24, 0, v24, s[10:11]
	v_add_u16_e32 v24, v24, v20
	v_cmp_gt_u32_e64 s[12:13], s0, v21
	v_cmp_gt_u32_e64 s[14:15], s0, v38
	v_cmp_gt_u32_e64 s[16:17], s0, v2
	v_cndmask_b32_e64 v24, 0, v24, s[12:13]
	v_add_u16_e32 v24, v24, v21
	v_cndmask_b32_e64 v24, 0, v24, s[14:15]
	v_add_u16_e32 v24, v24, v38
	v_cndmask_b32_e64 v24, 0, v24, s[16:17]
	v_add_u16_e32 v24, v24, v2
	;; [unrolled: 9-line block ×5, first 2 shown]
	v_cmp_gt_u32_e64 s[38:39], s0, v11
	v_cmp_gt_u32_e64 s[40:41], s0, v12
	v_or3_b32 v25, v23, v17, v16
	v_cndmask_b32_e64 v24, 0, v24, s[38:39]
	v_add_u16_e32 v24, v24, v11
	v_cndmask_b32_e64 v24, 0, v24, s[40:41]
	v_add_u16_e32 v24, v24, v12
	v_cmp_gt_u32_e64 s[42:43], s0, v13
	v_or3_b32 v25, v25, v15, v14
	v_or3_b32 v25, v25, v13, v12
	v_cndmask_b32_e64 v24, 0, v24, s[42:43]
	v_add_u16_e32 v24, v24, v13
	v_cmp_gt_u32_e64 s[44:45], s0, v14
	v_or3_b32 v25, v25, v11, v10
	v_or3_b32 v25, v25, v39, v9
	;; [unrolled: 5-line block ×5, first 2 shown]
	v_cndmask_b32_e64 v24, 0, v24, s[50:51]
	v_add_u16_e32 v24, v24, v17
	v_cmp_gt_u32_e64 s[52:53], s0, v23
	v_and_b32_e32 v25, 0x10000, v25
	v_lshrrev_b32_e32 v35, 16, v1
	v_cndmask_b32_e64 v26, 0, v24, s[52:53]
	v_cmp_ne_u32_e32 vcc, 0, v25
	v_add_u16_e32 v24, v26, v23
	v_mbcnt_hi_u32_b32 v27, -1, v34
	v_cndmask_b32_e64 v25, v35, 1, vcc
	v_add_u16_e32 v26, v26, v23
	v_and_b32_e32 v29, 15, v27
	v_lshl_or_b32 v26, v25, 16, v26
	v_cmp_ne_u32_e32 vcc, 0, v29
	s_nop 0
	v_mov_b32_dpp v28, v26 row_shr:1 row_mask:0xf bank_mask:0xf
	s_and_saveexec_b64 s[0:1], vcc
	s_cbranch_execz .LBB274_145
; %bb.144:
	v_cmp_eq_u32_e32 vcc, 0, v25
	v_and_b32_e32 v25, 1, v25
	v_mov_b32_e32 v31, 1
	v_cndmask_b32_e32 v26, 0, v28, vcc
	v_and_b32_sdwa v28, v28, v31 dst_sel:DWORD dst_unused:UNUSED_PAD src0_sel:WORD_1 src1_sel:DWORD
	v_cmp_eq_u32_e32 vcc, 1, v25
	v_add_u16_e32 v30, v26, v24
	v_add_u16_e32 v24, v26, v24
	v_cndmask_b32_e64 v25, v28, 1, vcc
	v_lshlrev_b32_e32 v28, 16, v25
	v_or_b32_e32 v26, v28, v24
	v_mov_b32_e32 v24, v30
.LBB274_145:
	s_or_b64 exec, exec, s[0:1]
	v_lshrrev_b32_e32 v28, 16, v26
	v_mov_b32_dpp v30, v26 row_shr:2 row_mask:0xf bank_mask:0xf
	v_cmp_lt_u32_e32 vcc, 1, v29
	s_and_saveexec_b64 s[0:1], vcc
	s_cbranch_execz .LBB274_147
; %bb.146:
	s_mov_b32 s54, 0x10000
	v_cmp_gt_u32_e32 vcc, s54, v26
	v_and_b32_e32 v25, 0x10000, v26
	v_mov_b32_e32 v26, 1
	v_cndmask_b32_e32 v28, 0, v30, vcc
	v_and_b32_sdwa v26, v30, v26 dst_sel:DWORD dst_unused:UNUSED_PAD src0_sel:WORD_1 src1_sel:DWORD
	v_cmp_ne_u32_e32 vcc, 0, v25
	v_add_u16_e32 v31, v28, v24
	v_add_u16_e32 v24, v28, v24
	v_cndmask_b32_e64 v25, v26, 1, vcc
	v_lshlrev_b32_e32 v26, 16, v25
	v_or_b32_e32 v26, v26, v24
	v_mov_b32_e32 v28, v25
	v_mov_b32_e32 v24, v31
.LBB274_147:
	s_or_b64 exec, exec, s[0:1]
	v_mov_b32_dpp v30, v26 row_shr:4 row_mask:0xf bank_mask:0xf
	v_cmp_lt_u32_e32 vcc, 3, v29
	s_and_saveexec_b64 s[0:1], vcc
	s_cbranch_execz .LBB274_149
; %bb.148:
	v_mov_b32_e32 v25, 0
	v_cmp_eq_u16_sdwa vcc, v28, v25 src0_sel:BYTE_0 src1_sel:DWORD
	v_and_b32_e32 v25, 1, v28
	v_mov_b32_e32 v28, 1
	v_cndmask_b32_e32 v26, 0, v30, vcc
	v_and_b32_sdwa v28, v30, v28 dst_sel:DWORD dst_unused:UNUSED_PAD src0_sel:WORD_1 src1_sel:DWORD
	v_cmp_eq_u32_e32 vcc, 1, v25
	v_add_u16_e32 v31, v26, v24
	v_add_u16_e32 v24, v26, v24
	v_cndmask_b32_e64 v25, v28, 1, vcc
	v_lshlrev_b32_e32 v28, 16, v25
	v_or_b32_e32 v26, v28, v24
	v_mov_b32_e32 v28, v25
	v_mov_b32_e32 v24, v31
.LBB274_149:
	s_or_b64 exec, exec, s[0:1]
	v_mov_b32_dpp v30, v26 row_shr:8 row_mask:0xf bank_mask:0xf
	v_cmp_lt_u32_e32 vcc, 7, v29
	s_and_saveexec_b64 s[0:1], vcc
	s_cbranch_execz .LBB274_151
; %bb.150:
	v_mov_b32_e32 v25, 0
	v_cmp_eq_u16_sdwa vcc, v28, v25 src0_sel:BYTE_0 src1_sel:DWORD
	v_and_b32_e32 v25, 1, v28
	v_mov_b32_e32 v28, 1
	v_cndmask_b32_e32 v26, 0, v30, vcc
	v_and_b32_sdwa v28, v30, v28 dst_sel:DWORD dst_unused:UNUSED_PAD src0_sel:WORD_1 src1_sel:DWORD
	v_cmp_eq_u32_e32 vcc, 1, v25
	v_add_u16_e32 v29, v26, v24
	v_add_u16_e32 v24, v26, v24
	v_cndmask_b32_e64 v25, v28, 1, vcc
	v_lshlrev_b32_e32 v28, 16, v25
	v_or_b32_e32 v26, v28, v24
	v_mov_b32_e32 v28, v25
	v_mov_b32_e32 v24, v29
.LBB274_151:
	s_or_b64 exec, exec, s[0:1]
	v_and_b32_e32 v30, 16, v27
	v_mov_b32_dpp v29, v26 row_bcast:15 row_mask:0xf bank_mask:0xf
	v_cmp_ne_u32_e32 vcc, 0, v30
	s_and_saveexec_b64 s[0:1], vcc
	s_cbranch_execz .LBB274_153
; %bb.152:
	v_mov_b32_e32 v25, 0
	v_cmp_eq_u16_sdwa vcc, v28, v25 src0_sel:BYTE_0 src1_sel:DWORD
	v_and_b32_e32 v25, 1, v28
	v_mov_b32_e32 v28, 1
	v_cndmask_b32_e32 v26, 0, v29, vcc
	v_and_b32_sdwa v28, v29, v28 dst_sel:DWORD dst_unused:UNUSED_PAD src0_sel:WORD_1 src1_sel:DWORD
	v_cmp_eq_u32_e32 vcc, 1, v25
	v_add_u16_e32 v30, v26, v24
	v_add_u16_e32 v24, v26, v24
	v_cndmask_b32_e64 v25, v28, 1, vcc
	v_lshlrev_b32_e32 v28, 16, v25
	v_or_b32_e32 v26, v28, v24
	v_mov_b32_e32 v24, v30
	v_mov_b32_e32 v28, v25
.LBB274_153:
	s_or_b64 exec, exec, s[0:1]
	v_mov_b32_dpp v26, v26 row_bcast:31 row_mask:0xf bank_mask:0xf
	v_cmp_lt_u32_e32 vcc, 31, v27
	s_and_saveexec_b64 s[0:1], vcc
; %bb.154:
	v_mov_b32_e32 v25, 0
	v_cmp_eq_u16_sdwa vcc, v28, v25 src0_sel:BYTE_0 src1_sel:DWORD
	s_nop 1
	v_cndmask_b32_e32 v25, 0, v26, vcc
	v_add_u16_e32 v24, v25, v24
	v_and_b32_e32 v25, 1, v28
	v_mov_b32_e32 v28, 1
	v_and_b32_sdwa v26, v26, v28 dst_sel:DWORD dst_unused:UNUSED_PAD src0_sel:WORD_1 src1_sel:DWORD
	v_cmp_eq_u32_e32 vcc, 1, v25
	s_nop 1
	v_cndmask_b32_e64 v25, v26, 1, vcc
; %bb.155:
	s_or_b64 exec, exec, s[0:1]
	v_or_b32_e32 v28, 63, v0
	v_lshrrev_b32_e32 v26, 6, v0
	v_cmp_eq_u32_e32 vcc, v28, v0
	s_and_saveexec_b64 s[0:1], vcc
	s_cbranch_execz .LBB274_157
; %bb.156:
	v_lshlrev_b32_e32 v28, 2, v26
	ds_write_b16 v28, v24
	ds_write_b8 v28, v25 offset:2
.LBB274_157:
	s_or_b64 exec, exec, s[0:1]
	v_cmp_gt_u32_e32 vcc, 4, v0
	s_waitcnt lgkmcnt(0)
	s_barrier
	s_and_saveexec_b64 s[0:1], vcc
	s_cbranch_execz .LBB274_163
; %bb.158:
	v_lshlrev_b32_e32 v28, 2, v0
	ds_read_b32 v29, v28
	v_and_b32_e32 v32, 3, v27
	v_cmp_ne_u32_e32 vcc, 0, v32
	s_waitcnt lgkmcnt(0)
	v_lshrrev_b32_e32 v31, 16, v29
	v_mov_b32_dpp v33, v29 row_shr:1 row_mask:0xf bank_mask:0xf
	v_mov_b32_e32 v30, v29
	s_and_saveexec_b64 s[54:55], vcc
	s_cbranch_execz .LBB274_160
; %bb.159:
	v_mov_b32_e32 v30, 0
	v_cmp_eq_u16_sdwa vcc, v31, v30 src0_sel:BYTE_0 src1_sel:DWORD
	v_and_b32_e32 v31, 0x10000, v29
	v_mov_b32_e32 v40, 1
	v_cndmask_b32_e32 v37, 0, v33, vcc
	v_and_b32_sdwa v33, v33, v40 dst_sel:DWORD dst_unused:UNUSED_PAD src0_sel:WORD_1 src1_sel:DWORD
	v_cmp_ne_u32_e32 vcc, 0, v31
	v_and_b32_e32 v36, 0xff000000, v29
	v_add_u16_e32 v30, v37, v29
	v_cndmask_b32_e64 v31, v33, 1, vcc
	v_lshlrev_b32_e32 v33, 16, v31
	v_add_u16_e32 v29, v37, v29
	v_or3_b32 v29, v33, v36, v29
.LBB274_160:
	s_or_b64 exec, exec, s[54:55]
	s_nop 0
	v_mov_b32_dpp v33, v29 row_shr:2 row_mask:0xf bank_mask:0xf
	v_cmp_lt_u32_e32 vcc, 1, v32
	s_and_saveexec_b64 s[54:55], vcc
; %bb.161:
	v_and_b32_e32 v31, 0xff0000, v29
	v_cmp_eq_u32_e32 vcc, 0, v31
	v_and_b32_e32 v29, 0x10000, v29
	s_nop 0
	v_cndmask_b32_e32 v31, 0, v33, vcc
	v_add_u16_e32 v30, v31, v30
	v_mov_b32_e32 v31, 1
	v_and_b32_sdwa v31, v33, v31 dst_sel:DWORD dst_unused:UNUSED_PAD src0_sel:WORD_1 src1_sel:DWORD
	v_cmp_eq_u32_e32 vcc, 0, v29
	s_nop 1
	v_cndmask_b32_e32 v31, 1, v31, vcc
; %bb.162:
	s_or_b64 exec, exec, s[54:55]
	ds_write_b16 v28, v30
	ds_write_b8 v28, v31 offset:2
.LBB274_163:
	s_or_b64 exec, exec, s[0:1]
	v_cmp_gt_u32_e32 vcc, 64, v0
	v_cmp_lt_u32_e64 s[0:1], 63, v0
	v_mov_b32_e32 v36, 0
	v_mov_b32_e32 v37, 0
	s_waitcnt lgkmcnt(0)
	s_barrier
	s_and_saveexec_b64 s[54:55], s[0:1]
	s_cbranch_execz .LBB274_165
; %bb.164:
	v_lshl_add_u32 v26, v26, 2, -4
	ds_read_u16 v36, v26
	ds_read_u8 v37, v26 offset:2
	v_mov_b32_e32 v28, 0
	v_and_b32_e32 v29, 1, v25
	v_cmp_eq_u16_sdwa s[0:1], v25, v28 src0_sel:BYTE_0 src1_sel:DWORD
	s_waitcnt lgkmcnt(1)
	s_nop 0
	v_cndmask_b32_e64 v25, 0, v36, s[0:1]
	v_cmp_eq_u32_e64 s[0:1], 1, v29
	v_add_u16_e32 v24, v25, v24
	s_waitcnt lgkmcnt(0)
	v_cndmask_b32_e64 v25, v37, 1, s[0:1]
.LBB274_165:
	s_or_b64 exec, exec, s[54:55]
	v_and_b32_e32 v25, 0xff, v25
	v_and_b32_e32 v24, 0xffff, v24
	v_lshl_or_b32 v24, v25, 16, v24
	v_add_u32_e32 v25, -1, v27
	v_and_b32_e32 v26, 64, v27
	v_cmp_lt_i32_e64 s[0:1], v25, v26
	v_cmp_eq_u32_e64 s[54:55], 0, v27
	s_nop 0
	v_cndmask_b32_e64 v25, v25, v27, s[0:1]
	v_lshlrev_b32_e32 v25, 2, v25
	ds_bpermute_b32 v40, v25, v24
	s_and_saveexec_b64 s[0:1], vcc
	s_cbranch_execz .LBB274_208
; %bb.166:
	v_mov_b32_e32 v31, 0
	ds_read_b32 v24, v31 offset:12
	s_and_saveexec_b64 s[62:63], s[54:55]
	s_cbranch_execz .LBB274_168
; %bb.167:
	s_add_i32 s64, s79, 64
	s_mov_b32 s65, 0
	s_lshl_b64 s[64:65], s[64:65], 3
	s_add_u32 s64, s76, s64
	v_mov_b32_e32 v25, 1
	s_addc_u32 s65, s77, s65
	s_waitcnt lgkmcnt(0)
	global_store_dwordx2 v31, v[24:25], s[64:65] sc1
.LBB274_168:
	s_or_b64 exec, exec, s[62:63]
	v_xad_u32 v26, v27, -1, s79
	v_add_u32_e32 v30, 64, v26
	v_lshl_add_u64 v[32:33], v[30:31], 3, s[76:77]
	global_load_dwordx2 v[28:29], v[32:33], off sc1
	s_waitcnt vmcnt(0)
	v_cmp_eq_u16_sdwa s[64:65], v29, v31 src0_sel:BYTE_0 src1_sel:DWORD
	s_and_saveexec_b64 s[62:63], s[64:65]
	s_cbranch_execz .LBB274_172
; %bb.169:
	s_mov_b64 s[64:65], 0
	v_mov_b32_e32 v25, 0
.LBB274_170:                            ; =>This Inner Loop Header: Depth=1
	global_load_dwordx2 v[28:29], v[32:33], off sc1
	s_waitcnt vmcnt(0)
	v_cmp_ne_u16_sdwa s[68:69], v29, v25 src0_sel:BYTE_0 src1_sel:DWORD
	s_or_b64 s[64:65], s[68:69], s[64:65]
	s_andn2_b64 exec, exec, s[64:65]
	s_cbranch_execnz .LBB274_170
; %bb.171:
	s_or_b64 exec, exec, s[64:65]
.LBB274_172:
	s_or_b64 exec, exec, s[62:63]
	v_mov_b32_e32 v25, 2
	v_cmp_eq_u16_sdwa s[62:63], v29, v25 src0_sel:BYTE_0 src1_sel:DWORD
	v_lshlrev_b64 v[30:31], v27, -1
	v_and_b32_e32 v52, 0xffffff, v28
	v_and_b32_e32 v25, s63, v31
	v_or_b32_e32 v25, 0x80000000, v25
	v_ffbl_b32_e32 v25, v25
	v_add_u32_e32 v33, 32, v25
	v_and_b32_e32 v25, 63, v27
	v_cmp_ne_u32_e32 vcc, 63, v25
	v_and_b32_e32 v32, s62, v30
	v_ffbl_b32_e32 v32, v32
	v_addc_co_u32_e32 v41, vcc, 0, v27, vcc
	v_lshlrev_b32_e32 v41, 2, v41
	ds_bpermute_b32 v42, v41, v52
	v_min_u32_e32 v33, v32, v33
	v_lshrrev_b32_e32 v32, 16, v28
	v_cmp_lt_u32_e32 vcc, v25, v33
	v_bfe_u32 v50, v28, 16, 8
	s_and_saveexec_b64 s[62:63], vcc
	s_cbranch_execz .LBB274_174
; %bb.173:
	v_and_b32_e32 v32, 0xff0000, v28
	v_cmp_eq_u32_e32 vcc, 0, v32
	v_and_b32_e32 v32, 0x10000, v32
	v_mov_b32_e32 v45, 1
	s_waitcnt lgkmcnt(0)
	v_cndmask_b32_e32 v43, 0, v42, vcc
	v_and_b32_sdwa v42, v42, v45 dst_sel:DWORD dst_unused:UNUSED_PAD src0_sel:WORD_1 src1_sel:DWORD
	v_cmp_ne_u32_e32 vcc, 0, v32
	v_add_u16_e32 v44, v43, v28
	v_add_u16_e32 v28, v43, v28
	v_cndmask_b32_e64 v32, v42, 1, vcc
	v_lshlrev_b32_e32 v42, 16, v32
	v_or_b32_e32 v52, v42, v28
	v_mov_b32_e32 v28, v44
	v_mov_b32_e32 v50, v32
.LBB274_174:
	s_or_b64 exec, exec, s[62:63]
	v_cmp_gt_u32_e32 vcc, 62, v25
	v_add_u32_e32 v43, 2, v25
	s_waitcnt lgkmcnt(0)
	v_cndmask_b32_e64 v42, 0, 1, vcc
	v_lshlrev_b32_e32 v42, 1, v42
	v_add_lshl_u32 v42, v42, v27, 2
	ds_bpermute_b32 v44, v42, v52
	v_cmp_le_u32_e32 vcc, v43, v33
	s_and_saveexec_b64 s[62:63], vcc
	s_cbranch_execz .LBB274_176
; %bb.175:
	v_cmp_eq_u16_e32 vcc, 0, v50
	v_and_b32_e32 v32, 1, v50
	v_mov_b32_e32 v47, 1
	s_waitcnt lgkmcnt(0)
	v_cndmask_b32_e32 v45, 0, v44, vcc
	v_and_b32_sdwa v44, v44, v47 dst_sel:DWORD dst_unused:UNUSED_PAD src0_sel:WORD_1 src1_sel:DWORD
	v_cmp_eq_u32_e32 vcc, 1, v32
	v_add_u16_e32 v46, v45, v28
	v_add_u16_e32 v28, v45, v28
	v_cndmask_b32_e64 v32, v44, 1, vcc
	v_lshlrev_b32_e32 v44, 16, v32
	v_or_b32_e32 v52, v44, v28
	v_mov_b32_e32 v28, v46
	v_mov_b32_e32 v50, v32
.LBB274_176:
	s_or_b64 exec, exec, s[62:63]
	v_cmp_gt_u32_e32 vcc, 60, v25
	v_add_u32_e32 v45, 4, v25
	s_waitcnt lgkmcnt(0)
	v_cndmask_b32_e64 v44, 0, 1, vcc
	v_lshlrev_b32_e32 v44, 2, v44
	v_add_lshl_u32 v44, v44, v27, 2
	ds_bpermute_b32 v46, v44, v52
	v_cmp_le_u32_e32 vcc, v45, v33
	s_and_saveexec_b64 s[62:63], vcc
	s_cbranch_execz .LBB274_178
; %bb.177:
	v_cmp_eq_u16_e32 vcc, 0, v50
	v_and_b32_e32 v32, 1, v50
	v_mov_b32_e32 v49, 1
	s_waitcnt lgkmcnt(0)
	v_cndmask_b32_e32 v47, 0, v46, vcc
	v_and_b32_sdwa v46, v46, v49 dst_sel:DWORD dst_unused:UNUSED_PAD src0_sel:WORD_1 src1_sel:DWORD
	v_cmp_eq_u32_e32 vcc, 1, v32
	v_add_u16_e32 v48, v47, v28
	v_add_u16_e32 v28, v47, v28
	v_cndmask_b32_e64 v32, v46, 1, vcc
	v_lshlrev_b32_e32 v46, 16, v32
	v_or_b32_e32 v52, v46, v28
	v_mov_b32_e32 v28, v48
	v_mov_b32_e32 v50, v32
.LBB274_178:
	s_or_b64 exec, exec, s[62:63]
	v_cmp_gt_u32_e32 vcc, 56, v25
	v_add_u32_e32 v47, 8, v25
	s_waitcnt lgkmcnt(0)
	v_cndmask_b32_e64 v46, 0, 1, vcc
	v_lshlrev_b32_e32 v46, 3, v46
	v_add_lshl_u32 v46, v46, v27, 2
	ds_bpermute_b32 v48, v46, v52
	v_cmp_le_u32_e32 vcc, v47, v33
	s_and_saveexec_b64 s[62:63], vcc
	s_cbranch_execz .LBB274_180
; %bb.179:
	v_cmp_eq_u16_e32 vcc, 0, v50
	v_and_b32_e32 v32, 1, v50
	v_mov_b32_e32 v50, 1
	s_waitcnt lgkmcnt(0)
	v_cndmask_b32_e32 v49, 0, v48, vcc
	v_and_b32_sdwa v48, v48, v50 dst_sel:DWORD dst_unused:UNUSED_PAD src0_sel:WORD_1 src1_sel:DWORD
	v_cmp_eq_u32_e32 vcc, 1, v32
	v_add_u16_e32 v51, v49, v28
	v_add_u16_e32 v28, v49, v28
	v_cndmask_b32_e64 v32, v48, 1, vcc
	v_lshlrev_b32_e32 v48, 16, v32
	v_or_b32_e32 v52, v48, v28
	v_mov_b32_e32 v28, v51
	v_mov_b32_e32 v50, v32
.LBB274_180:
	s_or_b64 exec, exec, s[62:63]
	v_cmp_gt_u32_e32 vcc, 48, v25
	v_add_u32_e32 v49, 16, v25
	s_waitcnt lgkmcnt(0)
	v_cndmask_b32_e64 v48, 0, 1, vcc
	v_lshlrev_b32_e32 v48, 4, v48
	v_add_lshl_u32 v48, v48, v27, 2
	ds_bpermute_b32 v51, v48, v52
	v_cmp_le_u32_e32 vcc, v49, v33
	s_and_saveexec_b64 s[62:63], vcc
	s_cbranch_execz .LBB274_182
; %bb.181:
	v_cmp_eq_u16_e32 vcc, 0, v50
	v_and_b32_e32 v32, 1, v50
	v_mov_b32_e32 v50, 1
	s_waitcnt lgkmcnt(0)
	v_cndmask_b32_e32 v52, 0, v51, vcc
	v_and_b32_sdwa v50, v51, v50 dst_sel:DWORD dst_unused:UNUSED_PAD src0_sel:WORD_1 src1_sel:DWORD
	v_cmp_eq_u32_e32 vcc, 1, v32
	v_add_u16_e32 v53, v52, v28
	v_add_u16_e32 v28, v52, v28
	v_cndmask_b32_e64 v32, v50, 1, vcc
	v_lshlrev_b32_e32 v50, 16, v32
	v_or_b32_e32 v52, v50, v28
	v_mov_b32_e32 v28, v53
	v_mov_b32_e32 v50, v32
.LBB274_182:
	s_or_b64 exec, exec, s[62:63]
	v_cmp_gt_u32_e32 vcc, 32, v25
	s_waitcnt lgkmcnt(0)
	s_nop 0
	v_cndmask_b32_e64 v51, 0, 1, vcc
	v_lshlrev_b32_e32 v51, 5, v51
	v_add_lshl_u32 v51, v51, v27, 2
	ds_bpermute_b32 v27, v51, v52
	v_add_u32_e32 v52, 32, v25
	v_cmp_le_u32_e32 vcc, v52, v33
	s_and_saveexec_b64 s[62:63], vcc
	s_cbranch_execz .LBB274_184
; %bb.183:
	v_cmp_eq_u16_e32 vcc, 0, v50
	v_mov_b32_e32 v33, 1
	s_waitcnt lgkmcnt(0)
	v_cndmask_b32_e32 v32, 0, v27, vcc
	v_add_u16_e32 v28, v32, v28
	v_and_b32_e32 v32, 1, v50
	v_and_b32_sdwa v27, v27, v33 dst_sel:DWORD dst_unused:UNUSED_PAD src0_sel:WORD_1 src1_sel:DWORD
	v_cmp_eq_u32_e32 vcc, 1, v32
	s_nop 1
	v_cndmask_b32_e64 v32, v27, 1, vcc
.LBB274_184:
	s_or_b64 exec, exec, s[62:63]
	s_waitcnt lgkmcnt(0)
	v_mov_b32_e32 v27, 0
	v_mov_b32_e32 v54, 2
	v_mov_b32_e32 v55, 1
	s_branch .LBB274_186
.LBB274_185:                            ;   in Loop: Header=BB274_186 Depth=1
	s_or_b64 exec, exec, s[62:63]
	v_cmp_eq_u16_sdwa vcc, v50, v27 src0_sel:BYTE_0 src1_sel:DWORD
	v_and_b32_e32 v32, 1, v50
	v_and_b32_e32 v33, 1, v33
	v_cndmask_b32_e32 v28, 0, v28, vcc
	v_cmp_eq_u32_e32 vcc, 1, v32
	v_subrev_u32_e32 v26, 64, v26
	v_add_u16_e32 v28, v28, v53
	v_cndmask_b32_e64 v32, v33, 1, vcc
.LBB274_186:                            ; =>This Loop Header: Depth=1
                                        ;     Child Loop BB274_189 Depth 2
	v_cmp_ne_u16_sdwa s[62:63], v29, v54 src0_sel:BYTE_0 src1_sel:DWORD
	v_mov_b32_e32 v50, v32
	v_mov_b32_e32 v53, v28
	v_cndmask_b32_e64 v29, 0, 1, s[62:63]
	;;#ASMSTART
	;;#ASMEND
	s_nop 0
	v_cmp_ne_u32_e32 vcc, 0, v29
	s_cmp_lg_u64 vcc, exec
	s_cbranch_scc1 .LBB274_203
; %bb.187:                              ;   in Loop: Header=BB274_186 Depth=1
	v_lshl_add_u64 v[32:33], v[26:27], 3, s[76:77]
	global_load_dwordx2 v[28:29], v[32:33], off sc1
	s_waitcnt vmcnt(0)
	v_cmp_eq_u16_sdwa s[64:65], v29, v27 src0_sel:BYTE_0 src1_sel:DWORD
	s_and_saveexec_b64 s[62:63], s[64:65]
	s_cbranch_execz .LBB274_191
; %bb.188:                              ;   in Loop: Header=BB274_186 Depth=1
	s_mov_b64 s[64:65], 0
.LBB274_189:                            ;   Parent Loop BB274_186 Depth=1
                                        ; =>  This Inner Loop Header: Depth=2
	global_load_dwordx2 v[28:29], v[32:33], off sc1
	s_waitcnt vmcnt(0)
	v_cmp_ne_u16_sdwa s[68:69], v29, v27 src0_sel:BYTE_0 src1_sel:DWORD
	s_or_b64 s[64:65], s[68:69], s[64:65]
	s_andn2_b64 exec, exec, s[64:65]
	s_cbranch_execnz .LBB274_189
; %bb.190:                              ;   in Loop: Header=BB274_186 Depth=1
	s_or_b64 exec, exec, s[64:65]
.LBB274_191:                            ;   in Loop: Header=BB274_186 Depth=1
	s_or_b64 exec, exec, s[62:63]
	v_cmp_eq_u16_sdwa s[62:63], v29, v54 src0_sel:BYTE_0 src1_sel:DWORD
	s_waitcnt lgkmcnt(0)
	v_and_b32_e32 v57, 0xffffff, v28
	ds_bpermute_b32 v58, v41, v57
	v_and_b32_e32 v32, s63, v31
	v_or_b32_e32 v32, 0x80000000, v32
	v_and_b32_e32 v33, s62, v30
	v_ffbl_b32_e32 v32, v32
	v_add_u32_e32 v32, 32, v32
	v_ffbl_b32_e32 v33, v33
	v_min_u32_e32 v32, v33, v32
	v_lshrrev_b32_e32 v33, 16, v28
	v_cmp_lt_u32_e32 vcc, v25, v32
	v_bfe_u32 v56, v28, 16, 8
	s_and_saveexec_b64 s[62:63], vcc
	s_cbranch_execz .LBB274_193
; %bb.192:                              ;   in Loop: Header=BB274_186 Depth=1
	v_and_b32_e32 v33, 0xff0000, v28
	v_cmp_eq_u32_e32 vcc, 0, v33
	v_and_b32_e32 v33, 0x10000, v33
	s_waitcnt lgkmcnt(0)
	v_and_b32_sdwa v57, v58, v55 dst_sel:DWORD dst_unused:UNUSED_PAD src0_sel:WORD_1 src1_sel:DWORD
	v_cndmask_b32_e32 v56, 0, v58, vcc
	v_cmp_ne_u32_e32 vcc, 0, v33
	v_add_u16_e32 v59, v56, v28
	v_add_u16_e32 v28, v56, v28
	v_cndmask_b32_e64 v33, v57, 1, vcc
	v_lshlrev_b32_e32 v57, 16, v33
	v_or_b32_e32 v57, v57, v28
	v_mov_b32_e32 v28, v59
	v_mov_b32_e32 v56, v33
.LBB274_193:                            ;   in Loop: Header=BB274_186 Depth=1
	s_or_b64 exec, exec, s[62:63]
	s_waitcnt lgkmcnt(0)
	ds_bpermute_b32 v58, v42, v57
	v_cmp_le_u32_e32 vcc, v43, v32
	s_and_saveexec_b64 s[62:63], vcc
	s_cbranch_execz .LBB274_195
; %bb.194:                              ;   in Loop: Header=BB274_186 Depth=1
	v_cmp_eq_u16_e32 vcc, 0, v56
	v_and_b32_e32 v33, 1, v56
	s_waitcnt lgkmcnt(0)
	v_and_b32_sdwa v56, v58, v55 dst_sel:DWORD dst_unused:UNUSED_PAD src0_sel:WORD_1 src1_sel:DWORD
	v_cndmask_b32_e32 v57, 0, v58, vcc
	v_cmp_eq_u32_e32 vcc, 1, v33
	v_add_u16_e32 v59, v57, v28
	v_add_u16_e32 v28, v57, v28
	v_cndmask_b32_e64 v33, v56, 1, vcc
	v_lshlrev_b32_e32 v56, 16, v33
	v_or_b32_e32 v57, v56, v28
	v_mov_b32_e32 v28, v59
	v_mov_b32_e32 v56, v33
.LBB274_195:                            ;   in Loop: Header=BB274_186 Depth=1
	s_or_b64 exec, exec, s[62:63]
	s_waitcnt lgkmcnt(0)
	ds_bpermute_b32 v58, v44, v57
	v_cmp_le_u32_e32 vcc, v45, v32
	s_and_saveexec_b64 s[62:63], vcc
	s_cbranch_execz .LBB274_197
; %bb.196:                              ;   in Loop: Header=BB274_186 Depth=1
	v_cmp_eq_u16_e32 vcc, 0, v56
	v_and_b32_e32 v33, 1, v56
	s_waitcnt lgkmcnt(0)
	v_and_b32_sdwa v56, v58, v55 dst_sel:DWORD dst_unused:UNUSED_PAD src0_sel:WORD_1 src1_sel:DWORD
	v_cndmask_b32_e32 v57, 0, v58, vcc
	v_cmp_eq_u32_e32 vcc, 1, v33
	v_add_u16_e32 v59, v57, v28
	v_add_u16_e32 v28, v57, v28
	v_cndmask_b32_e64 v33, v56, 1, vcc
	v_lshlrev_b32_e32 v56, 16, v33
	v_or_b32_e32 v57, v56, v28
	v_mov_b32_e32 v28, v59
	v_mov_b32_e32 v56, v33
.LBB274_197:                            ;   in Loop: Header=BB274_186 Depth=1
	;; [unrolled: 21-line block ×4, first 2 shown]
	s_or_b64 exec, exec, s[62:63]
	ds_bpermute_b32 v57, v51, v57
	v_cmp_le_u32_e32 vcc, v52, v32
	s_and_saveexec_b64 s[62:63], vcc
	s_cbranch_execz .LBB274_185
; %bb.202:                              ;   in Loop: Header=BB274_186 Depth=1
	v_cmp_eq_u16_e32 vcc, 0, v56
	s_waitcnt lgkmcnt(0)
	v_lshrrev_b32_e32 v33, 16, v57
	v_cndmask_b32_e32 v32, 0, v57, vcc
	v_add_u16_e32 v28, v32, v28
	v_and_b32_e32 v32, 1, v56
	v_cmp_eq_u32_e32 vcc, 1, v32
	s_nop 1
	v_cndmask_b32_e64 v33, v33, 1, vcc
	s_branch .LBB274_185
.LBB274_203:                            ;   in Loop: Header=BB274_186 Depth=1
                                        ; implicit-def: $vgpr32
                                        ; implicit-def: $vgpr28
	s_cbranch_execz .LBB274_186
; %bb.204:
	s_and_saveexec_b64 s[62:63], s[54:55]
	s_cbranch_execz .LBB274_206
; %bb.205:
	v_and_b32_e32 v25, 0xff0000, v24
	s_mov_b32 s65, 0
	v_cmp_eq_u32_e32 vcc, 0, v25
	v_and_b32_e32 v26, 0x10000, v24
	v_mov_b32_e32 v27, 1
	s_add_i32 s64, s79, 64
	v_cndmask_b32_e32 v25, 0, v53, vcc
	v_and_b32_sdwa v27, v50, v27 dst_sel:WORD_1 dst_unused:UNUSED_PAD src0_sel:DWORD src1_sel:DWORD
	v_mov_b32_e32 v28, 0x10000
	v_cmp_eq_u32_e32 vcc, 0, v26
	s_lshl_b64 s[64:65], s[64:65], 3
	s_add_u32 s64, s76, s64
	v_cndmask_b32_e32 v26, v28, v27, vcc
	v_add_u16_e32 v24, v25, v24
	s_addc_u32 s65, s77, s65
	v_mov_b32_e32 v27, 0
	v_or_b32_e32 v24, v26, v24
	v_mov_b32_e32 v25, 2
	global_store_dwordx2 v27, v[24:25], s[64:65] sc1
.LBB274_206:
	s_or_b64 exec, exec, s[62:63]
	s_and_b64 exec, exec, s[56:57]
	s_cbranch_execz .LBB274_208
; %bb.207:
	v_mov_b32_e32 v24, 0
	ds_write_b16 v24, v53 offset:12
	ds_write_b8 v24, v50 offset:14
.LBB274_208:
	s_or_b64 exec, exec, s[0:1]
	s_waitcnt lgkmcnt(0)
	v_lshrrev_b32_e32 v24, 16, v40
	v_mov_b32_e32 v26, 0
	s_mov_b32 s0, 0x10000
	v_cndmask_b32_e64 v24, v24, v37, s[54:55]
	v_cndmask_b32_e64 v25, v40, v36, s[54:55]
	s_barrier
	ds_read_b32 v27, v26 offset:12
	v_cmp_gt_u32_e32 vcc, s0, v1
	v_and_b32_e32 v28, 0x10000, v1
	v_and_b32_e32 v24, 1, v24
	v_cndmask_b32_e32 v25, 0, v25, vcc
	v_cmp_ne_u32_e32 vcc, 0, v28
	v_cndmask_b32_e64 v25, v25, 0, s[56:57]
	v_add_u16_e32 v25, v25, v1
	v_cndmask_b32_e64 v24, v24, 1, vcc
	v_cndmask_b32_e64 v24, v24, v35, s[56:57]
	v_cmp_eq_u16_sdwa vcc, v24, v26 src0_sel:BYTE_0 src1_sel:DWORD
	s_waitcnt lgkmcnt(0)
	s_nop 0
	v_cndmask_b32_e32 v24, 0, v27, vcc
	v_add_u16_e32 v50, v25, v24
	v_cndmask_b32_e64 v24, 0, v50, s[6:7]
	v_add_u16_e32 v24, v24, v18
	v_cndmask_b32_e64 v25, 0, v24, s[8:9]
	;; [unrolled: 2-line block ×23, first 2 shown]
	v_add_u16_e32 v49, v49, v23
	s_branch .LBB274_239
.LBB274_209:
                                        ; implicit-def: $vgpr50
                                        ; implicit-def: $vgpr24
                                        ; implicit-def: $vgpr25
                                        ; implicit-def: $vgpr26
                                        ; implicit-def: $vgpr27
                                        ; implicit-def: $vgpr28
                                        ; implicit-def: $vgpr29
                                        ; implicit-def: $vgpr31
                                        ; implicit-def: $vgpr30
                                        ; implicit-def: $vgpr32
                                        ; implicit-def: $vgpr33
                                        ; implicit-def: $vgpr35
                                        ; implicit-def: $vgpr36
                                        ; implicit-def: $vgpr37
                                        ; implicit-def: $vgpr40
                                        ; implicit-def: $vgpr42
                                        ; implicit-def: $vgpr41
                                        ; implicit-def: $vgpr43
                                        ; implicit-def: $vgpr44
                                        ; implicit-def: $vgpr45
                                        ; implicit-def: $vgpr46
                                        ; implicit-def: $vgpr47
                                        ; implicit-def: $vgpr48
                                        ; implicit-def: $vgpr49
	s_cbranch_execz .LBB274_239
; %bb.210:
	s_cmp_lg_u64 s[80:81], 0
	s_cselect_b32 s7, s71, 0
	s_cselect_b32 s6, s70, 0
	s_cmp_lg_u64 s[6:7], 0
	s_cselect_b64 s[0:1], -1, 0
	s_and_b64 s[8:9], s[56:57], s[0:1]
	s_and_saveexec_b64 s[0:1], s[8:9]
	s_cbranch_execz .LBB274_212
; %bb.211:
	v_mov_b32_e32 v24, 0
	global_load_ushort v25, v24, s[6:7]
	global_load_ubyte v26, v24, s[6:7] offset:2
	s_mov_b32 s6, 0x10000
	v_and_b32_e32 v24, 0x10000, v1
	v_mov_b32_e32 v27, 1
	v_cmp_gt_u32_e32 vcc, s6, v1
	v_mov_b32_e32 v28, 0x10000
	s_waitcnt vmcnt(0)
	v_and_b32_sdwa v26, v26, v27 dst_sel:WORD_1 dst_unused:UNUSED_PAD src0_sel:DWORD src1_sel:DWORD
	v_cndmask_b32_e32 v25, 0, v25, vcc
	v_cmp_eq_u32_e32 vcc, 0, v24
	v_add_u16_e32 v1, v25, v1
	s_nop 0
	v_cndmask_b32_e32 v24, v28, v26, vcc
	v_or_b32_e32 v1, v24, v1
.LBB274_212:
	s_or_b64 exec, exec, s[0:1]
	s_mov_b32 s50, 0x10000
	v_cmp_gt_u32_e32 vcc, s50, v18
	v_cmp_gt_u32_e64 s[6:7], s50, v19
	v_cmp_gt_u32_e64 s[8:9], s50, v20
	v_cndmask_b32_e32 v24, 0, v1, vcc
	v_add_u16_e32 v24, v24, v18
	v_cndmask_b32_e64 v25, 0, v24, s[6:7]
	v_add_u16_e32 v25, v25, v19
	v_bfe_u32 v28, v19, 16, 1
	v_mov_b32_e32 v53, 1
	v_cndmask_b32_e64 v26, 0, v25, s[8:9]
	v_lshlrev_b16_e32 v28, 1, v28
	v_and_b32_sdwa v29, v18, v53 dst_sel:DWORD dst_unused:UNUSED_PAD src0_sel:WORD_1 src1_sel:DWORD
	v_add_u16_e32 v26, v26, v20
	v_cmp_gt_u32_e64 s[10:11], s50, v21
	v_or_b32_e32 v28, v29, v28
	v_bfe_u32 v29, v21, 16, 1
	v_and_b32_sdwa v30, v20, v53 dst_sel:DWORD dst_unused:UNUSED_PAD src0_sel:WORD_1 src1_sel:DWORD
	v_cndmask_b32_e64 v27, 0, v26, s[10:11]
	v_lshlrev_b16_e32 v29, 3, v29
	v_lshlrev_b16_e32 v30, 2, v30
	v_add_u16_e32 v27, v27, v21
	v_or_b32_e32 v29, v29, v30
	v_cmp_gt_u32_e64 s[12:13], s50, v38
	v_or_b32_e32 v49, v28, v29
	v_and_b32_e32 v29, 0x10000, v38
	v_cndmask_b32_e64 v28, 0, v27, s[12:13]
	v_add_u16_e32 v28, v28, v38
	v_cmp_gt_u32_e64 s[14:15], s50, v2
	v_cmp_ne_u32_e64 s[0:1], 0, v29
	v_cmp_gt_u32_e64 s[16:17], s50, v3
	v_cndmask_b32_e64 v29, 0, v28, s[14:15]
	v_add_u16_e32 v29, v29, v2
	v_cndmask_b32_e64 v30, 0, v29, s[16:17]
	v_add_u16_e32 v31, v30, v3
	v_cmp_gt_u32_e64 s[18:19], s50, v4
	v_cmp_gt_u32_e64 s[20:21], s50, v5
	;; [unrolled: 1-line block ×3, first 2 shown]
	v_cndmask_b32_e64 v30, 0, v31, s[18:19]
	v_add_u16_e32 v30, v30, v4
	v_cndmask_b32_e64 v32, 0, v30, s[20:21]
	v_add_u16_e32 v32, v32, v5
	;; [unrolled: 2-line block ×3, first 2 shown]
	v_cmp_gt_u32_e64 s[24:25], s50, v7
	v_cmp_gt_u32_e64 s[26:27], s50, v8
	;; [unrolled: 1-line block ×3, first 2 shown]
	v_cndmask_b32_e64 v35, 0, v33, s[24:25]
	v_add_u16_e32 v35, v35, v7
	v_cndmask_b32_e64 v36, 0, v35, s[26:27]
	v_add_u16_e32 v36, v36, v8
	;; [unrolled: 2-line block ×3, first 2 shown]
	v_cmp_gt_u32_e64 s[30:31], s50, v39
	v_and_b32_e32 v41, 0x10000, v39
	v_cmp_gt_u32_e64 s[34:35], s50, v10
	v_cndmask_b32_e64 v40, 0, v37, s[30:31]
	v_add_u16_e32 v40, v40, v39
	v_cmp_ne_u32_e64 s[52:53], 0, v41
	v_cndmask_b32_e64 v41, 0, v40, s[34:35]
	v_add_u16_e32 v42, v41, v10
	v_cmp_gt_u32_e64 s[36:37], s50, v11
	v_cmp_gt_u32_e64 s[38:39], s50, v12
	v_and_b32_e32 v52, 0x10000, v23
	v_cndmask_b32_e64 v41, 0, v42, s[36:37]
	v_add_u16_e32 v41, v41, v11
	v_cndmask_b32_e64 v43, 0, v41, s[38:39]
	v_add_u16_e32 v43, v43, v12
	v_cmp_gt_u32_e64 s[40:41], s50, v13
	v_cmp_ne_u32_e64 s[54:55], 0, v52
	v_or_b32_e32 v52, v16, v8
	v_or_b32_e32 v55, v17, v9
	;; [unrolled: 1-line block ×3, first 2 shown]
	v_cndmask_b32_e64 v44, 0, v43, s[40:41]
	v_or_b32_e32 v56, v14, v6
	v_or_b32_e32 v58, v12, v4
	;; [unrolled: 1-line block ×4, first 2 shown]
	v_bfe_u32 v57, v57, 16, 1
	v_bfe_u32 v55, v55, 16, 1
	v_and_b32_sdwa v52, v52, v53 dst_sel:DWORD dst_unused:UNUSED_PAD src0_sel:WORD_1 src1_sel:DWORD
	v_add_u16_e32 v44, v44, v13
	v_cmp_gt_u32_e64 s[42:43], s50, v14
	v_or_b32_e32 v60, v10, v2
	v_bfe_u32 v61, v61, 16, 1
	v_bfe_u32 v59, v59, 16, 1
	v_and_b32_sdwa v58, v58, v53 dst_sel:DWORD dst_unused:UNUSED_PAD src0_sel:WORD_1 src1_sel:DWORD
	v_lshlrev_b16_e32 v57, 1, v57
	v_and_b32_sdwa v56, v56, v53 dst_sel:DWORD dst_unused:UNUSED_PAD src0_sel:WORD_1 src1_sel:DWORD
	v_lshlrev_b16_e32 v55, 3, v55
	v_lshlrev_b16_e32 v52, 2, v52
	v_cndmask_b32_e64 v45, 0, v44, s[42:43]
	v_lshlrev_b16_e32 v61, 1, v61
	v_and_b32_sdwa v60, v60, v53 dst_sel:DWORD dst_unused:UNUSED_PAD src0_sel:WORD_1 src1_sel:DWORD
	v_lshlrev_b16_e32 v59, 3, v59
	v_lshlrev_b16_e32 v58, 2, v58
	v_or_b32_e32 v56, v56, v57
	v_or_b32_e32 v52, v55, v52
	v_add_u16_e32 v45, v45, v14
	v_cmp_gt_u32_e64 s[44:45], s50, v15
	v_or_b32_e32 v60, v60, v61
	v_or_b32_e32 v58, v59, v58
	;; [unrolled: 1-line block ×3, first 2 shown]
	v_cndmask_b32_e64 v46, 0, v45, s[44:45]
	v_or_b32_e32 v58, v60, v58
	v_lshlrev_b16_e32 v52, 4, v52
	v_add_u16_e32 v46, v46, v15
	v_cmp_gt_u32_e64 s[46:47], s50, v16
	v_or_b32_e32 v52, v58, v52
	v_or_b32_e32 v49, v52, v49
	v_cndmask_b32_e64 v47, 0, v46, s[46:47]
	v_mov_b32_e32 v52, 0
	v_add_u16_e32 v47, v47, v16
	v_cmp_gt_u32_e64 s[48:49], s50, v17
	v_cmp_ne_u16_sdwa s[62:63], v49, v52 src0_sel:BYTE_0 src1_sel:DWORD
	s_or_b64 s[54:55], s[54:55], s[62:63]
	v_cndmask_b32_e64 v48, 0, v47, s[48:49]
	v_add_u16_e32 v48, v48, v17
	v_cmp_gt_u32_e64 s[50:51], s50, v23
	s_or_b64 s[52:53], s[54:55], s[52:53]
	v_lshrrev_b32_e32 v50, 16, v1
	v_cndmask_b32_e64 v54, 0, v48, s[50:51]
	s_or_b64 s[0:1], s[52:53], s[0:1]
	v_cndmask_b32_e64 v52, v50, 1, s[0:1]
	v_mbcnt_hi_u32_b32 v34, -1, v34
	v_add_u16_e32 v49, v54, v23
	v_add_u16_e32 v51, v54, v23
	v_and_b32_e32 v55, 15, v34
	v_lshl_or_b32 v54, v52, 16, v49
	v_cmp_ne_u32_e64 s[0:1], 0, v55
	s_nop 0
	v_mov_b32_dpp v56, v54 row_shr:1 row_mask:0xf bank_mask:0xf
	s_and_saveexec_b64 s[52:53], s[0:1]
; %bb.213:
	v_cmp_eq_u32_e64 s[0:1], 0, v52
	v_and_b32_e32 v52, 1, v52
	v_and_b32_sdwa v53, v56, v53 dst_sel:DWORD dst_unused:UNUSED_PAD src0_sel:WORD_1 src1_sel:DWORD
	v_cndmask_b32_e64 v54, 0, v56, s[0:1]
	v_cmp_eq_u32_e64 s[0:1], 1, v52
	v_add_u16_e32 v57, v51, v54
	v_add_u16_e32 v51, v51, v54
	v_cndmask_b32_e64 v52, v53, 1, s[0:1]
	v_lshlrev_b32_e32 v53, 16, v52
	v_or_b32_e32 v54, v53, v51
	v_mov_b32_e32 v51, v57
; %bb.214:
	s_or_b64 exec, exec, s[52:53]
	v_lshrrev_b32_e32 v53, 16, v54
	v_mov_b32_dpp v56, v54 row_shr:2 row_mask:0xf bank_mask:0xf
	v_cmp_lt_u32_e64 s[0:1], 1, v55
	s_and_saveexec_b64 s[52:53], s[0:1]
	s_cbranch_execz .LBB274_216
; %bb.215:
	s_mov_b32 s0, 0x10000
	v_cmp_gt_u32_e64 s[0:1], s0, v54
	v_and_b32_e32 v52, 0x10000, v54
	v_mov_b32_e32 v54, 1
	v_cndmask_b32_e64 v53, 0, v56, s[0:1]
	v_and_b32_sdwa v54, v56, v54 dst_sel:DWORD dst_unused:UNUSED_PAD src0_sel:WORD_1 src1_sel:DWORD
	v_cmp_ne_u32_e64 s[0:1], 0, v52
	v_add_u16_e32 v57, v53, v51
	v_add_u16_e32 v51, v53, v51
	v_cndmask_b32_e64 v52, v54, 1, s[0:1]
	v_lshlrev_b32_e32 v54, 16, v52
	v_or_b32_e32 v54, v54, v51
	v_mov_b32_e32 v53, v52
	v_mov_b32_e32 v51, v57
.LBB274_216:
	s_or_b64 exec, exec, s[52:53]
	v_mov_b32_dpp v56, v54 row_shr:4 row_mask:0xf bank_mask:0xf
	v_cmp_lt_u32_e64 s[0:1], 3, v55
	s_and_saveexec_b64 s[52:53], s[0:1]
	s_cbranch_execz .LBB274_218
; %bb.217:
	v_mov_b32_e32 v52, 0
	v_cmp_eq_u16_sdwa s[0:1], v53, v52 src0_sel:BYTE_0 src1_sel:DWORD
	v_and_b32_e32 v52, 1, v53
	v_mov_b32_e32 v53, 1
	v_cndmask_b32_e64 v54, 0, v56, s[0:1]
	v_and_b32_sdwa v53, v56, v53 dst_sel:DWORD dst_unused:UNUSED_PAD src0_sel:WORD_1 src1_sel:DWORD
	v_cmp_eq_u32_e64 s[0:1], 1, v52
	v_add_u16_e32 v57, v54, v51
	v_add_u16_e32 v51, v54, v51
	v_cndmask_b32_e64 v52, v53, 1, s[0:1]
	v_lshlrev_b32_e32 v53, 16, v52
	v_or_b32_e32 v54, v53, v51
	v_mov_b32_e32 v53, v52
	v_mov_b32_e32 v51, v57
.LBB274_218:
	s_or_b64 exec, exec, s[52:53]
	v_mov_b32_dpp v56, v54 row_shr:8 row_mask:0xf bank_mask:0xf
	v_cmp_lt_u32_e64 s[0:1], 7, v55
	s_and_saveexec_b64 s[52:53], s[0:1]
	s_cbranch_execz .LBB274_220
; %bb.219:
	v_mov_b32_e32 v52, 0
	v_cmp_eq_u16_sdwa s[0:1], v53, v52 src0_sel:BYTE_0 src1_sel:DWORD
	v_and_b32_e32 v52, 1, v53
	v_mov_b32_e32 v53, 1
	v_cndmask_b32_e64 v54, 0, v56, s[0:1]
	v_and_b32_sdwa v53, v56, v53 dst_sel:DWORD dst_unused:UNUSED_PAD src0_sel:WORD_1 src1_sel:DWORD
	v_cmp_eq_u32_e64 s[0:1], 1, v52
	v_add_u16_e32 v55, v54, v51
	v_add_u16_e32 v51, v54, v51
	v_cndmask_b32_e64 v52, v53, 1, s[0:1]
	v_lshlrev_b32_e32 v53, 16, v52
	v_or_b32_e32 v54, v53, v51
	v_mov_b32_e32 v53, v52
	v_mov_b32_e32 v51, v55
.LBB274_220:
	s_or_b64 exec, exec, s[52:53]
	v_and_b32_e32 v56, 16, v34
	v_mov_b32_dpp v55, v54 row_bcast:15 row_mask:0xf bank_mask:0xf
	v_cmp_ne_u32_e64 s[0:1], 0, v56
	s_and_saveexec_b64 s[52:53], s[0:1]
	s_cbranch_execz .LBB274_222
; %bb.221:
	v_mov_b32_e32 v52, 0
	v_cmp_eq_u16_sdwa s[0:1], v53, v52 src0_sel:BYTE_0 src1_sel:DWORD
	v_and_b32_e32 v52, 1, v53
	v_mov_b32_e32 v53, 1
	v_cndmask_b32_e64 v54, 0, v55, s[0:1]
	v_and_b32_sdwa v53, v55, v53 dst_sel:DWORD dst_unused:UNUSED_PAD src0_sel:WORD_1 src1_sel:DWORD
	v_cmp_eq_u32_e64 s[0:1], 1, v52
	v_add_u16_e32 v56, v54, v51
	v_add_u16_e32 v51, v54, v51
	v_cndmask_b32_e64 v52, v53, 1, s[0:1]
	v_lshlrev_b32_e32 v53, 16, v52
	v_or_b32_e32 v54, v53, v51
	v_mov_b32_e32 v51, v56
	v_mov_b32_e32 v53, v52
.LBB274_222:
	s_or_b64 exec, exec, s[52:53]
	v_mov_b32_dpp v54, v54 row_bcast:31 row_mask:0xf bank_mask:0xf
	v_cmp_lt_u32_e64 s[0:1], 31, v34
	s_and_saveexec_b64 s[52:53], s[0:1]
; %bb.223:
	v_mov_b32_e32 v52, 0
	v_cmp_eq_u16_sdwa s[0:1], v53, v52 src0_sel:BYTE_0 src1_sel:DWORD
	s_nop 1
	v_cndmask_b32_e64 v52, 0, v54, s[0:1]
	v_add_u16_e32 v51, v52, v51
	v_and_b32_e32 v52, 1, v53
	v_mov_b32_e32 v53, 1
	v_and_b32_sdwa v53, v54, v53 dst_sel:DWORD dst_unused:UNUSED_PAD src0_sel:WORD_1 src1_sel:DWORD
	v_cmp_eq_u32_e64 s[0:1], 1, v52
	s_nop 1
	v_cndmask_b32_e64 v52, v53, 1, s[0:1]
; %bb.224:
	s_or_b64 exec, exec, s[52:53]
	v_or_b32_e32 v54, 63, v0
	v_lshrrev_b32_e32 v53, 6, v0
	v_cmp_eq_u32_e64 s[0:1], v54, v0
	s_and_saveexec_b64 s[52:53], s[0:1]
	s_cbranch_execz .LBB274_226
; %bb.225:
	v_lshlrev_b32_e32 v54, 2, v53
	ds_write_b16 v54, v51
	ds_write_b8 v54, v52 offset:2
.LBB274_226:
	s_or_b64 exec, exec, s[52:53]
	v_cmp_gt_u32_e64 s[0:1], 4, v0
	s_waitcnt lgkmcnt(0)
	s_barrier
	s_and_saveexec_b64 s[52:53], s[0:1]
	s_cbranch_execz .LBB274_232
; %bb.227:
	v_lshlrev_b32_e32 v54, 2, v0
	ds_read_b32 v55, v54
	v_and_b32_e32 v58, 3, v34
	v_cmp_ne_u32_e64 s[0:1], 0, v58
	s_waitcnt lgkmcnt(0)
	v_lshrrev_b32_e32 v57, 16, v55
	v_mov_b32_dpp v59, v55 row_shr:1 row_mask:0xf bank_mask:0xf
	v_mov_b32_e32 v56, v55
	s_and_saveexec_b64 s[54:55], s[0:1]
	s_cbranch_execz .LBB274_229
; %bb.228:
	v_mov_b32_e32 v56, 0
	v_cmp_eq_u16_sdwa s[0:1], v57, v56 src0_sel:BYTE_0 src1_sel:DWORD
	v_and_b32_e32 v57, 0x10000, v55
	v_mov_b32_e32 v62, 1
	v_cndmask_b32_e64 v61, 0, v59, s[0:1]
	v_and_b32_sdwa v59, v59, v62 dst_sel:DWORD dst_unused:UNUSED_PAD src0_sel:WORD_1 src1_sel:DWORD
	v_cmp_ne_u32_e64 s[0:1], 0, v57
	v_and_b32_e32 v60, 0xff000000, v55
	v_add_u16_e32 v56, v61, v55
	v_cndmask_b32_e64 v57, v59, 1, s[0:1]
	v_lshlrev_b32_e32 v59, 16, v57
	v_add_u16_e32 v55, v61, v55
	v_or3_b32 v55, v59, v60, v55
.LBB274_229:
	s_or_b64 exec, exec, s[54:55]
	s_nop 0
	v_mov_b32_dpp v59, v55 row_shr:2 row_mask:0xf bank_mask:0xf
	v_cmp_lt_u32_e64 s[0:1], 1, v58
	s_and_saveexec_b64 s[54:55], s[0:1]
; %bb.230:
	v_and_b32_e32 v57, 0xff0000, v55
	v_cmp_eq_u32_e64 s[0:1], 0, v57
	v_and_b32_e32 v55, 0x10000, v55
	s_nop 0
	v_cndmask_b32_e64 v57, 0, v59, s[0:1]
	v_add_u16_e32 v56, v57, v56
	v_mov_b32_e32 v57, 1
	v_and_b32_sdwa v57, v59, v57 dst_sel:DWORD dst_unused:UNUSED_PAD src0_sel:WORD_1 src1_sel:DWORD
	v_cmp_eq_u32_e64 s[0:1], 0, v55
	s_nop 1
	v_cndmask_b32_e64 v57, 1, v57, s[0:1]
; %bb.231:
	s_or_b64 exec, exec, s[54:55]
	ds_write_b16 v54, v56
	ds_write_b8 v54, v57 offset:2
.LBB274_232:
	s_or_b64 exec, exec, s[52:53]
	v_cmp_lt_u32_e64 s[0:1], 63, v0
	v_mov_b32_e32 v54, 0
	s_waitcnt lgkmcnt(0)
	s_barrier
	s_and_saveexec_b64 s[52:53], s[0:1]
	s_cbranch_execz .LBB274_234
; %bb.233:
	v_lshl_add_u32 v53, v53, 2, -4
	ds_read_u16 v54, v53
	ds_read_u8 v53, v53 offset:2
	v_mov_b32_e32 v55, 0
	v_and_b32_e32 v56, 1, v52
	v_cmp_eq_u16_sdwa s[0:1], v52, v55 src0_sel:BYTE_0 src1_sel:DWORD
	s_waitcnt lgkmcnt(1)
	s_nop 0
	v_cndmask_b32_e64 v52, 0, v54, s[0:1]
	v_cmp_eq_u32_e64 s[0:1], 1, v56
	v_add_u16_e32 v51, v52, v51
	s_waitcnt lgkmcnt(0)
	v_cndmask_b32_e64 v52, v53, 1, s[0:1]
.LBB274_234:
	s_or_b64 exec, exec, s[52:53]
	v_and_b32_e32 v52, 0xff, v52
	v_and_b32_e32 v51, 0xffff, v51
	v_lshl_or_b32 v51, v52, 16, v51
	v_add_u32_e32 v52, -1, v34
	v_and_b32_e32 v53, 64, v34
	v_cmp_lt_i32_e64 s[0:1], v52, v53
	s_nop 1
	v_cndmask_b32_e64 v52, v52, v34, s[0:1]
	v_lshlrev_b32_e32 v52, 2, v52
	ds_bpermute_b32 v51, v52, v51
	s_and_saveexec_b64 s[52:53], s[4:5]
	s_cbranch_execz .LBB274_236
; %bb.235:
	v_cmp_eq_u32_e64 s[0:1], 0, v34
	v_and_b32_e32 v25, 0xff0000, v1
	v_mov_b32_e32 v50, 0
	s_waitcnt lgkmcnt(0)
	v_cndmask_b32_e64 v24, v51, v54, s[0:1]
	v_and_b32_e32 v24, 0xffff, v24
	v_cmp_eq_u32_e64 s[0:1], 0, v25
	;;#ASMSTART
	;;#ASMEND
	s_nop 1
	v_cndmask_b32_e64 v24, 0, v24, s[0:1]
	v_add_u32_e32 v1, v24, v1
	v_cndmask_b32_e32 v24, 0, v1, vcc
	v_add_u16_e32 v24, v24, v18
	v_cndmask_b32_e64 v18, 0, v24, s[6:7]
	v_add_u16_e32 v25, v18, v19
	v_cndmask_b32_e64 v18, 0, v25, s[8:9]
	v_add_u16_e32 v26, v18, v20
	v_cndmask_b32_e64 v18, 0, v26, s[10:11]
	v_add_u16_e32 v27, v18, v21
	v_cndmask_b32_e64 v18, 0, v27, s[12:13]
	v_add_u16_e32 v28, v18, v38
	v_cndmask_b32_e64 v18, 0, v28, s[14:15]
	v_add_u16_e32 v29, v18, v2
	v_cndmask_b32_e64 v2, 0, v29, s[16:17]
	v_add_u16_e32 v31, v2, v3
	v_cndmask_b32_e64 v2, 0, v31, s[18:19]
	v_add_u16_e32 v30, v2, v4
	v_cndmask_b32_e64 v2, 0, v30, s[20:21]
	v_add_u16_e32 v32, v2, v5
	v_cndmask_b32_e64 v2, 0, v32, s[22:23]
	v_add_u16_e32 v33, v2, v6
	v_cndmask_b32_e64 v2, 0, v33, s[24:25]
	v_add_u16_e32 v35, v2, v7
	v_cndmask_b32_e64 v2, 0, v35, s[26:27]
	v_add_u16_e32 v36, v2, v8
	v_cndmask_b32_e64 v2, 0, v36, s[28:29]
	v_add_u16_e32 v37, v2, v9
	v_cndmask_b32_e64 v2, 0, v37, s[30:31]
	v_add_u16_e32 v40, v2, v39
	v_cndmask_b32_e64 v2, 0, v40, s[34:35]
	v_add_u16_e32 v42, v2, v10
	v_cndmask_b32_e64 v2, 0, v42, s[36:37]
	v_add_u16_e32 v41, v2, v11
	v_cndmask_b32_e64 v2, 0, v41, s[38:39]
	v_add_u16_e32 v43, v2, v12
	v_cndmask_b32_e64 v2, 0, v43, s[40:41]
	v_add_u16_e32 v44, v2, v13
	v_cndmask_b32_e64 v2, 0, v44, s[42:43]
	v_add_u16_e32 v45, v2, v14
	v_cndmask_b32_e64 v2, 0, v45, s[44:45]
	v_add_u16_e32 v46, v2, v15
	v_cndmask_b32_e64 v2, 0, v46, s[46:47]
	v_add_u16_e32 v47, v2, v16
	v_cndmask_b32_e64 v2, 0, v47, s[48:49]
	v_add_u16_e32 v48, v2, v17
	v_cndmask_b32_e64 v2, 0, v48, s[50:51]
	v_add_u16_e32 v49, v2, v23
.LBB274_236:
	s_or_b64 exec, exec, s[52:53]
	s_and_saveexec_b64 s[0:1], s[56:57]
	s_cbranch_execz .LBB274_238
; %bb.237:
	v_mov_b32_e32 v4, 0
	ds_read_u8 v2, v4 offset:14
	ds_read_u16 v3, v4 offset:12
	s_waitcnt lgkmcnt(1)
	v_lshlrev_b32_e32 v2, 16, v2
	s_waitcnt lgkmcnt(0)
	v_or_b32_e32 v2, v2, v3
	v_mov_b32_e32 v3, 2
	global_store_dwordx2 v4, v[2:3], s[76:77] offset:512 sc1
.LBB274_238:
	s_or_b64 exec, exec, s[0:1]
	v_lshl_or_b32 v50, v50, 16, v1
.LBB274_239:
	s_add_u32 s0, s66, s58
	s_addc_u32 s1, s67, s59
	s_add_u32 s0, s0, s60
	s_addc_u32 s1, s1, s61
	s_and_b64 vcc, exec, s[2:3]
	v_mul_u32_u24_e32 v4, 24, v0
	s_cbranch_vccz .LBB274_289
; %bb.240:
	s_add_i32 s33, s33, s78
	v_cmp_le_u32_e32 vcc, s33, v4
	v_or_b32_e32 v8, 1, v4
	v_or_b32_e32 v7, 2, v4
	;; [unrolled: 1-line block ×7, first 2 shown]
	s_and_saveexec_b64 s[2:3], vcc
	s_xor_b64 s[2:3], exec, s[2:3]
; %bb.241:
	v_or_b32_e32 v8, 1, v4
	v_or_b32_e32 v7, 2, v4
	;; [unrolled: 1-line block ×7, first 2 shown]
; %bb.242:
	s_andn2_saveexec_b64 s[2:3], s[2:3]
	s_or_b64 exec, exec, s[2:3]
	v_lshlrev_b32_e32 v39, 1, v4
	v_lshlrev_b32_e32 v8, 1, v8
	;; [unrolled: 1-line block ×4, first 2 shown]
	s_mov_b32 s2, 0x5040100
	s_waitcnt lgkmcnt(0)
	s_barrier
	ds_write_b16 v39, v50
	ds_write_b16 v8, v24
	;; [unrolled: 1-line block ×4, first 2 shown]
	v_lshlrev_b32_e32 v5, 1, v5
	v_lshlrev_b32_e32 v3, 1, v3
	;; [unrolled: 1-line block ×4, first 2 shown]
	v_perm_b32 v9, v42, v40, s2
	v_perm_b32 v8, v37, v36, s2
	;; [unrolled: 1-line block ×4, first 2 shown]
	ds_write_b16 v5, v27
	ds_write_b16 v3, v28
	ds_write_b16 v2, v29
	ds_write_b16 v1, v31
	ds_write_b128 v39, v[6:9] offset:16
	v_perm_b32 v9, v49, v48, s2
	v_perm_b32 v8, v47, v46, s2
	;; [unrolled: 1-line block ×4, first 2 shown]
	s_movk_i32 s2, 0xffd2
	v_mad_i32_i24 v2, v0, s2, v39
	ds_write_b128 v39, v[6:9] offset:32
	s_waitcnt lgkmcnt(0)
	s_barrier
	ds_read_u16 v53, v2 offset:512
	ds_read_u16 v52, v2 offset:1024
	ds_read_u16 v51, v2 offset:1536
	ds_read_u16 v38, v2 offset:2048
	ds_read_u16 v34, v2 offset:2560
	ds_read_u16 v21, v2 offset:3072
	ds_read_u16 v20, v2 offset:3584
	ds_read_u16 v19, v2 offset:4096
	ds_read_u16 v18, v2 offset:4608
	ds_read_u16 v17, v2 offset:5120
	ds_read_u16 v16, v2 offset:5632
	ds_read_u16 v15, v2 offset:6144
	ds_read_u16 v14, v2 offset:6656
	ds_read_u16 v13, v2 offset:7168
	ds_read_u16 v12, v2 offset:7680
	ds_read_u16 v11, v2 offset:8192
	ds_read_u16 v10, v2 offset:8704
	ds_read_u16 v9, v2 offset:9216
	ds_read_u16 v8, v2 offset:9728
	ds_read_u16 v7, v2 offset:10240
	ds_read_u16 v6, v2 offset:10752
	ds_read_u16 v1, v2 offset:11264
	ds_read_u16 v5, v2 offset:11776
	v_mov_b32_e32 v23, 0
	v_lshl_add_u64 v[2:3], s[0:1], 0, v[22:23]
	v_cmp_gt_u32_e32 vcc, s33, v0
	s_and_saveexec_b64 s[2:3], vcc
	s_cbranch_execz .LBB274_244
; %bb.243:
	v_mul_i32_i24_e32 v54, 0xffffffd2, v0
	v_add_u32_e32 v39, v39, v54
	ds_read_u16 v39, v39
	s_waitcnt lgkmcnt(0)
	flat_store_short v[2:3], v39
.LBB274_244:
	s_or_b64 exec, exec, s[2:3]
	v_or_b32_e32 v39, 0x100, v0
	v_cmp_gt_u32_e32 vcc, s33, v39
	s_and_saveexec_b64 s[2:3], vcc
	s_cbranch_execz .LBB274_246
; %bb.245:
	s_waitcnt lgkmcnt(0)
	flat_store_short v[2:3], v53 offset:512
.LBB274_246:
	s_or_b64 exec, exec, s[2:3]
	v_or_b32_e32 v39, 0x200, v0
	v_cmp_gt_u32_e32 vcc, s33, v39
	s_and_saveexec_b64 s[2:3], vcc
	s_cbranch_execz .LBB274_248
; %bb.247:
	s_waitcnt lgkmcnt(0)
	flat_store_short v[2:3], v52 offset:1024
.LBB274_248:
	;; [unrolled: 9-line block ×4, first 2 shown]
	s_or_b64 exec, exec, s[2:3]
	s_waitcnt lgkmcnt(0)
	v_or_b32_e32 v38, 0x500, v0
	v_cmp_gt_u32_e32 vcc, s33, v38
	s_and_saveexec_b64 s[2:3], vcc
	s_cbranch_execz .LBB274_254
; %bb.253:
	flat_store_short v[2:3], v34 offset:2560
.LBB274_254:
	s_or_b64 exec, exec, s[2:3]
	v_or_b32_e32 v34, 0x600, v0
	v_cmp_gt_u32_e32 vcc, s33, v34
	s_and_saveexec_b64 s[2:3], vcc
	s_cbranch_execz .LBB274_256
; %bb.255:
	flat_store_short v[2:3], v21 offset:3072
.LBB274_256:
	s_or_b64 exec, exec, s[2:3]
	;; [unrolled: 8-line block ×3, first 2 shown]
	v_or_b32_e32 v20, 0x800, v0
	v_cmp_gt_u32_e32 vcc, s33, v20
	s_and_saveexec_b64 s[2:3], vcc
	s_cbranch_execz .LBB274_260
; %bb.259:
	v_add_co_u32_e32 v20, vcc, 0x1000, v2
	s_nop 1
	v_addc_co_u32_e32 v21, vcc, 0, v3, vcc
	flat_store_short v[20:21], v19
.LBB274_260:
	s_or_b64 exec, exec, s[2:3]
	v_or_b32_e32 v19, 0x900, v0
	v_cmp_gt_u32_e32 vcc, s33, v19
	s_and_saveexec_b64 s[2:3], vcc
	s_cbranch_execz .LBB274_262
; %bb.261:
	v_add_co_u32_e32 v20, vcc, 0x1000, v2
	s_nop 1
	v_addc_co_u32_e32 v21, vcc, 0, v3, vcc
	flat_store_short v[20:21], v18 offset:512
.LBB274_262:
	s_or_b64 exec, exec, s[2:3]
	v_or_b32_e32 v18, 0xa00, v0
	v_cmp_gt_u32_e32 vcc, s33, v18
	s_and_saveexec_b64 s[2:3], vcc
	s_cbranch_execz .LBB274_264
; %bb.263:
	v_add_co_u32_e32 v18, vcc, 0x1000, v2
	s_nop 1
	v_addc_co_u32_e32 v19, vcc, 0, v3, vcc
	flat_store_short v[18:19], v17 offset:1024
.LBB274_264:
	;; [unrolled: 11-line block ×7, first 2 shown]
	s_or_b64 exec, exec, s[2:3]
	v_or_b32_e32 v12, 0x1000, v0
	v_cmp_gt_u32_e32 vcc, s33, v12
	s_and_saveexec_b64 s[2:3], vcc
	s_cbranch_execz .LBB274_276
; %bb.275:
	v_add_co_u32_e32 v12, vcc, 0x2000, v2
	s_nop 1
	v_addc_co_u32_e32 v13, vcc, 0, v3, vcc
	flat_store_short v[12:13], v11
.LBB274_276:
	s_or_b64 exec, exec, s[2:3]
	v_or_b32_e32 v11, 0x1100, v0
	v_cmp_gt_u32_e32 vcc, s33, v11
	s_and_saveexec_b64 s[2:3], vcc
	s_cbranch_execz .LBB274_278
; %bb.277:
	v_add_co_u32_e32 v12, vcc, 0x2000, v2
	s_nop 1
	v_addc_co_u32_e32 v13, vcc, 0, v3, vcc
	flat_store_short v[12:13], v10 offset:512
.LBB274_278:
	s_or_b64 exec, exec, s[2:3]
	v_or_b32_e32 v10, 0x1200, v0
	v_cmp_gt_u32_e32 vcc, s33, v10
	s_and_saveexec_b64 s[2:3], vcc
	s_cbranch_execz .LBB274_280
; %bb.279:
	v_add_co_u32_e32 v10, vcc, 0x2000, v2
	s_nop 1
	v_addc_co_u32_e32 v11, vcc, 0, v3, vcc
	flat_store_short v[10:11], v9 offset:1024
.LBB274_280:
	;; [unrolled: 11-line block ×6, first 2 shown]
	s_or_b64 exec, exec, s[2:3]
	v_or_b32_e32 v2, 0x1700, v0
	v_mov_b32_e32 v1, v23
	v_cmp_gt_u32_e64 s[2:3], s33, v2
	s_branch .LBB274_291
.LBB274_289:
	s_mov_b64 s[2:3], 0
                                        ; implicit-def: $vgpr5
	s_cbranch_execz .LBB274_291
; %bb.290:
	s_mov_b32 s4, 0x5040100
	v_lshlrev_b32_e32 v6, 1, v4
	v_perm_b32 v5, v31, v29, s4
	v_perm_b32 v4, v28, v27, s4
	;; [unrolled: 1-line block ×4, first 2 shown]
	s_waitcnt lgkmcnt(0)
	s_barrier
	ds_write_b128 v6, v[2:5]
	v_perm_b32 v5, v42, v40, s4
	v_perm_b32 v4, v37, v36, s4
	;; [unrolled: 1-line block ×4, first 2 shown]
	ds_write_b128 v6, v[2:5] offset:16
	v_perm_b32 v4, v47, v46, s4
	v_perm_b32 v3, v45, v44, s4
	;; [unrolled: 1-line block ×4, first 2 shown]
	v_mov_b32_e32 v1, 0
	s_movk_i32 s4, 0xffd2
	ds_write_b128 v6, v[2:5] offset:32
	v_mad_i32_i24 v2, v0, s4, v6
	v_mov_b32_e32 v23, v1
	s_waitcnt lgkmcnt(0)
	s_barrier
	ds_read_u16 v4, v2
	ds_read_u16 v6, v2 offset:512
	ds_read_u16 v7, v2 offset:1024
	;; [unrolled: 1-line block ×23, first 2 shown]
	v_lshl_add_u64 v[2:3], s[0:1], 0, v[22:23]
	s_movk_i32 s4, 0x1000
	s_waitcnt lgkmcnt(0)
	flat_store_short v[2:3], v4
	flat_store_short v[2:3], v6 offset:512
	flat_store_short v[2:3], v7 offset:1024
	;; [unrolled: 1-line block ×7, first 2 shown]
	v_add_co_u32_e32 v6, vcc, s4, v2
	s_or_b64 s[2:3], s[2:3], exec
	s_nop 0
	v_addc_co_u32_e32 v7, vcc, 0, v3, vcc
	v_add_co_u32_e32 v2, vcc, 0x2000, v2
	flat_store_short v[6:7], v13
	flat_store_short v[6:7], v14 offset:512
	flat_store_short v[6:7], v15 offset:1024
	flat_store_short v[6:7], v16 offset:1536
	flat_store_short v[6:7], v17 offset:2048
	flat_store_short v[6:7], v18 offset:2560
	flat_store_short v[6:7], v19 offset:3072
	flat_store_short v[6:7], v20 offset:3584
	v_addc_co_u32_e32 v3, vcc, 0, v3, vcc
	flat_store_short v[2:3], v21
	flat_store_short v[2:3], v24 offset:512
	flat_store_short v[2:3], v25 offset:1024
	;; [unrolled: 1-line block ×6, first 2 shown]
.LBB274_291:
	s_and_saveexec_b64 s[4:5], s[2:3]
	s_cbranch_execnz .LBB274_293
; %bb.292:
	s_endpgm
.LBB274_293:
	v_lshl_add_u64 v[0:1], v[0:1], 1, s[0:1]
	v_add_co_u32_e32 v0, vcc, 0x2000, v0
	s_nop 1
	v_addc_co_u32_e32 v1, vcc, 0, v1, vcc
	flat_store_short v[0:1], v5 offset:3584
	s_endpgm
.LBB274_294:
	v_lshl_add_u64 v[52:53], s[62:63], 0, v[36:37]
	flat_load_ushort v1, v[52:53]
	s_or_b64 exec, exec, s[0:1]
                                        ; implicit-def: $vgpr51
	s_and_saveexec_b64 s[0:1], s[8:9]
	s_cbranch_execz .LBB274_61
.LBB274_295:
	v_mov_b32_e32 v37, 0
	v_lshl_add_u64 v[52:53], s[62:63], 0, v[36:37]
	flat_load_ushort v51, v[52:53] offset:512
	s_or_b64 exec, exec, s[0:1]
                                        ; implicit-def: $vgpr52
	s_and_saveexec_b64 s[0:1], s[10:11]
	s_cbranch_execz .LBB274_62
.LBB274_296:
	v_mov_b32_e32 v37, 0
	v_lshl_add_u64 v[52:53], s[62:63], 0, v[36:37]
	flat_load_ushort v52, v[52:53] offset:1024
	s_or_b64 exec, exec, s[0:1]
                                        ; implicit-def: $vgpr53
	s_and_saveexec_b64 s[0:1], s[12:13]
	s_cbranch_execz .LBB274_63
.LBB274_297:
	v_mov_b32_e32 v37, 0
	v_lshl_add_u64 v[54:55], s[62:63], 0, v[36:37]
	flat_load_ushort v53, v[54:55] offset:1536
	s_or_b64 exec, exec, s[0:1]
                                        ; implicit-def: $vgpr54
	s_and_saveexec_b64 s[0:1], s[14:15]
	s_cbranch_execz .LBB274_64
.LBB274_298:
	v_mov_b32_e32 v37, 0
	v_lshl_add_u64 v[54:55], s[62:63], 0, v[36:37]
	flat_load_ushort v54, v[54:55] offset:2048
	s_or_b64 exec, exec, s[0:1]
                                        ; implicit-def: $vgpr55
	s_and_saveexec_b64 s[0:1], s[16:17]
	s_cbranch_execz .LBB274_65
.LBB274_299:
	v_mov_b32_e32 v37, 0
	v_lshl_add_u64 v[56:57], s[62:63], 0, v[36:37]
	flat_load_ushort v55, v[56:57] offset:2560
	s_or_b64 exec, exec, s[0:1]
                                        ; implicit-def: $vgpr56
	s_and_saveexec_b64 s[0:1], s[18:19]
	s_cbranch_execz .LBB274_66
.LBB274_300:
	v_mov_b32_e32 v37, 0
	v_lshl_add_u64 v[56:57], s[62:63], 0, v[36:37]
	flat_load_ushort v56, v[56:57] offset:3072
	s_or_b64 exec, exec, s[0:1]
                                        ; implicit-def: $vgpr37
	s_and_saveexec_b64 s[0:1], s[20:21]
	s_cbranch_execz .LBB274_67
.LBB274_301:
	v_mov_b32_e32 v37, 0
	v_lshl_add_u64 v[58:59], s[62:63], 0, v[36:37]
	flat_load_ushort v37, v[58:59] offset:3584
	s_or_b64 exec, exec, s[0:1]
                                        ; implicit-def: $vgpr3
	s_and_saveexec_b64 s[0:1], s[22:23]
	s_cbranch_execz .LBB274_68
.LBB274_302:
	v_mov_b32_e32 v3, 0
	v_lshl_add_u64 v[2:3], s[62:63], 0, v[2:3]
	flat_load_ushort v3, v[2:3]
	s_or_b64 exec, exec, s[0:1]
                                        ; implicit-def: $vgpr2
	s_and_saveexec_b64 s[0:1], s[24:25]
	s_cbranch_execz .LBB274_69
.LBB274_303:
	v_mov_b32_e32 v5, 0
	v_lshl_add_u64 v[4:5], s[62:63], 0, v[4:5]
	flat_load_ushort v2, v[4:5]
	s_or_b64 exec, exec, s[0:1]
                                        ; implicit-def: $vgpr4
	s_and_saveexec_b64 s[0:1], s[26:27]
	s_cbranch_execz .LBB274_70
.LBB274_304:
	v_mov_b32_e32 v7, 0
	v_lshl_add_u64 v[4:5], s[62:63], 0, v[6:7]
	flat_load_ushort v4, v[4:5]
	s_or_b64 exec, exec, s[0:1]
                                        ; implicit-def: $vgpr5
	s_and_saveexec_b64 s[0:1], s[28:29]
	s_cbranch_execz .LBB274_71
.LBB274_305:
	v_mov_b32_e32 v9, 0
	v_lshl_add_u64 v[6:7], s[62:63], 0, v[8:9]
	flat_load_ushort v5, v[6:7]
	s_or_b64 exec, exec, s[0:1]
                                        ; implicit-def: $vgpr6
	s_and_saveexec_b64 s[0:1], s[30:31]
	s_cbranch_execz .LBB274_72
.LBB274_306:
	v_mov_b32_e32 v11, 0
	v_lshl_add_u64 v[6:7], s[62:63], 0, v[10:11]
	flat_load_ushort v6, v[6:7]
	s_or_b64 exec, exec, s[0:1]
                                        ; implicit-def: $vgpr7
	s_and_saveexec_b64 s[0:1], s[34:35]
	s_cbranch_execz .LBB274_73
.LBB274_307:
	v_mov_b32_e32 v13, 0
	v_lshl_add_u64 v[8:9], s[62:63], 0, v[12:13]
	flat_load_ushort v7, v[8:9]
	s_or_b64 exec, exec, s[0:1]
                                        ; implicit-def: $vgpr8
	s_and_saveexec_b64 s[0:1], s[36:37]
	s_cbranch_execz .LBB274_74
.LBB274_308:
	v_mov_b32_e32 v15, 0
	v_lshl_add_u64 v[8:9], s[62:63], 0, v[14:15]
	flat_load_ushort v8, v[8:9]
	s_or_b64 exec, exec, s[0:1]
                                        ; implicit-def: $vgpr9
	s_and_saveexec_b64 s[0:1], s[38:39]
	s_cbranch_execz .LBB274_75
.LBB274_309:
	v_mov_b32_e32 v17, 0
	v_lshl_add_u64 v[10:11], s[62:63], 0, v[16:17]
	flat_load_ushort v9, v[10:11]
	s_or_b64 exec, exec, s[0:1]
                                        ; implicit-def: $vgpr10
	s_and_saveexec_b64 s[0:1], s[40:41]
	s_cbranch_execz .LBB274_76
.LBB274_310:
	v_mov_b32_e32 v19, 0
	v_lshl_add_u64 v[10:11], s[62:63], 0, v[18:19]
	flat_load_ushort v10, v[10:11]
	s_or_b64 exec, exec, s[0:1]
                                        ; implicit-def: $vgpr11
	s_and_saveexec_b64 s[0:1], s[42:43]
	s_cbranch_execz .LBB274_77
.LBB274_311:
	v_mov_b32_e32 v21, 0
	v_lshl_add_u64 v[12:13], s[62:63], 0, v[20:21]
	flat_load_ushort v11, v[12:13]
	s_or_b64 exec, exec, s[0:1]
                                        ; implicit-def: $vgpr12
	s_and_saveexec_b64 s[0:1], s[44:45]
	s_cbranch_execz .LBB274_78
.LBB274_312:
	v_mov_b32_e32 v35, 0
	v_lshl_add_u64 v[12:13], s[62:63], 0, v[34:35]
	flat_load_ushort v12, v[12:13]
	s_or_b64 exec, exec, s[0:1]
                                        ; implicit-def: $vgpr13
	s_and_saveexec_b64 s[0:1], s[46:47]
	s_cbranch_execz .LBB274_79
.LBB274_313:
	v_mov_b32_e32 v39, 0
	v_lshl_add_u64 v[14:15], s[62:63], 0, v[38:39]
	flat_load_ushort v13, v[14:15]
	s_or_b64 exec, exec, s[0:1]
                                        ; implicit-def: $vgpr14
	s_and_saveexec_b64 s[0:1], s[48:49]
	s_cbranch_execz .LBB274_80
.LBB274_314:
	v_mov_b32_e32 v41, 0
	v_lshl_add_u64 v[14:15], s[62:63], 0, v[40:41]
	flat_load_ushort v14, v[14:15]
	s_or_b64 exec, exec, s[0:1]
                                        ; implicit-def: $vgpr15
	s_and_saveexec_b64 s[0:1], s[50:51]
	s_cbranch_execz .LBB274_81
.LBB274_315:
	v_mov_b32_e32 v43, 0
	v_lshl_add_u64 v[16:17], s[62:63], 0, v[42:43]
	flat_load_ushort v15, v[16:17]
	s_or_b64 exec, exec, s[0:1]
                                        ; implicit-def: $vgpr16
	s_and_saveexec_b64 s[0:1], s[52:53]
	s_cbranch_execz .LBB274_82
.LBB274_316:
	v_mov_b32_e32 v45, 0
	v_lshl_add_u64 v[16:17], s[62:63], 0, v[44:45]
	flat_load_ushort v16, v[16:17]
	s_or_b64 exec, exec, s[0:1]
                                        ; implicit-def: $vgpr17
	s_and_saveexec_b64 s[0:1], s[54:55]
	s_cbranch_execnz .LBB274_83
	s_branch .LBB274_84
.LBB274_317:
                                        ; implicit-def: $sgpr0_sgpr1
	s_branch .LBB274_56
.LBB274_318:
                                        ; implicit-def: $sgpr0_sgpr1
	s_branch .LBB274_135
	.section	.rodata,"a",@progbits
	.p2align	6, 0x0
	.amdhsa_kernel _ZN7rocprim17ROCPRIM_400000_NS6detail17trampoline_kernelINS0_14default_configENS1_27scan_by_key_config_selectorIssEEZZNS1_16scan_by_key_implILNS1_25lookback_scan_determinismE0ELb0ES3_N6thrust23THRUST_200600_302600_NS6detail15normal_iteratorINS9_10device_ptrIsEEEESE_SE_sNS9_4plusIvEENS9_8equal_toIvEEsEE10hipError_tPvRmT2_T3_T4_T5_mT6_T7_P12ihipStream_tbENKUlT_T0_E_clISt17integral_constantIbLb0EESY_IbLb1EEEEDaSU_SV_EUlSU_E_NS1_11comp_targetILNS1_3genE5ELNS1_11target_archE942ELNS1_3gpuE9ELNS1_3repE0EEENS1_30default_config_static_selectorELNS0_4arch9wavefront6targetE1EEEvT1_
		.amdhsa_group_segment_fixed_size 13312
		.amdhsa_private_segment_fixed_size 0
		.amdhsa_kernarg_size 112
		.amdhsa_user_sgpr_count 2
		.amdhsa_user_sgpr_dispatch_ptr 0
		.amdhsa_user_sgpr_queue_ptr 0
		.amdhsa_user_sgpr_kernarg_segment_ptr 1
		.amdhsa_user_sgpr_dispatch_id 0
		.amdhsa_user_sgpr_kernarg_preload_length 0
		.amdhsa_user_sgpr_kernarg_preload_offset 0
		.amdhsa_user_sgpr_private_segment_size 0
		.amdhsa_uses_dynamic_stack 0
		.amdhsa_enable_private_segment 0
		.amdhsa_system_sgpr_workgroup_id_x 1
		.amdhsa_system_sgpr_workgroup_id_y 0
		.amdhsa_system_sgpr_workgroup_id_z 0
		.amdhsa_system_sgpr_workgroup_info 0
		.amdhsa_system_vgpr_workitem_id 0
		.amdhsa_next_free_vgpr 63
		.amdhsa_next_free_sgpr 87
		.amdhsa_accum_offset 64
		.amdhsa_reserve_vcc 1
		.amdhsa_float_round_mode_32 0
		.amdhsa_float_round_mode_16_64 0
		.amdhsa_float_denorm_mode_32 3
		.amdhsa_float_denorm_mode_16_64 3
		.amdhsa_dx10_clamp 1
		.amdhsa_ieee_mode 1
		.amdhsa_fp16_overflow 0
		.amdhsa_tg_split 0
		.amdhsa_exception_fp_ieee_invalid_op 0
		.amdhsa_exception_fp_denorm_src 0
		.amdhsa_exception_fp_ieee_div_zero 0
		.amdhsa_exception_fp_ieee_overflow 0
		.amdhsa_exception_fp_ieee_underflow 0
		.amdhsa_exception_fp_ieee_inexact 0
		.amdhsa_exception_int_div_zero 0
	.end_amdhsa_kernel
	.section	.text._ZN7rocprim17ROCPRIM_400000_NS6detail17trampoline_kernelINS0_14default_configENS1_27scan_by_key_config_selectorIssEEZZNS1_16scan_by_key_implILNS1_25lookback_scan_determinismE0ELb0ES3_N6thrust23THRUST_200600_302600_NS6detail15normal_iteratorINS9_10device_ptrIsEEEESE_SE_sNS9_4plusIvEENS9_8equal_toIvEEsEE10hipError_tPvRmT2_T3_T4_T5_mT6_T7_P12ihipStream_tbENKUlT_T0_E_clISt17integral_constantIbLb0EESY_IbLb1EEEEDaSU_SV_EUlSU_E_NS1_11comp_targetILNS1_3genE5ELNS1_11target_archE942ELNS1_3gpuE9ELNS1_3repE0EEENS1_30default_config_static_selectorELNS0_4arch9wavefront6targetE1EEEvT1_,"axG",@progbits,_ZN7rocprim17ROCPRIM_400000_NS6detail17trampoline_kernelINS0_14default_configENS1_27scan_by_key_config_selectorIssEEZZNS1_16scan_by_key_implILNS1_25lookback_scan_determinismE0ELb0ES3_N6thrust23THRUST_200600_302600_NS6detail15normal_iteratorINS9_10device_ptrIsEEEESE_SE_sNS9_4plusIvEENS9_8equal_toIvEEsEE10hipError_tPvRmT2_T3_T4_T5_mT6_T7_P12ihipStream_tbENKUlT_T0_E_clISt17integral_constantIbLb0EESY_IbLb1EEEEDaSU_SV_EUlSU_E_NS1_11comp_targetILNS1_3genE5ELNS1_11target_archE942ELNS1_3gpuE9ELNS1_3repE0EEENS1_30default_config_static_selectorELNS0_4arch9wavefront6targetE1EEEvT1_,comdat
.Lfunc_end274:
	.size	_ZN7rocprim17ROCPRIM_400000_NS6detail17trampoline_kernelINS0_14default_configENS1_27scan_by_key_config_selectorIssEEZZNS1_16scan_by_key_implILNS1_25lookback_scan_determinismE0ELb0ES3_N6thrust23THRUST_200600_302600_NS6detail15normal_iteratorINS9_10device_ptrIsEEEESE_SE_sNS9_4plusIvEENS9_8equal_toIvEEsEE10hipError_tPvRmT2_T3_T4_T5_mT6_T7_P12ihipStream_tbENKUlT_T0_E_clISt17integral_constantIbLb0EESY_IbLb1EEEEDaSU_SV_EUlSU_E_NS1_11comp_targetILNS1_3genE5ELNS1_11target_archE942ELNS1_3gpuE9ELNS1_3repE0EEENS1_30default_config_static_selectorELNS0_4arch9wavefront6targetE1EEEvT1_, .Lfunc_end274-_ZN7rocprim17ROCPRIM_400000_NS6detail17trampoline_kernelINS0_14default_configENS1_27scan_by_key_config_selectorIssEEZZNS1_16scan_by_key_implILNS1_25lookback_scan_determinismE0ELb0ES3_N6thrust23THRUST_200600_302600_NS6detail15normal_iteratorINS9_10device_ptrIsEEEESE_SE_sNS9_4plusIvEENS9_8equal_toIvEEsEE10hipError_tPvRmT2_T3_T4_T5_mT6_T7_P12ihipStream_tbENKUlT_T0_E_clISt17integral_constantIbLb0EESY_IbLb1EEEEDaSU_SV_EUlSU_E_NS1_11comp_targetILNS1_3genE5ELNS1_11target_archE942ELNS1_3gpuE9ELNS1_3repE0EEENS1_30default_config_static_selectorELNS0_4arch9wavefront6targetE1EEEvT1_
                                        ; -- End function
	.section	.AMDGPU.csdata,"",@progbits
; Kernel info:
; codeLenInByte = 16224
; NumSgprs: 93
; NumVgprs: 63
; NumAgprs: 0
; TotalNumVgprs: 63
; ScratchSize: 0
; MemoryBound: 0
; FloatMode: 240
; IeeeMode: 1
; LDSByteSize: 13312 bytes/workgroup (compile time only)
; SGPRBlocks: 11
; VGPRBlocks: 7
; NumSGPRsForWavesPerEU: 93
; NumVGPRsForWavesPerEU: 63
; AccumOffset: 64
; Occupancy: 4
; WaveLimiterHint : 1
; COMPUTE_PGM_RSRC2:SCRATCH_EN: 0
; COMPUTE_PGM_RSRC2:USER_SGPR: 2
; COMPUTE_PGM_RSRC2:TRAP_HANDLER: 0
; COMPUTE_PGM_RSRC2:TGID_X_EN: 1
; COMPUTE_PGM_RSRC2:TGID_Y_EN: 0
; COMPUTE_PGM_RSRC2:TGID_Z_EN: 0
; COMPUTE_PGM_RSRC2:TIDIG_COMP_CNT: 0
; COMPUTE_PGM_RSRC3_GFX90A:ACCUM_OFFSET: 15
; COMPUTE_PGM_RSRC3_GFX90A:TG_SPLIT: 0
	.section	.text._ZN7rocprim17ROCPRIM_400000_NS6detail17trampoline_kernelINS0_14default_configENS1_27scan_by_key_config_selectorIssEEZZNS1_16scan_by_key_implILNS1_25lookback_scan_determinismE0ELb0ES3_N6thrust23THRUST_200600_302600_NS6detail15normal_iteratorINS9_10device_ptrIsEEEESE_SE_sNS9_4plusIvEENS9_8equal_toIvEEsEE10hipError_tPvRmT2_T3_T4_T5_mT6_T7_P12ihipStream_tbENKUlT_T0_E_clISt17integral_constantIbLb0EESY_IbLb1EEEEDaSU_SV_EUlSU_E_NS1_11comp_targetILNS1_3genE4ELNS1_11target_archE910ELNS1_3gpuE8ELNS1_3repE0EEENS1_30default_config_static_selectorELNS0_4arch9wavefront6targetE1EEEvT1_,"axG",@progbits,_ZN7rocprim17ROCPRIM_400000_NS6detail17trampoline_kernelINS0_14default_configENS1_27scan_by_key_config_selectorIssEEZZNS1_16scan_by_key_implILNS1_25lookback_scan_determinismE0ELb0ES3_N6thrust23THRUST_200600_302600_NS6detail15normal_iteratorINS9_10device_ptrIsEEEESE_SE_sNS9_4plusIvEENS9_8equal_toIvEEsEE10hipError_tPvRmT2_T3_T4_T5_mT6_T7_P12ihipStream_tbENKUlT_T0_E_clISt17integral_constantIbLb0EESY_IbLb1EEEEDaSU_SV_EUlSU_E_NS1_11comp_targetILNS1_3genE4ELNS1_11target_archE910ELNS1_3gpuE8ELNS1_3repE0EEENS1_30default_config_static_selectorELNS0_4arch9wavefront6targetE1EEEvT1_,comdat
	.protected	_ZN7rocprim17ROCPRIM_400000_NS6detail17trampoline_kernelINS0_14default_configENS1_27scan_by_key_config_selectorIssEEZZNS1_16scan_by_key_implILNS1_25lookback_scan_determinismE0ELb0ES3_N6thrust23THRUST_200600_302600_NS6detail15normal_iteratorINS9_10device_ptrIsEEEESE_SE_sNS9_4plusIvEENS9_8equal_toIvEEsEE10hipError_tPvRmT2_T3_T4_T5_mT6_T7_P12ihipStream_tbENKUlT_T0_E_clISt17integral_constantIbLb0EESY_IbLb1EEEEDaSU_SV_EUlSU_E_NS1_11comp_targetILNS1_3genE4ELNS1_11target_archE910ELNS1_3gpuE8ELNS1_3repE0EEENS1_30default_config_static_selectorELNS0_4arch9wavefront6targetE1EEEvT1_ ; -- Begin function _ZN7rocprim17ROCPRIM_400000_NS6detail17trampoline_kernelINS0_14default_configENS1_27scan_by_key_config_selectorIssEEZZNS1_16scan_by_key_implILNS1_25lookback_scan_determinismE0ELb0ES3_N6thrust23THRUST_200600_302600_NS6detail15normal_iteratorINS9_10device_ptrIsEEEESE_SE_sNS9_4plusIvEENS9_8equal_toIvEEsEE10hipError_tPvRmT2_T3_T4_T5_mT6_T7_P12ihipStream_tbENKUlT_T0_E_clISt17integral_constantIbLb0EESY_IbLb1EEEEDaSU_SV_EUlSU_E_NS1_11comp_targetILNS1_3genE4ELNS1_11target_archE910ELNS1_3gpuE8ELNS1_3repE0EEENS1_30default_config_static_selectorELNS0_4arch9wavefront6targetE1EEEvT1_
	.globl	_ZN7rocprim17ROCPRIM_400000_NS6detail17trampoline_kernelINS0_14default_configENS1_27scan_by_key_config_selectorIssEEZZNS1_16scan_by_key_implILNS1_25lookback_scan_determinismE0ELb0ES3_N6thrust23THRUST_200600_302600_NS6detail15normal_iteratorINS9_10device_ptrIsEEEESE_SE_sNS9_4plusIvEENS9_8equal_toIvEEsEE10hipError_tPvRmT2_T3_T4_T5_mT6_T7_P12ihipStream_tbENKUlT_T0_E_clISt17integral_constantIbLb0EESY_IbLb1EEEEDaSU_SV_EUlSU_E_NS1_11comp_targetILNS1_3genE4ELNS1_11target_archE910ELNS1_3gpuE8ELNS1_3repE0EEENS1_30default_config_static_selectorELNS0_4arch9wavefront6targetE1EEEvT1_
	.p2align	8
	.type	_ZN7rocprim17ROCPRIM_400000_NS6detail17trampoline_kernelINS0_14default_configENS1_27scan_by_key_config_selectorIssEEZZNS1_16scan_by_key_implILNS1_25lookback_scan_determinismE0ELb0ES3_N6thrust23THRUST_200600_302600_NS6detail15normal_iteratorINS9_10device_ptrIsEEEESE_SE_sNS9_4plusIvEENS9_8equal_toIvEEsEE10hipError_tPvRmT2_T3_T4_T5_mT6_T7_P12ihipStream_tbENKUlT_T0_E_clISt17integral_constantIbLb0EESY_IbLb1EEEEDaSU_SV_EUlSU_E_NS1_11comp_targetILNS1_3genE4ELNS1_11target_archE910ELNS1_3gpuE8ELNS1_3repE0EEENS1_30default_config_static_selectorELNS0_4arch9wavefront6targetE1EEEvT1_,@function
_ZN7rocprim17ROCPRIM_400000_NS6detail17trampoline_kernelINS0_14default_configENS1_27scan_by_key_config_selectorIssEEZZNS1_16scan_by_key_implILNS1_25lookback_scan_determinismE0ELb0ES3_N6thrust23THRUST_200600_302600_NS6detail15normal_iteratorINS9_10device_ptrIsEEEESE_SE_sNS9_4plusIvEENS9_8equal_toIvEEsEE10hipError_tPvRmT2_T3_T4_T5_mT6_T7_P12ihipStream_tbENKUlT_T0_E_clISt17integral_constantIbLb0EESY_IbLb1EEEEDaSU_SV_EUlSU_E_NS1_11comp_targetILNS1_3genE4ELNS1_11target_archE910ELNS1_3gpuE8ELNS1_3repE0EEENS1_30default_config_static_selectorELNS0_4arch9wavefront6targetE1EEEvT1_: ; @_ZN7rocprim17ROCPRIM_400000_NS6detail17trampoline_kernelINS0_14default_configENS1_27scan_by_key_config_selectorIssEEZZNS1_16scan_by_key_implILNS1_25lookback_scan_determinismE0ELb0ES3_N6thrust23THRUST_200600_302600_NS6detail15normal_iteratorINS9_10device_ptrIsEEEESE_SE_sNS9_4plusIvEENS9_8equal_toIvEEsEE10hipError_tPvRmT2_T3_T4_T5_mT6_T7_P12ihipStream_tbENKUlT_T0_E_clISt17integral_constantIbLb0EESY_IbLb1EEEEDaSU_SV_EUlSU_E_NS1_11comp_targetILNS1_3genE4ELNS1_11target_archE910ELNS1_3gpuE8ELNS1_3repE0EEENS1_30default_config_static_selectorELNS0_4arch9wavefront6targetE1EEEvT1_
; %bb.0:
	.section	.rodata,"a",@progbits
	.p2align	6, 0x0
	.amdhsa_kernel _ZN7rocprim17ROCPRIM_400000_NS6detail17trampoline_kernelINS0_14default_configENS1_27scan_by_key_config_selectorIssEEZZNS1_16scan_by_key_implILNS1_25lookback_scan_determinismE0ELb0ES3_N6thrust23THRUST_200600_302600_NS6detail15normal_iteratorINS9_10device_ptrIsEEEESE_SE_sNS9_4plusIvEENS9_8equal_toIvEEsEE10hipError_tPvRmT2_T3_T4_T5_mT6_T7_P12ihipStream_tbENKUlT_T0_E_clISt17integral_constantIbLb0EESY_IbLb1EEEEDaSU_SV_EUlSU_E_NS1_11comp_targetILNS1_3genE4ELNS1_11target_archE910ELNS1_3gpuE8ELNS1_3repE0EEENS1_30default_config_static_selectorELNS0_4arch9wavefront6targetE1EEEvT1_
		.amdhsa_group_segment_fixed_size 0
		.amdhsa_private_segment_fixed_size 0
		.amdhsa_kernarg_size 112
		.amdhsa_user_sgpr_count 2
		.amdhsa_user_sgpr_dispatch_ptr 0
		.amdhsa_user_sgpr_queue_ptr 0
		.amdhsa_user_sgpr_kernarg_segment_ptr 1
		.amdhsa_user_sgpr_dispatch_id 0
		.amdhsa_user_sgpr_kernarg_preload_length 0
		.amdhsa_user_sgpr_kernarg_preload_offset 0
		.amdhsa_user_sgpr_private_segment_size 0
		.amdhsa_uses_dynamic_stack 0
		.amdhsa_enable_private_segment 0
		.amdhsa_system_sgpr_workgroup_id_x 1
		.amdhsa_system_sgpr_workgroup_id_y 0
		.amdhsa_system_sgpr_workgroup_id_z 0
		.amdhsa_system_sgpr_workgroup_info 0
		.amdhsa_system_vgpr_workitem_id 0
		.amdhsa_next_free_vgpr 1
		.amdhsa_next_free_sgpr 0
		.amdhsa_accum_offset 4
		.amdhsa_reserve_vcc 0
		.amdhsa_float_round_mode_32 0
		.amdhsa_float_round_mode_16_64 0
		.amdhsa_float_denorm_mode_32 3
		.amdhsa_float_denorm_mode_16_64 3
		.amdhsa_dx10_clamp 1
		.amdhsa_ieee_mode 1
		.amdhsa_fp16_overflow 0
		.amdhsa_tg_split 0
		.amdhsa_exception_fp_ieee_invalid_op 0
		.amdhsa_exception_fp_denorm_src 0
		.amdhsa_exception_fp_ieee_div_zero 0
		.amdhsa_exception_fp_ieee_overflow 0
		.amdhsa_exception_fp_ieee_underflow 0
		.amdhsa_exception_fp_ieee_inexact 0
		.amdhsa_exception_int_div_zero 0
	.end_amdhsa_kernel
	.section	.text._ZN7rocprim17ROCPRIM_400000_NS6detail17trampoline_kernelINS0_14default_configENS1_27scan_by_key_config_selectorIssEEZZNS1_16scan_by_key_implILNS1_25lookback_scan_determinismE0ELb0ES3_N6thrust23THRUST_200600_302600_NS6detail15normal_iteratorINS9_10device_ptrIsEEEESE_SE_sNS9_4plusIvEENS9_8equal_toIvEEsEE10hipError_tPvRmT2_T3_T4_T5_mT6_T7_P12ihipStream_tbENKUlT_T0_E_clISt17integral_constantIbLb0EESY_IbLb1EEEEDaSU_SV_EUlSU_E_NS1_11comp_targetILNS1_3genE4ELNS1_11target_archE910ELNS1_3gpuE8ELNS1_3repE0EEENS1_30default_config_static_selectorELNS0_4arch9wavefront6targetE1EEEvT1_,"axG",@progbits,_ZN7rocprim17ROCPRIM_400000_NS6detail17trampoline_kernelINS0_14default_configENS1_27scan_by_key_config_selectorIssEEZZNS1_16scan_by_key_implILNS1_25lookback_scan_determinismE0ELb0ES3_N6thrust23THRUST_200600_302600_NS6detail15normal_iteratorINS9_10device_ptrIsEEEESE_SE_sNS9_4plusIvEENS9_8equal_toIvEEsEE10hipError_tPvRmT2_T3_T4_T5_mT6_T7_P12ihipStream_tbENKUlT_T0_E_clISt17integral_constantIbLb0EESY_IbLb1EEEEDaSU_SV_EUlSU_E_NS1_11comp_targetILNS1_3genE4ELNS1_11target_archE910ELNS1_3gpuE8ELNS1_3repE0EEENS1_30default_config_static_selectorELNS0_4arch9wavefront6targetE1EEEvT1_,comdat
.Lfunc_end275:
	.size	_ZN7rocprim17ROCPRIM_400000_NS6detail17trampoline_kernelINS0_14default_configENS1_27scan_by_key_config_selectorIssEEZZNS1_16scan_by_key_implILNS1_25lookback_scan_determinismE0ELb0ES3_N6thrust23THRUST_200600_302600_NS6detail15normal_iteratorINS9_10device_ptrIsEEEESE_SE_sNS9_4plusIvEENS9_8equal_toIvEEsEE10hipError_tPvRmT2_T3_T4_T5_mT6_T7_P12ihipStream_tbENKUlT_T0_E_clISt17integral_constantIbLb0EESY_IbLb1EEEEDaSU_SV_EUlSU_E_NS1_11comp_targetILNS1_3genE4ELNS1_11target_archE910ELNS1_3gpuE8ELNS1_3repE0EEENS1_30default_config_static_selectorELNS0_4arch9wavefront6targetE1EEEvT1_, .Lfunc_end275-_ZN7rocprim17ROCPRIM_400000_NS6detail17trampoline_kernelINS0_14default_configENS1_27scan_by_key_config_selectorIssEEZZNS1_16scan_by_key_implILNS1_25lookback_scan_determinismE0ELb0ES3_N6thrust23THRUST_200600_302600_NS6detail15normal_iteratorINS9_10device_ptrIsEEEESE_SE_sNS9_4plusIvEENS9_8equal_toIvEEsEE10hipError_tPvRmT2_T3_T4_T5_mT6_T7_P12ihipStream_tbENKUlT_T0_E_clISt17integral_constantIbLb0EESY_IbLb1EEEEDaSU_SV_EUlSU_E_NS1_11comp_targetILNS1_3genE4ELNS1_11target_archE910ELNS1_3gpuE8ELNS1_3repE0EEENS1_30default_config_static_selectorELNS0_4arch9wavefront6targetE1EEEvT1_
                                        ; -- End function
	.section	.AMDGPU.csdata,"",@progbits
; Kernel info:
; codeLenInByte = 0
; NumSgprs: 6
; NumVgprs: 0
; NumAgprs: 0
; TotalNumVgprs: 0
; ScratchSize: 0
; MemoryBound: 0
; FloatMode: 240
; IeeeMode: 1
; LDSByteSize: 0 bytes/workgroup (compile time only)
; SGPRBlocks: 0
; VGPRBlocks: 0
; NumSGPRsForWavesPerEU: 6
; NumVGPRsForWavesPerEU: 1
; AccumOffset: 4
; Occupancy: 8
; WaveLimiterHint : 0
; COMPUTE_PGM_RSRC2:SCRATCH_EN: 0
; COMPUTE_PGM_RSRC2:USER_SGPR: 2
; COMPUTE_PGM_RSRC2:TRAP_HANDLER: 0
; COMPUTE_PGM_RSRC2:TGID_X_EN: 1
; COMPUTE_PGM_RSRC2:TGID_Y_EN: 0
; COMPUTE_PGM_RSRC2:TGID_Z_EN: 0
; COMPUTE_PGM_RSRC2:TIDIG_COMP_CNT: 0
; COMPUTE_PGM_RSRC3_GFX90A:ACCUM_OFFSET: 0
; COMPUTE_PGM_RSRC3_GFX90A:TG_SPLIT: 0
	.section	.text._ZN7rocprim17ROCPRIM_400000_NS6detail17trampoline_kernelINS0_14default_configENS1_27scan_by_key_config_selectorIssEEZZNS1_16scan_by_key_implILNS1_25lookback_scan_determinismE0ELb0ES3_N6thrust23THRUST_200600_302600_NS6detail15normal_iteratorINS9_10device_ptrIsEEEESE_SE_sNS9_4plusIvEENS9_8equal_toIvEEsEE10hipError_tPvRmT2_T3_T4_T5_mT6_T7_P12ihipStream_tbENKUlT_T0_E_clISt17integral_constantIbLb0EESY_IbLb1EEEEDaSU_SV_EUlSU_E_NS1_11comp_targetILNS1_3genE3ELNS1_11target_archE908ELNS1_3gpuE7ELNS1_3repE0EEENS1_30default_config_static_selectorELNS0_4arch9wavefront6targetE1EEEvT1_,"axG",@progbits,_ZN7rocprim17ROCPRIM_400000_NS6detail17trampoline_kernelINS0_14default_configENS1_27scan_by_key_config_selectorIssEEZZNS1_16scan_by_key_implILNS1_25lookback_scan_determinismE0ELb0ES3_N6thrust23THRUST_200600_302600_NS6detail15normal_iteratorINS9_10device_ptrIsEEEESE_SE_sNS9_4plusIvEENS9_8equal_toIvEEsEE10hipError_tPvRmT2_T3_T4_T5_mT6_T7_P12ihipStream_tbENKUlT_T0_E_clISt17integral_constantIbLb0EESY_IbLb1EEEEDaSU_SV_EUlSU_E_NS1_11comp_targetILNS1_3genE3ELNS1_11target_archE908ELNS1_3gpuE7ELNS1_3repE0EEENS1_30default_config_static_selectorELNS0_4arch9wavefront6targetE1EEEvT1_,comdat
	.protected	_ZN7rocprim17ROCPRIM_400000_NS6detail17trampoline_kernelINS0_14default_configENS1_27scan_by_key_config_selectorIssEEZZNS1_16scan_by_key_implILNS1_25lookback_scan_determinismE0ELb0ES3_N6thrust23THRUST_200600_302600_NS6detail15normal_iteratorINS9_10device_ptrIsEEEESE_SE_sNS9_4plusIvEENS9_8equal_toIvEEsEE10hipError_tPvRmT2_T3_T4_T5_mT6_T7_P12ihipStream_tbENKUlT_T0_E_clISt17integral_constantIbLb0EESY_IbLb1EEEEDaSU_SV_EUlSU_E_NS1_11comp_targetILNS1_3genE3ELNS1_11target_archE908ELNS1_3gpuE7ELNS1_3repE0EEENS1_30default_config_static_selectorELNS0_4arch9wavefront6targetE1EEEvT1_ ; -- Begin function _ZN7rocprim17ROCPRIM_400000_NS6detail17trampoline_kernelINS0_14default_configENS1_27scan_by_key_config_selectorIssEEZZNS1_16scan_by_key_implILNS1_25lookback_scan_determinismE0ELb0ES3_N6thrust23THRUST_200600_302600_NS6detail15normal_iteratorINS9_10device_ptrIsEEEESE_SE_sNS9_4plusIvEENS9_8equal_toIvEEsEE10hipError_tPvRmT2_T3_T4_T5_mT6_T7_P12ihipStream_tbENKUlT_T0_E_clISt17integral_constantIbLb0EESY_IbLb1EEEEDaSU_SV_EUlSU_E_NS1_11comp_targetILNS1_3genE3ELNS1_11target_archE908ELNS1_3gpuE7ELNS1_3repE0EEENS1_30default_config_static_selectorELNS0_4arch9wavefront6targetE1EEEvT1_
	.globl	_ZN7rocprim17ROCPRIM_400000_NS6detail17trampoline_kernelINS0_14default_configENS1_27scan_by_key_config_selectorIssEEZZNS1_16scan_by_key_implILNS1_25lookback_scan_determinismE0ELb0ES3_N6thrust23THRUST_200600_302600_NS6detail15normal_iteratorINS9_10device_ptrIsEEEESE_SE_sNS9_4plusIvEENS9_8equal_toIvEEsEE10hipError_tPvRmT2_T3_T4_T5_mT6_T7_P12ihipStream_tbENKUlT_T0_E_clISt17integral_constantIbLb0EESY_IbLb1EEEEDaSU_SV_EUlSU_E_NS1_11comp_targetILNS1_3genE3ELNS1_11target_archE908ELNS1_3gpuE7ELNS1_3repE0EEENS1_30default_config_static_selectorELNS0_4arch9wavefront6targetE1EEEvT1_
	.p2align	8
	.type	_ZN7rocprim17ROCPRIM_400000_NS6detail17trampoline_kernelINS0_14default_configENS1_27scan_by_key_config_selectorIssEEZZNS1_16scan_by_key_implILNS1_25lookback_scan_determinismE0ELb0ES3_N6thrust23THRUST_200600_302600_NS6detail15normal_iteratorINS9_10device_ptrIsEEEESE_SE_sNS9_4plusIvEENS9_8equal_toIvEEsEE10hipError_tPvRmT2_T3_T4_T5_mT6_T7_P12ihipStream_tbENKUlT_T0_E_clISt17integral_constantIbLb0EESY_IbLb1EEEEDaSU_SV_EUlSU_E_NS1_11comp_targetILNS1_3genE3ELNS1_11target_archE908ELNS1_3gpuE7ELNS1_3repE0EEENS1_30default_config_static_selectorELNS0_4arch9wavefront6targetE1EEEvT1_,@function
_ZN7rocprim17ROCPRIM_400000_NS6detail17trampoline_kernelINS0_14default_configENS1_27scan_by_key_config_selectorIssEEZZNS1_16scan_by_key_implILNS1_25lookback_scan_determinismE0ELb0ES3_N6thrust23THRUST_200600_302600_NS6detail15normal_iteratorINS9_10device_ptrIsEEEESE_SE_sNS9_4plusIvEENS9_8equal_toIvEEsEE10hipError_tPvRmT2_T3_T4_T5_mT6_T7_P12ihipStream_tbENKUlT_T0_E_clISt17integral_constantIbLb0EESY_IbLb1EEEEDaSU_SV_EUlSU_E_NS1_11comp_targetILNS1_3genE3ELNS1_11target_archE908ELNS1_3gpuE7ELNS1_3repE0EEENS1_30default_config_static_selectorELNS0_4arch9wavefront6targetE1EEEvT1_: ; @_ZN7rocprim17ROCPRIM_400000_NS6detail17trampoline_kernelINS0_14default_configENS1_27scan_by_key_config_selectorIssEEZZNS1_16scan_by_key_implILNS1_25lookback_scan_determinismE0ELb0ES3_N6thrust23THRUST_200600_302600_NS6detail15normal_iteratorINS9_10device_ptrIsEEEESE_SE_sNS9_4plusIvEENS9_8equal_toIvEEsEE10hipError_tPvRmT2_T3_T4_T5_mT6_T7_P12ihipStream_tbENKUlT_T0_E_clISt17integral_constantIbLb0EESY_IbLb1EEEEDaSU_SV_EUlSU_E_NS1_11comp_targetILNS1_3genE3ELNS1_11target_archE908ELNS1_3gpuE7ELNS1_3repE0EEENS1_30default_config_static_selectorELNS0_4arch9wavefront6targetE1EEEvT1_
; %bb.0:
	.section	.rodata,"a",@progbits
	.p2align	6, 0x0
	.amdhsa_kernel _ZN7rocprim17ROCPRIM_400000_NS6detail17trampoline_kernelINS0_14default_configENS1_27scan_by_key_config_selectorIssEEZZNS1_16scan_by_key_implILNS1_25lookback_scan_determinismE0ELb0ES3_N6thrust23THRUST_200600_302600_NS6detail15normal_iteratorINS9_10device_ptrIsEEEESE_SE_sNS9_4plusIvEENS9_8equal_toIvEEsEE10hipError_tPvRmT2_T3_T4_T5_mT6_T7_P12ihipStream_tbENKUlT_T0_E_clISt17integral_constantIbLb0EESY_IbLb1EEEEDaSU_SV_EUlSU_E_NS1_11comp_targetILNS1_3genE3ELNS1_11target_archE908ELNS1_3gpuE7ELNS1_3repE0EEENS1_30default_config_static_selectorELNS0_4arch9wavefront6targetE1EEEvT1_
		.amdhsa_group_segment_fixed_size 0
		.amdhsa_private_segment_fixed_size 0
		.amdhsa_kernarg_size 112
		.amdhsa_user_sgpr_count 2
		.amdhsa_user_sgpr_dispatch_ptr 0
		.amdhsa_user_sgpr_queue_ptr 0
		.amdhsa_user_sgpr_kernarg_segment_ptr 1
		.amdhsa_user_sgpr_dispatch_id 0
		.amdhsa_user_sgpr_kernarg_preload_length 0
		.amdhsa_user_sgpr_kernarg_preload_offset 0
		.amdhsa_user_sgpr_private_segment_size 0
		.amdhsa_uses_dynamic_stack 0
		.amdhsa_enable_private_segment 0
		.amdhsa_system_sgpr_workgroup_id_x 1
		.amdhsa_system_sgpr_workgroup_id_y 0
		.amdhsa_system_sgpr_workgroup_id_z 0
		.amdhsa_system_sgpr_workgroup_info 0
		.amdhsa_system_vgpr_workitem_id 0
		.amdhsa_next_free_vgpr 1
		.amdhsa_next_free_sgpr 0
		.amdhsa_accum_offset 4
		.amdhsa_reserve_vcc 0
		.amdhsa_float_round_mode_32 0
		.amdhsa_float_round_mode_16_64 0
		.amdhsa_float_denorm_mode_32 3
		.amdhsa_float_denorm_mode_16_64 3
		.amdhsa_dx10_clamp 1
		.amdhsa_ieee_mode 1
		.amdhsa_fp16_overflow 0
		.amdhsa_tg_split 0
		.amdhsa_exception_fp_ieee_invalid_op 0
		.amdhsa_exception_fp_denorm_src 0
		.amdhsa_exception_fp_ieee_div_zero 0
		.amdhsa_exception_fp_ieee_overflow 0
		.amdhsa_exception_fp_ieee_underflow 0
		.amdhsa_exception_fp_ieee_inexact 0
		.amdhsa_exception_int_div_zero 0
	.end_amdhsa_kernel
	.section	.text._ZN7rocprim17ROCPRIM_400000_NS6detail17trampoline_kernelINS0_14default_configENS1_27scan_by_key_config_selectorIssEEZZNS1_16scan_by_key_implILNS1_25lookback_scan_determinismE0ELb0ES3_N6thrust23THRUST_200600_302600_NS6detail15normal_iteratorINS9_10device_ptrIsEEEESE_SE_sNS9_4plusIvEENS9_8equal_toIvEEsEE10hipError_tPvRmT2_T3_T4_T5_mT6_T7_P12ihipStream_tbENKUlT_T0_E_clISt17integral_constantIbLb0EESY_IbLb1EEEEDaSU_SV_EUlSU_E_NS1_11comp_targetILNS1_3genE3ELNS1_11target_archE908ELNS1_3gpuE7ELNS1_3repE0EEENS1_30default_config_static_selectorELNS0_4arch9wavefront6targetE1EEEvT1_,"axG",@progbits,_ZN7rocprim17ROCPRIM_400000_NS6detail17trampoline_kernelINS0_14default_configENS1_27scan_by_key_config_selectorIssEEZZNS1_16scan_by_key_implILNS1_25lookback_scan_determinismE0ELb0ES3_N6thrust23THRUST_200600_302600_NS6detail15normal_iteratorINS9_10device_ptrIsEEEESE_SE_sNS9_4plusIvEENS9_8equal_toIvEEsEE10hipError_tPvRmT2_T3_T4_T5_mT6_T7_P12ihipStream_tbENKUlT_T0_E_clISt17integral_constantIbLb0EESY_IbLb1EEEEDaSU_SV_EUlSU_E_NS1_11comp_targetILNS1_3genE3ELNS1_11target_archE908ELNS1_3gpuE7ELNS1_3repE0EEENS1_30default_config_static_selectorELNS0_4arch9wavefront6targetE1EEEvT1_,comdat
.Lfunc_end276:
	.size	_ZN7rocprim17ROCPRIM_400000_NS6detail17trampoline_kernelINS0_14default_configENS1_27scan_by_key_config_selectorIssEEZZNS1_16scan_by_key_implILNS1_25lookback_scan_determinismE0ELb0ES3_N6thrust23THRUST_200600_302600_NS6detail15normal_iteratorINS9_10device_ptrIsEEEESE_SE_sNS9_4plusIvEENS9_8equal_toIvEEsEE10hipError_tPvRmT2_T3_T4_T5_mT6_T7_P12ihipStream_tbENKUlT_T0_E_clISt17integral_constantIbLb0EESY_IbLb1EEEEDaSU_SV_EUlSU_E_NS1_11comp_targetILNS1_3genE3ELNS1_11target_archE908ELNS1_3gpuE7ELNS1_3repE0EEENS1_30default_config_static_selectorELNS0_4arch9wavefront6targetE1EEEvT1_, .Lfunc_end276-_ZN7rocprim17ROCPRIM_400000_NS6detail17trampoline_kernelINS0_14default_configENS1_27scan_by_key_config_selectorIssEEZZNS1_16scan_by_key_implILNS1_25lookback_scan_determinismE0ELb0ES3_N6thrust23THRUST_200600_302600_NS6detail15normal_iteratorINS9_10device_ptrIsEEEESE_SE_sNS9_4plusIvEENS9_8equal_toIvEEsEE10hipError_tPvRmT2_T3_T4_T5_mT6_T7_P12ihipStream_tbENKUlT_T0_E_clISt17integral_constantIbLb0EESY_IbLb1EEEEDaSU_SV_EUlSU_E_NS1_11comp_targetILNS1_3genE3ELNS1_11target_archE908ELNS1_3gpuE7ELNS1_3repE0EEENS1_30default_config_static_selectorELNS0_4arch9wavefront6targetE1EEEvT1_
                                        ; -- End function
	.section	.AMDGPU.csdata,"",@progbits
; Kernel info:
; codeLenInByte = 0
; NumSgprs: 6
; NumVgprs: 0
; NumAgprs: 0
; TotalNumVgprs: 0
; ScratchSize: 0
; MemoryBound: 0
; FloatMode: 240
; IeeeMode: 1
; LDSByteSize: 0 bytes/workgroup (compile time only)
; SGPRBlocks: 0
; VGPRBlocks: 0
; NumSGPRsForWavesPerEU: 6
; NumVGPRsForWavesPerEU: 1
; AccumOffset: 4
; Occupancy: 8
; WaveLimiterHint : 0
; COMPUTE_PGM_RSRC2:SCRATCH_EN: 0
; COMPUTE_PGM_RSRC2:USER_SGPR: 2
; COMPUTE_PGM_RSRC2:TRAP_HANDLER: 0
; COMPUTE_PGM_RSRC2:TGID_X_EN: 1
; COMPUTE_PGM_RSRC2:TGID_Y_EN: 0
; COMPUTE_PGM_RSRC2:TGID_Z_EN: 0
; COMPUTE_PGM_RSRC2:TIDIG_COMP_CNT: 0
; COMPUTE_PGM_RSRC3_GFX90A:ACCUM_OFFSET: 0
; COMPUTE_PGM_RSRC3_GFX90A:TG_SPLIT: 0
	.section	.text._ZN7rocprim17ROCPRIM_400000_NS6detail17trampoline_kernelINS0_14default_configENS1_27scan_by_key_config_selectorIssEEZZNS1_16scan_by_key_implILNS1_25lookback_scan_determinismE0ELb0ES3_N6thrust23THRUST_200600_302600_NS6detail15normal_iteratorINS9_10device_ptrIsEEEESE_SE_sNS9_4plusIvEENS9_8equal_toIvEEsEE10hipError_tPvRmT2_T3_T4_T5_mT6_T7_P12ihipStream_tbENKUlT_T0_E_clISt17integral_constantIbLb0EESY_IbLb1EEEEDaSU_SV_EUlSU_E_NS1_11comp_targetILNS1_3genE2ELNS1_11target_archE906ELNS1_3gpuE6ELNS1_3repE0EEENS1_30default_config_static_selectorELNS0_4arch9wavefront6targetE1EEEvT1_,"axG",@progbits,_ZN7rocprim17ROCPRIM_400000_NS6detail17trampoline_kernelINS0_14default_configENS1_27scan_by_key_config_selectorIssEEZZNS1_16scan_by_key_implILNS1_25lookback_scan_determinismE0ELb0ES3_N6thrust23THRUST_200600_302600_NS6detail15normal_iteratorINS9_10device_ptrIsEEEESE_SE_sNS9_4plusIvEENS9_8equal_toIvEEsEE10hipError_tPvRmT2_T3_T4_T5_mT6_T7_P12ihipStream_tbENKUlT_T0_E_clISt17integral_constantIbLb0EESY_IbLb1EEEEDaSU_SV_EUlSU_E_NS1_11comp_targetILNS1_3genE2ELNS1_11target_archE906ELNS1_3gpuE6ELNS1_3repE0EEENS1_30default_config_static_selectorELNS0_4arch9wavefront6targetE1EEEvT1_,comdat
	.protected	_ZN7rocprim17ROCPRIM_400000_NS6detail17trampoline_kernelINS0_14default_configENS1_27scan_by_key_config_selectorIssEEZZNS1_16scan_by_key_implILNS1_25lookback_scan_determinismE0ELb0ES3_N6thrust23THRUST_200600_302600_NS6detail15normal_iteratorINS9_10device_ptrIsEEEESE_SE_sNS9_4plusIvEENS9_8equal_toIvEEsEE10hipError_tPvRmT2_T3_T4_T5_mT6_T7_P12ihipStream_tbENKUlT_T0_E_clISt17integral_constantIbLb0EESY_IbLb1EEEEDaSU_SV_EUlSU_E_NS1_11comp_targetILNS1_3genE2ELNS1_11target_archE906ELNS1_3gpuE6ELNS1_3repE0EEENS1_30default_config_static_selectorELNS0_4arch9wavefront6targetE1EEEvT1_ ; -- Begin function _ZN7rocprim17ROCPRIM_400000_NS6detail17trampoline_kernelINS0_14default_configENS1_27scan_by_key_config_selectorIssEEZZNS1_16scan_by_key_implILNS1_25lookback_scan_determinismE0ELb0ES3_N6thrust23THRUST_200600_302600_NS6detail15normal_iteratorINS9_10device_ptrIsEEEESE_SE_sNS9_4plusIvEENS9_8equal_toIvEEsEE10hipError_tPvRmT2_T3_T4_T5_mT6_T7_P12ihipStream_tbENKUlT_T0_E_clISt17integral_constantIbLb0EESY_IbLb1EEEEDaSU_SV_EUlSU_E_NS1_11comp_targetILNS1_3genE2ELNS1_11target_archE906ELNS1_3gpuE6ELNS1_3repE0EEENS1_30default_config_static_selectorELNS0_4arch9wavefront6targetE1EEEvT1_
	.globl	_ZN7rocprim17ROCPRIM_400000_NS6detail17trampoline_kernelINS0_14default_configENS1_27scan_by_key_config_selectorIssEEZZNS1_16scan_by_key_implILNS1_25lookback_scan_determinismE0ELb0ES3_N6thrust23THRUST_200600_302600_NS6detail15normal_iteratorINS9_10device_ptrIsEEEESE_SE_sNS9_4plusIvEENS9_8equal_toIvEEsEE10hipError_tPvRmT2_T3_T4_T5_mT6_T7_P12ihipStream_tbENKUlT_T0_E_clISt17integral_constantIbLb0EESY_IbLb1EEEEDaSU_SV_EUlSU_E_NS1_11comp_targetILNS1_3genE2ELNS1_11target_archE906ELNS1_3gpuE6ELNS1_3repE0EEENS1_30default_config_static_selectorELNS0_4arch9wavefront6targetE1EEEvT1_
	.p2align	8
	.type	_ZN7rocprim17ROCPRIM_400000_NS6detail17trampoline_kernelINS0_14default_configENS1_27scan_by_key_config_selectorIssEEZZNS1_16scan_by_key_implILNS1_25lookback_scan_determinismE0ELb0ES3_N6thrust23THRUST_200600_302600_NS6detail15normal_iteratorINS9_10device_ptrIsEEEESE_SE_sNS9_4plusIvEENS9_8equal_toIvEEsEE10hipError_tPvRmT2_T3_T4_T5_mT6_T7_P12ihipStream_tbENKUlT_T0_E_clISt17integral_constantIbLb0EESY_IbLb1EEEEDaSU_SV_EUlSU_E_NS1_11comp_targetILNS1_3genE2ELNS1_11target_archE906ELNS1_3gpuE6ELNS1_3repE0EEENS1_30default_config_static_selectorELNS0_4arch9wavefront6targetE1EEEvT1_,@function
_ZN7rocprim17ROCPRIM_400000_NS6detail17trampoline_kernelINS0_14default_configENS1_27scan_by_key_config_selectorIssEEZZNS1_16scan_by_key_implILNS1_25lookback_scan_determinismE0ELb0ES3_N6thrust23THRUST_200600_302600_NS6detail15normal_iteratorINS9_10device_ptrIsEEEESE_SE_sNS9_4plusIvEENS9_8equal_toIvEEsEE10hipError_tPvRmT2_T3_T4_T5_mT6_T7_P12ihipStream_tbENKUlT_T0_E_clISt17integral_constantIbLb0EESY_IbLb1EEEEDaSU_SV_EUlSU_E_NS1_11comp_targetILNS1_3genE2ELNS1_11target_archE906ELNS1_3gpuE6ELNS1_3repE0EEENS1_30default_config_static_selectorELNS0_4arch9wavefront6targetE1EEEvT1_: ; @_ZN7rocprim17ROCPRIM_400000_NS6detail17trampoline_kernelINS0_14default_configENS1_27scan_by_key_config_selectorIssEEZZNS1_16scan_by_key_implILNS1_25lookback_scan_determinismE0ELb0ES3_N6thrust23THRUST_200600_302600_NS6detail15normal_iteratorINS9_10device_ptrIsEEEESE_SE_sNS9_4plusIvEENS9_8equal_toIvEEsEE10hipError_tPvRmT2_T3_T4_T5_mT6_T7_P12ihipStream_tbENKUlT_T0_E_clISt17integral_constantIbLb0EESY_IbLb1EEEEDaSU_SV_EUlSU_E_NS1_11comp_targetILNS1_3genE2ELNS1_11target_archE906ELNS1_3gpuE6ELNS1_3repE0EEENS1_30default_config_static_selectorELNS0_4arch9wavefront6targetE1EEEvT1_
; %bb.0:
	.section	.rodata,"a",@progbits
	.p2align	6, 0x0
	.amdhsa_kernel _ZN7rocprim17ROCPRIM_400000_NS6detail17trampoline_kernelINS0_14default_configENS1_27scan_by_key_config_selectorIssEEZZNS1_16scan_by_key_implILNS1_25lookback_scan_determinismE0ELb0ES3_N6thrust23THRUST_200600_302600_NS6detail15normal_iteratorINS9_10device_ptrIsEEEESE_SE_sNS9_4plusIvEENS9_8equal_toIvEEsEE10hipError_tPvRmT2_T3_T4_T5_mT6_T7_P12ihipStream_tbENKUlT_T0_E_clISt17integral_constantIbLb0EESY_IbLb1EEEEDaSU_SV_EUlSU_E_NS1_11comp_targetILNS1_3genE2ELNS1_11target_archE906ELNS1_3gpuE6ELNS1_3repE0EEENS1_30default_config_static_selectorELNS0_4arch9wavefront6targetE1EEEvT1_
		.amdhsa_group_segment_fixed_size 0
		.amdhsa_private_segment_fixed_size 0
		.amdhsa_kernarg_size 112
		.amdhsa_user_sgpr_count 2
		.amdhsa_user_sgpr_dispatch_ptr 0
		.amdhsa_user_sgpr_queue_ptr 0
		.amdhsa_user_sgpr_kernarg_segment_ptr 1
		.amdhsa_user_sgpr_dispatch_id 0
		.amdhsa_user_sgpr_kernarg_preload_length 0
		.amdhsa_user_sgpr_kernarg_preload_offset 0
		.amdhsa_user_sgpr_private_segment_size 0
		.amdhsa_uses_dynamic_stack 0
		.amdhsa_enable_private_segment 0
		.amdhsa_system_sgpr_workgroup_id_x 1
		.amdhsa_system_sgpr_workgroup_id_y 0
		.amdhsa_system_sgpr_workgroup_id_z 0
		.amdhsa_system_sgpr_workgroup_info 0
		.amdhsa_system_vgpr_workitem_id 0
		.amdhsa_next_free_vgpr 1
		.amdhsa_next_free_sgpr 0
		.amdhsa_accum_offset 4
		.amdhsa_reserve_vcc 0
		.amdhsa_float_round_mode_32 0
		.amdhsa_float_round_mode_16_64 0
		.amdhsa_float_denorm_mode_32 3
		.amdhsa_float_denorm_mode_16_64 3
		.amdhsa_dx10_clamp 1
		.amdhsa_ieee_mode 1
		.amdhsa_fp16_overflow 0
		.amdhsa_tg_split 0
		.amdhsa_exception_fp_ieee_invalid_op 0
		.amdhsa_exception_fp_denorm_src 0
		.amdhsa_exception_fp_ieee_div_zero 0
		.amdhsa_exception_fp_ieee_overflow 0
		.amdhsa_exception_fp_ieee_underflow 0
		.amdhsa_exception_fp_ieee_inexact 0
		.amdhsa_exception_int_div_zero 0
	.end_amdhsa_kernel
	.section	.text._ZN7rocprim17ROCPRIM_400000_NS6detail17trampoline_kernelINS0_14default_configENS1_27scan_by_key_config_selectorIssEEZZNS1_16scan_by_key_implILNS1_25lookback_scan_determinismE0ELb0ES3_N6thrust23THRUST_200600_302600_NS6detail15normal_iteratorINS9_10device_ptrIsEEEESE_SE_sNS9_4plusIvEENS9_8equal_toIvEEsEE10hipError_tPvRmT2_T3_T4_T5_mT6_T7_P12ihipStream_tbENKUlT_T0_E_clISt17integral_constantIbLb0EESY_IbLb1EEEEDaSU_SV_EUlSU_E_NS1_11comp_targetILNS1_3genE2ELNS1_11target_archE906ELNS1_3gpuE6ELNS1_3repE0EEENS1_30default_config_static_selectorELNS0_4arch9wavefront6targetE1EEEvT1_,"axG",@progbits,_ZN7rocprim17ROCPRIM_400000_NS6detail17trampoline_kernelINS0_14default_configENS1_27scan_by_key_config_selectorIssEEZZNS1_16scan_by_key_implILNS1_25lookback_scan_determinismE0ELb0ES3_N6thrust23THRUST_200600_302600_NS6detail15normal_iteratorINS9_10device_ptrIsEEEESE_SE_sNS9_4plusIvEENS9_8equal_toIvEEsEE10hipError_tPvRmT2_T3_T4_T5_mT6_T7_P12ihipStream_tbENKUlT_T0_E_clISt17integral_constantIbLb0EESY_IbLb1EEEEDaSU_SV_EUlSU_E_NS1_11comp_targetILNS1_3genE2ELNS1_11target_archE906ELNS1_3gpuE6ELNS1_3repE0EEENS1_30default_config_static_selectorELNS0_4arch9wavefront6targetE1EEEvT1_,comdat
.Lfunc_end277:
	.size	_ZN7rocprim17ROCPRIM_400000_NS6detail17trampoline_kernelINS0_14default_configENS1_27scan_by_key_config_selectorIssEEZZNS1_16scan_by_key_implILNS1_25lookback_scan_determinismE0ELb0ES3_N6thrust23THRUST_200600_302600_NS6detail15normal_iteratorINS9_10device_ptrIsEEEESE_SE_sNS9_4plusIvEENS9_8equal_toIvEEsEE10hipError_tPvRmT2_T3_T4_T5_mT6_T7_P12ihipStream_tbENKUlT_T0_E_clISt17integral_constantIbLb0EESY_IbLb1EEEEDaSU_SV_EUlSU_E_NS1_11comp_targetILNS1_3genE2ELNS1_11target_archE906ELNS1_3gpuE6ELNS1_3repE0EEENS1_30default_config_static_selectorELNS0_4arch9wavefront6targetE1EEEvT1_, .Lfunc_end277-_ZN7rocprim17ROCPRIM_400000_NS6detail17trampoline_kernelINS0_14default_configENS1_27scan_by_key_config_selectorIssEEZZNS1_16scan_by_key_implILNS1_25lookback_scan_determinismE0ELb0ES3_N6thrust23THRUST_200600_302600_NS6detail15normal_iteratorINS9_10device_ptrIsEEEESE_SE_sNS9_4plusIvEENS9_8equal_toIvEEsEE10hipError_tPvRmT2_T3_T4_T5_mT6_T7_P12ihipStream_tbENKUlT_T0_E_clISt17integral_constantIbLb0EESY_IbLb1EEEEDaSU_SV_EUlSU_E_NS1_11comp_targetILNS1_3genE2ELNS1_11target_archE906ELNS1_3gpuE6ELNS1_3repE0EEENS1_30default_config_static_selectorELNS0_4arch9wavefront6targetE1EEEvT1_
                                        ; -- End function
	.section	.AMDGPU.csdata,"",@progbits
; Kernel info:
; codeLenInByte = 0
; NumSgprs: 6
; NumVgprs: 0
; NumAgprs: 0
; TotalNumVgprs: 0
; ScratchSize: 0
; MemoryBound: 0
; FloatMode: 240
; IeeeMode: 1
; LDSByteSize: 0 bytes/workgroup (compile time only)
; SGPRBlocks: 0
; VGPRBlocks: 0
; NumSGPRsForWavesPerEU: 6
; NumVGPRsForWavesPerEU: 1
; AccumOffset: 4
; Occupancy: 8
; WaveLimiterHint : 0
; COMPUTE_PGM_RSRC2:SCRATCH_EN: 0
; COMPUTE_PGM_RSRC2:USER_SGPR: 2
; COMPUTE_PGM_RSRC2:TRAP_HANDLER: 0
; COMPUTE_PGM_RSRC2:TGID_X_EN: 1
; COMPUTE_PGM_RSRC2:TGID_Y_EN: 0
; COMPUTE_PGM_RSRC2:TGID_Z_EN: 0
; COMPUTE_PGM_RSRC2:TIDIG_COMP_CNT: 0
; COMPUTE_PGM_RSRC3_GFX90A:ACCUM_OFFSET: 0
; COMPUTE_PGM_RSRC3_GFX90A:TG_SPLIT: 0
	.section	.text._ZN7rocprim17ROCPRIM_400000_NS6detail17trampoline_kernelINS0_14default_configENS1_27scan_by_key_config_selectorIssEEZZNS1_16scan_by_key_implILNS1_25lookback_scan_determinismE0ELb0ES3_N6thrust23THRUST_200600_302600_NS6detail15normal_iteratorINS9_10device_ptrIsEEEESE_SE_sNS9_4plusIvEENS9_8equal_toIvEEsEE10hipError_tPvRmT2_T3_T4_T5_mT6_T7_P12ihipStream_tbENKUlT_T0_E_clISt17integral_constantIbLb0EESY_IbLb1EEEEDaSU_SV_EUlSU_E_NS1_11comp_targetILNS1_3genE10ELNS1_11target_archE1200ELNS1_3gpuE4ELNS1_3repE0EEENS1_30default_config_static_selectorELNS0_4arch9wavefront6targetE1EEEvT1_,"axG",@progbits,_ZN7rocprim17ROCPRIM_400000_NS6detail17trampoline_kernelINS0_14default_configENS1_27scan_by_key_config_selectorIssEEZZNS1_16scan_by_key_implILNS1_25lookback_scan_determinismE0ELb0ES3_N6thrust23THRUST_200600_302600_NS6detail15normal_iteratorINS9_10device_ptrIsEEEESE_SE_sNS9_4plusIvEENS9_8equal_toIvEEsEE10hipError_tPvRmT2_T3_T4_T5_mT6_T7_P12ihipStream_tbENKUlT_T0_E_clISt17integral_constantIbLb0EESY_IbLb1EEEEDaSU_SV_EUlSU_E_NS1_11comp_targetILNS1_3genE10ELNS1_11target_archE1200ELNS1_3gpuE4ELNS1_3repE0EEENS1_30default_config_static_selectorELNS0_4arch9wavefront6targetE1EEEvT1_,comdat
	.protected	_ZN7rocprim17ROCPRIM_400000_NS6detail17trampoline_kernelINS0_14default_configENS1_27scan_by_key_config_selectorIssEEZZNS1_16scan_by_key_implILNS1_25lookback_scan_determinismE0ELb0ES3_N6thrust23THRUST_200600_302600_NS6detail15normal_iteratorINS9_10device_ptrIsEEEESE_SE_sNS9_4plusIvEENS9_8equal_toIvEEsEE10hipError_tPvRmT2_T3_T4_T5_mT6_T7_P12ihipStream_tbENKUlT_T0_E_clISt17integral_constantIbLb0EESY_IbLb1EEEEDaSU_SV_EUlSU_E_NS1_11comp_targetILNS1_3genE10ELNS1_11target_archE1200ELNS1_3gpuE4ELNS1_3repE0EEENS1_30default_config_static_selectorELNS0_4arch9wavefront6targetE1EEEvT1_ ; -- Begin function _ZN7rocprim17ROCPRIM_400000_NS6detail17trampoline_kernelINS0_14default_configENS1_27scan_by_key_config_selectorIssEEZZNS1_16scan_by_key_implILNS1_25lookback_scan_determinismE0ELb0ES3_N6thrust23THRUST_200600_302600_NS6detail15normal_iteratorINS9_10device_ptrIsEEEESE_SE_sNS9_4plusIvEENS9_8equal_toIvEEsEE10hipError_tPvRmT2_T3_T4_T5_mT6_T7_P12ihipStream_tbENKUlT_T0_E_clISt17integral_constantIbLb0EESY_IbLb1EEEEDaSU_SV_EUlSU_E_NS1_11comp_targetILNS1_3genE10ELNS1_11target_archE1200ELNS1_3gpuE4ELNS1_3repE0EEENS1_30default_config_static_selectorELNS0_4arch9wavefront6targetE1EEEvT1_
	.globl	_ZN7rocprim17ROCPRIM_400000_NS6detail17trampoline_kernelINS0_14default_configENS1_27scan_by_key_config_selectorIssEEZZNS1_16scan_by_key_implILNS1_25lookback_scan_determinismE0ELb0ES3_N6thrust23THRUST_200600_302600_NS6detail15normal_iteratorINS9_10device_ptrIsEEEESE_SE_sNS9_4plusIvEENS9_8equal_toIvEEsEE10hipError_tPvRmT2_T3_T4_T5_mT6_T7_P12ihipStream_tbENKUlT_T0_E_clISt17integral_constantIbLb0EESY_IbLb1EEEEDaSU_SV_EUlSU_E_NS1_11comp_targetILNS1_3genE10ELNS1_11target_archE1200ELNS1_3gpuE4ELNS1_3repE0EEENS1_30default_config_static_selectorELNS0_4arch9wavefront6targetE1EEEvT1_
	.p2align	8
	.type	_ZN7rocprim17ROCPRIM_400000_NS6detail17trampoline_kernelINS0_14default_configENS1_27scan_by_key_config_selectorIssEEZZNS1_16scan_by_key_implILNS1_25lookback_scan_determinismE0ELb0ES3_N6thrust23THRUST_200600_302600_NS6detail15normal_iteratorINS9_10device_ptrIsEEEESE_SE_sNS9_4plusIvEENS9_8equal_toIvEEsEE10hipError_tPvRmT2_T3_T4_T5_mT6_T7_P12ihipStream_tbENKUlT_T0_E_clISt17integral_constantIbLb0EESY_IbLb1EEEEDaSU_SV_EUlSU_E_NS1_11comp_targetILNS1_3genE10ELNS1_11target_archE1200ELNS1_3gpuE4ELNS1_3repE0EEENS1_30default_config_static_selectorELNS0_4arch9wavefront6targetE1EEEvT1_,@function
_ZN7rocprim17ROCPRIM_400000_NS6detail17trampoline_kernelINS0_14default_configENS1_27scan_by_key_config_selectorIssEEZZNS1_16scan_by_key_implILNS1_25lookback_scan_determinismE0ELb0ES3_N6thrust23THRUST_200600_302600_NS6detail15normal_iteratorINS9_10device_ptrIsEEEESE_SE_sNS9_4plusIvEENS9_8equal_toIvEEsEE10hipError_tPvRmT2_T3_T4_T5_mT6_T7_P12ihipStream_tbENKUlT_T0_E_clISt17integral_constantIbLb0EESY_IbLb1EEEEDaSU_SV_EUlSU_E_NS1_11comp_targetILNS1_3genE10ELNS1_11target_archE1200ELNS1_3gpuE4ELNS1_3repE0EEENS1_30default_config_static_selectorELNS0_4arch9wavefront6targetE1EEEvT1_: ; @_ZN7rocprim17ROCPRIM_400000_NS6detail17trampoline_kernelINS0_14default_configENS1_27scan_by_key_config_selectorIssEEZZNS1_16scan_by_key_implILNS1_25lookback_scan_determinismE0ELb0ES3_N6thrust23THRUST_200600_302600_NS6detail15normal_iteratorINS9_10device_ptrIsEEEESE_SE_sNS9_4plusIvEENS9_8equal_toIvEEsEE10hipError_tPvRmT2_T3_T4_T5_mT6_T7_P12ihipStream_tbENKUlT_T0_E_clISt17integral_constantIbLb0EESY_IbLb1EEEEDaSU_SV_EUlSU_E_NS1_11comp_targetILNS1_3genE10ELNS1_11target_archE1200ELNS1_3gpuE4ELNS1_3repE0EEENS1_30default_config_static_selectorELNS0_4arch9wavefront6targetE1EEEvT1_
; %bb.0:
	.section	.rodata,"a",@progbits
	.p2align	6, 0x0
	.amdhsa_kernel _ZN7rocprim17ROCPRIM_400000_NS6detail17trampoline_kernelINS0_14default_configENS1_27scan_by_key_config_selectorIssEEZZNS1_16scan_by_key_implILNS1_25lookback_scan_determinismE0ELb0ES3_N6thrust23THRUST_200600_302600_NS6detail15normal_iteratorINS9_10device_ptrIsEEEESE_SE_sNS9_4plusIvEENS9_8equal_toIvEEsEE10hipError_tPvRmT2_T3_T4_T5_mT6_T7_P12ihipStream_tbENKUlT_T0_E_clISt17integral_constantIbLb0EESY_IbLb1EEEEDaSU_SV_EUlSU_E_NS1_11comp_targetILNS1_3genE10ELNS1_11target_archE1200ELNS1_3gpuE4ELNS1_3repE0EEENS1_30default_config_static_selectorELNS0_4arch9wavefront6targetE1EEEvT1_
		.amdhsa_group_segment_fixed_size 0
		.amdhsa_private_segment_fixed_size 0
		.amdhsa_kernarg_size 112
		.amdhsa_user_sgpr_count 2
		.amdhsa_user_sgpr_dispatch_ptr 0
		.amdhsa_user_sgpr_queue_ptr 0
		.amdhsa_user_sgpr_kernarg_segment_ptr 1
		.amdhsa_user_sgpr_dispatch_id 0
		.amdhsa_user_sgpr_kernarg_preload_length 0
		.amdhsa_user_sgpr_kernarg_preload_offset 0
		.amdhsa_user_sgpr_private_segment_size 0
		.amdhsa_uses_dynamic_stack 0
		.amdhsa_enable_private_segment 0
		.amdhsa_system_sgpr_workgroup_id_x 1
		.amdhsa_system_sgpr_workgroup_id_y 0
		.amdhsa_system_sgpr_workgroup_id_z 0
		.amdhsa_system_sgpr_workgroup_info 0
		.amdhsa_system_vgpr_workitem_id 0
		.amdhsa_next_free_vgpr 1
		.amdhsa_next_free_sgpr 0
		.amdhsa_accum_offset 4
		.amdhsa_reserve_vcc 0
		.amdhsa_float_round_mode_32 0
		.amdhsa_float_round_mode_16_64 0
		.amdhsa_float_denorm_mode_32 3
		.amdhsa_float_denorm_mode_16_64 3
		.amdhsa_dx10_clamp 1
		.amdhsa_ieee_mode 1
		.amdhsa_fp16_overflow 0
		.amdhsa_tg_split 0
		.amdhsa_exception_fp_ieee_invalid_op 0
		.amdhsa_exception_fp_denorm_src 0
		.amdhsa_exception_fp_ieee_div_zero 0
		.amdhsa_exception_fp_ieee_overflow 0
		.amdhsa_exception_fp_ieee_underflow 0
		.amdhsa_exception_fp_ieee_inexact 0
		.amdhsa_exception_int_div_zero 0
	.end_amdhsa_kernel
	.section	.text._ZN7rocprim17ROCPRIM_400000_NS6detail17trampoline_kernelINS0_14default_configENS1_27scan_by_key_config_selectorIssEEZZNS1_16scan_by_key_implILNS1_25lookback_scan_determinismE0ELb0ES3_N6thrust23THRUST_200600_302600_NS6detail15normal_iteratorINS9_10device_ptrIsEEEESE_SE_sNS9_4plusIvEENS9_8equal_toIvEEsEE10hipError_tPvRmT2_T3_T4_T5_mT6_T7_P12ihipStream_tbENKUlT_T0_E_clISt17integral_constantIbLb0EESY_IbLb1EEEEDaSU_SV_EUlSU_E_NS1_11comp_targetILNS1_3genE10ELNS1_11target_archE1200ELNS1_3gpuE4ELNS1_3repE0EEENS1_30default_config_static_selectorELNS0_4arch9wavefront6targetE1EEEvT1_,"axG",@progbits,_ZN7rocprim17ROCPRIM_400000_NS6detail17trampoline_kernelINS0_14default_configENS1_27scan_by_key_config_selectorIssEEZZNS1_16scan_by_key_implILNS1_25lookback_scan_determinismE0ELb0ES3_N6thrust23THRUST_200600_302600_NS6detail15normal_iteratorINS9_10device_ptrIsEEEESE_SE_sNS9_4plusIvEENS9_8equal_toIvEEsEE10hipError_tPvRmT2_T3_T4_T5_mT6_T7_P12ihipStream_tbENKUlT_T0_E_clISt17integral_constantIbLb0EESY_IbLb1EEEEDaSU_SV_EUlSU_E_NS1_11comp_targetILNS1_3genE10ELNS1_11target_archE1200ELNS1_3gpuE4ELNS1_3repE0EEENS1_30default_config_static_selectorELNS0_4arch9wavefront6targetE1EEEvT1_,comdat
.Lfunc_end278:
	.size	_ZN7rocprim17ROCPRIM_400000_NS6detail17trampoline_kernelINS0_14default_configENS1_27scan_by_key_config_selectorIssEEZZNS1_16scan_by_key_implILNS1_25lookback_scan_determinismE0ELb0ES3_N6thrust23THRUST_200600_302600_NS6detail15normal_iteratorINS9_10device_ptrIsEEEESE_SE_sNS9_4plusIvEENS9_8equal_toIvEEsEE10hipError_tPvRmT2_T3_T4_T5_mT6_T7_P12ihipStream_tbENKUlT_T0_E_clISt17integral_constantIbLb0EESY_IbLb1EEEEDaSU_SV_EUlSU_E_NS1_11comp_targetILNS1_3genE10ELNS1_11target_archE1200ELNS1_3gpuE4ELNS1_3repE0EEENS1_30default_config_static_selectorELNS0_4arch9wavefront6targetE1EEEvT1_, .Lfunc_end278-_ZN7rocprim17ROCPRIM_400000_NS6detail17trampoline_kernelINS0_14default_configENS1_27scan_by_key_config_selectorIssEEZZNS1_16scan_by_key_implILNS1_25lookback_scan_determinismE0ELb0ES3_N6thrust23THRUST_200600_302600_NS6detail15normal_iteratorINS9_10device_ptrIsEEEESE_SE_sNS9_4plusIvEENS9_8equal_toIvEEsEE10hipError_tPvRmT2_T3_T4_T5_mT6_T7_P12ihipStream_tbENKUlT_T0_E_clISt17integral_constantIbLb0EESY_IbLb1EEEEDaSU_SV_EUlSU_E_NS1_11comp_targetILNS1_3genE10ELNS1_11target_archE1200ELNS1_3gpuE4ELNS1_3repE0EEENS1_30default_config_static_selectorELNS0_4arch9wavefront6targetE1EEEvT1_
                                        ; -- End function
	.section	.AMDGPU.csdata,"",@progbits
; Kernel info:
; codeLenInByte = 0
; NumSgprs: 6
; NumVgprs: 0
; NumAgprs: 0
; TotalNumVgprs: 0
; ScratchSize: 0
; MemoryBound: 0
; FloatMode: 240
; IeeeMode: 1
; LDSByteSize: 0 bytes/workgroup (compile time only)
; SGPRBlocks: 0
; VGPRBlocks: 0
; NumSGPRsForWavesPerEU: 6
; NumVGPRsForWavesPerEU: 1
; AccumOffset: 4
; Occupancy: 8
; WaveLimiterHint : 0
; COMPUTE_PGM_RSRC2:SCRATCH_EN: 0
; COMPUTE_PGM_RSRC2:USER_SGPR: 2
; COMPUTE_PGM_RSRC2:TRAP_HANDLER: 0
; COMPUTE_PGM_RSRC2:TGID_X_EN: 1
; COMPUTE_PGM_RSRC2:TGID_Y_EN: 0
; COMPUTE_PGM_RSRC2:TGID_Z_EN: 0
; COMPUTE_PGM_RSRC2:TIDIG_COMP_CNT: 0
; COMPUTE_PGM_RSRC3_GFX90A:ACCUM_OFFSET: 0
; COMPUTE_PGM_RSRC3_GFX90A:TG_SPLIT: 0
	.section	.text._ZN7rocprim17ROCPRIM_400000_NS6detail17trampoline_kernelINS0_14default_configENS1_27scan_by_key_config_selectorIssEEZZNS1_16scan_by_key_implILNS1_25lookback_scan_determinismE0ELb0ES3_N6thrust23THRUST_200600_302600_NS6detail15normal_iteratorINS9_10device_ptrIsEEEESE_SE_sNS9_4plusIvEENS9_8equal_toIvEEsEE10hipError_tPvRmT2_T3_T4_T5_mT6_T7_P12ihipStream_tbENKUlT_T0_E_clISt17integral_constantIbLb0EESY_IbLb1EEEEDaSU_SV_EUlSU_E_NS1_11comp_targetILNS1_3genE9ELNS1_11target_archE1100ELNS1_3gpuE3ELNS1_3repE0EEENS1_30default_config_static_selectorELNS0_4arch9wavefront6targetE1EEEvT1_,"axG",@progbits,_ZN7rocprim17ROCPRIM_400000_NS6detail17trampoline_kernelINS0_14default_configENS1_27scan_by_key_config_selectorIssEEZZNS1_16scan_by_key_implILNS1_25lookback_scan_determinismE0ELb0ES3_N6thrust23THRUST_200600_302600_NS6detail15normal_iteratorINS9_10device_ptrIsEEEESE_SE_sNS9_4plusIvEENS9_8equal_toIvEEsEE10hipError_tPvRmT2_T3_T4_T5_mT6_T7_P12ihipStream_tbENKUlT_T0_E_clISt17integral_constantIbLb0EESY_IbLb1EEEEDaSU_SV_EUlSU_E_NS1_11comp_targetILNS1_3genE9ELNS1_11target_archE1100ELNS1_3gpuE3ELNS1_3repE0EEENS1_30default_config_static_selectorELNS0_4arch9wavefront6targetE1EEEvT1_,comdat
	.protected	_ZN7rocprim17ROCPRIM_400000_NS6detail17trampoline_kernelINS0_14default_configENS1_27scan_by_key_config_selectorIssEEZZNS1_16scan_by_key_implILNS1_25lookback_scan_determinismE0ELb0ES3_N6thrust23THRUST_200600_302600_NS6detail15normal_iteratorINS9_10device_ptrIsEEEESE_SE_sNS9_4plusIvEENS9_8equal_toIvEEsEE10hipError_tPvRmT2_T3_T4_T5_mT6_T7_P12ihipStream_tbENKUlT_T0_E_clISt17integral_constantIbLb0EESY_IbLb1EEEEDaSU_SV_EUlSU_E_NS1_11comp_targetILNS1_3genE9ELNS1_11target_archE1100ELNS1_3gpuE3ELNS1_3repE0EEENS1_30default_config_static_selectorELNS0_4arch9wavefront6targetE1EEEvT1_ ; -- Begin function _ZN7rocprim17ROCPRIM_400000_NS6detail17trampoline_kernelINS0_14default_configENS1_27scan_by_key_config_selectorIssEEZZNS1_16scan_by_key_implILNS1_25lookback_scan_determinismE0ELb0ES3_N6thrust23THRUST_200600_302600_NS6detail15normal_iteratorINS9_10device_ptrIsEEEESE_SE_sNS9_4plusIvEENS9_8equal_toIvEEsEE10hipError_tPvRmT2_T3_T4_T5_mT6_T7_P12ihipStream_tbENKUlT_T0_E_clISt17integral_constantIbLb0EESY_IbLb1EEEEDaSU_SV_EUlSU_E_NS1_11comp_targetILNS1_3genE9ELNS1_11target_archE1100ELNS1_3gpuE3ELNS1_3repE0EEENS1_30default_config_static_selectorELNS0_4arch9wavefront6targetE1EEEvT1_
	.globl	_ZN7rocprim17ROCPRIM_400000_NS6detail17trampoline_kernelINS0_14default_configENS1_27scan_by_key_config_selectorIssEEZZNS1_16scan_by_key_implILNS1_25lookback_scan_determinismE0ELb0ES3_N6thrust23THRUST_200600_302600_NS6detail15normal_iteratorINS9_10device_ptrIsEEEESE_SE_sNS9_4plusIvEENS9_8equal_toIvEEsEE10hipError_tPvRmT2_T3_T4_T5_mT6_T7_P12ihipStream_tbENKUlT_T0_E_clISt17integral_constantIbLb0EESY_IbLb1EEEEDaSU_SV_EUlSU_E_NS1_11comp_targetILNS1_3genE9ELNS1_11target_archE1100ELNS1_3gpuE3ELNS1_3repE0EEENS1_30default_config_static_selectorELNS0_4arch9wavefront6targetE1EEEvT1_
	.p2align	8
	.type	_ZN7rocprim17ROCPRIM_400000_NS6detail17trampoline_kernelINS0_14default_configENS1_27scan_by_key_config_selectorIssEEZZNS1_16scan_by_key_implILNS1_25lookback_scan_determinismE0ELb0ES3_N6thrust23THRUST_200600_302600_NS6detail15normal_iteratorINS9_10device_ptrIsEEEESE_SE_sNS9_4plusIvEENS9_8equal_toIvEEsEE10hipError_tPvRmT2_T3_T4_T5_mT6_T7_P12ihipStream_tbENKUlT_T0_E_clISt17integral_constantIbLb0EESY_IbLb1EEEEDaSU_SV_EUlSU_E_NS1_11comp_targetILNS1_3genE9ELNS1_11target_archE1100ELNS1_3gpuE3ELNS1_3repE0EEENS1_30default_config_static_selectorELNS0_4arch9wavefront6targetE1EEEvT1_,@function
_ZN7rocprim17ROCPRIM_400000_NS6detail17trampoline_kernelINS0_14default_configENS1_27scan_by_key_config_selectorIssEEZZNS1_16scan_by_key_implILNS1_25lookback_scan_determinismE0ELb0ES3_N6thrust23THRUST_200600_302600_NS6detail15normal_iteratorINS9_10device_ptrIsEEEESE_SE_sNS9_4plusIvEENS9_8equal_toIvEEsEE10hipError_tPvRmT2_T3_T4_T5_mT6_T7_P12ihipStream_tbENKUlT_T0_E_clISt17integral_constantIbLb0EESY_IbLb1EEEEDaSU_SV_EUlSU_E_NS1_11comp_targetILNS1_3genE9ELNS1_11target_archE1100ELNS1_3gpuE3ELNS1_3repE0EEENS1_30default_config_static_selectorELNS0_4arch9wavefront6targetE1EEEvT1_: ; @_ZN7rocprim17ROCPRIM_400000_NS6detail17trampoline_kernelINS0_14default_configENS1_27scan_by_key_config_selectorIssEEZZNS1_16scan_by_key_implILNS1_25lookback_scan_determinismE0ELb0ES3_N6thrust23THRUST_200600_302600_NS6detail15normal_iteratorINS9_10device_ptrIsEEEESE_SE_sNS9_4plusIvEENS9_8equal_toIvEEsEE10hipError_tPvRmT2_T3_T4_T5_mT6_T7_P12ihipStream_tbENKUlT_T0_E_clISt17integral_constantIbLb0EESY_IbLb1EEEEDaSU_SV_EUlSU_E_NS1_11comp_targetILNS1_3genE9ELNS1_11target_archE1100ELNS1_3gpuE3ELNS1_3repE0EEENS1_30default_config_static_selectorELNS0_4arch9wavefront6targetE1EEEvT1_
; %bb.0:
	.section	.rodata,"a",@progbits
	.p2align	6, 0x0
	.amdhsa_kernel _ZN7rocprim17ROCPRIM_400000_NS6detail17trampoline_kernelINS0_14default_configENS1_27scan_by_key_config_selectorIssEEZZNS1_16scan_by_key_implILNS1_25lookback_scan_determinismE0ELb0ES3_N6thrust23THRUST_200600_302600_NS6detail15normal_iteratorINS9_10device_ptrIsEEEESE_SE_sNS9_4plusIvEENS9_8equal_toIvEEsEE10hipError_tPvRmT2_T3_T4_T5_mT6_T7_P12ihipStream_tbENKUlT_T0_E_clISt17integral_constantIbLb0EESY_IbLb1EEEEDaSU_SV_EUlSU_E_NS1_11comp_targetILNS1_3genE9ELNS1_11target_archE1100ELNS1_3gpuE3ELNS1_3repE0EEENS1_30default_config_static_selectorELNS0_4arch9wavefront6targetE1EEEvT1_
		.amdhsa_group_segment_fixed_size 0
		.amdhsa_private_segment_fixed_size 0
		.amdhsa_kernarg_size 112
		.amdhsa_user_sgpr_count 2
		.amdhsa_user_sgpr_dispatch_ptr 0
		.amdhsa_user_sgpr_queue_ptr 0
		.amdhsa_user_sgpr_kernarg_segment_ptr 1
		.amdhsa_user_sgpr_dispatch_id 0
		.amdhsa_user_sgpr_kernarg_preload_length 0
		.amdhsa_user_sgpr_kernarg_preload_offset 0
		.amdhsa_user_sgpr_private_segment_size 0
		.amdhsa_uses_dynamic_stack 0
		.amdhsa_enable_private_segment 0
		.amdhsa_system_sgpr_workgroup_id_x 1
		.amdhsa_system_sgpr_workgroup_id_y 0
		.amdhsa_system_sgpr_workgroup_id_z 0
		.amdhsa_system_sgpr_workgroup_info 0
		.amdhsa_system_vgpr_workitem_id 0
		.amdhsa_next_free_vgpr 1
		.amdhsa_next_free_sgpr 0
		.amdhsa_accum_offset 4
		.amdhsa_reserve_vcc 0
		.amdhsa_float_round_mode_32 0
		.amdhsa_float_round_mode_16_64 0
		.amdhsa_float_denorm_mode_32 3
		.amdhsa_float_denorm_mode_16_64 3
		.amdhsa_dx10_clamp 1
		.amdhsa_ieee_mode 1
		.amdhsa_fp16_overflow 0
		.amdhsa_tg_split 0
		.amdhsa_exception_fp_ieee_invalid_op 0
		.amdhsa_exception_fp_denorm_src 0
		.amdhsa_exception_fp_ieee_div_zero 0
		.amdhsa_exception_fp_ieee_overflow 0
		.amdhsa_exception_fp_ieee_underflow 0
		.amdhsa_exception_fp_ieee_inexact 0
		.amdhsa_exception_int_div_zero 0
	.end_amdhsa_kernel
	.section	.text._ZN7rocprim17ROCPRIM_400000_NS6detail17trampoline_kernelINS0_14default_configENS1_27scan_by_key_config_selectorIssEEZZNS1_16scan_by_key_implILNS1_25lookback_scan_determinismE0ELb0ES3_N6thrust23THRUST_200600_302600_NS6detail15normal_iteratorINS9_10device_ptrIsEEEESE_SE_sNS9_4plusIvEENS9_8equal_toIvEEsEE10hipError_tPvRmT2_T3_T4_T5_mT6_T7_P12ihipStream_tbENKUlT_T0_E_clISt17integral_constantIbLb0EESY_IbLb1EEEEDaSU_SV_EUlSU_E_NS1_11comp_targetILNS1_3genE9ELNS1_11target_archE1100ELNS1_3gpuE3ELNS1_3repE0EEENS1_30default_config_static_selectorELNS0_4arch9wavefront6targetE1EEEvT1_,"axG",@progbits,_ZN7rocprim17ROCPRIM_400000_NS6detail17trampoline_kernelINS0_14default_configENS1_27scan_by_key_config_selectorIssEEZZNS1_16scan_by_key_implILNS1_25lookback_scan_determinismE0ELb0ES3_N6thrust23THRUST_200600_302600_NS6detail15normal_iteratorINS9_10device_ptrIsEEEESE_SE_sNS9_4plusIvEENS9_8equal_toIvEEsEE10hipError_tPvRmT2_T3_T4_T5_mT6_T7_P12ihipStream_tbENKUlT_T0_E_clISt17integral_constantIbLb0EESY_IbLb1EEEEDaSU_SV_EUlSU_E_NS1_11comp_targetILNS1_3genE9ELNS1_11target_archE1100ELNS1_3gpuE3ELNS1_3repE0EEENS1_30default_config_static_selectorELNS0_4arch9wavefront6targetE1EEEvT1_,comdat
.Lfunc_end279:
	.size	_ZN7rocprim17ROCPRIM_400000_NS6detail17trampoline_kernelINS0_14default_configENS1_27scan_by_key_config_selectorIssEEZZNS1_16scan_by_key_implILNS1_25lookback_scan_determinismE0ELb0ES3_N6thrust23THRUST_200600_302600_NS6detail15normal_iteratorINS9_10device_ptrIsEEEESE_SE_sNS9_4plusIvEENS9_8equal_toIvEEsEE10hipError_tPvRmT2_T3_T4_T5_mT6_T7_P12ihipStream_tbENKUlT_T0_E_clISt17integral_constantIbLb0EESY_IbLb1EEEEDaSU_SV_EUlSU_E_NS1_11comp_targetILNS1_3genE9ELNS1_11target_archE1100ELNS1_3gpuE3ELNS1_3repE0EEENS1_30default_config_static_selectorELNS0_4arch9wavefront6targetE1EEEvT1_, .Lfunc_end279-_ZN7rocprim17ROCPRIM_400000_NS6detail17trampoline_kernelINS0_14default_configENS1_27scan_by_key_config_selectorIssEEZZNS1_16scan_by_key_implILNS1_25lookback_scan_determinismE0ELb0ES3_N6thrust23THRUST_200600_302600_NS6detail15normal_iteratorINS9_10device_ptrIsEEEESE_SE_sNS9_4plusIvEENS9_8equal_toIvEEsEE10hipError_tPvRmT2_T3_T4_T5_mT6_T7_P12ihipStream_tbENKUlT_T0_E_clISt17integral_constantIbLb0EESY_IbLb1EEEEDaSU_SV_EUlSU_E_NS1_11comp_targetILNS1_3genE9ELNS1_11target_archE1100ELNS1_3gpuE3ELNS1_3repE0EEENS1_30default_config_static_selectorELNS0_4arch9wavefront6targetE1EEEvT1_
                                        ; -- End function
	.section	.AMDGPU.csdata,"",@progbits
; Kernel info:
; codeLenInByte = 0
; NumSgprs: 6
; NumVgprs: 0
; NumAgprs: 0
; TotalNumVgprs: 0
; ScratchSize: 0
; MemoryBound: 0
; FloatMode: 240
; IeeeMode: 1
; LDSByteSize: 0 bytes/workgroup (compile time only)
; SGPRBlocks: 0
; VGPRBlocks: 0
; NumSGPRsForWavesPerEU: 6
; NumVGPRsForWavesPerEU: 1
; AccumOffset: 4
; Occupancy: 8
; WaveLimiterHint : 0
; COMPUTE_PGM_RSRC2:SCRATCH_EN: 0
; COMPUTE_PGM_RSRC2:USER_SGPR: 2
; COMPUTE_PGM_RSRC2:TRAP_HANDLER: 0
; COMPUTE_PGM_RSRC2:TGID_X_EN: 1
; COMPUTE_PGM_RSRC2:TGID_Y_EN: 0
; COMPUTE_PGM_RSRC2:TGID_Z_EN: 0
; COMPUTE_PGM_RSRC2:TIDIG_COMP_CNT: 0
; COMPUTE_PGM_RSRC3_GFX90A:ACCUM_OFFSET: 0
; COMPUTE_PGM_RSRC3_GFX90A:TG_SPLIT: 0
	.section	.text._ZN7rocprim17ROCPRIM_400000_NS6detail17trampoline_kernelINS0_14default_configENS1_27scan_by_key_config_selectorIssEEZZNS1_16scan_by_key_implILNS1_25lookback_scan_determinismE0ELb0ES3_N6thrust23THRUST_200600_302600_NS6detail15normal_iteratorINS9_10device_ptrIsEEEESE_SE_sNS9_4plusIvEENS9_8equal_toIvEEsEE10hipError_tPvRmT2_T3_T4_T5_mT6_T7_P12ihipStream_tbENKUlT_T0_E_clISt17integral_constantIbLb0EESY_IbLb1EEEEDaSU_SV_EUlSU_E_NS1_11comp_targetILNS1_3genE8ELNS1_11target_archE1030ELNS1_3gpuE2ELNS1_3repE0EEENS1_30default_config_static_selectorELNS0_4arch9wavefront6targetE1EEEvT1_,"axG",@progbits,_ZN7rocprim17ROCPRIM_400000_NS6detail17trampoline_kernelINS0_14default_configENS1_27scan_by_key_config_selectorIssEEZZNS1_16scan_by_key_implILNS1_25lookback_scan_determinismE0ELb0ES3_N6thrust23THRUST_200600_302600_NS6detail15normal_iteratorINS9_10device_ptrIsEEEESE_SE_sNS9_4plusIvEENS9_8equal_toIvEEsEE10hipError_tPvRmT2_T3_T4_T5_mT6_T7_P12ihipStream_tbENKUlT_T0_E_clISt17integral_constantIbLb0EESY_IbLb1EEEEDaSU_SV_EUlSU_E_NS1_11comp_targetILNS1_3genE8ELNS1_11target_archE1030ELNS1_3gpuE2ELNS1_3repE0EEENS1_30default_config_static_selectorELNS0_4arch9wavefront6targetE1EEEvT1_,comdat
	.protected	_ZN7rocprim17ROCPRIM_400000_NS6detail17trampoline_kernelINS0_14default_configENS1_27scan_by_key_config_selectorIssEEZZNS1_16scan_by_key_implILNS1_25lookback_scan_determinismE0ELb0ES3_N6thrust23THRUST_200600_302600_NS6detail15normal_iteratorINS9_10device_ptrIsEEEESE_SE_sNS9_4plusIvEENS9_8equal_toIvEEsEE10hipError_tPvRmT2_T3_T4_T5_mT6_T7_P12ihipStream_tbENKUlT_T0_E_clISt17integral_constantIbLb0EESY_IbLb1EEEEDaSU_SV_EUlSU_E_NS1_11comp_targetILNS1_3genE8ELNS1_11target_archE1030ELNS1_3gpuE2ELNS1_3repE0EEENS1_30default_config_static_selectorELNS0_4arch9wavefront6targetE1EEEvT1_ ; -- Begin function _ZN7rocprim17ROCPRIM_400000_NS6detail17trampoline_kernelINS0_14default_configENS1_27scan_by_key_config_selectorIssEEZZNS1_16scan_by_key_implILNS1_25lookback_scan_determinismE0ELb0ES3_N6thrust23THRUST_200600_302600_NS6detail15normal_iteratorINS9_10device_ptrIsEEEESE_SE_sNS9_4plusIvEENS9_8equal_toIvEEsEE10hipError_tPvRmT2_T3_T4_T5_mT6_T7_P12ihipStream_tbENKUlT_T0_E_clISt17integral_constantIbLb0EESY_IbLb1EEEEDaSU_SV_EUlSU_E_NS1_11comp_targetILNS1_3genE8ELNS1_11target_archE1030ELNS1_3gpuE2ELNS1_3repE0EEENS1_30default_config_static_selectorELNS0_4arch9wavefront6targetE1EEEvT1_
	.globl	_ZN7rocprim17ROCPRIM_400000_NS6detail17trampoline_kernelINS0_14default_configENS1_27scan_by_key_config_selectorIssEEZZNS1_16scan_by_key_implILNS1_25lookback_scan_determinismE0ELb0ES3_N6thrust23THRUST_200600_302600_NS6detail15normal_iteratorINS9_10device_ptrIsEEEESE_SE_sNS9_4plusIvEENS9_8equal_toIvEEsEE10hipError_tPvRmT2_T3_T4_T5_mT6_T7_P12ihipStream_tbENKUlT_T0_E_clISt17integral_constantIbLb0EESY_IbLb1EEEEDaSU_SV_EUlSU_E_NS1_11comp_targetILNS1_3genE8ELNS1_11target_archE1030ELNS1_3gpuE2ELNS1_3repE0EEENS1_30default_config_static_selectorELNS0_4arch9wavefront6targetE1EEEvT1_
	.p2align	8
	.type	_ZN7rocprim17ROCPRIM_400000_NS6detail17trampoline_kernelINS0_14default_configENS1_27scan_by_key_config_selectorIssEEZZNS1_16scan_by_key_implILNS1_25lookback_scan_determinismE0ELb0ES3_N6thrust23THRUST_200600_302600_NS6detail15normal_iteratorINS9_10device_ptrIsEEEESE_SE_sNS9_4plusIvEENS9_8equal_toIvEEsEE10hipError_tPvRmT2_T3_T4_T5_mT6_T7_P12ihipStream_tbENKUlT_T0_E_clISt17integral_constantIbLb0EESY_IbLb1EEEEDaSU_SV_EUlSU_E_NS1_11comp_targetILNS1_3genE8ELNS1_11target_archE1030ELNS1_3gpuE2ELNS1_3repE0EEENS1_30default_config_static_selectorELNS0_4arch9wavefront6targetE1EEEvT1_,@function
_ZN7rocprim17ROCPRIM_400000_NS6detail17trampoline_kernelINS0_14default_configENS1_27scan_by_key_config_selectorIssEEZZNS1_16scan_by_key_implILNS1_25lookback_scan_determinismE0ELb0ES3_N6thrust23THRUST_200600_302600_NS6detail15normal_iteratorINS9_10device_ptrIsEEEESE_SE_sNS9_4plusIvEENS9_8equal_toIvEEsEE10hipError_tPvRmT2_T3_T4_T5_mT6_T7_P12ihipStream_tbENKUlT_T0_E_clISt17integral_constantIbLb0EESY_IbLb1EEEEDaSU_SV_EUlSU_E_NS1_11comp_targetILNS1_3genE8ELNS1_11target_archE1030ELNS1_3gpuE2ELNS1_3repE0EEENS1_30default_config_static_selectorELNS0_4arch9wavefront6targetE1EEEvT1_: ; @_ZN7rocprim17ROCPRIM_400000_NS6detail17trampoline_kernelINS0_14default_configENS1_27scan_by_key_config_selectorIssEEZZNS1_16scan_by_key_implILNS1_25lookback_scan_determinismE0ELb0ES3_N6thrust23THRUST_200600_302600_NS6detail15normal_iteratorINS9_10device_ptrIsEEEESE_SE_sNS9_4plusIvEENS9_8equal_toIvEEsEE10hipError_tPvRmT2_T3_T4_T5_mT6_T7_P12ihipStream_tbENKUlT_T0_E_clISt17integral_constantIbLb0EESY_IbLb1EEEEDaSU_SV_EUlSU_E_NS1_11comp_targetILNS1_3genE8ELNS1_11target_archE1030ELNS1_3gpuE2ELNS1_3repE0EEENS1_30default_config_static_selectorELNS0_4arch9wavefront6targetE1EEEvT1_
; %bb.0:
	.section	.rodata,"a",@progbits
	.p2align	6, 0x0
	.amdhsa_kernel _ZN7rocprim17ROCPRIM_400000_NS6detail17trampoline_kernelINS0_14default_configENS1_27scan_by_key_config_selectorIssEEZZNS1_16scan_by_key_implILNS1_25lookback_scan_determinismE0ELb0ES3_N6thrust23THRUST_200600_302600_NS6detail15normal_iteratorINS9_10device_ptrIsEEEESE_SE_sNS9_4plusIvEENS9_8equal_toIvEEsEE10hipError_tPvRmT2_T3_T4_T5_mT6_T7_P12ihipStream_tbENKUlT_T0_E_clISt17integral_constantIbLb0EESY_IbLb1EEEEDaSU_SV_EUlSU_E_NS1_11comp_targetILNS1_3genE8ELNS1_11target_archE1030ELNS1_3gpuE2ELNS1_3repE0EEENS1_30default_config_static_selectorELNS0_4arch9wavefront6targetE1EEEvT1_
		.amdhsa_group_segment_fixed_size 0
		.amdhsa_private_segment_fixed_size 0
		.amdhsa_kernarg_size 112
		.amdhsa_user_sgpr_count 2
		.amdhsa_user_sgpr_dispatch_ptr 0
		.amdhsa_user_sgpr_queue_ptr 0
		.amdhsa_user_sgpr_kernarg_segment_ptr 1
		.amdhsa_user_sgpr_dispatch_id 0
		.amdhsa_user_sgpr_kernarg_preload_length 0
		.amdhsa_user_sgpr_kernarg_preload_offset 0
		.amdhsa_user_sgpr_private_segment_size 0
		.amdhsa_uses_dynamic_stack 0
		.amdhsa_enable_private_segment 0
		.amdhsa_system_sgpr_workgroup_id_x 1
		.amdhsa_system_sgpr_workgroup_id_y 0
		.amdhsa_system_sgpr_workgroup_id_z 0
		.amdhsa_system_sgpr_workgroup_info 0
		.amdhsa_system_vgpr_workitem_id 0
		.amdhsa_next_free_vgpr 1
		.amdhsa_next_free_sgpr 0
		.amdhsa_accum_offset 4
		.amdhsa_reserve_vcc 0
		.amdhsa_float_round_mode_32 0
		.amdhsa_float_round_mode_16_64 0
		.amdhsa_float_denorm_mode_32 3
		.amdhsa_float_denorm_mode_16_64 3
		.amdhsa_dx10_clamp 1
		.amdhsa_ieee_mode 1
		.amdhsa_fp16_overflow 0
		.amdhsa_tg_split 0
		.amdhsa_exception_fp_ieee_invalid_op 0
		.amdhsa_exception_fp_denorm_src 0
		.amdhsa_exception_fp_ieee_div_zero 0
		.amdhsa_exception_fp_ieee_overflow 0
		.amdhsa_exception_fp_ieee_underflow 0
		.amdhsa_exception_fp_ieee_inexact 0
		.amdhsa_exception_int_div_zero 0
	.end_amdhsa_kernel
	.section	.text._ZN7rocprim17ROCPRIM_400000_NS6detail17trampoline_kernelINS0_14default_configENS1_27scan_by_key_config_selectorIssEEZZNS1_16scan_by_key_implILNS1_25lookback_scan_determinismE0ELb0ES3_N6thrust23THRUST_200600_302600_NS6detail15normal_iteratorINS9_10device_ptrIsEEEESE_SE_sNS9_4plusIvEENS9_8equal_toIvEEsEE10hipError_tPvRmT2_T3_T4_T5_mT6_T7_P12ihipStream_tbENKUlT_T0_E_clISt17integral_constantIbLb0EESY_IbLb1EEEEDaSU_SV_EUlSU_E_NS1_11comp_targetILNS1_3genE8ELNS1_11target_archE1030ELNS1_3gpuE2ELNS1_3repE0EEENS1_30default_config_static_selectorELNS0_4arch9wavefront6targetE1EEEvT1_,"axG",@progbits,_ZN7rocprim17ROCPRIM_400000_NS6detail17trampoline_kernelINS0_14default_configENS1_27scan_by_key_config_selectorIssEEZZNS1_16scan_by_key_implILNS1_25lookback_scan_determinismE0ELb0ES3_N6thrust23THRUST_200600_302600_NS6detail15normal_iteratorINS9_10device_ptrIsEEEESE_SE_sNS9_4plusIvEENS9_8equal_toIvEEsEE10hipError_tPvRmT2_T3_T4_T5_mT6_T7_P12ihipStream_tbENKUlT_T0_E_clISt17integral_constantIbLb0EESY_IbLb1EEEEDaSU_SV_EUlSU_E_NS1_11comp_targetILNS1_3genE8ELNS1_11target_archE1030ELNS1_3gpuE2ELNS1_3repE0EEENS1_30default_config_static_selectorELNS0_4arch9wavefront6targetE1EEEvT1_,comdat
.Lfunc_end280:
	.size	_ZN7rocprim17ROCPRIM_400000_NS6detail17trampoline_kernelINS0_14default_configENS1_27scan_by_key_config_selectorIssEEZZNS1_16scan_by_key_implILNS1_25lookback_scan_determinismE0ELb0ES3_N6thrust23THRUST_200600_302600_NS6detail15normal_iteratorINS9_10device_ptrIsEEEESE_SE_sNS9_4plusIvEENS9_8equal_toIvEEsEE10hipError_tPvRmT2_T3_T4_T5_mT6_T7_P12ihipStream_tbENKUlT_T0_E_clISt17integral_constantIbLb0EESY_IbLb1EEEEDaSU_SV_EUlSU_E_NS1_11comp_targetILNS1_3genE8ELNS1_11target_archE1030ELNS1_3gpuE2ELNS1_3repE0EEENS1_30default_config_static_selectorELNS0_4arch9wavefront6targetE1EEEvT1_, .Lfunc_end280-_ZN7rocprim17ROCPRIM_400000_NS6detail17trampoline_kernelINS0_14default_configENS1_27scan_by_key_config_selectorIssEEZZNS1_16scan_by_key_implILNS1_25lookback_scan_determinismE0ELb0ES3_N6thrust23THRUST_200600_302600_NS6detail15normal_iteratorINS9_10device_ptrIsEEEESE_SE_sNS9_4plusIvEENS9_8equal_toIvEEsEE10hipError_tPvRmT2_T3_T4_T5_mT6_T7_P12ihipStream_tbENKUlT_T0_E_clISt17integral_constantIbLb0EESY_IbLb1EEEEDaSU_SV_EUlSU_E_NS1_11comp_targetILNS1_3genE8ELNS1_11target_archE1030ELNS1_3gpuE2ELNS1_3repE0EEENS1_30default_config_static_selectorELNS0_4arch9wavefront6targetE1EEEvT1_
                                        ; -- End function
	.section	.AMDGPU.csdata,"",@progbits
; Kernel info:
; codeLenInByte = 0
; NumSgprs: 6
; NumVgprs: 0
; NumAgprs: 0
; TotalNumVgprs: 0
; ScratchSize: 0
; MemoryBound: 0
; FloatMode: 240
; IeeeMode: 1
; LDSByteSize: 0 bytes/workgroup (compile time only)
; SGPRBlocks: 0
; VGPRBlocks: 0
; NumSGPRsForWavesPerEU: 6
; NumVGPRsForWavesPerEU: 1
; AccumOffset: 4
; Occupancy: 8
; WaveLimiterHint : 0
; COMPUTE_PGM_RSRC2:SCRATCH_EN: 0
; COMPUTE_PGM_RSRC2:USER_SGPR: 2
; COMPUTE_PGM_RSRC2:TRAP_HANDLER: 0
; COMPUTE_PGM_RSRC2:TGID_X_EN: 1
; COMPUTE_PGM_RSRC2:TGID_Y_EN: 0
; COMPUTE_PGM_RSRC2:TGID_Z_EN: 0
; COMPUTE_PGM_RSRC2:TIDIG_COMP_CNT: 0
; COMPUTE_PGM_RSRC3_GFX90A:ACCUM_OFFSET: 0
; COMPUTE_PGM_RSRC3_GFX90A:TG_SPLIT: 0
	.section	.text._ZN7rocprim17ROCPRIM_400000_NS6detail17trampoline_kernelINS0_14default_configENS1_27scan_by_key_config_selectorIssEEZZNS1_16scan_by_key_implILNS1_25lookback_scan_determinismE0ELb0ES3_N6thrust23THRUST_200600_302600_NS6detail15normal_iteratorINS9_10device_ptrIsEEEESE_SE_sNS9_10multipliesIsEENS9_8equal_toIsEEsEE10hipError_tPvRmT2_T3_T4_T5_mT6_T7_P12ihipStream_tbENKUlT_T0_E_clISt17integral_constantIbLb0EESZ_EEDaSU_SV_EUlSU_E_NS1_11comp_targetILNS1_3genE0ELNS1_11target_archE4294967295ELNS1_3gpuE0ELNS1_3repE0EEENS1_30default_config_static_selectorELNS0_4arch9wavefront6targetE1EEEvT1_,"axG",@progbits,_ZN7rocprim17ROCPRIM_400000_NS6detail17trampoline_kernelINS0_14default_configENS1_27scan_by_key_config_selectorIssEEZZNS1_16scan_by_key_implILNS1_25lookback_scan_determinismE0ELb0ES3_N6thrust23THRUST_200600_302600_NS6detail15normal_iteratorINS9_10device_ptrIsEEEESE_SE_sNS9_10multipliesIsEENS9_8equal_toIsEEsEE10hipError_tPvRmT2_T3_T4_T5_mT6_T7_P12ihipStream_tbENKUlT_T0_E_clISt17integral_constantIbLb0EESZ_EEDaSU_SV_EUlSU_E_NS1_11comp_targetILNS1_3genE0ELNS1_11target_archE4294967295ELNS1_3gpuE0ELNS1_3repE0EEENS1_30default_config_static_selectorELNS0_4arch9wavefront6targetE1EEEvT1_,comdat
	.protected	_ZN7rocprim17ROCPRIM_400000_NS6detail17trampoline_kernelINS0_14default_configENS1_27scan_by_key_config_selectorIssEEZZNS1_16scan_by_key_implILNS1_25lookback_scan_determinismE0ELb0ES3_N6thrust23THRUST_200600_302600_NS6detail15normal_iteratorINS9_10device_ptrIsEEEESE_SE_sNS9_10multipliesIsEENS9_8equal_toIsEEsEE10hipError_tPvRmT2_T3_T4_T5_mT6_T7_P12ihipStream_tbENKUlT_T0_E_clISt17integral_constantIbLb0EESZ_EEDaSU_SV_EUlSU_E_NS1_11comp_targetILNS1_3genE0ELNS1_11target_archE4294967295ELNS1_3gpuE0ELNS1_3repE0EEENS1_30default_config_static_selectorELNS0_4arch9wavefront6targetE1EEEvT1_ ; -- Begin function _ZN7rocprim17ROCPRIM_400000_NS6detail17trampoline_kernelINS0_14default_configENS1_27scan_by_key_config_selectorIssEEZZNS1_16scan_by_key_implILNS1_25lookback_scan_determinismE0ELb0ES3_N6thrust23THRUST_200600_302600_NS6detail15normal_iteratorINS9_10device_ptrIsEEEESE_SE_sNS9_10multipliesIsEENS9_8equal_toIsEEsEE10hipError_tPvRmT2_T3_T4_T5_mT6_T7_P12ihipStream_tbENKUlT_T0_E_clISt17integral_constantIbLb0EESZ_EEDaSU_SV_EUlSU_E_NS1_11comp_targetILNS1_3genE0ELNS1_11target_archE4294967295ELNS1_3gpuE0ELNS1_3repE0EEENS1_30default_config_static_selectorELNS0_4arch9wavefront6targetE1EEEvT1_
	.globl	_ZN7rocprim17ROCPRIM_400000_NS6detail17trampoline_kernelINS0_14default_configENS1_27scan_by_key_config_selectorIssEEZZNS1_16scan_by_key_implILNS1_25lookback_scan_determinismE0ELb0ES3_N6thrust23THRUST_200600_302600_NS6detail15normal_iteratorINS9_10device_ptrIsEEEESE_SE_sNS9_10multipliesIsEENS9_8equal_toIsEEsEE10hipError_tPvRmT2_T3_T4_T5_mT6_T7_P12ihipStream_tbENKUlT_T0_E_clISt17integral_constantIbLb0EESZ_EEDaSU_SV_EUlSU_E_NS1_11comp_targetILNS1_3genE0ELNS1_11target_archE4294967295ELNS1_3gpuE0ELNS1_3repE0EEENS1_30default_config_static_selectorELNS0_4arch9wavefront6targetE1EEEvT1_
	.p2align	8
	.type	_ZN7rocprim17ROCPRIM_400000_NS6detail17trampoline_kernelINS0_14default_configENS1_27scan_by_key_config_selectorIssEEZZNS1_16scan_by_key_implILNS1_25lookback_scan_determinismE0ELb0ES3_N6thrust23THRUST_200600_302600_NS6detail15normal_iteratorINS9_10device_ptrIsEEEESE_SE_sNS9_10multipliesIsEENS9_8equal_toIsEEsEE10hipError_tPvRmT2_T3_T4_T5_mT6_T7_P12ihipStream_tbENKUlT_T0_E_clISt17integral_constantIbLb0EESZ_EEDaSU_SV_EUlSU_E_NS1_11comp_targetILNS1_3genE0ELNS1_11target_archE4294967295ELNS1_3gpuE0ELNS1_3repE0EEENS1_30default_config_static_selectorELNS0_4arch9wavefront6targetE1EEEvT1_,@function
_ZN7rocprim17ROCPRIM_400000_NS6detail17trampoline_kernelINS0_14default_configENS1_27scan_by_key_config_selectorIssEEZZNS1_16scan_by_key_implILNS1_25lookback_scan_determinismE0ELb0ES3_N6thrust23THRUST_200600_302600_NS6detail15normal_iteratorINS9_10device_ptrIsEEEESE_SE_sNS9_10multipliesIsEENS9_8equal_toIsEEsEE10hipError_tPvRmT2_T3_T4_T5_mT6_T7_P12ihipStream_tbENKUlT_T0_E_clISt17integral_constantIbLb0EESZ_EEDaSU_SV_EUlSU_E_NS1_11comp_targetILNS1_3genE0ELNS1_11target_archE4294967295ELNS1_3gpuE0ELNS1_3repE0EEENS1_30default_config_static_selectorELNS0_4arch9wavefront6targetE1EEEvT1_: ; @_ZN7rocprim17ROCPRIM_400000_NS6detail17trampoline_kernelINS0_14default_configENS1_27scan_by_key_config_selectorIssEEZZNS1_16scan_by_key_implILNS1_25lookback_scan_determinismE0ELb0ES3_N6thrust23THRUST_200600_302600_NS6detail15normal_iteratorINS9_10device_ptrIsEEEESE_SE_sNS9_10multipliesIsEENS9_8equal_toIsEEsEE10hipError_tPvRmT2_T3_T4_T5_mT6_T7_P12ihipStream_tbENKUlT_T0_E_clISt17integral_constantIbLb0EESZ_EEDaSU_SV_EUlSU_E_NS1_11comp_targetILNS1_3genE0ELNS1_11target_archE4294967295ELNS1_3gpuE0ELNS1_3repE0EEENS1_30default_config_static_selectorELNS0_4arch9wavefront6targetE1EEEvT1_
; %bb.0:
	.section	.rodata,"a",@progbits
	.p2align	6, 0x0
	.amdhsa_kernel _ZN7rocprim17ROCPRIM_400000_NS6detail17trampoline_kernelINS0_14default_configENS1_27scan_by_key_config_selectorIssEEZZNS1_16scan_by_key_implILNS1_25lookback_scan_determinismE0ELb0ES3_N6thrust23THRUST_200600_302600_NS6detail15normal_iteratorINS9_10device_ptrIsEEEESE_SE_sNS9_10multipliesIsEENS9_8equal_toIsEEsEE10hipError_tPvRmT2_T3_T4_T5_mT6_T7_P12ihipStream_tbENKUlT_T0_E_clISt17integral_constantIbLb0EESZ_EEDaSU_SV_EUlSU_E_NS1_11comp_targetILNS1_3genE0ELNS1_11target_archE4294967295ELNS1_3gpuE0ELNS1_3repE0EEENS1_30default_config_static_selectorELNS0_4arch9wavefront6targetE1EEEvT1_
		.amdhsa_group_segment_fixed_size 0
		.amdhsa_private_segment_fixed_size 0
		.amdhsa_kernarg_size 112
		.amdhsa_user_sgpr_count 2
		.amdhsa_user_sgpr_dispatch_ptr 0
		.amdhsa_user_sgpr_queue_ptr 0
		.amdhsa_user_sgpr_kernarg_segment_ptr 1
		.amdhsa_user_sgpr_dispatch_id 0
		.amdhsa_user_sgpr_kernarg_preload_length 0
		.amdhsa_user_sgpr_kernarg_preload_offset 0
		.amdhsa_user_sgpr_private_segment_size 0
		.amdhsa_uses_dynamic_stack 0
		.amdhsa_enable_private_segment 0
		.amdhsa_system_sgpr_workgroup_id_x 1
		.amdhsa_system_sgpr_workgroup_id_y 0
		.amdhsa_system_sgpr_workgroup_id_z 0
		.amdhsa_system_sgpr_workgroup_info 0
		.amdhsa_system_vgpr_workitem_id 0
		.amdhsa_next_free_vgpr 1
		.amdhsa_next_free_sgpr 0
		.amdhsa_accum_offset 4
		.amdhsa_reserve_vcc 0
		.amdhsa_float_round_mode_32 0
		.amdhsa_float_round_mode_16_64 0
		.amdhsa_float_denorm_mode_32 3
		.amdhsa_float_denorm_mode_16_64 3
		.amdhsa_dx10_clamp 1
		.amdhsa_ieee_mode 1
		.amdhsa_fp16_overflow 0
		.amdhsa_tg_split 0
		.amdhsa_exception_fp_ieee_invalid_op 0
		.amdhsa_exception_fp_denorm_src 0
		.amdhsa_exception_fp_ieee_div_zero 0
		.amdhsa_exception_fp_ieee_overflow 0
		.amdhsa_exception_fp_ieee_underflow 0
		.amdhsa_exception_fp_ieee_inexact 0
		.amdhsa_exception_int_div_zero 0
	.end_amdhsa_kernel
	.section	.text._ZN7rocprim17ROCPRIM_400000_NS6detail17trampoline_kernelINS0_14default_configENS1_27scan_by_key_config_selectorIssEEZZNS1_16scan_by_key_implILNS1_25lookback_scan_determinismE0ELb0ES3_N6thrust23THRUST_200600_302600_NS6detail15normal_iteratorINS9_10device_ptrIsEEEESE_SE_sNS9_10multipliesIsEENS9_8equal_toIsEEsEE10hipError_tPvRmT2_T3_T4_T5_mT6_T7_P12ihipStream_tbENKUlT_T0_E_clISt17integral_constantIbLb0EESZ_EEDaSU_SV_EUlSU_E_NS1_11comp_targetILNS1_3genE0ELNS1_11target_archE4294967295ELNS1_3gpuE0ELNS1_3repE0EEENS1_30default_config_static_selectorELNS0_4arch9wavefront6targetE1EEEvT1_,"axG",@progbits,_ZN7rocprim17ROCPRIM_400000_NS6detail17trampoline_kernelINS0_14default_configENS1_27scan_by_key_config_selectorIssEEZZNS1_16scan_by_key_implILNS1_25lookback_scan_determinismE0ELb0ES3_N6thrust23THRUST_200600_302600_NS6detail15normal_iteratorINS9_10device_ptrIsEEEESE_SE_sNS9_10multipliesIsEENS9_8equal_toIsEEsEE10hipError_tPvRmT2_T3_T4_T5_mT6_T7_P12ihipStream_tbENKUlT_T0_E_clISt17integral_constantIbLb0EESZ_EEDaSU_SV_EUlSU_E_NS1_11comp_targetILNS1_3genE0ELNS1_11target_archE4294967295ELNS1_3gpuE0ELNS1_3repE0EEENS1_30default_config_static_selectorELNS0_4arch9wavefront6targetE1EEEvT1_,comdat
.Lfunc_end281:
	.size	_ZN7rocprim17ROCPRIM_400000_NS6detail17trampoline_kernelINS0_14default_configENS1_27scan_by_key_config_selectorIssEEZZNS1_16scan_by_key_implILNS1_25lookback_scan_determinismE0ELb0ES3_N6thrust23THRUST_200600_302600_NS6detail15normal_iteratorINS9_10device_ptrIsEEEESE_SE_sNS9_10multipliesIsEENS9_8equal_toIsEEsEE10hipError_tPvRmT2_T3_T4_T5_mT6_T7_P12ihipStream_tbENKUlT_T0_E_clISt17integral_constantIbLb0EESZ_EEDaSU_SV_EUlSU_E_NS1_11comp_targetILNS1_3genE0ELNS1_11target_archE4294967295ELNS1_3gpuE0ELNS1_3repE0EEENS1_30default_config_static_selectorELNS0_4arch9wavefront6targetE1EEEvT1_, .Lfunc_end281-_ZN7rocprim17ROCPRIM_400000_NS6detail17trampoline_kernelINS0_14default_configENS1_27scan_by_key_config_selectorIssEEZZNS1_16scan_by_key_implILNS1_25lookback_scan_determinismE0ELb0ES3_N6thrust23THRUST_200600_302600_NS6detail15normal_iteratorINS9_10device_ptrIsEEEESE_SE_sNS9_10multipliesIsEENS9_8equal_toIsEEsEE10hipError_tPvRmT2_T3_T4_T5_mT6_T7_P12ihipStream_tbENKUlT_T0_E_clISt17integral_constantIbLb0EESZ_EEDaSU_SV_EUlSU_E_NS1_11comp_targetILNS1_3genE0ELNS1_11target_archE4294967295ELNS1_3gpuE0ELNS1_3repE0EEENS1_30default_config_static_selectorELNS0_4arch9wavefront6targetE1EEEvT1_
                                        ; -- End function
	.section	.AMDGPU.csdata,"",@progbits
; Kernel info:
; codeLenInByte = 0
; NumSgprs: 6
; NumVgprs: 0
; NumAgprs: 0
; TotalNumVgprs: 0
; ScratchSize: 0
; MemoryBound: 0
; FloatMode: 240
; IeeeMode: 1
; LDSByteSize: 0 bytes/workgroup (compile time only)
; SGPRBlocks: 0
; VGPRBlocks: 0
; NumSGPRsForWavesPerEU: 6
; NumVGPRsForWavesPerEU: 1
; AccumOffset: 4
; Occupancy: 8
; WaveLimiterHint : 0
; COMPUTE_PGM_RSRC2:SCRATCH_EN: 0
; COMPUTE_PGM_RSRC2:USER_SGPR: 2
; COMPUTE_PGM_RSRC2:TRAP_HANDLER: 0
; COMPUTE_PGM_RSRC2:TGID_X_EN: 1
; COMPUTE_PGM_RSRC2:TGID_Y_EN: 0
; COMPUTE_PGM_RSRC2:TGID_Z_EN: 0
; COMPUTE_PGM_RSRC2:TIDIG_COMP_CNT: 0
; COMPUTE_PGM_RSRC3_GFX90A:ACCUM_OFFSET: 0
; COMPUTE_PGM_RSRC3_GFX90A:TG_SPLIT: 0
	.section	.text._ZN7rocprim17ROCPRIM_400000_NS6detail17trampoline_kernelINS0_14default_configENS1_27scan_by_key_config_selectorIssEEZZNS1_16scan_by_key_implILNS1_25lookback_scan_determinismE0ELb0ES3_N6thrust23THRUST_200600_302600_NS6detail15normal_iteratorINS9_10device_ptrIsEEEESE_SE_sNS9_10multipliesIsEENS9_8equal_toIsEEsEE10hipError_tPvRmT2_T3_T4_T5_mT6_T7_P12ihipStream_tbENKUlT_T0_E_clISt17integral_constantIbLb0EESZ_EEDaSU_SV_EUlSU_E_NS1_11comp_targetILNS1_3genE10ELNS1_11target_archE1201ELNS1_3gpuE5ELNS1_3repE0EEENS1_30default_config_static_selectorELNS0_4arch9wavefront6targetE1EEEvT1_,"axG",@progbits,_ZN7rocprim17ROCPRIM_400000_NS6detail17trampoline_kernelINS0_14default_configENS1_27scan_by_key_config_selectorIssEEZZNS1_16scan_by_key_implILNS1_25lookback_scan_determinismE0ELb0ES3_N6thrust23THRUST_200600_302600_NS6detail15normal_iteratorINS9_10device_ptrIsEEEESE_SE_sNS9_10multipliesIsEENS9_8equal_toIsEEsEE10hipError_tPvRmT2_T3_T4_T5_mT6_T7_P12ihipStream_tbENKUlT_T0_E_clISt17integral_constantIbLb0EESZ_EEDaSU_SV_EUlSU_E_NS1_11comp_targetILNS1_3genE10ELNS1_11target_archE1201ELNS1_3gpuE5ELNS1_3repE0EEENS1_30default_config_static_selectorELNS0_4arch9wavefront6targetE1EEEvT1_,comdat
	.protected	_ZN7rocprim17ROCPRIM_400000_NS6detail17trampoline_kernelINS0_14default_configENS1_27scan_by_key_config_selectorIssEEZZNS1_16scan_by_key_implILNS1_25lookback_scan_determinismE0ELb0ES3_N6thrust23THRUST_200600_302600_NS6detail15normal_iteratorINS9_10device_ptrIsEEEESE_SE_sNS9_10multipliesIsEENS9_8equal_toIsEEsEE10hipError_tPvRmT2_T3_T4_T5_mT6_T7_P12ihipStream_tbENKUlT_T0_E_clISt17integral_constantIbLb0EESZ_EEDaSU_SV_EUlSU_E_NS1_11comp_targetILNS1_3genE10ELNS1_11target_archE1201ELNS1_3gpuE5ELNS1_3repE0EEENS1_30default_config_static_selectorELNS0_4arch9wavefront6targetE1EEEvT1_ ; -- Begin function _ZN7rocprim17ROCPRIM_400000_NS6detail17trampoline_kernelINS0_14default_configENS1_27scan_by_key_config_selectorIssEEZZNS1_16scan_by_key_implILNS1_25lookback_scan_determinismE0ELb0ES3_N6thrust23THRUST_200600_302600_NS6detail15normal_iteratorINS9_10device_ptrIsEEEESE_SE_sNS9_10multipliesIsEENS9_8equal_toIsEEsEE10hipError_tPvRmT2_T3_T4_T5_mT6_T7_P12ihipStream_tbENKUlT_T0_E_clISt17integral_constantIbLb0EESZ_EEDaSU_SV_EUlSU_E_NS1_11comp_targetILNS1_3genE10ELNS1_11target_archE1201ELNS1_3gpuE5ELNS1_3repE0EEENS1_30default_config_static_selectorELNS0_4arch9wavefront6targetE1EEEvT1_
	.globl	_ZN7rocprim17ROCPRIM_400000_NS6detail17trampoline_kernelINS0_14default_configENS1_27scan_by_key_config_selectorIssEEZZNS1_16scan_by_key_implILNS1_25lookback_scan_determinismE0ELb0ES3_N6thrust23THRUST_200600_302600_NS6detail15normal_iteratorINS9_10device_ptrIsEEEESE_SE_sNS9_10multipliesIsEENS9_8equal_toIsEEsEE10hipError_tPvRmT2_T3_T4_T5_mT6_T7_P12ihipStream_tbENKUlT_T0_E_clISt17integral_constantIbLb0EESZ_EEDaSU_SV_EUlSU_E_NS1_11comp_targetILNS1_3genE10ELNS1_11target_archE1201ELNS1_3gpuE5ELNS1_3repE0EEENS1_30default_config_static_selectorELNS0_4arch9wavefront6targetE1EEEvT1_
	.p2align	8
	.type	_ZN7rocprim17ROCPRIM_400000_NS6detail17trampoline_kernelINS0_14default_configENS1_27scan_by_key_config_selectorIssEEZZNS1_16scan_by_key_implILNS1_25lookback_scan_determinismE0ELb0ES3_N6thrust23THRUST_200600_302600_NS6detail15normal_iteratorINS9_10device_ptrIsEEEESE_SE_sNS9_10multipliesIsEENS9_8equal_toIsEEsEE10hipError_tPvRmT2_T3_T4_T5_mT6_T7_P12ihipStream_tbENKUlT_T0_E_clISt17integral_constantIbLb0EESZ_EEDaSU_SV_EUlSU_E_NS1_11comp_targetILNS1_3genE10ELNS1_11target_archE1201ELNS1_3gpuE5ELNS1_3repE0EEENS1_30default_config_static_selectorELNS0_4arch9wavefront6targetE1EEEvT1_,@function
_ZN7rocprim17ROCPRIM_400000_NS6detail17trampoline_kernelINS0_14default_configENS1_27scan_by_key_config_selectorIssEEZZNS1_16scan_by_key_implILNS1_25lookback_scan_determinismE0ELb0ES3_N6thrust23THRUST_200600_302600_NS6detail15normal_iteratorINS9_10device_ptrIsEEEESE_SE_sNS9_10multipliesIsEENS9_8equal_toIsEEsEE10hipError_tPvRmT2_T3_T4_T5_mT6_T7_P12ihipStream_tbENKUlT_T0_E_clISt17integral_constantIbLb0EESZ_EEDaSU_SV_EUlSU_E_NS1_11comp_targetILNS1_3genE10ELNS1_11target_archE1201ELNS1_3gpuE5ELNS1_3repE0EEENS1_30default_config_static_selectorELNS0_4arch9wavefront6targetE1EEEvT1_: ; @_ZN7rocprim17ROCPRIM_400000_NS6detail17trampoline_kernelINS0_14default_configENS1_27scan_by_key_config_selectorIssEEZZNS1_16scan_by_key_implILNS1_25lookback_scan_determinismE0ELb0ES3_N6thrust23THRUST_200600_302600_NS6detail15normal_iteratorINS9_10device_ptrIsEEEESE_SE_sNS9_10multipliesIsEENS9_8equal_toIsEEsEE10hipError_tPvRmT2_T3_T4_T5_mT6_T7_P12ihipStream_tbENKUlT_T0_E_clISt17integral_constantIbLb0EESZ_EEDaSU_SV_EUlSU_E_NS1_11comp_targetILNS1_3genE10ELNS1_11target_archE1201ELNS1_3gpuE5ELNS1_3repE0EEENS1_30default_config_static_selectorELNS0_4arch9wavefront6targetE1EEEvT1_
; %bb.0:
	.section	.rodata,"a",@progbits
	.p2align	6, 0x0
	.amdhsa_kernel _ZN7rocprim17ROCPRIM_400000_NS6detail17trampoline_kernelINS0_14default_configENS1_27scan_by_key_config_selectorIssEEZZNS1_16scan_by_key_implILNS1_25lookback_scan_determinismE0ELb0ES3_N6thrust23THRUST_200600_302600_NS6detail15normal_iteratorINS9_10device_ptrIsEEEESE_SE_sNS9_10multipliesIsEENS9_8equal_toIsEEsEE10hipError_tPvRmT2_T3_T4_T5_mT6_T7_P12ihipStream_tbENKUlT_T0_E_clISt17integral_constantIbLb0EESZ_EEDaSU_SV_EUlSU_E_NS1_11comp_targetILNS1_3genE10ELNS1_11target_archE1201ELNS1_3gpuE5ELNS1_3repE0EEENS1_30default_config_static_selectorELNS0_4arch9wavefront6targetE1EEEvT1_
		.amdhsa_group_segment_fixed_size 0
		.amdhsa_private_segment_fixed_size 0
		.amdhsa_kernarg_size 112
		.amdhsa_user_sgpr_count 2
		.amdhsa_user_sgpr_dispatch_ptr 0
		.amdhsa_user_sgpr_queue_ptr 0
		.amdhsa_user_sgpr_kernarg_segment_ptr 1
		.amdhsa_user_sgpr_dispatch_id 0
		.amdhsa_user_sgpr_kernarg_preload_length 0
		.amdhsa_user_sgpr_kernarg_preload_offset 0
		.amdhsa_user_sgpr_private_segment_size 0
		.amdhsa_uses_dynamic_stack 0
		.amdhsa_enable_private_segment 0
		.amdhsa_system_sgpr_workgroup_id_x 1
		.amdhsa_system_sgpr_workgroup_id_y 0
		.amdhsa_system_sgpr_workgroup_id_z 0
		.amdhsa_system_sgpr_workgroup_info 0
		.amdhsa_system_vgpr_workitem_id 0
		.amdhsa_next_free_vgpr 1
		.amdhsa_next_free_sgpr 0
		.amdhsa_accum_offset 4
		.amdhsa_reserve_vcc 0
		.amdhsa_float_round_mode_32 0
		.amdhsa_float_round_mode_16_64 0
		.amdhsa_float_denorm_mode_32 3
		.amdhsa_float_denorm_mode_16_64 3
		.amdhsa_dx10_clamp 1
		.amdhsa_ieee_mode 1
		.amdhsa_fp16_overflow 0
		.amdhsa_tg_split 0
		.amdhsa_exception_fp_ieee_invalid_op 0
		.amdhsa_exception_fp_denorm_src 0
		.amdhsa_exception_fp_ieee_div_zero 0
		.amdhsa_exception_fp_ieee_overflow 0
		.amdhsa_exception_fp_ieee_underflow 0
		.amdhsa_exception_fp_ieee_inexact 0
		.amdhsa_exception_int_div_zero 0
	.end_amdhsa_kernel
	.section	.text._ZN7rocprim17ROCPRIM_400000_NS6detail17trampoline_kernelINS0_14default_configENS1_27scan_by_key_config_selectorIssEEZZNS1_16scan_by_key_implILNS1_25lookback_scan_determinismE0ELb0ES3_N6thrust23THRUST_200600_302600_NS6detail15normal_iteratorINS9_10device_ptrIsEEEESE_SE_sNS9_10multipliesIsEENS9_8equal_toIsEEsEE10hipError_tPvRmT2_T3_T4_T5_mT6_T7_P12ihipStream_tbENKUlT_T0_E_clISt17integral_constantIbLb0EESZ_EEDaSU_SV_EUlSU_E_NS1_11comp_targetILNS1_3genE10ELNS1_11target_archE1201ELNS1_3gpuE5ELNS1_3repE0EEENS1_30default_config_static_selectorELNS0_4arch9wavefront6targetE1EEEvT1_,"axG",@progbits,_ZN7rocprim17ROCPRIM_400000_NS6detail17trampoline_kernelINS0_14default_configENS1_27scan_by_key_config_selectorIssEEZZNS1_16scan_by_key_implILNS1_25lookback_scan_determinismE0ELb0ES3_N6thrust23THRUST_200600_302600_NS6detail15normal_iteratorINS9_10device_ptrIsEEEESE_SE_sNS9_10multipliesIsEENS9_8equal_toIsEEsEE10hipError_tPvRmT2_T3_T4_T5_mT6_T7_P12ihipStream_tbENKUlT_T0_E_clISt17integral_constantIbLb0EESZ_EEDaSU_SV_EUlSU_E_NS1_11comp_targetILNS1_3genE10ELNS1_11target_archE1201ELNS1_3gpuE5ELNS1_3repE0EEENS1_30default_config_static_selectorELNS0_4arch9wavefront6targetE1EEEvT1_,comdat
.Lfunc_end282:
	.size	_ZN7rocprim17ROCPRIM_400000_NS6detail17trampoline_kernelINS0_14default_configENS1_27scan_by_key_config_selectorIssEEZZNS1_16scan_by_key_implILNS1_25lookback_scan_determinismE0ELb0ES3_N6thrust23THRUST_200600_302600_NS6detail15normal_iteratorINS9_10device_ptrIsEEEESE_SE_sNS9_10multipliesIsEENS9_8equal_toIsEEsEE10hipError_tPvRmT2_T3_T4_T5_mT6_T7_P12ihipStream_tbENKUlT_T0_E_clISt17integral_constantIbLb0EESZ_EEDaSU_SV_EUlSU_E_NS1_11comp_targetILNS1_3genE10ELNS1_11target_archE1201ELNS1_3gpuE5ELNS1_3repE0EEENS1_30default_config_static_selectorELNS0_4arch9wavefront6targetE1EEEvT1_, .Lfunc_end282-_ZN7rocprim17ROCPRIM_400000_NS6detail17trampoline_kernelINS0_14default_configENS1_27scan_by_key_config_selectorIssEEZZNS1_16scan_by_key_implILNS1_25lookback_scan_determinismE0ELb0ES3_N6thrust23THRUST_200600_302600_NS6detail15normal_iteratorINS9_10device_ptrIsEEEESE_SE_sNS9_10multipliesIsEENS9_8equal_toIsEEsEE10hipError_tPvRmT2_T3_T4_T5_mT6_T7_P12ihipStream_tbENKUlT_T0_E_clISt17integral_constantIbLb0EESZ_EEDaSU_SV_EUlSU_E_NS1_11comp_targetILNS1_3genE10ELNS1_11target_archE1201ELNS1_3gpuE5ELNS1_3repE0EEENS1_30default_config_static_selectorELNS0_4arch9wavefront6targetE1EEEvT1_
                                        ; -- End function
	.section	.AMDGPU.csdata,"",@progbits
; Kernel info:
; codeLenInByte = 0
; NumSgprs: 6
; NumVgprs: 0
; NumAgprs: 0
; TotalNumVgprs: 0
; ScratchSize: 0
; MemoryBound: 0
; FloatMode: 240
; IeeeMode: 1
; LDSByteSize: 0 bytes/workgroup (compile time only)
; SGPRBlocks: 0
; VGPRBlocks: 0
; NumSGPRsForWavesPerEU: 6
; NumVGPRsForWavesPerEU: 1
; AccumOffset: 4
; Occupancy: 8
; WaveLimiterHint : 0
; COMPUTE_PGM_RSRC2:SCRATCH_EN: 0
; COMPUTE_PGM_RSRC2:USER_SGPR: 2
; COMPUTE_PGM_RSRC2:TRAP_HANDLER: 0
; COMPUTE_PGM_RSRC2:TGID_X_EN: 1
; COMPUTE_PGM_RSRC2:TGID_Y_EN: 0
; COMPUTE_PGM_RSRC2:TGID_Z_EN: 0
; COMPUTE_PGM_RSRC2:TIDIG_COMP_CNT: 0
; COMPUTE_PGM_RSRC3_GFX90A:ACCUM_OFFSET: 0
; COMPUTE_PGM_RSRC3_GFX90A:TG_SPLIT: 0
	.section	.text._ZN7rocprim17ROCPRIM_400000_NS6detail17trampoline_kernelINS0_14default_configENS1_27scan_by_key_config_selectorIssEEZZNS1_16scan_by_key_implILNS1_25lookback_scan_determinismE0ELb0ES3_N6thrust23THRUST_200600_302600_NS6detail15normal_iteratorINS9_10device_ptrIsEEEESE_SE_sNS9_10multipliesIsEENS9_8equal_toIsEEsEE10hipError_tPvRmT2_T3_T4_T5_mT6_T7_P12ihipStream_tbENKUlT_T0_E_clISt17integral_constantIbLb0EESZ_EEDaSU_SV_EUlSU_E_NS1_11comp_targetILNS1_3genE5ELNS1_11target_archE942ELNS1_3gpuE9ELNS1_3repE0EEENS1_30default_config_static_selectorELNS0_4arch9wavefront6targetE1EEEvT1_,"axG",@progbits,_ZN7rocprim17ROCPRIM_400000_NS6detail17trampoline_kernelINS0_14default_configENS1_27scan_by_key_config_selectorIssEEZZNS1_16scan_by_key_implILNS1_25lookback_scan_determinismE0ELb0ES3_N6thrust23THRUST_200600_302600_NS6detail15normal_iteratorINS9_10device_ptrIsEEEESE_SE_sNS9_10multipliesIsEENS9_8equal_toIsEEsEE10hipError_tPvRmT2_T3_T4_T5_mT6_T7_P12ihipStream_tbENKUlT_T0_E_clISt17integral_constantIbLb0EESZ_EEDaSU_SV_EUlSU_E_NS1_11comp_targetILNS1_3genE5ELNS1_11target_archE942ELNS1_3gpuE9ELNS1_3repE0EEENS1_30default_config_static_selectorELNS0_4arch9wavefront6targetE1EEEvT1_,comdat
	.protected	_ZN7rocprim17ROCPRIM_400000_NS6detail17trampoline_kernelINS0_14default_configENS1_27scan_by_key_config_selectorIssEEZZNS1_16scan_by_key_implILNS1_25lookback_scan_determinismE0ELb0ES3_N6thrust23THRUST_200600_302600_NS6detail15normal_iteratorINS9_10device_ptrIsEEEESE_SE_sNS9_10multipliesIsEENS9_8equal_toIsEEsEE10hipError_tPvRmT2_T3_T4_T5_mT6_T7_P12ihipStream_tbENKUlT_T0_E_clISt17integral_constantIbLb0EESZ_EEDaSU_SV_EUlSU_E_NS1_11comp_targetILNS1_3genE5ELNS1_11target_archE942ELNS1_3gpuE9ELNS1_3repE0EEENS1_30default_config_static_selectorELNS0_4arch9wavefront6targetE1EEEvT1_ ; -- Begin function _ZN7rocprim17ROCPRIM_400000_NS6detail17trampoline_kernelINS0_14default_configENS1_27scan_by_key_config_selectorIssEEZZNS1_16scan_by_key_implILNS1_25lookback_scan_determinismE0ELb0ES3_N6thrust23THRUST_200600_302600_NS6detail15normal_iteratorINS9_10device_ptrIsEEEESE_SE_sNS9_10multipliesIsEENS9_8equal_toIsEEsEE10hipError_tPvRmT2_T3_T4_T5_mT6_T7_P12ihipStream_tbENKUlT_T0_E_clISt17integral_constantIbLb0EESZ_EEDaSU_SV_EUlSU_E_NS1_11comp_targetILNS1_3genE5ELNS1_11target_archE942ELNS1_3gpuE9ELNS1_3repE0EEENS1_30default_config_static_selectorELNS0_4arch9wavefront6targetE1EEEvT1_
	.globl	_ZN7rocprim17ROCPRIM_400000_NS6detail17trampoline_kernelINS0_14default_configENS1_27scan_by_key_config_selectorIssEEZZNS1_16scan_by_key_implILNS1_25lookback_scan_determinismE0ELb0ES3_N6thrust23THRUST_200600_302600_NS6detail15normal_iteratorINS9_10device_ptrIsEEEESE_SE_sNS9_10multipliesIsEENS9_8equal_toIsEEsEE10hipError_tPvRmT2_T3_T4_T5_mT6_T7_P12ihipStream_tbENKUlT_T0_E_clISt17integral_constantIbLb0EESZ_EEDaSU_SV_EUlSU_E_NS1_11comp_targetILNS1_3genE5ELNS1_11target_archE942ELNS1_3gpuE9ELNS1_3repE0EEENS1_30default_config_static_selectorELNS0_4arch9wavefront6targetE1EEEvT1_
	.p2align	8
	.type	_ZN7rocprim17ROCPRIM_400000_NS6detail17trampoline_kernelINS0_14default_configENS1_27scan_by_key_config_selectorIssEEZZNS1_16scan_by_key_implILNS1_25lookback_scan_determinismE0ELb0ES3_N6thrust23THRUST_200600_302600_NS6detail15normal_iteratorINS9_10device_ptrIsEEEESE_SE_sNS9_10multipliesIsEENS9_8equal_toIsEEsEE10hipError_tPvRmT2_T3_T4_T5_mT6_T7_P12ihipStream_tbENKUlT_T0_E_clISt17integral_constantIbLb0EESZ_EEDaSU_SV_EUlSU_E_NS1_11comp_targetILNS1_3genE5ELNS1_11target_archE942ELNS1_3gpuE9ELNS1_3repE0EEENS1_30default_config_static_selectorELNS0_4arch9wavefront6targetE1EEEvT1_,@function
_ZN7rocprim17ROCPRIM_400000_NS6detail17trampoline_kernelINS0_14default_configENS1_27scan_by_key_config_selectorIssEEZZNS1_16scan_by_key_implILNS1_25lookback_scan_determinismE0ELb0ES3_N6thrust23THRUST_200600_302600_NS6detail15normal_iteratorINS9_10device_ptrIsEEEESE_SE_sNS9_10multipliesIsEENS9_8equal_toIsEEsEE10hipError_tPvRmT2_T3_T4_T5_mT6_T7_P12ihipStream_tbENKUlT_T0_E_clISt17integral_constantIbLb0EESZ_EEDaSU_SV_EUlSU_E_NS1_11comp_targetILNS1_3genE5ELNS1_11target_archE942ELNS1_3gpuE9ELNS1_3repE0EEENS1_30default_config_static_selectorELNS0_4arch9wavefront6targetE1EEEvT1_: ; @_ZN7rocprim17ROCPRIM_400000_NS6detail17trampoline_kernelINS0_14default_configENS1_27scan_by_key_config_selectorIssEEZZNS1_16scan_by_key_implILNS1_25lookback_scan_determinismE0ELb0ES3_N6thrust23THRUST_200600_302600_NS6detail15normal_iteratorINS9_10device_ptrIsEEEESE_SE_sNS9_10multipliesIsEENS9_8equal_toIsEEsEE10hipError_tPvRmT2_T3_T4_T5_mT6_T7_P12ihipStream_tbENKUlT_T0_E_clISt17integral_constantIbLb0EESZ_EEDaSU_SV_EUlSU_E_NS1_11comp_targetILNS1_3genE5ELNS1_11target_archE942ELNS1_3gpuE9ELNS1_3repE0EEENS1_30default_config_static_selectorELNS0_4arch9wavefront6targetE1EEEvT1_
; %bb.0:
	s_load_dwordx8 s[52:59], s[0:1], 0x0
	s_load_dwordx4 s[68:71], s[0:1], 0x28
	s_load_dwordx2 s[74:75], s[0:1], 0x38
	s_load_dword s3, s[0:1], 0x40
	s_load_dwordx8 s[60:67], s[0:1], 0x48
	s_waitcnt lgkmcnt(0)
	s_lshl_b64 s[72:73], s[54:55], 1
	s_add_u32 s4, s52, s72
	s_addc_u32 s5, s53, s73
	s_add_u32 s6, s56, s72
	s_mul_i32 s0, s75, s3
	s_mul_hi_u32 s1, s74, s3
	s_addc_u32 s7, s57, s73
	s_add_i32 s8, s1, s0
	s_cmp_lg_u64 s[64:65], 0
	s_mul_i32 s0, s2, 0x1800
	s_mov_b32 s1, 0
	s_cselect_b64 s[76:77], -1, 0
	s_lshl_b64 s[64:65], s[0:1], 1
	s_add_u32 s56, s4, s64
	s_addc_u32 s57, s5, s65
	s_add_u32 s54, s6, s64
	s_mul_i32 s3, s74, s3
	s_addc_u32 s55, s7, s65
	s_add_u32 s78, s3, s2
	s_addc_u32 s79, s8, 0
	s_add_u32 s4, s60, -1
	s_addc_u32 s5, s61, -1
	v_mov_b64_e32 v[2:3], s[4:5]
	v_cmp_ge_u64_e64 s[0:1], s[78:79], v[2:3]
	s_mov_b64 s[12:13], 0
	s_mov_b64 s[6:7], -1
	s_and_b64 vcc, exec, s[0:1]
	s_mul_i32 s33, s4, 0xffffe800
	s_barrier
	s_cbranch_vccz .LBB283_127
; %bb.1:
	v_mov_b64_e32 v[2:3], s[56:57]
	flat_load_ushort v1, v[2:3]
	s_add_i32 s3, s33, s70
	v_cmp_gt_u32_e64 s[52:53], s3, v0
	s_waitcnt vmcnt(0) lgkmcnt(0)
	v_mov_b32_e32 v22, v1
	s_and_saveexec_b64 s[4:5], s[52:53]
	s_cbranch_execz .LBB283_3
; %bb.2:
	v_lshlrev_b32_e32 v2, 1, v0
	v_mov_b32_e32 v3, 0
	v_lshl_add_u64 v[2:3], s[56:57], 0, v[2:3]
	flat_load_ushort v22, v[2:3]
.LBB283_3:
	s_or_b64 exec, exec, s[4:5]
	v_or_b32_e32 v2, 0x100, v0
	v_cmp_gt_u32_e64 s[4:5], s3, v2
	v_mov_b32_e32 v23, v1
	s_and_saveexec_b64 s[6:7], s[4:5]
	s_cbranch_execz .LBB283_5
; %bb.4:
	v_lshlrev_b32_e32 v2, 1, v0
	v_mov_b32_e32 v3, 0
	v_lshl_add_u64 v[2:3], s[56:57], 0, v[2:3]
	flat_load_ushort v23, v[2:3] offset:512
.LBB283_5:
	s_or_b64 exec, exec, s[6:7]
	v_or_b32_e32 v2, 0x200, v0
	v_cmp_gt_u32_e64 s[6:7], s3, v2
	v_mov_b32_e32 v24, v1
	s_and_saveexec_b64 s[8:9], s[6:7]
	s_cbranch_execz .LBB283_7
; %bb.6:
	v_lshlrev_b32_e32 v2, 1, v0
	v_mov_b32_e32 v3, 0
	v_lshl_add_u64 v[2:3], s[56:57], 0, v[2:3]
	flat_load_ushort v24, v[2:3] offset:1024
.LBB283_7:
	;; [unrolled: 12-line block ×7, first 2 shown]
	s_or_b64 exec, exec, s[18:19]
	v_or_b32_e32 v2, 0x800, v0
	v_cmp_gt_u32_e64 s[18:19], s3, v2
	v_lshlrev_b32_e32 v2, 1, v2
	v_mov_b32_e32 v3, v1
	s_and_saveexec_b64 s[20:21], s[18:19]
	s_cbranch_execz .LBB283_19
; %bb.18:
	v_mov_b32_e32 v3, 0
	v_lshl_add_u64 v[4:5], s[56:57], 0, v[2:3]
	flat_load_ushort v3, v[4:5]
.LBB283_19:
	s_or_b64 exec, exec, s[20:21]
	v_or_b32_e32 v4, 0x900, v0
	v_cmp_gt_u32_e64 s[20:21], s3, v4
	v_lshlrev_b32_e32 v4, 1, v4
	v_mov_b32_e32 v5, v1
	s_and_saveexec_b64 s[22:23], s[20:21]
	s_cbranch_execz .LBB283_21
; %bb.20:
	v_mov_b32_e32 v5, 0
	v_lshl_add_u64 v[6:7], s[56:57], 0, v[4:5]
	flat_load_ushort v5, v[6:7]
.LBB283_21:
	;; [unrolled: 12-line block ×15, first 2 shown]
	s_or_b64 exec, exec, s[50:51]
	v_or_b32_e32 v36, 0x1700, v0
	v_cmp_gt_u32_e64 s[50:51], s3, v36
	v_lshlrev_b32_e32 v46, 1, v36
	s_and_saveexec_b64 s[60:61], s[50:51]
	s_cbranch_execz .LBB283_49
; %bb.48:
	v_mov_b32_e32 v47, 0
	v_lshl_add_u64 v[36:37], s[56:57], 0, v[46:47]
	flat_load_ushort v1, v[36:37]
.LBB283_49:
	s_or_b64 exec, exec, s[60:61]
	v_lshlrev_b32_e32 v36, 1, v0
	v_mad_u32_u24 v48, v0, 46, v36
	s_waitcnt vmcnt(0) lgkmcnt(0)
	ds_write_b16 v36, v22
	ds_write_b16 v36, v23 offset:512
	ds_write_b16 v36, v24 offset:1024
	;; [unrolled: 1-line block ×23, first 2 shown]
	s_waitcnt lgkmcnt(0)
	s_barrier
	ds_read_b128 v[30:33], v48
	ds_read_b128 v[26:29], v48 offset:16
	ds_read_b128 v[22:25], v48 offset:32
	s_cmp_eq_u64 s[78:79], 0
	s_mov_b64 s[60:61], s[56:57]
	s_cbranch_scc1 .LBB283_53
; %bb.50:
	s_andn2_b64 vcc, exec, s[76:77]
	s_cbranch_vccnz .LBB283_315
; %bb.51:
	s_lshl_b64 s[60:61], s[78:79], 1
	s_add_u32 s60, s66, s60
	s_addc_u32 s61, s67, s61
	s_add_u32 s60, s60, -2
	s_addc_u32 s61, s61, -1
	s_cbranch_execnz .LBB283_53
.LBB283_52:
	s_add_u32 s60, s56, -2
	s_addc_u32 s61, s57, -1
.LBB283_53:
	v_mov_b64_e32 v[50:51], s[60:61]
	flat_load_ushort v50, v[50:51]
	s_movk_i32 s60, 0xffd2
	s_waitcnt lgkmcnt(0)
	v_lshrrev_b32_e32 v49, 16, v25
	v_mad_i32_i24 v1, v0, s60, v48
	v_cmp_ne_u32_e32 vcc, 0, v0
	ds_write_b16 v1, v49 offset:12288
	s_waitcnt lgkmcnt(0)
	s_barrier
	s_and_saveexec_b64 s[60:61], vcc
	s_cbranch_execz .LBB283_55
; %bb.54:
	v_mul_i32_i24_e32 v1, 0xffffffd2, v0
	v_add_u32_e32 v1, v48, v1
	s_waitcnt vmcnt(0)
	ds_read_u16 v50, v1 offset:12286
.LBB283_55:
	s_or_b64 exec, exec, s[60:61]
	v_mov_b32_e32 v37, 0
	s_waitcnt lgkmcnt(0)
	s_barrier
	s_waitcnt lgkmcnt(0)
                                        ; implicit-def: $vgpr1
	s_and_saveexec_b64 s[60:61], s[52:53]
	s_cbranch_execnz .LBB283_292
; %bb.56:
	s_or_b64 exec, exec, s[60:61]
                                        ; implicit-def: $vgpr51
	s_and_saveexec_b64 s[52:53], s[4:5]
	s_cbranch_execnz .LBB283_293
.LBB283_57:
	s_or_b64 exec, exec, s[52:53]
                                        ; implicit-def: $vgpr52
	s_and_saveexec_b64 s[4:5], s[6:7]
	s_cbranch_execnz .LBB283_294
.LBB283_58:
	s_or_b64 exec, exec, s[4:5]
                                        ; implicit-def: $vgpr53
	s_and_saveexec_b64 s[4:5], s[8:9]
	s_cbranch_execnz .LBB283_295
.LBB283_59:
	s_or_b64 exec, exec, s[4:5]
                                        ; implicit-def: $vgpr54
	s_and_saveexec_b64 s[4:5], s[10:11]
	s_cbranch_execnz .LBB283_296
.LBB283_60:
	s_or_b64 exec, exec, s[4:5]
                                        ; implicit-def: $vgpr55
	s_and_saveexec_b64 s[4:5], s[12:13]
	s_cbranch_execnz .LBB283_297
.LBB283_61:
	s_or_b64 exec, exec, s[4:5]
                                        ; implicit-def: $vgpr56
	s_and_saveexec_b64 s[4:5], s[14:15]
	s_cbranch_execnz .LBB283_298
.LBB283_62:
	s_or_b64 exec, exec, s[4:5]
                                        ; implicit-def: $vgpr37
	s_and_saveexec_b64 s[4:5], s[16:17]
	s_cbranch_execnz .LBB283_299
.LBB283_63:
	s_or_b64 exec, exec, s[4:5]
                                        ; implicit-def: $vgpr3
	s_and_saveexec_b64 s[4:5], s[18:19]
	s_cbranch_execnz .LBB283_300
.LBB283_64:
	s_or_b64 exec, exec, s[4:5]
                                        ; implicit-def: $vgpr2
	s_and_saveexec_b64 s[4:5], s[20:21]
	s_cbranch_execnz .LBB283_301
.LBB283_65:
	s_or_b64 exec, exec, s[4:5]
                                        ; implicit-def: $vgpr4
	s_and_saveexec_b64 s[4:5], s[22:23]
	s_cbranch_execnz .LBB283_302
.LBB283_66:
	s_or_b64 exec, exec, s[4:5]
                                        ; implicit-def: $vgpr5
	s_and_saveexec_b64 s[4:5], s[24:25]
	s_cbranch_execnz .LBB283_303
.LBB283_67:
	s_or_b64 exec, exec, s[4:5]
                                        ; implicit-def: $vgpr6
	s_and_saveexec_b64 s[4:5], s[26:27]
	s_cbranch_execnz .LBB283_304
.LBB283_68:
	s_or_b64 exec, exec, s[4:5]
                                        ; implicit-def: $vgpr7
	s_and_saveexec_b64 s[4:5], s[28:29]
	s_cbranch_execnz .LBB283_305
.LBB283_69:
	s_or_b64 exec, exec, s[4:5]
                                        ; implicit-def: $vgpr8
	s_and_saveexec_b64 s[4:5], s[30:31]
	s_cbranch_execnz .LBB283_306
.LBB283_70:
	s_or_b64 exec, exec, s[4:5]
                                        ; implicit-def: $vgpr9
	s_and_saveexec_b64 s[4:5], s[34:35]
	s_cbranch_execnz .LBB283_307
.LBB283_71:
	s_or_b64 exec, exec, s[4:5]
                                        ; implicit-def: $vgpr10
	s_and_saveexec_b64 s[4:5], s[36:37]
	s_cbranch_execnz .LBB283_308
.LBB283_72:
	s_or_b64 exec, exec, s[4:5]
                                        ; implicit-def: $vgpr11
	s_and_saveexec_b64 s[4:5], s[38:39]
	s_cbranch_execnz .LBB283_309
.LBB283_73:
	s_or_b64 exec, exec, s[4:5]
                                        ; implicit-def: $vgpr12
	s_and_saveexec_b64 s[4:5], s[40:41]
	s_cbranch_execnz .LBB283_310
.LBB283_74:
	s_or_b64 exec, exec, s[4:5]
                                        ; implicit-def: $vgpr13
	s_and_saveexec_b64 s[4:5], s[42:43]
	s_cbranch_execnz .LBB283_311
.LBB283_75:
	s_or_b64 exec, exec, s[4:5]
                                        ; implicit-def: $vgpr14
	s_and_saveexec_b64 s[4:5], s[44:45]
	s_cbranch_execnz .LBB283_312
.LBB283_76:
	s_or_b64 exec, exec, s[4:5]
                                        ; implicit-def: $vgpr15
	s_and_saveexec_b64 s[4:5], s[46:47]
	s_cbranch_execnz .LBB283_313
.LBB283_77:
	s_or_b64 exec, exec, s[4:5]
                                        ; implicit-def: $vgpr16
	s_and_saveexec_b64 s[4:5], s[48:49]
	s_cbranch_execnz .LBB283_314
.LBB283_78:
	s_or_b64 exec, exec, s[4:5]
                                        ; implicit-def: $vgpr17
	s_and_saveexec_b64 s[4:5], s[50:51]
	s_cbranch_execz .LBB283_80
.LBB283_79:
	v_mov_b32_e32 v47, 0
	v_lshl_add_u64 v[18:19], s[54:55], 0, v[46:47]
	flat_load_ushort v17, v[18:19]
.LBB283_80:
	s_or_b64 exec, exec, s[4:5]
	s_mov_b32 s8, 0
	s_mov_b32 s9, s8
	s_waitcnt vmcnt(0) lgkmcnt(0)
	ds_write_b16 v36, v1
	ds_write_b16 v36, v51 offset:512
	ds_write_b16 v36, v52 offset:1024
	;; [unrolled: 1-line block ×23, first 2 shown]
	s_mov_b32 s10, s8
	s_mov_b32 s11, s8
	;; [unrolled: 1-line block ×6, first 2 shown]
	v_mov_b64_e32 v[2:3], s[8:9]
	s_mov_b32 s18, s8
	s_mov_b32 s19, s8
	v_mov_b64_e32 v[8:9], s[14:15]
	v_mul_u32_u24_e32 v41, 24, v0
	s_mov_b32 s16, s8
	s_mov_b32 s17, s8
	v_mov_b64_e32 v[20:21], s[18:19]
	v_mov_b64_e32 v[4:5], s[10:11]
	;; [unrolled: 1-line block ×4, first 2 shown]
	v_cmp_gt_u32_e32 vcc, s3, v41
	s_mov_b64 s[6:7], 0
	v_mov_b64_e32 v[18:19], s[16:17]
	v_mov_b32_e32 v1, 0
	s_mov_b64 s[12:13], 0
	v_mov_b64_e32 v[14:15], v[6:7]
	v_mov_b64_e32 v[12:13], v[4:5]
	;; [unrolled: 1-line block ×3, first 2 shown]
	v_mov_b32_e32 v38, 0
	v_mov_b32_e32 v39, 0
	s_waitcnt lgkmcnt(0)
	s_barrier
	s_waitcnt lgkmcnt(0)
                                        ; implicit-def: $sgpr4_sgpr5
                                        ; implicit-def: $vgpr40
	s_and_saveexec_b64 s[10:11], vcc
	s_cbranch_execz .LBB283_126
; %bb.81:
	ds_read_u16 v1, v48
	v_cmp_ne_u16_e32 vcc, v50, v30
	s_mov_b32 s12, 0
	v_or_b32_e32 v2, 1, v41
	v_cndmask_b32_e64 v3, 0, 1, vcc
	s_mov_b32 s13, s12
	v_cmp_gt_u32_e32 vcc, s3, v2
	s_waitcnt lgkmcnt(0)
	v_lshl_or_b32 v1, v3, 16, v1
	s_mov_b32 s14, s12
	s_mov_b32 s15, s12
	;; [unrolled: 1-line block ×6, first 2 shown]
	v_mov_b64_e32 v[2:3], s[12:13]
	s_mov_b32 s24, s12
	s_mov_b32 s25, s12
	v_mov_b64_e32 v[8:9], s[18:19]
	s_mov_b32 s26, s12
	s_mov_b32 s27, s12
	v_mov_b64_e32 v[18:19], s[24:25]
	v_mov_b64_e32 v[4:5], s[14:15]
	;; [unrolled: 1-line block ×4, first 2 shown]
	s_mov_b64 s[22:23], 0
	v_mov_b64_e32 v[20:21], s[26:27]
	v_mov_b32_e32 v38, 0
	v_mov_b64_e32 v[14:15], v[6:7]
	v_mov_b64_e32 v[12:13], v[4:5]
	;; [unrolled: 1-line block ×3, first 2 shown]
	v_mov_b32_e32 v39, 0
                                        ; implicit-def: $sgpr24_sgpr25
                                        ; implicit-def: $vgpr40
	s_and_saveexec_b64 s[20:21], vcc
	s_cbranch_execz .LBB283_125
; %bb.82:
	ds_read_b128 v[34:37], v48 offset:2
	v_or_b32_e32 v2, 2, v41
	v_cmp_ne_u16_sdwa s[4:5], v30, v30 src0_sel:DWORD src1_sel:WORD_1
	v_cmp_gt_u32_e32 vcc, s3, v2
	v_mov_b32_e32 v19, 0
	v_cndmask_b32_e64 v3, 0, 1, s[4:5]
	s_waitcnt lgkmcnt(0)
	v_and_b32_e32 v2, 0xffff, v34
	v_lshl_or_b32 v18, v3, 16, v2
	v_mov_b64_e32 v[2:3], s[12:13]
	v_mov_b64_e32 v[8:9], s[18:19]
	;; [unrolled: 1-line block ×5, first 2 shown]
	v_mov_b32_e32 v20, v19
	v_mov_b32_e32 v21, v19
	s_mov_b64 s[4:5], 0
	v_mov_b64_e32 v[14:15], v[6:7]
	v_mov_b64_e32 v[12:13], v[4:5]
	;; [unrolled: 1-line block ×3, first 2 shown]
	v_mov_b32_e32 v38, v19
	v_mov_b32_e32 v39, v19
                                        ; implicit-def: $sgpr12_sgpr13
                                        ; implicit-def: $vgpr40
	s_and_saveexec_b64 s[22:23], vcc
	s_cbranch_execz .LBB283_124
; %bb.83:
	v_cmp_ne_u16_sdwa s[4:5], v30, v31 src0_sel:WORD_1 src1_sel:DWORD
	s_mov_b32 s12, 0
	v_or_b32_e32 v2, 3, v41
	v_cndmask_b32_e64 v3, 0, 1, s[4:5]
	s_mov_b32 s13, s12
	v_alignbit_b32 v19, v3, v34, 16
	v_cmp_gt_u32_e32 vcc, s3, v2
	s_mov_b32 s14, s12
	s_mov_b32 s15, s12
	;; [unrolled: 1-line block ×6, first 2 shown]
	v_mov_b64_e32 v[2:3], s[12:13]
	v_mov_b64_e32 v[8:9], s[18:19]
	v_mov_b32_e32 v20, 0
	v_mov_b64_e32 v[4:5], s[14:15]
	v_mov_b64_e32 v[6:7], s[16:17]
	;; [unrolled: 1-line block ×3, first 2 shown]
	v_mov_b32_e32 v21, v20
	s_mov_b64 s[4:5], 0
	v_mov_b64_e32 v[14:15], v[6:7]
	v_mov_b64_e32 v[12:13], v[4:5]
	;; [unrolled: 1-line block ×3, first 2 shown]
	v_mov_b32_e32 v38, v20
	v_mov_b32_e32 v39, v20
                                        ; implicit-def: $sgpr26_sgpr27
                                        ; implicit-def: $vgpr40
	s_and_saveexec_b64 s[24:25], vcc
	s_cbranch_execz .LBB283_123
; %bb.84:
	v_cmp_ne_u16_sdwa s[4:5], v31, v31 src0_sel:DWORD src1_sel:WORD_1
	v_and_b32_e32 v2, 0xffff, v35
	v_or_b32_e32 v3, 4, v41
	v_cndmask_b32_e64 v4, 0, 1, s[4:5]
	v_lshl_or_b32 v20, v4, 16, v2
	v_cmp_gt_u32_e32 vcc, s3, v3
	v_mov_b64_e32 v[2:3], s[12:13]
	v_mov_b64_e32 v[8:9], s[18:19]
	;; [unrolled: 1-line block ×5, first 2 shown]
	v_mov_b32_e32 v21, s12
	s_mov_b64 s[4:5], 0
	v_mov_b32_e32 v38, 0
	v_mov_b64_e32 v[14:15], v[6:7]
	v_mov_b64_e32 v[12:13], v[4:5]
	;; [unrolled: 1-line block ×3, first 2 shown]
	v_mov_b32_e32 v39, 0
                                        ; implicit-def: $sgpr12_sgpr13
                                        ; implicit-def: $vgpr40
	s_and_saveexec_b64 s[26:27], vcc
	s_cbranch_execz .LBB283_122
; %bb.85:
	v_cmp_ne_u16_sdwa s[4:5], v31, v32 src0_sel:WORD_1 src1_sel:DWORD
	s_mov_b32 s12, 0
	v_or_b32_e32 v2, 5, v41
	v_cndmask_b32_e64 v3, 0, 1, s[4:5]
	s_mov_b32 s13, s12
	v_alignbit_b32 v21, v3, v35, 16
	v_cmp_gt_u32_e32 vcc, s3, v2
	s_mov_b32 s14, s12
	s_mov_b32 s15, s12
	s_mov_b32 s16, s12
	s_mov_b32 s17, s12
	s_mov_b32 s18, s12
	s_mov_b32 s19, s12
	v_mov_b64_e32 v[2:3], s[12:13]
	v_mov_b64_e32 v[8:9], s[18:19]
	;; [unrolled: 1-line block ×5, first 2 shown]
	s_mov_b64 s[4:5], 0
	v_mov_b32_e32 v38, 0
	v_mov_b64_e32 v[14:15], v[6:7]
	v_mov_b64_e32 v[12:13], v[4:5]
	;; [unrolled: 1-line block ×3, first 2 shown]
	v_mov_b32_e32 v39, 0
                                        ; implicit-def: $sgpr30_sgpr31
                                        ; implicit-def: $vgpr40
	s_and_saveexec_b64 s[28:29], vcc
	s_cbranch_execz .LBB283_121
; %bb.86:
	v_cmp_ne_u16_sdwa s[4:5], v32, v32 src0_sel:DWORD src1_sel:WORD_1
	v_and_b32_e32 v2, 0xffff, v36
	v_or_b32_e32 v3, 6, v41
	v_cndmask_b32_e64 v4, 0, 1, s[4:5]
	v_lshl_or_b32 v38, v4, 16, v2
	v_cmp_gt_u32_e32 vcc, s3, v3
	v_mov_b64_e32 v[2:3], s[12:13]
	v_mov_b64_e32 v[8:9], s[18:19]
	;; [unrolled: 1-line block ×5, first 2 shown]
	s_mov_b64 s[4:5], 0
	v_mov_b32_e32 v39, 0
	v_mov_b64_e32 v[14:15], v[6:7]
	v_mov_b64_e32 v[12:13], v[4:5]
	;; [unrolled: 1-line block ×3, first 2 shown]
                                        ; implicit-def: $sgpr12_sgpr13
                                        ; implicit-def: $vgpr40
	s_and_saveexec_b64 s[30:31], vcc
	s_cbranch_execz .LBB283_120
; %bb.87:
	s_mov_b32 s12, 0
	v_or_b32_e32 v3, 7, v41
	v_cmp_ne_u16_sdwa s[4:5], v32, v33 src0_sel:WORD_1 src1_sel:DWORD
	s_mov_b32 s13, s12
	v_cmp_gt_u32_e32 vcc, s3, v3
	v_cndmask_b32_e64 v2, 0, 1, s[4:5]
	v_mov_b32_e32 v3, 0
	s_mov_b32 s14, s12
	s_mov_b32 s15, s12
	;; [unrolled: 1-line block ×6, first 2 shown]
	v_mov_b64_e32 v[10:11], s[12:13]
	v_alignbit_b32 v2, v2, v36, 16
	v_mov_b32_e32 v4, v3
	v_mov_b32_e32 v5, v3
	;; [unrolled: 1-line block ×6, first 2 shown]
	s_mov_b64 s[4:5], 0
	v_mov_b64_e32 v[12:13], s[14:15]
	v_mov_b64_e32 v[14:15], s[16:17]
	;; [unrolled: 1-line block ×3, first 2 shown]
	v_mov_b32_e32 v39, v3
                                        ; implicit-def: $sgpr36_sgpr37
                                        ; implicit-def: $vgpr40
	s_and_saveexec_b64 s[34:35], vcc
	s_cbranch_execz .LBB283_119
; %bb.88:
	v_add_u32_e32 v4, 8, v41
	v_cmp_ne_u16_sdwa s[4:5], v33, v33 src0_sel:DWORD src1_sel:WORD_1
	v_and_b32_e32 v3, 0xffff, v37
	v_cmp_gt_u32_e32 vcc, s3, v4
	v_cndmask_b32_e64 v5, 0, 1, s[4:5]
	v_mov_b32_e32 v4, 0
	v_mov_b64_e32 v[10:11], s[12:13]
	v_lshl_or_b32 v3, v5, 16, v3
	v_mov_b32_e32 v5, v4
	v_mov_b32_e32 v6, v4
	;; [unrolled: 1-line block ×5, first 2 shown]
	s_mov_b64 s[4:5], 0
	v_mov_b64_e32 v[12:13], s[14:15]
	v_mov_b64_e32 v[14:15], s[16:17]
	;; [unrolled: 1-line block ×3, first 2 shown]
	v_mov_b32_e32 v39, v4
                                        ; implicit-def: $sgpr12_sgpr13
                                        ; implicit-def: $vgpr40
	s_and_saveexec_b64 s[36:37], vcc
	s_cbranch_execz .LBB283_118
; %bb.89:
	s_mov_b32 s12, 0
	v_add_u32_e32 v5, 9, v41
	v_cmp_ne_u16_sdwa s[4:5], v33, v26 src0_sel:WORD_1 src1_sel:DWORD
	s_mov_b32 s13, s12
	v_cmp_gt_u32_e32 vcc, s3, v5
	v_cndmask_b32_e64 v4, 0, 1, s[4:5]
	v_mov_b32_e32 v5, 0
	s_mov_b32 s14, s12
	s_mov_b32 s15, s12
	;; [unrolled: 1-line block ×6, first 2 shown]
	v_mov_b64_e32 v[10:11], s[12:13]
	v_alignbit_b32 v4, v4, v37, 16
	v_mov_b32_e32 v6, v5
	v_mov_b32_e32 v7, v5
	v_mov_b32_e32 v8, v5
	v_mov_b32_e32 v9, v5
	s_mov_b64 s[4:5], 0
	v_mov_b64_e32 v[12:13], s[14:15]
	v_mov_b64_e32 v[14:15], s[16:17]
	;; [unrolled: 1-line block ×3, first 2 shown]
	v_mov_b32_e32 v39, v5
                                        ; implicit-def: $sgpr40_sgpr41
                                        ; implicit-def: $vgpr40
	s_and_saveexec_b64 s[38:39], vcc
	s_cbranch_execz .LBB283_117
; %bb.90:
	ds_read_b128 v[30:33], v48 offset:18
	v_add_u32_e32 v5, 10, v41
	v_cmp_ne_u16_sdwa s[4:5], v26, v26 src0_sel:DWORD src1_sel:WORD_1
	v_cmp_gt_u32_e32 vcc, s3, v5
	v_mov_b64_e32 v[10:11], s[12:13]
	v_cndmask_b32_e64 v6, 0, 1, s[4:5]
	s_waitcnt lgkmcnt(0)
	v_and_b32_e32 v5, 0xffff, v30
	v_lshl_or_b32 v5, v6, 16, v5
	v_mov_b32_e32 v6, 0
	v_mov_b32_e32 v7, v6
	;; [unrolled: 1-line block ×4, first 2 shown]
	s_mov_b64 s[4:5], 0
	v_mov_b64_e32 v[12:13], s[14:15]
	v_mov_b64_e32 v[14:15], s[16:17]
	;; [unrolled: 1-line block ×3, first 2 shown]
	v_mov_b32_e32 v39, v6
                                        ; implicit-def: $sgpr12_sgpr13
                                        ; implicit-def: $vgpr40
	s_and_saveexec_b64 s[40:41], vcc
	s_cbranch_execz .LBB283_116
; %bb.91:
	s_mov_b32 s12, 0
	v_add_u32_e32 v7, 11, v41
	v_cmp_ne_u16_sdwa s[4:5], v26, v27 src0_sel:WORD_1 src1_sel:DWORD
	s_mov_b32 s13, s12
	v_cmp_gt_u32_e32 vcc, s3, v7
	v_cndmask_b32_e64 v6, 0, 1, s[4:5]
	v_mov_b32_e32 v7, 0
	s_mov_b32 s14, s12
	s_mov_b32 s15, s12
	;; [unrolled: 1-line block ×6, first 2 shown]
	v_mov_b64_e32 v[10:11], s[12:13]
	v_alignbit_b32 v6, v6, v30, 16
	v_mov_b32_e32 v8, v7
	v_mov_b32_e32 v9, v7
	s_mov_b64 s[4:5], 0
	v_mov_b64_e32 v[12:13], s[14:15]
	v_mov_b64_e32 v[14:15], s[16:17]
	;; [unrolled: 1-line block ×3, first 2 shown]
	v_mov_b32_e32 v39, v7
                                        ; implicit-def: $sgpr44_sgpr45
                                        ; implicit-def: $vgpr40
	s_and_saveexec_b64 s[42:43], vcc
	s_cbranch_execz .LBB283_115
; %bb.92:
	v_add_u32_e32 v8, 12, v41
	v_cmp_ne_u16_sdwa s[4:5], v27, v27 src0_sel:DWORD src1_sel:WORD_1
	v_and_b32_e32 v7, 0xffff, v31
	v_cmp_gt_u32_e32 vcc, s3, v8
	v_cndmask_b32_e64 v9, 0, 1, s[4:5]
	v_mov_b32_e32 v8, 0
	v_mov_b64_e32 v[10:11], s[12:13]
	v_lshl_or_b32 v7, v9, 16, v7
	v_mov_b32_e32 v9, v8
	s_mov_b64 s[4:5], 0
	v_mov_b64_e32 v[12:13], s[14:15]
	v_mov_b64_e32 v[14:15], s[16:17]
	;; [unrolled: 1-line block ×3, first 2 shown]
	v_mov_b32_e32 v39, v8
                                        ; implicit-def: $sgpr12_sgpr13
                                        ; implicit-def: $vgpr40
	s_and_saveexec_b64 s[44:45], vcc
	s_cbranch_execz .LBB283_114
; %bb.93:
	s_mov_b32 s12, 0
	v_cmp_ne_u16_sdwa s[4:5], v27, v28 src0_sel:WORD_1 src1_sel:DWORD
	s_mov_b32 s13, s12
	v_add_u32_e32 v9, 13, v41
	v_cndmask_b32_e64 v8, 0, 1, s[4:5]
	s_mov_b32 s14, s12
	s_mov_b32 s15, s12
	;; [unrolled: 1-line block ×6, first 2 shown]
	v_mov_b64_e32 v[10:11], s[12:13]
	v_alignbit_b32 v8, v8, v31, 16
	v_cmp_gt_u32_e32 vcc, s3, v9
	v_mov_b32_e32 v9, s12
	s_mov_b64 s[4:5], 0
	v_mov_b64_e32 v[12:13], s[14:15]
	v_mov_b64_e32 v[14:15], s[16:17]
	;; [unrolled: 1-line block ×3, first 2 shown]
	v_mov_b32_e32 v39, 0
                                        ; implicit-def: $sgpr48_sgpr49
                                        ; implicit-def: $vgpr40
	s_and_saveexec_b64 s[46:47], vcc
	s_cbranch_execz .LBB283_113
; %bb.94:
	v_cmp_ne_u16_sdwa s[4:5], v28, v28 src0_sel:DWORD src1_sel:WORD_1
	v_and_b32_e32 v9, 0xffff, v32
	v_add_u32_e32 v10, 14, v41
	v_cndmask_b32_e64 v11, 0, 1, s[4:5]
	v_lshl_or_b32 v9, v11, 16, v9
	v_cmp_gt_u32_e32 vcc, s3, v10
	v_mov_b64_e32 v[10:11], s[12:13]
	s_mov_b64 s[4:5], 0
	v_mov_b64_e32 v[12:13], s[14:15]
	v_mov_b64_e32 v[14:15], s[16:17]
	;; [unrolled: 1-line block ×3, first 2 shown]
	v_mov_b32_e32 v39, 0
                                        ; implicit-def: $sgpr14_sgpr15
                                        ; implicit-def: $vgpr40
	s_and_saveexec_b64 s[12:13], vcc
	s_cbranch_execz .LBB283_112
; %bb.95:
	v_cmp_ne_u16_sdwa s[4:5], v28, v29 src0_sel:WORD_1 src1_sel:DWORD
	s_mov_b32 s80, 0
	v_add_u32_e32 v10, 15, v41
	v_cndmask_b32_e64 v11, 0, 1, s[4:5]
	s_mov_b32 s81, s80
	v_alignbit_b32 v39, v11, v32, 16
	v_cmp_gt_u32_e32 vcc, s3, v10
	s_mov_b32 s82, s80
	s_mov_b32 s83, s80
	;; [unrolled: 1-line block ×6, first 2 shown]
	v_mov_b64_e32 v[10:11], s[80:81]
	s_mov_b64 s[4:5], 0
	v_mov_b64_e32 v[12:13], s[82:83]
	v_mov_b64_e32 v[14:15], s[84:85]
	v_mov_b64_e32 v[16:17], s[86:87]
                                        ; implicit-def: $sgpr16_sgpr17
                                        ; implicit-def: $vgpr40
	s_and_saveexec_b64 s[14:15], vcc
	s_cbranch_execz .LBB283_111
; %bb.96:
	v_cmp_ne_u16_sdwa s[4:5], v29, v29 src0_sel:DWORD src1_sel:WORD_1
	v_and_b32_e32 v10, 0xffff, v33
	v_add_u32_e32 v11, 16, v41
	v_cndmask_b32_e64 v12, 0, 1, s[4:5]
	v_lshl_or_b32 v10, v12, 16, v10
	v_mov_b32_e32 v12, 0
	v_cmp_gt_u32_e32 vcc, s3, v11
	v_mov_b32_e32 v11, v12
	v_mov_b32_e32 v13, v12
	;; [unrolled: 1-line block ×6, first 2 shown]
	s_mov_b64 s[4:5], 0
                                        ; implicit-def: $sgpr18_sgpr19
                                        ; implicit-def: $vgpr40
	s_and_saveexec_b64 s[16:17], vcc
	s_cbranch_execz .LBB283_110
; %bb.97:
	v_cmp_ne_u16_sdwa s[4:5], v29, v22 src0_sel:WORD_1 src1_sel:DWORD
	v_add_u32_e32 v13, 17, v41
	v_cmp_gt_u32_e32 vcc, s3, v13
	v_cndmask_b32_e64 v11, 0, 1, s[4:5]
	v_alignbit_b32 v11, v11, v33, 16
	v_mov_b32_e32 v13, v12
	v_mov_b32_e32 v14, v12
	;; [unrolled: 1-line block ×5, first 2 shown]
	s_mov_b64 s[4:5], 0
                                        ; implicit-def: $sgpr48_sgpr49
                                        ; implicit-def: $vgpr40
	s_and_saveexec_b64 s[18:19], vcc
	s_cbranch_execz .LBB283_109
; %bb.98:
	ds_read_b96 v[26:28], v48 offset:34
	v_add_u32_e32 v12, 18, v41
	v_cmp_ne_u16_sdwa s[4:5], v22, v22 src0_sel:DWORD src1_sel:WORD_1
	v_cmp_gt_u32_e32 vcc, s3, v12
	v_mov_b32_e32 v14, 0
	v_cndmask_b32_e64 v13, 0, 1, s[4:5]
	s_waitcnt lgkmcnt(0)
	v_and_b32_e32 v12, 0xffff, v26
	v_lshl_or_b32 v12, v13, 16, v12
	v_mov_b32_e32 v13, v14
	v_mov_b32_e32 v15, v14
	;; [unrolled: 1-line block ×4, first 2 shown]
	s_mov_b64 s[4:5], 0
                                        ; implicit-def: $sgpr50_sgpr51
                                        ; implicit-def: $vgpr40
	s_and_saveexec_b64 s[48:49], vcc
	s_cbranch_execz .LBB283_108
; %bb.99:
	v_cmp_ne_u16_sdwa s[4:5], v22, v23 src0_sel:WORD_1 src1_sel:DWORD
	v_add_u32_e32 v15, 19, v41
	v_cmp_gt_u32_e32 vcc, s3, v15
	v_cndmask_b32_e64 v13, 0, 1, s[4:5]
	v_alignbit_b32 v13, v13, v26, 16
	v_mov_b32_e32 v15, v14
	v_mov_b32_e32 v16, v14
	;; [unrolled: 1-line block ×3, first 2 shown]
	s_mov_b64 s[4:5], 0
                                        ; implicit-def: $sgpr52_sgpr53
                                        ; implicit-def: $vgpr40
	s_and_saveexec_b64 s[50:51], vcc
	s_cbranch_execz .LBB283_107
; %bb.100:
	v_cmp_ne_u16_sdwa s[4:5], v23, v23 src0_sel:DWORD src1_sel:WORD_1
	v_and_b32_e32 v14, 0xffff, v27
	v_add_u32_e32 v15, 20, v41
	v_cndmask_b32_e64 v16, 0, 1, s[4:5]
	v_lshl_or_b32 v14, v16, 16, v14
	v_mov_b32_e32 v16, 0
	v_cmp_gt_u32_e32 vcc, s3, v15
	v_mov_b32_e32 v15, v16
	v_mov_b32_e32 v17, v16
	s_mov_b64 s[4:5], 0
                                        ; implicit-def: $sgpr60_sgpr61
                                        ; implicit-def: $vgpr40
	s_and_saveexec_b64 s[52:53], vcc
	s_cbranch_execz .LBB283_106
; %bb.101:
	v_cmp_ne_u16_sdwa s[4:5], v23, v24 src0_sel:WORD_1 src1_sel:DWORD
	v_add_u32_e32 v17, 21, v41
	v_cmp_gt_u32_e32 vcc, s3, v17
	v_cndmask_b32_e64 v15, 0, 1, s[4:5]
	v_alignbit_b32 v15, v15, v27, 16
	s_mov_b32 s9, 0
	v_mov_b32_e32 v17, v16
	s_mov_b64 s[4:5], 0
                                        ; implicit-def: $sgpr80_sgpr81
                                        ; implicit-def: $vgpr40
	s_and_saveexec_b64 s[60:61], vcc
	s_cbranch_execz .LBB283_105
; %bb.102:
	v_cmp_ne_u16_sdwa s[4:5], v24, v24 src0_sel:DWORD src1_sel:WORD_1
	v_and_b32_e32 v16, 0xffff, v28
	v_add_u32_e32 v17, 22, v41
	v_cndmask_b32_e64 v22, 0, 1, s[4:5]
	v_lshl_or_b32 v16, v22, 16, v16
	v_cmp_gt_u32_e32 vcc, s3, v17
	v_mov_b32_e32 v17, s9
	s_mov_b64 s[4:5], 0
                                        ; implicit-def: $sgpr80_sgpr81
                                        ; implicit-def: $vgpr40
	s_and_saveexec_b64 s[82:83], vcc
	s_xor_b64 s[82:83], exec, s[82:83]
	s_cbranch_execz .LBB283_104
; %bb.103:
	ds_read_u16 v40, v48 offset:46
	v_add_u32_e32 v22, 23, v41
	v_cmp_ne_u16_sdwa s[4:5], v24, v25 src0_sel:WORD_1 src1_sel:DWORD
	v_cmp_ne_u16_e32 vcc, v25, v49
	s_and_b64 s[80:81], vcc, exec
	v_cndmask_b32_e64 v17, 0, 1, s[4:5]
	v_cmp_gt_u32_e64 s[4:5], s3, v22
	v_alignbit_b32 v17, v17, v28, 16
	s_and_b64 s[4:5], s[4:5], exec
.LBB283_104:
	s_or_b64 exec, exec, s[82:83]
	s_and_b64 s[80:81], s[80:81], exec
	s_and_b64 s[4:5], s[4:5], exec
.LBB283_105:
	s_or_b64 exec, exec, s[60:61]
	s_and_b64 s[60:61], s[80:81], exec
	s_and_b64 s[4:5], s[4:5], exec
.LBB283_106:
	s_or_b64 exec, exec, s[52:53]
	s_and_b64 s[52:53], s[60:61], exec
	s_and_b64 s[4:5], s[4:5], exec
.LBB283_107:
	s_or_b64 exec, exec, s[50:51]
	s_and_b64 s[50:51], s[52:53], exec
	s_and_b64 s[4:5], s[4:5], exec
.LBB283_108:
	s_or_b64 exec, exec, s[48:49]
	s_and_b64 s[48:49], s[50:51], exec
	s_and_b64 s[4:5], s[4:5], exec
.LBB283_109:
	s_or_b64 exec, exec, s[18:19]
	s_and_b64 s[18:19], s[48:49], exec
	s_and_b64 s[4:5], s[4:5], exec
.LBB283_110:
	s_or_b64 exec, exec, s[16:17]
	s_and_b64 s[16:17], s[18:19], exec
	s_and_b64 s[4:5], s[4:5], exec
.LBB283_111:
	s_or_b64 exec, exec, s[14:15]
	s_and_b64 s[14:15], s[16:17], exec
	s_and_b64 s[4:5], s[4:5], exec
.LBB283_112:
	s_or_b64 exec, exec, s[12:13]
	s_and_b64 s[48:49], s[14:15], exec
	s_and_b64 s[4:5], s[4:5], exec
.LBB283_113:
	s_or_b64 exec, exec, s[46:47]
	s_and_b64 s[12:13], s[48:49], exec
	s_and_b64 s[4:5], s[4:5], exec
.LBB283_114:
	s_or_b64 exec, exec, s[44:45]
	s_and_b64 s[44:45], s[12:13], exec
	s_and_b64 s[4:5], s[4:5], exec
.LBB283_115:
	s_or_b64 exec, exec, s[42:43]
	s_and_b64 s[12:13], s[44:45], exec
	s_and_b64 s[4:5], s[4:5], exec
.LBB283_116:
	s_or_b64 exec, exec, s[40:41]
	s_and_b64 s[40:41], s[12:13], exec
	s_and_b64 s[4:5], s[4:5], exec
.LBB283_117:
	s_or_b64 exec, exec, s[38:39]
	s_and_b64 s[12:13], s[40:41], exec
	s_and_b64 s[4:5], s[4:5], exec
.LBB283_118:
	s_or_b64 exec, exec, s[36:37]
	s_and_b64 s[36:37], s[12:13], exec
	s_and_b64 s[4:5], s[4:5], exec
.LBB283_119:
	s_or_b64 exec, exec, s[34:35]
	s_and_b64 s[12:13], s[36:37], exec
	s_and_b64 s[4:5], s[4:5], exec
.LBB283_120:
	s_or_b64 exec, exec, s[30:31]
	s_and_b64 s[30:31], s[12:13], exec
	s_and_b64 s[4:5], s[4:5], exec
.LBB283_121:
	s_or_b64 exec, exec, s[28:29]
	s_and_b64 s[12:13], s[30:31], exec
	s_and_b64 s[4:5], s[4:5], exec
.LBB283_122:
	s_or_b64 exec, exec, s[26:27]
	s_and_b64 s[26:27], s[12:13], exec
	s_and_b64 s[4:5], s[4:5], exec
.LBB283_123:
	s_or_b64 exec, exec, s[24:25]
	s_and_b64 s[12:13], s[26:27], exec
	s_and_b64 s[4:5], s[4:5], exec
.LBB283_124:
	s_or_b64 exec, exec, s[22:23]
	s_and_b64 s[24:25], s[12:13], exec
	s_and_b64 s[22:23], s[4:5], exec
.LBB283_125:
	s_or_b64 exec, exec, s[20:21]
	s_and_b64 s[4:5], s[24:25], exec
	s_and_b64 s[12:13], s[22:23], exec
.LBB283_126:
	s_or_b64 exec, exec, s[10:11]
	s_and_b64 vcc, exec, s[6:7]
	v_lshlrev_b32_e32 v22, 1, v0
	s_cbranch_vccnz .LBB283_128
	s_branch .LBB283_136
.LBB283_127:
                                        ; implicit-def: $sgpr4_sgpr5
                                        ; implicit-def: $vgpr18_vgpr19_vgpr20_vgpr21
                                        ; implicit-def: $vgpr2_vgpr3_vgpr4_vgpr5_vgpr6_vgpr7_vgpr8_vgpr9
                                        ; implicit-def: $vgpr10_vgpr11_vgpr12_vgpr13_vgpr14_vgpr15_vgpr16_vgpr17
                                        ; implicit-def: $vgpr40
                                        ; implicit-def: $vgpr1
                                        ; implicit-def: $vgpr38
                                        ; implicit-def: $vgpr39
                                        ; implicit-def: $sgpr8
	s_and_b64 vcc, exec, s[6:7]
	v_lshlrev_b32_e32 v22, 1, v0
	s_cbranch_vccz .LBB283_136
.LBB283_128:
	v_mov_b32_e32 v23, 0
	v_lshl_add_u64 v[2:3], s[56:57], 0, v[22:23]
	v_add_co_u32_e32 v4, vcc, 0x1000, v2
	flat_load_ushort v1, v[2:3]
	flat_load_ushort v6, v[2:3] offset:512
	flat_load_ushort v7, v[2:3] offset:1024
	;; [unrolled: 1-line block ×7, first 2 shown]
	v_addc_co_u32_e32 v5, vcc, 0, v3, vcc
	v_add_co_u32_e32 v2, vcc, 0x2000, v2
	flat_load_ushort v13, v[4:5]
	flat_load_ushort v14, v[4:5] offset:512
	flat_load_ushort v15, v[4:5] offset:1024
	;; [unrolled: 1-line block ×7, first 2 shown]
	v_addc_co_u32_e32 v3, vcc, 0, v3, vcc
	flat_load_ushort v5, v[2:3]
	flat_load_ushort v21, v[2:3] offset:512
	flat_load_ushort v23, v[2:3] offset:1024
	;; [unrolled: 1-line block ×7, first 2 shown]
	v_mad_u32_u24 v4, v0, 46, v22
	s_cmp_eq_u64 s[78:79], 0
	s_waitcnt vmcnt(0) lgkmcnt(0)
	ds_write_b16 v22, v1
	ds_write_b16 v22, v6 offset:512
	ds_write_b16 v22, v7 offset:1024
	;; [unrolled: 1-line block ×23, first 2 shown]
	s_waitcnt lgkmcnt(0)
	s_barrier
	ds_read_b64 v[2:3], v4
	ds_read_u16 v5, v4 offset:8
	ds_read_b128 v[10:13], v4 offset:10
	ds_read_u16 v14, v4 offset:26
	ds_read_b32 v15, v4 offset:44
	ds_read2_b32 v[26:27], v4 offset0:9 offset1:10
	ds_read2_b32 v[24:25], v4 offset0:7 offset1:8
	s_cbranch_scc1 .LBB283_133
; %bb.129:
	s_andn2_b64 vcc, exec, s[76:77]
	s_cbranch_vccnz .LBB283_316
; %bb.130:
	s_lshl_b64 s[4:5], s[78:79], 1
	s_add_u32 s3, s66, s4
	s_addc_u32 s5, s67, s5
	s_add_u32 s4, s3, -2
	s_addc_u32 s5, s5, -1
	s_cbranch_execnz .LBB283_132
.LBB283_131:
	s_add_u32 s4, s56, -2
	s_addc_u32 s5, s57, -1
.LBB283_132:
	s_mov_b64 s[56:57], s[4:5]
.LBB283_133:
	v_mov_b64_e32 v[6:7], s[56:57]
	flat_load_ushort v6, v[6:7]
	s_movk_i32 s3, 0xffd2
	s_waitcnt lgkmcnt(0)
	v_lshrrev_b32_e32 v1, 16, v15
	v_mad_i32_i24 v7, v0, s3, v4
	v_cmp_ne_u32_e32 vcc, 0, v0
	ds_write_b16 v7, v1 offset:12288
	s_waitcnt lgkmcnt(0)
	s_barrier
	s_and_saveexec_b64 s[4:5], vcc
	s_cbranch_execz .LBB283_135
; %bb.134:
	s_waitcnt vmcnt(0)
	v_mul_i32_i24_e32 v6, 0xffffffd2, v0
	v_add_u32_e32 v6, v4, v6
	ds_read_u16 v6, v6 offset:12286
.LBB283_135:
	s_or_b64 exec, exec, s[4:5]
	v_mov_b32_e32 v23, 0
	v_lshl_add_u64 v[8:9], s[54:55], 0, v[22:23]
	s_movk_i32 s3, 0x1000
	v_add_co_u32_e32 v16, vcc, s3, v8
	s_movk_i32 s3, 0x2000
	s_nop 0
	v_addc_co_u32_e32 v17, vcc, 0, v9, vcc
	s_waitcnt lgkmcnt(0)
	s_barrier
	flat_load_ushort v7, v[8:9]
	flat_load_ushort v18, v[8:9] offset:512
	flat_load_ushort v19, v[8:9] offset:1024
	;; [unrolled: 1-line block ×7, first 2 shown]
	v_add_co_u32_e32 v8, vcc, s3, v8
	flat_load_ushort v30, v[16:17]
	flat_load_ushort v31, v[16:17] offset:512
	flat_load_ushort v32, v[16:17] offset:1024
	;; [unrolled: 1-line block ×7, first 2 shown]
	v_addc_co_u32_e32 v9, vcc, 0, v9, vcc
	flat_load_ushort v16, v[8:9]
	flat_load_ushort v17, v[8:9] offset:512
	flat_load_ushort v38, v[8:9] offset:1024
	;; [unrolled: 1-line block ×7, first 2 shown]
	s_waitcnt vmcnt(0)
	v_cmp_ne_u16_e32 vcc, v6, v2
	v_cmp_ne_u16_sdwa s[6:7], v3, v5 src0_sel:WORD_1 src1_sel:DWORD
	v_cmp_ne_u16_e64 s[4:5], v15, v1
	v_cndmask_b32_e64 v1, 0, 1, vcc
	v_cndmask_b32_e64 v9, 0, 1, s[6:7]
	v_cmp_ne_u16_sdwa s[6:7], v2, v3 src0_sel:WORD_1 src1_sel:DWORD
	v_cmp_ne_u16_e32 vcc, v5, v10
	s_mov_b64 s[12:13], -1
	v_cndmask_b32_e64 v44, 0, 1, s[6:7]
	v_cmp_ne_u16_sdwa s[6:7], v3, v3 src0_sel:DWORD src1_sel:WORD_1
                                        ; implicit-def: $sgpr8
	s_waitcnt lgkmcnt(0)
	ds_write_b16 v22, v7
	ds_write_b16 v22, v18 offset:512
	ds_write_b16 v22, v19 offset:1024
	ds_write_b16 v22, v20 offset:1536
	ds_write_b16 v22, v21 offset:2048
	ds_write_b16 v22, v23 offset:2560
	ds_write_b16 v22, v28 offset:3072
	ds_write_b16 v22, v29 offset:3584
	ds_write_b16 v22, v30 offset:4096
	ds_write_b16 v22, v31 offset:4608
	ds_write_b16 v22, v32 offset:5120
	ds_write_b16 v22, v33 offset:5632
	ds_write_b16 v22, v34 offset:6144
	ds_write_b16 v22, v35 offset:6656
	ds_write_b16 v22, v36 offset:7168
	ds_write_b16 v22, v37 offset:7680
	ds_write_b16 v22, v16 offset:8192
	ds_write_b16 v22, v17 offset:8704
	ds_write_b16 v22, v38 offset:9216
	ds_write_b16 v22, v39 offset:9728
	ds_write_b16 v22, v40 offset:10240
	ds_write_b16 v22, v41 offset:10752
	ds_write_b16 v22, v42 offset:11264
	ds_write_b16 v22, v43 offset:11776
	s_waitcnt lgkmcnt(0)
	s_barrier
	ds_read_b96 v[6:8], v4
	ds_read_b128 v[28:31], v4 offset:30
	ds_read_u16 v40, v4 offset:46
	ds_read2_b32 v[16:17], v4 offset0:3 offset1:4
	v_cndmask_b32_e64 v3, 0, 1, s[6:7]
	v_cmp_ne_u16_sdwa s[6:7], v2, v2 src0_sel:DWORD src1_sel:WORD_1
	s_waitcnt lgkmcnt(3)
	v_and_b32_e32 v19, 0xffff, v6
	v_and_b32_e32 v23, 0xffff, v7
	v_lshl_or_b32 v1, v1, 16, v19
	v_lshl_or_b32 v19, v44, 16, v23
	ds_read_u16 v23, v4 offset:28
	ds_read2_b32 v[32:33], v4 offset0:5 offset1:6
	v_cndmask_b32_e64 v2, 0, 1, s[6:7]
	v_cmp_ne_u16_sdwa s[6:7], v13, v13 src0_sel:DWORD src1_sel:WORD_1
	v_alignbit_b32 v18, v2, v6, 16
	v_cndmask_b32_e64 v2, 0, 1, vcc
	s_waitcnt lgkmcnt(0)
	v_and_b32_e32 v5, 0xffff, v33
	v_cndmask_b32_e64 v6, 0, 1, s[6:7]
	v_cmp_ne_u16_sdwa s[6:7], v12, v12 src0_sel:DWORD src1_sel:WORD_1
	v_and_b32_e32 v21, 0xffff, v8
	v_alignbit_b32 v38, v2, v8, 16
	v_and_b32_e32 v4, 0xffff, v32
	v_lshl_or_b32 v8, v6, 16, v5
	v_cndmask_b32_e64 v5, 0, 1, s[6:7]
	v_cmp_ne_u16_sdwa s[6:7], v11, v11 src0_sel:DWORD src1_sel:WORD_1
	v_alignbit_b32 v20, v3, v7, 16
	v_and_b32_e32 v3, 0xffff, v17
	v_lshl_or_b32 v6, v5, 16, v4
	v_cndmask_b32_e64 v4, 0, 1, s[6:7]
	v_cmp_ne_u16_sdwa s[6:7], v10, v10 src0_sel:DWORD src1_sel:WORD_1
	v_and_b32_e32 v2, 0xffff, v16
	v_lshl_or_b32 v4, v4, 16, v3
	v_cndmask_b32_e64 v3, 0, 1, s[6:7]
	v_cmp_ne_u16_sdwa s[6:7], v13, v14 src0_sel:WORD_1 src1_sel:DWORD
	v_lshl_or_b32 v2, v3, 16, v2
	v_lshl_or_b32 v21, v9, 16, v21
	v_cndmask_b32_e64 v3, 0, 1, s[6:7]
	v_cmp_ne_u16_sdwa s[6:7], v12, v13 src0_sel:WORD_1 src1_sel:DWORD
	v_alignbit_b32 v9, v3, v33, 16
	v_cmp_ne_u16_e32 vcc, v14, v24
	v_cndmask_b32_e64 v3, 0, 1, s[6:7]
	v_cmp_ne_u16_sdwa s[6:7], v11, v12 src0_sel:WORD_1 src1_sel:DWORD
	v_alignbit_b32 v7, v3, v32, 16
	v_and_b32_e32 v13, 0xffff, v31
	v_cndmask_b32_e64 v3, 0, 1, s[6:7]
	v_cmp_ne_u16_sdwa s[6:7], v10, v11 src0_sel:WORD_1 src1_sel:DWORD
	v_alignbit_b32 v5, v3, v17, 16
	v_and_b32_e32 v12, 0xffff, v30
	v_cndmask_b32_e64 v3, 0, 1, s[6:7]
	v_cmp_ne_u16_sdwa s[6:7], v27, v27 src0_sel:DWORD src1_sel:WORD_1
	v_alignbit_b32 v3, v3, v16, 16
	v_cndmask_b32_e64 v10, 0, 1, vcc
	v_cndmask_b32_e64 v14, 0, 1, s[6:7]
	v_cmp_ne_u16_sdwa s[6:7], v26, v26 src0_sel:DWORD src1_sel:WORD_1
	v_lshl_or_b32 v16, v14, 16, v13
	v_and_b32_e32 v11, 0xffff, v29
	v_cndmask_b32_e64 v13, 0, 1, s[6:7]
	v_cmp_ne_u16_sdwa s[6:7], v25, v25 src0_sel:DWORD src1_sel:WORD_1
	v_lshl_or_b32 v14, v13, 16, v12
	v_lshl_or_b32 v39, v10, 16, v23
	v_cndmask_b32_e64 v12, 0, 1, s[6:7]
	v_cmp_ne_u16_sdwa s[6:7], v24, v24 src0_sel:DWORD src1_sel:WORD_1
	v_and_b32_e32 v10, 0xffff, v28
	v_lshl_or_b32 v12, v12, 16, v11
	v_cndmask_b32_e64 v11, 0, 1, s[6:7]
	v_cmp_ne_u16_sdwa s[6:7], v27, v15 src0_sel:WORD_1 src1_sel:DWORD
	v_lshl_or_b32 v10, v11, 16, v10
	s_nop 0
	v_cndmask_b32_e64 v11, 0, 1, s[6:7]
	v_cmp_ne_u16_sdwa s[6:7], v26, v27 src0_sel:WORD_1 src1_sel:DWORD
	v_alignbit_b32 v17, v11, v31, 16
	s_nop 0
	v_cndmask_b32_e64 v11, 0, 1, s[6:7]
	v_cmp_ne_u16_sdwa s[6:7], v25, v26 src0_sel:WORD_1 src1_sel:DWORD
	v_alignbit_b32 v15, v11, v30, 16
	;; [unrolled: 4-line block ×3, first 2 shown]
	s_nop 0
	v_cndmask_b32_e64 v11, 0, 1, s[6:7]
	v_alignbit_b32 v11, v11, v28, 16
.LBB283_136:
	v_mov_b32_e32 v23, s8
	s_and_saveexec_b64 s[6:7], s[12:13]
	s_cbranch_execz .LBB283_138
; %bb.137:
	v_mov_b32_e32 v23, 0x10000
	v_cndmask_b32_e64 v23, 0, v23, s[4:5]
	s_waitcnt lgkmcnt(0)
	v_or_b32_sdwa v23, v23, v40 dst_sel:DWORD dst_unused:UNUSED_PAD src0_sel:DWORD src1_sel:WORD_0
.LBB283_138:
	s_or_b64 exec, exec, s[6:7]
	s_cmp_lg_u32 s2, 0
	v_mbcnt_lo_u32_b32 v34, -1, 0
	s_waitcnt lgkmcnt(0)
	s_barrier
	s_cbranch_scc0 .LBB283_207
; %bb.139:
	s_mov_b32 s3, 0x10000
	v_cmp_gt_u32_e64 s[52:53], s3, v18
	v_cmp_gt_u32_e64 s[4:5], s3, v19
	v_cmp_gt_u32_e64 s[6:7], s3, v20
	v_cndmask_b32_e64 v24, 1, v1, s[52:53]
	v_mul_lo_u16_e32 v24, v24, v18
	v_cndmask_b32_e64 v24, 1, v24, s[4:5]
	v_mul_lo_u16_e32 v24, v24, v19
	v_cndmask_b32_e64 v24, 1, v24, s[6:7]
	v_mul_lo_u16_e32 v24, v24, v20
	v_cmp_gt_u32_e64 s[8:9], s3, v21
	v_cmp_gt_u32_e64 s[10:11], s3, v38
	v_cmp_gt_u32_e64 s[12:13], s3, v2
	v_cndmask_b32_e64 v24, 1, v24, s[8:9]
	v_mul_lo_u16_e32 v24, v24, v21
	v_cndmask_b32_e64 v24, 1, v24, s[10:11]
	v_mul_lo_u16_e32 v24, v24, v38
	v_cndmask_b32_e64 v24, 1, v24, s[12:13]
	v_mul_lo_u16_e32 v24, v24, v2
	;; [unrolled: 9-line block ×5, first 2 shown]
	v_cmp_gt_u32_e64 s[34:35], s3, v11
	v_cmp_gt_u32_e64 s[36:37], s3, v12
	v_or3_b32 v25, v23, v17, v16
	v_cndmask_b32_e64 v24, 1, v24, s[34:35]
	v_mul_lo_u16_e32 v24, v24, v11
	v_cndmask_b32_e64 v24, 1, v24, s[36:37]
	v_mul_lo_u16_e32 v24, v24, v12
	v_cmp_gt_u32_e64 s[38:39], s3, v13
	v_or3_b32 v25, v25, v15, v14
	v_or3_b32 v25, v25, v13, v12
	v_cndmask_b32_e64 v24, 1, v24, s[38:39]
	v_mul_lo_u16_e32 v24, v24, v13
	v_cmp_gt_u32_e64 s[40:41], s3, v14
	v_or3_b32 v25, v25, v11, v10
	v_or3_b32 v25, v25, v39, v9
	v_cndmask_b32_e64 v24, 1, v24, s[40:41]
	v_mul_lo_u16_e32 v24, v24, v14
	v_cmp_gt_u32_e64 s[42:43], s3, v15
	v_or3_b32 v25, v25, v8, v7
	v_or3_b32 v25, v25, v6, v5
	v_cndmask_b32_e64 v24, 1, v24, s[42:43]
	v_mul_lo_u16_e32 v24, v24, v15
	v_cmp_gt_u32_e64 s[44:45], s3, v16
	v_or3_b32 v25, v25, v4, v3
	v_or3_b32 v25, v25, v2, v21
	v_cndmask_b32_e64 v24, 1, v24, s[44:45]
	v_mul_lo_u16_e32 v24, v24, v16
	v_cmp_gt_u32_e64 s[46:47], s3, v17
	v_or3_b32 v25, v25, v20, v19
	v_or3_b32 v25, v25, v18, v38
	v_cndmask_b32_e64 v24, 1, v24, s[46:47]
	v_mul_lo_u16_e32 v24, v24, v17
	v_cmp_gt_u32_e64 s[48:49], s3, v23
	v_and_b32_e32 v25, 0x10000, v25
	v_lshrrev_b32_e32 v35, 16, v1
	v_cndmask_b32_e64 v26, 1, v24, s[48:49]
	v_cmp_ne_u32_e32 vcc, 0, v25
	v_mul_lo_u16_e32 v24, v26, v23
	v_mbcnt_hi_u32_b32 v27, -1, v34
	v_cndmask_b32_e64 v25, v35, 1, vcc
	v_mul_lo_u16_e32 v26, v26, v23
	v_and_b32_e32 v29, 15, v27
	v_lshl_or_b32 v26, v25, 16, v26
	v_cmp_ne_u32_e32 vcc, 0, v29
	s_nop 0
	v_mov_b32_dpp v28, v26 row_shr:1 row_mask:0xf bank_mask:0xf
	s_and_saveexec_b64 s[50:51], vcc
	s_cbranch_execz .LBB283_141
; %bb.140:
	v_cmp_eq_u32_e32 vcc, 0, v25
	v_and_b32_e32 v25, 1, v25
	v_mov_b32_e32 v31, 1
	v_cndmask_b32_e32 v26, 1, v28, vcc
	v_and_b32_sdwa v28, v28, v31 dst_sel:DWORD dst_unused:UNUSED_PAD src0_sel:WORD_1 src1_sel:DWORD
	v_cmp_eq_u32_e32 vcc, 1, v25
	v_mul_lo_u16_e32 v30, v26, v24
	v_mul_lo_u16_e32 v24, v26, v24
	v_cndmask_b32_e64 v25, v28, 1, vcc
	v_lshlrev_b32_e32 v28, 16, v25
	v_or_b32_e32 v26, v28, v24
	v_mov_b32_e32 v24, v30
.LBB283_141:
	s_or_b64 exec, exec, s[50:51]
	v_lshrrev_b32_e32 v28, 16, v26
	v_mov_b32_dpp v30, v26 row_shr:2 row_mask:0xf bank_mask:0xf
	v_cmp_lt_u32_e32 vcc, 1, v29
	s_and_saveexec_b64 s[50:51], vcc
	s_cbranch_execz .LBB283_143
; %bb.142:
	v_cmp_gt_u32_e32 vcc, s3, v26
	v_and_b32_e32 v25, 0x10000, v26
	v_mov_b32_e32 v26, 1
	v_cndmask_b32_e32 v28, 1, v30, vcc
	v_and_b32_sdwa v26, v30, v26 dst_sel:DWORD dst_unused:UNUSED_PAD src0_sel:WORD_1 src1_sel:DWORD
	v_cmp_ne_u32_e32 vcc, 0, v25
	v_mul_lo_u16_e32 v31, v28, v24
	v_mul_lo_u16_e32 v24, v28, v24
	v_cndmask_b32_e64 v25, v26, 1, vcc
	v_lshlrev_b32_e32 v26, 16, v25
	v_or_b32_e32 v26, v26, v24
	v_mov_b32_e32 v28, v25
	v_mov_b32_e32 v24, v31
.LBB283_143:
	s_or_b64 exec, exec, s[50:51]
	v_mov_b32_dpp v30, v26 row_shr:4 row_mask:0xf bank_mask:0xf
	v_cmp_lt_u32_e32 vcc, 3, v29
	s_and_saveexec_b64 s[50:51], vcc
	s_cbranch_execz .LBB283_145
; %bb.144:
	v_mov_b32_e32 v25, 0
	v_cmp_eq_u16_sdwa vcc, v28, v25 src0_sel:BYTE_0 src1_sel:DWORD
	v_and_b32_e32 v25, 1, v28
	v_mov_b32_e32 v28, 1
	v_cndmask_b32_e32 v26, 1, v30, vcc
	v_and_b32_sdwa v28, v30, v28 dst_sel:DWORD dst_unused:UNUSED_PAD src0_sel:WORD_1 src1_sel:DWORD
	v_cmp_eq_u32_e32 vcc, 1, v25
	v_mul_lo_u16_e32 v31, v26, v24
	v_mul_lo_u16_e32 v24, v26, v24
	v_cndmask_b32_e64 v25, v28, 1, vcc
	v_lshlrev_b32_e32 v28, 16, v25
	v_or_b32_e32 v26, v28, v24
	v_mov_b32_e32 v28, v25
	v_mov_b32_e32 v24, v31
.LBB283_145:
	s_or_b64 exec, exec, s[50:51]
	v_mov_b32_dpp v30, v26 row_shr:8 row_mask:0xf bank_mask:0xf
	v_cmp_lt_u32_e32 vcc, 7, v29
	s_and_saveexec_b64 s[50:51], vcc
	s_cbranch_execz .LBB283_147
; %bb.146:
	v_mov_b32_e32 v25, 0
	v_cmp_eq_u16_sdwa vcc, v28, v25 src0_sel:BYTE_0 src1_sel:DWORD
	v_and_b32_e32 v25, 1, v28
	v_mov_b32_e32 v28, 1
	v_cndmask_b32_e32 v26, 1, v30, vcc
	v_and_b32_sdwa v28, v30, v28 dst_sel:DWORD dst_unused:UNUSED_PAD src0_sel:WORD_1 src1_sel:DWORD
	v_cmp_eq_u32_e32 vcc, 1, v25
	v_mul_lo_u16_e32 v29, v26, v24
	v_mul_lo_u16_e32 v24, v26, v24
	v_cndmask_b32_e64 v25, v28, 1, vcc
	v_lshlrev_b32_e32 v28, 16, v25
	v_or_b32_e32 v26, v28, v24
	v_mov_b32_e32 v28, v25
	v_mov_b32_e32 v24, v29
.LBB283_147:
	s_or_b64 exec, exec, s[50:51]
	v_and_b32_e32 v30, 16, v27
	v_mov_b32_dpp v29, v26 row_bcast:15 row_mask:0xf bank_mask:0xf
	v_cmp_ne_u32_e32 vcc, 0, v30
	s_and_saveexec_b64 s[50:51], vcc
	s_cbranch_execz .LBB283_149
; %bb.148:
	v_mov_b32_e32 v25, 0
	v_cmp_eq_u16_sdwa vcc, v28, v25 src0_sel:BYTE_0 src1_sel:DWORD
	v_and_b32_e32 v25, 1, v28
	v_mov_b32_e32 v28, 1
	v_cndmask_b32_e32 v26, 1, v29, vcc
	v_and_b32_sdwa v28, v29, v28 dst_sel:DWORD dst_unused:UNUSED_PAD src0_sel:WORD_1 src1_sel:DWORD
	v_cmp_eq_u32_e32 vcc, 1, v25
	v_mul_lo_u16_e32 v30, v26, v24
	v_mul_lo_u16_e32 v24, v26, v24
	v_cndmask_b32_e64 v25, v28, 1, vcc
	v_lshlrev_b32_e32 v28, 16, v25
	v_or_b32_e32 v26, v28, v24
	v_mov_b32_e32 v24, v30
	v_mov_b32_e32 v28, v25
.LBB283_149:
	s_or_b64 exec, exec, s[50:51]
	v_mov_b32_dpp v26, v26 row_bcast:31 row_mask:0xf bank_mask:0xf
	v_cmp_lt_u32_e32 vcc, 31, v27
	s_and_saveexec_b64 s[50:51], vcc
; %bb.150:
	v_mov_b32_e32 v25, 0
	v_cmp_eq_u16_sdwa vcc, v28, v25 src0_sel:BYTE_0 src1_sel:DWORD
	s_nop 1
	v_cndmask_b32_e32 v25, 1, v26, vcc
	v_mul_lo_u16_e32 v24, v25, v24
	v_and_b32_e32 v25, 1, v28
	v_mov_b32_e32 v28, 1
	v_and_b32_sdwa v26, v26, v28 dst_sel:DWORD dst_unused:UNUSED_PAD src0_sel:WORD_1 src1_sel:DWORD
	v_cmp_eq_u32_e32 vcc, 1, v25
	s_nop 1
	v_cndmask_b32_e64 v25, v26, 1, vcc
; %bb.151:
	s_or_b64 exec, exec, s[50:51]
	v_or_b32_e32 v28, 63, v0
	v_lshrrev_b32_e32 v26, 6, v0
	v_cmp_eq_u32_e32 vcc, v28, v0
	s_and_saveexec_b64 s[50:51], vcc
	s_cbranch_execz .LBB283_153
; %bb.152:
	v_lshlrev_b32_e32 v28, 2, v26
	ds_write_b16 v28, v24
	ds_write_b8 v28, v25 offset:2
.LBB283_153:
	s_or_b64 exec, exec, s[50:51]
	v_cmp_gt_u32_e32 vcc, 4, v0
	s_waitcnt lgkmcnt(0)
	s_barrier
	s_and_saveexec_b64 s[50:51], vcc
	s_cbranch_execz .LBB283_159
; %bb.154:
	v_lshlrev_b32_e32 v28, 2, v0
	ds_read_b32 v29, v28
	v_and_b32_e32 v32, 3, v27
	v_cmp_ne_u32_e32 vcc, 0, v32
	s_waitcnt lgkmcnt(0)
	v_lshrrev_b32_e32 v31, 16, v29
	v_mov_b32_dpp v33, v29 row_shr:1 row_mask:0xf bank_mask:0xf
	v_mov_b32_e32 v30, v29
	s_and_saveexec_b64 s[54:55], vcc
	s_cbranch_execz .LBB283_156
; %bb.155:
	v_mov_b32_e32 v30, 0
	v_cmp_eq_u16_sdwa vcc, v31, v30 src0_sel:BYTE_0 src1_sel:DWORD
	v_and_b32_e32 v31, 0x10000, v29
	v_mov_b32_e32 v40, 1
	v_cndmask_b32_e32 v37, 1, v33, vcc
	v_and_b32_sdwa v33, v33, v40 dst_sel:DWORD dst_unused:UNUSED_PAD src0_sel:WORD_1 src1_sel:DWORD
	v_cmp_ne_u32_e32 vcc, 0, v31
	v_and_b32_e32 v36, 0xff000000, v29
	v_mul_lo_u16_e32 v30, v37, v29
	v_cndmask_b32_e64 v31, v33, 1, vcc
	v_lshlrev_b32_e32 v33, 16, v31
	v_mul_lo_u16_e32 v29, v37, v29
	v_or3_b32 v29, v33, v36, v29
.LBB283_156:
	s_or_b64 exec, exec, s[54:55]
	s_nop 0
	v_mov_b32_dpp v33, v29 row_shr:2 row_mask:0xf bank_mask:0xf
	v_cmp_lt_u32_e32 vcc, 1, v32
	s_and_saveexec_b64 s[54:55], vcc
; %bb.157:
	v_and_b32_e32 v31, 0xff0000, v29
	v_cmp_eq_u32_e32 vcc, 0, v31
	v_and_b32_e32 v29, 0x10000, v29
	s_nop 0
	v_cndmask_b32_e32 v31, 1, v33, vcc
	v_mul_lo_u16_e32 v30, v31, v30
	v_mov_b32_e32 v31, 1
	v_and_b32_sdwa v31, v33, v31 dst_sel:DWORD dst_unused:UNUSED_PAD src0_sel:WORD_1 src1_sel:DWORD
	v_cmp_eq_u32_e32 vcc, 0, v29
	s_nop 1
	v_cndmask_b32_e32 v31, 1, v31, vcc
; %bb.158:
	s_or_b64 exec, exec, s[54:55]
	ds_write_b16 v28, v30
	ds_write_b8 v28, v31 offset:2
.LBB283_159:
	s_or_b64 exec, exec, s[50:51]
	v_cmp_gt_u32_e32 vcc, 64, v0
	v_cmp_lt_u32_e64 s[50:51], 63, v0
	v_mov_b32_e32 v36, 0
	v_mov_b32_e32 v37, 0
	s_waitcnt lgkmcnt(0)
	s_barrier
	s_and_saveexec_b64 s[54:55], s[50:51]
	s_cbranch_execz .LBB283_161
; %bb.160:
	v_lshl_add_u32 v26, v26, 2, -4
	ds_read_u16 v36, v26
	ds_read_u8 v37, v26 offset:2
	v_mov_b32_e32 v28, 0
	v_and_b32_e32 v29, 1, v25
	v_cmp_eq_u16_sdwa s[50:51], v25, v28 src0_sel:BYTE_0 src1_sel:DWORD
	s_waitcnt lgkmcnt(1)
	s_nop 0
	v_cndmask_b32_e64 v25, 1, v36, s[50:51]
	v_cmp_eq_u32_e64 s[50:51], 1, v29
	v_mul_lo_u16_e32 v24, v25, v24
	s_waitcnt lgkmcnt(0)
	v_cndmask_b32_e64 v25, v37, 1, s[50:51]
.LBB283_161:
	s_or_b64 exec, exec, s[54:55]
	v_and_b32_e32 v25, 0xff, v25
	v_and_b32_e32 v24, 0xffff, v24
	v_lshl_or_b32 v24, v25, 16, v24
	v_add_u32_e32 v25, -1, v27
	v_and_b32_e32 v26, 64, v27
	v_cmp_lt_i32_e64 s[50:51], v25, v26
	s_nop 1
	v_cndmask_b32_e64 v25, v25, v27, s[50:51]
	v_lshlrev_b32_e32 v25, 2, v25
	ds_bpermute_b32 v40, v25, v24
	v_cmp_eq_u32_e64 s[50:51], 0, v27
	s_and_saveexec_b64 s[54:55], vcc
	s_cbranch_execz .LBB283_204
; %bb.162:
	v_mov_b32_e32 v31, 0
	ds_read_b32 v24, v31 offset:12
	s_and_saveexec_b64 s[56:57], s[50:51]
	s_cbranch_execz .LBB283_164
; %bb.163:
	s_add_i32 s60, s2, 64
	s_mov_b32 s61, 0
	s_lshl_b64 s[60:61], s[60:61], 3
	s_add_u32 s60, s68, s60
	v_mov_b32_e32 v25, 1
	s_addc_u32 s61, s69, s61
	s_waitcnt lgkmcnt(0)
	global_store_dwordx2 v31, v[24:25], s[60:61] sc1
.LBB283_164:
	s_or_b64 exec, exec, s[56:57]
	v_xad_u32 v26, v27, -1, s2
	v_add_u32_e32 v30, 64, v26
	v_lshl_add_u64 v[32:33], v[30:31], 3, s[68:69]
	global_load_dwordx2 v[28:29], v[32:33], off sc1
	s_waitcnt vmcnt(0)
	v_cmp_eq_u16_sdwa s[60:61], v29, v31 src0_sel:BYTE_0 src1_sel:DWORD
	s_and_saveexec_b64 s[56:57], s[60:61]
	s_cbranch_execz .LBB283_168
; %bb.165:
	s_mov_b64 s[60:61], 0
	v_mov_b32_e32 v25, 0
.LBB283_166:                            ; =>This Inner Loop Header: Depth=1
	global_load_dwordx2 v[28:29], v[32:33], off sc1
	s_waitcnt vmcnt(0)
	v_cmp_ne_u16_sdwa s[66:67], v29, v25 src0_sel:BYTE_0 src1_sel:DWORD
	s_or_b64 s[60:61], s[66:67], s[60:61]
	s_andn2_b64 exec, exec, s[60:61]
	s_cbranch_execnz .LBB283_166
; %bb.167:
	s_or_b64 exec, exec, s[60:61]
.LBB283_168:
	s_or_b64 exec, exec, s[56:57]
	v_mov_b32_e32 v25, 2
	v_cmp_eq_u16_sdwa s[56:57], v29, v25 src0_sel:BYTE_0 src1_sel:DWORD
	v_lshlrev_b64 v[30:31], v27, -1
	v_and_b32_e32 v52, 0xffffff, v28
	v_and_b32_e32 v25, s57, v31
	v_or_b32_e32 v25, 0x80000000, v25
	v_ffbl_b32_e32 v25, v25
	v_add_u32_e32 v33, 32, v25
	v_and_b32_e32 v25, 63, v27
	v_cmp_ne_u32_e32 vcc, 63, v25
	v_and_b32_e32 v32, s56, v30
	v_ffbl_b32_e32 v32, v32
	v_addc_co_u32_e32 v41, vcc, 0, v27, vcc
	v_lshlrev_b32_e32 v41, 2, v41
	ds_bpermute_b32 v42, v41, v52
	v_min_u32_e32 v33, v32, v33
	v_lshrrev_b32_e32 v32, 16, v28
	v_cmp_lt_u32_e32 vcc, v25, v33
	v_bfe_u32 v50, v28, 16, 8
	s_and_saveexec_b64 s[56:57], vcc
	s_cbranch_execz .LBB283_170
; %bb.169:
	v_and_b32_e32 v32, 0xff0000, v28
	v_cmp_eq_u32_e32 vcc, 0, v32
	v_and_b32_e32 v32, 0x10000, v32
	v_mov_b32_e32 v45, 1
	s_waitcnt lgkmcnt(0)
	v_cndmask_b32_e32 v43, 1, v42, vcc
	v_and_b32_sdwa v42, v42, v45 dst_sel:DWORD dst_unused:UNUSED_PAD src0_sel:WORD_1 src1_sel:DWORD
	v_cmp_ne_u32_e32 vcc, 0, v32
	v_mul_lo_u16_e32 v44, v43, v28
	v_mul_lo_u16_e32 v28, v43, v28
	v_cndmask_b32_e64 v32, v42, 1, vcc
	v_lshlrev_b32_e32 v42, 16, v32
	v_or_b32_e32 v52, v42, v28
	v_mov_b32_e32 v28, v44
	v_mov_b32_e32 v50, v32
.LBB283_170:
	s_or_b64 exec, exec, s[56:57]
	v_cmp_gt_u32_e32 vcc, 62, v25
	v_add_u32_e32 v43, 2, v25
	s_waitcnt lgkmcnt(0)
	v_cndmask_b32_e64 v42, 0, 1, vcc
	v_lshlrev_b32_e32 v42, 1, v42
	v_add_lshl_u32 v42, v42, v27, 2
	ds_bpermute_b32 v44, v42, v52
	v_cmp_le_u32_e32 vcc, v43, v33
	s_and_saveexec_b64 s[56:57], vcc
	s_cbranch_execz .LBB283_172
; %bb.171:
	v_cmp_eq_u16_e32 vcc, 0, v50
	v_and_b32_e32 v32, 1, v50
	v_mov_b32_e32 v47, 1
	s_waitcnt lgkmcnt(0)
	v_cndmask_b32_e32 v45, 1, v44, vcc
	v_and_b32_sdwa v44, v44, v47 dst_sel:DWORD dst_unused:UNUSED_PAD src0_sel:WORD_1 src1_sel:DWORD
	v_cmp_eq_u32_e32 vcc, 1, v32
	v_mul_lo_u16_e32 v46, v45, v28
	v_mul_lo_u16_e32 v28, v45, v28
	v_cndmask_b32_e64 v32, v44, 1, vcc
	v_lshlrev_b32_e32 v44, 16, v32
	v_or_b32_e32 v52, v44, v28
	v_mov_b32_e32 v28, v46
	v_mov_b32_e32 v50, v32
.LBB283_172:
	s_or_b64 exec, exec, s[56:57]
	v_cmp_gt_u32_e32 vcc, 60, v25
	v_add_u32_e32 v45, 4, v25
	s_waitcnt lgkmcnt(0)
	v_cndmask_b32_e64 v44, 0, 1, vcc
	v_lshlrev_b32_e32 v44, 2, v44
	v_add_lshl_u32 v44, v44, v27, 2
	ds_bpermute_b32 v46, v44, v52
	v_cmp_le_u32_e32 vcc, v45, v33
	s_and_saveexec_b64 s[56:57], vcc
	s_cbranch_execz .LBB283_174
; %bb.173:
	v_cmp_eq_u16_e32 vcc, 0, v50
	v_and_b32_e32 v32, 1, v50
	v_mov_b32_e32 v49, 1
	s_waitcnt lgkmcnt(0)
	v_cndmask_b32_e32 v47, 1, v46, vcc
	v_and_b32_sdwa v46, v46, v49 dst_sel:DWORD dst_unused:UNUSED_PAD src0_sel:WORD_1 src1_sel:DWORD
	v_cmp_eq_u32_e32 vcc, 1, v32
	v_mul_lo_u16_e32 v48, v47, v28
	v_mul_lo_u16_e32 v28, v47, v28
	v_cndmask_b32_e64 v32, v46, 1, vcc
	v_lshlrev_b32_e32 v46, 16, v32
	v_or_b32_e32 v52, v46, v28
	v_mov_b32_e32 v28, v48
	v_mov_b32_e32 v50, v32
.LBB283_174:
	;; [unrolled: 27-line block ×4, first 2 shown]
	s_or_b64 exec, exec, s[56:57]
	v_cmp_gt_u32_e32 vcc, 32, v25
	s_waitcnt lgkmcnt(0)
	s_nop 0
	v_cndmask_b32_e64 v51, 0, 1, vcc
	v_lshlrev_b32_e32 v51, 5, v51
	v_add_lshl_u32 v51, v51, v27, 2
	ds_bpermute_b32 v27, v51, v52
	v_add_u32_e32 v52, 32, v25
	v_cmp_le_u32_e32 vcc, v52, v33
	s_and_saveexec_b64 s[56:57], vcc
	s_cbranch_execz .LBB283_180
; %bb.179:
	v_cmp_eq_u16_e32 vcc, 0, v50
	v_mov_b32_e32 v33, 1
	s_waitcnt lgkmcnt(0)
	v_cndmask_b32_e32 v32, 1, v27, vcc
	v_mul_lo_u16_e32 v28, v32, v28
	v_and_b32_e32 v32, 1, v50
	v_and_b32_sdwa v27, v27, v33 dst_sel:DWORD dst_unused:UNUSED_PAD src0_sel:WORD_1 src1_sel:DWORD
	v_cmp_eq_u32_e32 vcc, 1, v32
	s_nop 1
	v_cndmask_b32_e64 v32, v27, 1, vcc
.LBB283_180:
	s_or_b64 exec, exec, s[56:57]
	s_waitcnt lgkmcnt(0)
	v_mov_b32_e32 v27, 0
	v_mov_b32_e32 v54, 2
	;; [unrolled: 1-line block ×3, first 2 shown]
	s_branch .LBB283_182
.LBB283_181:                            ;   in Loop: Header=BB283_182 Depth=1
	s_or_b64 exec, exec, s[56:57]
	v_cmp_eq_u16_sdwa vcc, v50, v27 src0_sel:BYTE_0 src1_sel:DWORD
	v_and_b32_e32 v32, 1, v50
	v_and_b32_e32 v33, 1, v33
	v_cndmask_b32_e32 v28, 1, v28, vcc
	v_cmp_eq_u32_e32 vcc, 1, v32
	v_subrev_u32_e32 v26, 64, v26
	v_mul_lo_u16_e32 v28, v28, v53
	v_cndmask_b32_e64 v32, v33, 1, vcc
.LBB283_182:                            ; =>This Loop Header: Depth=1
                                        ;     Child Loop BB283_185 Depth 2
	v_cmp_ne_u16_sdwa s[56:57], v29, v54 src0_sel:BYTE_0 src1_sel:DWORD
	v_mov_b32_e32 v50, v32
	v_mov_b32_e32 v53, v28
	v_cndmask_b32_e64 v29, 0, 1, s[56:57]
	;;#ASMSTART
	;;#ASMEND
	s_nop 0
	v_cmp_ne_u32_e32 vcc, 0, v29
	s_cmp_lg_u64 vcc, exec
	s_cbranch_scc1 .LBB283_199
; %bb.183:                              ;   in Loop: Header=BB283_182 Depth=1
	v_lshl_add_u64 v[32:33], v[26:27], 3, s[68:69]
	global_load_dwordx2 v[28:29], v[32:33], off sc1
	s_waitcnt vmcnt(0)
	v_cmp_eq_u16_sdwa s[60:61], v29, v27 src0_sel:BYTE_0 src1_sel:DWORD
	s_and_saveexec_b64 s[56:57], s[60:61]
	s_cbranch_execz .LBB283_187
; %bb.184:                              ;   in Loop: Header=BB283_182 Depth=1
	s_mov_b64 s[60:61], 0
.LBB283_185:                            ;   Parent Loop BB283_182 Depth=1
                                        ; =>  This Inner Loop Header: Depth=2
	global_load_dwordx2 v[28:29], v[32:33], off sc1
	s_waitcnt vmcnt(0)
	v_cmp_ne_u16_sdwa s[66:67], v29, v27 src0_sel:BYTE_0 src1_sel:DWORD
	s_or_b64 s[60:61], s[66:67], s[60:61]
	s_andn2_b64 exec, exec, s[60:61]
	s_cbranch_execnz .LBB283_185
; %bb.186:                              ;   in Loop: Header=BB283_182 Depth=1
	s_or_b64 exec, exec, s[60:61]
.LBB283_187:                            ;   in Loop: Header=BB283_182 Depth=1
	s_or_b64 exec, exec, s[56:57]
	v_cmp_eq_u16_sdwa s[56:57], v29, v54 src0_sel:BYTE_0 src1_sel:DWORD
	s_waitcnt lgkmcnt(0)
	v_and_b32_e32 v57, 0xffffff, v28
	ds_bpermute_b32 v58, v41, v57
	v_and_b32_e32 v32, s57, v31
	v_or_b32_e32 v32, 0x80000000, v32
	v_and_b32_e32 v33, s56, v30
	v_ffbl_b32_e32 v32, v32
	v_add_u32_e32 v32, 32, v32
	v_ffbl_b32_e32 v33, v33
	v_min_u32_e32 v32, v33, v32
	v_lshrrev_b32_e32 v33, 16, v28
	v_cmp_lt_u32_e32 vcc, v25, v32
	v_bfe_u32 v56, v28, 16, 8
	s_and_saveexec_b64 s[56:57], vcc
	s_cbranch_execz .LBB283_189
; %bb.188:                              ;   in Loop: Header=BB283_182 Depth=1
	v_and_b32_e32 v33, 0xff0000, v28
	v_cmp_eq_u32_e32 vcc, 0, v33
	v_and_b32_e32 v33, 0x10000, v33
	s_waitcnt lgkmcnt(0)
	v_and_b32_sdwa v57, v58, v55 dst_sel:DWORD dst_unused:UNUSED_PAD src0_sel:WORD_1 src1_sel:DWORD
	v_cndmask_b32_e32 v56, 1, v58, vcc
	v_cmp_ne_u32_e32 vcc, 0, v33
	v_mul_lo_u16_e32 v59, v56, v28
	v_mul_lo_u16_e32 v28, v56, v28
	v_cndmask_b32_e64 v33, v57, 1, vcc
	v_lshlrev_b32_e32 v57, 16, v33
	v_or_b32_e32 v57, v57, v28
	v_mov_b32_e32 v28, v59
	v_mov_b32_e32 v56, v33
.LBB283_189:                            ;   in Loop: Header=BB283_182 Depth=1
	s_or_b64 exec, exec, s[56:57]
	s_waitcnt lgkmcnt(0)
	ds_bpermute_b32 v58, v42, v57
	v_cmp_le_u32_e32 vcc, v43, v32
	s_and_saveexec_b64 s[56:57], vcc
	s_cbranch_execz .LBB283_191
; %bb.190:                              ;   in Loop: Header=BB283_182 Depth=1
	v_cmp_eq_u16_e32 vcc, 0, v56
	v_and_b32_e32 v33, 1, v56
	s_waitcnt lgkmcnt(0)
	v_and_b32_sdwa v56, v58, v55 dst_sel:DWORD dst_unused:UNUSED_PAD src0_sel:WORD_1 src1_sel:DWORD
	v_cndmask_b32_e32 v57, 1, v58, vcc
	v_cmp_eq_u32_e32 vcc, 1, v33
	v_mul_lo_u16_e32 v59, v57, v28
	v_mul_lo_u16_e32 v28, v57, v28
	v_cndmask_b32_e64 v33, v56, 1, vcc
	v_lshlrev_b32_e32 v56, 16, v33
	v_or_b32_e32 v57, v56, v28
	v_mov_b32_e32 v28, v59
	v_mov_b32_e32 v56, v33
.LBB283_191:                            ;   in Loop: Header=BB283_182 Depth=1
	s_or_b64 exec, exec, s[56:57]
	s_waitcnt lgkmcnt(0)
	ds_bpermute_b32 v58, v44, v57
	v_cmp_le_u32_e32 vcc, v45, v32
	s_and_saveexec_b64 s[56:57], vcc
	s_cbranch_execz .LBB283_193
; %bb.192:                              ;   in Loop: Header=BB283_182 Depth=1
	v_cmp_eq_u16_e32 vcc, 0, v56
	v_and_b32_e32 v33, 1, v56
	s_waitcnt lgkmcnt(0)
	v_and_b32_sdwa v56, v58, v55 dst_sel:DWORD dst_unused:UNUSED_PAD src0_sel:WORD_1 src1_sel:DWORD
	v_cndmask_b32_e32 v57, 1, v58, vcc
	v_cmp_eq_u32_e32 vcc, 1, v33
	v_mul_lo_u16_e32 v59, v57, v28
	v_mul_lo_u16_e32 v28, v57, v28
	v_cndmask_b32_e64 v33, v56, 1, vcc
	v_lshlrev_b32_e32 v56, 16, v33
	v_or_b32_e32 v57, v56, v28
	v_mov_b32_e32 v28, v59
	v_mov_b32_e32 v56, v33
.LBB283_193:                            ;   in Loop: Header=BB283_182 Depth=1
	;; [unrolled: 21-line block ×4, first 2 shown]
	s_or_b64 exec, exec, s[56:57]
	ds_bpermute_b32 v57, v51, v57
	v_cmp_le_u32_e32 vcc, v52, v32
	s_and_saveexec_b64 s[56:57], vcc
	s_cbranch_execz .LBB283_181
; %bb.198:                              ;   in Loop: Header=BB283_182 Depth=1
	v_cmp_eq_u16_e32 vcc, 0, v56
	s_waitcnt lgkmcnt(0)
	v_lshrrev_b32_e32 v33, 16, v57
	v_cndmask_b32_e32 v32, 1, v57, vcc
	v_mul_lo_u16_e32 v28, v32, v28
	v_and_b32_e32 v32, 1, v56
	v_cmp_eq_u32_e32 vcc, 1, v32
	s_nop 1
	v_cndmask_b32_e64 v33, v33, 1, vcc
	s_branch .LBB283_181
.LBB283_199:                            ;   in Loop: Header=BB283_182 Depth=1
                                        ; implicit-def: $vgpr32
                                        ; implicit-def: $vgpr28
	s_cbranch_execz .LBB283_182
; %bb.200:
	s_and_saveexec_b64 s[56:57], s[50:51]
	s_cbranch_execz .LBB283_202
; %bb.201:
	v_and_b32_e32 v25, 0xff0000, v24
	s_mov_b32 s3, 0
	v_cmp_eq_u32_e32 vcc, 0, v25
	v_and_b32_e32 v26, 0x10000, v24
	v_mov_b32_e32 v27, 1
	s_add_i32 s2, s2, 64
	v_cndmask_b32_e32 v25, 1, v53, vcc
	v_and_b32_sdwa v27, v50, v27 dst_sel:WORD_1 dst_unused:UNUSED_PAD src0_sel:DWORD src1_sel:DWORD
	v_mov_b32_e32 v28, 0x10000
	v_cmp_eq_u32_e32 vcc, 0, v26
	s_lshl_b64 s[2:3], s[2:3], 3
	s_add_u32 s2, s68, s2
	v_cndmask_b32_e32 v26, v28, v27, vcc
	v_mul_lo_u16_e32 v24, v25, v24
	s_addc_u32 s3, s69, s3
	v_mov_b32_e32 v27, 0
	v_or_b32_e32 v24, v26, v24
	v_mov_b32_e32 v25, 2
	global_store_dwordx2 v27, v[24:25], s[2:3] sc1
.LBB283_202:
	s_or_b64 exec, exec, s[56:57]
	v_cmp_eq_u32_e32 vcc, 0, v0
	s_and_b64 exec, exec, vcc
	s_cbranch_execz .LBB283_204
; %bb.203:
	v_mov_b32_e32 v24, 0
	ds_write_b16 v24, v53 offset:12
	ds_write_b8 v24, v50 offset:14
.LBB283_204:
	s_or_b64 exec, exec, s[54:55]
	v_mov_b32_e32 v24, 0
	s_waitcnt lgkmcnt(0)
	s_barrier
	ds_read_b32 v25, v24 offset:12
	v_cmp_ne_u32_e32 vcc, 0, v0
	v_mov_b32_e32 v26, v1
	s_and_saveexec_b64 s[2:3], vcc
; %bb.205:
	v_lshrrev_b32_e32 v26, 16, v40
	v_cndmask_b32_e64 v26, v26, v37, s[50:51]
	v_and_b32_e32 v28, 0x10000, v1
	v_cndmask_b32_e64 v27, v40, v36, s[50:51]
	v_and_b32_e32 v26, 1, v26
	v_cmp_ne_u32_e32 vcc, 0, v28
	s_mov_b32 s50, 0x10000
	s_nop 0
	v_cndmask_b32_e64 v35, v26, 1, vcc
	v_cmp_gt_u32_e32 vcc, s50, v1
	s_nop 1
	v_cndmask_b32_e32 v26, 1, v27, vcc
	v_mul_lo_u16_e32 v26, v26, v1
; %bb.206:
	s_or_b64 exec, exec, s[2:3]
	v_cmp_eq_u16_sdwa vcc, v35, v24 src0_sel:BYTE_0 src1_sel:DWORD
	s_waitcnt lgkmcnt(0)
	s_nop 0
	v_cndmask_b32_e32 v24, 1, v25, vcc
	v_mul_lo_u16_e32 v50, v24, v26
	v_cndmask_b32_e64 v24, 1, v50, s[52:53]
	v_mul_lo_u16_e32 v24, v24, v18
	v_cndmask_b32_e64 v25, 1, v24, s[4:5]
	;; [unrolled: 2-line block ×23, first 2 shown]
	v_mul_lo_u16_e32 v49, v49, v23
	s_branch .LBB283_237
.LBB283_207:
                                        ; implicit-def: $vgpr50
                                        ; implicit-def: $vgpr24
                                        ; implicit-def: $vgpr25
                                        ; implicit-def: $vgpr26
                                        ; implicit-def: $vgpr27
                                        ; implicit-def: $vgpr28
                                        ; implicit-def: $vgpr29
                                        ; implicit-def: $vgpr31
                                        ; implicit-def: $vgpr30
                                        ; implicit-def: $vgpr32
                                        ; implicit-def: $vgpr33
                                        ; implicit-def: $vgpr35
                                        ; implicit-def: $vgpr36
                                        ; implicit-def: $vgpr37
                                        ; implicit-def: $vgpr40
                                        ; implicit-def: $vgpr42
                                        ; implicit-def: $vgpr41
                                        ; implicit-def: $vgpr43
                                        ; implicit-def: $vgpr44
                                        ; implicit-def: $vgpr45
                                        ; implicit-def: $vgpr46
                                        ; implicit-def: $vgpr47
                                        ; implicit-def: $vgpr48
                                        ; implicit-def: $vgpr49
	s_cbranch_execz .LBB283_237
; %bb.208:
	s_cmp_lg_u64 s[74:75], 0
	s_cselect_b32 s5, s63, 0
	s_cselect_b32 s4, s62, 0
	s_cmp_lg_u64 s[4:5], 0
	s_cselect_b64 s[6:7], -1, 0
	v_cmp_eq_u32_e32 vcc, 0, v0
	v_cmp_ne_u32_e64 s[2:3], 0, v0
	s_and_b64 s[8:9], vcc, s[6:7]
	s_and_saveexec_b64 s[6:7], s[8:9]
	s_cbranch_execz .LBB283_210
; %bb.209:
	v_mov_b32_e32 v24, 0
	global_load_ushort v25, v24, s[4:5]
	global_load_ubyte v26, v24, s[4:5] offset:2
	s_mov_b32 s4, 0x10000
	v_and_b32_e32 v24, 0x10000, v1
	v_mov_b32_e32 v27, 1
	v_cmp_gt_u32_e64 s[4:5], s4, v1
	v_mov_b32_e32 v28, 0x10000
	s_waitcnt vmcnt(0)
	v_and_b32_sdwa v26, v26, v27 dst_sel:WORD_1 dst_unused:UNUSED_PAD src0_sel:DWORD src1_sel:DWORD
	v_cndmask_b32_e64 v25, 1, v25, s[4:5]
	v_cmp_eq_u32_e64 s[4:5], 0, v24
	v_mul_lo_u16_e32 v1, v25, v1
	s_nop 0
	v_cndmask_b32_e64 v24, v28, v26, s[4:5]
	v_or_b32_e32 v1, v24, v1
.LBB283_210:
	s_or_b64 exec, exec, s[6:7]
	s_mov_b32 s50, 0x10000
	v_cmp_gt_u32_e64 s[4:5], s50, v18
	v_cmp_gt_u32_e64 s[6:7], s50, v19
	;; [unrolled: 1-line block ×3, first 2 shown]
	v_cndmask_b32_e64 v24, 1, v1, s[4:5]
	v_mul_lo_u16_e32 v24, v24, v18
	v_cndmask_b32_e64 v25, 1, v24, s[6:7]
	v_mul_lo_u16_e32 v25, v25, v19
	v_bfe_u32 v28, v19, 16, 1
	v_mov_b32_e32 v53, 1
	v_cndmask_b32_e64 v26, 1, v25, s[8:9]
	v_lshlrev_b16_e32 v28, 1, v28
	v_and_b32_sdwa v29, v18, v53 dst_sel:DWORD dst_unused:UNUSED_PAD src0_sel:WORD_1 src1_sel:DWORD
	v_mul_lo_u16_e32 v26, v26, v20
	v_cmp_gt_u32_e64 s[10:11], s50, v21
	v_or_b32_e32 v28, v29, v28
	v_bfe_u32 v29, v21, 16, 1
	v_and_b32_sdwa v30, v20, v53 dst_sel:DWORD dst_unused:UNUSED_PAD src0_sel:WORD_1 src1_sel:DWORD
	v_cndmask_b32_e64 v27, 1, v26, s[10:11]
	v_lshlrev_b16_e32 v29, 3, v29
	v_lshlrev_b16_e32 v30, 2, v30
	v_mul_lo_u16_e32 v27, v27, v21
	v_or_b32_e32 v29, v29, v30
	v_cmp_gt_u32_e64 s[12:13], s50, v38
	v_or_b32_e32 v49, v28, v29
	v_and_b32_e32 v29, 0x10000, v38
	v_cndmask_b32_e64 v28, 1, v27, s[12:13]
	v_mul_lo_u16_e32 v28, v28, v38
	v_cmp_gt_u32_e64 s[14:15], s50, v2
	v_cmp_ne_u32_e64 s[52:53], 0, v29
	v_cmp_gt_u32_e64 s[16:17], s50, v3
	v_cndmask_b32_e64 v29, 1, v28, s[14:15]
	v_mul_lo_u16_e32 v29, v29, v2
	v_cndmask_b32_e64 v30, 1, v29, s[16:17]
	v_mul_lo_u16_e32 v31, v30, v3
	v_cmp_gt_u32_e64 s[18:19], s50, v4
	v_cmp_gt_u32_e64 s[20:21], s50, v5
	;; [unrolled: 1-line block ×3, first 2 shown]
	v_cndmask_b32_e64 v30, 1, v31, s[18:19]
	v_mul_lo_u16_e32 v30, v30, v4
	v_cndmask_b32_e64 v32, 1, v30, s[20:21]
	v_mul_lo_u16_e32 v32, v32, v5
	;; [unrolled: 2-line block ×3, first 2 shown]
	v_cmp_gt_u32_e64 s[24:25], s50, v7
	v_cmp_gt_u32_e64 s[26:27], s50, v8
	;; [unrolled: 1-line block ×3, first 2 shown]
	v_cndmask_b32_e64 v35, 1, v33, s[24:25]
	v_mul_lo_u16_e32 v35, v35, v7
	v_cndmask_b32_e64 v36, 1, v35, s[26:27]
	v_mul_lo_u16_e32 v36, v36, v8
	;; [unrolled: 2-line block ×3, first 2 shown]
	v_cmp_gt_u32_e64 s[30:31], s50, v39
	v_and_b32_e32 v41, 0x10000, v39
	v_cmp_gt_u32_e64 s[34:35], s50, v10
	v_cndmask_b32_e64 v40, 1, v37, s[30:31]
	v_mul_lo_u16_e32 v40, v40, v39
	v_cmp_ne_u32_e64 s[54:55], 0, v41
	v_cndmask_b32_e64 v41, 1, v40, s[34:35]
	v_mul_lo_u16_e32 v42, v41, v10
	v_cmp_gt_u32_e64 s[36:37], s50, v11
	v_cmp_gt_u32_e64 s[38:39], s50, v12
	v_and_b32_e32 v52, 0x10000, v23
	v_cndmask_b32_e64 v41, 1, v42, s[36:37]
	v_mul_lo_u16_e32 v41, v41, v11
	v_cndmask_b32_e64 v43, 1, v41, s[38:39]
	v_mul_lo_u16_e32 v43, v43, v12
	v_cmp_gt_u32_e64 s[40:41], s50, v13
	v_cmp_ne_u32_e64 s[56:57], 0, v52
	v_or_b32_e32 v52, v16, v8
	v_or_b32_e32 v55, v17, v9
	;; [unrolled: 1-line block ×3, first 2 shown]
	v_cndmask_b32_e64 v44, 1, v43, s[40:41]
	v_or_b32_e32 v56, v14, v6
	v_or_b32_e32 v58, v12, v4
	v_or_b32_e32 v59, v13, v5
	v_or_b32_e32 v61, v11, v3
	v_bfe_u32 v57, v57, 16, 1
	v_bfe_u32 v55, v55, 16, 1
	v_and_b32_sdwa v52, v52, v53 dst_sel:DWORD dst_unused:UNUSED_PAD src0_sel:WORD_1 src1_sel:DWORD
	v_mul_lo_u16_e32 v44, v44, v13
	v_cmp_gt_u32_e64 s[42:43], s50, v14
	v_or_b32_e32 v60, v10, v2
	v_bfe_u32 v61, v61, 16, 1
	v_bfe_u32 v59, v59, 16, 1
	v_and_b32_sdwa v58, v58, v53 dst_sel:DWORD dst_unused:UNUSED_PAD src0_sel:WORD_1 src1_sel:DWORD
	v_lshlrev_b16_e32 v57, 1, v57
	v_and_b32_sdwa v56, v56, v53 dst_sel:DWORD dst_unused:UNUSED_PAD src0_sel:WORD_1 src1_sel:DWORD
	v_lshlrev_b16_e32 v55, 3, v55
	v_lshlrev_b16_e32 v52, 2, v52
	v_cndmask_b32_e64 v45, 1, v44, s[42:43]
	v_lshlrev_b16_e32 v61, 1, v61
	v_and_b32_sdwa v60, v60, v53 dst_sel:DWORD dst_unused:UNUSED_PAD src0_sel:WORD_1 src1_sel:DWORD
	v_lshlrev_b16_e32 v59, 3, v59
	v_lshlrev_b16_e32 v58, 2, v58
	v_or_b32_e32 v56, v56, v57
	v_or_b32_e32 v52, v55, v52
	v_mul_lo_u16_e32 v45, v45, v14
	v_cmp_gt_u32_e64 s[44:45], s50, v15
	v_or_b32_e32 v60, v60, v61
	v_or_b32_e32 v58, v59, v58
	;; [unrolled: 1-line block ×3, first 2 shown]
	v_cndmask_b32_e64 v46, 1, v45, s[44:45]
	v_or_b32_e32 v58, v60, v58
	v_lshlrev_b16_e32 v52, 4, v52
	v_mul_lo_u16_e32 v46, v46, v15
	v_cmp_gt_u32_e64 s[46:47], s50, v16
	v_or_b32_e32 v52, v58, v52
	v_or_b32_e32 v49, v52, v49
	v_cndmask_b32_e64 v47, 1, v46, s[46:47]
	v_mov_b32_e32 v52, 0
	v_mul_lo_u16_e32 v47, v47, v16
	v_cmp_gt_u32_e64 s[48:49], s50, v17
	v_cmp_ne_u16_sdwa s[60:61], v49, v52 src0_sel:BYTE_0 src1_sel:DWORD
	s_or_b64 s[56:57], s[56:57], s[60:61]
	v_cndmask_b32_e64 v48, 1, v47, s[48:49]
	v_mul_lo_u16_e32 v48, v48, v17
	v_cmp_gt_u32_e64 s[50:51], s50, v23
	s_or_b64 s[54:55], s[56:57], s[54:55]
	v_lshrrev_b32_e32 v50, 16, v1
	v_cndmask_b32_e64 v54, 1, v48, s[50:51]
	s_or_b64 s[52:53], s[54:55], s[52:53]
	v_cndmask_b32_e64 v52, v50, 1, s[52:53]
	v_mbcnt_hi_u32_b32 v34, -1, v34
	v_mul_lo_u16_e32 v49, v54, v23
	v_mul_lo_u16_e32 v51, v54, v23
	v_and_b32_e32 v55, 15, v34
	v_lshl_or_b32 v54, v52, 16, v49
	v_cmp_ne_u32_e64 s[52:53], 0, v55
	s_nop 0
	v_mov_b32_dpp v56, v54 row_shr:1 row_mask:0xf bank_mask:0xf
	s_and_saveexec_b64 s[54:55], s[52:53]
; %bb.211:
	v_cmp_eq_u32_e64 s[52:53], 0, v52
	v_and_b32_e32 v52, 1, v52
	v_and_b32_sdwa v53, v56, v53 dst_sel:DWORD dst_unused:UNUSED_PAD src0_sel:WORD_1 src1_sel:DWORD
	v_cndmask_b32_e64 v54, 1, v56, s[52:53]
	v_cmp_eq_u32_e64 s[52:53], 1, v52
	v_mul_lo_u16_e32 v57, v51, v54
	v_mul_lo_u16_e32 v51, v51, v54
	v_cndmask_b32_e64 v52, v53, 1, s[52:53]
	v_lshlrev_b32_e32 v53, 16, v52
	v_or_b32_e32 v54, v53, v51
	v_mov_b32_e32 v51, v57
; %bb.212:
	s_or_b64 exec, exec, s[54:55]
	v_lshrrev_b32_e32 v53, 16, v54
	v_mov_b32_dpp v56, v54 row_shr:2 row_mask:0xf bank_mask:0xf
	v_cmp_lt_u32_e64 s[52:53], 1, v55
	s_and_saveexec_b64 s[54:55], s[52:53]
	s_cbranch_execz .LBB283_214
; %bb.213:
	s_mov_b32 s52, 0x10000
	v_cmp_gt_u32_e64 s[52:53], s52, v54
	v_and_b32_e32 v52, 0x10000, v54
	v_mov_b32_e32 v54, 1
	v_cndmask_b32_e64 v53, 1, v56, s[52:53]
	v_and_b32_sdwa v54, v56, v54 dst_sel:DWORD dst_unused:UNUSED_PAD src0_sel:WORD_1 src1_sel:DWORD
	v_cmp_ne_u32_e64 s[52:53], 0, v52
	v_mul_lo_u16_e32 v57, v53, v51
	v_mul_lo_u16_e32 v51, v53, v51
	v_cndmask_b32_e64 v52, v54, 1, s[52:53]
	v_lshlrev_b32_e32 v54, 16, v52
	v_or_b32_e32 v54, v54, v51
	v_mov_b32_e32 v53, v52
	v_mov_b32_e32 v51, v57
.LBB283_214:
	s_or_b64 exec, exec, s[54:55]
	v_mov_b32_dpp v56, v54 row_shr:4 row_mask:0xf bank_mask:0xf
	v_cmp_lt_u32_e64 s[52:53], 3, v55
	s_and_saveexec_b64 s[54:55], s[52:53]
	s_cbranch_execz .LBB283_216
; %bb.215:
	v_mov_b32_e32 v52, 0
	v_cmp_eq_u16_sdwa s[52:53], v53, v52 src0_sel:BYTE_0 src1_sel:DWORD
	v_and_b32_e32 v52, 1, v53
	v_mov_b32_e32 v53, 1
	v_cndmask_b32_e64 v54, 1, v56, s[52:53]
	v_and_b32_sdwa v53, v56, v53 dst_sel:DWORD dst_unused:UNUSED_PAD src0_sel:WORD_1 src1_sel:DWORD
	v_cmp_eq_u32_e64 s[52:53], 1, v52
	v_mul_lo_u16_e32 v57, v54, v51
	v_mul_lo_u16_e32 v51, v54, v51
	v_cndmask_b32_e64 v52, v53, 1, s[52:53]
	v_lshlrev_b32_e32 v53, 16, v52
	v_or_b32_e32 v54, v53, v51
	v_mov_b32_e32 v53, v52
	v_mov_b32_e32 v51, v57
.LBB283_216:
	s_or_b64 exec, exec, s[54:55]
	v_mov_b32_dpp v56, v54 row_shr:8 row_mask:0xf bank_mask:0xf
	v_cmp_lt_u32_e64 s[52:53], 7, v55
	s_and_saveexec_b64 s[54:55], s[52:53]
	s_cbranch_execz .LBB283_218
; %bb.217:
	v_mov_b32_e32 v52, 0
	v_cmp_eq_u16_sdwa s[52:53], v53, v52 src0_sel:BYTE_0 src1_sel:DWORD
	v_and_b32_e32 v52, 1, v53
	v_mov_b32_e32 v53, 1
	v_cndmask_b32_e64 v54, 1, v56, s[52:53]
	v_and_b32_sdwa v53, v56, v53 dst_sel:DWORD dst_unused:UNUSED_PAD src0_sel:WORD_1 src1_sel:DWORD
	v_cmp_eq_u32_e64 s[52:53], 1, v52
	v_mul_lo_u16_e32 v55, v54, v51
	v_mul_lo_u16_e32 v51, v54, v51
	v_cndmask_b32_e64 v52, v53, 1, s[52:53]
	v_lshlrev_b32_e32 v53, 16, v52
	v_or_b32_e32 v54, v53, v51
	v_mov_b32_e32 v53, v52
	v_mov_b32_e32 v51, v55
.LBB283_218:
	s_or_b64 exec, exec, s[54:55]
	v_and_b32_e32 v56, 16, v34
	v_mov_b32_dpp v55, v54 row_bcast:15 row_mask:0xf bank_mask:0xf
	v_cmp_ne_u32_e64 s[52:53], 0, v56
	s_and_saveexec_b64 s[54:55], s[52:53]
	s_cbranch_execz .LBB283_220
; %bb.219:
	v_mov_b32_e32 v52, 0
	v_cmp_eq_u16_sdwa s[52:53], v53, v52 src0_sel:BYTE_0 src1_sel:DWORD
	v_and_b32_e32 v52, 1, v53
	v_mov_b32_e32 v53, 1
	v_cndmask_b32_e64 v54, 1, v55, s[52:53]
	v_and_b32_sdwa v53, v55, v53 dst_sel:DWORD dst_unused:UNUSED_PAD src0_sel:WORD_1 src1_sel:DWORD
	v_cmp_eq_u32_e64 s[52:53], 1, v52
	v_mul_lo_u16_e32 v56, v54, v51
	v_mul_lo_u16_e32 v51, v54, v51
	v_cndmask_b32_e64 v52, v53, 1, s[52:53]
	v_lshlrev_b32_e32 v53, 16, v52
	v_or_b32_e32 v54, v53, v51
	v_mov_b32_e32 v51, v56
	v_mov_b32_e32 v53, v52
.LBB283_220:
	s_or_b64 exec, exec, s[54:55]
	v_mov_b32_dpp v54, v54 row_bcast:31 row_mask:0xf bank_mask:0xf
	v_cmp_lt_u32_e64 s[52:53], 31, v34
	s_and_saveexec_b64 s[54:55], s[52:53]
; %bb.221:
	v_mov_b32_e32 v52, 0
	v_cmp_eq_u16_sdwa s[52:53], v53, v52 src0_sel:BYTE_0 src1_sel:DWORD
	s_nop 1
	v_cndmask_b32_e64 v52, 1, v54, s[52:53]
	v_mul_lo_u16_e32 v51, v52, v51
	v_and_b32_e32 v52, 1, v53
	v_mov_b32_e32 v53, 1
	v_and_b32_sdwa v53, v54, v53 dst_sel:DWORD dst_unused:UNUSED_PAD src0_sel:WORD_1 src1_sel:DWORD
	v_cmp_eq_u32_e64 s[52:53], 1, v52
	s_nop 1
	v_cndmask_b32_e64 v52, v53, 1, s[52:53]
; %bb.222:
	s_or_b64 exec, exec, s[54:55]
	v_or_b32_e32 v54, 63, v0
	v_lshrrev_b32_e32 v53, 6, v0
	v_cmp_eq_u32_e64 s[52:53], v54, v0
	s_and_saveexec_b64 s[54:55], s[52:53]
	s_cbranch_execz .LBB283_224
; %bb.223:
	v_lshlrev_b32_e32 v54, 2, v53
	ds_write_b16 v54, v51
	ds_write_b8 v54, v52 offset:2
.LBB283_224:
	s_or_b64 exec, exec, s[54:55]
	v_cmp_gt_u32_e64 s[52:53], 4, v0
	s_waitcnt lgkmcnt(0)
	s_barrier
	s_and_saveexec_b64 s[54:55], s[52:53]
	s_cbranch_execz .LBB283_230
; %bb.225:
	v_lshlrev_b32_e32 v54, 2, v0
	ds_read_b32 v55, v54
	v_and_b32_e32 v58, 3, v34
	v_cmp_ne_u32_e64 s[52:53], 0, v58
	s_waitcnt lgkmcnt(0)
	v_lshrrev_b32_e32 v57, 16, v55
	v_mov_b32_dpp v59, v55 row_shr:1 row_mask:0xf bank_mask:0xf
	v_mov_b32_e32 v56, v55
	s_and_saveexec_b64 s[56:57], s[52:53]
	s_cbranch_execz .LBB283_227
; %bb.226:
	v_mov_b32_e32 v56, 0
	v_cmp_eq_u16_sdwa s[52:53], v57, v56 src0_sel:BYTE_0 src1_sel:DWORD
	v_and_b32_e32 v57, 0x10000, v55
	v_mov_b32_e32 v62, 1
	v_cndmask_b32_e64 v61, 1, v59, s[52:53]
	v_and_b32_sdwa v59, v59, v62 dst_sel:DWORD dst_unused:UNUSED_PAD src0_sel:WORD_1 src1_sel:DWORD
	v_cmp_ne_u32_e64 s[52:53], 0, v57
	v_and_b32_e32 v60, 0xff000000, v55
	v_mul_lo_u16_e32 v56, v61, v55
	v_cndmask_b32_e64 v57, v59, 1, s[52:53]
	v_lshlrev_b32_e32 v59, 16, v57
	v_mul_lo_u16_e32 v55, v61, v55
	v_or3_b32 v55, v59, v60, v55
.LBB283_227:
	s_or_b64 exec, exec, s[56:57]
	s_nop 0
	v_mov_b32_dpp v59, v55 row_shr:2 row_mask:0xf bank_mask:0xf
	v_cmp_lt_u32_e64 s[52:53], 1, v58
	s_and_saveexec_b64 s[56:57], s[52:53]
; %bb.228:
	v_and_b32_e32 v57, 0xff0000, v55
	v_cmp_eq_u32_e64 s[52:53], 0, v57
	v_and_b32_e32 v55, 0x10000, v55
	s_nop 0
	v_cndmask_b32_e64 v57, 1, v59, s[52:53]
	v_mul_lo_u16_e32 v56, v57, v56
	v_mov_b32_e32 v57, 1
	v_and_b32_sdwa v57, v59, v57 dst_sel:DWORD dst_unused:UNUSED_PAD src0_sel:WORD_1 src1_sel:DWORD
	v_cmp_eq_u32_e64 s[52:53], 0, v55
	s_nop 1
	v_cndmask_b32_e64 v57, 1, v57, s[52:53]
; %bb.229:
	s_or_b64 exec, exec, s[56:57]
	ds_write_b16 v54, v56
	ds_write_b8 v54, v57 offset:2
.LBB283_230:
	s_or_b64 exec, exec, s[54:55]
	v_cmp_lt_u32_e64 s[52:53], 63, v0
	v_mov_b32_e32 v54, 0
	s_waitcnt lgkmcnt(0)
	s_barrier
	s_and_saveexec_b64 s[54:55], s[52:53]
	s_cbranch_execz .LBB283_232
; %bb.231:
	v_lshl_add_u32 v53, v53, 2, -4
	ds_read_u16 v54, v53
	ds_read_u8 v53, v53 offset:2
	v_mov_b32_e32 v55, 0
	v_and_b32_e32 v56, 1, v52
	v_cmp_eq_u16_sdwa s[52:53], v52, v55 src0_sel:BYTE_0 src1_sel:DWORD
	s_waitcnt lgkmcnt(1)
	s_nop 0
	v_cndmask_b32_e64 v52, 1, v54, s[52:53]
	v_cmp_eq_u32_e64 s[52:53], 1, v56
	v_mul_lo_u16_e32 v51, v52, v51
	s_waitcnt lgkmcnt(0)
	v_cndmask_b32_e64 v52, v53, 1, s[52:53]
.LBB283_232:
	s_or_b64 exec, exec, s[54:55]
	v_and_b32_e32 v52, 0xff, v52
	v_and_b32_e32 v51, 0xffff, v51
	v_lshl_or_b32 v51, v52, 16, v51
	v_add_u32_e32 v52, -1, v34
	v_and_b32_e32 v53, 64, v34
	v_cmp_lt_i32_e64 s[52:53], v52, v53
	s_nop 1
	v_cndmask_b32_e64 v52, v52, v34, s[52:53]
	v_lshlrev_b32_e32 v52, 2, v52
	ds_bpermute_b32 v51, v52, v51
	s_and_saveexec_b64 s[52:53], s[2:3]
	s_cbranch_execz .LBB283_234
; %bb.233:
	v_cmp_eq_u32_e64 s[2:3], 0, v34
	v_and_b32_e32 v25, 0xff0000, v1
	v_mov_b32_e32 v50, 0
	s_waitcnt lgkmcnt(0)
	v_cndmask_b32_e64 v24, v51, v54, s[2:3]
	v_and_b32_e32 v24, 0xffff, v24
	v_cmp_eq_u32_e64 s[2:3], 0, v25
	;;#ASMSTART
	;;#ASMEND
	s_nop 1
	v_cndmask_b32_e64 v24, 1, v24, s[2:3]
	v_mul_lo_u32 v1, v24, v1
	v_cndmask_b32_e64 v24, 1, v1, s[4:5]
	v_mul_lo_u16_e32 v24, v24, v18
	v_cndmask_b32_e64 v18, 1, v24, s[6:7]
	v_mul_lo_u16_e32 v25, v18, v19
	;; [unrolled: 2-line block ×23, first 2 shown]
.LBB283_234:
	s_or_b64 exec, exec, s[52:53]
	s_and_saveexec_b64 s[2:3], vcc
	s_cbranch_execz .LBB283_236
; %bb.235:
	v_mov_b32_e32 v4, 0
	ds_read_u8 v2, v4 offset:14
	ds_read_u16 v3, v4 offset:12
	s_waitcnt lgkmcnt(1)
	v_lshlrev_b32_e32 v2, 16, v2
	s_waitcnt lgkmcnt(0)
	v_or_b32_e32 v2, v2, v3
	v_mov_b32_e32 v3, 2
	global_store_dwordx2 v4, v[2:3], s[68:69] offset:512 sc1
.LBB283_236:
	s_or_b64 exec, exec, s[2:3]
	v_lshl_or_b32 v50, v50, 16, v1
.LBB283_237:
	s_add_u32 s2, s58, s72
	s_addc_u32 s3, s59, s73
	s_add_u32 s2, s2, s64
	s_addc_u32 s3, s3, s65
	s_and_b64 vcc, exec, s[0:1]
	v_mul_u32_u24_e32 v4, 24, v0
	s_cbranch_vccz .LBB283_287
; %bb.238:
	s_add_i32 s33, s33, s70
	v_cmp_le_u32_e32 vcc, s33, v4
	v_or_b32_e32 v8, 1, v4
	v_or_b32_e32 v7, 2, v4
	;; [unrolled: 1-line block ×7, first 2 shown]
	s_and_saveexec_b64 s[0:1], vcc
	s_xor_b64 s[0:1], exec, s[0:1]
; %bb.239:
	v_or_b32_e32 v8, 1, v4
	v_or_b32_e32 v7, 2, v4
	;; [unrolled: 1-line block ×7, first 2 shown]
; %bb.240:
	s_andn2_saveexec_b64 s[0:1], s[0:1]
	s_or_b64 exec, exec, s[0:1]
	v_lshlrev_b32_e32 v39, 1, v4
	v_lshlrev_b32_e32 v8, 1, v8
	;; [unrolled: 1-line block ×4, first 2 shown]
	s_mov_b32 s0, 0x5040100
	s_waitcnt lgkmcnt(0)
	s_barrier
	ds_write_b16 v39, v50
	ds_write_b16 v8, v24
	;; [unrolled: 1-line block ×4, first 2 shown]
	v_lshlrev_b32_e32 v5, 1, v5
	v_lshlrev_b32_e32 v3, 1, v3
	;; [unrolled: 1-line block ×4, first 2 shown]
	v_perm_b32 v9, v42, v40, s0
	v_perm_b32 v8, v37, v36, s0
	;; [unrolled: 1-line block ×4, first 2 shown]
	ds_write_b16 v5, v27
	ds_write_b16 v3, v28
	;; [unrolled: 1-line block ×4, first 2 shown]
	ds_write_b128 v39, v[6:9] offset:16
	v_perm_b32 v9, v49, v48, s0
	v_perm_b32 v8, v47, v46, s0
	;; [unrolled: 1-line block ×4, first 2 shown]
	s_movk_i32 s0, 0xffd2
	v_mad_i32_i24 v2, v0, s0, v39
	ds_write_b128 v39, v[6:9] offset:32
	s_waitcnt lgkmcnt(0)
	s_barrier
	ds_read_u16 v53, v2 offset:512
	ds_read_u16 v52, v2 offset:1024
	;; [unrolled: 1-line block ×23, first 2 shown]
	v_mov_b32_e32 v23, 0
	v_lshl_add_u64 v[2:3], s[2:3], 0, v[22:23]
	v_cmp_gt_u32_e32 vcc, s33, v0
	s_and_saveexec_b64 s[0:1], vcc
	s_cbranch_execz .LBB283_242
; %bb.241:
	v_mul_i32_i24_e32 v54, 0xffffffd2, v0
	v_add_u32_e32 v39, v39, v54
	ds_read_u16 v39, v39
	s_waitcnt lgkmcnt(0)
	flat_store_short v[2:3], v39
.LBB283_242:
	s_or_b64 exec, exec, s[0:1]
	v_or_b32_e32 v39, 0x100, v0
	v_cmp_gt_u32_e32 vcc, s33, v39
	s_and_saveexec_b64 s[0:1], vcc
	s_cbranch_execz .LBB283_244
; %bb.243:
	s_waitcnt lgkmcnt(0)
	flat_store_short v[2:3], v53 offset:512
.LBB283_244:
	s_or_b64 exec, exec, s[0:1]
	v_or_b32_e32 v39, 0x200, v0
	v_cmp_gt_u32_e32 vcc, s33, v39
	s_and_saveexec_b64 s[0:1], vcc
	s_cbranch_execz .LBB283_246
; %bb.245:
	s_waitcnt lgkmcnt(0)
	flat_store_short v[2:3], v52 offset:1024
.LBB283_246:
	s_or_b64 exec, exec, s[0:1]
	v_or_b32_e32 v39, 0x300, v0
	v_cmp_gt_u32_e32 vcc, s33, v39
	s_and_saveexec_b64 s[0:1], vcc
	s_cbranch_execz .LBB283_248
; %bb.247:
	s_waitcnt lgkmcnt(0)
	flat_store_short v[2:3], v51 offset:1536
.LBB283_248:
	s_or_b64 exec, exec, s[0:1]
	v_or_b32_e32 v39, 0x400, v0
	v_cmp_gt_u32_e32 vcc, s33, v39
	s_and_saveexec_b64 s[0:1], vcc
	s_cbranch_execz .LBB283_250
; %bb.249:
	s_waitcnt lgkmcnt(0)
	flat_store_short v[2:3], v38 offset:2048
.LBB283_250:
	s_or_b64 exec, exec, s[0:1]
	s_waitcnt lgkmcnt(0)
	v_or_b32_e32 v38, 0x500, v0
	v_cmp_gt_u32_e32 vcc, s33, v38
	s_and_saveexec_b64 s[0:1], vcc
	s_cbranch_execz .LBB283_252
; %bb.251:
	flat_store_short v[2:3], v34 offset:2560
.LBB283_252:
	s_or_b64 exec, exec, s[0:1]
	v_or_b32_e32 v34, 0x600, v0
	v_cmp_gt_u32_e32 vcc, s33, v34
	s_and_saveexec_b64 s[0:1], vcc
	s_cbranch_execz .LBB283_254
; %bb.253:
	flat_store_short v[2:3], v21 offset:3072
.LBB283_254:
	s_or_b64 exec, exec, s[0:1]
	;; [unrolled: 8-line block ×3, first 2 shown]
	v_or_b32_e32 v20, 0x800, v0
	v_cmp_gt_u32_e32 vcc, s33, v20
	s_and_saveexec_b64 s[0:1], vcc
	s_cbranch_execz .LBB283_258
; %bb.257:
	v_add_co_u32_e32 v20, vcc, 0x1000, v2
	s_nop 1
	v_addc_co_u32_e32 v21, vcc, 0, v3, vcc
	flat_store_short v[20:21], v19
.LBB283_258:
	s_or_b64 exec, exec, s[0:1]
	v_or_b32_e32 v19, 0x900, v0
	v_cmp_gt_u32_e32 vcc, s33, v19
	s_and_saveexec_b64 s[0:1], vcc
	s_cbranch_execz .LBB283_260
; %bb.259:
	v_add_co_u32_e32 v20, vcc, 0x1000, v2
	s_nop 1
	v_addc_co_u32_e32 v21, vcc, 0, v3, vcc
	flat_store_short v[20:21], v18 offset:512
.LBB283_260:
	s_or_b64 exec, exec, s[0:1]
	v_or_b32_e32 v18, 0xa00, v0
	v_cmp_gt_u32_e32 vcc, s33, v18
	s_and_saveexec_b64 s[0:1], vcc
	s_cbranch_execz .LBB283_262
; %bb.261:
	v_add_co_u32_e32 v18, vcc, 0x1000, v2
	s_nop 1
	v_addc_co_u32_e32 v19, vcc, 0, v3, vcc
	flat_store_short v[18:19], v17 offset:1024
.LBB283_262:
	;; [unrolled: 11-line block ×7, first 2 shown]
	s_or_b64 exec, exec, s[0:1]
	v_or_b32_e32 v12, 0x1000, v0
	v_cmp_gt_u32_e32 vcc, s33, v12
	s_and_saveexec_b64 s[0:1], vcc
	s_cbranch_execz .LBB283_274
; %bb.273:
	v_add_co_u32_e32 v12, vcc, 0x2000, v2
	s_nop 1
	v_addc_co_u32_e32 v13, vcc, 0, v3, vcc
	flat_store_short v[12:13], v11
.LBB283_274:
	s_or_b64 exec, exec, s[0:1]
	v_or_b32_e32 v11, 0x1100, v0
	v_cmp_gt_u32_e32 vcc, s33, v11
	s_and_saveexec_b64 s[0:1], vcc
	s_cbranch_execz .LBB283_276
; %bb.275:
	v_add_co_u32_e32 v12, vcc, 0x2000, v2
	s_nop 1
	v_addc_co_u32_e32 v13, vcc, 0, v3, vcc
	flat_store_short v[12:13], v10 offset:512
.LBB283_276:
	s_or_b64 exec, exec, s[0:1]
	v_or_b32_e32 v10, 0x1200, v0
	v_cmp_gt_u32_e32 vcc, s33, v10
	s_and_saveexec_b64 s[0:1], vcc
	s_cbranch_execz .LBB283_278
; %bb.277:
	v_add_co_u32_e32 v10, vcc, 0x2000, v2
	s_nop 1
	v_addc_co_u32_e32 v11, vcc, 0, v3, vcc
	flat_store_short v[10:11], v9 offset:1024
.LBB283_278:
	;; [unrolled: 11-line block ×6, first 2 shown]
	s_or_b64 exec, exec, s[0:1]
	v_or_b32_e32 v2, 0x1700, v0
	v_mov_b32_e32 v1, v23
	v_cmp_gt_u32_e64 s[0:1], s33, v2
	s_branch .LBB283_289
.LBB283_287:
	s_mov_b64 s[0:1], 0
                                        ; implicit-def: $vgpr5
	s_cbranch_execz .LBB283_289
; %bb.288:
	s_mov_b32 s4, 0x5040100
	v_lshlrev_b32_e32 v6, 1, v4
	v_perm_b32 v5, v31, v29, s4
	v_perm_b32 v4, v28, v27, s4
	;; [unrolled: 1-line block ×4, first 2 shown]
	s_waitcnt lgkmcnt(0)
	s_barrier
	ds_write_b128 v6, v[2:5]
	v_perm_b32 v5, v42, v40, s4
	v_perm_b32 v4, v37, v36, s4
	;; [unrolled: 1-line block ×4, first 2 shown]
	ds_write_b128 v6, v[2:5] offset:16
	v_perm_b32 v4, v47, v46, s4
	v_perm_b32 v3, v45, v44, s4
	;; [unrolled: 1-line block ×4, first 2 shown]
	v_mov_b32_e32 v1, 0
	s_movk_i32 s4, 0xffd2
	ds_write_b128 v6, v[2:5] offset:32
	v_mad_i32_i24 v2, v0, s4, v6
	v_mov_b32_e32 v23, v1
	s_waitcnt lgkmcnt(0)
	s_barrier
	ds_read_u16 v4, v2
	ds_read_u16 v6, v2 offset:512
	ds_read_u16 v7, v2 offset:1024
	;; [unrolled: 1-line block ×23, first 2 shown]
	v_lshl_add_u64 v[2:3], s[2:3], 0, v[22:23]
	s_movk_i32 s4, 0x1000
	s_waitcnt lgkmcnt(0)
	flat_store_short v[2:3], v4
	flat_store_short v[2:3], v6 offset:512
	flat_store_short v[2:3], v7 offset:1024
	;; [unrolled: 1-line block ×7, first 2 shown]
	v_add_co_u32_e32 v6, vcc, s4, v2
	s_or_b64 s[0:1], s[0:1], exec
	s_nop 0
	v_addc_co_u32_e32 v7, vcc, 0, v3, vcc
	v_add_co_u32_e32 v2, vcc, 0x2000, v2
	flat_store_short v[6:7], v13
	flat_store_short v[6:7], v14 offset:512
	flat_store_short v[6:7], v15 offset:1024
	;; [unrolled: 1-line block ×7, first 2 shown]
	v_addc_co_u32_e32 v3, vcc, 0, v3, vcc
	flat_store_short v[2:3], v21
	flat_store_short v[2:3], v24 offset:512
	flat_store_short v[2:3], v25 offset:1024
	;; [unrolled: 1-line block ×6, first 2 shown]
.LBB283_289:
	s_and_saveexec_b64 s[4:5], s[0:1]
	s_cbranch_execnz .LBB283_291
; %bb.290:
	s_endpgm
.LBB283_291:
	v_lshl_add_u64 v[0:1], v[0:1], 1, s[2:3]
	v_add_co_u32_e32 v0, vcc, 0x2000, v0
	s_nop 1
	v_addc_co_u32_e32 v1, vcc, 0, v1, vcc
	flat_store_short v[0:1], v5 offset:3584
	s_endpgm
.LBB283_292:
	v_lshl_add_u64 v[52:53], s[54:55], 0, v[36:37]
	flat_load_ushort v1, v[52:53]
	s_or_b64 exec, exec, s[60:61]
                                        ; implicit-def: $vgpr51
	s_and_saveexec_b64 s[52:53], s[4:5]
	s_cbranch_execz .LBB283_57
.LBB283_293:
	v_mov_b32_e32 v37, 0
	v_lshl_add_u64 v[52:53], s[54:55], 0, v[36:37]
	flat_load_ushort v51, v[52:53] offset:512
	s_or_b64 exec, exec, s[52:53]
                                        ; implicit-def: $vgpr52
	s_and_saveexec_b64 s[4:5], s[6:7]
	s_cbranch_execz .LBB283_58
.LBB283_294:
	v_mov_b32_e32 v37, 0
	v_lshl_add_u64 v[52:53], s[54:55], 0, v[36:37]
	flat_load_ushort v52, v[52:53] offset:1024
	s_or_b64 exec, exec, s[4:5]
                                        ; implicit-def: $vgpr53
	s_and_saveexec_b64 s[4:5], s[8:9]
	s_cbranch_execz .LBB283_59
.LBB283_295:
	v_mov_b32_e32 v37, 0
	v_lshl_add_u64 v[54:55], s[54:55], 0, v[36:37]
	flat_load_ushort v53, v[54:55] offset:1536
	s_or_b64 exec, exec, s[4:5]
                                        ; implicit-def: $vgpr54
	s_and_saveexec_b64 s[4:5], s[10:11]
	s_cbranch_execz .LBB283_60
.LBB283_296:
	v_mov_b32_e32 v37, 0
	v_lshl_add_u64 v[54:55], s[54:55], 0, v[36:37]
	flat_load_ushort v54, v[54:55] offset:2048
	s_or_b64 exec, exec, s[4:5]
                                        ; implicit-def: $vgpr55
	s_and_saveexec_b64 s[4:5], s[12:13]
	s_cbranch_execz .LBB283_61
.LBB283_297:
	v_mov_b32_e32 v37, 0
	v_lshl_add_u64 v[56:57], s[54:55], 0, v[36:37]
	flat_load_ushort v55, v[56:57] offset:2560
	s_or_b64 exec, exec, s[4:5]
                                        ; implicit-def: $vgpr56
	s_and_saveexec_b64 s[4:5], s[14:15]
	s_cbranch_execz .LBB283_62
.LBB283_298:
	v_mov_b32_e32 v37, 0
	v_lshl_add_u64 v[56:57], s[54:55], 0, v[36:37]
	flat_load_ushort v56, v[56:57] offset:3072
	s_or_b64 exec, exec, s[4:5]
                                        ; implicit-def: $vgpr37
	s_and_saveexec_b64 s[4:5], s[16:17]
	s_cbranch_execz .LBB283_63
.LBB283_299:
	v_mov_b32_e32 v37, 0
	v_lshl_add_u64 v[58:59], s[54:55], 0, v[36:37]
	flat_load_ushort v37, v[58:59] offset:3584
	s_or_b64 exec, exec, s[4:5]
                                        ; implicit-def: $vgpr3
	s_and_saveexec_b64 s[4:5], s[18:19]
	s_cbranch_execz .LBB283_64
.LBB283_300:
	v_mov_b32_e32 v3, 0
	v_lshl_add_u64 v[2:3], s[54:55], 0, v[2:3]
	flat_load_ushort v3, v[2:3]
	s_or_b64 exec, exec, s[4:5]
                                        ; implicit-def: $vgpr2
	s_and_saveexec_b64 s[4:5], s[20:21]
	s_cbranch_execz .LBB283_65
.LBB283_301:
	v_mov_b32_e32 v5, 0
	v_lshl_add_u64 v[4:5], s[54:55], 0, v[4:5]
	flat_load_ushort v2, v[4:5]
	s_or_b64 exec, exec, s[4:5]
                                        ; implicit-def: $vgpr4
	s_and_saveexec_b64 s[4:5], s[22:23]
	s_cbranch_execz .LBB283_66
.LBB283_302:
	v_mov_b32_e32 v7, 0
	v_lshl_add_u64 v[4:5], s[54:55], 0, v[6:7]
	flat_load_ushort v4, v[4:5]
	s_or_b64 exec, exec, s[4:5]
                                        ; implicit-def: $vgpr5
	s_and_saveexec_b64 s[4:5], s[24:25]
	s_cbranch_execz .LBB283_67
.LBB283_303:
	v_mov_b32_e32 v9, 0
	v_lshl_add_u64 v[6:7], s[54:55], 0, v[8:9]
	flat_load_ushort v5, v[6:7]
	s_or_b64 exec, exec, s[4:5]
                                        ; implicit-def: $vgpr6
	s_and_saveexec_b64 s[4:5], s[26:27]
	s_cbranch_execz .LBB283_68
.LBB283_304:
	v_mov_b32_e32 v11, 0
	v_lshl_add_u64 v[6:7], s[54:55], 0, v[10:11]
	flat_load_ushort v6, v[6:7]
	s_or_b64 exec, exec, s[4:5]
                                        ; implicit-def: $vgpr7
	s_and_saveexec_b64 s[4:5], s[28:29]
	s_cbranch_execz .LBB283_69
.LBB283_305:
	v_mov_b32_e32 v13, 0
	v_lshl_add_u64 v[8:9], s[54:55], 0, v[12:13]
	flat_load_ushort v7, v[8:9]
	s_or_b64 exec, exec, s[4:5]
                                        ; implicit-def: $vgpr8
	s_and_saveexec_b64 s[4:5], s[30:31]
	s_cbranch_execz .LBB283_70
.LBB283_306:
	v_mov_b32_e32 v15, 0
	v_lshl_add_u64 v[8:9], s[54:55], 0, v[14:15]
	flat_load_ushort v8, v[8:9]
	s_or_b64 exec, exec, s[4:5]
                                        ; implicit-def: $vgpr9
	s_and_saveexec_b64 s[4:5], s[34:35]
	s_cbranch_execz .LBB283_71
.LBB283_307:
	v_mov_b32_e32 v17, 0
	v_lshl_add_u64 v[10:11], s[54:55], 0, v[16:17]
	flat_load_ushort v9, v[10:11]
	s_or_b64 exec, exec, s[4:5]
                                        ; implicit-def: $vgpr10
	s_and_saveexec_b64 s[4:5], s[36:37]
	s_cbranch_execz .LBB283_72
.LBB283_308:
	v_mov_b32_e32 v19, 0
	v_lshl_add_u64 v[10:11], s[54:55], 0, v[18:19]
	flat_load_ushort v10, v[10:11]
	s_or_b64 exec, exec, s[4:5]
                                        ; implicit-def: $vgpr11
	s_and_saveexec_b64 s[4:5], s[38:39]
	s_cbranch_execz .LBB283_73
.LBB283_309:
	v_mov_b32_e32 v21, 0
	v_lshl_add_u64 v[12:13], s[54:55], 0, v[20:21]
	flat_load_ushort v11, v[12:13]
	s_or_b64 exec, exec, s[4:5]
                                        ; implicit-def: $vgpr12
	s_and_saveexec_b64 s[4:5], s[40:41]
	s_cbranch_execz .LBB283_74
.LBB283_310:
	v_mov_b32_e32 v35, 0
	v_lshl_add_u64 v[12:13], s[54:55], 0, v[34:35]
	flat_load_ushort v12, v[12:13]
	s_or_b64 exec, exec, s[4:5]
                                        ; implicit-def: $vgpr13
	s_and_saveexec_b64 s[4:5], s[42:43]
	s_cbranch_execz .LBB283_75
.LBB283_311:
	v_mov_b32_e32 v39, 0
	v_lshl_add_u64 v[14:15], s[54:55], 0, v[38:39]
	flat_load_ushort v13, v[14:15]
	s_or_b64 exec, exec, s[4:5]
                                        ; implicit-def: $vgpr14
	s_and_saveexec_b64 s[4:5], s[44:45]
	s_cbranch_execz .LBB283_76
.LBB283_312:
	v_mov_b32_e32 v41, 0
	v_lshl_add_u64 v[14:15], s[54:55], 0, v[40:41]
	flat_load_ushort v14, v[14:15]
	s_or_b64 exec, exec, s[4:5]
                                        ; implicit-def: $vgpr15
	s_and_saveexec_b64 s[4:5], s[46:47]
	s_cbranch_execz .LBB283_77
.LBB283_313:
	v_mov_b32_e32 v43, 0
	v_lshl_add_u64 v[16:17], s[54:55], 0, v[42:43]
	flat_load_ushort v15, v[16:17]
	s_or_b64 exec, exec, s[4:5]
                                        ; implicit-def: $vgpr16
	s_and_saveexec_b64 s[4:5], s[48:49]
	s_cbranch_execz .LBB283_78
.LBB283_314:
	v_mov_b32_e32 v45, 0
	v_lshl_add_u64 v[16:17], s[54:55], 0, v[44:45]
	flat_load_ushort v16, v[16:17]
	s_or_b64 exec, exec, s[4:5]
                                        ; implicit-def: $vgpr17
	s_and_saveexec_b64 s[4:5], s[50:51]
	s_cbranch_execnz .LBB283_79
	s_branch .LBB283_80
.LBB283_315:
                                        ; implicit-def: $sgpr60_sgpr61
	s_branch .LBB283_52
.LBB283_316:
                                        ; implicit-def: $sgpr4_sgpr5
	s_branch .LBB283_131
	.section	.rodata,"a",@progbits
	.p2align	6, 0x0
	.amdhsa_kernel _ZN7rocprim17ROCPRIM_400000_NS6detail17trampoline_kernelINS0_14default_configENS1_27scan_by_key_config_selectorIssEEZZNS1_16scan_by_key_implILNS1_25lookback_scan_determinismE0ELb0ES3_N6thrust23THRUST_200600_302600_NS6detail15normal_iteratorINS9_10device_ptrIsEEEESE_SE_sNS9_10multipliesIsEENS9_8equal_toIsEEsEE10hipError_tPvRmT2_T3_T4_T5_mT6_T7_P12ihipStream_tbENKUlT_T0_E_clISt17integral_constantIbLb0EESZ_EEDaSU_SV_EUlSU_E_NS1_11comp_targetILNS1_3genE5ELNS1_11target_archE942ELNS1_3gpuE9ELNS1_3repE0EEENS1_30default_config_static_selectorELNS0_4arch9wavefront6targetE1EEEvT1_
		.amdhsa_group_segment_fixed_size 13312
		.amdhsa_private_segment_fixed_size 0
		.amdhsa_kernarg_size 112
		.amdhsa_user_sgpr_count 2
		.amdhsa_user_sgpr_dispatch_ptr 0
		.amdhsa_user_sgpr_queue_ptr 0
		.amdhsa_user_sgpr_kernarg_segment_ptr 1
		.amdhsa_user_sgpr_dispatch_id 0
		.amdhsa_user_sgpr_kernarg_preload_length 0
		.amdhsa_user_sgpr_kernarg_preload_offset 0
		.amdhsa_user_sgpr_private_segment_size 0
		.amdhsa_uses_dynamic_stack 0
		.amdhsa_enable_private_segment 0
		.amdhsa_system_sgpr_workgroup_id_x 1
		.amdhsa_system_sgpr_workgroup_id_y 0
		.amdhsa_system_sgpr_workgroup_id_z 0
		.amdhsa_system_sgpr_workgroup_info 0
		.amdhsa_system_vgpr_workitem_id 0
		.amdhsa_next_free_vgpr 63
		.amdhsa_next_free_sgpr 88
		.amdhsa_accum_offset 64
		.amdhsa_reserve_vcc 1
		.amdhsa_float_round_mode_32 0
		.amdhsa_float_round_mode_16_64 0
		.amdhsa_float_denorm_mode_32 3
		.amdhsa_float_denorm_mode_16_64 3
		.amdhsa_dx10_clamp 1
		.amdhsa_ieee_mode 1
		.amdhsa_fp16_overflow 0
		.amdhsa_tg_split 0
		.amdhsa_exception_fp_ieee_invalid_op 0
		.amdhsa_exception_fp_denorm_src 0
		.amdhsa_exception_fp_ieee_div_zero 0
		.amdhsa_exception_fp_ieee_overflow 0
		.amdhsa_exception_fp_ieee_underflow 0
		.amdhsa_exception_fp_ieee_inexact 0
		.amdhsa_exception_int_div_zero 0
	.end_amdhsa_kernel
	.section	.text._ZN7rocprim17ROCPRIM_400000_NS6detail17trampoline_kernelINS0_14default_configENS1_27scan_by_key_config_selectorIssEEZZNS1_16scan_by_key_implILNS1_25lookback_scan_determinismE0ELb0ES3_N6thrust23THRUST_200600_302600_NS6detail15normal_iteratorINS9_10device_ptrIsEEEESE_SE_sNS9_10multipliesIsEENS9_8equal_toIsEEsEE10hipError_tPvRmT2_T3_T4_T5_mT6_T7_P12ihipStream_tbENKUlT_T0_E_clISt17integral_constantIbLb0EESZ_EEDaSU_SV_EUlSU_E_NS1_11comp_targetILNS1_3genE5ELNS1_11target_archE942ELNS1_3gpuE9ELNS1_3repE0EEENS1_30default_config_static_selectorELNS0_4arch9wavefront6targetE1EEEvT1_,"axG",@progbits,_ZN7rocprim17ROCPRIM_400000_NS6detail17trampoline_kernelINS0_14default_configENS1_27scan_by_key_config_selectorIssEEZZNS1_16scan_by_key_implILNS1_25lookback_scan_determinismE0ELb0ES3_N6thrust23THRUST_200600_302600_NS6detail15normal_iteratorINS9_10device_ptrIsEEEESE_SE_sNS9_10multipliesIsEENS9_8equal_toIsEEsEE10hipError_tPvRmT2_T3_T4_T5_mT6_T7_P12ihipStream_tbENKUlT_T0_E_clISt17integral_constantIbLb0EESZ_EEDaSU_SV_EUlSU_E_NS1_11comp_targetILNS1_3genE5ELNS1_11target_archE942ELNS1_3gpuE9ELNS1_3repE0EEENS1_30default_config_static_selectorELNS0_4arch9wavefront6targetE1EEEvT1_,comdat
.Lfunc_end283:
	.size	_ZN7rocprim17ROCPRIM_400000_NS6detail17trampoline_kernelINS0_14default_configENS1_27scan_by_key_config_selectorIssEEZZNS1_16scan_by_key_implILNS1_25lookback_scan_determinismE0ELb0ES3_N6thrust23THRUST_200600_302600_NS6detail15normal_iteratorINS9_10device_ptrIsEEEESE_SE_sNS9_10multipliesIsEENS9_8equal_toIsEEsEE10hipError_tPvRmT2_T3_T4_T5_mT6_T7_P12ihipStream_tbENKUlT_T0_E_clISt17integral_constantIbLb0EESZ_EEDaSU_SV_EUlSU_E_NS1_11comp_targetILNS1_3genE5ELNS1_11target_archE942ELNS1_3gpuE9ELNS1_3repE0EEENS1_30default_config_static_selectorELNS0_4arch9wavefront6targetE1EEEvT1_, .Lfunc_end283-_ZN7rocprim17ROCPRIM_400000_NS6detail17trampoline_kernelINS0_14default_configENS1_27scan_by_key_config_selectorIssEEZZNS1_16scan_by_key_implILNS1_25lookback_scan_determinismE0ELb0ES3_N6thrust23THRUST_200600_302600_NS6detail15normal_iteratorINS9_10device_ptrIsEEEESE_SE_sNS9_10multipliesIsEENS9_8equal_toIsEEsEE10hipError_tPvRmT2_T3_T4_T5_mT6_T7_P12ihipStream_tbENKUlT_T0_E_clISt17integral_constantIbLb0EESZ_EEDaSU_SV_EUlSU_E_NS1_11comp_targetILNS1_3genE5ELNS1_11target_archE942ELNS1_3gpuE9ELNS1_3repE0EEENS1_30default_config_static_selectorELNS0_4arch9wavefront6targetE1EEEvT1_
                                        ; -- End function
	.section	.AMDGPU.csdata,"",@progbits
; Kernel info:
; codeLenInByte = 16128
; NumSgprs: 94
; NumVgprs: 63
; NumAgprs: 0
; TotalNumVgprs: 63
; ScratchSize: 0
; MemoryBound: 0
; FloatMode: 240
; IeeeMode: 1
; LDSByteSize: 13312 bytes/workgroup (compile time only)
; SGPRBlocks: 11
; VGPRBlocks: 7
; NumSGPRsForWavesPerEU: 94
; NumVGPRsForWavesPerEU: 63
; AccumOffset: 64
; Occupancy: 4
; WaveLimiterHint : 1
; COMPUTE_PGM_RSRC2:SCRATCH_EN: 0
; COMPUTE_PGM_RSRC2:USER_SGPR: 2
; COMPUTE_PGM_RSRC2:TRAP_HANDLER: 0
; COMPUTE_PGM_RSRC2:TGID_X_EN: 1
; COMPUTE_PGM_RSRC2:TGID_Y_EN: 0
; COMPUTE_PGM_RSRC2:TGID_Z_EN: 0
; COMPUTE_PGM_RSRC2:TIDIG_COMP_CNT: 0
; COMPUTE_PGM_RSRC3_GFX90A:ACCUM_OFFSET: 15
; COMPUTE_PGM_RSRC3_GFX90A:TG_SPLIT: 0
	.section	.text._ZN7rocprim17ROCPRIM_400000_NS6detail17trampoline_kernelINS0_14default_configENS1_27scan_by_key_config_selectorIssEEZZNS1_16scan_by_key_implILNS1_25lookback_scan_determinismE0ELb0ES3_N6thrust23THRUST_200600_302600_NS6detail15normal_iteratorINS9_10device_ptrIsEEEESE_SE_sNS9_10multipliesIsEENS9_8equal_toIsEEsEE10hipError_tPvRmT2_T3_T4_T5_mT6_T7_P12ihipStream_tbENKUlT_T0_E_clISt17integral_constantIbLb0EESZ_EEDaSU_SV_EUlSU_E_NS1_11comp_targetILNS1_3genE4ELNS1_11target_archE910ELNS1_3gpuE8ELNS1_3repE0EEENS1_30default_config_static_selectorELNS0_4arch9wavefront6targetE1EEEvT1_,"axG",@progbits,_ZN7rocprim17ROCPRIM_400000_NS6detail17trampoline_kernelINS0_14default_configENS1_27scan_by_key_config_selectorIssEEZZNS1_16scan_by_key_implILNS1_25lookback_scan_determinismE0ELb0ES3_N6thrust23THRUST_200600_302600_NS6detail15normal_iteratorINS9_10device_ptrIsEEEESE_SE_sNS9_10multipliesIsEENS9_8equal_toIsEEsEE10hipError_tPvRmT2_T3_T4_T5_mT6_T7_P12ihipStream_tbENKUlT_T0_E_clISt17integral_constantIbLb0EESZ_EEDaSU_SV_EUlSU_E_NS1_11comp_targetILNS1_3genE4ELNS1_11target_archE910ELNS1_3gpuE8ELNS1_3repE0EEENS1_30default_config_static_selectorELNS0_4arch9wavefront6targetE1EEEvT1_,comdat
	.protected	_ZN7rocprim17ROCPRIM_400000_NS6detail17trampoline_kernelINS0_14default_configENS1_27scan_by_key_config_selectorIssEEZZNS1_16scan_by_key_implILNS1_25lookback_scan_determinismE0ELb0ES3_N6thrust23THRUST_200600_302600_NS6detail15normal_iteratorINS9_10device_ptrIsEEEESE_SE_sNS9_10multipliesIsEENS9_8equal_toIsEEsEE10hipError_tPvRmT2_T3_T4_T5_mT6_T7_P12ihipStream_tbENKUlT_T0_E_clISt17integral_constantIbLb0EESZ_EEDaSU_SV_EUlSU_E_NS1_11comp_targetILNS1_3genE4ELNS1_11target_archE910ELNS1_3gpuE8ELNS1_3repE0EEENS1_30default_config_static_selectorELNS0_4arch9wavefront6targetE1EEEvT1_ ; -- Begin function _ZN7rocprim17ROCPRIM_400000_NS6detail17trampoline_kernelINS0_14default_configENS1_27scan_by_key_config_selectorIssEEZZNS1_16scan_by_key_implILNS1_25lookback_scan_determinismE0ELb0ES3_N6thrust23THRUST_200600_302600_NS6detail15normal_iteratorINS9_10device_ptrIsEEEESE_SE_sNS9_10multipliesIsEENS9_8equal_toIsEEsEE10hipError_tPvRmT2_T3_T4_T5_mT6_T7_P12ihipStream_tbENKUlT_T0_E_clISt17integral_constantIbLb0EESZ_EEDaSU_SV_EUlSU_E_NS1_11comp_targetILNS1_3genE4ELNS1_11target_archE910ELNS1_3gpuE8ELNS1_3repE0EEENS1_30default_config_static_selectorELNS0_4arch9wavefront6targetE1EEEvT1_
	.globl	_ZN7rocprim17ROCPRIM_400000_NS6detail17trampoline_kernelINS0_14default_configENS1_27scan_by_key_config_selectorIssEEZZNS1_16scan_by_key_implILNS1_25lookback_scan_determinismE0ELb0ES3_N6thrust23THRUST_200600_302600_NS6detail15normal_iteratorINS9_10device_ptrIsEEEESE_SE_sNS9_10multipliesIsEENS9_8equal_toIsEEsEE10hipError_tPvRmT2_T3_T4_T5_mT6_T7_P12ihipStream_tbENKUlT_T0_E_clISt17integral_constantIbLb0EESZ_EEDaSU_SV_EUlSU_E_NS1_11comp_targetILNS1_3genE4ELNS1_11target_archE910ELNS1_3gpuE8ELNS1_3repE0EEENS1_30default_config_static_selectorELNS0_4arch9wavefront6targetE1EEEvT1_
	.p2align	8
	.type	_ZN7rocprim17ROCPRIM_400000_NS6detail17trampoline_kernelINS0_14default_configENS1_27scan_by_key_config_selectorIssEEZZNS1_16scan_by_key_implILNS1_25lookback_scan_determinismE0ELb0ES3_N6thrust23THRUST_200600_302600_NS6detail15normal_iteratorINS9_10device_ptrIsEEEESE_SE_sNS9_10multipliesIsEENS9_8equal_toIsEEsEE10hipError_tPvRmT2_T3_T4_T5_mT6_T7_P12ihipStream_tbENKUlT_T0_E_clISt17integral_constantIbLb0EESZ_EEDaSU_SV_EUlSU_E_NS1_11comp_targetILNS1_3genE4ELNS1_11target_archE910ELNS1_3gpuE8ELNS1_3repE0EEENS1_30default_config_static_selectorELNS0_4arch9wavefront6targetE1EEEvT1_,@function
_ZN7rocprim17ROCPRIM_400000_NS6detail17trampoline_kernelINS0_14default_configENS1_27scan_by_key_config_selectorIssEEZZNS1_16scan_by_key_implILNS1_25lookback_scan_determinismE0ELb0ES3_N6thrust23THRUST_200600_302600_NS6detail15normal_iteratorINS9_10device_ptrIsEEEESE_SE_sNS9_10multipliesIsEENS9_8equal_toIsEEsEE10hipError_tPvRmT2_T3_T4_T5_mT6_T7_P12ihipStream_tbENKUlT_T0_E_clISt17integral_constantIbLb0EESZ_EEDaSU_SV_EUlSU_E_NS1_11comp_targetILNS1_3genE4ELNS1_11target_archE910ELNS1_3gpuE8ELNS1_3repE0EEENS1_30default_config_static_selectorELNS0_4arch9wavefront6targetE1EEEvT1_: ; @_ZN7rocprim17ROCPRIM_400000_NS6detail17trampoline_kernelINS0_14default_configENS1_27scan_by_key_config_selectorIssEEZZNS1_16scan_by_key_implILNS1_25lookback_scan_determinismE0ELb0ES3_N6thrust23THRUST_200600_302600_NS6detail15normal_iteratorINS9_10device_ptrIsEEEESE_SE_sNS9_10multipliesIsEENS9_8equal_toIsEEsEE10hipError_tPvRmT2_T3_T4_T5_mT6_T7_P12ihipStream_tbENKUlT_T0_E_clISt17integral_constantIbLb0EESZ_EEDaSU_SV_EUlSU_E_NS1_11comp_targetILNS1_3genE4ELNS1_11target_archE910ELNS1_3gpuE8ELNS1_3repE0EEENS1_30default_config_static_selectorELNS0_4arch9wavefront6targetE1EEEvT1_
; %bb.0:
	.section	.rodata,"a",@progbits
	.p2align	6, 0x0
	.amdhsa_kernel _ZN7rocprim17ROCPRIM_400000_NS6detail17trampoline_kernelINS0_14default_configENS1_27scan_by_key_config_selectorIssEEZZNS1_16scan_by_key_implILNS1_25lookback_scan_determinismE0ELb0ES3_N6thrust23THRUST_200600_302600_NS6detail15normal_iteratorINS9_10device_ptrIsEEEESE_SE_sNS9_10multipliesIsEENS9_8equal_toIsEEsEE10hipError_tPvRmT2_T3_T4_T5_mT6_T7_P12ihipStream_tbENKUlT_T0_E_clISt17integral_constantIbLb0EESZ_EEDaSU_SV_EUlSU_E_NS1_11comp_targetILNS1_3genE4ELNS1_11target_archE910ELNS1_3gpuE8ELNS1_3repE0EEENS1_30default_config_static_selectorELNS0_4arch9wavefront6targetE1EEEvT1_
		.amdhsa_group_segment_fixed_size 0
		.amdhsa_private_segment_fixed_size 0
		.amdhsa_kernarg_size 112
		.amdhsa_user_sgpr_count 2
		.amdhsa_user_sgpr_dispatch_ptr 0
		.amdhsa_user_sgpr_queue_ptr 0
		.amdhsa_user_sgpr_kernarg_segment_ptr 1
		.amdhsa_user_sgpr_dispatch_id 0
		.amdhsa_user_sgpr_kernarg_preload_length 0
		.amdhsa_user_sgpr_kernarg_preload_offset 0
		.amdhsa_user_sgpr_private_segment_size 0
		.amdhsa_uses_dynamic_stack 0
		.amdhsa_enable_private_segment 0
		.amdhsa_system_sgpr_workgroup_id_x 1
		.amdhsa_system_sgpr_workgroup_id_y 0
		.amdhsa_system_sgpr_workgroup_id_z 0
		.amdhsa_system_sgpr_workgroup_info 0
		.amdhsa_system_vgpr_workitem_id 0
		.amdhsa_next_free_vgpr 1
		.amdhsa_next_free_sgpr 0
		.amdhsa_accum_offset 4
		.amdhsa_reserve_vcc 0
		.amdhsa_float_round_mode_32 0
		.amdhsa_float_round_mode_16_64 0
		.amdhsa_float_denorm_mode_32 3
		.amdhsa_float_denorm_mode_16_64 3
		.amdhsa_dx10_clamp 1
		.amdhsa_ieee_mode 1
		.amdhsa_fp16_overflow 0
		.amdhsa_tg_split 0
		.amdhsa_exception_fp_ieee_invalid_op 0
		.amdhsa_exception_fp_denorm_src 0
		.amdhsa_exception_fp_ieee_div_zero 0
		.amdhsa_exception_fp_ieee_overflow 0
		.amdhsa_exception_fp_ieee_underflow 0
		.amdhsa_exception_fp_ieee_inexact 0
		.amdhsa_exception_int_div_zero 0
	.end_amdhsa_kernel
	.section	.text._ZN7rocprim17ROCPRIM_400000_NS6detail17trampoline_kernelINS0_14default_configENS1_27scan_by_key_config_selectorIssEEZZNS1_16scan_by_key_implILNS1_25lookback_scan_determinismE0ELb0ES3_N6thrust23THRUST_200600_302600_NS6detail15normal_iteratorINS9_10device_ptrIsEEEESE_SE_sNS9_10multipliesIsEENS9_8equal_toIsEEsEE10hipError_tPvRmT2_T3_T4_T5_mT6_T7_P12ihipStream_tbENKUlT_T0_E_clISt17integral_constantIbLb0EESZ_EEDaSU_SV_EUlSU_E_NS1_11comp_targetILNS1_3genE4ELNS1_11target_archE910ELNS1_3gpuE8ELNS1_3repE0EEENS1_30default_config_static_selectorELNS0_4arch9wavefront6targetE1EEEvT1_,"axG",@progbits,_ZN7rocprim17ROCPRIM_400000_NS6detail17trampoline_kernelINS0_14default_configENS1_27scan_by_key_config_selectorIssEEZZNS1_16scan_by_key_implILNS1_25lookback_scan_determinismE0ELb0ES3_N6thrust23THRUST_200600_302600_NS6detail15normal_iteratorINS9_10device_ptrIsEEEESE_SE_sNS9_10multipliesIsEENS9_8equal_toIsEEsEE10hipError_tPvRmT2_T3_T4_T5_mT6_T7_P12ihipStream_tbENKUlT_T0_E_clISt17integral_constantIbLb0EESZ_EEDaSU_SV_EUlSU_E_NS1_11comp_targetILNS1_3genE4ELNS1_11target_archE910ELNS1_3gpuE8ELNS1_3repE0EEENS1_30default_config_static_selectorELNS0_4arch9wavefront6targetE1EEEvT1_,comdat
.Lfunc_end284:
	.size	_ZN7rocprim17ROCPRIM_400000_NS6detail17trampoline_kernelINS0_14default_configENS1_27scan_by_key_config_selectorIssEEZZNS1_16scan_by_key_implILNS1_25lookback_scan_determinismE0ELb0ES3_N6thrust23THRUST_200600_302600_NS6detail15normal_iteratorINS9_10device_ptrIsEEEESE_SE_sNS9_10multipliesIsEENS9_8equal_toIsEEsEE10hipError_tPvRmT2_T3_T4_T5_mT6_T7_P12ihipStream_tbENKUlT_T0_E_clISt17integral_constantIbLb0EESZ_EEDaSU_SV_EUlSU_E_NS1_11comp_targetILNS1_3genE4ELNS1_11target_archE910ELNS1_3gpuE8ELNS1_3repE0EEENS1_30default_config_static_selectorELNS0_4arch9wavefront6targetE1EEEvT1_, .Lfunc_end284-_ZN7rocprim17ROCPRIM_400000_NS6detail17trampoline_kernelINS0_14default_configENS1_27scan_by_key_config_selectorIssEEZZNS1_16scan_by_key_implILNS1_25lookback_scan_determinismE0ELb0ES3_N6thrust23THRUST_200600_302600_NS6detail15normal_iteratorINS9_10device_ptrIsEEEESE_SE_sNS9_10multipliesIsEENS9_8equal_toIsEEsEE10hipError_tPvRmT2_T3_T4_T5_mT6_T7_P12ihipStream_tbENKUlT_T0_E_clISt17integral_constantIbLb0EESZ_EEDaSU_SV_EUlSU_E_NS1_11comp_targetILNS1_3genE4ELNS1_11target_archE910ELNS1_3gpuE8ELNS1_3repE0EEENS1_30default_config_static_selectorELNS0_4arch9wavefront6targetE1EEEvT1_
                                        ; -- End function
	.section	.AMDGPU.csdata,"",@progbits
; Kernel info:
; codeLenInByte = 0
; NumSgprs: 6
; NumVgprs: 0
; NumAgprs: 0
; TotalNumVgprs: 0
; ScratchSize: 0
; MemoryBound: 0
; FloatMode: 240
; IeeeMode: 1
; LDSByteSize: 0 bytes/workgroup (compile time only)
; SGPRBlocks: 0
; VGPRBlocks: 0
; NumSGPRsForWavesPerEU: 6
; NumVGPRsForWavesPerEU: 1
; AccumOffset: 4
; Occupancy: 8
; WaveLimiterHint : 0
; COMPUTE_PGM_RSRC2:SCRATCH_EN: 0
; COMPUTE_PGM_RSRC2:USER_SGPR: 2
; COMPUTE_PGM_RSRC2:TRAP_HANDLER: 0
; COMPUTE_PGM_RSRC2:TGID_X_EN: 1
; COMPUTE_PGM_RSRC2:TGID_Y_EN: 0
; COMPUTE_PGM_RSRC2:TGID_Z_EN: 0
; COMPUTE_PGM_RSRC2:TIDIG_COMP_CNT: 0
; COMPUTE_PGM_RSRC3_GFX90A:ACCUM_OFFSET: 0
; COMPUTE_PGM_RSRC3_GFX90A:TG_SPLIT: 0
	.section	.text._ZN7rocprim17ROCPRIM_400000_NS6detail17trampoline_kernelINS0_14default_configENS1_27scan_by_key_config_selectorIssEEZZNS1_16scan_by_key_implILNS1_25lookback_scan_determinismE0ELb0ES3_N6thrust23THRUST_200600_302600_NS6detail15normal_iteratorINS9_10device_ptrIsEEEESE_SE_sNS9_10multipliesIsEENS9_8equal_toIsEEsEE10hipError_tPvRmT2_T3_T4_T5_mT6_T7_P12ihipStream_tbENKUlT_T0_E_clISt17integral_constantIbLb0EESZ_EEDaSU_SV_EUlSU_E_NS1_11comp_targetILNS1_3genE3ELNS1_11target_archE908ELNS1_3gpuE7ELNS1_3repE0EEENS1_30default_config_static_selectorELNS0_4arch9wavefront6targetE1EEEvT1_,"axG",@progbits,_ZN7rocprim17ROCPRIM_400000_NS6detail17trampoline_kernelINS0_14default_configENS1_27scan_by_key_config_selectorIssEEZZNS1_16scan_by_key_implILNS1_25lookback_scan_determinismE0ELb0ES3_N6thrust23THRUST_200600_302600_NS6detail15normal_iteratorINS9_10device_ptrIsEEEESE_SE_sNS9_10multipliesIsEENS9_8equal_toIsEEsEE10hipError_tPvRmT2_T3_T4_T5_mT6_T7_P12ihipStream_tbENKUlT_T0_E_clISt17integral_constantIbLb0EESZ_EEDaSU_SV_EUlSU_E_NS1_11comp_targetILNS1_3genE3ELNS1_11target_archE908ELNS1_3gpuE7ELNS1_3repE0EEENS1_30default_config_static_selectorELNS0_4arch9wavefront6targetE1EEEvT1_,comdat
	.protected	_ZN7rocprim17ROCPRIM_400000_NS6detail17trampoline_kernelINS0_14default_configENS1_27scan_by_key_config_selectorIssEEZZNS1_16scan_by_key_implILNS1_25lookback_scan_determinismE0ELb0ES3_N6thrust23THRUST_200600_302600_NS6detail15normal_iteratorINS9_10device_ptrIsEEEESE_SE_sNS9_10multipliesIsEENS9_8equal_toIsEEsEE10hipError_tPvRmT2_T3_T4_T5_mT6_T7_P12ihipStream_tbENKUlT_T0_E_clISt17integral_constantIbLb0EESZ_EEDaSU_SV_EUlSU_E_NS1_11comp_targetILNS1_3genE3ELNS1_11target_archE908ELNS1_3gpuE7ELNS1_3repE0EEENS1_30default_config_static_selectorELNS0_4arch9wavefront6targetE1EEEvT1_ ; -- Begin function _ZN7rocprim17ROCPRIM_400000_NS6detail17trampoline_kernelINS0_14default_configENS1_27scan_by_key_config_selectorIssEEZZNS1_16scan_by_key_implILNS1_25lookback_scan_determinismE0ELb0ES3_N6thrust23THRUST_200600_302600_NS6detail15normal_iteratorINS9_10device_ptrIsEEEESE_SE_sNS9_10multipliesIsEENS9_8equal_toIsEEsEE10hipError_tPvRmT2_T3_T4_T5_mT6_T7_P12ihipStream_tbENKUlT_T0_E_clISt17integral_constantIbLb0EESZ_EEDaSU_SV_EUlSU_E_NS1_11comp_targetILNS1_3genE3ELNS1_11target_archE908ELNS1_3gpuE7ELNS1_3repE0EEENS1_30default_config_static_selectorELNS0_4arch9wavefront6targetE1EEEvT1_
	.globl	_ZN7rocprim17ROCPRIM_400000_NS6detail17trampoline_kernelINS0_14default_configENS1_27scan_by_key_config_selectorIssEEZZNS1_16scan_by_key_implILNS1_25lookback_scan_determinismE0ELb0ES3_N6thrust23THRUST_200600_302600_NS6detail15normal_iteratorINS9_10device_ptrIsEEEESE_SE_sNS9_10multipliesIsEENS9_8equal_toIsEEsEE10hipError_tPvRmT2_T3_T4_T5_mT6_T7_P12ihipStream_tbENKUlT_T0_E_clISt17integral_constantIbLb0EESZ_EEDaSU_SV_EUlSU_E_NS1_11comp_targetILNS1_3genE3ELNS1_11target_archE908ELNS1_3gpuE7ELNS1_3repE0EEENS1_30default_config_static_selectorELNS0_4arch9wavefront6targetE1EEEvT1_
	.p2align	8
	.type	_ZN7rocprim17ROCPRIM_400000_NS6detail17trampoline_kernelINS0_14default_configENS1_27scan_by_key_config_selectorIssEEZZNS1_16scan_by_key_implILNS1_25lookback_scan_determinismE0ELb0ES3_N6thrust23THRUST_200600_302600_NS6detail15normal_iteratorINS9_10device_ptrIsEEEESE_SE_sNS9_10multipliesIsEENS9_8equal_toIsEEsEE10hipError_tPvRmT2_T3_T4_T5_mT6_T7_P12ihipStream_tbENKUlT_T0_E_clISt17integral_constantIbLb0EESZ_EEDaSU_SV_EUlSU_E_NS1_11comp_targetILNS1_3genE3ELNS1_11target_archE908ELNS1_3gpuE7ELNS1_3repE0EEENS1_30default_config_static_selectorELNS0_4arch9wavefront6targetE1EEEvT1_,@function
_ZN7rocprim17ROCPRIM_400000_NS6detail17trampoline_kernelINS0_14default_configENS1_27scan_by_key_config_selectorIssEEZZNS1_16scan_by_key_implILNS1_25lookback_scan_determinismE0ELb0ES3_N6thrust23THRUST_200600_302600_NS6detail15normal_iteratorINS9_10device_ptrIsEEEESE_SE_sNS9_10multipliesIsEENS9_8equal_toIsEEsEE10hipError_tPvRmT2_T3_T4_T5_mT6_T7_P12ihipStream_tbENKUlT_T0_E_clISt17integral_constantIbLb0EESZ_EEDaSU_SV_EUlSU_E_NS1_11comp_targetILNS1_3genE3ELNS1_11target_archE908ELNS1_3gpuE7ELNS1_3repE0EEENS1_30default_config_static_selectorELNS0_4arch9wavefront6targetE1EEEvT1_: ; @_ZN7rocprim17ROCPRIM_400000_NS6detail17trampoline_kernelINS0_14default_configENS1_27scan_by_key_config_selectorIssEEZZNS1_16scan_by_key_implILNS1_25lookback_scan_determinismE0ELb0ES3_N6thrust23THRUST_200600_302600_NS6detail15normal_iteratorINS9_10device_ptrIsEEEESE_SE_sNS9_10multipliesIsEENS9_8equal_toIsEEsEE10hipError_tPvRmT2_T3_T4_T5_mT6_T7_P12ihipStream_tbENKUlT_T0_E_clISt17integral_constantIbLb0EESZ_EEDaSU_SV_EUlSU_E_NS1_11comp_targetILNS1_3genE3ELNS1_11target_archE908ELNS1_3gpuE7ELNS1_3repE0EEENS1_30default_config_static_selectorELNS0_4arch9wavefront6targetE1EEEvT1_
; %bb.0:
	.section	.rodata,"a",@progbits
	.p2align	6, 0x0
	.amdhsa_kernel _ZN7rocprim17ROCPRIM_400000_NS6detail17trampoline_kernelINS0_14default_configENS1_27scan_by_key_config_selectorIssEEZZNS1_16scan_by_key_implILNS1_25lookback_scan_determinismE0ELb0ES3_N6thrust23THRUST_200600_302600_NS6detail15normal_iteratorINS9_10device_ptrIsEEEESE_SE_sNS9_10multipliesIsEENS9_8equal_toIsEEsEE10hipError_tPvRmT2_T3_T4_T5_mT6_T7_P12ihipStream_tbENKUlT_T0_E_clISt17integral_constantIbLb0EESZ_EEDaSU_SV_EUlSU_E_NS1_11comp_targetILNS1_3genE3ELNS1_11target_archE908ELNS1_3gpuE7ELNS1_3repE0EEENS1_30default_config_static_selectorELNS0_4arch9wavefront6targetE1EEEvT1_
		.amdhsa_group_segment_fixed_size 0
		.amdhsa_private_segment_fixed_size 0
		.amdhsa_kernarg_size 112
		.amdhsa_user_sgpr_count 2
		.amdhsa_user_sgpr_dispatch_ptr 0
		.amdhsa_user_sgpr_queue_ptr 0
		.amdhsa_user_sgpr_kernarg_segment_ptr 1
		.amdhsa_user_sgpr_dispatch_id 0
		.amdhsa_user_sgpr_kernarg_preload_length 0
		.amdhsa_user_sgpr_kernarg_preload_offset 0
		.amdhsa_user_sgpr_private_segment_size 0
		.amdhsa_uses_dynamic_stack 0
		.amdhsa_enable_private_segment 0
		.amdhsa_system_sgpr_workgroup_id_x 1
		.amdhsa_system_sgpr_workgroup_id_y 0
		.amdhsa_system_sgpr_workgroup_id_z 0
		.amdhsa_system_sgpr_workgroup_info 0
		.amdhsa_system_vgpr_workitem_id 0
		.amdhsa_next_free_vgpr 1
		.amdhsa_next_free_sgpr 0
		.amdhsa_accum_offset 4
		.amdhsa_reserve_vcc 0
		.amdhsa_float_round_mode_32 0
		.amdhsa_float_round_mode_16_64 0
		.amdhsa_float_denorm_mode_32 3
		.amdhsa_float_denorm_mode_16_64 3
		.amdhsa_dx10_clamp 1
		.amdhsa_ieee_mode 1
		.amdhsa_fp16_overflow 0
		.amdhsa_tg_split 0
		.amdhsa_exception_fp_ieee_invalid_op 0
		.amdhsa_exception_fp_denorm_src 0
		.amdhsa_exception_fp_ieee_div_zero 0
		.amdhsa_exception_fp_ieee_overflow 0
		.amdhsa_exception_fp_ieee_underflow 0
		.amdhsa_exception_fp_ieee_inexact 0
		.amdhsa_exception_int_div_zero 0
	.end_amdhsa_kernel
	.section	.text._ZN7rocprim17ROCPRIM_400000_NS6detail17trampoline_kernelINS0_14default_configENS1_27scan_by_key_config_selectorIssEEZZNS1_16scan_by_key_implILNS1_25lookback_scan_determinismE0ELb0ES3_N6thrust23THRUST_200600_302600_NS6detail15normal_iteratorINS9_10device_ptrIsEEEESE_SE_sNS9_10multipliesIsEENS9_8equal_toIsEEsEE10hipError_tPvRmT2_T3_T4_T5_mT6_T7_P12ihipStream_tbENKUlT_T0_E_clISt17integral_constantIbLb0EESZ_EEDaSU_SV_EUlSU_E_NS1_11comp_targetILNS1_3genE3ELNS1_11target_archE908ELNS1_3gpuE7ELNS1_3repE0EEENS1_30default_config_static_selectorELNS0_4arch9wavefront6targetE1EEEvT1_,"axG",@progbits,_ZN7rocprim17ROCPRIM_400000_NS6detail17trampoline_kernelINS0_14default_configENS1_27scan_by_key_config_selectorIssEEZZNS1_16scan_by_key_implILNS1_25lookback_scan_determinismE0ELb0ES3_N6thrust23THRUST_200600_302600_NS6detail15normal_iteratorINS9_10device_ptrIsEEEESE_SE_sNS9_10multipliesIsEENS9_8equal_toIsEEsEE10hipError_tPvRmT2_T3_T4_T5_mT6_T7_P12ihipStream_tbENKUlT_T0_E_clISt17integral_constantIbLb0EESZ_EEDaSU_SV_EUlSU_E_NS1_11comp_targetILNS1_3genE3ELNS1_11target_archE908ELNS1_3gpuE7ELNS1_3repE0EEENS1_30default_config_static_selectorELNS0_4arch9wavefront6targetE1EEEvT1_,comdat
.Lfunc_end285:
	.size	_ZN7rocprim17ROCPRIM_400000_NS6detail17trampoline_kernelINS0_14default_configENS1_27scan_by_key_config_selectorIssEEZZNS1_16scan_by_key_implILNS1_25lookback_scan_determinismE0ELb0ES3_N6thrust23THRUST_200600_302600_NS6detail15normal_iteratorINS9_10device_ptrIsEEEESE_SE_sNS9_10multipliesIsEENS9_8equal_toIsEEsEE10hipError_tPvRmT2_T3_T4_T5_mT6_T7_P12ihipStream_tbENKUlT_T0_E_clISt17integral_constantIbLb0EESZ_EEDaSU_SV_EUlSU_E_NS1_11comp_targetILNS1_3genE3ELNS1_11target_archE908ELNS1_3gpuE7ELNS1_3repE0EEENS1_30default_config_static_selectorELNS0_4arch9wavefront6targetE1EEEvT1_, .Lfunc_end285-_ZN7rocprim17ROCPRIM_400000_NS6detail17trampoline_kernelINS0_14default_configENS1_27scan_by_key_config_selectorIssEEZZNS1_16scan_by_key_implILNS1_25lookback_scan_determinismE0ELb0ES3_N6thrust23THRUST_200600_302600_NS6detail15normal_iteratorINS9_10device_ptrIsEEEESE_SE_sNS9_10multipliesIsEENS9_8equal_toIsEEsEE10hipError_tPvRmT2_T3_T4_T5_mT6_T7_P12ihipStream_tbENKUlT_T0_E_clISt17integral_constantIbLb0EESZ_EEDaSU_SV_EUlSU_E_NS1_11comp_targetILNS1_3genE3ELNS1_11target_archE908ELNS1_3gpuE7ELNS1_3repE0EEENS1_30default_config_static_selectorELNS0_4arch9wavefront6targetE1EEEvT1_
                                        ; -- End function
	.section	.AMDGPU.csdata,"",@progbits
; Kernel info:
; codeLenInByte = 0
; NumSgprs: 6
; NumVgprs: 0
; NumAgprs: 0
; TotalNumVgprs: 0
; ScratchSize: 0
; MemoryBound: 0
; FloatMode: 240
; IeeeMode: 1
; LDSByteSize: 0 bytes/workgroup (compile time only)
; SGPRBlocks: 0
; VGPRBlocks: 0
; NumSGPRsForWavesPerEU: 6
; NumVGPRsForWavesPerEU: 1
; AccumOffset: 4
; Occupancy: 8
; WaveLimiterHint : 0
; COMPUTE_PGM_RSRC2:SCRATCH_EN: 0
; COMPUTE_PGM_RSRC2:USER_SGPR: 2
; COMPUTE_PGM_RSRC2:TRAP_HANDLER: 0
; COMPUTE_PGM_RSRC2:TGID_X_EN: 1
; COMPUTE_PGM_RSRC2:TGID_Y_EN: 0
; COMPUTE_PGM_RSRC2:TGID_Z_EN: 0
; COMPUTE_PGM_RSRC2:TIDIG_COMP_CNT: 0
; COMPUTE_PGM_RSRC3_GFX90A:ACCUM_OFFSET: 0
; COMPUTE_PGM_RSRC3_GFX90A:TG_SPLIT: 0
	.section	.text._ZN7rocprim17ROCPRIM_400000_NS6detail17trampoline_kernelINS0_14default_configENS1_27scan_by_key_config_selectorIssEEZZNS1_16scan_by_key_implILNS1_25lookback_scan_determinismE0ELb0ES3_N6thrust23THRUST_200600_302600_NS6detail15normal_iteratorINS9_10device_ptrIsEEEESE_SE_sNS9_10multipliesIsEENS9_8equal_toIsEEsEE10hipError_tPvRmT2_T3_T4_T5_mT6_T7_P12ihipStream_tbENKUlT_T0_E_clISt17integral_constantIbLb0EESZ_EEDaSU_SV_EUlSU_E_NS1_11comp_targetILNS1_3genE2ELNS1_11target_archE906ELNS1_3gpuE6ELNS1_3repE0EEENS1_30default_config_static_selectorELNS0_4arch9wavefront6targetE1EEEvT1_,"axG",@progbits,_ZN7rocprim17ROCPRIM_400000_NS6detail17trampoline_kernelINS0_14default_configENS1_27scan_by_key_config_selectorIssEEZZNS1_16scan_by_key_implILNS1_25lookback_scan_determinismE0ELb0ES3_N6thrust23THRUST_200600_302600_NS6detail15normal_iteratorINS9_10device_ptrIsEEEESE_SE_sNS9_10multipliesIsEENS9_8equal_toIsEEsEE10hipError_tPvRmT2_T3_T4_T5_mT6_T7_P12ihipStream_tbENKUlT_T0_E_clISt17integral_constantIbLb0EESZ_EEDaSU_SV_EUlSU_E_NS1_11comp_targetILNS1_3genE2ELNS1_11target_archE906ELNS1_3gpuE6ELNS1_3repE0EEENS1_30default_config_static_selectorELNS0_4arch9wavefront6targetE1EEEvT1_,comdat
	.protected	_ZN7rocprim17ROCPRIM_400000_NS6detail17trampoline_kernelINS0_14default_configENS1_27scan_by_key_config_selectorIssEEZZNS1_16scan_by_key_implILNS1_25lookback_scan_determinismE0ELb0ES3_N6thrust23THRUST_200600_302600_NS6detail15normal_iteratorINS9_10device_ptrIsEEEESE_SE_sNS9_10multipliesIsEENS9_8equal_toIsEEsEE10hipError_tPvRmT2_T3_T4_T5_mT6_T7_P12ihipStream_tbENKUlT_T0_E_clISt17integral_constantIbLb0EESZ_EEDaSU_SV_EUlSU_E_NS1_11comp_targetILNS1_3genE2ELNS1_11target_archE906ELNS1_3gpuE6ELNS1_3repE0EEENS1_30default_config_static_selectorELNS0_4arch9wavefront6targetE1EEEvT1_ ; -- Begin function _ZN7rocprim17ROCPRIM_400000_NS6detail17trampoline_kernelINS0_14default_configENS1_27scan_by_key_config_selectorIssEEZZNS1_16scan_by_key_implILNS1_25lookback_scan_determinismE0ELb0ES3_N6thrust23THRUST_200600_302600_NS6detail15normal_iteratorINS9_10device_ptrIsEEEESE_SE_sNS9_10multipliesIsEENS9_8equal_toIsEEsEE10hipError_tPvRmT2_T3_T4_T5_mT6_T7_P12ihipStream_tbENKUlT_T0_E_clISt17integral_constantIbLb0EESZ_EEDaSU_SV_EUlSU_E_NS1_11comp_targetILNS1_3genE2ELNS1_11target_archE906ELNS1_3gpuE6ELNS1_3repE0EEENS1_30default_config_static_selectorELNS0_4arch9wavefront6targetE1EEEvT1_
	.globl	_ZN7rocprim17ROCPRIM_400000_NS6detail17trampoline_kernelINS0_14default_configENS1_27scan_by_key_config_selectorIssEEZZNS1_16scan_by_key_implILNS1_25lookback_scan_determinismE0ELb0ES3_N6thrust23THRUST_200600_302600_NS6detail15normal_iteratorINS9_10device_ptrIsEEEESE_SE_sNS9_10multipliesIsEENS9_8equal_toIsEEsEE10hipError_tPvRmT2_T3_T4_T5_mT6_T7_P12ihipStream_tbENKUlT_T0_E_clISt17integral_constantIbLb0EESZ_EEDaSU_SV_EUlSU_E_NS1_11comp_targetILNS1_3genE2ELNS1_11target_archE906ELNS1_3gpuE6ELNS1_3repE0EEENS1_30default_config_static_selectorELNS0_4arch9wavefront6targetE1EEEvT1_
	.p2align	8
	.type	_ZN7rocprim17ROCPRIM_400000_NS6detail17trampoline_kernelINS0_14default_configENS1_27scan_by_key_config_selectorIssEEZZNS1_16scan_by_key_implILNS1_25lookback_scan_determinismE0ELb0ES3_N6thrust23THRUST_200600_302600_NS6detail15normal_iteratorINS9_10device_ptrIsEEEESE_SE_sNS9_10multipliesIsEENS9_8equal_toIsEEsEE10hipError_tPvRmT2_T3_T4_T5_mT6_T7_P12ihipStream_tbENKUlT_T0_E_clISt17integral_constantIbLb0EESZ_EEDaSU_SV_EUlSU_E_NS1_11comp_targetILNS1_3genE2ELNS1_11target_archE906ELNS1_3gpuE6ELNS1_3repE0EEENS1_30default_config_static_selectorELNS0_4arch9wavefront6targetE1EEEvT1_,@function
_ZN7rocprim17ROCPRIM_400000_NS6detail17trampoline_kernelINS0_14default_configENS1_27scan_by_key_config_selectorIssEEZZNS1_16scan_by_key_implILNS1_25lookback_scan_determinismE0ELb0ES3_N6thrust23THRUST_200600_302600_NS6detail15normal_iteratorINS9_10device_ptrIsEEEESE_SE_sNS9_10multipliesIsEENS9_8equal_toIsEEsEE10hipError_tPvRmT2_T3_T4_T5_mT6_T7_P12ihipStream_tbENKUlT_T0_E_clISt17integral_constantIbLb0EESZ_EEDaSU_SV_EUlSU_E_NS1_11comp_targetILNS1_3genE2ELNS1_11target_archE906ELNS1_3gpuE6ELNS1_3repE0EEENS1_30default_config_static_selectorELNS0_4arch9wavefront6targetE1EEEvT1_: ; @_ZN7rocprim17ROCPRIM_400000_NS6detail17trampoline_kernelINS0_14default_configENS1_27scan_by_key_config_selectorIssEEZZNS1_16scan_by_key_implILNS1_25lookback_scan_determinismE0ELb0ES3_N6thrust23THRUST_200600_302600_NS6detail15normal_iteratorINS9_10device_ptrIsEEEESE_SE_sNS9_10multipliesIsEENS9_8equal_toIsEEsEE10hipError_tPvRmT2_T3_T4_T5_mT6_T7_P12ihipStream_tbENKUlT_T0_E_clISt17integral_constantIbLb0EESZ_EEDaSU_SV_EUlSU_E_NS1_11comp_targetILNS1_3genE2ELNS1_11target_archE906ELNS1_3gpuE6ELNS1_3repE0EEENS1_30default_config_static_selectorELNS0_4arch9wavefront6targetE1EEEvT1_
; %bb.0:
	.section	.rodata,"a",@progbits
	.p2align	6, 0x0
	.amdhsa_kernel _ZN7rocprim17ROCPRIM_400000_NS6detail17trampoline_kernelINS0_14default_configENS1_27scan_by_key_config_selectorIssEEZZNS1_16scan_by_key_implILNS1_25lookback_scan_determinismE0ELb0ES3_N6thrust23THRUST_200600_302600_NS6detail15normal_iteratorINS9_10device_ptrIsEEEESE_SE_sNS9_10multipliesIsEENS9_8equal_toIsEEsEE10hipError_tPvRmT2_T3_T4_T5_mT6_T7_P12ihipStream_tbENKUlT_T0_E_clISt17integral_constantIbLb0EESZ_EEDaSU_SV_EUlSU_E_NS1_11comp_targetILNS1_3genE2ELNS1_11target_archE906ELNS1_3gpuE6ELNS1_3repE0EEENS1_30default_config_static_selectorELNS0_4arch9wavefront6targetE1EEEvT1_
		.amdhsa_group_segment_fixed_size 0
		.amdhsa_private_segment_fixed_size 0
		.amdhsa_kernarg_size 112
		.amdhsa_user_sgpr_count 2
		.amdhsa_user_sgpr_dispatch_ptr 0
		.amdhsa_user_sgpr_queue_ptr 0
		.amdhsa_user_sgpr_kernarg_segment_ptr 1
		.amdhsa_user_sgpr_dispatch_id 0
		.amdhsa_user_sgpr_kernarg_preload_length 0
		.amdhsa_user_sgpr_kernarg_preload_offset 0
		.amdhsa_user_sgpr_private_segment_size 0
		.amdhsa_uses_dynamic_stack 0
		.amdhsa_enable_private_segment 0
		.amdhsa_system_sgpr_workgroup_id_x 1
		.amdhsa_system_sgpr_workgroup_id_y 0
		.amdhsa_system_sgpr_workgroup_id_z 0
		.amdhsa_system_sgpr_workgroup_info 0
		.amdhsa_system_vgpr_workitem_id 0
		.amdhsa_next_free_vgpr 1
		.amdhsa_next_free_sgpr 0
		.amdhsa_accum_offset 4
		.amdhsa_reserve_vcc 0
		.amdhsa_float_round_mode_32 0
		.amdhsa_float_round_mode_16_64 0
		.amdhsa_float_denorm_mode_32 3
		.amdhsa_float_denorm_mode_16_64 3
		.amdhsa_dx10_clamp 1
		.amdhsa_ieee_mode 1
		.amdhsa_fp16_overflow 0
		.amdhsa_tg_split 0
		.amdhsa_exception_fp_ieee_invalid_op 0
		.amdhsa_exception_fp_denorm_src 0
		.amdhsa_exception_fp_ieee_div_zero 0
		.amdhsa_exception_fp_ieee_overflow 0
		.amdhsa_exception_fp_ieee_underflow 0
		.amdhsa_exception_fp_ieee_inexact 0
		.amdhsa_exception_int_div_zero 0
	.end_amdhsa_kernel
	.section	.text._ZN7rocprim17ROCPRIM_400000_NS6detail17trampoline_kernelINS0_14default_configENS1_27scan_by_key_config_selectorIssEEZZNS1_16scan_by_key_implILNS1_25lookback_scan_determinismE0ELb0ES3_N6thrust23THRUST_200600_302600_NS6detail15normal_iteratorINS9_10device_ptrIsEEEESE_SE_sNS9_10multipliesIsEENS9_8equal_toIsEEsEE10hipError_tPvRmT2_T3_T4_T5_mT6_T7_P12ihipStream_tbENKUlT_T0_E_clISt17integral_constantIbLb0EESZ_EEDaSU_SV_EUlSU_E_NS1_11comp_targetILNS1_3genE2ELNS1_11target_archE906ELNS1_3gpuE6ELNS1_3repE0EEENS1_30default_config_static_selectorELNS0_4arch9wavefront6targetE1EEEvT1_,"axG",@progbits,_ZN7rocprim17ROCPRIM_400000_NS6detail17trampoline_kernelINS0_14default_configENS1_27scan_by_key_config_selectorIssEEZZNS1_16scan_by_key_implILNS1_25lookback_scan_determinismE0ELb0ES3_N6thrust23THRUST_200600_302600_NS6detail15normal_iteratorINS9_10device_ptrIsEEEESE_SE_sNS9_10multipliesIsEENS9_8equal_toIsEEsEE10hipError_tPvRmT2_T3_T4_T5_mT6_T7_P12ihipStream_tbENKUlT_T0_E_clISt17integral_constantIbLb0EESZ_EEDaSU_SV_EUlSU_E_NS1_11comp_targetILNS1_3genE2ELNS1_11target_archE906ELNS1_3gpuE6ELNS1_3repE0EEENS1_30default_config_static_selectorELNS0_4arch9wavefront6targetE1EEEvT1_,comdat
.Lfunc_end286:
	.size	_ZN7rocprim17ROCPRIM_400000_NS6detail17trampoline_kernelINS0_14default_configENS1_27scan_by_key_config_selectorIssEEZZNS1_16scan_by_key_implILNS1_25lookback_scan_determinismE0ELb0ES3_N6thrust23THRUST_200600_302600_NS6detail15normal_iteratorINS9_10device_ptrIsEEEESE_SE_sNS9_10multipliesIsEENS9_8equal_toIsEEsEE10hipError_tPvRmT2_T3_T4_T5_mT6_T7_P12ihipStream_tbENKUlT_T0_E_clISt17integral_constantIbLb0EESZ_EEDaSU_SV_EUlSU_E_NS1_11comp_targetILNS1_3genE2ELNS1_11target_archE906ELNS1_3gpuE6ELNS1_3repE0EEENS1_30default_config_static_selectorELNS0_4arch9wavefront6targetE1EEEvT1_, .Lfunc_end286-_ZN7rocprim17ROCPRIM_400000_NS6detail17trampoline_kernelINS0_14default_configENS1_27scan_by_key_config_selectorIssEEZZNS1_16scan_by_key_implILNS1_25lookback_scan_determinismE0ELb0ES3_N6thrust23THRUST_200600_302600_NS6detail15normal_iteratorINS9_10device_ptrIsEEEESE_SE_sNS9_10multipliesIsEENS9_8equal_toIsEEsEE10hipError_tPvRmT2_T3_T4_T5_mT6_T7_P12ihipStream_tbENKUlT_T0_E_clISt17integral_constantIbLb0EESZ_EEDaSU_SV_EUlSU_E_NS1_11comp_targetILNS1_3genE2ELNS1_11target_archE906ELNS1_3gpuE6ELNS1_3repE0EEENS1_30default_config_static_selectorELNS0_4arch9wavefront6targetE1EEEvT1_
                                        ; -- End function
	.section	.AMDGPU.csdata,"",@progbits
; Kernel info:
; codeLenInByte = 0
; NumSgprs: 6
; NumVgprs: 0
; NumAgprs: 0
; TotalNumVgprs: 0
; ScratchSize: 0
; MemoryBound: 0
; FloatMode: 240
; IeeeMode: 1
; LDSByteSize: 0 bytes/workgroup (compile time only)
; SGPRBlocks: 0
; VGPRBlocks: 0
; NumSGPRsForWavesPerEU: 6
; NumVGPRsForWavesPerEU: 1
; AccumOffset: 4
; Occupancy: 8
; WaveLimiterHint : 0
; COMPUTE_PGM_RSRC2:SCRATCH_EN: 0
; COMPUTE_PGM_RSRC2:USER_SGPR: 2
; COMPUTE_PGM_RSRC2:TRAP_HANDLER: 0
; COMPUTE_PGM_RSRC2:TGID_X_EN: 1
; COMPUTE_PGM_RSRC2:TGID_Y_EN: 0
; COMPUTE_PGM_RSRC2:TGID_Z_EN: 0
; COMPUTE_PGM_RSRC2:TIDIG_COMP_CNT: 0
; COMPUTE_PGM_RSRC3_GFX90A:ACCUM_OFFSET: 0
; COMPUTE_PGM_RSRC3_GFX90A:TG_SPLIT: 0
	.section	.text._ZN7rocprim17ROCPRIM_400000_NS6detail17trampoline_kernelINS0_14default_configENS1_27scan_by_key_config_selectorIssEEZZNS1_16scan_by_key_implILNS1_25lookback_scan_determinismE0ELb0ES3_N6thrust23THRUST_200600_302600_NS6detail15normal_iteratorINS9_10device_ptrIsEEEESE_SE_sNS9_10multipliesIsEENS9_8equal_toIsEEsEE10hipError_tPvRmT2_T3_T4_T5_mT6_T7_P12ihipStream_tbENKUlT_T0_E_clISt17integral_constantIbLb0EESZ_EEDaSU_SV_EUlSU_E_NS1_11comp_targetILNS1_3genE10ELNS1_11target_archE1200ELNS1_3gpuE4ELNS1_3repE0EEENS1_30default_config_static_selectorELNS0_4arch9wavefront6targetE1EEEvT1_,"axG",@progbits,_ZN7rocprim17ROCPRIM_400000_NS6detail17trampoline_kernelINS0_14default_configENS1_27scan_by_key_config_selectorIssEEZZNS1_16scan_by_key_implILNS1_25lookback_scan_determinismE0ELb0ES3_N6thrust23THRUST_200600_302600_NS6detail15normal_iteratorINS9_10device_ptrIsEEEESE_SE_sNS9_10multipliesIsEENS9_8equal_toIsEEsEE10hipError_tPvRmT2_T3_T4_T5_mT6_T7_P12ihipStream_tbENKUlT_T0_E_clISt17integral_constantIbLb0EESZ_EEDaSU_SV_EUlSU_E_NS1_11comp_targetILNS1_3genE10ELNS1_11target_archE1200ELNS1_3gpuE4ELNS1_3repE0EEENS1_30default_config_static_selectorELNS0_4arch9wavefront6targetE1EEEvT1_,comdat
	.protected	_ZN7rocprim17ROCPRIM_400000_NS6detail17trampoline_kernelINS0_14default_configENS1_27scan_by_key_config_selectorIssEEZZNS1_16scan_by_key_implILNS1_25lookback_scan_determinismE0ELb0ES3_N6thrust23THRUST_200600_302600_NS6detail15normal_iteratorINS9_10device_ptrIsEEEESE_SE_sNS9_10multipliesIsEENS9_8equal_toIsEEsEE10hipError_tPvRmT2_T3_T4_T5_mT6_T7_P12ihipStream_tbENKUlT_T0_E_clISt17integral_constantIbLb0EESZ_EEDaSU_SV_EUlSU_E_NS1_11comp_targetILNS1_3genE10ELNS1_11target_archE1200ELNS1_3gpuE4ELNS1_3repE0EEENS1_30default_config_static_selectorELNS0_4arch9wavefront6targetE1EEEvT1_ ; -- Begin function _ZN7rocprim17ROCPRIM_400000_NS6detail17trampoline_kernelINS0_14default_configENS1_27scan_by_key_config_selectorIssEEZZNS1_16scan_by_key_implILNS1_25lookback_scan_determinismE0ELb0ES3_N6thrust23THRUST_200600_302600_NS6detail15normal_iteratorINS9_10device_ptrIsEEEESE_SE_sNS9_10multipliesIsEENS9_8equal_toIsEEsEE10hipError_tPvRmT2_T3_T4_T5_mT6_T7_P12ihipStream_tbENKUlT_T0_E_clISt17integral_constantIbLb0EESZ_EEDaSU_SV_EUlSU_E_NS1_11comp_targetILNS1_3genE10ELNS1_11target_archE1200ELNS1_3gpuE4ELNS1_3repE0EEENS1_30default_config_static_selectorELNS0_4arch9wavefront6targetE1EEEvT1_
	.globl	_ZN7rocprim17ROCPRIM_400000_NS6detail17trampoline_kernelINS0_14default_configENS1_27scan_by_key_config_selectorIssEEZZNS1_16scan_by_key_implILNS1_25lookback_scan_determinismE0ELb0ES3_N6thrust23THRUST_200600_302600_NS6detail15normal_iteratorINS9_10device_ptrIsEEEESE_SE_sNS9_10multipliesIsEENS9_8equal_toIsEEsEE10hipError_tPvRmT2_T3_T4_T5_mT6_T7_P12ihipStream_tbENKUlT_T0_E_clISt17integral_constantIbLb0EESZ_EEDaSU_SV_EUlSU_E_NS1_11comp_targetILNS1_3genE10ELNS1_11target_archE1200ELNS1_3gpuE4ELNS1_3repE0EEENS1_30default_config_static_selectorELNS0_4arch9wavefront6targetE1EEEvT1_
	.p2align	8
	.type	_ZN7rocprim17ROCPRIM_400000_NS6detail17trampoline_kernelINS0_14default_configENS1_27scan_by_key_config_selectorIssEEZZNS1_16scan_by_key_implILNS1_25lookback_scan_determinismE0ELb0ES3_N6thrust23THRUST_200600_302600_NS6detail15normal_iteratorINS9_10device_ptrIsEEEESE_SE_sNS9_10multipliesIsEENS9_8equal_toIsEEsEE10hipError_tPvRmT2_T3_T4_T5_mT6_T7_P12ihipStream_tbENKUlT_T0_E_clISt17integral_constantIbLb0EESZ_EEDaSU_SV_EUlSU_E_NS1_11comp_targetILNS1_3genE10ELNS1_11target_archE1200ELNS1_3gpuE4ELNS1_3repE0EEENS1_30default_config_static_selectorELNS0_4arch9wavefront6targetE1EEEvT1_,@function
_ZN7rocprim17ROCPRIM_400000_NS6detail17trampoline_kernelINS0_14default_configENS1_27scan_by_key_config_selectorIssEEZZNS1_16scan_by_key_implILNS1_25lookback_scan_determinismE0ELb0ES3_N6thrust23THRUST_200600_302600_NS6detail15normal_iteratorINS9_10device_ptrIsEEEESE_SE_sNS9_10multipliesIsEENS9_8equal_toIsEEsEE10hipError_tPvRmT2_T3_T4_T5_mT6_T7_P12ihipStream_tbENKUlT_T0_E_clISt17integral_constantIbLb0EESZ_EEDaSU_SV_EUlSU_E_NS1_11comp_targetILNS1_3genE10ELNS1_11target_archE1200ELNS1_3gpuE4ELNS1_3repE0EEENS1_30default_config_static_selectorELNS0_4arch9wavefront6targetE1EEEvT1_: ; @_ZN7rocprim17ROCPRIM_400000_NS6detail17trampoline_kernelINS0_14default_configENS1_27scan_by_key_config_selectorIssEEZZNS1_16scan_by_key_implILNS1_25lookback_scan_determinismE0ELb0ES3_N6thrust23THRUST_200600_302600_NS6detail15normal_iteratorINS9_10device_ptrIsEEEESE_SE_sNS9_10multipliesIsEENS9_8equal_toIsEEsEE10hipError_tPvRmT2_T3_T4_T5_mT6_T7_P12ihipStream_tbENKUlT_T0_E_clISt17integral_constantIbLb0EESZ_EEDaSU_SV_EUlSU_E_NS1_11comp_targetILNS1_3genE10ELNS1_11target_archE1200ELNS1_3gpuE4ELNS1_3repE0EEENS1_30default_config_static_selectorELNS0_4arch9wavefront6targetE1EEEvT1_
; %bb.0:
	.section	.rodata,"a",@progbits
	.p2align	6, 0x0
	.amdhsa_kernel _ZN7rocprim17ROCPRIM_400000_NS6detail17trampoline_kernelINS0_14default_configENS1_27scan_by_key_config_selectorIssEEZZNS1_16scan_by_key_implILNS1_25lookback_scan_determinismE0ELb0ES3_N6thrust23THRUST_200600_302600_NS6detail15normal_iteratorINS9_10device_ptrIsEEEESE_SE_sNS9_10multipliesIsEENS9_8equal_toIsEEsEE10hipError_tPvRmT2_T3_T4_T5_mT6_T7_P12ihipStream_tbENKUlT_T0_E_clISt17integral_constantIbLb0EESZ_EEDaSU_SV_EUlSU_E_NS1_11comp_targetILNS1_3genE10ELNS1_11target_archE1200ELNS1_3gpuE4ELNS1_3repE0EEENS1_30default_config_static_selectorELNS0_4arch9wavefront6targetE1EEEvT1_
		.amdhsa_group_segment_fixed_size 0
		.amdhsa_private_segment_fixed_size 0
		.amdhsa_kernarg_size 112
		.amdhsa_user_sgpr_count 2
		.amdhsa_user_sgpr_dispatch_ptr 0
		.amdhsa_user_sgpr_queue_ptr 0
		.amdhsa_user_sgpr_kernarg_segment_ptr 1
		.amdhsa_user_sgpr_dispatch_id 0
		.amdhsa_user_sgpr_kernarg_preload_length 0
		.amdhsa_user_sgpr_kernarg_preload_offset 0
		.amdhsa_user_sgpr_private_segment_size 0
		.amdhsa_uses_dynamic_stack 0
		.amdhsa_enable_private_segment 0
		.amdhsa_system_sgpr_workgroup_id_x 1
		.amdhsa_system_sgpr_workgroup_id_y 0
		.amdhsa_system_sgpr_workgroup_id_z 0
		.amdhsa_system_sgpr_workgroup_info 0
		.amdhsa_system_vgpr_workitem_id 0
		.amdhsa_next_free_vgpr 1
		.amdhsa_next_free_sgpr 0
		.amdhsa_accum_offset 4
		.amdhsa_reserve_vcc 0
		.amdhsa_float_round_mode_32 0
		.amdhsa_float_round_mode_16_64 0
		.amdhsa_float_denorm_mode_32 3
		.amdhsa_float_denorm_mode_16_64 3
		.amdhsa_dx10_clamp 1
		.amdhsa_ieee_mode 1
		.amdhsa_fp16_overflow 0
		.amdhsa_tg_split 0
		.amdhsa_exception_fp_ieee_invalid_op 0
		.amdhsa_exception_fp_denorm_src 0
		.amdhsa_exception_fp_ieee_div_zero 0
		.amdhsa_exception_fp_ieee_overflow 0
		.amdhsa_exception_fp_ieee_underflow 0
		.amdhsa_exception_fp_ieee_inexact 0
		.amdhsa_exception_int_div_zero 0
	.end_amdhsa_kernel
	.section	.text._ZN7rocprim17ROCPRIM_400000_NS6detail17trampoline_kernelINS0_14default_configENS1_27scan_by_key_config_selectorIssEEZZNS1_16scan_by_key_implILNS1_25lookback_scan_determinismE0ELb0ES3_N6thrust23THRUST_200600_302600_NS6detail15normal_iteratorINS9_10device_ptrIsEEEESE_SE_sNS9_10multipliesIsEENS9_8equal_toIsEEsEE10hipError_tPvRmT2_T3_T4_T5_mT6_T7_P12ihipStream_tbENKUlT_T0_E_clISt17integral_constantIbLb0EESZ_EEDaSU_SV_EUlSU_E_NS1_11comp_targetILNS1_3genE10ELNS1_11target_archE1200ELNS1_3gpuE4ELNS1_3repE0EEENS1_30default_config_static_selectorELNS0_4arch9wavefront6targetE1EEEvT1_,"axG",@progbits,_ZN7rocprim17ROCPRIM_400000_NS6detail17trampoline_kernelINS0_14default_configENS1_27scan_by_key_config_selectorIssEEZZNS1_16scan_by_key_implILNS1_25lookback_scan_determinismE0ELb0ES3_N6thrust23THRUST_200600_302600_NS6detail15normal_iteratorINS9_10device_ptrIsEEEESE_SE_sNS9_10multipliesIsEENS9_8equal_toIsEEsEE10hipError_tPvRmT2_T3_T4_T5_mT6_T7_P12ihipStream_tbENKUlT_T0_E_clISt17integral_constantIbLb0EESZ_EEDaSU_SV_EUlSU_E_NS1_11comp_targetILNS1_3genE10ELNS1_11target_archE1200ELNS1_3gpuE4ELNS1_3repE0EEENS1_30default_config_static_selectorELNS0_4arch9wavefront6targetE1EEEvT1_,comdat
.Lfunc_end287:
	.size	_ZN7rocprim17ROCPRIM_400000_NS6detail17trampoline_kernelINS0_14default_configENS1_27scan_by_key_config_selectorIssEEZZNS1_16scan_by_key_implILNS1_25lookback_scan_determinismE0ELb0ES3_N6thrust23THRUST_200600_302600_NS6detail15normal_iteratorINS9_10device_ptrIsEEEESE_SE_sNS9_10multipliesIsEENS9_8equal_toIsEEsEE10hipError_tPvRmT2_T3_T4_T5_mT6_T7_P12ihipStream_tbENKUlT_T0_E_clISt17integral_constantIbLb0EESZ_EEDaSU_SV_EUlSU_E_NS1_11comp_targetILNS1_3genE10ELNS1_11target_archE1200ELNS1_3gpuE4ELNS1_3repE0EEENS1_30default_config_static_selectorELNS0_4arch9wavefront6targetE1EEEvT1_, .Lfunc_end287-_ZN7rocprim17ROCPRIM_400000_NS6detail17trampoline_kernelINS0_14default_configENS1_27scan_by_key_config_selectorIssEEZZNS1_16scan_by_key_implILNS1_25lookback_scan_determinismE0ELb0ES3_N6thrust23THRUST_200600_302600_NS6detail15normal_iteratorINS9_10device_ptrIsEEEESE_SE_sNS9_10multipliesIsEENS9_8equal_toIsEEsEE10hipError_tPvRmT2_T3_T4_T5_mT6_T7_P12ihipStream_tbENKUlT_T0_E_clISt17integral_constantIbLb0EESZ_EEDaSU_SV_EUlSU_E_NS1_11comp_targetILNS1_3genE10ELNS1_11target_archE1200ELNS1_3gpuE4ELNS1_3repE0EEENS1_30default_config_static_selectorELNS0_4arch9wavefront6targetE1EEEvT1_
                                        ; -- End function
	.section	.AMDGPU.csdata,"",@progbits
; Kernel info:
; codeLenInByte = 0
; NumSgprs: 6
; NumVgprs: 0
; NumAgprs: 0
; TotalNumVgprs: 0
; ScratchSize: 0
; MemoryBound: 0
; FloatMode: 240
; IeeeMode: 1
; LDSByteSize: 0 bytes/workgroup (compile time only)
; SGPRBlocks: 0
; VGPRBlocks: 0
; NumSGPRsForWavesPerEU: 6
; NumVGPRsForWavesPerEU: 1
; AccumOffset: 4
; Occupancy: 8
; WaveLimiterHint : 0
; COMPUTE_PGM_RSRC2:SCRATCH_EN: 0
; COMPUTE_PGM_RSRC2:USER_SGPR: 2
; COMPUTE_PGM_RSRC2:TRAP_HANDLER: 0
; COMPUTE_PGM_RSRC2:TGID_X_EN: 1
; COMPUTE_PGM_RSRC2:TGID_Y_EN: 0
; COMPUTE_PGM_RSRC2:TGID_Z_EN: 0
; COMPUTE_PGM_RSRC2:TIDIG_COMP_CNT: 0
; COMPUTE_PGM_RSRC3_GFX90A:ACCUM_OFFSET: 0
; COMPUTE_PGM_RSRC3_GFX90A:TG_SPLIT: 0
	.section	.text._ZN7rocprim17ROCPRIM_400000_NS6detail17trampoline_kernelINS0_14default_configENS1_27scan_by_key_config_selectorIssEEZZNS1_16scan_by_key_implILNS1_25lookback_scan_determinismE0ELb0ES3_N6thrust23THRUST_200600_302600_NS6detail15normal_iteratorINS9_10device_ptrIsEEEESE_SE_sNS9_10multipliesIsEENS9_8equal_toIsEEsEE10hipError_tPvRmT2_T3_T4_T5_mT6_T7_P12ihipStream_tbENKUlT_T0_E_clISt17integral_constantIbLb0EESZ_EEDaSU_SV_EUlSU_E_NS1_11comp_targetILNS1_3genE9ELNS1_11target_archE1100ELNS1_3gpuE3ELNS1_3repE0EEENS1_30default_config_static_selectorELNS0_4arch9wavefront6targetE1EEEvT1_,"axG",@progbits,_ZN7rocprim17ROCPRIM_400000_NS6detail17trampoline_kernelINS0_14default_configENS1_27scan_by_key_config_selectorIssEEZZNS1_16scan_by_key_implILNS1_25lookback_scan_determinismE0ELb0ES3_N6thrust23THRUST_200600_302600_NS6detail15normal_iteratorINS9_10device_ptrIsEEEESE_SE_sNS9_10multipliesIsEENS9_8equal_toIsEEsEE10hipError_tPvRmT2_T3_T4_T5_mT6_T7_P12ihipStream_tbENKUlT_T0_E_clISt17integral_constantIbLb0EESZ_EEDaSU_SV_EUlSU_E_NS1_11comp_targetILNS1_3genE9ELNS1_11target_archE1100ELNS1_3gpuE3ELNS1_3repE0EEENS1_30default_config_static_selectorELNS0_4arch9wavefront6targetE1EEEvT1_,comdat
	.protected	_ZN7rocprim17ROCPRIM_400000_NS6detail17trampoline_kernelINS0_14default_configENS1_27scan_by_key_config_selectorIssEEZZNS1_16scan_by_key_implILNS1_25lookback_scan_determinismE0ELb0ES3_N6thrust23THRUST_200600_302600_NS6detail15normal_iteratorINS9_10device_ptrIsEEEESE_SE_sNS9_10multipliesIsEENS9_8equal_toIsEEsEE10hipError_tPvRmT2_T3_T4_T5_mT6_T7_P12ihipStream_tbENKUlT_T0_E_clISt17integral_constantIbLb0EESZ_EEDaSU_SV_EUlSU_E_NS1_11comp_targetILNS1_3genE9ELNS1_11target_archE1100ELNS1_3gpuE3ELNS1_3repE0EEENS1_30default_config_static_selectorELNS0_4arch9wavefront6targetE1EEEvT1_ ; -- Begin function _ZN7rocprim17ROCPRIM_400000_NS6detail17trampoline_kernelINS0_14default_configENS1_27scan_by_key_config_selectorIssEEZZNS1_16scan_by_key_implILNS1_25lookback_scan_determinismE0ELb0ES3_N6thrust23THRUST_200600_302600_NS6detail15normal_iteratorINS9_10device_ptrIsEEEESE_SE_sNS9_10multipliesIsEENS9_8equal_toIsEEsEE10hipError_tPvRmT2_T3_T4_T5_mT6_T7_P12ihipStream_tbENKUlT_T0_E_clISt17integral_constantIbLb0EESZ_EEDaSU_SV_EUlSU_E_NS1_11comp_targetILNS1_3genE9ELNS1_11target_archE1100ELNS1_3gpuE3ELNS1_3repE0EEENS1_30default_config_static_selectorELNS0_4arch9wavefront6targetE1EEEvT1_
	.globl	_ZN7rocprim17ROCPRIM_400000_NS6detail17trampoline_kernelINS0_14default_configENS1_27scan_by_key_config_selectorIssEEZZNS1_16scan_by_key_implILNS1_25lookback_scan_determinismE0ELb0ES3_N6thrust23THRUST_200600_302600_NS6detail15normal_iteratorINS9_10device_ptrIsEEEESE_SE_sNS9_10multipliesIsEENS9_8equal_toIsEEsEE10hipError_tPvRmT2_T3_T4_T5_mT6_T7_P12ihipStream_tbENKUlT_T0_E_clISt17integral_constantIbLb0EESZ_EEDaSU_SV_EUlSU_E_NS1_11comp_targetILNS1_3genE9ELNS1_11target_archE1100ELNS1_3gpuE3ELNS1_3repE0EEENS1_30default_config_static_selectorELNS0_4arch9wavefront6targetE1EEEvT1_
	.p2align	8
	.type	_ZN7rocprim17ROCPRIM_400000_NS6detail17trampoline_kernelINS0_14default_configENS1_27scan_by_key_config_selectorIssEEZZNS1_16scan_by_key_implILNS1_25lookback_scan_determinismE0ELb0ES3_N6thrust23THRUST_200600_302600_NS6detail15normal_iteratorINS9_10device_ptrIsEEEESE_SE_sNS9_10multipliesIsEENS9_8equal_toIsEEsEE10hipError_tPvRmT2_T3_T4_T5_mT6_T7_P12ihipStream_tbENKUlT_T0_E_clISt17integral_constantIbLb0EESZ_EEDaSU_SV_EUlSU_E_NS1_11comp_targetILNS1_3genE9ELNS1_11target_archE1100ELNS1_3gpuE3ELNS1_3repE0EEENS1_30default_config_static_selectorELNS0_4arch9wavefront6targetE1EEEvT1_,@function
_ZN7rocprim17ROCPRIM_400000_NS6detail17trampoline_kernelINS0_14default_configENS1_27scan_by_key_config_selectorIssEEZZNS1_16scan_by_key_implILNS1_25lookback_scan_determinismE0ELb0ES3_N6thrust23THRUST_200600_302600_NS6detail15normal_iteratorINS9_10device_ptrIsEEEESE_SE_sNS9_10multipliesIsEENS9_8equal_toIsEEsEE10hipError_tPvRmT2_T3_T4_T5_mT6_T7_P12ihipStream_tbENKUlT_T0_E_clISt17integral_constantIbLb0EESZ_EEDaSU_SV_EUlSU_E_NS1_11comp_targetILNS1_3genE9ELNS1_11target_archE1100ELNS1_3gpuE3ELNS1_3repE0EEENS1_30default_config_static_selectorELNS0_4arch9wavefront6targetE1EEEvT1_: ; @_ZN7rocprim17ROCPRIM_400000_NS6detail17trampoline_kernelINS0_14default_configENS1_27scan_by_key_config_selectorIssEEZZNS1_16scan_by_key_implILNS1_25lookback_scan_determinismE0ELb0ES3_N6thrust23THRUST_200600_302600_NS6detail15normal_iteratorINS9_10device_ptrIsEEEESE_SE_sNS9_10multipliesIsEENS9_8equal_toIsEEsEE10hipError_tPvRmT2_T3_T4_T5_mT6_T7_P12ihipStream_tbENKUlT_T0_E_clISt17integral_constantIbLb0EESZ_EEDaSU_SV_EUlSU_E_NS1_11comp_targetILNS1_3genE9ELNS1_11target_archE1100ELNS1_3gpuE3ELNS1_3repE0EEENS1_30default_config_static_selectorELNS0_4arch9wavefront6targetE1EEEvT1_
; %bb.0:
	.section	.rodata,"a",@progbits
	.p2align	6, 0x0
	.amdhsa_kernel _ZN7rocprim17ROCPRIM_400000_NS6detail17trampoline_kernelINS0_14default_configENS1_27scan_by_key_config_selectorIssEEZZNS1_16scan_by_key_implILNS1_25lookback_scan_determinismE0ELb0ES3_N6thrust23THRUST_200600_302600_NS6detail15normal_iteratorINS9_10device_ptrIsEEEESE_SE_sNS9_10multipliesIsEENS9_8equal_toIsEEsEE10hipError_tPvRmT2_T3_T4_T5_mT6_T7_P12ihipStream_tbENKUlT_T0_E_clISt17integral_constantIbLb0EESZ_EEDaSU_SV_EUlSU_E_NS1_11comp_targetILNS1_3genE9ELNS1_11target_archE1100ELNS1_3gpuE3ELNS1_3repE0EEENS1_30default_config_static_selectorELNS0_4arch9wavefront6targetE1EEEvT1_
		.amdhsa_group_segment_fixed_size 0
		.amdhsa_private_segment_fixed_size 0
		.amdhsa_kernarg_size 112
		.amdhsa_user_sgpr_count 2
		.amdhsa_user_sgpr_dispatch_ptr 0
		.amdhsa_user_sgpr_queue_ptr 0
		.amdhsa_user_sgpr_kernarg_segment_ptr 1
		.amdhsa_user_sgpr_dispatch_id 0
		.amdhsa_user_sgpr_kernarg_preload_length 0
		.amdhsa_user_sgpr_kernarg_preload_offset 0
		.amdhsa_user_sgpr_private_segment_size 0
		.amdhsa_uses_dynamic_stack 0
		.amdhsa_enable_private_segment 0
		.amdhsa_system_sgpr_workgroup_id_x 1
		.amdhsa_system_sgpr_workgroup_id_y 0
		.amdhsa_system_sgpr_workgroup_id_z 0
		.amdhsa_system_sgpr_workgroup_info 0
		.amdhsa_system_vgpr_workitem_id 0
		.amdhsa_next_free_vgpr 1
		.amdhsa_next_free_sgpr 0
		.amdhsa_accum_offset 4
		.amdhsa_reserve_vcc 0
		.amdhsa_float_round_mode_32 0
		.amdhsa_float_round_mode_16_64 0
		.amdhsa_float_denorm_mode_32 3
		.amdhsa_float_denorm_mode_16_64 3
		.amdhsa_dx10_clamp 1
		.amdhsa_ieee_mode 1
		.amdhsa_fp16_overflow 0
		.amdhsa_tg_split 0
		.amdhsa_exception_fp_ieee_invalid_op 0
		.amdhsa_exception_fp_denorm_src 0
		.amdhsa_exception_fp_ieee_div_zero 0
		.amdhsa_exception_fp_ieee_overflow 0
		.amdhsa_exception_fp_ieee_underflow 0
		.amdhsa_exception_fp_ieee_inexact 0
		.amdhsa_exception_int_div_zero 0
	.end_amdhsa_kernel
	.section	.text._ZN7rocprim17ROCPRIM_400000_NS6detail17trampoline_kernelINS0_14default_configENS1_27scan_by_key_config_selectorIssEEZZNS1_16scan_by_key_implILNS1_25lookback_scan_determinismE0ELb0ES3_N6thrust23THRUST_200600_302600_NS6detail15normal_iteratorINS9_10device_ptrIsEEEESE_SE_sNS9_10multipliesIsEENS9_8equal_toIsEEsEE10hipError_tPvRmT2_T3_T4_T5_mT6_T7_P12ihipStream_tbENKUlT_T0_E_clISt17integral_constantIbLb0EESZ_EEDaSU_SV_EUlSU_E_NS1_11comp_targetILNS1_3genE9ELNS1_11target_archE1100ELNS1_3gpuE3ELNS1_3repE0EEENS1_30default_config_static_selectorELNS0_4arch9wavefront6targetE1EEEvT1_,"axG",@progbits,_ZN7rocprim17ROCPRIM_400000_NS6detail17trampoline_kernelINS0_14default_configENS1_27scan_by_key_config_selectorIssEEZZNS1_16scan_by_key_implILNS1_25lookback_scan_determinismE0ELb0ES3_N6thrust23THRUST_200600_302600_NS6detail15normal_iteratorINS9_10device_ptrIsEEEESE_SE_sNS9_10multipliesIsEENS9_8equal_toIsEEsEE10hipError_tPvRmT2_T3_T4_T5_mT6_T7_P12ihipStream_tbENKUlT_T0_E_clISt17integral_constantIbLb0EESZ_EEDaSU_SV_EUlSU_E_NS1_11comp_targetILNS1_3genE9ELNS1_11target_archE1100ELNS1_3gpuE3ELNS1_3repE0EEENS1_30default_config_static_selectorELNS0_4arch9wavefront6targetE1EEEvT1_,comdat
.Lfunc_end288:
	.size	_ZN7rocprim17ROCPRIM_400000_NS6detail17trampoline_kernelINS0_14default_configENS1_27scan_by_key_config_selectorIssEEZZNS1_16scan_by_key_implILNS1_25lookback_scan_determinismE0ELb0ES3_N6thrust23THRUST_200600_302600_NS6detail15normal_iteratorINS9_10device_ptrIsEEEESE_SE_sNS9_10multipliesIsEENS9_8equal_toIsEEsEE10hipError_tPvRmT2_T3_T4_T5_mT6_T7_P12ihipStream_tbENKUlT_T0_E_clISt17integral_constantIbLb0EESZ_EEDaSU_SV_EUlSU_E_NS1_11comp_targetILNS1_3genE9ELNS1_11target_archE1100ELNS1_3gpuE3ELNS1_3repE0EEENS1_30default_config_static_selectorELNS0_4arch9wavefront6targetE1EEEvT1_, .Lfunc_end288-_ZN7rocprim17ROCPRIM_400000_NS6detail17trampoline_kernelINS0_14default_configENS1_27scan_by_key_config_selectorIssEEZZNS1_16scan_by_key_implILNS1_25lookback_scan_determinismE0ELb0ES3_N6thrust23THRUST_200600_302600_NS6detail15normal_iteratorINS9_10device_ptrIsEEEESE_SE_sNS9_10multipliesIsEENS9_8equal_toIsEEsEE10hipError_tPvRmT2_T3_T4_T5_mT6_T7_P12ihipStream_tbENKUlT_T0_E_clISt17integral_constantIbLb0EESZ_EEDaSU_SV_EUlSU_E_NS1_11comp_targetILNS1_3genE9ELNS1_11target_archE1100ELNS1_3gpuE3ELNS1_3repE0EEENS1_30default_config_static_selectorELNS0_4arch9wavefront6targetE1EEEvT1_
                                        ; -- End function
	.section	.AMDGPU.csdata,"",@progbits
; Kernel info:
; codeLenInByte = 0
; NumSgprs: 6
; NumVgprs: 0
; NumAgprs: 0
; TotalNumVgprs: 0
; ScratchSize: 0
; MemoryBound: 0
; FloatMode: 240
; IeeeMode: 1
; LDSByteSize: 0 bytes/workgroup (compile time only)
; SGPRBlocks: 0
; VGPRBlocks: 0
; NumSGPRsForWavesPerEU: 6
; NumVGPRsForWavesPerEU: 1
; AccumOffset: 4
; Occupancy: 8
; WaveLimiterHint : 0
; COMPUTE_PGM_RSRC2:SCRATCH_EN: 0
; COMPUTE_PGM_RSRC2:USER_SGPR: 2
; COMPUTE_PGM_RSRC2:TRAP_HANDLER: 0
; COMPUTE_PGM_RSRC2:TGID_X_EN: 1
; COMPUTE_PGM_RSRC2:TGID_Y_EN: 0
; COMPUTE_PGM_RSRC2:TGID_Z_EN: 0
; COMPUTE_PGM_RSRC2:TIDIG_COMP_CNT: 0
; COMPUTE_PGM_RSRC3_GFX90A:ACCUM_OFFSET: 0
; COMPUTE_PGM_RSRC3_GFX90A:TG_SPLIT: 0
	.section	.text._ZN7rocprim17ROCPRIM_400000_NS6detail17trampoline_kernelINS0_14default_configENS1_27scan_by_key_config_selectorIssEEZZNS1_16scan_by_key_implILNS1_25lookback_scan_determinismE0ELb0ES3_N6thrust23THRUST_200600_302600_NS6detail15normal_iteratorINS9_10device_ptrIsEEEESE_SE_sNS9_10multipliesIsEENS9_8equal_toIsEEsEE10hipError_tPvRmT2_T3_T4_T5_mT6_T7_P12ihipStream_tbENKUlT_T0_E_clISt17integral_constantIbLb0EESZ_EEDaSU_SV_EUlSU_E_NS1_11comp_targetILNS1_3genE8ELNS1_11target_archE1030ELNS1_3gpuE2ELNS1_3repE0EEENS1_30default_config_static_selectorELNS0_4arch9wavefront6targetE1EEEvT1_,"axG",@progbits,_ZN7rocprim17ROCPRIM_400000_NS6detail17trampoline_kernelINS0_14default_configENS1_27scan_by_key_config_selectorIssEEZZNS1_16scan_by_key_implILNS1_25lookback_scan_determinismE0ELb0ES3_N6thrust23THRUST_200600_302600_NS6detail15normal_iteratorINS9_10device_ptrIsEEEESE_SE_sNS9_10multipliesIsEENS9_8equal_toIsEEsEE10hipError_tPvRmT2_T3_T4_T5_mT6_T7_P12ihipStream_tbENKUlT_T0_E_clISt17integral_constantIbLb0EESZ_EEDaSU_SV_EUlSU_E_NS1_11comp_targetILNS1_3genE8ELNS1_11target_archE1030ELNS1_3gpuE2ELNS1_3repE0EEENS1_30default_config_static_selectorELNS0_4arch9wavefront6targetE1EEEvT1_,comdat
	.protected	_ZN7rocprim17ROCPRIM_400000_NS6detail17trampoline_kernelINS0_14default_configENS1_27scan_by_key_config_selectorIssEEZZNS1_16scan_by_key_implILNS1_25lookback_scan_determinismE0ELb0ES3_N6thrust23THRUST_200600_302600_NS6detail15normal_iteratorINS9_10device_ptrIsEEEESE_SE_sNS9_10multipliesIsEENS9_8equal_toIsEEsEE10hipError_tPvRmT2_T3_T4_T5_mT6_T7_P12ihipStream_tbENKUlT_T0_E_clISt17integral_constantIbLb0EESZ_EEDaSU_SV_EUlSU_E_NS1_11comp_targetILNS1_3genE8ELNS1_11target_archE1030ELNS1_3gpuE2ELNS1_3repE0EEENS1_30default_config_static_selectorELNS0_4arch9wavefront6targetE1EEEvT1_ ; -- Begin function _ZN7rocprim17ROCPRIM_400000_NS6detail17trampoline_kernelINS0_14default_configENS1_27scan_by_key_config_selectorIssEEZZNS1_16scan_by_key_implILNS1_25lookback_scan_determinismE0ELb0ES3_N6thrust23THRUST_200600_302600_NS6detail15normal_iteratorINS9_10device_ptrIsEEEESE_SE_sNS9_10multipliesIsEENS9_8equal_toIsEEsEE10hipError_tPvRmT2_T3_T4_T5_mT6_T7_P12ihipStream_tbENKUlT_T0_E_clISt17integral_constantIbLb0EESZ_EEDaSU_SV_EUlSU_E_NS1_11comp_targetILNS1_3genE8ELNS1_11target_archE1030ELNS1_3gpuE2ELNS1_3repE0EEENS1_30default_config_static_selectorELNS0_4arch9wavefront6targetE1EEEvT1_
	.globl	_ZN7rocprim17ROCPRIM_400000_NS6detail17trampoline_kernelINS0_14default_configENS1_27scan_by_key_config_selectorIssEEZZNS1_16scan_by_key_implILNS1_25lookback_scan_determinismE0ELb0ES3_N6thrust23THRUST_200600_302600_NS6detail15normal_iteratorINS9_10device_ptrIsEEEESE_SE_sNS9_10multipliesIsEENS9_8equal_toIsEEsEE10hipError_tPvRmT2_T3_T4_T5_mT6_T7_P12ihipStream_tbENKUlT_T0_E_clISt17integral_constantIbLb0EESZ_EEDaSU_SV_EUlSU_E_NS1_11comp_targetILNS1_3genE8ELNS1_11target_archE1030ELNS1_3gpuE2ELNS1_3repE0EEENS1_30default_config_static_selectorELNS0_4arch9wavefront6targetE1EEEvT1_
	.p2align	8
	.type	_ZN7rocprim17ROCPRIM_400000_NS6detail17trampoline_kernelINS0_14default_configENS1_27scan_by_key_config_selectorIssEEZZNS1_16scan_by_key_implILNS1_25lookback_scan_determinismE0ELb0ES3_N6thrust23THRUST_200600_302600_NS6detail15normal_iteratorINS9_10device_ptrIsEEEESE_SE_sNS9_10multipliesIsEENS9_8equal_toIsEEsEE10hipError_tPvRmT2_T3_T4_T5_mT6_T7_P12ihipStream_tbENKUlT_T0_E_clISt17integral_constantIbLb0EESZ_EEDaSU_SV_EUlSU_E_NS1_11comp_targetILNS1_3genE8ELNS1_11target_archE1030ELNS1_3gpuE2ELNS1_3repE0EEENS1_30default_config_static_selectorELNS0_4arch9wavefront6targetE1EEEvT1_,@function
_ZN7rocprim17ROCPRIM_400000_NS6detail17trampoline_kernelINS0_14default_configENS1_27scan_by_key_config_selectorIssEEZZNS1_16scan_by_key_implILNS1_25lookback_scan_determinismE0ELb0ES3_N6thrust23THRUST_200600_302600_NS6detail15normal_iteratorINS9_10device_ptrIsEEEESE_SE_sNS9_10multipliesIsEENS9_8equal_toIsEEsEE10hipError_tPvRmT2_T3_T4_T5_mT6_T7_P12ihipStream_tbENKUlT_T0_E_clISt17integral_constantIbLb0EESZ_EEDaSU_SV_EUlSU_E_NS1_11comp_targetILNS1_3genE8ELNS1_11target_archE1030ELNS1_3gpuE2ELNS1_3repE0EEENS1_30default_config_static_selectorELNS0_4arch9wavefront6targetE1EEEvT1_: ; @_ZN7rocprim17ROCPRIM_400000_NS6detail17trampoline_kernelINS0_14default_configENS1_27scan_by_key_config_selectorIssEEZZNS1_16scan_by_key_implILNS1_25lookback_scan_determinismE0ELb0ES3_N6thrust23THRUST_200600_302600_NS6detail15normal_iteratorINS9_10device_ptrIsEEEESE_SE_sNS9_10multipliesIsEENS9_8equal_toIsEEsEE10hipError_tPvRmT2_T3_T4_T5_mT6_T7_P12ihipStream_tbENKUlT_T0_E_clISt17integral_constantIbLb0EESZ_EEDaSU_SV_EUlSU_E_NS1_11comp_targetILNS1_3genE8ELNS1_11target_archE1030ELNS1_3gpuE2ELNS1_3repE0EEENS1_30default_config_static_selectorELNS0_4arch9wavefront6targetE1EEEvT1_
; %bb.0:
	.section	.rodata,"a",@progbits
	.p2align	6, 0x0
	.amdhsa_kernel _ZN7rocprim17ROCPRIM_400000_NS6detail17trampoline_kernelINS0_14default_configENS1_27scan_by_key_config_selectorIssEEZZNS1_16scan_by_key_implILNS1_25lookback_scan_determinismE0ELb0ES3_N6thrust23THRUST_200600_302600_NS6detail15normal_iteratorINS9_10device_ptrIsEEEESE_SE_sNS9_10multipliesIsEENS9_8equal_toIsEEsEE10hipError_tPvRmT2_T3_T4_T5_mT6_T7_P12ihipStream_tbENKUlT_T0_E_clISt17integral_constantIbLb0EESZ_EEDaSU_SV_EUlSU_E_NS1_11comp_targetILNS1_3genE8ELNS1_11target_archE1030ELNS1_3gpuE2ELNS1_3repE0EEENS1_30default_config_static_selectorELNS0_4arch9wavefront6targetE1EEEvT1_
		.amdhsa_group_segment_fixed_size 0
		.amdhsa_private_segment_fixed_size 0
		.amdhsa_kernarg_size 112
		.amdhsa_user_sgpr_count 2
		.amdhsa_user_sgpr_dispatch_ptr 0
		.amdhsa_user_sgpr_queue_ptr 0
		.amdhsa_user_sgpr_kernarg_segment_ptr 1
		.amdhsa_user_sgpr_dispatch_id 0
		.amdhsa_user_sgpr_kernarg_preload_length 0
		.amdhsa_user_sgpr_kernarg_preload_offset 0
		.amdhsa_user_sgpr_private_segment_size 0
		.amdhsa_uses_dynamic_stack 0
		.amdhsa_enable_private_segment 0
		.amdhsa_system_sgpr_workgroup_id_x 1
		.amdhsa_system_sgpr_workgroup_id_y 0
		.amdhsa_system_sgpr_workgroup_id_z 0
		.amdhsa_system_sgpr_workgroup_info 0
		.amdhsa_system_vgpr_workitem_id 0
		.amdhsa_next_free_vgpr 1
		.amdhsa_next_free_sgpr 0
		.amdhsa_accum_offset 4
		.amdhsa_reserve_vcc 0
		.amdhsa_float_round_mode_32 0
		.amdhsa_float_round_mode_16_64 0
		.amdhsa_float_denorm_mode_32 3
		.amdhsa_float_denorm_mode_16_64 3
		.amdhsa_dx10_clamp 1
		.amdhsa_ieee_mode 1
		.amdhsa_fp16_overflow 0
		.amdhsa_tg_split 0
		.amdhsa_exception_fp_ieee_invalid_op 0
		.amdhsa_exception_fp_denorm_src 0
		.amdhsa_exception_fp_ieee_div_zero 0
		.amdhsa_exception_fp_ieee_overflow 0
		.amdhsa_exception_fp_ieee_underflow 0
		.amdhsa_exception_fp_ieee_inexact 0
		.amdhsa_exception_int_div_zero 0
	.end_amdhsa_kernel
	.section	.text._ZN7rocprim17ROCPRIM_400000_NS6detail17trampoline_kernelINS0_14default_configENS1_27scan_by_key_config_selectorIssEEZZNS1_16scan_by_key_implILNS1_25lookback_scan_determinismE0ELb0ES3_N6thrust23THRUST_200600_302600_NS6detail15normal_iteratorINS9_10device_ptrIsEEEESE_SE_sNS9_10multipliesIsEENS9_8equal_toIsEEsEE10hipError_tPvRmT2_T3_T4_T5_mT6_T7_P12ihipStream_tbENKUlT_T0_E_clISt17integral_constantIbLb0EESZ_EEDaSU_SV_EUlSU_E_NS1_11comp_targetILNS1_3genE8ELNS1_11target_archE1030ELNS1_3gpuE2ELNS1_3repE0EEENS1_30default_config_static_selectorELNS0_4arch9wavefront6targetE1EEEvT1_,"axG",@progbits,_ZN7rocprim17ROCPRIM_400000_NS6detail17trampoline_kernelINS0_14default_configENS1_27scan_by_key_config_selectorIssEEZZNS1_16scan_by_key_implILNS1_25lookback_scan_determinismE0ELb0ES3_N6thrust23THRUST_200600_302600_NS6detail15normal_iteratorINS9_10device_ptrIsEEEESE_SE_sNS9_10multipliesIsEENS9_8equal_toIsEEsEE10hipError_tPvRmT2_T3_T4_T5_mT6_T7_P12ihipStream_tbENKUlT_T0_E_clISt17integral_constantIbLb0EESZ_EEDaSU_SV_EUlSU_E_NS1_11comp_targetILNS1_3genE8ELNS1_11target_archE1030ELNS1_3gpuE2ELNS1_3repE0EEENS1_30default_config_static_selectorELNS0_4arch9wavefront6targetE1EEEvT1_,comdat
.Lfunc_end289:
	.size	_ZN7rocprim17ROCPRIM_400000_NS6detail17trampoline_kernelINS0_14default_configENS1_27scan_by_key_config_selectorIssEEZZNS1_16scan_by_key_implILNS1_25lookback_scan_determinismE0ELb0ES3_N6thrust23THRUST_200600_302600_NS6detail15normal_iteratorINS9_10device_ptrIsEEEESE_SE_sNS9_10multipliesIsEENS9_8equal_toIsEEsEE10hipError_tPvRmT2_T3_T4_T5_mT6_T7_P12ihipStream_tbENKUlT_T0_E_clISt17integral_constantIbLb0EESZ_EEDaSU_SV_EUlSU_E_NS1_11comp_targetILNS1_3genE8ELNS1_11target_archE1030ELNS1_3gpuE2ELNS1_3repE0EEENS1_30default_config_static_selectorELNS0_4arch9wavefront6targetE1EEEvT1_, .Lfunc_end289-_ZN7rocprim17ROCPRIM_400000_NS6detail17trampoline_kernelINS0_14default_configENS1_27scan_by_key_config_selectorIssEEZZNS1_16scan_by_key_implILNS1_25lookback_scan_determinismE0ELb0ES3_N6thrust23THRUST_200600_302600_NS6detail15normal_iteratorINS9_10device_ptrIsEEEESE_SE_sNS9_10multipliesIsEENS9_8equal_toIsEEsEE10hipError_tPvRmT2_T3_T4_T5_mT6_T7_P12ihipStream_tbENKUlT_T0_E_clISt17integral_constantIbLb0EESZ_EEDaSU_SV_EUlSU_E_NS1_11comp_targetILNS1_3genE8ELNS1_11target_archE1030ELNS1_3gpuE2ELNS1_3repE0EEENS1_30default_config_static_selectorELNS0_4arch9wavefront6targetE1EEEvT1_
                                        ; -- End function
	.section	.AMDGPU.csdata,"",@progbits
; Kernel info:
; codeLenInByte = 0
; NumSgprs: 6
; NumVgprs: 0
; NumAgprs: 0
; TotalNumVgprs: 0
; ScratchSize: 0
; MemoryBound: 0
; FloatMode: 240
; IeeeMode: 1
; LDSByteSize: 0 bytes/workgroup (compile time only)
; SGPRBlocks: 0
; VGPRBlocks: 0
; NumSGPRsForWavesPerEU: 6
; NumVGPRsForWavesPerEU: 1
; AccumOffset: 4
; Occupancy: 8
; WaveLimiterHint : 0
; COMPUTE_PGM_RSRC2:SCRATCH_EN: 0
; COMPUTE_PGM_RSRC2:USER_SGPR: 2
; COMPUTE_PGM_RSRC2:TRAP_HANDLER: 0
; COMPUTE_PGM_RSRC2:TGID_X_EN: 1
; COMPUTE_PGM_RSRC2:TGID_Y_EN: 0
; COMPUTE_PGM_RSRC2:TGID_Z_EN: 0
; COMPUTE_PGM_RSRC2:TIDIG_COMP_CNT: 0
; COMPUTE_PGM_RSRC3_GFX90A:ACCUM_OFFSET: 0
; COMPUTE_PGM_RSRC3_GFX90A:TG_SPLIT: 0
	.section	.text._ZN7rocprim17ROCPRIM_400000_NS6detail17trampoline_kernelINS0_14default_configENS1_27scan_by_key_config_selectorIssEEZZNS1_16scan_by_key_implILNS1_25lookback_scan_determinismE0ELb0ES3_N6thrust23THRUST_200600_302600_NS6detail15normal_iteratorINS9_10device_ptrIsEEEESE_SE_sNS9_10multipliesIsEENS9_8equal_toIsEEsEE10hipError_tPvRmT2_T3_T4_T5_mT6_T7_P12ihipStream_tbENKUlT_T0_E_clISt17integral_constantIbLb1EESZ_EEDaSU_SV_EUlSU_E_NS1_11comp_targetILNS1_3genE0ELNS1_11target_archE4294967295ELNS1_3gpuE0ELNS1_3repE0EEENS1_30default_config_static_selectorELNS0_4arch9wavefront6targetE1EEEvT1_,"axG",@progbits,_ZN7rocprim17ROCPRIM_400000_NS6detail17trampoline_kernelINS0_14default_configENS1_27scan_by_key_config_selectorIssEEZZNS1_16scan_by_key_implILNS1_25lookback_scan_determinismE0ELb0ES3_N6thrust23THRUST_200600_302600_NS6detail15normal_iteratorINS9_10device_ptrIsEEEESE_SE_sNS9_10multipliesIsEENS9_8equal_toIsEEsEE10hipError_tPvRmT2_T3_T4_T5_mT6_T7_P12ihipStream_tbENKUlT_T0_E_clISt17integral_constantIbLb1EESZ_EEDaSU_SV_EUlSU_E_NS1_11comp_targetILNS1_3genE0ELNS1_11target_archE4294967295ELNS1_3gpuE0ELNS1_3repE0EEENS1_30default_config_static_selectorELNS0_4arch9wavefront6targetE1EEEvT1_,comdat
	.protected	_ZN7rocprim17ROCPRIM_400000_NS6detail17trampoline_kernelINS0_14default_configENS1_27scan_by_key_config_selectorIssEEZZNS1_16scan_by_key_implILNS1_25lookback_scan_determinismE0ELb0ES3_N6thrust23THRUST_200600_302600_NS6detail15normal_iteratorINS9_10device_ptrIsEEEESE_SE_sNS9_10multipliesIsEENS9_8equal_toIsEEsEE10hipError_tPvRmT2_T3_T4_T5_mT6_T7_P12ihipStream_tbENKUlT_T0_E_clISt17integral_constantIbLb1EESZ_EEDaSU_SV_EUlSU_E_NS1_11comp_targetILNS1_3genE0ELNS1_11target_archE4294967295ELNS1_3gpuE0ELNS1_3repE0EEENS1_30default_config_static_selectorELNS0_4arch9wavefront6targetE1EEEvT1_ ; -- Begin function _ZN7rocprim17ROCPRIM_400000_NS6detail17trampoline_kernelINS0_14default_configENS1_27scan_by_key_config_selectorIssEEZZNS1_16scan_by_key_implILNS1_25lookback_scan_determinismE0ELb0ES3_N6thrust23THRUST_200600_302600_NS6detail15normal_iteratorINS9_10device_ptrIsEEEESE_SE_sNS9_10multipliesIsEENS9_8equal_toIsEEsEE10hipError_tPvRmT2_T3_T4_T5_mT6_T7_P12ihipStream_tbENKUlT_T0_E_clISt17integral_constantIbLb1EESZ_EEDaSU_SV_EUlSU_E_NS1_11comp_targetILNS1_3genE0ELNS1_11target_archE4294967295ELNS1_3gpuE0ELNS1_3repE0EEENS1_30default_config_static_selectorELNS0_4arch9wavefront6targetE1EEEvT1_
	.globl	_ZN7rocprim17ROCPRIM_400000_NS6detail17trampoline_kernelINS0_14default_configENS1_27scan_by_key_config_selectorIssEEZZNS1_16scan_by_key_implILNS1_25lookback_scan_determinismE0ELb0ES3_N6thrust23THRUST_200600_302600_NS6detail15normal_iteratorINS9_10device_ptrIsEEEESE_SE_sNS9_10multipliesIsEENS9_8equal_toIsEEsEE10hipError_tPvRmT2_T3_T4_T5_mT6_T7_P12ihipStream_tbENKUlT_T0_E_clISt17integral_constantIbLb1EESZ_EEDaSU_SV_EUlSU_E_NS1_11comp_targetILNS1_3genE0ELNS1_11target_archE4294967295ELNS1_3gpuE0ELNS1_3repE0EEENS1_30default_config_static_selectorELNS0_4arch9wavefront6targetE1EEEvT1_
	.p2align	8
	.type	_ZN7rocprim17ROCPRIM_400000_NS6detail17trampoline_kernelINS0_14default_configENS1_27scan_by_key_config_selectorIssEEZZNS1_16scan_by_key_implILNS1_25lookback_scan_determinismE0ELb0ES3_N6thrust23THRUST_200600_302600_NS6detail15normal_iteratorINS9_10device_ptrIsEEEESE_SE_sNS9_10multipliesIsEENS9_8equal_toIsEEsEE10hipError_tPvRmT2_T3_T4_T5_mT6_T7_P12ihipStream_tbENKUlT_T0_E_clISt17integral_constantIbLb1EESZ_EEDaSU_SV_EUlSU_E_NS1_11comp_targetILNS1_3genE0ELNS1_11target_archE4294967295ELNS1_3gpuE0ELNS1_3repE0EEENS1_30default_config_static_selectorELNS0_4arch9wavefront6targetE1EEEvT1_,@function
_ZN7rocprim17ROCPRIM_400000_NS6detail17trampoline_kernelINS0_14default_configENS1_27scan_by_key_config_selectorIssEEZZNS1_16scan_by_key_implILNS1_25lookback_scan_determinismE0ELb0ES3_N6thrust23THRUST_200600_302600_NS6detail15normal_iteratorINS9_10device_ptrIsEEEESE_SE_sNS9_10multipliesIsEENS9_8equal_toIsEEsEE10hipError_tPvRmT2_T3_T4_T5_mT6_T7_P12ihipStream_tbENKUlT_T0_E_clISt17integral_constantIbLb1EESZ_EEDaSU_SV_EUlSU_E_NS1_11comp_targetILNS1_3genE0ELNS1_11target_archE4294967295ELNS1_3gpuE0ELNS1_3repE0EEENS1_30default_config_static_selectorELNS0_4arch9wavefront6targetE1EEEvT1_: ; @_ZN7rocprim17ROCPRIM_400000_NS6detail17trampoline_kernelINS0_14default_configENS1_27scan_by_key_config_selectorIssEEZZNS1_16scan_by_key_implILNS1_25lookback_scan_determinismE0ELb0ES3_N6thrust23THRUST_200600_302600_NS6detail15normal_iteratorINS9_10device_ptrIsEEEESE_SE_sNS9_10multipliesIsEENS9_8equal_toIsEEsEE10hipError_tPvRmT2_T3_T4_T5_mT6_T7_P12ihipStream_tbENKUlT_T0_E_clISt17integral_constantIbLb1EESZ_EEDaSU_SV_EUlSU_E_NS1_11comp_targetILNS1_3genE0ELNS1_11target_archE4294967295ELNS1_3gpuE0ELNS1_3repE0EEENS1_30default_config_static_selectorELNS0_4arch9wavefront6targetE1EEEvT1_
; %bb.0:
	.section	.rodata,"a",@progbits
	.p2align	6, 0x0
	.amdhsa_kernel _ZN7rocprim17ROCPRIM_400000_NS6detail17trampoline_kernelINS0_14default_configENS1_27scan_by_key_config_selectorIssEEZZNS1_16scan_by_key_implILNS1_25lookback_scan_determinismE0ELb0ES3_N6thrust23THRUST_200600_302600_NS6detail15normal_iteratorINS9_10device_ptrIsEEEESE_SE_sNS9_10multipliesIsEENS9_8equal_toIsEEsEE10hipError_tPvRmT2_T3_T4_T5_mT6_T7_P12ihipStream_tbENKUlT_T0_E_clISt17integral_constantIbLb1EESZ_EEDaSU_SV_EUlSU_E_NS1_11comp_targetILNS1_3genE0ELNS1_11target_archE4294967295ELNS1_3gpuE0ELNS1_3repE0EEENS1_30default_config_static_selectorELNS0_4arch9wavefront6targetE1EEEvT1_
		.amdhsa_group_segment_fixed_size 0
		.amdhsa_private_segment_fixed_size 0
		.amdhsa_kernarg_size 112
		.amdhsa_user_sgpr_count 2
		.amdhsa_user_sgpr_dispatch_ptr 0
		.amdhsa_user_sgpr_queue_ptr 0
		.amdhsa_user_sgpr_kernarg_segment_ptr 1
		.amdhsa_user_sgpr_dispatch_id 0
		.amdhsa_user_sgpr_kernarg_preload_length 0
		.amdhsa_user_sgpr_kernarg_preload_offset 0
		.amdhsa_user_sgpr_private_segment_size 0
		.amdhsa_uses_dynamic_stack 0
		.amdhsa_enable_private_segment 0
		.amdhsa_system_sgpr_workgroup_id_x 1
		.amdhsa_system_sgpr_workgroup_id_y 0
		.amdhsa_system_sgpr_workgroup_id_z 0
		.amdhsa_system_sgpr_workgroup_info 0
		.amdhsa_system_vgpr_workitem_id 0
		.amdhsa_next_free_vgpr 1
		.amdhsa_next_free_sgpr 0
		.amdhsa_accum_offset 4
		.amdhsa_reserve_vcc 0
		.amdhsa_float_round_mode_32 0
		.amdhsa_float_round_mode_16_64 0
		.amdhsa_float_denorm_mode_32 3
		.amdhsa_float_denorm_mode_16_64 3
		.amdhsa_dx10_clamp 1
		.amdhsa_ieee_mode 1
		.amdhsa_fp16_overflow 0
		.amdhsa_tg_split 0
		.amdhsa_exception_fp_ieee_invalid_op 0
		.amdhsa_exception_fp_denorm_src 0
		.amdhsa_exception_fp_ieee_div_zero 0
		.amdhsa_exception_fp_ieee_overflow 0
		.amdhsa_exception_fp_ieee_underflow 0
		.amdhsa_exception_fp_ieee_inexact 0
		.amdhsa_exception_int_div_zero 0
	.end_amdhsa_kernel
	.section	.text._ZN7rocprim17ROCPRIM_400000_NS6detail17trampoline_kernelINS0_14default_configENS1_27scan_by_key_config_selectorIssEEZZNS1_16scan_by_key_implILNS1_25lookback_scan_determinismE0ELb0ES3_N6thrust23THRUST_200600_302600_NS6detail15normal_iteratorINS9_10device_ptrIsEEEESE_SE_sNS9_10multipliesIsEENS9_8equal_toIsEEsEE10hipError_tPvRmT2_T3_T4_T5_mT6_T7_P12ihipStream_tbENKUlT_T0_E_clISt17integral_constantIbLb1EESZ_EEDaSU_SV_EUlSU_E_NS1_11comp_targetILNS1_3genE0ELNS1_11target_archE4294967295ELNS1_3gpuE0ELNS1_3repE0EEENS1_30default_config_static_selectorELNS0_4arch9wavefront6targetE1EEEvT1_,"axG",@progbits,_ZN7rocprim17ROCPRIM_400000_NS6detail17trampoline_kernelINS0_14default_configENS1_27scan_by_key_config_selectorIssEEZZNS1_16scan_by_key_implILNS1_25lookback_scan_determinismE0ELb0ES3_N6thrust23THRUST_200600_302600_NS6detail15normal_iteratorINS9_10device_ptrIsEEEESE_SE_sNS9_10multipliesIsEENS9_8equal_toIsEEsEE10hipError_tPvRmT2_T3_T4_T5_mT6_T7_P12ihipStream_tbENKUlT_T0_E_clISt17integral_constantIbLb1EESZ_EEDaSU_SV_EUlSU_E_NS1_11comp_targetILNS1_3genE0ELNS1_11target_archE4294967295ELNS1_3gpuE0ELNS1_3repE0EEENS1_30default_config_static_selectorELNS0_4arch9wavefront6targetE1EEEvT1_,comdat
.Lfunc_end290:
	.size	_ZN7rocprim17ROCPRIM_400000_NS6detail17trampoline_kernelINS0_14default_configENS1_27scan_by_key_config_selectorIssEEZZNS1_16scan_by_key_implILNS1_25lookback_scan_determinismE0ELb0ES3_N6thrust23THRUST_200600_302600_NS6detail15normal_iteratorINS9_10device_ptrIsEEEESE_SE_sNS9_10multipliesIsEENS9_8equal_toIsEEsEE10hipError_tPvRmT2_T3_T4_T5_mT6_T7_P12ihipStream_tbENKUlT_T0_E_clISt17integral_constantIbLb1EESZ_EEDaSU_SV_EUlSU_E_NS1_11comp_targetILNS1_3genE0ELNS1_11target_archE4294967295ELNS1_3gpuE0ELNS1_3repE0EEENS1_30default_config_static_selectorELNS0_4arch9wavefront6targetE1EEEvT1_, .Lfunc_end290-_ZN7rocprim17ROCPRIM_400000_NS6detail17trampoline_kernelINS0_14default_configENS1_27scan_by_key_config_selectorIssEEZZNS1_16scan_by_key_implILNS1_25lookback_scan_determinismE0ELb0ES3_N6thrust23THRUST_200600_302600_NS6detail15normal_iteratorINS9_10device_ptrIsEEEESE_SE_sNS9_10multipliesIsEENS9_8equal_toIsEEsEE10hipError_tPvRmT2_T3_T4_T5_mT6_T7_P12ihipStream_tbENKUlT_T0_E_clISt17integral_constantIbLb1EESZ_EEDaSU_SV_EUlSU_E_NS1_11comp_targetILNS1_3genE0ELNS1_11target_archE4294967295ELNS1_3gpuE0ELNS1_3repE0EEENS1_30default_config_static_selectorELNS0_4arch9wavefront6targetE1EEEvT1_
                                        ; -- End function
	.section	.AMDGPU.csdata,"",@progbits
; Kernel info:
; codeLenInByte = 0
; NumSgprs: 6
; NumVgprs: 0
; NumAgprs: 0
; TotalNumVgprs: 0
; ScratchSize: 0
; MemoryBound: 0
; FloatMode: 240
; IeeeMode: 1
; LDSByteSize: 0 bytes/workgroup (compile time only)
; SGPRBlocks: 0
; VGPRBlocks: 0
; NumSGPRsForWavesPerEU: 6
; NumVGPRsForWavesPerEU: 1
; AccumOffset: 4
; Occupancy: 8
; WaveLimiterHint : 0
; COMPUTE_PGM_RSRC2:SCRATCH_EN: 0
; COMPUTE_PGM_RSRC2:USER_SGPR: 2
; COMPUTE_PGM_RSRC2:TRAP_HANDLER: 0
; COMPUTE_PGM_RSRC2:TGID_X_EN: 1
; COMPUTE_PGM_RSRC2:TGID_Y_EN: 0
; COMPUTE_PGM_RSRC2:TGID_Z_EN: 0
; COMPUTE_PGM_RSRC2:TIDIG_COMP_CNT: 0
; COMPUTE_PGM_RSRC3_GFX90A:ACCUM_OFFSET: 0
; COMPUTE_PGM_RSRC3_GFX90A:TG_SPLIT: 0
	.section	.text._ZN7rocprim17ROCPRIM_400000_NS6detail17trampoline_kernelINS0_14default_configENS1_27scan_by_key_config_selectorIssEEZZNS1_16scan_by_key_implILNS1_25lookback_scan_determinismE0ELb0ES3_N6thrust23THRUST_200600_302600_NS6detail15normal_iteratorINS9_10device_ptrIsEEEESE_SE_sNS9_10multipliesIsEENS9_8equal_toIsEEsEE10hipError_tPvRmT2_T3_T4_T5_mT6_T7_P12ihipStream_tbENKUlT_T0_E_clISt17integral_constantIbLb1EESZ_EEDaSU_SV_EUlSU_E_NS1_11comp_targetILNS1_3genE10ELNS1_11target_archE1201ELNS1_3gpuE5ELNS1_3repE0EEENS1_30default_config_static_selectorELNS0_4arch9wavefront6targetE1EEEvT1_,"axG",@progbits,_ZN7rocprim17ROCPRIM_400000_NS6detail17trampoline_kernelINS0_14default_configENS1_27scan_by_key_config_selectorIssEEZZNS1_16scan_by_key_implILNS1_25lookback_scan_determinismE0ELb0ES3_N6thrust23THRUST_200600_302600_NS6detail15normal_iteratorINS9_10device_ptrIsEEEESE_SE_sNS9_10multipliesIsEENS9_8equal_toIsEEsEE10hipError_tPvRmT2_T3_T4_T5_mT6_T7_P12ihipStream_tbENKUlT_T0_E_clISt17integral_constantIbLb1EESZ_EEDaSU_SV_EUlSU_E_NS1_11comp_targetILNS1_3genE10ELNS1_11target_archE1201ELNS1_3gpuE5ELNS1_3repE0EEENS1_30default_config_static_selectorELNS0_4arch9wavefront6targetE1EEEvT1_,comdat
	.protected	_ZN7rocprim17ROCPRIM_400000_NS6detail17trampoline_kernelINS0_14default_configENS1_27scan_by_key_config_selectorIssEEZZNS1_16scan_by_key_implILNS1_25lookback_scan_determinismE0ELb0ES3_N6thrust23THRUST_200600_302600_NS6detail15normal_iteratorINS9_10device_ptrIsEEEESE_SE_sNS9_10multipliesIsEENS9_8equal_toIsEEsEE10hipError_tPvRmT2_T3_T4_T5_mT6_T7_P12ihipStream_tbENKUlT_T0_E_clISt17integral_constantIbLb1EESZ_EEDaSU_SV_EUlSU_E_NS1_11comp_targetILNS1_3genE10ELNS1_11target_archE1201ELNS1_3gpuE5ELNS1_3repE0EEENS1_30default_config_static_selectorELNS0_4arch9wavefront6targetE1EEEvT1_ ; -- Begin function _ZN7rocprim17ROCPRIM_400000_NS6detail17trampoline_kernelINS0_14default_configENS1_27scan_by_key_config_selectorIssEEZZNS1_16scan_by_key_implILNS1_25lookback_scan_determinismE0ELb0ES3_N6thrust23THRUST_200600_302600_NS6detail15normal_iteratorINS9_10device_ptrIsEEEESE_SE_sNS9_10multipliesIsEENS9_8equal_toIsEEsEE10hipError_tPvRmT2_T3_T4_T5_mT6_T7_P12ihipStream_tbENKUlT_T0_E_clISt17integral_constantIbLb1EESZ_EEDaSU_SV_EUlSU_E_NS1_11comp_targetILNS1_3genE10ELNS1_11target_archE1201ELNS1_3gpuE5ELNS1_3repE0EEENS1_30default_config_static_selectorELNS0_4arch9wavefront6targetE1EEEvT1_
	.globl	_ZN7rocprim17ROCPRIM_400000_NS6detail17trampoline_kernelINS0_14default_configENS1_27scan_by_key_config_selectorIssEEZZNS1_16scan_by_key_implILNS1_25lookback_scan_determinismE0ELb0ES3_N6thrust23THRUST_200600_302600_NS6detail15normal_iteratorINS9_10device_ptrIsEEEESE_SE_sNS9_10multipliesIsEENS9_8equal_toIsEEsEE10hipError_tPvRmT2_T3_T4_T5_mT6_T7_P12ihipStream_tbENKUlT_T0_E_clISt17integral_constantIbLb1EESZ_EEDaSU_SV_EUlSU_E_NS1_11comp_targetILNS1_3genE10ELNS1_11target_archE1201ELNS1_3gpuE5ELNS1_3repE0EEENS1_30default_config_static_selectorELNS0_4arch9wavefront6targetE1EEEvT1_
	.p2align	8
	.type	_ZN7rocprim17ROCPRIM_400000_NS6detail17trampoline_kernelINS0_14default_configENS1_27scan_by_key_config_selectorIssEEZZNS1_16scan_by_key_implILNS1_25lookback_scan_determinismE0ELb0ES3_N6thrust23THRUST_200600_302600_NS6detail15normal_iteratorINS9_10device_ptrIsEEEESE_SE_sNS9_10multipliesIsEENS9_8equal_toIsEEsEE10hipError_tPvRmT2_T3_T4_T5_mT6_T7_P12ihipStream_tbENKUlT_T0_E_clISt17integral_constantIbLb1EESZ_EEDaSU_SV_EUlSU_E_NS1_11comp_targetILNS1_3genE10ELNS1_11target_archE1201ELNS1_3gpuE5ELNS1_3repE0EEENS1_30default_config_static_selectorELNS0_4arch9wavefront6targetE1EEEvT1_,@function
_ZN7rocprim17ROCPRIM_400000_NS6detail17trampoline_kernelINS0_14default_configENS1_27scan_by_key_config_selectorIssEEZZNS1_16scan_by_key_implILNS1_25lookback_scan_determinismE0ELb0ES3_N6thrust23THRUST_200600_302600_NS6detail15normal_iteratorINS9_10device_ptrIsEEEESE_SE_sNS9_10multipliesIsEENS9_8equal_toIsEEsEE10hipError_tPvRmT2_T3_T4_T5_mT6_T7_P12ihipStream_tbENKUlT_T0_E_clISt17integral_constantIbLb1EESZ_EEDaSU_SV_EUlSU_E_NS1_11comp_targetILNS1_3genE10ELNS1_11target_archE1201ELNS1_3gpuE5ELNS1_3repE0EEENS1_30default_config_static_selectorELNS0_4arch9wavefront6targetE1EEEvT1_: ; @_ZN7rocprim17ROCPRIM_400000_NS6detail17trampoline_kernelINS0_14default_configENS1_27scan_by_key_config_selectorIssEEZZNS1_16scan_by_key_implILNS1_25lookback_scan_determinismE0ELb0ES3_N6thrust23THRUST_200600_302600_NS6detail15normal_iteratorINS9_10device_ptrIsEEEESE_SE_sNS9_10multipliesIsEENS9_8equal_toIsEEsEE10hipError_tPvRmT2_T3_T4_T5_mT6_T7_P12ihipStream_tbENKUlT_T0_E_clISt17integral_constantIbLb1EESZ_EEDaSU_SV_EUlSU_E_NS1_11comp_targetILNS1_3genE10ELNS1_11target_archE1201ELNS1_3gpuE5ELNS1_3repE0EEENS1_30default_config_static_selectorELNS0_4arch9wavefront6targetE1EEEvT1_
; %bb.0:
	.section	.rodata,"a",@progbits
	.p2align	6, 0x0
	.amdhsa_kernel _ZN7rocprim17ROCPRIM_400000_NS6detail17trampoline_kernelINS0_14default_configENS1_27scan_by_key_config_selectorIssEEZZNS1_16scan_by_key_implILNS1_25lookback_scan_determinismE0ELb0ES3_N6thrust23THRUST_200600_302600_NS6detail15normal_iteratorINS9_10device_ptrIsEEEESE_SE_sNS9_10multipliesIsEENS9_8equal_toIsEEsEE10hipError_tPvRmT2_T3_T4_T5_mT6_T7_P12ihipStream_tbENKUlT_T0_E_clISt17integral_constantIbLb1EESZ_EEDaSU_SV_EUlSU_E_NS1_11comp_targetILNS1_3genE10ELNS1_11target_archE1201ELNS1_3gpuE5ELNS1_3repE0EEENS1_30default_config_static_selectorELNS0_4arch9wavefront6targetE1EEEvT1_
		.amdhsa_group_segment_fixed_size 0
		.amdhsa_private_segment_fixed_size 0
		.amdhsa_kernarg_size 112
		.amdhsa_user_sgpr_count 2
		.amdhsa_user_sgpr_dispatch_ptr 0
		.amdhsa_user_sgpr_queue_ptr 0
		.amdhsa_user_sgpr_kernarg_segment_ptr 1
		.amdhsa_user_sgpr_dispatch_id 0
		.amdhsa_user_sgpr_kernarg_preload_length 0
		.amdhsa_user_sgpr_kernarg_preload_offset 0
		.amdhsa_user_sgpr_private_segment_size 0
		.amdhsa_uses_dynamic_stack 0
		.amdhsa_enable_private_segment 0
		.amdhsa_system_sgpr_workgroup_id_x 1
		.amdhsa_system_sgpr_workgroup_id_y 0
		.amdhsa_system_sgpr_workgroup_id_z 0
		.amdhsa_system_sgpr_workgroup_info 0
		.amdhsa_system_vgpr_workitem_id 0
		.amdhsa_next_free_vgpr 1
		.amdhsa_next_free_sgpr 0
		.amdhsa_accum_offset 4
		.amdhsa_reserve_vcc 0
		.amdhsa_float_round_mode_32 0
		.amdhsa_float_round_mode_16_64 0
		.amdhsa_float_denorm_mode_32 3
		.amdhsa_float_denorm_mode_16_64 3
		.amdhsa_dx10_clamp 1
		.amdhsa_ieee_mode 1
		.amdhsa_fp16_overflow 0
		.amdhsa_tg_split 0
		.amdhsa_exception_fp_ieee_invalid_op 0
		.amdhsa_exception_fp_denorm_src 0
		.amdhsa_exception_fp_ieee_div_zero 0
		.amdhsa_exception_fp_ieee_overflow 0
		.amdhsa_exception_fp_ieee_underflow 0
		.amdhsa_exception_fp_ieee_inexact 0
		.amdhsa_exception_int_div_zero 0
	.end_amdhsa_kernel
	.section	.text._ZN7rocprim17ROCPRIM_400000_NS6detail17trampoline_kernelINS0_14default_configENS1_27scan_by_key_config_selectorIssEEZZNS1_16scan_by_key_implILNS1_25lookback_scan_determinismE0ELb0ES3_N6thrust23THRUST_200600_302600_NS6detail15normal_iteratorINS9_10device_ptrIsEEEESE_SE_sNS9_10multipliesIsEENS9_8equal_toIsEEsEE10hipError_tPvRmT2_T3_T4_T5_mT6_T7_P12ihipStream_tbENKUlT_T0_E_clISt17integral_constantIbLb1EESZ_EEDaSU_SV_EUlSU_E_NS1_11comp_targetILNS1_3genE10ELNS1_11target_archE1201ELNS1_3gpuE5ELNS1_3repE0EEENS1_30default_config_static_selectorELNS0_4arch9wavefront6targetE1EEEvT1_,"axG",@progbits,_ZN7rocprim17ROCPRIM_400000_NS6detail17trampoline_kernelINS0_14default_configENS1_27scan_by_key_config_selectorIssEEZZNS1_16scan_by_key_implILNS1_25lookback_scan_determinismE0ELb0ES3_N6thrust23THRUST_200600_302600_NS6detail15normal_iteratorINS9_10device_ptrIsEEEESE_SE_sNS9_10multipliesIsEENS9_8equal_toIsEEsEE10hipError_tPvRmT2_T3_T4_T5_mT6_T7_P12ihipStream_tbENKUlT_T0_E_clISt17integral_constantIbLb1EESZ_EEDaSU_SV_EUlSU_E_NS1_11comp_targetILNS1_3genE10ELNS1_11target_archE1201ELNS1_3gpuE5ELNS1_3repE0EEENS1_30default_config_static_selectorELNS0_4arch9wavefront6targetE1EEEvT1_,comdat
.Lfunc_end291:
	.size	_ZN7rocprim17ROCPRIM_400000_NS6detail17trampoline_kernelINS0_14default_configENS1_27scan_by_key_config_selectorIssEEZZNS1_16scan_by_key_implILNS1_25lookback_scan_determinismE0ELb0ES3_N6thrust23THRUST_200600_302600_NS6detail15normal_iteratorINS9_10device_ptrIsEEEESE_SE_sNS9_10multipliesIsEENS9_8equal_toIsEEsEE10hipError_tPvRmT2_T3_T4_T5_mT6_T7_P12ihipStream_tbENKUlT_T0_E_clISt17integral_constantIbLb1EESZ_EEDaSU_SV_EUlSU_E_NS1_11comp_targetILNS1_3genE10ELNS1_11target_archE1201ELNS1_3gpuE5ELNS1_3repE0EEENS1_30default_config_static_selectorELNS0_4arch9wavefront6targetE1EEEvT1_, .Lfunc_end291-_ZN7rocprim17ROCPRIM_400000_NS6detail17trampoline_kernelINS0_14default_configENS1_27scan_by_key_config_selectorIssEEZZNS1_16scan_by_key_implILNS1_25lookback_scan_determinismE0ELb0ES3_N6thrust23THRUST_200600_302600_NS6detail15normal_iteratorINS9_10device_ptrIsEEEESE_SE_sNS9_10multipliesIsEENS9_8equal_toIsEEsEE10hipError_tPvRmT2_T3_T4_T5_mT6_T7_P12ihipStream_tbENKUlT_T0_E_clISt17integral_constantIbLb1EESZ_EEDaSU_SV_EUlSU_E_NS1_11comp_targetILNS1_3genE10ELNS1_11target_archE1201ELNS1_3gpuE5ELNS1_3repE0EEENS1_30default_config_static_selectorELNS0_4arch9wavefront6targetE1EEEvT1_
                                        ; -- End function
	.section	.AMDGPU.csdata,"",@progbits
; Kernel info:
; codeLenInByte = 0
; NumSgprs: 6
; NumVgprs: 0
; NumAgprs: 0
; TotalNumVgprs: 0
; ScratchSize: 0
; MemoryBound: 0
; FloatMode: 240
; IeeeMode: 1
; LDSByteSize: 0 bytes/workgroup (compile time only)
; SGPRBlocks: 0
; VGPRBlocks: 0
; NumSGPRsForWavesPerEU: 6
; NumVGPRsForWavesPerEU: 1
; AccumOffset: 4
; Occupancy: 8
; WaveLimiterHint : 0
; COMPUTE_PGM_RSRC2:SCRATCH_EN: 0
; COMPUTE_PGM_RSRC2:USER_SGPR: 2
; COMPUTE_PGM_RSRC2:TRAP_HANDLER: 0
; COMPUTE_PGM_RSRC2:TGID_X_EN: 1
; COMPUTE_PGM_RSRC2:TGID_Y_EN: 0
; COMPUTE_PGM_RSRC2:TGID_Z_EN: 0
; COMPUTE_PGM_RSRC2:TIDIG_COMP_CNT: 0
; COMPUTE_PGM_RSRC3_GFX90A:ACCUM_OFFSET: 0
; COMPUTE_PGM_RSRC3_GFX90A:TG_SPLIT: 0
	.section	.text._ZN7rocprim17ROCPRIM_400000_NS6detail17trampoline_kernelINS0_14default_configENS1_27scan_by_key_config_selectorIssEEZZNS1_16scan_by_key_implILNS1_25lookback_scan_determinismE0ELb0ES3_N6thrust23THRUST_200600_302600_NS6detail15normal_iteratorINS9_10device_ptrIsEEEESE_SE_sNS9_10multipliesIsEENS9_8equal_toIsEEsEE10hipError_tPvRmT2_T3_T4_T5_mT6_T7_P12ihipStream_tbENKUlT_T0_E_clISt17integral_constantIbLb1EESZ_EEDaSU_SV_EUlSU_E_NS1_11comp_targetILNS1_3genE5ELNS1_11target_archE942ELNS1_3gpuE9ELNS1_3repE0EEENS1_30default_config_static_selectorELNS0_4arch9wavefront6targetE1EEEvT1_,"axG",@progbits,_ZN7rocprim17ROCPRIM_400000_NS6detail17trampoline_kernelINS0_14default_configENS1_27scan_by_key_config_selectorIssEEZZNS1_16scan_by_key_implILNS1_25lookback_scan_determinismE0ELb0ES3_N6thrust23THRUST_200600_302600_NS6detail15normal_iteratorINS9_10device_ptrIsEEEESE_SE_sNS9_10multipliesIsEENS9_8equal_toIsEEsEE10hipError_tPvRmT2_T3_T4_T5_mT6_T7_P12ihipStream_tbENKUlT_T0_E_clISt17integral_constantIbLb1EESZ_EEDaSU_SV_EUlSU_E_NS1_11comp_targetILNS1_3genE5ELNS1_11target_archE942ELNS1_3gpuE9ELNS1_3repE0EEENS1_30default_config_static_selectorELNS0_4arch9wavefront6targetE1EEEvT1_,comdat
	.protected	_ZN7rocprim17ROCPRIM_400000_NS6detail17trampoline_kernelINS0_14default_configENS1_27scan_by_key_config_selectorIssEEZZNS1_16scan_by_key_implILNS1_25lookback_scan_determinismE0ELb0ES3_N6thrust23THRUST_200600_302600_NS6detail15normal_iteratorINS9_10device_ptrIsEEEESE_SE_sNS9_10multipliesIsEENS9_8equal_toIsEEsEE10hipError_tPvRmT2_T3_T4_T5_mT6_T7_P12ihipStream_tbENKUlT_T0_E_clISt17integral_constantIbLb1EESZ_EEDaSU_SV_EUlSU_E_NS1_11comp_targetILNS1_3genE5ELNS1_11target_archE942ELNS1_3gpuE9ELNS1_3repE0EEENS1_30default_config_static_selectorELNS0_4arch9wavefront6targetE1EEEvT1_ ; -- Begin function _ZN7rocprim17ROCPRIM_400000_NS6detail17trampoline_kernelINS0_14default_configENS1_27scan_by_key_config_selectorIssEEZZNS1_16scan_by_key_implILNS1_25lookback_scan_determinismE0ELb0ES3_N6thrust23THRUST_200600_302600_NS6detail15normal_iteratorINS9_10device_ptrIsEEEESE_SE_sNS9_10multipliesIsEENS9_8equal_toIsEEsEE10hipError_tPvRmT2_T3_T4_T5_mT6_T7_P12ihipStream_tbENKUlT_T0_E_clISt17integral_constantIbLb1EESZ_EEDaSU_SV_EUlSU_E_NS1_11comp_targetILNS1_3genE5ELNS1_11target_archE942ELNS1_3gpuE9ELNS1_3repE0EEENS1_30default_config_static_selectorELNS0_4arch9wavefront6targetE1EEEvT1_
	.globl	_ZN7rocprim17ROCPRIM_400000_NS6detail17trampoline_kernelINS0_14default_configENS1_27scan_by_key_config_selectorIssEEZZNS1_16scan_by_key_implILNS1_25lookback_scan_determinismE0ELb0ES3_N6thrust23THRUST_200600_302600_NS6detail15normal_iteratorINS9_10device_ptrIsEEEESE_SE_sNS9_10multipliesIsEENS9_8equal_toIsEEsEE10hipError_tPvRmT2_T3_T4_T5_mT6_T7_P12ihipStream_tbENKUlT_T0_E_clISt17integral_constantIbLb1EESZ_EEDaSU_SV_EUlSU_E_NS1_11comp_targetILNS1_3genE5ELNS1_11target_archE942ELNS1_3gpuE9ELNS1_3repE0EEENS1_30default_config_static_selectorELNS0_4arch9wavefront6targetE1EEEvT1_
	.p2align	8
	.type	_ZN7rocprim17ROCPRIM_400000_NS6detail17trampoline_kernelINS0_14default_configENS1_27scan_by_key_config_selectorIssEEZZNS1_16scan_by_key_implILNS1_25lookback_scan_determinismE0ELb0ES3_N6thrust23THRUST_200600_302600_NS6detail15normal_iteratorINS9_10device_ptrIsEEEESE_SE_sNS9_10multipliesIsEENS9_8equal_toIsEEsEE10hipError_tPvRmT2_T3_T4_T5_mT6_T7_P12ihipStream_tbENKUlT_T0_E_clISt17integral_constantIbLb1EESZ_EEDaSU_SV_EUlSU_E_NS1_11comp_targetILNS1_3genE5ELNS1_11target_archE942ELNS1_3gpuE9ELNS1_3repE0EEENS1_30default_config_static_selectorELNS0_4arch9wavefront6targetE1EEEvT1_,@function
_ZN7rocprim17ROCPRIM_400000_NS6detail17trampoline_kernelINS0_14default_configENS1_27scan_by_key_config_selectorIssEEZZNS1_16scan_by_key_implILNS1_25lookback_scan_determinismE0ELb0ES3_N6thrust23THRUST_200600_302600_NS6detail15normal_iteratorINS9_10device_ptrIsEEEESE_SE_sNS9_10multipliesIsEENS9_8equal_toIsEEsEE10hipError_tPvRmT2_T3_T4_T5_mT6_T7_P12ihipStream_tbENKUlT_T0_E_clISt17integral_constantIbLb1EESZ_EEDaSU_SV_EUlSU_E_NS1_11comp_targetILNS1_3genE5ELNS1_11target_archE942ELNS1_3gpuE9ELNS1_3repE0EEENS1_30default_config_static_selectorELNS0_4arch9wavefront6targetE1EEEvT1_: ; @_ZN7rocprim17ROCPRIM_400000_NS6detail17trampoline_kernelINS0_14default_configENS1_27scan_by_key_config_selectorIssEEZZNS1_16scan_by_key_implILNS1_25lookback_scan_determinismE0ELb0ES3_N6thrust23THRUST_200600_302600_NS6detail15normal_iteratorINS9_10device_ptrIsEEEESE_SE_sNS9_10multipliesIsEENS9_8equal_toIsEEsEE10hipError_tPvRmT2_T3_T4_T5_mT6_T7_P12ihipStream_tbENKUlT_T0_E_clISt17integral_constantIbLb1EESZ_EEDaSU_SV_EUlSU_E_NS1_11comp_targetILNS1_3genE5ELNS1_11target_archE942ELNS1_3gpuE9ELNS1_3repE0EEENS1_30default_config_static_selectorELNS0_4arch9wavefront6targetE1EEEvT1_
; %bb.0:
	s_load_dwordx4 s[76:79], s[0:1], 0x28
	s_load_dwordx2 s[80:81], s[0:1], 0x38
	v_cmp_ne_u32_e64 s[4:5], 0, v0
	v_cmp_eq_u32_e64 s[56:57], 0, v0
	s_and_saveexec_b64 s[2:3], s[56:57]
	s_cbranch_execz .LBB292_4
; %bb.1:
	s_mov_b64 s[8:9], exec
	v_mbcnt_lo_u32_b32 v1, s8, 0
	v_mbcnt_hi_u32_b32 v1, s9, v1
	v_cmp_eq_u32_e32 vcc, 0, v1
                                        ; implicit-def: $vgpr2
	s_and_saveexec_b64 s[6:7], vcc
	s_cbranch_execz .LBB292_3
; %bb.2:
	s_load_dwordx2 s[10:11], s[0:1], 0x68
	s_bcnt1_i32_b64 s8, s[8:9]
	v_mov_b32_e32 v2, 0
	v_mov_b32_e32 v3, s8
	s_waitcnt lgkmcnt(0)
	global_atomic_add v2, v2, v3, s[10:11] sc0
.LBB292_3:
	s_or_b64 exec, exec, s[6:7]
	s_waitcnt vmcnt(0)
	v_readfirstlane_b32 s6, v2
	v_mov_b32_e32 v2, 0
	s_nop 0
	v_add_u32_e32 v1, s6, v1
	ds_write_b32 v2, v1
.LBB292_4:
	s_or_b64 exec, exec, s[2:3]
	s_load_dwordx8 s[60:67], s[0:1], 0x0
	s_load_dword s2, s[0:1], 0x40
	s_load_dwordx8 s[68:75], s[0:1], 0x48
	v_mov_b32_e32 v1, 0
	s_waitcnt lgkmcnt(0)
	s_barrier
	ds_read_b32 v1, v1
	s_lshl_b64 s[58:59], s[62:63], 1
	s_add_u32 s3, s60, s58
	s_addc_u32 s6, s61, s59
	s_add_u32 s7, s64, s58
	s_mul_i32 s0, s81, s2
	s_mul_hi_u32 s1, s80, s2
	s_addc_u32 s8, s65, s59
	s_add_i32 s9, s1, s0
	s_waitcnt lgkmcnt(0)
	v_readfirstlane_b32 s79, v1
	s_cmp_lg_u64 s[72:73], 0
	s_mov_b32 s1, 0
	s_mul_i32 s0, s79, 0x1800
	s_cselect_b64 s[72:73], -1, 0
	s_lshl_b64 s[60:61], s[0:1], 1
	s_add_u32 s64, s3, s60
	s_addc_u32 s65, s6, s61
	s_add_u32 s62, s7, s60
	s_mul_i32 s2, s80, s2
	s_addc_u32 s63, s8, s61
	s_add_u32 s82, s2, s79
	s_addc_u32 s83, s9, 0
	s_add_u32 s0, s68, -1
	s_addc_u32 s1, s69, -1
	v_mov_b64_e32 v[2:3], s[0:1]
	v_cmp_ge_u64_e64 s[2:3], s[82:83], v[2:3]
	s_mov_b64 s[12:13], 0
	s_mov_b64 s[6:7], -1
	s_and_b64 vcc, exec, s[2:3]
	s_mul_i32 s33, s0, 0xffffe800
	s_barrier
	s_barrier
	s_cbranch_vccz .LBB292_131
; %bb.5:
	v_mov_b64_e32 v[2:3], s[64:65]
	flat_load_ushort v3, v[2:3]
	s_add_i32 s86, s33, s78
	v_cmp_gt_u32_e64 s[6:7], s86, v0
	s_waitcnt vmcnt(0) lgkmcnt(0)
	v_mov_b32_e32 v19, v3
	s_and_saveexec_b64 s[0:1], s[6:7]
	s_cbranch_execz .LBB292_7
; %bb.6:
	v_lshlrev_b32_e32 v4, 1, v0
	v_mov_b32_e32 v5, 0
	v_lshl_add_u64 v[4:5], s[64:65], 0, v[4:5]
	flat_load_ushort v19, v[4:5]
.LBB292_7:
	s_or_b64 exec, exec, s[0:1]
	v_or_b32_e32 v1, 0x100, v0
	v_cmp_gt_u32_e64 s[8:9], s86, v1
	v_mov_b32_e32 v20, v3
	s_and_saveexec_b64 s[0:1], s[8:9]
	s_cbranch_execz .LBB292_9
; %bb.8:
	v_lshlrev_b32_e32 v4, 1, v0
	v_mov_b32_e32 v5, 0
	v_lshl_add_u64 v[4:5], s[64:65], 0, v[4:5]
	flat_load_ushort v20, v[4:5] offset:512
.LBB292_9:
	s_or_b64 exec, exec, s[0:1]
	v_or_b32_e32 v1, 0x200, v0
	v_cmp_gt_u32_e64 s[10:11], s86, v1
	v_mov_b32_e32 v21, v3
	s_and_saveexec_b64 s[0:1], s[10:11]
	s_cbranch_execz .LBB292_11
; %bb.10:
	v_lshlrev_b32_e32 v4, 1, v0
	v_mov_b32_e32 v5, 0
	v_lshl_add_u64 v[4:5], s[64:65], 0, v[4:5]
	flat_load_ushort v21, v[4:5] offset:1024
.LBB292_11:
	;; [unrolled: 12-line block ×7, first 2 shown]
	s_or_b64 exec, exec, s[0:1]
	v_or_b32_e32 v1, 0x800, v0
	v_cmp_gt_u32_e64 s[22:23], s86, v1
	v_mov_b32_e32 v27, v3
	s_and_saveexec_b64 s[0:1], s[22:23]
	s_cbranch_execz .LBB292_23
; %bb.22:
	v_lshlrev_b32_e32 v4, 1, v1
	v_mov_b32_e32 v5, 0
	v_lshl_add_u64 v[4:5], s[64:65], 0, v[4:5]
	flat_load_ushort v27, v[4:5]
.LBB292_23:
	s_or_b64 exec, exec, s[0:1]
	v_or_b32_e32 v4, 0x900, v0
	v_cmp_gt_u32_e64 s[24:25], s86, v4
	v_mov_b32_e32 v28, v3
	s_and_saveexec_b64 s[0:1], s[24:25]
	s_cbranch_execz .LBB292_25
; %bb.24:
	v_lshlrev_b32_e32 v6, 1, v4
	v_mov_b32_e32 v7, 0
	v_lshl_add_u64 v[6:7], s[64:65], 0, v[6:7]
	flat_load_ushort v28, v[6:7]
.LBB292_25:
	;; [unrolled: 12-line block ×15, first 2 shown]
	s_or_b64 exec, exec, s[0:1]
	v_or_b32_e32 v18, 0x1700, v0
	v_cmp_gt_u32_e64 s[54:55], s86, v18
	s_and_saveexec_b64 s[0:1], s[54:55]
	s_cbranch_execz .LBB292_53
; %bb.52:
	v_lshlrev_b32_e32 v2, 1, v18
	v_mov_b32_e32 v3, 0
	v_lshl_add_u64 v[2:3], s[64:65], 0, v[2:3]
	flat_load_ushort v3, v[2:3]
.LBB292_53:
	s_or_b64 exec, exec, s[0:1]
	v_lshlrev_b32_e32 v2, 1, v0
	s_waitcnt vmcnt(0) lgkmcnt(0)
	ds_write_b16 v2, v19
	ds_write_b16 v2, v20 offset:512
	ds_write_b16 v2, v21 offset:1024
	;; [unrolled: 1-line block ×23, first 2 shown]
	v_mad_u32_u24 v40, v0, 46, v2
	s_waitcnt lgkmcnt(0)
	s_barrier
	ds_read_b128 v[30:33], v40
	ds_read_b128 v[26:29], v40 offset:16
	ds_read_b128 v[22:25], v40 offset:32
	s_cmp_eq_u64 s[82:83], 0
	s_mov_b64 s[0:1], s[64:65]
	s_cbranch_scc1 .LBB292_57
; %bb.54:
	s_andn2_b64 vcc, exec, s[72:73]
	s_cbranch_vccnz .LBB292_325
; %bb.55:
	s_lshl_b64 s[0:1], s[82:83], 1
	s_add_u32 s0, s74, s0
	s_addc_u32 s1, s75, s1
	s_add_u32 s0, s0, -2
	s_addc_u32 s1, s1, -1
	s_cbranch_execnz .LBB292_57
.LBB292_56:
	s_add_u32 s0, s64, -2
	s_addc_u32 s1, s65, -1
.LBB292_57:
	v_mov_b64_e32 v[20:21], s[0:1]
	flat_load_ushort v34, v[20:21]
	s_movk_i32 s0, 0xffd2
	s_waitcnt lgkmcnt(0)
	v_lshrrev_b32_e32 v41, 16, v25
	v_mad_i32_i24 v3, v0, s0, v40
	ds_write_b16 v3, v41 offset:12288
	s_waitcnt lgkmcnt(0)
	s_barrier
	s_and_saveexec_b64 s[0:1], s[4:5]
	s_cbranch_execz .LBB292_59
; %bb.58:
	v_mul_i32_i24_e32 v3, 0xffffffd2, v0
	v_add_u32_e32 v3, v40, v3
	s_waitcnt vmcnt(0)
	ds_read_u16 v34, v3 offset:12286
.LBB292_59:
	s_or_b64 exec, exec, s[0:1]
	v_mov_b32_e32 v3, 0
	s_waitcnt lgkmcnt(0)
	s_barrier
	s_waitcnt lgkmcnt(0)
                                        ; implicit-def: $vgpr19
	s_and_saveexec_b64 s[0:1], s[6:7]
	s_cbranch_execnz .LBB292_302
; %bb.60:
	s_or_b64 exec, exec, s[0:1]
                                        ; implicit-def: $vgpr20
	s_and_saveexec_b64 s[0:1], s[8:9]
	s_cbranch_execnz .LBB292_303
.LBB292_61:
	s_or_b64 exec, exec, s[0:1]
                                        ; implicit-def: $vgpr21
	s_and_saveexec_b64 s[0:1], s[10:11]
	s_cbranch_execnz .LBB292_304
.LBB292_62:
	s_or_b64 exec, exec, s[0:1]
                                        ; implicit-def: $vgpr35
	s_and_saveexec_b64 s[0:1], s[12:13]
	s_cbranch_execnz .LBB292_305
.LBB292_63:
	s_or_b64 exec, exec, s[0:1]
                                        ; implicit-def: $vgpr36
	s_and_saveexec_b64 s[0:1], s[14:15]
	s_cbranch_execnz .LBB292_306
.LBB292_64:
	s_or_b64 exec, exec, s[0:1]
                                        ; implicit-def: $vgpr37
	s_and_saveexec_b64 s[0:1], s[16:17]
	s_cbranch_execnz .LBB292_307
.LBB292_65:
	s_or_b64 exec, exec, s[0:1]
                                        ; implicit-def: $vgpr38
	s_and_saveexec_b64 s[0:1], s[18:19]
	s_cbranch_execnz .LBB292_308
.LBB292_66:
	s_or_b64 exec, exec, s[0:1]
                                        ; implicit-def: $vgpr3
	s_and_saveexec_b64 s[0:1], s[20:21]
	s_cbranch_execnz .LBB292_309
.LBB292_67:
	s_or_b64 exec, exec, s[0:1]
                                        ; implicit-def: $vgpr39
	s_and_saveexec_b64 s[0:1], s[22:23]
	s_cbranch_execnz .LBB292_310
.LBB292_68:
	s_or_b64 exec, exec, s[0:1]
                                        ; implicit-def: $vgpr1
	s_and_saveexec_b64 s[0:1], s[24:25]
	s_cbranch_execnz .LBB292_311
.LBB292_69:
	s_or_b64 exec, exec, s[0:1]
                                        ; implicit-def: $vgpr4
	s_and_saveexec_b64 s[0:1], s[26:27]
	s_cbranch_execnz .LBB292_312
.LBB292_70:
	s_or_b64 exec, exec, s[0:1]
                                        ; implicit-def: $vgpr5
	s_and_saveexec_b64 s[0:1], s[28:29]
	s_cbranch_execnz .LBB292_313
.LBB292_71:
	s_or_b64 exec, exec, s[0:1]
                                        ; implicit-def: $vgpr6
	s_and_saveexec_b64 s[0:1], s[30:31]
	s_cbranch_execnz .LBB292_314
.LBB292_72:
	s_or_b64 exec, exec, s[0:1]
                                        ; implicit-def: $vgpr7
	s_and_saveexec_b64 s[0:1], s[34:35]
	s_cbranch_execnz .LBB292_315
.LBB292_73:
	s_or_b64 exec, exec, s[0:1]
                                        ; implicit-def: $vgpr8
	s_and_saveexec_b64 s[0:1], s[36:37]
	s_cbranch_execnz .LBB292_316
.LBB292_74:
	s_or_b64 exec, exec, s[0:1]
                                        ; implicit-def: $vgpr9
	s_and_saveexec_b64 s[0:1], s[38:39]
	s_cbranch_execnz .LBB292_317
.LBB292_75:
	s_or_b64 exec, exec, s[0:1]
                                        ; implicit-def: $vgpr10
	s_and_saveexec_b64 s[0:1], s[40:41]
	s_cbranch_execnz .LBB292_318
.LBB292_76:
	s_or_b64 exec, exec, s[0:1]
                                        ; implicit-def: $vgpr11
	s_and_saveexec_b64 s[0:1], s[42:43]
	s_cbranch_execnz .LBB292_319
.LBB292_77:
	s_or_b64 exec, exec, s[0:1]
                                        ; implicit-def: $vgpr12
	s_and_saveexec_b64 s[0:1], s[44:45]
	s_cbranch_execnz .LBB292_320
.LBB292_78:
	s_or_b64 exec, exec, s[0:1]
                                        ; implicit-def: $vgpr13
	s_and_saveexec_b64 s[0:1], s[46:47]
	s_cbranch_execnz .LBB292_321
.LBB292_79:
	s_or_b64 exec, exec, s[0:1]
                                        ; implicit-def: $vgpr14
	s_and_saveexec_b64 s[0:1], s[48:49]
	s_cbranch_execnz .LBB292_322
.LBB292_80:
	s_or_b64 exec, exec, s[0:1]
                                        ; implicit-def: $vgpr15
	s_and_saveexec_b64 s[0:1], s[50:51]
	s_cbranch_execnz .LBB292_323
.LBB292_81:
	s_or_b64 exec, exec, s[0:1]
                                        ; implicit-def: $vgpr16
	s_and_saveexec_b64 s[0:1], s[52:53]
	s_cbranch_execnz .LBB292_324
.LBB292_82:
	s_or_b64 exec, exec, s[0:1]
                                        ; implicit-def: $vgpr17
	s_and_saveexec_b64 s[0:1], s[54:55]
	s_cbranch_execz .LBB292_84
.LBB292_83:
	v_lshlrev_b32_e32 v42, 1, v18
	v_mov_b32_e32 v43, 0
	v_lshl_add_u64 v[42:43], s[62:63], 0, v[42:43]
	flat_load_ushort v17, v[42:43]
.LBB292_84:
	s_or_b64 exec, exec, s[0:1]
	s_mov_b32 s8, 0
	s_mov_b32 s9, s8
	s_waitcnt vmcnt(0) lgkmcnt(0)
	ds_write_b16 v2, v19
	ds_write_b16 v2, v20 offset:512
	ds_write_b16 v2, v21 offset:1024
	;; [unrolled: 1-line block ×23, first 2 shown]
	s_mov_b32 s10, s8
	s_mov_b32 s11, s8
	;; [unrolled: 1-line block ×6, first 2 shown]
	v_mov_b64_e32 v[2:3], s[8:9]
	s_mov_b32 s18, s8
	s_mov_b32 s19, s8
	v_mov_b64_e32 v[8:9], s[14:15]
	v_mul_u32_u24_e32 v43, 24, v0
	s_mov_b32 s16, s8
	s_mov_b32 s17, s8
	v_mov_b64_e32 v[20:21], s[18:19]
	v_mov_b64_e32 v[4:5], s[10:11]
	;; [unrolled: 1-line block ×4, first 2 shown]
	v_cmp_gt_u32_e32 vcc, s86, v43
	s_mov_b64 s[6:7], 0
	v_mov_b64_e32 v[18:19], s[16:17]
	v_mov_b32_e32 v1, 0
	s_mov_b64 s[12:13], 0
	v_mov_b64_e32 v[14:15], v[6:7]
	v_mov_b64_e32 v[12:13], v[4:5]
	;; [unrolled: 1-line block ×3, first 2 shown]
	v_mov_b32_e32 v38, 0
	v_mov_b32_e32 v39, 0
	s_waitcnt lgkmcnt(0)
	s_barrier
	s_waitcnt lgkmcnt(0)
                                        ; implicit-def: $sgpr0_sgpr1
                                        ; implicit-def: $vgpr42
	s_and_saveexec_b64 s[10:11], vcc
	s_cbranch_execz .LBB292_130
; %bb.85:
	ds_read_u16 v1, v40
	v_cmp_ne_u16_e32 vcc, v34, v30
	s_mov_b32 s12, 0
	v_or_b32_e32 v2, 1, v43
	v_cndmask_b32_e64 v3, 0, 1, vcc
	s_mov_b32 s13, s12
	v_cmp_gt_u32_e32 vcc, s86, v2
	s_waitcnt lgkmcnt(0)
	v_lshl_or_b32 v1, v3, 16, v1
	s_mov_b32 s14, s12
	s_mov_b32 s15, s12
	;; [unrolled: 1-line block ×6, first 2 shown]
	v_mov_b64_e32 v[2:3], s[12:13]
	s_mov_b32 s24, s12
	s_mov_b32 s25, s12
	v_mov_b64_e32 v[8:9], s[18:19]
	s_mov_b32 s26, s12
	s_mov_b32 s27, s12
	v_mov_b64_e32 v[18:19], s[24:25]
	v_mov_b64_e32 v[4:5], s[14:15]
	;; [unrolled: 1-line block ×4, first 2 shown]
	s_mov_b64 s[22:23], 0
	v_mov_b64_e32 v[20:21], s[26:27]
	v_mov_b32_e32 v38, 0
	v_mov_b64_e32 v[14:15], v[6:7]
	v_mov_b64_e32 v[12:13], v[4:5]
	;; [unrolled: 1-line block ×3, first 2 shown]
	v_mov_b32_e32 v39, 0
                                        ; implicit-def: $sgpr24_sgpr25
                                        ; implicit-def: $vgpr42
	s_and_saveexec_b64 s[20:21], vcc
	s_cbranch_execz .LBB292_129
; %bb.86:
	ds_read_b128 v[34:37], v40 offset:2
	v_or_b32_e32 v2, 2, v43
	v_cmp_ne_u16_sdwa s[0:1], v30, v30 src0_sel:DWORD src1_sel:WORD_1
	v_cmp_gt_u32_e32 vcc, s86, v2
	v_mov_b32_e32 v19, 0
	v_cndmask_b32_e64 v3, 0, 1, s[0:1]
	s_waitcnt lgkmcnt(0)
	v_and_b32_e32 v2, 0xffff, v34
	v_lshl_or_b32 v18, v3, 16, v2
	v_mov_b64_e32 v[2:3], s[12:13]
	v_mov_b64_e32 v[8:9], s[18:19]
	;; [unrolled: 1-line block ×5, first 2 shown]
	v_mov_b32_e32 v20, v19
	v_mov_b32_e32 v21, v19
	s_mov_b64 s[0:1], 0
	v_mov_b64_e32 v[14:15], v[6:7]
	v_mov_b64_e32 v[12:13], v[4:5]
	;; [unrolled: 1-line block ×3, first 2 shown]
	v_mov_b32_e32 v38, v19
	v_mov_b32_e32 v39, v19
                                        ; implicit-def: $sgpr12_sgpr13
                                        ; implicit-def: $vgpr42
	s_and_saveexec_b64 s[22:23], vcc
	s_cbranch_execz .LBB292_128
; %bb.87:
	v_cmp_ne_u16_sdwa s[0:1], v30, v31 src0_sel:WORD_1 src1_sel:DWORD
	s_mov_b32 s12, 0
	v_or_b32_e32 v2, 3, v43
	v_cndmask_b32_e64 v3, 0, 1, s[0:1]
	s_mov_b32 s13, s12
	v_alignbit_b32 v19, v3, v34, 16
	v_cmp_gt_u32_e32 vcc, s86, v2
	s_mov_b32 s14, s12
	s_mov_b32 s15, s12
	;; [unrolled: 1-line block ×6, first 2 shown]
	v_mov_b64_e32 v[2:3], s[12:13]
	v_mov_b64_e32 v[8:9], s[18:19]
	v_mov_b32_e32 v20, 0
	v_mov_b64_e32 v[4:5], s[14:15]
	v_mov_b64_e32 v[6:7], s[16:17]
	;; [unrolled: 1-line block ×3, first 2 shown]
	v_mov_b32_e32 v21, v20
	s_mov_b64 s[0:1], 0
	v_mov_b64_e32 v[14:15], v[6:7]
	v_mov_b64_e32 v[12:13], v[4:5]
	;; [unrolled: 1-line block ×3, first 2 shown]
	v_mov_b32_e32 v38, v20
	v_mov_b32_e32 v39, v20
                                        ; implicit-def: $sgpr26_sgpr27
                                        ; implicit-def: $vgpr42
	s_and_saveexec_b64 s[24:25], vcc
	s_cbranch_execz .LBB292_127
; %bb.88:
	v_cmp_ne_u16_sdwa s[0:1], v31, v31 src0_sel:DWORD src1_sel:WORD_1
	v_and_b32_e32 v2, 0xffff, v35
	v_or_b32_e32 v3, 4, v43
	v_cndmask_b32_e64 v4, 0, 1, s[0:1]
	v_lshl_or_b32 v20, v4, 16, v2
	v_cmp_gt_u32_e32 vcc, s86, v3
	v_mov_b64_e32 v[2:3], s[12:13]
	v_mov_b64_e32 v[8:9], s[18:19]
	;; [unrolled: 1-line block ×5, first 2 shown]
	v_mov_b32_e32 v21, s12
	s_mov_b64 s[0:1], 0
	v_mov_b32_e32 v38, 0
	v_mov_b64_e32 v[14:15], v[6:7]
	v_mov_b64_e32 v[12:13], v[4:5]
	;; [unrolled: 1-line block ×3, first 2 shown]
	v_mov_b32_e32 v39, 0
                                        ; implicit-def: $sgpr12_sgpr13
                                        ; implicit-def: $vgpr42
	s_and_saveexec_b64 s[26:27], vcc
	s_cbranch_execz .LBB292_126
; %bb.89:
	v_cmp_ne_u16_sdwa s[0:1], v31, v32 src0_sel:WORD_1 src1_sel:DWORD
	s_mov_b32 s12, 0
	v_or_b32_e32 v2, 5, v43
	v_cndmask_b32_e64 v3, 0, 1, s[0:1]
	s_mov_b32 s13, s12
	v_alignbit_b32 v21, v3, v35, 16
	v_cmp_gt_u32_e32 vcc, s86, v2
	s_mov_b32 s14, s12
	s_mov_b32 s15, s12
	;; [unrolled: 1-line block ×6, first 2 shown]
	v_mov_b64_e32 v[2:3], s[12:13]
	v_mov_b64_e32 v[8:9], s[18:19]
	;; [unrolled: 1-line block ×5, first 2 shown]
	s_mov_b64 s[0:1], 0
	v_mov_b32_e32 v38, 0
	v_mov_b64_e32 v[14:15], v[6:7]
	v_mov_b64_e32 v[12:13], v[4:5]
	;; [unrolled: 1-line block ×3, first 2 shown]
	v_mov_b32_e32 v39, 0
                                        ; implicit-def: $sgpr30_sgpr31
                                        ; implicit-def: $vgpr42
	s_and_saveexec_b64 s[28:29], vcc
	s_cbranch_execz .LBB292_125
; %bb.90:
	v_cmp_ne_u16_sdwa s[0:1], v32, v32 src0_sel:DWORD src1_sel:WORD_1
	v_and_b32_e32 v2, 0xffff, v36
	v_or_b32_e32 v3, 6, v43
	v_cndmask_b32_e64 v4, 0, 1, s[0:1]
	v_lshl_or_b32 v38, v4, 16, v2
	v_cmp_gt_u32_e32 vcc, s86, v3
	v_mov_b64_e32 v[2:3], s[12:13]
	v_mov_b64_e32 v[8:9], s[18:19]
	;; [unrolled: 1-line block ×5, first 2 shown]
	s_mov_b64 s[0:1], 0
	v_mov_b32_e32 v39, 0
	v_mov_b64_e32 v[14:15], v[6:7]
	v_mov_b64_e32 v[12:13], v[4:5]
	;; [unrolled: 1-line block ×3, first 2 shown]
                                        ; implicit-def: $sgpr12_sgpr13
                                        ; implicit-def: $vgpr42
	s_and_saveexec_b64 s[30:31], vcc
	s_cbranch_execz .LBB292_124
; %bb.91:
	s_mov_b32 s12, 0
	v_or_b32_e32 v3, 7, v43
	v_cmp_ne_u16_sdwa s[0:1], v32, v33 src0_sel:WORD_1 src1_sel:DWORD
	s_mov_b32 s13, s12
	v_cmp_gt_u32_e32 vcc, s86, v3
	v_cndmask_b32_e64 v2, 0, 1, s[0:1]
	v_mov_b32_e32 v3, 0
	s_mov_b32 s14, s12
	s_mov_b32 s15, s12
	;; [unrolled: 1-line block ×6, first 2 shown]
	v_mov_b64_e32 v[10:11], s[12:13]
	v_alignbit_b32 v2, v2, v36, 16
	v_mov_b32_e32 v4, v3
	v_mov_b32_e32 v5, v3
	;; [unrolled: 1-line block ×6, first 2 shown]
	s_mov_b64 s[0:1], 0
	v_mov_b64_e32 v[12:13], s[14:15]
	v_mov_b64_e32 v[14:15], s[16:17]
	;; [unrolled: 1-line block ×3, first 2 shown]
	v_mov_b32_e32 v39, v3
                                        ; implicit-def: $sgpr36_sgpr37
                                        ; implicit-def: $vgpr42
	s_and_saveexec_b64 s[34:35], vcc
	s_cbranch_execz .LBB292_123
; %bb.92:
	v_add_u32_e32 v4, 8, v43
	v_cmp_ne_u16_sdwa s[0:1], v33, v33 src0_sel:DWORD src1_sel:WORD_1
	v_and_b32_e32 v3, 0xffff, v37
	v_cmp_gt_u32_e32 vcc, s86, v4
	v_cndmask_b32_e64 v5, 0, 1, s[0:1]
	v_mov_b32_e32 v4, 0
	v_mov_b64_e32 v[10:11], s[12:13]
	v_lshl_or_b32 v3, v5, 16, v3
	v_mov_b32_e32 v5, v4
	v_mov_b32_e32 v6, v4
	v_mov_b32_e32 v7, v4
	v_mov_b32_e32 v8, v4
	v_mov_b32_e32 v9, v4
	s_mov_b64 s[0:1], 0
	v_mov_b64_e32 v[12:13], s[14:15]
	v_mov_b64_e32 v[14:15], s[16:17]
	;; [unrolled: 1-line block ×3, first 2 shown]
	v_mov_b32_e32 v39, v4
                                        ; implicit-def: $sgpr12_sgpr13
                                        ; implicit-def: $vgpr42
	s_and_saveexec_b64 s[36:37], vcc
	s_cbranch_execz .LBB292_122
; %bb.93:
	s_mov_b32 s12, 0
	v_add_u32_e32 v5, 9, v43
	v_cmp_ne_u16_sdwa s[0:1], v33, v26 src0_sel:WORD_1 src1_sel:DWORD
	s_mov_b32 s13, s12
	v_cmp_gt_u32_e32 vcc, s86, v5
	v_cndmask_b32_e64 v4, 0, 1, s[0:1]
	v_mov_b32_e32 v5, 0
	s_mov_b32 s14, s12
	s_mov_b32 s15, s12
	;; [unrolled: 1-line block ×6, first 2 shown]
	v_mov_b64_e32 v[10:11], s[12:13]
	v_alignbit_b32 v4, v4, v37, 16
	v_mov_b32_e32 v6, v5
	v_mov_b32_e32 v7, v5
	;; [unrolled: 1-line block ×4, first 2 shown]
	s_mov_b64 s[0:1], 0
	v_mov_b64_e32 v[12:13], s[14:15]
	v_mov_b64_e32 v[14:15], s[16:17]
	;; [unrolled: 1-line block ×3, first 2 shown]
	v_mov_b32_e32 v39, v5
                                        ; implicit-def: $sgpr40_sgpr41
                                        ; implicit-def: $vgpr42
	s_and_saveexec_b64 s[38:39], vcc
	s_cbranch_execz .LBB292_121
; %bb.94:
	ds_read_b128 v[30:33], v40 offset:18
	v_add_u32_e32 v5, 10, v43
	v_cmp_ne_u16_sdwa s[0:1], v26, v26 src0_sel:DWORD src1_sel:WORD_1
	v_cmp_gt_u32_e32 vcc, s86, v5
	v_mov_b64_e32 v[10:11], s[12:13]
	v_cndmask_b32_e64 v6, 0, 1, s[0:1]
	s_waitcnt lgkmcnt(0)
	v_and_b32_e32 v5, 0xffff, v30
	v_lshl_or_b32 v5, v6, 16, v5
	v_mov_b32_e32 v6, 0
	v_mov_b32_e32 v7, v6
	;; [unrolled: 1-line block ×4, first 2 shown]
	s_mov_b64 s[0:1], 0
	v_mov_b64_e32 v[12:13], s[14:15]
	v_mov_b64_e32 v[14:15], s[16:17]
	;; [unrolled: 1-line block ×3, first 2 shown]
	v_mov_b32_e32 v39, v6
                                        ; implicit-def: $sgpr12_sgpr13
                                        ; implicit-def: $vgpr42
	s_and_saveexec_b64 s[40:41], vcc
	s_cbranch_execz .LBB292_120
; %bb.95:
	s_mov_b32 s12, 0
	v_add_u32_e32 v7, 11, v43
	v_cmp_ne_u16_sdwa s[0:1], v26, v27 src0_sel:WORD_1 src1_sel:DWORD
	s_mov_b32 s13, s12
	v_cmp_gt_u32_e32 vcc, s86, v7
	v_cndmask_b32_e64 v6, 0, 1, s[0:1]
	v_mov_b32_e32 v7, 0
	s_mov_b32 s14, s12
	s_mov_b32 s15, s12
	;; [unrolled: 1-line block ×6, first 2 shown]
	v_mov_b64_e32 v[10:11], s[12:13]
	v_alignbit_b32 v6, v6, v30, 16
	v_mov_b32_e32 v8, v7
	v_mov_b32_e32 v9, v7
	s_mov_b64 s[0:1], 0
	v_mov_b64_e32 v[12:13], s[14:15]
	v_mov_b64_e32 v[14:15], s[16:17]
	v_mov_b64_e32 v[16:17], s[18:19]
	v_mov_b32_e32 v39, v7
                                        ; implicit-def: $sgpr44_sgpr45
                                        ; implicit-def: $vgpr42
	s_and_saveexec_b64 s[42:43], vcc
	s_cbranch_execz .LBB292_119
; %bb.96:
	v_add_u32_e32 v8, 12, v43
	v_cmp_ne_u16_sdwa s[0:1], v27, v27 src0_sel:DWORD src1_sel:WORD_1
	v_and_b32_e32 v7, 0xffff, v31
	v_cmp_gt_u32_e32 vcc, s86, v8
	v_cndmask_b32_e64 v9, 0, 1, s[0:1]
	v_mov_b32_e32 v8, 0
	v_mov_b64_e32 v[10:11], s[12:13]
	v_lshl_or_b32 v7, v9, 16, v7
	v_mov_b32_e32 v9, v8
	s_mov_b64 s[0:1], 0
	v_mov_b64_e32 v[12:13], s[14:15]
	v_mov_b64_e32 v[14:15], s[16:17]
	v_mov_b64_e32 v[16:17], s[18:19]
	v_mov_b32_e32 v39, v8
                                        ; implicit-def: $sgpr12_sgpr13
                                        ; implicit-def: $vgpr42
	s_and_saveexec_b64 s[44:45], vcc
	s_cbranch_execz .LBB292_118
; %bb.97:
	s_mov_b32 s12, 0
	v_cmp_ne_u16_sdwa s[0:1], v27, v28 src0_sel:WORD_1 src1_sel:DWORD
	s_mov_b32 s13, s12
	v_add_u32_e32 v9, 13, v43
	v_cndmask_b32_e64 v8, 0, 1, s[0:1]
	s_mov_b32 s14, s12
	s_mov_b32 s15, s12
	;; [unrolled: 1-line block ×6, first 2 shown]
	v_mov_b64_e32 v[10:11], s[12:13]
	v_alignbit_b32 v8, v8, v31, 16
	v_cmp_gt_u32_e32 vcc, s86, v9
	v_mov_b32_e32 v9, s12
	s_mov_b64 s[0:1], 0
	v_mov_b64_e32 v[12:13], s[14:15]
	v_mov_b64_e32 v[14:15], s[16:17]
	;; [unrolled: 1-line block ×3, first 2 shown]
	v_mov_b32_e32 v39, 0
                                        ; implicit-def: $sgpr48_sgpr49
                                        ; implicit-def: $vgpr42
	s_and_saveexec_b64 s[46:47], vcc
	s_cbranch_execz .LBB292_117
; %bb.98:
	v_cmp_ne_u16_sdwa s[0:1], v28, v28 src0_sel:DWORD src1_sel:WORD_1
	v_and_b32_e32 v9, 0xffff, v32
	v_add_u32_e32 v10, 14, v43
	v_cndmask_b32_e64 v11, 0, 1, s[0:1]
	v_lshl_or_b32 v9, v11, 16, v9
	v_cmp_gt_u32_e32 vcc, s86, v10
	v_mov_b64_e32 v[10:11], s[12:13]
	s_mov_b64 s[0:1], 0
	v_mov_b64_e32 v[12:13], s[14:15]
	v_mov_b64_e32 v[14:15], s[16:17]
	;; [unrolled: 1-line block ×3, first 2 shown]
	v_mov_b32_e32 v39, 0
                                        ; implicit-def: $sgpr14_sgpr15
                                        ; implicit-def: $vgpr42
	s_and_saveexec_b64 s[12:13], vcc
	s_cbranch_execz .LBB292_116
; %bb.99:
	v_cmp_ne_u16_sdwa s[0:1], v28, v29 src0_sel:WORD_1 src1_sel:DWORD
	s_mov_b32 s48, 0
	v_add_u32_e32 v10, 15, v43
	v_cndmask_b32_e64 v11, 0, 1, s[0:1]
	s_mov_b32 s49, s48
	v_alignbit_b32 v39, v11, v32, 16
	v_cmp_gt_u32_e32 vcc, s86, v10
	s_mov_b32 s50, s48
	s_mov_b32 s51, s48
	;; [unrolled: 1-line block ×6, first 2 shown]
	v_mov_b64_e32 v[10:11], s[48:49]
	s_mov_b64 s[0:1], 0
	v_mov_b64_e32 v[12:13], s[50:51]
	v_mov_b64_e32 v[14:15], s[52:53]
	;; [unrolled: 1-line block ×3, first 2 shown]
                                        ; implicit-def: $sgpr16_sgpr17
                                        ; implicit-def: $vgpr42
	s_and_saveexec_b64 s[14:15], vcc
	s_cbranch_execz .LBB292_115
; %bb.100:
	v_cmp_ne_u16_sdwa s[0:1], v29, v29 src0_sel:DWORD src1_sel:WORD_1
	v_and_b32_e32 v10, 0xffff, v33
	v_add_u32_e32 v11, 16, v43
	v_cndmask_b32_e64 v12, 0, 1, s[0:1]
	v_lshl_or_b32 v10, v12, 16, v10
	v_mov_b32_e32 v12, 0
	v_cmp_gt_u32_e32 vcc, s86, v11
	v_mov_b32_e32 v11, v12
	v_mov_b32_e32 v13, v12
	;; [unrolled: 1-line block ×6, first 2 shown]
	s_mov_b64 s[0:1], 0
                                        ; implicit-def: $sgpr18_sgpr19
                                        ; implicit-def: $vgpr42
	s_and_saveexec_b64 s[16:17], vcc
	s_cbranch_execz .LBB292_114
; %bb.101:
	v_cmp_ne_u16_sdwa s[0:1], v29, v22 src0_sel:WORD_1 src1_sel:DWORD
	v_add_u32_e32 v13, 17, v43
	v_cmp_gt_u32_e32 vcc, s86, v13
	v_cndmask_b32_e64 v11, 0, 1, s[0:1]
	v_alignbit_b32 v11, v11, v33, 16
	v_mov_b32_e32 v13, v12
	v_mov_b32_e32 v14, v12
	;; [unrolled: 1-line block ×5, first 2 shown]
	s_mov_b64 s[0:1], 0
                                        ; implicit-def: $sgpr48_sgpr49
                                        ; implicit-def: $vgpr42
	s_and_saveexec_b64 s[18:19], vcc
	s_cbranch_execz .LBB292_113
; %bb.102:
	ds_read_b96 v[26:28], v40 offset:34
	v_add_u32_e32 v12, 18, v43
	v_cmp_ne_u16_sdwa s[0:1], v22, v22 src0_sel:DWORD src1_sel:WORD_1
	v_cmp_gt_u32_e32 vcc, s86, v12
	v_mov_b32_e32 v14, 0
	v_cndmask_b32_e64 v13, 0, 1, s[0:1]
	s_waitcnt lgkmcnt(0)
	v_and_b32_e32 v12, 0xffff, v26
	v_lshl_or_b32 v12, v13, 16, v12
	v_mov_b32_e32 v13, v14
	v_mov_b32_e32 v15, v14
	;; [unrolled: 1-line block ×4, first 2 shown]
	s_mov_b64 s[0:1], 0
                                        ; implicit-def: $sgpr50_sgpr51
                                        ; implicit-def: $vgpr42
	s_and_saveexec_b64 s[48:49], vcc
	s_cbranch_execz .LBB292_112
; %bb.103:
	v_cmp_ne_u16_sdwa s[0:1], v22, v23 src0_sel:WORD_1 src1_sel:DWORD
	v_add_u32_e32 v15, 19, v43
	v_cmp_gt_u32_e32 vcc, s86, v15
	v_cndmask_b32_e64 v13, 0, 1, s[0:1]
	v_alignbit_b32 v13, v13, v26, 16
	v_mov_b32_e32 v15, v14
	v_mov_b32_e32 v16, v14
	;; [unrolled: 1-line block ×3, first 2 shown]
	s_mov_b64 s[0:1], 0
                                        ; implicit-def: $sgpr52_sgpr53
                                        ; implicit-def: $vgpr42
	s_and_saveexec_b64 s[50:51], vcc
	s_cbranch_execz .LBB292_111
; %bb.104:
	v_cmp_ne_u16_sdwa s[0:1], v23, v23 src0_sel:DWORD src1_sel:WORD_1
	v_and_b32_e32 v14, 0xffff, v27
	v_add_u32_e32 v15, 20, v43
	v_cndmask_b32_e64 v16, 0, 1, s[0:1]
	v_lshl_or_b32 v14, v16, 16, v14
	v_mov_b32_e32 v16, 0
	v_cmp_gt_u32_e32 vcc, s86, v15
	v_mov_b32_e32 v15, v16
	v_mov_b32_e32 v17, v16
	s_mov_b64 s[0:1], 0
                                        ; implicit-def: $sgpr54_sgpr55
                                        ; implicit-def: $vgpr42
	s_and_saveexec_b64 s[52:53], vcc
	s_cbranch_execz .LBB292_110
; %bb.105:
	v_cmp_ne_u16_sdwa s[0:1], v23, v24 src0_sel:WORD_1 src1_sel:DWORD
	v_add_u32_e32 v17, 21, v43
	v_cmp_gt_u32_e32 vcc, s86, v17
	v_cndmask_b32_e64 v15, 0, 1, s[0:1]
	v_alignbit_b32 v15, v15, v27, 16
	s_mov_b32 s9, 0
	v_mov_b32_e32 v17, v16
	s_mov_b64 s[0:1], 0
                                        ; implicit-def: $sgpr68_sgpr69
                                        ; implicit-def: $vgpr42
	s_and_saveexec_b64 s[54:55], vcc
	s_cbranch_execz .LBB292_109
; %bb.106:
	v_cmp_ne_u16_sdwa s[0:1], v24, v24 src0_sel:DWORD src1_sel:WORD_1
	v_and_b32_e32 v16, 0xffff, v28
	v_add_u32_e32 v17, 22, v43
	v_cndmask_b32_e64 v22, 0, 1, s[0:1]
	v_lshl_or_b32 v16, v22, 16, v16
	v_cmp_gt_u32_e32 vcc, s86, v17
	v_mov_b32_e32 v17, s9
	s_mov_b64 s[0:1], 0
                                        ; implicit-def: $sgpr68_sgpr69
                                        ; implicit-def: $vgpr42
	s_and_saveexec_b64 s[84:85], vcc
	s_xor_b64 s[84:85], exec, s[84:85]
	s_cbranch_execz .LBB292_108
; %bb.107:
	ds_read_u16 v42, v40 offset:46
	v_add_u32_e32 v22, 23, v43
	v_cmp_ne_u16_sdwa s[0:1], v24, v25 src0_sel:WORD_1 src1_sel:DWORD
	v_cmp_ne_u16_e32 vcc, v25, v41
	s_and_b64 s[68:69], vcc, exec
	v_cndmask_b32_e64 v17, 0, 1, s[0:1]
	v_cmp_gt_u32_e64 s[0:1], s86, v22
	v_alignbit_b32 v17, v17, v28, 16
	s_and_b64 s[0:1], s[0:1], exec
.LBB292_108:
	s_or_b64 exec, exec, s[84:85]
	s_and_b64 s[68:69], s[68:69], exec
	s_and_b64 s[0:1], s[0:1], exec
.LBB292_109:
	s_or_b64 exec, exec, s[54:55]
	s_and_b64 s[54:55], s[68:69], exec
	s_and_b64 s[0:1], s[0:1], exec
.LBB292_110:
	s_or_b64 exec, exec, s[52:53]
	s_and_b64 s[52:53], s[54:55], exec
	s_and_b64 s[0:1], s[0:1], exec
.LBB292_111:
	s_or_b64 exec, exec, s[50:51]
	s_and_b64 s[50:51], s[52:53], exec
	s_and_b64 s[0:1], s[0:1], exec
.LBB292_112:
	s_or_b64 exec, exec, s[48:49]
	s_and_b64 s[48:49], s[50:51], exec
	s_and_b64 s[0:1], s[0:1], exec
.LBB292_113:
	s_or_b64 exec, exec, s[18:19]
	s_and_b64 s[18:19], s[48:49], exec
	s_and_b64 s[0:1], s[0:1], exec
.LBB292_114:
	s_or_b64 exec, exec, s[16:17]
	s_and_b64 s[16:17], s[18:19], exec
	s_and_b64 s[0:1], s[0:1], exec
.LBB292_115:
	s_or_b64 exec, exec, s[14:15]
	s_and_b64 s[14:15], s[16:17], exec
	s_and_b64 s[0:1], s[0:1], exec
.LBB292_116:
	s_or_b64 exec, exec, s[12:13]
	s_and_b64 s[48:49], s[14:15], exec
	s_and_b64 s[0:1], s[0:1], exec
.LBB292_117:
	s_or_b64 exec, exec, s[46:47]
	s_and_b64 s[12:13], s[48:49], exec
	s_and_b64 s[0:1], s[0:1], exec
.LBB292_118:
	s_or_b64 exec, exec, s[44:45]
	s_and_b64 s[44:45], s[12:13], exec
	s_and_b64 s[0:1], s[0:1], exec
.LBB292_119:
	s_or_b64 exec, exec, s[42:43]
	s_and_b64 s[12:13], s[44:45], exec
	s_and_b64 s[0:1], s[0:1], exec
.LBB292_120:
	s_or_b64 exec, exec, s[40:41]
	s_and_b64 s[40:41], s[12:13], exec
	s_and_b64 s[0:1], s[0:1], exec
.LBB292_121:
	s_or_b64 exec, exec, s[38:39]
	s_and_b64 s[12:13], s[40:41], exec
	s_and_b64 s[0:1], s[0:1], exec
.LBB292_122:
	s_or_b64 exec, exec, s[36:37]
	s_and_b64 s[36:37], s[12:13], exec
	s_and_b64 s[0:1], s[0:1], exec
.LBB292_123:
	s_or_b64 exec, exec, s[34:35]
	s_and_b64 s[12:13], s[36:37], exec
	s_and_b64 s[0:1], s[0:1], exec
.LBB292_124:
	s_or_b64 exec, exec, s[30:31]
	s_and_b64 s[30:31], s[12:13], exec
	s_and_b64 s[0:1], s[0:1], exec
.LBB292_125:
	s_or_b64 exec, exec, s[28:29]
	s_and_b64 s[12:13], s[30:31], exec
	s_and_b64 s[0:1], s[0:1], exec
.LBB292_126:
	s_or_b64 exec, exec, s[26:27]
	s_and_b64 s[26:27], s[12:13], exec
	s_and_b64 s[0:1], s[0:1], exec
.LBB292_127:
	s_or_b64 exec, exec, s[24:25]
	s_and_b64 s[12:13], s[26:27], exec
	s_and_b64 s[0:1], s[0:1], exec
.LBB292_128:
	s_or_b64 exec, exec, s[22:23]
	s_and_b64 s[24:25], s[12:13], exec
	s_and_b64 s[22:23], s[0:1], exec
.LBB292_129:
	s_or_b64 exec, exec, s[20:21]
	s_and_b64 s[0:1], s[24:25], exec
	s_and_b64 s[12:13], s[22:23], exec
.LBB292_130:
	s_or_b64 exec, exec, s[10:11]
	s_and_b64 vcc, exec, s[6:7]
	v_lshlrev_b32_e32 v22, 1, v0
	s_cbranch_vccnz .LBB292_132
	s_branch .LBB292_140
.LBB292_131:
                                        ; implicit-def: $sgpr0_sgpr1
                                        ; implicit-def: $vgpr18_vgpr19_vgpr20_vgpr21
                                        ; implicit-def: $vgpr2_vgpr3_vgpr4_vgpr5_vgpr6_vgpr7_vgpr8_vgpr9
                                        ; implicit-def: $vgpr10_vgpr11_vgpr12_vgpr13_vgpr14_vgpr15_vgpr16_vgpr17
                                        ; implicit-def: $vgpr42
                                        ; implicit-def: $vgpr1
                                        ; implicit-def: $vgpr38
                                        ; implicit-def: $vgpr39
                                        ; implicit-def: $sgpr8
	s_and_b64 vcc, exec, s[6:7]
	v_lshlrev_b32_e32 v22, 1, v0
	s_cbranch_vccz .LBB292_140
.LBB292_132:
	v_mov_b32_e32 v23, 0
	v_lshl_add_u64 v[2:3], s[64:65], 0, v[22:23]
	v_add_co_u32_e32 v4, vcc, 0x1000, v2
	flat_load_ushort v1, v[2:3]
	flat_load_ushort v6, v[2:3] offset:512
	flat_load_ushort v7, v[2:3] offset:1024
	;; [unrolled: 1-line block ×7, first 2 shown]
	v_addc_co_u32_e32 v5, vcc, 0, v3, vcc
	v_add_co_u32_e32 v2, vcc, 0x2000, v2
	flat_load_ushort v13, v[4:5]
	flat_load_ushort v14, v[4:5] offset:512
	flat_load_ushort v15, v[4:5] offset:1024
	;; [unrolled: 1-line block ×7, first 2 shown]
	v_addc_co_u32_e32 v3, vcc, 0, v3, vcc
	flat_load_ushort v5, v[2:3]
	flat_load_ushort v21, v[2:3] offset:512
	flat_load_ushort v23, v[2:3] offset:1024
	flat_load_ushort v24, v[2:3] offset:1536
	flat_load_ushort v25, v[2:3] offset:2048
	flat_load_ushort v26, v[2:3] offset:2560
	flat_load_ushort v27, v[2:3] offset:3072
	flat_load_ushort v28, v[2:3] offset:3584
	v_mad_u32_u24 v4, v0, 46, v22
	s_cmp_eq_u64 s[82:83], 0
	s_waitcnt vmcnt(0) lgkmcnt(0)
	ds_write_b16 v22, v1
	ds_write_b16 v22, v6 offset:512
	ds_write_b16 v22, v7 offset:1024
	;; [unrolled: 1-line block ×23, first 2 shown]
	s_waitcnt lgkmcnt(0)
	s_barrier
	ds_read_b64 v[2:3], v4
	ds_read_u16 v5, v4 offset:8
	ds_read_b128 v[10:13], v4 offset:10
	ds_read_u16 v14, v4 offset:26
	ds_read_b32 v15, v4 offset:44
	ds_read2_b32 v[26:27], v4 offset0:9 offset1:10
	ds_read2_b32 v[24:25], v4 offset0:7 offset1:8
	s_cbranch_scc1 .LBB292_137
; %bb.133:
	s_andn2_b64 vcc, exec, s[72:73]
	s_cbranch_vccnz .LBB292_326
; %bb.134:
	s_lshl_b64 s[0:1], s[82:83], 1
	s_add_u32 s0, s74, s0
	s_addc_u32 s1, s75, s1
	s_add_u32 s0, s0, -2
	s_addc_u32 s1, s1, -1
	s_cbranch_execnz .LBB292_136
.LBB292_135:
	s_add_u32 s0, s64, -2
	s_addc_u32 s1, s65, -1
.LBB292_136:
	s_mov_b64 s[64:65], s[0:1]
.LBB292_137:
	v_mov_b64_e32 v[6:7], s[64:65]
	flat_load_ushort v6, v[6:7]
	s_movk_i32 s0, 0xffd2
	s_waitcnt lgkmcnt(0)
	v_lshrrev_b32_e32 v1, 16, v15
	v_mad_i32_i24 v7, v0, s0, v4
	ds_write_b16 v7, v1 offset:12288
	s_waitcnt lgkmcnt(0)
	s_barrier
	s_and_saveexec_b64 s[0:1], s[4:5]
	s_cbranch_execz .LBB292_139
; %bb.138:
	s_waitcnt vmcnt(0)
	v_mul_i32_i24_e32 v6, 0xffffffd2, v0
	v_add_u32_e32 v6, v4, v6
	ds_read_u16 v6, v6 offset:12286
.LBB292_139:
	s_or_b64 exec, exec, s[0:1]
	v_mov_b32_e32 v23, 0
	v_lshl_add_u64 v[8:9], s[62:63], 0, v[22:23]
	s_movk_i32 s0, 0x1000
	v_add_co_u32_e32 v16, vcc, s0, v8
	s_movk_i32 s0, 0x2000
	s_nop 0
	v_addc_co_u32_e32 v17, vcc, 0, v9, vcc
	s_waitcnt lgkmcnt(0)
	s_barrier
	flat_load_ushort v7, v[8:9]
	flat_load_ushort v18, v[8:9] offset:512
	flat_load_ushort v19, v[8:9] offset:1024
	;; [unrolled: 1-line block ×7, first 2 shown]
	v_add_co_u32_e32 v8, vcc, s0, v8
	flat_load_ushort v30, v[16:17]
	flat_load_ushort v31, v[16:17] offset:512
	flat_load_ushort v32, v[16:17] offset:1024
	;; [unrolled: 1-line block ×7, first 2 shown]
	v_addc_co_u32_e32 v9, vcc, 0, v9, vcc
	flat_load_ushort v16, v[8:9]
	flat_load_ushort v17, v[8:9] offset:512
	flat_load_ushort v38, v[8:9] offset:1024
	;; [unrolled: 1-line block ×7, first 2 shown]
	s_waitcnt vmcnt(0)
	v_cmp_ne_u16_e32 vcc, v6, v2
	v_cmp_ne_u16_sdwa s[6:7], v3, v5 src0_sel:WORD_1 src1_sel:DWORD
	v_cmp_ne_u16_e64 s[0:1], v15, v1
	v_cndmask_b32_e64 v1, 0, 1, vcc
	v_cndmask_b32_e64 v9, 0, 1, s[6:7]
	v_cmp_ne_u16_sdwa s[6:7], v2, v3 src0_sel:WORD_1 src1_sel:DWORD
	v_cmp_ne_u16_e32 vcc, v5, v10
	s_mov_b64 s[12:13], -1
	v_cndmask_b32_e64 v44, 0, 1, s[6:7]
	v_cmp_ne_u16_sdwa s[6:7], v3, v3 src0_sel:DWORD src1_sel:WORD_1
                                        ; implicit-def: $sgpr8
	s_waitcnt lgkmcnt(0)
	ds_write_b16 v22, v7
	ds_write_b16 v22, v18 offset:512
	ds_write_b16 v22, v19 offset:1024
	;; [unrolled: 1-line block ×23, first 2 shown]
	s_waitcnt lgkmcnt(0)
	s_barrier
	ds_read_b96 v[6:8], v4
	ds_read_b128 v[28:31], v4 offset:30
	ds_read_u16 v42, v4 offset:46
	ds_read2_b32 v[16:17], v4 offset0:3 offset1:4
	v_cndmask_b32_e64 v3, 0, 1, s[6:7]
	v_cmp_ne_u16_sdwa s[6:7], v2, v2 src0_sel:DWORD src1_sel:WORD_1
	s_waitcnt lgkmcnt(3)
	v_and_b32_e32 v19, 0xffff, v6
	v_and_b32_e32 v23, 0xffff, v7
	v_lshl_or_b32 v1, v1, 16, v19
	v_lshl_or_b32 v19, v44, 16, v23
	ds_read_u16 v23, v4 offset:28
	ds_read2_b32 v[32:33], v4 offset0:5 offset1:6
	v_cndmask_b32_e64 v2, 0, 1, s[6:7]
	v_cmp_ne_u16_sdwa s[6:7], v13, v13 src0_sel:DWORD src1_sel:WORD_1
	v_alignbit_b32 v18, v2, v6, 16
	v_cndmask_b32_e64 v2, 0, 1, vcc
	s_waitcnt lgkmcnt(0)
	v_and_b32_e32 v5, 0xffff, v33
	v_cndmask_b32_e64 v6, 0, 1, s[6:7]
	v_cmp_ne_u16_sdwa s[6:7], v12, v12 src0_sel:DWORD src1_sel:WORD_1
	v_and_b32_e32 v21, 0xffff, v8
	v_alignbit_b32 v38, v2, v8, 16
	v_and_b32_e32 v4, 0xffff, v32
	v_lshl_or_b32 v8, v6, 16, v5
	v_cndmask_b32_e64 v5, 0, 1, s[6:7]
	v_cmp_ne_u16_sdwa s[6:7], v11, v11 src0_sel:DWORD src1_sel:WORD_1
	v_alignbit_b32 v20, v3, v7, 16
	v_and_b32_e32 v3, 0xffff, v17
	v_lshl_or_b32 v6, v5, 16, v4
	v_cndmask_b32_e64 v4, 0, 1, s[6:7]
	v_cmp_ne_u16_sdwa s[6:7], v10, v10 src0_sel:DWORD src1_sel:WORD_1
	v_and_b32_e32 v2, 0xffff, v16
	v_lshl_or_b32 v4, v4, 16, v3
	v_cndmask_b32_e64 v3, 0, 1, s[6:7]
	v_cmp_ne_u16_sdwa s[6:7], v13, v14 src0_sel:WORD_1 src1_sel:DWORD
	v_lshl_or_b32 v2, v3, 16, v2
	v_lshl_or_b32 v21, v9, 16, v21
	v_cndmask_b32_e64 v3, 0, 1, s[6:7]
	v_cmp_ne_u16_sdwa s[6:7], v12, v13 src0_sel:WORD_1 src1_sel:DWORD
	v_alignbit_b32 v9, v3, v33, 16
	v_cmp_ne_u16_e32 vcc, v14, v24
	v_cndmask_b32_e64 v3, 0, 1, s[6:7]
	v_cmp_ne_u16_sdwa s[6:7], v11, v12 src0_sel:WORD_1 src1_sel:DWORD
	v_alignbit_b32 v7, v3, v32, 16
	v_and_b32_e32 v13, 0xffff, v31
	v_cndmask_b32_e64 v3, 0, 1, s[6:7]
	v_cmp_ne_u16_sdwa s[6:7], v10, v11 src0_sel:WORD_1 src1_sel:DWORD
	v_alignbit_b32 v5, v3, v17, 16
	v_and_b32_e32 v12, 0xffff, v30
	v_cndmask_b32_e64 v3, 0, 1, s[6:7]
	v_cmp_ne_u16_sdwa s[6:7], v27, v27 src0_sel:DWORD src1_sel:WORD_1
	v_alignbit_b32 v3, v3, v16, 16
	v_cndmask_b32_e64 v10, 0, 1, vcc
	v_cndmask_b32_e64 v14, 0, 1, s[6:7]
	v_cmp_ne_u16_sdwa s[6:7], v26, v26 src0_sel:DWORD src1_sel:WORD_1
	v_lshl_or_b32 v16, v14, 16, v13
	v_and_b32_e32 v11, 0xffff, v29
	v_cndmask_b32_e64 v13, 0, 1, s[6:7]
	v_cmp_ne_u16_sdwa s[6:7], v25, v25 src0_sel:DWORD src1_sel:WORD_1
	v_lshl_or_b32 v14, v13, 16, v12
	v_lshl_or_b32 v39, v10, 16, v23
	v_cndmask_b32_e64 v12, 0, 1, s[6:7]
	v_cmp_ne_u16_sdwa s[6:7], v24, v24 src0_sel:DWORD src1_sel:WORD_1
	v_and_b32_e32 v10, 0xffff, v28
	v_lshl_or_b32 v12, v12, 16, v11
	v_cndmask_b32_e64 v11, 0, 1, s[6:7]
	v_cmp_ne_u16_sdwa s[6:7], v27, v15 src0_sel:WORD_1 src1_sel:DWORD
	v_lshl_or_b32 v10, v11, 16, v10
	s_nop 0
	v_cndmask_b32_e64 v11, 0, 1, s[6:7]
	v_cmp_ne_u16_sdwa s[6:7], v26, v27 src0_sel:WORD_1 src1_sel:DWORD
	v_alignbit_b32 v17, v11, v31, 16
	s_nop 0
	v_cndmask_b32_e64 v11, 0, 1, s[6:7]
	v_cmp_ne_u16_sdwa s[6:7], v25, v26 src0_sel:WORD_1 src1_sel:DWORD
	v_alignbit_b32 v15, v11, v30, 16
	;; [unrolled: 4-line block ×3, first 2 shown]
	s_nop 0
	v_cndmask_b32_e64 v11, 0, 1, s[6:7]
	v_alignbit_b32 v11, v11, v28, 16
.LBB292_140:
	v_mov_b32_e32 v23, s8
	s_and_saveexec_b64 s[6:7], s[12:13]
	s_cbranch_execz .LBB292_142
; %bb.141:
	v_mov_b32_e32 v23, 0x10000
	v_cndmask_b32_e64 v23, 0, v23, s[0:1]
	s_waitcnt lgkmcnt(0)
	v_or_b32_sdwa v23, v23, v42 dst_sel:DWORD dst_unused:UNUSED_PAD src0_sel:DWORD src1_sel:WORD_0
.LBB292_142:
	s_or_b64 exec, exec, s[6:7]
	s_cmp_lg_u32 s79, 0
	v_mbcnt_lo_u32_b32 v34, -1, 0
	s_waitcnt lgkmcnt(0)
	s_barrier
	s_cbranch_scc0 .LBB292_215
; %bb.143:
	s_mov_b32 s0, 0x10000
	v_cmp_gt_u32_e64 s[6:7], s0, v18
	v_cmp_gt_u32_e64 s[8:9], s0, v19
	v_cmp_gt_u32_e64 s[10:11], s0, v20
	v_cndmask_b32_e64 v24, 1, v1, s[6:7]
	v_mul_lo_u16_e32 v24, v24, v18
	v_cndmask_b32_e64 v24, 1, v24, s[8:9]
	v_mul_lo_u16_e32 v24, v24, v19
	v_cndmask_b32_e64 v24, 1, v24, s[10:11]
	v_mul_lo_u16_e32 v24, v24, v20
	v_cmp_gt_u32_e64 s[12:13], s0, v21
	v_cmp_gt_u32_e64 s[14:15], s0, v38
	v_cmp_gt_u32_e64 s[16:17], s0, v2
	v_cndmask_b32_e64 v24, 1, v24, s[12:13]
	v_mul_lo_u16_e32 v24, v24, v21
	v_cndmask_b32_e64 v24, 1, v24, s[14:15]
	v_mul_lo_u16_e32 v24, v24, v38
	v_cndmask_b32_e64 v24, 1, v24, s[16:17]
	v_mul_lo_u16_e32 v24, v24, v2
	v_cmp_gt_u32_e64 s[18:19], s0, v3
	v_cmp_gt_u32_e64 s[20:21], s0, v4
	v_cmp_gt_u32_e64 s[22:23], s0, v5
	v_cndmask_b32_e64 v24, 1, v24, s[18:19]
	v_mul_lo_u16_e32 v24, v24, v3
	v_cndmask_b32_e64 v24, 1, v24, s[20:21]
	v_mul_lo_u16_e32 v24, v24, v4
	v_cndmask_b32_e64 v24, 1, v24, s[22:23]
	v_mul_lo_u16_e32 v24, v24, v5
	v_cmp_gt_u32_e64 s[24:25], s0, v6
	v_cmp_gt_u32_e64 s[26:27], s0, v7
	v_cmp_gt_u32_e64 s[28:29], s0, v8
	v_cndmask_b32_e64 v24, 1, v24, s[24:25]
	v_mul_lo_u16_e32 v24, v24, v6
	v_cndmask_b32_e64 v24, 1, v24, s[26:27]
	v_mul_lo_u16_e32 v24, v24, v7
	v_cndmask_b32_e64 v24, 1, v24, s[28:29]
	v_mul_lo_u16_e32 v24, v24, v8
	v_cmp_gt_u32_e64 s[30:31], s0, v9
	v_cmp_gt_u32_e64 s[34:35], s0, v39
	v_cmp_gt_u32_e64 s[36:37], s0, v10
	v_cndmask_b32_e64 v24, 1, v24, s[30:31]
	v_mul_lo_u16_e32 v24, v24, v9
	v_cndmask_b32_e64 v24, 1, v24, s[34:35]
	v_mul_lo_u16_e32 v24, v24, v39
	v_cndmask_b32_e64 v24, 1, v24, s[36:37]
	v_mul_lo_u16_e32 v24, v24, v10
	v_cmp_gt_u32_e64 s[38:39], s0, v11
	v_cmp_gt_u32_e64 s[40:41], s0, v12
	v_or3_b32 v25, v23, v17, v16
	v_cndmask_b32_e64 v24, 1, v24, s[38:39]
	v_mul_lo_u16_e32 v24, v24, v11
	v_cndmask_b32_e64 v24, 1, v24, s[40:41]
	v_mul_lo_u16_e32 v24, v24, v12
	v_cmp_gt_u32_e64 s[42:43], s0, v13
	v_or3_b32 v25, v25, v15, v14
	v_or3_b32 v25, v25, v13, v12
	v_cndmask_b32_e64 v24, 1, v24, s[42:43]
	v_mul_lo_u16_e32 v24, v24, v13
	v_cmp_gt_u32_e64 s[44:45], s0, v14
	v_or3_b32 v25, v25, v11, v10
	v_or3_b32 v25, v25, v39, v9
	;; [unrolled: 5-line block ×5, first 2 shown]
	v_cndmask_b32_e64 v24, 1, v24, s[50:51]
	v_mul_lo_u16_e32 v24, v24, v17
	v_cmp_gt_u32_e64 s[52:53], s0, v23
	v_and_b32_e32 v25, 0x10000, v25
	v_lshrrev_b32_e32 v35, 16, v1
	v_cndmask_b32_e64 v26, 1, v24, s[52:53]
	v_cmp_ne_u32_e32 vcc, 0, v25
	v_mul_lo_u16_e32 v24, v26, v23
	v_mbcnt_hi_u32_b32 v27, -1, v34
	v_cndmask_b32_e64 v25, v35, 1, vcc
	v_mul_lo_u16_e32 v26, v26, v23
	v_and_b32_e32 v29, 15, v27
	v_lshl_or_b32 v26, v25, 16, v26
	v_cmp_ne_u32_e32 vcc, 0, v29
	s_nop 0
	v_mov_b32_dpp v28, v26 row_shr:1 row_mask:0xf bank_mask:0xf
	s_and_saveexec_b64 s[0:1], vcc
	s_cbranch_execz .LBB292_145
; %bb.144:
	v_cmp_eq_u32_e32 vcc, 0, v25
	v_and_b32_e32 v25, 1, v25
	v_mov_b32_e32 v31, 1
	v_cndmask_b32_e32 v26, 1, v28, vcc
	v_and_b32_sdwa v28, v28, v31 dst_sel:DWORD dst_unused:UNUSED_PAD src0_sel:WORD_1 src1_sel:DWORD
	v_cmp_eq_u32_e32 vcc, 1, v25
	v_mul_lo_u16_e32 v30, v26, v24
	v_mul_lo_u16_e32 v24, v26, v24
	v_cndmask_b32_e64 v25, v28, 1, vcc
	v_lshlrev_b32_e32 v28, 16, v25
	v_or_b32_e32 v26, v28, v24
	v_mov_b32_e32 v24, v30
.LBB292_145:
	s_or_b64 exec, exec, s[0:1]
	v_lshrrev_b32_e32 v28, 16, v26
	v_mov_b32_dpp v30, v26 row_shr:2 row_mask:0xf bank_mask:0xf
	v_cmp_lt_u32_e32 vcc, 1, v29
	s_and_saveexec_b64 s[0:1], vcc
	s_cbranch_execz .LBB292_147
; %bb.146:
	s_mov_b32 s54, 0x10000
	v_cmp_gt_u32_e32 vcc, s54, v26
	v_and_b32_e32 v25, 0x10000, v26
	v_mov_b32_e32 v26, 1
	v_cndmask_b32_e32 v28, 1, v30, vcc
	v_and_b32_sdwa v26, v30, v26 dst_sel:DWORD dst_unused:UNUSED_PAD src0_sel:WORD_1 src1_sel:DWORD
	v_cmp_ne_u32_e32 vcc, 0, v25
	v_mul_lo_u16_e32 v31, v28, v24
	v_mul_lo_u16_e32 v24, v28, v24
	v_cndmask_b32_e64 v25, v26, 1, vcc
	v_lshlrev_b32_e32 v26, 16, v25
	v_or_b32_e32 v26, v26, v24
	v_mov_b32_e32 v28, v25
	v_mov_b32_e32 v24, v31
.LBB292_147:
	s_or_b64 exec, exec, s[0:1]
	v_mov_b32_dpp v30, v26 row_shr:4 row_mask:0xf bank_mask:0xf
	v_cmp_lt_u32_e32 vcc, 3, v29
	s_and_saveexec_b64 s[0:1], vcc
	s_cbranch_execz .LBB292_149
; %bb.148:
	v_mov_b32_e32 v25, 0
	v_cmp_eq_u16_sdwa vcc, v28, v25 src0_sel:BYTE_0 src1_sel:DWORD
	v_and_b32_e32 v25, 1, v28
	v_mov_b32_e32 v28, 1
	v_cndmask_b32_e32 v26, 1, v30, vcc
	v_and_b32_sdwa v28, v30, v28 dst_sel:DWORD dst_unused:UNUSED_PAD src0_sel:WORD_1 src1_sel:DWORD
	v_cmp_eq_u32_e32 vcc, 1, v25
	v_mul_lo_u16_e32 v31, v26, v24
	v_mul_lo_u16_e32 v24, v26, v24
	v_cndmask_b32_e64 v25, v28, 1, vcc
	v_lshlrev_b32_e32 v28, 16, v25
	v_or_b32_e32 v26, v28, v24
	v_mov_b32_e32 v28, v25
	v_mov_b32_e32 v24, v31
.LBB292_149:
	s_or_b64 exec, exec, s[0:1]
	v_mov_b32_dpp v30, v26 row_shr:8 row_mask:0xf bank_mask:0xf
	v_cmp_lt_u32_e32 vcc, 7, v29
	s_and_saveexec_b64 s[0:1], vcc
	s_cbranch_execz .LBB292_151
; %bb.150:
	v_mov_b32_e32 v25, 0
	v_cmp_eq_u16_sdwa vcc, v28, v25 src0_sel:BYTE_0 src1_sel:DWORD
	v_and_b32_e32 v25, 1, v28
	v_mov_b32_e32 v28, 1
	v_cndmask_b32_e32 v26, 1, v30, vcc
	v_and_b32_sdwa v28, v30, v28 dst_sel:DWORD dst_unused:UNUSED_PAD src0_sel:WORD_1 src1_sel:DWORD
	v_cmp_eq_u32_e32 vcc, 1, v25
	v_mul_lo_u16_e32 v29, v26, v24
	v_mul_lo_u16_e32 v24, v26, v24
	v_cndmask_b32_e64 v25, v28, 1, vcc
	v_lshlrev_b32_e32 v28, 16, v25
	v_or_b32_e32 v26, v28, v24
	v_mov_b32_e32 v28, v25
	v_mov_b32_e32 v24, v29
.LBB292_151:
	s_or_b64 exec, exec, s[0:1]
	v_and_b32_e32 v30, 16, v27
	v_mov_b32_dpp v29, v26 row_bcast:15 row_mask:0xf bank_mask:0xf
	v_cmp_ne_u32_e32 vcc, 0, v30
	s_and_saveexec_b64 s[0:1], vcc
	s_cbranch_execz .LBB292_153
; %bb.152:
	v_mov_b32_e32 v25, 0
	v_cmp_eq_u16_sdwa vcc, v28, v25 src0_sel:BYTE_0 src1_sel:DWORD
	v_and_b32_e32 v25, 1, v28
	v_mov_b32_e32 v28, 1
	v_cndmask_b32_e32 v26, 1, v29, vcc
	v_and_b32_sdwa v28, v29, v28 dst_sel:DWORD dst_unused:UNUSED_PAD src0_sel:WORD_1 src1_sel:DWORD
	v_cmp_eq_u32_e32 vcc, 1, v25
	v_mul_lo_u16_e32 v30, v26, v24
	v_mul_lo_u16_e32 v24, v26, v24
	v_cndmask_b32_e64 v25, v28, 1, vcc
	v_lshlrev_b32_e32 v28, 16, v25
	v_or_b32_e32 v26, v28, v24
	v_mov_b32_e32 v24, v30
	v_mov_b32_e32 v28, v25
.LBB292_153:
	s_or_b64 exec, exec, s[0:1]
	v_mov_b32_dpp v26, v26 row_bcast:31 row_mask:0xf bank_mask:0xf
	v_cmp_lt_u32_e32 vcc, 31, v27
	s_and_saveexec_b64 s[0:1], vcc
; %bb.154:
	v_mov_b32_e32 v25, 0
	v_cmp_eq_u16_sdwa vcc, v28, v25 src0_sel:BYTE_0 src1_sel:DWORD
	s_nop 1
	v_cndmask_b32_e32 v25, 1, v26, vcc
	v_mul_lo_u16_e32 v24, v25, v24
	v_and_b32_e32 v25, 1, v28
	v_mov_b32_e32 v28, 1
	v_and_b32_sdwa v26, v26, v28 dst_sel:DWORD dst_unused:UNUSED_PAD src0_sel:WORD_1 src1_sel:DWORD
	v_cmp_eq_u32_e32 vcc, 1, v25
	s_nop 1
	v_cndmask_b32_e64 v25, v26, 1, vcc
; %bb.155:
	s_or_b64 exec, exec, s[0:1]
	v_or_b32_e32 v28, 63, v0
	v_lshrrev_b32_e32 v26, 6, v0
	v_cmp_eq_u32_e32 vcc, v28, v0
	s_and_saveexec_b64 s[0:1], vcc
	s_cbranch_execz .LBB292_157
; %bb.156:
	v_lshlrev_b32_e32 v28, 2, v26
	ds_write_b16 v28, v24
	ds_write_b8 v28, v25 offset:2
.LBB292_157:
	s_or_b64 exec, exec, s[0:1]
	v_cmp_gt_u32_e32 vcc, 4, v0
	s_waitcnt lgkmcnt(0)
	s_barrier
	s_and_saveexec_b64 s[0:1], vcc
	s_cbranch_execz .LBB292_163
; %bb.158:
	v_lshlrev_b32_e32 v28, 2, v0
	ds_read_b32 v29, v28
	v_and_b32_e32 v32, 3, v27
	v_cmp_ne_u32_e32 vcc, 0, v32
	s_waitcnt lgkmcnt(0)
	v_lshrrev_b32_e32 v31, 16, v29
	v_mov_b32_dpp v33, v29 row_shr:1 row_mask:0xf bank_mask:0xf
	v_mov_b32_e32 v30, v29
	s_and_saveexec_b64 s[54:55], vcc
	s_cbranch_execz .LBB292_160
; %bb.159:
	v_mov_b32_e32 v30, 0
	v_cmp_eq_u16_sdwa vcc, v31, v30 src0_sel:BYTE_0 src1_sel:DWORD
	v_and_b32_e32 v31, 0x10000, v29
	v_mov_b32_e32 v40, 1
	v_cndmask_b32_e32 v37, 1, v33, vcc
	v_and_b32_sdwa v33, v33, v40 dst_sel:DWORD dst_unused:UNUSED_PAD src0_sel:WORD_1 src1_sel:DWORD
	v_cmp_ne_u32_e32 vcc, 0, v31
	v_and_b32_e32 v36, 0xff000000, v29
	v_mul_lo_u16_e32 v30, v37, v29
	v_cndmask_b32_e64 v31, v33, 1, vcc
	v_lshlrev_b32_e32 v33, 16, v31
	v_mul_lo_u16_e32 v29, v37, v29
	v_or3_b32 v29, v33, v36, v29
.LBB292_160:
	s_or_b64 exec, exec, s[54:55]
	s_nop 0
	v_mov_b32_dpp v33, v29 row_shr:2 row_mask:0xf bank_mask:0xf
	v_cmp_lt_u32_e32 vcc, 1, v32
	s_and_saveexec_b64 s[54:55], vcc
; %bb.161:
	v_and_b32_e32 v31, 0xff0000, v29
	v_cmp_eq_u32_e32 vcc, 0, v31
	v_and_b32_e32 v29, 0x10000, v29
	s_nop 0
	v_cndmask_b32_e32 v31, 1, v33, vcc
	v_mul_lo_u16_e32 v30, v31, v30
	v_mov_b32_e32 v31, 1
	v_and_b32_sdwa v31, v33, v31 dst_sel:DWORD dst_unused:UNUSED_PAD src0_sel:WORD_1 src1_sel:DWORD
	v_cmp_eq_u32_e32 vcc, 0, v29
	s_nop 1
	v_cndmask_b32_e32 v31, 1, v31, vcc
; %bb.162:
	s_or_b64 exec, exec, s[54:55]
	ds_write_b16 v28, v30
	ds_write_b8 v28, v31 offset:2
.LBB292_163:
	s_or_b64 exec, exec, s[0:1]
	v_cmp_gt_u32_e32 vcc, 64, v0
	v_cmp_lt_u32_e64 s[0:1], 63, v0
	v_mov_b32_e32 v36, 0
	v_mov_b32_e32 v37, 0
	s_waitcnt lgkmcnt(0)
	s_barrier
	s_and_saveexec_b64 s[54:55], s[0:1]
	s_cbranch_execz .LBB292_165
; %bb.164:
	v_lshl_add_u32 v26, v26, 2, -4
	ds_read_u16 v36, v26
	ds_read_u8 v37, v26 offset:2
	v_mov_b32_e32 v28, 0
	v_and_b32_e32 v29, 1, v25
	v_cmp_eq_u16_sdwa s[0:1], v25, v28 src0_sel:BYTE_0 src1_sel:DWORD
	s_waitcnt lgkmcnt(1)
	s_nop 0
	v_cndmask_b32_e64 v25, 1, v36, s[0:1]
	v_cmp_eq_u32_e64 s[0:1], 1, v29
	v_mul_lo_u16_e32 v24, v25, v24
	s_waitcnt lgkmcnt(0)
	v_cndmask_b32_e64 v25, v37, 1, s[0:1]
.LBB292_165:
	s_or_b64 exec, exec, s[54:55]
	v_and_b32_e32 v25, 0xff, v25
	v_and_b32_e32 v24, 0xffff, v24
	v_lshl_or_b32 v24, v25, 16, v24
	v_add_u32_e32 v25, -1, v27
	v_and_b32_e32 v26, 64, v27
	v_cmp_lt_i32_e64 s[0:1], v25, v26
	v_cmp_eq_u32_e64 s[54:55], 0, v27
	s_nop 0
	v_cndmask_b32_e64 v25, v25, v27, s[0:1]
	v_lshlrev_b32_e32 v25, 2, v25
	ds_bpermute_b32 v40, v25, v24
	s_and_saveexec_b64 s[0:1], vcc
	s_cbranch_execz .LBB292_212
; %bb.166:
	v_mov_b32_e32 v33, 0
	ds_read_b32 v24, v33 offset:12
	s_and_saveexec_b64 s[62:63], s[54:55]
	s_cbranch_execz .LBB292_168
; %bb.167:
	s_add_i32 s64, s79, 64
	s_mov_b32 s65, 0
	s_lshl_b64 s[64:65], s[64:65], 3
	s_add_u32 s64, s76, s64
	v_mov_b32_e32 v25, 1
	s_addc_u32 s65, s77, s65
	s_waitcnt lgkmcnt(0)
	global_store_dwordx2 v33, v[24:25], s[64:65] sc1
.LBB292_168:
	s_or_b64 exec, exec, s[62:63]
	v_xad_u32 v26, v27, -1, s79
	v_add_u32_e32 v32, 64, v26
	v_lshl_add_u64 v[30:31], v[32:33], 3, s[76:77]
	global_load_dwordx2 v[28:29], v[30:31], off sc1
	s_waitcnt vmcnt(0)
	v_cmp_eq_u16_sdwa s[64:65], v29, v33 src0_sel:BYTE_0 src1_sel:DWORD
	s_and_saveexec_b64 s[62:63], s[64:65]
	s_cbranch_execz .LBB292_174
; %bb.169:
	s_mov_b32 s68, 1
	s_mov_b64 s[64:65], 0
	v_mov_b32_e32 v25, 0
.LBB292_170:                            ; =>This Loop Header: Depth=1
                                        ;     Child Loop BB292_171 Depth 2
	s_max_u32 s69, s68, 1
.LBB292_171:                            ;   Parent Loop BB292_170 Depth=1
                                        ; =>  This Inner Loop Header: Depth=2
	s_add_i32 s69, s69, -1
	s_cmp_eq_u32 s69, 0
	s_sleep 1
	s_cbranch_scc0 .LBB292_171
; %bb.172:                              ;   in Loop: Header=BB292_170 Depth=1
	global_load_dwordx2 v[28:29], v[30:31], off sc1
	s_cmp_lt_u32 s68, 32
	s_cselect_b64 s[72:73], -1, 0
	s_cmp_lg_u64 s[72:73], 0
	s_addc_u32 s68, s68, 0
	s_waitcnt vmcnt(0)
	v_cmp_ne_u16_sdwa s[72:73], v29, v25 src0_sel:BYTE_0 src1_sel:DWORD
	s_or_b64 s[64:65], s[72:73], s[64:65]
	s_andn2_b64 exec, exec, s[64:65]
	s_cbranch_execnz .LBB292_170
; %bb.173:
	s_or_b64 exec, exec, s[64:65]
.LBB292_174:
	s_or_b64 exec, exec, s[62:63]
	v_mov_b32_e32 v25, 2
	v_cmp_eq_u16_sdwa s[62:63], v29, v25 src0_sel:BYTE_0 src1_sel:DWORD
	v_lshlrev_b64 v[30:31], v27, -1
	v_and_b32_e32 v52, 0xffffff, v28
	v_and_b32_e32 v25, s63, v31
	v_or_b32_e32 v25, 0x80000000, v25
	v_ffbl_b32_e32 v25, v25
	v_add_u32_e32 v33, 32, v25
	v_and_b32_e32 v25, 63, v27
	v_cmp_ne_u32_e32 vcc, 63, v25
	v_and_b32_e32 v32, s62, v30
	v_ffbl_b32_e32 v32, v32
	v_addc_co_u32_e32 v41, vcc, 0, v27, vcc
	v_lshlrev_b32_e32 v41, 2, v41
	ds_bpermute_b32 v42, v41, v52
	v_min_u32_e32 v33, v32, v33
	v_lshrrev_b32_e32 v32, 16, v28
	v_cmp_lt_u32_e32 vcc, v25, v33
	v_bfe_u32 v50, v28, 16, 8
	s_and_saveexec_b64 s[62:63], vcc
	s_cbranch_execz .LBB292_176
; %bb.175:
	v_and_b32_e32 v32, 0xff0000, v28
	v_cmp_eq_u32_e32 vcc, 0, v32
	v_and_b32_e32 v32, 0x10000, v32
	v_mov_b32_e32 v45, 1
	s_waitcnt lgkmcnt(0)
	v_cndmask_b32_e32 v43, 1, v42, vcc
	v_and_b32_sdwa v42, v42, v45 dst_sel:DWORD dst_unused:UNUSED_PAD src0_sel:WORD_1 src1_sel:DWORD
	v_cmp_ne_u32_e32 vcc, 0, v32
	v_mul_lo_u16_e32 v44, v43, v28
	v_mul_lo_u16_e32 v28, v43, v28
	v_cndmask_b32_e64 v32, v42, 1, vcc
	v_lshlrev_b32_e32 v42, 16, v32
	v_or_b32_e32 v52, v42, v28
	v_mov_b32_e32 v28, v44
	v_mov_b32_e32 v50, v32
.LBB292_176:
	s_or_b64 exec, exec, s[62:63]
	v_cmp_gt_u32_e32 vcc, 62, v25
	v_add_u32_e32 v43, 2, v25
	s_waitcnt lgkmcnt(0)
	v_cndmask_b32_e64 v42, 0, 1, vcc
	v_lshlrev_b32_e32 v42, 1, v42
	v_add_lshl_u32 v42, v42, v27, 2
	ds_bpermute_b32 v44, v42, v52
	v_cmp_le_u32_e32 vcc, v43, v33
	s_and_saveexec_b64 s[62:63], vcc
	s_cbranch_execz .LBB292_178
; %bb.177:
	v_cmp_eq_u16_e32 vcc, 0, v50
	v_and_b32_e32 v32, 1, v50
	v_mov_b32_e32 v47, 1
	s_waitcnt lgkmcnt(0)
	v_cndmask_b32_e32 v45, 1, v44, vcc
	v_and_b32_sdwa v44, v44, v47 dst_sel:DWORD dst_unused:UNUSED_PAD src0_sel:WORD_1 src1_sel:DWORD
	v_cmp_eq_u32_e32 vcc, 1, v32
	v_mul_lo_u16_e32 v46, v45, v28
	v_mul_lo_u16_e32 v28, v45, v28
	v_cndmask_b32_e64 v32, v44, 1, vcc
	v_lshlrev_b32_e32 v44, 16, v32
	v_or_b32_e32 v52, v44, v28
	v_mov_b32_e32 v28, v46
	v_mov_b32_e32 v50, v32
.LBB292_178:
	s_or_b64 exec, exec, s[62:63]
	v_cmp_gt_u32_e32 vcc, 60, v25
	v_add_u32_e32 v45, 4, v25
	s_waitcnt lgkmcnt(0)
	v_cndmask_b32_e64 v44, 0, 1, vcc
	v_lshlrev_b32_e32 v44, 2, v44
	v_add_lshl_u32 v44, v44, v27, 2
	ds_bpermute_b32 v46, v44, v52
	v_cmp_le_u32_e32 vcc, v45, v33
	s_and_saveexec_b64 s[62:63], vcc
	s_cbranch_execz .LBB292_180
; %bb.179:
	v_cmp_eq_u16_e32 vcc, 0, v50
	v_and_b32_e32 v32, 1, v50
	v_mov_b32_e32 v49, 1
	s_waitcnt lgkmcnt(0)
	v_cndmask_b32_e32 v47, 1, v46, vcc
	v_and_b32_sdwa v46, v46, v49 dst_sel:DWORD dst_unused:UNUSED_PAD src0_sel:WORD_1 src1_sel:DWORD
	v_cmp_eq_u32_e32 vcc, 1, v32
	v_mul_lo_u16_e32 v48, v47, v28
	v_mul_lo_u16_e32 v28, v47, v28
	v_cndmask_b32_e64 v32, v46, 1, vcc
	v_lshlrev_b32_e32 v46, 16, v32
	v_or_b32_e32 v52, v46, v28
	v_mov_b32_e32 v28, v48
	v_mov_b32_e32 v50, v32
.LBB292_180:
	;; [unrolled: 27-line block ×4, first 2 shown]
	s_or_b64 exec, exec, s[62:63]
	v_cmp_gt_u32_e32 vcc, 32, v25
	s_waitcnt lgkmcnt(0)
	s_nop 0
	v_cndmask_b32_e64 v51, 0, 1, vcc
	v_lshlrev_b32_e32 v51, 5, v51
	v_add_lshl_u32 v51, v51, v27, 2
	ds_bpermute_b32 v27, v51, v52
	v_add_u32_e32 v52, 32, v25
	v_cmp_le_u32_e32 vcc, v52, v33
	s_and_saveexec_b64 s[62:63], vcc
	s_cbranch_execz .LBB292_186
; %bb.185:
	v_cmp_eq_u16_e32 vcc, 0, v50
	v_mov_b32_e32 v33, 1
	s_waitcnt lgkmcnt(0)
	v_cndmask_b32_e32 v32, 1, v27, vcc
	v_mul_lo_u16_e32 v28, v32, v28
	v_and_b32_e32 v32, 1, v50
	v_and_b32_sdwa v27, v27, v33 dst_sel:DWORD dst_unused:UNUSED_PAD src0_sel:WORD_1 src1_sel:DWORD
	v_cmp_eq_u32_e32 vcc, 1, v32
	s_nop 1
	v_cndmask_b32_e64 v32, v27, 1, vcc
.LBB292_186:
	s_or_b64 exec, exec, s[62:63]
	s_waitcnt lgkmcnt(0)
	v_mov_b32_e32 v27, 0
	v_mov_b32_e32 v54, 2
	;; [unrolled: 1-line block ×3, first 2 shown]
	s_branch .LBB292_188
.LBB292_187:                            ;   in Loop: Header=BB292_188 Depth=1
	s_or_b64 exec, exec, s[62:63]
	v_cmp_eq_u16_sdwa vcc, v50, v27 src0_sel:BYTE_0 src1_sel:DWORD
	v_and_b32_e32 v32, 1, v50
	v_and_b32_e32 v33, 1, v33
	v_cndmask_b32_e32 v28, 1, v28, vcc
	v_cmp_eq_u32_e32 vcc, 1, v32
	v_subrev_u32_e32 v26, 64, v26
	v_mul_lo_u16_e32 v28, v28, v53
	v_cndmask_b32_e64 v32, v33, 1, vcc
.LBB292_188:                            ; =>This Loop Header: Depth=1
                                        ;     Child Loop BB292_191 Depth 2
                                        ;       Child Loop BB292_192 Depth 3
	v_cmp_ne_u16_sdwa s[62:63], v29, v54 src0_sel:BYTE_0 src1_sel:DWORD
	v_mov_b32_e32 v50, v32
	v_mov_b32_e32 v53, v28
	v_cndmask_b32_e64 v29, 0, 1, s[62:63]
	;;#ASMSTART
	;;#ASMEND
	s_nop 0
	v_cmp_ne_u32_e32 vcc, 0, v29
	s_cmp_lg_u64 vcc, exec
	s_cbranch_scc1 .LBB292_207
; %bb.189:                              ;   in Loop: Header=BB292_188 Depth=1
	v_lshl_add_u64 v[32:33], v[26:27], 3, s[76:77]
	global_load_dwordx2 v[28:29], v[32:33], off sc1
	s_waitcnt vmcnt(0)
	v_cmp_eq_u16_sdwa s[64:65], v29, v27 src0_sel:BYTE_0 src1_sel:DWORD
	s_and_saveexec_b64 s[62:63], s[64:65]
	s_cbranch_execz .LBB292_195
; %bb.190:                              ;   in Loop: Header=BB292_188 Depth=1
	s_mov_b32 s68, 1
	s_mov_b64 s[64:65], 0
.LBB292_191:                            ;   Parent Loop BB292_188 Depth=1
                                        ; =>  This Loop Header: Depth=2
                                        ;       Child Loop BB292_192 Depth 3
	s_max_u32 s69, s68, 1
.LBB292_192:                            ;   Parent Loop BB292_188 Depth=1
                                        ;     Parent Loop BB292_191 Depth=2
                                        ; =>    This Inner Loop Header: Depth=3
	s_add_i32 s69, s69, -1
	s_cmp_eq_u32 s69, 0
	s_sleep 1
	s_cbranch_scc0 .LBB292_192
; %bb.193:                              ;   in Loop: Header=BB292_191 Depth=2
	global_load_dwordx2 v[28:29], v[32:33], off sc1
	s_cmp_lt_u32 s68, 32
	s_cselect_b64 s[72:73], -1, 0
	s_cmp_lg_u64 s[72:73], 0
	s_addc_u32 s68, s68, 0
	s_waitcnt vmcnt(0)
	v_cmp_ne_u16_sdwa s[72:73], v29, v27 src0_sel:BYTE_0 src1_sel:DWORD
	s_or_b64 s[64:65], s[72:73], s[64:65]
	s_andn2_b64 exec, exec, s[64:65]
	s_cbranch_execnz .LBB292_191
; %bb.194:                              ;   in Loop: Header=BB292_188 Depth=1
	s_or_b64 exec, exec, s[64:65]
.LBB292_195:                            ;   in Loop: Header=BB292_188 Depth=1
	s_or_b64 exec, exec, s[62:63]
	v_cmp_eq_u16_sdwa s[62:63], v29, v54 src0_sel:BYTE_0 src1_sel:DWORD
	s_waitcnt lgkmcnt(0)
	v_and_b32_e32 v57, 0xffffff, v28
	ds_bpermute_b32 v58, v41, v57
	v_and_b32_e32 v32, s63, v31
	v_or_b32_e32 v32, 0x80000000, v32
	v_and_b32_e32 v33, s62, v30
	v_ffbl_b32_e32 v32, v32
	v_add_u32_e32 v32, 32, v32
	v_ffbl_b32_e32 v33, v33
	v_min_u32_e32 v32, v33, v32
	v_lshrrev_b32_e32 v33, 16, v28
	v_cmp_lt_u32_e32 vcc, v25, v32
	v_bfe_u32 v56, v28, 16, 8
	s_and_saveexec_b64 s[62:63], vcc
	s_cbranch_execz .LBB292_197
; %bb.196:                              ;   in Loop: Header=BB292_188 Depth=1
	v_and_b32_e32 v33, 0xff0000, v28
	v_cmp_eq_u32_e32 vcc, 0, v33
	v_and_b32_e32 v33, 0x10000, v33
	s_waitcnt lgkmcnt(0)
	v_and_b32_sdwa v57, v58, v55 dst_sel:DWORD dst_unused:UNUSED_PAD src0_sel:WORD_1 src1_sel:DWORD
	v_cndmask_b32_e32 v56, 1, v58, vcc
	v_cmp_ne_u32_e32 vcc, 0, v33
	v_mul_lo_u16_e32 v59, v56, v28
	v_mul_lo_u16_e32 v28, v56, v28
	v_cndmask_b32_e64 v33, v57, 1, vcc
	v_lshlrev_b32_e32 v57, 16, v33
	v_or_b32_e32 v57, v57, v28
	v_mov_b32_e32 v28, v59
	v_mov_b32_e32 v56, v33
.LBB292_197:                            ;   in Loop: Header=BB292_188 Depth=1
	s_or_b64 exec, exec, s[62:63]
	s_waitcnt lgkmcnt(0)
	ds_bpermute_b32 v58, v42, v57
	v_cmp_le_u32_e32 vcc, v43, v32
	s_and_saveexec_b64 s[62:63], vcc
	s_cbranch_execz .LBB292_199
; %bb.198:                              ;   in Loop: Header=BB292_188 Depth=1
	v_cmp_eq_u16_e32 vcc, 0, v56
	v_and_b32_e32 v33, 1, v56
	s_waitcnt lgkmcnt(0)
	v_and_b32_sdwa v56, v58, v55 dst_sel:DWORD dst_unused:UNUSED_PAD src0_sel:WORD_1 src1_sel:DWORD
	v_cndmask_b32_e32 v57, 1, v58, vcc
	v_cmp_eq_u32_e32 vcc, 1, v33
	v_mul_lo_u16_e32 v59, v57, v28
	v_mul_lo_u16_e32 v28, v57, v28
	v_cndmask_b32_e64 v33, v56, 1, vcc
	v_lshlrev_b32_e32 v56, 16, v33
	v_or_b32_e32 v57, v56, v28
	v_mov_b32_e32 v28, v59
	v_mov_b32_e32 v56, v33
.LBB292_199:                            ;   in Loop: Header=BB292_188 Depth=1
	s_or_b64 exec, exec, s[62:63]
	s_waitcnt lgkmcnt(0)
	ds_bpermute_b32 v58, v44, v57
	v_cmp_le_u32_e32 vcc, v45, v32
	s_and_saveexec_b64 s[62:63], vcc
	s_cbranch_execz .LBB292_201
; %bb.200:                              ;   in Loop: Header=BB292_188 Depth=1
	v_cmp_eq_u16_e32 vcc, 0, v56
	v_and_b32_e32 v33, 1, v56
	s_waitcnt lgkmcnt(0)
	v_and_b32_sdwa v56, v58, v55 dst_sel:DWORD dst_unused:UNUSED_PAD src0_sel:WORD_1 src1_sel:DWORD
	v_cndmask_b32_e32 v57, 1, v58, vcc
	v_cmp_eq_u32_e32 vcc, 1, v33
	v_mul_lo_u16_e32 v59, v57, v28
	v_mul_lo_u16_e32 v28, v57, v28
	v_cndmask_b32_e64 v33, v56, 1, vcc
	v_lshlrev_b32_e32 v56, 16, v33
	v_or_b32_e32 v57, v56, v28
	v_mov_b32_e32 v28, v59
	v_mov_b32_e32 v56, v33
.LBB292_201:                            ;   in Loop: Header=BB292_188 Depth=1
	;; [unrolled: 21-line block ×4, first 2 shown]
	s_or_b64 exec, exec, s[62:63]
	ds_bpermute_b32 v57, v51, v57
	v_cmp_le_u32_e32 vcc, v52, v32
	s_and_saveexec_b64 s[62:63], vcc
	s_cbranch_execz .LBB292_187
; %bb.206:                              ;   in Loop: Header=BB292_188 Depth=1
	v_cmp_eq_u16_e32 vcc, 0, v56
	s_waitcnt lgkmcnt(0)
	v_lshrrev_b32_e32 v33, 16, v57
	v_cndmask_b32_e32 v32, 1, v57, vcc
	v_mul_lo_u16_e32 v28, v32, v28
	v_and_b32_e32 v32, 1, v56
	v_cmp_eq_u32_e32 vcc, 1, v32
	s_nop 1
	v_cndmask_b32_e64 v33, v33, 1, vcc
	s_branch .LBB292_187
.LBB292_207:                            ;   in Loop: Header=BB292_188 Depth=1
                                        ; implicit-def: $vgpr32
                                        ; implicit-def: $vgpr28
	s_cbranch_execz .LBB292_188
; %bb.208:
	s_and_saveexec_b64 s[62:63], s[54:55]
	s_cbranch_execz .LBB292_210
; %bb.209:
	v_and_b32_e32 v25, 0xff0000, v24
	s_mov_b32 s65, 0
	v_cmp_eq_u32_e32 vcc, 0, v25
	v_and_b32_e32 v26, 0x10000, v24
	v_mov_b32_e32 v27, 1
	s_add_i32 s64, s79, 64
	v_cndmask_b32_e32 v25, 1, v53, vcc
	v_and_b32_sdwa v27, v50, v27 dst_sel:WORD_1 dst_unused:UNUSED_PAD src0_sel:DWORD src1_sel:DWORD
	v_mov_b32_e32 v28, 0x10000
	v_cmp_eq_u32_e32 vcc, 0, v26
	s_lshl_b64 s[64:65], s[64:65], 3
	s_add_u32 s64, s76, s64
	v_cndmask_b32_e32 v26, v28, v27, vcc
	v_mul_lo_u16_e32 v24, v25, v24
	s_addc_u32 s65, s77, s65
	v_mov_b32_e32 v27, 0
	v_or_b32_e32 v24, v26, v24
	v_mov_b32_e32 v25, 2
	global_store_dwordx2 v27, v[24:25], s[64:65] sc1
.LBB292_210:
	s_or_b64 exec, exec, s[62:63]
	s_and_b64 exec, exec, s[56:57]
	s_cbranch_execz .LBB292_212
; %bb.211:
	v_mov_b32_e32 v24, 0
	ds_write_b16 v24, v53 offset:12
	ds_write_b8 v24, v50 offset:14
.LBB292_212:
	s_or_b64 exec, exec, s[0:1]
	v_mov_b32_e32 v24, 0
	s_waitcnt lgkmcnt(0)
	s_barrier
	ds_read_b32 v25, v24 offset:12
	v_mov_b32_e32 v26, v1
	s_and_saveexec_b64 s[0:1], s[4:5]
; %bb.213:
	v_lshrrev_b32_e32 v26, 16, v40
	v_cndmask_b32_e64 v26, v26, v37, s[54:55]
	v_and_b32_e32 v28, 0x10000, v1
	v_cndmask_b32_e64 v27, v40, v36, s[54:55]
	v_and_b32_e32 v26, 1, v26
	v_cmp_ne_u32_e32 vcc, 0, v28
	s_mov_b32 s54, 0x10000
	s_nop 0
	v_cndmask_b32_e64 v35, v26, 1, vcc
	v_cmp_gt_u32_e32 vcc, s54, v1
	s_nop 1
	v_cndmask_b32_e32 v26, 1, v27, vcc
	v_mul_lo_u16_e32 v26, v26, v1
; %bb.214:
	s_or_b64 exec, exec, s[0:1]
	v_cmp_eq_u16_sdwa vcc, v35, v24 src0_sel:BYTE_0 src1_sel:DWORD
	s_waitcnt lgkmcnt(0)
	s_nop 0
	v_cndmask_b32_e32 v24, 1, v25, vcc
	v_mul_lo_u16_e32 v50, v24, v26
	v_cndmask_b32_e64 v24, 1, v50, s[6:7]
	v_mul_lo_u16_e32 v24, v24, v18
	v_cndmask_b32_e64 v25, 1, v24, s[8:9]
	;; [unrolled: 2-line block ×23, first 2 shown]
	v_mul_lo_u16_e32 v49, v49, v23
	s_branch .LBB292_245
.LBB292_215:
                                        ; implicit-def: $vgpr50
                                        ; implicit-def: $vgpr24
                                        ; implicit-def: $vgpr25
                                        ; implicit-def: $vgpr26
                                        ; implicit-def: $vgpr27
                                        ; implicit-def: $vgpr28
                                        ; implicit-def: $vgpr29
                                        ; implicit-def: $vgpr31
                                        ; implicit-def: $vgpr30
                                        ; implicit-def: $vgpr32
                                        ; implicit-def: $vgpr33
                                        ; implicit-def: $vgpr35
                                        ; implicit-def: $vgpr36
                                        ; implicit-def: $vgpr37
                                        ; implicit-def: $vgpr40
                                        ; implicit-def: $vgpr42
                                        ; implicit-def: $vgpr41
                                        ; implicit-def: $vgpr43
                                        ; implicit-def: $vgpr44
                                        ; implicit-def: $vgpr45
                                        ; implicit-def: $vgpr46
                                        ; implicit-def: $vgpr47
                                        ; implicit-def: $vgpr48
                                        ; implicit-def: $vgpr49
	s_cbranch_execz .LBB292_245
; %bb.216:
	s_cmp_lg_u64 s[80:81], 0
	s_cselect_b32 s7, s71, 0
	s_cselect_b32 s6, s70, 0
	s_cmp_lg_u64 s[6:7], 0
	s_cselect_b64 s[0:1], -1, 0
	s_and_b64 s[8:9], s[56:57], s[0:1]
	s_and_saveexec_b64 s[0:1], s[8:9]
	s_cbranch_execz .LBB292_218
; %bb.217:
	v_mov_b32_e32 v24, 0
	global_load_ushort v25, v24, s[6:7]
	global_load_ubyte v26, v24, s[6:7] offset:2
	s_mov_b32 s6, 0x10000
	v_and_b32_e32 v24, 0x10000, v1
	v_mov_b32_e32 v27, 1
	v_cmp_gt_u32_e32 vcc, s6, v1
	v_mov_b32_e32 v28, 0x10000
	s_waitcnt vmcnt(0)
	v_and_b32_sdwa v26, v26, v27 dst_sel:WORD_1 dst_unused:UNUSED_PAD src0_sel:DWORD src1_sel:DWORD
	v_cndmask_b32_e32 v25, 1, v25, vcc
	v_cmp_eq_u32_e32 vcc, 0, v24
	v_mul_lo_u16_e32 v1, v25, v1
	s_nop 0
	v_cndmask_b32_e32 v24, v28, v26, vcc
	v_or_b32_e32 v1, v24, v1
.LBB292_218:
	s_or_b64 exec, exec, s[0:1]
	s_mov_b32 s50, 0x10000
	v_cmp_gt_u32_e32 vcc, s50, v18
	v_cmp_gt_u32_e64 s[6:7], s50, v19
	v_cmp_gt_u32_e64 s[8:9], s50, v20
	v_cndmask_b32_e32 v24, 1, v1, vcc
	v_mul_lo_u16_e32 v24, v24, v18
	v_cndmask_b32_e64 v25, 1, v24, s[6:7]
	v_mul_lo_u16_e32 v25, v25, v19
	v_bfe_u32 v28, v19, 16, 1
	v_mov_b32_e32 v53, 1
	v_cndmask_b32_e64 v26, 1, v25, s[8:9]
	v_lshlrev_b16_e32 v28, 1, v28
	v_and_b32_sdwa v29, v18, v53 dst_sel:DWORD dst_unused:UNUSED_PAD src0_sel:WORD_1 src1_sel:DWORD
	v_mul_lo_u16_e32 v26, v26, v20
	v_cmp_gt_u32_e64 s[10:11], s50, v21
	v_or_b32_e32 v28, v29, v28
	v_bfe_u32 v29, v21, 16, 1
	v_and_b32_sdwa v30, v20, v53 dst_sel:DWORD dst_unused:UNUSED_PAD src0_sel:WORD_1 src1_sel:DWORD
	v_cndmask_b32_e64 v27, 1, v26, s[10:11]
	v_lshlrev_b16_e32 v29, 3, v29
	v_lshlrev_b16_e32 v30, 2, v30
	v_mul_lo_u16_e32 v27, v27, v21
	v_or_b32_e32 v29, v29, v30
	v_cmp_gt_u32_e64 s[12:13], s50, v38
	v_or_b32_e32 v49, v28, v29
	v_and_b32_e32 v29, 0x10000, v38
	v_cndmask_b32_e64 v28, 1, v27, s[12:13]
	v_mul_lo_u16_e32 v28, v28, v38
	v_cmp_gt_u32_e64 s[14:15], s50, v2
	v_cmp_ne_u32_e64 s[0:1], 0, v29
	v_cmp_gt_u32_e64 s[16:17], s50, v3
	v_cndmask_b32_e64 v29, 1, v28, s[14:15]
	v_mul_lo_u16_e32 v29, v29, v2
	v_cndmask_b32_e64 v30, 1, v29, s[16:17]
	v_mul_lo_u16_e32 v31, v30, v3
	v_cmp_gt_u32_e64 s[18:19], s50, v4
	v_cmp_gt_u32_e64 s[20:21], s50, v5
	;; [unrolled: 1-line block ×3, first 2 shown]
	v_cndmask_b32_e64 v30, 1, v31, s[18:19]
	v_mul_lo_u16_e32 v30, v30, v4
	v_cndmask_b32_e64 v32, 1, v30, s[20:21]
	v_mul_lo_u16_e32 v32, v32, v5
	v_cndmask_b32_e64 v33, 1, v32, s[22:23]
	v_mul_lo_u16_e32 v33, v33, v6
	v_cmp_gt_u32_e64 s[24:25], s50, v7
	v_cmp_gt_u32_e64 s[26:27], s50, v8
	;; [unrolled: 1-line block ×3, first 2 shown]
	v_cndmask_b32_e64 v35, 1, v33, s[24:25]
	v_mul_lo_u16_e32 v35, v35, v7
	v_cndmask_b32_e64 v36, 1, v35, s[26:27]
	v_mul_lo_u16_e32 v36, v36, v8
	;; [unrolled: 2-line block ×3, first 2 shown]
	v_cmp_gt_u32_e64 s[30:31], s50, v39
	v_and_b32_e32 v41, 0x10000, v39
	v_cmp_gt_u32_e64 s[34:35], s50, v10
	v_cndmask_b32_e64 v40, 1, v37, s[30:31]
	v_mul_lo_u16_e32 v40, v40, v39
	v_cmp_ne_u32_e64 s[52:53], 0, v41
	v_cndmask_b32_e64 v41, 1, v40, s[34:35]
	v_mul_lo_u16_e32 v42, v41, v10
	v_cmp_gt_u32_e64 s[36:37], s50, v11
	v_cmp_gt_u32_e64 s[38:39], s50, v12
	v_and_b32_e32 v52, 0x10000, v23
	v_cndmask_b32_e64 v41, 1, v42, s[36:37]
	v_mul_lo_u16_e32 v41, v41, v11
	v_cndmask_b32_e64 v43, 1, v41, s[38:39]
	v_mul_lo_u16_e32 v43, v43, v12
	v_cmp_gt_u32_e64 s[40:41], s50, v13
	v_cmp_ne_u32_e64 s[54:55], 0, v52
	v_or_b32_e32 v52, v16, v8
	v_or_b32_e32 v55, v17, v9
	;; [unrolled: 1-line block ×3, first 2 shown]
	v_cndmask_b32_e64 v44, 1, v43, s[40:41]
	v_or_b32_e32 v56, v14, v6
	v_or_b32_e32 v58, v12, v4
	;; [unrolled: 1-line block ×4, first 2 shown]
	v_bfe_u32 v57, v57, 16, 1
	v_bfe_u32 v55, v55, 16, 1
	v_and_b32_sdwa v52, v52, v53 dst_sel:DWORD dst_unused:UNUSED_PAD src0_sel:WORD_1 src1_sel:DWORD
	v_mul_lo_u16_e32 v44, v44, v13
	v_cmp_gt_u32_e64 s[42:43], s50, v14
	v_or_b32_e32 v60, v10, v2
	v_bfe_u32 v61, v61, 16, 1
	v_bfe_u32 v59, v59, 16, 1
	v_and_b32_sdwa v58, v58, v53 dst_sel:DWORD dst_unused:UNUSED_PAD src0_sel:WORD_1 src1_sel:DWORD
	v_lshlrev_b16_e32 v57, 1, v57
	v_and_b32_sdwa v56, v56, v53 dst_sel:DWORD dst_unused:UNUSED_PAD src0_sel:WORD_1 src1_sel:DWORD
	v_lshlrev_b16_e32 v55, 3, v55
	v_lshlrev_b16_e32 v52, 2, v52
	v_cndmask_b32_e64 v45, 1, v44, s[42:43]
	v_lshlrev_b16_e32 v61, 1, v61
	v_and_b32_sdwa v60, v60, v53 dst_sel:DWORD dst_unused:UNUSED_PAD src0_sel:WORD_1 src1_sel:DWORD
	v_lshlrev_b16_e32 v59, 3, v59
	v_lshlrev_b16_e32 v58, 2, v58
	v_or_b32_e32 v56, v56, v57
	v_or_b32_e32 v52, v55, v52
	v_mul_lo_u16_e32 v45, v45, v14
	v_cmp_gt_u32_e64 s[44:45], s50, v15
	v_or_b32_e32 v60, v60, v61
	v_or_b32_e32 v58, v59, v58
	;; [unrolled: 1-line block ×3, first 2 shown]
	v_cndmask_b32_e64 v46, 1, v45, s[44:45]
	v_or_b32_e32 v58, v60, v58
	v_lshlrev_b16_e32 v52, 4, v52
	v_mul_lo_u16_e32 v46, v46, v15
	v_cmp_gt_u32_e64 s[46:47], s50, v16
	v_or_b32_e32 v52, v58, v52
	v_or_b32_e32 v49, v52, v49
	v_cndmask_b32_e64 v47, 1, v46, s[46:47]
	v_mov_b32_e32 v52, 0
	v_mul_lo_u16_e32 v47, v47, v16
	v_cmp_gt_u32_e64 s[48:49], s50, v17
	v_cmp_ne_u16_sdwa s[62:63], v49, v52 src0_sel:BYTE_0 src1_sel:DWORD
	s_or_b64 s[54:55], s[54:55], s[62:63]
	v_cndmask_b32_e64 v48, 1, v47, s[48:49]
	v_mul_lo_u16_e32 v48, v48, v17
	v_cmp_gt_u32_e64 s[50:51], s50, v23
	s_or_b64 s[52:53], s[54:55], s[52:53]
	v_lshrrev_b32_e32 v50, 16, v1
	v_cndmask_b32_e64 v54, 1, v48, s[50:51]
	s_or_b64 s[0:1], s[52:53], s[0:1]
	v_cndmask_b32_e64 v52, v50, 1, s[0:1]
	v_mbcnt_hi_u32_b32 v34, -1, v34
	v_mul_lo_u16_e32 v49, v54, v23
	v_mul_lo_u16_e32 v51, v54, v23
	v_and_b32_e32 v55, 15, v34
	v_lshl_or_b32 v54, v52, 16, v49
	v_cmp_ne_u32_e64 s[0:1], 0, v55
	s_nop 0
	v_mov_b32_dpp v56, v54 row_shr:1 row_mask:0xf bank_mask:0xf
	s_and_saveexec_b64 s[52:53], s[0:1]
; %bb.219:
	v_cmp_eq_u32_e64 s[0:1], 0, v52
	v_and_b32_e32 v52, 1, v52
	v_and_b32_sdwa v53, v56, v53 dst_sel:DWORD dst_unused:UNUSED_PAD src0_sel:WORD_1 src1_sel:DWORD
	v_cndmask_b32_e64 v54, 1, v56, s[0:1]
	v_cmp_eq_u32_e64 s[0:1], 1, v52
	v_mul_lo_u16_e32 v57, v51, v54
	v_mul_lo_u16_e32 v51, v51, v54
	v_cndmask_b32_e64 v52, v53, 1, s[0:1]
	v_lshlrev_b32_e32 v53, 16, v52
	v_or_b32_e32 v54, v53, v51
	v_mov_b32_e32 v51, v57
; %bb.220:
	s_or_b64 exec, exec, s[52:53]
	v_lshrrev_b32_e32 v53, 16, v54
	v_mov_b32_dpp v56, v54 row_shr:2 row_mask:0xf bank_mask:0xf
	v_cmp_lt_u32_e64 s[0:1], 1, v55
	s_and_saveexec_b64 s[52:53], s[0:1]
	s_cbranch_execz .LBB292_222
; %bb.221:
	s_mov_b32 s0, 0x10000
	v_cmp_gt_u32_e64 s[0:1], s0, v54
	v_and_b32_e32 v52, 0x10000, v54
	v_mov_b32_e32 v54, 1
	v_cndmask_b32_e64 v53, 1, v56, s[0:1]
	v_and_b32_sdwa v54, v56, v54 dst_sel:DWORD dst_unused:UNUSED_PAD src0_sel:WORD_1 src1_sel:DWORD
	v_cmp_ne_u32_e64 s[0:1], 0, v52
	v_mul_lo_u16_e32 v57, v53, v51
	v_mul_lo_u16_e32 v51, v53, v51
	v_cndmask_b32_e64 v52, v54, 1, s[0:1]
	v_lshlrev_b32_e32 v54, 16, v52
	v_or_b32_e32 v54, v54, v51
	v_mov_b32_e32 v53, v52
	v_mov_b32_e32 v51, v57
.LBB292_222:
	s_or_b64 exec, exec, s[52:53]
	v_mov_b32_dpp v56, v54 row_shr:4 row_mask:0xf bank_mask:0xf
	v_cmp_lt_u32_e64 s[0:1], 3, v55
	s_and_saveexec_b64 s[52:53], s[0:1]
	s_cbranch_execz .LBB292_224
; %bb.223:
	v_mov_b32_e32 v52, 0
	v_cmp_eq_u16_sdwa s[0:1], v53, v52 src0_sel:BYTE_0 src1_sel:DWORD
	v_and_b32_e32 v52, 1, v53
	v_mov_b32_e32 v53, 1
	v_cndmask_b32_e64 v54, 1, v56, s[0:1]
	v_and_b32_sdwa v53, v56, v53 dst_sel:DWORD dst_unused:UNUSED_PAD src0_sel:WORD_1 src1_sel:DWORD
	v_cmp_eq_u32_e64 s[0:1], 1, v52
	v_mul_lo_u16_e32 v57, v54, v51
	v_mul_lo_u16_e32 v51, v54, v51
	v_cndmask_b32_e64 v52, v53, 1, s[0:1]
	v_lshlrev_b32_e32 v53, 16, v52
	v_or_b32_e32 v54, v53, v51
	v_mov_b32_e32 v53, v52
	v_mov_b32_e32 v51, v57
.LBB292_224:
	s_or_b64 exec, exec, s[52:53]
	v_mov_b32_dpp v56, v54 row_shr:8 row_mask:0xf bank_mask:0xf
	v_cmp_lt_u32_e64 s[0:1], 7, v55
	s_and_saveexec_b64 s[52:53], s[0:1]
	s_cbranch_execz .LBB292_226
; %bb.225:
	v_mov_b32_e32 v52, 0
	v_cmp_eq_u16_sdwa s[0:1], v53, v52 src0_sel:BYTE_0 src1_sel:DWORD
	v_and_b32_e32 v52, 1, v53
	v_mov_b32_e32 v53, 1
	v_cndmask_b32_e64 v54, 1, v56, s[0:1]
	v_and_b32_sdwa v53, v56, v53 dst_sel:DWORD dst_unused:UNUSED_PAD src0_sel:WORD_1 src1_sel:DWORD
	v_cmp_eq_u32_e64 s[0:1], 1, v52
	v_mul_lo_u16_e32 v55, v54, v51
	v_mul_lo_u16_e32 v51, v54, v51
	v_cndmask_b32_e64 v52, v53, 1, s[0:1]
	v_lshlrev_b32_e32 v53, 16, v52
	v_or_b32_e32 v54, v53, v51
	v_mov_b32_e32 v53, v52
	v_mov_b32_e32 v51, v55
.LBB292_226:
	s_or_b64 exec, exec, s[52:53]
	v_and_b32_e32 v56, 16, v34
	v_mov_b32_dpp v55, v54 row_bcast:15 row_mask:0xf bank_mask:0xf
	v_cmp_ne_u32_e64 s[0:1], 0, v56
	s_and_saveexec_b64 s[52:53], s[0:1]
	s_cbranch_execz .LBB292_228
; %bb.227:
	v_mov_b32_e32 v52, 0
	v_cmp_eq_u16_sdwa s[0:1], v53, v52 src0_sel:BYTE_0 src1_sel:DWORD
	v_and_b32_e32 v52, 1, v53
	v_mov_b32_e32 v53, 1
	v_cndmask_b32_e64 v54, 1, v55, s[0:1]
	v_and_b32_sdwa v53, v55, v53 dst_sel:DWORD dst_unused:UNUSED_PAD src0_sel:WORD_1 src1_sel:DWORD
	v_cmp_eq_u32_e64 s[0:1], 1, v52
	v_mul_lo_u16_e32 v56, v54, v51
	v_mul_lo_u16_e32 v51, v54, v51
	v_cndmask_b32_e64 v52, v53, 1, s[0:1]
	v_lshlrev_b32_e32 v53, 16, v52
	v_or_b32_e32 v54, v53, v51
	v_mov_b32_e32 v51, v56
	v_mov_b32_e32 v53, v52
.LBB292_228:
	s_or_b64 exec, exec, s[52:53]
	v_mov_b32_dpp v54, v54 row_bcast:31 row_mask:0xf bank_mask:0xf
	v_cmp_lt_u32_e64 s[0:1], 31, v34
	s_and_saveexec_b64 s[52:53], s[0:1]
; %bb.229:
	v_mov_b32_e32 v52, 0
	v_cmp_eq_u16_sdwa s[0:1], v53, v52 src0_sel:BYTE_0 src1_sel:DWORD
	s_nop 1
	v_cndmask_b32_e64 v52, 1, v54, s[0:1]
	v_mul_lo_u16_e32 v51, v52, v51
	v_and_b32_e32 v52, 1, v53
	v_mov_b32_e32 v53, 1
	v_and_b32_sdwa v53, v54, v53 dst_sel:DWORD dst_unused:UNUSED_PAD src0_sel:WORD_1 src1_sel:DWORD
	v_cmp_eq_u32_e64 s[0:1], 1, v52
	s_nop 1
	v_cndmask_b32_e64 v52, v53, 1, s[0:1]
; %bb.230:
	s_or_b64 exec, exec, s[52:53]
	v_or_b32_e32 v54, 63, v0
	v_lshrrev_b32_e32 v53, 6, v0
	v_cmp_eq_u32_e64 s[0:1], v54, v0
	s_and_saveexec_b64 s[52:53], s[0:1]
	s_cbranch_execz .LBB292_232
; %bb.231:
	v_lshlrev_b32_e32 v54, 2, v53
	ds_write_b16 v54, v51
	ds_write_b8 v54, v52 offset:2
.LBB292_232:
	s_or_b64 exec, exec, s[52:53]
	v_cmp_gt_u32_e64 s[0:1], 4, v0
	s_waitcnt lgkmcnt(0)
	s_barrier
	s_and_saveexec_b64 s[52:53], s[0:1]
	s_cbranch_execz .LBB292_238
; %bb.233:
	v_lshlrev_b32_e32 v54, 2, v0
	ds_read_b32 v55, v54
	v_and_b32_e32 v58, 3, v34
	v_cmp_ne_u32_e64 s[0:1], 0, v58
	s_waitcnt lgkmcnt(0)
	v_lshrrev_b32_e32 v57, 16, v55
	v_mov_b32_dpp v59, v55 row_shr:1 row_mask:0xf bank_mask:0xf
	v_mov_b32_e32 v56, v55
	s_and_saveexec_b64 s[54:55], s[0:1]
	s_cbranch_execz .LBB292_235
; %bb.234:
	v_mov_b32_e32 v56, 0
	v_cmp_eq_u16_sdwa s[0:1], v57, v56 src0_sel:BYTE_0 src1_sel:DWORD
	v_and_b32_e32 v57, 0x10000, v55
	v_mov_b32_e32 v62, 1
	v_cndmask_b32_e64 v61, 1, v59, s[0:1]
	v_and_b32_sdwa v59, v59, v62 dst_sel:DWORD dst_unused:UNUSED_PAD src0_sel:WORD_1 src1_sel:DWORD
	v_cmp_ne_u32_e64 s[0:1], 0, v57
	v_and_b32_e32 v60, 0xff000000, v55
	v_mul_lo_u16_e32 v56, v61, v55
	v_cndmask_b32_e64 v57, v59, 1, s[0:1]
	v_lshlrev_b32_e32 v59, 16, v57
	v_mul_lo_u16_e32 v55, v61, v55
	v_or3_b32 v55, v59, v60, v55
.LBB292_235:
	s_or_b64 exec, exec, s[54:55]
	s_nop 0
	v_mov_b32_dpp v59, v55 row_shr:2 row_mask:0xf bank_mask:0xf
	v_cmp_lt_u32_e64 s[0:1], 1, v58
	s_and_saveexec_b64 s[54:55], s[0:1]
; %bb.236:
	v_and_b32_e32 v57, 0xff0000, v55
	v_cmp_eq_u32_e64 s[0:1], 0, v57
	v_and_b32_e32 v55, 0x10000, v55
	s_nop 0
	v_cndmask_b32_e64 v57, 1, v59, s[0:1]
	v_mul_lo_u16_e32 v56, v57, v56
	v_mov_b32_e32 v57, 1
	v_and_b32_sdwa v57, v59, v57 dst_sel:DWORD dst_unused:UNUSED_PAD src0_sel:WORD_1 src1_sel:DWORD
	v_cmp_eq_u32_e64 s[0:1], 0, v55
	s_nop 1
	v_cndmask_b32_e64 v57, 1, v57, s[0:1]
; %bb.237:
	s_or_b64 exec, exec, s[54:55]
	ds_write_b16 v54, v56
	ds_write_b8 v54, v57 offset:2
.LBB292_238:
	s_or_b64 exec, exec, s[52:53]
	v_cmp_lt_u32_e64 s[0:1], 63, v0
	v_mov_b32_e32 v54, 0
	s_waitcnt lgkmcnt(0)
	s_barrier
	s_and_saveexec_b64 s[52:53], s[0:1]
	s_cbranch_execz .LBB292_240
; %bb.239:
	v_lshl_add_u32 v53, v53, 2, -4
	ds_read_u16 v54, v53
	ds_read_u8 v53, v53 offset:2
	v_mov_b32_e32 v55, 0
	v_and_b32_e32 v56, 1, v52
	v_cmp_eq_u16_sdwa s[0:1], v52, v55 src0_sel:BYTE_0 src1_sel:DWORD
	s_waitcnt lgkmcnt(1)
	s_nop 0
	v_cndmask_b32_e64 v52, 1, v54, s[0:1]
	v_cmp_eq_u32_e64 s[0:1], 1, v56
	v_mul_lo_u16_e32 v51, v52, v51
	s_waitcnt lgkmcnt(0)
	v_cndmask_b32_e64 v52, v53, 1, s[0:1]
.LBB292_240:
	s_or_b64 exec, exec, s[52:53]
	v_and_b32_e32 v52, 0xff, v52
	v_and_b32_e32 v51, 0xffff, v51
	v_lshl_or_b32 v51, v52, 16, v51
	v_add_u32_e32 v52, -1, v34
	v_and_b32_e32 v53, 64, v34
	v_cmp_lt_i32_e64 s[0:1], v52, v53
	s_nop 1
	v_cndmask_b32_e64 v52, v52, v34, s[0:1]
	v_lshlrev_b32_e32 v52, 2, v52
	ds_bpermute_b32 v51, v52, v51
	s_and_saveexec_b64 s[52:53], s[4:5]
	s_cbranch_execz .LBB292_242
; %bb.241:
	v_cmp_eq_u32_e64 s[0:1], 0, v34
	v_and_b32_e32 v25, 0xff0000, v1
	v_mov_b32_e32 v50, 0
	s_waitcnt lgkmcnt(0)
	v_cndmask_b32_e64 v24, v51, v54, s[0:1]
	v_and_b32_e32 v24, 0xffff, v24
	v_cmp_eq_u32_e64 s[0:1], 0, v25
	;;#ASMSTART
	;;#ASMEND
	s_nop 1
	v_cndmask_b32_e64 v24, 1, v24, s[0:1]
	v_mul_lo_u32 v1, v24, v1
	v_cndmask_b32_e32 v24, 1, v1, vcc
	v_mul_lo_u16_e32 v24, v24, v18
	v_cndmask_b32_e64 v18, 1, v24, s[6:7]
	v_mul_lo_u16_e32 v25, v18, v19
	v_cndmask_b32_e64 v18, 1, v25, s[8:9]
	;; [unrolled: 2-line block ×22, first 2 shown]
	v_mul_lo_u16_e32 v49, v2, v23
.LBB292_242:
	s_or_b64 exec, exec, s[52:53]
	s_and_saveexec_b64 s[0:1], s[56:57]
	s_cbranch_execz .LBB292_244
; %bb.243:
	v_mov_b32_e32 v4, 0
	ds_read_u8 v2, v4 offset:14
	ds_read_u16 v3, v4 offset:12
	s_waitcnt lgkmcnt(1)
	v_lshlrev_b32_e32 v2, 16, v2
	s_waitcnt lgkmcnt(0)
	v_or_b32_e32 v2, v2, v3
	v_mov_b32_e32 v3, 2
	global_store_dwordx2 v4, v[2:3], s[76:77] offset:512 sc1
.LBB292_244:
	s_or_b64 exec, exec, s[0:1]
	v_lshl_or_b32 v50, v50, 16, v1
.LBB292_245:
	s_add_u32 s0, s66, s58
	s_addc_u32 s1, s67, s59
	s_add_u32 s0, s0, s60
	s_addc_u32 s1, s1, s61
	s_and_b64 vcc, exec, s[2:3]
	v_mul_u32_u24_e32 v4, 24, v0
	s_cbranch_vccz .LBB292_297
; %bb.246:
	s_add_i32 s33, s33, s78
	v_cmp_le_u32_e32 vcc, s33, v4
                                        ; implicit-def: $vgpr1
                                        ; implicit-def: $vgpr2
                                        ; implicit-def: $vgpr3
                                        ; implicit-def: $vgpr5
                                        ; implicit-def: $vgpr6
                                        ; implicit-def: $vgpr7
                                        ; implicit-def: $vgpr8
	s_and_saveexec_b64 s[2:3], vcc
	s_xor_b64 s[2:3], exec, s[2:3]
; %bb.247:
	v_or_b32_e32 v1, 1, v4
	v_or_b32_e32 v2, 2, v4
	;; [unrolled: 1-line block ×7, first 2 shown]
; %bb.248:
	s_andn2_saveexec_b64 s[2:3], s[2:3]
; %bb.249:
	v_or_b32_e32 v1, 1, v4
	v_or_b32_e32 v2, 2, v4
	;; [unrolled: 1-line block ×7, first 2 shown]
; %bb.250:
	s_or_b64 exec, exec, s[2:3]
	v_lshlrev_b32_e32 v39, 1, v4
	v_lshlrev_b32_e32 v1, 1, v1
	s_waitcnt lgkmcnt(0)
	s_barrier
	ds_write_b16 v39, v50
	ds_write_b16 v1, v24
	v_lshlrev_b32_e32 v1, 1, v2
	ds_write_b16 v1, v25
	v_lshlrev_b32_e32 v1, 1, v3
	;; [unrolled: 2-line block ×5, first 2 shown]
	s_mov_b32 s2, 0x5040100
	ds_write_b16 v1, v29
	v_lshlrev_b32_e32 v1, 1, v8
	v_perm_b32 v9, v42, v40, s2
	v_perm_b32 v8, v37, v36, s2
	;; [unrolled: 1-line block ×4, first 2 shown]
	ds_write_b16 v1, v31
	ds_write_b128 v39, v[6:9] offset:16
	v_perm_b32 v9, v49, v48, s2
	v_perm_b32 v8, v47, v46, s2
	;; [unrolled: 1-line block ×4, first 2 shown]
	s_movk_i32 s2, 0xffd2
	v_mad_i32_i24 v2, v0, s2, v39
	ds_write_b128 v39, v[6:9] offset:32
	s_waitcnt lgkmcnt(0)
	s_barrier
	ds_read_u16 v53, v2 offset:512
	ds_read_u16 v52, v2 offset:1024
	;; [unrolled: 1-line block ×23, first 2 shown]
	v_mov_b32_e32 v23, 0
	v_lshl_add_u64 v[2:3], s[0:1], 0, v[22:23]
	v_cmp_gt_u32_e32 vcc, s33, v0
	s_and_saveexec_b64 s[2:3], vcc
	s_cbranch_execz .LBB292_252
; %bb.251:
	v_mul_i32_i24_e32 v54, 0xffffffd2, v0
	v_add_u32_e32 v39, v39, v54
	ds_read_u16 v39, v39
	s_waitcnt lgkmcnt(0)
	flat_store_short v[2:3], v39
.LBB292_252:
	s_or_b64 exec, exec, s[2:3]
	v_or_b32_e32 v39, 0x100, v0
	v_cmp_gt_u32_e32 vcc, s33, v39
	s_and_saveexec_b64 s[2:3], vcc
	s_cbranch_execz .LBB292_254
; %bb.253:
	s_waitcnt lgkmcnt(0)
	flat_store_short v[2:3], v53 offset:512
.LBB292_254:
	s_or_b64 exec, exec, s[2:3]
	v_or_b32_e32 v39, 0x200, v0
	v_cmp_gt_u32_e32 vcc, s33, v39
	s_and_saveexec_b64 s[2:3], vcc
	s_cbranch_execz .LBB292_256
; %bb.255:
	s_waitcnt lgkmcnt(0)
	flat_store_short v[2:3], v52 offset:1024
.LBB292_256:
	;; [unrolled: 9-line block ×4, first 2 shown]
	s_or_b64 exec, exec, s[2:3]
	s_waitcnt lgkmcnt(0)
	v_or_b32_e32 v38, 0x500, v0
	v_cmp_gt_u32_e32 vcc, s33, v38
	s_and_saveexec_b64 s[2:3], vcc
	s_cbranch_execz .LBB292_262
; %bb.261:
	flat_store_short v[2:3], v34 offset:2560
.LBB292_262:
	s_or_b64 exec, exec, s[2:3]
	v_or_b32_e32 v34, 0x600, v0
	v_cmp_gt_u32_e32 vcc, s33, v34
	s_and_saveexec_b64 s[2:3], vcc
	s_cbranch_execz .LBB292_264
; %bb.263:
	flat_store_short v[2:3], v21 offset:3072
.LBB292_264:
	s_or_b64 exec, exec, s[2:3]
	;; [unrolled: 8-line block ×3, first 2 shown]
	v_or_b32_e32 v20, 0x800, v0
	v_cmp_gt_u32_e32 vcc, s33, v20
	s_and_saveexec_b64 s[2:3], vcc
	s_cbranch_execz .LBB292_268
; %bb.267:
	v_add_co_u32_e32 v20, vcc, 0x1000, v2
	s_nop 1
	v_addc_co_u32_e32 v21, vcc, 0, v3, vcc
	flat_store_short v[20:21], v19
.LBB292_268:
	s_or_b64 exec, exec, s[2:3]
	v_or_b32_e32 v19, 0x900, v0
	v_cmp_gt_u32_e32 vcc, s33, v19
	s_and_saveexec_b64 s[2:3], vcc
	s_cbranch_execz .LBB292_270
; %bb.269:
	v_add_co_u32_e32 v20, vcc, 0x1000, v2
	s_nop 1
	v_addc_co_u32_e32 v21, vcc, 0, v3, vcc
	flat_store_short v[20:21], v18 offset:512
.LBB292_270:
	s_or_b64 exec, exec, s[2:3]
	v_or_b32_e32 v18, 0xa00, v0
	v_cmp_gt_u32_e32 vcc, s33, v18
	s_and_saveexec_b64 s[2:3], vcc
	s_cbranch_execz .LBB292_272
; %bb.271:
	v_add_co_u32_e32 v18, vcc, 0x1000, v2
	s_nop 1
	v_addc_co_u32_e32 v19, vcc, 0, v3, vcc
	flat_store_short v[18:19], v17 offset:1024
.LBB292_272:
	;; [unrolled: 11-line block ×7, first 2 shown]
	s_or_b64 exec, exec, s[2:3]
	v_or_b32_e32 v12, 0x1000, v0
	v_cmp_gt_u32_e32 vcc, s33, v12
	s_and_saveexec_b64 s[2:3], vcc
	s_cbranch_execz .LBB292_284
; %bb.283:
	v_add_co_u32_e32 v12, vcc, 0x2000, v2
	s_nop 1
	v_addc_co_u32_e32 v13, vcc, 0, v3, vcc
	flat_store_short v[12:13], v11
.LBB292_284:
	s_or_b64 exec, exec, s[2:3]
	v_or_b32_e32 v11, 0x1100, v0
	v_cmp_gt_u32_e32 vcc, s33, v11
	s_and_saveexec_b64 s[2:3], vcc
	s_cbranch_execz .LBB292_286
; %bb.285:
	v_add_co_u32_e32 v12, vcc, 0x2000, v2
	s_nop 1
	v_addc_co_u32_e32 v13, vcc, 0, v3, vcc
	flat_store_short v[12:13], v10 offset:512
.LBB292_286:
	s_or_b64 exec, exec, s[2:3]
	v_or_b32_e32 v10, 0x1200, v0
	v_cmp_gt_u32_e32 vcc, s33, v10
	s_and_saveexec_b64 s[2:3], vcc
	s_cbranch_execz .LBB292_288
; %bb.287:
	v_add_co_u32_e32 v10, vcc, 0x2000, v2
	s_nop 1
	v_addc_co_u32_e32 v11, vcc, 0, v3, vcc
	flat_store_short v[10:11], v9 offset:1024
.LBB292_288:
	;; [unrolled: 11-line block ×6, first 2 shown]
	s_or_b64 exec, exec, s[2:3]
	v_or_b32_e32 v2, 0x1700, v0
	v_mov_b32_e32 v1, v23
	v_cmp_gt_u32_e64 s[2:3], s33, v2
	s_branch .LBB292_299
.LBB292_297:
	s_mov_b64 s[2:3], 0
                                        ; implicit-def: $vgpr5
	s_cbranch_execz .LBB292_299
; %bb.298:
	s_mov_b32 s4, 0x5040100
	v_lshlrev_b32_e32 v6, 1, v4
	v_perm_b32 v5, v31, v29, s4
	v_perm_b32 v4, v28, v27, s4
	;; [unrolled: 1-line block ×4, first 2 shown]
	s_waitcnt lgkmcnt(0)
	s_barrier
	ds_write_b128 v6, v[2:5]
	v_perm_b32 v5, v42, v40, s4
	v_perm_b32 v4, v37, v36, s4
	;; [unrolled: 1-line block ×4, first 2 shown]
	ds_write_b128 v6, v[2:5] offset:16
	v_perm_b32 v4, v47, v46, s4
	v_perm_b32 v3, v45, v44, s4
	;; [unrolled: 1-line block ×4, first 2 shown]
	v_mov_b32_e32 v1, 0
	s_movk_i32 s4, 0xffd2
	ds_write_b128 v6, v[2:5] offset:32
	v_mad_i32_i24 v2, v0, s4, v6
	v_mov_b32_e32 v23, v1
	s_waitcnt lgkmcnt(0)
	s_barrier
	ds_read_u16 v4, v2
	ds_read_u16 v6, v2 offset:512
	ds_read_u16 v7, v2 offset:1024
	;; [unrolled: 1-line block ×23, first 2 shown]
	v_lshl_add_u64 v[2:3], s[0:1], 0, v[22:23]
	s_movk_i32 s4, 0x1000
	s_waitcnt lgkmcnt(0)
	flat_store_short v[2:3], v4
	flat_store_short v[2:3], v6 offset:512
	flat_store_short v[2:3], v7 offset:1024
	;; [unrolled: 1-line block ×7, first 2 shown]
	v_add_co_u32_e32 v6, vcc, s4, v2
	s_or_b64 s[2:3], s[2:3], exec
	s_nop 0
	v_addc_co_u32_e32 v7, vcc, 0, v3, vcc
	v_add_co_u32_e32 v2, vcc, 0x2000, v2
	flat_store_short v[6:7], v13
	flat_store_short v[6:7], v14 offset:512
	flat_store_short v[6:7], v15 offset:1024
	;; [unrolled: 1-line block ×7, first 2 shown]
	v_addc_co_u32_e32 v3, vcc, 0, v3, vcc
	flat_store_short v[2:3], v21
	flat_store_short v[2:3], v24 offset:512
	flat_store_short v[2:3], v25 offset:1024
	;; [unrolled: 1-line block ×6, first 2 shown]
.LBB292_299:
	s_and_saveexec_b64 s[4:5], s[2:3]
	s_cbranch_execnz .LBB292_301
; %bb.300:
	s_endpgm
.LBB292_301:
	v_lshl_add_u64 v[0:1], v[0:1], 1, s[0:1]
	v_add_co_u32_e32 v0, vcc, 0x2000, v0
	s_nop 1
	v_addc_co_u32_e32 v1, vcc, 0, v1, vcc
	flat_store_short v[0:1], v5 offset:3584
	s_endpgm
.LBB292_302:
	v_lshl_add_u64 v[20:21], s[62:63], 0, v[2:3]
	flat_load_ushort v19, v[20:21]
	s_or_b64 exec, exec, s[0:1]
                                        ; implicit-def: $vgpr20
	s_and_saveexec_b64 s[0:1], s[8:9]
	s_cbranch_execz .LBB292_61
.LBB292_303:
	v_mov_b32_e32 v3, 0
	v_lshl_add_u64 v[20:21], s[62:63], 0, v[2:3]
	flat_load_ushort v20, v[20:21] offset:512
	s_or_b64 exec, exec, s[0:1]
                                        ; implicit-def: $vgpr21
	s_and_saveexec_b64 s[0:1], s[10:11]
	s_cbranch_execz .LBB292_62
.LBB292_304:
	v_mov_b32_e32 v3, 0
	v_lshl_add_u64 v[36:37], s[62:63], 0, v[2:3]
	flat_load_ushort v21, v[36:37] offset:1024
	s_or_b64 exec, exec, s[0:1]
                                        ; implicit-def: $vgpr35
	s_and_saveexec_b64 s[0:1], s[12:13]
	s_cbranch_execz .LBB292_63
.LBB292_305:
	v_mov_b32_e32 v3, 0
	v_lshl_add_u64 v[36:37], s[62:63], 0, v[2:3]
	flat_load_ushort v35, v[36:37] offset:1536
	s_or_b64 exec, exec, s[0:1]
                                        ; implicit-def: $vgpr36
	s_and_saveexec_b64 s[0:1], s[14:15]
	s_cbranch_execz .LBB292_64
.LBB292_306:
	v_mov_b32_e32 v3, 0
	v_lshl_add_u64 v[36:37], s[62:63], 0, v[2:3]
	flat_load_ushort v36, v[36:37] offset:2048
	s_or_b64 exec, exec, s[0:1]
                                        ; implicit-def: $vgpr37
	s_and_saveexec_b64 s[0:1], s[16:17]
	s_cbranch_execz .LBB292_65
.LBB292_307:
	v_mov_b32_e32 v3, 0
	v_lshl_add_u64 v[38:39], s[62:63], 0, v[2:3]
	flat_load_ushort v37, v[38:39] offset:2560
	s_or_b64 exec, exec, s[0:1]
                                        ; implicit-def: $vgpr38
	s_and_saveexec_b64 s[0:1], s[18:19]
	s_cbranch_execz .LBB292_66
.LBB292_308:
	v_mov_b32_e32 v3, 0
	v_lshl_add_u64 v[38:39], s[62:63], 0, v[2:3]
	flat_load_ushort v38, v[38:39] offset:3072
	s_or_b64 exec, exec, s[0:1]
                                        ; implicit-def: $vgpr3
	s_and_saveexec_b64 s[0:1], s[20:21]
	s_cbranch_execz .LBB292_67
.LBB292_309:
	v_mov_b32_e32 v3, 0
	v_lshl_add_u64 v[42:43], s[62:63], 0, v[2:3]
	flat_load_ushort v3, v[42:43] offset:3584
	s_or_b64 exec, exec, s[0:1]
                                        ; implicit-def: $vgpr39
	s_and_saveexec_b64 s[0:1], s[22:23]
	s_cbranch_execz .LBB292_68
.LBB292_310:
	v_lshlrev_b32_e32 v42, 1, v1
	v_mov_b32_e32 v43, 0
	v_lshl_add_u64 v[42:43], s[62:63], 0, v[42:43]
	flat_load_ushort v39, v[42:43]
	s_or_b64 exec, exec, s[0:1]
                                        ; implicit-def: $vgpr1
	s_and_saveexec_b64 s[0:1], s[24:25]
	s_cbranch_execz .LBB292_69
.LBB292_311:
	v_lshlrev_b32_e32 v42, 1, v4
	v_mov_b32_e32 v43, 0
	v_lshl_add_u64 v[42:43], s[62:63], 0, v[42:43]
	flat_load_ushort v1, v[42:43]
	s_or_b64 exec, exec, s[0:1]
                                        ; implicit-def: $vgpr4
	s_and_saveexec_b64 s[0:1], s[26:27]
	s_cbranch_execz .LBB292_70
.LBB292_312:
	v_lshlrev_b32_e32 v4, 1, v5
	v_mov_b32_e32 v5, 0
	v_lshl_add_u64 v[4:5], s[62:63], 0, v[4:5]
	flat_load_ushort v4, v[4:5]
	s_or_b64 exec, exec, s[0:1]
                                        ; implicit-def: $vgpr5
	s_and_saveexec_b64 s[0:1], s[28:29]
	s_cbranch_execz .LBB292_71
.LBB292_313:
	v_lshlrev_b32_e32 v42, 1, v6
	v_mov_b32_e32 v43, 0
	v_lshl_add_u64 v[42:43], s[62:63], 0, v[42:43]
	flat_load_ushort v5, v[42:43]
	s_or_b64 exec, exec, s[0:1]
                                        ; implicit-def: $vgpr6
	s_and_saveexec_b64 s[0:1], s[30:31]
	s_cbranch_execz .LBB292_72
.LBB292_314:
	v_lshlrev_b32_e32 v6, 1, v7
	v_mov_b32_e32 v7, 0
	v_lshl_add_u64 v[6:7], s[62:63], 0, v[6:7]
	flat_load_ushort v6, v[6:7]
	s_or_b64 exec, exec, s[0:1]
                                        ; implicit-def: $vgpr7
	s_and_saveexec_b64 s[0:1], s[34:35]
	s_cbranch_execz .LBB292_73
.LBB292_315:
	v_lshlrev_b32_e32 v42, 1, v8
	v_mov_b32_e32 v43, 0
	v_lshl_add_u64 v[42:43], s[62:63], 0, v[42:43]
	flat_load_ushort v7, v[42:43]
	s_or_b64 exec, exec, s[0:1]
                                        ; implicit-def: $vgpr8
	s_and_saveexec_b64 s[0:1], s[36:37]
	s_cbranch_execz .LBB292_74
.LBB292_316:
	v_lshlrev_b32_e32 v8, 1, v9
	v_mov_b32_e32 v9, 0
	v_lshl_add_u64 v[8:9], s[62:63], 0, v[8:9]
	flat_load_ushort v8, v[8:9]
	s_or_b64 exec, exec, s[0:1]
                                        ; implicit-def: $vgpr9
	s_and_saveexec_b64 s[0:1], s[38:39]
	s_cbranch_execz .LBB292_75
.LBB292_317:
	v_lshlrev_b32_e32 v42, 1, v10
	v_mov_b32_e32 v43, 0
	v_lshl_add_u64 v[42:43], s[62:63], 0, v[42:43]
	flat_load_ushort v9, v[42:43]
	s_or_b64 exec, exec, s[0:1]
                                        ; implicit-def: $vgpr10
	s_and_saveexec_b64 s[0:1], s[40:41]
	s_cbranch_execz .LBB292_76
.LBB292_318:
	v_lshlrev_b32_e32 v10, 1, v11
	v_mov_b32_e32 v11, 0
	v_lshl_add_u64 v[10:11], s[62:63], 0, v[10:11]
	flat_load_ushort v10, v[10:11]
	s_or_b64 exec, exec, s[0:1]
                                        ; implicit-def: $vgpr11
	s_and_saveexec_b64 s[0:1], s[42:43]
	s_cbranch_execz .LBB292_77
.LBB292_319:
	v_lshlrev_b32_e32 v42, 1, v12
	v_mov_b32_e32 v43, 0
	v_lshl_add_u64 v[42:43], s[62:63], 0, v[42:43]
	flat_load_ushort v11, v[42:43]
	s_or_b64 exec, exec, s[0:1]
                                        ; implicit-def: $vgpr12
	s_and_saveexec_b64 s[0:1], s[44:45]
	s_cbranch_execz .LBB292_78
.LBB292_320:
	v_lshlrev_b32_e32 v12, 1, v13
	v_mov_b32_e32 v13, 0
	v_lshl_add_u64 v[12:13], s[62:63], 0, v[12:13]
	flat_load_ushort v12, v[12:13]
	s_or_b64 exec, exec, s[0:1]
                                        ; implicit-def: $vgpr13
	s_and_saveexec_b64 s[0:1], s[46:47]
	s_cbranch_execz .LBB292_79
.LBB292_321:
	v_lshlrev_b32_e32 v42, 1, v14
	v_mov_b32_e32 v43, 0
	v_lshl_add_u64 v[42:43], s[62:63], 0, v[42:43]
	flat_load_ushort v13, v[42:43]
	s_or_b64 exec, exec, s[0:1]
                                        ; implicit-def: $vgpr14
	s_and_saveexec_b64 s[0:1], s[48:49]
	s_cbranch_execz .LBB292_80
.LBB292_322:
	v_lshlrev_b32_e32 v14, 1, v15
	v_mov_b32_e32 v15, 0
	v_lshl_add_u64 v[14:15], s[62:63], 0, v[14:15]
	flat_load_ushort v14, v[14:15]
	s_or_b64 exec, exec, s[0:1]
                                        ; implicit-def: $vgpr15
	s_and_saveexec_b64 s[0:1], s[50:51]
	s_cbranch_execz .LBB292_81
.LBB292_323:
	v_lshlrev_b32_e32 v42, 1, v16
	v_mov_b32_e32 v43, 0
	v_lshl_add_u64 v[42:43], s[62:63], 0, v[42:43]
	flat_load_ushort v15, v[42:43]
	s_or_b64 exec, exec, s[0:1]
                                        ; implicit-def: $vgpr16
	s_and_saveexec_b64 s[0:1], s[52:53]
	s_cbranch_execz .LBB292_82
.LBB292_324:
	v_lshlrev_b32_e32 v16, 1, v17
	v_mov_b32_e32 v17, 0
	v_lshl_add_u64 v[16:17], s[62:63], 0, v[16:17]
	flat_load_ushort v16, v[16:17]
	s_or_b64 exec, exec, s[0:1]
                                        ; implicit-def: $vgpr17
	s_and_saveexec_b64 s[0:1], s[54:55]
	s_cbranch_execnz .LBB292_83
	s_branch .LBB292_84
.LBB292_325:
                                        ; implicit-def: $sgpr0_sgpr1
	s_branch .LBB292_56
.LBB292_326:
                                        ; implicit-def: $sgpr0_sgpr1
	s_branch .LBB292_135
	.section	.rodata,"a",@progbits
	.p2align	6, 0x0
	.amdhsa_kernel _ZN7rocprim17ROCPRIM_400000_NS6detail17trampoline_kernelINS0_14default_configENS1_27scan_by_key_config_selectorIssEEZZNS1_16scan_by_key_implILNS1_25lookback_scan_determinismE0ELb0ES3_N6thrust23THRUST_200600_302600_NS6detail15normal_iteratorINS9_10device_ptrIsEEEESE_SE_sNS9_10multipliesIsEENS9_8equal_toIsEEsEE10hipError_tPvRmT2_T3_T4_T5_mT6_T7_P12ihipStream_tbENKUlT_T0_E_clISt17integral_constantIbLb1EESZ_EEDaSU_SV_EUlSU_E_NS1_11comp_targetILNS1_3genE5ELNS1_11target_archE942ELNS1_3gpuE9ELNS1_3repE0EEENS1_30default_config_static_selectorELNS0_4arch9wavefront6targetE1EEEvT1_
		.amdhsa_group_segment_fixed_size 13312
		.amdhsa_private_segment_fixed_size 0
		.amdhsa_kernarg_size 112
		.amdhsa_user_sgpr_count 2
		.amdhsa_user_sgpr_dispatch_ptr 0
		.amdhsa_user_sgpr_queue_ptr 0
		.amdhsa_user_sgpr_kernarg_segment_ptr 1
		.amdhsa_user_sgpr_dispatch_id 0
		.amdhsa_user_sgpr_kernarg_preload_length 0
		.amdhsa_user_sgpr_kernarg_preload_offset 0
		.amdhsa_user_sgpr_private_segment_size 0
		.amdhsa_uses_dynamic_stack 0
		.amdhsa_enable_private_segment 0
		.amdhsa_system_sgpr_workgroup_id_x 1
		.amdhsa_system_sgpr_workgroup_id_y 0
		.amdhsa_system_sgpr_workgroup_id_z 0
		.amdhsa_system_sgpr_workgroup_info 0
		.amdhsa_system_vgpr_workitem_id 0
		.amdhsa_next_free_vgpr 63
		.amdhsa_next_free_sgpr 87
		.amdhsa_accum_offset 64
		.amdhsa_reserve_vcc 1
		.amdhsa_float_round_mode_32 0
		.amdhsa_float_round_mode_16_64 0
		.amdhsa_float_denorm_mode_32 3
		.amdhsa_float_denorm_mode_16_64 3
		.amdhsa_dx10_clamp 1
		.amdhsa_ieee_mode 1
		.amdhsa_fp16_overflow 0
		.amdhsa_tg_split 0
		.amdhsa_exception_fp_ieee_invalid_op 0
		.amdhsa_exception_fp_denorm_src 0
		.amdhsa_exception_fp_ieee_div_zero 0
		.amdhsa_exception_fp_ieee_overflow 0
		.amdhsa_exception_fp_ieee_underflow 0
		.amdhsa_exception_fp_ieee_inexact 0
		.amdhsa_exception_int_div_zero 0
	.end_amdhsa_kernel
	.section	.text._ZN7rocprim17ROCPRIM_400000_NS6detail17trampoline_kernelINS0_14default_configENS1_27scan_by_key_config_selectorIssEEZZNS1_16scan_by_key_implILNS1_25lookback_scan_determinismE0ELb0ES3_N6thrust23THRUST_200600_302600_NS6detail15normal_iteratorINS9_10device_ptrIsEEEESE_SE_sNS9_10multipliesIsEENS9_8equal_toIsEEsEE10hipError_tPvRmT2_T3_T4_T5_mT6_T7_P12ihipStream_tbENKUlT_T0_E_clISt17integral_constantIbLb1EESZ_EEDaSU_SV_EUlSU_E_NS1_11comp_targetILNS1_3genE5ELNS1_11target_archE942ELNS1_3gpuE9ELNS1_3repE0EEENS1_30default_config_static_selectorELNS0_4arch9wavefront6targetE1EEEvT1_,"axG",@progbits,_ZN7rocprim17ROCPRIM_400000_NS6detail17trampoline_kernelINS0_14default_configENS1_27scan_by_key_config_selectorIssEEZZNS1_16scan_by_key_implILNS1_25lookback_scan_determinismE0ELb0ES3_N6thrust23THRUST_200600_302600_NS6detail15normal_iteratorINS9_10device_ptrIsEEEESE_SE_sNS9_10multipliesIsEENS9_8equal_toIsEEsEE10hipError_tPvRmT2_T3_T4_T5_mT6_T7_P12ihipStream_tbENKUlT_T0_E_clISt17integral_constantIbLb1EESZ_EEDaSU_SV_EUlSU_E_NS1_11comp_targetILNS1_3genE5ELNS1_11target_archE942ELNS1_3gpuE9ELNS1_3repE0EEENS1_30default_config_static_selectorELNS0_4arch9wavefront6targetE1EEEvT1_,comdat
.Lfunc_end292:
	.size	_ZN7rocprim17ROCPRIM_400000_NS6detail17trampoline_kernelINS0_14default_configENS1_27scan_by_key_config_selectorIssEEZZNS1_16scan_by_key_implILNS1_25lookback_scan_determinismE0ELb0ES3_N6thrust23THRUST_200600_302600_NS6detail15normal_iteratorINS9_10device_ptrIsEEEESE_SE_sNS9_10multipliesIsEENS9_8equal_toIsEEsEE10hipError_tPvRmT2_T3_T4_T5_mT6_T7_P12ihipStream_tbENKUlT_T0_E_clISt17integral_constantIbLb1EESZ_EEDaSU_SV_EUlSU_E_NS1_11comp_targetILNS1_3genE5ELNS1_11target_archE942ELNS1_3gpuE9ELNS1_3repE0EEENS1_30default_config_static_selectorELNS0_4arch9wavefront6targetE1EEEvT1_, .Lfunc_end292-_ZN7rocprim17ROCPRIM_400000_NS6detail17trampoline_kernelINS0_14default_configENS1_27scan_by_key_config_selectorIssEEZZNS1_16scan_by_key_implILNS1_25lookback_scan_determinismE0ELb0ES3_N6thrust23THRUST_200600_302600_NS6detail15normal_iteratorINS9_10device_ptrIsEEEESE_SE_sNS9_10multipliesIsEENS9_8equal_toIsEEsEE10hipError_tPvRmT2_T3_T4_T5_mT6_T7_P12ihipStream_tbENKUlT_T0_E_clISt17integral_constantIbLb1EESZ_EEDaSU_SV_EUlSU_E_NS1_11comp_targetILNS1_3genE5ELNS1_11target_archE942ELNS1_3gpuE9ELNS1_3repE0EEENS1_30default_config_static_selectorELNS0_4arch9wavefront6targetE1EEEvT1_
                                        ; -- End function
	.section	.AMDGPU.csdata,"",@progbits
; Kernel info:
; codeLenInByte = 16376
; NumSgprs: 93
; NumVgprs: 63
; NumAgprs: 0
; TotalNumVgprs: 63
; ScratchSize: 0
; MemoryBound: 0
; FloatMode: 240
; IeeeMode: 1
; LDSByteSize: 13312 bytes/workgroup (compile time only)
; SGPRBlocks: 11
; VGPRBlocks: 7
; NumSGPRsForWavesPerEU: 93
; NumVGPRsForWavesPerEU: 63
; AccumOffset: 64
; Occupancy: 4
; WaveLimiterHint : 1
; COMPUTE_PGM_RSRC2:SCRATCH_EN: 0
; COMPUTE_PGM_RSRC2:USER_SGPR: 2
; COMPUTE_PGM_RSRC2:TRAP_HANDLER: 0
; COMPUTE_PGM_RSRC2:TGID_X_EN: 1
; COMPUTE_PGM_RSRC2:TGID_Y_EN: 0
; COMPUTE_PGM_RSRC2:TGID_Z_EN: 0
; COMPUTE_PGM_RSRC2:TIDIG_COMP_CNT: 0
; COMPUTE_PGM_RSRC3_GFX90A:ACCUM_OFFSET: 15
; COMPUTE_PGM_RSRC3_GFX90A:TG_SPLIT: 0
	.section	.text._ZN7rocprim17ROCPRIM_400000_NS6detail17trampoline_kernelINS0_14default_configENS1_27scan_by_key_config_selectorIssEEZZNS1_16scan_by_key_implILNS1_25lookback_scan_determinismE0ELb0ES3_N6thrust23THRUST_200600_302600_NS6detail15normal_iteratorINS9_10device_ptrIsEEEESE_SE_sNS9_10multipliesIsEENS9_8equal_toIsEEsEE10hipError_tPvRmT2_T3_T4_T5_mT6_T7_P12ihipStream_tbENKUlT_T0_E_clISt17integral_constantIbLb1EESZ_EEDaSU_SV_EUlSU_E_NS1_11comp_targetILNS1_3genE4ELNS1_11target_archE910ELNS1_3gpuE8ELNS1_3repE0EEENS1_30default_config_static_selectorELNS0_4arch9wavefront6targetE1EEEvT1_,"axG",@progbits,_ZN7rocprim17ROCPRIM_400000_NS6detail17trampoline_kernelINS0_14default_configENS1_27scan_by_key_config_selectorIssEEZZNS1_16scan_by_key_implILNS1_25lookback_scan_determinismE0ELb0ES3_N6thrust23THRUST_200600_302600_NS6detail15normal_iteratorINS9_10device_ptrIsEEEESE_SE_sNS9_10multipliesIsEENS9_8equal_toIsEEsEE10hipError_tPvRmT2_T3_T4_T5_mT6_T7_P12ihipStream_tbENKUlT_T0_E_clISt17integral_constantIbLb1EESZ_EEDaSU_SV_EUlSU_E_NS1_11comp_targetILNS1_3genE4ELNS1_11target_archE910ELNS1_3gpuE8ELNS1_3repE0EEENS1_30default_config_static_selectorELNS0_4arch9wavefront6targetE1EEEvT1_,comdat
	.protected	_ZN7rocprim17ROCPRIM_400000_NS6detail17trampoline_kernelINS0_14default_configENS1_27scan_by_key_config_selectorIssEEZZNS1_16scan_by_key_implILNS1_25lookback_scan_determinismE0ELb0ES3_N6thrust23THRUST_200600_302600_NS6detail15normal_iteratorINS9_10device_ptrIsEEEESE_SE_sNS9_10multipliesIsEENS9_8equal_toIsEEsEE10hipError_tPvRmT2_T3_T4_T5_mT6_T7_P12ihipStream_tbENKUlT_T0_E_clISt17integral_constantIbLb1EESZ_EEDaSU_SV_EUlSU_E_NS1_11comp_targetILNS1_3genE4ELNS1_11target_archE910ELNS1_3gpuE8ELNS1_3repE0EEENS1_30default_config_static_selectorELNS0_4arch9wavefront6targetE1EEEvT1_ ; -- Begin function _ZN7rocprim17ROCPRIM_400000_NS6detail17trampoline_kernelINS0_14default_configENS1_27scan_by_key_config_selectorIssEEZZNS1_16scan_by_key_implILNS1_25lookback_scan_determinismE0ELb0ES3_N6thrust23THRUST_200600_302600_NS6detail15normal_iteratorINS9_10device_ptrIsEEEESE_SE_sNS9_10multipliesIsEENS9_8equal_toIsEEsEE10hipError_tPvRmT2_T3_T4_T5_mT6_T7_P12ihipStream_tbENKUlT_T0_E_clISt17integral_constantIbLb1EESZ_EEDaSU_SV_EUlSU_E_NS1_11comp_targetILNS1_3genE4ELNS1_11target_archE910ELNS1_3gpuE8ELNS1_3repE0EEENS1_30default_config_static_selectorELNS0_4arch9wavefront6targetE1EEEvT1_
	.globl	_ZN7rocprim17ROCPRIM_400000_NS6detail17trampoline_kernelINS0_14default_configENS1_27scan_by_key_config_selectorIssEEZZNS1_16scan_by_key_implILNS1_25lookback_scan_determinismE0ELb0ES3_N6thrust23THRUST_200600_302600_NS6detail15normal_iteratorINS9_10device_ptrIsEEEESE_SE_sNS9_10multipliesIsEENS9_8equal_toIsEEsEE10hipError_tPvRmT2_T3_T4_T5_mT6_T7_P12ihipStream_tbENKUlT_T0_E_clISt17integral_constantIbLb1EESZ_EEDaSU_SV_EUlSU_E_NS1_11comp_targetILNS1_3genE4ELNS1_11target_archE910ELNS1_3gpuE8ELNS1_3repE0EEENS1_30default_config_static_selectorELNS0_4arch9wavefront6targetE1EEEvT1_
	.p2align	8
	.type	_ZN7rocprim17ROCPRIM_400000_NS6detail17trampoline_kernelINS0_14default_configENS1_27scan_by_key_config_selectorIssEEZZNS1_16scan_by_key_implILNS1_25lookback_scan_determinismE0ELb0ES3_N6thrust23THRUST_200600_302600_NS6detail15normal_iteratorINS9_10device_ptrIsEEEESE_SE_sNS9_10multipliesIsEENS9_8equal_toIsEEsEE10hipError_tPvRmT2_T3_T4_T5_mT6_T7_P12ihipStream_tbENKUlT_T0_E_clISt17integral_constantIbLb1EESZ_EEDaSU_SV_EUlSU_E_NS1_11comp_targetILNS1_3genE4ELNS1_11target_archE910ELNS1_3gpuE8ELNS1_3repE0EEENS1_30default_config_static_selectorELNS0_4arch9wavefront6targetE1EEEvT1_,@function
_ZN7rocprim17ROCPRIM_400000_NS6detail17trampoline_kernelINS0_14default_configENS1_27scan_by_key_config_selectorIssEEZZNS1_16scan_by_key_implILNS1_25lookback_scan_determinismE0ELb0ES3_N6thrust23THRUST_200600_302600_NS6detail15normal_iteratorINS9_10device_ptrIsEEEESE_SE_sNS9_10multipliesIsEENS9_8equal_toIsEEsEE10hipError_tPvRmT2_T3_T4_T5_mT6_T7_P12ihipStream_tbENKUlT_T0_E_clISt17integral_constantIbLb1EESZ_EEDaSU_SV_EUlSU_E_NS1_11comp_targetILNS1_3genE4ELNS1_11target_archE910ELNS1_3gpuE8ELNS1_3repE0EEENS1_30default_config_static_selectorELNS0_4arch9wavefront6targetE1EEEvT1_: ; @_ZN7rocprim17ROCPRIM_400000_NS6detail17trampoline_kernelINS0_14default_configENS1_27scan_by_key_config_selectorIssEEZZNS1_16scan_by_key_implILNS1_25lookback_scan_determinismE0ELb0ES3_N6thrust23THRUST_200600_302600_NS6detail15normal_iteratorINS9_10device_ptrIsEEEESE_SE_sNS9_10multipliesIsEENS9_8equal_toIsEEsEE10hipError_tPvRmT2_T3_T4_T5_mT6_T7_P12ihipStream_tbENKUlT_T0_E_clISt17integral_constantIbLb1EESZ_EEDaSU_SV_EUlSU_E_NS1_11comp_targetILNS1_3genE4ELNS1_11target_archE910ELNS1_3gpuE8ELNS1_3repE0EEENS1_30default_config_static_selectorELNS0_4arch9wavefront6targetE1EEEvT1_
; %bb.0:
	.section	.rodata,"a",@progbits
	.p2align	6, 0x0
	.amdhsa_kernel _ZN7rocprim17ROCPRIM_400000_NS6detail17trampoline_kernelINS0_14default_configENS1_27scan_by_key_config_selectorIssEEZZNS1_16scan_by_key_implILNS1_25lookback_scan_determinismE0ELb0ES3_N6thrust23THRUST_200600_302600_NS6detail15normal_iteratorINS9_10device_ptrIsEEEESE_SE_sNS9_10multipliesIsEENS9_8equal_toIsEEsEE10hipError_tPvRmT2_T3_T4_T5_mT6_T7_P12ihipStream_tbENKUlT_T0_E_clISt17integral_constantIbLb1EESZ_EEDaSU_SV_EUlSU_E_NS1_11comp_targetILNS1_3genE4ELNS1_11target_archE910ELNS1_3gpuE8ELNS1_3repE0EEENS1_30default_config_static_selectorELNS0_4arch9wavefront6targetE1EEEvT1_
		.amdhsa_group_segment_fixed_size 0
		.amdhsa_private_segment_fixed_size 0
		.amdhsa_kernarg_size 112
		.amdhsa_user_sgpr_count 2
		.amdhsa_user_sgpr_dispatch_ptr 0
		.amdhsa_user_sgpr_queue_ptr 0
		.amdhsa_user_sgpr_kernarg_segment_ptr 1
		.amdhsa_user_sgpr_dispatch_id 0
		.amdhsa_user_sgpr_kernarg_preload_length 0
		.amdhsa_user_sgpr_kernarg_preload_offset 0
		.amdhsa_user_sgpr_private_segment_size 0
		.amdhsa_uses_dynamic_stack 0
		.amdhsa_enable_private_segment 0
		.amdhsa_system_sgpr_workgroup_id_x 1
		.amdhsa_system_sgpr_workgroup_id_y 0
		.amdhsa_system_sgpr_workgroup_id_z 0
		.amdhsa_system_sgpr_workgroup_info 0
		.amdhsa_system_vgpr_workitem_id 0
		.amdhsa_next_free_vgpr 1
		.amdhsa_next_free_sgpr 0
		.amdhsa_accum_offset 4
		.amdhsa_reserve_vcc 0
		.amdhsa_float_round_mode_32 0
		.amdhsa_float_round_mode_16_64 0
		.amdhsa_float_denorm_mode_32 3
		.amdhsa_float_denorm_mode_16_64 3
		.amdhsa_dx10_clamp 1
		.amdhsa_ieee_mode 1
		.amdhsa_fp16_overflow 0
		.amdhsa_tg_split 0
		.amdhsa_exception_fp_ieee_invalid_op 0
		.amdhsa_exception_fp_denorm_src 0
		.amdhsa_exception_fp_ieee_div_zero 0
		.amdhsa_exception_fp_ieee_overflow 0
		.amdhsa_exception_fp_ieee_underflow 0
		.amdhsa_exception_fp_ieee_inexact 0
		.amdhsa_exception_int_div_zero 0
	.end_amdhsa_kernel
	.section	.text._ZN7rocprim17ROCPRIM_400000_NS6detail17trampoline_kernelINS0_14default_configENS1_27scan_by_key_config_selectorIssEEZZNS1_16scan_by_key_implILNS1_25lookback_scan_determinismE0ELb0ES3_N6thrust23THRUST_200600_302600_NS6detail15normal_iteratorINS9_10device_ptrIsEEEESE_SE_sNS9_10multipliesIsEENS9_8equal_toIsEEsEE10hipError_tPvRmT2_T3_T4_T5_mT6_T7_P12ihipStream_tbENKUlT_T0_E_clISt17integral_constantIbLb1EESZ_EEDaSU_SV_EUlSU_E_NS1_11comp_targetILNS1_3genE4ELNS1_11target_archE910ELNS1_3gpuE8ELNS1_3repE0EEENS1_30default_config_static_selectorELNS0_4arch9wavefront6targetE1EEEvT1_,"axG",@progbits,_ZN7rocprim17ROCPRIM_400000_NS6detail17trampoline_kernelINS0_14default_configENS1_27scan_by_key_config_selectorIssEEZZNS1_16scan_by_key_implILNS1_25lookback_scan_determinismE0ELb0ES3_N6thrust23THRUST_200600_302600_NS6detail15normal_iteratorINS9_10device_ptrIsEEEESE_SE_sNS9_10multipliesIsEENS9_8equal_toIsEEsEE10hipError_tPvRmT2_T3_T4_T5_mT6_T7_P12ihipStream_tbENKUlT_T0_E_clISt17integral_constantIbLb1EESZ_EEDaSU_SV_EUlSU_E_NS1_11comp_targetILNS1_3genE4ELNS1_11target_archE910ELNS1_3gpuE8ELNS1_3repE0EEENS1_30default_config_static_selectorELNS0_4arch9wavefront6targetE1EEEvT1_,comdat
.Lfunc_end293:
	.size	_ZN7rocprim17ROCPRIM_400000_NS6detail17trampoline_kernelINS0_14default_configENS1_27scan_by_key_config_selectorIssEEZZNS1_16scan_by_key_implILNS1_25lookback_scan_determinismE0ELb0ES3_N6thrust23THRUST_200600_302600_NS6detail15normal_iteratorINS9_10device_ptrIsEEEESE_SE_sNS9_10multipliesIsEENS9_8equal_toIsEEsEE10hipError_tPvRmT2_T3_T4_T5_mT6_T7_P12ihipStream_tbENKUlT_T0_E_clISt17integral_constantIbLb1EESZ_EEDaSU_SV_EUlSU_E_NS1_11comp_targetILNS1_3genE4ELNS1_11target_archE910ELNS1_3gpuE8ELNS1_3repE0EEENS1_30default_config_static_selectorELNS0_4arch9wavefront6targetE1EEEvT1_, .Lfunc_end293-_ZN7rocprim17ROCPRIM_400000_NS6detail17trampoline_kernelINS0_14default_configENS1_27scan_by_key_config_selectorIssEEZZNS1_16scan_by_key_implILNS1_25lookback_scan_determinismE0ELb0ES3_N6thrust23THRUST_200600_302600_NS6detail15normal_iteratorINS9_10device_ptrIsEEEESE_SE_sNS9_10multipliesIsEENS9_8equal_toIsEEsEE10hipError_tPvRmT2_T3_T4_T5_mT6_T7_P12ihipStream_tbENKUlT_T0_E_clISt17integral_constantIbLb1EESZ_EEDaSU_SV_EUlSU_E_NS1_11comp_targetILNS1_3genE4ELNS1_11target_archE910ELNS1_3gpuE8ELNS1_3repE0EEENS1_30default_config_static_selectorELNS0_4arch9wavefront6targetE1EEEvT1_
                                        ; -- End function
	.section	.AMDGPU.csdata,"",@progbits
; Kernel info:
; codeLenInByte = 0
; NumSgprs: 6
; NumVgprs: 0
; NumAgprs: 0
; TotalNumVgprs: 0
; ScratchSize: 0
; MemoryBound: 0
; FloatMode: 240
; IeeeMode: 1
; LDSByteSize: 0 bytes/workgroup (compile time only)
; SGPRBlocks: 0
; VGPRBlocks: 0
; NumSGPRsForWavesPerEU: 6
; NumVGPRsForWavesPerEU: 1
; AccumOffset: 4
; Occupancy: 8
; WaveLimiterHint : 0
; COMPUTE_PGM_RSRC2:SCRATCH_EN: 0
; COMPUTE_PGM_RSRC2:USER_SGPR: 2
; COMPUTE_PGM_RSRC2:TRAP_HANDLER: 0
; COMPUTE_PGM_RSRC2:TGID_X_EN: 1
; COMPUTE_PGM_RSRC2:TGID_Y_EN: 0
; COMPUTE_PGM_RSRC2:TGID_Z_EN: 0
; COMPUTE_PGM_RSRC2:TIDIG_COMP_CNT: 0
; COMPUTE_PGM_RSRC3_GFX90A:ACCUM_OFFSET: 0
; COMPUTE_PGM_RSRC3_GFX90A:TG_SPLIT: 0
	.section	.text._ZN7rocprim17ROCPRIM_400000_NS6detail17trampoline_kernelINS0_14default_configENS1_27scan_by_key_config_selectorIssEEZZNS1_16scan_by_key_implILNS1_25lookback_scan_determinismE0ELb0ES3_N6thrust23THRUST_200600_302600_NS6detail15normal_iteratorINS9_10device_ptrIsEEEESE_SE_sNS9_10multipliesIsEENS9_8equal_toIsEEsEE10hipError_tPvRmT2_T3_T4_T5_mT6_T7_P12ihipStream_tbENKUlT_T0_E_clISt17integral_constantIbLb1EESZ_EEDaSU_SV_EUlSU_E_NS1_11comp_targetILNS1_3genE3ELNS1_11target_archE908ELNS1_3gpuE7ELNS1_3repE0EEENS1_30default_config_static_selectorELNS0_4arch9wavefront6targetE1EEEvT1_,"axG",@progbits,_ZN7rocprim17ROCPRIM_400000_NS6detail17trampoline_kernelINS0_14default_configENS1_27scan_by_key_config_selectorIssEEZZNS1_16scan_by_key_implILNS1_25lookback_scan_determinismE0ELb0ES3_N6thrust23THRUST_200600_302600_NS6detail15normal_iteratorINS9_10device_ptrIsEEEESE_SE_sNS9_10multipliesIsEENS9_8equal_toIsEEsEE10hipError_tPvRmT2_T3_T4_T5_mT6_T7_P12ihipStream_tbENKUlT_T0_E_clISt17integral_constantIbLb1EESZ_EEDaSU_SV_EUlSU_E_NS1_11comp_targetILNS1_3genE3ELNS1_11target_archE908ELNS1_3gpuE7ELNS1_3repE0EEENS1_30default_config_static_selectorELNS0_4arch9wavefront6targetE1EEEvT1_,comdat
	.protected	_ZN7rocprim17ROCPRIM_400000_NS6detail17trampoline_kernelINS0_14default_configENS1_27scan_by_key_config_selectorIssEEZZNS1_16scan_by_key_implILNS1_25lookback_scan_determinismE0ELb0ES3_N6thrust23THRUST_200600_302600_NS6detail15normal_iteratorINS9_10device_ptrIsEEEESE_SE_sNS9_10multipliesIsEENS9_8equal_toIsEEsEE10hipError_tPvRmT2_T3_T4_T5_mT6_T7_P12ihipStream_tbENKUlT_T0_E_clISt17integral_constantIbLb1EESZ_EEDaSU_SV_EUlSU_E_NS1_11comp_targetILNS1_3genE3ELNS1_11target_archE908ELNS1_3gpuE7ELNS1_3repE0EEENS1_30default_config_static_selectorELNS0_4arch9wavefront6targetE1EEEvT1_ ; -- Begin function _ZN7rocprim17ROCPRIM_400000_NS6detail17trampoline_kernelINS0_14default_configENS1_27scan_by_key_config_selectorIssEEZZNS1_16scan_by_key_implILNS1_25lookback_scan_determinismE0ELb0ES3_N6thrust23THRUST_200600_302600_NS6detail15normal_iteratorINS9_10device_ptrIsEEEESE_SE_sNS9_10multipliesIsEENS9_8equal_toIsEEsEE10hipError_tPvRmT2_T3_T4_T5_mT6_T7_P12ihipStream_tbENKUlT_T0_E_clISt17integral_constantIbLb1EESZ_EEDaSU_SV_EUlSU_E_NS1_11comp_targetILNS1_3genE3ELNS1_11target_archE908ELNS1_3gpuE7ELNS1_3repE0EEENS1_30default_config_static_selectorELNS0_4arch9wavefront6targetE1EEEvT1_
	.globl	_ZN7rocprim17ROCPRIM_400000_NS6detail17trampoline_kernelINS0_14default_configENS1_27scan_by_key_config_selectorIssEEZZNS1_16scan_by_key_implILNS1_25lookback_scan_determinismE0ELb0ES3_N6thrust23THRUST_200600_302600_NS6detail15normal_iteratorINS9_10device_ptrIsEEEESE_SE_sNS9_10multipliesIsEENS9_8equal_toIsEEsEE10hipError_tPvRmT2_T3_T4_T5_mT6_T7_P12ihipStream_tbENKUlT_T0_E_clISt17integral_constantIbLb1EESZ_EEDaSU_SV_EUlSU_E_NS1_11comp_targetILNS1_3genE3ELNS1_11target_archE908ELNS1_3gpuE7ELNS1_3repE0EEENS1_30default_config_static_selectorELNS0_4arch9wavefront6targetE1EEEvT1_
	.p2align	8
	.type	_ZN7rocprim17ROCPRIM_400000_NS6detail17trampoline_kernelINS0_14default_configENS1_27scan_by_key_config_selectorIssEEZZNS1_16scan_by_key_implILNS1_25lookback_scan_determinismE0ELb0ES3_N6thrust23THRUST_200600_302600_NS6detail15normal_iteratorINS9_10device_ptrIsEEEESE_SE_sNS9_10multipliesIsEENS9_8equal_toIsEEsEE10hipError_tPvRmT2_T3_T4_T5_mT6_T7_P12ihipStream_tbENKUlT_T0_E_clISt17integral_constantIbLb1EESZ_EEDaSU_SV_EUlSU_E_NS1_11comp_targetILNS1_3genE3ELNS1_11target_archE908ELNS1_3gpuE7ELNS1_3repE0EEENS1_30default_config_static_selectorELNS0_4arch9wavefront6targetE1EEEvT1_,@function
_ZN7rocprim17ROCPRIM_400000_NS6detail17trampoline_kernelINS0_14default_configENS1_27scan_by_key_config_selectorIssEEZZNS1_16scan_by_key_implILNS1_25lookback_scan_determinismE0ELb0ES3_N6thrust23THRUST_200600_302600_NS6detail15normal_iteratorINS9_10device_ptrIsEEEESE_SE_sNS9_10multipliesIsEENS9_8equal_toIsEEsEE10hipError_tPvRmT2_T3_T4_T5_mT6_T7_P12ihipStream_tbENKUlT_T0_E_clISt17integral_constantIbLb1EESZ_EEDaSU_SV_EUlSU_E_NS1_11comp_targetILNS1_3genE3ELNS1_11target_archE908ELNS1_3gpuE7ELNS1_3repE0EEENS1_30default_config_static_selectorELNS0_4arch9wavefront6targetE1EEEvT1_: ; @_ZN7rocprim17ROCPRIM_400000_NS6detail17trampoline_kernelINS0_14default_configENS1_27scan_by_key_config_selectorIssEEZZNS1_16scan_by_key_implILNS1_25lookback_scan_determinismE0ELb0ES3_N6thrust23THRUST_200600_302600_NS6detail15normal_iteratorINS9_10device_ptrIsEEEESE_SE_sNS9_10multipliesIsEENS9_8equal_toIsEEsEE10hipError_tPvRmT2_T3_T4_T5_mT6_T7_P12ihipStream_tbENKUlT_T0_E_clISt17integral_constantIbLb1EESZ_EEDaSU_SV_EUlSU_E_NS1_11comp_targetILNS1_3genE3ELNS1_11target_archE908ELNS1_3gpuE7ELNS1_3repE0EEENS1_30default_config_static_selectorELNS0_4arch9wavefront6targetE1EEEvT1_
; %bb.0:
	.section	.rodata,"a",@progbits
	.p2align	6, 0x0
	.amdhsa_kernel _ZN7rocprim17ROCPRIM_400000_NS6detail17trampoline_kernelINS0_14default_configENS1_27scan_by_key_config_selectorIssEEZZNS1_16scan_by_key_implILNS1_25lookback_scan_determinismE0ELb0ES3_N6thrust23THRUST_200600_302600_NS6detail15normal_iteratorINS9_10device_ptrIsEEEESE_SE_sNS9_10multipliesIsEENS9_8equal_toIsEEsEE10hipError_tPvRmT2_T3_T4_T5_mT6_T7_P12ihipStream_tbENKUlT_T0_E_clISt17integral_constantIbLb1EESZ_EEDaSU_SV_EUlSU_E_NS1_11comp_targetILNS1_3genE3ELNS1_11target_archE908ELNS1_3gpuE7ELNS1_3repE0EEENS1_30default_config_static_selectorELNS0_4arch9wavefront6targetE1EEEvT1_
		.amdhsa_group_segment_fixed_size 0
		.amdhsa_private_segment_fixed_size 0
		.amdhsa_kernarg_size 112
		.amdhsa_user_sgpr_count 2
		.amdhsa_user_sgpr_dispatch_ptr 0
		.amdhsa_user_sgpr_queue_ptr 0
		.amdhsa_user_sgpr_kernarg_segment_ptr 1
		.amdhsa_user_sgpr_dispatch_id 0
		.amdhsa_user_sgpr_kernarg_preload_length 0
		.amdhsa_user_sgpr_kernarg_preload_offset 0
		.amdhsa_user_sgpr_private_segment_size 0
		.amdhsa_uses_dynamic_stack 0
		.amdhsa_enable_private_segment 0
		.amdhsa_system_sgpr_workgroup_id_x 1
		.amdhsa_system_sgpr_workgroup_id_y 0
		.amdhsa_system_sgpr_workgroup_id_z 0
		.amdhsa_system_sgpr_workgroup_info 0
		.amdhsa_system_vgpr_workitem_id 0
		.amdhsa_next_free_vgpr 1
		.amdhsa_next_free_sgpr 0
		.amdhsa_accum_offset 4
		.amdhsa_reserve_vcc 0
		.amdhsa_float_round_mode_32 0
		.amdhsa_float_round_mode_16_64 0
		.amdhsa_float_denorm_mode_32 3
		.amdhsa_float_denorm_mode_16_64 3
		.amdhsa_dx10_clamp 1
		.amdhsa_ieee_mode 1
		.amdhsa_fp16_overflow 0
		.amdhsa_tg_split 0
		.amdhsa_exception_fp_ieee_invalid_op 0
		.amdhsa_exception_fp_denorm_src 0
		.amdhsa_exception_fp_ieee_div_zero 0
		.amdhsa_exception_fp_ieee_overflow 0
		.amdhsa_exception_fp_ieee_underflow 0
		.amdhsa_exception_fp_ieee_inexact 0
		.amdhsa_exception_int_div_zero 0
	.end_amdhsa_kernel
	.section	.text._ZN7rocprim17ROCPRIM_400000_NS6detail17trampoline_kernelINS0_14default_configENS1_27scan_by_key_config_selectorIssEEZZNS1_16scan_by_key_implILNS1_25lookback_scan_determinismE0ELb0ES3_N6thrust23THRUST_200600_302600_NS6detail15normal_iteratorINS9_10device_ptrIsEEEESE_SE_sNS9_10multipliesIsEENS9_8equal_toIsEEsEE10hipError_tPvRmT2_T3_T4_T5_mT6_T7_P12ihipStream_tbENKUlT_T0_E_clISt17integral_constantIbLb1EESZ_EEDaSU_SV_EUlSU_E_NS1_11comp_targetILNS1_3genE3ELNS1_11target_archE908ELNS1_3gpuE7ELNS1_3repE0EEENS1_30default_config_static_selectorELNS0_4arch9wavefront6targetE1EEEvT1_,"axG",@progbits,_ZN7rocprim17ROCPRIM_400000_NS6detail17trampoline_kernelINS0_14default_configENS1_27scan_by_key_config_selectorIssEEZZNS1_16scan_by_key_implILNS1_25lookback_scan_determinismE0ELb0ES3_N6thrust23THRUST_200600_302600_NS6detail15normal_iteratorINS9_10device_ptrIsEEEESE_SE_sNS9_10multipliesIsEENS9_8equal_toIsEEsEE10hipError_tPvRmT2_T3_T4_T5_mT6_T7_P12ihipStream_tbENKUlT_T0_E_clISt17integral_constantIbLb1EESZ_EEDaSU_SV_EUlSU_E_NS1_11comp_targetILNS1_3genE3ELNS1_11target_archE908ELNS1_3gpuE7ELNS1_3repE0EEENS1_30default_config_static_selectorELNS0_4arch9wavefront6targetE1EEEvT1_,comdat
.Lfunc_end294:
	.size	_ZN7rocprim17ROCPRIM_400000_NS6detail17trampoline_kernelINS0_14default_configENS1_27scan_by_key_config_selectorIssEEZZNS1_16scan_by_key_implILNS1_25lookback_scan_determinismE0ELb0ES3_N6thrust23THRUST_200600_302600_NS6detail15normal_iteratorINS9_10device_ptrIsEEEESE_SE_sNS9_10multipliesIsEENS9_8equal_toIsEEsEE10hipError_tPvRmT2_T3_T4_T5_mT6_T7_P12ihipStream_tbENKUlT_T0_E_clISt17integral_constantIbLb1EESZ_EEDaSU_SV_EUlSU_E_NS1_11comp_targetILNS1_3genE3ELNS1_11target_archE908ELNS1_3gpuE7ELNS1_3repE0EEENS1_30default_config_static_selectorELNS0_4arch9wavefront6targetE1EEEvT1_, .Lfunc_end294-_ZN7rocprim17ROCPRIM_400000_NS6detail17trampoline_kernelINS0_14default_configENS1_27scan_by_key_config_selectorIssEEZZNS1_16scan_by_key_implILNS1_25lookback_scan_determinismE0ELb0ES3_N6thrust23THRUST_200600_302600_NS6detail15normal_iteratorINS9_10device_ptrIsEEEESE_SE_sNS9_10multipliesIsEENS9_8equal_toIsEEsEE10hipError_tPvRmT2_T3_T4_T5_mT6_T7_P12ihipStream_tbENKUlT_T0_E_clISt17integral_constantIbLb1EESZ_EEDaSU_SV_EUlSU_E_NS1_11comp_targetILNS1_3genE3ELNS1_11target_archE908ELNS1_3gpuE7ELNS1_3repE0EEENS1_30default_config_static_selectorELNS0_4arch9wavefront6targetE1EEEvT1_
                                        ; -- End function
	.section	.AMDGPU.csdata,"",@progbits
; Kernel info:
; codeLenInByte = 0
; NumSgprs: 6
; NumVgprs: 0
; NumAgprs: 0
; TotalNumVgprs: 0
; ScratchSize: 0
; MemoryBound: 0
; FloatMode: 240
; IeeeMode: 1
; LDSByteSize: 0 bytes/workgroup (compile time only)
; SGPRBlocks: 0
; VGPRBlocks: 0
; NumSGPRsForWavesPerEU: 6
; NumVGPRsForWavesPerEU: 1
; AccumOffset: 4
; Occupancy: 8
; WaveLimiterHint : 0
; COMPUTE_PGM_RSRC2:SCRATCH_EN: 0
; COMPUTE_PGM_RSRC2:USER_SGPR: 2
; COMPUTE_PGM_RSRC2:TRAP_HANDLER: 0
; COMPUTE_PGM_RSRC2:TGID_X_EN: 1
; COMPUTE_PGM_RSRC2:TGID_Y_EN: 0
; COMPUTE_PGM_RSRC2:TGID_Z_EN: 0
; COMPUTE_PGM_RSRC2:TIDIG_COMP_CNT: 0
; COMPUTE_PGM_RSRC3_GFX90A:ACCUM_OFFSET: 0
; COMPUTE_PGM_RSRC3_GFX90A:TG_SPLIT: 0
	.section	.text._ZN7rocprim17ROCPRIM_400000_NS6detail17trampoline_kernelINS0_14default_configENS1_27scan_by_key_config_selectorIssEEZZNS1_16scan_by_key_implILNS1_25lookback_scan_determinismE0ELb0ES3_N6thrust23THRUST_200600_302600_NS6detail15normal_iteratorINS9_10device_ptrIsEEEESE_SE_sNS9_10multipliesIsEENS9_8equal_toIsEEsEE10hipError_tPvRmT2_T3_T4_T5_mT6_T7_P12ihipStream_tbENKUlT_T0_E_clISt17integral_constantIbLb1EESZ_EEDaSU_SV_EUlSU_E_NS1_11comp_targetILNS1_3genE2ELNS1_11target_archE906ELNS1_3gpuE6ELNS1_3repE0EEENS1_30default_config_static_selectorELNS0_4arch9wavefront6targetE1EEEvT1_,"axG",@progbits,_ZN7rocprim17ROCPRIM_400000_NS6detail17trampoline_kernelINS0_14default_configENS1_27scan_by_key_config_selectorIssEEZZNS1_16scan_by_key_implILNS1_25lookback_scan_determinismE0ELb0ES3_N6thrust23THRUST_200600_302600_NS6detail15normal_iteratorINS9_10device_ptrIsEEEESE_SE_sNS9_10multipliesIsEENS9_8equal_toIsEEsEE10hipError_tPvRmT2_T3_T4_T5_mT6_T7_P12ihipStream_tbENKUlT_T0_E_clISt17integral_constantIbLb1EESZ_EEDaSU_SV_EUlSU_E_NS1_11comp_targetILNS1_3genE2ELNS1_11target_archE906ELNS1_3gpuE6ELNS1_3repE0EEENS1_30default_config_static_selectorELNS0_4arch9wavefront6targetE1EEEvT1_,comdat
	.protected	_ZN7rocprim17ROCPRIM_400000_NS6detail17trampoline_kernelINS0_14default_configENS1_27scan_by_key_config_selectorIssEEZZNS1_16scan_by_key_implILNS1_25lookback_scan_determinismE0ELb0ES3_N6thrust23THRUST_200600_302600_NS6detail15normal_iteratorINS9_10device_ptrIsEEEESE_SE_sNS9_10multipliesIsEENS9_8equal_toIsEEsEE10hipError_tPvRmT2_T3_T4_T5_mT6_T7_P12ihipStream_tbENKUlT_T0_E_clISt17integral_constantIbLb1EESZ_EEDaSU_SV_EUlSU_E_NS1_11comp_targetILNS1_3genE2ELNS1_11target_archE906ELNS1_3gpuE6ELNS1_3repE0EEENS1_30default_config_static_selectorELNS0_4arch9wavefront6targetE1EEEvT1_ ; -- Begin function _ZN7rocprim17ROCPRIM_400000_NS6detail17trampoline_kernelINS0_14default_configENS1_27scan_by_key_config_selectorIssEEZZNS1_16scan_by_key_implILNS1_25lookback_scan_determinismE0ELb0ES3_N6thrust23THRUST_200600_302600_NS6detail15normal_iteratorINS9_10device_ptrIsEEEESE_SE_sNS9_10multipliesIsEENS9_8equal_toIsEEsEE10hipError_tPvRmT2_T3_T4_T5_mT6_T7_P12ihipStream_tbENKUlT_T0_E_clISt17integral_constantIbLb1EESZ_EEDaSU_SV_EUlSU_E_NS1_11comp_targetILNS1_3genE2ELNS1_11target_archE906ELNS1_3gpuE6ELNS1_3repE0EEENS1_30default_config_static_selectorELNS0_4arch9wavefront6targetE1EEEvT1_
	.globl	_ZN7rocprim17ROCPRIM_400000_NS6detail17trampoline_kernelINS0_14default_configENS1_27scan_by_key_config_selectorIssEEZZNS1_16scan_by_key_implILNS1_25lookback_scan_determinismE0ELb0ES3_N6thrust23THRUST_200600_302600_NS6detail15normal_iteratorINS9_10device_ptrIsEEEESE_SE_sNS9_10multipliesIsEENS9_8equal_toIsEEsEE10hipError_tPvRmT2_T3_T4_T5_mT6_T7_P12ihipStream_tbENKUlT_T0_E_clISt17integral_constantIbLb1EESZ_EEDaSU_SV_EUlSU_E_NS1_11comp_targetILNS1_3genE2ELNS1_11target_archE906ELNS1_3gpuE6ELNS1_3repE0EEENS1_30default_config_static_selectorELNS0_4arch9wavefront6targetE1EEEvT1_
	.p2align	8
	.type	_ZN7rocprim17ROCPRIM_400000_NS6detail17trampoline_kernelINS0_14default_configENS1_27scan_by_key_config_selectorIssEEZZNS1_16scan_by_key_implILNS1_25lookback_scan_determinismE0ELb0ES3_N6thrust23THRUST_200600_302600_NS6detail15normal_iteratorINS9_10device_ptrIsEEEESE_SE_sNS9_10multipliesIsEENS9_8equal_toIsEEsEE10hipError_tPvRmT2_T3_T4_T5_mT6_T7_P12ihipStream_tbENKUlT_T0_E_clISt17integral_constantIbLb1EESZ_EEDaSU_SV_EUlSU_E_NS1_11comp_targetILNS1_3genE2ELNS1_11target_archE906ELNS1_3gpuE6ELNS1_3repE0EEENS1_30default_config_static_selectorELNS0_4arch9wavefront6targetE1EEEvT1_,@function
_ZN7rocprim17ROCPRIM_400000_NS6detail17trampoline_kernelINS0_14default_configENS1_27scan_by_key_config_selectorIssEEZZNS1_16scan_by_key_implILNS1_25lookback_scan_determinismE0ELb0ES3_N6thrust23THRUST_200600_302600_NS6detail15normal_iteratorINS9_10device_ptrIsEEEESE_SE_sNS9_10multipliesIsEENS9_8equal_toIsEEsEE10hipError_tPvRmT2_T3_T4_T5_mT6_T7_P12ihipStream_tbENKUlT_T0_E_clISt17integral_constantIbLb1EESZ_EEDaSU_SV_EUlSU_E_NS1_11comp_targetILNS1_3genE2ELNS1_11target_archE906ELNS1_3gpuE6ELNS1_3repE0EEENS1_30default_config_static_selectorELNS0_4arch9wavefront6targetE1EEEvT1_: ; @_ZN7rocprim17ROCPRIM_400000_NS6detail17trampoline_kernelINS0_14default_configENS1_27scan_by_key_config_selectorIssEEZZNS1_16scan_by_key_implILNS1_25lookback_scan_determinismE0ELb0ES3_N6thrust23THRUST_200600_302600_NS6detail15normal_iteratorINS9_10device_ptrIsEEEESE_SE_sNS9_10multipliesIsEENS9_8equal_toIsEEsEE10hipError_tPvRmT2_T3_T4_T5_mT6_T7_P12ihipStream_tbENKUlT_T0_E_clISt17integral_constantIbLb1EESZ_EEDaSU_SV_EUlSU_E_NS1_11comp_targetILNS1_3genE2ELNS1_11target_archE906ELNS1_3gpuE6ELNS1_3repE0EEENS1_30default_config_static_selectorELNS0_4arch9wavefront6targetE1EEEvT1_
; %bb.0:
	.section	.rodata,"a",@progbits
	.p2align	6, 0x0
	.amdhsa_kernel _ZN7rocprim17ROCPRIM_400000_NS6detail17trampoline_kernelINS0_14default_configENS1_27scan_by_key_config_selectorIssEEZZNS1_16scan_by_key_implILNS1_25lookback_scan_determinismE0ELb0ES3_N6thrust23THRUST_200600_302600_NS6detail15normal_iteratorINS9_10device_ptrIsEEEESE_SE_sNS9_10multipliesIsEENS9_8equal_toIsEEsEE10hipError_tPvRmT2_T3_T4_T5_mT6_T7_P12ihipStream_tbENKUlT_T0_E_clISt17integral_constantIbLb1EESZ_EEDaSU_SV_EUlSU_E_NS1_11comp_targetILNS1_3genE2ELNS1_11target_archE906ELNS1_3gpuE6ELNS1_3repE0EEENS1_30default_config_static_selectorELNS0_4arch9wavefront6targetE1EEEvT1_
		.amdhsa_group_segment_fixed_size 0
		.amdhsa_private_segment_fixed_size 0
		.amdhsa_kernarg_size 112
		.amdhsa_user_sgpr_count 2
		.amdhsa_user_sgpr_dispatch_ptr 0
		.amdhsa_user_sgpr_queue_ptr 0
		.amdhsa_user_sgpr_kernarg_segment_ptr 1
		.amdhsa_user_sgpr_dispatch_id 0
		.amdhsa_user_sgpr_kernarg_preload_length 0
		.amdhsa_user_sgpr_kernarg_preload_offset 0
		.amdhsa_user_sgpr_private_segment_size 0
		.amdhsa_uses_dynamic_stack 0
		.amdhsa_enable_private_segment 0
		.amdhsa_system_sgpr_workgroup_id_x 1
		.amdhsa_system_sgpr_workgroup_id_y 0
		.amdhsa_system_sgpr_workgroup_id_z 0
		.amdhsa_system_sgpr_workgroup_info 0
		.amdhsa_system_vgpr_workitem_id 0
		.amdhsa_next_free_vgpr 1
		.amdhsa_next_free_sgpr 0
		.amdhsa_accum_offset 4
		.amdhsa_reserve_vcc 0
		.amdhsa_float_round_mode_32 0
		.amdhsa_float_round_mode_16_64 0
		.amdhsa_float_denorm_mode_32 3
		.amdhsa_float_denorm_mode_16_64 3
		.amdhsa_dx10_clamp 1
		.amdhsa_ieee_mode 1
		.amdhsa_fp16_overflow 0
		.amdhsa_tg_split 0
		.amdhsa_exception_fp_ieee_invalid_op 0
		.amdhsa_exception_fp_denorm_src 0
		.amdhsa_exception_fp_ieee_div_zero 0
		.amdhsa_exception_fp_ieee_overflow 0
		.amdhsa_exception_fp_ieee_underflow 0
		.amdhsa_exception_fp_ieee_inexact 0
		.amdhsa_exception_int_div_zero 0
	.end_amdhsa_kernel
	.section	.text._ZN7rocprim17ROCPRIM_400000_NS6detail17trampoline_kernelINS0_14default_configENS1_27scan_by_key_config_selectorIssEEZZNS1_16scan_by_key_implILNS1_25lookback_scan_determinismE0ELb0ES3_N6thrust23THRUST_200600_302600_NS6detail15normal_iteratorINS9_10device_ptrIsEEEESE_SE_sNS9_10multipliesIsEENS9_8equal_toIsEEsEE10hipError_tPvRmT2_T3_T4_T5_mT6_T7_P12ihipStream_tbENKUlT_T0_E_clISt17integral_constantIbLb1EESZ_EEDaSU_SV_EUlSU_E_NS1_11comp_targetILNS1_3genE2ELNS1_11target_archE906ELNS1_3gpuE6ELNS1_3repE0EEENS1_30default_config_static_selectorELNS0_4arch9wavefront6targetE1EEEvT1_,"axG",@progbits,_ZN7rocprim17ROCPRIM_400000_NS6detail17trampoline_kernelINS0_14default_configENS1_27scan_by_key_config_selectorIssEEZZNS1_16scan_by_key_implILNS1_25lookback_scan_determinismE0ELb0ES3_N6thrust23THRUST_200600_302600_NS6detail15normal_iteratorINS9_10device_ptrIsEEEESE_SE_sNS9_10multipliesIsEENS9_8equal_toIsEEsEE10hipError_tPvRmT2_T3_T4_T5_mT6_T7_P12ihipStream_tbENKUlT_T0_E_clISt17integral_constantIbLb1EESZ_EEDaSU_SV_EUlSU_E_NS1_11comp_targetILNS1_3genE2ELNS1_11target_archE906ELNS1_3gpuE6ELNS1_3repE0EEENS1_30default_config_static_selectorELNS0_4arch9wavefront6targetE1EEEvT1_,comdat
.Lfunc_end295:
	.size	_ZN7rocprim17ROCPRIM_400000_NS6detail17trampoline_kernelINS0_14default_configENS1_27scan_by_key_config_selectorIssEEZZNS1_16scan_by_key_implILNS1_25lookback_scan_determinismE0ELb0ES3_N6thrust23THRUST_200600_302600_NS6detail15normal_iteratorINS9_10device_ptrIsEEEESE_SE_sNS9_10multipliesIsEENS9_8equal_toIsEEsEE10hipError_tPvRmT2_T3_T4_T5_mT6_T7_P12ihipStream_tbENKUlT_T0_E_clISt17integral_constantIbLb1EESZ_EEDaSU_SV_EUlSU_E_NS1_11comp_targetILNS1_3genE2ELNS1_11target_archE906ELNS1_3gpuE6ELNS1_3repE0EEENS1_30default_config_static_selectorELNS0_4arch9wavefront6targetE1EEEvT1_, .Lfunc_end295-_ZN7rocprim17ROCPRIM_400000_NS6detail17trampoline_kernelINS0_14default_configENS1_27scan_by_key_config_selectorIssEEZZNS1_16scan_by_key_implILNS1_25lookback_scan_determinismE0ELb0ES3_N6thrust23THRUST_200600_302600_NS6detail15normal_iteratorINS9_10device_ptrIsEEEESE_SE_sNS9_10multipliesIsEENS9_8equal_toIsEEsEE10hipError_tPvRmT2_T3_T4_T5_mT6_T7_P12ihipStream_tbENKUlT_T0_E_clISt17integral_constantIbLb1EESZ_EEDaSU_SV_EUlSU_E_NS1_11comp_targetILNS1_3genE2ELNS1_11target_archE906ELNS1_3gpuE6ELNS1_3repE0EEENS1_30default_config_static_selectorELNS0_4arch9wavefront6targetE1EEEvT1_
                                        ; -- End function
	.section	.AMDGPU.csdata,"",@progbits
; Kernel info:
; codeLenInByte = 0
; NumSgprs: 6
; NumVgprs: 0
; NumAgprs: 0
; TotalNumVgprs: 0
; ScratchSize: 0
; MemoryBound: 0
; FloatMode: 240
; IeeeMode: 1
; LDSByteSize: 0 bytes/workgroup (compile time only)
; SGPRBlocks: 0
; VGPRBlocks: 0
; NumSGPRsForWavesPerEU: 6
; NumVGPRsForWavesPerEU: 1
; AccumOffset: 4
; Occupancy: 8
; WaveLimiterHint : 0
; COMPUTE_PGM_RSRC2:SCRATCH_EN: 0
; COMPUTE_PGM_RSRC2:USER_SGPR: 2
; COMPUTE_PGM_RSRC2:TRAP_HANDLER: 0
; COMPUTE_PGM_RSRC2:TGID_X_EN: 1
; COMPUTE_PGM_RSRC2:TGID_Y_EN: 0
; COMPUTE_PGM_RSRC2:TGID_Z_EN: 0
; COMPUTE_PGM_RSRC2:TIDIG_COMP_CNT: 0
; COMPUTE_PGM_RSRC3_GFX90A:ACCUM_OFFSET: 0
; COMPUTE_PGM_RSRC3_GFX90A:TG_SPLIT: 0
	.section	.text._ZN7rocprim17ROCPRIM_400000_NS6detail17trampoline_kernelINS0_14default_configENS1_27scan_by_key_config_selectorIssEEZZNS1_16scan_by_key_implILNS1_25lookback_scan_determinismE0ELb0ES3_N6thrust23THRUST_200600_302600_NS6detail15normal_iteratorINS9_10device_ptrIsEEEESE_SE_sNS9_10multipliesIsEENS9_8equal_toIsEEsEE10hipError_tPvRmT2_T3_T4_T5_mT6_T7_P12ihipStream_tbENKUlT_T0_E_clISt17integral_constantIbLb1EESZ_EEDaSU_SV_EUlSU_E_NS1_11comp_targetILNS1_3genE10ELNS1_11target_archE1200ELNS1_3gpuE4ELNS1_3repE0EEENS1_30default_config_static_selectorELNS0_4arch9wavefront6targetE1EEEvT1_,"axG",@progbits,_ZN7rocprim17ROCPRIM_400000_NS6detail17trampoline_kernelINS0_14default_configENS1_27scan_by_key_config_selectorIssEEZZNS1_16scan_by_key_implILNS1_25lookback_scan_determinismE0ELb0ES3_N6thrust23THRUST_200600_302600_NS6detail15normal_iteratorINS9_10device_ptrIsEEEESE_SE_sNS9_10multipliesIsEENS9_8equal_toIsEEsEE10hipError_tPvRmT2_T3_T4_T5_mT6_T7_P12ihipStream_tbENKUlT_T0_E_clISt17integral_constantIbLb1EESZ_EEDaSU_SV_EUlSU_E_NS1_11comp_targetILNS1_3genE10ELNS1_11target_archE1200ELNS1_3gpuE4ELNS1_3repE0EEENS1_30default_config_static_selectorELNS0_4arch9wavefront6targetE1EEEvT1_,comdat
	.protected	_ZN7rocprim17ROCPRIM_400000_NS6detail17trampoline_kernelINS0_14default_configENS1_27scan_by_key_config_selectorIssEEZZNS1_16scan_by_key_implILNS1_25lookback_scan_determinismE0ELb0ES3_N6thrust23THRUST_200600_302600_NS6detail15normal_iteratorINS9_10device_ptrIsEEEESE_SE_sNS9_10multipliesIsEENS9_8equal_toIsEEsEE10hipError_tPvRmT2_T3_T4_T5_mT6_T7_P12ihipStream_tbENKUlT_T0_E_clISt17integral_constantIbLb1EESZ_EEDaSU_SV_EUlSU_E_NS1_11comp_targetILNS1_3genE10ELNS1_11target_archE1200ELNS1_3gpuE4ELNS1_3repE0EEENS1_30default_config_static_selectorELNS0_4arch9wavefront6targetE1EEEvT1_ ; -- Begin function _ZN7rocprim17ROCPRIM_400000_NS6detail17trampoline_kernelINS0_14default_configENS1_27scan_by_key_config_selectorIssEEZZNS1_16scan_by_key_implILNS1_25lookback_scan_determinismE0ELb0ES3_N6thrust23THRUST_200600_302600_NS6detail15normal_iteratorINS9_10device_ptrIsEEEESE_SE_sNS9_10multipliesIsEENS9_8equal_toIsEEsEE10hipError_tPvRmT2_T3_T4_T5_mT6_T7_P12ihipStream_tbENKUlT_T0_E_clISt17integral_constantIbLb1EESZ_EEDaSU_SV_EUlSU_E_NS1_11comp_targetILNS1_3genE10ELNS1_11target_archE1200ELNS1_3gpuE4ELNS1_3repE0EEENS1_30default_config_static_selectorELNS0_4arch9wavefront6targetE1EEEvT1_
	.globl	_ZN7rocprim17ROCPRIM_400000_NS6detail17trampoline_kernelINS0_14default_configENS1_27scan_by_key_config_selectorIssEEZZNS1_16scan_by_key_implILNS1_25lookback_scan_determinismE0ELb0ES3_N6thrust23THRUST_200600_302600_NS6detail15normal_iteratorINS9_10device_ptrIsEEEESE_SE_sNS9_10multipliesIsEENS9_8equal_toIsEEsEE10hipError_tPvRmT2_T3_T4_T5_mT6_T7_P12ihipStream_tbENKUlT_T0_E_clISt17integral_constantIbLb1EESZ_EEDaSU_SV_EUlSU_E_NS1_11comp_targetILNS1_3genE10ELNS1_11target_archE1200ELNS1_3gpuE4ELNS1_3repE0EEENS1_30default_config_static_selectorELNS0_4arch9wavefront6targetE1EEEvT1_
	.p2align	8
	.type	_ZN7rocprim17ROCPRIM_400000_NS6detail17trampoline_kernelINS0_14default_configENS1_27scan_by_key_config_selectorIssEEZZNS1_16scan_by_key_implILNS1_25lookback_scan_determinismE0ELb0ES3_N6thrust23THRUST_200600_302600_NS6detail15normal_iteratorINS9_10device_ptrIsEEEESE_SE_sNS9_10multipliesIsEENS9_8equal_toIsEEsEE10hipError_tPvRmT2_T3_T4_T5_mT6_T7_P12ihipStream_tbENKUlT_T0_E_clISt17integral_constantIbLb1EESZ_EEDaSU_SV_EUlSU_E_NS1_11comp_targetILNS1_3genE10ELNS1_11target_archE1200ELNS1_3gpuE4ELNS1_3repE0EEENS1_30default_config_static_selectorELNS0_4arch9wavefront6targetE1EEEvT1_,@function
_ZN7rocprim17ROCPRIM_400000_NS6detail17trampoline_kernelINS0_14default_configENS1_27scan_by_key_config_selectorIssEEZZNS1_16scan_by_key_implILNS1_25lookback_scan_determinismE0ELb0ES3_N6thrust23THRUST_200600_302600_NS6detail15normal_iteratorINS9_10device_ptrIsEEEESE_SE_sNS9_10multipliesIsEENS9_8equal_toIsEEsEE10hipError_tPvRmT2_T3_T4_T5_mT6_T7_P12ihipStream_tbENKUlT_T0_E_clISt17integral_constantIbLb1EESZ_EEDaSU_SV_EUlSU_E_NS1_11comp_targetILNS1_3genE10ELNS1_11target_archE1200ELNS1_3gpuE4ELNS1_3repE0EEENS1_30default_config_static_selectorELNS0_4arch9wavefront6targetE1EEEvT1_: ; @_ZN7rocprim17ROCPRIM_400000_NS6detail17trampoline_kernelINS0_14default_configENS1_27scan_by_key_config_selectorIssEEZZNS1_16scan_by_key_implILNS1_25lookback_scan_determinismE0ELb0ES3_N6thrust23THRUST_200600_302600_NS6detail15normal_iteratorINS9_10device_ptrIsEEEESE_SE_sNS9_10multipliesIsEENS9_8equal_toIsEEsEE10hipError_tPvRmT2_T3_T4_T5_mT6_T7_P12ihipStream_tbENKUlT_T0_E_clISt17integral_constantIbLb1EESZ_EEDaSU_SV_EUlSU_E_NS1_11comp_targetILNS1_3genE10ELNS1_11target_archE1200ELNS1_3gpuE4ELNS1_3repE0EEENS1_30default_config_static_selectorELNS0_4arch9wavefront6targetE1EEEvT1_
; %bb.0:
	.section	.rodata,"a",@progbits
	.p2align	6, 0x0
	.amdhsa_kernel _ZN7rocprim17ROCPRIM_400000_NS6detail17trampoline_kernelINS0_14default_configENS1_27scan_by_key_config_selectorIssEEZZNS1_16scan_by_key_implILNS1_25lookback_scan_determinismE0ELb0ES3_N6thrust23THRUST_200600_302600_NS6detail15normal_iteratorINS9_10device_ptrIsEEEESE_SE_sNS9_10multipliesIsEENS9_8equal_toIsEEsEE10hipError_tPvRmT2_T3_T4_T5_mT6_T7_P12ihipStream_tbENKUlT_T0_E_clISt17integral_constantIbLb1EESZ_EEDaSU_SV_EUlSU_E_NS1_11comp_targetILNS1_3genE10ELNS1_11target_archE1200ELNS1_3gpuE4ELNS1_3repE0EEENS1_30default_config_static_selectorELNS0_4arch9wavefront6targetE1EEEvT1_
		.amdhsa_group_segment_fixed_size 0
		.amdhsa_private_segment_fixed_size 0
		.amdhsa_kernarg_size 112
		.amdhsa_user_sgpr_count 2
		.amdhsa_user_sgpr_dispatch_ptr 0
		.amdhsa_user_sgpr_queue_ptr 0
		.amdhsa_user_sgpr_kernarg_segment_ptr 1
		.amdhsa_user_sgpr_dispatch_id 0
		.amdhsa_user_sgpr_kernarg_preload_length 0
		.amdhsa_user_sgpr_kernarg_preload_offset 0
		.amdhsa_user_sgpr_private_segment_size 0
		.amdhsa_uses_dynamic_stack 0
		.amdhsa_enable_private_segment 0
		.amdhsa_system_sgpr_workgroup_id_x 1
		.amdhsa_system_sgpr_workgroup_id_y 0
		.amdhsa_system_sgpr_workgroup_id_z 0
		.amdhsa_system_sgpr_workgroup_info 0
		.amdhsa_system_vgpr_workitem_id 0
		.amdhsa_next_free_vgpr 1
		.amdhsa_next_free_sgpr 0
		.amdhsa_accum_offset 4
		.amdhsa_reserve_vcc 0
		.amdhsa_float_round_mode_32 0
		.amdhsa_float_round_mode_16_64 0
		.amdhsa_float_denorm_mode_32 3
		.amdhsa_float_denorm_mode_16_64 3
		.amdhsa_dx10_clamp 1
		.amdhsa_ieee_mode 1
		.amdhsa_fp16_overflow 0
		.amdhsa_tg_split 0
		.amdhsa_exception_fp_ieee_invalid_op 0
		.amdhsa_exception_fp_denorm_src 0
		.amdhsa_exception_fp_ieee_div_zero 0
		.amdhsa_exception_fp_ieee_overflow 0
		.amdhsa_exception_fp_ieee_underflow 0
		.amdhsa_exception_fp_ieee_inexact 0
		.amdhsa_exception_int_div_zero 0
	.end_amdhsa_kernel
	.section	.text._ZN7rocprim17ROCPRIM_400000_NS6detail17trampoline_kernelINS0_14default_configENS1_27scan_by_key_config_selectorIssEEZZNS1_16scan_by_key_implILNS1_25lookback_scan_determinismE0ELb0ES3_N6thrust23THRUST_200600_302600_NS6detail15normal_iteratorINS9_10device_ptrIsEEEESE_SE_sNS9_10multipliesIsEENS9_8equal_toIsEEsEE10hipError_tPvRmT2_T3_T4_T5_mT6_T7_P12ihipStream_tbENKUlT_T0_E_clISt17integral_constantIbLb1EESZ_EEDaSU_SV_EUlSU_E_NS1_11comp_targetILNS1_3genE10ELNS1_11target_archE1200ELNS1_3gpuE4ELNS1_3repE0EEENS1_30default_config_static_selectorELNS0_4arch9wavefront6targetE1EEEvT1_,"axG",@progbits,_ZN7rocprim17ROCPRIM_400000_NS6detail17trampoline_kernelINS0_14default_configENS1_27scan_by_key_config_selectorIssEEZZNS1_16scan_by_key_implILNS1_25lookback_scan_determinismE0ELb0ES3_N6thrust23THRUST_200600_302600_NS6detail15normal_iteratorINS9_10device_ptrIsEEEESE_SE_sNS9_10multipliesIsEENS9_8equal_toIsEEsEE10hipError_tPvRmT2_T3_T4_T5_mT6_T7_P12ihipStream_tbENKUlT_T0_E_clISt17integral_constantIbLb1EESZ_EEDaSU_SV_EUlSU_E_NS1_11comp_targetILNS1_3genE10ELNS1_11target_archE1200ELNS1_3gpuE4ELNS1_3repE0EEENS1_30default_config_static_selectorELNS0_4arch9wavefront6targetE1EEEvT1_,comdat
.Lfunc_end296:
	.size	_ZN7rocprim17ROCPRIM_400000_NS6detail17trampoline_kernelINS0_14default_configENS1_27scan_by_key_config_selectorIssEEZZNS1_16scan_by_key_implILNS1_25lookback_scan_determinismE0ELb0ES3_N6thrust23THRUST_200600_302600_NS6detail15normal_iteratorINS9_10device_ptrIsEEEESE_SE_sNS9_10multipliesIsEENS9_8equal_toIsEEsEE10hipError_tPvRmT2_T3_T4_T5_mT6_T7_P12ihipStream_tbENKUlT_T0_E_clISt17integral_constantIbLb1EESZ_EEDaSU_SV_EUlSU_E_NS1_11comp_targetILNS1_3genE10ELNS1_11target_archE1200ELNS1_3gpuE4ELNS1_3repE0EEENS1_30default_config_static_selectorELNS0_4arch9wavefront6targetE1EEEvT1_, .Lfunc_end296-_ZN7rocprim17ROCPRIM_400000_NS6detail17trampoline_kernelINS0_14default_configENS1_27scan_by_key_config_selectorIssEEZZNS1_16scan_by_key_implILNS1_25lookback_scan_determinismE0ELb0ES3_N6thrust23THRUST_200600_302600_NS6detail15normal_iteratorINS9_10device_ptrIsEEEESE_SE_sNS9_10multipliesIsEENS9_8equal_toIsEEsEE10hipError_tPvRmT2_T3_T4_T5_mT6_T7_P12ihipStream_tbENKUlT_T0_E_clISt17integral_constantIbLb1EESZ_EEDaSU_SV_EUlSU_E_NS1_11comp_targetILNS1_3genE10ELNS1_11target_archE1200ELNS1_3gpuE4ELNS1_3repE0EEENS1_30default_config_static_selectorELNS0_4arch9wavefront6targetE1EEEvT1_
                                        ; -- End function
	.section	.AMDGPU.csdata,"",@progbits
; Kernel info:
; codeLenInByte = 0
; NumSgprs: 6
; NumVgprs: 0
; NumAgprs: 0
; TotalNumVgprs: 0
; ScratchSize: 0
; MemoryBound: 0
; FloatMode: 240
; IeeeMode: 1
; LDSByteSize: 0 bytes/workgroup (compile time only)
; SGPRBlocks: 0
; VGPRBlocks: 0
; NumSGPRsForWavesPerEU: 6
; NumVGPRsForWavesPerEU: 1
; AccumOffset: 4
; Occupancy: 8
; WaveLimiterHint : 0
; COMPUTE_PGM_RSRC2:SCRATCH_EN: 0
; COMPUTE_PGM_RSRC2:USER_SGPR: 2
; COMPUTE_PGM_RSRC2:TRAP_HANDLER: 0
; COMPUTE_PGM_RSRC2:TGID_X_EN: 1
; COMPUTE_PGM_RSRC2:TGID_Y_EN: 0
; COMPUTE_PGM_RSRC2:TGID_Z_EN: 0
; COMPUTE_PGM_RSRC2:TIDIG_COMP_CNT: 0
; COMPUTE_PGM_RSRC3_GFX90A:ACCUM_OFFSET: 0
; COMPUTE_PGM_RSRC3_GFX90A:TG_SPLIT: 0
	.section	.text._ZN7rocprim17ROCPRIM_400000_NS6detail17trampoline_kernelINS0_14default_configENS1_27scan_by_key_config_selectorIssEEZZNS1_16scan_by_key_implILNS1_25lookback_scan_determinismE0ELb0ES3_N6thrust23THRUST_200600_302600_NS6detail15normal_iteratorINS9_10device_ptrIsEEEESE_SE_sNS9_10multipliesIsEENS9_8equal_toIsEEsEE10hipError_tPvRmT2_T3_T4_T5_mT6_T7_P12ihipStream_tbENKUlT_T0_E_clISt17integral_constantIbLb1EESZ_EEDaSU_SV_EUlSU_E_NS1_11comp_targetILNS1_3genE9ELNS1_11target_archE1100ELNS1_3gpuE3ELNS1_3repE0EEENS1_30default_config_static_selectorELNS0_4arch9wavefront6targetE1EEEvT1_,"axG",@progbits,_ZN7rocprim17ROCPRIM_400000_NS6detail17trampoline_kernelINS0_14default_configENS1_27scan_by_key_config_selectorIssEEZZNS1_16scan_by_key_implILNS1_25lookback_scan_determinismE0ELb0ES3_N6thrust23THRUST_200600_302600_NS6detail15normal_iteratorINS9_10device_ptrIsEEEESE_SE_sNS9_10multipliesIsEENS9_8equal_toIsEEsEE10hipError_tPvRmT2_T3_T4_T5_mT6_T7_P12ihipStream_tbENKUlT_T0_E_clISt17integral_constantIbLb1EESZ_EEDaSU_SV_EUlSU_E_NS1_11comp_targetILNS1_3genE9ELNS1_11target_archE1100ELNS1_3gpuE3ELNS1_3repE0EEENS1_30default_config_static_selectorELNS0_4arch9wavefront6targetE1EEEvT1_,comdat
	.protected	_ZN7rocprim17ROCPRIM_400000_NS6detail17trampoline_kernelINS0_14default_configENS1_27scan_by_key_config_selectorIssEEZZNS1_16scan_by_key_implILNS1_25lookback_scan_determinismE0ELb0ES3_N6thrust23THRUST_200600_302600_NS6detail15normal_iteratorINS9_10device_ptrIsEEEESE_SE_sNS9_10multipliesIsEENS9_8equal_toIsEEsEE10hipError_tPvRmT2_T3_T4_T5_mT6_T7_P12ihipStream_tbENKUlT_T0_E_clISt17integral_constantIbLb1EESZ_EEDaSU_SV_EUlSU_E_NS1_11comp_targetILNS1_3genE9ELNS1_11target_archE1100ELNS1_3gpuE3ELNS1_3repE0EEENS1_30default_config_static_selectorELNS0_4arch9wavefront6targetE1EEEvT1_ ; -- Begin function _ZN7rocprim17ROCPRIM_400000_NS6detail17trampoline_kernelINS0_14default_configENS1_27scan_by_key_config_selectorIssEEZZNS1_16scan_by_key_implILNS1_25lookback_scan_determinismE0ELb0ES3_N6thrust23THRUST_200600_302600_NS6detail15normal_iteratorINS9_10device_ptrIsEEEESE_SE_sNS9_10multipliesIsEENS9_8equal_toIsEEsEE10hipError_tPvRmT2_T3_T4_T5_mT6_T7_P12ihipStream_tbENKUlT_T0_E_clISt17integral_constantIbLb1EESZ_EEDaSU_SV_EUlSU_E_NS1_11comp_targetILNS1_3genE9ELNS1_11target_archE1100ELNS1_3gpuE3ELNS1_3repE0EEENS1_30default_config_static_selectorELNS0_4arch9wavefront6targetE1EEEvT1_
	.globl	_ZN7rocprim17ROCPRIM_400000_NS6detail17trampoline_kernelINS0_14default_configENS1_27scan_by_key_config_selectorIssEEZZNS1_16scan_by_key_implILNS1_25lookback_scan_determinismE0ELb0ES3_N6thrust23THRUST_200600_302600_NS6detail15normal_iteratorINS9_10device_ptrIsEEEESE_SE_sNS9_10multipliesIsEENS9_8equal_toIsEEsEE10hipError_tPvRmT2_T3_T4_T5_mT6_T7_P12ihipStream_tbENKUlT_T0_E_clISt17integral_constantIbLb1EESZ_EEDaSU_SV_EUlSU_E_NS1_11comp_targetILNS1_3genE9ELNS1_11target_archE1100ELNS1_3gpuE3ELNS1_3repE0EEENS1_30default_config_static_selectorELNS0_4arch9wavefront6targetE1EEEvT1_
	.p2align	8
	.type	_ZN7rocprim17ROCPRIM_400000_NS6detail17trampoline_kernelINS0_14default_configENS1_27scan_by_key_config_selectorIssEEZZNS1_16scan_by_key_implILNS1_25lookback_scan_determinismE0ELb0ES3_N6thrust23THRUST_200600_302600_NS6detail15normal_iteratorINS9_10device_ptrIsEEEESE_SE_sNS9_10multipliesIsEENS9_8equal_toIsEEsEE10hipError_tPvRmT2_T3_T4_T5_mT6_T7_P12ihipStream_tbENKUlT_T0_E_clISt17integral_constantIbLb1EESZ_EEDaSU_SV_EUlSU_E_NS1_11comp_targetILNS1_3genE9ELNS1_11target_archE1100ELNS1_3gpuE3ELNS1_3repE0EEENS1_30default_config_static_selectorELNS0_4arch9wavefront6targetE1EEEvT1_,@function
_ZN7rocprim17ROCPRIM_400000_NS6detail17trampoline_kernelINS0_14default_configENS1_27scan_by_key_config_selectorIssEEZZNS1_16scan_by_key_implILNS1_25lookback_scan_determinismE0ELb0ES3_N6thrust23THRUST_200600_302600_NS6detail15normal_iteratorINS9_10device_ptrIsEEEESE_SE_sNS9_10multipliesIsEENS9_8equal_toIsEEsEE10hipError_tPvRmT2_T3_T4_T5_mT6_T7_P12ihipStream_tbENKUlT_T0_E_clISt17integral_constantIbLb1EESZ_EEDaSU_SV_EUlSU_E_NS1_11comp_targetILNS1_3genE9ELNS1_11target_archE1100ELNS1_3gpuE3ELNS1_3repE0EEENS1_30default_config_static_selectorELNS0_4arch9wavefront6targetE1EEEvT1_: ; @_ZN7rocprim17ROCPRIM_400000_NS6detail17trampoline_kernelINS0_14default_configENS1_27scan_by_key_config_selectorIssEEZZNS1_16scan_by_key_implILNS1_25lookback_scan_determinismE0ELb0ES3_N6thrust23THRUST_200600_302600_NS6detail15normal_iteratorINS9_10device_ptrIsEEEESE_SE_sNS9_10multipliesIsEENS9_8equal_toIsEEsEE10hipError_tPvRmT2_T3_T4_T5_mT6_T7_P12ihipStream_tbENKUlT_T0_E_clISt17integral_constantIbLb1EESZ_EEDaSU_SV_EUlSU_E_NS1_11comp_targetILNS1_3genE9ELNS1_11target_archE1100ELNS1_3gpuE3ELNS1_3repE0EEENS1_30default_config_static_selectorELNS0_4arch9wavefront6targetE1EEEvT1_
; %bb.0:
	.section	.rodata,"a",@progbits
	.p2align	6, 0x0
	.amdhsa_kernel _ZN7rocprim17ROCPRIM_400000_NS6detail17trampoline_kernelINS0_14default_configENS1_27scan_by_key_config_selectorIssEEZZNS1_16scan_by_key_implILNS1_25lookback_scan_determinismE0ELb0ES3_N6thrust23THRUST_200600_302600_NS6detail15normal_iteratorINS9_10device_ptrIsEEEESE_SE_sNS9_10multipliesIsEENS9_8equal_toIsEEsEE10hipError_tPvRmT2_T3_T4_T5_mT6_T7_P12ihipStream_tbENKUlT_T0_E_clISt17integral_constantIbLb1EESZ_EEDaSU_SV_EUlSU_E_NS1_11comp_targetILNS1_3genE9ELNS1_11target_archE1100ELNS1_3gpuE3ELNS1_3repE0EEENS1_30default_config_static_selectorELNS0_4arch9wavefront6targetE1EEEvT1_
		.amdhsa_group_segment_fixed_size 0
		.amdhsa_private_segment_fixed_size 0
		.amdhsa_kernarg_size 112
		.amdhsa_user_sgpr_count 2
		.amdhsa_user_sgpr_dispatch_ptr 0
		.amdhsa_user_sgpr_queue_ptr 0
		.amdhsa_user_sgpr_kernarg_segment_ptr 1
		.amdhsa_user_sgpr_dispatch_id 0
		.amdhsa_user_sgpr_kernarg_preload_length 0
		.amdhsa_user_sgpr_kernarg_preload_offset 0
		.amdhsa_user_sgpr_private_segment_size 0
		.amdhsa_uses_dynamic_stack 0
		.amdhsa_enable_private_segment 0
		.amdhsa_system_sgpr_workgroup_id_x 1
		.amdhsa_system_sgpr_workgroup_id_y 0
		.amdhsa_system_sgpr_workgroup_id_z 0
		.amdhsa_system_sgpr_workgroup_info 0
		.amdhsa_system_vgpr_workitem_id 0
		.amdhsa_next_free_vgpr 1
		.amdhsa_next_free_sgpr 0
		.amdhsa_accum_offset 4
		.amdhsa_reserve_vcc 0
		.amdhsa_float_round_mode_32 0
		.amdhsa_float_round_mode_16_64 0
		.amdhsa_float_denorm_mode_32 3
		.amdhsa_float_denorm_mode_16_64 3
		.amdhsa_dx10_clamp 1
		.amdhsa_ieee_mode 1
		.amdhsa_fp16_overflow 0
		.amdhsa_tg_split 0
		.amdhsa_exception_fp_ieee_invalid_op 0
		.amdhsa_exception_fp_denorm_src 0
		.amdhsa_exception_fp_ieee_div_zero 0
		.amdhsa_exception_fp_ieee_overflow 0
		.amdhsa_exception_fp_ieee_underflow 0
		.amdhsa_exception_fp_ieee_inexact 0
		.amdhsa_exception_int_div_zero 0
	.end_amdhsa_kernel
	.section	.text._ZN7rocprim17ROCPRIM_400000_NS6detail17trampoline_kernelINS0_14default_configENS1_27scan_by_key_config_selectorIssEEZZNS1_16scan_by_key_implILNS1_25lookback_scan_determinismE0ELb0ES3_N6thrust23THRUST_200600_302600_NS6detail15normal_iteratorINS9_10device_ptrIsEEEESE_SE_sNS9_10multipliesIsEENS9_8equal_toIsEEsEE10hipError_tPvRmT2_T3_T4_T5_mT6_T7_P12ihipStream_tbENKUlT_T0_E_clISt17integral_constantIbLb1EESZ_EEDaSU_SV_EUlSU_E_NS1_11comp_targetILNS1_3genE9ELNS1_11target_archE1100ELNS1_3gpuE3ELNS1_3repE0EEENS1_30default_config_static_selectorELNS0_4arch9wavefront6targetE1EEEvT1_,"axG",@progbits,_ZN7rocprim17ROCPRIM_400000_NS6detail17trampoline_kernelINS0_14default_configENS1_27scan_by_key_config_selectorIssEEZZNS1_16scan_by_key_implILNS1_25lookback_scan_determinismE0ELb0ES3_N6thrust23THRUST_200600_302600_NS6detail15normal_iteratorINS9_10device_ptrIsEEEESE_SE_sNS9_10multipliesIsEENS9_8equal_toIsEEsEE10hipError_tPvRmT2_T3_T4_T5_mT6_T7_P12ihipStream_tbENKUlT_T0_E_clISt17integral_constantIbLb1EESZ_EEDaSU_SV_EUlSU_E_NS1_11comp_targetILNS1_3genE9ELNS1_11target_archE1100ELNS1_3gpuE3ELNS1_3repE0EEENS1_30default_config_static_selectorELNS0_4arch9wavefront6targetE1EEEvT1_,comdat
.Lfunc_end297:
	.size	_ZN7rocprim17ROCPRIM_400000_NS6detail17trampoline_kernelINS0_14default_configENS1_27scan_by_key_config_selectorIssEEZZNS1_16scan_by_key_implILNS1_25lookback_scan_determinismE0ELb0ES3_N6thrust23THRUST_200600_302600_NS6detail15normal_iteratorINS9_10device_ptrIsEEEESE_SE_sNS9_10multipliesIsEENS9_8equal_toIsEEsEE10hipError_tPvRmT2_T3_T4_T5_mT6_T7_P12ihipStream_tbENKUlT_T0_E_clISt17integral_constantIbLb1EESZ_EEDaSU_SV_EUlSU_E_NS1_11comp_targetILNS1_3genE9ELNS1_11target_archE1100ELNS1_3gpuE3ELNS1_3repE0EEENS1_30default_config_static_selectorELNS0_4arch9wavefront6targetE1EEEvT1_, .Lfunc_end297-_ZN7rocprim17ROCPRIM_400000_NS6detail17trampoline_kernelINS0_14default_configENS1_27scan_by_key_config_selectorIssEEZZNS1_16scan_by_key_implILNS1_25lookback_scan_determinismE0ELb0ES3_N6thrust23THRUST_200600_302600_NS6detail15normal_iteratorINS9_10device_ptrIsEEEESE_SE_sNS9_10multipliesIsEENS9_8equal_toIsEEsEE10hipError_tPvRmT2_T3_T4_T5_mT6_T7_P12ihipStream_tbENKUlT_T0_E_clISt17integral_constantIbLb1EESZ_EEDaSU_SV_EUlSU_E_NS1_11comp_targetILNS1_3genE9ELNS1_11target_archE1100ELNS1_3gpuE3ELNS1_3repE0EEENS1_30default_config_static_selectorELNS0_4arch9wavefront6targetE1EEEvT1_
                                        ; -- End function
	.section	.AMDGPU.csdata,"",@progbits
; Kernel info:
; codeLenInByte = 0
; NumSgprs: 6
; NumVgprs: 0
; NumAgprs: 0
; TotalNumVgprs: 0
; ScratchSize: 0
; MemoryBound: 0
; FloatMode: 240
; IeeeMode: 1
; LDSByteSize: 0 bytes/workgroup (compile time only)
; SGPRBlocks: 0
; VGPRBlocks: 0
; NumSGPRsForWavesPerEU: 6
; NumVGPRsForWavesPerEU: 1
; AccumOffset: 4
; Occupancy: 8
; WaveLimiterHint : 0
; COMPUTE_PGM_RSRC2:SCRATCH_EN: 0
; COMPUTE_PGM_RSRC2:USER_SGPR: 2
; COMPUTE_PGM_RSRC2:TRAP_HANDLER: 0
; COMPUTE_PGM_RSRC2:TGID_X_EN: 1
; COMPUTE_PGM_RSRC2:TGID_Y_EN: 0
; COMPUTE_PGM_RSRC2:TGID_Z_EN: 0
; COMPUTE_PGM_RSRC2:TIDIG_COMP_CNT: 0
; COMPUTE_PGM_RSRC3_GFX90A:ACCUM_OFFSET: 0
; COMPUTE_PGM_RSRC3_GFX90A:TG_SPLIT: 0
	.section	.text._ZN7rocprim17ROCPRIM_400000_NS6detail17trampoline_kernelINS0_14default_configENS1_27scan_by_key_config_selectorIssEEZZNS1_16scan_by_key_implILNS1_25lookback_scan_determinismE0ELb0ES3_N6thrust23THRUST_200600_302600_NS6detail15normal_iteratorINS9_10device_ptrIsEEEESE_SE_sNS9_10multipliesIsEENS9_8equal_toIsEEsEE10hipError_tPvRmT2_T3_T4_T5_mT6_T7_P12ihipStream_tbENKUlT_T0_E_clISt17integral_constantIbLb1EESZ_EEDaSU_SV_EUlSU_E_NS1_11comp_targetILNS1_3genE8ELNS1_11target_archE1030ELNS1_3gpuE2ELNS1_3repE0EEENS1_30default_config_static_selectorELNS0_4arch9wavefront6targetE1EEEvT1_,"axG",@progbits,_ZN7rocprim17ROCPRIM_400000_NS6detail17trampoline_kernelINS0_14default_configENS1_27scan_by_key_config_selectorIssEEZZNS1_16scan_by_key_implILNS1_25lookback_scan_determinismE0ELb0ES3_N6thrust23THRUST_200600_302600_NS6detail15normal_iteratorINS9_10device_ptrIsEEEESE_SE_sNS9_10multipliesIsEENS9_8equal_toIsEEsEE10hipError_tPvRmT2_T3_T4_T5_mT6_T7_P12ihipStream_tbENKUlT_T0_E_clISt17integral_constantIbLb1EESZ_EEDaSU_SV_EUlSU_E_NS1_11comp_targetILNS1_3genE8ELNS1_11target_archE1030ELNS1_3gpuE2ELNS1_3repE0EEENS1_30default_config_static_selectorELNS0_4arch9wavefront6targetE1EEEvT1_,comdat
	.protected	_ZN7rocprim17ROCPRIM_400000_NS6detail17trampoline_kernelINS0_14default_configENS1_27scan_by_key_config_selectorIssEEZZNS1_16scan_by_key_implILNS1_25lookback_scan_determinismE0ELb0ES3_N6thrust23THRUST_200600_302600_NS6detail15normal_iteratorINS9_10device_ptrIsEEEESE_SE_sNS9_10multipliesIsEENS9_8equal_toIsEEsEE10hipError_tPvRmT2_T3_T4_T5_mT6_T7_P12ihipStream_tbENKUlT_T0_E_clISt17integral_constantIbLb1EESZ_EEDaSU_SV_EUlSU_E_NS1_11comp_targetILNS1_3genE8ELNS1_11target_archE1030ELNS1_3gpuE2ELNS1_3repE0EEENS1_30default_config_static_selectorELNS0_4arch9wavefront6targetE1EEEvT1_ ; -- Begin function _ZN7rocprim17ROCPRIM_400000_NS6detail17trampoline_kernelINS0_14default_configENS1_27scan_by_key_config_selectorIssEEZZNS1_16scan_by_key_implILNS1_25lookback_scan_determinismE0ELb0ES3_N6thrust23THRUST_200600_302600_NS6detail15normal_iteratorINS9_10device_ptrIsEEEESE_SE_sNS9_10multipliesIsEENS9_8equal_toIsEEsEE10hipError_tPvRmT2_T3_T4_T5_mT6_T7_P12ihipStream_tbENKUlT_T0_E_clISt17integral_constantIbLb1EESZ_EEDaSU_SV_EUlSU_E_NS1_11comp_targetILNS1_3genE8ELNS1_11target_archE1030ELNS1_3gpuE2ELNS1_3repE0EEENS1_30default_config_static_selectorELNS0_4arch9wavefront6targetE1EEEvT1_
	.globl	_ZN7rocprim17ROCPRIM_400000_NS6detail17trampoline_kernelINS0_14default_configENS1_27scan_by_key_config_selectorIssEEZZNS1_16scan_by_key_implILNS1_25lookback_scan_determinismE0ELb0ES3_N6thrust23THRUST_200600_302600_NS6detail15normal_iteratorINS9_10device_ptrIsEEEESE_SE_sNS9_10multipliesIsEENS9_8equal_toIsEEsEE10hipError_tPvRmT2_T3_T4_T5_mT6_T7_P12ihipStream_tbENKUlT_T0_E_clISt17integral_constantIbLb1EESZ_EEDaSU_SV_EUlSU_E_NS1_11comp_targetILNS1_3genE8ELNS1_11target_archE1030ELNS1_3gpuE2ELNS1_3repE0EEENS1_30default_config_static_selectorELNS0_4arch9wavefront6targetE1EEEvT1_
	.p2align	8
	.type	_ZN7rocprim17ROCPRIM_400000_NS6detail17trampoline_kernelINS0_14default_configENS1_27scan_by_key_config_selectorIssEEZZNS1_16scan_by_key_implILNS1_25lookback_scan_determinismE0ELb0ES3_N6thrust23THRUST_200600_302600_NS6detail15normal_iteratorINS9_10device_ptrIsEEEESE_SE_sNS9_10multipliesIsEENS9_8equal_toIsEEsEE10hipError_tPvRmT2_T3_T4_T5_mT6_T7_P12ihipStream_tbENKUlT_T0_E_clISt17integral_constantIbLb1EESZ_EEDaSU_SV_EUlSU_E_NS1_11comp_targetILNS1_3genE8ELNS1_11target_archE1030ELNS1_3gpuE2ELNS1_3repE0EEENS1_30default_config_static_selectorELNS0_4arch9wavefront6targetE1EEEvT1_,@function
_ZN7rocprim17ROCPRIM_400000_NS6detail17trampoline_kernelINS0_14default_configENS1_27scan_by_key_config_selectorIssEEZZNS1_16scan_by_key_implILNS1_25lookback_scan_determinismE0ELb0ES3_N6thrust23THRUST_200600_302600_NS6detail15normal_iteratorINS9_10device_ptrIsEEEESE_SE_sNS9_10multipliesIsEENS9_8equal_toIsEEsEE10hipError_tPvRmT2_T3_T4_T5_mT6_T7_P12ihipStream_tbENKUlT_T0_E_clISt17integral_constantIbLb1EESZ_EEDaSU_SV_EUlSU_E_NS1_11comp_targetILNS1_3genE8ELNS1_11target_archE1030ELNS1_3gpuE2ELNS1_3repE0EEENS1_30default_config_static_selectorELNS0_4arch9wavefront6targetE1EEEvT1_: ; @_ZN7rocprim17ROCPRIM_400000_NS6detail17trampoline_kernelINS0_14default_configENS1_27scan_by_key_config_selectorIssEEZZNS1_16scan_by_key_implILNS1_25lookback_scan_determinismE0ELb0ES3_N6thrust23THRUST_200600_302600_NS6detail15normal_iteratorINS9_10device_ptrIsEEEESE_SE_sNS9_10multipliesIsEENS9_8equal_toIsEEsEE10hipError_tPvRmT2_T3_T4_T5_mT6_T7_P12ihipStream_tbENKUlT_T0_E_clISt17integral_constantIbLb1EESZ_EEDaSU_SV_EUlSU_E_NS1_11comp_targetILNS1_3genE8ELNS1_11target_archE1030ELNS1_3gpuE2ELNS1_3repE0EEENS1_30default_config_static_selectorELNS0_4arch9wavefront6targetE1EEEvT1_
; %bb.0:
	.section	.rodata,"a",@progbits
	.p2align	6, 0x0
	.amdhsa_kernel _ZN7rocprim17ROCPRIM_400000_NS6detail17trampoline_kernelINS0_14default_configENS1_27scan_by_key_config_selectorIssEEZZNS1_16scan_by_key_implILNS1_25lookback_scan_determinismE0ELb0ES3_N6thrust23THRUST_200600_302600_NS6detail15normal_iteratorINS9_10device_ptrIsEEEESE_SE_sNS9_10multipliesIsEENS9_8equal_toIsEEsEE10hipError_tPvRmT2_T3_T4_T5_mT6_T7_P12ihipStream_tbENKUlT_T0_E_clISt17integral_constantIbLb1EESZ_EEDaSU_SV_EUlSU_E_NS1_11comp_targetILNS1_3genE8ELNS1_11target_archE1030ELNS1_3gpuE2ELNS1_3repE0EEENS1_30default_config_static_selectorELNS0_4arch9wavefront6targetE1EEEvT1_
		.amdhsa_group_segment_fixed_size 0
		.amdhsa_private_segment_fixed_size 0
		.amdhsa_kernarg_size 112
		.amdhsa_user_sgpr_count 2
		.amdhsa_user_sgpr_dispatch_ptr 0
		.amdhsa_user_sgpr_queue_ptr 0
		.amdhsa_user_sgpr_kernarg_segment_ptr 1
		.amdhsa_user_sgpr_dispatch_id 0
		.amdhsa_user_sgpr_kernarg_preload_length 0
		.amdhsa_user_sgpr_kernarg_preload_offset 0
		.amdhsa_user_sgpr_private_segment_size 0
		.amdhsa_uses_dynamic_stack 0
		.amdhsa_enable_private_segment 0
		.amdhsa_system_sgpr_workgroup_id_x 1
		.amdhsa_system_sgpr_workgroup_id_y 0
		.amdhsa_system_sgpr_workgroup_id_z 0
		.amdhsa_system_sgpr_workgroup_info 0
		.amdhsa_system_vgpr_workitem_id 0
		.amdhsa_next_free_vgpr 1
		.amdhsa_next_free_sgpr 0
		.amdhsa_accum_offset 4
		.amdhsa_reserve_vcc 0
		.amdhsa_float_round_mode_32 0
		.amdhsa_float_round_mode_16_64 0
		.amdhsa_float_denorm_mode_32 3
		.amdhsa_float_denorm_mode_16_64 3
		.amdhsa_dx10_clamp 1
		.amdhsa_ieee_mode 1
		.amdhsa_fp16_overflow 0
		.amdhsa_tg_split 0
		.amdhsa_exception_fp_ieee_invalid_op 0
		.amdhsa_exception_fp_denorm_src 0
		.amdhsa_exception_fp_ieee_div_zero 0
		.amdhsa_exception_fp_ieee_overflow 0
		.amdhsa_exception_fp_ieee_underflow 0
		.amdhsa_exception_fp_ieee_inexact 0
		.amdhsa_exception_int_div_zero 0
	.end_amdhsa_kernel
	.section	.text._ZN7rocprim17ROCPRIM_400000_NS6detail17trampoline_kernelINS0_14default_configENS1_27scan_by_key_config_selectorIssEEZZNS1_16scan_by_key_implILNS1_25lookback_scan_determinismE0ELb0ES3_N6thrust23THRUST_200600_302600_NS6detail15normal_iteratorINS9_10device_ptrIsEEEESE_SE_sNS9_10multipliesIsEENS9_8equal_toIsEEsEE10hipError_tPvRmT2_T3_T4_T5_mT6_T7_P12ihipStream_tbENKUlT_T0_E_clISt17integral_constantIbLb1EESZ_EEDaSU_SV_EUlSU_E_NS1_11comp_targetILNS1_3genE8ELNS1_11target_archE1030ELNS1_3gpuE2ELNS1_3repE0EEENS1_30default_config_static_selectorELNS0_4arch9wavefront6targetE1EEEvT1_,"axG",@progbits,_ZN7rocprim17ROCPRIM_400000_NS6detail17trampoline_kernelINS0_14default_configENS1_27scan_by_key_config_selectorIssEEZZNS1_16scan_by_key_implILNS1_25lookback_scan_determinismE0ELb0ES3_N6thrust23THRUST_200600_302600_NS6detail15normal_iteratorINS9_10device_ptrIsEEEESE_SE_sNS9_10multipliesIsEENS9_8equal_toIsEEsEE10hipError_tPvRmT2_T3_T4_T5_mT6_T7_P12ihipStream_tbENKUlT_T0_E_clISt17integral_constantIbLb1EESZ_EEDaSU_SV_EUlSU_E_NS1_11comp_targetILNS1_3genE8ELNS1_11target_archE1030ELNS1_3gpuE2ELNS1_3repE0EEENS1_30default_config_static_selectorELNS0_4arch9wavefront6targetE1EEEvT1_,comdat
.Lfunc_end298:
	.size	_ZN7rocprim17ROCPRIM_400000_NS6detail17trampoline_kernelINS0_14default_configENS1_27scan_by_key_config_selectorIssEEZZNS1_16scan_by_key_implILNS1_25lookback_scan_determinismE0ELb0ES3_N6thrust23THRUST_200600_302600_NS6detail15normal_iteratorINS9_10device_ptrIsEEEESE_SE_sNS9_10multipliesIsEENS9_8equal_toIsEEsEE10hipError_tPvRmT2_T3_T4_T5_mT6_T7_P12ihipStream_tbENKUlT_T0_E_clISt17integral_constantIbLb1EESZ_EEDaSU_SV_EUlSU_E_NS1_11comp_targetILNS1_3genE8ELNS1_11target_archE1030ELNS1_3gpuE2ELNS1_3repE0EEENS1_30default_config_static_selectorELNS0_4arch9wavefront6targetE1EEEvT1_, .Lfunc_end298-_ZN7rocprim17ROCPRIM_400000_NS6detail17trampoline_kernelINS0_14default_configENS1_27scan_by_key_config_selectorIssEEZZNS1_16scan_by_key_implILNS1_25lookback_scan_determinismE0ELb0ES3_N6thrust23THRUST_200600_302600_NS6detail15normal_iteratorINS9_10device_ptrIsEEEESE_SE_sNS9_10multipliesIsEENS9_8equal_toIsEEsEE10hipError_tPvRmT2_T3_T4_T5_mT6_T7_P12ihipStream_tbENKUlT_T0_E_clISt17integral_constantIbLb1EESZ_EEDaSU_SV_EUlSU_E_NS1_11comp_targetILNS1_3genE8ELNS1_11target_archE1030ELNS1_3gpuE2ELNS1_3repE0EEENS1_30default_config_static_selectorELNS0_4arch9wavefront6targetE1EEEvT1_
                                        ; -- End function
	.section	.AMDGPU.csdata,"",@progbits
; Kernel info:
; codeLenInByte = 0
; NumSgprs: 6
; NumVgprs: 0
; NumAgprs: 0
; TotalNumVgprs: 0
; ScratchSize: 0
; MemoryBound: 0
; FloatMode: 240
; IeeeMode: 1
; LDSByteSize: 0 bytes/workgroup (compile time only)
; SGPRBlocks: 0
; VGPRBlocks: 0
; NumSGPRsForWavesPerEU: 6
; NumVGPRsForWavesPerEU: 1
; AccumOffset: 4
; Occupancy: 8
; WaveLimiterHint : 0
; COMPUTE_PGM_RSRC2:SCRATCH_EN: 0
; COMPUTE_PGM_RSRC2:USER_SGPR: 2
; COMPUTE_PGM_RSRC2:TRAP_HANDLER: 0
; COMPUTE_PGM_RSRC2:TGID_X_EN: 1
; COMPUTE_PGM_RSRC2:TGID_Y_EN: 0
; COMPUTE_PGM_RSRC2:TGID_Z_EN: 0
; COMPUTE_PGM_RSRC2:TIDIG_COMP_CNT: 0
; COMPUTE_PGM_RSRC3_GFX90A:ACCUM_OFFSET: 0
; COMPUTE_PGM_RSRC3_GFX90A:TG_SPLIT: 0
	.section	.text._ZN7rocprim17ROCPRIM_400000_NS6detail17trampoline_kernelINS0_14default_configENS1_27scan_by_key_config_selectorIssEEZZNS1_16scan_by_key_implILNS1_25lookback_scan_determinismE0ELb0ES3_N6thrust23THRUST_200600_302600_NS6detail15normal_iteratorINS9_10device_ptrIsEEEESE_SE_sNS9_10multipliesIsEENS9_8equal_toIsEEsEE10hipError_tPvRmT2_T3_T4_T5_mT6_T7_P12ihipStream_tbENKUlT_T0_E_clISt17integral_constantIbLb1EESY_IbLb0EEEEDaSU_SV_EUlSU_E_NS1_11comp_targetILNS1_3genE0ELNS1_11target_archE4294967295ELNS1_3gpuE0ELNS1_3repE0EEENS1_30default_config_static_selectorELNS0_4arch9wavefront6targetE1EEEvT1_,"axG",@progbits,_ZN7rocprim17ROCPRIM_400000_NS6detail17trampoline_kernelINS0_14default_configENS1_27scan_by_key_config_selectorIssEEZZNS1_16scan_by_key_implILNS1_25lookback_scan_determinismE0ELb0ES3_N6thrust23THRUST_200600_302600_NS6detail15normal_iteratorINS9_10device_ptrIsEEEESE_SE_sNS9_10multipliesIsEENS9_8equal_toIsEEsEE10hipError_tPvRmT2_T3_T4_T5_mT6_T7_P12ihipStream_tbENKUlT_T0_E_clISt17integral_constantIbLb1EESY_IbLb0EEEEDaSU_SV_EUlSU_E_NS1_11comp_targetILNS1_3genE0ELNS1_11target_archE4294967295ELNS1_3gpuE0ELNS1_3repE0EEENS1_30default_config_static_selectorELNS0_4arch9wavefront6targetE1EEEvT1_,comdat
	.protected	_ZN7rocprim17ROCPRIM_400000_NS6detail17trampoline_kernelINS0_14default_configENS1_27scan_by_key_config_selectorIssEEZZNS1_16scan_by_key_implILNS1_25lookback_scan_determinismE0ELb0ES3_N6thrust23THRUST_200600_302600_NS6detail15normal_iteratorINS9_10device_ptrIsEEEESE_SE_sNS9_10multipliesIsEENS9_8equal_toIsEEsEE10hipError_tPvRmT2_T3_T4_T5_mT6_T7_P12ihipStream_tbENKUlT_T0_E_clISt17integral_constantIbLb1EESY_IbLb0EEEEDaSU_SV_EUlSU_E_NS1_11comp_targetILNS1_3genE0ELNS1_11target_archE4294967295ELNS1_3gpuE0ELNS1_3repE0EEENS1_30default_config_static_selectorELNS0_4arch9wavefront6targetE1EEEvT1_ ; -- Begin function _ZN7rocprim17ROCPRIM_400000_NS6detail17trampoline_kernelINS0_14default_configENS1_27scan_by_key_config_selectorIssEEZZNS1_16scan_by_key_implILNS1_25lookback_scan_determinismE0ELb0ES3_N6thrust23THRUST_200600_302600_NS6detail15normal_iteratorINS9_10device_ptrIsEEEESE_SE_sNS9_10multipliesIsEENS9_8equal_toIsEEsEE10hipError_tPvRmT2_T3_T4_T5_mT6_T7_P12ihipStream_tbENKUlT_T0_E_clISt17integral_constantIbLb1EESY_IbLb0EEEEDaSU_SV_EUlSU_E_NS1_11comp_targetILNS1_3genE0ELNS1_11target_archE4294967295ELNS1_3gpuE0ELNS1_3repE0EEENS1_30default_config_static_selectorELNS0_4arch9wavefront6targetE1EEEvT1_
	.globl	_ZN7rocprim17ROCPRIM_400000_NS6detail17trampoline_kernelINS0_14default_configENS1_27scan_by_key_config_selectorIssEEZZNS1_16scan_by_key_implILNS1_25lookback_scan_determinismE0ELb0ES3_N6thrust23THRUST_200600_302600_NS6detail15normal_iteratorINS9_10device_ptrIsEEEESE_SE_sNS9_10multipliesIsEENS9_8equal_toIsEEsEE10hipError_tPvRmT2_T3_T4_T5_mT6_T7_P12ihipStream_tbENKUlT_T0_E_clISt17integral_constantIbLb1EESY_IbLb0EEEEDaSU_SV_EUlSU_E_NS1_11comp_targetILNS1_3genE0ELNS1_11target_archE4294967295ELNS1_3gpuE0ELNS1_3repE0EEENS1_30default_config_static_selectorELNS0_4arch9wavefront6targetE1EEEvT1_
	.p2align	8
	.type	_ZN7rocprim17ROCPRIM_400000_NS6detail17trampoline_kernelINS0_14default_configENS1_27scan_by_key_config_selectorIssEEZZNS1_16scan_by_key_implILNS1_25lookback_scan_determinismE0ELb0ES3_N6thrust23THRUST_200600_302600_NS6detail15normal_iteratorINS9_10device_ptrIsEEEESE_SE_sNS9_10multipliesIsEENS9_8equal_toIsEEsEE10hipError_tPvRmT2_T3_T4_T5_mT6_T7_P12ihipStream_tbENKUlT_T0_E_clISt17integral_constantIbLb1EESY_IbLb0EEEEDaSU_SV_EUlSU_E_NS1_11comp_targetILNS1_3genE0ELNS1_11target_archE4294967295ELNS1_3gpuE0ELNS1_3repE0EEENS1_30default_config_static_selectorELNS0_4arch9wavefront6targetE1EEEvT1_,@function
_ZN7rocprim17ROCPRIM_400000_NS6detail17trampoline_kernelINS0_14default_configENS1_27scan_by_key_config_selectorIssEEZZNS1_16scan_by_key_implILNS1_25lookback_scan_determinismE0ELb0ES3_N6thrust23THRUST_200600_302600_NS6detail15normal_iteratorINS9_10device_ptrIsEEEESE_SE_sNS9_10multipliesIsEENS9_8equal_toIsEEsEE10hipError_tPvRmT2_T3_T4_T5_mT6_T7_P12ihipStream_tbENKUlT_T0_E_clISt17integral_constantIbLb1EESY_IbLb0EEEEDaSU_SV_EUlSU_E_NS1_11comp_targetILNS1_3genE0ELNS1_11target_archE4294967295ELNS1_3gpuE0ELNS1_3repE0EEENS1_30default_config_static_selectorELNS0_4arch9wavefront6targetE1EEEvT1_: ; @_ZN7rocprim17ROCPRIM_400000_NS6detail17trampoline_kernelINS0_14default_configENS1_27scan_by_key_config_selectorIssEEZZNS1_16scan_by_key_implILNS1_25lookback_scan_determinismE0ELb0ES3_N6thrust23THRUST_200600_302600_NS6detail15normal_iteratorINS9_10device_ptrIsEEEESE_SE_sNS9_10multipliesIsEENS9_8equal_toIsEEsEE10hipError_tPvRmT2_T3_T4_T5_mT6_T7_P12ihipStream_tbENKUlT_T0_E_clISt17integral_constantIbLb1EESY_IbLb0EEEEDaSU_SV_EUlSU_E_NS1_11comp_targetILNS1_3genE0ELNS1_11target_archE4294967295ELNS1_3gpuE0ELNS1_3repE0EEENS1_30default_config_static_selectorELNS0_4arch9wavefront6targetE1EEEvT1_
; %bb.0:
	.section	.rodata,"a",@progbits
	.p2align	6, 0x0
	.amdhsa_kernel _ZN7rocprim17ROCPRIM_400000_NS6detail17trampoline_kernelINS0_14default_configENS1_27scan_by_key_config_selectorIssEEZZNS1_16scan_by_key_implILNS1_25lookback_scan_determinismE0ELb0ES3_N6thrust23THRUST_200600_302600_NS6detail15normal_iteratorINS9_10device_ptrIsEEEESE_SE_sNS9_10multipliesIsEENS9_8equal_toIsEEsEE10hipError_tPvRmT2_T3_T4_T5_mT6_T7_P12ihipStream_tbENKUlT_T0_E_clISt17integral_constantIbLb1EESY_IbLb0EEEEDaSU_SV_EUlSU_E_NS1_11comp_targetILNS1_3genE0ELNS1_11target_archE4294967295ELNS1_3gpuE0ELNS1_3repE0EEENS1_30default_config_static_selectorELNS0_4arch9wavefront6targetE1EEEvT1_
		.amdhsa_group_segment_fixed_size 0
		.amdhsa_private_segment_fixed_size 0
		.amdhsa_kernarg_size 112
		.amdhsa_user_sgpr_count 2
		.amdhsa_user_sgpr_dispatch_ptr 0
		.amdhsa_user_sgpr_queue_ptr 0
		.amdhsa_user_sgpr_kernarg_segment_ptr 1
		.amdhsa_user_sgpr_dispatch_id 0
		.amdhsa_user_sgpr_kernarg_preload_length 0
		.amdhsa_user_sgpr_kernarg_preload_offset 0
		.amdhsa_user_sgpr_private_segment_size 0
		.amdhsa_uses_dynamic_stack 0
		.amdhsa_enable_private_segment 0
		.amdhsa_system_sgpr_workgroup_id_x 1
		.amdhsa_system_sgpr_workgroup_id_y 0
		.amdhsa_system_sgpr_workgroup_id_z 0
		.amdhsa_system_sgpr_workgroup_info 0
		.amdhsa_system_vgpr_workitem_id 0
		.amdhsa_next_free_vgpr 1
		.amdhsa_next_free_sgpr 0
		.amdhsa_accum_offset 4
		.amdhsa_reserve_vcc 0
		.amdhsa_float_round_mode_32 0
		.amdhsa_float_round_mode_16_64 0
		.amdhsa_float_denorm_mode_32 3
		.amdhsa_float_denorm_mode_16_64 3
		.amdhsa_dx10_clamp 1
		.amdhsa_ieee_mode 1
		.amdhsa_fp16_overflow 0
		.amdhsa_tg_split 0
		.amdhsa_exception_fp_ieee_invalid_op 0
		.amdhsa_exception_fp_denorm_src 0
		.amdhsa_exception_fp_ieee_div_zero 0
		.amdhsa_exception_fp_ieee_overflow 0
		.amdhsa_exception_fp_ieee_underflow 0
		.amdhsa_exception_fp_ieee_inexact 0
		.amdhsa_exception_int_div_zero 0
	.end_amdhsa_kernel
	.section	.text._ZN7rocprim17ROCPRIM_400000_NS6detail17trampoline_kernelINS0_14default_configENS1_27scan_by_key_config_selectorIssEEZZNS1_16scan_by_key_implILNS1_25lookback_scan_determinismE0ELb0ES3_N6thrust23THRUST_200600_302600_NS6detail15normal_iteratorINS9_10device_ptrIsEEEESE_SE_sNS9_10multipliesIsEENS9_8equal_toIsEEsEE10hipError_tPvRmT2_T3_T4_T5_mT6_T7_P12ihipStream_tbENKUlT_T0_E_clISt17integral_constantIbLb1EESY_IbLb0EEEEDaSU_SV_EUlSU_E_NS1_11comp_targetILNS1_3genE0ELNS1_11target_archE4294967295ELNS1_3gpuE0ELNS1_3repE0EEENS1_30default_config_static_selectorELNS0_4arch9wavefront6targetE1EEEvT1_,"axG",@progbits,_ZN7rocprim17ROCPRIM_400000_NS6detail17trampoline_kernelINS0_14default_configENS1_27scan_by_key_config_selectorIssEEZZNS1_16scan_by_key_implILNS1_25lookback_scan_determinismE0ELb0ES3_N6thrust23THRUST_200600_302600_NS6detail15normal_iteratorINS9_10device_ptrIsEEEESE_SE_sNS9_10multipliesIsEENS9_8equal_toIsEEsEE10hipError_tPvRmT2_T3_T4_T5_mT6_T7_P12ihipStream_tbENKUlT_T0_E_clISt17integral_constantIbLb1EESY_IbLb0EEEEDaSU_SV_EUlSU_E_NS1_11comp_targetILNS1_3genE0ELNS1_11target_archE4294967295ELNS1_3gpuE0ELNS1_3repE0EEENS1_30default_config_static_selectorELNS0_4arch9wavefront6targetE1EEEvT1_,comdat
.Lfunc_end299:
	.size	_ZN7rocprim17ROCPRIM_400000_NS6detail17trampoline_kernelINS0_14default_configENS1_27scan_by_key_config_selectorIssEEZZNS1_16scan_by_key_implILNS1_25lookback_scan_determinismE0ELb0ES3_N6thrust23THRUST_200600_302600_NS6detail15normal_iteratorINS9_10device_ptrIsEEEESE_SE_sNS9_10multipliesIsEENS9_8equal_toIsEEsEE10hipError_tPvRmT2_T3_T4_T5_mT6_T7_P12ihipStream_tbENKUlT_T0_E_clISt17integral_constantIbLb1EESY_IbLb0EEEEDaSU_SV_EUlSU_E_NS1_11comp_targetILNS1_3genE0ELNS1_11target_archE4294967295ELNS1_3gpuE0ELNS1_3repE0EEENS1_30default_config_static_selectorELNS0_4arch9wavefront6targetE1EEEvT1_, .Lfunc_end299-_ZN7rocprim17ROCPRIM_400000_NS6detail17trampoline_kernelINS0_14default_configENS1_27scan_by_key_config_selectorIssEEZZNS1_16scan_by_key_implILNS1_25lookback_scan_determinismE0ELb0ES3_N6thrust23THRUST_200600_302600_NS6detail15normal_iteratorINS9_10device_ptrIsEEEESE_SE_sNS9_10multipliesIsEENS9_8equal_toIsEEsEE10hipError_tPvRmT2_T3_T4_T5_mT6_T7_P12ihipStream_tbENKUlT_T0_E_clISt17integral_constantIbLb1EESY_IbLb0EEEEDaSU_SV_EUlSU_E_NS1_11comp_targetILNS1_3genE0ELNS1_11target_archE4294967295ELNS1_3gpuE0ELNS1_3repE0EEENS1_30default_config_static_selectorELNS0_4arch9wavefront6targetE1EEEvT1_
                                        ; -- End function
	.section	.AMDGPU.csdata,"",@progbits
; Kernel info:
; codeLenInByte = 0
; NumSgprs: 6
; NumVgprs: 0
; NumAgprs: 0
; TotalNumVgprs: 0
; ScratchSize: 0
; MemoryBound: 0
; FloatMode: 240
; IeeeMode: 1
; LDSByteSize: 0 bytes/workgroup (compile time only)
; SGPRBlocks: 0
; VGPRBlocks: 0
; NumSGPRsForWavesPerEU: 6
; NumVGPRsForWavesPerEU: 1
; AccumOffset: 4
; Occupancy: 8
; WaveLimiterHint : 0
; COMPUTE_PGM_RSRC2:SCRATCH_EN: 0
; COMPUTE_PGM_RSRC2:USER_SGPR: 2
; COMPUTE_PGM_RSRC2:TRAP_HANDLER: 0
; COMPUTE_PGM_RSRC2:TGID_X_EN: 1
; COMPUTE_PGM_RSRC2:TGID_Y_EN: 0
; COMPUTE_PGM_RSRC2:TGID_Z_EN: 0
; COMPUTE_PGM_RSRC2:TIDIG_COMP_CNT: 0
; COMPUTE_PGM_RSRC3_GFX90A:ACCUM_OFFSET: 0
; COMPUTE_PGM_RSRC3_GFX90A:TG_SPLIT: 0
	.section	.text._ZN7rocprim17ROCPRIM_400000_NS6detail17trampoline_kernelINS0_14default_configENS1_27scan_by_key_config_selectorIssEEZZNS1_16scan_by_key_implILNS1_25lookback_scan_determinismE0ELb0ES3_N6thrust23THRUST_200600_302600_NS6detail15normal_iteratorINS9_10device_ptrIsEEEESE_SE_sNS9_10multipliesIsEENS9_8equal_toIsEEsEE10hipError_tPvRmT2_T3_T4_T5_mT6_T7_P12ihipStream_tbENKUlT_T0_E_clISt17integral_constantIbLb1EESY_IbLb0EEEEDaSU_SV_EUlSU_E_NS1_11comp_targetILNS1_3genE10ELNS1_11target_archE1201ELNS1_3gpuE5ELNS1_3repE0EEENS1_30default_config_static_selectorELNS0_4arch9wavefront6targetE1EEEvT1_,"axG",@progbits,_ZN7rocprim17ROCPRIM_400000_NS6detail17trampoline_kernelINS0_14default_configENS1_27scan_by_key_config_selectorIssEEZZNS1_16scan_by_key_implILNS1_25lookback_scan_determinismE0ELb0ES3_N6thrust23THRUST_200600_302600_NS6detail15normal_iteratorINS9_10device_ptrIsEEEESE_SE_sNS9_10multipliesIsEENS9_8equal_toIsEEsEE10hipError_tPvRmT2_T3_T4_T5_mT6_T7_P12ihipStream_tbENKUlT_T0_E_clISt17integral_constantIbLb1EESY_IbLb0EEEEDaSU_SV_EUlSU_E_NS1_11comp_targetILNS1_3genE10ELNS1_11target_archE1201ELNS1_3gpuE5ELNS1_3repE0EEENS1_30default_config_static_selectorELNS0_4arch9wavefront6targetE1EEEvT1_,comdat
	.protected	_ZN7rocprim17ROCPRIM_400000_NS6detail17trampoline_kernelINS0_14default_configENS1_27scan_by_key_config_selectorIssEEZZNS1_16scan_by_key_implILNS1_25lookback_scan_determinismE0ELb0ES3_N6thrust23THRUST_200600_302600_NS6detail15normal_iteratorINS9_10device_ptrIsEEEESE_SE_sNS9_10multipliesIsEENS9_8equal_toIsEEsEE10hipError_tPvRmT2_T3_T4_T5_mT6_T7_P12ihipStream_tbENKUlT_T0_E_clISt17integral_constantIbLb1EESY_IbLb0EEEEDaSU_SV_EUlSU_E_NS1_11comp_targetILNS1_3genE10ELNS1_11target_archE1201ELNS1_3gpuE5ELNS1_3repE0EEENS1_30default_config_static_selectorELNS0_4arch9wavefront6targetE1EEEvT1_ ; -- Begin function _ZN7rocprim17ROCPRIM_400000_NS6detail17trampoline_kernelINS0_14default_configENS1_27scan_by_key_config_selectorIssEEZZNS1_16scan_by_key_implILNS1_25lookback_scan_determinismE0ELb0ES3_N6thrust23THRUST_200600_302600_NS6detail15normal_iteratorINS9_10device_ptrIsEEEESE_SE_sNS9_10multipliesIsEENS9_8equal_toIsEEsEE10hipError_tPvRmT2_T3_T4_T5_mT6_T7_P12ihipStream_tbENKUlT_T0_E_clISt17integral_constantIbLb1EESY_IbLb0EEEEDaSU_SV_EUlSU_E_NS1_11comp_targetILNS1_3genE10ELNS1_11target_archE1201ELNS1_3gpuE5ELNS1_3repE0EEENS1_30default_config_static_selectorELNS0_4arch9wavefront6targetE1EEEvT1_
	.globl	_ZN7rocprim17ROCPRIM_400000_NS6detail17trampoline_kernelINS0_14default_configENS1_27scan_by_key_config_selectorIssEEZZNS1_16scan_by_key_implILNS1_25lookback_scan_determinismE0ELb0ES3_N6thrust23THRUST_200600_302600_NS6detail15normal_iteratorINS9_10device_ptrIsEEEESE_SE_sNS9_10multipliesIsEENS9_8equal_toIsEEsEE10hipError_tPvRmT2_T3_T4_T5_mT6_T7_P12ihipStream_tbENKUlT_T0_E_clISt17integral_constantIbLb1EESY_IbLb0EEEEDaSU_SV_EUlSU_E_NS1_11comp_targetILNS1_3genE10ELNS1_11target_archE1201ELNS1_3gpuE5ELNS1_3repE0EEENS1_30default_config_static_selectorELNS0_4arch9wavefront6targetE1EEEvT1_
	.p2align	8
	.type	_ZN7rocprim17ROCPRIM_400000_NS6detail17trampoline_kernelINS0_14default_configENS1_27scan_by_key_config_selectorIssEEZZNS1_16scan_by_key_implILNS1_25lookback_scan_determinismE0ELb0ES3_N6thrust23THRUST_200600_302600_NS6detail15normal_iteratorINS9_10device_ptrIsEEEESE_SE_sNS9_10multipliesIsEENS9_8equal_toIsEEsEE10hipError_tPvRmT2_T3_T4_T5_mT6_T7_P12ihipStream_tbENKUlT_T0_E_clISt17integral_constantIbLb1EESY_IbLb0EEEEDaSU_SV_EUlSU_E_NS1_11comp_targetILNS1_3genE10ELNS1_11target_archE1201ELNS1_3gpuE5ELNS1_3repE0EEENS1_30default_config_static_selectorELNS0_4arch9wavefront6targetE1EEEvT1_,@function
_ZN7rocprim17ROCPRIM_400000_NS6detail17trampoline_kernelINS0_14default_configENS1_27scan_by_key_config_selectorIssEEZZNS1_16scan_by_key_implILNS1_25lookback_scan_determinismE0ELb0ES3_N6thrust23THRUST_200600_302600_NS6detail15normal_iteratorINS9_10device_ptrIsEEEESE_SE_sNS9_10multipliesIsEENS9_8equal_toIsEEsEE10hipError_tPvRmT2_T3_T4_T5_mT6_T7_P12ihipStream_tbENKUlT_T0_E_clISt17integral_constantIbLb1EESY_IbLb0EEEEDaSU_SV_EUlSU_E_NS1_11comp_targetILNS1_3genE10ELNS1_11target_archE1201ELNS1_3gpuE5ELNS1_3repE0EEENS1_30default_config_static_selectorELNS0_4arch9wavefront6targetE1EEEvT1_: ; @_ZN7rocprim17ROCPRIM_400000_NS6detail17trampoline_kernelINS0_14default_configENS1_27scan_by_key_config_selectorIssEEZZNS1_16scan_by_key_implILNS1_25lookback_scan_determinismE0ELb0ES3_N6thrust23THRUST_200600_302600_NS6detail15normal_iteratorINS9_10device_ptrIsEEEESE_SE_sNS9_10multipliesIsEENS9_8equal_toIsEEsEE10hipError_tPvRmT2_T3_T4_T5_mT6_T7_P12ihipStream_tbENKUlT_T0_E_clISt17integral_constantIbLb1EESY_IbLb0EEEEDaSU_SV_EUlSU_E_NS1_11comp_targetILNS1_3genE10ELNS1_11target_archE1201ELNS1_3gpuE5ELNS1_3repE0EEENS1_30default_config_static_selectorELNS0_4arch9wavefront6targetE1EEEvT1_
; %bb.0:
	.section	.rodata,"a",@progbits
	.p2align	6, 0x0
	.amdhsa_kernel _ZN7rocprim17ROCPRIM_400000_NS6detail17trampoline_kernelINS0_14default_configENS1_27scan_by_key_config_selectorIssEEZZNS1_16scan_by_key_implILNS1_25lookback_scan_determinismE0ELb0ES3_N6thrust23THRUST_200600_302600_NS6detail15normal_iteratorINS9_10device_ptrIsEEEESE_SE_sNS9_10multipliesIsEENS9_8equal_toIsEEsEE10hipError_tPvRmT2_T3_T4_T5_mT6_T7_P12ihipStream_tbENKUlT_T0_E_clISt17integral_constantIbLb1EESY_IbLb0EEEEDaSU_SV_EUlSU_E_NS1_11comp_targetILNS1_3genE10ELNS1_11target_archE1201ELNS1_3gpuE5ELNS1_3repE0EEENS1_30default_config_static_selectorELNS0_4arch9wavefront6targetE1EEEvT1_
		.amdhsa_group_segment_fixed_size 0
		.amdhsa_private_segment_fixed_size 0
		.amdhsa_kernarg_size 112
		.amdhsa_user_sgpr_count 2
		.amdhsa_user_sgpr_dispatch_ptr 0
		.amdhsa_user_sgpr_queue_ptr 0
		.amdhsa_user_sgpr_kernarg_segment_ptr 1
		.amdhsa_user_sgpr_dispatch_id 0
		.amdhsa_user_sgpr_kernarg_preload_length 0
		.amdhsa_user_sgpr_kernarg_preload_offset 0
		.amdhsa_user_sgpr_private_segment_size 0
		.amdhsa_uses_dynamic_stack 0
		.amdhsa_enable_private_segment 0
		.amdhsa_system_sgpr_workgroup_id_x 1
		.amdhsa_system_sgpr_workgroup_id_y 0
		.amdhsa_system_sgpr_workgroup_id_z 0
		.amdhsa_system_sgpr_workgroup_info 0
		.amdhsa_system_vgpr_workitem_id 0
		.amdhsa_next_free_vgpr 1
		.amdhsa_next_free_sgpr 0
		.amdhsa_accum_offset 4
		.amdhsa_reserve_vcc 0
		.amdhsa_float_round_mode_32 0
		.amdhsa_float_round_mode_16_64 0
		.amdhsa_float_denorm_mode_32 3
		.amdhsa_float_denorm_mode_16_64 3
		.amdhsa_dx10_clamp 1
		.amdhsa_ieee_mode 1
		.amdhsa_fp16_overflow 0
		.amdhsa_tg_split 0
		.amdhsa_exception_fp_ieee_invalid_op 0
		.amdhsa_exception_fp_denorm_src 0
		.amdhsa_exception_fp_ieee_div_zero 0
		.amdhsa_exception_fp_ieee_overflow 0
		.amdhsa_exception_fp_ieee_underflow 0
		.amdhsa_exception_fp_ieee_inexact 0
		.amdhsa_exception_int_div_zero 0
	.end_amdhsa_kernel
	.section	.text._ZN7rocprim17ROCPRIM_400000_NS6detail17trampoline_kernelINS0_14default_configENS1_27scan_by_key_config_selectorIssEEZZNS1_16scan_by_key_implILNS1_25lookback_scan_determinismE0ELb0ES3_N6thrust23THRUST_200600_302600_NS6detail15normal_iteratorINS9_10device_ptrIsEEEESE_SE_sNS9_10multipliesIsEENS9_8equal_toIsEEsEE10hipError_tPvRmT2_T3_T4_T5_mT6_T7_P12ihipStream_tbENKUlT_T0_E_clISt17integral_constantIbLb1EESY_IbLb0EEEEDaSU_SV_EUlSU_E_NS1_11comp_targetILNS1_3genE10ELNS1_11target_archE1201ELNS1_3gpuE5ELNS1_3repE0EEENS1_30default_config_static_selectorELNS0_4arch9wavefront6targetE1EEEvT1_,"axG",@progbits,_ZN7rocprim17ROCPRIM_400000_NS6detail17trampoline_kernelINS0_14default_configENS1_27scan_by_key_config_selectorIssEEZZNS1_16scan_by_key_implILNS1_25lookback_scan_determinismE0ELb0ES3_N6thrust23THRUST_200600_302600_NS6detail15normal_iteratorINS9_10device_ptrIsEEEESE_SE_sNS9_10multipliesIsEENS9_8equal_toIsEEsEE10hipError_tPvRmT2_T3_T4_T5_mT6_T7_P12ihipStream_tbENKUlT_T0_E_clISt17integral_constantIbLb1EESY_IbLb0EEEEDaSU_SV_EUlSU_E_NS1_11comp_targetILNS1_3genE10ELNS1_11target_archE1201ELNS1_3gpuE5ELNS1_3repE0EEENS1_30default_config_static_selectorELNS0_4arch9wavefront6targetE1EEEvT1_,comdat
.Lfunc_end300:
	.size	_ZN7rocprim17ROCPRIM_400000_NS6detail17trampoline_kernelINS0_14default_configENS1_27scan_by_key_config_selectorIssEEZZNS1_16scan_by_key_implILNS1_25lookback_scan_determinismE0ELb0ES3_N6thrust23THRUST_200600_302600_NS6detail15normal_iteratorINS9_10device_ptrIsEEEESE_SE_sNS9_10multipliesIsEENS9_8equal_toIsEEsEE10hipError_tPvRmT2_T3_T4_T5_mT6_T7_P12ihipStream_tbENKUlT_T0_E_clISt17integral_constantIbLb1EESY_IbLb0EEEEDaSU_SV_EUlSU_E_NS1_11comp_targetILNS1_3genE10ELNS1_11target_archE1201ELNS1_3gpuE5ELNS1_3repE0EEENS1_30default_config_static_selectorELNS0_4arch9wavefront6targetE1EEEvT1_, .Lfunc_end300-_ZN7rocprim17ROCPRIM_400000_NS6detail17trampoline_kernelINS0_14default_configENS1_27scan_by_key_config_selectorIssEEZZNS1_16scan_by_key_implILNS1_25lookback_scan_determinismE0ELb0ES3_N6thrust23THRUST_200600_302600_NS6detail15normal_iteratorINS9_10device_ptrIsEEEESE_SE_sNS9_10multipliesIsEENS9_8equal_toIsEEsEE10hipError_tPvRmT2_T3_T4_T5_mT6_T7_P12ihipStream_tbENKUlT_T0_E_clISt17integral_constantIbLb1EESY_IbLb0EEEEDaSU_SV_EUlSU_E_NS1_11comp_targetILNS1_3genE10ELNS1_11target_archE1201ELNS1_3gpuE5ELNS1_3repE0EEENS1_30default_config_static_selectorELNS0_4arch9wavefront6targetE1EEEvT1_
                                        ; -- End function
	.section	.AMDGPU.csdata,"",@progbits
; Kernel info:
; codeLenInByte = 0
; NumSgprs: 6
; NumVgprs: 0
; NumAgprs: 0
; TotalNumVgprs: 0
; ScratchSize: 0
; MemoryBound: 0
; FloatMode: 240
; IeeeMode: 1
; LDSByteSize: 0 bytes/workgroup (compile time only)
; SGPRBlocks: 0
; VGPRBlocks: 0
; NumSGPRsForWavesPerEU: 6
; NumVGPRsForWavesPerEU: 1
; AccumOffset: 4
; Occupancy: 8
; WaveLimiterHint : 0
; COMPUTE_PGM_RSRC2:SCRATCH_EN: 0
; COMPUTE_PGM_RSRC2:USER_SGPR: 2
; COMPUTE_PGM_RSRC2:TRAP_HANDLER: 0
; COMPUTE_PGM_RSRC2:TGID_X_EN: 1
; COMPUTE_PGM_RSRC2:TGID_Y_EN: 0
; COMPUTE_PGM_RSRC2:TGID_Z_EN: 0
; COMPUTE_PGM_RSRC2:TIDIG_COMP_CNT: 0
; COMPUTE_PGM_RSRC3_GFX90A:ACCUM_OFFSET: 0
; COMPUTE_PGM_RSRC3_GFX90A:TG_SPLIT: 0
	.section	.text._ZN7rocprim17ROCPRIM_400000_NS6detail17trampoline_kernelINS0_14default_configENS1_27scan_by_key_config_selectorIssEEZZNS1_16scan_by_key_implILNS1_25lookback_scan_determinismE0ELb0ES3_N6thrust23THRUST_200600_302600_NS6detail15normal_iteratorINS9_10device_ptrIsEEEESE_SE_sNS9_10multipliesIsEENS9_8equal_toIsEEsEE10hipError_tPvRmT2_T3_T4_T5_mT6_T7_P12ihipStream_tbENKUlT_T0_E_clISt17integral_constantIbLb1EESY_IbLb0EEEEDaSU_SV_EUlSU_E_NS1_11comp_targetILNS1_3genE5ELNS1_11target_archE942ELNS1_3gpuE9ELNS1_3repE0EEENS1_30default_config_static_selectorELNS0_4arch9wavefront6targetE1EEEvT1_,"axG",@progbits,_ZN7rocprim17ROCPRIM_400000_NS6detail17trampoline_kernelINS0_14default_configENS1_27scan_by_key_config_selectorIssEEZZNS1_16scan_by_key_implILNS1_25lookback_scan_determinismE0ELb0ES3_N6thrust23THRUST_200600_302600_NS6detail15normal_iteratorINS9_10device_ptrIsEEEESE_SE_sNS9_10multipliesIsEENS9_8equal_toIsEEsEE10hipError_tPvRmT2_T3_T4_T5_mT6_T7_P12ihipStream_tbENKUlT_T0_E_clISt17integral_constantIbLb1EESY_IbLb0EEEEDaSU_SV_EUlSU_E_NS1_11comp_targetILNS1_3genE5ELNS1_11target_archE942ELNS1_3gpuE9ELNS1_3repE0EEENS1_30default_config_static_selectorELNS0_4arch9wavefront6targetE1EEEvT1_,comdat
	.protected	_ZN7rocprim17ROCPRIM_400000_NS6detail17trampoline_kernelINS0_14default_configENS1_27scan_by_key_config_selectorIssEEZZNS1_16scan_by_key_implILNS1_25lookback_scan_determinismE0ELb0ES3_N6thrust23THRUST_200600_302600_NS6detail15normal_iteratorINS9_10device_ptrIsEEEESE_SE_sNS9_10multipliesIsEENS9_8equal_toIsEEsEE10hipError_tPvRmT2_T3_T4_T5_mT6_T7_P12ihipStream_tbENKUlT_T0_E_clISt17integral_constantIbLb1EESY_IbLb0EEEEDaSU_SV_EUlSU_E_NS1_11comp_targetILNS1_3genE5ELNS1_11target_archE942ELNS1_3gpuE9ELNS1_3repE0EEENS1_30default_config_static_selectorELNS0_4arch9wavefront6targetE1EEEvT1_ ; -- Begin function _ZN7rocprim17ROCPRIM_400000_NS6detail17trampoline_kernelINS0_14default_configENS1_27scan_by_key_config_selectorIssEEZZNS1_16scan_by_key_implILNS1_25lookback_scan_determinismE0ELb0ES3_N6thrust23THRUST_200600_302600_NS6detail15normal_iteratorINS9_10device_ptrIsEEEESE_SE_sNS9_10multipliesIsEENS9_8equal_toIsEEsEE10hipError_tPvRmT2_T3_T4_T5_mT6_T7_P12ihipStream_tbENKUlT_T0_E_clISt17integral_constantIbLb1EESY_IbLb0EEEEDaSU_SV_EUlSU_E_NS1_11comp_targetILNS1_3genE5ELNS1_11target_archE942ELNS1_3gpuE9ELNS1_3repE0EEENS1_30default_config_static_selectorELNS0_4arch9wavefront6targetE1EEEvT1_
	.globl	_ZN7rocprim17ROCPRIM_400000_NS6detail17trampoline_kernelINS0_14default_configENS1_27scan_by_key_config_selectorIssEEZZNS1_16scan_by_key_implILNS1_25lookback_scan_determinismE0ELb0ES3_N6thrust23THRUST_200600_302600_NS6detail15normal_iteratorINS9_10device_ptrIsEEEESE_SE_sNS9_10multipliesIsEENS9_8equal_toIsEEsEE10hipError_tPvRmT2_T3_T4_T5_mT6_T7_P12ihipStream_tbENKUlT_T0_E_clISt17integral_constantIbLb1EESY_IbLb0EEEEDaSU_SV_EUlSU_E_NS1_11comp_targetILNS1_3genE5ELNS1_11target_archE942ELNS1_3gpuE9ELNS1_3repE0EEENS1_30default_config_static_selectorELNS0_4arch9wavefront6targetE1EEEvT1_
	.p2align	8
	.type	_ZN7rocprim17ROCPRIM_400000_NS6detail17trampoline_kernelINS0_14default_configENS1_27scan_by_key_config_selectorIssEEZZNS1_16scan_by_key_implILNS1_25lookback_scan_determinismE0ELb0ES3_N6thrust23THRUST_200600_302600_NS6detail15normal_iteratorINS9_10device_ptrIsEEEESE_SE_sNS9_10multipliesIsEENS9_8equal_toIsEEsEE10hipError_tPvRmT2_T3_T4_T5_mT6_T7_P12ihipStream_tbENKUlT_T0_E_clISt17integral_constantIbLb1EESY_IbLb0EEEEDaSU_SV_EUlSU_E_NS1_11comp_targetILNS1_3genE5ELNS1_11target_archE942ELNS1_3gpuE9ELNS1_3repE0EEENS1_30default_config_static_selectorELNS0_4arch9wavefront6targetE1EEEvT1_,@function
_ZN7rocprim17ROCPRIM_400000_NS6detail17trampoline_kernelINS0_14default_configENS1_27scan_by_key_config_selectorIssEEZZNS1_16scan_by_key_implILNS1_25lookback_scan_determinismE0ELb0ES3_N6thrust23THRUST_200600_302600_NS6detail15normal_iteratorINS9_10device_ptrIsEEEESE_SE_sNS9_10multipliesIsEENS9_8equal_toIsEEsEE10hipError_tPvRmT2_T3_T4_T5_mT6_T7_P12ihipStream_tbENKUlT_T0_E_clISt17integral_constantIbLb1EESY_IbLb0EEEEDaSU_SV_EUlSU_E_NS1_11comp_targetILNS1_3genE5ELNS1_11target_archE942ELNS1_3gpuE9ELNS1_3repE0EEENS1_30default_config_static_selectorELNS0_4arch9wavefront6targetE1EEEvT1_: ; @_ZN7rocprim17ROCPRIM_400000_NS6detail17trampoline_kernelINS0_14default_configENS1_27scan_by_key_config_selectorIssEEZZNS1_16scan_by_key_implILNS1_25lookback_scan_determinismE0ELb0ES3_N6thrust23THRUST_200600_302600_NS6detail15normal_iteratorINS9_10device_ptrIsEEEESE_SE_sNS9_10multipliesIsEENS9_8equal_toIsEEsEE10hipError_tPvRmT2_T3_T4_T5_mT6_T7_P12ihipStream_tbENKUlT_T0_E_clISt17integral_constantIbLb1EESY_IbLb0EEEEDaSU_SV_EUlSU_E_NS1_11comp_targetILNS1_3genE5ELNS1_11target_archE942ELNS1_3gpuE9ELNS1_3repE0EEENS1_30default_config_static_selectorELNS0_4arch9wavefront6targetE1EEEvT1_
; %bb.0:
	s_load_dwordx8 s[52:59], s[0:1], 0x0
	s_load_dwordx4 s[68:71], s[0:1], 0x28
	s_load_dwordx2 s[74:75], s[0:1], 0x38
	s_load_dword s3, s[0:1], 0x40
	s_load_dwordx8 s[60:67], s[0:1], 0x48
	s_waitcnt lgkmcnt(0)
	s_lshl_b64 s[72:73], s[54:55], 1
	s_add_u32 s4, s52, s72
	s_addc_u32 s5, s53, s73
	s_add_u32 s6, s56, s72
	s_mul_i32 s0, s75, s3
	s_mul_hi_u32 s1, s74, s3
	s_addc_u32 s7, s57, s73
	s_add_i32 s8, s1, s0
	s_cmp_lg_u64 s[64:65], 0
	s_mul_i32 s0, s2, 0x1800
	s_mov_b32 s1, 0
	s_cselect_b64 s[76:77], -1, 0
	s_lshl_b64 s[64:65], s[0:1], 1
	s_add_u32 s56, s4, s64
	s_addc_u32 s57, s5, s65
	s_add_u32 s54, s6, s64
	s_mul_i32 s3, s74, s3
	s_addc_u32 s55, s7, s65
	s_add_u32 s78, s3, s2
	s_addc_u32 s79, s8, 0
	s_add_u32 s4, s60, -1
	s_addc_u32 s5, s61, -1
	v_mov_b64_e32 v[2:3], s[4:5]
	v_cmp_ge_u64_e64 s[0:1], s[78:79], v[2:3]
	s_mov_b64 s[12:13], 0
	s_mov_b64 s[6:7], -1
	s_and_b64 vcc, exec, s[0:1]
	s_mul_i32 s33, s4, 0xffffe800
	s_barrier
	s_cbranch_vccz .LBB301_127
; %bb.1:
	v_mov_b64_e32 v[2:3], s[56:57]
	flat_load_ushort v3, v[2:3]
	s_add_i32 s3, s33, s70
	v_cmp_gt_u32_e64 s[52:53], s3, v0
	s_waitcnt vmcnt(0) lgkmcnt(0)
	v_mov_b32_e32 v19, v3
	s_and_saveexec_b64 s[4:5], s[52:53]
	s_cbranch_execz .LBB301_3
; %bb.2:
	v_lshlrev_b32_e32 v4, 1, v0
	v_mov_b32_e32 v5, 0
	v_lshl_add_u64 v[4:5], s[56:57], 0, v[4:5]
	flat_load_ushort v19, v[4:5]
.LBB301_3:
	s_or_b64 exec, exec, s[4:5]
	v_or_b32_e32 v1, 0x100, v0
	v_cmp_gt_u32_e64 s[4:5], s3, v1
	v_mov_b32_e32 v20, v3
	s_and_saveexec_b64 s[6:7], s[4:5]
	s_cbranch_execz .LBB301_5
; %bb.4:
	v_lshlrev_b32_e32 v4, 1, v0
	v_mov_b32_e32 v5, 0
	v_lshl_add_u64 v[4:5], s[56:57], 0, v[4:5]
	flat_load_ushort v20, v[4:5] offset:512
.LBB301_5:
	s_or_b64 exec, exec, s[6:7]
	v_or_b32_e32 v1, 0x200, v0
	v_cmp_gt_u32_e64 s[6:7], s3, v1
	v_mov_b32_e32 v21, v3
	s_and_saveexec_b64 s[8:9], s[6:7]
	s_cbranch_execz .LBB301_7
; %bb.6:
	v_lshlrev_b32_e32 v4, 1, v0
	v_mov_b32_e32 v5, 0
	v_lshl_add_u64 v[4:5], s[56:57], 0, v[4:5]
	flat_load_ushort v21, v[4:5] offset:1024
.LBB301_7:
	;; [unrolled: 12-line block ×7, first 2 shown]
	s_or_b64 exec, exec, s[18:19]
	v_or_b32_e32 v1, 0x800, v0
	v_cmp_gt_u32_e64 s[18:19], s3, v1
	v_mov_b32_e32 v27, v3
	s_and_saveexec_b64 s[20:21], s[18:19]
	s_cbranch_execz .LBB301_19
; %bb.18:
	v_lshlrev_b32_e32 v4, 1, v1
	v_mov_b32_e32 v5, 0
	v_lshl_add_u64 v[4:5], s[56:57], 0, v[4:5]
	flat_load_ushort v27, v[4:5]
.LBB301_19:
	s_or_b64 exec, exec, s[20:21]
	v_or_b32_e32 v4, 0x900, v0
	v_cmp_gt_u32_e64 s[20:21], s3, v4
	v_mov_b32_e32 v28, v3
	s_and_saveexec_b64 s[22:23], s[20:21]
	s_cbranch_execz .LBB301_21
; %bb.20:
	v_lshlrev_b32_e32 v6, 1, v4
	v_mov_b32_e32 v7, 0
	v_lshl_add_u64 v[6:7], s[56:57], 0, v[6:7]
	flat_load_ushort v28, v[6:7]
.LBB301_21:
	;; [unrolled: 12-line block ×15, first 2 shown]
	s_or_b64 exec, exec, s[50:51]
	v_or_b32_e32 v18, 0x1700, v0
	v_cmp_gt_u32_e64 s[50:51], s3, v18
	s_and_saveexec_b64 s[60:61], s[50:51]
	s_cbranch_execz .LBB301_49
; %bb.48:
	v_lshlrev_b32_e32 v2, 1, v18
	v_mov_b32_e32 v3, 0
	v_lshl_add_u64 v[2:3], s[56:57], 0, v[2:3]
	flat_load_ushort v3, v[2:3]
.LBB301_49:
	s_or_b64 exec, exec, s[60:61]
	v_lshlrev_b32_e32 v2, 1, v0
	s_waitcnt vmcnt(0) lgkmcnt(0)
	ds_write_b16 v2, v19
	ds_write_b16 v2, v20 offset:512
	ds_write_b16 v2, v21 offset:1024
	;; [unrolled: 1-line block ×23, first 2 shown]
	v_mad_u32_u24 v40, v0, 46, v2
	s_waitcnt lgkmcnt(0)
	s_barrier
	ds_read_b128 v[30:33], v40
	ds_read_b128 v[26:29], v40 offset:16
	ds_read_b128 v[22:25], v40 offset:32
	s_cmp_eq_u64 s[78:79], 0
	s_mov_b64 s[60:61], s[56:57]
	s_cbranch_scc1 .LBB301_53
; %bb.50:
	s_andn2_b64 vcc, exec, s[76:77]
	s_cbranch_vccnz .LBB301_321
; %bb.51:
	s_lshl_b64 s[60:61], s[78:79], 1
	s_add_u32 s60, s66, s60
	s_addc_u32 s61, s67, s61
	s_add_u32 s60, s60, -2
	s_addc_u32 s61, s61, -1
	s_cbranch_execnz .LBB301_53
.LBB301_52:
	s_add_u32 s60, s56, -2
	s_addc_u32 s61, s57, -1
.LBB301_53:
	v_mov_b64_e32 v[20:21], s[60:61]
	flat_load_ushort v34, v[20:21]
	s_movk_i32 s60, 0xffd2
	s_waitcnt lgkmcnt(0)
	v_lshrrev_b32_e32 v41, 16, v25
	v_mad_i32_i24 v3, v0, s60, v40
	v_cmp_ne_u32_e32 vcc, 0, v0
	ds_write_b16 v3, v41 offset:12288
	s_waitcnt lgkmcnt(0)
	s_barrier
	s_and_saveexec_b64 s[60:61], vcc
	s_cbranch_execz .LBB301_55
; %bb.54:
	v_mul_i32_i24_e32 v3, 0xffffffd2, v0
	v_add_u32_e32 v3, v40, v3
	s_waitcnt vmcnt(0)
	ds_read_u16 v34, v3 offset:12286
.LBB301_55:
	s_or_b64 exec, exec, s[60:61]
	v_mov_b32_e32 v3, 0
	s_waitcnt lgkmcnt(0)
	s_barrier
	s_waitcnt lgkmcnt(0)
                                        ; implicit-def: $vgpr19
	s_and_saveexec_b64 s[60:61], s[52:53]
	s_cbranch_execnz .LBB301_298
; %bb.56:
	s_or_b64 exec, exec, s[60:61]
                                        ; implicit-def: $vgpr20
	s_and_saveexec_b64 s[52:53], s[4:5]
	s_cbranch_execnz .LBB301_299
.LBB301_57:
	s_or_b64 exec, exec, s[52:53]
                                        ; implicit-def: $vgpr21
	s_and_saveexec_b64 s[4:5], s[6:7]
	s_cbranch_execnz .LBB301_300
.LBB301_58:
	s_or_b64 exec, exec, s[4:5]
                                        ; implicit-def: $vgpr35
	s_and_saveexec_b64 s[4:5], s[8:9]
	s_cbranch_execnz .LBB301_301
.LBB301_59:
	s_or_b64 exec, exec, s[4:5]
                                        ; implicit-def: $vgpr36
	s_and_saveexec_b64 s[4:5], s[10:11]
	s_cbranch_execnz .LBB301_302
.LBB301_60:
	s_or_b64 exec, exec, s[4:5]
                                        ; implicit-def: $vgpr37
	s_and_saveexec_b64 s[4:5], s[12:13]
	s_cbranch_execnz .LBB301_303
.LBB301_61:
	s_or_b64 exec, exec, s[4:5]
                                        ; implicit-def: $vgpr38
	s_and_saveexec_b64 s[4:5], s[14:15]
	s_cbranch_execnz .LBB301_304
.LBB301_62:
	s_or_b64 exec, exec, s[4:5]
                                        ; implicit-def: $vgpr3
	s_and_saveexec_b64 s[4:5], s[16:17]
	s_cbranch_execnz .LBB301_305
.LBB301_63:
	s_or_b64 exec, exec, s[4:5]
                                        ; implicit-def: $vgpr39
	s_and_saveexec_b64 s[4:5], s[18:19]
	s_cbranch_execnz .LBB301_306
.LBB301_64:
	s_or_b64 exec, exec, s[4:5]
                                        ; implicit-def: $vgpr1
	s_and_saveexec_b64 s[4:5], s[20:21]
	s_cbranch_execnz .LBB301_307
.LBB301_65:
	s_or_b64 exec, exec, s[4:5]
                                        ; implicit-def: $vgpr4
	s_and_saveexec_b64 s[4:5], s[22:23]
	s_cbranch_execnz .LBB301_308
.LBB301_66:
	s_or_b64 exec, exec, s[4:5]
                                        ; implicit-def: $vgpr5
	s_and_saveexec_b64 s[4:5], s[24:25]
	s_cbranch_execnz .LBB301_309
.LBB301_67:
	s_or_b64 exec, exec, s[4:5]
                                        ; implicit-def: $vgpr6
	s_and_saveexec_b64 s[4:5], s[26:27]
	s_cbranch_execnz .LBB301_310
.LBB301_68:
	s_or_b64 exec, exec, s[4:5]
                                        ; implicit-def: $vgpr7
	s_and_saveexec_b64 s[4:5], s[28:29]
	s_cbranch_execnz .LBB301_311
.LBB301_69:
	s_or_b64 exec, exec, s[4:5]
                                        ; implicit-def: $vgpr8
	s_and_saveexec_b64 s[4:5], s[30:31]
	s_cbranch_execnz .LBB301_312
.LBB301_70:
	s_or_b64 exec, exec, s[4:5]
                                        ; implicit-def: $vgpr9
	s_and_saveexec_b64 s[4:5], s[34:35]
	s_cbranch_execnz .LBB301_313
.LBB301_71:
	s_or_b64 exec, exec, s[4:5]
                                        ; implicit-def: $vgpr10
	s_and_saveexec_b64 s[4:5], s[36:37]
	s_cbranch_execnz .LBB301_314
.LBB301_72:
	s_or_b64 exec, exec, s[4:5]
                                        ; implicit-def: $vgpr11
	s_and_saveexec_b64 s[4:5], s[38:39]
	s_cbranch_execnz .LBB301_315
.LBB301_73:
	s_or_b64 exec, exec, s[4:5]
                                        ; implicit-def: $vgpr12
	s_and_saveexec_b64 s[4:5], s[40:41]
	s_cbranch_execnz .LBB301_316
.LBB301_74:
	s_or_b64 exec, exec, s[4:5]
                                        ; implicit-def: $vgpr13
	s_and_saveexec_b64 s[4:5], s[42:43]
	s_cbranch_execnz .LBB301_317
.LBB301_75:
	s_or_b64 exec, exec, s[4:5]
                                        ; implicit-def: $vgpr14
	s_and_saveexec_b64 s[4:5], s[44:45]
	s_cbranch_execnz .LBB301_318
.LBB301_76:
	s_or_b64 exec, exec, s[4:5]
                                        ; implicit-def: $vgpr15
	s_and_saveexec_b64 s[4:5], s[46:47]
	s_cbranch_execnz .LBB301_319
.LBB301_77:
	s_or_b64 exec, exec, s[4:5]
                                        ; implicit-def: $vgpr16
	s_and_saveexec_b64 s[4:5], s[48:49]
	s_cbranch_execnz .LBB301_320
.LBB301_78:
	s_or_b64 exec, exec, s[4:5]
                                        ; implicit-def: $vgpr17
	s_and_saveexec_b64 s[4:5], s[50:51]
	s_cbranch_execz .LBB301_80
.LBB301_79:
	v_lshlrev_b32_e32 v42, 1, v18
	v_mov_b32_e32 v43, 0
	v_lshl_add_u64 v[42:43], s[54:55], 0, v[42:43]
	flat_load_ushort v17, v[42:43]
.LBB301_80:
	s_or_b64 exec, exec, s[4:5]
	s_mov_b32 s8, 0
	s_mov_b32 s9, s8
	s_waitcnt vmcnt(0) lgkmcnt(0)
	ds_write_b16 v2, v19
	ds_write_b16 v2, v20 offset:512
	ds_write_b16 v2, v21 offset:1024
	;; [unrolled: 1-line block ×23, first 2 shown]
	s_mov_b32 s10, s8
	s_mov_b32 s11, s8
	;; [unrolled: 1-line block ×6, first 2 shown]
	v_mov_b64_e32 v[2:3], s[8:9]
	s_mov_b32 s18, s8
	s_mov_b32 s19, s8
	v_mov_b64_e32 v[8:9], s[14:15]
	v_mul_u32_u24_e32 v43, 24, v0
	s_mov_b32 s16, s8
	s_mov_b32 s17, s8
	v_mov_b64_e32 v[20:21], s[18:19]
	v_mov_b64_e32 v[4:5], s[10:11]
	;; [unrolled: 1-line block ×4, first 2 shown]
	v_cmp_gt_u32_e32 vcc, s3, v43
	s_mov_b64 s[6:7], 0
	v_mov_b64_e32 v[18:19], s[16:17]
	v_mov_b32_e32 v1, 0
	s_mov_b64 s[12:13], 0
	v_mov_b64_e32 v[14:15], v[6:7]
	v_mov_b64_e32 v[12:13], v[4:5]
	;; [unrolled: 1-line block ×3, first 2 shown]
	v_mov_b32_e32 v38, 0
	v_mov_b32_e32 v39, 0
	s_waitcnt lgkmcnt(0)
	s_barrier
	s_waitcnt lgkmcnt(0)
                                        ; implicit-def: $sgpr4_sgpr5
                                        ; implicit-def: $vgpr42
	s_and_saveexec_b64 s[10:11], vcc
	s_cbranch_execz .LBB301_126
; %bb.81:
	ds_read_u16 v1, v40
	v_cmp_ne_u16_e32 vcc, v34, v30
	s_mov_b32 s12, 0
	v_or_b32_e32 v2, 1, v43
	v_cndmask_b32_e64 v3, 0, 1, vcc
	s_mov_b32 s13, s12
	v_cmp_gt_u32_e32 vcc, s3, v2
	s_waitcnt lgkmcnt(0)
	v_lshl_or_b32 v1, v3, 16, v1
	s_mov_b32 s14, s12
	s_mov_b32 s15, s12
	s_mov_b32 s16, s12
	s_mov_b32 s17, s12
	s_mov_b32 s18, s12
	s_mov_b32 s19, s12
	v_mov_b64_e32 v[2:3], s[12:13]
	s_mov_b32 s24, s12
	s_mov_b32 s25, s12
	v_mov_b64_e32 v[8:9], s[18:19]
	s_mov_b32 s26, s12
	s_mov_b32 s27, s12
	v_mov_b64_e32 v[18:19], s[24:25]
	v_mov_b64_e32 v[4:5], s[14:15]
	;; [unrolled: 1-line block ×4, first 2 shown]
	s_mov_b64 s[22:23], 0
	v_mov_b64_e32 v[20:21], s[26:27]
	v_mov_b32_e32 v38, 0
	v_mov_b64_e32 v[14:15], v[6:7]
	v_mov_b64_e32 v[12:13], v[4:5]
	;; [unrolled: 1-line block ×3, first 2 shown]
	v_mov_b32_e32 v39, 0
                                        ; implicit-def: $sgpr24_sgpr25
                                        ; implicit-def: $vgpr42
	s_and_saveexec_b64 s[20:21], vcc
	s_cbranch_execz .LBB301_125
; %bb.82:
	ds_read_b128 v[34:37], v40 offset:2
	v_or_b32_e32 v2, 2, v43
	v_cmp_ne_u16_sdwa s[4:5], v30, v30 src0_sel:DWORD src1_sel:WORD_1
	v_cmp_gt_u32_e32 vcc, s3, v2
	v_mov_b32_e32 v19, 0
	v_cndmask_b32_e64 v3, 0, 1, s[4:5]
	s_waitcnt lgkmcnt(0)
	v_and_b32_e32 v2, 0xffff, v34
	v_lshl_or_b32 v18, v3, 16, v2
	v_mov_b64_e32 v[2:3], s[12:13]
	v_mov_b64_e32 v[8:9], s[18:19]
	;; [unrolled: 1-line block ×5, first 2 shown]
	v_mov_b32_e32 v20, v19
	v_mov_b32_e32 v21, v19
	s_mov_b64 s[4:5], 0
	v_mov_b64_e32 v[14:15], v[6:7]
	v_mov_b64_e32 v[12:13], v[4:5]
	;; [unrolled: 1-line block ×3, first 2 shown]
	v_mov_b32_e32 v38, v19
	v_mov_b32_e32 v39, v19
                                        ; implicit-def: $sgpr12_sgpr13
                                        ; implicit-def: $vgpr42
	s_and_saveexec_b64 s[22:23], vcc
	s_cbranch_execz .LBB301_124
; %bb.83:
	v_cmp_ne_u16_sdwa s[4:5], v30, v31 src0_sel:WORD_1 src1_sel:DWORD
	s_mov_b32 s12, 0
	v_or_b32_e32 v2, 3, v43
	v_cndmask_b32_e64 v3, 0, 1, s[4:5]
	s_mov_b32 s13, s12
	v_alignbit_b32 v19, v3, v34, 16
	v_cmp_gt_u32_e32 vcc, s3, v2
	s_mov_b32 s14, s12
	s_mov_b32 s15, s12
	s_mov_b32 s16, s12
	s_mov_b32 s17, s12
	s_mov_b32 s18, s12
	s_mov_b32 s19, s12
	v_mov_b64_e32 v[2:3], s[12:13]
	v_mov_b64_e32 v[8:9], s[18:19]
	v_mov_b32_e32 v20, 0
	v_mov_b64_e32 v[4:5], s[14:15]
	v_mov_b64_e32 v[6:7], s[16:17]
	;; [unrolled: 1-line block ×3, first 2 shown]
	v_mov_b32_e32 v21, v20
	s_mov_b64 s[4:5], 0
	v_mov_b64_e32 v[14:15], v[6:7]
	v_mov_b64_e32 v[12:13], v[4:5]
	;; [unrolled: 1-line block ×3, first 2 shown]
	v_mov_b32_e32 v38, v20
	v_mov_b32_e32 v39, v20
                                        ; implicit-def: $sgpr26_sgpr27
                                        ; implicit-def: $vgpr42
	s_and_saveexec_b64 s[24:25], vcc
	s_cbranch_execz .LBB301_123
; %bb.84:
	v_cmp_ne_u16_sdwa s[4:5], v31, v31 src0_sel:DWORD src1_sel:WORD_1
	v_and_b32_e32 v2, 0xffff, v35
	v_or_b32_e32 v3, 4, v43
	v_cndmask_b32_e64 v4, 0, 1, s[4:5]
	v_lshl_or_b32 v20, v4, 16, v2
	v_cmp_gt_u32_e32 vcc, s3, v3
	v_mov_b64_e32 v[2:3], s[12:13]
	v_mov_b64_e32 v[8:9], s[18:19]
	;; [unrolled: 1-line block ×5, first 2 shown]
	v_mov_b32_e32 v21, s12
	s_mov_b64 s[4:5], 0
	v_mov_b32_e32 v38, 0
	v_mov_b64_e32 v[14:15], v[6:7]
	v_mov_b64_e32 v[12:13], v[4:5]
	;; [unrolled: 1-line block ×3, first 2 shown]
	v_mov_b32_e32 v39, 0
                                        ; implicit-def: $sgpr12_sgpr13
                                        ; implicit-def: $vgpr42
	s_and_saveexec_b64 s[26:27], vcc
	s_cbranch_execz .LBB301_122
; %bb.85:
	v_cmp_ne_u16_sdwa s[4:5], v31, v32 src0_sel:WORD_1 src1_sel:DWORD
	s_mov_b32 s12, 0
	v_or_b32_e32 v2, 5, v43
	v_cndmask_b32_e64 v3, 0, 1, s[4:5]
	s_mov_b32 s13, s12
	v_alignbit_b32 v21, v3, v35, 16
	v_cmp_gt_u32_e32 vcc, s3, v2
	s_mov_b32 s14, s12
	s_mov_b32 s15, s12
	;; [unrolled: 1-line block ×6, first 2 shown]
	v_mov_b64_e32 v[2:3], s[12:13]
	v_mov_b64_e32 v[8:9], s[18:19]
	;; [unrolled: 1-line block ×5, first 2 shown]
	s_mov_b64 s[4:5], 0
	v_mov_b32_e32 v38, 0
	v_mov_b64_e32 v[14:15], v[6:7]
	v_mov_b64_e32 v[12:13], v[4:5]
	;; [unrolled: 1-line block ×3, first 2 shown]
	v_mov_b32_e32 v39, 0
                                        ; implicit-def: $sgpr30_sgpr31
                                        ; implicit-def: $vgpr42
	s_and_saveexec_b64 s[28:29], vcc
	s_cbranch_execz .LBB301_121
; %bb.86:
	v_cmp_ne_u16_sdwa s[4:5], v32, v32 src0_sel:DWORD src1_sel:WORD_1
	v_and_b32_e32 v2, 0xffff, v36
	v_or_b32_e32 v3, 6, v43
	v_cndmask_b32_e64 v4, 0, 1, s[4:5]
	v_lshl_or_b32 v38, v4, 16, v2
	v_cmp_gt_u32_e32 vcc, s3, v3
	v_mov_b64_e32 v[2:3], s[12:13]
	v_mov_b64_e32 v[8:9], s[18:19]
	v_mov_b64_e32 v[4:5], s[14:15]
	v_mov_b64_e32 v[6:7], s[16:17]
	v_mov_b64_e32 v[16:17], v[8:9]
	s_mov_b64 s[4:5], 0
	v_mov_b32_e32 v39, 0
	v_mov_b64_e32 v[14:15], v[6:7]
	v_mov_b64_e32 v[12:13], v[4:5]
	;; [unrolled: 1-line block ×3, first 2 shown]
                                        ; implicit-def: $sgpr12_sgpr13
                                        ; implicit-def: $vgpr42
	s_and_saveexec_b64 s[30:31], vcc
	s_cbranch_execz .LBB301_120
; %bb.87:
	s_mov_b32 s12, 0
	v_or_b32_e32 v3, 7, v43
	v_cmp_ne_u16_sdwa s[4:5], v32, v33 src0_sel:WORD_1 src1_sel:DWORD
	s_mov_b32 s13, s12
	v_cmp_gt_u32_e32 vcc, s3, v3
	v_cndmask_b32_e64 v2, 0, 1, s[4:5]
	v_mov_b32_e32 v3, 0
	s_mov_b32 s14, s12
	s_mov_b32 s15, s12
	;; [unrolled: 1-line block ×6, first 2 shown]
	v_mov_b64_e32 v[10:11], s[12:13]
	v_alignbit_b32 v2, v2, v36, 16
	v_mov_b32_e32 v4, v3
	v_mov_b32_e32 v5, v3
	;; [unrolled: 1-line block ×6, first 2 shown]
	s_mov_b64 s[4:5], 0
	v_mov_b64_e32 v[12:13], s[14:15]
	v_mov_b64_e32 v[14:15], s[16:17]
	;; [unrolled: 1-line block ×3, first 2 shown]
	v_mov_b32_e32 v39, v3
                                        ; implicit-def: $sgpr36_sgpr37
                                        ; implicit-def: $vgpr42
	s_and_saveexec_b64 s[34:35], vcc
	s_cbranch_execz .LBB301_119
; %bb.88:
	v_add_u32_e32 v4, 8, v43
	v_cmp_ne_u16_sdwa s[4:5], v33, v33 src0_sel:DWORD src1_sel:WORD_1
	v_and_b32_e32 v3, 0xffff, v37
	v_cmp_gt_u32_e32 vcc, s3, v4
	v_cndmask_b32_e64 v5, 0, 1, s[4:5]
	v_mov_b32_e32 v4, 0
	v_mov_b64_e32 v[10:11], s[12:13]
	v_lshl_or_b32 v3, v5, 16, v3
	v_mov_b32_e32 v5, v4
	v_mov_b32_e32 v6, v4
	;; [unrolled: 1-line block ×5, first 2 shown]
	s_mov_b64 s[4:5], 0
	v_mov_b64_e32 v[12:13], s[14:15]
	v_mov_b64_e32 v[14:15], s[16:17]
	;; [unrolled: 1-line block ×3, first 2 shown]
	v_mov_b32_e32 v39, v4
                                        ; implicit-def: $sgpr12_sgpr13
                                        ; implicit-def: $vgpr42
	s_and_saveexec_b64 s[36:37], vcc
	s_cbranch_execz .LBB301_118
; %bb.89:
	s_mov_b32 s12, 0
	v_add_u32_e32 v5, 9, v43
	v_cmp_ne_u16_sdwa s[4:5], v33, v26 src0_sel:WORD_1 src1_sel:DWORD
	s_mov_b32 s13, s12
	v_cmp_gt_u32_e32 vcc, s3, v5
	v_cndmask_b32_e64 v4, 0, 1, s[4:5]
	v_mov_b32_e32 v5, 0
	s_mov_b32 s14, s12
	s_mov_b32 s15, s12
	;; [unrolled: 1-line block ×6, first 2 shown]
	v_mov_b64_e32 v[10:11], s[12:13]
	v_alignbit_b32 v4, v4, v37, 16
	v_mov_b32_e32 v6, v5
	v_mov_b32_e32 v7, v5
	;; [unrolled: 1-line block ×4, first 2 shown]
	s_mov_b64 s[4:5], 0
	v_mov_b64_e32 v[12:13], s[14:15]
	v_mov_b64_e32 v[14:15], s[16:17]
	;; [unrolled: 1-line block ×3, first 2 shown]
	v_mov_b32_e32 v39, v5
                                        ; implicit-def: $sgpr40_sgpr41
                                        ; implicit-def: $vgpr42
	s_and_saveexec_b64 s[38:39], vcc
	s_cbranch_execz .LBB301_117
; %bb.90:
	ds_read_b128 v[30:33], v40 offset:18
	v_add_u32_e32 v5, 10, v43
	v_cmp_ne_u16_sdwa s[4:5], v26, v26 src0_sel:DWORD src1_sel:WORD_1
	v_cmp_gt_u32_e32 vcc, s3, v5
	v_mov_b64_e32 v[10:11], s[12:13]
	v_cndmask_b32_e64 v6, 0, 1, s[4:5]
	s_waitcnt lgkmcnt(0)
	v_and_b32_e32 v5, 0xffff, v30
	v_lshl_or_b32 v5, v6, 16, v5
	v_mov_b32_e32 v6, 0
	v_mov_b32_e32 v7, v6
	;; [unrolled: 1-line block ×4, first 2 shown]
	s_mov_b64 s[4:5], 0
	v_mov_b64_e32 v[12:13], s[14:15]
	v_mov_b64_e32 v[14:15], s[16:17]
	;; [unrolled: 1-line block ×3, first 2 shown]
	v_mov_b32_e32 v39, v6
                                        ; implicit-def: $sgpr12_sgpr13
                                        ; implicit-def: $vgpr42
	s_and_saveexec_b64 s[40:41], vcc
	s_cbranch_execz .LBB301_116
; %bb.91:
	s_mov_b32 s12, 0
	v_add_u32_e32 v7, 11, v43
	v_cmp_ne_u16_sdwa s[4:5], v26, v27 src0_sel:WORD_1 src1_sel:DWORD
	s_mov_b32 s13, s12
	v_cmp_gt_u32_e32 vcc, s3, v7
	v_cndmask_b32_e64 v6, 0, 1, s[4:5]
	v_mov_b32_e32 v7, 0
	s_mov_b32 s14, s12
	s_mov_b32 s15, s12
	;; [unrolled: 1-line block ×6, first 2 shown]
	v_mov_b64_e32 v[10:11], s[12:13]
	v_alignbit_b32 v6, v6, v30, 16
	v_mov_b32_e32 v8, v7
	v_mov_b32_e32 v9, v7
	s_mov_b64 s[4:5], 0
	v_mov_b64_e32 v[12:13], s[14:15]
	v_mov_b64_e32 v[14:15], s[16:17]
	;; [unrolled: 1-line block ×3, first 2 shown]
	v_mov_b32_e32 v39, v7
                                        ; implicit-def: $sgpr44_sgpr45
                                        ; implicit-def: $vgpr42
	s_and_saveexec_b64 s[42:43], vcc
	s_cbranch_execz .LBB301_115
; %bb.92:
	v_add_u32_e32 v8, 12, v43
	v_cmp_ne_u16_sdwa s[4:5], v27, v27 src0_sel:DWORD src1_sel:WORD_1
	v_and_b32_e32 v7, 0xffff, v31
	v_cmp_gt_u32_e32 vcc, s3, v8
	v_cndmask_b32_e64 v9, 0, 1, s[4:5]
	v_mov_b32_e32 v8, 0
	v_mov_b64_e32 v[10:11], s[12:13]
	v_lshl_or_b32 v7, v9, 16, v7
	v_mov_b32_e32 v9, v8
	s_mov_b64 s[4:5], 0
	v_mov_b64_e32 v[12:13], s[14:15]
	v_mov_b64_e32 v[14:15], s[16:17]
	;; [unrolled: 1-line block ×3, first 2 shown]
	v_mov_b32_e32 v39, v8
                                        ; implicit-def: $sgpr12_sgpr13
                                        ; implicit-def: $vgpr42
	s_and_saveexec_b64 s[44:45], vcc
	s_cbranch_execz .LBB301_114
; %bb.93:
	s_mov_b32 s12, 0
	v_cmp_ne_u16_sdwa s[4:5], v27, v28 src0_sel:WORD_1 src1_sel:DWORD
	s_mov_b32 s13, s12
	v_add_u32_e32 v9, 13, v43
	v_cndmask_b32_e64 v8, 0, 1, s[4:5]
	s_mov_b32 s14, s12
	s_mov_b32 s15, s12
	;; [unrolled: 1-line block ×6, first 2 shown]
	v_mov_b64_e32 v[10:11], s[12:13]
	v_alignbit_b32 v8, v8, v31, 16
	v_cmp_gt_u32_e32 vcc, s3, v9
	v_mov_b32_e32 v9, s12
	s_mov_b64 s[4:5], 0
	v_mov_b64_e32 v[12:13], s[14:15]
	v_mov_b64_e32 v[14:15], s[16:17]
	;; [unrolled: 1-line block ×3, first 2 shown]
	v_mov_b32_e32 v39, 0
                                        ; implicit-def: $sgpr48_sgpr49
                                        ; implicit-def: $vgpr42
	s_and_saveexec_b64 s[46:47], vcc
	s_cbranch_execz .LBB301_113
; %bb.94:
	v_cmp_ne_u16_sdwa s[4:5], v28, v28 src0_sel:DWORD src1_sel:WORD_1
	v_and_b32_e32 v9, 0xffff, v32
	v_add_u32_e32 v10, 14, v43
	v_cndmask_b32_e64 v11, 0, 1, s[4:5]
	v_lshl_or_b32 v9, v11, 16, v9
	v_cmp_gt_u32_e32 vcc, s3, v10
	v_mov_b64_e32 v[10:11], s[12:13]
	s_mov_b64 s[4:5], 0
	v_mov_b64_e32 v[12:13], s[14:15]
	v_mov_b64_e32 v[14:15], s[16:17]
	;; [unrolled: 1-line block ×3, first 2 shown]
	v_mov_b32_e32 v39, 0
                                        ; implicit-def: $sgpr14_sgpr15
                                        ; implicit-def: $vgpr42
	s_and_saveexec_b64 s[12:13], vcc
	s_cbranch_execz .LBB301_112
; %bb.95:
	v_cmp_ne_u16_sdwa s[4:5], v28, v29 src0_sel:WORD_1 src1_sel:DWORD
	s_mov_b32 s80, 0
	v_add_u32_e32 v10, 15, v43
	v_cndmask_b32_e64 v11, 0, 1, s[4:5]
	s_mov_b32 s81, s80
	v_alignbit_b32 v39, v11, v32, 16
	v_cmp_gt_u32_e32 vcc, s3, v10
	s_mov_b32 s82, s80
	s_mov_b32 s83, s80
	;; [unrolled: 1-line block ×6, first 2 shown]
	v_mov_b64_e32 v[10:11], s[80:81]
	s_mov_b64 s[4:5], 0
	v_mov_b64_e32 v[12:13], s[82:83]
	v_mov_b64_e32 v[14:15], s[84:85]
	;; [unrolled: 1-line block ×3, first 2 shown]
                                        ; implicit-def: $sgpr16_sgpr17
                                        ; implicit-def: $vgpr42
	s_and_saveexec_b64 s[14:15], vcc
	s_cbranch_execz .LBB301_111
; %bb.96:
	v_cmp_ne_u16_sdwa s[4:5], v29, v29 src0_sel:DWORD src1_sel:WORD_1
	v_and_b32_e32 v10, 0xffff, v33
	v_add_u32_e32 v11, 16, v43
	v_cndmask_b32_e64 v12, 0, 1, s[4:5]
	v_lshl_or_b32 v10, v12, 16, v10
	v_mov_b32_e32 v12, 0
	v_cmp_gt_u32_e32 vcc, s3, v11
	v_mov_b32_e32 v11, v12
	v_mov_b32_e32 v13, v12
	;; [unrolled: 1-line block ×6, first 2 shown]
	s_mov_b64 s[4:5], 0
                                        ; implicit-def: $sgpr18_sgpr19
                                        ; implicit-def: $vgpr42
	s_and_saveexec_b64 s[16:17], vcc
	s_cbranch_execz .LBB301_110
; %bb.97:
	v_cmp_ne_u16_sdwa s[4:5], v29, v22 src0_sel:WORD_1 src1_sel:DWORD
	v_add_u32_e32 v13, 17, v43
	v_cmp_gt_u32_e32 vcc, s3, v13
	v_cndmask_b32_e64 v11, 0, 1, s[4:5]
	v_alignbit_b32 v11, v11, v33, 16
	v_mov_b32_e32 v13, v12
	v_mov_b32_e32 v14, v12
	;; [unrolled: 1-line block ×5, first 2 shown]
	s_mov_b64 s[4:5], 0
                                        ; implicit-def: $sgpr48_sgpr49
                                        ; implicit-def: $vgpr42
	s_and_saveexec_b64 s[18:19], vcc
	s_cbranch_execz .LBB301_109
; %bb.98:
	ds_read_b96 v[26:28], v40 offset:34
	v_add_u32_e32 v12, 18, v43
	v_cmp_ne_u16_sdwa s[4:5], v22, v22 src0_sel:DWORD src1_sel:WORD_1
	v_cmp_gt_u32_e32 vcc, s3, v12
	v_mov_b32_e32 v14, 0
	v_cndmask_b32_e64 v13, 0, 1, s[4:5]
	s_waitcnt lgkmcnt(0)
	v_and_b32_e32 v12, 0xffff, v26
	v_lshl_or_b32 v12, v13, 16, v12
	v_mov_b32_e32 v13, v14
	v_mov_b32_e32 v15, v14
	;; [unrolled: 1-line block ×4, first 2 shown]
	s_mov_b64 s[4:5], 0
                                        ; implicit-def: $sgpr50_sgpr51
                                        ; implicit-def: $vgpr42
	s_and_saveexec_b64 s[48:49], vcc
	s_cbranch_execz .LBB301_108
; %bb.99:
	v_cmp_ne_u16_sdwa s[4:5], v22, v23 src0_sel:WORD_1 src1_sel:DWORD
	v_add_u32_e32 v15, 19, v43
	v_cmp_gt_u32_e32 vcc, s3, v15
	v_cndmask_b32_e64 v13, 0, 1, s[4:5]
	v_alignbit_b32 v13, v13, v26, 16
	v_mov_b32_e32 v15, v14
	v_mov_b32_e32 v16, v14
	;; [unrolled: 1-line block ×3, first 2 shown]
	s_mov_b64 s[4:5], 0
                                        ; implicit-def: $sgpr52_sgpr53
                                        ; implicit-def: $vgpr42
	s_and_saveexec_b64 s[50:51], vcc
	s_cbranch_execz .LBB301_107
; %bb.100:
	v_cmp_ne_u16_sdwa s[4:5], v23, v23 src0_sel:DWORD src1_sel:WORD_1
	v_and_b32_e32 v14, 0xffff, v27
	v_add_u32_e32 v15, 20, v43
	v_cndmask_b32_e64 v16, 0, 1, s[4:5]
	v_lshl_or_b32 v14, v16, 16, v14
	v_mov_b32_e32 v16, 0
	v_cmp_gt_u32_e32 vcc, s3, v15
	v_mov_b32_e32 v15, v16
	v_mov_b32_e32 v17, v16
	s_mov_b64 s[4:5], 0
                                        ; implicit-def: $sgpr60_sgpr61
                                        ; implicit-def: $vgpr42
	s_and_saveexec_b64 s[52:53], vcc
	s_cbranch_execz .LBB301_106
; %bb.101:
	v_cmp_ne_u16_sdwa s[4:5], v23, v24 src0_sel:WORD_1 src1_sel:DWORD
	v_add_u32_e32 v17, 21, v43
	v_cmp_gt_u32_e32 vcc, s3, v17
	v_cndmask_b32_e64 v15, 0, 1, s[4:5]
	v_alignbit_b32 v15, v15, v27, 16
	s_mov_b32 s9, 0
	v_mov_b32_e32 v17, v16
	s_mov_b64 s[4:5], 0
                                        ; implicit-def: $sgpr80_sgpr81
                                        ; implicit-def: $vgpr42
	s_and_saveexec_b64 s[60:61], vcc
	s_cbranch_execz .LBB301_105
; %bb.102:
	v_cmp_ne_u16_sdwa s[4:5], v24, v24 src0_sel:DWORD src1_sel:WORD_1
	v_and_b32_e32 v16, 0xffff, v28
	v_add_u32_e32 v17, 22, v43
	v_cndmask_b32_e64 v22, 0, 1, s[4:5]
	v_lshl_or_b32 v16, v22, 16, v16
	v_cmp_gt_u32_e32 vcc, s3, v17
	v_mov_b32_e32 v17, s9
	s_mov_b64 s[4:5], 0
                                        ; implicit-def: $sgpr80_sgpr81
                                        ; implicit-def: $vgpr42
	s_and_saveexec_b64 s[82:83], vcc
	s_xor_b64 s[82:83], exec, s[82:83]
	s_cbranch_execz .LBB301_104
; %bb.103:
	ds_read_u16 v42, v40 offset:46
	v_add_u32_e32 v22, 23, v43
	v_cmp_ne_u16_sdwa s[4:5], v24, v25 src0_sel:WORD_1 src1_sel:DWORD
	v_cmp_ne_u16_e32 vcc, v25, v41
	s_and_b64 s[80:81], vcc, exec
	v_cndmask_b32_e64 v17, 0, 1, s[4:5]
	v_cmp_gt_u32_e64 s[4:5], s3, v22
	v_alignbit_b32 v17, v17, v28, 16
	s_and_b64 s[4:5], s[4:5], exec
.LBB301_104:
	s_or_b64 exec, exec, s[82:83]
	s_and_b64 s[80:81], s[80:81], exec
	s_and_b64 s[4:5], s[4:5], exec
.LBB301_105:
	s_or_b64 exec, exec, s[60:61]
	s_and_b64 s[60:61], s[80:81], exec
	s_and_b64 s[4:5], s[4:5], exec
.LBB301_106:
	s_or_b64 exec, exec, s[52:53]
	s_and_b64 s[52:53], s[60:61], exec
	s_and_b64 s[4:5], s[4:5], exec
.LBB301_107:
	s_or_b64 exec, exec, s[50:51]
	s_and_b64 s[50:51], s[52:53], exec
	s_and_b64 s[4:5], s[4:5], exec
.LBB301_108:
	s_or_b64 exec, exec, s[48:49]
	s_and_b64 s[48:49], s[50:51], exec
	s_and_b64 s[4:5], s[4:5], exec
.LBB301_109:
	s_or_b64 exec, exec, s[18:19]
	s_and_b64 s[18:19], s[48:49], exec
	s_and_b64 s[4:5], s[4:5], exec
.LBB301_110:
	s_or_b64 exec, exec, s[16:17]
	s_and_b64 s[16:17], s[18:19], exec
	s_and_b64 s[4:5], s[4:5], exec
.LBB301_111:
	s_or_b64 exec, exec, s[14:15]
	s_and_b64 s[14:15], s[16:17], exec
	s_and_b64 s[4:5], s[4:5], exec
.LBB301_112:
	s_or_b64 exec, exec, s[12:13]
	s_and_b64 s[48:49], s[14:15], exec
	s_and_b64 s[4:5], s[4:5], exec
.LBB301_113:
	s_or_b64 exec, exec, s[46:47]
	s_and_b64 s[12:13], s[48:49], exec
	s_and_b64 s[4:5], s[4:5], exec
.LBB301_114:
	s_or_b64 exec, exec, s[44:45]
	s_and_b64 s[44:45], s[12:13], exec
	s_and_b64 s[4:5], s[4:5], exec
.LBB301_115:
	s_or_b64 exec, exec, s[42:43]
	s_and_b64 s[12:13], s[44:45], exec
	s_and_b64 s[4:5], s[4:5], exec
.LBB301_116:
	s_or_b64 exec, exec, s[40:41]
	s_and_b64 s[40:41], s[12:13], exec
	s_and_b64 s[4:5], s[4:5], exec
.LBB301_117:
	s_or_b64 exec, exec, s[38:39]
	s_and_b64 s[12:13], s[40:41], exec
	s_and_b64 s[4:5], s[4:5], exec
.LBB301_118:
	s_or_b64 exec, exec, s[36:37]
	s_and_b64 s[36:37], s[12:13], exec
	s_and_b64 s[4:5], s[4:5], exec
.LBB301_119:
	s_or_b64 exec, exec, s[34:35]
	s_and_b64 s[12:13], s[36:37], exec
	s_and_b64 s[4:5], s[4:5], exec
.LBB301_120:
	s_or_b64 exec, exec, s[30:31]
	s_and_b64 s[30:31], s[12:13], exec
	s_and_b64 s[4:5], s[4:5], exec
.LBB301_121:
	s_or_b64 exec, exec, s[28:29]
	s_and_b64 s[12:13], s[30:31], exec
	s_and_b64 s[4:5], s[4:5], exec
.LBB301_122:
	s_or_b64 exec, exec, s[26:27]
	s_and_b64 s[26:27], s[12:13], exec
	s_and_b64 s[4:5], s[4:5], exec
.LBB301_123:
	s_or_b64 exec, exec, s[24:25]
	s_and_b64 s[12:13], s[26:27], exec
	s_and_b64 s[4:5], s[4:5], exec
.LBB301_124:
	s_or_b64 exec, exec, s[22:23]
	s_and_b64 s[24:25], s[12:13], exec
	s_and_b64 s[22:23], s[4:5], exec
.LBB301_125:
	s_or_b64 exec, exec, s[20:21]
	s_and_b64 s[4:5], s[24:25], exec
	s_and_b64 s[12:13], s[22:23], exec
.LBB301_126:
	s_or_b64 exec, exec, s[10:11]
	s_and_b64 vcc, exec, s[6:7]
	v_lshlrev_b32_e32 v22, 1, v0
	s_cbranch_vccnz .LBB301_128
	s_branch .LBB301_136
.LBB301_127:
                                        ; implicit-def: $sgpr4_sgpr5
                                        ; implicit-def: $vgpr18_vgpr19_vgpr20_vgpr21
                                        ; implicit-def: $vgpr2_vgpr3_vgpr4_vgpr5_vgpr6_vgpr7_vgpr8_vgpr9
                                        ; implicit-def: $vgpr10_vgpr11_vgpr12_vgpr13_vgpr14_vgpr15_vgpr16_vgpr17
                                        ; implicit-def: $vgpr42
                                        ; implicit-def: $vgpr1
                                        ; implicit-def: $vgpr38
                                        ; implicit-def: $vgpr39
                                        ; implicit-def: $sgpr8
	s_and_b64 vcc, exec, s[6:7]
	v_lshlrev_b32_e32 v22, 1, v0
	s_cbranch_vccz .LBB301_136
.LBB301_128:
	v_mov_b32_e32 v23, 0
	v_lshl_add_u64 v[2:3], s[56:57], 0, v[22:23]
	v_add_co_u32_e32 v4, vcc, 0x1000, v2
	flat_load_ushort v1, v[2:3]
	flat_load_ushort v6, v[2:3] offset:512
	flat_load_ushort v7, v[2:3] offset:1024
	;; [unrolled: 1-line block ×7, first 2 shown]
	v_addc_co_u32_e32 v5, vcc, 0, v3, vcc
	v_add_co_u32_e32 v2, vcc, 0x2000, v2
	flat_load_ushort v13, v[4:5]
	flat_load_ushort v14, v[4:5] offset:512
	flat_load_ushort v15, v[4:5] offset:1024
	;; [unrolled: 1-line block ×7, first 2 shown]
	v_addc_co_u32_e32 v3, vcc, 0, v3, vcc
	flat_load_ushort v5, v[2:3]
	flat_load_ushort v21, v[2:3] offset:512
	flat_load_ushort v23, v[2:3] offset:1024
	;; [unrolled: 1-line block ×7, first 2 shown]
	v_mad_u32_u24 v4, v0, 46, v22
	s_cmp_eq_u64 s[78:79], 0
	s_waitcnt vmcnt(0) lgkmcnt(0)
	ds_write_b16 v22, v1
	ds_write_b16 v22, v6 offset:512
	ds_write_b16 v22, v7 offset:1024
	;; [unrolled: 1-line block ×23, first 2 shown]
	s_waitcnt lgkmcnt(0)
	s_barrier
	ds_read_b64 v[2:3], v4
	ds_read_u16 v5, v4 offset:8
	ds_read_b128 v[10:13], v4 offset:10
	ds_read_u16 v14, v4 offset:26
	ds_read_b32 v15, v4 offset:44
	ds_read2_b32 v[26:27], v4 offset0:9 offset1:10
	ds_read2_b32 v[24:25], v4 offset0:7 offset1:8
	s_cbranch_scc1 .LBB301_133
; %bb.129:
	s_andn2_b64 vcc, exec, s[76:77]
	s_cbranch_vccnz .LBB301_322
; %bb.130:
	s_lshl_b64 s[4:5], s[78:79], 1
	s_add_u32 s3, s66, s4
	s_addc_u32 s5, s67, s5
	s_add_u32 s4, s3, -2
	s_addc_u32 s5, s5, -1
	s_cbranch_execnz .LBB301_132
.LBB301_131:
	s_add_u32 s4, s56, -2
	s_addc_u32 s5, s57, -1
.LBB301_132:
	s_mov_b64 s[56:57], s[4:5]
.LBB301_133:
	v_mov_b64_e32 v[6:7], s[56:57]
	flat_load_ushort v6, v[6:7]
	s_movk_i32 s3, 0xffd2
	s_waitcnt lgkmcnt(0)
	v_lshrrev_b32_e32 v1, 16, v15
	v_mad_i32_i24 v7, v0, s3, v4
	v_cmp_ne_u32_e32 vcc, 0, v0
	ds_write_b16 v7, v1 offset:12288
	s_waitcnt lgkmcnt(0)
	s_barrier
	s_and_saveexec_b64 s[4:5], vcc
	s_cbranch_execz .LBB301_135
; %bb.134:
	s_waitcnt vmcnt(0)
	v_mul_i32_i24_e32 v6, 0xffffffd2, v0
	v_add_u32_e32 v6, v4, v6
	ds_read_u16 v6, v6 offset:12286
.LBB301_135:
	s_or_b64 exec, exec, s[4:5]
	v_mov_b32_e32 v23, 0
	v_lshl_add_u64 v[8:9], s[54:55], 0, v[22:23]
	s_movk_i32 s3, 0x1000
	v_add_co_u32_e32 v16, vcc, s3, v8
	s_movk_i32 s3, 0x2000
	s_nop 0
	v_addc_co_u32_e32 v17, vcc, 0, v9, vcc
	s_waitcnt lgkmcnt(0)
	s_barrier
	flat_load_ushort v7, v[8:9]
	flat_load_ushort v18, v[8:9] offset:512
	flat_load_ushort v19, v[8:9] offset:1024
	;; [unrolled: 1-line block ×7, first 2 shown]
	v_add_co_u32_e32 v8, vcc, s3, v8
	flat_load_ushort v30, v[16:17]
	flat_load_ushort v31, v[16:17] offset:512
	flat_load_ushort v32, v[16:17] offset:1024
	;; [unrolled: 1-line block ×7, first 2 shown]
	v_addc_co_u32_e32 v9, vcc, 0, v9, vcc
	flat_load_ushort v16, v[8:9]
	flat_load_ushort v17, v[8:9] offset:512
	flat_load_ushort v38, v[8:9] offset:1024
	;; [unrolled: 1-line block ×7, first 2 shown]
	s_waitcnt vmcnt(0)
	v_cmp_ne_u16_e32 vcc, v6, v2
	v_cmp_ne_u16_sdwa s[6:7], v3, v5 src0_sel:WORD_1 src1_sel:DWORD
	v_cmp_ne_u16_e64 s[4:5], v15, v1
	v_cndmask_b32_e64 v1, 0, 1, vcc
	v_cndmask_b32_e64 v9, 0, 1, s[6:7]
	v_cmp_ne_u16_sdwa s[6:7], v2, v3 src0_sel:WORD_1 src1_sel:DWORD
	v_cmp_ne_u16_e32 vcc, v5, v10
	s_mov_b64 s[12:13], -1
	v_cndmask_b32_e64 v44, 0, 1, s[6:7]
	v_cmp_ne_u16_sdwa s[6:7], v3, v3 src0_sel:DWORD src1_sel:WORD_1
                                        ; implicit-def: $sgpr8
	s_waitcnt lgkmcnt(0)
	ds_write_b16 v22, v7
	ds_write_b16 v22, v18 offset:512
	ds_write_b16 v22, v19 offset:1024
	;; [unrolled: 1-line block ×23, first 2 shown]
	s_waitcnt lgkmcnt(0)
	s_barrier
	ds_read_b96 v[6:8], v4
	ds_read_b128 v[28:31], v4 offset:30
	ds_read_u16 v42, v4 offset:46
	ds_read2_b32 v[16:17], v4 offset0:3 offset1:4
	v_cndmask_b32_e64 v3, 0, 1, s[6:7]
	v_cmp_ne_u16_sdwa s[6:7], v2, v2 src0_sel:DWORD src1_sel:WORD_1
	s_waitcnt lgkmcnt(3)
	v_and_b32_e32 v19, 0xffff, v6
	v_and_b32_e32 v23, 0xffff, v7
	v_lshl_or_b32 v1, v1, 16, v19
	v_lshl_or_b32 v19, v44, 16, v23
	ds_read_u16 v23, v4 offset:28
	ds_read2_b32 v[32:33], v4 offset0:5 offset1:6
	v_cndmask_b32_e64 v2, 0, 1, s[6:7]
	v_cmp_ne_u16_sdwa s[6:7], v13, v13 src0_sel:DWORD src1_sel:WORD_1
	v_alignbit_b32 v18, v2, v6, 16
	v_cndmask_b32_e64 v2, 0, 1, vcc
	s_waitcnt lgkmcnt(0)
	v_and_b32_e32 v5, 0xffff, v33
	v_cndmask_b32_e64 v6, 0, 1, s[6:7]
	v_cmp_ne_u16_sdwa s[6:7], v12, v12 src0_sel:DWORD src1_sel:WORD_1
	v_and_b32_e32 v21, 0xffff, v8
	v_alignbit_b32 v38, v2, v8, 16
	v_and_b32_e32 v4, 0xffff, v32
	v_lshl_or_b32 v8, v6, 16, v5
	v_cndmask_b32_e64 v5, 0, 1, s[6:7]
	v_cmp_ne_u16_sdwa s[6:7], v11, v11 src0_sel:DWORD src1_sel:WORD_1
	v_alignbit_b32 v20, v3, v7, 16
	v_and_b32_e32 v3, 0xffff, v17
	v_lshl_or_b32 v6, v5, 16, v4
	v_cndmask_b32_e64 v4, 0, 1, s[6:7]
	v_cmp_ne_u16_sdwa s[6:7], v10, v10 src0_sel:DWORD src1_sel:WORD_1
	v_and_b32_e32 v2, 0xffff, v16
	v_lshl_or_b32 v4, v4, 16, v3
	v_cndmask_b32_e64 v3, 0, 1, s[6:7]
	v_cmp_ne_u16_sdwa s[6:7], v13, v14 src0_sel:WORD_1 src1_sel:DWORD
	v_lshl_or_b32 v2, v3, 16, v2
	v_lshl_or_b32 v21, v9, 16, v21
	v_cndmask_b32_e64 v3, 0, 1, s[6:7]
	v_cmp_ne_u16_sdwa s[6:7], v12, v13 src0_sel:WORD_1 src1_sel:DWORD
	v_alignbit_b32 v9, v3, v33, 16
	v_cmp_ne_u16_e32 vcc, v14, v24
	v_cndmask_b32_e64 v3, 0, 1, s[6:7]
	v_cmp_ne_u16_sdwa s[6:7], v11, v12 src0_sel:WORD_1 src1_sel:DWORD
	v_alignbit_b32 v7, v3, v32, 16
	v_and_b32_e32 v13, 0xffff, v31
	v_cndmask_b32_e64 v3, 0, 1, s[6:7]
	v_cmp_ne_u16_sdwa s[6:7], v10, v11 src0_sel:WORD_1 src1_sel:DWORD
	v_alignbit_b32 v5, v3, v17, 16
	v_and_b32_e32 v12, 0xffff, v30
	v_cndmask_b32_e64 v3, 0, 1, s[6:7]
	v_cmp_ne_u16_sdwa s[6:7], v27, v27 src0_sel:DWORD src1_sel:WORD_1
	v_alignbit_b32 v3, v3, v16, 16
	v_cndmask_b32_e64 v10, 0, 1, vcc
	v_cndmask_b32_e64 v14, 0, 1, s[6:7]
	v_cmp_ne_u16_sdwa s[6:7], v26, v26 src0_sel:DWORD src1_sel:WORD_1
	v_lshl_or_b32 v16, v14, 16, v13
	v_and_b32_e32 v11, 0xffff, v29
	v_cndmask_b32_e64 v13, 0, 1, s[6:7]
	v_cmp_ne_u16_sdwa s[6:7], v25, v25 src0_sel:DWORD src1_sel:WORD_1
	v_lshl_or_b32 v14, v13, 16, v12
	v_lshl_or_b32 v39, v10, 16, v23
	v_cndmask_b32_e64 v12, 0, 1, s[6:7]
	v_cmp_ne_u16_sdwa s[6:7], v24, v24 src0_sel:DWORD src1_sel:WORD_1
	v_and_b32_e32 v10, 0xffff, v28
	v_lshl_or_b32 v12, v12, 16, v11
	v_cndmask_b32_e64 v11, 0, 1, s[6:7]
	v_cmp_ne_u16_sdwa s[6:7], v27, v15 src0_sel:WORD_1 src1_sel:DWORD
	v_lshl_or_b32 v10, v11, 16, v10
	s_nop 0
	v_cndmask_b32_e64 v11, 0, 1, s[6:7]
	v_cmp_ne_u16_sdwa s[6:7], v26, v27 src0_sel:WORD_1 src1_sel:DWORD
	v_alignbit_b32 v17, v11, v31, 16
	s_nop 0
	v_cndmask_b32_e64 v11, 0, 1, s[6:7]
	v_cmp_ne_u16_sdwa s[6:7], v25, v26 src0_sel:WORD_1 src1_sel:DWORD
	v_alignbit_b32 v15, v11, v30, 16
	;; [unrolled: 4-line block ×3, first 2 shown]
	s_nop 0
	v_cndmask_b32_e64 v11, 0, 1, s[6:7]
	v_alignbit_b32 v11, v11, v28, 16
.LBB301_136:
	v_mov_b32_e32 v23, s8
	s_and_saveexec_b64 s[6:7], s[12:13]
	s_cbranch_execz .LBB301_138
; %bb.137:
	v_mov_b32_e32 v23, 0x10000
	v_cndmask_b32_e64 v23, 0, v23, s[4:5]
	s_waitcnt lgkmcnt(0)
	v_or_b32_sdwa v23, v23, v42 dst_sel:DWORD dst_unused:UNUSED_PAD src0_sel:DWORD src1_sel:WORD_0
.LBB301_138:
	s_or_b64 exec, exec, s[6:7]
	s_cmp_lg_u32 s2, 0
	v_mbcnt_lo_u32_b32 v34, -1, 0
	s_waitcnt lgkmcnt(0)
	s_barrier
	s_cbranch_scc0 .LBB301_211
; %bb.139:
	s_mov_b32 s3, 0x10000
	v_cmp_gt_u32_e64 s[52:53], s3, v18
	v_cmp_gt_u32_e64 s[4:5], s3, v19
	v_cmp_gt_u32_e64 s[6:7], s3, v20
	v_cndmask_b32_e64 v24, 1, v1, s[52:53]
	v_mul_lo_u16_e32 v24, v24, v18
	v_cndmask_b32_e64 v24, 1, v24, s[4:5]
	v_mul_lo_u16_e32 v24, v24, v19
	v_cndmask_b32_e64 v24, 1, v24, s[6:7]
	v_mul_lo_u16_e32 v24, v24, v20
	v_cmp_gt_u32_e64 s[8:9], s3, v21
	v_cmp_gt_u32_e64 s[10:11], s3, v38
	v_cmp_gt_u32_e64 s[12:13], s3, v2
	v_cndmask_b32_e64 v24, 1, v24, s[8:9]
	v_mul_lo_u16_e32 v24, v24, v21
	v_cndmask_b32_e64 v24, 1, v24, s[10:11]
	v_mul_lo_u16_e32 v24, v24, v38
	v_cndmask_b32_e64 v24, 1, v24, s[12:13]
	v_mul_lo_u16_e32 v24, v24, v2
	;; [unrolled: 9-line block ×5, first 2 shown]
	v_cmp_gt_u32_e64 s[34:35], s3, v11
	v_cmp_gt_u32_e64 s[36:37], s3, v12
	v_or3_b32 v25, v23, v17, v16
	v_cndmask_b32_e64 v24, 1, v24, s[34:35]
	v_mul_lo_u16_e32 v24, v24, v11
	v_cndmask_b32_e64 v24, 1, v24, s[36:37]
	v_mul_lo_u16_e32 v24, v24, v12
	v_cmp_gt_u32_e64 s[38:39], s3, v13
	v_or3_b32 v25, v25, v15, v14
	v_or3_b32 v25, v25, v13, v12
	v_cndmask_b32_e64 v24, 1, v24, s[38:39]
	v_mul_lo_u16_e32 v24, v24, v13
	v_cmp_gt_u32_e64 s[40:41], s3, v14
	v_or3_b32 v25, v25, v11, v10
	v_or3_b32 v25, v25, v39, v9
	;; [unrolled: 5-line block ×5, first 2 shown]
	v_cndmask_b32_e64 v24, 1, v24, s[46:47]
	v_mul_lo_u16_e32 v24, v24, v17
	v_cmp_gt_u32_e64 s[48:49], s3, v23
	v_and_b32_e32 v25, 0x10000, v25
	v_lshrrev_b32_e32 v35, 16, v1
	v_cndmask_b32_e64 v26, 1, v24, s[48:49]
	v_cmp_ne_u32_e32 vcc, 0, v25
	v_mul_lo_u16_e32 v24, v26, v23
	v_mbcnt_hi_u32_b32 v27, -1, v34
	v_cndmask_b32_e64 v25, v35, 1, vcc
	v_mul_lo_u16_e32 v26, v26, v23
	v_and_b32_e32 v29, 15, v27
	v_lshl_or_b32 v26, v25, 16, v26
	v_cmp_ne_u32_e32 vcc, 0, v29
	s_nop 0
	v_mov_b32_dpp v28, v26 row_shr:1 row_mask:0xf bank_mask:0xf
	s_and_saveexec_b64 s[50:51], vcc
	s_cbranch_execz .LBB301_141
; %bb.140:
	v_cmp_eq_u32_e32 vcc, 0, v25
	v_and_b32_e32 v25, 1, v25
	v_mov_b32_e32 v31, 1
	v_cndmask_b32_e32 v26, 1, v28, vcc
	v_and_b32_sdwa v28, v28, v31 dst_sel:DWORD dst_unused:UNUSED_PAD src0_sel:WORD_1 src1_sel:DWORD
	v_cmp_eq_u32_e32 vcc, 1, v25
	v_mul_lo_u16_e32 v30, v26, v24
	v_mul_lo_u16_e32 v24, v26, v24
	v_cndmask_b32_e64 v25, v28, 1, vcc
	v_lshlrev_b32_e32 v28, 16, v25
	v_or_b32_e32 v26, v28, v24
	v_mov_b32_e32 v24, v30
.LBB301_141:
	s_or_b64 exec, exec, s[50:51]
	v_lshrrev_b32_e32 v28, 16, v26
	v_mov_b32_dpp v30, v26 row_shr:2 row_mask:0xf bank_mask:0xf
	v_cmp_lt_u32_e32 vcc, 1, v29
	s_and_saveexec_b64 s[50:51], vcc
	s_cbranch_execz .LBB301_143
; %bb.142:
	v_cmp_gt_u32_e32 vcc, s3, v26
	v_and_b32_e32 v25, 0x10000, v26
	v_mov_b32_e32 v26, 1
	v_cndmask_b32_e32 v28, 1, v30, vcc
	v_and_b32_sdwa v26, v30, v26 dst_sel:DWORD dst_unused:UNUSED_PAD src0_sel:WORD_1 src1_sel:DWORD
	v_cmp_ne_u32_e32 vcc, 0, v25
	v_mul_lo_u16_e32 v31, v28, v24
	v_mul_lo_u16_e32 v24, v28, v24
	v_cndmask_b32_e64 v25, v26, 1, vcc
	v_lshlrev_b32_e32 v26, 16, v25
	v_or_b32_e32 v26, v26, v24
	v_mov_b32_e32 v28, v25
	v_mov_b32_e32 v24, v31
.LBB301_143:
	s_or_b64 exec, exec, s[50:51]
	v_mov_b32_dpp v30, v26 row_shr:4 row_mask:0xf bank_mask:0xf
	v_cmp_lt_u32_e32 vcc, 3, v29
	s_and_saveexec_b64 s[50:51], vcc
	s_cbranch_execz .LBB301_145
; %bb.144:
	v_mov_b32_e32 v25, 0
	v_cmp_eq_u16_sdwa vcc, v28, v25 src0_sel:BYTE_0 src1_sel:DWORD
	v_and_b32_e32 v25, 1, v28
	v_mov_b32_e32 v28, 1
	v_cndmask_b32_e32 v26, 1, v30, vcc
	v_and_b32_sdwa v28, v30, v28 dst_sel:DWORD dst_unused:UNUSED_PAD src0_sel:WORD_1 src1_sel:DWORD
	v_cmp_eq_u32_e32 vcc, 1, v25
	v_mul_lo_u16_e32 v31, v26, v24
	v_mul_lo_u16_e32 v24, v26, v24
	v_cndmask_b32_e64 v25, v28, 1, vcc
	v_lshlrev_b32_e32 v28, 16, v25
	v_or_b32_e32 v26, v28, v24
	v_mov_b32_e32 v28, v25
	v_mov_b32_e32 v24, v31
.LBB301_145:
	s_or_b64 exec, exec, s[50:51]
	v_mov_b32_dpp v30, v26 row_shr:8 row_mask:0xf bank_mask:0xf
	v_cmp_lt_u32_e32 vcc, 7, v29
	s_and_saveexec_b64 s[50:51], vcc
	s_cbranch_execz .LBB301_147
; %bb.146:
	v_mov_b32_e32 v25, 0
	v_cmp_eq_u16_sdwa vcc, v28, v25 src0_sel:BYTE_0 src1_sel:DWORD
	v_and_b32_e32 v25, 1, v28
	v_mov_b32_e32 v28, 1
	v_cndmask_b32_e32 v26, 1, v30, vcc
	v_and_b32_sdwa v28, v30, v28 dst_sel:DWORD dst_unused:UNUSED_PAD src0_sel:WORD_1 src1_sel:DWORD
	v_cmp_eq_u32_e32 vcc, 1, v25
	v_mul_lo_u16_e32 v29, v26, v24
	v_mul_lo_u16_e32 v24, v26, v24
	v_cndmask_b32_e64 v25, v28, 1, vcc
	v_lshlrev_b32_e32 v28, 16, v25
	v_or_b32_e32 v26, v28, v24
	v_mov_b32_e32 v28, v25
	v_mov_b32_e32 v24, v29
.LBB301_147:
	s_or_b64 exec, exec, s[50:51]
	v_and_b32_e32 v30, 16, v27
	v_mov_b32_dpp v29, v26 row_bcast:15 row_mask:0xf bank_mask:0xf
	v_cmp_ne_u32_e32 vcc, 0, v30
	s_and_saveexec_b64 s[50:51], vcc
	s_cbranch_execz .LBB301_149
; %bb.148:
	v_mov_b32_e32 v25, 0
	v_cmp_eq_u16_sdwa vcc, v28, v25 src0_sel:BYTE_0 src1_sel:DWORD
	v_and_b32_e32 v25, 1, v28
	v_mov_b32_e32 v28, 1
	v_cndmask_b32_e32 v26, 1, v29, vcc
	v_and_b32_sdwa v28, v29, v28 dst_sel:DWORD dst_unused:UNUSED_PAD src0_sel:WORD_1 src1_sel:DWORD
	v_cmp_eq_u32_e32 vcc, 1, v25
	v_mul_lo_u16_e32 v30, v26, v24
	v_mul_lo_u16_e32 v24, v26, v24
	v_cndmask_b32_e64 v25, v28, 1, vcc
	v_lshlrev_b32_e32 v28, 16, v25
	v_or_b32_e32 v26, v28, v24
	v_mov_b32_e32 v24, v30
	v_mov_b32_e32 v28, v25
.LBB301_149:
	s_or_b64 exec, exec, s[50:51]
	v_mov_b32_dpp v26, v26 row_bcast:31 row_mask:0xf bank_mask:0xf
	v_cmp_lt_u32_e32 vcc, 31, v27
	s_and_saveexec_b64 s[50:51], vcc
; %bb.150:
	v_mov_b32_e32 v25, 0
	v_cmp_eq_u16_sdwa vcc, v28, v25 src0_sel:BYTE_0 src1_sel:DWORD
	s_nop 1
	v_cndmask_b32_e32 v25, 1, v26, vcc
	v_mul_lo_u16_e32 v24, v25, v24
	v_and_b32_e32 v25, 1, v28
	v_mov_b32_e32 v28, 1
	v_and_b32_sdwa v26, v26, v28 dst_sel:DWORD dst_unused:UNUSED_PAD src0_sel:WORD_1 src1_sel:DWORD
	v_cmp_eq_u32_e32 vcc, 1, v25
	s_nop 1
	v_cndmask_b32_e64 v25, v26, 1, vcc
; %bb.151:
	s_or_b64 exec, exec, s[50:51]
	v_or_b32_e32 v28, 63, v0
	v_lshrrev_b32_e32 v26, 6, v0
	v_cmp_eq_u32_e32 vcc, v28, v0
	s_and_saveexec_b64 s[50:51], vcc
	s_cbranch_execz .LBB301_153
; %bb.152:
	v_lshlrev_b32_e32 v28, 2, v26
	ds_write_b16 v28, v24
	ds_write_b8 v28, v25 offset:2
.LBB301_153:
	s_or_b64 exec, exec, s[50:51]
	v_cmp_gt_u32_e32 vcc, 4, v0
	s_waitcnt lgkmcnt(0)
	s_barrier
	s_and_saveexec_b64 s[50:51], vcc
	s_cbranch_execz .LBB301_159
; %bb.154:
	v_lshlrev_b32_e32 v28, 2, v0
	ds_read_b32 v29, v28
	v_and_b32_e32 v32, 3, v27
	v_cmp_ne_u32_e32 vcc, 0, v32
	s_waitcnt lgkmcnt(0)
	v_lshrrev_b32_e32 v31, 16, v29
	v_mov_b32_dpp v33, v29 row_shr:1 row_mask:0xf bank_mask:0xf
	v_mov_b32_e32 v30, v29
	s_and_saveexec_b64 s[54:55], vcc
	s_cbranch_execz .LBB301_156
; %bb.155:
	v_mov_b32_e32 v30, 0
	v_cmp_eq_u16_sdwa vcc, v31, v30 src0_sel:BYTE_0 src1_sel:DWORD
	v_and_b32_e32 v31, 0x10000, v29
	v_mov_b32_e32 v40, 1
	v_cndmask_b32_e32 v37, 1, v33, vcc
	v_and_b32_sdwa v33, v33, v40 dst_sel:DWORD dst_unused:UNUSED_PAD src0_sel:WORD_1 src1_sel:DWORD
	v_cmp_ne_u32_e32 vcc, 0, v31
	v_and_b32_e32 v36, 0xff000000, v29
	v_mul_lo_u16_e32 v30, v37, v29
	v_cndmask_b32_e64 v31, v33, 1, vcc
	v_lshlrev_b32_e32 v33, 16, v31
	v_mul_lo_u16_e32 v29, v37, v29
	v_or3_b32 v29, v33, v36, v29
.LBB301_156:
	s_or_b64 exec, exec, s[54:55]
	s_nop 0
	v_mov_b32_dpp v33, v29 row_shr:2 row_mask:0xf bank_mask:0xf
	v_cmp_lt_u32_e32 vcc, 1, v32
	s_and_saveexec_b64 s[54:55], vcc
; %bb.157:
	v_and_b32_e32 v31, 0xff0000, v29
	v_cmp_eq_u32_e32 vcc, 0, v31
	v_and_b32_e32 v29, 0x10000, v29
	s_nop 0
	v_cndmask_b32_e32 v31, 1, v33, vcc
	v_mul_lo_u16_e32 v30, v31, v30
	v_mov_b32_e32 v31, 1
	v_and_b32_sdwa v31, v33, v31 dst_sel:DWORD dst_unused:UNUSED_PAD src0_sel:WORD_1 src1_sel:DWORD
	v_cmp_eq_u32_e32 vcc, 0, v29
	s_nop 1
	v_cndmask_b32_e32 v31, 1, v31, vcc
; %bb.158:
	s_or_b64 exec, exec, s[54:55]
	ds_write_b16 v28, v30
	ds_write_b8 v28, v31 offset:2
.LBB301_159:
	s_or_b64 exec, exec, s[50:51]
	v_cmp_gt_u32_e32 vcc, 64, v0
	v_cmp_lt_u32_e64 s[50:51], 63, v0
	v_mov_b32_e32 v36, 0
	v_mov_b32_e32 v37, 0
	s_waitcnt lgkmcnt(0)
	s_barrier
	s_and_saveexec_b64 s[54:55], s[50:51]
	s_cbranch_execz .LBB301_161
; %bb.160:
	v_lshl_add_u32 v26, v26, 2, -4
	ds_read_u16 v36, v26
	ds_read_u8 v37, v26 offset:2
	v_mov_b32_e32 v28, 0
	v_and_b32_e32 v29, 1, v25
	v_cmp_eq_u16_sdwa s[50:51], v25, v28 src0_sel:BYTE_0 src1_sel:DWORD
	s_waitcnt lgkmcnt(1)
	s_nop 0
	v_cndmask_b32_e64 v25, 1, v36, s[50:51]
	v_cmp_eq_u32_e64 s[50:51], 1, v29
	v_mul_lo_u16_e32 v24, v25, v24
	s_waitcnt lgkmcnt(0)
	v_cndmask_b32_e64 v25, v37, 1, s[50:51]
.LBB301_161:
	s_or_b64 exec, exec, s[54:55]
	v_and_b32_e32 v25, 0xff, v25
	v_and_b32_e32 v24, 0xffff, v24
	v_lshl_or_b32 v24, v25, 16, v24
	v_add_u32_e32 v25, -1, v27
	v_and_b32_e32 v26, 64, v27
	v_cmp_lt_i32_e64 s[50:51], v25, v26
	s_nop 1
	v_cndmask_b32_e64 v25, v25, v27, s[50:51]
	v_lshlrev_b32_e32 v25, 2, v25
	ds_bpermute_b32 v40, v25, v24
	v_cmp_eq_u32_e64 s[50:51], 0, v27
	s_and_saveexec_b64 s[54:55], vcc
	s_cbranch_execz .LBB301_208
; %bb.162:
	v_mov_b32_e32 v33, 0
	ds_read_b32 v24, v33 offset:12
	s_and_saveexec_b64 s[56:57], s[50:51]
	s_cbranch_execz .LBB301_164
; %bb.163:
	s_add_i32 s60, s2, 64
	s_mov_b32 s61, 0
	s_lshl_b64 s[60:61], s[60:61], 3
	s_add_u32 s60, s68, s60
	v_mov_b32_e32 v25, 1
	s_addc_u32 s61, s69, s61
	s_waitcnt lgkmcnt(0)
	global_store_dwordx2 v33, v[24:25], s[60:61] sc1
.LBB301_164:
	s_or_b64 exec, exec, s[56:57]
	v_xad_u32 v26, v27, -1, s2
	v_add_u32_e32 v32, 64, v26
	v_lshl_add_u64 v[30:31], v[32:33], 3, s[68:69]
	global_load_dwordx2 v[28:29], v[30:31], off sc1
	s_waitcnt vmcnt(0)
	v_cmp_eq_u16_sdwa s[60:61], v29, v33 src0_sel:BYTE_0 src1_sel:DWORD
	s_and_saveexec_b64 s[56:57], s[60:61]
	s_cbranch_execz .LBB301_170
; %bb.165:
	s_mov_b32 s3, 1
	s_mov_b64 s[60:61], 0
	v_mov_b32_e32 v25, 0
.LBB301_166:                            ; =>This Loop Header: Depth=1
                                        ;     Child Loop BB301_167 Depth 2
	s_max_u32 s66, s3, 1
.LBB301_167:                            ;   Parent Loop BB301_166 Depth=1
                                        ; =>  This Inner Loop Header: Depth=2
	s_add_i32 s66, s66, -1
	s_cmp_eq_u32 s66, 0
	s_sleep 1
	s_cbranch_scc0 .LBB301_167
; %bb.168:                              ;   in Loop: Header=BB301_166 Depth=1
	global_load_dwordx2 v[28:29], v[30:31], off sc1
	s_cmp_lt_u32 s3, 32
	s_cselect_b64 s[66:67], -1, 0
	s_cmp_lg_u64 s[66:67], 0
	s_addc_u32 s3, s3, 0
	s_waitcnt vmcnt(0)
	v_cmp_ne_u16_sdwa s[66:67], v29, v25 src0_sel:BYTE_0 src1_sel:DWORD
	s_or_b64 s[60:61], s[66:67], s[60:61]
	s_andn2_b64 exec, exec, s[60:61]
	s_cbranch_execnz .LBB301_166
; %bb.169:
	s_or_b64 exec, exec, s[60:61]
.LBB301_170:
	s_or_b64 exec, exec, s[56:57]
	v_mov_b32_e32 v25, 2
	v_cmp_eq_u16_sdwa s[56:57], v29, v25 src0_sel:BYTE_0 src1_sel:DWORD
	v_lshlrev_b64 v[30:31], v27, -1
	v_and_b32_e32 v52, 0xffffff, v28
	v_and_b32_e32 v25, s57, v31
	v_or_b32_e32 v25, 0x80000000, v25
	v_ffbl_b32_e32 v25, v25
	v_add_u32_e32 v33, 32, v25
	v_and_b32_e32 v25, 63, v27
	v_cmp_ne_u32_e32 vcc, 63, v25
	v_and_b32_e32 v32, s56, v30
	v_ffbl_b32_e32 v32, v32
	v_addc_co_u32_e32 v41, vcc, 0, v27, vcc
	v_lshlrev_b32_e32 v41, 2, v41
	ds_bpermute_b32 v42, v41, v52
	v_min_u32_e32 v33, v32, v33
	v_lshrrev_b32_e32 v32, 16, v28
	v_cmp_lt_u32_e32 vcc, v25, v33
	v_bfe_u32 v50, v28, 16, 8
	s_and_saveexec_b64 s[56:57], vcc
	s_cbranch_execz .LBB301_172
; %bb.171:
	v_and_b32_e32 v32, 0xff0000, v28
	v_cmp_eq_u32_e32 vcc, 0, v32
	v_and_b32_e32 v32, 0x10000, v32
	v_mov_b32_e32 v45, 1
	s_waitcnt lgkmcnt(0)
	v_cndmask_b32_e32 v43, 1, v42, vcc
	v_and_b32_sdwa v42, v42, v45 dst_sel:DWORD dst_unused:UNUSED_PAD src0_sel:WORD_1 src1_sel:DWORD
	v_cmp_ne_u32_e32 vcc, 0, v32
	v_mul_lo_u16_e32 v44, v43, v28
	v_mul_lo_u16_e32 v28, v43, v28
	v_cndmask_b32_e64 v32, v42, 1, vcc
	v_lshlrev_b32_e32 v42, 16, v32
	v_or_b32_e32 v52, v42, v28
	v_mov_b32_e32 v28, v44
	v_mov_b32_e32 v50, v32
.LBB301_172:
	s_or_b64 exec, exec, s[56:57]
	v_cmp_gt_u32_e32 vcc, 62, v25
	v_add_u32_e32 v43, 2, v25
	s_waitcnt lgkmcnt(0)
	v_cndmask_b32_e64 v42, 0, 1, vcc
	v_lshlrev_b32_e32 v42, 1, v42
	v_add_lshl_u32 v42, v42, v27, 2
	ds_bpermute_b32 v44, v42, v52
	v_cmp_le_u32_e32 vcc, v43, v33
	s_and_saveexec_b64 s[56:57], vcc
	s_cbranch_execz .LBB301_174
; %bb.173:
	v_cmp_eq_u16_e32 vcc, 0, v50
	v_and_b32_e32 v32, 1, v50
	v_mov_b32_e32 v47, 1
	s_waitcnt lgkmcnt(0)
	v_cndmask_b32_e32 v45, 1, v44, vcc
	v_and_b32_sdwa v44, v44, v47 dst_sel:DWORD dst_unused:UNUSED_PAD src0_sel:WORD_1 src1_sel:DWORD
	v_cmp_eq_u32_e32 vcc, 1, v32
	v_mul_lo_u16_e32 v46, v45, v28
	v_mul_lo_u16_e32 v28, v45, v28
	v_cndmask_b32_e64 v32, v44, 1, vcc
	v_lshlrev_b32_e32 v44, 16, v32
	v_or_b32_e32 v52, v44, v28
	v_mov_b32_e32 v28, v46
	v_mov_b32_e32 v50, v32
.LBB301_174:
	s_or_b64 exec, exec, s[56:57]
	v_cmp_gt_u32_e32 vcc, 60, v25
	v_add_u32_e32 v45, 4, v25
	s_waitcnt lgkmcnt(0)
	v_cndmask_b32_e64 v44, 0, 1, vcc
	v_lshlrev_b32_e32 v44, 2, v44
	v_add_lshl_u32 v44, v44, v27, 2
	ds_bpermute_b32 v46, v44, v52
	v_cmp_le_u32_e32 vcc, v45, v33
	s_and_saveexec_b64 s[56:57], vcc
	s_cbranch_execz .LBB301_176
; %bb.175:
	v_cmp_eq_u16_e32 vcc, 0, v50
	v_and_b32_e32 v32, 1, v50
	v_mov_b32_e32 v49, 1
	s_waitcnt lgkmcnt(0)
	v_cndmask_b32_e32 v47, 1, v46, vcc
	v_and_b32_sdwa v46, v46, v49 dst_sel:DWORD dst_unused:UNUSED_PAD src0_sel:WORD_1 src1_sel:DWORD
	v_cmp_eq_u32_e32 vcc, 1, v32
	v_mul_lo_u16_e32 v48, v47, v28
	v_mul_lo_u16_e32 v28, v47, v28
	v_cndmask_b32_e64 v32, v46, 1, vcc
	v_lshlrev_b32_e32 v46, 16, v32
	v_or_b32_e32 v52, v46, v28
	v_mov_b32_e32 v28, v48
	v_mov_b32_e32 v50, v32
.LBB301_176:
	;; [unrolled: 27-line block ×4, first 2 shown]
	s_or_b64 exec, exec, s[56:57]
	v_cmp_gt_u32_e32 vcc, 32, v25
	s_waitcnt lgkmcnt(0)
	s_nop 0
	v_cndmask_b32_e64 v51, 0, 1, vcc
	v_lshlrev_b32_e32 v51, 5, v51
	v_add_lshl_u32 v51, v51, v27, 2
	ds_bpermute_b32 v27, v51, v52
	v_add_u32_e32 v52, 32, v25
	v_cmp_le_u32_e32 vcc, v52, v33
	s_and_saveexec_b64 s[56:57], vcc
	s_cbranch_execz .LBB301_182
; %bb.181:
	v_cmp_eq_u16_e32 vcc, 0, v50
	v_mov_b32_e32 v33, 1
	s_waitcnt lgkmcnt(0)
	v_cndmask_b32_e32 v32, 1, v27, vcc
	v_mul_lo_u16_e32 v28, v32, v28
	v_and_b32_e32 v32, 1, v50
	v_and_b32_sdwa v27, v27, v33 dst_sel:DWORD dst_unused:UNUSED_PAD src0_sel:WORD_1 src1_sel:DWORD
	v_cmp_eq_u32_e32 vcc, 1, v32
	s_nop 1
	v_cndmask_b32_e64 v32, v27, 1, vcc
.LBB301_182:
	s_or_b64 exec, exec, s[56:57]
	s_waitcnt lgkmcnt(0)
	v_mov_b32_e32 v27, 0
	v_mov_b32_e32 v54, 2
	;; [unrolled: 1-line block ×3, first 2 shown]
	s_branch .LBB301_184
.LBB301_183:                            ;   in Loop: Header=BB301_184 Depth=1
	s_or_b64 exec, exec, s[56:57]
	v_cmp_eq_u16_sdwa vcc, v50, v27 src0_sel:BYTE_0 src1_sel:DWORD
	v_and_b32_e32 v32, 1, v50
	v_and_b32_e32 v33, 1, v33
	v_cndmask_b32_e32 v28, 1, v28, vcc
	v_cmp_eq_u32_e32 vcc, 1, v32
	v_subrev_u32_e32 v26, 64, v26
	v_mul_lo_u16_e32 v28, v28, v53
	v_cndmask_b32_e64 v32, v33, 1, vcc
.LBB301_184:                            ; =>This Loop Header: Depth=1
                                        ;     Child Loop BB301_187 Depth 2
                                        ;       Child Loop BB301_188 Depth 3
	v_cmp_ne_u16_sdwa s[56:57], v29, v54 src0_sel:BYTE_0 src1_sel:DWORD
	v_mov_b32_e32 v50, v32
	v_mov_b32_e32 v53, v28
	v_cndmask_b32_e64 v29, 0, 1, s[56:57]
	;;#ASMSTART
	;;#ASMEND
	s_nop 0
	v_cmp_ne_u32_e32 vcc, 0, v29
	s_cmp_lg_u64 vcc, exec
	s_cbranch_scc1 .LBB301_203
; %bb.185:                              ;   in Loop: Header=BB301_184 Depth=1
	v_lshl_add_u64 v[32:33], v[26:27], 3, s[68:69]
	global_load_dwordx2 v[28:29], v[32:33], off sc1
	s_waitcnt vmcnt(0)
	v_cmp_eq_u16_sdwa s[60:61], v29, v27 src0_sel:BYTE_0 src1_sel:DWORD
	s_and_saveexec_b64 s[56:57], s[60:61]
	s_cbranch_execz .LBB301_191
; %bb.186:                              ;   in Loop: Header=BB301_184 Depth=1
	s_mov_b32 s3, 1
	s_mov_b64 s[60:61], 0
.LBB301_187:                            ;   Parent Loop BB301_184 Depth=1
                                        ; =>  This Loop Header: Depth=2
                                        ;       Child Loop BB301_188 Depth 3
	s_max_u32 s66, s3, 1
.LBB301_188:                            ;   Parent Loop BB301_184 Depth=1
                                        ;     Parent Loop BB301_187 Depth=2
                                        ; =>    This Inner Loop Header: Depth=3
	s_add_i32 s66, s66, -1
	s_cmp_eq_u32 s66, 0
	s_sleep 1
	s_cbranch_scc0 .LBB301_188
; %bb.189:                              ;   in Loop: Header=BB301_187 Depth=2
	global_load_dwordx2 v[28:29], v[32:33], off sc1
	s_cmp_lt_u32 s3, 32
	s_cselect_b64 s[66:67], -1, 0
	s_cmp_lg_u64 s[66:67], 0
	s_addc_u32 s3, s3, 0
	s_waitcnt vmcnt(0)
	v_cmp_ne_u16_sdwa s[66:67], v29, v27 src0_sel:BYTE_0 src1_sel:DWORD
	s_or_b64 s[60:61], s[66:67], s[60:61]
	s_andn2_b64 exec, exec, s[60:61]
	s_cbranch_execnz .LBB301_187
; %bb.190:                              ;   in Loop: Header=BB301_184 Depth=1
	s_or_b64 exec, exec, s[60:61]
.LBB301_191:                            ;   in Loop: Header=BB301_184 Depth=1
	s_or_b64 exec, exec, s[56:57]
	v_cmp_eq_u16_sdwa s[56:57], v29, v54 src0_sel:BYTE_0 src1_sel:DWORD
	s_waitcnt lgkmcnt(0)
	v_and_b32_e32 v57, 0xffffff, v28
	ds_bpermute_b32 v58, v41, v57
	v_and_b32_e32 v32, s57, v31
	v_or_b32_e32 v32, 0x80000000, v32
	v_and_b32_e32 v33, s56, v30
	v_ffbl_b32_e32 v32, v32
	v_add_u32_e32 v32, 32, v32
	v_ffbl_b32_e32 v33, v33
	v_min_u32_e32 v32, v33, v32
	v_lshrrev_b32_e32 v33, 16, v28
	v_cmp_lt_u32_e32 vcc, v25, v32
	v_bfe_u32 v56, v28, 16, 8
	s_and_saveexec_b64 s[56:57], vcc
	s_cbranch_execz .LBB301_193
; %bb.192:                              ;   in Loop: Header=BB301_184 Depth=1
	v_and_b32_e32 v33, 0xff0000, v28
	v_cmp_eq_u32_e32 vcc, 0, v33
	v_and_b32_e32 v33, 0x10000, v33
	s_waitcnt lgkmcnt(0)
	v_and_b32_sdwa v57, v58, v55 dst_sel:DWORD dst_unused:UNUSED_PAD src0_sel:WORD_1 src1_sel:DWORD
	v_cndmask_b32_e32 v56, 1, v58, vcc
	v_cmp_ne_u32_e32 vcc, 0, v33
	v_mul_lo_u16_e32 v59, v56, v28
	v_mul_lo_u16_e32 v28, v56, v28
	v_cndmask_b32_e64 v33, v57, 1, vcc
	v_lshlrev_b32_e32 v57, 16, v33
	v_or_b32_e32 v57, v57, v28
	v_mov_b32_e32 v28, v59
	v_mov_b32_e32 v56, v33
.LBB301_193:                            ;   in Loop: Header=BB301_184 Depth=1
	s_or_b64 exec, exec, s[56:57]
	s_waitcnt lgkmcnt(0)
	ds_bpermute_b32 v58, v42, v57
	v_cmp_le_u32_e32 vcc, v43, v32
	s_and_saveexec_b64 s[56:57], vcc
	s_cbranch_execz .LBB301_195
; %bb.194:                              ;   in Loop: Header=BB301_184 Depth=1
	v_cmp_eq_u16_e32 vcc, 0, v56
	v_and_b32_e32 v33, 1, v56
	s_waitcnt lgkmcnt(0)
	v_and_b32_sdwa v56, v58, v55 dst_sel:DWORD dst_unused:UNUSED_PAD src0_sel:WORD_1 src1_sel:DWORD
	v_cndmask_b32_e32 v57, 1, v58, vcc
	v_cmp_eq_u32_e32 vcc, 1, v33
	v_mul_lo_u16_e32 v59, v57, v28
	v_mul_lo_u16_e32 v28, v57, v28
	v_cndmask_b32_e64 v33, v56, 1, vcc
	v_lshlrev_b32_e32 v56, 16, v33
	v_or_b32_e32 v57, v56, v28
	v_mov_b32_e32 v28, v59
	v_mov_b32_e32 v56, v33
.LBB301_195:                            ;   in Loop: Header=BB301_184 Depth=1
	s_or_b64 exec, exec, s[56:57]
	s_waitcnt lgkmcnt(0)
	ds_bpermute_b32 v58, v44, v57
	v_cmp_le_u32_e32 vcc, v45, v32
	s_and_saveexec_b64 s[56:57], vcc
	s_cbranch_execz .LBB301_197
; %bb.196:                              ;   in Loop: Header=BB301_184 Depth=1
	v_cmp_eq_u16_e32 vcc, 0, v56
	v_and_b32_e32 v33, 1, v56
	s_waitcnt lgkmcnt(0)
	v_and_b32_sdwa v56, v58, v55 dst_sel:DWORD dst_unused:UNUSED_PAD src0_sel:WORD_1 src1_sel:DWORD
	v_cndmask_b32_e32 v57, 1, v58, vcc
	v_cmp_eq_u32_e32 vcc, 1, v33
	v_mul_lo_u16_e32 v59, v57, v28
	v_mul_lo_u16_e32 v28, v57, v28
	v_cndmask_b32_e64 v33, v56, 1, vcc
	v_lshlrev_b32_e32 v56, 16, v33
	v_or_b32_e32 v57, v56, v28
	v_mov_b32_e32 v28, v59
	v_mov_b32_e32 v56, v33
.LBB301_197:                            ;   in Loop: Header=BB301_184 Depth=1
	;; [unrolled: 21-line block ×4, first 2 shown]
	s_or_b64 exec, exec, s[56:57]
	ds_bpermute_b32 v57, v51, v57
	v_cmp_le_u32_e32 vcc, v52, v32
	s_and_saveexec_b64 s[56:57], vcc
	s_cbranch_execz .LBB301_183
; %bb.202:                              ;   in Loop: Header=BB301_184 Depth=1
	v_cmp_eq_u16_e32 vcc, 0, v56
	s_waitcnt lgkmcnt(0)
	v_lshrrev_b32_e32 v33, 16, v57
	v_cndmask_b32_e32 v32, 1, v57, vcc
	v_mul_lo_u16_e32 v28, v32, v28
	v_and_b32_e32 v32, 1, v56
	v_cmp_eq_u32_e32 vcc, 1, v32
	s_nop 1
	v_cndmask_b32_e64 v33, v33, 1, vcc
	s_branch .LBB301_183
.LBB301_203:                            ;   in Loop: Header=BB301_184 Depth=1
                                        ; implicit-def: $vgpr32
                                        ; implicit-def: $vgpr28
	s_cbranch_execz .LBB301_184
; %bb.204:
	s_and_saveexec_b64 s[56:57], s[50:51]
	s_cbranch_execz .LBB301_206
; %bb.205:
	v_and_b32_e32 v25, 0xff0000, v24
	s_mov_b32 s3, 0
	v_cmp_eq_u32_e32 vcc, 0, v25
	v_and_b32_e32 v26, 0x10000, v24
	v_mov_b32_e32 v27, 1
	s_add_i32 s2, s2, 64
	v_cndmask_b32_e32 v25, 1, v53, vcc
	v_and_b32_sdwa v27, v50, v27 dst_sel:WORD_1 dst_unused:UNUSED_PAD src0_sel:DWORD src1_sel:DWORD
	v_mov_b32_e32 v28, 0x10000
	v_cmp_eq_u32_e32 vcc, 0, v26
	s_lshl_b64 s[2:3], s[2:3], 3
	s_add_u32 s2, s68, s2
	v_cndmask_b32_e32 v26, v28, v27, vcc
	v_mul_lo_u16_e32 v24, v25, v24
	s_addc_u32 s3, s69, s3
	v_mov_b32_e32 v27, 0
	v_or_b32_e32 v24, v26, v24
	v_mov_b32_e32 v25, 2
	global_store_dwordx2 v27, v[24:25], s[2:3] sc1
.LBB301_206:
	s_or_b64 exec, exec, s[56:57]
	v_cmp_eq_u32_e32 vcc, 0, v0
	s_and_b64 exec, exec, vcc
	s_cbranch_execz .LBB301_208
; %bb.207:
	v_mov_b32_e32 v24, 0
	ds_write_b16 v24, v53 offset:12
	ds_write_b8 v24, v50 offset:14
.LBB301_208:
	s_or_b64 exec, exec, s[54:55]
	v_mov_b32_e32 v24, 0
	s_waitcnt lgkmcnt(0)
	s_barrier
	ds_read_b32 v25, v24 offset:12
	v_cmp_ne_u32_e32 vcc, 0, v0
	v_mov_b32_e32 v26, v1
	s_and_saveexec_b64 s[2:3], vcc
; %bb.209:
	v_lshrrev_b32_e32 v26, 16, v40
	v_cndmask_b32_e64 v26, v26, v37, s[50:51]
	v_and_b32_e32 v28, 0x10000, v1
	v_cndmask_b32_e64 v27, v40, v36, s[50:51]
	v_and_b32_e32 v26, 1, v26
	v_cmp_ne_u32_e32 vcc, 0, v28
	s_mov_b32 s50, 0x10000
	s_nop 0
	v_cndmask_b32_e64 v35, v26, 1, vcc
	v_cmp_gt_u32_e32 vcc, s50, v1
	s_nop 1
	v_cndmask_b32_e32 v26, 1, v27, vcc
	v_mul_lo_u16_e32 v26, v26, v1
; %bb.210:
	s_or_b64 exec, exec, s[2:3]
	v_cmp_eq_u16_sdwa vcc, v35, v24 src0_sel:BYTE_0 src1_sel:DWORD
	s_waitcnt lgkmcnt(0)
	s_nop 0
	v_cndmask_b32_e32 v24, 1, v25, vcc
	v_mul_lo_u16_e32 v50, v24, v26
	v_cndmask_b32_e64 v24, 1, v50, s[52:53]
	v_mul_lo_u16_e32 v24, v24, v18
	v_cndmask_b32_e64 v25, 1, v24, s[4:5]
	;; [unrolled: 2-line block ×23, first 2 shown]
	v_mul_lo_u16_e32 v49, v49, v23
	s_branch .LBB301_241
.LBB301_211:
                                        ; implicit-def: $vgpr50
                                        ; implicit-def: $vgpr24
                                        ; implicit-def: $vgpr25
                                        ; implicit-def: $vgpr26
                                        ; implicit-def: $vgpr27
                                        ; implicit-def: $vgpr28
                                        ; implicit-def: $vgpr29
                                        ; implicit-def: $vgpr31
                                        ; implicit-def: $vgpr30
                                        ; implicit-def: $vgpr32
                                        ; implicit-def: $vgpr33
                                        ; implicit-def: $vgpr35
                                        ; implicit-def: $vgpr36
                                        ; implicit-def: $vgpr37
                                        ; implicit-def: $vgpr40
                                        ; implicit-def: $vgpr42
                                        ; implicit-def: $vgpr41
                                        ; implicit-def: $vgpr43
                                        ; implicit-def: $vgpr44
                                        ; implicit-def: $vgpr45
                                        ; implicit-def: $vgpr46
                                        ; implicit-def: $vgpr47
                                        ; implicit-def: $vgpr48
                                        ; implicit-def: $vgpr49
	s_cbranch_execz .LBB301_241
; %bb.212:
	s_cmp_lg_u64 s[74:75], 0
	s_cselect_b32 s5, s63, 0
	s_cselect_b32 s4, s62, 0
	s_cmp_lg_u64 s[4:5], 0
	s_cselect_b64 s[6:7], -1, 0
	v_cmp_eq_u32_e32 vcc, 0, v0
	v_cmp_ne_u32_e64 s[2:3], 0, v0
	s_and_b64 s[8:9], vcc, s[6:7]
	s_and_saveexec_b64 s[6:7], s[8:9]
	s_cbranch_execz .LBB301_214
; %bb.213:
	v_mov_b32_e32 v24, 0
	global_load_ushort v25, v24, s[4:5]
	global_load_ubyte v26, v24, s[4:5] offset:2
	s_mov_b32 s4, 0x10000
	v_and_b32_e32 v24, 0x10000, v1
	v_mov_b32_e32 v27, 1
	v_cmp_gt_u32_e64 s[4:5], s4, v1
	v_mov_b32_e32 v28, 0x10000
	s_waitcnt vmcnt(0)
	v_and_b32_sdwa v26, v26, v27 dst_sel:WORD_1 dst_unused:UNUSED_PAD src0_sel:DWORD src1_sel:DWORD
	v_cndmask_b32_e64 v25, 1, v25, s[4:5]
	v_cmp_eq_u32_e64 s[4:5], 0, v24
	v_mul_lo_u16_e32 v1, v25, v1
	s_nop 0
	v_cndmask_b32_e64 v24, v28, v26, s[4:5]
	v_or_b32_e32 v1, v24, v1
.LBB301_214:
	s_or_b64 exec, exec, s[6:7]
	s_mov_b32 s50, 0x10000
	v_cmp_gt_u32_e64 s[4:5], s50, v18
	v_cmp_gt_u32_e64 s[6:7], s50, v19
	;; [unrolled: 1-line block ×3, first 2 shown]
	v_cndmask_b32_e64 v24, 1, v1, s[4:5]
	v_mul_lo_u16_e32 v24, v24, v18
	v_cndmask_b32_e64 v25, 1, v24, s[6:7]
	v_mul_lo_u16_e32 v25, v25, v19
	v_bfe_u32 v28, v19, 16, 1
	v_mov_b32_e32 v53, 1
	v_cndmask_b32_e64 v26, 1, v25, s[8:9]
	v_lshlrev_b16_e32 v28, 1, v28
	v_and_b32_sdwa v29, v18, v53 dst_sel:DWORD dst_unused:UNUSED_PAD src0_sel:WORD_1 src1_sel:DWORD
	v_mul_lo_u16_e32 v26, v26, v20
	v_cmp_gt_u32_e64 s[10:11], s50, v21
	v_or_b32_e32 v28, v29, v28
	v_bfe_u32 v29, v21, 16, 1
	v_and_b32_sdwa v30, v20, v53 dst_sel:DWORD dst_unused:UNUSED_PAD src0_sel:WORD_1 src1_sel:DWORD
	v_cndmask_b32_e64 v27, 1, v26, s[10:11]
	v_lshlrev_b16_e32 v29, 3, v29
	v_lshlrev_b16_e32 v30, 2, v30
	v_mul_lo_u16_e32 v27, v27, v21
	v_or_b32_e32 v29, v29, v30
	v_cmp_gt_u32_e64 s[12:13], s50, v38
	v_or_b32_e32 v49, v28, v29
	v_and_b32_e32 v29, 0x10000, v38
	v_cndmask_b32_e64 v28, 1, v27, s[12:13]
	v_mul_lo_u16_e32 v28, v28, v38
	v_cmp_gt_u32_e64 s[14:15], s50, v2
	v_cmp_ne_u32_e64 s[52:53], 0, v29
	v_cmp_gt_u32_e64 s[16:17], s50, v3
	v_cndmask_b32_e64 v29, 1, v28, s[14:15]
	v_mul_lo_u16_e32 v29, v29, v2
	v_cndmask_b32_e64 v30, 1, v29, s[16:17]
	v_mul_lo_u16_e32 v31, v30, v3
	v_cmp_gt_u32_e64 s[18:19], s50, v4
	v_cmp_gt_u32_e64 s[20:21], s50, v5
	;; [unrolled: 1-line block ×3, first 2 shown]
	v_cndmask_b32_e64 v30, 1, v31, s[18:19]
	v_mul_lo_u16_e32 v30, v30, v4
	v_cndmask_b32_e64 v32, 1, v30, s[20:21]
	v_mul_lo_u16_e32 v32, v32, v5
	;; [unrolled: 2-line block ×3, first 2 shown]
	v_cmp_gt_u32_e64 s[24:25], s50, v7
	v_cmp_gt_u32_e64 s[26:27], s50, v8
	;; [unrolled: 1-line block ×3, first 2 shown]
	v_cndmask_b32_e64 v35, 1, v33, s[24:25]
	v_mul_lo_u16_e32 v35, v35, v7
	v_cndmask_b32_e64 v36, 1, v35, s[26:27]
	v_mul_lo_u16_e32 v36, v36, v8
	;; [unrolled: 2-line block ×3, first 2 shown]
	v_cmp_gt_u32_e64 s[30:31], s50, v39
	v_and_b32_e32 v41, 0x10000, v39
	v_cmp_gt_u32_e64 s[34:35], s50, v10
	v_cndmask_b32_e64 v40, 1, v37, s[30:31]
	v_mul_lo_u16_e32 v40, v40, v39
	v_cmp_ne_u32_e64 s[54:55], 0, v41
	v_cndmask_b32_e64 v41, 1, v40, s[34:35]
	v_mul_lo_u16_e32 v42, v41, v10
	v_cmp_gt_u32_e64 s[36:37], s50, v11
	v_cmp_gt_u32_e64 s[38:39], s50, v12
	v_and_b32_e32 v52, 0x10000, v23
	v_cndmask_b32_e64 v41, 1, v42, s[36:37]
	v_mul_lo_u16_e32 v41, v41, v11
	v_cndmask_b32_e64 v43, 1, v41, s[38:39]
	v_mul_lo_u16_e32 v43, v43, v12
	v_cmp_gt_u32_e64 s[40:41], s50, v13
	v_cmp_ne_u32_e64 s[56:57], 0, v52
	v_or_b32_e32 v52, v16, v8
	v_or_b32_e32 v55, v17, v9
	;; [unrolled: 1-line block ×3, first 2 shown]
	v_cndmask_b32_e64 v44, 1, v43, s[40:41]
	v_or_b32_e32 v56, v14, v6
	v_or_b32_e32 v58, v12, v4
	;; [unrolled: 1-line block ×4, first 2 shown]
	v_bfe_u32 v57, v57, 16, 1
	v_bfe_u32 v55, v55, 16, 1
	v_and_b32_sdwa v52, v52, v53 dst_sel:DWORD dst_unused:UNUSED_PAD src0_sel:WORD_1 src1_sel:DWORD
	v_mul_lo_u16_e32 v44, v44, v13
	v_cmp_gt_u32_e64 s[42:43], s50, v14
	v_or_b32_e32 v60, v10, v2
	v_bfe_u32 v61, v61, 16, 1
	v_bfe_u32 v59, v59, 16, 1
	v_and_b32_sdwa v58, v58, v53 dst_sel:DWORD dst_unused:UNUSED_PAD src0_sel:WORD_1 src1_sel:DWORD
	v_lshlrev_b16_e32 v57, 1, v57
	v_and_b32_sdwa v56, v56, v53 dst_sel:DWORD dst_unused:UNUSED_PAD src0_sel:WORD_1 src1_sel:DWORD
	v_lshlrev_b16_e32 v55, 3, v55
	v_lshlrev_b16_e32 v52, 2, v52
	v_cndmask_b32_e64 v45, 1, v44, s[42:43]
	v_lshlrev_b16_e32 v61, 1, v61
	v_and_b32_sdwa v60, v60, v53 dst_sel:DWORD dst_unused:UNUSED_PAD src0_sel:WORD_1 src1_sel:DWORD
	v_lshlrev_b16_e32 v59, 3, v59
	v_lshlrev_b16_e32 v58, 2, v58
	v_or_b32_e32 v56, v56, v57
	v_or_b32_e32 v52, v55, v52
	v_mul_lo_u16_e32 v45, v45, v14
	v_cmp_gt_u32_e64 s[44:45], s50, v15
	v_or_b32_e32 v60, v60, v61
	v_or_b32_e32 v58, v59, v58
	;; [unrolled: 1-line block ×3, first 2 shown]
	v_cndmask_b32_e64 v46, 1, v45, s[44:45]
	v_or_b32_e32 v58, v60, v58
	v_lshlrev_b16_e32 v52, 4, v52
	v_mul_lo_u16_e32 v46, v46, v15
	v_cmp_gt_u32_e64 s[46:47], s50, v16
	v_or_b32_e32 v52, v58, v52
	v_or_b32_e32 v49, v52, v49
	v_cndmask_b32_e64 v47, 1, v46, s[46:47]
	v_mov_b32_e32 v52, 0
	v_mul_lo_u16_e32 v47, v47, v16
	v_cmp_gt_u32_e64 s[48:49], s50, v17
	v_cmp_ne_u16_sdwa s[60:61], v49, v52 src0_sel:BYTE_0 src1_sel:DWORD
	s_or_b64 s[56:57], s[56:57], s[60:61]
	v_cndmask_b32_e64 v48, 1, v47, s[48:49]
	v_mul_lo_u16_e32 v48, v48, v17
	v_cmp_gt_u32_e64 s[50:51], s50, v23
	s_or_b64 s[54:55], s[56:57], s[54:55]
	v_lshrrev_b32_e32 v50, 16, v1
	v_cndmask_b32_e64 v54, 1, v48, s[50:51]
	s_or_b64 s[52:53], s[54:55], s[52:53]
	v_cndmask_b32_e64 v52, v50, 1, s[52:53]
	v_mbcnt_hi_u32_b32 v34, -1, v34
	v_mul_lo_u16_e32 v49, v54, v23
	v_mul_lo_u16_e32 v51, v54, v23
	v_and_b32_e32 v55, 15, v34
	v_lshl_or_b32 v54, v52, 16, v49
	v_cmp_ne_u32_e64 s[52:53], 0, v55
	s_nop 0
	v_mov_b32_dpp v56, v54 row_shr:1 row_mask:0xf bank_mask:0xf
	s_and_saveexec_b64 s[54:55], s[52:53]
; %bb.215:
	v_cmp_eq_u32_e64 s[52:53], 0, v52
	v_and_b32_e32 v52, 1, v52
	v_and_b32_sdwa v53, v56, v53 dst_sel:DWORD dst_unused:UNUSED_PAD src0_sel:WORD_1 src1_sel:DWORD
	v_cndmask_b32_e64 v54, 1, v56, s[52:53]
	v_cmp_eq_u32_e64 s[52:53], 1, v52
	v_mul_lo_u16_e32 v57, v51, v54
	v_mul_lo_u16_e32 v51, v51, v54
	v_cndmask_b32_e64 v52, v53, 1, s[52:53]
	v_lshlrev_b32_e32 v53, 16, v52
	v_or_b32_e32 v54, v53, v51
	v_mov_b32_e32 v51, v57
; %bb.216:
	s_or_b64 exec, exec, s[54:55]
	v_lshrrev_b32_e32 v53, 16, v54
	v_mov_b32_dpp v56, v54 row_shr:2 row_mask:0xf bank_mask:0xf
	v_cmp_lt_u32_e64 s[52:53], 1, v55
	s_and_saveexec_b64 s[54:55], s[52:53]
	s_cbranch_execz .LBB301_218
; %bb.217:
	s_mov_b32 s52, 0x10000
	v_cmp_gt_u32_e64 s[52:53], s52, v54
	v_and_b32_e32 v52, 0x10000, v54
	v_mov_b32_e32 v54, 1
	v_cndmask_b32_e64 v53, 1, v56, s[52:53]
	v_and_b32_sdwa v54, v56, v54 dst_sel:DWORD dst_unused:UNUSED_PAD src0_sel:WORD_1 src1_sel:DWORD
	v_cmp_ne_u32_e64 s[52:53], 0, v52
	v_mul_lo_u16_e32 v57, v53, v51
	v_mul_lo_u16_e32 v51, v53, v51
	v_cndmask_b32_e64 v52, v54, 1, s[52:53]
	v_lshlrev_b32_e32 v54, 16, v52
	v_or_b32_e32 v54, v54, v51
	v_mov_b32_e32 v53, v52
	v_mov_b32_e32 v51, v57
.LBB301_218:
	s_or_b64 exec, exec, s[54:55]
	v_mov_b32_dpp v56, v54 row_shr:4 row_mask:0xf bank_mask:0xf
	v_cmp_lt_u32_e64 s[52:53], 3, v55
	s_and_saveexec_b64 s[54:55], s[52:53]
	s_cbranch_execz .LBB301_220
; %bb.219:
	v_mov_b32_e32 v52, 0
	v_cmp_eq_u16_sdwa s[52:53], v53, v52 src0_sel:BYTE_0 src1_sel:DWORD
	v_and_b32_e32 v52, 1, v53
	v_mov_b32_e32 v53, 1
	v_cndmask_b32_e64 v54, 1, v56, s[52:53]
	v_and_b32_sdwa v53, v56, v53 dst_sel:DWORD dst_unused:UNUSED_PAD src0_sel:WORD_1 src1_sel:DWORD
	v_cmp_eq_u32_e64 s[52:53], 1, v52
	v_mul_lo_u16_e32 v57, v54, v51
	v_mul_lo_u16_e32 v51, v54, v51
	v_cndmask_b32_e64 v52, v53, 1, s[52:53]
	v_lshlrev_b32_e32 v53, 16, v52
	v_or_b32_e32 v54, v53, v51
	v_mov_b32_e32 v53, v52
	v_mov_b32_e32 v51, v57
.LBB301_220:
	s_or_b64 exec, exec, s[54:55]
	v_mov_b32_dpp v56, v54 row_shr:8 row_mask:0xf bank_mask:0xf
	v_cmp_lt_u32_e64 s[52:53], 7, v55
	s_and_saveexec_b64 s[54:55], s[52:53]
	s_cbranch_execz .LBB301_222
; %bb.221:
	v_mov_b32_e32 v52, 0
	v_cmp_eq_u16_sdwa s[52:53], v53, v52 src0_sel:BYTE_0 src1_sel:DWORD
	v_and_b32_e32 v52, 1, v53
	v_mov_b32_e32 v53, 1
	v_cndmask_b32_e64 v54, 1, v56, s[52:53]
	v_and_b32_sdwa v53, v56, v53 dst_sel:DWORD dst_unused:UNUSED_PAD src0_sel:WORD_1 src1_sel:DWORD
	v_cmp_eq_u32_e64 s[52:53], 1, v52
	v_mul_lo_u16_e32 v55, v54, v51
	v_mul_lo_u16_e32 v51, v54, v51
	v_cndmask_b32_e64 v52, v53, 1, s[52:53]
	v_lshlrev_b32_e32 v53, 16, v52
	v_or_b32_e32 v54, v53, v51
	v_mov_b32_e32 v53, v52
	v_mov_b32_e32 v51, v55
.LBB301_222:
	s_or_b64 exec, exec, s[54:55]
	v_and_b32_e32 v56, 16, v34
	v_mov_b32_dpp v55, v54 row_bcast:15 row_mask:0xf bank_mask:0xf
	v_cmp_ne_u32_e64 s[52:53], 0, v56
	s_and_saveexec_b64 s[54:55], s[52:53]
	s_cbranch_execz .LBB301_224
; %bb.223:
	v_mov_b32_e32 v52, 0
	v_cmp_eq_u16_sdwa s[52:53], v53, v52 src0_sel:BYTE_0 src1_sel:DWORD
	v_and_b32_e32 v52, 1, v53
	v_mov_b32_e32 v53, 1
	v_cndmask_b32_e64 v54, 1, v55, s[52:53]
	v_and_b32_sdwa v53, v55, v53 dst_sel:DWORD dst_unused:UNUSED_PAD src0_sel:WORD_1 src1_sel:DWORD
	v_cmp_eq_u32_e64 s[52:53], 1, v52
	v_mul_lo_u16_e32 v56, v54, v51
	v_mul_lo_u16_e32 v51, v54, v51
	v_cndmask_b32_e64 v52, v53, 1, s[52:53]
	v_lshlrev_b32_e32 v53, 16, v52
	v_or_b32_e32 v54, v53, v51
	v_mov_b32_e32 v51, v56
	v_mov_b32_e32 v53, v52
.LBB301_224:
	s_or_b64 exec, exec, s[54:55]
	v_mov_b32_dpp v54, v54 row_bcast:31 row_mask:0xf bank_mask:0xf
	v_cmp_lt_u32_e64 s[52:53], 31, v34
	s_and_saveexec_b64 s[54:55], s[52:53]
; %bb.225:
	v_mov_b32_e32 v52, 0
	v_cmp_eq_u16_sdwa s[52:53], v53, v52 src0_sel:BYTE_0 src1_sel:DWORD
	s_nop 1
	v_cndmask_b32_e64 v52, 1, v54, s[52:53]
	v_mul_lo_u16_e32 v51, v52, v51
	v_and_b32_e32 v52, 1, v53
	v_mov_b32_e32 v53, 1
	v_and_b32_sdwa v53, v54, v53 dst_sel:DWORD dst_unused:UNUSED_PAD src0_sel:WORD_1 src1_sel:DWORD
	v_cmp_eq_u32_e64 s[52:53], 1, v52
	s_nop 1
	v_cndmask_b32_e64 v52, v53, 1, s[52:53]
; %bb.226:
	s_or_b64 exec, exec, s[54:55]
	v_or_b32_e32 v54, 63, v0
	v_lshrrev_b32_e32 v53, 6, v0
	v_cmp_eq_u32_e64 s[52:53], v54, v0
	s_and_saveexec_b64 s[54:55], s[52:53]
	s_cbranch_execz .LBB301_228
; %bb.227:
	v_lshlrev_b32_e32 v54, 2, v53
	ds_write_b16 v54, v51
	ds_write_b8 v54, v52 offset:2
.LBB301_228:
	s_or_b64 exec, exec, s[54:55]
	v_cmp_gt_u32_e64 s[52:53], 4, v0
	s_waitcnt lgkmcnt(0)
	s_barrier
	s_and_saveexec_b64 s[54:55], s[52:53]
	s_cbranch_execz .LBB301_234
; %bb.229:
	v_lshlrev_b32_e32 v54, 2, v0
	ds_read_b32 v55, v54
	v_and_b32_e32 v58, 3, v34
	v_cmp_ne_u32_e64 s[52:53], 0, v58
	s_waitcnt lgkmcnt(0)
	v_lshrrev_b32_e32 v57, 16, v55
	v_mov_b32_dpp v59, v55 row_shr:1 row_mask:0xf bank_mask:0xf
	v_mov_b32_e32 v56, v55
	s_and_saveexec_b64 s[56:57], s[52:53]
	s_cbranch_execz .LBB301_231
; %bb.230:
	v_mov_b32_e32 v56, 0
	v_cmp_eq_u16_sdwa s[52:53], v57, v56 src0_sel:BYTE_0 src1_sel:DWORD
	v_and_b32_e32 v57, 0x10000, v55
	v_mov_b32_e32 v62, 1
	v_cndmask_b32_e64 v61, 1, v59, s[52:53]
	v_and_b32_sdwa v59, v59, v62 dst_sel:DWORD dst_unused:UNUSED_PAD src0_sel:WORD_1 src1_sel:DWORD
	v_cmp_ne_u32_e64 s[52:53], 0, v57
	v_and_b32_e32 v60, 0xff000000, v55
	v_mul_lo_u16_e32 v56, v61, v55
	v_cndmask_b32_e64 v57, v59, 1, s[52:53]
	v_lshlrev_b32_e32 v59, 16, v57
	v_mul_lo_u16_e32 v55, v61, v55
	v_or3_b32 v55, v59, v60, v55
.LBB301_231:
	s_or_b64 exec, exec, s[56:57]
	s_nop 0
	v_mov_b32_dpp v59, v55 row_shr:2 row_mask:0xf bank_mask:0xf
	v_cmp_lt_u32_e64 s[52:53], 1, v58
	s_and_saveexec_b64 s[56:57], s[52:53]
; %bb.232:
	v_and_b32_e32 v57, 0xff0000, v55
	v_cmp_eq_u32_e64 s[52:53], 0, v57
	v_and_b32_e32 v55, 0x10000, v55
	s_nop 0
	v_cndmask_b32_e64 v57, 1, v59, s[52:53]
	v_mul_lo_u16_e32 v56, v57, v56
	v_mov_b32_e32 v57, 1
	v_and_b32_sdwa v57, v59, v57 dst_sel:DWORD dst_unused:UNUSED_PAD src0_sel:WORD_1 src1_sel:DWORD
	v_cmp_eq_u32_e64 s[52:53], 0, v55
	s_nop 1
	v_cndmask_b32_e64 v57, 1, v57, s[52:53]
; %bb.233:
	s_or_b64 exec, exec, s[56:57]
	ds_write_b16 v54, v56
	ds_write_b8 v54, v57 offset:2
.LBB301_234:
	s_or_b64 exec, exec, s[54:55]
	v_cmp_lt_u32_e64 s[52:53], 63, v0
	v_mov_b32_e32 v54, 0
	s_waitcnt lgkmcnt(0)
	s_barrier
	s_and_saveexec_b64 s[54:55], s[52:53]
	s_cbranch_execz .LBB301_236
; %bb.235:
	v_lshl_add_u32 v53, v53, 2, -4
	ds_read_u16 v54, v53
	ds_read_u8 v53, v53 offset:2
	v_mov_b32_e32 v55, 0
	v_and_b32_e32 v56, 1, v52
	v_cmp_eq_u16_sdwa s[52:53], v52, v55 src0_sel:BYTE_0 src1_sel:DWORD
	s_waitcnt lgkmcnt(1)
	s_nop 0
	v_cndmask_b32_e64 v52, 1, v54, s[52:53]
	v_cmp_eq_u32_e64 s[52:53], 1, v56
	v_mul_lo_u16_e32 v51, v52, v51
	s_waitcnt lgkmcnt(0)
	v_cndmask_b32_e64 v52, v53, 1, s[52:53]
.LBB301_236:
	s_or_b64 exec, exec, s[54:55]
	v_and_b32_e32 v52, 0xff, v52
	v_and_b32_e32 v51, 0xffff, v51
	v_lshl_or_b32 v51, v52, 16, v51
	v_add_u32_e32 v52, -1, v34
	v_and_b32_e32 v53, 64, v34
	v_cmp_lt_i32_e64 s[52:53], v52, v53
	s_nop 1
	v_cndmask_b32_e64 v52, v52, v34, s[52:53]
	v_lshlrev_b32_e32 v52, 2, v52
	ds_bpermute_b32 v51, v52, v51
	s_and_saveexec_b64 s[52:53], s[2:3]
	s_cbranch_execz .LBB301_238
; %bb.237:
	v_cmp_eq_u32_e64 s[2:3], 0, v34
	v_and_b32_e32 v25, 0xff0000, v1
	v_mov_b32_e32 v50, 0
	s_waitcnt lgkmcnt(0)
	v_cndmask_b32_e64 v24, v51, v54, s[2:3]
	v_and_b32_e32 v24, 0xffff, v24
	v_cmp_eq_u32_e64 s[2:3], 0, v25
	;;#ASMSTART
	;;#ASMEND
	s_nop 1
	v_cndmask_b32_e64 v24, 1, v24, s[2:3]
	v_mul_lo_u32 v1, v24, v1
	v_cndmask_b32_e64 v24, 1, v1, s[4:5]
	v_mul_lo_u16_e32 v24, v24, v18
	v_cndmask_b32_e64 v18, 1, v24, s[6:7]
	v_mul_lo_u16_e32 v25, v18, v19
	;; [unrolled: 2-line block ×23, first 2 shown]
.LBB301_238:
	s_or_b64 exec, exec, s[52:53]
	s_and_saveexec_b64 s[2:3], vcc
	s_cbranch_execz .LBB301_240
; %bb.239:
	v_mov_b32_e32 v4, 0
	ds_read_u8 v2, v4 offset:14
	ds_read_u16 v3, v4 offset:12
	s_waitcnt lgkmcnt(1)
	v_lshlrev_b32_e32 v2, 16, v2
	s_waitcnt lgkmcnt(0)
	v_or_b32_e32 v2, v2, v3
	v_mov_b32_e32 v3, 2
	global_store_dwordx2 v4, v[2:3], s[68:69] offset:512 sc1
.LBB301_240:
	s_or_b64 exec, exec, s[2:3]
	v_lshl_or_b32 v50, v50, 16, v1
.LBB301_241:
	s_add_u32 s2, s58, s72
	s_addc_u32 s3, s59, s73
	s_add_u32 s2, s2, s64
	s_addc_u32 s3, s3, s65
	s_and_b64 vcc, exec, s[0:1]
	v_mul_u32_u24_e32 v4, 24, v0
	s_cbranch_vccz .LBB301_293
; %bb.242:
	s_add_i32 s33, s33, s70
	v_cmp_le_u32_e32 vcc, s33, v4
                                        ; implicit-def: $vgpr1
                                        ; implicit-def: $vgpr2
                                        ; implicit-def: $vgpr3
                                        ; implicit-def: $vgpr5
                                        ; implicit-def: $vgpr6
                                        ; implicit-def: $vgpr7
                                        ; implicit-def: $vgpr8
	s_and_saveexec_b64 s[0:1], vcc
	s_xor_b64 s[0:1], exec, s[0:1]
; %bb.243:
	v_or_b32_e32 v1, 1, v4
	v_or_b32_e32 v2, 2, v4
	;; [unrolled: 1-line block ×7, first 2 shown]
; %bb.244:
	s_andn2_saveexec_b64 s[0:1], s[0:1]
; %bb.245:
	v_or_b32_e32 v1, 1, v4
	v_or_b32_e32 v2, 2, v4
	;; [unrolled: 1-line block ×7, first 2 shown]
; %bb.246:
	s_or_b64 exec, exec, s[0:1]
	v_lshlrev_b32_e32 v39, 1, v4
	v_lshlrev_b32_e32 v1, 1, v1
	s_waitcnt lgkmcnt(0)
	s_barrier
	ds_write_b16 v39, v50
	ds_write_b16 v1, v24
	v_lshlrev_b32_e32 v1, 1, v2
	ds_write_b16 v1, v25
	v_lshlrev_b32_e32 v1, 1, v3
	;; [unrolled: 2-line block ×5, first 2 shown]
	s_mov_b32 s0, 0x5040100
	ds_write_b16 v1, v29
	v_lshlrev_b32_e32 v1, 1, v8
	v_perm_b32 v9, v42, v40, s0
	v_perm_b32 v8, v37, v36, s0
	;; [unrolled: 1-line block ×4, first 2 shown]
	ds_write_b16 v1, v31
	ds_write_b128 v39, v[6:9] offset:16
	v_perm_b32 v9, v49, v48, s0
	v_perm_b32 v8, v47, v46, s0
	;; [unrolled: 1-line block ×4, first 2 shown]
	s_movk_i32 s0, 0xffd2
	v_mad_i32_i24 v2, v0, s0, v39
	ds_write_b128 v39, v[6:9] offset:32
	s_waitcnt lgkmcnt(0)
	s_barrier
	ds_read_u16 v53, v2 offset:512
	ds_read_u16 v52, v2 offset:1024
	ds_read_u16 v51, v2 offset:1536
	ds_read_u16 v38, v2 offset:2048
	ds_read_u16 v34, v2 offset:2560
	ds_read_u16 v21, v2 offset:3072
	ds_read_u16 v20, v2 offset:3584
	ds_read_u16 v19, v2 offset:4096
	ds_read_u16 v18, v2 offset:4608
	ds_read_u16 v17, v2 offset:5120
	ds_read_u16 v16, v2 offset:5632
	ds_read_u16 v15, v2 offset:6144
	ds_read_u16 v14, v2 offset:6656
	ds_read_u16 v13, v2 offset:7168
	ds_read_u16 v12, v2 offset:7680
	ds_read_u16 v11, v2 offset:8192
	ds_read_u16 v10, v2 offset:8704
	ds_read_u16 v9, v2 offset:9216
	ds_read_u16 v8, v2 offset:9728
	ds_read_u16 v7, v2 offset:10240
	ds_read_u16 v6, v2 offset:10752
	ds_read_u16 v1, v2 offset:11264
	ds_read_u16 v5, v2 offset:11776
	v_mov_b32_e32 v23, 0
	v_lshl_add_u64 v[2:3], s[2:3], 0, v[22:23]
	v_cmp_gt_u32_e32 vcc, s33, v0
	s_and_saveexec_b64 s[0:1], vcc
	s_cbranch_execz .LBB301_248
; %bb.247:
	v_mul_i32_i24_e32 v54, 0xffffffd2, v0
	v_add_u32_e32 v39, v39, v54
	ds_read_u16 v39, v39
	s_waitcnt lgkmcnt(0)
	flat_store_short v[2:3], v39
.LBB301_248:
	s_or_b64 exec, exec, s[0:1]
	v_or_b32_e32 v39, 0x100, v0
	v_cmp_gt_u32_e32 vcc, s33, v39
	s_and_saveexec_b64 s[0:1], vcc
	s_cbranch_execz .LBB301_250
; %bb.249:
	s_waitcnt lgkmcnt(0)
	flat_store_short v[2:3], v53 offset:512
.LBB301_250:
	s_or_b64 exec, exec, s[0:1]
	v_or_b32_e32 v39, 0x200, v0
	v_cmp_gt_u32_e32 vcc, s33, v39
	s_and_saveexec_b64 s[0:1], vcc
	s_cbranch_execz .LBB301_252
; %bb.251:
	s_waitcnt lgkmcnt(0)
	flat_store_short v[2:3], v52 offset:1024
.LBB301_252:
	;; [unrolled: 9-line block ×4, first 2 shown]
	s_or_b64 exec, exec, s[0:1]
	s_waitcnt lgkmcnt(0)
	v_or_b32_e32 v38, 0x500, v0
	v_cmp_gt_u32_e32 vcc, s33, v38
	s_and_saveexec_b64 s[0:1], vcc
	s_cbranch_execz .LBB301_258
; %bb.257:
	flat_store_short v[2:3], v34 offset:2560
.LBB301_258:
	s_or_b64 exec, exec, s[0:1]
	v_or_b32_e32 v34, 0x600, v0
	v_cmp_gt_u32_e32 vcc, s33, v34
	s_and_saveexec_b64 s[0:1], vcc
	s_cbranch_execz .LBB301_260
; %bb.259:
	flat_store_short v[2:3], v21 offset:3072
.LBB301_260:
	s_or_b64 exec, exec, s[0:1]
	v_or_b32_e32 v21, 0x700, v0
	v_cmp_gt_u32_e32 vcc, s33, v21
	s_and_saveexec_b64 s[0:1], vcc
	s_cbranch_execz .LBB301_262
; %bb.261:
	flat_store_short v[2:3], v20 offset:3584
.LBB301_262:
	s_or_b64 exec, exec, s[0:1]
	v_or_b32_e32 v20, 0x800, v0
	v_cmp_gt_u32_e32 vcc, s33, v20
	s_and_saveexec_b64 s[0:1], vcc
	s_cbranch_execz .LBB301_264
; %bb.263:
	v_add_co_u32_e32 v20, vcc, 0x1000, v2
	s_nop 1
	v_addc_co_u32_e32 v21, vcc, 0, v3, vcc
	flat_store_short v[20:21], v19
.LBB301_264:
	s_or_b64 exec, exec, s[0:1]
	v_or_b32_e32 v19, 0x900, v0
	v_cmp_gt_u32_e32 vcc, s33, v19
	s_and_saveexec_b64 s[0:1], vcc
	s_cbranch_execz .LBB301_266
; %bb.265:
	v_add_co_u32_e32 v20, vcc, 0x1000, v2
	s_nop 1
	v_addc_co_u32_e32 v21, vcc, 0, v3, vcc
	flat_store_short v[20:21], v18 offset:512
.LBB301_266:
	s_or_b64 exec, exec, s[0:1]
	v_or_b32_e32 v18, 0xa00, v0
	v_cmp_gt_u32_e32 vcc, s33, v18
	s_and_saveexec_b64 s[0:1], vcc
	s_cbranch_execz .LBB301_268
; %bb.267:
	v_add_co_u32_e32 v18, vcc, 0x1000, v2
	s_nop 1
	v_addc_co_u32_e32 v19, vcc, 0, v3, vcc
	flat_store_short v[18:19], v17 offset:1024
.LBB301_268:
	;; [unrolled: 11-line block ×7, first 2 shown]
	s_or_b64 exec, exec, s[0:1]
	v_or_b32_e32 v12, 0x1000, v0
	v_cmp_gt_u32_e32 vcc, s33, v12
	s_and_saveexec_b64 s[0:1], vcc
	s_cbranch_execz .LBB301_280
; %bb.279:
	v_add_co_u32_e32 v12, vcc, 0x2000, v2
	s_nop 1
	v_addc_co_u32_e32 v13, vcc, 0, v3, vcc
	flat_store_short v[12:13], v11
.LBB301_280:
	s_or_b64 exec, exec, s[0:1]
	v_or_b32_e32 v11, 0x1100, v0
	v_cmp_gt_u32_e32 vcc, s33, v11
	s_and_saveexec_b64 s[0:1], vcc
	s_cbranch_execz .LBB301_282
; %bb.281:
	v_add_co_u32_e32 v12, vcc, 0x2000, v2
	s_nop 1
	v_addc_co_u32_e32 v13, vcc, 0, v3, vcc
	flat_store_short v[12:13], v10 offset:512
.LBB301_282:
	s_or_b64 exec, exec, s[0:1]
	v_or_b32_e32 v10, 0x1200, v0
	v_cmp_gt_u32_e32 vcc, s33, v10
	s_and_saveexec_b64 s[0:1], vcc
	s_cbranch_execz .LBB301_284
; %bb.283:
	v_add_co_u32_e32 v10, vcc, 0x2000, v2
	s_nop 1
	v_addc_co_u32_e32 v11, vcc, 0, v3, vcc
	flat_store_short v[10:11], v9 offset:1024
.LBB301_284:
	;; [unrolled: 11-line block ×6, first 2 shown]
	s_or_b64 exec, exec, s[0:1]
	v_or_b32_e32 v2, 0x1700, v0
	v_mov_b32_e32 v1, v23
	v_cmp_gt_u32_e64 s[0:1], s33, v2
	s_branch .LBB301_295
.LBB301_293:
	s_mov_b64 s[0:1], 0
                                        ; implicit-def: $vgpr5
	s_cbranch_execz .LBB301_295
; %bb.294:
	s_mov_b32 s4, 0x5040100
	v_lshlrev_b32_e32 v6, 1, v4
	v_perm_b32 v5, v31, v29, s4
	v_perm_b32 v4, v28, v27, s4
	;; [unrolled: 1-line block ×4, first 2 shown]
	s_waitcnt lgkmcnt(0)
	s_barrier
	ds_write_b128 v6, v[2:5]
	v_perm_b32 v5, v42, v40, s4
	v_perm_b32 v4, v37, v36, s4
	;; [unrolled: 1-line block ×4, first 2 shown]
	ds_write_b128 v6, v[2:5] offset:16
	v_perm_b32 v4, v47, v46, s4
	v_perm_b32 v3, v45, v44, s4
	;; [unrolled: 1-line block ×4, first 2 shown]
	v_mov_b32_e32 v1, 0
	s_movk_i32 s4, 0xffd2
	ds_write_b128 v6, v[2:5] offset:32
	v_mad_i32_i24 v2, v0, s4, v6
	v_mov_b32_e32 v23, v1
	s_waitcnt lgkmcnt(0)
	s_barrier
	ds_read_u16 v4, v2
	ds_read_u16 v6, v2 offset:512
	ds_read_u16 v7, v2 offset:1024
	ds_read_u16 v8, v2 offset:1536
	ds_read_u16 v9, v2 offset:2048
	ds_read_u16 v10, v2 offset:2560
	ds_read_u16 v11, v2 offset:3072
	ds_read_u16 v12, v2 offset:3584
	ds_read_u16 v13, v2 offset:4096
	ds_read_u16 v14, v2 offset:4608
	ds_read_u16 v15, v2 offset:5120
	ds_read_u16 v16, v2 offset:5632
	ds_read_u16 v17, v2 offset:6144
	ds_read_u16 v18, v2 offset:6656
	ds_read_u16 v19, v2 offset:7168
	ds_read_u16 v20, v2 offset:7680
	ds_read_u16 v21, v2 offset:8192
	ds_read_u16 v24, v2 offset:8704
	ds_read_u16 v25, v2 offset:9216
	ds_read_u16 v26, v2 offset:9728
	ds_read_u16 v27, v2 offset:10240
	ds_read_u16 v28, v2 offset:10752
	ds_read_u16 v29, v2 offset:11264
	ds_read_u16 v5, v2 offset:11776
	v_lshl_add_u64 v[2:3], s[2:3], 0, v[22:23]
	s_movk_i32 s4, 0x1000
	s_waitcnt lgkmcnt(0)
	flat_store_short v[2:3], v4
	flat_store_short v[2:3], v6 offset:512
	flat_store_short v[2:3], v7 offset:1024
	;; [unrolled: 1-line block ×7, first 2 shown]
	v_add_co_u32_e32 v6, vcc, s4, v2
	s_or_b64 s[0:1], s[0:1], exec
	s_nop 0
	v_addc_co_u32_e32 v7, vcc, 0, v3, vcc
	v_add_co_u32_e32 v2, vcc, 0x2000, v2
	flat_store_short v[6:7], v13
	flat_store_short v[6:7], v14 offset:512
	flat_store_short v[6:7], v15 offset:1024
	;; [unrolled: 1-line block ×7, first 2 shown]
	v_addc_co_u32_e32 v3, vcc, 0, v3, vcc
	flat_store_short v[2:3], v21
	flat_store_short v[2:3], v24 offset:512
	flat_store_short v[2:3], v25 offset:1024
	;; [unrolled: 1-line block ×6, first 2 shown]
.LBB301_295:
	s_and_saveexec_b64 s[4:5], s[0:1]
	s_cbranch_execnz .LBB301_297
; %bb.296:
	s_endpgm
.LBB301_297:
	v_lshl_add_u64 v[0:1], v[0:1], 1, s[2:3]
	v_add_co_u32_e32 v0, vcc, 0x2000, v0
	s_nop 1
	v_addc_co_u32_e32 v1, vcc, 0, v1, vcc
	flat_store_short v[0:1], v5 offset:3584
	s_endpgm
.LBB301_298:
	v_lshl_add_u64 v[20:21], s[54:55], 0, v[2:3]
	flat_load_ushort v19, v[20:21]
	s_or_b64 exec, exec, s[60:61]
                                        ; implicit-def: $vgpr20
	s_and_saveexec_b64 s[52:53], s[4:5]
	s_cbranch_execz .LBB301_57
.LBB301_299:
	v_mov_b32_e32 v3, 0
	v_lshl_add_u64 v[20:21], s[54:55], 0, v[2:3]
	flat_load_ushort v20, v[20:21] offset:512
	s_or_b64 exec, exec, s[52:53]
                                        ; implicit-def: $vgpr21
	s_and_saveexec_b64 s[4:5], s[6:7]
	s_cbranch_execz .LBB301_58
.LBB301_300:
	v_mov_b32_e32 v3, 0
	v_lshl_add_u64 v[36:37], s[54:55], 0, v[2:3]
	flat_load_ushort v21, v[36:37] offset:1024
	s_or_b64 exec, exec, s[4:5]
                                        ; implicit-def: $vgpr35
	s_and_saveexec_b64 s[4:5], s[8:9]
	s_cbranch_execz .LBB301_59
.LBB301_301:
	v_mov_b32_e32 v3, 0
	v_lshl_add_u64 v[36:37], s[54:55], 0, v[2:3]
	flat_load_ushort v35, v[36:37] offset:1536
	s_or_b64 exec, exec, s[4:5]
                                        ; implicit-def: $vgpr36
	s_and_saveexec_b64 s[4:5], s[10:11]
	s_cbranch_execz .LBB301_60
.LBB301_302:
	v_mov_b32_e32 v3, 0
	v_lshl_add_u64 v[36:37], s[54:55], 0, v[2:3]
	flat_load_ushort v36, v[36:37] offset:2048
	s_or_b64 exec, exec, s[4:5]
                                        ; implicit-def: $vgpr37
	s_and_saveexec_b64 s[4:5], s[12:13]
	s_cbranch_execz .LBB301_61
.LBB301_303:
	v_mov_b32_e32 v3, 0
	v_lshl_add_u64 v[38:39], s[54:55], 0, v[2:3]
	flat_load_ushort v37, v[38:39] offset:2560
	s_or_b64 exec, exec, s[4:5]
                                        ; implicit-def: $vgpr38
	s_and_saveexec_b64 s[4:5], s[14:15]
	s_cbranch_execz .LBB301_62
.LBB301_304:
	v_mov_b32_e32 v3, 0
	v_lshl_add_u64 v[38:39], s[54:55], 0, v[2:3]
	flat_load_ushort v38, v[38:39] offset:3072
	s_or_b64 exec, exec, s[4:5]
                                        ; implicit-def: $vgpr3
	s_and_saveexec_b64 s[4:5], s[16:17]
	s_cbranch_execz .LBB301_63
.LBB301_305:
	v_mov_b32_e32 v3, 0
	v_lshl_add_u64 v[42:43], s[54:55], 0, v[2:3]
	flat_load_ushort v3, v[42:43] offset:3584
	s_or_b64 exec, exec, s[4:5]
                                        ; implicit-def: $vgpr39
	s_and_saveexec_b64 s[4:5], s[18:19]
	s_cbranch_execz .LBB301_64
.LBB301_306:
	v_lshlrev_b32_e32 v42, 1, v1
	v_mov_b32_e32 v43, 0
	v_lshl_add_u64 v[42:43], s[54:55], 0, v[42:43]
	flat_load_ushort v39, v[42:43]
	s_or_b64 exec, exec, s[4:5]
                                        ; implicit-def: $vgpr1
	s_and_saveexec_b64 s[4:5], s[20:21]
	s_cbranch_execz .LBB301_65
.LBB301_307:
	v_lshlrev_b32_e32 v42, 1, v4
	v_mov_b32_e32 v43, 0
	v_lshl_add_u64 v[42:43], s[54:55], 0, v[42:43]
	flat_load_ushort v1, v[42:43]
	s_or_b64 exec, exec, s[4:5]
                                        ; implicit-def: $vgpr4
	s_and_saveexec_b64 s[4:5], s[22:23]
	s_cbranch_execz .LBB301_66
.LBB301_308:
	v_lshlrev_b32_e32 v4, 1, v5
	v_mov_b32_e32 v5, 0
	v_lshl_add_u64 v[4:5], s[54:55], 0, v[4:5]
	flat_load_ushort v4, v[4:5]
	s_or_b64 exec, exec, s[4:5]
                                        ; implicit-def: $vgpr5
	s_and_saveexec_b64 s[4:5], s[24:25]
	s_cbranch_execz .LBB301_67
.LBB301_309:
	v_lshlrev_b32_e32 v42, 1, v6
	v_mov_b32_e32 v43, 0
	v_lshl_add_u64 v[42:43], s[54:55], 0, v[42:43]
	flat_load_ushort v5, v[42:43]
	s_or_b64 exec, exec, s[4:5]
                                        ; implicit-def: $vgpr6
	s_and_saveexec_b64 s[4:5], s[26:27]
	s_cbranch_execz .LBB301_68
.LBB301_310:
	v_lshlrev_b32_e32 v6, 1, v7
	v_mov_b32_e32 v7, 0
	v_lshl_add_u64 v[6:7], s[54:55], 0, v[6:7]
	flat_load_ushort v6, v[6:7]
	s_or_b64 exec, exec, s[4:5]
                                        ; implicit-def: $vgpr7
	s_and_saveexec_b64 s[4:5], s[28:29]
	s_cbranch_execz .LBB301_69
.LBB301_311:
	v_lshlrev_b32_e32 v42, 1, v8
	v_mov_b32_e32 v43, 0
	v_lshl_add_u64 v[42:43], s[54:55], 0, v[42:43]
	flat_load_ushort v7, v[42:43]
	s_or_b64 exec, exec, s[4:5]
                                        ; implicit-def: $vgpr8
	s_and_saveexec_b64 s[4:5], s[30:31]
	s_cbranch_execz .LBB301_70
.LBB301_312:
	v_lshlrev_b32_e32 v8, 1, v9
	v_mov_b32_e32 v9, 0
	v_lshl_add_u64 v[8:9], s[54:55], 0, v[8:9]
	flat_load_ushort v8, v[8:9]
	s_or_b64 exec, exec, s[4:5]
                                        ; implicit-def: $vgpr9
	s_and_saveexec_b64 s[4:5], s[34:35]
	s_cbranch_execz .LBB301_71
.LBB301_313:
	v_lshlrev_b32_e32 v42, 1, v10
	v_mov_b32_e32 v43, 0
	v_lshl_add_u64 v[42:43], s[54:55], 0, v[42:43]
	flat_load_ushort v9, v[42:43]
	s_or_b64 exec, exec, s[4:5]
                                        ; implicit-def: $vgpr10
	s_and_saveexec_b64 s[4:5], s[36:37]
	s_cbranch_execz .LBB301_72
.LBB301_314:
	v_lshlrev_b32_e32 v10, 1, v11
	v_mov_b32_e32 v11, 0
	v_lshl_add_u64 v[10:11], s[54:55], 0, v[10:11]
	flat_load_ushort v10, v[10:11]
	s_or_b64 exec, exec, s[4:5]
                                        ; implicit-def: $vgpr11
	s_and_saveexec_b64 s[4:5], s[38:39]
	s_cbranch_execz .LBB301_73
.LBB301_315:
	v_lshlrev_b32_e32 v42, 1, v12
	v_mov_b32_e32 v43, 0
	v_lshl_add_u64 v[42:43], s[54:55], 0, v[42:43]
	flat_load_ushort v11, v[42:43]
	s_or_b64 exec, exec, s[4:5]
                                        ; implicit-def: $vgpr12
	s_and_saveexec_b64 s[4:5], s[40:41]
	s_cbranch_execz .LBB301_74
.LBB301_316:
	v_lshlrev_b32_e32 v12, 1, v13
	v_mov_b32_e32 v13, 0
	v_lshl_add_u64 v[12:13], s[54:55], 0, v[12:13]
	flat_load_ushort v12, v[12:13]
	s_or_b64 exec, exec, s[4:5]
                                        ; implicit-def: $vgpr13
	s_and_saveexec_b64 s[4:5], s[42:43]
	s_cbranch_execz .LBB301_75
.LBB301_317:
	v_lshlrev_b32_e32 v42, 1, v14
	v_mov_b32_e32 v43, 0
	v_lshl_add_u64 v[42:43], s[54:55], 0, v[42:43]
	flat_load_ushort v13, v[42:43]
	s_or_b64 exec, exec, s[4:5]
                                        ; implicit-def: $vgpr14
	s_and_saveexec_b64 s[4:5], s[44:45]
	s_cbranch_execz .LBB301_76
.LBB301_318:
	v_lshlrev_b32_e32 v14, 1, v15
	v_mov_b32_e32 v15, 0
	v_lshl_add_u64 v[14:15], s[54:55], 0, v[14:15]
	flat_load_ushort v14, v[14:15]
	s_or_b64 exec, exec, s[4:5]
                                        ; implicit-def: $vgpr15
	s_and_saveexec_b64 s[4:5], s[46:47]
	s_cbranch_execz .LBB301_77
.LBB301_319:
	v_lshlrev_b32_e32 v42, 1, v16
	v_mov_b32_e32 v43, 0
	v_lshl_add_u64 v[42:43], s[54:55], 0, v[42:43]
	flat_load_ushort v15, v[42:43]
	s_or_b64 exec, exec, s[4:5]
                                        ; implicit-def: $vgpr16
	s_and_saveexec_b64 s[4:5], s[48:49]
	s_cbranch_execz .LBB301_78
.LBB301_320:
	v_lshlrev_b32_e32 v16, 1, v17
	v_mov_b32_e32 v17, 0
	v_lshl_add_u64 v[16:17], s[54:55], 0, v[16:17]
	flat_load_ushort v16, v[16:17]
	s_or_b64 exec, exec, s[4:5]
                                        ; implicit-def: $vgpr17
	s_and_saveexec_b64 s[4:5], s[50:51]
	s_cbranch_execnz .LBB301_79
	s_branch .LBB301_80
.LBB301_321:
                                        ; implicit-def: $sgpr60_sgpr61
	s_branch .LBB301_52
.LBB301_322:
                                        ; implicit-def: $sgpr4_sgpr5
	s_branch .LBB301_131
	.section	.rodata,"a",@progbits
	.p2align	6, 0x0
	.amdhsa_kernel _ZN7rocprim17ROCPRIM_400000_NS6detail17trampoline_kernelINS0_14default_configENS1_27scan_by_key_config_selectorIssEEZZNS1_16scan_by_key_implILNS1_25lookback_scan_determinismE0ELb0ES3_N6thrust23THRUST_200600_302600_NS6detail15normal_iteratorINS9_10device_ptrIsEEEESE_SE_sNS9_10multipliesIsEENS9_8equal_toIsEEsEE10hipError_tPvRmT2_T3_T4_T5_mT6_T7_P12ihipStream_tbENKUlT_T0_E_clISt17integral_constantIbLb1EESY_IbLb0EEEEDaSU_SV_EUlSU_E_NS1_11comp_targetILNS1_3genE5ELNS1_11target_archE942ELNS1_3gpuE9ELNS1_3repE0EEENS1_30default_config_static_selectorELNS0_4arch9wavefront6targetE1EEEvT1_
		.amdhsa_group_segment_fixed_size 13312
		.amdhsa_private_segment_fixed_size 0
		.amdhsa_kernarg_size 112
		.amdhsa_user_sgpr_count 2
		.amdhsa_user_sgpr_dispatch_ptr 0
		.amdhsa_user_sgpr_queue_ptr 0
		.amdhsa_user_sgpr_kernarg_segment_ptr 1
		.amdhsa_user_sgpr_dispatch_id 0
		.amdhsa_user_sgpr_kernarg_preload_length 0
		.amdhsa_user_sgpr_kernarg_preload_offset 0
		.amdhsa_user_sgpr_private_segment_size 0
		.amdhsa_uses_dynamic_stack 0
		.amdhsa_enable_private_segment 0
		.amdhsa_system_sgpr_workgroup_id_x 1
		.amdhsa_system_sgpr_workgroup_id_y 0
		.amdhsa_system_sgpr_workgroup_id_z 0
		.amdhsa_system_sgpr_workgroup_info 0
		.amdhsa_system_vgpr_workitem_id 0
		.amdhsa_next_free_vgpr 63
		.amdhsa_next_free_sgpr 88
		.amdhsa_accum_offset 64
		.amdhsa_reserve_vcc 1
		.amdhsa_float_round_mode_32 0
		.amdhsa_float_round_mode_16_64 0
		.amdhsa_float_denorm_mode_32 3
		.amdhsa_float_denorm_mode_16_64 3
		.amdhsa_dx10_clamp 1
		.amdhsa_ieee_mode 1
		.amdhsa_fp16_overflow 0
		.amdhsa_tg_split 0
		.amdhsa_exception_fp_ieee_invalid_op 0
		.amdhsa_exception_fp_denorm_src 0
		.amdhsa_exception_fp_ieee_div_zero 0
		.amdhsa_exception_fp_ieee_overflow 0
		.amdhsa_exception_fp_ieee_underflow 0
		.amdhsa_exception_fp_ieee_inexact 0
		.amdhsa_exception_int_div_zero 0
	.end_amdhsa_kernel
	.section	.text._ZN7rocprim17ROCPRIM_400000_NS6detail17trampoline_kernelINS0_14default_configENS1_27scan_by_key_config_selectorIssEEZZNS1_16scan_by_key_implILNS1_25lookback_scan_determinismE0ELb0ES3_N6thrust23THRUST_200600_302600_NS6detail15normal_iteratorINS9_10device_ptrIsEEEESE_SE_sNS9_10multipliesIsEENS9_8equal_toIsEEsEE10hipError_tPvRmT2_T3_T4_T5_mT6_T7_P12ihipStream_tbENKUlT_T0_E_clISt17integral_constantIbLb1EESY_IbLb0EEEEDaSU_SV_EUlSU_E_NS1_11comp_targetILNS1_3genE5ELNS1_11target_archE942ELNS1_3gpuE9ELNS1_3repE0EEENS1_30default_config_static_selectorELNS0_4arch9wavefront6targetE1EEEvT1_,"axG",@progbits,_ZN7rocprim17ROCPRIM_400000_NS6detail17trampoline_kernelINS0_14default_configENS1_27scan_by_key_config_selectorIssEEZZNS1_16scan_by_key_implILNS1_25lookback_scan_determinismE0ELb0ES3_N6thrust23THRUST_200600_302600_NS6detail15normal_iteratorINS9_10device_ptrIsEEEESE_SE_sNS9_10multipliesIsEENS9_8equal_toIsEEsEE10hipError_tPvRmT2_T3_T4_T5_mT6_T7_P12ihipStream_tbENKUlT_T0_E_clISt17integral_constantIbLb1EESY_IbLb0EEEEDaSU_SV_EUlSU_E_NS1_11comp_targetILNS1_3genE5ELNS1_11target_archE942ELNS1_3gpuE9ELNS1_3repE0EEENS1_30default_config_static_selectorELNS0_4arch9wavefront6targetE1EEEvT1_,comdat
.Lfunc_end301:
	.size	_ZN7rocprim17ROCPRIM_400000_NS6detail17trampoline_kernelINS0_14default_configENS1_27scan_by_key_config_selectorIssEEZZNS1_16scan_by_key_implILNS1_25lookback_scan_determinismE0ELb0ES3_N6thrust23THRUST_200600_302600_NS6detail15normal_iteratorINS9_10device_ptrIsEEEESE_SE_sNS9_10multipliesIsEENS9_8equal_toIsEEsEE10hipError_tPvRmT2_T3_T4_T5_mT6_T7_P12ihipStream_tbENKUlT_T0_E_clISt17integral_constantIbLb1EESY_IbLb0EEEEDaSU_SV_EUlSU_E_NS1_11comp_targetILNS1_3genE5ELNS1_11target_archE942ELNS1_3gpuE9ELNS1_3repE0EEENS1_30default_config_static_selectorELNS0_4arch9wavefront6targetE1EEEvT1_, .Lfunc_end301-_ZN7rocprim17ROCPRIM_400000_NS6detail17trampoline_kernelINS0_14default_configENS1_27scan_by_key_config_selectorIssEEZZNS1_16scan_by_key_implILNS1_25lookback_scan_determinismE0ELb0ES3_N6thrust23THRUST_200600_302600_NS6detail15normal_iteratorINS9_10device_ptrIsEEEESE_SE_sNS9_10multipliesIsEENS9_8equal_toIsEEsEE10hipError_tPvRmT2_T3_T4_T5_mT6_T7_P12ihipStream_tbENKUlT_T0_E_clISt17integral_constantIbLb1EESY_IbLb0EEEEDaSU_SV_EUlSU_E_NS1_11comp_targetILNS1_3genE5ELNS1_11target_archE942ELNS1_3gpuE9ELNS1_3repE0EEENS1_30default_config_static_selectorELNS0_4arch9wavefront6targetE1EEEvT1_
                                        ; -- End function
	.section	.AMDGPU.csdata,"",@progbits
; Kernel info:
; codeLenInByte = 16272
; NumSgprs: 94
; NumVgprs: 63
; NumAgprs: 0
; TotalNumVgprs: 63
; ScratchSize: 0
; MemoryBound: 0
; FloatMode: 240
; IeeeMode: 1
; LDSByteSize: 13312 bytes/workgroup (compile time only)
; SGPRBlocks: 11
; VGPRBlocks: 7
; NumSGPRsForWavesPerEU: 94
; NumVGPRsForWavesPerEU: 63
; AccumOffset: 64
; Occupancy: 4
; WaveLimiterHint : 1
; COMPUTE_PGM_RSRC2:SCRATCH_EN: 0
; COMPUTE_PGM_RSRC2:USER_SGPR: 2
; COMPUTE_PGM_RSRC2:TRAP_HANDLER: 0
; COMPUTE_PGM_RSRC2:TGID_X_EN: 1
; COMPUTE_PGM_RSRC2:TGID_Y_EN: 0
; COMPUTE_PGM_RSRC2:TGID_Z_EN: 0
; COMPUTE_PGM_RSRC2:TIDIG_COMP_CNT: 0
; COMPUTE_PGM_RSRC3_GFX90A:ACCUM_OFFSET: 15
; COMPUTE_PGM_RSRC3_GFX90A:TG_SPLIT: 0
	.section	.text._ZN7rocprim17ROCPRIM_400000_NS6detail17trampoline_kernelINS0_14default_configENS1_27scan_by_key_config_selectorIssEEZZNS1_16scan_by_key_implILNS1_25lookback_scan_determinismE0ELb0ES3_N6thrust23THRUST_200600_302600_NS6detail15normal_iteratorINS9_10device_ptrIsEEEESE_SE_sNS9_10multipliesIsEENS9_8equal_toIsEEsEE10hipError_tPvRmT2_T3_T4_T5_mT6_T7_P12ihipStream_tbENKUlT_T0_E_clISt17integral_constantIbLb1EESY_IbLb0EEEEDaSU_SV_EUlSU_E_NS1_11comp_targetILNS1_3genE4ELNS1_11target_archE910ELNS1_3gpuE8ELNS1_3repE0EEENS1_30default_config_static_selectorELNS0_4arch9wavefront6targetE1EEEvT1_,"axG",@progbits,_ZN7rocprim17ROCPRIM_400000_NS6detail17trampoline_kernelINS0_14default_configENS1_27scan_by_key_config_selectorIssEEZZNS1_16scan_by_key_implILNS1_25lookback_scan_determinismE0ELb0ES3_N6thrust23THRUST_200600_302600_NS6detail15normal_iteratorINS9_10device_ptrIsEEEESE_SE_sNS9_10multipliesIsEENS9_8equal_toIsEEsEE10hipError_tPvRmT2_T3_T4_T5_mT6_T7_P12ihipStream_tbENKUlT_T0_E_clISt17integral_constantIbLb1EESY_IbLb0EEEEDaSU_SV_EUlSU_E_NS1_11comp_targetILNS1_3genE4ELNS1_11target_archE910ELNS1_3gpuE8ELNS1_3repE0EEENS1_30default_config_static_selectorELNS0_4arch9wavefront6targetE1EEEvT1_,comdat
	.protected	_ZN7rocprim17ROCPRIM_400000_NS6detail17trampoline_kernelINS0_14default_configENS1_27scan_by_key_config_selectorIssEEZZNS1_16scan_by_key_implILNS1_25lookback_scan_determinismE0ELb0ES3_N6thrust23THRUST_200600_302600_NS6detail15normal_iteratorINS9_10device_ptrIsEEEESE_SE_sNS9_10multipliesIsEENS9_8equal_toIsEEsEE10hipError_tPvRmT2_T3_T4_T5_mT6_T7_P12ihipStream_tbENKUlT_T0_E_clISt17integral_constantIbLb1EESY_IbLb0EEEEDaSU_SV_EUlSU_E_NS1_11comp_targetILNS1_3genE4ELNS1_11target_archE910ELNS1_3gpuE8ELNS1_3repE0EEENS1_30default_config_static_selectorELNS0_4arch9wavefront6targetE1EEEvT1_ ; -- Begin function _ZN7rocprim17ROCPRIM_400000_NS6detail17trampoline_kernelINS0_14default_configENS1_27scan_by_key_config_selectorIssEEZZNS1_16scan_by_key_implILNS1_25lookback_scan_determinismE0ELb0ES3_N6thrust23THRUST_200600_302600_NS6detail15normal_iteratorINS9_10device_ptrIsEEEESE_SE_sNS9_10multipliesIsEENS9_8equal_toIsEEsEE10hipError_tPvRmT2_T3_T4_T5_mT6_T7_P12ihipStream_tbENKUlT_T0_E_clISt17integral_constantIbLb1EESY_IbLb0EEEEDaSU_SV_EUlSU_E_NS1_11comp_targetILNS1_3genE4ELNS1_11target_archE910ELNS1_3gpuE8ELNS1_3repE0EEENS1_30default_config_static_selectorELNS0_4arch9wavefront6targetE1EEEvT1_
	.globl	_ZN7rocprim17ROCPRIM_400000_NS6detail17trampoline_kernelINS0_14default_configENS1_27scan_by_key_config_selectorIssEEZZNS1_16scan_by_key_implILNS1_25lookback_scan_determinismE0ELb0ES3_N6thrust23THRUST_200600_302600_NS6detail15normal_iteratorINS9_10device_ptrIsEEEESE_SE_sNS9_10multipliesIsEENS9_8equal_toIsEEsEE10hipError_tPvRmT2_T3_T4_T5_mT6_T7_P12ihipStream_tbENKUlT_T0_E_clISt17integral_constantIbLb1EESY_IbLb0EEEEDaSU_SV_EUlSU_E_NS1_11comp_targetILNS1_3genE4ELNS1_11target_archE910ELNS1_3gpuE8ELNS1_3repE0EEENS1_30default_config_static_selectorELNS0_4arch9wavefront6targetE1EEEvT1_
	.p2align	8
	.type	_ZN7rocprim17ROCPRIM_400000_NS6detail17trampoline_kernelINS0_14default_configENS1_27scan_by_key_config_selectorIssEEZZNS1_16scan_by_key_implILNS1_25lookback_scan_determinismE0ELb0ES3_N6thrust23THRUST_200600_302600_NS6detail15normal_iteratorINS9_10device_ptrIsEEEESE_SE_sNS9_10multipliesIsEENS9_8equal_toIsEEsEE10hipError_tPvRmT2_T3_T4_T5_mT6_T7_P12ihipStream_tbENKUlT_T0_E_clISt17integral_constantIbLb1EESY_IbLb0EEEEDaSU_SV_EUlSU_E_NS1_11comp_targetILNS1_3genE4ELNS1_11target_archE910ELNS1_3gpuE8ELNS1_3repE0EEENS1_30default_config_static_selectorELNS0_4arch9wavefront6targetE1EEEvT1_,@function
_ZN7rocprim17ROCPRIM_400000_NS6detail17trampoline_kernelINS0_14default_configENS1_27scan_by_key_config_selectorIssEEZZNS1_16scan_by_key_implILNS1_25lookback_scan_determinismE0ELb0ES3_N6thrust23THRUST_200600_302600_NS6detail15normal_iteratorINS9_10device_ptrIsEEEESE_SE_sNS9_10multipliesIsEENS9_8equal_toIsEEsEE10hipError_tPvRmT2_T3_T4_T5_mT6_T7_P12ihipStream_tbENKUlT_T0_E_clISt17integral_constantIbLb1EESY_IbLb0EEEEDaSU_SV_EUlSU_E_NS1_11comp_targetILNS1_3genE4ELNS1_11target_archE910ELNS1_3gpuE8ELNS1_3repE0EEENS1_30default_config_static_selectorELNS0_4arch9wavefront6targetE1EEEvT1_: ; @_ZN7rocprim17ROCPRIM_400000_NS6detail17trampoline_kernelINS0_14default_configENS1_27scan_by_key_config_selectorIssEEZZNS1_16scan_by_key_implILNS1_25lookback_scan_determinismE0ELb0ES3_N6thrust23THRUST_200600_302600_NS6detail15normal_iteratorINS9_10device_ptrIsEEEESE_SE_sNS9_10multipliesIsEENS9_8equal_toIsEEsEE10hipError_tPvRmT2_T3_T4_T5_mT6_T7_P12ihipStream_tbENKUlT_T0_E_clISt17integral_constantIbLb1EESY_IbLb0EEEEDaSU_SV_EUlSU_E_NS1_11comp_targetILNS1_3genE4ELNS1_11target_archE910ELNS1_3gpuE8ELNS1_3repE0EEENS1_30default_config_static_selectorELNS0_4arch9wavefront6targetE1EEEvT1_
; %bb.0:
	.section	.rodata,"a",@progbits
	.p2align	6, 0x0
	.amdhsa_kernel _ZN7rocprim17ROCPRIM_400000_NS6detail17trampoline_kernelINS0_14default_configENS1_27scan_by_key_config_selectorIssEEZZNS1_16scan_by_key_implILNS1_25lookback_scan_determinismE0ELb0ES3_N6thrust23THRUST_200600_302600_NS6detail15normal_iteratorINS9_10device_ptrIsEEEESE_SE_sNS9_10multipliesIsEENS9_8equal_toIsEEsEE10hipError_tPvRmT2_T3_T4_T5_mT6_T7_P12ihipStream_tbENKUlT_T0_E_clISt17integral_constantIbLb1EESY_IbLb0EEEEDaSU_SV_EUlSU_E_NS1_11comp_targetILNS1_3genE4ELNS1_11target_archE910ELNS1_3gpuE8ELNS1_3repE0EEENS1_30default_config_static_selectorELNS0_4arch9wavefront6targetE1EEEvT1_
		.amdhsa_group_segment_fixed_size 0
		.amdhsa_private_segment_fixed_size 0
		.amdhsa_kernarg_size 112
		.amdhsa_user_sgpr_count 2
		.amdhsa_user_sgpr_dispatch_ptr 0
		.amdhsa_user_sgpr_queue_ptr 0
		.amdhsa_user_sgpr_kernarg_segment_ptr 1
		.amdhsa_user_sgpr_dispatch_id 0
		.amdhsa_user_sgpr_kernarg_preload_length 0
		.amdhsa_user_sgpr_kernarg_preload_offset 0
		.amdhsa_user_sgpr_private_segment_size 0
		.amdhsa_uses_dynamic_stack 0
		.amdhsa_enable_private_segment 0
		.amdhsa_system_sgpr_workgroup_id_x 1
		.amdhsa_system_sgpr_workgroup_id_y 0
		.amdhsa_system_sgpr_workgroup_id_z 0
		.amdhsa_system_sgpr_workgroup_info 0
		.amdhsa_system_vgpr_workitem_id 0
		.amdhsa_next_free_vgpr 1
		.amdhsa_next_free_sgpr 0
		.amdhsa_accum_offset 4
		.amdhsa_reserve_vcc 0
		.amdhsa_float_round_mode_32 0
		.amdhsa_float_round_mode_16_64 0
		.amdhsa_float_denorm_mode_32 3
		.amdhsa_float_denorm_mode_16_64 3
		.amdhsa_dx10_clamp 1
		.amdhsa_ieee_mode 1
		.amdhsa_fp16_overflow 0
		.amdhsa_tg_split 0
		.amdhsa_exception_fp_ieee_invalid_op 0
		.amdhsa_exception_fp_denorm_src 0
		.amdhsa_exception_fp_ieee_div_zero 0
		.amdhsa_exception_fp_ieee_overflow 0
		.amdhsa_exception_fp_ieee_underflow 0
		.amdhsa_exception_fp_ieee_inexact 0
		.amdhsa_exception_int_div_zero 0
	.end_amdhsa_kernel
	.section	.text._ZN7rocprim17ROCPRIM_400000_NS6detail17trampoline_kernelINS0_14default_configENS1_27scan_by_key_config_selectorIssEEZZNS1_16scan_by_key_implILNS1_25lookback_scan_determinismE0ELb0ES3_N6thrust23THRUST_200600_302600_NS6detail15normal_iteratorINS9_10device_ptrIsEEEESE_SE_sNS9_10multipliesIsEENS9_8equal_toIsEEsEE10hipError_tPvRmT2_T3_T4_T5_mT6_T7_P12ihipStream_tbENKUlT_T0_E_clISt17integral_constantIbLb1EESY_IbLb0EEEEDaSU_SV_EUlSU_E_NS1_11comp_targetILNS1_3genE4ELNS1_11target_archE910ELNS1_3gpuE8ELNS1_3repE0EEENS1_30default_config_static_selectorELNS0_4arch9wavefront6targetE1EEEvT1_,"axG",@progbits,_ZN7rocprim17ROCPRIM_400000_NS6detail17trampoline_kernelINS0_14default_configENS1_27scan_by_key_config_selectorIssEEZZNS1_16scan_by_key_implILNS1_25lookback_scan_determinismE0ELb0ES3_N6thrust23THRUST_200600_302600_NS6detail15normal_iteratorINS9_10device_ptrIsEEEESE_SE_sNS9_10multipliesIsEENS9_8equal_toIsEEsEE10hipError_tPvRmT2_T3_T4_T5_mT6_T7_P12ihipStream_tbENKUlT_T0_E_clISt17integral_constantIbLb1EESY_IbLb0EEEEDaSU_SV_EUlSU_E_NS1_11comp_targetILNS1_3genE4ELNS1_11target_archE910ELNS1_3gpuE8ELNS1_3repE0EEENS1_30default_config_static_selectorELNS0_4arch9wavefront6targetE1EEEvT1_,comdat
.Lfunc_end302:
	.size	_ZN7rocprim17ROCPRIM_400000_NS6detail17trampoline_kernelINS0_14default_configENS1_27scan_by_key_config_selectorIssEEZZNS1_16scan_by_key_implILNS1_25lookback_scan_determinismE0ELb0ES3_N6thrust23THRUST_200600_302600_NS6detail15normal_iteratorINS9_10device_ptrIsEEEESE_SE_sNS9_10multipliesIsEENS9_8equal_toIsEEsEE10hipError_tPvRmT2_T3_T4_T5_mT6_T7_P12ihipStream_tbENKUlT_T0_E_clISt17integral_constantIbLb1EESY_IbLb0EEEEDaSU_SV_EUlSU_E_NS1_11comp_targetILNS1_3genE4ELNS1_11target_archE910ELNS1_3gpuE8ELNS1_3repE0EEENS1_30default_config_static_selectorELNS0_4arch9wavefront6targetE1EEEvT1_, .Lfunc_end302-_ZN7rocprim17ROCPRIM_400000_NS6detail17trampoline_kernelINS0_14default_configENS1_27scan_by_key_config_selectorIssEEZZNS1_16scan_by_key_implILNS1_25lookback_scan_determinismE0ELb0ES3_N6thrust23THRUST_200600_302600_NS6detail15normal_iteratorINS9_10device_ptrIsEEEESE_SE_sNS9_10multipliesIsEENS9_8equal_toIsEEsEE10hipError_tPvRmT2_T3_T4_T5_mT6_T7_P12ihipStream_tbENKUlT_T0_E_clISt17integral_constantIbLb1EESY_IbLb0EEEEDaSU_SV_EUlSU_E_NS1_11comp_targetILNS1_3genE4ELNS1_11target_archE910ELNS1_3gpuE8ELNS1_3repE0EEENS1_30default_config_static_selectorELNS0_4arch9wavefront6targetE1EEEvT1_
                                        ; -- End function
	.section	.AMDGPU.csdata,"",@progbits
; Kernel info:
; codeLenInByte = 0
; NumSgprs: 6
; NumVgprs: 0
; NumAgprs: 0
; TotalNumVgprs: 0
; ScratchSize: 0
; MemoryBound: 0
; FloatMode: 240
; IeeeMode: 1
; LDSByteSize: 0 bytes/workgroup (compile time only)
; SGPRBlocks: 0
; VGPRBlocks: 0
; NumSGPRsForWavesPerEU: 6
; NumVGPRsForWavesPerEU: 1
; AccumOffset: 4
; Occupancy: 8
; WaveLimiterHint : 0
; COMPUTE_PGM_RSRC2:SCRATCH_EN: 0
; COMPUTE_PGM_RSRC2:USER_SGPR: 2
; COMPUTE_PGM_RSRC2:TRAP_HANDLER: 0
; COMPUTE_PGM_RSRC2:TGID_X_EN: 1
; COMPUTE_PGM_RSRC2:TGID_Y_EN: 0
; COMPUTE_PGM_RSRC2:TGID_Z_EN: 0
; COMPUTE_PGM_RSRC2:TIDIG_COMP_CNT: 0
; COMPUTE_PGM_RSRC3_GFX90A:ACCUM_OFFSET: 0
; COMPUTE_PGM_RSRC3_GFX90A:TG_SPLIT: 0
	.section	.text._ZN7rocprim17ROCPRIM_400000_NS6detail17trampoline_kernelINS0_14default_configENS1_27scan_by_key_config_selectorIssEEZZNS1_16scan_by_key_implILNS1_25lookback_scan_determinismE0ELb0ES3_N6thrust23THRUST_200600_302600_NS6detail15normal_iteratorINS9_10device_ptrIsEEEESE_SE_sNS9_10multipliesIsEENS9_8equal_toIsEEsEE10hipError_tPvRmT2_T3_T4_T5_mT6_T7_P12ihipStream_tbENKUlT_T0_E_clISt17integral_constantIbLb1EESY_IbLb0EEEEDaSU_SV_EUlSU_E_NS1_11comp_targetILNS1_3genE3ELNS1_11target_archE908ELNS1_3gpuE7ELNS1_3repE0EEENS1_30default_config_static_selectorELNS0_4arch9wavefront6targetE1EEEvT1_,"axG",@progbits,_ZN7rocprim17ROCPRIM_400000_NS6detail17trampoline_kernelINS0_14default_configENS1_27scan_by_key_config_selectorIssEEZZNS1_16scan_by_key_implILNS1_25lookback_scan_determinismE0ELb0ES3_N6thrust23THRUST_200600_302600_NS6detail15normal_iteratorINS9_10device_ptrIsEEEESE_SE_sNS9_10multipliesIsEENS9_8equal_toIsEEsEE10hipError_tPvRmT2_T3_T4_T5_mT6_T7_P12ihipStream_tbENKUlT_T0_E_clISt17integral_constantIbLb1EESY_IbLb0EEEEDaSU_SV_EUlSU_E_NS1_11comp_targetILNS1_3genE3ELNS1_11target_archE908ELNS1_3gpuE7ELNS1_3repE0EEENS1_30default_config_static_selectorELNS0_4arch9wavefront6targetE1EEEvT1_,comdat
	.protected	_ZN7rocprim17ROCPRIM_400000_NS6detail17trampoline_kernelINS0_14default_configENS1_27scan_by_key_config_selectorIssEEZZNS1_16scan_by_key_implILNS1_25lookback_scan_determinismE0ELb0ES3_N6thrust23THRUST_200600_302600_NS6detail15normal_iteratorINS9_10device_ptrIsEEEESE_SE_sNS9_10multipliesIsEENS9_8equal_toIsEEsEE10hipError_tPvRmT2_T3_T4_T5_mT6_T7_P12ihipStream_tbENKUlT_T0_E_clISt17integral_constantIbLb1EESY_IbLb0EEEEDaSU_SV_EUlSU_E_NS1_11comp_targetILNS1_3genE3ELNS1_11target_archE908ELNS1_3gpuE7ELNS1_3repE0EEENS1_30default_config_static_selectorELNS0_4arch9wavefront6targetE1EEEvT1_ ; -- Begin function _ZN7rocprim17ROCPRIM_400000_NS6detail17trampoline_kernelINS0_14default_configENS1_27scan_by_key_config_selectorIssEEZZNS1_16scan_by_key_implILNS1_25lookback_scan_determinismE0ELb0ES3_N6thrust23THRUST_200600_302600_NS6detail15normal_iteratorINS9_10device_ptrIsEEEESE_SE_sNS9_10multipliesIsEENS9_8equal_toIsEEsEE10hipError_tPvRmT2_T3_T4_T5_mT6_T7_P12ihipStream_tbENKUlT_T0_E_clISt17integral_constantIbLb1EESY_IbLb0EEEEDaSU_SV_EUlSU_E_NS1_11comp_targetILNS1_3genE3ELNS1_11target_archE908ELNS1_3gpuE7ELNS1_3repE0EEENS1_30default_config_static_selectorELNS0_4arch9wavefront6targetE1EEEvT1_
	.globl	_ZN7rocprim17ROCPRIM_400000_NS6detail17trampoline_kernelINS0_14default_configENS1_27scan_by_key_config_selectorIssEEZZNS1_16scan_by_key_implILNS1_25lookback_scan_determinismE0ELb0ES3_N6thrust23THRUST_200600_302600_NS6detail15normal_iteratorINS9_10device_ptrIsEEEESE_SE_sNS9_10multipliesIsEENS9_8equal_toIsEEsEE10hipError_tPvRmT2_T3_T4_T5_mT6_T7_P12ihipStream_tbENKUlT_T0_E_clISt17integral_constantIbLb1EESY_IbLb0EEEEDaSU_SV_EUlSU_E_NS1_11comp_targetILNS1_3genE3ELNS1_11target_archE908ELNS1_3gpuE7ELNS1_3repE0EEENS1_30default_config_static_selectorELNS0_4arch9wavefront6targetE1EEEvT1_
	.p2align	8
	.type	_ZN7rocprim17ROCPRIM_400000_NS6detail17trampoline_kernelINS0_14default_configENS1_27scan_by_key_config_selectorIssEEZZNS1_16scan_by_key_implILNS1_25lookback_scan_determinismE0ELb0ES3_N6thrust23THRUST_200600_302600_NS6detail15normal_iteratorINS9_10device_ptrIsEEEESE_SE_sNS9_10multipliesIsEENS9_8equal_toIsEEsEE10hipError_tPvRmT2_T3_T4_T5_mT6_T7_P12ihipStream_tbENKUlT_T0_E_clISt17integral_constantIbLb1EESY_IbLb0EEEEDaSU_SV_EUlSU_E_NS1_11comp_targetILNS1_3genE3ELNS1_11target_archE908ELNS1_3gpuE7ELNS1_3repE0EEENS1_30default_config_static_selectorELNS0_4arch9wavefront6targetE1EEEvT1_,@function
_ZN7rocprim17ROCPRIM_400000_NS6detail17trampoline_kernelINS0_14default_configENS1_27scan_by_key_config_selectorIssEEZZNS1_16scan_by_key_implILNS1_25lookback_scan_determinismE0ELb0ES3_N6thrust23THRUST_200600_302600_NS6detail15normal_iteratorINS9_10device_ptrIsEEEESE_SE_sNS9_10multipliesIsEENS9_8equal_toIsEEsEE10hipError_tPvRmT2_T3_T4_T5_mT6_T7_P12ihipStream_tbENKUlT_T0_E_clISt17integral_constantIbLb1EESY_IbLb0EEEEDaSU_SV_EUlSU_E_NS1_11comp_targetILNS1_3genE3ELNS1_11target_archE908ELNS1_3gpuE7ELNS1_3repE0EEENS1_30default_config_static_selectorELNS0_4arch9wavefront6targetE1EEEvT1_: ; @_ZN7rocprim17ROCPRIM_400000_NS6detail17trampoline_kernelINS0_14default_configENS1_27scan_by_key_config_selectorIssEEZZNS1_16scan_by_key_implILNS1_25lookback_scan_determinismE0ELb0ES3_N6thrust23THRUST_200600_302600_NS6detail15normal_iteratorINS9_10device_ptrIsEEEESE_SE_sNS9_10multipliesIsEENS9_8equal_toIsEEsEE10hipError_tPvRmT2_T3_T4_T5_mT6_T7_P12ihipStream_tbENKUlT_T0_E_clISt17integral_constantIbLb1EESY_IbLb0EEEEDaSU_SV_EUlSU_E_NS1_11comp_targetILNS1_3genE3ELNS1_11target_archE908ELNS1_3gpuE7ELNS1_3repE0EEENS1_30default_config_static_selectorELNS0_4arch9wavefront6targetE1EEEvT1_
; %bb.0:
	.section	.rodata,"a",@progbits
	.p2align	6, 0x0
	.amdhsa_kernel _ZN7rocprim17ROCPRIM_400000_NS6detail17trampoline_kernelINS0_14default_configENS1_27scan_by_key_config_selectorIssEEZZNS1_16scan_by_key_implILNS1_25lookback_scan_determinismE0ELb0ES3_N6thrust23THRUST_200600_302600_NS6detail15normal_iteratorINS9_10device_ptrIsEEEESE_SE_sNS9_10multipliesIsEENS9_8equal_toIsEEsEE10hipError_tPvRmT2_T3_T4_T5_mT6_T7_P12ihipStream_tbENKUlT_T0_E_clISt17integral_constantIbLb1EESY_IbLb0EEEEDaSU_SV_EUlSU_E_NS1_11comp_targetILNS1_3genE3ELNS1_11target_archE908ELNS1_3gpuE7ELNS1_3repE0EEENS1_30default_config_static_selectorELNS0_4arch9wavefront6targetE1EEEvT1_
		.amdhsa_group_segment_fixed_size 0
		.amdhsa_private_segment_fixed_size 0
		.amdhsa_kernarg_size 112
		.amdhsa_user_sgpr_count 2
		.amdhsa_user_sgpr_dispatch_ptr 0
		.amdhsa_user_sgpr_queue_ptr 0
		.amdhsa_user_sgpr_kernarg_segment_ptr 1
		.amdhsa_user_sgpr_dispatch_id 0
		.amdhsa_user_sgpr_kernarg_preload_length 0
		.amdhsa_user_sgpr_kernarg_preload_offset 0
		.amdhsa_user_sgpr_private_segment_size 0
		.amdhsa_uses_dynamic_stack 0
		.amdhsa_enable_private_segment 0
		.amdhsa_system_sgpr_workgroup_id_x 1
		.amdhsa_system_sgpr_workgroup_id_y 0
		.amdhsa_system_sgpr_workgroup_id_z 0
		.amdhsa_system_sgpr_workgroup_info 0
		.amdhsa_system_vgpr_workitem_id 0
		.amdhsa_next_free_vgpr 1
		.amdhsa_next_free_sgpr 0
		.amdhsa_accum_offset 4
		.amdhsa_reserve_vcc 0
		.amdhsa_float_round_mode_32 0
		.amdhsa_float_round_mode_16_64 0
		.amdhsa_float_denorm_mode_32 3
		.amdhsa_float_denorm_mode_16_64 3
		.amdhsa_dx10_clamp 1
		.amdhsa_ieee_mode 1
		.amdhsa_fp16_overflow 0
		.amdhsa_tg_split 0
		.amdhsa_exception_fp_ieee_invalid_op 0
		.amdhsa_exception_fp_denorm_src 0
		.amdhsa_exception_fp_ieee_div_zero 0
		.amdhsa_exception_fp_ieee_overflow 0
		.amdhsa_exception_fp_ieee_underflow 0
		.amdhsa_exception_fp_ieee_inexact 0
		.amdhsa_exception_int_div_zero 0
	.end_amdhsa_kernel
	.section	.text._ZN7rocprim17ROCPRIM_400000_NS6detail17trampoline_kernelINS0_14default_configENS1_27scan_by_key_config_selectorIssEEZZNS1_16scan_by_key_implILNS1_25lookback_scan_determinismE0ELb0ES3_N6thrust23THRUST_200600_302600_NS6detail15normal_iteratorINS9_10device_ptrIsEEEESE_SE_sNS9_10multipliesIsEENS9_8equal_toIsEEsEE10hipError_tPvRmT2_T3_T4_T5_mT6_T7_P12ihipStream_tbENKUlT_T0_E_clISt17integral_constantIbLb1EESY_IbLb0EEEEDaSU_SV_EUlSU_E_NS1_11comp_targetILNS1_3genE3ELNS1_11target_archE908ELNS1_3gpuE7ELNS1_3repE0EEENS1_30default_config_static_selectorELNS0_4arch9wavefront6targetE1EEEvT1_,"axG",@progbits,_ZN7rocprim17ROCPRIM_400000_NS6detail17trampoline_kernelINS0_14default_configENS1_27scan_by_key_config_selectorIssEEZZNS1_16scan_by_key_implILNS1_25lookback_scan_determinismE0ELb0ES3_N6thrust23THRUST_200600_302600_NS6detail15normal_iteratorINS9_10device_ptrIsEEEESE_SE_sNS9_10multipliesIsEENS9_8equal_toIsEEsEE10hipError_tPvRmT2_T3_T4_T5_mT6_T7_P12ihipStream_tbENKUlT_T0_E_clISt17integral_constantIbLb1EESY_IbLb0EEEEDaSU_SV_EUlSU_E_NS1_11comp_targetILNS1_3genE3ELNS1_11target_archE908ELNS1_3gpuE7ELNS1_3repE0EEENS1_30default_config_static_selectorELNS0_4arch9wavefront6targetE1EEEvT1_,comdat
.Lfunc_end303:
	.size	_ZN7rocprim17ROCPRIM_400000_NS6detail17trampoline_kernelINS0_14default_configENS1_27scan_by_key_config_selectorIssEEZZNS1_16scan_by_key_implILNS1_25lookback_scan_determinismE0ELb0ES3_N6thrust23THRUST_200600_302600_NS6detail15normal_iteratorINS9_10device_ptrIsEEEESE_SE_sNS9_10multipliesIsEENS9_8equal_toIsEEsEE10hipError_tPvRmT2_T3_T4_T5_mT6_T7_P12ihipStream_tbENKUlT_T0_E_clISt17integral_constantIbLb1EESY_IbLb0EEEEDaSU_SV_EUlSU_E_NS1_11comp_targetILNS1_3genE3ELNS1_11target_archE908ELNS1_3gpuE7ELNS1_3repE0EEENS1_30default_config_static_selectorELNS0_4arch9wavefront6targetE1EEEvT1_, .Lfunc_end303-_ZN7rocprim17ROCPRIM_400000_NS6detail17trampoline_kernelINS0_14default_configENS1_27scan_by_key_config_selectorIssEEZZNS1_16scan_by_key_implILNS1_25lookback_scan_determinismE0ELb0ES3_N6thrust23THRUST_200600_302600_NS6detail15normal_iteratorINS9_10device_ptrIsEEEESE_SE_sNS9_10multipliesIsEENS9_8equal_toIsEEsEE10hipError_tPvRmT2_T3_T4_T5_mT6_T7_P12ihipStream_tbENKUlT_T0_E_clISt17integral_constantIbLb1EESY_IbLb0EEEEDaSU_SV_EUlSU_E_NS1_11comp_targetILNS1_3genE3ELNS1_11target_archE908ELNS1_3gpuE7ELNS1_3repE0EEENS1_30default_config_static_selectorELNS0_4arch9wavefront6targetE1EEEvT1_
                                        ; -- End function
	.section	.AMDGPU.csdata,"",@progbits
; Kernel info:
; codeLenInByte = 0
; NumSgprs: 6
; NumVgprs: 0
; NumAgprs: 0
; TotalNumVgprs: 0
; ScratchSize: 0
; MemoryBound: 0
; FloatMode: 240
; IeeeMode: 1
; LDSByteSize: 0 bytes/workgroup (compile time only)
; SGPRBlocks: 0
; VGPRBlocks: 0
; NumSGPRsForWavesPerEU: 6
; NumVGPRsForWavesPerEU: 1
; AccumOffset: 4
; Occupancy: 8
; WaveLimiterHint : 0
; COMPUTE_PGM_RSRC2:SCRATCH_EN: 0
; COMPUTE_PGM_RSRC2:USER_SGPR: 2
; COMPUTE_PGM_RSRC2:TRAP_HANDLER: 0
; COMPUTE_PGM_RSRC2:TGID_X_EN: 1
; COMPUTE_PGM_RSRC2:TGID_Y_EN: 0
; COMPUTE_PGM_RSRC2:TGID_Z_EN: 0
; COMPUTE_PGM_RSRC2:TIDIG_COMP_CNT: 0
; COMPUTE_PGM_RSRC3_GFX90A:ACCUM_OFFSET: 0
; COMPUTE_PGM_RSRC3_GFX90A:TG_SPLIT: 0
	.section	.text._ZN7rocprim17ROCPRIM_400000_NS6detail17trampoline_kernelINS0_14default_configENS1_27scan_by_key_config_selectorIssEEZZNS1_16scan_by_key_implILNS1_25lookback_scan_determinismE0ELb0ES3_N6thrust23THRUST_200600_302600_NS6detail15normal_iteratorINS9_10device_ptrIsEEEESE_SE_sNS9_10multipliesIsEENS9_8equal_toIsEEsEE10hipError_tPvRmT2_T3_T4_T5_mT6_T7_P12ihipStream_tbENKUlT_T0_E_clISt17integral_constantIbLb1EESY_IbLb0EEEEDaSU_SV_EUlSU_E_NS1_11comp_targetILNS1_3genE2ELNS1_11target_archE906ELNS1_3gpuE6ELNS1_3repE0EEENS1_30default_config_static_selectorELNS0_4arch9wavefront6targetE1EEEvT1_,"axG",@progbits,_ZN7rocprim17ROCPRIM_400000_NS6detail17trampoline_kernelINS0_14default_configENS1_27scan_by_key_config_selectorIssEEZZNS1_16scan_by_key_implILNS1_25lookback_scan_determinismE0ELb0ES3_N6thrust23THRUST_200600_302600_NS6detail15normal_iteratorINS9_10device_ptrIsEEEESE_SE_sNS9_10multipliesIsEENS9_8equal_toIsEEsEE10hipError_tPvRmT2_T3_T4_T5_mT6_T7_P12ihipStream_tbENKUlT_T0_E_clISt17integral_constantIbLb1EESY_IbLb0EEEEDaSU_SV_EUlSU_E_NS1_11comp_targetILNS1_3genE2ELNS1_11target_archE906ELNS1_3gpuE6ELNS1_3repE0EEENS1_30default_config_static_selectorELNS0_4arch9wavefront6targetE1EEEvT1_,comdat
	.protected	_ZN7rocprim17ROCPRIM_400000_NS6detail17trampoline_kernelINS0_14default_configENS1_27scan_by_key_config_selectorIssEEZZNS1_16scan_by_key_implILNS1_25lookback_scan_determinismE0ELb0ES3_N6thrust23THRUST_200600_302600_NS6detail15normal_iteratorINS9_10device_ptrIsEEEESE_SE_sNS9_10multipliesIsEENS9_8equal_toIsEEsEE10hipError_tPvRmT2_T3_T4_T5_mT6_T7_P12ihipStream_tbENKUlT_T0_E_clISt17integral_constantIbLb1EESY_IbLb0EEEEDaSU_SV_EUlSU_E_NS1_11comp_targetILNS1_3genE2ELNS1_11target_archE906ELNS1_3gpuE6ELNS1_3repE0EEENS1_30default_config_static_selectorELNS0_4arch9wavefront6targetE1EEEvT1_ ; -- Begin function _ZN7rocprim17ROCPRIM_400000_NS6detail17trampoline_kernelINS0_14default_configENS1_27scan_by_key_config_selectorIssEEZZNS1_16scan_by_key_implILNS1_25lookback_scan_determinismE0ELb0ES3_N6thrust23THRUST_200600_302600_NS6detail15normal_iteratorINS9_10device_ptrIsEEEESE_SE_sNS9_10multipliesIsEENS9_8equal_toIsEEsEE10hipError_tPvRmT2_T3_T4_T5_mT6_T7_P12ihipStream_tbENKUlT_T0_E_clISt17integral_constantIbLb1EESY_IbLb0EEEEDaSU_SV_EUlSU_E_NS1_11comp_targetILNS1_3genE2ELNS1_11target_archE906ELNS1_3gpuE6ELNS1_3repE0EEENS1_30default_config_static_selectorELNS0_4arch9wavefront6targetE1EEEvT1_
	.globl	_ZN7rocprim17ROCPRIM_400000_NS6detail17trampoline_kernelINS0_14default_configENS1_27scan_by_key_config_selectorIssEEZZNS1_16scan_by_key_implILNS1_25lookback_scan_determinismE0ELb0ES3_N6thrust23THRUST_200600_302600_NS6detail15normal_iteratorINS9_10device_ptrIsEEEESE_SE_sNS9_10multipliesIsEENS9_8equal_toIsEEsEE10hipError_tPvRmT2_T3_T4_T5_mT6_T7_P12ihipStream_tbENKUlT_T0_E_clISt17integral_constantIbLb1EESY_IbLb0EEEEDaSU_SV_EUlSU_E_NS1_11comp_targetILNS1_3genE2ELNS1_11target_archE906ELNS1_3gpuE6ELNS1_3repE0EEENS1_30default_config_static_selectorELNS0_4arch9wavefront6targetE1EEEvT1_
	.p2align	8
	.type	_ZN7rocprim17ROCPRIM_400000_NS6detail17trampoline_kernelINS0_14default_configENS1_27scan_by_key_config_selectorIssEEZZNS1_16scan_by_key_implILNS1_25lookback_scan_determinismE0ELb0ES3_N6thrust23THRUST_200600_302600_NS6detail15normal_iteratorINS9_10device_ptrIsEEEESE_SE_sNS9_10multipliesIsEENS9_8equal_toIsEEsEE10hipError_tPvRmT2_T3_T4_T5_mT6_T7_P12ihipStream_tbENKUlT_T0_E_clISt17integral_constantIbLb1EESY_IbLb0EEEEDaSU_SV_EUlSU_E_NS1_11comp_targetILNS1_3genE2ELNS1_11target_archE906ELNS1_3gpuE6ELNS1_3repE0EEENS1_30default_config_static_selectorELNS0_4arch9wavefront6targetE1EEEvT1_,@function
_ZN7rocprim17ROCPRIM_400000_NS6detail17trampoline_kernelINS0_14default_configENS1_27scan_by_key_config_selectorIssEEZZNS1_16scan_by_key_implILNS1_25lookback_scan_determinismE0ELb0ES3_N6thrust23THRUST_200600_302600_NS6detail15normal_iteratorINS9_10device_ptrIsEEEESE_SE_sNS9_10multipliesIsEENS9_8equal_toIsEEsEE10hipError_tPvRmT2_T3_T4_T5_mT6_T7_P12ihipStream_tbENKUlT_T0_E_clISt17integral_constantIbLb1EESY_IbLb0EEEEDaSU_SV_EUlSU_E_NS1_11comp_targetILNS1_3genE2ELNS1_11target_archE906ELNS1_3gpuE6ELNS1_3repE0EEENS1_30default_config_static_selectorELNS0_4arch9wavefront6targetE1EEEvT1_: ; @_ZN7rocprim17ROCPRIM_400000_NS6detail17trampoline_kernelINS0_14default_configENS1_27scan_by_key_config_selectorIssEEZZNS1_16scan_by_key_implILNS1_25lookback_scan_determinismE0ELb0ES3_N6thrust23THRUST_200600_302600_NS6detail15normal_iteratorINS9_10device_ptrIsEEEESE_SE_sNS9_10multipliesIsEENS9_8equal_toIsEEsEE10hipError_tPvRmT2_T3_T4_T5_mT6_T7_P12ihipStream_tbENKUlT_T0_E_clISt17integral_constantIbLb1EESY_IbLb0EEEEDaSU_SV_EUlSU_E_NS1_11comp_targetILNS1_3genE2ELNS1_11target_archE906ELNS1_3gpuE6ELNS1_3repE0EEENS1_30default_config_static_selectorELNS0_4arch9wavefront6targetE1EEEvT1_
; %bb.0:
	.section	.rodata,"a",@progbits
	.p2align	6, 0x0
	.amdhsa_kernel _ZN7rocprim17ROCPRIM_400000_NS6detail17trampoline_kernelINS0_14default_configENS1_27scan_by_key_config_selectorIssEEZZNS1_16scan_by_key_implILNS1_25lookback_scan_determinismE0ELb0ES3_N6thrust23THRUST_200600_302600_NS6detail15normal_iteratorINS9_10device_ptrIsEEEESE_SE_sNS9_10multipliesIsEENS9_8equal_toIsEEsEE10hipError_tPvRmT2_T3_T4_T5_mT6_T7_P12ihipStream_tbENKUlT_T0_E_clISt17integral_constantIbLb1EESY_IbLb0EEEEDaSU_SV_EUlSU_E_NS1_11comp_targetILNS1_3genE2ELNS1_11target_archE906ELNS1_3gpuE6ELNS1_3repE0EEENS1_30default_config_static_selectorELNS0_4arch9wavefront6targetE1EEEvT1_
		.amdhsa_group_segment_fixed_size 0
		.amdhsa_private_segment_fixed_size 0
		.amdhsa_kernarg_size 112
		.amdhsa_user_sgpr_count 2
		.amdhsa_user_sgpr_dispatch_ptr 0
		.amdhsa_user_sgpr_queue_ptr 0
		.amdhsa_user_sgpr_kernarg_segment_ptr 1
		.amdhsa_user_sgpr_dispatch_id 0
		.amdhsa_user_sgpr_kernarg_preload_length 0
		.amdhsa_user_sgpr_kernarg_preload_offset 0
		.amdhsa_user_sgpr_private_segment_size 0
		.amdhsa_uses_dynamic_stack 0
		.amdhsa_enable_private_segment 0
		.amdhsa_system_sgpr_workgroup_id_x 1
		.amdhsa_system_sgpr_workgroup_id_y 0
		.amdhsa_system_sgpr_workgroup_id_z 0
		.amdhsa_system_sgpr_workgroup_info 0
		.amdhsa_system_vgpr_workitem_id 0
		.amdhsa_next_free_vgpr 1
		.amdhsa_next_free_sgpr 0
		.amdhsa_accum_offset 4
		.amdhsa_reserve_vcc 0
		.amdhsa_float_round_mode_32 0
		.amdhsa_float_round_mode_16_64 0
		.amdhsa_float_denorm_mode_32 3
		.amdhsa_float_denorm_mode_16_64 3
		.amdhsa_dx10_clamp 1
		.amdhsa_ieee_mode 1
		.amdhsa_fp16_overflow 0
		.amdhsa_tg_split 0
		.amdhsa_exception_fp_ieee_invalid_op 0
		.amdhsa_exception_fp_denorm_src 0
		.amdhsa_exception_fp_ieee_div_zero 0
		.amdhsa_exception_fp_ieee_overflow 0
		.amdhsa_exception_fp_ieee_underflow 0
		.amdhsa_exception_fp_ieee_inexact 0
		.amdhsa_exception_int_div_zero 0
	.end_amdhsa_kernel
	.section	.text._ZN7rocprim17ROCPRIM_400000_NS6detail17trampoline_kernelINS0_14default_configENS1_27scan_by_key_config_selectorIssEEZZNS1_16scan_by_key_implILNS1_25lookback_scan_determinismE0ELb0ES3_N6thrust23THRUST_200600_302600_NS6detail15normal_iteratorINS9_10device_ptrIsEEEESE_SE_sNS9_10multipliesIsEENS9_8equal_toIsEEsEE10hipError_tPvRmT2_T3_T4_T5_mT6_T7_P12ihipStream_tbENKUlT_T0_E_clISt17integral_constantIbLb1EESY_IbLb0EEEEDaSU_SV_EUlSU_E_NS1_11comp_targetILNS1_3genE2ELNS1_11target_archE906ELNS1_3gpuE6ELNS1_3repE0EEENS1_30default_config_static_selectorELNS0_4arch9wavefront6targetE1EEEvT1_,"axG",@progbits,_ZN7rocprim17ROCPRIM_400000_NS6detail17trampoline_kernelINS0_14default_configENS1_27scan_by_key_config_selectorIssEEZZNS1_16scan_by_key_implILNS1_25lookback_scan_determinismE0ELb0ES3_N6thrust23THRUST_200600_302600_NS6detail15normal_iteratorINS9_10device_ptrIsEEEESE_SE_sNS9_10multipliesIsEENS9_8equal_toIsEEsEE10hipError_tPvRmT2_T3_T4_T5_mT6_T7_P12ihipStream_tbENKUlT_T0_E_clISt17integral_constantIbLb1EESY_IbLb0EEEEDaSU_SV_EUlSU_E_NS1_11comp_targetILNS1_3genE2ELNS1_11target_archE906ELNS1_3gpuE6ELNS1_3repE0EEENS1_30default_config_static_selectorELNS0_4arch9wavefront6targetE1EEEvT1_,comdat
.Lfunc_end304:
	.size	_ZN7rocprim17ROCPRIM_400000_NS6detail17trampoline_kernelINS0_14default_configENS1_27scan_by_key_config_selectorIssEEZZNS1_16scan_by_key_implILNS1_25lookback_scan_determinismE0ELb0ES3_N6thrust23THRUST_200600_302600_NS6detail15normal_iteratorINS9_10device_ptrIsEEEESE_SE_sNS9_10multipliesIsEENS9_8equal_toIsEEsEE10hipError_tPvRmT2_T3_T4_T5_mT6_T7_P12ihipStream_tbENKUlT_T0_E_clISt17integral_constantIbLb1EESY_IbLb0EEEEDaSU_SV_EUlSU_E_NS1_11comp_targetILNS1_3genE2ELNS1_11target_archE906ELNS1_3gpuE6ELNS1_3repE0EEENS1_30default_config_static_selectorELNS0_4arch9wavefront6targetE1EEEvT1_, .Lfunc_end304-_ZN7rocprim17ROCPRIM_400000_NS6detail17trampoline_kernelINS0_14default_configENS1_27scan_by_key_config_selectorIssEEZZNS1_16scan_by_key_implILNS1_25lookback_scan_determinismE0ELb0ES3_N6thrust23THRUST_200600_302600_NS6detail15normal_iteratorINS9_10device_ptrIsEEEESE_SE_sNS9_10multipliesIsEENS9_8equal_toIsEEsEE10hipError_tPvRmT2_T3_T4_T5_mT6_T7_P12ihipStream_tbENKUlT_T0_E_clISt17integral_constantIbLb1EESY_IbLb0EEEEDaSU_SV_EUlSU_E_NS1_11comp_targetILNS1_3genE2ELNS1_11target_archE906ELNS1_3gpuE6ELNS1_3repE0EEENS1_30default_config_static_selectorELNS0_4arch9wavefront6targetE1EEEvT1_
                                        ; -- End function
	.section	.AMDGPU.csdata,"",@progbits
; Kernel info:
; codeLenInByte = 0
; NumSgprs: 6
; NumVgprs: 0
; NumAgprs: 0
; TotalNumVgprs: 0
; ScratchSize: 0
; MemoryBound: 0
; FloatMode: 240
; IeeeMode: 1
; LDSByteSize: 0 bytes/workgroup (compile time only)
; SGPRBlocks: 0
; VGPRBlocks: 0
; NumSGPRsForWavesPerEU: 6
; NumVGPRsForWavesPerEU: 1
; AccumOffset: 4
; Occupancy: 8
; WaveLimiterHint : 0
; COMPUTE_PGM_RSRC2:SCRATCH_EN: 0
; COMPUTE_PGM_RSRC2:USER_SGPR: 2
; COMPUTE_PGM_RSRC2:TRAP_HANDLER: 0
; COMPUTE_PGM_RSRC2:TGID_X_EN: 1
; COMPUTE_PGM_RSRC2:TGID_Y_EN: 0
; COMPUTE_PGM_RSRC2:TGID_Z_EN: 0
; COMPUTE_PGM_RSRC2:TIDIG_COMP_CNT: 0
; COMPUTE_PGM_RSRC3_GFX90A:ACCUM_OFFSET: 0
; COMPUTE_PGM_RSRC3_GFX90A:TG_SPLIT: 0
	.section	.text._ZN7rocprim17ROCPRIM_400000_NS6detail17trampoline_kernelINS0_14default_configENS1_27scan_by_key_config_selectorIssEEZZNS1_16scan_by_key_implILNS1_25lookback_scan_determinismE0ELb0ES3_N6thrust23THRUST_200600_302600_NS6detail15normal_iteratorINS9_10device_ptrIsEEEESE_SE_sNS9_10multipliesIsEENS9_8equal_toIsEEsEE10hipError_tPvRmT2_T3_T4_T5_mT6_T7_P12ihipStream_tbENKUlT_T0_E_clISt17integral_constantIbLb1EESY_IbLb0EEEEDaSU_SV_EUlSU_E_NS1_11comp_targetILNS1_3genE10ELNS1_11target_archE1200ELNS1_3gpuE4ELNS1_3repE0EEENS1_30default_config_static_selectorELNS0_4arch9wavefront6targetE1EEEvT1_,"axG",@progbits,_ZN7rocprim17ROCPRIM_400000_NS6detail17trampoline_kernelINS0_14default_configENS1_27scan_by_key_config_selectorIssEEZZNS1_16scan_by_key_implILNS1_25lookback_scan_determinismE0ELb0ES3_N6thrust23THRUST_200600_302600_NS6detail15normal_iteratorINS9_10device_ptrIsEEEESE_SE_sNS9_10multipliesIsEENS9_8equal_toIsEEsEE10hipError_tPvRmT2_T3_T4_T5_mT6_T7_P12ihipStream_tbENKUlT_T0_E_clISt17integral_constantIbLb1EESY_IbLb0EEEEDaSU_SV_EUlSU_E_NS1_11comp_targetILNS1_3genE10ELNS1_11target_archE1200ELNS1_3gpuE4ELNS1_3repE0EEENS1_30default_config_static_selectorELNS0_4arch9wavefront6targetE1EEEvT1_,comdat
	.protected	_ZN7rocprim17ROCPRIM_400000_NS6detail17trampoline_kernelINS0_14default_configENS1_27scan_by_key_config_selectorIssEEZZNS1_16scan_by_key_implILNS1_25lookback_scan_determinismE0ELb0ES3_N6thrust23THRUST_200600_302600_NS6detail15normal_iteratorINS9_10device_ptrIsEEEESE_SE_sNS9_10multipliesIsEENS9_8equal_toIsEEsEE10hipError_tPvRmT2_T3_T4_T5_mT6_T7_P12ihipStream_tbENKUlT_T0_E_clISt17integral_constantIbLb1EESY_IbLb0EEEEDaSU_SV_EUlSU_E_NS1_11comp_targetILNS1_3genE10ELNS1_11target_archE1200ELNS1_3gpuE4ELNS1_3repE0EEENS1_30default_config_static_selectorELNS0_4arch9wavefront6targetE1EEEvT1_ ; -- Begin function _ZN7rocprim17ROCPRIM_400000_NS6detail17trampoline_kernelINS0_14default_configENS1_27scan_by_key_config_selectorIssEEZZNS1_16scan_by_key_implILNS1_25lookback_scan_determinismE0ELb0ES3_N6thrust23THRUST_200600_302600_NS6detail15normal_iteratorINS9_10device_ptrIsEEEESE_SE_sNS9_10multipliesIsEENS9_8equal_toIsEEsEE10hipError_tPvRmT2_T3_T4_T5_mT6_T7_P12ihipStream_tbENKUlT_T0_E_clISt17integral_constantIbLb1EESY_IbLb0EEEEDaSU_SV_EUlSU_E_NS1_11comp_targetILNS1_3genE10ELNS1_11target_archE1200ELNS1_3gpuE4ELNS1_3repE0EEENS1_30default_config_static_selectorELNS0_4arch9wavefront6targetE1EEEvT1_
	.globl	_ZN7rocprim17ROCPRIM_400000_NS6detail17trampoline_kernelINS0_14default_configENS1_27scan_by_key_config_selectorIssEEZZNS1_16scan_by_key_implILNS1_25lookback_scan_determinismE0ELb0ES3_N6thrust23THRUST_200600_302600_NS6detail15normal_iteratorINS9_10device_ptrIsEEEESE_SE_sNS9_10multipliesIsEENS9_8equal_toIsEEsEE10hipError_tPvRmT2_T3_T4_T5_mT6_T7_P12ihipStream_tbENKUlT_T0_E_clISt17integral_constantIbLb1EESY_IbLb0EEEEDaSU_SV_EUlSU_E_NS1_11comp_targetILNS1_3genE10ELNS1_11target_archE1200ELNS1_3gpuE4ELNS1_3repE0EEENS1_30default_config_static_selectorELNS0_4arch9wavefront6targetE1EEEvT1_
	.p2align	8
	.type	_ZN7rocprim17ROCPRIM_400000_NS6detail17trampoline_kernelINS0_14default_configENS1_27scan_by_key_config_selectorIssEEZZNS1_16scan_by_key_implILNS1_25lookback_scan_determinismE0ELb0ES3_N6thrust23THRUST_200600_302600_NS6detail15normal_iteratorINS9_10device_ptrIsEEEESE_SE_sNS9_10multipliesIsEENS9_8equal_toIsEEsEE10hipError_tPvRmT2_T3_T4_T5_mT6_T7_P12ihipStream_tbENKUlT_T0_E_clISt17integral_constantIbLb1EESY_IbLb0EEEEDaSU_SV_EUlSU_E_NS1_11comp_targetILNS1_3genE10ELNS1_11target_archE1200ELNS1_3gpuE4ELNS1_3repE0EEENS1_30default_config_static_selectorELNS0_4arch9wavefront6targetE1EEEvT1_,@function
_ZN7rocprim17ROCPRIM_400000_NS6detail17trampoline_kernelINS0_14default_configENS1_27scan_by_key_config_selectorIssEEZZNS1_16scan_by_key_implILNS1_25lookback_scan_determinismE0ELb0ES3_N6thrust23THRUST_200600_302600_NS6detail15normal_iteratorINS9_10device_ptrIsEEEESE_SE_sNS9_10multipliesIsEENS9_8equal_toIsEEsEE10hipError_tPvRmT2_T3_T4_T5_mT6_T7_P12ihipStream_tbENKUlT_T0_E_clISt17integral_constantIbLb1EESY_IbLb0EEEEDaSU_SV_EUlSU_E_NS1_11comp_targetILNS1_3genE10ELNS1_11target_archE1200ELNS1_3gpuE4ELNS1_3repE0EEENS1_30default_config_static_selectorELNS0_4arch9wavefront6targetE1EEEvT1_: ; @_ZN7rocprim17ROCPRIM_400000_NS6detail17trampoline_kernelINS0_14default_configENS1_27scan_by_key_config_selectorIssEEZZNS1_16scan_by_key_implILNS1_25lookback_scan_determinismE0ELb0ES3_N6thrust23THRUST_200600_302600_NS6detail15normal_iteratorINS9_10device_ptrIsEEEESE_SE_sNS9_10multipliesIsEENS9_8equal_toIsEEsEE10hipError_tPvRmT2_T3_T4_T5_mT6_T7_P12ihipStream_tbENKUlT_T0_E_clISt17integral_constantIbLb1EESY_IbLb0EEEEDaSU_SV_EUlSU_E_NS1_11comp_targetILNS1_3genE10ELNS1_11target_archE1200ELNS1_3gpuE4ELNS1_3repE0EEENS1_30default_config_static_selectorELNS0_4arch9wavefront6targetE1EEEvT1_
; %bb.0:
	.section	.rodata,"a",@progbits
	.p2align	6, 0x0
	.amdhsa_kernel _ZN7rocprim17ROCPRIM_400000_NS6detail17trampoline_kernelINS0_14default_configENS1_27scan_by_key_config_selectorIssEEZZNS1_16scan_by_key_implILNS1_25lookback_scan_determinismE0ELb0ES3_N6thrust23THRUST_200600_302600_NS6detail15normal_iteratorINS9_10device_ptrIsEEEESE_SE_sNS9_10multipliesIsEENS9_8equal_toIsEEsEE10hipError_tPvRmT2_T3_T4_T5_mT6_T7_P12ihipStream_tbENKUlT_T0_E_clISt17integral_constantIbLb1EESY_IbLb0EEEEDaSU_SV_EUlSU_E_NS1_11comp_targetILNS1_3genE10ELNS1_11target_archE1200ELNS1_3gpuE4ELNS1_3repE0EEENS1_30default_config_static_selectorELNS0_4arch9wavefront6targetE1EEEvT1_
		.amdhsa_group_segment_fixed_size 0
		.amdhsa_private_segment_fixed_size 0
		.amdhsa_kernarg_size 112
		.amdhsa_user_sgpr_count 2
		.amdhsa_user_sgpr_dispatch_ptr 0
		.amdhsa_user_sgpr_queue_ptr 0
		.amdhsa_user_sgpr_kernarg_segment_ptr 1
		.amdhsa_user_sgpr_dispatch_id 0
		.amdhsa_user_sgpr_kernarg_preload_length 0
		.amdhsa_user_sgpr_kernarg_preload_offset 0
		.amdhsa_user_sgpr_private_segment_size 0
		.amdhsa_uses_dynamic_stack 0
		.amdhsa_enable_private_segment 0
		.amdhsa_system_sgpr_workgroup_id_x 1
		.amdhsa_system_sgpr_workgroup_id_y 0
		.amdhsa_system_sgpr_workgroup_id_z 0
		.amdhsa_system_sgpr_workgroup_info 0
		.amdhsa_system_vgpr_workitem_id 0
		.amdhsa_next_free_vgpr 1
		.amdhsa_next_free_sgpr 0
		.amdhsa_accum_offset 4
		.amdhsa_reserve_vcc 0
		.amdhsa_float_round_mode_32 0
		.amdhsa_float_round_mode_16_64 0
		.amdhsa_float_denorm_mode_32 3
		.amdhsa_float_denorm_mode_16_64 3
		.amdhsa_dx10_clamp 1
		.amdhsa_ieee_mode 1
		.amdhsa_fp16_overflow 0
		.amdhsa_tg_split 0
		.amdhsa_exception_fp_ieee_invalid_op 0
		.amdhsa_exception_fp_denorm_src 0
		.amdhsa_exception_fp_ieee_div_zero 0
		.amdhsa_exception_fp_ieee_overflow 0
		.amdhsa_exception_fp_ieee_underflow 0
		.amdhsa_exception_fp_ieee_inexact 0
		.amdhsa_exception_int_div_zero 0
	.end_amdhsa_kernel
	.section	.text._ZN7rocprim17ROCPRIM_400000_NS6detail17trampoline_kernelINS0_14default_configENS1_27scan_by_key_config_selectorIssEEZZNS1_16scan_by_key_implILNS1_25lookback_scan_determinismE0ELb0ES3_N6thrust23THRUST_200600_302600_NS6detail15normal_iteratorINS9_10device_ptrIsEEEESE_SE_sNS9_10multipliesIsEENS9_8equal_toIsEEsEE10hipError_tPvRmT2_T3_T4_T5_mT6_T7_P12ihipStream_tbENKUlT_T0_E_clISt17integral_constantIbLb1EESY_IbLb0EEEEDaSU_SV_EUlSU_E_NS1_11comp_targetILNS1_3genE10ELNS1_11target_archE1200ELNS1_3gpuE4ELNS1_3repE0EEENS1_30default_config_static_selectorELNS0_4arch9wavefront6targetE1EEEvT1_,"axG",@progbits,_ZN7rocprim17ROCPRIM_400000_NS6detail17trampoline_kernelINS0_14default_configENS1_27scan_by_key_config_selectorIssEEZZNS1_16scan_by_key_implILNS1_25lookback_scan_determinismE0ELb0ES3_N6thrust23THRUST_200600_302600_NS6detail15normal_iteratorINS9_10device_ptrIsEEEESE_SE_sNS9_10multipliesIsEENS9_8equal_toIsEEsEE10hipError_tPvRmT2_T3_T4_T5_mT6_T7_P12ihipStream_tbENKUlT_T0_E_clISt17integral_constantIbLb1EESY_IbLb0EEEEDaSU_SV_EUlSU_E_NS1_11comp_targetILNS1_3genE10ELNS1_11target_archE1200ELNS1_3gpuE4ELNS1_3repE0EEENS1_30default_config_static_selectorELNS0_4arch9wavefront6targetE1EEEvT1_,comdat
.Lfunc_end305:
	.size	_ZN7rocprim17ROCPRIM_400000_NS6detail17trampoline_kernelINS0_14default_configENS1_27scan_by_key_config_selectorIssEEZZNS1_16scan_by_key_implILNS1_25lookback_scan_determinismE0ELb0ES3_N6thrust23THRUST_200600_302600_NS6detail15normal_iteratorINS9_10device_ptrIsEEEESE_SE_sNS9_10multipliesIsEENS9_8equal_toIsEEsEE10hipError_tPvRmT2_T3_T4_T5_mT6_T7_P12ihipStream_tbENKUlT_T0_E_clISt17integral_constantIbLb1EESY_IbLb0EEEEDaSU_SV_EUlSU_E_NS1_11comp_targetILNS1_3genE10ELNS1_11target_archE1200ELNS1_3gpuE4ELNS1_3repE0EEENS1_30default_config_static_selectorELNS0_4arch9wavefront6targetE1EEEvT1_, .Lfunc_end305-_ZN7rocprim17ROCPRIM_400000_NS6detail17trampoline_kernelINS0_14default_configENS1_27scan_by_key_config_selectorIssEEZZNS1_16scan_by_key_implILNS1_25lookback_scan_determinismE0ELb0ES3_N6thrust23THRUST_200600_302600_NS6detail15normal_iteratorINS9_10device_ptrIsEEEESE_SE_sNS9_10multipliesIsEENS9_8equal_toIsEEsEE10hipError_tPvRmT2_T3_T4_T5_mT6_T7_P12ihipStream_tbENKUlT_T0_E_clISt17integral_constantIbLb1EESY_IbLb0EEEEDaSU_SV_EUlSU_E_NS1_11comp_targetILNS1_3genE10ELNS1_11target_archE1200ELNS1_3gpuE4ELNS1_3repE0EEENS1_30default_config_static_selectorELNS0_4arch9wavefront6targetE1EEEvT1_
                                        ; -- End function
	.section	.AMDGPU.csdata,"",@progbits
; Kernel info:
; codeLenInByte = 0
; NumSgprs: 6
; NumVgprs: 0
; NumAgprs: 0
; TotalNumVgprs: 0
; ScratchSize: 0
; MemoryBound: 0
; FloatMode: 240
; IeeeMode: 1
; LDSByteSize: 0 bytes/workgroup (compile time only)
; SGPRBlocks: 0
; VGPRBlocks: 0
; NumSGPRsForWavesPerEU: 6
; NumVGPRsForWavesPerEU: 1
; AccumOffset: 4
; Occupancy: 8
; WaveLimiterHint : 0
; COMPUTE_PGM_RSRC2:SCRATCH_EN: 0
; COMPUTE_PGM_RSRC2:USER_SGPR: 2
; COMPUTE_PGM_RSRC2:TRAP_HANDLER: 0
; COMPUTE_PGM_RSRC2:TGID_X_EN: 1
; COMPUTE_PGM_RSRC2:TGID_Y_EN: 0
; COMPUTE_PGM_RSRC2:TGID_Z_EN: 0
; COMPUTE_PGM_RSRC2:TIDIG_COMP_CNT: 0
; COMPUTE_PGM_RSRC3_GFX90A:ACCUM_OFFSET: 0
; COMPUTE_PGM_RSRC3_GFX90A:TG_SPLIT: 0
	.section	.text._ZN7rocprim17ROCPRIM_400000_NS6detail17trampoline_kernelINS0_14default_configENS1_27scan_by_key_config_selectorIssEEZZNS1_16scan_by_key_implILNS1_25lookback_scan_determinismE0ELb0ES3_N6thrust23THRUST_200600_302600_NS6detail15normal_iteratorINS9_10device_ptrIsEEEESE_SE_sNS9_10multipliesIsEENS9_8equal_toIsEEsEE10hipError_tPvRmT2_T3_T4_T5_mT6_T7_P12ihipStream_tbENKUlT_T0_E_clISt17integral_constantIbLb1EESY_IbLb0EEEEDaSU_SV_EUlSU_E_NS1_11comp_targetILNS1_3genE9ELNS1_11target_archE1100ELNS1_3gpuE3ELNS1_3repE0EEENS1_30default_config_static_selectorELNS0_4arch9wavefront6targetE1EEEvT1_,"axG",@progbits,_ZN7rocprim17ROCPRIM_400000_NS6detail17trampoline_kernelINS0_14default_configENS1_27scan_by_key_config_selectorIssEEZZNS1_16scan_by_key_implILNS1_25lookback_scan_determinismE0ELb0ES3_N6thrust23THRUST_200600_302600_NS6detail15normal_iteratorINS9_10device_ptrIsEEEESE_SE_sNS9_10multipliesIsEENS9_8equal_toIsEEsEE10hipError_tPvRmT2_T3_T4_T5_mT6_T7_P12ihipStream_tbENKUlT_T0_E_clISt17integral_constantIbLb1EESY_IbLb0EEEEDaSU_SV_EUlSU_E_NS1_11comp_targetILNS1_3genE9ELNS1_11target_archE1100ELNS1_3gpuE3ELNS1_3repE0EEENS1_30default_config_static_selectorELNS0_4arch9wavefront6targetE1EEEvT1_,comdat
	.protected	_ZN7rocprim17ROCPRIM_400000_NS6detail17trampoline_kernelINS0_14default_configENS1_27scan_by_key_config_selectorIssEEZZNS1_16scan_by_key_implILNS1_25lookback_scan_determinismE0ELb0ES3_N6thrust23THRUST_200600_302600_NS6detail15normal_iteratorINS9_10device_ptrIsEEEESE_SE_sNS9_10multipliesIsEENS9_8equal_toIsEEsEE10hipError_tPvRmT2_T3_T4_T5_mT6_T7_P12ihipStream_tbENKUlT_T0_E_clISt17integral_constantIbLb1EESY_IbLb0EEEEDaSU_SV_EUlSU_E_NS1_11comp_targetILNS1_3genE9ELNS1_11target_archE1100ELNS1_3gpuE3ELNS1_3repE0EEENS1_30default_config_static_selectorELNS0_4arch9wavefront6targetE1EEEvT1_ ; -- Begin function _ZN7rocprim17ROCPRIM_400000_NS6detail17trampoline_kernelINS0_14default_configENS1_27scan_by_key_config_selectorIssEEZZNS1_16scan_by_key_implILNS1_25lookback_scan_determinismE0ELb0ES3_N6thrust23THRUST_200600_302600_NS6detail15normal_iteratorINS9_10device_ptrIsEEEESE_SE_sNS9_10multipliesIsEENS9_8equal_toIsEEsEE10hipError_tPvRmT2_T3_T4_T5_mT6_T7_P12ihipStream_tbENKUlT_T0_E_clISt17integral_constantIbLb1EESY_IbLb0EEEEDaSU_SV_EUlSU_E_NS1_11comp_targetILNS1_3genE9ELNS1_11target_archE1100ELNS1_3gpuE3ELNS1_3repE0EEENS1_30default_config_static_selectorELNS0_4arch9wavefront6targetE1EEEvT1_
	.globl	_ZN7rocprim17ROCPRIM_400000_NS6detail17trampoline_kernelINS0_14default_configENS1_27scan_by_key_config_selectorIssEEZZNS1_16scan_by_key_implILNS1_25lookback_scan_determinismE0ELb0ES3_N6thrust23THRUST_200600_302600_NS6detail15normal_iteratorINS9_10device_ptrIsEEEESE_SE_sNS9_10multipliesIsEENS9_8equal_toIsEEsEE10hipError_tPvRmT2_T3_T4_T5_mT6_T7_P12ihipStream_tbENKUlT_T0_E_clISt17integral_constantIbLb1EESY_IbLb0EEEEDaSU_SV_EUlSU_E_NS1_11comp_targetILNS1_3genE9ELNS1_11target_archE1100ELNS1_3gpuE3ELNS1_3repE0EEENS1_30default_config_static_selectorELNS0_4arch9wavefront6targetE1EEEvT1_
	.p2align	8
	.type	_ZN7rocprim17ROCPRIM_400000_NS6detail17trampoline_kernelINS0_14default_configENS1_27scan_by_key_config_selectorIssEEZZNS1_16scan_by_key_implILNS1_25lookback_scan_determinismE0ELb0ES3_N6thrust23THRUST_200600_302600_NS6detail15normal_iteratorINS9_10device_ptrIsEEEESE_SE_sNS9_10multipliesIsEENS9_8equal_toIsEEsEE10hipError_tPvRmT2_T3_T4_T5_mT6_T7_P12ihipStream_tbENKUlT_T0_E_clISt17integral_constantIbLb1EESY_IbLb0EEEEDaSU_SV_EUlSU_E_NS1_11comp_targetILNS1_3genE9ELNS1_11target_archE1100ELNS1_3gpuE3ELNS1_3repE0EEENS1_30default_config_static_selectorELNS0_4arch9wavefront6targetE1EEEvT1_,@function
_ZN7rocprim17ROCPRIM_400000_NS6detail17trampoline_kernelINS0_14default_configENS1_27scan_by_key_config_selectorIssEEZZNS1_16scan_by_key_implILNS1_25lookback_scan_determinismE0ELb0ES3_N6thrust23THRUST_200600_302600_NS6detail15normal_iteratorINS9_10device_ptrIsEEEESE_SE_sNS9_10multipliesIsEENS9_8equal_toIsEEsEE10hipError_tPvRmT2_T3_T4_T5_mT6_T7_P12ihipStream_tbENKUlT_T0_E_clISt17integral_constantIbLb1EESY_IbLb0EEEEDaSU_SV_EUlSU_E_NS1_11comp_targetILNS1_3genE9ELNS1_11target_archE1100ELNS1_3gpuE3ELNS1_3repE0EEENS1_30default_config_static_selectorELNS0_4arch9wavefront6targetE1EEEvT1_: ; @_ZN7rocprim17ROCPRIM_400000_NS6detail17trampoline_kernelINS0_14default_configENS1_27scan_by_key_config_selectorIssEEZZNS1_16scan_by_key_implILNS1_25lookback_scan_determinismE0ELb0ES3_N6thrust23THRUST_200600_302600_NS6detail15normal_iteratorINS9_10device_ptrIsEEEESE_SE_sNS9_10multipliesIsEENS9_8equal_toIsEEsEE10hipError_tPvRmT2_T3_T4_T5_mT6_T7_P12ihipStream_tbENKUlT_T0_E_clISt17integral_constantIbLb1EESY_IbLb0EEEEDaSU_SV_EUlSU_E_NS1_11comp_targetILNS1_3genE9ELNS1_11target_archE1100ELNS1_3gpuE3ELNS1_3repE0EEENS1_30default_config_static_selectorELNS0_4arch9wavefront6targetE1EEEvT1_
; %bb.0:
	.section	.rodata,"a",@progbits
	.p2align	6, 0x0
	.amdhsa_kernel _ZN7rocprim17ROCPRIM_400000_NS6detail17trampoline_kernelINS0_14default_configENS1_27scan_by_key_config_selectorIssEEZZNS1_16scan_by_key_implILNS1_25lookback_scan_determinismE0ELb0ES3_N6thrust23THRUST_200600_302600_NS6detail15normal_iteratorINS9_10device_ptrIsEEEESE_SE_sNS9_10multipliesIsEENS9_8equal_toIsEEsEE10hipError_tPvRmT2_T3_T4_T5_mT6_T7_P12ihipStream_tbENKUlT_T0_E_clISt17integral_constantIbLb1EESY_IbLb0EEEEDaSU_SV_EUlSU_E_NS1_11comp_targetILNS1_3genE9ELNS1_11target_archE1100ELNS1_3gpuE3ELNS1_3repE0EEENS1_30default_config_static_selectorELNS0_4arch9wavefront6targetE1EEEvT1_
		.amdhsa_group_segment_fixed_size 0
		.amdhsa_private_segment_fixed_size 0
		.amdhsa_kernarg_size 112
		.amdhsa_user_sgpr_count 2
		.amdhsa_user_sgpr_dispatch_ptr 0
		.amdhsa_user_sgpr_queue_ptr 0
		.amdhsa_user_sgpr_kernarg_segment_ptr 1
		.amdhsa_user_sgpr_dispatch_id 0
		.amdhsa_user_sgpr_kernarg_preload_length 0
		.amdhsa_user_sgpr_kernarg_preload_offset 0
		.amdhsa_user_sgpr_private_segment_size 0
		.amdhsa_uses_dynamic_stack 0
		.amdhsa_enable_private_segment 0
		.amdhsa_system_sgpr_workgroup_id_x 1
		.amdhsa_system_sgpr_workgroup_id_y 0
		.amdhsa_system_sgpr_workgroup_id_z 0
		.amdhsa_system_sgpr_workgroup_info 0
		.amdhsa_system_vgpr_workitem_id 0
		.amdhsa_next_free_vgpr 1
		.amdhsa_next_free_sgpr 0
		.amdhsa_accum_offset 4
		.amdhsa_reserve_vcc 0
		.amdhsa_float_round_mode_32 0
		.amdhsa_float_round_mode_16_64 0
		.amdhsa_float_denorm_mode_32 3
		.amdhsa_float_denorm_mode_16_64 3
		.amdhsa_dx10_clamp 1
		.amdhsa_ieee_mode 1
		.amdhsa_fp16_overflow 0
		.amdhsa_tg_split 0
		.amdhsa_exception_fp_ieee_invalid_op 0
		.amdhsa_exception_fp_denorm_src 0
		.amdhsa_exception_fp_ieee_div_zero 0
		.amdhsa_exception_fp_ieee_overflow 0
		.amdhsa_exception_fp_ieee_underflow 0
		.amdhsa_exception_fp_ieee_inexact 0
		.amdhsa_exception_int_div_zero 0
	.end_amdhsa_kernel
	.section	.text._ZN7rocprim17ROCPRIM_400000_NS6detail17trampoline_kernelINS0_14default_configENS1_27scan_by_key_config_selectorIssEEZZNS1_16scan_by_key_implILNS1_25lookback_scan_determinismE0ELb0ES3_N6thrust23THRUST_200600_302600_NS6detail15normal_iteratorINS9_10device_ptrIsEEEESE_SE_sNS9_10multipliesIsEENS9_8equal_toIsEEsEE10hipError_tPvRmT2_T3_T4_T5_mT6_T7_P12ihipStream_tbENKUlT_T0_E_clISt17integral_constantIbLb1EESY_IbLb0EEEEDaSU_SV_EUlSU_E_NS1_11comp_targetILNS1_3genE9ELNS1_11target_archE1100ELNS1_3gpuE3ELNS1_3repE0EEENS1_30default_config_static_selectorELNS0_4arch9wavefront6targetE1EEEvT1_,"axG",@progbits,_ZN7rocprim17ROCPRIM_400000_NS6detail17trampoline_kernelINS0_14default_configENS1_27scan_by_key_config_selectorIssEEZZNS1_16scan_by_key_implILNS1_25lookback_scan_determinismE0ELb0ES3_N6thrust23THRUST_200600_302600_NS6detail15normal_iteratorINS9_10device_ptrIsEEEESE_SE_sNS9_10multipliesIsEENS9_8equal_toIsEEsEE10hipError_tPvRmT2_T3_T4_T5_mT6_T7_P12ihipStream_tbENKUlT_T0_E_clISt17integral_constantIbLb1EESY_IbLb0EEEEDaSU_SV_EUlSU_E_NS1_11comp_targetILNS1_3genE9ELNS1_11target_archE1100ELNS1_3gpuE3ELNS1_3repE0EEENS1_30default_config_static_selectorELNS0_4arch9wavefront6targetE1EEEvT1_,comdat
.Lfunc_end306:
	.size	_ZN7rocprim17ROCPRIM_400000_NS6detail17trampoline_kernelINS0_14default_configENS1_27scan_by_key_config_selectorIssEEZZNS1_16scan_by_key_implILNS1_25lookback_scan_determinismE0ELb0ES3_N6thrust23THRUST_200600_302600_NS6detail15normal_iteratorINS9_10device_ptrIsEEEESE_SE_sNS9_10multipliesIsEENS9_8equal_toIsEEsEE10hipError_tPvRmT2_T3_T4_T5_mT6_T7_P12ihipStream_tbENKUlT_T0_E_clISt17integral_constantIbLb1EESY_IbLb0EEEEDaSU_SV_EUlSU_E_NS1_11comp_targetILNS1_3genE9ELNS1_11target_archE1100ELNS1_3gpuE3ELNS1_3repE0EEENS1_30default_config_static_selectorELNS0_4arch9wavefront6targetE1EEEvT1_, .Lfunc_end306-_ZN7rocprim17ROCPRIM_400000_NS6detail17trampoline_kernelINS0_14default_configENS1_27scan_by_key_config_selectorIssEEZZNS1_16scan_by_key_implILNS1_25lookback_scan_determinismE0ELb0ES3_N6thrust23THRUST_200600_302600_NS6detail15normal_iteratorINS9_10device_ptrIsEEEESE_SE_sNS9_10multipliesIsEENS9_8equal_toIsEEsEE10hipError_tPvRmT2_T3_T4_T5_mT6_T7_P12ihipStream_tbENKUlT_T0_E_clISt17integral_constantIbLb1EESY_IbLb0EEEEDaSU_SV_EUlSU_E_NS1_11comp_targetILNS1_3genE9ELNS1_11target_archE1100ELNS1_3gpuE3ELNS1_3repE0EEENS1_30default_config_static_selectorELNS0_4arch9wavefront6targetE1EEEvT1_
                                        ; -- End function
	.section	.AMDGPU.csdata,"",@progbits
; Kernel info:
; codeLenInByte = 0
; NumSgprs: 6
; NumVgprs: 0
; NumAgprs: 0
; TotalNumVgprs: 0
; ScratchSize: 0
; MemoryBound: 0
; FloatMode: 240
; IeeeMode: 1
; LDSByteSize: 0 bytes/workgroup (compile time only)
; SGPRBlocks: 0
; VGPRBlocks: 0
; NumSGPRsForWavesPerEU: 6
; NumVGPRsForWavesPerEU: 1
; AccumOffset: 4
; Occupancy: 8
; WaveLimiterHint : 0
; COMPUTE_PGM_RSRC2:SCRATCH_EN: 0
; COMPUTE_PGM_RSRC2:USER_SGPR: 2
; COMPUTE_PGM_RSRC2:TRAP_HANDLER: 0
; COMPUTE_PGM_RSRC2:TGID_X_EN: 1
; COMPUTE_PGM_RSRC2:TGID_Y_EN: 0
; COMPUTE_PGM_RSRC2:TGID_Z_EN: 0
; COMPUTE_PGM_RSRC2:TIDIG_COMP_CNT: 0
; COMPUTE_PGM_RSRC3_GFX90A:ACCUM_OFFSET: 0
; COMPUTE_PGM_RSRC3_GFX90A:TG_SPLIT: 0
	.section	.text._ZN7rocprim17ROCPRIM_400000_NS6detail17trampoline_kernelINS0_14default_configENS1_27scan_by_key_config_selectorIssEEZZNS1_16scan_by_key_implILNS1_25lookback_scan_determinismE0ELb0ES3_N6thrust23THRUST_200600_302600_NS6detail15normal_iteratorINS9_10device_ptrIsEEEESE_SE_sNS9_10multipliesIsEENS9_8equal_toIsEEsEE10hipError_tPvRmT2_T3_T4_T5_mT6_T7_P12ihipStream_tbENKUlT_T0_E_clISt17integral_constantIbLb1EESY_IbLb0EEEEDaSU_SV_EUlSU_E_NS1_11comp_targetILNS1_3genE8ELNS1_11target_archE1030ELNS1_3gpuE2ELNS1_3repE0EEENS1_30default_config_static_selectorELNS0_4arch9wavefront6targetE1EEEvT1_,"axG",@progbits,_ZN7rocprim17ROCPRIM_400000_NS6detail17trampoline_kernelINS0_14default_configENS1_27scan_by_key_config_selectorIssEEZZNS1_16scan_by_key_implILNS1_25lookback_scan_determinismE0ELb0ES3_N6thrust23THRUST_200600_302600_NS6detail15normal_iteratorINS9_10device_ptrIsEEEESE_SE_sNS9_10multipliesIsEENS9_8equal_toIsEEsEE10hipError_tPvRmT2_T3_T4_T5_mT6_T7_P12ihipStream_tbENKUlT_T0_E_clISt17integral_constantIbLb1EESY_IbLb0EEEEDaSU_SV_EUlSU_E_NS1_11comp_targetILNS1_3genE8ELNS1_11target_archE1030ELNS1_3gpuE2ELNS1_3repE0EEENS1_30default_config_static_selectorELNS0_4arch9wavefront6targetE1EEEvT1_,comdat
	.protected	_ZN7rocprim17ROCPRIM_400000_NS6detail17trampoline_kernelINS0_14default_configENS1_27scan_by_key_config_selectorIssEEZZNS1_16scan_by_key_implILNS1_25lookback_scan_determinismE0ELb0ES3_N6thrust23THRUST_200600_302600_NS6detail15normal_iteratorINS9_10device_ptrIsEEEESE_SE_sNS9_10multipliesIsEENS9_8equal_toIsEEsEE10hipError_tPvRmT2_T3_T4_T5_mT6_T7_P12ihipStream_tbENKUlT_T0_E_clISt17integral_constantIbLb1EESY_IbLb0EEEEDaSU_SV_EUlSU_E_NS1_11comp_targetILNS1_3genE8ELNS1_11target_archE1030ELNS1_3gpuE2ELNS1_3repE0EEENS1_30default_config_static_selectorELNS0_4arch9wavefront6targetE1EEEvT1_ ; -- Begin function _ZN7rocprim17ROCPRIM_400000_NS6detail17trampoline_kernelINS0_14default_configENS1_27scan_by_key_config_selectorIssEEZZNS1_16scan_by_key_implILNS1_25lookback_scan_determinismE0ELb0ES3_N6thrust23THRUST_200600_302600_NS6detail15normal_iteratorINS9_10device_ptrIsEEEESE_SE_sNS9_10multipliesIsEENS9_8equal_toIsEEsEE10hipError_tPvRmT2_T3_T4_T5_mT6_T7_P12ihipStream_tbENKUlT_T0_E_clISt17integral_constantIbLb1EESY_IbLb0EEEEDaSU_SV_EUlSU_E_NS1_11comp_targetILNS1_3genE8ELNS1_11target_archE1030ELNS1_3gpuE2ELNS1_3repE0EEENS1_30default_config_static_selectorELNS0_4arch9wavefront6targetE1EEEvT1_
	.globl	_ZN7rocprim17ROCPRIM_400000_NS6detail17trampoline_kernelINS0_14default_configENS1_27scan_by_key_config_selectorIssEEZZNS1_16scan_by_key_implILNS1_25lookback_scan_determinismE0ELb0ES3_N6thrust23THRUST_200600_302600_NS6detail15normal_iteratorINS9_10device_ptrIsEEEESE_SE_sNS9_10multipliesIsEENS9_8equal_toIsEEsEE10hipError_tPvRmT2_T3_T4_T5_mT6_T7_P12ihipStream_tbENKUlT_T0_E_clISt17integral_constantIbLb1EESY_IbLb0EEEEDaSU_SV_EUlSU_E_NS1_11comp_targetILNS1_3genE8ELNS1_11target_archE1030ELNS1_3gpuE2ELNS1_3repE0EEENS1_30default_config_static_selectorELNS0_4arch9wavefront6targetE1EEEvT1_
	.p2align	8
	.type	_ZN7rocprim17ROCPRIM_400000_NS6detail17trampoline_kernelINS0_14default_configENS1_27scan_by_key_config_selectorIssEEZZNS1_16scan_by_key_implILNS1_25lookback_scan_determinismE0ELb0ES3_N6thrust23THRUST_200600_302600_NS6detail15normal_iteratorINS9_10device_ptrIsEEEESE_SE_sNS9_10multipliesIsEENS9_8equal_toIsEEsEE10hipError_tPvRmT2_T3_T4_T5_mT6_T7_P12ihipStream_tbENKUlT_T0_E_clISt17integral_constantIbLb1EESY_IbLb0EEEEDaSU_SV_EUlSU_E_NS1_11comp_targetILNS1_3genE8ELNS1_11target_archE1030ELNS1_3gpuE2ELNS1_3repE0EEENS1_30default_config_static_selectorELNS0_4arch9wavefront6targetE1EEEvT1_,@function
_ZN7rocprim17ROCPRIM_400000_NS6detail17trampoline_kernelINS0_14default_configENS1_27scan_by_key_config_selectorIssEEZZNS1_16scan_by_key_implILNS1_25lookback_scan_determinismE0ELb0ES3_N6thrust23THRUST_200600_302600_NS6detail15normal_iteratorINS9_10device_ptrIsEEEESE_SE_sNS9_10multipliesIsEENS9_8equal_toIsEEsEE10hipError_tPvRmT2_T3_T4_T5_mT6_T7_P12ihipStream_tbENKUlT_T0_E_clISt17integral_constantIbLb1EESY_IbLb0EEEEDaSU_SV_EUlSU_E_NS1_11comp_targetILNS1_3genE8ELNS1_11target_archE1030ELNS1_3gpuE2ELNS1_3repE0EEENS1_30default_config_static_selectorELNS0_4arch9wavefront6targetE1EEEvT1_: ; @_ZN7rocprim17ROCPRIM_400000_NS6detail17trampoline_kernelINS0_14default_configENS1_27scan_by_key_config_selectorIssEEZZNS1_16scan_by_key_implILNS1_25lookback_scan_determinismE0ELb0ES3_N6thrust23THRUST_200600_302600_NS6detail15normal_iteratorINS9_10device_ptrIsEEEESE_SE_sNS9_10multipliesIsEENS9_8equal_toIsEEsEE10hipError_tPvRmT2_T3_T4_T5_mT6_T7_P12ihipStream_tbENKUlT_T0_E_clISt17integral_constantIbLb1EESY_IbLb0EEEEDaSU_SV_EUlSU_E_NS1_11comp_targetILNS1_3genE8ELNS1_11target_archE1030ELNS1_3gpuE2ELNS1_3repE0EEENS1_30default_config_static_selectorELNS0_4arch9wavefront6targetE1EEEvT1_
; %bb.0:
	.section	.rodata,"a",@progbits
	.p2align	6, 0x0
	.amdhsa_kernel _ZN7rocprim17ROCPRIM_400000_NS6detail17trampoline_kernelINS0_14default_configENS1_27scan_by_key_config_selectorIssEEZZNS1_16scan_by_key_implILNS1_25lookback_scan_determinismE0ELb0ES3_N6thrust23THRUST_200600_302600_NS6detail15normal_iteratorINS9_10device_ptrIsEEEESE_SE_sNS9_10multipliesIsEENS9_8equal_toIsEEsEE10hipError_tPvRmT2_T3_T4_T5_mT6_T7_P12ihipStream_tbENKUlT_T0_E_clISt17integral_constantIbLb1EESY_IbLb0EEEEDaSU_SV_EUlSU_E_NS1_11comp_targetILNS1_3genE8ELNS1_11target_archE1030ELNS1_3gpuE2ELNS1_3repE0EEENS1_30default_config_static_selectorELNS0_4arch9wavefront6targetE1EEEvT1_
		.amdhsa_group_segment_fixed_size 0
		.amdhsa_private_segment_fixed_size 0
		.amdhsa_kernarg_size 112
		.amdhsa_user_sgpr_count 2
		.amdhsa_user_sgpr_dispatch_ptr 0
		.amdhsa_user_sgpr_queue_ptr 0
		.amdhsa_user_sgpr_kernarg_segment_ptr 1
		.amdhsa_user_sgpr_dispatch_id 0
		.amdhsa_user_sgpr_kernarg_preload_length 0
		.amdhsa_user_sgpr_kernarg_preload_offset 0
		.amdhsa_user_sgpr_private_segment_size 0
		.amdhsa_uses_dynamic_stack 0
		.amdhsa_enable_private_segment 0
		.amdhsa_system_sgpr_workgroup_id_x 1
		.amdhsa_system_sgpr_workgroup_id_y 0
		.amdhsa_system_sgpr_workgroup_id_z 0
		.amdhsa_system_sgpr_workgroup_info 0
		.amdhsa_system_vgpr_workitem_id 0
		.amdhsa_next_free_vgpr 1
		.amdhsa_next_free_sgpr 0
		.amdhsa_accum_offset 4
		.amdhsa_reserve_vcc 0
		.amdhsa_float_round_mode_32 0
		.amdhsa_float_round_mode_16_64 0
		.amdhsa_float_denorm_mode_32 3
		.amdhsa_float_denorm_mode_16_64 3
		.amdhsa_dx10_clamp 1
		.amdhsa_ieee_mode 1
		.amdhsa_fp16_overflow 0
		.amdhsa_tg_split 0
		.amdhsa_exception_fp_ieee_invalid_op 0
		.amdhsa_exception_fp_denorm_src 0
		.amdhsa_exception_fp_ieee_div_zero 0
		.amdhsa_exception_fp_ieee_overflow 0
		.amdhsa_exception_fp_ieee_underflow 0
		.amdhsa_exception_fp_ieee_inexact 0
		.amdhsa_exception_int_div_zero 0
	.end_amdhsa_kernel
	.section	.text._ZN7rocprim17ROCPRIM_400000_NS6detail17trampoline_kernelINS0_14default_configENS1_27scan_by_key_config_selectorIssEEZZNS1_16scan_by_key_implILNS1_25lookback_scan_determinismE0ELb0ES3_N6thrust23THRUST_200600_302600_NS6detail15normal_iteratorINS9_10device_ptrIsEEEESE_SE_sNS9_10multipliesIsEENS9_8equal_toIsEEsEE10hipError_tPvRmT2_T3_T4_T5_mT6_T7_P12ihipStream_tbENKUlT_T0_E_clISt17integral_constantIbLb1EESY_IbLb0EEEEDaSU_SV_EUlSU_E_NS1_11comp_targetILNS1_3genE8ELNS1_11target_archE1030ELNS1_3gpuE2ELNS1_3repE0EEENS1_30default_config_static_selectorELNS0_4arch9wavefront6targetE1EEEvT1_,"axG",@progbits,_ZN7rocprim17ROCPRIM_400000_NS6detail17trampoline_kernelINS0_14default_configENS1_27scan_by_key_config_selectorIssEEZZNS1_16scan_by_key_implILNS1_25lookback_scan_determinismE0ELb0ES3_N6thrust23THRUST_200600_302600_NS6detail15normal_iteratorINS9_10device_ptrIsEEEESE_SE_sNS9_10multipliesIsEENS9_8equal_toIsEEsEE10hipError_tPvRmT2_T3_T4_T5_mT6_T7_P12ihipStream_tbENKUlT_T0_E_clISt17integral_constantIbLb1EESY_IbLb0EEEEDaSU_SV_EUlSU_E_NS1_11comp_targetILNS1_3genE8ELNS1_11target_archE1030ELNS1_3gpuE2ELNS1_3repE0EEENS1_30default_config_static_selectorELNS0_4arch9wavefront6targetE1EEEvT1_,comdat
.Lfunc_end307:
	.size	_ZN7rocprim17ROCPRIM_400000_NS6detail17trampoline_kernelINS0_14default_configENS1_27scan_by_key_config_selectorIssEEZZNS1_16scan_by_key_implILNS1_25lookback_scan_determinismE0ELb0ES3_N6thrust23THRUST_200600_302600_NS6detail15normal_iteratorINS9_10device_ptrIsEEEESE_SE_sNS9_10multipliesIsEENS9_8equal_toIsEEsEE10hipError_tPvRmT2_T3_T4_T5_mT6_T7_P12ihipStream_tbENKUlT_T0_E_clISt17integral_constantIbLb1EESY_IbLb0EEEEDaSU_SV_EUlSU_E_NS1_11comp_targetILNS1_3genE8ELNS1_11target_archE1030ELNS1_3gpuE2ELNS1_3repE0EEENS1_30default_config_static_selectorELNS0_4arch9wavefront6targetE1EEEvT1_, .Lfunc_end307-_ZN7rocprim17ROCPRIM_400000_NS6detail17trampoline_kernelINS0_14default_configENS1_27scan_by_key_config_selectorIssEEZZNS1_16scan_by_key_implILNS1_25lookback_scan_determinismE0ELb0ES3_N6thrust23THRUST_200600_302600_NS6detail15normal_iteratorINS9_10device_ptrIsEEEESE_SE_sNS9_10multipliesIsEENS9_8equal_toIsEEsEE10hipError_tPvRmT2_T3_T4_T5_mT6_T7_P12ihipStream_tbENKUlT_T0_E_clISt17integral_constantIbLb1EESY_IbLb0EEEEDaSU_SV_EUlSU_E_NS1_11comp_targetILNS1_3genE8ELNS1_11target_archE1030ELNS1_3gpuE2ELNS1_3repE0EEENS1_30default_config_static_selectorELNS0_4arch9wavefront6targetE1EEEvT1_
                                        ; -- End function
	.section	.AMDGPU.csdata,"",@progbits
; Kernel info:
; codeLenInByte = 0
; NumSgprs: 6
; NumVgprs: 0
; NumAgprs: 0
; TotalNumVgprs: 0
; ScratchSize: 0
; MemoryBound: 0
; FloatMode: 240
; IeeeMode: 1
; LDSByteSize: 0 bytes/workgroup (compile time only)
; SGPRBlocks: 0
; VGPRBlocks: 0
; NumSGPRsForWavesPerEU: 6
; NumVGPRsForWavesPerEU: 1
; AccumOffset: 4
; Occupancy: 8
; WaveLimiterHint : 0
; COMPUTE_PGM_RSRC2:SCRATCH_EN: 0
; COMPUTE_PGM_RSRC2:USER_SGPR: 2
; COMPUTE_PGM_RSRC2:TRAP_HANDLER: 0
; COMPUTE_PGM_RSRC2:TGID_X_EN: 1
; COMPUTE_PGM_RSRC2:TGID_Y_EN: 0
; COMPUTE_PGM_RSRC2:TGID_Z_EN: 0
; COMPUTE_PGM_RSRC2:TIDIG_COMP_CNT: 0
; COMPUTE_PGM_RSRC3_GFX90A:ACCUM_OFFSET: 0
; COMPUTE_PGM_RSRC3_GFX90A:TG_SPLIT: 0
	.section	.text._ZN7rocprim17ROCPRIM_400000_NS6detail17trampoline_kernelINS0_14default_configENS1_27scan_by_key_config_selectorIssEEZZNS1_16scan_by_key_implILNS1_25lookback_scan_determinismE0ELb0ES3_N6thrust23THRUST_200600_302600_NS6detail15normal_iteratorINS9_10device_ptrIsEEEESE_SE_sNS9_10multipliesIsEENS9_8equal_toIsEEsEE10hipError_tPvRmT2_T3_T4_T5_mT6_T7_P12ihipStream_tbENKUlT_T0_E_clISt17integral_constantIbLb0EESY_IbLb1EEEEDaSU_SV_EUlSU_E_NS1_11comp_targetILNS1_3genE0ELNS1_11target_archE4294967295ELNS1_3gpuE0ELNS1_3repE0EEENS1_30default_config_static_selectorELNS0_4arch9wavefront6targetE1EEEvT1_,"axG",@progbits,_ZN7rocprim17ROCPRIM_400000_NS6detail17trampoline_kernelINS0_14default_configENS1_27scan_by_key_config_selectorIssEEZZNS1_16scan_by_key_implILNS1_25lookback_scan_determinismE0ELb0ES3_N6thrust23THRUST_200600_302600_NS6detail15normal_iteratorINS9_10device_ptrIsEEEESE_SE_sNS9_10multipliesIsEENS9_8equal_toIsEEsEE10hipError_tPvRmT2_T3_T4_T5_mT6_T7_P12ihipStream_tbENKUlT_T0_E_clISt17integral_constantIbLb0EESY_IbLb1EEEEDaSU_SV_EUlSU_E_NS1_11comp_targetILNS1_3genE0ELNS1_11target_archE4294967295ELNS1_3gpuE0ELNS1_3repE0EEENS1_30default_config_static_selectorELNS0_4arch9wavefront6targetE1EEEvT1_,comdat
	.protected	_ZN7rocprim17ROCPRIM_400000_NS6detail17trampoline_kernelINS0_14default_configENS1_27scan_by_key_config_selectorIssEEZZNS1_16scan_by_key_implILNS1_25lookback_scan_determinismE0ELb0ES3_N6thrust23THRUST_200600_302600_NS6detail15normal_iteratorINS9_10device_ptrIsEEEESE_SE_sNS9_10multipliesIsEENS9_8equal_toIsEEsEE10hipError_tPvRmT2_T3_T4_T5_mT6_T7_P12ihipStream_tbENKUlT_T0_E_clISt17integral_constantIbLb0EESY_IbLb1EEEEDaSU_SV_EUlSU_E_NS1_11comp_targetILNS1_3genE0ELNS1_11target_archE4294967295ELNS1_3gpuE0ELNS1_3repE0EEENS1_30default_config_static_selectorELNS0_4arch9wavefront6targetE1EEEvT1_ ; -- Begin function _ZN7rocprim17ROCPRIM_400000_NS6detail17trampoline_kernelINS0_14default_configENS1_27scan_by_key_config_selectorIssEEZZNS1_16scan_by_key_implILNS1_25lookback_scan_determinismE0ELb0ES3_N6thrust23THRUST_200600_302600_NS6detail15normal_iteratorINS9_10device_ptrIsEEEESE_SE_sNS9_10multipliesIsEENS9_8equal_toIsEEsEE10hipError_tPvRmT2_T3_T4_T5_mT6_T7_P12ihipStream_tbENKUlT_T0_E_clISt17integral_constantIbLb0EESY_IbLb1EEEEDaSU_SV_EUlSU_E_NS1_11comp_targetILNS1_3genE0ELNS1_11target_archE4294967295ELNS1_3gpuE0ELNS1_3repE0EEENS1_30default_config_static_selectorELNS0_4arch9wavefront6targetE1EEEvT1_
	.globl	_ZN7rocprim17ROCPRIM_400000_NS6detail17trampoline_kernelINS0_14default_configENS1_27scan_by_key_config_selectorIssEEZZNS1_16scan_by_key_implILNS1_25lookback_scan_determinismE0ELb0ES3_N6thrust23THRUST_200600_302600_NS6detail15normal_iteratorINS9_10device_ptrIsEEEESE_SE_sNS9_10multipliesIsEENS9_8equal_toIsEEsEE10hipError_tPvRmT2_T3_T4_T5_mT6_T7_P12ihipStream_tbENKUlT_T0_E_clISt17integral_constantIbLb0EESY_IbLb1EEEEDaSU_SV_EUlSU_E_NS1_11comp_targetILNS1_3genE0ELNS1_11target_archE4294967295ELNS1_3gpuE0ELNS1_3repE0EEENS1_30default_config_static_selectorELNS0_4arch9wavefront6targetE1EEEvT1_
	.p2align	8
	.type	_ZN7rocprim17ROCPRIM_400000_NS6detail17trampoline_kernelINS0_14default_configENS1_27scan_by_key_config_selectorIssEEZZNS1_16scan_by_key_implILNS1_25lookback_scan_determinismE0ELb0ES3_N6thrust23THRUST_200600_302600_NS6detail15normal_iteratorINS9_10device_ptrIsEEEESE_SE_sNS9_10multipliesIsEENS9_8equal_toIsEEsEE10hipError_tPvRmT2_T3_T4_T5_mT6_T7_P12ihipStream_tbENKUlT_T0_E_clISt17integral_constantIbLb0EESY_IbLb1EEEEDaSU_SV_EUlSU_E_NS1_11comp_targetILNS1_3genE0ELNS1_11target_archE4294967295ELNS1_3gpuE0ELNS1_3repE0EEENS1_30default_config_static_selectorELNS0_4arch9wavefront6targetE1EEEvT1_,@function
_ZN7rocprim17ROCPRIM_400000_NS6detail17trampoline_kernelINS0_14default_configENS1_27scan_by_key_config_selectorIssEEZZNS1_16scan_by_key_implILNS1_25lookback_scan_determinismE0ELb0ES3_N6thrust23THRUST_200600_302600_NS6detail15normal_iteratorINS9_10device_ptrIsEEEESE_SE_sNS9_10multipliesIsEENS9_8equal_toIsEEsEE10hipError_tPvRmT2_T3_T4_T5_mT6_T7_P12ihipStream_tbENKUlT_T0_E_clISt17integral_constantIbLb0EESY_IbLb1EEEEDaSU_SV_EUlSU_E_NS1_11comp_targetILNS1_3genE0ELNS1_11target_archE4294967295ELNS1_3gpuE0ELNS1_3repE0EEENS1_30default_config_static_selectorELNS0_4arch9wavefront6targetE1EEEvT1_: ; @_ZN7rocprim17ROCPRIM_400000_NS6detail17trampoline_kernelINS0_14default_configENS1_27scan_by_key_config_selectorIssEEZZNS1_16scan_by_key_implILNS1_25lookback_scan_determinismE0ELb0ES3_N6thrust23THRUST_200600_302600_NS6detail15normal_iteratorINS9_10device_ptrIsEEEESE_SE_sNS9_10multipliesIsEENS9_8equal_toIsEEsEE10hipError_tPvRmT2_T3_T4_T5_mT6_T7_P12ihipStream_tbENKUlT_T0_E_clISt17integral_constantIbLb0EESY_IbLb1EEEEDaSU_SV_EUlSU_E_NS1_11comp_targetILNS1_3genE0ELNS1_11target_archE4294967295ELNS1_3gpuE0ELNS1_3repE0EEENS1_30default_config_static_selectorELNS0_4arch9wavefront6targetE1EEEvT1_
; %bb.0:
	.section	.rodata,"a",@progbits
	.p2align	6, 0x0
	.amdhsa_kernel _ZN7rocprim17ROCPRIM_400000_NS6detail17trampoline_kernelINS0_14default_configENS1_27scan_by_key_config_selectorIssEEZZNS1_16scan_by_key_implILNS1_25lookback_scan_determinismE0ELb0ES3_N6thrust23THRUST_200600_302600_NS6detail15normal_iteratorINS9_10device_ptrIsEEEESE_SE_sNS9_10multipliesIsEENS9_8equal_toIsEEsEE10hipError_tPvRmT2_T3_T4_T5_mT6_T7_P12ihipStream_tbENKUlT_T0_E_clISt17integral_constantIbLb0EESY_IbLb1EEEEDaSU_SV_EUlSU_E_NS1_11comp_targetILNS1_3genE0ELNS1_11target_archE4294967295ELNS1_3gpuE0ELNS1_3repE0EEENS1_30default_config_static_selectorELNS0_4arch9wavefront6targetE1EEEvT1_
		.amdhsa_group_segment_fixed_size 0
		.amdhsa_private_segment_fixed_size 0
		.amdhsa_kernarg_size 112
		.amdhsa_user_sgpr_count 2
		.amdhsa_user_sgpr_dispatch_ptr 0
		.amdhsa_user_sgpr_queue_ptr 0
		.amdhsa_user_sgpr_kernarg_segment_ptr 1
		.amdhsa_user_sgpr_dispatch_id 0
		.amdhsa_user_sgpr_kernarg_preload_length 0
		.amdhsa_user_sgpr_kernarg_preload_offset 0
		.amdhsa_user_sgpr_private_segment_size 0
		.amdhsa_uses_dynamic_stack 0
		.amdhsa_enable_private_segment 0
		.amdhsa_system_sgpr_workgroup_id_x 1
		.amdhsa_system_sgpr_workgroup_id_y 0
		.amdhsa_system_sgpr_workgroup_id_z 0
		.amdhsa_system_sgpr_workgroup_info 0
		.amdhsa_system_vgpr_workitem_id 0
		.amdhsa_next_free_vgpr 1
		.amdhsa_next_free_sgpr 0
		.amdhsa_accum_offset 4
		.amdhsa_reserve_vcc 0
		.amdhsa_float_round_mode_32 0
		.amdhsa_float_round_mode_16_64 0
		.amdhsa_float_denorm_mode_32 3
		.amdhsa_float_denorm_mode_16_64 3
		.amdhsa_dx10_clamp 1
		.amdhsa_ieee_mode 1
		.amdhsa_fp16_overflow 0
		.amdhsa_tg_split 0
		.amdhsa_exception_fp_ieee_invalid_op 0
		.amdhsa_exception_fp_denorm_src 0
		.amdhsa_exception_fp_ieee_div_zero 0
		.amdhsa_exception_fp_ieee_overflow 0
		.amdhsa_exception_fp_ieee_underflow 0
		.amdhsa_exception_fp_ieee_inexact 0
		.amdhsa_exception_int_div_zero 0
	.end_amdhsa_kernel
	.section	.text._ZN7rocprim17ROCPRIM_400000_NS6detail17trampoline_kernelINS0_14default_configENS1_27scan_by_key_config_selectorIssEEZZNS1_16scan_by_key_implILNS1_25lookback_scan_determinismE0ELb0ES3_N6thrust23THRUST_200600_302600_NS6detail15normal_iteratorINS9_10device_ptrIsEEEESE_SE_sNS9_10multipliesIsEENS9_8equal_toIsEEsEE10hipError_tPvRmT2_T3_T4_T5_mT6_T7_P12ihipStream_tbENKUlT_T0_E_clISt17integral_constantIbLb0EESY_IbLb1EEEEDaSU_SV_EUlSU_E_NS1_11comp_targetILNS1_3genE0ELNS1_11target_archE4294967295ELNS1_3gpuE0ELNS1_3repE0EEENS1_30default_config_static_selectorELNS0_4arch9wavefront6targetE1EEEvT1_,"axG",@progbits,_ZN7rocprim17ROCPRIM_400000_NS6detail17trampoline_kernelINS0_14default_configENS1_27scan_by_key_config_selectorIssEEZZNS1_16scan_by_key_implILNS1_25lookback_scan_determinismE0ELb0ES3_N6thrust23THRUST_200600_302600_NS6detail15normal_iteratorINS9_10device_ptrIsEEEESE_SE_sNS9_10multipliesIsEENS9_8equal_toIsEEsEE10hipError_tPvRmT2_T3_T4_T5_mT6_T7_P12ihipStream_tbENKUlT_T0_E_clISt17integral_constantIbLb0EESY_IbLb1EEEEDaSU_SV_EUlSU_E_NS1_11comp_targetILNS1_3genE0ELNS1_11target_archE4294967295ELNS1_3gpuE0ELNS1_3repE0EEENS1_30default_config_static_selectorELNS0_4arch9wavefront6targetE1EEEvT1_,comdat
.Lfunc_end308:
	.size	_ZN7rocprim17ROCPRIM_400000_NS6detail17trampoline_kernelINS0_14default_configENS1_27scan_by_key_config_selectorIssEEZZNS1_16scan_by_key_implILNS1_25lookback_scan_determinismE0ELb0ES3_N6thrust23THRUST_200600_302600_NS6detail15normal_iteratorINS9_10device_ptrIsEEEESE_SE_sNS9_10multipliesIsEENS9_8equal_toIsEEsEE10hipError_tPvRmT2_T3_T4_T5_mT6_T7_P12ihipStream_tbENKUlT_T0_E_clISt17integral_constantIbLb0EESY_IbLb1EEEEDaSU_SV_EUlSU_E_NS1_11comp_targetILNS1_3genE0ELNS1_11target_archE4294967295ELNS1_3gpuE0ELNS1_3repE0EEENS1_30default_config_static_selectorELNS0_4arch9wavefront6targetE1EEEvT1_, .Lfunc_end308-_ZN7rocprim17ROCPRIM_400000_NS6detail17trampoline_kernelINS0_14default_configENS1_27scan_by_key_config_selectorIssEEZZNS1_16scan_by_key_implILNS1_25lookback_scan_determinismE0ELb0ES3_N6thrust23THRUST_200600_302600_NS6detail15normal_iteratorINS9_10device_ptrIsEEEESE_SE_sNS9_10multipliesIsEENS9_8equal_toIsEEsEE10hipError_tPvRmT2_T3_T4_T5_mT6_T7_P12ihipStream_tbENKUlT_T0_E_clISt17integral_constantIbLb0EESY_IbLb1EEEEDaSU_SV_EUlSU_E_NS1_11comp_targetILNS1_3genE0ELNS1_11target_archE4294967295ELNS1_3gpuE0ELNS1_3repE0EEENS1_30default_config_static_selectorELNS0_4arch9wavefront6targetE1EEEvT1_
                                        ; -- End function
	.section	.AMDGPU.csdata,"",@progbits
; Kernel info:
; codeLenInByte = 0
; NumSgprs: 6
; NumVgprs: 0
; NumAgprs: 0
; TotalNumVgprs: 0
; ScratchSize: 0
; MemoryBound: 0
; FloatMode: 240
; IeeeMode: 1
; LDSByteSize: 0 bytes/workgroup (compile time only)
; SGPRBlocks: 0
; VGPRBlocks: 0
; NumSGPRsForWavesPerEU: 6
; NumVGPRsForWavesPerEU: 1
; AccumOffset: 4
; Occupancy: 8
; WaveLimiterHint : 0
; COMPUTE_PGM_RSRC2:SCRATCH_EN: 0
; COMPUTE_PGM_RSRC2:USER_SGPR: 2
; COMPUTE_PGM_RSRC2:TRAP_HANDLER: 0
; COMPUTE_PGM_RSRC2:TGID_X_EN: 1
; COMPUTE_PGM_RSRC2:TGID_Y_EN: 0
; COMPUTE_PGM_RSRC2:TGID_Z_EN: 0
; COMPUTE_PGM_RSRC2:TIDIG_COMP_CNT: 0
; COMPUTE_PGM_RSRC3_GFX90A:ACCUM_OFFSET: 0
; COMPUTE_PGM_RSRC3_GFX90A:TG_SPLIT: 0
	.section	.text._ZN7rocprim17ROCPRIM_400000_NS6detail17trampoline_kernelINS0_14default_configENS1_27scan_by_key_config_selectorIssEEZZNS1_16scan_by_key_implILNS1_25lookback_scan_determinismE0ELb0ES3_N6thrust23THRUST_200600_302600_NS6detail15normal_iteratorINS9_10device_ptrIsEEEESE_SE_sNS9_10multipliesIsEENS9_8equal_toIsEEsEE10hipError_tPvRmT2_T3_T4_T5_mT6_T7_P12ihipStream_tbENKUlT_T0_E_clISt17integral_constantIbLb0EESY_IbLb1EEEEDaSU_SV_EUlSU_E_NS1_11comp_targetILNS1_3genE10ELNS1_11target_archE1201ELNS1_3gpuE5ELNS1_3repE0EEENS1_30default_config_static_selectorELNS0_4arch9wavefront6targetE1EEEvT1_,"axG",@progbits,_ZN7rocprim17ROCPRIM_400000_NS6detail17trampoline_kernelINS0_14default_configENS1_27scan_by_key_config_selectorIssEEZZNS1_16scan_by_key_implILNS1_25lookback_scan_determinismE0ELb0ES3_N6thrust23THRUST_200600_302600_NS6detail15normal_iteratorINS9_10device_ptrIsEEEESE_SE_sNS9_10multipliesIsEENS9_8equal_toIsEEsEE10hipError_tPvRmT2_T3_T4_T5_mT6_T7_P12ihipStream_tbENKUlT_T0_E_clISt17integral_constantIbLb0EESY_IbLb1EEEEDaSU_SV_EUlSU_E_NS1_11comp_targetILNS1_3genE10ELNS1_11target_archE1201ELNS1_3gpuE5ELNS1_3repE0EEENS1_30default_config_static_selectorELNS0_4arch9wavefront6targetE1EEEvT1_,comdat
	.protected	_ZN7rocprim17ROCPRIM_400000_NS6detail17trampoline_kernelINS0_14default_configENS1_27scan_by_key_config_selectorIssEEZZNS1_16scan_by_key_implILNS1_25lookback_scan_determinismE0ELb0ES3_N6thrust23THRUST_200600_302600_NS6detail15normal_iteratorINS9_10device_ptrIsEEEESE_SE_sNS9_10multipliesIsEENS9_8equal_toIsEEsEE10hipError_tPvRmT2_T3_T4_T5_mT6_T7_P12ihipStream_tbENKUlT_T0_E_clISt17integral_constantIbLb0EESY_IbLb1EEEEDaSU_SV_EUlSU_E_NS1_11comp_targetILNS1_3genE10ELNS1_11target_archE1201ELNS1_3gpuE5ELNS1_3repE0EEENS1_30default_config_static_selectorELNS0_4arch9wavefront6targetE1EEEvT1_ ; -- Begin function _ZN7rocprim17ROCPRIM_400000_NS6detail17trampoline_kernelINS0_14default_configENS1_27scan_by_key_config_selectorIssEEZZNS1_16scan_by_key_implILNS1_25lookback_scan_determinismE0ELb0ES3_N6thrust23THRUST_200600_302600_NS6detail15normal_iteratorINS9_10device_ptrIsEEEESE_SE_sNS9_10multipliesIsEENS9_8equal_toIsEEsEE10hipError_tPvRmT2_T3_T4_T5_mT6_T7_P12ihipStream_tbENKUlT_T0_E_clISt17integral_constantIbLb0EESY_IbLb1EEEEDaSU_SV_EUlSU_E_NS1_11comp_targetILNS1_3genE10ELNS1_11target_archE1201ELNS1_3gpuE5ELNS1_3repE0EEENS1_30default_config_static_selectorELNS0_4arch9wavefront6targetE1EEEvT1_
	.globl	_ZN7rocprim17ROCPRIM_400000_NS6detail17trampoline_kernelINS0_14default_configENS1_27scan_by_key_config_selectorIssEEZZNS1_16scan_by_key_implILNS1_25lookback_scan_determinismE0ELb0ES3_N6thrust23THRUST_200600_302600_NS6detail15normal_iteratorINS9_10device_ptrIsEEEESE_SE_sNS9_10multipliesIsEENS9_8equal_toIsEEsEE10hipError_tPvRmT2_T3_T4_T5_mT6_T7_P12ihipStream_tbENKUlT_T0_E_clISt17integral_constantIbLb0EESY_IbLb1EEEEDaSU_SV_EUlSU_E_NS1_11comp_targetILNS1_3genE10ELNS1_11target_archE1201ELNS1_3gpuE5ELNS1_3repE0EEENS1_30default_config_static_selectorELNS0_4arch9wavefront6targetE1EEEvT1_
	.p2align	8
	.type	_ZN7rocprim17ROCPRIM_400000_NS6detail17trampoline_kernelINS0_14default_configENS1_27scan_by_key_config_selectorIssEEZZNS1_16scan_by_key_implILNS1_25lookback_scan_determinismE0ELb0ES3_N6thrust23THRUST_200600_302600_NS6detail15normal_iteratorINS9_10device_ptrIsEEEESE_SE_sNS9_10multipliesIsEENS9_8equal_toIsEEsEE10hipError_tPvRmT2_T3_T4_T5_mT6_T7_P12ihipStream_tbENKUlT_T0_E_clISt17integral_constantIbLb0EESY_IbLb1EEEEDaSU_SV_EUlSU_E_NS1_11comp_targetILNS1_3genE10ELNS1_11target_archE1201ELNS1_3gpuE5ELNS1_3repE0EEENS1_30default_config_static_selectorELNS0_4arch9wavefront6targetE1EEEvT1_,@function
_ZN7rocprim17ROCPRIM_400000_NS6detail17trampoline_kernelINS0_14default_configENS1_27scan_by_key_config_selectorIssEEZZNS1_16scan_by_key_implILNS1_25lookback_scan_determinismE0ELb0ES3_N6thrust23THRUST_200600_302600_NS6detail15normal_iteratorINS9_10device_ptrIsEEEESE_SE_sNS9_10multipliesIsEENS9_8equal_toIsEEsEE10hipError_tPvRmT2_T3_T4_T5_mT6_T7_P12ihipStream_tbENKUlT_T0_E_clISt17integral_constantIbLb0EESY_IbLb1EEEEDaSU_SV_EUlSU_E_NS1_11comp_targetILNS1_3genE10ELNS1_11target_archE1201ELNS1_3gpuE5ELNS1_3repE0EEENS1_30default_config_static_selectorELNS0_4arch9wavefront6targetE1EEEvT1_: ; @_ZN7rocprim17ROCPRIM_400000_NS6detail17trampoline_kernelINS0_14default_configENS1_27scan_by_key_config_selectorIssEEZZNS1_16scan_by_key_implILNS1_25lookback_scan_determinismE0ELb0ES3_N6thrust23THRUST_200600_302600_NS6detail15normal_iteratorINS9_10device_ptrIsEEEESE_SE_sNS9_10multipliesIsEENS9_8equal_toIsEEsEE10hipError_tPvRmT2_T3_T4_T5_mT6_T7_P12ihipStream_tbENKUlT_T0_E_clISt17integral_constantIbLb0EESY_IbLb1EEEEDaSU_SV_EUlSU_E_NS1_11comp_targetILNS1_3genE10ELNS1_11target_archE1201ELNS1_3gpuE5ELNS1_3repE0EEENS1_30default_config_static_selectorELNS0_4arch9wavefront6targetE1EEEvT1_
; %bb.0:
	.section	.rodata,"a",@progbits
	.p2align	6, 0x0
	.amdhsa_kernel _ZN7rocprim17ROCPRIM_400000_NS6detail17trampoline_kernelINS0_14default_configENS1_27scan_by_key_config_selectorIssEEZZNS1_16scan_by_key_implILNS1_25lookback_scan_determinismE0ELb0ES3_N6thrust23THRUST_200600_302600_NS6detail15normal_iteratorINS9_10device_ptrIsEEEESE_SE_sNS9_10multipliesIsEENS9_8equal_toIsEEsEE10hipError_tPvRmT2_T3_T4_T5_mT6_T7_P12ihipStream_tbENKUlT_T0_E_clISt17integral_constantIbLb0EESY_IbLb1EEEEDaSU_SV_EUlSU_E_NS1_11comp_targetILNS1_3genE10ELNS1_11target_archE1201ELNS1_3gpuE5ELNS1_3repE0EEENS1_30default_config_static_selectorELNS0_4arch9wavefront6targetE1EEEvT1_
		.amdhsa_group_segment_fixed_size 0
		.amdhsa_private_segment_fixed_size 0
		.amdhsa_kernarg_size 112
		.amdhsa_user_sgpr_count 2
		.amdhsa_user_sgpr_dispatch_ptr 0
		.amdhsa_user_sgpr_queue_ptr 0
		.amdhsa_user_sgpr_kernarg_segment_ptr 1
		.amdhsa_user_sgpr_dispatch_id 0
		.amdhsa_user_sgpr_kernarg_preload_length 0
		.amdhsa_user_sgpr_kernarg_preload_offset 0
		.amdhsa_user_sgpr_private_segment_size 0
		.amdhsa_uses_dynamic_stack 0
		.amdhsa_enable_private_segment 0
		.amdhsa_system_sgpr_workgroup_id_x 1
		.amdhsa_system_sgpr_workgroup_id_y 0
		.amdhsa_system_sgpr_workgroup_id_z 0
		.amdhsa_system_sgpr_workgroup_info 0
		.amdhsa_system_vgpr_workitem_id 0
		.amdhsa_next_free_vgpr 1
		.amdhsa_next_free_sgpr 0
		.amdhsa_accum_offset 4
		.amdhsa_reserve_vcc 0
		.amdhsa_float_round_mode_32 0
		.amdhsa_float_round_mode_16_64 0
		.amdhsa_float_denorm_mode_32 3
		.amdhsa_float_denorm_mode_16_64 3
		.amdhsa_dx10_clamp 1
		.amdhsa_ieee_mode 1
		.amdhsa_fp16_overflow 0
		.amdhsa_tg_split 0
		.amdhsa_exception_fp_ieee_invalid_op 0
		.amdhsa_exception_fp_denorm_src 0
		.amdhsa_exception_fp_ieee_div_zero 0
		.amdhsa_exception_fp_ieee_overflow 0
		.amdhsa_exception_fp_ieee_underflow 0
		.amdhsa_exception_fp_ieee_inexact 0
		.amdhsa_exception_int_div_zero 0
	.end_amdhsa_kernel
	.section	.text._ZN7rocprim17ROCPRIM_400000_NS6detail17trampoline_kernelINS0_14default_configENS1_27scan_by_key_config_selectorIssEEZZNS1_16scan_by_key_implILNS1_25lookback_scan_determinismE0ELb0ES3_N6thrust23THRUST_200600_302600_NS6detail15normal_iteratorINS9_10device_ptrIsEEEESE_SE_sNS9_10multipliesIsEENS9_8equal_toIsEEsEE10hipError_tPvRmT2_T3_T4_T5_mT6_T7_P12ihipStream_tbENKUlT_T0_E_clISt17integral_constantIbLb0EESY_IbLb1EEEEDaSU_SV_EUlSU_E_NS1_11comp_targetILNS1_3genE10ELNS1_11target_archE1201ELNS1_3gpuE5ELNS1_3repE0EEENS1_30default_config_static_selectorELNS0_4arch9wavefront6targetE1EEEvT1_,"axG",@progbits,_ZN7rocprim17ROCPRIM_400000_NS6detail17trampoline_kernelINS0_14default_configENS1_27scan_by_key_config_selectorIssEEZZNS1_16scan_by_key_implILNS1_25lookback_scan_determinismE0ELb0ES3_N6thrust23THRUST_200600_302600_NS6detail15normal_iteratorINS9_10device_ptrIsEEEESE_SE_sNS9_10multipliesIsEENS9_8equal_toIsEEsEE10hipError_tPvRmT2_T3_T4_T5_mT6_T7_P12ihipStream_tbENKUlT_T0_E_clISt17integral_constantIbLb0EESY_IbLb1EEEEDaSU_SV_EUlSU_E_NS1_11comp_targetILNS1_3genE10ELNS1_11target_archE1201ELNS1_3gpuE5ELNS1_3repE0EEENS1_30default_config_static_selectorELNS0_4arch9wavefront6targetE1EEEvT1_,comdat
.Lfunc_end309:
	.size	_ZN7rocprim17ROCPRIM_400000_NS6detail17trampoline_kernelINS0_14default_configENS1_27scan_by_key_config_selectorIssEEZZNS1_16scan_by_key_implILNS1_25lookback_scan_determinismE0ELb0ES3_N6thrust23THRUST_200600_302600_NS6detail15normal_iteratorINS9_10device_ptrIsEEEESE_SE_sNS9_10multipliesIsEENS9_8equal_toIsEEsEE10hipError_tPvRmT2_T3_T4_T5_mT6_T7_P12ihipStream_tbENKUlT_T0_E_clISt17integral_constantIbLb0EESY_IbLb1EEEEDaSU_SV_EUlSU_E_NS1_11comp_targetILNS1_3genE10ELNS1_11target_archE1201ELNS1_3gpuE5ELNS1_3repE0EEENS1_30default_config_static_selectorELNS0_4arch9wavefront6targetE1EEEvT1_, .Lfunc_end309-_ZN7rocprim17ROCPRIM_400000_NS6detail17trampoline_kernelINS0_14default_configENS1_27scan_by_key_config_selectorIssEEZZNS1_16scan_by_key_implILNS1_25lookback_scan_determinismE0ELb0ES3_N6thrust23THRUST_200600_302600_NS6detail15normal_iteratorINS9_10device_ptrIsEEEESE_SE_sNS9_10multipliesIsEENS9_8equal_toIsEEsEE10hipError_tPvRmT2_T3_T4_T5_mT6_T7_P12ihipStream_tbENKUlT_T0_E_clISt17integral_constantIbLb0EESY_IbLb1EEEEDaSU_SV_EUlSU_E_NS1_11comp_targetILNS1_3genE10ELNS1_11target_archE1201ELNS1_3gpuE5ELNS1_3repE0EEENS1_30default_config_static_selectorELNS0_4arch9wavefront6targetE1EEEvT1_
                                        ; -- End function
	.section	.AMDGPU.csdata,"",@progbits
; Kernel info:
; codeLenInByte = 0
; NumSgprs: 6
; NumVgprs: 0
; NumAgprs: 0
; TotalNumVgprs: 0
; ScratchSize: 0
; MemoryBound: 0
; FloatMode: 240
; IeeeMode: 1
; LDSByteSize: 0 bytes/workgroup (compile time only)
; SGPRBlocks: 0
; VGPRBlocks: 0
; NumSGPRsForWavesPerEU: 6
; NumVGPRsForWavesPerEU: 1
; AccumOffset: 4
; Occupancy: 8
; WaveLimiterHint : 0
; COMPUTE_PGM_RSRC2:SCRATCH_EN: 0
; COMPUTE_PGM_RSRC2:USER_SGPR: 2
; COMPUTE_PGM_RSRC2:TRAP_HANDLER: 0
; COMPUTE_PGM_RSRC2:TGID_X_EN: 1
; COMPUTE_PGM_RSRC2:TGID_Y_EN: 0
; COMPUTE_PGM_RSRC2:TGID_Z_EN: 0
; COMPUTE_PGM_RSRC2:TIDIG_COMP_CNT: 0
; COMPUTE_PGM_RSRC3_GFX90A:ACCUM_OFFSET: 0
; COMPUTE_PGM_RSRC3_GFX90A:TG_SPLIT: 0
	.section	.text._ZN7rocprim17ROCPRIM_400000_NS6detail17trampoline_kernelINS0_14default_configENS1_27scan_by_key_config_selectorIssEEZZNS1_16scan_by_key_implILNS1_25lookback_scan_determinismE0ELb0ES3_N6thrust23THRUST_200600_302600_NS6detail15normal_iteratorINS9_10device_ptrIsEEEESE_SE_sNS9_10multipliesIsEENS9_8equal_toIsEEsEE10hipError_tPvRmT2_T3_T4_T5_mT6_T7_P12ihipStream_tbENKUlT_T0_E_clISt17integral_constantIbLb0EESY_IbLb1EEEEDaSU_SV_EUlSU_E_NS1_11comp_targetILNS1_3genE5ELNS1_11target_archE942ELNS1_3gpuE9ELNS1_3repE0EEENS1_30default_config_static_selectorELNS0_4arch9wavefront6targetE1EEEvT1_,"axG",@progbits,_ZN7rocprim17ROCPRIM_400000_NS6detail17trampoline_kernelINS0_14default_configENS1_27scan_by_key_config_selectorIssEEZZNS1_16scan_by_key_implILNS1_25lookback_scan_determinismE0ELb0ES3_N6thrust23THRUST_200600_302600_NS6detail15normal_iteratorINS9_10device_ptrIsEEEESE_SE_sNS9_10multipliesIsEENS9_8equal_toIsEEsEE10hipError_tPvRmT2_T3_T4_T5_mT6_T7_P12ihipStream_tbENKUlT_T0_E_clISt17integral_constantIbLb0EESY_IbLb1EEEEDaSU_SV_EUlSU_E_NS1_11comp_targetILNS1_3genE5ELNS1_11target_archE942ELNS1_3gpuE9ELNS1_3repE0EEENS1_30default_config_static_selectorELNS0_4arch9wavefront6targetE1EEEvT1_,comdat
	.protected	_ZN7rocprim17ROCPRIM_400000_NS6detail17trampoline_kernelINS0_14default_configENS1_27scan_by_key_config_selectorIssEEZZNS1_16scan_by_key_implILNS1_25lookback_scan_determinismE0ELb0ES3_N6thrust23THRUST_200600_302600_NS6detail15normal_iteratorINS9_10device_ptrIsEEEESE_SE_sNS9_10multipliesIsEENS9_8equal_toIsEEsEE10hipError_tPvRmT2_T3_T4_T5_mT6_T7_P12ihipStream_tbENKUlT_T0_E_clISt17integral_constantIbLb0EESY_IbLb1EEEEDaSU_SV_EUlSU_E_NS1_11comp_targetILNS1_3genE5ELNS1_11target_archE942ELNS1_3gpuE9ELNS1_3repE0EEENS1_30default_config_static_selectorELNS0_4arch9wavefront6targetE1EEEvT1_ ; -- Begin function _ZN7rocprim17ROCPRIM_400000_NS6detail17trampoline_kernelINS0_14default_configENS1_27scan_by_key_config_selectorIssEEZZNS1_16scan_by_key_implILNS1_25lookback_scan_determinismE0ELb0ES3_N6thrust23THRUST_200600_302600_NS6detail15normal_iteratorINS9_10device_ptrIsEEEESE_SE_sNS9_10multipliesIsEENS9_8equal_toIsEEsEE10hipError_tPvRmT2_T3_T4_T5_mT6_T7_P12ihipStream_tbENKUlT_T0_E_clISt17integral_constantIbLb0EESY_IbLb1EEEEDaSU_SV_EUlSU_E_NS1_11comp_targetILNS1_3genE5ELNS1_11target_archE942ELNS1_3gpuE9ELNS1_3repE0EEENS1_30default_config_static_selectorELNS0_4arch9wavefront6targetE1EEEvT1_
	.globl	_ZN7rocprim17ROCPRIM_400000_NS6detail17trampoline_kernelINS0_14default_configENS1_27scan_by_key_config_selectorIssEEZZNS1_16scan_by_key_implILNS1_25lookback_scan_determinismE0ELb0ES3_N6thrust23THRUST_200600_302600_NS6detail15normal_iteratorINS9_10device_ptrIsEEEESE_SE_sNS9_10multipliesIsEENS9_8equal_toIsEEsEE10hipError_tPvRmT2_T3_T4_T5_mT6_T7_P12ihipStream_tbENKUlT_T0_E_clISt17integral_constantIbLb0EESY_IbLb1EEEEDaSU_SV_EUlSU_E_NS1_11comp_targetILNS1_3genE5ELNS1_11target_archE942ELNS1_3gpuE9ELNS1_3repE0EEENS1_30default_config_static_selectorELNS0_4arch9wavefront6targetE1EEEvT1_
	.p2align	8
	.type	_ZN7rocprim17ROCPRIM_400000_NS6detail17trampoline_kernelINS0_14default_configENS1_27scan_by_key_config_selectorIssEEZZNS1_16scan_by_key_implILNS1_25lookback_scan_determinismE0ELb0ES3_N6thrust23THRUST_200600_302600_NS6detail15normal_iteratorINS9_10device_ptrIsEEEESE_SE_sNS9_10multipliesIsEENS9_8equal_toIsEEsEE10hipError_tPvRmT2_T3_T4_T5_mT6_T7_P12ihipStream_tbENKUlT_T0_E_clISt17integral_constantIbLb0EESY_IbLb1EEEEDaSU_SV_EUlSU_E_NS1_11comp_targetILNS1_3genE5ELNS1_11target_archE942ELNS1_3gpuE9ELNS1_3repE0EEENS1_30default_config_static_selectorELNS0_4arch9wavefront6targetE1EEEvT1_,@function
_ZN7rocprim17ROCPRIM_400000_NS6detail17trampoline_kernelINS0_14default_configENS1_27scan_by_key_config_selectorIssEEZZNS1_16scan_by_key_implILNS1_25lookback_scan_determinismE0ELb0ES3_N6thrust23THRUST_200600_302600_NS6detail15normal_iteratorINS9_10device_ptrIsEEEESE_SE_sNS9_10multipliesIsEENS9_8equal_toIsEEsEE10hipError_tPvRmT2_T3_T4_T5_mT6_T7_P12ihipStream_tbENKUlT_T0_E_clISt17integral_constantIbLb0EESY_IbLb1EEEEDaSU_SV_EUlSU_E_NS1_11comp_targetILNS1_3genE5ELNS1_11target_archE942ELNS1_3gpuE9ELNS1_3repE0EEENS1_30default_config_static_selectorELNS0_4arch9wavefront6targetE1EEEvT1_: ; @_ZN7rocprim17ROCPRIM_400000_NS6detail17trampoline_kernelINS0_14default_configENS1_27scan_by_key_config_selectorIssEEZZNS1_16scan_by_key_implILNS1_25lookback_scan_determinismE0ELb0ES3_N6thrust23THRUST_200600_302600_NS6detail15normal_iteratorINS9_10device_ptrIsEEEESE_SE_sNS9_10multipliesIsEENS9_8equal_toIsEEsEE10hipError_tPvRmT2_T3_T4_T5_mT6_T7_P12ihipStream_tbENKUlT_T0_E_clISt17integral_constantIbLb0EESY_IbLb1EEEEDaSU_SV_EUlSU_E_NS1_11comp_targetILNS1_3genE5ELNS1_11target_archE942ELNS1_3gpuE9ELNS1_3repE0EEENS1_30default_config_static_selectorELNS0_4arch9wavefront6targetE1EEEvT1_
; %bb.0:
	s_load_dwordx4 s[76:79], s[0:1], 0x28
	s_load_dwordx2 s[80:81], s[0:1], 0x38
	v_cmp_ne_u32_e64 s[4:5], 0, v0
	v_cmp_eq_u32_e64 s[56:57], 0, v0
	s_and_saveexec_b64 s[2:3], s[56:57]
	s_cbranch_execz .LBB310_4
; %bb.1:
	s_mov_b64 s[8:9], exec
	v_mbcnt_lo_u32_b32 v1, s8, 0
	v_mbcnt_hi_u32_b32 v1, s9, v1
	v_cmp_eq_u32_e32 vcc, 0, v1
                                        ; implicit-def: $vgpr2
	s_and_saveexec_b64 s[6:7], vcc
	s_cbranch_execz .LBB310_3
; %bb.2:
	s_load_dwordx2 s[10:11], s[0:1], 0x68
	s_bcnt1_i32_b64 s8, s[8:9]
	v_mov_b32_e32 v2, 0
	v_mov_b32_e32 v3, s8
	s_waitcnt lgkmcnt(0)
	global_atomic_add v2, v2, v3, s[10:11] sc0
.LBB310_3:
	s_or_b64 exec, exec, s[6:7]
	s_waitcnt vmcnt(0)
	v_readfirstlane_b32 s6, v2
	v_mov_b32_e32 v2, 0
	s_nop 0
	v_add_u32_e32 v1, s6, v1
	ds_write_b32 v2, v1
.LBB310_4:
	s_or_b64 exec, exec, s[2:3]
	s_load_dwordx8 s[60:67], s[0:1], 0x0
	s_load_dword s2, s[0:1], 0x40
	s_load_dwordx8 s[68:75], s[0:1], 0x48
	v_mov_b32_e32 v1, 0
	s_waitcnt lgkmcnt(0)
	s_barrier
	ds_read_b32 v1, v1
	s_lshl_b64 s[58:59], s[62:63], 1
	s_add_u32 s3, s60, s58
	s_addc_u32 s6, s61, s59
	s_add_u32 s7, s64, s58
	s_mul_i32 s0, s81, s2
	s_mul_hi_u32 s1, s80, s2
	s_addc_u32 s8, s65, s59
	s_add_i32 s9, s1, s0
	s_waitcnt lgkmcnt(0)
	v_readfirstlane_b32 s79, v1
	s_cmp_lg_u64 s[72:73], 0
	s_mov_b32 s1, 0
	s_mul_i32 s0, s79, 0x1800
	s_cselect_b64 s[72:73], -1, 0
	s_lshl_b64 s[60:61], s[0:1], 1
	s_add_u32 s64, s3, s60
	s_addc_u32 s65, s6, s61
	s_add_u32 s62, s7, s60
	s_mul_i32 s2, s80, s2
	s_addc_u32 s63, s8, s61
	s_add_u32 s82, s2, s79
	s_addc_u32 s83, s9, 0
	s_add_u32 s0, s68, -1
	s_addc_u32 s1, s69, -1
	v_mov_b64_e32 v[2:3], s[0:1]
	v_cmp_ge_u64_e64 s[2:3], s[82:83], v[2:3]
	s_mov_b64 s[12:13], 0
	s_mov_b64 s[6:7], -1
	s_and_b64 vcc, exec, s[2:3]
	s_mul_i32 s33, s0, 0xffffe800
	s_barrier
	s_barrier
	s_cbranch_vccz .LBB310_131
; %bb.5:
	v_mov_b64_e32 v[2:3], s[64:65]
	flat_load_ushort v1, v[2:3]
	s_add_i32 s86, s33, s78
	v_cmp_gt_u32_e64 s[6:7], s86, v0
	s_waitcnt vmcnt(0) lgkmcnt(0)
	v_mov_b32_e32 v22, v1
	s_and_saveexec_b64 s[0:1], s[6:7]
	s_cbranch_execz .LBB310_7
; %bb.6:
	v_lshlrev_b32_e32 v2, 1, v0
	v_mov_b32_e32 v3, 0
	v_lshl_add_u64 v[2:3], s[64:65], 0, v[2:3]
	flat_load_ushort v22, v[2:3]
.LBB310_7:
	s_or_b64 exec, exec, s[0:1]
	v_or_b32_e32 v2, 0x100, v0
	v_cmp_gt_u32_e64 s[8:9], s86, v2
	v_mov_b32_e32 v23, v1
	s_and_saveexec_b64 s[0:1], s[8:9]
	s_cbranch_execz .LBB310_9
; %bb.8:
	v_lshlrev_b32_e32 v2, 1, v0
	v_mov_b32_e32 v3, 0
	v_lshl_add_u64 v[2:3], s[64:65], 0, v[2:3]
	flat_load_ushort v23, v[2:3] offset:512
.LBB310_9:
	s_or_b64 exec, exec, s[0:1]
	v_or_b32_e32 v2, 0x200, v0
	v_cmp_gt_u32_e64 s[10:11], s86, v2
	v_mov_b32_e32 v24, v1
	s_and_saveexec_b64 s[0:1], s[10:11]
	s_cbranch_execz .LBB310_11
; %bb.10:
	v_lshlrev_b32_e32 v2, 1, v0
	v_mov_b32_e32 v3, 0
	v_lshl_add_u64 v[2:3], s[64:65], 0, v[2:3]
	flat_load_ushort v24, v[2:3] offset:1024
.LBB310_11:
	;; [unrolled: 12-line block ×7, first 2 shown]
	s_or_b64 exec, exec, s[0:1]
	v_or_b32_e32 v2, 0x800, v0
	v_cmp_gt_u32_e64 s[22:23], s86, v2
	v_lshlrev_b32_e32 v2, 1, v2
	v_mov_b32_e32 v3, v1
	s_and_saveexec_b64 s[0:1], s[22:23]
	s_cbranch_execz .LBB310_23
; %bb.22:
	v_mov_b32_e32 v3, 0
	v_lshl_add_u64 v[4:5], s[64:65], 0, v[2:3]
	flat_load_ushort v3, v[4:5]
.LBB310_23:
	s_or_b64 exec, exec, s[0:1]
	v_or_b32_e32 v4, 0x900, v0
	v_cmp_gt_u32_e64 s[24:25], s86, v4
	v_lshlrev_b32_e32 v4, 1, v4
	v_mov_b32_e32 v5, v1
	s_and_saveexec_b64 s[0:1], s[24:25]
	s_cbranch_execz .LBB310_25
; %bb.24:
	v_mov_b32_e32 v5, 0
	v_lshl_add_u64 v[6:7], s[64:65], 0, v[4:5]
	flat_load_ushort v5, v[6:7]
.LBB310_25:
	;; [unrolled: 12-line block ×15, first 2 shown]
	s_or_b64 exec, exec, s[0:1]
	v_or_b32_e32 v36, 0x1700, v0
	v_cmp_gt_u32_e64 s[54:55], s86, v36
	v_lshlrev_b32_e32 v46, 1, v36
	s_and_saveexec_b64 s[0:1], s[54:55]
	s_cbranch_execz .LBB310_53
; %bb.52:
	v_mov_b32_e32 v47, 0
	v_lshl_add_u64 v[36:37], s[64:65], 0, v[46:47]
	flat_load_ushort v1, v[36:37]
.LBB310_53:
	s_or_b64 exec, exec, s[0:1]
	v_lshlrev_b32_e32 v36, 1, v0
	v_mad_u32_u24 v48, v0, 46, v36
	s_waitcnt vmcnt(0) lgkmcnt(0)
	ds_write_b16 v36, v22
	ds_write_b16 v36, v23 offset:512
	ds_write_b16 v36, v24 offset:1024
	;; [unrolled: 1-line block ×23, first 2 shown]
	s_waitcnt lgkmcnt(0)
	s_barrier
	ds_read_b128 v[30:33], v48
	ds_read_b128 v[26:29], v48 offset:16
	ds_read_b128 v[22:25], v48 offset:32
	s_cmp_eq_u64 s[82:83], 0
	s_mov_b64 s[0:1], s[64:65]
	s_cbranch_scc1 .LBB310_57
; %bb.54:
	s_andn2_b64 vcc, exec, s[72:73]
	s_cbranch_vccnz .LBB310_319
; %bb.55:
	s_lshl_b64 s[0:1], s[82:83], 1
	s_add_u32 s0, s74, s0
	s_addc_u32 s1, s75, s1
	s_add_u32 s0, s0, -2
	s_addc_u32 s1, s1, -1
	s_cbranch_execnz .LBB310_57
.LBB310_56:
	s_add_u32 s0, s64, -2
	s_addc_u32 s1, s65, -1
.LBB310_57:
	v_mov_b64_e32 v[50:51], s[0:1]
	flat_load_ushort v50, v[50:51]
	s_movk_i32 s0, 0xffd2
	s_waitcnt lgkmcnt(0)
	v_lshrrev_b32_e32 v49, 16, v25
	v_mad_i32_i24 v1, v0, s0, v48
	ds_write_b16 v1, v49 offset:12288
	s_waitcnt lgkmcnt(0)
	s_barrier
	s_and_saveexec_b64 s[0:1], s[4:5]
	s_cbranch_execz .LBB310_59
; %bb.58:
	v_mul_i32_i24_e32 v1, 0xffffffd2, v0
	v_add_u32_e32 v1, v48, v1
	s_waitcnt vmcnt(0)
	ds_read_u16 v50, v1 offset:12286
.LBB310_59:
	s_or_b64 exec, exec, s[0:1]
	v_mov_b32_e32 v37, 0
	s_waitcnt lgkmcnt(0)
	s_barrier
	s_waitcnt lgkmcnt(0)
                                        ; implicit-def: $vgpr1
	s_and_saveexec_b64 s[0:1], s[6:7]
	s_cbranch_execnz .LBB310_296
; %bb.60:
	s_or_b64 exec, exec, s[0:1]
                                        ; implicit-def: $vgpr51
	s_and_saveexec_b64 s[0:1], s[8:9]
	s_cbranch_execnz .LBB310_297
.LBB310_61:
	s_or_b64 exec, exec, s[0:1]
                                        ; implicit-def: $vgpr52
	s_and_saveexec_b64 s[0:1], s[10:11]
	s_cbranch_execnz .LBB310_298
.LBB310_62:
	s_or_b64 exec, exec, s[0:1]
                                        ; implicit-def: $vgpr53
	s_and_saveexec_b64 s[0:1], s[12:13]
	s_cbranch_execnz .LBB310_299
.LBB310_63:
	s_or_b64 exec, exec, s[0:1]
                                        ; implicit-def: $vgpr54
	s_and_saveexec_b64 s[0:1], s[14:15]
	s_cbranch_execnz .LBB310_300
.LBB310_64:
	s_or_b64 exec, exec, s[0:1]
                                        ; implicit-def: $vgpr55
	s_and_saveexec_b64 s[0:1], s[16:17]
	s_cbranch_execnz .LBB310_301
.LBB310_65:
	s_or_b64 exec, exec, s[0:1]
                                        ; implicit-def: $vgpr56
	s_and_saveexec_b64 s[0:1], s[18:19]
	s_cbranch_execnz .LBB310_302
.LBB310_66:
	s_or_b64 exec, exec, s[0:1]
                                        ; implicit-def: $vgpr37
	s_and_saveexec_b64 s[0:1], s[20:21]
	s_cbranch_execnz .LBB310_303
.LBB310_67:
	s_or_b64 exec, exec, s[0:1]
                                        ; implicit-def: $vgpr3
	s_and_saveexec_b64 s[0:1], s[22:23]
	s_cbranch_execnz .LBB310_304
.LBB310_68:
	s_or_b64 exec, exec, s[0:1]
                                        ; implicit-def: $vgpr2
	s_and_saveexec_b64 s[0:1], s[24:25]
	s_cbranch_execnz .LBB310_305
.LBB310_69:
	s_or_b64 exec, exec, s[0:1]
                                        ; implicit-def: $vgpr4
	s_and_saveexec_b64 s[0:1], s[26:27]
	s_cbranch_execnz .LBB310_306
.LBB310_70:
	s_or_b64 exec, exec, s[0:1]
                                        ; implicit-def: $vgpr5
	s_and_saveexec_b64 s[0:1], s[28:29]
	s_cbranch_execnz .LBB310_307
.LBB310_71:
	s_or_b64 exec, exec, s[0:1]
                                        ; implicit-def: $vgpr6
	s_and_saveexec_b64 s[0:1], s[30:31]
	s_cbranch_execnz .LBB310_308
.LBB310_72:
	s_or_b64 exec, exec, s[0:1]
                                        ; implicit-def: $vgpr7
	s_and_saveexec_b64 s[0:1], s[34:35]
	s_cbranch_execnz .LBB310_309
.LBB310_73:
	s_or_b64 exec, exec, s[0:1]
                                        ; implicit-def: $vgpr8
	s_and_saveexec_b64 s[0:1], s[36:37]
	s_cbranch_execnz .LBB310_310
.LBB310_74:
	s_or_b64 exec, exec, s[0:1]
                                        ; implicit-def: $vgpr9
	s_and_saveexec_b64 s[0:1], s[38:39]
	s_cbranch_execnz .LBB310_311
.LBB310_75:
	s_or_b64 exec, exec, s[0:1]
                                        ; implicit-def: $vgpr10
	s_and_saveexec_b64 s[0:1], s[40:41]
	s_cbranch_execnz .LBB310_312
.LBB310_76:
	s_or_b64 exec, exec, s[0:1]
                                        ; implicit-def: $vgpr11
	s_and_saveexec_b64 s[0:1], s[42:43]
	s_cbranch_execnz .LBB310_313
.LBB310_77:
	s_or_b64 exec, exec, s[0:1]
                                        ; implicit-def: $vgpr12
	s_and_saveexec_b64 s[0:1], s[44:45]
	s_cbranch_execnz .LBB310_314
.LBB310_78:
	s_or_b64 exec, exec, s[0:1]
                                        ; implicit-def: $vgpr13
	s_and_saveexec_b64 s[0:1], s[46:47]
	s_cbranch_execnz .LBB310_315
.LBB310_79:
	s_or_b64 exec, exec, s[0:1]
                                        ; implicit-def: $vgpr14
	s_and_saveexec_b64 s[0:1], s[48:49]
	s_cbranch_execnz .LBB310_316
.LBB310_80:
	s_or_b64 exec, exec, s[0:1]
                                        ; implicit-def: $vgpr15
	s_and_saveexec_b64 s[0:1], s[50:51]
	s_cbranch_execnz .LBB310_317
.LBB310_81:
	s_or_b64 exec, exec, s[0:1]
                                        ; implicit-def: $vgpr16
	s_and_saveexec_b64 s[0:1], s[52:53]
	s_cbranch_execnz .LBB310_318
.LBB310_82:
	s_or_b64 exec, exec, s[0:1]
                                        ; implicit-def: $vgpr17
	s_and_saveexec_b64 s[0:1], s[54:55]
	s_cbranch_execz .LBB310_84
.LBB310_83:
	v_mov_b32_e32 v47, 0
	v_lshl_add_u64 v[18:19], s[62:63], 0, v[46:47]
	flat_load_ushort v17, v[18:19]
.LBB310_84:
	s_or_b64 exec, exec, s[0:1]
	s_mov_b32 s8, 0
	s_mov_b32 s9, s8
	s_waitcnt vmcnt(0) lgkmcnt(0)
	ds_write_b16 v36, v1
	ds_write_b16 v36, v51 offset:512
	ds_write_b16 v36, v52 offset:1024
	;; [unrolled: 1-line block ×23, first 2 shown]
	s_mov_b32 s10, s8
	s_mov_b32 s11, s8
	;; [unrolled: 1-line block ×6, first 2 shown]
	v_mov_b64_e32 v[2:3], s[8:9]
	s_mov_b32 s18, s8
	s_mov_b32 s19, s8
	v_mov_b64_e32 v[8:9], s[14:15]
	v_mul_u32_u24_e32 v41, 24, v0
	s_mov_b32 s16, s8
	s_mov_b32 s17, s8
	v_mov_b64_e32 v[20:21], s[18:19]
	v_mov_b64_e32 v[4:5], s[10:11]
	;; [unrolled: 1-line block ×4, first 2 shown]
	v_cmp_gt_u32_e32 vcc, s86, v41
	s_mov_b64 s[6:7], 0
	v_mov_b64_e32 v[18:19], s[16:17]
	v_mov_b32_e32 v1, 0
	s_mov_b64 s[12:13], 0
	v_mov_b64_e32 v[14:15], v[6:7]
	v_mov_b64_e32 v[12:13], v[4:5]
	;; [unrolled: 1-line block ×3, first 2 shown]
	v_mov_b32_e32 v38, 0
	v_mov_b32_e32 v39, 0
	s_waitcnt lgkmcnt(0)
	s_barrier
	s_waitcnt lgkmcnt(0)
                                        ; implicit-def: $sgpr0_sgpr1
                                        ; implicit-def: $vgpr40
	s_and_saveexec_b64 s[10:11], vcc
	s_cbranch_execz .LBB310_130
; %bb.85:
	ds_read_u16 v1, v48
	v_cmp_ne_u16_e32 vcc, v50, v30
	s_mov_b32 s12, 0
	v_or_b32_e32 v2, 1, v41
	v_cndmask_b32_e64 v3, 0, 1, vcc
	s_mov_b32 s13, s12
	v_cmp_gt_u32_e32 vcc, s86, v2
	s_waitcnt lgkmcnt(0)
	v_lshl_or_b32 v1, v3, 16, v1
	s_mov_b32 s14, s12
	s_mov_b32 s15, s12
	;; [unrolled: 1-line block ×6, first 2 shown]
	v_mov_b64_e32 v[2:3], s[12:13]
	s_mov_b32 s24, s12
	s_mov_b32 s25, s12
	v_mov_b64_e32 v[8:9], s[18:19]
	s_mov_b32 s26, s12
	s_mov_b32 s27, s12
	v_mov_b64_e32 v[18:19], s[24:25]
	v_mov_b64_e32 v[4:5], s[14:15]
	;; [unrolled: 1-line block ×4, first 2 shown]
	s_mov_b64 s[22:23], 0
	v_mov_b64_e32 v[20:21], s[26:27]
	v_mov_b32_e32 v38, 0
	v_mov_b64_e32 v[14:15], v[6:7]
	v_mov_b64_e32 v[12:13], v[4:5]
	;; [unrolled: 1-line block ×3, first 2 shown]
	v_mov_b32_e32 v39, 0
                                        ; implicit-def: $sgpr24_sgpr25
                                        ; implicit-def: $vgpr40
	s_and_saveexec_b64 s[20:21], vcc
	s_cbranch_execz .LBB310_129
; %bb.86:
	ds_read_b128 v[34:37], v48 offset:2
	v_or_b32_e32 v2, 2, v41
	v_cmp_ne_u16_sdwa s[0:1], v30, v30 src0_sel:DWORD src1_sel:WORD_1
	v_cmp_gt_u32_e32 vcc, s86, v2
	v_mov_b32_e32 v19, 0
	v_cndmask_b32_e64 v3, 0, 1, s[0:1]
	s_waitcnt lgkmcnt(0)
	v_and_b32_e32 v2, 0xffff, v34
	v_lshl_or_b32 v18, v3, 16, v2
	v_mov_b64_e32 v[2:3], s[12:13]
	v_mov_b64_e32 v[8:9], s[18:19]
	v_mov_b64_e32 v[4:5], s[14:15]
	v_mov_b64_e32 v[6:7], s[16:17]
	v_mov_b64_e32 v[16:17], v[8:9]
	v_mov_b32_e32 v20, v19
	v_mov_b32_e32 v21, v19
	s_mov_b64 s[0:1], 0
	v_mov_b64_e32 v[14:15], v[6:7]
	v_mov_b64_e32 v[12:13], v[4:5]
	;; [unrolled: 1-line block ×3, first 2 shown]
	v_mov_b32_e32 v38, v19
	v_mov_b32_e32 v39, v19
                                        ; implicit-def: $sgpr12_sgpr13
                                        ; implicit-def: $vgpr40
	s_and_saveexec_b64 s[22:23], vcc
	s_cbranch_execz .LBB310_128
; %bb.87:
	v_cmp_ne_u16_sdwa s[0:1], v30, v31 src0_sel:WORD_1 src1_sel:DWORD
	s_mov_b32 s12, 0
	v_or_b32_e32 v2, 3, v41
	v_cndmask_b32_e64 v3, 0, 1, s[0:1]
	s_mov_b32 s13, s12
	v_alignbit_b32 v19, v3, v34, 16
	v_cmp_gt_u32_e32 vcc, s86, v2
	s_mov_b32 s14, s12
	s_mov_b32 s15, s12
	;; [unrolled: 1-line block ×6, first 2 shown]
	v_mov_b64_e32 v[2:3], s[12:13]
	v_mov_b64_e32 v[8:9], s[18:19]
	v_mov_b32_e32 v20, 0
	v_mov_b64_e32 v[4:5], s[14:15]
	v_mov_b64_e32 v[6:7], s[16:17]
	;; [unrolled: 1-line block ×3, first 2 shown]
	v_mov_b32_e32 v21, v20
	s_mov_b64 s[0:1], 0
	v_mov_b64_e32 v[14:15], v[6:7]
	v_mov_b64_e32 v[12:13], v[4:5]
	;; [unrolled: 1-line block ×3, first 2 shown]
	v_mov_b32_e32 v38, v20
	v_mov_b32_e32 v39, v20
                                        ; implicit-def: $sgpr26_sgpr27
                                        ; implicit-def: $vgpr40
	s_and_saveexec_b64 s[24:25], vcc
	s_cbranch_execz .LBB310_127
; %bb.88:
	v_cmp_ne_u16_sdwa s[0:1], v31, v31 src0_sel:DWORD src1_sel:WORD_1
	v_and_b32_e32 v2, 0xffff, v35
	v_or_b32_e32 v3, 4, v41
	v_cndmask_b32_e64 v4, 0, 1, s[0:1]
	v_lshl_or_b32 v20, v4, 16, v2
	v_cmp_gt_u32_e32 vcc, s86, v3
	v_mov_b64_e32 v[2:3], s[12:13]
	v_mov_b64_e32 v[8:9], s[18:19]
	;; [unrolled: 1-line block ×5, first 2 shown]
	v_mov_b32_e32 v21, s12
	s_mov_b64 s[0:1], 0
	v_mov_b32_e32 v38, 0
	v_mov_b64_e32 v[14:15], v[6:7]
	v_mov_b64_e32 v[12:13], v[4:5]
	;; [unrolled: 1-line block ×3, first 2 shown]
	v_mov_b32_e32 v39, 0
                                        ; implicit-def: $sgpr12_sgpr13
                                        ; implicit-def: $vgpr40
	s_and_saveexec_b64 s[26:27], vcc
	s_cbranch_execz .LBB310_126
; %bb.89:
	v_cmp_ne_u16_sdwa s[0:1], v31, v32 src0_sel:WORD_1 src1_sel:DWORD
	s_mov_b32 s12, 0
	v_or_b32_e32 v2, 5, v41
	v_cndmask_b32_e64 v3, 0, 1, s[0:1]
	s_mov_b32 s13, s12
	v_alignbit_b32 v21, v3, v35, 16
	v_cmp_gt_u32_e32 vcc, s86, v2
	s_mov_b32 s14, s12
	s_mov_b32 s15, s12
	;; [unrolled: 1-line block ×6, first 2 shown]
	v_mov_b64_e32 v[2:3], s[12:13]
	v_mov_b64_e32 v[8:9], s[18:19]
	;; [unrolled: 1-line block ×5, first 2 shown]
	s_mov_b64 s[0:1], 0
	v_mov_b32_e32 v38, 0
	v_mov_b64_e32 v[14:15], v[6:7]
	v_mov_b64_e32 v[12:13], v[4:5]
	v_mov_b64_e32 v[10:11], v[2:3]
	v_mov_b32_e32 v39, 0
                                        ; implicit-def: $sgpr30_sgpr31
                                        ; implicit-def: $vgpr40
	s_and_saveexec_b64 s[28:29], vcc
	s_cbranch_execz .LBB310_125
; %bb.90:
	v_cmp_ne_u16_sdwa s[0:1], v32, v32 src0_sel:DWORD src1_sel:WORD_1
	v_and_b32_e32 v2, 0xffff, v36
	v_or_b32_e32 v3, 6, v41
	v_cndmask_b32_e64 v4, 0, 1, s[0:1]
	v_lshl_or_b32 v38, v4, 16, v2
	v_cmp_gt_u32_e32 vcc, s86, v3
	v_mov_b64_e32 v[2:3], s[12:13]
	v_mov_b64_e32 v[8:9], s[18:19]
	;; [unrolled: 1-line block ×5, first 2 shown]
	s_mov_b64 s[0:1], 0
	v_mov_b32_e32 v39, 0
	v_mov_b64_e32 v[14:15], v[6:7]
	v_mov_b64_e32 v[12:13], v[4:5]
	;; [unrolled: 1-line block ×3, first 2 shown]
                                        ; implicit-def: $sgpr12_sgpr13
                                        ; implicit-def: $vgpr40
	s_and_saveexec_b64 s[30:31], vcc
	s_cbranch_execz .LBB310_124
; %bb.91:
	s_mov_b32 s12, 0
	v_or_b32_e32 v3, 7, v41
	v_cmp_ne_u16_sdwa s[0:1], v32, v33 src0_sel:WORD_1 src1_sel:DWORD
	s_mov_b32 s13, s12
	v_cmp_gt_u32_e32 vcc, s86, v3
	v_cndmask_b32_e64 v2, 0, 1, s[0:1]
	v_mov_b32_e32 v3, 0
	s_mov_b32 s14, s12
	s_mov_b32 s15, s12
	;; [unrolled: 1-line block ×6, first 2 shown]
	v_mov_b64_e32 v[10:11], s[12:13]
	v_alignbit_b32 v2, v2, v36, 16
	v_mov_b32_e32 v4, v3
	v_mov_b32_e32 v5, v3
	;; [unrolled: 1-line block ×6, first 2 shown]
	s_mov_b64 s[0:1], 0
	v_mov_b64_e32 v[12:13], s[14:15]
	v_mov_b64_e32 v[14:15], s[16:17]
	;; [unrolled: 1-line block ×3, first 2 shown]
	v_mov_b32_e32 v39, v3
                                        ; implicit-def: $sgpr36_sgpr37
                                        ; implicit-def: $vgpr40
	s_and_saveexec_b64 s[34:35], vcc
	s_cbranch_execz .LBB310_123
; %bb.92:
	v_add_u32_e32 v4, 8, v41
	v_cmp_ne_u16_sdwa s[0:1], v33, v33 src0_sel:DWORD src1_sel:WORD_1
	v_and_b32_e32 v3, 0xffff, v37
	v_cmp_gt_u32_e32 vcc, s86, v4
	v_cndmask_b32_e64 v5, 0, 1, s[0:1]
	v_mov_b32_e32 v4, 0
	v_mov_b64_e32 v[10:11], s[12:13]
	v_lshl_or_b32 v3, v5, 16, v3
	v_mov_b32_e32 v5, v4
	v_mov_b32_e32 v6, v4
	;; [unrolled: 1-line block ×5, first 2 shown]
	s_mov_b64 s[0:1], 0
	v_mov_b64_e32 v[12:13], s[14:15]
	v_mov_b64_e32 v[14:15], s[16:17]
	;; [unrolled: 1-line block ×3, first 2 shown]
	v_mov_b32_e32 v39, v4
                                        ; implicit-def: $sgpr12_sgpr13
                                        ; implicit-def: $vgpr40
	s_and_saveexec_b64 s[36:37], vcc
	s_cbranch_execz .LBB310_122
; %bb.93:
	s_mov_b32 s12, 0
	v_add_u32_e32 v5, 9, v41
	v_cmp_ne_u16_sdwa s[0:1], v33, v26 src0_sel:WORD_1 src1_sel:DWORD
	s_mov_b32 s13, s12
	v_cmp_gt_u32_e32 vcc, s86, v5
	v_cndmask_b32_e64 v4, 0, 1, s[0:1]
	v_mov_b32_e32 v5, 0
	s_mov_b32 s14, s12
	s_mov_b32 s15, s12
	;; [unrolled: 1-line block ×6, first 2 shown]
	v_mov_b64_e32 v[10:11], s[12:13]
	v_alignbit_b32 v4, v4, v37, 16
	v_mov_b32_e32 v6, v5
	v_mov_b32_e32 v7, v5
	;; [unrolled: 1-line block ×4, first 2 shown]
	s_mov_b64 s[0:1], 0
	v_mov_b64_e32 v[12:13], s[14:15]
	v_mov_b64_e32 v[14:15], s[16:17]
	;; [unrolled: 1-line block ×3, first 2 shown]
	v_mov_b32_e32 v39, v5
                                        ; implicit-def: $sgpr40_sgpr41
                                        ; implicit-def: $vgpr40
	s_and_saveexec_b64 s[38:39], vcc
	s_cbranch_execz .LBB310_121
; %bb.94:
	ds_read_b128 v[30:33], v48 offset:18
	v_add_u32_e32 v5, 10, v41
	v_cmp_ne_u16_sdwa s[0:1], v26, v26 src0_sel:DWORD src1_sel:WORD_1
	v_cmp_gt_u32_e32 vcc, s86, v5
	v_mov_b64_e32 v[10:11], s[12:13]
	v_cndmask_b32_e64 v6, 0, 1, s[0:1]
	s_waitcnt lgkmcnt(0)
	v_and_b32_e32 v5, 0xffff, v30
	v_lshl_or_b32 v5, v6, 16, v5
	v_mov_b32_e32 v6, 0
	v_mov_b32_e32 v7, v6
	;; [unrolled: 1-line block ×4, first 2 shown]
	s_mov_b64 s[0:1], 0
	v_mov_b64_e32 v[12:13], s[14:15]
	v_mov_b64_e32 v[14:15], s[16:17]
	v_mov_b64_e32 v[16:17], s[18:19]
	v_mov_b32_e32 v39, v6
                                        ; implicit-def: $sgpr12_sgpr13
                                        ; implicit-def: $vgpr40
	s_and_saveexec_b64 s[40:41], vcc
	s_cbranch_execz .LBB310_120
; %bb.95:
	s_mov_b32 s12, 0
	v_add_u32_e32 v7, 11, v41
	v_cmp_ne_u16_sdwa s[0:1], v26, v27 src0_sel:WORD_1 src1_sel:DWORD
	s_mov_b32 s13, s12
	v_cmp_gt_u32_e32 vcc, s86, v7
	v_cndmask_b32_e64 v6, 0, 1, s[0:1]
	v_mov_b32_e32 v7, 0
	s_mov_b32 s14, s12
	s_mov_b32 s15, s12
	;; [unrolled: 1-line block ×6, first 2 shown]
	v_mov_b64_e32 v[10:11], s[12:13]
	v_alignbit_b32 v6, v6, v30, 16
	v_mov_b32_e32 v8, v7
	v_mov_b32_e32 v9, v7
	s_mov_b64 s[0:1], 0
	v_mov_b64_e32 v[12:13], s[14:15]
	v_mov_b64_e32 v[14:15], s[16:17]
	;; [unrolled: 1-line block ×3, first 2 shown]
	v_mov_b32_e32 v39, v7
                                        ; implicit-def: $sgpr44_sgpr45
                                        ; implicit-def: $vgpr40
	s_and_saveexec_b64 s[42:43], vcc
	s_cbranch_execz .LBB310_119
; %bb.96:
	v_add_u32_e32 v8, 12, v41
	v_cmp_ne_u16_sdwa s[0:1], v27, v27 src0_sel:DWORD src1_sel:WORD_1
	v_and_b32_e32 v7, 0xffff, v31
	v_cmp_gt_u32_e32 vcc, s86, v8
	v_cndmask_b32_e64 v9, 0, 1, s[0:1]
	v_mov_b32_e32 v8, 0
	v_mov_b64_e32 v[10:11], s[12:13]
	v_lshl_or_b32 v7, v9, 16, v7
	v_mov_b32_e32 v9, v8
	s_mov_b64 s[0:1], 0
	v_mov_b64_e32 v[12:13], s[14:15]
	v_mov_b64_e32 v[14:15], s[16:17]
	;; [unrolled: 1-line block ×3, first 2 shown]
	v_mov_b32_e32 v39, v8
                                        ; implicit-def: $sgpr12_sgpr13
                                        ; implicit-def: $vgpr40
	s_and_saveexec_b64 s[44:45], vcc
	s_cbranch_execz .LBB310_118
; %bb.97:
	s_mov_b32 s12, 0
	v_cmp_ne_u16_sdwa s[0:1], v27, v28 src0_sel:WORD_1 src1_sel:DWORD
	s_mov_b32 s13, s12
	v_add_u32_e32 v9, 13, v41
	v_cndmask_b32_e64 v8, 0, 1, s[0:1]
	s_mov_b32 s14, s12
	s_mov_b32 s15, s12
	;; [unrolled: 1-line block ×6, first 2 shown]
	v_mov_b64_e32 v[10:11], s[12:13]
	v_alignbit_b32 v8, v8, v31, 16
	v_cmp_gt_u32_e32 vcc, s86, v9
	v_mov_b32_e32 v9, s12
	s_mov_b64 s[0:1], 0
	v_mov_b64_e32 v[12:13], s[14:15]
	v_mov_b64_e32 v[14:15], s[16:17]
	v_mov_b64_e32 v[16:17], s[18:19]
	v_mov_b32_e32 v39, 0
                                        ; implicit-def: $sgpr48_sgpr49
                                        ; implicit-def: $vgpr40
	s_and_saveexec_b64 s[46:47], vcc
	s_cbranch_execz .LBB310_117
; %bb.98:
	v_cmp_ne_u16_sdwa s[0:1], v28, v28 src0_sel:DWORD src1_sel:WORD_1
	v_and_b32_e32 v9, 0xffff, v32
	v_add_u32_e32 v10, 14, v41
	v_cndmask_b32_e64 v11, 0, 1, s[0:1]
	v_lshl_or_b32 v9, v11, 16, v9
	v_cmp_gt_u32_e32 vcc, s86, v10
	v_mov_b64_e32 v[10:11], s[12:13]
	s_mov_b64 s[0:1], 0
	v_mov_b64_e32 v[12:13], s[14:15]
	v_mov_b64_e32 v[14:15], s[16:17]
	;; [unrolled: 1-line block ×3, first 2 shown]
	v_mov_b32_e32 v39, 0
                                        ; implicit-def: $sgpr14_sgpr15
                                        ; implicit-def: $vgpr40
	s_and_saveexec_b64 s[12:13], vcc
	s_cbranch_execz .LBB310_116
; %bb.99:
	v_cmp_ne_u16_sdwa s[0:1], v28, v29 src0_sel:WORD_1 src1_sel:DWORD
	s_mov_b32 s48, 0
	v_add_u32_e32 v10, 15, v41
	v_cndmask_b32_e64 v11, 0, 1, s[0:1]
	s_mov_b32 s49, s48
	v_alignbit_b32 v39, v11, v32, 16
	v_cmp_gt_u32_e32 vcc, s86, v10
	s_mov_b32 s50, s48
	s_mov_b32 s51, s48
	;; [unrolled: 1-line block ×6, first 2 shown]
	v_mov_b64_e32 v[10:11], s[48:49]
	s_mov_b64 s[0:1], 0
	v_mov_b64_e32 v[12:13], s[50:51]
	v_mov_b64_e32 v[14:15], s[52:53]
	;; [unrolled: 1-line block ×3, first 2 shown]
                                        ; implicit-def: $sgpr16_sgpr17
                                        ; implicit-def: $vgpr40
	s_and_saveexec_b64 s[14:15], vcc
	s_cbranch_execz .LBB310_115
; %bb.100:
	v_cmp_ne_u16_sdwa s[0:1], v29, v29 src0_sel:DWORD src1_sel:WORD_1
	v_and_b32_e32 v10, 0xffff, v33
	v_add_u32_e32 v11, 16, v41
	v_cndmask_b32_e64 v12, 0, 1, s[0:1]
	v_lshl_or_b32 v10, v12, 16, v10
	v_mov_b32_e32 v12, 0
	v_cmp_gt_u32_e32 vcc, s86, v11
	v_mov_b32_e32 v11, v12
	v_mov_b32_e32 v13, v12
	;; [unrolled: 1-line block ×6, first 2 shown]
	s_mov_b64 s[0:1], 0
                                        ; implicit-def: $sgpr18_sgpr19
                                        ; implicit-def: $vgpr40
	s_and_saveexec_b64 s[16:17], vcc
	s_cbranch_execz .LBB310_114
; %bb.101:
	v_cmp_ne_u16_sdwa s[0:1], v29, v22 src0_sel:WORD_1 src1_sel:DWORD
	v_add_u32_e32 v13, 17, v41
	v_cmp_gt_u32_e32 vcc, s86, v13
	v_cndmask_b32_e64 v11, 0, 1, s[0:1]
	v_alignbit_b32 v11, v11, v33, 16
	v_mov_b32_e32 v13, v12
	v_mov_b32_e32 v14, v12
	;; [unrolled: 1-line block ×5, first 2 shown]
	s_mov_b64 s[0:1], 0
                                        ; implicit-def: $sgpr48_sgpr49
                                        ; implicit-def: $vgpr40
	s_and_saveexec_b64 s[18:19], vcc
	s_cbranch_execz .LBB310_113
; %bb.102:
	ds_read_b96 v[26:28], v48 offset:34
	v_add_u32_e32 v12, 18, v41
	v_cmp_ne_u16_sdwa s[0:1], v22, v22 src0_sel:DWORD src1_sel:WORD_1
	v_cmp_gt_u32_e32 vcc, s86, v12
	v_mov_b32_e32 v14, 0
	v_cndmask_b32_e64 v13, 0, 1, s[0:1]
	s_waitcnt lgkmcnt(0)
	v_and_b32_e32 v12, 0xffff, v26
	v_lshl_or_b32 v12, v13, 16, v12
	v_mov_b32_e32 v13, v14
	v_mov_b32_e32 v15, v14
	;; [unrolled: 1-line block ×4, first 2 shown]
	s_mov_b64 s[0:1], 0
                                        ; implicit-def: $sgpr50_sgpr51
                                        ; implicit-def: $vgpr40
	s_and_saveexec_b64 s[48:49], vcc
	s_cbranch_execz .LBB310_112
; %bb.103:
	v_cmp_ne_u16_sdwa s[0:1], v22, v23 src0_sel:WORD_1 src1_sel:DWORD
	v_add_u32_e32 v15, 19, v41
	v_cmp_gt_u32_e32 vcc, s86, v15
	v_cndmask_b32_e64 v13, 0, 1, s[0:1]
	v_alignbit_b32 v13, v13, v26, 16
	v_mov_b32_e32 v15, v14
	v_mov_b32_e32 v16, v14
	;; [unrolled: 1-line block ×3, first 2 shown]
	s_mov_b64 s[0:1], 0
                                        ; implicit-def: $sgpr52_sgpr53
                                        ; implicit-def: $vgpr40
	s_and_saveexec_b64 s[50:51], vcc
	s_cbranch_execz .LBB310_111
; %bb.104:
	v_cmp_ne_u16_sdwa s[0:1], v23, v23 src0_sel:DWORD src1_sel:WORD_1
	v_and_b32_e32 v14, 0xffff, v27
	v_add_u32_e32 v15, 20, v41
	v_cndmask_b32_e64 v16, 0, 1, s[0:1]
	v_lshl_or_b32 v14, v16, 16, v14
	v_mov_b32_e32 v16, 0
	v_cmp_gt_u32_e32 vcc, s86, v15
	v_mov_b32_e32 v15, v16
	v_mov_b32_e32 v17, v16
	s_mov_b64 s[0:1], 0
                                        ; implicit-def: $sgpr54_sgpr55
                                        ; implicit-def: $vgpr40
	s_and_saveexec_b64 s[52:53], vcc
	s_cbranch_execz .LBB310_110
; %bb.105:
	v_cmp_ne_u16_sdwa s[0:1], v23, v24 src0_sel:WORD_1 src1_sel:DWORD
	v_add_u32_e32 v17, 21, v41
	v_cmp_gt_u32_e32 vcc, s86, v17
	v_cndmask_b32_e64 v15, 0, 1, s[0:1]
	v_alignbit_b32 v15, v15, v27, 16
	s_mov_b32 s9, 0
	v_mov_b32_e32 v17, v16
	s_mov_b64 s[0:1], 0
                                        ; implicit-def: $sgpr68_sgpr69
                                        ; implicit-def: $vgpr40
	s_and_saveexec_b64 s[54:55], vcc
	s_cbranch_execz .LBB310_109
; %bb.106:
	v_cmp_ne_u16_sdwa s[0:1], v24, v24 src0_sel:DWORD src1_sel:WORD_1
	v_and_b32_e32 v16, 0xffff, v28
	v_add_u32_e32 v17, 22, v41
	v_cndmask_b32_e64 v22, 0, 1, s[0:1]
	v_lshl_or_b32 v16, v22, 16, v16
	v_cmp_gt_u32_e32 vcc, s86, v17
	v_mov_b32_e32 v17, s9
	s_mov_b64 s[0:1], 0
                                        ; implicit-def: $sgpr68_sgpr69
                                        ; implicit-def: $vgpr40
	s_and_saveexec_b64 s[84:85], vcc
	s_xor_b64 s[84:85], exec, s[84:85]
	s_cbranch_execz .LBB310_108
; %bb.107:
	ds_read_u16 v40, v48 offset:46
	v_add_u32_e32 v22, 23, v41
	v_cmp_ne_u16_sdwa s[0:1], v24, v25 src0_sel:WORD_1 src1_sel:DWORD
	v_cmp_ne_u16_e32 vcc, v25, v49
	s_and_b64 s[68:69], vcc, exec
	v_cndmask_b32_e64 v17, 0, 1, s[0:1]
	v_cmp_gt_u32_e64 s[0:1], s86, v22
	v_alignbit_b32 v17, v17, v28, 16
	s_and_b64 s[0:1], s[0:1], exec
.LBB310_108:
	s_or_b64 exec, exec, s[84:85]
	s_and_b64 s[68:69], s[68:69], exec
	s_and_b64 s[0:1], s[0:1], exec
.LBB310_109:
	s_or_b64 exec, exec, s[54:55]
	s_and_b64 s[54:55], s[68:69], exec
	s_and_b64 s[0:1], s[0:1], exec
.LBB310_110:
	s_or_b64 exec, exec, s[52:53]
	s_and_b64 s[52:53], s[54:55], exec
	s_and_b64 s[0:1], s[0:1], exec
.LBB310_111:
	s_or_b64 exec, exec, s[50:51]
	s_and_b64 s[50:51], s[52:53], exec
	s_and_b64 s[0:1], s[0:1], exec
.LBB310_112:
	s_or_b64 exec, exec, s[48:49]
	s_and_b64 s[48:49], s[50:51], exec
	s_and_b64 s[0:1], s[0:1], exec
.LBB310_113:
	s_or_b64 exec, exec, s[18:19]
	s_and_b64 s[18:19], s[48:49], exec
	s_and_b64 s[0:1], s[0:1], exec
.LBB310_114:
	s_or_b64 exec, exec, s[16:17]
	s_and_b64 s[16:17], s[18:19], exec
	s_and_b64 s[0:1], s[0:1], exec
.LBB310_115:
	s_or_b64 exec, exec, s[14:15]
	s_and_b64 s[14:15], s[16:17], exec
	s_and_b64 s[0:1], s[0:1], exec
.LBB310_116:
	s_or_b64 exec, exec, s[12:13]
	s_and_b64 s[48:49], s[14:15], exec
	s_and_b64 s[0:1], s[0:1], exec
.LBB310_117:
	s_or_b64 exec, exec, s[46:47]
	s_and_b64 s[12:13], s[48:49], exec
	s_and_b64 s[0:1], s[0:1], exec
.LBB310_118:
	s_or_b64 exec, exec, s[44:45]
	s_and_b64 s[44:45], s[12:13], exec
	s_and_b64 s[0:1], s[0:1], exec
.LBB310_119:
	s_or_b64 exec, exec, s[42:43]
	s_and_b64 s[12:13], s[44:45], exec
	s_and_b64 s[0:1], s[0:1], exec
.LBB310_120:
	s_or_b64 exec, exec, s[40:41]
	s_and_b64 s[40:41], s[12:13], exec
	s_and_b64 s[0:1], s[0:1], exec
.LBB310_121:
	s_or_b64 exec, exec, s[38:39]
	s_and_b64 s[12:13], s[40:41], exec
	s_and_b64 s[0:1], s[0:1], exec
.LBB310_122:
	s_or_b64 exec, exec, s[36:37]
	s_and_b64 s[36:37], s[12:13], exec
	s_and_b64 s[0:1], s[0:1], exec
.LBB310_123:
	s_or_b64 exec, exec, s[34:35]
	s_and_b64 s[12:13], s[36:37], exec
	s_and_b64 s[0:1], s[0:1], exec
.LBB310_124:
	s_or_b64 exec, exec, s[30:31]
	s_and_b64 s[30:31], s[12:13], exec
	s_and_b64 s[0:1], s[0:1], exec
.LBB310_125:
	s_or_b64 exec, exec, s[28:29]
	s_and_b64 s[12:13], s[30:31], exec
	s_and_b64 s[0:1], s[0:1], exec
.LBB310_126:
	s_or_b64 exec, exec, s[26:27]
	s_and_b64 s[26:27], s[12:13], exec
	s_and_b64 s[0:1], s[0:1], exec
.LBB310_127:
	s_or_b64 exec, exec, s[24:25]
	s_and_b64 s[12:13], s[26:27], exec
	s_and_b64 s[0:1], s[0:1], exec
.LBB310_128:
	s_or_b64 exec, exec, s[22:23]
	s_and_b64 s[24:25], s[12:13], exec
	s_and_b64 s[22:23], s[0:1], exec
.LBB310_129:
	s_or_b64 exec, exec, s[20:21]
	s_and_b64 s[0:1], s[24:25], exec
	s_and_b64 s[12:13], s[22:23], exec
.LBB310_130:
	s_or_b64 exec, exec, s[10:11]
	s_and_b64 vcc, exec, s[6:7]
	v_lshlrev_b32_e32 v22, 1, v0
	s_cbranch_vccnz .LBB310_132
	s_branch .LBB310_140
.LBB310_131:
                                        ; implicit-def: $sgpr0_sgpr1
                                        ; implicit-def: $vgpr18_vgpr19_vgpr20_vgpr21
                                        ; implicit-def: $vgpr2_vgpr3_vgpr4_vgpr5_vgpr6_vgpr7_vgpr8_vgpr9
                                        ; implicit-def: $vgpr10_vgpr11_vgpr12_vgpr13_vgpr14_vgpr15_vgpr16_vgpr17
                                        ; implicit-def: $vgpr40
                                        ; implicit-def: $vgpr1
                                        ; implicit-def: $vgpr38
                                        ; implicit-def: $vgpr39
                                        ; implicit-def: $sgpr8
	s_and_b64 vcc, exec, s[6:7]
	v_lshlrev_b32_e32 v22, 1, v0
	s_cbranch_vccz .LBB310_140
.LBB310_132:
	v_mov_b32_e32 v23, 0
	v_lshl_add_u64 v[2:3], s[64:65], 0, v[22:23]
	v_add_co_u32_e32 v4, vcc, 0x1000, v2
	flat_load_ushort v1, v[2:3]
	flat_load_ushort v6, v[2:3] offset:512
	flat_load_ushort v7, v[2:3] offset:1024
	;; [unrolled: 1-line block ×7, first 2 shown]
	v_addc_co_u32_e32 v5, vcc, 0, v3, vcc
	v_add_co_u32_e32 v2, vcc, 0x2000, v2
	flat_load_ushort v13, v[4:5]
	flat_load_ushort v14, v[4:5] offset:512
	flat_load_ushort v15, v[4:5] offset:1024
	;; [unrolled: 1-line block ×7, first 2 shown]
	v_addc_co_u32_e32 v3, vcc, 0, v3, vcc
	flat_load_ushort v5, v[2:3]
	flat_load_ushort v21, v[2:3] offset:512
	flat_load_ushort v23, v[2:3] offset:1024
	;; [unrolled: 1-line block ×7, first 2 shown]
	v_mad_u32_u24 v4, v0, 46, v22
	s_cmp_eq_u64 s[82:83], 0
	s_waitcnt vmcnt(0) lgkmcnt(0)
	ds_write_b16 v22, v1
	ds_write_b16 v22, v6 offset:512
	ds_write_b16 v22, v7 offset:1024
	;; [unrolled: 1-line block ×23, first 2 shown]
	s_waitcnt lgkmcnt(0)
	s_barrier
	ds_read_b64 v[2:3], v4
	ds_read_u16 v5, v4 offset:8
	ds_read_b128 v[10:13], v4 offset:10
	ds_read_u16 v14, v4 offset:26
	ds_read_b32 v15, v4 offset:44
	ds_read2_b32 v[26:27], v4 offset0:9 offset1:10
	ds_read2_b32 v[24:25], v4 offset0:7 offset1:8
	s_cbranch_scc1 .LBB310_137
; %bb.133:
	s_andn2_b64 vcc, exec, s[72:73]
	s_cbranch_vccnz .LBB310_320
; %bb.134:
	s_lshl_b64 s[0:1], s[82:83], 1
	s_add_u32 s0, s74, s0
	s_addc_u32 s1, s75, s1
	s_add_u32 s0, s0, -2
	s_addc_u32 s1, s1, -1
	s_cbranch_execnz .LBB310_136
.LBB310_135:
	s_add_u32 s0, s64, -2
	s_addc_u32 s1, s65, -1
.LBB310_136:
	s_mov_b64 s[64:65], s[0:1]
.LBB310_137:
	v_mov_b64_e32 v[6:7], s[64:65]
	flat_load_ushort v6, v[6:7]
	s_movk_i32 s0, 0xffd2
	s_waitcnt lgkmcnt(0)
	v_lshrrev_b32_e32 v1, 16, v15
	v_mad_i32_i24 v7, v0, s0, v4
	ds_write_b16 v7, v1 offset:12288
	s_waitcnt lgkmcnt(0)
	s_barrier
	s_and_saveexec_b64 s[0:1], s[4:5]
	s_cbranch_execz .LBB310_139
; %bb.138:
	s_waitcnt vmcnt(0)
	v_mul_i32_i24_e32 v6, 0xffffffd2, v0
	v_add_u32_e32 v6, v4, v6
	ds_read_u16 v6, v6 offset:12286
.LBB310_139:
	s_or_b64 exec, exec, s[0:1]
	v_mov_b32_e32 v23, 0
	v_lshl_add_u64 v[8:9], s[62:63], 0, v[22:23]
	s_movk_i32 s0, 0x1000
	v_add_co_u32_e32 v16, vcc, s0, v8
	s_movk_i32 s0, 0x2000
	s_nop 0
	v_addc_co_u32_e32 v17, vcc, 0, v9, vcc
	s_waitcnt lgkmcnt(0)
	s_barrier
	flat_load_ushort v7, v[8:9]
	flat_load_ushort v18, v[8:9] offset:512
	flat_load_ushort v19, v[8:9] offset:1024
	;; [unrolled: 1-line block ×7, first 2 shown]
	v_add_co_u32_e32 v8, vcc, s0, v8
	flat_load_ushort v30, v[16:17]
	flat_load_ushort v31, v[16:17] offset:512
	flat_load_ushort v32, v[16:17] offset:1024
	;; [unrolled: 1-line block ×7, first 2 shown]
	v_addc_co_u32_e32 v9, vcc, 0, v9, vcc
	flat_load_ushort v16, v[8:9]
	flat_load_ushort v17, v[8:9] offset:512
	flat_load_ushort v38, v[8:9] offset:1024
	;; [unrolled: 1-line block ×7, first 2 shown]
	s_waitcnt vmcnt(0)
	v_cmp_ne_u16_e32 vcc, v6, v2
	v_cmp_ne_u16_sdwa s[6:7], v3, v5 src0_sel:WORD_1 src1_sel:DWORD
	v_cmp_ne_u16_e64 s[0:1], v15, v1
	v_cndmask_b32_e64 v1, 0, 1, vcc
	v_cndmask_b32_e64 v9, 0, 1, s[6:7]
	v_cmp_ne_u16_sdwa s[6:7], v2, v3 src0_sel:WORD_1 src1_sel:DWORD
	v_cmp_ne_u16_e32 vcc, v5, v10
	s_mov_b64 s[12:13], -1
	v_cndmask_b32_e64 v44, 0, 1, s[6:7]
	v_cmp_ne_u16_sdwa s[6:7], v3, v3 src0_sel:DWORD src1_sel:WORD_1
                                        ; implicit-def: $sgpr8
	s_waitcnt lgkmcnt(0)
	ds_write_b16 v22, v7
	ds_write_b16 v22, v18 offset:512
	ds_write_b16 v22, v19 offset:1024
	;; [unrolled: 1-line block ×23, first 2 shown]
	s_waitcnt lgkmcnt(0)
	s_barrier
	ds_read_b96 v[6:8], v4
	ds_read_b128 v[28:31], v4 offset:30
	ds_read_u16 v40, v4 offset:46
	ds_read2_b32 v[16:17], v4 offset0:3 offset1:4
	v_cndmask_b32_e64 v3, 0, 1, s[6:7]
	v_cmp_ne_u16_sdwa s[6:7], v2, v2 src0_sel:DWORD src1_sel:WORD_1
	s_waitcnt lgkmcnt(3)
	v_and_b32_e32 v19, 0xffff, v6
	v_and_b32_e32 v23, 0xffff, v7
	v_lshl_or_b32 v1, v1, 16, v19
	v_lshl_or_b32 v19, v44, 16, v23
	ds_read_u16 v23, v4 offset:28
	ds_read2_b32 v[32:33], v4 offset0:5 offset1:6
	v_cndmask_b32_e64 v2, 0, 1, s[6:7]
	v_cmp_ne_u16_sdwa s[6:7], v13, v13 src0_sel:DWORD src1_sel:WORD_1
	v_alignbit_b32 v18, v2, v6, 16
	v_cndmask_b32_e64 v2, 0, 1, vcc
	s_waitcnt lgkmcnt(0)
	v_and_b32_e32 v5, 0xffff, v33
	v_cndmask_b32_e64 v6, 0, 1, s[6:7]
	v_cmp_ne_u16_sdwa s[6:7], v12, v12 src0_sel:DWORD src1_sel:WORD_1
	v_and_b32_e32 v21, 0xffff, v8
	v_alignbit_b32 v38, v2, v8, 16
	v_and_b32_e32 v4, 0xffff, v32
	v_lshl_or_b32 v8, v6, 16, v5
	v_cndmask_b32_e64 v5, 0, 1, s[6:7]
	v_cmp_ne_u16_sdwa s[6:7], v11, v11 src0_sel:DWORD src1_sel:WORD_1
	v_alignbit_b32 v20, v3, v7, 16
	v_and_b32_e32 v3, 0xffff, v17
	v_lshl_or_b32 v6, v5, 16, v4
	v_cndmask_b32_e64 v4, 0, 1, s[6:7]
	v_cmp_ne_u16_sdwa s[6:7], v10, v10 src0_sel:DWORD src1_sel:WORD_1
	v_and_b32_e32 v2, 0xffff, v16
	v_lshl_or_b32 v4, v4, 16, v3
	v_cndmask_b32_e64 v3, 0, 1, s[6:7]
	v_cmp_ne_u16_sdwa s[6:7], v13, v14 src0_sel:WORD_1 src1_sel:DWORD
	v_lshl_or_b32 v2, v3, 16, v2
	v_lshl_or_b32 v21, v9, 16, v21
	v_cndmask_b32_e64 v3, 0, 1, s[6:7]
	v_cmp_ne_u16_sdwa s[6:7], v12, v13 src0_sel:WORD_1 src1_sel:DWORD
	v_alignbit_b32 v9, v3, v33, 16
	v_cmp_ne_u16_e32 vcc, v14, v24
	v_cndmask_b32_e64 v3, 0, 1, s[6:7]
	v_cmp_ne_u16_sdwa s[6:7], v11, v12 src0_sel:WORD_1 src1_sel:DWORD
	v_alignbit_b32 v7, v3, v32, 16
	v_and_b32_e32 v13, 0xffff, v31
	v_cndmask_b32_e64 v3, 0, 1, s[6:7]
	v_cmp_ne_u16_sdwa s[6:7], v10, v11 src0_sel:WORD_1 src1_sel:DWORD
	v_alignbit_b32 v5, v3, v17, 16
	v_and_b32_e32 v12, 0xffff, v30
	v_cndmask_b32_e64 v3, 0, 1, s[6:7]
	v_cmp_ne_u16_sdwa s[6:7], v27, v27 src0_sel:DWORD src1_sel:WORD_1
	v_alignbit_b32 v3, v3, v16, 16
	v_cndmask_b32_e64 v10, 0, 1, vcc
	v_cndmask_b32_e64 v14, 0, 1, s[6:7]
	v_cmp_ne_u16_sdwa s[6:7], v26, v26 src0_sel:DWORD src1_sel:WORD_1
	v_lshl_or_b32 v16, v14, 16, v13
	v_and_b32_e32 v11, 0xffff, v29
	v_cndmask_b32_e64 v13, 0, 1, s[6:7]
	v_cmp_ne_u16_sdwa s[6:7], v25, v25 src0_sel:DWORD src1_sel:WORD_1
	v_lshl_or_b32 v14, v13, 16, v12
	v_lshl_or_b32 v39, v10, 16, v23
	v_cndmask_b32_e64 v12, 0, 1, s[6:7]
	v_cmp_ne_u16_sdwa s[6:7], v24, v24 src0_sel:DWORD src1_sel:WORD_1
	v_and_b32_e32 v10, 0xffff, v28
	v_lshl_or_b32 v12, v12, 16, v11
	v_cndmask_b32_e64 v11, 0, 1, s[6:7]
	v_cmp_ne_u16_sdwa s[6:7], v27, v15 src0_sel:WORD_1 src1_sel:DWORD
	v_lshl_or_b32 v10, v11, 16, v10
	s_nop 0
	v_cndmask_b32_e64 v11, 0, 1, s[6:7]
	v_cmp_ne_u16_sdwa s[6:7], v26, v27 src0_sel:WORD_1 src1_sel:DWORD
	v_alignbit_b32 v17, v11, v31, 16
	s_nop 0
	v_cndmask_b32_e64 v11, 0, 1, s[6:7]
	v_cmp_ne_u16_sdwa s[6:7], v25, v26 src0_sel:WORD_1 src1_sel:DWORD
	v_alignbit_b32 v15, v11, v30, 16
	s_nop 0
	v_cndmask_b32_e64 v11, 0, 1, s[6:7]
	v_cmp_ne_u16_sdwa s[6:7], v24, v25 src0_sel:WORD_1 src1_sel:DWORD
	v_alignbit_b32 v13, v11, v29, 16
	s_nop 0
	v_cndmask_b32_e64 v11, 0, 1, s[6:7]
	v_alignbit_b32 v11, v11, v28, 16
.LBB310_140:
	v_mov_b32_e32 v23, s8
	s_and_saveexec_b64 s[6:7], s[12:13]
	s_cbranch_execz .LBB310_142
; %bb.141:
	v_mov_b32_e32 v23, 0x10000
	v_cndmask_b32_e64 v23, 0, v23, s[0:1]
	s_waitcnt lgkmcnt(0)
	v_or_b32_sdwa v23, v23, v40 dst_sel:DWORD dst_unused:UNUSED_PAD src0_sel:DWORD src1_sel:WORD_0
.LBB310_142:
	s_or_b64 exec, exec, s[6:7]
	s_cmp_lg_u32 s79, 0
	v_mbcnt_lo_u32_b32 v34, -1, 0
	s_waitcnt lgkmcnt(0)
	s_barrier
	s_cbranch_scc0 .LBB310_211
; %bb.143:
	s_mov_b32 s0, 0x10000
	v_cmp_gt_u32_e64 s[6:7], s0, v18
	v_cmp_gt_u32_e64 s[8:9], s0, v19
	v_cmp_gt_u32_e64 s[10:11], s0, v20
	v_cndmask_b32_e64 v24, 1, v1, s[6:7]
	v_mul_lo_u16_e32 v24, v24, v18
	v_cndmask_b32_e64 v24, 1, v24, s[8:9]
	v_mul_lo_u16_e32 v24, v24, v19
	v_cndmask_b32_e64 v24, 1, v24, s[10:11]
	v_mul_lo_u16_e32 v24, v24, v20
	v_cmp_gt_u32_e64 s[12:13], s0, v21
	v_cmp_gt_u32_e64 s[14:15], s0, v38
	v_cmp_gt_u32_e64 s[16:17], s0, v2
	v_cndmask_b32_e64 v24, 1, v24, s[12:13]
	v_mul_lo_u16_e32 v24, v24, v21
	v_cndmask_b32_e64 v24, 1, v24, s[14:15]
	v_mul_lo_u16_e32 v24, v24, v38
	v_cndmask_b32_e64 v24, 1, v24, s[16:17]
	v_mul_lo_u16_e32 v24, v24, v2
	;; [unrolled: 9-line block ×5, first 2 shown]
	v_cmp_gt_u32_e64 s[38:39], s0, v11
	v_cmp_gt_u32_e64 s[40:41], s0, v12
	v_or3_b32 v25, v23, v17, v16
	v_cndmask_b32_e64 v24, 1, v24, s[38:39]
	v_mul_lo_u16_e32 v24, v24, v11
	v_cndmask_b32_e64 v24, 1, v24, s[40:41]
	v_mul_lo_u16_e32 v24, v24, v12
	v_cmp_gt_u32_e64 s[42:43], s0, v13
	v_or3_b32 v25, v25, v15, v14
	v_or3_b32 v25, v25, v13, v12
	v_cndmask_b32_e64 v24, 1, v24, s[42:43]
	v_mul_lo_u16_e32 v24, v24, v13
	v_cmp_gt_u32_e64 s[44:45], s0, v14
	v_or3_b32 v25, v25, v11, v10
	v_or3_b32 v25, v25, v39, v9
	;; [unrolled: 5-line block ×5, first 2 shown]
	v_cndmask_b32_e64 v24, 1, v24, s[50:51]
	v_mul_lo_u16_e32 v24, v24, v17
	v_cmp_gt_u32_e64 s[52:53], s0, v23
	v_and_b32_e32 v25, 0x10000, v25
	v_lshrrev_b32_e32 v35, 16, v1
	v_cndmask_b32_e64 v26, 1, v24, s[52:53]
	v_cmp_ne_u32_e32 vcc, 0, v25
	v_mul_lo_u16_e32 v24, v26, v23
	v_mbcnt_hi_u32_b32 v27, -1, v34
	v_cndmask_b32_e64 v25, v35, 1, vcc
	v_mul_lo_u16_e32 v26, v26, v23
	v_and_b32_e32 v29, 15, v27
	v_lshl_or_b32 v26, v25, 16, v26
	v_cmp_ne_u32_e32 vcc, 0, v29
	s_nop 0
	v_mov_b32_dpp v28, v26 row_shr:1 row_mask:0xf bank_mask:0xf
	s_and_saveexec_b64 s[0:1], vcc
	s_cbranch_execz .LBB310_145
; %bb.144:
	v_cmp_eq_u32_e32 vcc, 0, v25
	v_and_b32_e32 v25, 1, v25
	v_mov_b32_e32 v31, 1
	v_cndmask_b32_e32 v26, 1, v28, vcc
	v_and_b32_sdwa v28, v28, v31 dst_sel:DWORD dst_unused:UNUSED_PAD src0_sel:WORD_1 src1_sel:DWORD
	v_cmp_eq_u32_e32 vcc, 1, v25
	v_mul_lo_u16_e32 v30, v26, v24
	v_mul_lo_u16_e32 v24, v26, v24
	v_cndmask_b32_e64 v25, v28, 1, vcc
	v_lshlrev_b32_e32 v28, 16, v25
	v_or_b32_e32 v26, v28, v24
	v_mov_b32_e32 v24, v30
.LBB310_145:
	s_or_b64 exec, exec, s[0:1]
	v_lshrrev_b32_e32 v28, 16, v26
	v_mov_b32_dpp v30, v26 row_shr:2 row_mask:0xf bank_mask:0xf
	v_cmp_lt_u32_e32 vcc, 1, v29
	s_and_saveexec_b64 s[0:1], vcc
	s_cbranch_execz .LBB310_147
; %bb.146:
	s_mov_b32 s54, 0x10000
	v_cmp_gt_u32_e32 vcc, s54, v26
	v_and_b32_e32 v25, 0x10000, v26
	v_mov_b32_e32 v26, 1
	v_cndmask_b32_e32 v28, 1, v30, vcc
	v_and_b32_sdwa v26, v30, v26 dst_sel:DWORD dst_unused:UNUSED_PAD src0_sel:WORD_1 src1_sel:DWORD
	v_cmp_ne_u32_e32 vcc, 0, v25
	v_mul_lo_u16_e32 v31, v28, v24
	v_mul_lo_u16_e32 v24, v28, v24
	v_cndmask_b32_e64 v25, v26, 1, vcc
	v_lshlrev_b32_e32 v26, 16, v25
	v_or_b32_e32 v26, v26, v24
	v_mov_b32_e32 v28, v25
	v_mov_b32_e32 v24, v31
.LBB310_147:
	s_or_b64 exec, exec, s[0:1]
	v_mov_b32_dpp v30, v26 row_shr:4 row_mask:0xf bank_mask:0xf
	v_cmp_lt_u32_e32 vcc, 3, v29
	s_and_saveexec_b64 s[0:1], vcc
	s_cbranch_execz .LBB310_149
; %bb.148:
	v_mov_b32_e32 v25, 0
	v_cmp_eq_u16_sdwa vcc, v28, v25 src0_sel:BYTE_0 src1_sel:DWORD
	v_and_b32_e32 v25, 1, v28
	v_mov_b32_e32 v28, 1
	v_cndmask_b32_e32 v26, 1, v30, vcc
	v_and_b32_sdwa v28, v30, v28 dst_sel:DWORD dst_unused:UNUSED_PAD src0_sel:WORD_1 src1_sel:DWORD
	v_cmp_eq_u32_e32 vcc, 1, v25
	v_mul_lo_u16_e32 v31, v26, v24
	v_mul_lo_u16_e32 v24, v26, v24
	v_cndmask_b32_e64 v25, v28, 1, vcc
	v_lshlrev_b32_e32 v28, 16, v25
	v_or_b32_e32 v26, v28, v24
	v_mov_b32_e32 v28, v25
	v_mov_b32_e32 v24, v31
.LBB310_149:
	s_or_b64 exec, exec, s[0:1]
	v_mov_b32_dpp v30, v26 row_shr:8 row_mask:0xf bank_mask:0xf
	v_cmp_lt_u32_e32 vcc, 7, v29
	s_and_saveexec_b64 s[0:1], vcc
	s_cbranch_execz .LBB310_151
; %bb.150:
	v_mov_b32_e32 v25, 0
	v_cmp_eq_u16_sdwa vcc, v28, v25 src0_sel:BYTE_0 src1_sel:DWORD
	v_and_b32_e32 v25, 1, v28
	v_mov_b32_e32 v28, 1
	v_cndmask_b32_e32 v26, 1, v30, vcc
	v_and_b32_sdwa v28, v30, v28 dst_sel:DWORD dst_unused:UNUSED_PAD src0_sel:WORD_1 src1_sel:DWORD
	v_cmp_eq_u32_e32 vcc, 1, v25
	v_mul_lo_u16_e32 v29, v26, v24
	v_mul_lo_u16_e32 v24, v26, v24
	v_cndmask_b32_e64 v25, v28, 1, vcc
	v_lshlrev_b32_e32 v28, 16, v25
	v_or_b32_e32 v26, v28, v24
	v_mov_b32_e32 v28, v25
	v_mov_b32_e32 v24, v29
.LBB310_151:
	s_or_b64 exec, exec, s[0:1]
	v_and_b32_e32 v30, 16, v27
	v_mov_b32_dpp v29, v26 row_bcast:15 row_mask:0xf bank_mask:0xf
	v_cmp_ne_u32_e32 vcc, 0, v30
	s_and_saveexec_b64 s[0:1], vcc
	s_cbranch_execz .LBB310_153
; %bb.152:
	v_mov_b32_e32 v25, 0
	v_cmp_eq_u16_sdwa vcc, v28, v25 src0_sel:BYTE_0 src1_sel:DWORD
	v_and_b32_e32 v25, 1, v28
	v_mov_b32_e32 v28, 1
	v_cndmask_b32_e32 v26, 1, v29, vcc
	v_and_b32_sdwa v28, v29, v28 dst_sel:DWORD dst_unused:UNUSED_PAD src0_sel:WORD_1 src1_sel:DWORD
	v_cmp_eq_u32_e32 vcc, 1, v25
	v_mul_lo_u16_e32 v30, v26, v24
	v_mul_lo_u16_e32 v24, v26, v24
	v_cndmask_b32_e64 v25, v28, 1, vcc
	v_lshlrev_b32_e32 v28, 16, v25
	v_or_b32_e32 v26, v28, v24
	v_mov_b32_e32 v24, v30
	v_mov_b32_e32 v28, v25
.LBB310_153:
	s_or_b64 exec, exec, s[0:1]
	v_mov_b32_dpp v26, v26 row_bcast:31 row_mask:0xf bank_mask:0xf
	v_cmp_lt_u32_e32 vcc, 31, v27
	s_and_saveexec_b64 s[0:1], vcc
; %bb.154:
	v_mov_b32_e32 v25, 0
	v_cmp_eq_u16_sdwa vcc, v28, v25 src0_sel:BYTE_0 src1_sel:DWORD
	s_nop 1
	v_cndmask_b32_e32 v25, 1, v26, vcc
	v_mul_lo_u16_e32 v24, v25, v24
	v_and_b32_e32 v25, 1, v28
	v_mov_b32_e32 v28, 1
	v_and_b32_sdwa v26, v26, v28 dst_sel:DWORD dst_unused:UNUSED_PAD src0_sel:WORD_1 src1_sel:DWORD
	v_cmp_eq_u32_e32 vcc, 1, v25
	s_nop 1
	v_cndmask_b32_e64 v25, v26, 1, vcc
; %bb.155:
	s_or_b64 exec, exec, s[0:1]
	v_or_b32_e32 v28, 63, v0
	v_lshrrev_b32_e32 v26, 6, v0
	v_cmp_eq_u32_e32 vcc, v28, v0
	s_and_saveexec_b64 s[0:1], vcc
	s_cbranch_execz .LBB310_157
; %bb.156:
	v_lshlrev_b32_e32 v28, 2, v26
	ds_write_b16 v28, v24
	ds_write_b8 v28, v25 offset:2
.LBB310_157:
	s_or_b64 exec, exec, s[0:1]
	v_cmp_gt_u32_e32 vcc, 4, v0
	s_waitcnt lgkmcnt(0)
	s_barrier
	s_and_saveexec_b64 s[0:1], vcc
	s_cbranch_execz .LBB310_163
; %bb.158:
	v_lshlrev_b32_e32 v28, 2, v0
	ds_read_b32 v29, v28
	v_and_b32_e32 v32, 3, v27
	v_cmp_ne_u32_e32 vcc, 0, v32
	s_waitcnt lgkmcnt(0)
	v_lshrrev_b32_e32 v31, 16, v29
	v_mov_b32_dpp v33, v29 row_shr:1 row_mask:0xf bank_mask:0xf
	v_mov_b32_e32 v30, v29
	s_and_saveexec_b64 s[54:55], vcc
	s_cbranch_execz .LBB310_160
; %bb.159:
	v_mov_b32_e32 v30, 0
	v_cmp_eq_u16_sdwa vcc, v31, v30 src0_sel:BYTE_0 src1_sel:DWORD
	v_and_b32_e32 v31, 0x10000, v29
	v_mov_b32_e32 v40, 1
	v_cndmask_b32_e32 v37, 1, v33, vcc
	v_and_b32_sdwa v33, v33, v40 dst_sel:DWORD dst_unused:UNUSED_PAD src0_sel:WORD_1 src1_sel:DWORD
	v_cmp_ne_u32_e32 vcc, 0, v31
	v_and_b32_e32 v36, 0xff000000, v29
	v_mul_lo_u16_e32 v30, v37, v29
	v_cndmask_b32_e64 v31, v33, 1, vcc
	v_lshlrev_b32_e32 v33, 16, v31
	v_mul_lo_u16_e32 v29, v37, v29
	v_or3_b32 v29, v33, v36, v29
.LBB310_160:
	s_or_b64 exec, exec, s[54:55]
	s_nop 0
	v_mov_b32_dpp v33, v29 row_shr:2 row_mask:0xf bank_mask:0xf
	v_cmp_lt_u32_e32 vcc, 1, v32
	s_and_saveexec_b64 s[54:55], vcc
; %bb.161:
	v_and_b32_e32 v31, 0xff0000, v29
	v_cmp_eq_u32_e32 vcc, 0, v31
	v_and_b32_e32 v29, 0x10000, v29
	s_nop 0
	v_cndmask_b32_e32 v31, 1, v33, vcc
	v_mul_lo_u16_e32 v30, v31, v30
	v_mov_b32_e32 v31, 1
	v_and_b32_sdwa v31, v33, v31 dst_sel:DWORD dst_unused:UNUSED_PAD src0_sel:WORD_1 src1_sel:DWORD
	v_cmp_eq_u32_e32 vcc, 0, v29
	s_nop 1
	v_cndmask_b32_e32 v31, 1, v31, vcc
; %bb.162:
	s_or_b64 exec, exec, s[54:55]
	ds_write_b16 v28, v30
	ds_write_b8 v28, v31 offset:2
.LBB310_163:
	s_or_b64 exec, exec, s[0:1]
	v_cmp_gt_u32_e32 vcc, 64, v0
	v_cmp_lt_u32_e64 s[0:1], 63, v0
	v_mov_b32_e32 v36, 0
	v_mov_b32_e32 v37, 0
	s_waitcnt lgkmcnt(0)
	s_barrier
	s_and_saveexec_b64 s[54:55], s[0:1]
	s_cbranch_execz .LBB310_165
; %bb.164:
	v_lshl_add_u32 v26, v26, 2, -4
	ds_read_u16 v36, v26
	ds_read_u8 v37, v26 offset:2
	v_mov_b32_e32 v28, 0
	v_and_b32_e32 v29, 1, v25
	v_cmp_eq_u16_sdwa s[0:1], v25, v28 src0_sel:BYTE_0 src1_sel:DWORD
	s_waitcnt lgkmcnt(1)
	s_nop 0
	v_cndmask_b32_e64 v25, 1, v36, s[0:1]
	v_cmp_eq_u32_e64 s[0:1], 1, v29
	v_mul_lo_u16_e32 v24, v25, v24
	s_waitcnt lgkmcnt(0)
	v_cndmask_b32_e64 v25, v37, 1, s[0:1]
.LBB310_165:
	s_or_b64 exec, exec, s[54:55]
	v_and_b32_e32 v25, 0xff, v25
	v_and_b32_e32 v24, 0xffff, v24
	v_lshl_or_b32 v24, v25, 16, v24
	v_add_u32_e32 v25, -1, v27
	v_and_b32_e32 v26, 64, v27
	v_cmp_lt_i32_e64 s[0:1], v25, v26
	v_cmp_eq_u32_e64 s[54:55], 0, v27
	s_nop 0
	v_cndmask_b32_e64 v25, v25, v27, s[0:1]
	v_lshlrev_b32_e32 v25, 2, v25
	ds_bpermute_b32 v40, v25, v24
	s_and_saveexec_b64 s[0:1], vcc
	s_cbranch_execz .LBB310_208
; %bb.166:
	v_mov_b32_e32 v31, 0
	ds_read_b32 v24, v31 offset:12
	s_and_saveexec_b64 s[62:63], s[54:55]
	s_cbranch_execz .LBB310_168
; %bb.167:
	s_add_i32 s64, s79, 64
	s_mov_b32 s65, 0
	s_lshl_b64 s[64:65], s[64:65], 3
	s_add_u32 s64, s76, s64
	v_mov_b32_e32 v25, 1
	s_addc_u32 s65, s77, s65
	s_waitcnt lgkmcnt(0)
	global_store_dwordx2 v31, v[24:25], s[64:65] sc1
.LBB310_168:
	s_or_b64 exec, exec, s[62:63]
	v_xad_u32 v26, v27, -1, s79
	v_add_u32_e32 v30, 64, v26
	v_lshl_add_u64 v[32:33], v[30:31], 3, s[76:77]
	global_load_dwordx2 v[28:29], v[32:33], off sc1
	s_waitcnt vmcnt(0)
	v_cmp_eq_u16_sdwa s[64:65], v29, v31 src0_sel:BYTE_0 src1_sel:DWORD
	s_and_saveexec_b64 s[62:63], s[64:65]
	s_cbranch_execz .LBB310_172
; %bb.169:
	s_mov_b64 s[64:65], 0
	v_mov_b32_e32 v25, 0
.LBB310_170:                            ; =>This Inner Loop Header: Depth=1
	global_load_dwordx2 v[28:29], v[32:33], off sc1
	s_waitcnt vmcnt(0)
	v_cmp_ne_u16_sdwa s[68:69], v29, v25 src0_sel:BYTE_0 src1_sel:DWORD
	s_or_b64 s[64:65], s[68:69], s[64:65]
	s_andn2_b64 exec, exec, s[64:65]
	s_cbranch_execnz .LBB310_170
; %bb.171:
	s_or_b64 exec, exec, s[64:65]
.LBB310_172:
	s_or_b64 exec, exec, s[62:63]
	v_mov_b32_e32 v25, 2
	v_cmp_eq_u16_sdwa s[62:63], v29, v25 src0_sel:BYTE_0 src1_sel:DWORD
	v_lshlrev_b64 v[30:31], v27, -1
	v_and_b32_e32 v52, 0xffffff, v28
	v_and_b32_e32 v25, s63, v31
	v_or_b32_e32 v25, 0x80000000, v25
	v_ffbl_b32_e32 v25, v25
	v_add_u32_e32 v33, 32, v25
	v_and_b32_e32 v25, 63, v27
	v_cmp_ne_u32_e32 vcc, 63, v25
	v_and_b32_e32 v32, s62, v30
	v_ffbl_b32_e32 v32, v32
	v_addc_co_u32_e32 v41, vcc, 0, v27, vcc
	v_lshlrev_b32_e32 v41, 2, v41
	ds_bpermute_b32 v42, v41, v52
	v_min_u32_e32 v33, v32, v33
	v_lshrrev_b32_e32 v32, 16, v28
	v_cmp_lt_u32_e32 vcc, v25, v33
	v_bfe_u32 v50, v28, 16, 8
	s_and_saveexec_b64 s[62:63], vcc
	s_cbranch_execz .LBB310_174
; %bb.173:
	v_and_b32_e32 v32, 0xff0000, v28
	v_cmp_eq_u32_e32 vcc, 0, v32
	v_and_b32_e32 v32, 0x10000, v32
	v_mov_b32_e32 v45, 1
	s_waitcnt lgkmcnt(0)
	v_cndmask_b32_e32 v43, 1, v42, vcc
	v_and_b32_sdwa v42, v42, v45 dst_sel:DWORD dst_unused:UNUSED_PAD src0_sel:WORD_1 src1_sel:DWORD
	v_cmp_ne_u32_e32 vcc, 0, v32
	v_mul_lo_u16_e32 v44, v43, v28
	v_mul_lo_u16_e32 v28, v43, v28
	v_cndmask_b32_e64 v32, v42, 1, vcc
	v_lshlrev_b32_e32 v42, 16, v32
	v_or_b32_e32 v52, v42, v28
	v_mov_b32_e32 v28, v44
	v_mov_b32_e32 v50, v32
.LBB310_174:
	s_or_b64 exec, exec, s[62:63]
	v_cmp_gt_u32_e32 vcc, 62, v25
	v_add_u32_e32 v43, 2, v25
	s_waitcnt lgkmcnt(0)
	v_cndmask_b32_e64 v42, 0, 1, vcc
	v_lshlrev_b32_e32 v42, 1, v42
	v_add_lshl_u32 v42, v42, v27, 2
	ds_bpermute_b32 v44, v42, v52
	v_cmp_le_u32_e32 vcc, v43, v33
	s_and_saveexec_b64 s[62:63], vcc
	s_cbranch_execz .LBB310_176
; %bb.175:
	v_cmp_eq_u16_e32 vcc, 0, v50
	v_and_b32_e32 v32, 1, v50
	v_mov_b32_e32 v47, 1
	s_waitcnt lgkmcnt(0)
	v_cndmask_b32_e32 v45, 1, v44, vcc
	v_and_b32_sdwa v44, v44, v47 dst_sel:DWORD dst_unused:UNUSED_PAD src0_sel:WORD_1 src1_sel:DWORD
	v_cmp_eq_u32_e32 vcc, 1, v32
	v_mul_lo_u16_e32 v46, v45, v28
	v_mul_lo_u16_e32 v28, v45, v28
	v_cndmask_b32_e64 v32, v44, 1, vcc
	v_lshlrev_b32_e32 v44, 16, v32
	v_or_b32_e32 v52, v44, v28
	v_mov_b32_e32 v28, v46
	v_mov_b32_e32 v50, v32
.LBB310_176:
	s_or_b64 exec, exec, s[62:63]
	v_cmp_gt_u32_e32 vcc, 60, v25
	v_add_u32_e32 v45, 4, v25
	s_waitcnt lgkmcnt(0)
	v_cndmask_b32_e64 v44, 0, 1, vcc
	v_lshlrev_b32_e32 v44, 2, v44
	v_add_lshl_u32 v44, v44, v27, 2
	ds_bpermute_b32 v46, v44, v52
	v_cmp_le_u32_e32 vcc, v45, v33
	s_and_saveexec_b64 s[62:63], vcc
	s_cbranch_execz .LBB310_178
; %bb.177:
	v_cmp_eq_u16_e32 vcc, 0, v50
	v_and_b32_e32 v32, 1, v50
	v_mov_b32_e32 v49, 1
	s_waitcnt lgkmcnt(0)
	v_cndmask_b32_e32 v47, 1, v46, vcc
	v_and_b32_sdwa v46, v46, v49 dst_sel:DWORD dst_unused:UNUSED_PAD src0_sel:WORD_1 src1_sel:DWORD
	v_cmp_eq_u32_e32 vcc, 1, v32
	v_mul_lo_u16_e32 v48, v47, v28
	v_mul_lo_u16_e32 v28, v47, v28
	v_cndmask_b32_e64 v32, v46, 1, vcc
	v_lshlrev_b32_e32 v46, 16, v32
	v_or_b32_e32 v52, v46, v28
	v_mov_b32_e32 v28, v48
	v_mov_b32_e32 v50, v32
.LBB310_178:
	;; [unrolled: 27-line block ×4, first 2 shown]
	s_or_b64 exec, exec, s[62:63]
	v_cmp_gt_u32_e32 vcc, 32, v25
	s_waitcnt lgkmcnt(0)
	s_nop 0
	v_cndmask_b32_e64 v51, 0, 1, vcc
	v_lshlrev_b32_e32 v51, 5, v51
	v_add_lshl_u32 v51, v51, v27, 2
	ds_bpermute_b32 v27, v51, v52
	v_add_u32_e32 v52, 32, v25
	v_cmp_le_u32_e32 vcc, v52, v33
	s_and_saveexec_b64 s[62:63], vcc
	s_cbranch_execz .LBB310_184
; %bb.183:
	v_cmp_eq_u16_e32 vcc, 0, v50
	v_mov_b32_e32 v33, 1
	s_waitcnt lgkmcnt(0)
	v_cndmask_b32_e32 v32, 1, v27, vcc
	v_mul_lo_u16_e32 v28, v32, v28
	v_and_b32_e32 v32, 1, v50
	v_and_b32_sdwa v27, v27, v33 dst_sel:DWORD dst_unused:UNUSED_PAD src0_sel:WORD_1 src1_sel:DWORD
	v_cmp_eq_u32_e32 vcc, 1, v32
	s_nop 1
	v_cndmask_b32_e64 v32, v27, 1, vcc
.LBB310_184:
	s_or_b64 exec, exec, s[62:63]
	s_waitcnt lgkmcnt(0)
	v_mov_b32_e32 v27, 0
	v_mov_b32_e32 v54, 2
	;; [unrolled: 1-line block ×3, first 2 shown]
	s_branch .LBB310_186
.LBB310_185:                            ;   in Loop: Header=BB310_186 Depth=1
	s_or_b64 exec, exec, s[62:63]
	v_cmp_eq_u16_sdwa vcc, v50, v27 src0_sel:BYTE_0 src1_sel:DWORD
	v_and_b32_e32 v32, 1, v50
	v_and_b32_e32 v33, 1, v33
	v_cndmask_b32_e32 v28, 1, v28, vcc
	v_cmp_eq_u32_e32 vcc, 1, v32
	v_subrev_u32_e32 v26, 64, v26
	v_mul_lo_u16_e32 v28, v28, v53
	v_cndmask_b32_e64 v32, v33, 1, vcc
.LBB310_186:                            ; =>This Loop Header: Depth=1
                                        ;     Child Loop BB310_189 Depth 2
	v_cmp_ne_u16_sdwa s[62:63], v29, v54 src0_sel:BYTE_0 src1_sel:DWORD
	v_mov_b32_e32 v50, v32
	v_mov_b32_e32 v53, v28
	v_cndmask_b32_e64 v29, 0, 1, s[62:63]
	;;#ASMSTART
	;;#ASMEND
	s_nop 0
	v_cmp_ne_u32_e32 vcc, 0, v29
	s_cmp_lg_u64 vcc, exec
	s_cbranch_scc1 .LBB310_203
; %bb.187:                              ;   in Loop: Header=BB310_186 Depth=1
	v_lshl_add_u64 v[32:33], v[26:27], 3, s[76:77]
	global_load_dwordx2 v[28:29], v[32:33], off sc1
	s_waitcnt vmcnt(0)
	v_cmp_eq_u16_sdwa s[64:65], v29, v27 src0_sel:BYTE_0 src1_sel:DWORD
	s_and_saveexec_b64 s[62:63], s[64:65]
	s_cbranch_execz .LBB310_191
; %bb.188:                              ;   in Loop: Header=BB310_186 Depth=1
	s_mov_b64 s[64:65], 0
.LBB310_189:                            ;   Parent Loop BB310_186 Depth=1
                                        ; =>  This Inner Loop Header: Depth=2
	global_load_dwordx2 v[28:29], v[32:33], off sc1
	s_waitcnt vmcnt(0)
	v_cmp_ne_u16_sdwa s[68:69], v29, v27 src0_sel:BYTE_0 src1_sel:DWORD
	s_or_b64 s[64:65], s[68:69], s[64:65]
	s_andn2_b64 exec, exec, s[64:65]
	s_cbranch_execnz .LBB310_189
; %bb.190:                              ;   in Loop: Header=BB310_186 Depth=1
	s_or_b64 exec, exec, s[64:65]
.LBB310_191:                            ;   in Loop: Header=BB310_186 Depth=1
	s_or_b64 exec, exec, s[62:63]
	v_cmp_eq_u16_sdwa s[62:63], v29, v54 src0_sel:BYTE_0 src1_sel:DWORD
	s_waitcnt lgkmcnt(0)
	v_and_b32_e32 v57, 0xffffff, v28
	ds_bpermute_b32 v58, v41, v57
	v_and_b32_e32 v32, s63, v31
	v_or_b32_e32 v32, 0x80000000, v32
	v_and_b32_e32 v33, s62, v30
	v_ffbl_b32_e32 v32, v32
	v_add_u32_e32 v32, 32, v32
	v_ffbl_b32_e32 v33, v33
	v_min_u32_e32 v32, v33, v32
	v_lshrrev_b32_e32 v33, 16, v28
	v_cmp_lt_u32_e32 vcc, v25, v32
	v_bfe_u32 v56, v28, 16, 8
	s_and_saveexec_b64 s[62:63], vcc
	s_cbranch_execz .LBB310_193
; %bb.192:                              ;   in Loop: Header=BB310_186 Depth=1
	v_and_b32_e32 v33, 0xff0000, v28
	v_cmp_eq_u32_e32 vcc, 0, v33
	v_and_b32_e32 v33, 0x10000, v33
	s_waitcnt lgkmcnt(0)
	v_and_b32_sdwa v57, v58, v55 dst_sel:DWORD dst_unused:UNUSED_PAD src0_sel:WORD_1 src1_sel:DWORD
	v_cndmask_b32_e32 v56, 1, v58, vcc
	v_cmp_ne_u32_e32 vcc, 0, v33
	v_mul_lo_u16_e32 v59, v56, v28
	v_mul_lo_u16_e32 v28, v56, v28
	v_cndmask_b32_e64 v33, v57, 1, vcc
	v_lshlrev_b32_e32 v57, 16, v33
	v_or_b32_e32 v57, v57, v28
	v_mov_b32_e32 v28, v59
	v_mov_b32_e32 v56, v33
.LBB310_193:                            ;   in Loop: Header=BB310_186 Depth=1
	s_or_b64 exec, exec, s[62:63]
	s_waitcnt lgkmcnt(0)
	ds_bpermute_b32 v58, v42, v57
	v_cmp_le_u32_e32 vcc, v43, v32
	s_and_saveexec_b64 s[62:63], vcc
	s_cbranch_execz .LBB310_195
; %bb.194:                              ;   in Loop: Header=BB310_186 Depth=1
	v_cmp_eq_u16_e32 vcc, 0, v56
	v_and_b32_e32 v33, 1, v56
	s_waitcnt lgkmcnt(0)
	v_and_b32_sdwa v56, v58, v55 dst_sel:DWORD dst_unused:UNUSED_PAD src0_sel:WORD_1 src1_sel:DWORD
	v_cndmask_b32_e32 v57, 1, v58, vcc
	v_cmp_eq_u32_e32 vcc, 1, v33
	v_mul_lo_u16_e32 v59, v57, v28
	v_mul_lo_u16_e32 v28, v57, v28
	v_cndmask_b32_e64 v33, v56, 1, vcc
	v_lshlrev_b32_e32 v56, 16, v33
	v_or_b32_e32 v57, v56, v28
	v_mov_b32_e32 v28, v59
	v_mov_b32_e32 v56, v33
.LBB310_195:                            ;   in Loop: Header=BB310_186 Depth=1
	s_or_b64 exec, exec, s[62:63]
	s_waitcnt lgkmcnt(0)
	ds_bpermute_b32 v58, v44, v57
	v_cmp_le_u32_e32 vcc, v45, v32
	s_and_saveexec_b64 s[62:63], vcc
	s_cbranch_execz .LBB310_197
; %bb.196:                              ;   in Loop: Header=BB310_186 Depth=1
	v_cmp_eq_u16_e32 vcc, 0, v56
	v_and_b32_e32 v33, 1, v56
	s_waitcnt lgkmcnt(0)
	v_and_b32_sdwa v56, v58, v55 dst_sel:DWORD dst_unused:UNUSED_PAD src0_sel:WORD_1 src1_sel:DWORD
	v_cndmask_b32_e32 v57, 1, v58, vcc
	v_cmp_eq_u32_e32 vcc, 1, v33
	v_mul_lo_u16_e32 v59, v57, v28
	v_mul_lo_u16_e32 v28, v57, v28
	v_cndmask_b32_e64 v33, v56, 1, vcc
	v_lshlrev_b32_e32 v56, 16, v33
	v_or_b32_e32 v57, v56, v28
	v_mov_b32_e32 v28, v59
	v_mov_b32_e32 v56, v33
.LBB310_197:                            ;   in Loop: Header=BB310_186 Depth=1
	;; [unrolled: 21-line block ×4, first 2 shown]
	s_or_b64 exec, exec, s[62:63]
	ds_bpermute_b32 v57, v51, v57
	v_cmp_le_u32_e32 vcc, v52, v32
	s_and_saveexec_b64 s[62:63], vcc
	s_cbranch_execz .LBB310_185
; %bb.202:                              ;   in Loop: Header=BB310_186 Depth=1
	v_cmp_eq_u16_e32 vcc, 0, v56
	s_waitcnt lgkmcnt(0)
	v_lshrrev_b32_e32 v33, 16, v57
	v_cndmask_b32_e32 v32, 1, v57, vcc
	v_mul_lo_u16_e32 v28, v32, v28
	v_and_b32_e32 v32, 1, v56
	v_cmp_eq_u32_e32 vcc, 1, v32
	s_nop 1
	v_cndmask_b32_e64 v33, v33, 1, vcc
	s_branch .LBB310_185
.LBB310_203:                            ;   in Loop: Header=BB310_186 Depth=1
                                        ; implicit-def: $vgpr32
                                        ; implicit-def: $vgpr28
	s_cbranch_execz .LBB310_186
; %bb.204:
	s_and_saveexec_b64 s[62:63], s[54:55]
	s_cbranch_execz .LBB310_206
; %bb.205:
	v_and_b32_e32 v25, 0xff0000, v24
	s_mov_b32 s65, 0
	v_cmp_eq_u32_e32 vcc, 0, v25
	v_and_b32_e32 v26, 0x10000, v24
	v_mov_b32_e32 v27, 1
	s_add_i32 s64, s79, 64
	v_cndmask_b32_e32 v25, 1, v53, vcc
	v_and_b32_sdwa v27, v50, v27 dst_sel:WORD_1 dst_unused:UNUSED_PAD src0_sel:DWORD src1_sel:DWORD
	v_mov_b32_e32 v28, 0x10000
	v_cmp_eq_u32_e32 vcc, 0, v26
	s_lshl_b64 s[64:65], s[64:65], 3
	s_add_u32 s64, s76, s64
	v_cndmask_b32_e32 v26, v28, v27, vcc
	v_mul_lo_u16_e32 v24, v25, v24
	s_addc_u32 s65, s77, s65
	v_mov_b32_e32 v27, 0
	v_or_b32_e32 v24, v26, v24
	v_mov_b32_e32 v25, 2
	global_store_dwordx2 v27, v[24:25], s[64:65] sc1
.LBB310_206:
	s_or_b64 exec, exec, s[62:63]
	s_and_b64 exec, exec, s[56:57]
	s_cbranch_execz .LBB310_208
; %bb.207:
	v_mov_b32_e32 v24, 0
	ds_write_b16 v24, v53 offset:12
	ds_write_b8 v24, v50 offset:14
.LBB310_208:
	s_or_b64 exec, exec, s[0:1]
	v_mov_b32_e32 v24, 0
	s_waitcnt lgkmcnt(0)
	s_barrier
	ds_read_b32 v25, v24 offset:12
	v_mov_b32_e32 v26, v1
	s_and_saveexec_b64 s[0:1], s[4:5]
; %bb.209:
	v_lshrrev_b32_e32 v26, 16, v40
	v_cndmask_b32_e64 v26, v26, v37, s[54:55]
	v_and_b32_e32 v28, 0x10000, v1
	v_cndmask_b32_e64 v27, v40, v36, s[54:55]
	v_and_b32_e32 v26, 1, v26
	v_cmp_ne_u32_e32 vcc, 0, v28
	s_mov_b32 s54, 0x10000
	s_nop 0
	v_cndmask_b32_e64 v35, v26, 1, vcc
	v_cmp_gt_u32_e32 vcc, s54, v1
	s_nop 1
	v_cndmask_b32_e32 v26, 1, v27, vcc
	v_mul_lo_u16_e32 v26, v26, v1
; %bb.210:
	s_or_b64 exec, exec, s[0:1]
	v_cmp_eq_u16_sdwa vcc, v35, v24 src0_sel:BYTE_0 src1_sel:DWORD
	s_waitcnt lgkmcnt(0)
	s_nop 0
	v_cndmask_b32_e32 v24, 1, v25, vcc
	v_mul_lo_u16_e32 v50, v24, v26
	v_cndmask_b32_e64 v24, 1, v50, s[6:7]
	v_mul_lo_u16_e32 v24, v24, v18
	v_cndmask_b32_e64 v25, 1, v24, s[8:9]
	;; [unrolled: 2-line block ×23, first 2 shown]
	v_mul_lo_u16_e32 v49, v49, v23
	s_branch .LBB310_241
.LBB310_211:
                                        ; implicit-def: $vgpr50
                                        ; implicit-def: $vgpr24
                                        ; implicit-def: $vgpr25
                                        ; implicit-def: $vgpr26
                                        ; implicit-def: $vgpr27
                                        ; implicit-def: $vgpr28
                                        ; implicit-def: $vgpr29
                                        ; implicit-def: $vgpr31
                                        ; implicit-def: $vgpr30
                                        ; implicit-def: $vgpr32
                                        ; implicit-def: $vgpr33
                                        ; implicit-def: $vgpr35
                                        ; implicit-def: $vgpr36
                                        ; implicit-def: $vgpr37
                                        ; implicit-def: $vgpr40
                                        ; implicit-def: $vgpr42
                                        ; implicit-def: $vgpr41
                                        ; implicit-def: $vgpr43
                                        ; implicit-def: $vgpr44
                                        ; implicit-def: $vgpr45
                                        ; implicit-def: $vgpr46
                                        ; implicit-def: $vgpr47
                                        ; implicit-def: $vgpr48
                                        ; implicit-def: $vgpr49
	s_cbranch_execz .LBB310_241
; %bb.212:
	s_cmp_lg_u64 s[80:81], 0
	s_cselect_b32 s7, s71, 0
	s_cselect_b32 s6, s70, 0
	s_cmp_lg_u64 s[6:7], 0
	s_cselect_b64 s[0:1], -1, 0
	s_and_b64 s[8:9], s[56:57], s[0:1]
	s_and_saveexec_b64 s[0:1], s[8:9]
	s_cbranch_execz .LBB310_214
; %bb.213:
	v_mov_b32_e32 v24, 0
	global_load_ushort v25, v24, s[6:7]
	global_load_ubyte v26, v24, s[6:7] offset:2
	s_mov_b32 s6, 0x10000
	v_and_b32_e32 v24, 0x10000, v1
	v_mov_b32_e32 v27, 1
	v_cmp_gt_u32_e32 vcc, s6, v1
	v_mov_b32_e32 v28, 0x10000
	s_waitcnt vmcnt(0)
	v_and_b32_sdwa v26, v26, v27 dst_sel:WORD_1 dst_unused:UNUSED_PAD src0_sel:DWORD src1_sel:DWORD
	v_cndmask_b32_e32 v25, 1, v25, vcc
	v_cmp_eq_u32_e32 vcc, 0, v24
	v_mul_lo_u16_e32 v1, v25, v1
	s_nop 0
	v_cndmask_b32_e32 v24, v28, v26, vcc
	v_or_b32_e32 v1, v24, v1
.LBB310_214:
	s_or_b64 exec, exec, s[0:1]
	s_mov_b32 s50, 0x10000
	v_cmp_gt_u32_e32 vcc, s50, v18
	v_cmp_gt_u32_e64 s[6:7], s50, v19
	v_cmp_gt_u32_e64 s[8:9], s50, v20
	v_cndmask_b32_e32 v24, 1, v1, vcc
	v_mul_lo_u16_e32 v24, v24, v18
	v_cndmask_b32_e64 v25, 1, v24, s[6:7]
	v_mul_lo_u16_e32 v25, v25, v19
	v_bfe_u32 v28, v19, 16, 1
	v_mov_b32_e32 v53, 1
	v_cndmask_b32_e64 v26, 1, v25, s[8:9]
	v_lshlrev_b16_e32 v28, 1, v28
	v_and_b32_sdwa v29, v18, v53 dst_sel:DWORD dst_unused:UNUSED_PAD src0_sel:WORD_1 src1_sel:DWORD
	v_mul_lo_u16_e32 v26, v26, v20
	v_cmp_gt_u32_e64 s[10:11], s50, v21
	v_or_b32_e32 v28, v29, v28
	v_bfe_u32 v29, v21, 16, 1
	v_and_b32_sdwa v30, v20, v53 dst_sel:DWORD dst_unused:UNUSED_PAD src0_sel:WORD_1 src1_sel:DWORD
	v_cndmask_b32_e64 v27, 1, v26, s[10:11]
	v_lshlrev_b16_e32 v29, 3, v29
	v_lshlrev_b16_e32 v30, 2, v30
	v_mul_lo_u16_e32 v27, v27, v21
	v_or_b32_e32 v29, v29, v30
	v_cmp_gt_u32_e64 s[12:13], s50, v38
	v_or_b32_e32 v49, v28, v29
	v_and_b32_e32 v29, 0x10000, v38
	v_cndmask_b32_e64 v28, 1, v27, s[12:13]
	v_mul_lo_u16_e32 v28, v28, v38
	v_cmp_gt_u32_e64 s[14:15], s50, v2
	v_cmp_ne_u32_e64 s[0:1], 0, v29
	v_cmp_gt_u32_e64 s[16:17], s50, v3
	v_cndmask_b32_e64 v29, 1, v28, s[14:15]
	v_mul_lo_u16_e32 v29, v29, v2
	v_cndmask_b32_e64 v30, 1, v29, s[16:17]
	v_mul_lo_u16_e32 v31, v30, v3
	v_cmp_gt_u32_e64 s[18:19], s50, v4
	v_cmp_gt_u32_e64 s[20:21], s50, v5
	;; [unrolled: 1-line block ×3, first 2 shown]
	v_cndmask_b32_e64 v30, 1, v31, s[18:19]
	v_mul_lo_u16_e32 v30, v30, v4
	v_cndmask_b32_e64 v32, 1, v30, s[20:21]
	v_mul_lo_u16_e32 v32, v32, v5
	;; [unrolled: 2-line block ×3, first 2 shown]
	v_cmp_gt_u32_e64 s[24:25], s50, v7
	v_cmp_gt_u32_e64 s[26:27], s50, v8
	;; [unrolled: 1-line block ×3, first 2 shown]
	v_cndmask_b32_e64 v35, 1, v33, s[24:25]
	v_mul_lo_u16_e32 v35, v35, v7
	v_cndmask_b32_e64 v36, 1, v35, s[26:27]
	v_mul_lo_u16_e32 v36, v36, v8
	;; [unrolled: 2-line block ×3, first 2 shown]
	v_cmp_gt_u32_e64 s[30:31], s50, v39
	v_and_b32_e32 v41, 0x10000, v39
	v_cmp_gt_u32_e64 s[34:35], s50, v10
	v_cndmask_b32_e64 v40, 1, v37, s[30:31]
	v_mul_lo_u16_e32 v40, v40, v39
	v_cmp_ne_u32_e64 s[52:53], 0, v41
	v_cndmask_b32_e64 v41, 1, v40, s[34:35]
	v_mul_lo_u16_e32 v42, v41, v10
	v_cmp_gt_u32_e64 s[36:37], s50, v11
	v_cmp_gt_u32_e64 s[38:39], s50, v12
	v_and_b32_e32 v52, 0x10000, v23
	v_cndmask_b32_e64 v41, 1, v42, s[36:37]
	v_mul_lo_u16_e32 v41, v41, v11
	v_cndmask_b32_e64 v43, 1, v41, s[38:39]
	v_mul_lo_u16_e32 v43, v43, v12
	v_cmp_gt_u32_e64 s[40:41], s50, v13
	v_cmp_ne_u32_e64 s[54:55], 0, v52
	v_or_b32_e32 v52, v16, v8
	v_or_b32_e32 v55, v17, v9
	;; [unrolled: 1-line block ×3, first 2 shown]
	v_cndmask_b32_e64 v44, 1, v43, s[40:41]
	v_or_b32_e32 v56, v14, v6
	v_or_b32_e32 v58, v12, v4
	;; [unrolled: 1-line block ×4, first 2 shown]
	v_bfe_u32 v57, v57, 16, 1
	v_bfe_u32 v55, v55, 16, 1
	v_and_b32_sdwa v52, v52, v53 dst_sel:DWORD dst_unused:UNUSED_PAD src0_sel:WORD_1 src1_sel:DWORD
	v_mul_lo_u16_e32 v44, v44, v13
	v_cmp_gt_u32_e64 s[42:43], s50, v14
	v_or_b32_e32 v60, v10, v2
	v_bfe_u32 v61, v61, 16, 1
	v_bfe_u32 v59, v59, 16, 1
	v_and_b32_sdwa v58, v58, v53 dst_sel:DWORD dst_unused:UNUSED_PAD src0_sel:WORD_1 src1_sel:DWORD
	v_lshlrev_b16_e32 v57, 1, v57
	v_and_b32_sdwa v56, v56, v53 dst_sel:DWORD dst_unused:UNUSED_PAD src0_sel:WORD_1 src1_sel:DWORD
	v_lshlrev_b16_e32 v55, 3, v55
	v_lshlrev_b16_e32 v52, 2, v52
	v_cndmask_b32_e64 v45, 1, v44, s[42:43]
	v_lshlrev_b16_e32 v61, 1, v61
	v_and_b32_sdwa v60, v60, v53 dst_sel:DWORD dst_unused:UNUSED_PAD src0_sel:WORD_1 src1_sel:DWORD
	v_lshlrev_b16_e32 v59, 3, v59
	v_lshlrev_b16_e32 v58, 2, v58
	v_or_b32_e32 v56, v56, v57
	v_or_b32_e32 v52, v55, v52
	v_mul_lo_u16_e32 v45, v45, v14
	v_cmp_gt_u32_e64 s[44:45], s50, v15
	v_or_b32_e32 v60, v60, v61
	v_or_b32_e32 v58, v59, v58
	;; [unrolled: 1-line block ×3, first 2 shown]
	v_cndmask_b32_e64 v46, 1, v45, s[44:45]
	v_or_b32_e32 v58, v60, v58
	v_lshlrev_b16_e32 v52, 4, v52
	v_mul_lo_u16_e32 v46, v46, v15
	v_cmp_gt_u32_e64 s[46:47], s50, v16
	v_or_b32_e32 v52, v58, v52
	v_or_b32_e32 v49, v52, v49
	v_cndmask_b32_e64 v47, 1, v46, s[46:47]
	v_mov_b32_e32 v52, 0
	v_mul_lo_u16_e32 v47, v47, v16
	v_cmp_gt_u32_e64 s[48:49], s50, v17
	v_cmp_ne_u16_sdwa s[62:63], v49, v52 src0_sel:BYTE_0 src1_sel:DWORD
	s_or_b64 s[54:55], s[54:55], s[62:63]
	v_cndmask_b32_e64 v48, 1, v47, s[48:49]
	v_mul_lo_u16_e32 v48, v48, v17
	v_cmp_gt_u32_e64 s[50:51], s50, v23
	s_or_b64 s[52:53], s[54:55], s[52:53]
	v_lshrrev_b32_e32 v50, 16, v1
	v_cndmask_b32_e64 v54, 1, v48, s[50:51]
	s_or_b64 s[0:1], s[52:53], s[0:1]
	v_cndmask_b32_e64 v52, v50, 1, s[0:1]
	v_mbcnt_hi_u32_b32 v34, -1, v34
	v_mul_lo_u16_e32 v49, v54, v23
	v_mul_lo_u16_e32 v51, v54, v23
	v_and_b32_e32 v55, 15, v34
	v_lshl_or_b32 v54, v52, 16, v49
	v_cmp_ne_u32_e64 s[0:1], 0, v55
	s_nop 0
	v_mov_b32_dpp v56, v54 row_shr:1 row_mask:0xf bank_mask:0xf
	s_and_saveexec_b64 s[52:53], s[0:1]
; %bb.215:
	v_cmp_eq_u32_e64 s[0:1], 0, v52
	v_and_b32_e32 v52, 1, v52
	v_and_b32_sdwa v53, v56, v53 dst_sel:DWORD dst_unused:UNUSED_PAD src0_sel:WORD_1 src1_sel:DWORD
	v_cndmask_b32_e64 v54, 1, v56, s[0:1]
	v_cmp_eq_u32_e64 s[0:1], 1, v52
	v_mul_lo_u16_e32 v57, v51, v54
	v_mul_lo_u16_e32 v51, v51, v54
	v_cndmask_b32_e64 v52, v53, 1, s[0:1]
	v_lshlrev_b32_e32 v53, 16, v52
	v_or_b32_e32 v54, v53, v51
	v_mov_b32_e32 v51, v57
; %bb.216:
	s_or_b64 exec, exec, s[52:53]
	v_lshrrev_b32_e32 v53, 16, v54
	v_mov_b32_dpp v56, v54 row_shr:2 row_mask:0xf bank_mask:0xf
	v_cmp_lt_u32_e64 s[0:1], 1, v55
	s_and_saveexec_b64 s[52:53], s[0:1]
	s_cbranch_execz .LBB310_218
; %bb.217:
	s_mov_b32 s0, 0x10000
	v_cmp_gt_u32_e64 s[0:1], s0, v54
	v_and_b32_e32 v52, 0x10000, v54
	v_mov_b32_e32 v54, 1
	v_cndmask_b32_e64 v53, 1, v56, s[0:1]
	v_and_b32_sdwa v54, v56, v54 dst_sel:DWORD dst_unused:UNUSED_PAD src0_sel:WORD_1 src1_sel:DWORD
	v_cmp_ne_u32_e64 s[0:1], 0, v52
	v_mul_lo_u16_e32 v57, v53, v51
	v_mul_lo_u16_e32 v51, v53, v51
	v_cndmask_b32_e64 v52, v54, 1, s[0:1]
	v_lshlrev_b32_e32 v54, 16, v52
	v_or_b32_e32 v54, v54, v51
	v_mov_b32_e32 v53, v52
	v_mov_b32_e32 v51, v57
.LBB310_218:
	s_or_b64 exec, exec, s[52:53]
	v_mov_b32_dpp v56, v54 row_shr:4 row_mask:0xf bank_mask:0xf
	v_cmp_lt_u32_e64 s[0:1], 3, v55
	s_and_saveexec_b64 s[52:53], s[0:1]
	s_cbranch_execz .LBB310_220
; %bb.219:
	v_mov_b32_e32 v52, 0
	v_cmp_eq_u16_sdwa s[0:1], v53, v52 src0_sel:BYTE_0 src1_sel:DWORD
	v_and_b32_e32 v52, 1, v53
	v_mov_b32_e32 v53, 1
	v_cndmask_b32_e64 v54, 1, v56, s[0:1]
	v_and_b32_sdwa v53, v56, v53 dst_sel:DWORD dst_unused:UNUSED_PAD src0_sel:WORD_1 src1_sel:DWORD
	v_cmp_eq_u32_e64 s[0:1], 1, v52
	v_mul_lo_u16_e32 v57, v54, v51
	v_mul_lo_u16_e32 v51, v54, v51
	v_cndmask_b32_e64 v52, v53, 1, s[0:1]
	v_lshlrev_b32_e32 v53, 16, v52
	v_or_b32_e32 v54, v53, v51
	v_mov_b32_e32 v53, v52
	v_mov_b32_e32 v51, v57
.LBB310_220:
	s_or_b64 exec, exec, s[52:53]
	v_mov_b32_dpp v56, v54 row_shr:8 row_mask:0xf bank_mask:0xf
	v_cmp_lt_u32_e64 s[0:1], 7, v55
	s_and_saveexec_b64 s[52:53], s[0:1]
	s_cbranch_execz .LBB310_222
; %bb.221:
	v_mov_b32_e32 v52, 0
	v_cmp_eq_u16_sdwa s[0:1], v53, v52 src0_sel:BYTE_0 src1_sel:DWORD
	v_and_b32_e32 v52, 1, v53
	v_mov_b32_e32 v53, 1
	v_cndmask_b32_e64 v54, 1, v56, s[0:1]
	v_and_b32_sdwa v53, v56, v53 dst_sel:DWORD dst_unused:UNUSED_PAD src0_sel:WORD_1 src1_sel:DWORD
	v_cmp_eq_u32_e64 s[0:1], 1, v52
	v_mul_lo_u16_e32 v55, v54, v51
	v_mul_lo_u16_e32 v51, v54, v51
	v_cndmask_b32_e64 v52, v53, 1, s[0:1]
	v_lshlrev_b32_e32 v53, 16, v52
	v_or_b32_e32 v54, v53, v51
	v_mov_b32_e32 v53, v52
	v_mov_b32_e32 v51, v55
.LBB310_222:
	s_or_b64 exec, exec, s[52:53]
	v_and_b32_e32 v56, 16, v34
	v_mov_b32_dpp v55, v54 row_bcast:15 row_mask:0xf bank_mask:0xf
	v_cmp_ne_u32_e64 s[0:1], 0, v56
	s_and_saveexec_b64 s[52:53], s[0:1]
	s_cbranch_execz .LBB310_224
; %bb.223:
	v_mov_b32_e32 v52, 0
	v_cmp_eq_u16_sdwa s[0:1], v53, v52 src0_sel:BYTE_0 src1_sel:DWORD
	v_and_b32_e32 v52, 1, v53
	v_mov_b32_e32 v53, 1
	v_cndmask_b32_e64 v54, 1, v55, s[0:1]
	v_and_b32_sdwa v53, v55, v53 dst_sel:DWORD dst_unused:UNUSED_PAD src0_sel:WORD_1 src1_sel:DWORD
	v_cmp_eq_u32_e64 s[0:1], 1, v52
	v_mul_lo_u16_e32 v56, v54, v51
	v_mul_lo_u16_e32 v51, v54, v51
	v_cndmask_b32_e64 v52, v53, 1, s[0:1]
	v_lshlrev_b32_e32 v53, 16, v52
	v_or_b32_e32 v54, v53, v51
	v_mov_b32_e32 v51, v56
	v_mov_b32_e32 v53, v52
.LBB310_224:
	s_or_b64 exec, exec, s[52:53]
	v_mov_b32_dpp v54, v54 row_bcast:31 row_mask:0xf bank_mask:0xf
	v_cmp_lt_u32_e64 s[0:1], 31, v34
	s_and_saveexec_b64 s[52:53], s[0:1]
; %bb.225:
	v_mov_b32_e32 v52, 0
	v_cmp_eq_u16_sdwa s[0:1], v53, v52 src0_sel:BYTE_0 src1_sel:DWORD
	s_nop 1
	v_cndmask_b32_e64 v52, 1, v54, s[0:1]
	v_mul_lo_u16_e32 v51, v52, v51
	v_and_b32_e32 v52, 1, v53
	v_mov_b32_e32 v53, 1
	v_and_b32_sdwa v53, v54, v53 dst_sel:DWORD dst_unused:UNUSED_PAD src0_sel:WORD_1 src1_sel:DWORD
	v_cmp_eq_u32_e64 s[0:1], 1, v52
	s_nop 1
	v_cndmask_b32_e64 v52, v53, 1, s[0:1]
; %bb.226:
	s_or_b64 exec, exec, s[52:53]
	v_or_b32_e32 v54, 63, v0
	v_lshrrev_b32_e32 v53, 6, v0
	v_cmp_eq_u32_e64 s[0:1], v54, v0
	s_and_saveexec_b64 s[52:53], s[0:1]
	s_cbranch_execz .LBB310_228
; %bb.227:
	v_lshlrev_b32_e32 v54, 2, v53
	ds_write_b16 v54, v51
	ds_write_b8 v54, v52 offset:2
.LBB310_228:
	s_or_b64 exec, exec, s[52:53]
	v_cmp_gt_u32_e64 s[0:1], 4, v0
	s_waitcnt lgkmcnt(0)
	s_barrier
	s_and_saveexec_b64 s[52:53], s[0:1]
	s_cbranch_execz .LBB310_234
; %bb.229:
	v_lshlrev_b32_e32 v54, 2, v0
	ds_read_b32 v55, v54
	v_and_b32_e32 v58, 3, v34
	v_cmp_ne_u32_e64 s[0:1], 0, v58
	s_waitcnt lgkmcnt(0)
	v_lshrrev_b32_e32 v57, 16, v55
	v_mov_b32_dpp v59, v55 row_shr:1 row_mask:0xf bank_mask:0xf
	v_mov_b32_e32 v56, v55
	s_and_saveexec_b64 s[54:55], s[0:1]
	s_cbranch_execz .LBB310_231
; %bb.230:
	v_mov_b32_e32 v56, 0
	v_cmp_eq_u16_sdwa s[0:1], v57, v56 src0_sel:BYTE_0 src1_sel:DWORD
	v_and_b32_e32 v57, 0x10000, v55
	v_mov_b32_e32 v62, 1
	v_cndmask_b32_e64 v61, 1, v59, s[0:1]
	v_and_b32_sdwa v59, v59, v62 dst_sel:DWORD dst_unused:UNUSED_PAD src0_sel:WORD_1 src1_sel:DWORD
	v_cmp_ne_u32_e64 s[0:1], 0, v57
	v_and_b32_e32 v60, 0xff000000, v55
	v_mul_lo_u16_e32 v56, v61, v55
	v_cndmask_b32_e64 v57, v59, 1, s[0:1]
	v_lshlrev_b32_e32 v59, 16, v57
	v_mul_lo_u16_e32 v55, v61, v55
	v_or3_b32 v55, v59, v60, v55
.LBB310_231:
	s_or_b64 exec, exec, s[54:55]
	s_nop 0
	v_mov_b32_dpp v59, v55 row_shr:2 row_mask:0xf bank_mask:0xf
	v_cmp_lt_u32_e64 s[0:1], 1, v58
	s_and_saveexec_b64 s[54:55], s[0:1]
; %bb.232:
	v_and_b32_e32 v57, 0xff0000, v55
	v_cmp_eq_u32_e64 s[0:1], 0, v57
	v_and_b32_e32 v55, 0x10000, v55
	s_nop 0
	v_cndmask_b32_e64 v57, 1, v59, s[0:1]
	v_mul_lo_u16_e32 v56, v57, v56
	v_mov_b32_e32 v57, 1
	v_and_b32_sdwa v57, v59, v57 dst_sel:DWORD dst_unused:UNUSED_PAD src0_sel:WORD_1 src1_sel:DWORD
	v_cmp_eq_u32_e64 s[0:1], 0, v55
	s_nop 1
	v_cndmask_b32_e64 v57, 1, v57, s[0:1]
; %bb.233:
	s_or_b64 exec, exec, s[54:55]
	ds_write_b16 v54, v56
	ds_write_b8 v54, v57 offset:2
.LBB310_234:
	s_or_b64 exec, exec, s[52:53]
	v_cmp_lt_u32_e64 s[0:1], 63, v0
	v_mov_b32_e32 v54, 0
	s_waitcnt lgkmcnt(0)
	s_barrier
	s_and_saveexec_b64 s[52:53], s[0:1]
	s_cbranch_execz .LBB310_236
; %bb.235:
	v_lshl_add_u32 v53, v53, 2, -4
	ds_read_u16 v54, v53
	ds_read_u8 v53, v53 offset:2
	v_mov_b32_e32 v55, 0
	v_and_b32_e32 v56, 1, v52
	v_cmp_eq_u16_sdwa s[0:1], v52, v55 src0_sel:BYTE_0 src1_sel:DWORD
	s_waitcnt lgkmcnt(1)
	s_nop 0
	v_cndmask_b32_e64 v52, 1, v54, s[0:1]
	v_cmp_eq_u32_e64 s[0:1], 1, v56
	v_mul_lo_u16_e32 v51, v52, v51
	s_waitcnt lgkmcnt(0)
	v_cndmask_b32_e64 v52, v53, 1, s[0:1]
.LBB310_236:
	s_or_b64 exec, exec, s[52:53]
	v_and_b32_e32 v52, 0xff, v52
	v_and_b32_e32 v51, 0xffff, v51
	v_lshl_or_b32 v51, v52, 16, v51
	v_add_u32_e32 v52, -1, v34
	v_and_b32_e32 v53, 64, v34
	v_cmp_lt_i32_e64 s[0:1], v52, v53
	s_nop 1
	v_cndmask_b32_e64 v52, v52, v34, s[0:1]
	v_lshlrev_b32_e32 v52, 2, v52
	ds_bpermute_b32 v51, v52, v51
	s_and_saveexec_b64 s[52:53], s[4:5]
	s_cbranch_execz .LBB310_238
; %bb.237:
	v_cmp_eq_u32_e64 s[0:1], 0, v34
	v_and_b32_e32 v25, 0xff0000, v1
	v_mov_b32_e32 v50, 0
	s_waitcnt lgkmcnt(0)
	v_cndmask_b32_e64 v24, v51, v54, s[0:1]
	v_and_b32_e32 v24, 0xffff, v24
	v_cmp_eq_u32_e64 s[0:1], 0, v25
	;;#ASMSTART
	;;#ASMEND
	s_nop 1
	v_cndmask_b32_e64 v24, 1, v24, s[0:1]
	v_mul_lo_u32 v1, v24, v1
	v_cndmask_b32_e32 v24, 1, v1, vcc
	v_mul_lo_u16_e32 v24, v24, v18
	v_cndmask_b32_e64 v18, 1, v24, s[6:7]
	v_mul_lo_u16_e32 v25, v18, v19
	v_cndmask_b32_e64 v18, 1, v25, s[8:9]
	;; [unrolled: 2-line block ×22, first 2 shown]
	v_mul_lo_u16_e32 v49, v2, v23
.LBB310_238:
	s_or_b64 exec, exec, s[52:53]
	s_and_saveexec_b64 s[0:1], s[56:57]
	s_cbranch_execz .LBB310_240
; %bb.239:
	v_mov_b32_e32 v4, 0
	ds_read_u8 v2, v4 offset:14
	ds_read_u16 v3, v4 offset:12
	s_waitcnt lgkmcnt(1)
	v_lshlrev_b32_e32 v2, 16, v2
	s_waitcnt lgkmcnt(0)
	v_or_b32_e32 v2, v2, v3
	v_mov_b32_e32 v3, 2
	global_store_dwordx2 v4, v[2:3], s[76:77] offset:512 sc1
.LBB310_240:
	s_or_b64 exec, exec, s[0:1]
	v_lshl_or_b32 v50, v50, 16, v1
.LBB310_241:
	s_add_u32 s0, s66, s58
	s_addc_u32 s1, s67, s59
	s_add_u32 s0, s0, s60
	s_addc_u32 s1, s1, s61
	s_and_b64 vcc, exec, s[2:3]
	v_mul_u32_u24_e32 v4, 24, v0
	s_cbranch_vccz .LBB310_291
; %bb.242:
	s_add_i32 s33, s33, s78
	v_cmp_le_u32_e32 vcc, s33, v4
	v_or_b32_e32 v8, 1, v4
	v_or_b32_e32 v7, 2, v4
	;; [unrolled: 1-line block ×7, first 2 shown]
	s_and_saveexec_b64 s[2:3], vcc
	s_xor_b64 s[2:3], exec, s[2:3]
; %bb.243:
	v_or_b32_e32 v8, 1, v4
	v_or_b32_e32 v7, 2, v4
	;; [unrolled: 1-line block ×7, first 2 shown]
; %bb.244:
	s_andn2_saveexec_b64 s[2:3], s[2:3]
	s_or_b64 exec, exec, s[2:3]
	v_lshlrev_b32_e32 v39, 1, v4
	v_lshlrev_b32_e32 v8, 1, v8
	;; [unrolled: 1-line block ×4, first 2 shown]
	s_mov_b32 s2, 0x5040100
	s_waitcnt lgkmcnt(0)
	s_barrier
	ds_write_b16 v39, v50
	ds_write_b16 v8, v24
	;; [unrolled: 1-line block ×4, first 2 shown]
	v_lshlrev_b32_e32 v5, 1, v5
	v_lshlrev_b32_e32 v3, 1, v3
	;; [unrolled: 1-line block ×4, first 2 shown]
	v_perm_b32 v9, v42, v40, s2
	v_perm_b32 v8, v37, v36, s2
	;; [unrolled: 1-line block ×4, first 2 shown]
	ds_write_b16 v5, v27
	ds_write_b16 v3, v28
	;; [unrolled: 1-line block ×4, first 2 shown]
	ds_write_b128 v39, v[6:9] offset:16
	v_perm_b32 v9, v49, v48, s2
	v_perm_b32 v8, v47, v46, s2
	v_perm_b32 v7, v45, v44, s2
	v_perm_b32 v6, v43, v41, s2
	s_movk_i32 s2, 0xffd2
	v_mad_i32_i24 v2, v0, s2, v39
	ds_write_b128 v39, v[6:9] offset:32
	s_waitcnt lgkmcnt(0)
	s_barrier
	ds_read_u16 v53, v2 offset:512
	ds_read_u16 v52, v2 offset:1024
	;; [unrolled: 1-line block ×23, first 2 shown]
	v_mov_b32_e32 v23, 0
	v_lshl_add_u64 v[2:3], s[0:1], 0, v[22:23]
	v_cmp_gt_u32_e32 vcc, s33, v0
	s_and_saveexec_b64 s[2:3], vcc
	s_cbranch_execz .LBB310_246
; %bb.245:
	v_mul_i32_i24_e32 v54, 0xffffffd2, v0
	v_add_u32_e32 v39, v39, v54
	ds_read_u16 v39, v39
	s_waitcnt lgkmcnt(0)
	flat_store_short v[2:3], v39
.LBB310_246:
	s_or_b64 exec, exec, s[2:3]
	v_or_b32_e32 v39, 0x100, v0
	v_cmp_gt_u32_e32 vcc, s33, v39
	s_and_saveexec_b64 s[2:3], vcc
	s_cbranch_execz .LBB310_248
; %bb.247:
	s_waitcnt lgkmcnt(0)
	flat_store_short v[2:3], v53 offset:512
.LBB310_248:
	s_or_b64 exec, exec, s[2:3]
	v_or_b32_e32 v39, 0x200, v0
	v_cmp_gt_u32_e32 vcc, s33, v39
	s_and_saveexec_b64 s[2:3], vcc
	s_cbranch_execz .LBB310_250
; %bb.249:
	s_waitcnt lgkmcnt(0)
	flat_store_short v[2:3], v52 offset:1024
.LBB310_250:
	;; [unrolled: 9-line block ×4, first 2 shown]
	s_or_b64 exec, exec, s[2:3]
	s_waitcnt lgkmcnt(0)
	v_or_b32_e32 v38, 0x500, v0
	v_cmp_gt_u32_e32 vcc, s33, v38
	s_and_saveexec_b64 s[2:3], vcc
	s_cbranch_execz .LBB310_256
; %bb.255:
	flat_store_short v[2:3], v34 offset:2560
.LBB310_256:
	s_or_b64 exec, exec, s[2:3]
	v_or_b32_e32 v34, 0x600, v0
	v_cmp_gt_u32_e32 vcc, s33, v34
	s_and_saveexec_b64 s[2:3], vcc
	s_cbranch_execz .LBB310_258
; %bb.257:
	flat_store_short v[2:3], v21 offset:3072
.LBB310_258:
	s_or_b64 exec, exec, s[2:3]
	;; [unrolled: 8-line block ×3, first 2 shown]
	v_or_b32_e32 v20, 0x800, v0
	v_cmp_gt_u32_e32 vcc, s33, v20
	s_and_saveexec_b64 s[2:3], vcc
	s_cbranch_execz .LBB310_262
; %bb.261:
	v_add_co_u32_e32 v20, vcc, 0x1000, v2
	s_nop 1
	v_addc_co_u32_e32 v21, vcc, 0, v3, vcc
	flat_store_short v[20:21], v19
.LBB310_262:
	s_or_b64 exec, exec, s[2:3]
	v_or_b32_e32 v19, 0x900, v0
	v_cmp_gt_u32_e32 vcc, s33, v19
	s_and_saveexec_b64 s[2:3], vcc
	s_cbranch_execz .LBB310_264
; %bb.263:
	v_add_co_u32_e32 v20, vcc, 0x1000, v2
	s_nop 1
	v_addc_co_u32_e32 v21, vcc, 0, v3, vcc
	flat_store_short v[20:21], v18 offset:512
.LBB310_264:
	s_or_b64 exec, exec, s[2:3]
	v_or_b32_e32 v18, 0xa00, v0
	v_cmp_gt_u32_e32 vcc, s33, v18
	s_and_saveexec_b64 s[2:3], vcc
	s_cbranch_execz .LBB310_266
; %bb.265:
	v_add_co_u32_e32 v18, vcc, 0x1000, v2
	s_nop 1
	v_addc_co_u32_e32 v19, vcc, 0, v3, vcc
	flat_store_short v[18:19], v17 offset:1024
.LBB310_266:
	;; [unrolled: 11-line block ×7, first 2 shown]
	s_or_b64 exec, exec, s[2:3]
	v_or_b32_e32 v12, 0x1000, v0
	v_cmp_gt_u32_e32 vcc, s33, v12
	s_and_saveexec_b64 s[2:3], vcc
	s_cbranch_execz .LBB310_278
; %bb.277:
	v_add_co_u32_e32 v12, vcc, 0x2000, v2
	s_nop 1
	v_addc_co_u32_e32 v13, vcc, 0, v3, vcc
	flat_store_short v[12:13], v11
.LBB310_278:
	s_or_b64 exec, exec, s[2:3]
	v_or_b32_e32 v11, 0x1100, v0
	v_cmp_gt_u32_e32 vcc, s33, v11
	s_and_saveexec_b64 s[2:3], vcc
	s_cbranch_execz .LBB310_280
; %bb.279:
	v_add_co_u32_e32 v12, vcc, 0x2000, v2
	s_nop 1
	v_addc_co_u32_e32 v13, vcc, 0, v3, vcc
	flat_store_short v[12:13], v10 offset:512
.LBB310_280:
	s_or_b64 exec, exec, s[2:3]
	v_or_b32_e32 v10, 0x1200, v0
	v_cmp_gt_u32_e32 vcc, s33, v10
	s_and_saveexec_b64 s[2:3], vcc
	s_cbranch_execz .LBB310_282
; %bb.281:
	v_add_co_u32_e32 v10, vcc, 0x2000, v2
	s_nop 1
	v_addc_co_u32_e32 v11, vcc, 0, v3, vcc
	flat_store_short v[10:11], v9 offset:1024
.LBB310_282:
	s_or_b64 exec, exec, s[2:3]
	v_or_b32_e32 v9, 0x1300, v0
	v_cmp_gt_u32_e32 vcc, s33, v9
	s_and_saveexec_b64 s[2:3], vcc
	s_cbranch_execz .LBB310_284
; %bb.283:
	v_add_co_u32_e32 v10, vcc, 0x2000, v2
	s_nop 1
	v_addc_co_u32_e32 v11, vcc, 0, v3, vcc
	flat_store_short v[10:11], v8 offset:1536
.LBB310_284:
	s_or_b64 exec, exec, s[2:3]
	v_or_b32_e32 v8, 0x1400, v0
	v_cmp_gt_u32_e32 vcc, s33, v8
	s_and_saveexec_b64 s[2:3], vcc
	s_cbranch_execz .LBB310_286
; %bb.285:
	v_add_co_u32_e32 v8, vcc, 0x2000, v2
	s_nop 1
	v_addc_co_u32_e32 v9, vcc, 0, v3, vcc
	flat_store_short v[8:9], v7 offset:2048
.LBB310_286:
	s_or_b64 exec, exec, s[2:3]
	v_or_b32_e32 v7, 0x1500, v0
	v_cmp_gt_u32_e32 vcc, s33, v7
	s_and_saveexec_b64 s[2:3], vcc
	s_cbranch_execz .LBB310_288
; %bb.287:
	v_add_co_u32_e32 v8, vcc, 0x2000, v2
	s_nop 1
	v_addc_co_u32_e32 v9, vcc, 0, v3, vcc
	flat_store_short v[8:9], v6 offset:2560
.LBB310_288:
	s_or_b64 exec, exec, s[2:3]
	v_or_b32_e32 v6, 0x1600, v0
	v_cmp_gt_u32_e32 vcc, s33, v6
	s_and_saveexec_b64 s[2:3], vcc
	s_cbranch_execz .LBB310_290
; %bb.289:
	v_add_co_u32_e32 v2, vcc, 0x2000, v2
	s_nop 1
	v_addc_co_u32_e32 v3, vcc, 0, v3, vcc
	flat_store_short v[2:3], v1 offset:3072
.LBB310_290:
	s_or_b64 exec, exec, s[2:3]
	v_or_b32_e32 v2, 0x1700, v0
	v_mov_b32_e32 v1, v23
	v_cmp_gt_u32_e64 s[2:3], s33, v2
	s_branch .LBB310_293
.LBB310_291:
	s_mov_b64 s[2:3], 0
                                        ; implicit-def: $vgpr5
	s_cbranch_execz .LBB310_293
; %bb.292:
	s_mov_b32 s4, 0x5040100
	v_lshlrev_b32_e32 v6, 1, v4
	v_perm_b32 v5, v31, v29, s4
	v_perm_b32 v4, v28, v27, s4
	;; [unrolled: 1-line block ×4, first 2 shown]
	s_waitcnt lgkmcnt(0)
	s_barrier
	ds_write_b128 v6, v[2:5]
	v_perm_b32 v5, v42, v40, s4
	v_perm_b32 v4, v37, v36, s4
	;; [unrolled: 1-line block ×4, first 2 shown]
	ds_write_b128 v6, v[2:5] offset:16
	v_perm_b32 v4, v47, v46, s4
	v_perm_b32 v3, v45, v44, s4
	;; [unrolled: 1-line block ×4, first 2 shown]
	v_mov_b32_e32 v1, 0
	s_movk_i32 s4, 0xffd2
	ds_write_b128 v6, v[2:5] offset:32
	v_mad_i32_i24 v2, v0, s4, v6
	v_mov_b32_e32 v23, v1
	s_waitcnt lgkmcnt(0)
	s_barrier
	ds_read_u16 v4, v2
	ds_read_u16 v6, v2 offset:512
	ds_read_u16 v7, v2 offset:1024
	;; [unrolled: 1-line block ×23, first 2 shown]
	v_lshl_add_u64 v[2:3], s[0:1], 0, v[22:23]
	s_movk_i32 s4, 0x1000
	s_waitcnt lgkmcnt(0)
	flat_store_short v[2:3], v4
	flat_store_short v[2:3], v6 offset:512
	flat_store_short v[2:3], v7 offset:1024
	;; [unrolled: 1-line block ×7, first 2 shown]
	v_add_co_u32_e32 v6, vcc, s4, v2
	s_or_b64 s[2:3], s[2:3], exec
	s_nop 0
	v_addc_co_u32_e32 v7, vcc, 0, v3, vcc
	v_add_co_u32_e32 v2, vcc, 0x2000, v2
	flat_store_short v[6:7], v13
	flat_store_short v[6:7], v14 offset:512
	flat_store_short v[6:7], v15 offset:1024
	;; [unrolled: 1-line block ×7, first 2 shown]
	v_addc_co_u32_e32 v3, vcc, 0, v3, vcc
	flat_store_short v[2:3], v21
	flat_store_short v[2:3], v24 offset:512
	flat_store_short v[2:3], v25 offset:1024
	;; [unrolled: 1-line block ×6, first 2 shown]
.LBB310_293:
	s_and_saveexec_b64 s[4:5], s[2:3]
	s_cbranch_execnz .LBB310_295
; %bb.294:
	s_endpgm
.LBB310_295:
	v_lshl_add_u64 v[0:1], v[0:1], 1, s[0:1]
	v_add_co_u32_e32 v0, vcc, 0x2000, v0
	s_nop 1
	v_addc_co_u32_e32 v1, vcc, 0, v1, vcc
	flat_store_short v[0:1], v5 offset:3584
	s_endpgm
.LBB310_296:
	v_lshl_add_u64 v[52:53], s[62:63], 0, v[36:37]
	flat_load_ushort v1, v[52:53]
	s_or_b64 exec, exec, s[0:1]
                                        ; implicit-def: $vgpr51
	s_and_saveexec_b64 s[0:1], s[8:9]
	s_cbranch_execz .LBB310_61
.LBB310_297:
	v_mov_b32_e32 v37, 0
	v_lshl_add_u64 v[52:53], s[62:63], 0, v[36:37]
	flat_load_ushort v51, v[52:53] offset:512
	s_or_b64 exec, exec, s[0:1]
                                        ; implicit-def: $vgpr52
	s_and_saveexec_b64 s[0:1], s[10:11]
	s_cbranch_execz .LBB310_62
.LBB310_298:
	v_mov_b32_e32 v37, 0
	v_lshl_add_u64 v[52:53], s[62:63], 0, v[36:37]
	flat_load_ushort v52, v[52:53] offset:1024
	s_or_b64 exec, exec, s[0:1]
                                        ; implicit-def: $vgpr53
	s_and_saveexec_b64 s[0:1], s[12:13]
	s_cbranch_execz .LBB310_63
.LBB310_299:
	v_mov_b32_e32 v37, 0
	v_lshl_add_u64 v[54:55], s[62:63], 0, v[36:37]
	flat_load_ushort v53, v[54:55] offset:1536
	s_or_b64 exec, exec, s[0:1]
                                        ; implicit-def: $vgpr54
	s_and_saveexec_b64 s[0:1], s[14:15]
	s_cbranch_execz .LBB310_64
.LBB310_300:
	v_mov_b32_e32 v37, 0
	v_lshl_add_u64 v[54:55], s[62:63], 0, v[36:37]
	flat_load_ushort v54, v[54:55] offset:2048
	s_or_b64 exec, exec, s[0:1]
                                        ; implicit-def: $vgpr55
	s_and_saveexec_b64 s[0:1], s[16:17]
	s_cbranch_execz .LBB310_65
.LBB310_301:
	v_mov_b32_e32 v37, 0
	v_lshl_add_u64 v[56:57], s[62:63], 0, v[36:37]
	flat_load_ushort v55, v[56:57] offset:2560
	s_or_b64 exec, exec, s[0:1]
                                        ; implicit-def: $vgpr56
	s_and_saveexec_b64 s[0:1], s[18:19]
	s_cbranch_execz .LBB310_66
.LBB310_302:
	v_mov_b32_e32 v37, 0
	v_lshl_add_u64 v[56:57], s[62:63], 0, v[36:37]
	flat_load_ushort v56, v[56:57] offset:3072
	s_or_b64 exec, exec, s[0:1]
                                        ; implicit-def: $vgpr37
	s_and_saveexec_b64 s[0:1], s[20:21]
	s_cbranch_execz .LBB310_67
.LBB310_303:
	v_mov_b32_e32 v37, 0
	v_lshl_add_u64 v[58:59], s[62:63], 0, v[36:37]
	flat_load_ushort v37, v[58:59] offset:3584
	s_or_b64 exec, exec, s[0:1]
                                        ; implicit-def: $vgpr3
	s_and_saveexec_b64 s[0:1], s[22:23]
	s_cbranch_execz .LBB310_68
.LBB310_304:
	v_mov_b32_e32 v3, 0
	v_lshl_add_u64 v[2:3], s[62:63], 0, v[2:3]
	flat_load_ushort v3, v[2:3]
	s_or_b64 exec, exec, s[0:1]
                                        ; implicit-def: $vgpr2
	s_and_saveexec_b64 s[0:1], s[24:25]
	s_cbranch_execz .LBB310_69
.LBB310_305:
	v_mov_b32_e32 v5, 0
	v_lshl_add_u64 v[4:5], s[62:63], 0, v[4:5]
	flat_load_ushort v2, v[4:5]
	s_or_b64 exec, exec, s[0:1]
                                        ; implicit-def: $vgpr4
	s_and_saveexec_b64 s[0:1], s[26:27]
	s_cbranch_execz .LBB310_70
.LBB310_306:
	v_mov_b32_e32 v7, 0
	v_lshl_add_u64 v[4:5], s[62:63], 0, v[6:7]
	flat_load_ushort v4, v[4:5]
	s_or_b64 exec, exec, s[0:1]
                                        ; implicit-def: $vgpr5
	s_and_saveexec_b64 s[0:1], s[28:29]
	s_cbranch_execz .LBB310_71
.LBB310_307:
	v_mov_b32_e32 v9, 0
	v_lshl_add_u64 v[6:7], s[62:63], 0, v[8:9]
	flat_load_ushort v5, v[6:7]
	s_or_b64 exec, exec, s[0:1]
                                        ; implicit-def: $vgpr6
	s_and_saveexec_b64 s[0:1], s[30:31]
	s_cbranch_execz .LBB310_72
.LBB310_308:
	v_mov_b32_e32 v11, 0
	v_lshl_add_u64 v[6:7], s[62:63], 0, v[10:11]
	flat_load_ushort v6, v[6:7]
	s_or_b64 exec, exec, s[0:1]
                                        ; implicit-def: $vgpr7
	s_and_saveexec_b64 s[0:1], s[34:35]
	s_cbranch_execz .LBB310_73
.LBB310_309:
	v_mov_b32_e32 v13, 0
	v_lshl_add_u64 v[8:9], s[62:63], 0, v[12:13]
	flat_load_ushort v7, v[8:9]
	s_or_b64 exec, exec, s[0:1]
                                        ; implicit-def: $vgpr8
	s_and_saveexec_b64 s[0:1], s[36:37]
	s_cbranch_execz .LBB310_74
.LBB310_310:
	v_mov_b32_e32 v15, 0
	v_lshl_add_u64 v[8:9], s[62:63], 0, v[14:15]
	flat_load_ushort v8, v[8:9]
	s_or_b64 exec, exec, s[0:1]
                                        ; implicit-def: $vgpr9
	s_and_saveexec_b64 s[0:1], s[38:39]
	s_cbranch_execz .LBB310_75
.LBB310_311:
	v_mov_b32_e32 v17, 0
	v_lshl_add_u64 v[10:11], s[62:63], 0, v[16:17]
	flat_load_ushort v9, v[10:11]
	s_or_b64 exec, exec, s[0:1]
                                        ; implicit-def: $vgpr10
	s_and_saveexec_b64 s[0:1], s[40:41]
	s_cbranch_execz .LBB310_76
.LBB310_312:
	v_mov_b32_e32 v19, 0
	v_lshl_add_u64 v[10:11], s[62:63], 0, v[18:19]
	flat_load_ushort v10, v[10:11]
	s_or_b64 exec, exec, s[0:1]
                                        ; implicit-def: $vgpr11
	s_and_saveexec_b64 s[0:1], s[42:43]
	s_cbranch_execz .LBB310_77
.LBB310_313:
	v_mov_b32_e32 v21, 0
	v_lshl_add_u64 v[12:13], s[62:63], 0, v[20:21]
	flat_load_ushort v11, v[12:13]
	s_or_b64 exec, exec, s[0:1]
                                        ; implicit-def: $vgpr12
	s_and_saveexec_b64 s[0:1], s[44:45]
	s_cbranch_execz .LBB310_78
.LBB310_314:
	v_mov_b32_e32 v35, 0
	v_lshl_add_u64 v[12:13], s[62:63], 0, v[34:35]
	flat_load_ushort v12, v[12:13]
	s_or_b64 exec, exec, s[0:1]
                                        ; implicit-def: $vgpr13
	s_and_saveexec_b64 s[0:1], s[46:47]
	s_cbranch_execz .LBB310_79
.LBB310_315:
	v_mov_b32_e32 v39, 0
	v_lshl_add_u64 v[14:15], s[62:63], 0, v[38:39]
	flat_load_ushort v13, v[14:15]
	s_or_b64 exec, exec, s[0:1]
                                        ; implicit-def: $vgpr14
	s_and_saveexec_b64 s[0:1], s[48:49]
	s_cbranch_execz .LBB310_80
.LBB310_316:
	v_mov_b32_e32 v41, 0
	v_lshl_add_u64 v[14:15], s[62:63], 0, v[40:41]
	flat_load_ushort v14, v[14:15]
	s_or_b64 exec, exec, s[0:1]
                                        ; implicit-def: $vgpr15
	s_and_saveexec_b64 s[0:1], s[50:51]
	s_cbranch_execz .LBB310_81
.LBB310_317:
	v_mov_b32_e32 v43, 0
	v_lshl_add_u64 v[16:17], s[62:63], 0, v[42:43]
	flat_load_ushort v15, v[16:17]
	s_or_b64 exec, exec, s[0:1]
                                        ; implicit-def: $vgpr16
	s_and_saveexec_b64 s[0:1], s[52:53]
	s_cbranch_execz .LBB310_82
.LBB310_318:
	v_mov_b32_e32 v45, 0
	v_lshl_add_u64 v[16:17], s[62:63], 0, v[44:45]
	flat_load_ushort v16, v[16:17]
	s_or_b64 exec, exec, s[0:1]
                                        ; implicit-def: $vgpr17
	s_and_saveexec_b64 s[0:1], s[54:55]
	s_cbranch_execnz .LBB310_83
	s_branch .LBB310_84
.LBB310_319:
                                        ; implicit-def: $sgpr0_sgpr1
	s_branch .LBB310_56
.LBB310_320:
                                        ; implicit-def: $sgpr0_sgpr1
	s_branch .LBB310_135
	.section	.rodata,"a",@progbits
	.p2align	6, 0x0
	.amdhsa_kernel _ZN7rocprim17ROCPRIM_400000_NS6detail17trampoline_kernelINS0_14default_configENS1_27scan_by_key_config_selectorIssEEZZNS1_16scan_by_key_implILNS1_25lookback_scan_determinismE0ELb0ES3_N6thrust23THRUST_200600_302600_NS6detail15normal_iteratorINS9_10device_ptrIsEEEESE_SE_sNS9_10multipliesIsEENS9_8equal_toIsEEsEE10hipError_tPvRmT2_T3_T4_T5_mT6_T7_P12ihipStream_tbENKUlT_T0_E_clISt17integral_constantIbLb0EESY_IbLb1EEEEDaSU_SV_EUlSU_E_NS1_11comp_targetILNS1_3genE5ELNS1_11target_archE942ELNS1_3gpuE9ELNS1_3repE0EEENS1_30default_config_static_selectorELNS0_4arch9wavefront6targetE1EEEvT1_
		.amdhsa_group_segment_fixed_size 13312
		.amdhsa_private_segment_fixed_size 0
		.amdhsa_kernarg_size 112
		.amdhsa_user_sgpr_count 2
		.amdhsa_user_sgpr_dispatch_ptr 0
		.amdhsa_user_sgpr_queue_ptr 0
		.amdhsa_user_sgpr_kernarg_segment_ptr 1
		.amdhsa_user_sgpr_dispatch_id 0
		.amdhsa_user_sgpr_kernarg_preload_length 0
		.amdhsa_user_sgpr_kernarg_preload_offset 0
		.amdhsa_user_sgpr_private_segment_size 0
		.amdhsa_uses_dynamic_stack 0
		.amdhsa_enable_private_segment 0
		.amdhsa_system_sgpr_workgroup_id_x 1
		.amdhsa_system_sgpr_workgroup_id_y 0
		.amdhsa_system_sgpr_workgroup_id_z 0
		.amdhsa_system_sgpr_workgroup_info 0
		.amdhsa_system_vgpr_workitem_id 0
		.amdhsa_next_free_vgpr 63
		.amdhsa_next_free_sgpr 87
		.amdhsa_accum_offset 64
		.amdhsa_reserve_vcc 1
		.amdhsa_float_round_mode_32 0
		.amdhsa_float_round_mode_16_64 0
		.amdhsa_float_denorm_mode_32 3
		.amdhsa_float_denorm_mode_16_64 3
		.amdhsa_dx10_clamp 1
		.amdhsa_ieee_mode 1
		.amdhsa_fp16_overflow 0
		.amdhsa_tg_split 0
		.amdhsa_exception_fp_ieee_invalid_op 0
		.amdhsa_exception_fp_denorm_src 0
		.amdhsa_exception_fp_ieee_div_zero 0
		.amdhsa_exception_fp_ieee_overflow 0
		.amdhsa_exception_fp_ieee_underflow 0
		.amdhsa_exception_fp_ieee_inexact 0
		.amdhsa_exception_int_div_zero 0
	.end_amdhsa_kernel
	.section	.text._ZN7rocprim17ROCPRIM_400000_NS6detail17trampoline_kernelINS0_14default_configENS1_27scan_by_key_config_selectorIssEEZZNS1_16scan_by_key_implILNS1_25lookback_scan_determinismE0ELb0ES3_N6thrust23THRUST_200600_302600_NS6detail15normal_iteratorINS9_10device_ptrIsEEEESE_SE_sNS9_10multipliesIsEENS9_8equal_toIsEEsEE10hipError_tPvRmT2_T3_T4_T5_mT6_T7_P12ihipStream_tbENKUlT_T0_E_clISt17integral_constantIbLb0EESY_IbLb1EEEEDaSU_SV_EUlSU_E_NS1_11comp_targetILNS1_3genE5ELNS1_11target_archE942ELNS1_3gpuE9ELNS1_3repE0EEENS1_30default_config_static_selectorELNS0_4arch9wavefront6targetE1EEEvT1_,"axG",@progbits,_ZN7rocprim17ROCPRIM_400000_NS6detail17trampoline_kernelINS0_14default_configENS1_27scan_by_key_config_selectorIssEEZZNS1_16scan_by_key_implILNS1_25lookback_scan_determinismE0ELb0ES3_N6thrust23THRUST_200600_302600_NS6detail15normal_iteratorINS9_10device_ptrIsEEEESE_SE_sNS9_10multipliesIsEENS9_8equal_toIsEEsEE10hipError_tPvRmT2_T3_T4_T5_mT6_T7_P12ihipStream_tbENKUlT_T0_E_clISt17integral_constantIbLb0EESY_IbLb1EEEEDaSU_SV_EUlSU_E_NS1_11comp_targetILNS1_3genE5ELNS1_11target_archE942ELNS1_3gpuE9ELNS1_3repE0EEENS1_30default_config_static_selectorELNS0_4arch9wavefront6targetE1EEEvT1_,comdat
.Lfunc_end310:
	.size	_ZN7rocprim17ROCPRIM_400000_NS6detail17trampoline_kernelINS0_14default_configENS1_27scan_by_key_config_selectorIssEEZZNS1_16scan_by_key_implILNS1_25lookback_scan_determinismE0ELb0ES3_N6thrust23THRUST_200600_302600_NS6detail15normal_iteratorINS9_10device_ptrIsEEEESE_SE_sNS9_10multipliesIsEENS9_8equal_toIsEEsEE10hipError_tPvRmT2_T3_T4_T5_mT6_T7_P12ihipStream_tbENKUlT_T0_E_clISt17integral_constantIbLb0EESY_IbLb1EEEEDaSU_SV_EUlSU_E_NS1_11comp_targetILNS1_3genE5ELNS1_11target_archE942ELNS1_3gpuE9ELNS1_3repE0EEENS1_30default_config_static_selectorELNS0_4arch9wavefront6targetE1EEEvT1_, .Lfunc_end310-_ZN7rocprim17ROCPRIM_400000_NS6detail17trampoline_kernelINS0_14default_configENS1_27scan_by_key_config_selectorIssEEZZNS1_16scan_by_key_implILNS1_25lookback_scan_determinismE0ELb0ES3_N6thrust23THRUST_200600_302600_NS6detail15normal_iteratorINS9_10device_ptrIsEEEESE_SE_sNS9_10multipliesIsEENS9_8equal_toIsEEsEE10hipError_tPvRmT2_T3_T4_T5_mT6_T7_P12ihipStream_tbENKUlT_T0_E_clISt17integral_constantIbLb0EESY_IbLb1EEEEDaSU_SV_EUlSU_E_NS1_11comp_targetILNS1_3genE5ELNS1_11target_archE942ELNS1_3gpuE9ELNS1_3repE0EEENS1_30default_config_static_selectorELNS0_4arch9wavefront6targetE1EEEvT1_
                                        ; -- End function
	.section	.AMDGPU.csdata,"",@progbits
; Kernel info:
; codeLenInByte = 16232
; NumSgprs: 93
; NumVgprs: 63
; NumAgprs: 0
; TotalNumVgprs: 63
; ScratchSize: 0
; MemoryBound: 0
; FloatMode: 240
; IeeeMode: 1
; LDSByteSize: 13312 bytes/workgroup (compile time only)
; SGPRBlocks: 11
; VGPRBlocks: 7
; NumSGPRsForWavesPerEU: 93
; NumVGPRsForWavesPerEU: 63
; AccumOffset: 64
; Occupancy: 4
; WaveLimiterHint : 1
; COMPUTE_PGM_RSRC2:SCRATCH_EN: 0
; COMPUTE_PGM_RSRC2:USER_SGPR: 2
; COMPUTE_PGM_RSRC2:TRAP_HANDLER: 0
; COMPUTE_PGM_RSRC2:TGID_X_EN: 1
; COMPUTE_PGM_RSRC2:TGID_Y_EN: 0
; COMPUTE_PGM_RSRC2:TGID_Z_EN: 0
; COMPUTE_PGM_RSRC2:TIDIG_COMP_CNT: 0
; COMPUTE_PGM_RSRC3_GFX90A:ACCUM_OFFSET: 15
; COMPUTE_PGM_RSRC3_GFX90A:TG_SPLIT: 0
	.section	.text._ZN7rocprim17ROCPRIM_400000_NS6detail17trampoline_kernelINS0_14default_configENS1_27scan_by_key_config_selectorIssEEZZNS1_16scan_by_key_implILNS1_25lookback_scan_determinismE0ELb0ES3_N6thrust23THRUST_200600_302600_NS6detail15normal_iteratorINS9_10device_ptrIsEEEESE_SE_sNS9_10multipliesIsEENS9_8equal_toIsEEsEE10hipError_tPvRmT2_T3_T4_T5_mT6_T7_P12ihipStream_tbENKUlT_T0_E_clISt17integral_constantIbLb0EESY_IbLb1EEEEDaSU_SV_EUlSU_E_NS1_11comp_targetILNS1_3genE4ELNS1_11target_archE910ELNS1_3gpuE8ELNS1_3repE0EEENS1_30default_config_static_selectorELNS0_4arch9wavefront6targetE1EEEvT1_,"axG",@progbits,_ZN7rocprim17ROCPRIM_400000_NS6detail17trampoline_kernelINS0_14default_configENS1_27scan_by_key_config_selectorIssEEZZNS1_16scan_by_key_implILNS1_25lookback_scan_determinismE0ELb0ES3_N6thrust23THRUST_200600_302600_NS6detail15normal_iteratorINS9_10device_ptrIsEEEESE_SE_sNS9_10multipliesIsEENS9_8equal_toIsEEsEE10hipError_tPvRmT2_T3_T4_T5_mT6_T7_P12ihipStream_tbENKUlT_T0_E_clISt17integral_constantIbLb0EESY_IbLb1EEEEDaSU_SV_EUlSU_E_NS1_11comp_targetILNS1_3genE4ELNS1_11target_archE910ELNS1_3gpuE8ELNS1_3repE0EEENS1_30default_config_static_selectorELNS0_4arch9wavefront6targetE1EEEvT1_,comdat
	.protected	_ZN7rocprim17ROCPRIM_400000_NS6detail17trampoline_kernelINS0_14default_configENS1_27scan_by_key_config_selectorIssEEZZNS1_16scan_by_key_implILNS1_25lookback_scan_determinismE0ELb0ES3_N6thrust23THRUST_200600_302600_NS6detail15normal_iteratorINS9_10device_ptrIsEEEESE_SE_sNS9_10multipliesIsEENS9_8equal_toIsEEsEE10hipError_tPvRmT2_T3_T4_T5_mT6_T7_P12ihipStream_tbENKUlT_T0_E_clISt17integral_constantIbLb0EESY_IbLb1EEEEDaSU_SV_EUlSU_E_NS1_11comp_targetILNS1_3genE4ELNS1_11target_archE910ELNS1_3gpuE8ELNS1_3repE0EEENS1_30default_config_static_selectorELNS0_4arch9wavefront6targetE1EEEvT1_ ; -- Begin function _ZN7rocprim17ROCPRIM_400000_NS6detail17trampoline_kernelINS0_14default_configENS1_27scan_by_key_config_selectorIssEEZZNS1_16scan_by_key_implILNS1_25lookback_scan_determinismE0ELb0ES3_N6thrust23THRUST_200600_302600_NS6detail15normal_iteratorINS9_10device_ptrIsEEEESE_SE_sNS9_10multipliesIsEENS9_8equal_toIsEEsEE10hipError_tPvRmT2_T3_T4_T5_mT6_T7_P12ihipStream_tbENKUlT_T0_E_clISt17integral_constantIbLb0EESY_IbLb1EEEEDaSU_SV_EUlSU_E_NS1_11comp_targetILNS1_3genE4ELNS1_11target_archE910ELNS1_3gpuE8ELNS1_3repE0EEENS1_30default_config_static_selectorELNS0_4arch9wavefront6targetE1EEEvT1_
	.globl	_ZN7rocprim17ROCPRIM_400000_NS6detail17trampoline_kernelINS0_14default_configENS1_27scan_by_key_config_selectorIssEEZZNS1_16scan_by_key_implILNS1_25lookback_scan_determinismE0ELb0ES3_N6thrust23THRUST_200600_302600_NS6detail15normal_iteratorINS9_10device_ptrIsEEEESE_SE_sNS9_10multipliesIsEENS9_8equal_toIsEEsEE10hipError_tPvRmT2_T3_T4_T5_mT6_T7_P12ihipStream_tbENKUlT_T0_E_clISt17integral_constantIbLb0EESY_IbLb1EEEEDaSU_SV_EUlSU_E_NS1_11comp_targetILNS1_3genE4ELNS1_11target_archE910ELNS1_3gpuE8ELNS1_3repE0EEENS1_30default_config_static_selectorELNS0_4arch9wavefront6targetE1EEEvT1_
	.p2align	8
	.type	_ZN7rocprim17ROCPRIM_400000_NS6detail17trampoline_kernelINS0_14default_configENS1_27scan_by_key_config_selectorIssEEZZNS1_16scan_by_key_implILNS1_25lookback_scan_determinismE0ELb0ES3_N6thrust23THRUST_200600_302600_NS6detail15normal_iteratorINS9_10device_ptrIsEEEESE_SE_sNS9_10multipliesIsEENS9_8equal_toIsEEsEE10hipError_tPvRmT2_T3_T4_T5_mT6_T7_P12ihipStream_tbENKUlT_T0_E_clISt17integral_constantIbLb0EESY_IbLb1EEEEDaSU_SV_EUlSU_E_NS1_11comp_targetILNS1_3genE4ELNS1_11target_archE910ELNS1_3gpuE8ELNS1_3repE0EEENS1_30default_config_static_selectorELNS0_4arch9wavefront6targetE1EEEvT1_,@function
_ZN7rocprim17ROCPRIM_400000_NS6detail17trampoline_kernelINS0_14default_configENS1_27scan_by_key_config_selectorIssEEZZNS1_16scan_by_key_implILNS1_25lookback_scan_determinismE0ELb0ES3_N6thrust23THRUST_200600_302600_NS6detail15normal_iteratorINS9_10device_ptrIsEEEESE_SE_sNS9_10multipliesIsEENS9_8equal_toIsEEsEE10hipError_tPvRmT2_T3_T4_T5_mT6_T7_P12ihipStream_tbENKUlT_T0_E_clISt17integral_constantIbLb0EESY_IbLb1EEEEDaSU_SV_EUlSU_E_NS1_11comp_targetILNS1_3genE4ELNS1_11target_archE910ELNS1_3gpuE8ELNS1_3repE0EEENS1_30default_config_static_selectorELNS0_4arch9wavefront6targetE1EEEvT1_: ; @_ZN7rocprim17ROCPRIM_400000_NS6detail17trampoline_kernelINS0_14default_configENS1_27scan_by_key_config_selectorIssEEZZNS1_16scan_by_key_implILNS1_25lookback_scan_determinismE0ELb0ES3_N6thrust23THRUST_200600_302600_NS6detail15normal_iteratorINS9_10device_ptrIsEEEESE_SE_sNS9_10multipliesIsEENS9_8equal_toIsEEsEE10hipError_tPvRmT2_T3_T4_T5_mT6_T7_P12ihipStream_tbENKUlT_T0_E_clISt17integral_constantIbLb0EESY_IbLb1EEEEDaSU_SV_EUlSU_E_NS1_11comp_targetILNS1_3genE4ELNS1_11target_archE910ELNS1_3gpuE8ELNS1_3repE0EEENS1_30default_config_static_selectorELNS0_4arch9wavefront6targetE1EEEvT1_
; %bb.0:
	.section	.rodata,"a",@progbits
	.p2align	6, 0x0
	.amdhsa_kernel _ZN7rocprim17ROCPRIM_400000_NS6detail17trampoline_kernelINS0_14default_configENS1_27scan_by_key_config_selectorIssEEZZNS1_16scan_by_key_implILNS1_25lookback_scan_determinismE0ELb0ES3_N6thrust23THRUST_200600_302600_NS6detail15normal_iteratorINS9_10device_ptrIsEEEESE_SE_sNS9_10multipliesIsEENS9_8equal_toIsEEsEE10hipError_tPvRmT2_T3_T4_T5_mT6_T7_P12ihipStream_tbENKUlT_T0_E_clISt17integral_constantIbLb0EESY_IbLb1EEEEDaSU_SV_EUlSU_E_NS1_11comp_targetILNS1_3genE4ELNS1_11target_archE910ELNS1_3gpuE8ELNS1_3repE0EEENS1_30default_config_static_selectorELNS0_4arch9wavefront6targetE1EEEvT1_
		.amdhsa_group_segment_fixed_size 0
		.amdhsa_private_segment_fixed_size 0
		.amdhsa_kernarg_size 112
		.amdhsa_user_sgpr_count 2
		.amdhsa_user_sgpr_dispatch_ptr 0
		.amdhsa_user_sgpr_queue_ptr 0
		.amdhsa_user_sgpr_kernarg_segment_ptr 1
		.amdhsa_user_sgpr_dispatch_id 0
		.amdhsa_user_sgpr_kernarg_preload_length 0
		.amdhsa_user_sgpr_kernarg_preload_offset 0
		.amdhsa_user_sgpr_private_segment_size 0
		.amdhsa_uses_dynamic_stack 0
		.amdhsa_enable_private_segment 0
		.amdhsa_system_sgpr_workgroup_id_x 1
		.amdhsa_system_sgpr_workgroup_id_y 0
		.amdhsa_system_sgpr_workgroup_id_z 0
		.amdhsa_system_sgpr_workgroup_info 0
		.amdhsa_system_vgpr_workitem_id 0
		.amdhsa_next_free_vgpr 1
		.amdhsa_next_free_sgpr 0
		.amdhsa_accum_offset 4
		.amdhsa_reserve_vcc 0
		.amdhsa_float_round_mode_32 0
		.amdhsa_float_round_mode_16_64 0
		.amdhsa_float_denorm_mode_32 3
		.amdhsa_float_denorm_mode_16_64 3
		.amdhsa_dx10_clamp 1
		.amdhsa_ieee_mode 1
		.amdhsa_fp16_overflow 0
		.amdhsa_tg_split 0
		.amdhsa_exception_fp_ieee_invalid_op 0
		.amdhsa_exception_fp_denorm_src 0
		.amdhsa_exception_fp_ieee_div_zero 0
		.amdhsa_exception_fp_ieee_overflow 0
		.amdhsa_exception_fp_ieee_underflow 0
		.amdhsa_exception_fp_ieee_inexact 0
		.amdhsa_exception_int_div_zero 0
	.end_amdhsa_kernel
	.section	.text._ZN7rocprim17ROCPRIM_400000_NS6detail17trampoline_kernelINS0_14default_configENS1_27scan_by_key_config_selectorIssEEZZNS1_16scan_by_key_implILNS1_25lookback_scan_determinismE0ELb0ES3_N6thrust23THRUST_200600_302600_NS6detail15normal_iteratorINS9_10device_ptrIsEEEESE_SE_sNS9_10multipliesIsEENS9_8equal_toIsEEsEE10hipError_tPvRmT2_T3_T4_T5_mT6_T7_P12ihipStream_tbENKUlT_T0_E_clISt17integral_constantIbLb0EESY_IbLb1EEEEDaSU_SV_EUlSU_E_NS1_11comp_targetILNS1_3genE4ELNS1_11target_archE910ELNS1_3gpuE8ELNS1_3repE0EEENS1_30default_config_static_selectorELNS0_4arch9wavefront6targetE1EEEvT1_,"axG",@progbits,_ZN7rocprim17ROCPRIM_400000_NS6detail17trampoline_kernelINS0_14default_configENS1_27scan_by_key_config_selectorIssEEZZNS1_16scan_by_key_implILNS1_25lookback_scan_determinismE0ELb0ES3_N6thrust23THRUST_200600_302600_NS6detail15normal_iteratorINS9_10device_ptrIsEEEESE_SE_sNS9_10multipliesIsEENS9_8equal_toIsEEsEE10hipError_tPvRmT2_T3_T4_T5_mT6_T7_P12ihipStream_tbENKUlT_T0_E_clISt17integral_constantIbLb0EESY_IbLb1EEEEDaSU_SV_EUlSU_E_NS1_11comp_targetILNS1_3genE4ELNS1_11target_archE910ELNS1_3gpuE8ELNS1_3repE0EEENS1_30default_config_static_selectorELNS0_4arch9wavefront6targetE1EEEvT1_,comdat
.Lfunc_end311:
	.size	_ZN7rocprim17ROCPRIM_400000_NS6detail17trampoline_kernelINS0_14default_configENS1_27scan_by_key_config_selectorIssEEZZNS1_16scan_by_key_implILNS1_25lookback_scan_determinismE0ELb0ES3_N6thrust23THRUST_200600_302600_NS6detail15normal_iteratorINS9_10device_ptrIsEEEESE_SE_sNS9_10multipliesIsEENS9_8equal_toIsEEsEE10hipError_tPvRmT2_T3_T4_T5_mT6_T7_P12ihipStream_tbENKUlT_T0_E_clISt17integral_constantIbLb0EESY_IbLb1EEEEDaSU_SV_EUlSU_E_NS1_11comp_targetILNS1_3genE4ELNS1_11target_archE910ELNS1_3gpuE8ELNS1_3repE0EEENS1_30default_config_static_selectorELNS0_4arch9wavefront6targetE1EEEvT1_, .Lfunc_end311-_ZN7rocprim17ROCPRIM_400000_NS6detail17trampoline_kernelINS0_14default_configENS1_27scan_by_key_config_selectorIssEEZZNS1_16scan_by_key_implILNS1_25lookback_scan_determinismE0ELb0ES3_N6thrust23THRUST_200600_302600_NS6detail15normal_iteratorINS9_10device_ptrIsEEEESE_SE_sNS9_10multipliesIsEENS9_8equal_toIsEEsEE10hipError_tPvRmT2_T3_T4_T5_mT6_T7_P12ihipStream_tbENKUlT_T0_E_clISt17integral_constantIbLb0EESY_IbLb1EEEEDaSU_SV_EUlSU_E_NS1_11comp_targetILNS1_3genE4ELNS1_11target_archE910ELNS1_3gpuE8ELNS1_3repE0EEENS1_30default_config_static_selectorELNS0_4arch9wavefront6targetE1EEEvT1_
                                        ; -- End function
	.section	.AMDGPU.csdata,"",@progbits
; Kernel info:
; codeLenInByte = 0
; NumSgprs: 6
; NumVgprs: 0
; NumAgprs: 0
; TotalNumVgprs: 0
; ScratchSize: 0
; MemoryBound: 0
; FloatMode: 240
; IeeeMode: 1
; LDSByteSize: 0 bytes/workgroup (compile time only)
; SGPRBlocks: 0
; VGPRBlocks: 0
; NumSGPRsForWavesPerEU: 6
; NumVGPRsForWavesPerEU: 1
; AccumOffset: 4
; Occupancy: 8
; WaveLimiterHint : 0
; COMPUTE_PGM_RSRC2:SCRATCH_EN: 0
; COMPUTE_PGM_RSRC2:USER_SGPR: 2
; COMPUTE_PGM_RSRC2:TRAP_HANDLER: 0
; COMPUTE_PGM_RSRC2:TGID_X_EN: 1
; COMPUTE_PGM_RSRC2:TGID_Y_EN: 0
; COMPUTE_PGM_RSRC2:TGID_Z_EN: 0
; COMPUTE_PGM_RSRC2:TIDIG_COMP_CNT: 0
; COMPUTE_PGM_RSRC3_GFX90A:ACCUM_OFFSET: 0
; COMPUTE_PGM_RSRC3_GFX90A:TG_SPLIT: 0
	.section	.text._ZN7rocprim17ROCPRIM_400000_NS6detail17trampoline_kernelINS0_14default_configENS1_27scan_by_key_config_selectorIssEEZZNS1_16scan_by_key_implILNS1_25lookback_scan_determinismE0ELb0ES3_N6thrust23THRUST_200600_302600_NS6detail15normal_iteratorINS9_10device_ptrIsEEEESE_SE_sNS9_10multipliesIsEENS9_8equal_toIsEEsEE10hipError_tPvRmT2_T3_T4_T5_mT6_T7_P12ihipStream_tbENKUlT_T0_E_clISt17integral_constantIbLb0EESY_IbLb1EEEEDaSU_SV_EUlSU_E_NS1_11comp_targetILNS1_3genE3ELNS1_11target_archE908ELNS1_3gpuE7ELNS1_3repE0EEENS1_30default_config_static_selectorELNS0_4arch9wavefront6targetE1EEEvT1_,"axG",@progbits,_ZN7rocprim17ROCPRIM_400000_NS6detail17trampoline_kernelINS0_14default_configENS1_27scan_by_key_config_selectorIssEEZZNS1_16scan_by_key_implILNS1_25lookback_scan_determinismE0ELb0ES3_N6thrust23THRUST_200600_302600_NS6detail15normal_iteratorINS9_10device_ptrIsEEEESE_SE_sNS9_10multipliesIsEENS9_8equal_toIsEEsEE10hipError_tPvRmT2_T3_T4_T5_mT6_T7_P12ihipStream_tbENKUlT_T0_E_clISt17integral_constantIbLb0EESY_IbLb1EEEEDaSU_SV_EUlSU_E_NS1_11comp_targetILNS1_3genE3ELNS1_11target_archE908ELNS1_3gpuE7ELNS1_3repE0EEENS1_30default_config_static_selectorELNS0_4arch9wavefront6targetE1EEEvT1_,comdat
	.protected	_ZN7rocprim17ROCPRIM_400000_NS6detail17trampoline_kernelINS0_14default_configENS1_27scan_by_key_config_selectorIssEEZZNS1_16scan_by_key_implILNS1_25lookback_scan_determinismE0ELb0ES3_N6thrust23THRUST_200600_302600_NS6detail15normal_iteratorINS9_10device_ptrIsEEEESE_SE_sNS9_10multipliesIsEENS9_8equal_toIsEEsEE10hipError_tPvRmT2_T3_T4_T5_mT6_T7_P12ihipStream_tbENKUlT_T0_E_clISt17integral_constantIbLb0EESY_IbLb1EEEEDaSU_SV_EUlSU_E_NS1_11comp_targetILNS1_3genE3ELNS1_11target_archE908ELNS1_3gpuE7ELNS1_3repE0EEENS1_30default_config_static_selectorELNS0_4arch9wavefront6targetE1EEEvT1_ ; -- Begin function _ZN7rocprim17ROCPRIM_400000_NS6detail17trampoline_kernelINS0_14default_configENS1_27scan_by_key_config_selectorIssEEZZNS1_16scan_by_key_implILNS1_25lookback_scan_determinismE0ELb0ES3_N6thrust23THRUST_200600_302600_NS6detail15normal_iteratorINS9_10device_ptrIsEEEESE_SE_sNS9_10multipliesIsEENS9_8equal_toIsEEsEE10hipError_tPvRmT2_T3_T4_T5_mT6_T7_P12ihipStream_tbENKUlT_T0_E_clISt17integral_constantIbLb0EESY_IbLb1EEEEDaSU_SV_EUlSU_E_NS1_11comp_targetILNS1_3genE3ELNS1_11target_archE908ELNS1_3gpuE7ELNS1_3repE0EEENS1_30default_config_static_selectorELNS0_4arch9wavefront6targetE1EEEvT1_
	.globl	_ZN7rocprim17ROCPRIM_400000_NS6detail17trampoline_kernelINS0_14default_configENS1_27scan_by_key_config_selectorIssEEZZNS1_16scan_by_key_implILNS1_25lookback_scan_determinismE0ELb0ES3_N6thrust23THRUST_200600_302600_NS6detail15normal_iteratorINS9_10device_ptrIsEEEESE_SE_sNS9_10multipliesIsEENS9_8equal_toIsEEsEE10hipError_tPvRmT2_T3_T4_T5_mT6_T7_P12ihipStream_tbENKUlT_T0_E_clISt17integral_constantIbLb0EESY_IbLb1EEEEDaSU_SV_EUlSU_E_NS1_11comp_targetILNS1_3genE3ELNS1_11target_archE908ELNS1_3gpuE7ELNS1_3repE0EEENS1_30default_config_static_selectorELNS0_4arch9wavefront6targetE1EEEvT1_
	.p2align	8
	.type	_ZN7rocprim17ROCPRIM_400000_NS6detail17trampoline_kernelINS0_14default_configENS1_27scan_by_key_config_selectorIssEEZZNS1_16scan_by_key_implILNS1_25lookback_scan_determinismE0ELb0ES3_N6thrust23THRUST_200600_302600_NS6detail15normal_iteratorINS9_10device_ptrIsEEEESE_SE_sNS9_10multipliesIsEENS9_8equal_toIsEEsEE10hipError_tPvRmT2_T3_T4_T5_mT6_T7_P12ihipStream_tbENKUlT_T0_E_clISt17integral_constantIbLb0EESY_IbLb1EEEEDaSU_SV_EUlSU_E_NS1_11comp_targetILNS1_3genE3ELNS1_11target_archE908ELNS1_3gpuE7ELNS1_3repE0EEENS1_30default_config_static_selectorELNS0_4arch9wavefront6targetE1EEEvT1_,@function
_ZN7rocprim17ROCPRIM_400000_NS6detail17trampoline_kernelINS0_14default_configENS1_27scan_by_key_config_selectorIssEEZZNS1_16scan_by_key_implILNS1_25lookback_scan_determinismE0ELb0ES3_N6thrust23THRUST_200600_302600_NS6detail15normal_iteratorINS9_10device_ptrIsEEEESE_SE_sNS9_10multipliesIsEENS9_8equal_toIsEEsEE10hipError_tPvRmT2_T3_T4_T5_mT6_T7_P12ihipStream_tbENKUlT_T0_E_clISt17integral_constantIbLb0EESY_IbLb1EEEEDaSU_SV_EUlSU_E_NS1_11comp_targetILNS1_3genE3ELNS1_11target_archE908ELNS1_3gpuE7ELNS1_3repE0EEENS1_30default_config_static_selectorELNS0_4arch9wavefront6targetE1EEEvT1_: ; @_ZN7rocprim17ROCPRIM_400000_NS6detail17trampoline_kernelINS0_14default_configENS1_27scan_by_key_config_selectorIssEEZZNS1_16scan_by_key_implILNS1_25lookback_scan_determinismE0ELb0ES3_N6thrust23THRUST_200600_302600_NS6detail15normal_iteratorINS9_10device_ptrIsEEEESE_SE_sNS9_10multipliesIsEENS9_8equal_toIsEEsEE10hipError_tPvRmT2_T3_T4_T5_mT6_T7_P12ihipStream_tbENKUlT_T0_E_clISt17integral_constantIbLb0EESY_IbLb1EEEEDaSU_SV_EUlSU_E_NS1_11comp_targetILNS1_3genE3ELNS1_11target_archE908ELNS1_3gpuE7ELNS1_3repE0EEENS1_30default_config_static_selectorELNS0_4arch9wavefront6targetE1EEEvT1_
; %bb.0:
	.section	.rodata,"a",@progbits
	.p2align	6, 0x0
	.amdhsa_kernel _ZN7rocprim17ROCPRIM_400000_NS6detail17trampoline_kernelINS0_14default_configENS1_27scan_by_key_config_selectorIssEEZZNS1_16scan_by_key_implILNS1_25lookback_scan_determinismE0ELb0ES3_N6thrust23THRUST_200600_302600_NS6detail15normal_iteratorINS9_10device_ptrIsEEEESE_SE_sNS9_10multipliesIsEENS9_8equal_toIsEEsEE10hipError_tPvRmT2_T3_T4_T5_mT6_T7_P12ihipStream_tbENKUlT_T0_E_clISt17integral_constantIbLb0EESY_IbLb1EEEEDaSU_SV_EUlSU_E_NS1_11comp_targetILNS1_3genE3ELNS1_11target_archE908ELNS1_3gpuE7ELNS1_3repE0EEENS1_30default_config_static_selectorELNS0_4arch9wavefront6targetE1EEEvT1_
		.amdhsa_group_segment_fixed_size 0
		.amdhsa_private_segment_fixed_size 0
		.amdhsa_kernarg_size 112
		.amdhsa_user_sgpr_count 2
		.amdhsa_user_sgpr_dispatch_ptr 0
		.amdhsa_user_sgpr_queue_ptr 0
		.amdhsa_user_sgpr_kernarg_segment_ptr 1
		.amdhsa_user_sgpr_dispatch_id 0
		.amdhsa_user_sgpr_kernarg_preload_length 0
		.amdhsa_user_sgpr_kernarg_preload_offset 0
		.amdhsa_user_sgpr_private_segment_size 0
		.amdhsa_uses_dynamic_stack 0
		.amdhsa_enable_private_segment 0
		.amdhsa_system_sgpr_workgroup_id_x 1
		.amdhsa_system_sgpr_workgroup_id_y 0
		.amdhsa_system_sgpr_workgroup_id_z 0
		.amdhsa_system_sgpr_workgroup_info 0
		.amdhsa_system_vgpr_workitem_id 0
		.amdhsa_next_free_vgpr 1
		.amdhsa_next_free_sgpr 0
		.amdhsa_accum_offset 4
		.amdhsa_reserve_vcc 0
		.amdhsa_float_round_mode_32 0
		.amdhsa_float_round_mode_16_64 0
		.amdhsa_float_denorm_mode_32 3
		.amdhsa_float_denorm_mode_16_64 3
		.amdhsa_dx10_clamp 1
		.amdhsa_ieee_mode 1
		.amdhsa_fp16_overflow 0
		.amdhsa_tg_split 0
		.amdhsa_exception_fp_ieee_invalid_op 0
		.amdhsa_exception_fp_denorm_src 0
		.amdhsa_exception_fp_ieee_div_zero 0
		.amdhsa_exception_fp_ieee_overflow 0
		.amdhsa_exception_fp_ieee_underflow 0
		.amdhsa_exception_fp_ieee_inexact 0
		.amdhsa_exception_int_div_zero 0
	.end_amdhsa_kernel
	.section	.text._ZN7rocprim17ROCPRIM_400000_NS6detail17trampoline_kernelINS0_14default_configENS1_27scan_by_key_config_selectorIssEEZZNS1_16scan_by_key_implILNS1_25lookback_scan_determinismE0ELb0ES3_N6thrust23THRUST_200600_302600_NS6detail15normal_iteratorINS9_10device_ptrIsEEEESE_SE_sNS9_10multipliesIsEENS9_8equal_toIsEEsEE10hipError_tPvRmT2_T3_T4_T5_mT6_T7_P12ihipStream_tbENKUlT_T0_E_clISt17integral_constantIbLb0EESY_IbLb1EEEEDaSU_SV_EUlSU_E_NS1_11comp_targetILNS1_3genE3ELNS1_11target_archE908ELNS1_3gpuE7ELNS1_3repE0EEENS1_30default_config_static_selectorELNS0_4arch9wavefront6targetE1EEEvT1_,"axG",@progbits,_ZN7rocprim17ROCPRIM_400000_NS6detail17trampoline_kernelINS0_14default_configENS1_27scan_by_key_config_selectorIssEEZZNS1_16scan_by_key_implILNS1_25lookback_scan_determinismE0ELb0ES3_N6thrust23THRUST_200600_302600_NS6detail15normal_iteratorINS9_10device_ptrIsEEEESE_SE_sNS9_10multipliesIsEENS9_8equal_toIsEEsEE10hipError_tPvRmT2_T3_T4_T5_mT6_T7_P12ihipStream_tbENKUlT_T0_E_clISt17integral_constantIbLb0EESY_IbLb1EEEEDaSU_SV_EUlSU_E_NS1_11comp_targetILNS1_3genE3ELNS1_11target_archE908ELNS1_3gpuE7ELNS1_3repE0EEENS1_30default_config_static_selectorELNS0_4arch9wavefront6targetE1EEEvT1_,comdat
.Lfunc_end312:
	.size	_ZN7rocprim17ROCPRIM_400000_NS6detail17trampoline_kernelINS0_14default_configENS1_27scan_by_key_config_selectorIssEEZZNS1_16scan_by_key_implILNS1_25lookback_scan_determinismE0ELb0ES3_N6thrust23THRUST_200600_302600_NS6detail15normal_iteratorINS9_10device_ptrIsEEEESE_SE_sNS9_10multipliesIsEENS9_8equal_toIsEEsEE10hipError_tPvRmT2_T3_T4_T5_mT6_T7_P12ihipStream_tbENKUlT_T0_E_clISt17integral_constantIbLb0EESY_IbLb1EEEEDaSU_SV_EUlSU_E_NS1_11comp_targetILNS1_3genE3ELNS1_11target_archE908ELNS1_3gpuE7ELNS1_3repE0EEENS1_30default_config_static_selectorELNS0_4arch9wavefront6targetE1EEEvT1_, .Lfunc_end312-_ZN7rocprim17ROCPRIM_400000_NS6detail17trampoline_kernelINS0_14default_configENS1_27scan_by_key_config_selectorIssEEZZNS1_16scan_by_key_implILNS1_25lookback_scan_determinismE0ELb0ES3_N6thrust23THRUST_200600_302600_NS6detail15normal_iteratorINS9_10device_ptrIsEEEESE_SE_sNS9_10multipliesIsEENS9_8equal_toIsEEsEE10hipError_tPvRmT2_T3_T4_T5_mT6_T7_P12ihipStream_tbENKUlT_T0_E_clISt17integral_constantIbLb0EESY_IbLb1EEEEDaSU_SV_EUlSU_E_NS1_11comp_targetILNS1_3genE3ELNS1_11target_archE908ELNS1_3gpuE7ELNS1_3repE0EEENS1_30default_config_static_selectorELNS0_4arch9wavefront6targetE1EEEvT1_
                                        ; -- End function
	.section	.AMDGPU.csdata,"",@progbits
; Kernel info:
; codeLenInByte = 0
; NumSgprs: 6
; NumVgprs: 0
; NumAgprs: 0
; TotalNumVgprs: 0
; ScratchSize: 0
; MemoryBound: 0
; FloatMode: 240
; IeeeMode: 1
; LDSByteSize: 0 bytes/workgroup (compile time only)
; SGPRBlocks: 0
; VGPRBlocks: 0
; NumSGPRsForWavesPerEU: 6
; NumVGPRsForWavesPerEU: 1
; AccumOffset: 4
; Occupancy: 8
; WaveLimiterHint : 0
; COMPUTE_PGM_RSRC2:SCRATCH_EN: 0
; COMPUTE_PGM_RSRC2:USER_SGPR: 2
; COMPUTE_PGM_RSRC2:TRAP_HANDLER: 0
; COMPUTE_PGM_RSRC2:TGID_X_EN: 1
; COMPUTE_PGM_RSRC2:TGID_Y_EN: 0
; COMPUTE_PGM_RSRC2:TGID_Z_EN: 0
; COMPUTE_PGM_RSRC2:TIDIG_COMP_CNT: 0
; COMPUTE_PGM_RSRC3_GFX90A:ACCUM_OFFSET: 0
; COMPUTE_PGM_RSRC3_GFX90A:TG_SPLIT: 0
	.section	.text._ZN7rocprim17ROCPRIM_400000_NS6detail17trampoline_kernelINS0_14default_configENS1_27scan_by_key_config_selectorIssEEZZNS1_16scan_by_key_implILNS1_25lookback_scan_determinismE0ELb0ES3_N6thrust23THRUST_200600_302600_NS6detail15normal_iteratorINS9_10device_ptrIsEEEESE_SE_sNS9_10multipliesIsEENS9_8equal_toIsEEsEE10hipError_tPvRmT2_T3_T4_T5_mT6_T7_P12ihipStream_tbENKUlT_T0_E_clISt17integral_constantIbLb0EESY_IbLb1EEEEDaSU_SV_EUlSU_E_NS1_11comp_targetILNS1_3genE2ELNS1_11target_archE906ELNS1_3gpuE6ELNS1_3repE0EEENS1_30default_config_static_selectorELNS0_4arch9wavefront6targetE1EEEvT1_,"axG",@progbits,_ZN7rocprim17ROCPRIM_400000_NS6detail17trampoline_kernelINS0_14default_configENS1_27scan_by_key_config_selectorIssEEZZNS1_16scan_by_key_implILNS1_25lookback_scan_determinismE0ELb0ES3_N6thrust23THRUST_200600_302600_NS6detail15normal_iteratorINS9_10device_ptrIsEEEESE_SE_sNS9_10multipliesIsEENS9_8equal_toIsEEsEE10hipError_tPvRmT2_T3_T4_T5_mT6_T7_P12ihipStream_tbENKUlT_T0_E_clISt17integral_constantIbLb0EESY_IbLb1EEEEDaSU_SV_EUlSU_E_NS1_11comp_targetILNS1_3genE2ELNS1_11target_archE906ELNS1_3gpuE6ELNS1_3repE0EEENS1_30default_config_static_selectorELNS0_4arch9wavefront6targetE1EEEvT1_,comdat
	.protected	_ZN7rocprim17ROCPRIM_400000_NS6detail17trampoline_kernelINS0_14default_configENS1_27scan_by_key_config_selectorIssEEZZNS1_16scan_by_key_implILNS1_25lookback_scan_determinismE0ELb0ES3_N6thrust23THRUST_200600_302600_NS6detail15normal_iteratorINS9_10device_ptrIsEEEESE_SE_sNS9_10multipliesIsEENS9_8equal_toIsEEsEE10hipError_tPvRmT2_T3_T4_T5_mT6_T7_P12ihipStream_tbENKUlT_T0_E_clISt17integral_constantIbLb0EESY_IbLb1EEEEDaSU_SV_EUlSU_E_NS1_11comp_targetILNS1_3genE2ELNS1_11target_archE906ELNS1_3gpuE6ELNS1_3repE0EEENS1_30default_config_static_selectorELNS0_4arch9wavefront6targetE1EEEvT1_ ; -- Begin function _ZN7rocprim17ROCPRIM_400000_NS6detail17trampoline_kernelINS0_14default_configENS1_27scan_by_key_config_selectorIssEEZZNS1_16scan_by_key_implILNS1_25lookback_scan_determinismE0ELb0ES3_N6thrust23THRUST_200600_302600_NS6detail15normal_iteratorINS9_10device_ptrIsEEEESE_SE_sNS9_10multipliesIsEENS9_8equal_toIsEEsEE10hipError_tPvRmT2_T3_T4_T5_mT6_T7_P12ihipStream_tbENKUlT_T0_E_clISt17integral_constantIbLb0EESY_IbLb1EEEEDaSU_SV_EUlSU_E_NS1_11comp_targetILNS1_3genE2ELNS1_11target_archE906ELNS1_3gpuE6ELNS1_3repE0EEENS1_30default_config_static_selectorELNS0_4arch9wavefront6targetE1EEEvT1_
	.globl	_ZN7rocprim17ROCPRIM_400000_NS6detail17trampoline_kernelINS0_14default_configENS1_27scan_by_key_config_selectorIssEEZZNS1_16scan_by_key_implILNS1_25lookback_scan_determinismE0ELb0ES3_N6thrust23THRUST_200600_302600_NS6detail15normal_iteratorINS9_10device_ptrIsEEEESE_SE_sNS9_10multipliesIsEENS9_8equal_toIsEEsEE10hipError_tPvRmT2_T3_T4_T5_mT6_T7_P12ihipStream_tbENKUlT_T0_E_clISt17integral_constantIbLb0EESY_IbLb1EEEEDaSU_SV_EUlSU_E_NS1_11comp_targetILNS1_3genE2ELNS1_11target_archE906ELNS1_3gpuE6ELNS1_3repE0EEENS1_30default_config_static_selectorELNS0_4arch9wavefront6targetE1EEEvT1_
	.p2align	8
	.type	_ZN7rocprim17ROCPRIM_400000_NS6detail17trampoline_kernelINS0_14default_configENS1_27scan_by_key_config_selectorIssEEZZNS1_16scan_by_key_implILNS1_25lookback_scan_determinismE0ELb0ES3_N6thrust23THRUST_200600_302600_NS6detail15normal_iteratorINS9_10device_ptrIsEEEESE_SE_sNS9_10multipliesIsEENS9_8equal_toIsEEsEE10hipError_tPvRmT2_T3_T4_T5_mT6_T7_P12ihipStream_tbENKUlT_T0_E_clISt17integral_constantIbLb0EESY_IbLb1EEEEDaSU_SV_EUlSU_E_NS1_11comp_targetILNS1_3genE2ELNS1_11target_archE906ELNS1_3gpuE6ELNS1_3repE0EEENS1_30default_config_static_selectorELNS0_4arch9wavefront6targetE1EEEvT1_,@function
_ZN7rocprim17ROCPRIM_400000_NS6detail17trampoline_kernelINS0_14default_configENS1_27scan_by_key_config_selectorIssEEZZNS1_16scan_by_key_implILNS1_25lookback_scan_determinismE0ELb0ES3_N6thrust23THRUST_200600_302600_NS6detail15normal_iteratorINS9_10device_ptrIsEEEESE_SE_sNS9_10multipliesIsEENS9_8equal_toIsEEsEE10hipError_tPvRmT2_T3_T4_T5_mT6_T7_P12ihipStream_tbENKUlT_T0_E_clISt17integral_constantIbLb0EESY_IbLb1EEEEDaSU_SV_EUlSU_E_NS1_11comp_targetILNS1_3genE2ELNS1_11target_archE906ELNS1_3gpuE6ELNS1_3repE0EEENS1_30default_config_static_selectorELNS0_4arch9wavefront6targetE1EEEvT1_: ; @_ZN7rocprim17ROCPRIM_400000_NS6detail17trampoline_kernelINS0_14default_configENS1_27scan_by_key_config_selectorIssEEZZNS1_16scan_by_key_implILNS1_25lookback_scan_determinismE0ELb0ES3_N6thrust23THRUST_200600_302600_NS6detail15normal_iteratorINS9_10device_ptrIsEEEESE_SE_sNS9_10multipliesIsEENS9_8equal_toIsEEsEE10hipError_tPvRmT2_T3_T4_T5_mT6_T7_P12ihipStream_tbENKUlT_T0_E_clISt17integral_constantIbLb0EESY_IbLb1EEEEDaSU_SV_EUlSU_E_NS1_11comp_targetILNS1_3genE2ELNS1_11target_archE906ELNS1_3gpuE6ELNS1_3repE0EEENS1_30default_config_static_selectorELNS0_4arch9wavefront6targetE1EEEvT1_
; %bb.0:
	.section	.rodata,"a",@progbits
	.p2align	6, 0x0
	.amdhsa_kernel _ZN7rocprim17ROCPRIM_400000_NS6detail17trampoline_kernelINS0_14default_configENS1_27scan_by_key_config_selectorIssEEZZNS1_16scan_by_key_implILNS1_25lookback_scan_determinismE0ELb0ES3_N6thrust23THRUST_200600_302600_NS6detail15normal_iteratorINS9_10device_ptrIsEEEESE_SE_sNS9_10multipliesIsEENS9_8equal_toIsEEsEE10hipError_tPvRmT2_T3_T4_T5_mT6_T7_P12ihipStream_tbENKUlT_T0_E_clISt17integral_constantIbLb0EESY_IbLb1EEEEDaSU_SV_EUlSU_E_NS1_11comp_targetILNS1_3genE2ELNS1_11target_archE906ELNS1_3gpuE6ELNS1_3repE0EEENS1_30default_config_static_selectorELNS0_4arch9wavefront6targetE1EEEvT1_
		.amdhsa_group_segment_fixed_size 0
		.amdhsa_private_segment_fixed_size 0
		.amdhsa_kernarg_size 112
		.amdhsa_user_sgpr_count 2
		.amdhsa_user_sgpr_dispatch_ptr 0
		.amdhsa_user_sgpr_queue_ptr 0
		.amdhsa_user_sgpr_kernarg_segment_ptr 1
		.amdhsa_user_sgpr_dispatch_id 0
		.amdhsa_user_sgpr_kernarg_preload_length 0
		.amdhsa_user_sgpr_kernarg_preload_offset 0
		.amdhsa_user_sgpr_private_segment_size 0
		.amdhsa_uses_dynamic_stack 0
		.amdhsa_enable_private_segment 0
		.amdhsa_system_sgpr_workgroup_id_x 1
		.amdhsa_system_sgpr_workgroup_id_y 0
		.amdhsa_system_sgpr_workgroup_id_z 0
		.amdhsa_system_sgpr_workgroup_info 0
		.amdhsa_system_vgpr_workitem_id 0
		.amdhsa_next_free_vgpr 1
		.amdhsa_next_free_sgpr 0
		.amdhsa_accum_offset 4
		.amdhsa_reserve_vcc 0
		.amdhsa_float_round_mode_32 0
		.amdhsa_float_round_mode_16_64 0
		.amdhsa_float_denorm_mode_32 3
		.amdhsa_float_denorm_mode_16_64 3
		.amdhsa_dx10_clamp 1
		.amdhsa_ieee_mode 1
		.amdhsa_fp16_overflow 0
		.amdhsa_tg_split 0
		.amdhsa_exception_fp_ieee_invalid_op 0
		.amdhsa_exception_fp_denorm_src 0
		.amdhsa_exception_fp_ieee_div_zero 0
		.amdhsa_exception_fp_ieee_overflow 0
		.amdhsa_exception_fp_ieee_underflow 0
		.amdhsa_exception_fp_ieee_inexact 0
		.amdhsa_exception_int_div_zero 0
	.end_amdhsa_kernel
	.section	.text._ZN7rocprim17ROCPRIM_400000_NS6detail17trampoline_kernelINS0_14default_configENS1_27scan_by_key_config_selectorIssEEZZNS1_16scan_by_key_implILNS1_25lookback_scan_determinismE0ELb0ES3_N6thrust23THRUST_200600_302600_NS6detail15normal_iteratorINS9_10device_ptrIsEEEESE_SE_sNS9_10multipliesIsEENS9_8equal_toIsEEsEE10hipError_tPvRmT2_T3_T4_T5_mT6_T7_P12ihipStream_tbENKUlT_T0_E_clISt17integral_constantIbLb0EESY_IbLb1EEEEDaSU_SV_EUlSU_E_NS1_11comp_targetILNS1_3genE2ELNS1_11target_archE906ELNS1_3gpuE6ELNS1_3repE0EEENS1_30default_config_static_selectorELNS0_4arch9wavefront6targetE1EEEvT1_,"axG",@progbits,_ZN7rocprim17ROCPRIM_400000_NS6detail17trampoline_kernelINS0_14default_configENS1_27scan_by_key_config_selectorIssEEZZNS1_16scan_by_key_implILNS1_25lookback_scan_determinismE0ELb0ES3_N6thrust23THRUST_200600_302600_NS6detail15normal_iteratorINS9_10device_ptrIsEEEESE_SE_sNS9_10multipliesIsEENS9_8equal_toIsEEsEE10hipError_tPvRmT2_T3_T4_T5_mT6_T7_P12ihipStream_tbENKUlT_T0_E_clISt17integral_constantIbLb0EESY_IbLb1EEEEDaSU_SV_EUlSU_E_NS1_11comp_targetILNS1_3genE2ELNS1_11target_archE906ELNS1_3gpuE6ELNS1_3repE0EEENS1_30default_config_static_selectorELNS0_4arch9wavefront6targetE1EEEvT1_,comdat
.Lfunc_end313:
	.size	_ZN7rocprim17ROCPRIM_400000_NS6detail17trampoline_kernelINS0_14default_configENS1_27scan_by_key_config_selectorIssEEZZNS1_16scan_by_key_implILNS1_25lookback_scan_determinismE0ELb0ES3_N6thrust23THRUST_200600_302600_NS6detail15normal_iteratorINS9_10device_ptrIsEEEESE_SE_sNS9_10multipliesIsEENS9_8equal_toIsEEsEE10hipError_tPvRmT2_T3_T4_T5_mT6_T7_P12ihipStream_tbENKUlT_T0_E_clISt17integral_constantIbLb0EESY_IbLb1EEEEDaSU_SV_EUlSU_E_NS1_11comp_targetILNS1_3genE2ELNS1_11target_archE906ELNS1_3gpuE6ELNS1_3repE0EEENS1_30default_config_static_selectorELNS0_4arch9wavefront6targetE1EEEvT1_, .Lfunc_end313-_ZN7rocprim17ROCPRIM_400000_NS6detail17trampoline_kernelINS0_14default_configENS1_27scan_by_key_config_selectorIssEEZZNS1_16scan_by_key_implILNS1_25lookback_scan_determinismE0ELb0ES3_N6thrust23THRUST_200600_302600_NS6detail15normal_iteratorINS9_10device_ptrIsEEEESE_SE_sNS9_10multipliesIsEENS9_8equal_toIsEEsEE10hipError_tPvRmT2_T3_T4_T5_mT6_T7_P12ihipStream_tbENKUlT_T0_E_clISt17integral_constantIbLb0EESY_IbLb1EEEEDaSU_SV_EUlSU_E_NS1_11comp_targetILNS1_3genE2ELNS1_11target_archE906ELNS1_3gpuE6ELNS1_3repE0EEENS1_30default_config_static_selectorELNS0_4arch9wavefront6targetE1EEEvT1_
                                        ; -- End function
	.section	.AMDGPU.csdata,"",@progbits
; Kernel info:
; codeLenInByte = 0
; NumSgprs: 6
; NumVgprs: 0
; NumAgprs: 0
; TotalNumVgprs: 0
; ScratchSize: 0
; MemoryBound: 0
; FloatMode: 240
; IeeeMode: 1
; LDSByteSize: 0 bytes/workgroup (compile time only)
; SGPRBlocks: 0
; VGPRBlocks: 0
; NumSGPRsForWavesPerEU: 6
; NumVGPRsForWavesPerEU: 1
; AccumOffset: 4
; Occupancy: 8
; WaveLimiterHint : 0
; COMPUTE_PGM_RSRC2:SCRATCH_EN: 0
; COMPUTE_PGM_RSRC2:USER_SGPR: 2
; COMPUTE_PGM_RSRC2:TRAP_HANDLER: 0
; COMPUTE_PGM_RSRC2:TGID_X_EN: 1
; COMPUTE_PGM_RSRC2:TGID_Y_EN: 0
; COMPUTE_PGM_RSRC2:TGID_Z_EN: 0
; COMPUTE_PGM_RSRC2:TIDIG_COMP_CNT: 0
; COMPUTE_PGM_RSRC3_GFX90A:ACCUM_OFFSET: 0
; COMPUTE_PGM_RSRC3_GFX90A:TG_SPLIT: 0
	.section	.text._ZN7rocprim17ROCPRIM_400000_NS6detail17trampoline_kernelINS0_14default_configENS1_27scan_by_key_config_selectorIssEEZZNS1_16scan_by_key_implILNS1_25lookback_scan_determinismE0ELb0ES3_N6thrust23THRUST_200600_302600_NS6detail15normal_iteratorINS9_10device_ptrIsEEEESE_SE_sNS9_10multipliesIsEENS9_8equal_toIsEEsEE10hipError_tPvRmT2_T3_T4_T5_mT6_T7_P12ihipStream_tbENKUlT_T0_E_clISt17integral_constantIbLb0EESY_IbLb1EEEEDaSU_SV_EUlSU_E_NS1_11comp_targetILNS1_3genE10ELNS1_11target_archE1200ELNS1_3gpuE4ELNS1_3repE0EEENS1_30default_config_static_selectorELNS0_4arch9wavefront6targetE1EEEvT1_,"axG",@progbits,_ZN7rocprim17ROCPRIM_400000_NS6detail17trampoline_kernelINS0_14default_configENS1_27scan_by_key_config_selectorIssEEZZNS1_16scan_by_key_implILNS1_25lookback_scan_determinismE0ELb0ES3_N6thrust23THRUST_200600_302600_NS6detail15normal_iteratorINS9_10device_ptrIsEEEESE_SE_sNS9_10multipliesIsEENS9_8equal_toIsEEsEE10hipError_tPvRmT2_T3_T4_T5_mT6_T7_P12ihipStream_tbENKUlT_T0_E_clISt17integral_constantIbLb0EESY_IbLb1EEEEDaSU_SV_EUlSU_E_NS1_11comp_targetILNS1_3genE10ELNS1_11target_archE1200ELNS1_3gpuE4ELNS1_3repE0EEENS1_30default_config_static_selectorELNS0_4arch9wavefront6targetE1EEEvT1_,comdat
	.protected	_ZN7rocprim17ROCPRIM_400000_NS6detail17trampoline_kernelINS0_14default_configENS1_27scan_by_key_config_selectorIssEEZZNS1_16scan_by_key_implILNS1_25lookback_scan_determinismE0ELb0ES3_N6thrust23THRUST_200600_302600_NS6detail15normal_iteratorINS9_10device_ptrIsEEEESE_SE_sNS9_10multipliesIsEENS9_8equal_toIsEEsEE10hipError_tPvRmT2_T3_T4_T5_mT6_T7_P12ihipStream_tbENKUlT_T0_E_clISt17integral_constantIbLb0EESY_IbLb1EEEEDaSU_SV_EUlSU_E_NS1_11comp_targetILNS1_3genE10ELNS1_11target_archE1200ELNS1_3gpuE4ELNS1_3repE0EEENS1_30default_config_static_selectorELNS0_4arch9wavefront6targetE1EEEvT1_ ; -- Begin function _ZN7rocprim17ROCPRIM_400000_NS6detail17trampoline_kernelINS0_14default_configENS1_27scan_by_key_config_selectorIssEEZZNS1_16scan_by_key_implILNS1_25lookback_scan_determinismE0ELb0ES3_N6thrust23THRUST_200600_302600_NS6detail15normal_iteratorINS9_10device_ptrIsEEEESE_SE_sNS9_10multipliesIsEENS9_8equal_toIsEEsEE10hipError_tPvRmT2_T3_T4_T5_mT6_T7_P12ihipStream_tbENKUlT_T0_E_clISt17integral_constantIbLb0EESY_IbLb1EEEEDaSU_SV_EUlSU_E_NS1_11comp_targetILNS1_3genE10ELNS1_11target_archE1200ELNS1_3gpuE4ELNS1_3repE0EEENS1_30default_config_static_selectorELNS0_4arch9wavefront6targetE1EEEvT1_
	.globl	_ZN7rocprim17ROCPRIM_400000_NS6detail17trampoline_kernelINS0_14default_configENS1_27scan_by_key_config_selectorIssEEZZNS1_16scan_by_key_implILNS1_25lookback_scan_determinismE0ELb0ES3_N6thrust23THRUST_200600_302600_NS6detail15normal_iteratorINS9_10device_ptrIsEEEESE_SE_sNS9_10multipliesIsEENS9_8equal_toIsEEsEE10hipError_tPvRmT2_T3_T4_T5_mT6_T7_P12ihipStream_tbENKUlT_T0_E_clISt17integral_constantIbLb0EESY_IbLb1EEEEDaSU_SV_EUlSU_E_NS1_11comp_targetILNS1_3genE10ELNS1_11target_archE1200ELNS1_3gpuE4ELNS1_3repE0EEENS1_30default_config_static_selectorELNS0_4arch9wavefront6targetE1EEEvT1_
	.p2align	8
	.type	_ZN7rocprim17ROCPRIM_400000_NS6detail17trampoline_kernelINS0_14default_configENS1_27scan_by_key_config_selectorIssEEZZNS1_16scan_by_key_implILNS1_25lookback_scan_determinismE0ELb0ES3_N6thrust23THRUST_200600_302600_NS6detail15normal_iteratorINS9_10device_ptrIsEEEESE_SE_sNS9_10multipliesIsEENS9_8equal_toIsEEsEE10hipError_tPvRmT2_T3_T4_T5_mT6_T7_P12ihipStream_tbENKUlT_T0_E_clISt17integral_constantIbLb0EESY_IbLb1EEEEDaSU_SV_EUlSU_E_NS1_11comp_targetILNS1_3genE10ELNS1_11target_archE1200ELNS1_3gpuE4ELNS1_3repE0EEENS1_30default_config_static_selectorELNS0_4arch9wavefront6targetE1EEEvT1_,@function
_ZN7rocprim17ROCPRIM_400000_NS6detail17trampoline_kernelINS0_14default_configENS1_27scan_by_key_config_selectorIssEEZZNS1_16scan_by_key_implILNS1_25lookback_scan_determinismE0ELb0ES3_N6thrust23THRUST_200600_302600_NS6detail15normal_iteratorINS9_10device_ptrIsEEEESE_SE_sNS9_10multipliesIsEENS9_8equal_toIsEEsEE10hipError_tPvRmT2_T3_T4_T5_mT6_T7_P12ihipStream_tbENKUlT_T0_E_clISt17integral_constantIbLb0EESY_IbLb1EEEEDaSU_SV_EUlSU_E_NS1_11comp_targetILNS1_3genE10ELNS1_11target_archE1200ELNS1_3gpuE4ELNS1_3repE0EEENS1_30default_config_static_selectorELNS0_4arch9wavefront6targetE1EEEvT1_: ; @_ZN7rocprim17ROCPRIM_400000_NS6detail17trampoline_kernelINS0_14default_configENS1_27scan_by_key_config_selectorIssEEZZNS1_16scan_by_key_implILNS1_25lookback_scan_determinismE0ELb0ES3_N6thrust23THRUST_200600_302600_NS6detail15normal_iteratorINS9_10device_ptrIsEEEESE_SE_sNS9_10multipliesIsEENS9_8equal_toIsEEsEE10hipError_tPvRmT2_T3_T4_T5_mT6_T7_P12ihipStream_tbENKUlT_T0_E_clISt17integral_constantIbLb0EESY_IbLb1EEEEDaSU_SV_EUlSU_E_NS1_11comp_targetILNS1_3genE10ELNS1_11target_archE1200ELNS1_3gpuE4ELNS1_3repE0EEENS1_30default_config_static_selectorELNS0_4arch9wavefront6targetE1EEEvT1_
; %bb.0:
	.section	.rodata,"a",@progbits
	.p2align	6, 0x0
	.amdhsa_kernel _ZN7rocprim17ROCPRIM_400000_NS6detail17trampoline_kernelINS0_14default_configENS1_27scan_by_key_config_selectorIssEEZZNS1_16scan_by_key_implILNS1_25lookback_scan_determinismE0ELb0ES3_N6thrust23THRUST_200600_302600_NS6detail15normal_iteratorINS9_10device_ptrIsEEEESE_SE_sNS9_10multipliesIsEENS9_8equal_toIsEEsEE10hipError_tPvRmT2_T3_T4_T5_mT6_T7_P12ihipStream_tbENKUlT_T0_E_clISt17integral_constantIbLb0EESY_IbLb1EEEEDaSU_SV_EUlSU_E_NS1_11comp_targetILNS1_3genE10ELNS1_11target_archE1200ELNS1_3gpuE4ELNS1_3repE0EEENS1_30default_config_static_selectorELNS0_4arch9wavefront6targetE1EEEvT1_
		.amdhsa_group_segment_fixed_size 0
		.amdhsa_private_segment_fixed_size 0
		.amdhsa_kernarg_size 112
		.amdhsa_user_sgpr_count 2
		.amdhsa_user_sgpr_dispatch_ptr 0
		.amdhsa_user_sgpr_queue_ptr 0
		.amdhsa_user_sgpr_kernarg_segment_ptr 1
		.amdhsa_user_sgpr_dispatch_id 0
		.amdhsa_user_sgpr_kernarg_preload_length 0
		.amdhsa_user_sgpr_kernarg_preload_offset 0
		.amdhsa_user_sgpr_private_segment_size 0
		.amdhsa_uses_dynamic_stack 0
		.amdhsa_enable_private_segment 0
		.amdhsa_system_sgpr_workgroup_id_x 1
		.amdhsa_system_sgpr_workgroup_id_y 0
		.amdhsa_system_sgpr_workgroup_id_z 0
		.amdhsa_system_sgpr_workgroup_info 0
		.amdhsa_system_vgpr_workitem_id 0
		.amdhsa_next_free_vgpr 1
		.amdhsa_next_free_sgpr 0
		.amdhsa_accum_offset 4
		.amdhsa_reserve_vcc 0
		.amdhsa_float_round_mode_32 0
		.amdhsa_float_round_mode_16_64 0
		.amdhsa_float_denorm_mode_32 3
		.amdhsa_float_denorm_mode_16_64 3
		.amdhsa_dx10_clamp 1
		.amdhsa_ieee_mode 1
		.amdhsa_fp16_overflow 0
		.amdhsa_tg_split 0
		.amdhsa_exception_fp_ieee_invalid_op 0
		.amdhsa_exception_fp_denorm_src 0
		.amdhsa_exception_fp_ieee_div_zero 0
		.amdhsa_exception_fp_ieee_overflow 0
		.amdhsa_exception_fp_ieee_underflow 0
		.amdhsa_exception_fp_ieee_inexact 0
		.amdhsa_exception_int_div_zero 0
	.end_amdhsa_kernel
	.section	.text._ZN7rocprim17ROCPRIM_400000_NS6detail17trampoline_kernelINS0_14default_configENS1_27scan_by_key_config_selectorIssEEZZNS1_16scan_by_key_implILNS1_25lookback_scan_determinismE0ELb0ES3_N6thrust23THRUST_200600_302600_NS6detail15normal_iteratorINS9_10device_ptrIsEEEESE_SE_sNS9_10multipliesIsEENS9_8equal_toIsEEsEE10hipError_tPvRmT2_T3_T4_T5_mT6_T7_P12ihipStream_tbENKUlT_T0_E_clISt17integral_constantIbLb0EESY_IbLb1EEEEDaSU_SV_EUlSU_E_NS1_11comp_targetILNS1_3genE10ELNS1_11target_archE1200ELNS1_3gpuE4ELNS1_3repE0EEENS1_30default_config_static_selectorELNS0_4arch9wavefront6targetE1EEEvT1_,"axG",@progbits,_ZN7rocprim17ROCPRIM_400000_NS6detail17trampoline_kernelINS0_14default_configENS1_27scan_by_key_config_selectorIssEEZZNS1_16scan_by_key_implILNS1_25lookback_scan_determinismE0ELb0ES3_N6thrust23THRUST_200600_302600_NS6detail15normal_iteratorINS9_10device_ptrIsEEEESE_SE_sNS9_10multipliesIsEENS9_8equal_toIsEEsEE10hipError_tPvRmT2_T3_T4_T5_mT6_T7_P12ihipStream_tbENKUlT_T0_E_clISt17integral_constantIbLb0EESY_IbLb1EEEEDaSU_SV_EUlSU_E_NS1_11comp_targetILNS1_3genE10ELNS1_11target_archE1200ELNS1_3gpuE4ELNS1_3repE0EEENS1_30default_config_static_selectorELNS0_4arch9wavefront6targetE1EEEvT1_,comdat
.Lfunc_end314:
	.size	_ZN7rocprim17ROCPRIM_400000_NS6detail17trampoline_kernelINS0_14default_configENS1_27scan_by_key_config_selectorIssEEZZNS1_16scan_by_key_implILNS1_25lookback_scan_determinismE0ELb0ES3_N6thrust23THRUST_200600_302600_NS6detail15normal_iteratorINS9_10device_ptrIsEEEESE_SE_sNS9_10multipliesIsEENS9_8equal_toIsEEsEE10hipError_tPvRmT2_T3_T4_T5_mT6_T7_P12ihipStream_tbENKUlT_T0_E_clISt17integral_constantIbLb0EESY_IbLb1EEEEDaSU_SV_EUlSU_E_NS1_11comp_targetILNS1_3genE10ELNS1_11target_archE1200ELNS1_3gpuE4ELNS1_3repE0EEENS1_30default_config_static_selectorELNS0_4arch9wavefront6targetE1EEEvT1_, .Lfunc_end314-_ZN7rocprim17ROCPRIM_400000_NS6detail17trampoline_kernelINS0_14default_configENS1_27scan_by_key_config_selectorIssEEZZNS1_16scan_by_key_implILNS1_25lookback_scan_determinismE0ELb0ES3_N6thrust23THRUST_200600_302600_NS6detail15normal_iteratorINS9_10device_ptrIsEEEESE_SE_sNS9_10multipliesIsEENS9_8equal_toIsEEsEE10hipError_tPvRmT2_T3_T4_T5_mT6_T7_P12ihipStream_tbENKUlT_T0_E_clISt17integral_constantIbLb0EESY_IbLb1EEEEDaSU_SV_EUlSU_E_NS1_11comp_targetILNS1_3genE10ELNS1_11target_archE1200ELNS1_3gpuE4ELNS1_3repE0EEENS1_30default_config_static_selectorELNS0_4arch9wavefront6targetE1EEEvT1_
                                        ; -- End function
	.section	.AMDGPU.csdata,"",@progbits
; Kernel info:
; codeLenInByte = 0
; NumSgprs: 6
; NumVgprs: 0
; NumAgprs: 0
; TotalNumVgprs: 0
; ScratchSize: 0
; MemoryBound: 0
; FloatMode: 240
; IeeeMode: 1
; LDSByteSize: 0 bytes/workgroup (compile time only)
; SGPRBlocks: 0
; VGPRBlocks: 0
; NumSGPRsForWavesPerEU: 6
; NumVGPRsForWavesPerEU: 1
; AccumOffset: 4
; Occupancy: 8
; WaveLimiterHint : 0
; COMPUTE_PGM_RSRC2:SCRATCH_EN: 0
; COMPUTE_PGM_RSRC2:USER_SGPR: 2
; COMPUTE_PGM_RSRC2:TRAP_HANDLER: 0
; COMPUTE_PGM_RSRC2:TGID_X_EN: 1
; COMPUTE_PGM_RSRC2:TGID_Y_EN: 0
; COMPUTE_PGM_RSRC2:TGID_Z_EN: 0
; COMPUTE_PGM_RSRC2:TIDIG_COMP_CNT: 0
; COMPUTE_PGM_RSRC3_GFX90A:ACCUM_OFFSET: 0
; COMPUTE_PGM_RSRC3_GFX90A:TG_SPLIT: 0
	.section	.text._ZN7rocprim17ROCPRIM_400000_NS6detail17trampoline_kernelINS0_14default_configENS1_27scan_by_key_config_selectorIssEEZZNS1_16scan_by_key_implILNS1_25lookback_scan_determinismE0ELb0ES3_N6thrust23THRUST_200600_302600_NS6detail15normal_iteratorINS9_10device_ptrIsEEEESE_SE_sNS9_10multipliesIsEENS9_8equal_toIsEEsEE10hipError_tPvRmT2_T3_T4_T5_mT6_T7_P12ihipStream_tbENKUlT_T0_E_clISt17integral_constantIbLb0EESY_IbLb1EEEEDaSU_SV_EUlSU_E_NS1_11comp_targetILNS1_3genE9ELNS1_11target_archE1100ELNS1_3gpuE3ELNS1_3repE0EEENS1_30default_config_static_selectorELNS0_4arch9wavefront6targetE1EEEvT1_,"axG",@progbits,_ZN7rocprim17ROCPRIM_400000_NS6detail17trampoline_kernelINS0_14default_configENS1_27scan_by_key_config_selectorIssEEZZNS1_16scan_by_key_implILNS1_25lookback_scan_determinismE0ELb0ES3_N6thrust23THRUST_200600_302600_NS6detail15normal_iteratorINS9_10device_ptrIsEEEESE_SE_sNS9_10multipliesIsEENS9_8equal_toIsEEsEE10hipError_tPvRmT2_T3_T4_T5_mT6_T7_P12ihipStream_tbENKUlT_T0_E_clISt17integral_constantIbLb0EESY_IbLb1EEEEDaSU_SV_EUlSU_E_NS1_11comp_targetILNS1_3genE9ELNS1_11target_archE1100ELNS1_3gpuE3ELNS1_3repE0EEENS1_30default_config_static_selectorELNS0_4arch9wavefront6targetE1EEEvT1_,comdat
	.protected	_ZN7rocprim17ROCPRIM_400000_NS6detail17trampoline_kernelINS0_14default_configENS1_27scan_by_key_config_selectorIssEEZZNS1_16scan_by_key_implILNS1_25lookback_scan_determinismE0ELb0ES3_N6thrust23THRUST_200600_302600_NS6detail15normal_iteratorINS9_10device_ptrIsEEEESE_SE_sNS9_10multipliesIsEENS9_8equal_toIsEEsEE10hipError_tPvRmT2_T3_T4_T5_mT6_T7_P12ihipStream_tbENKUlT_T0_E_clISt17integral_constantIbLb0EESY_IbLb1EEEEDaSU_SV_EUlSU_E_NS1_11comp_targetILNS1_3genE9ELNS1_11target_archE1100ELNS1_3gpuE3ELNS1_3repE0EEENS1_30default_config_static_selectorELNS0_4arch9wavefront6targetE1EEEvT1_ ; -- Begin function _ZN7rocprim17ROCPRIM_400000_NS6detail17trampoline_kernelINS0_14default_configENS1_27scan_by_key_config_selectorIssEEZZNS1_16scan_by_key_implILNS1_25lookback_scan_determinismE0ELb0ES3_N6thrust23THRUST_200600_302600_NS6detail15normal_iteratorINS9_10device_ptrIsEEEESE_SE_sNS9_10multipliesIsEENS9_8equal_toIsEEsEE10hipError_tPvRmT2_T3_T4_T5_mT6_T7_P12ihipStream_tbENKUlT_T0_E_clISt17integral_constantIbLb0EESY_IbLb1EEEEDaSU_SV_EUlSU_E_NS1_11comp_targetILNS1_3genE9ELNS1_11target_archE1100ELNS1_3gpuE3ELNS1_3repE0EEENS1_30default_config_static_selectorELNS0_4arch9wavefront6targetE1EEEvT1_
	.globl	_ZN7rocprim17ROCPRIM_400000_NS6detail17trampoline_kernelINS0_14default_configENS1_27scan_by_key_config_selectorIssEEZZNS1_16scan_by_key_implILNS1_25lookback_scan_determinismE0ELb0ES3_N6thrust23THRUST_200600_302600_NS6detail15normal_iteratorINS9_10device_ptrIsEEEESE_SE_sNS9_10multipliesIsEENS9_8equal_toIsEEsEE10hipError_tPvRmT2_T3_T4_T5_mT6_T7_P12ihipStream_tbENKUlT_T0_E_clISt17integral_constantIbLb0EESY_IbLb1EEEEDaSU_SV_EUlSU_E_NS1_11comp_targetILNS1_3genE9ELNS1_11target_archE1100ELNS1_3gpuE3ELNS1_3repE0EEENS1_30default_config_static_selectorELNS0_4arch9wavefront6targetE1EEEvT1_
	.p2align	8
	.type	_ZN7rocprim17ROCPRIM_400000_NS6detail17trampoline_kernelINS0_14default_configENS1_27scan_by_key_config_selectorIssEEZZNS1_16scan_by_key_implILNS1_25lookback_scan_determinismE0ELb0ES3_N6thrust23THRUST_200600_302600_NS6detail15normal_iteratorINS9_10device_ptrIsEEEESE_SE_sNS9_10multipliesIsEENS9_8equal_toIsEEsEE10hipError_tPvRmT2_T3_T4_T5_mT6_T7_P12ihipStream_tbENKUlT_T0_E_clISt17integral_constantIbLb0EESY_IbLb1EEEEDaSU_SV_EUlSU_E_NS1_11comp_targetILNS1_3genE9ELNS1_11target_archE1100ELNS1_3gpuE3ELNS1_3repE0EEENS1_30default_config_static_selectorELNS0_4arch9wavefront6targetE1EEEvT1_,@function
_ZN7rocprim17ROCPRIM_400000_NS6detail17trampoline_kernelINS0_14default_configENS1_27scan_by_key_config_selectorIssEEZZNS1_16scan_by_key_implILNS1_25lookback_scan_determinismE0ELb0ES3_N6thrust23THRUST_200600_302600_NS6detail15normal_iteratorINS9_10device_ptrIsEEEESE_SE_sNS9_10multipliesIsEENS9_8equal_toIsEEsEE10hipError_tPvRmT2_T3_T4_T5_mT6_T7_P12ihipStream_tbENKUlT_T0_E_clISt17integral_constantIbLb0EESY_IbLb1EEEEDaSU_SV_EUlSU_E_NS1_11comp_targetILNS1_3genE9ELNS1_11target_archE1100ELNS1_3gpuE3ELNS1_3repE0EEENS1_30default_config_static_selectorELNS0_4arch9wavefront6targetE1EEEvT1_: ; @_ZN7rocprim17ROCPRIM_400000_NS6detail17trampoline_kernelINS0_14default_configENS1_27scan_by_key_config_selectorIssEEZZNS1_16scan_by_key_implILNS1_25lookback_scan_determinismE0ELb0ES3_N6thrust23THRUST_200600_302600_NS6detail15normal_iteratorINS9_10device_ptrIsEEEESE_SE_sNS9_10multipliesIsEENS9_8equal_toIsEEsEE10hipError_tPvRmT2_T3_T4_T5_mT6_T7_P12ihipStream_tbENKUlT_T0_E_clISt17integral_constantIbLb0EESY_IbLb1EEEEDaSU_SV_EUlSU_E_NS1_11comp_targetILNS1_3genE9ELNS1_11target_archE1100ELNS1_3gpuE3ELNS1_3repE0EEENS1_30default_config_static_selectorELNS0_4arch9wavefront6targetE1EEEvT1_
; %bb.0:
	.section	.rodata,"a",@progbits
	.p2align	6, 0x0
	.amdhsa_kernel _ZN7rocprim17ROCPRIM_400000_NS6detail17trampoline_kernelINS0_14default_configENS1_27scan_by_key_config_selectorIssEEZZNS1_16scan_by_key_implILNS1_25lookback_scan_determinismE0ELb0ES3_N6thrust23THRUST_200600_302600_NS6detail15normal_iteratorINS9_10device_ptrIsEEEESE_SE_sNS9_10multipliesIsEENS9_8equal_toIsEEsEE10hipError_tPvRmT2_T3_T4_T5_mT6_T7_P12ihipStream_tbENKUlT_T0_E_clISt17integral_constantIbLb0EESY_IbLb1EEEEDaSU_SV_EUlSU_E_NS1_11comp_targetILNS1_3genE9ELNS1_11target_archE1100ELNS1_3gpuE3ELNS1_3repE0EEENS1_30default_config_static_selectorELNS0_4arch9wavefront6targetE1EEEvT1_
		.amdhsa_group_segment_fixed_size 0
		.amdhsa_private_segment_fixed_size 0
		.amdhsa_kernarg_size 112
		.amdhsa_user_sgpr_count 2
		.amdhsa_user_sgpr_dispatch_ptr 0
		.amdhsa_user_sgpr_queue_ptr 0
		.amdhsa_user_sgpr_kernarg_segment_ptr 1
		.amdhsa_user_sgpr_dispatch_id 0
		.amdhsa_user_sgpr_kernarg_preload_length 0
		.amdhsa_user_sgpr_kernarg_preload_offset 0
		.amdhsa_user_sgpr_private_segment_size 0
		.amdhsa_uses_dynamic_stack 0
		.amdhsa_enable_private_segment 0
		.amdhsa_system_sgpr_workgroup_id_x 1
		.amdhsa_system_sgpr_workgroup_id_y 0
		.amdhsa_system_sgpr_workgroup_id_z 0
		.amdhsa_system_sgpr_workgroup_info 0
		.amdhsa_system_vgpr_workitem_id 0
		.amdhsa_next_free_vgpr 1
		.amdhsa_next_free_sgpr 0
		.amdhsa_accum_offset 4
		.amdhsa_reserve_vcc 0
		.amdhsa_float_round_mode_32 0
		.amdhsa_float_round_mode_16_64 0
		.amdhsa_float_denorm_mode_32 3
		.amdhsa_float_denorm_mode_16_64 3
		.amdhsa_dx10_clamp 1
		.amdhsa_ieee_mode 1
		.amdhsa_fp16_overflow 0
		.amdhsa_tg_split 0
		.amdhsa_exception_fp_ieee_invalid_op 0
		.amdhsa_exception_fp_denorm_src 0
		.amdhsa_exception_fp_ieee_div_zero 0
		.amdhsa_exception_fp_ieee_overflow 0
		.amdhsa_exception_fp_ieee_underflow 0
		.amdhsa_exception_fp_ieee_inexact 0
		.amdhsa_exception_int_div_zero 0
	.end_amdhsa_kernel
	.section	.text._ZN7rocprim17ROCPRIM_400000_NS6detail17trampoline_kernelINS0_14default_configENS1_27scan_by_key_config_selectorIssEEZZNS1_16scan_by_key_implILNS1_25lookback_scan_determinismE0ELb0ES3_N6thrust23THRUST_200600_302600_NS6detail15normal_iteratorINS9_10device_ptrIsEEEESE_SE_sNS9_10multipliesIsEENS9_8equal_toIsEEsEE10hipError_tPvRmT2_T3_T4_T5_mT6_T7_P12ihipStream_tbENKUlT_T0_E_clISt17integral_constantIbLb0EESY_IbLb1EEEEDaSU_SV_EUlSU_E_NS1_11comp_targetILNS1_3genE9ELNS1_11target_archE1100ELNS1_3gpuE3ELNS1_3repE0EEENS1_30default_config_static_selectorELNS0_4arch9wavefront6targetE1EEEvT1_,"axG",@progbits,_ZN7rocprim17ROCPRIM_400000_NS6detail17trampoline_kernelINS0_14default_configENS1_27scan_by_key_config_selectorIssEEZZNS1_16scan_by_key_implILNS1_25lookback_scan_determinismE0ELb0ES3_N6thrust23THRUST_200600_302600_NS6detail15normal_iteratorINS9_10device_ptrIsEEEESE_SE_sNS9_10multipliesIsEENS9_8equal_toIsEEsEE10hipError_tPvRmT2_T3_T4_T5_mT6_T7_P12ihipStream_tbENKUlT_T0_E_clISt17integral_constantIbLb0EESY_IbLb1EEEEDaSU_SV_EUlSU_E_NS1_11comp_targetILNS1_3genE9ELNS1_11target_archE1100ELNS1_3gpuE3ELNS1_3repE0EEENS1_30default_config_static_selectorELNS0_4arch9wavefront6targetE1EEEvT1_,comdat
.Lfunc_end315:
	.size	_ZN7rocprim17ROCPRIM_400000_NS6detail17trampoline_kernelINS0_14default_configENS1_27scan_by_key_config_selectorIssEEZZNS1_16scan_by_key_implILNS1_25lookback_scan_determinismE0ELb0ES3_N6thrust23THRUST_200600_302600_NS6detail15normal_iteratorINS9_10device_ptrIsEEEESE_SE_sNS9_10multipliesIsEENS9_8equal_toIsEEsEE10hipError_tPvRmT2_T3_T4_T5_mT6_T7_P12ihipStream_tbENKUlT_T0_E_clISt17integral_constantIbLb0EESY_IbLb1EEEEDaSU_SV_EUlSU_E_NS1_11comp_targetILNS1_3genE9ELNS1_11target_archE1100ELNS1_3gpuE3ELNS1_3repE0EEENS1_30default_config_static_selectorELNS0_4arch9wavefront6targetE1EEEvT1_, .Lfunc_end315-_ZN7rocprim17ROCPRIM_400000_NS6detail17trampoline_kernelINS0_14default_configENS1_27scan_by_key_config_selectorIssEEZZNS1_16scan_by_key_implILNS1_25lookback_scan_determinismE0ELb0ES3_N6thrust23THRUST_200600_302600_NS6detail15normal_iteratorINS9_10device_ptrIsEEEESE_SE_sNS9_10multipliesIsEENS9_8equal_toIsEEsEE10hipError_tPvRmT2_T3_T4_T5_mT6_T7_P12ihipStream_tbENKUlT_T0_E_clISt17integral_constantIbLb0EESY_IbLb1EEEEDaSU_SV_EUlSU_E_NS1_11comp_targetILNS1_3genE9ELNS1_11target_archE1100ELNS1_3gpuE3ELNS1_3repE0EEENS1_30default_config_static_selectorELNS0_4arch9wavefront6targetE1EEEvT1_
                                        ; -- End function
	.section	.AMDGPU.csdata,"",@progbits
; Kernel info:
; codeLenInByte = 0
; NumSgprs: 6
; NumVgprs: 0
; NumAgprs: 0
; TotalNumVgprs: 0
; ScratchSize: 0
; MemoryBound: 0
; FloatMode: 240
; IeeeMode: 1
; LDSByteSize: 0 bytes/workgroup (compile time only)
; SGPRBlocks: 0
; VGPRBlocks: 0
; NumSGPRsForWavesPerEU: 6
; NumVGPRsForWavesPerEU: 1
; AccumOffset: 4
; Occupancy: 8
; WaveLimiterHint : 0
; COMPUTE_PGM_RSRC2:SCRATCH_EN: 0
; COMPUTE_PGM_RSRC2:USER_SGPR: 2
; COMPUTE_PGM_RSRC2:TRAP_HANDLER: 0
; COMPUTE_PGM_RSRC2:TGID_X_EN: 1
; COMPUTE_PGM_RSRC2:TGID_Y_EN: 0
; COMPUTE_PGM_RSRC2:TGID_Z_EN: 0
; COMPUTE_PGM_RSRC2:TIDIG_COMP_CNT: 0
; COMPUTE_PGM_RSRC3_GFX90A:ACCUM_OFFSET: 0
; COMPUTE_PGM_RSRC3_GFX90A:TG_SPLIT: 0
	.section	.text._ZN7rocprim17ROCPRIM_400000_NS6detail17trampoline_kernelINS0_14default_configENS1_27scan_by_key_config_selectorIssEEZZNS1_16scan_by_key_implILNS1_25lookback_scan_determinismE0ELb0ES3_N6thrust23THRUST_200600_302600_NS6detail15normal_iteratorINS9_10device_ptrIsEEEESE_SE_sNS9_10multipliesIsEENS9_8equal_toIsEEsEE10hipError_tPvRmT2_T3_T4_T5_mT6_T7_P12ihipStream_tbENKUlT_T0_E_clISt17integral_constantIbLb0EESY_IbLb1EEEEDaSU_SV_EUlSU_E_NS1_11comp_targetILNS1_3genE8ELNS1_11target_archE1030ELNS1_3gpuE2ELNS1_3repE0EEENS1_30default_config_static_selectorELNS0_4arch9wavefront6targetE1EEEvT1_,"axG",@progbits,_ZN7rocprim17ROCPRIM_400000_NS6detail17trampoline_kernelINS0_14default_configENS1_27scan_by_key_config_selectorIssEEZZNS1_16scan_by_key_implILNS1_25lookback_scan_determinismE0ELb0ES3_N6thrust23THRUST_200600_302600_NS6detail15normal_iteratorINS9_10device_ptrIsEEEESE_SE_sNS9_10multipliesIsEENS9_8equal_toIsEEsEE10hipError_tPvRmT2_T3_T4_T5_mT6_T7_P12ihipStream_tbENKUlT_T0_E_clISt17integral_constantIbLb0EESY_IbLb1EEEEDaSU_SV_EUlSU_E_NS1_11comp_targetILNS1_3genE8ELNS1_11target_archE1030ELNS1_3gpuE2ELNS1_3repE0EEENS1_30default_config_static_selectorELNS0_4arch9wavefront6targetE1EEEvT1_,comdat
	.protected	_ZN7rocprim17ROCPRIM_400000_NS6detail17trampoline_kernelINS0_14default_configENS1_27scan_by_key_config_selectorIssEEZZNS1_16scan_by_key_implILNS1_25lookback_scan_determinismE0ELb0ES3_N6thrust23THRUST_200600_302600_NS6detail15normal_iteratorINS9_10device_ptrIsEEEESE_SE_sNS9_10multipliesIsEENS9_8equal_toIsEEsEE10hipError_tPvRmT2_T3_T4_T5_mT6_T7_P12ihipStream_tbENKUlT_T0_E_clISt17integral_constantIbLb0EESY_IbLb1EEEEDaSU_SV_EUlSU_E_NS1_11comp_targetILNS1_3genE8ELNS1_11target_archE1030ELNS1_3gpuE2ELNS1_3repE0EEENS1_30default_config_static_selectorELNS0_4arch9wavefront6targetE1EEEvT1_ ; -- Begin function _ZN7rocprim17ROCPRIM_400000_NS6detail17trampoline_kernelINS0_14default_configENS1_27scan_by_key_config_selectorIssEEZZNS1_16scan_by_key_implILNS1_25lookback_scan_determinismE0ELb0ES3_N6thrust23THRUST_200600_302600_NS6detail15normal_iteratorINS9_10device_ptrIsEEEESE_SE_sNS9_10multipliesIsEENS9_8equal_toIsEEsEE10hipError_tPvRmT2_T3_T4_T5_mT6_T7_P12ihipStream_tbENKUlT_T0_E_clISt17integral_constantIbLb0EESY_IbLb1EEEEDaSU_SV_EUlSU_E_NS1_11comp_targetILNS1_3genE8ELNS1_11target_archE1030ELNS1_3gpuE2ELNS1_3repE0EEENS1_30default_config_static_selectorELNS0_4arch9wavefront6targetE1EEEvT1_
	.globl	_ZN7rocprim17ROCPRIM_400000_NS6detail17trampoline_kernelINS0_14default_configENS1_27scan_by_key_config_selectorIssEEZZNS1_16scan_by_key_implILNS1_25lookback_scan_determinismE0ELb0ES3_N6thrust23THRUST_200600_302600_NS6detail15normal_iteratorINS9_10device_ptrIsEEEESE_SE_sNS9_10multipliesIsEENS9_8equal_toIsEEsEE10hipError_tPvRmT2_T3_T4_T5_mT6_T7_P12ihipStream_tbENKUlT_T0_E_clISt17integral_constantIbLb0EESY_IbLb1EEEEDaSU_SV_EUlSU_E_NS1_11comp_targetILNS1_3genE8ELNS1_11target_archE1030ELNS1_3gpuE2ELNS1_3repE0EEENS1_30default_config_static_selectorELNS0_4arch9wavefront6targetE1EEEvT1_
	.p2align	8
	.type	_ZN7rocprim17ROCPRIM_400000_NS6detail17trampoline_kernelINS0_14default_configENS1_27scan_by_key_config_selectorIssEEZZNS1_16scan_by_key_implILNS1_25lookback_scan_determinismE0ELb0ES3_N6thrust23THRUST_200600_302600_NS6detail15normal_iteratorINS9_10device_ptrIsEEEESE_SE_sNS9_10multipliesIsEENS9_8equal_toIsEEsEE10hipError_tPvRmT2_T3_T4_T5_mT6_T7_P12ihipStream_tbENKUlT_T0_E_clISt17integral_constantIbLb0EESY_IbLb1EEEEDaSU_SV_EUlSU_E_NS1_11comp_targetILNS1_3genE8ELNS1_11target_archE1030ELNS1_3gpuE2ELNS1_3repE0EEENS1_30default_config_static_selectorELNS0_4arch9wavefront6targetE1EEEvT1_,@function
_ZN7rocprim17ROCPRIM_400000_NS6detail17trampoline_kernelINS0_14default_configENS1_27scan_by_key_config_selectorIssEEZZNS1_16scan_by_key_implILNS1_25lookback_scan_determinismE0ELb0ES3_N6thrust23THRUST_200600_302600_NS6detail15normal_iteratorINS9_10device_ptrIsEEEESE_SE_sNS9_10multipliesIsEENS9_8equal_toIsEEsEE10hipError_tPvRmT2_T3_T4_T5_mT6_T7_P12ihipStream_tbENKUlT_T0_E_clISt17integral_constantIbLb0EESY_IbLb1EEEEDaSU_SV_EUlSU_E_NS1_11comp_targetILNS1_3genE8ELNS1_11target_archE1030ELNS1_3gpuE2ELNS1_3repE0EEENS1_30default_config_static_selectorELNS0_4arch9wavefront6targetE1EEEvT1_: ; @_ZN7rocprim17ROCPRIM_400000_NS6detail17trampoline_kernelINS0_14default_configENS1_27scan_by_key_config_selectorIssEEZZNS1_16scan_by_key_implILNS1_25lookback_scan_determinismE0ELb0ES3_N6thrust23THRUST_200600_302600_NS6detail15normal_iteratorINS9_10device_ptrIsEEEESE_SE_sNS9_10multipliesIsEENS9_8equal_toIsEEsEE10hipError_tPvRmT2_T3_T4_T5_mT6_T7_P12ihipStream_tbENKUlT_T0_E_clISt17integral_constantIbLb0EESY_IbLb1EEEEDaSU_SV_EUlSU_E_NS1_11comp_targetILNS1_3genE8ELNS1_11target_archE1030ELNS1_3gpuE2ELNS1_3repE0EEENS1_30default_config_static_selectorELNS0_4arch9wavefront6targetE1EEEvT1_
; %bb.0:
	.section	.rodata,"a",@progbits
	.p2align	6, 0x0
	.amdhsa_kernel _ZN7rocprim17ROCPRIM_400000_NS6detail17trampoline_kernelINS0_14default_configENS1_27scan_by_key_config_selectorIssEEZZNS1_16scan_by_key_implILNS1_25lookback_scan_determinismE0ELb0ES3_N6thrust23THRUST_200600_302600_NS6detail15normal_iteratorINS9_10device_ptrIsEEEESE_SE_sNS9_10multipliesIsEENS9_8equal_toIsEEsEE10hipError_tPvRmT2_T3_T4_T5_mT6_T7_P12ihipStream_tbENKUlT_T0_E_clISt17integral_constantIbLb0EESY_IbLb1EEEEDaSU_SV_EUlSU_E_NS1_11comp_targetILNS1_3genE8ELNS1_11target_archE1030ELNS1_3gpuE2ELNS1_3repE0EEENS1_30default_config_static_selectorELNS0_4arch9wavefront6targetE1EEEvT1_
		.amdhsa_group_segment_fixed_size 0
		.amdhsa_private_segment_fixed_size 0
		.amdhsa_kernarg_size 112
		.amdhsa_user_sgpr_count 2
		.amdhsa_user_sgpr_dispatch_ptr 0
		.amdhsa_user_sgpr_queue_ptr 0
		.amdhsa_user_sgpr_kernarg_segment_ptr 1
		.amdhsa_user_sgpr_dispatch_id 0
		.amdhsa_user_sgpr_kernarg_preload_length 0
		.amdhsa_user_sgpr_kernarg_preload_offset 0
		.amdhsa_user_sgpr_private_segment_size 0
		.amdhsa_uses_dynamic_stack 0
		.amdhsa_enable_private_segment 0
		.amdhsa_system_sgpr_workgroup_id_x 1
		.amdhsa_system_sgpr_workgroup_id_y 0
		.amdhsa_system_sgpr_workgroup_id_z 0
		.amdhsa_system_sgpr_workgroup_info 0
		.amdhsa_system_vgpr_workitem_id 0
		.amdhsa_next_free_vgpr 1
		.amdhsa_next_free_sgpr 0
		.amdhsa_accum_offset 4
		.amdhsa_reserve_vcc 0
		.amdhsa_float_round_mode_32 0
		.amdhsa_float_round_mode_16_64 0
		.amdhsa_float_denorm_mode_32 3
		.amdhsa_float_denorm_mode_16_64 3
		.amdhsa_dx10_clamp 1
		.amdhsa_ieee_mode 1
		.amdhsa_fp16_overflow 0
		.amdhsa_tg_split 0
		.amdhsa_exception_fp_ieee_invalid_op 0
		.amdhsa_exception_fp_denorm_src 0
		.amdhsa_exception_fp_ieee_div_zero 0
		.amdhsa_exception_fp_ieee_overflow 0
		.amdhsa_exception_fp_ieee_underflow 0
		.amdhsa_exception_fp_ieee_inexact 0
		.amdhsa_exception_int_div_zero 0
	.end_amdhsa_kernel
	.section	.text._ZN7rocprim17ROCPRIM_400000_NS6detail17trampoline_kernelINS0_14default_configENS1_27scan_by_key_config_selectorIssEEZZNS1_16scan_by_key_implILNS1_25lookback_scan_determinismE0ELb0ES3_N6thrust23THRUST_200600_302600_NS6detail15normal_iteratorINS9_10device_ptrIsEEEESE_SE_sNS9_10multipliesIsEENS9_8equal_toIsEEsEE10hipError_tPvRmT2_T3_T4_T5_mT6_T7_P12ihipStream_tbENKUlT_T0_E_clISt17integral_constantIbLb0EESY_IbLb1EEEEDaSU_SV_EUlSU_E_NS1_11comp_targetILNS1_3genE8ELNS1_11target_archE1030ELNS1_3gpuE2ELNS1_3repE0EEENS1_30default_config_static_selectorELNS0_4arch9wavefront6targetE1EEEvT1_,"axG",@progbits,_ZN7rocprim17ROCPRIM_400000_NS6detail17trampoline_kernelINS0_14default_configENS1_27scan_by_key_config_selectorIssEEZZNS1_16scan_by_key_implILNS1_25lookback_scan_determinismE0ELb0ES3_N6thrust23THRUST_200600_302600_NS6detail15normal_iteratorINS9_10device_ptrIsEEEESE_SE_sNS9_10multipliesIsEENS9_8equal_toIsEEsEE10hipError_tPvRmT2_T3_T4_T5_mT6_T7_P12ihipStream_tbENKUlT_T0_E_clISt17integral_constantIbLb0EESY_IbLb1EEEEDaSU_SV_EUlSU_E_NS1_11comp_targetILNS1_3genE8ELNS1_11target_archE1030ELNS1_3gpuE2ELNS1_3repE0EEENS1_30default_config_static_selectorELNS0_4arch9wavefront6targetE1EEEvT1_,comdat
.Lfunc_end316:
	.size	_ZN7rocprim17ROCPRIM_400000_NS6detail17trampoline_kernelINS0_14default_configENS1_27scan_by_key_config_selectorIssEEZZNS1_16scan_by_key_implILNS1_25lookback_scan_determinismE0ELb0ES3_N6thrust23THRUST_200600_302600_NS6detail15normal_iteratorINS9_10device_ptrIsEEEESE_SE_sNS9_10multipliesIsEENS9_8equal_toIsEEsEE10hipError_tPvRmT2_T3_T4_T5_mT6_T7_P12ihipStream_tbENKUlT_T0_E_clISt17integral_constantIbLb0EESY_IbLb1EEEEDaSU_SV_EUlSU_E_NS1_11comp_targetILNS1_3genE8ELNS1_11target_archE1030ELNS1_3gpuE2ELNS1_3repE0EEENS1_30default_config_static_selectorELNS0_4arch9wavefront6targetE1EEEvT1_, .Lfunc_end316-_ZN7rocprim17ROCPRIM_400000_NS6detail17trampoline_kernelINS0_14default_configENS1_27scan_by_key_config_selectorIssEEZZNS1_16scan_by_key_implILNS1_25lookback_scan_determinismE0ELb0ES3_N6thrust23THRUST_200600_302600_NS6detail15normal_iteratorINS9_10device_ptrIsEEEESE_SE_sNS9_10multipliesIsEENS9_8equal_toIsEEsEE10hipError_tPvRmT2_T3_T4_T5_mT6_T7_P12ihipStream_tbENKUlT_T0_E_clISt17integral_constantIbLb0EESY_IbLb1EEEEDaSU_SV_EUlSU_E_NS1_11comp_targetILNS1_3genE8ELNS1_11target_archE1030ELNS1_3gpuE2ELNS1_3repE0EEENS1_30default_config_static_selectorELNS0_4arch9wavefront6targetE1EEEvT1_
                                        ; -- End function
	.section	.AMDGPU.csdata,"",@progbits
; Kernel info:
; codeLenInByte = 0
; NumSgprs: 6
; NumVgprs: 0
; NumAgprs: 0
; TotalNumVgprs: 0
; ScratchSize: 0
; MemoryBound: 0
; FloatMode: 240
; IeeeMode: 1
; LDSByteSize: 0 bytes/workgroup (compile time only)
; SGPRBlocks: 0
; VGPRBlocks: 0
; NumSGPRsForWavesPerEU: 6
; NumVGPRsForWavesPerEU: 1
; AccumOffset: 4
; Occupancy: 8
; WaveLimiterHint : 0
; COMPUTE_PGM_RSRC2:SCRATCH_EN: 0
; COMPUTE_PGM_RSRC2:USER_SGPR: 2
; COMPUTE_PGM_RSRC2:TRAP_HANDLER: 0
; COMPUTE_PGM_RSRC2:TGID_X_EN: 1
; COMPUTE_PGM_RSRC2:TGID_Y_EN: 0
; COMPUTE_PGM_RSRC2:TGID_Z_EN: 0
; COMPUTE_PGM_RSRC2:TIDIG_COMP_CNT: 0
; COMPUTE_PGM_RSRC3_GFX90A:ACCUM_OFFSET: 0
; COMPUTE_PGM_RSRC3_GFX90A:TG_SPLIT: 0
	.section	.text._ZN7rocprim17ROCPRIM_400000_NS6detail17trampoline_kernelINS0_14default_configENS1_27scan_by_key_config_selectorIssEEZZNS1_16scan_by_key_implILNS1_25lookback_scan_determinismE0ELb0ES3_N6thrust23THRUST_200600_302600_NS6detail15normal_iteratorINS9_10device_ptrIsEEEESE_SE_sNS9_4plusIvEENS9_8equal_toIsEEsEE10hipError_tPvRmT2_T3_T4_T5_mT6_T7_P12ihipStream_tbENKUlT_T0_E_clISt17integral_constantIbLb0EESZ_EEDaSU_SV_EUlSU_E_NS1_11comp_targetILNS1_3genE0ELNS1_11target_archE4294967295ELNS1_3gpuE0ELNS1_3repE0EEENS1_30default_config_static_selectorELNS0_4arch9wavefront6targetE1EEEvT1_,"axG",@progbits,_ZN7rocprim17ROCPRIM_400000_NS6detail17trampoline_kernelINS0_14default_configENS1_27scan_by_key_config_selectorIssEEZZNS1_16scan_by_key_implILNS1_25lookback_scan_determinismE0ELb0ES3_N6thrust23THRUST_200600_302600_NS6detail15normal_iteratorINS9_10device_ptrIsEEEESE_SE_sNS9_4plusIvEENS9_8equal_toIsEEsEE10hipError_tPvRmT2_T3_T4_T5_mT6_T7_P12ihipStream_tbENKUlT_T0_E_clISt17integral_constantIbLb0EESZ_EEDaSU_SV_EUlSU_E_NS1_11comp_targetILNS1_3genE0ELNS1_11target_archE4294967295ELNS1_3gpuE0ELNS1_3repE0EEENS1_30default_config_static_selectorELNS0_4arch9wavefront6targetE1EEEvT1_,comdat
	.protected	_ZN7rocprim17ROCPRIM_400000_NS6detail17trampoline_kernelINS0_14default_configENS1_27scan_by_key_config_selectorIssEEZZNS1_16scan_by_key_implILNS1_25lookback_scan_determinismE0ELb0ES3_N6thrust23THRUST_200600_302600_NS6detail15normal_iteratorINS9_10device_ptrIsEEEESE_SE_sNS9_4plusIvEENS9_8equal_toIsEEsEE10hipError_tPvRmT2_T3_T4_T5_mT6_T7_P12ihipStream_tbENKUlT_T0_E_clISt17integral_constantIbLb0EESZ_EEDaSU_SV_EUlSU_E_NS1_11comp_targetILNS1_3genE0ELNS1_11target_archE4294967295ELNS1_3gpuE0ELNS1_3repE0EEENS1_30default_config_static_selectorELNS0_4arch9wavefront6targetE1EEEvT1_ ; -- Begin function _ZN7rocprim17ROCPRIM_400000_NS6detail17trampoline_kernelINS0_14default_configENS1_27scan_by_key_config_selectorIssEEZZNS1_16scan_by_key_implILNS1_25lookback_scan_determinismE0ELb0ES3_N6thrust23THRUST_200600_302600_NS6detail15normal_iteratorINS9_10device_ptrIsEEEESE_SE_sNS9_4plusIvEENS9_8equal_toIsEEsEE10hipError_tPvRmT2_T3_T4_T5_mT6_T7_P12ihipStream_tbENKUlT_T0_E_clISt17integral_constantIbLb0EESZ_EEDaSU_SV_EUlSU_E_NS1_11comp_targetILNS1_3genE0ELNS1_11target_archE4294967295ELNS1_3gpuE0ELNS1_3repE0EEENS1_30default_config_static_selectorELNS0_4arch9wavefront6targetE1EEEvT1_
	.globl	_ZN7rocprim17ROCPRIM_400000_NS6detail17trampoline_kernelINS0_14default_configENS1_27scan_by_key_config_selectorIssEEZZNS1_16scan_by_key_implILNS1_25lookback_scan_determinismE0ELb0ES3_N6thrust23THRUST_200600_302600_NS6detail15normal_iteratorINS9_10device_ptrIsEEEESE_SE_sNS9_4plusIvEENS9_8equal_toIsEEsEE10hipError_tPvRmT2_T3_T4_T5_mT6_T7_P12ihipStream_tbENKUlT_T0_E_clISt17integral_constantIbLb0EESZ_EEDaSU_SV_EUlSU_E_NS1_11comp_targetILNS1_3genE0ELNS1_11target_archE4294967295ELNS1_3gpuE0ELNS1_3repE0EEENS1_30default_config_static_selectorELNS0_4arch9wavefront6targetE1EEEvT1_
	.p2align	8
	.type	_ZN7rocprim17ROCPRIM_400000_NS6detail17trampoline_kernelINS0_14default_configENS1_27scan_by_key_config_selectorIssEEZZNS1_16scan_by_key_implILNS1_25lookback_scan_determinismE0ELb0ES3_N6thrust23THRUST_200600_302600_NS6detail15normal_iteratorINS9_10device_ptrIsEEEESE_SE_sNS9_4plusIvEENS9_8equal_toIsEEsEE10hipError_tPvRmT2_T3_T4_T5_mT6_T7_P12ihipStream_tbENKUlT_T0_E_clISt17integral_constantIbLb0EESZ_EEDaSU_SV_EUlSU_E_NS1_11comp_targetILNS1_3genE0ELNS1_11target_archE4294967295ELNS1_3gpuE0ELNS1_3repE0EEENS1_30default_config_static_selectorELNS0_4arch9wavefront6targetE1EEEvT1_,@function
_ZN7rocprim17ROCPRIM_400000_NS6detail17trampoline_kernelINS0_14default_configENS1_27scan_by_key_config_selectorIssEEZZNS1_16scan_by_key_implILNS1_25lookback_scan_determinismE0ELb0ES3_N6thrust23THRUST_200600_302600_NS6detail15normal_iteratorINS9_10device_ptrIsEEEESE_SE_sNS9_4plusIvEENS9_8equal_toIsEEsEE10hipError_tPvRmT2_T3_T4_T5_mT6_T7_P12ihipStream_tbENKUlT_T0_E_clISt17integral_constantIbLb0EESZ_EEDaSU_SV_EUlSU_E_NS1_11comp_targetILNS1_3genE0ELNS1_11target_archE4294967295ELNS1_3gpuE0ELNS1_3repE0EEENS1_30default_config_static_selectorELNS0_4arch9wavefront6targetE1EEEvT1_: ; @_ZN7rocprim17ROCPRIM_400000_NS6detail17trampoline_kernelINS0_14default_configENS1_27scan_by_key_config_selectorIssEEZZNS1_16scan_by_key_implILNS1_25lookback_scan_determinismE0ELb0ES3_N6thrust23THRUST_200600_302600_NS6detail15normal_iteratorINS9_10device_ptrIsEEEESE_SE_sNS9_4plusIvEENS9_8equal_toIsEEsEE10hipError_tPvRmT2_T3_T4_T5_mT6_T7_P12ihipStream_tbENKUlT_T0_E_clISt17integral_constantIbLb0EESZ_EEDaSU_SV_EUlSU_E_NS1_11comp_targetILNS1_3genE0ELNS1_11target_archE4294967295ELNS1_3gpuE0ELNS1_3repE0EEENS1_30default_config_static_selectorELNS0_4arch9wavefront6targetE1EEEvT1_
; %bb.0:
	.section	.rodata,"a",@progbits
	.p2align	6, 0x0
	.amdhsa_kernel _ZN7rocprim17ROCPRIM_400000_NS6detail17trampoline_kernelINS0_14default_configENS1_27scan_by_key_config_selectorIssEEZZNS1_16scan_by_key_implILNS1_25lookback_scan_determinismE0ELb0ES3_N6thrust23THRUST_200600_302600_NS6detail15normal_iteratorINS9_10device_ptrIsEEEESE_SE_sNS9_4plusIvEENS9_8equal_toIsEEsEE10hipError_tPvRmT2_T3_T4_T5_mT6_T7_P12ihipStream_tbENKUlT_T0_E_clISt17integral_constantIbLb0EESZ_EEDaSU_SV_EUlSU_E_NS1_11comp_targetILNS1_3genE0ELNS1_11target_archE4294967295ELNS1_3gpuE0ELNS1_3repE0EEENS1_30default_config_static_selectorELNS0_4arch9wavefront6targetE1EEEvT1_
		.amdhsa_group_segment_fixed_size 0
		.amdhsa_private_segment_fixed_size 0
		.amdhsa_kernarg_size 112
		.amdhsa_user_sgpr_count 2
		.amdhsa_user_sgpr_dispatch_ptr 0
		.amdhsa_user_sgpr_queue_ptr 0
		.amdhsa_user_sgpr_kernarg_segment_ptr 1
		.amdhsa_user_sgpr_dispatch_id 0
		.amdhsa_user_sgpr_kernarg_preload_length 0
		.amdhsa_user_sgpr_kernarg_preload_offset 0
		.amdhsa_user_sgpr_private_segment_size 0
		.amdhsa_uses_dynamic_stack 0
		.amdhsa_enable_private_segment 0
		.amdhsa_system_sgpr_workgroup_id_x 1
		.amdhsa_system_sgpr_workgroup_id_y 0
		.amdhsa_system_sgpr_workgroup_id_z 0
		.amdhsa_system_sgpr_workgroup_info 0
		.amdhsa_system_vgpr_workitem_id 0
		.amdhsa_next_free_vgpr 1
		.amdhsa_next_free_sgpr 0
		.amdhsa_accum_offset 4
		.amdhsa_reserve_vcc 0
		.amdhsa_float_round_mode_32 0
		.amdhsa_float_round_mode_16_64 0
		.amdhsa_float_denorm_mode_32 3
		.amdhsa_float_denorm_mode_16_64 3
		.amdhsa_dx10_clamp 1
		.amdhsa_ieee_mode 1
		.amdhsa_fp16_overflow 0
		.amdhsa_tg_split 0
		.amdhsa_exception_fp_ieee_invalid_op 0
		.amdhsa_exception_fp_denorm_src 0
		.amdhsa_exception_fp_ieee_div_zero 0
		.amdhsa_exception_fp_ieee_overflow 0
		.amdhsa_exception_fp_ieee_underflow 0
		.amdhsa_exception_fp_ieee_inexact 0
		.amdhsa_exception_int_div_zero 0
	.end_amdhsa_kernel
	.section	.text._ZN7rocprim17ROCPRIM_400000_NS6detail17trampoline_kernelINS0_14default_configENS1_27scan_by_key_config_selectorIssEEZZNS1_16scan_by_key_implILNS1_25lookback_scan_determinismE0ELb0ES3_N6thrust23THRUST_200600_302600_NS6detail15normal_iteratorINS9_10device_ptrIsEEEESE_SE_sNS9_4plusIvEENS9_8equal_toIsEEsEE10hipError_tPvRmT2_T3_T4_T5_mT6_T7_P12ihipStream_tbENKUlT_T0_E_clISt17integral_constantIbLb0EESZ_EEDaSU_SV_EUlSU_E_NS1_11comp_targetILNS1_3genE0ELNS1_11target_archE4294967295ELNS1_3gpuE0ELNS1_3repE0EEENS1_30default_config_static_selectorELNS0_4arch9wavefront6targetE1EEEvT1_,"axG",@progbits,_ZN7rocprim17ROCPRIM_400000_NS6detail17trampoline_kernelINS0_14default_configENS1_27scan_by_key_config_selectorIssEEZZNS1_16scan_by_key_implILNS1_25lookback_scan_determinismE0ELb0ES3_N6thrust23THRUST_200600_302600_NS6detail15normal_iteratorINS9_10device_ptrIsEEEESE_SE_sNS9_4plusIvEENS9_8equal_toIsEEsEE10hipError_tPvRmT2_T3_T4_T5_mT6_T7_P12ihipStream_tbENKUlT_T0_E_clISt17integral_constantIbLb0EESZ_EEDaSU_SV_EUlSU_E_NS1_11comp_targetILNS1_3genE0ELNS1_11target_archE4294967295ELNS1_3gpuE0ELNS1_3repE0EEENS1_30default_config_static_selectorELNS0_4arch9wavefront6targetE1EEEvT1_,comdat
.Lfunc_end317:
	.size	_ZN7rocprim17ROCPRIM_400000_NS6detail17trampoline_kernelINS0_14default_configENS1_27scan_by_key_config_selectorIssEEZZNS1_16scan_by_key_implILNS1_25lookback_scan_determinismE0ELb0ES3_N6thrust23THRUST_200600_302600_NS6detail15normal_iteratorINS9_10device_ptrIsEEEESE_SE_sNS9_4plusIvEENS9_8equal_toIsEEsEE10hipError_tPvRmT2_T3_T4_T5_mT6_T7_P12ihipStream_tbENKUlT_T0_E_clISt17integral_constantIbLb0EESZ_EEDaSU_SV_EUlSU_E_NS1_11comp_targetILNS1_3genE0ELNS1_11target_archE4294967295ELNS1_3gpuE0ELNS1_3repE0EEENS1_30default_config_static_selectorELNS0_4arch9wavefront6targetE1EEEvT1_, .Lfunc_end317-_ZN7rocprim17ROCPRIM_400000_NS6detail17trampoline_kernelINS0_14default_configENS1_27scan_by_key_config_selectorIssEEZZNS1_16scan_by_key_implILNS1_25lookback_scan_determinismE0ELb0ES3_N6thrust23THRUST_200600_302600_NS6detail15normal_iteratorINS9_10device_ptrIsEEEESE_SE_sNS9_4plusIvEENS9_8equal_toIsEEsEE10hipError_tPvRmT2_T3_T4_T5_mT6_T7_P12ihipStream_tbENKUlT_T0_E_clISt17integral_constantIbLb0EESZ_EEDaSU_SV_EUlSU_E_NS1_11comp_targetILNS1_3genE0ELNS1_11target_archE4294967295ELNS1_3gpuE0ELNS1_3repE0EEENS1_30default_config_static_selectorELNS0_4arch9wavefront6targetE1EEEvT1_
                                        ; -- End function
	.section	.AMDGPU.csdata,"",@progbits
; Kernel info:
; codeLenInByte = 0
; NumSgprs: 6
; NumVgprs: 0
; NumAgprs: 0
; TotalNumVgprs: 0
; ScratchSize: 0
; MemoryBound: 0
; FloatMode: 240
; IeeeMode: 1
; LDSByteSize: 0 bytes/workgroup (compile time only)
; SGPRBlocks: 0
; VGPRBlocks: 0
; NumSGPRsForWavesPerEU: 6
; NumVGPRsForWavesPerEU: 1
; AccumOffset: 4
; Occupancy: 8
; WaveLimiterHint : 0
; COMPUTE_PGM_RSRC2:SCRATCH_EN: 0
; COMPUTE_PGM_RSRC2:USER_SGPR: 2
; COMPUTE_PGM_RSRC2:TRAP_HANDLER: 0
; COMPUTE_PGM_RSRC2:TGID_X_EN: 1
; COMPUTE_PGM_RSRC2:TGID_Y_EN: 0
; COMPUTE_PGM_RSRC2:TGID_Z_EN: 0
; COMPUTE_PGM_RSRC2:TIDIG_COMP_CNT: 0
; COMPUTE_PGM_RSRC3_GFX90A:ACCUM_OFFSET: 0
; COMPUTE_PGM_RSRC3_GFX90A:TG_SPLIT: 0
	.section	.text._ZN7rocprim17ROCPRIM_400000_NS6detail17trampoline_kernelINS0_14default_configENS1_27scan_by_key_config_selectorIssEEZZNS1_16scan_by_key_implILNS1_25lookback_scan_determinismE0ELb0ES3_N6thrust23THRUST_200600_302600_NS6detail15normal_iteratorINS9_10device_ptrIsEEEESE_SE_sNS9_4plusIvEENS9_8equal_toIsEEsEE10hipError_tPvRmT2_T3_T4_T5_mT6_T7_P12ihipStream_tbENKUlT_T0_E_clISt17integral_constantIbLb0EESZ_EEDaSU_SV_EUlSU_E_NS1_11comp_targetILNS1_3genE10ELNS1_11target_archE1201ELNS1_3gpuE5ELNS1_3repE0EEENS1_30default_config_static_selectorELNS0_4arch9wavefront6targetE1EEEvT1_,"axG",@progbits,_ZN7rocprim17ROCPRIM_400000_NS6detail17trampoline_kernelINS0_14default_configENS1_27scan_by_key_config_selectorIssEEZZNS1_16scan_by_key_implILNS1_25lookback_scan_determinismE0ELb0ES3_N6thrust23THRUST_200600_302600_NS6detail15normal_iteratorINS9_10device_ptrIsEEEESE_SE_sNS9_4plusIvEENS9_8equal_toIsEEsEE10hipError_tPvRmT2_T3_T4_T5_mT6_T7_P12ihipStream_tbENKUlT_T0_E_clISt17integral_constantIbLb0EESZ_EEDaSU_SV_EUlSU_E_NS1_11comp_targetILNS1_3genE10ELNS1_11target_archE1201ELNS1_3gpuE5ELNS1_3repE0EEENS1_30default_config_static_selectorELNS0_4arch9wavefront6targetE1EEEvT1_,comdat
	.protected	_ZN7rocprim17ROCPRIM_400000_NS6detail17trampoline_kernelINS0_14default_configENS1_27scan_by_key_config_selectorIssEEZZNS1_16scan_by_key_implILNS1_25lookback_scan_determinismE0ELb0ES3_N6thrust23THRUST_200600_302600_NS6detail15normal_iteratorINS9_10device_ptrIsEEEESE_SE_sNS9_4plusIvEENS9_8equal_toIsEEsEE10hipError_tPvRmT2_T3_T4_T5_mT6_T7_P12ihipStream_tbENKUlT_T0_E_clISt17integral_constantIbLb0EESZ_EEDaSU_SV_EUlSU_E_NS1_11comp_targetILNS1_3genE10ELNS1_11target_archE1201ELNS1_3gpuE5ELNS1_3repE0EEENS1_30default_config_static_selectorELNS0_4arch9wavefront6targetE1EEEvT1_ ; -- Begin function _ZN7rocprim17ROCPRIM_400000_NS6detail17trampoline_kernelINS0_14default_configENS1_27scan_by_key_config_selectorIssEEZZNS1_16scan_by_key_implILNS1_25lookback_scan_determinismE0ELb0ES3_N6thrust23THRUST_200600_302600_NS6detail15normal_iteratorINS9_10device_ptrIsEEEESE_SE_sNS9_4plusIvEENS9_8equal_toIsEEsEE10hipError_tPvRmT2_T3_T4_T5_mT6_T7_P12ihipStream_tbENKUlT_T0_E_clISt17integral_constantIbLb0EESZ_EEDaSU_SV_EUlSU_E_NS1_11comp_targetILNS1_3genE10ELNS1_11target_archE1201ELNS1_3gpuE5ELNS1_3repE0EEENS1_30default_config_static_selectorELNS0_4arch9wavefront6targetE1EEEvT1_
	.globl	_ZN7rocprim17ROCPRIM_400000_NS6detail17trampoline_kernelINS0_14default_configENS1_27scan_by_key_config_selectorIssEEZZNS1_16scan_by_key_implILNS1_25lookback_scan_determinismE0ELb0ES3_N6thrust23THRUST_200600_302600_NS6detail15normal_iteratorINS9_10device_ptrIsEEEESE_SE_sNS9_4plusIvEENS9_8equal_toIsEEsEE10hipError_tPvRmT2_T3_T4_T5_mT6_T7_P12ihipStream_tbENKUlT_T0_E_clISt17integral_constantIbLb0EESZ_EEDaSU_SV_EUlSU_E_NS1_11comp_targetILNS1_3genE10ELNS1_11target_archE1201ELNS1_3gpuE5ELNS1_3repE0EEENS1_30default_config_static_selectorELNS0_4arch9wavefront6targetE1EEEvT1_
	.p2align	8
	.type	_ZN7rocprim17ROCPRIM_400000_NS6detail17trampoline_kernelINS0_14default_configENS1_27scan_by_key_config_selectorIssEEZZNS1_16scan_by_key_implILNS1_25lookback_scan_determinismE0ELb0ES3_N6thrust23THRUST_200600_302600_NS6detail15normal_iteratorINS9_10device_ptrIsEEEESE_SE_sNS9_4plusIvEENS9_8equal_toIsEEsEE10hipError_tPvRmT2_T3_T4_T5_mT6_T7_P12ihipStream_tbENKUlT_T0_E_clISt17integral_constantIbLb0EESZ_EEDaSU_SV_EUlSU_E_NS1_11comp_targetILNS1_3genE10ELNS1_11target_archE1201ELNS1_3gpuE5ELNS1_3repE0EEENS1_30default_config_static_selectorELNS0_4arch9wavefront6targetE1EEEvT1_,@function
_ZN7rocprim17ROCPRIM_400000_NS6detail17trampoline_kernelINS0_14default_configENS1_27scan_by_key_config_selectorIssEEZZNS1_16scan_by_key_implILNS1_25lookback_scan_determinismE0ELb0ES3_N6thrust23THRUST_200600_302600_NS6detail15normal_iteratorINS9_10device_ptrIsEEEESE_SE_sNS9_4plusIvEENS9_8equal_toIsEEsEE10hipError_tPvRmT2_T3_T4_T5_mT6_T7_P12ihipStream_tbENKUlT_T0_E_clISt17integral_constantIbLb0EESZ_EEDaSU_SV_EUlSU_E_NS1_11comp_targetILNS1_3genE10ELNS1_11target_archE1201ELNS1_3gpuE5ELNS1_3repE0EEENS1_30default_config_static_selectorELNS0_4arch9wavefront6targetE1EEEvT1_: ; @_ZN7rocprim17ROCPRIM_400000_NS6detail17trampoline_kernelINS0_14default_configENS1_27scan_by_key_config_selectorIssEEZZNS1_16scan_by_key_implILNS1_25lookback_scan_determinismE0ELb0ES3_N6thrust23THRUST_200600_302600_NS6detail15normal_iteratorINS9_10device_ptrIsEEEESE_SE_sNS9_4plusIvEENS9_8equal_toIsEEsEE10hipError_tPvRmT2_T3_T4_T5_mT6_T7_P12ihipStream_tbENKUlT_T0_E_clISt17integral_constantIbLb0EESZ_EEDaSU_SV_EUlSU_E_NS1_11comp_targetILNS1_3genE10ELNS1_11target_archE1201ELNS1_3gpuE5ELNS1_3repE0EEENS1_30default_config_static_selectorELNS0_4arch9wavefront6targetE1EEEvT1_
; %bb.0:
	.section	.rodata,"a",@progbits
	.p2align	6, 0x0
	.amdhsa_kernel _ZN7rocprim17ROCPRIM_400000_NS6detail17trampoline_kernelINS0_14default_configENS1_27scan_by_key_config_selectorIssEEZZNS1_16scan_by_key_implILNS1_25lookback_scan_determinismE0ELb0ES3_N6thrust23THRUST_200600_302600_NS6detail15normal_iteratorINS9_10device_ptrIsEEEESE_SE_sNS9_4plusIvEENS9_8equal_toIsEEsEE10hipError_tPvRmT2_T3_T4_T5_mT6_T7_P12ihipStream_tbENKUlT_T0_E_clISt17integral_constantIbLb0EESZ_EEDaSU_SV_EUlSU_E_NS1_11comp_targetILNS1_3genE10ELNS1_11target_archE1201ELNS1_3gpuE5ELNS1_3repE0EEENS1_30default_config_static_selectorELNS0_4arch9wavefront6targetE1EEEvT1_
		.amdhsa_group_segment_fixed_size 0
		.amdhsa_private_segment_fixed_size 0
		.amdhsa_kernarg_size 112
		.amdhsa_user_sgpr_count 2
		.amdhsa_user_sgpr_dispatch_ptr 0
		.amdhsa_user_sgpr_queue_ptr 0
		.amdhsa_user_sgpr_kernarg_segment_ptr 1
		.amdhsa_user_sgpr_dispatch_id 0
		.amdhsa_user_sgpr_kernarg_preload_length 0
		.amdhsa_user_sgpr_kernarg_preload_offset 0
		.amdhsa_user_sgpr_private_segment_size 0
		.amdhsa_uses_dynamic_stack 0
		.amdhsa_enable_private_segment 0
		.amdhsa_system_sgpr_workgroup_id_x 1
		.amdhsa_system_sgpr_workgroup_id_y 0
		.amdhsa_system_sgpr_workgroup_id_z 0
		.amdhsa_system_sgpr_workgroup_info 0
		.amdhsa_system_vgpr_workitem_id 0
		.amdhsa_next_free_vgpr 1
		.amdhsa_next_free_sgpr 0
		.amdhsa_accum_offset 4
		.amdhsa_reserve_vcc 0
		.amdhsa_float_round_mode_32 0
		.amdhsa_float_round_mode_16_64 0
		.amdhsa_float_denorm_mode_32 3
		.amdhsa_float_denorm_mode_16_64 3
		.amdhsa_dx10_clamp 1
		.amdhsa_ieee_mode 1
		.amdhsa_fp16_overflow 0
		.amdhsa_tg_split 0
		.amdhsa_exception_fp_ieee_invalid_op 0
		.amdhsa_exception_fp_denorm_src 0
		.amdhsa_exception_fp_ieee_div_zero 0
		.amdhsa_exception_fp_ieee_overflow 0
		.amdhsa_exception_fp_ieee_underflow 0
		.amdhsa_exception_fp_ieee_inexact 0
		.amdhsa_exception_int_div_zero 0
	.end_amdhsa_kernel
	.section	.text._ZN7rocprim17ROCPRIM_400000_NS6detail17trampoline_kernelINS0_14default_configENS1_27scan_by_key_config_selectorIssEEZZNS1_16scan_by_key_implILNS1_25lookback_scan_determinismE0ELb0ES3_N6thrust23THRUST_200600_302600_NS6detail15normal_iteratorINS9_10device_ptrIsEEEESE_SE_sNS9_4plusIvEENS9_8equal_toIsEEsEE10hipError_tPvRmT2_T3_T4_T5_mT6_T7_P12ihipStream_tbENKUlT_T0_E_clISt17integral_constantIbLb0EESZ_EEDaSU_SV_EUlSU_E_NS1_11comp_targetILNS1_3genE10ELNS1_11target_archE1201ELNS1_3gpuE5ELNS1_3repE0EEENS1_30default_config_static_selectorELNS0_4arch9wavefront6targetE1EEEvT1_,"axG",@progbits,_ZN7rocprim17ROCPRIM_400000_NS6detail17trampoline_kernelINS0_14default_configENS1_27scan_by_key_config_selectorIssEEZZNS1_16scan_by_key_implILNS1_25lookback_scan_determinismE0ELb0ES3_N6thrust23THRUST_200600_302600_NS6detail15normal_iteratorINS9_10device_ptrIsEEEESE_SE_sNS9_4plusIvEENS9_8equal_toIsEEsEE10hipError_tPvRmT2_T3_T4_T5_mT6_T7_P12ihipStream_tbENKUlT_T0_E_clISt17integral_constantIbLb0EESZ_EEDaSU_SV_EUlSU_E_NS1_11comp_targetILNS1_3genE10ELNS1_11target_archE1201ELNS1_3gpuE5ELNS1_3repE0EEENS1_30default_config_static_selectorELNS0_4arch9wavefront6targetE1EEEvT1_,comdat
.Lfunc_end318:
	.size	_ZN7rocprim17ROCPRIM_400000_NS6detail17trampoline_kernelINS0_14default_configENS1_27scan_by_key_config_selectorIssEEZZNS1_16scan_by_key_implILNS1_25lookback_scan_determinismE0ELb0ES3_N6thrust23THRUST_200600_302600_NS6detail15normal_iteratorINS9_10device_ptrIsEEEESE_SE_sNS9_4plusIvEENS9_8equal_toIsEEsEE10hipError_tPvRmT2_T3_T4_T5_mT6_T7_P12ihipStream_tbENKUlT_T0_E_clISt17integral_constantIbLb0EESZ_EEDaSU_SV_EUlSU_E_NS1_11comp_targetILNS1_3genE10ELNS1_11target_archE1201ELNS1_3gpuE5ELNS1_3repE0EEENS1_30default_config_static_selectorELNS0_4arch9wavefront6targetE1EEEvT1_, .Lfunc_end318-_ZN7rocprim17ROCPRIM_400000_NS6detail17trampoline_kernelINS0_14default_configENS1_27scan_by_key_config_selectorIssEEZZNS1_16scan_by_key_implILNS1_25lookback_scan_determinismE0ELb0ES3_N6thrust23THRUST_200600_302600_NS6detail15normal_iteratorINS9_10device_ptrIsEEEESE_SE_sNS9_4plusIvEENS9_8equal_toIsEEsEE10hipError_tPvRmT2_T3_T4_T5_mT6_T7_P12ihipStream_tbENKUlT_T0_E_clISt17integral_constantIbLb0EESZ_EEDaSU_SV_EUlSU_E_NS1_11comp_targetILNS1_3genE10ELNS1_11target_archE1201ELNS1_3gpuE5ELNS1_3repE0EEENS1_30default_config_static_selectorELNS0_4arch9wavefront6targetE1EEEvT1_
                                        ; -- End function
	.section	.AMDGPU.csdata,"",@progbits
; Kernel info:
; codeLenInByte = 0
; NumSgprs: 6
; NumVgprs: 0
; NumAgprs: 0
; TotalNumVgprs: 0
; ScratchSize: 0
; MemoryBound: 0
; FloatMode: 240
; IeeeMode: 1
; LDSByteSize: 0 bytes/workgroup (compile time only)
; SGPRBlocks: 0
; VGPRBlocks: 0
; NumSGPRsForWavesPerEU: 6
; NumVGPRsForWavesPerEU: 1
; AccumOffset: 4
; Occupancy: 8
; WaveLimiterHint : 0
; COMPUTE_PGM_RSRC2:SCRATCH_EN: 0
; COMPUTE_PGM_RSRC2:USER_SGPR: 2
; COMPUTE_PGM_RSRC2:TRAP_HANDLER: 0
; COMPUTE_PGM_RSRC2:TGID_X_EN: 1
; COMPUTE_PGM_RSRC2:TGID_Y_EN: 0
; COMPUTE_PGM_RSRC2:TGID_Z_EN: 0
; COMPUTE_PGM_RSRC2:TIDIG_COMP_CNT: 0
; COMPUTE_PGM_RSRC3_GFX90A:ACCUM_OFFSET: 0
; COMPUTE_PGM_RSRC3_GFX90A:TG_SPLIT: 0
	.section	.text._ZN7rocprim17ROCPRIM_400000_NS6detail17trampoline_kernelINS0_14default_configENS1_27scan_by_key_config_selectorIssEEZZNS1_16scan_by_key_implILNS1_25lookback_scan_determinismE0ELb0ES3_N6thrust23THRUST_200600_302600_NS6detail15normal_iteratorINS9_10device_ptrIsEEEESE_SE_sNS9_4plusIvEENS9_8equal_toIsEEsEE10hipError_tPvRmT2_T3_T4_T5_mT6_T7_P12ihipStream_tbENKUlT_T0_E_clISt17integral_constantIbLb0EESZ_EEDaSU_SV_EUlSU_E_NS1_11comp_targetILNS1_3genE5ELNS1_11target_archE942ELNS1_3gpuE9ELNS1_3repE0EEENS1_30default_config_static_selectorELNS0_4arch9wavefront6targetE1EEEvT1_,"axG",@progbits,_ZN7rocprim17ROCPRIM_400000_NS6detail17trampoline_kernelINS0_14default_configENS1_27scan_by_key_config_selectorIssEEZZNS1_16scan_by_key_implILNS1_25lookback_scan_determinismE0ELb0ES3_N6thrust23THRUST_200600_302600_NS6detail15normal_iteratorINS9_10device_ptrIsEEEESE_SE_sNS9_4plusIvEENS9_8equal_toIsEEsEE10hipError_tPvRmT2_T3_T4_T5_mT6_T7_P12ihipStream_tbENKUlT_T0_E_clISt17integral_constantIbLb0EESZ_EEDaSU_SV_EUlSU_E_NS1_11comp_targetILNS1_3genE5ELNS1_11target_archE942ELNS1_3gpuE9ELNS1_3repE0EEENS1_30default_config_static_selectorELNS0_4arch9wavefront6targetE1EEEvT1_,comdat
	.protected	_ZN7rocprim17ROCPRIM_400000_NS6detail17trampoline_kernelINS0_14default_configENS1_27scan_by_key_config_selectorIssEEZZNS1_16scan_by_key_implILNS1_25lookback_scan_determinismE0ELb0ES3_N6thrust23THRUST_200600_302600_NS6detail15normal_iteratorINS9_10device_ptrIsEEEESE_SE_sNS9_4plusIvEENS9_8equal_toIsEEsEE10hipError_tPvRmT2_T3_T4_T5_mT6_T7_P12ihipStream_tbENKUlT_T0_E_clISt17integral_constantIbLb0EESZ_EEDaSU_SV_EUlSU_E_NS1_11comp_targetILNS1_3genE5ELNS1_11target_archE942ELNS1_3gpuE9ELNS1_3repE0EEENS1_30default_config_static_selectorELNS0_4arch9wavefront6targetE1EEEvT1_ ; -- Begin function _ZN7rocprim17ROCPRIM_400000_NS6detail17trampoline_kernelINS0_14default_configENS1_27scan_by_key_config_selectorIssEEZZNS1_16scan_by_key_implILNS1_25lookback_scan_determinismE0ELb0ES3_N6thrust23THRUST_200600_302600_NS6detail15normal_iteratorINS9_10device_ptrIsEEEESE_SE_sNS9_4plusIvEENS9_8equal_toIsEEsEE10hipError_tPvRmT2_T3_T4_T5_mT6_T7_P12ihipStream_tbENKUlT_T0_E_clISt17integral_constantIbLb0EESZ_EEDaSU_SV_EUlSU_E_NS1_11comp_targetILNS1_3genE5ELNS1_11target_archE942ELNS1_3gpuE9ELNS1_3repE0EEENS1_30default_config_static_selectorELNS0_4arch9wavefront6targetE1EEEvT1_
	.globl	_ZN7rocprim17ROCPRIM_400000_NS6detail17trampoline_kernelINS0_14default_configENS1_27scan_by_key_config_selectorIssEEZZNS1_16scan_by_key_implILNS1_25lookback_scan_determinismE0ELb0ES3_N6thrust23THRUST_200600_302600_NS6detail15normal_iteratorINS9_10device_ptrIsEEEESE_SE_sNS9_4plusIvEENS9_8equal_toIsEEsEE10hipError_tPvRmT2_T3_T4_T5_mT6_T7_P12ihipStream_tbENKUlT_T0_E_clISt17integral_constantIbLb0EESZ_EEDaSU_SV_EUlSU_E_NS1_11comp_targetILNS1_3genE5ELNS1_11target_archE942ELNS1_3gpuE9ELNS1_3repE0EEENS1_30default_config_static_selectorELNS0_4arch9wavefront6targetE1EEEvT1_
	.p2align	8
	.type	_ZN7rocprim17ROCPRIM_400000_NS6detail17trampoline_kernelINS0_14default_configENS1_27scan_by_key_config_selectorIssEEZZNS1_16scan_by_key_implILNS1_25lookback_scan_determinismE0ELb0ES3_N6thrust23THRUST_200600_302600_NS6detail15normal_iteratorINS9_10device_ptrIsEEEESE_SE_sNS9_4plusIvEENS9_8equal_toIsEEsEE10hipError_tPvRmT2_T3_T4_T5_mT6_T7_P12ihipStream_tbENKUlT_T0_E_clISt17integral_constantIbLb0EESZ_EEDaSU_SV_EUlSU_E_NS1_11comp_targetILNS1_3genE5ELNS1_11target_archE942ELNS1_3gpuE9ELNS1_3repE0EEENS1_30default_config_static_selectorELNS0_4arch9wavefront6targetE1EEEvT1_,@function
_ZN7rocprim17ROCPRIM_400000_NS6detail17trampoline_kernelINS0_14default_configENS1_27scan_by_key_config_selectorIssEEZZNS1_16scan_by_key_implILNS1_25lookback_scan_determinismE0ELb0ES3_N6thrust23THRUST_200600_302600_NS6detail15normal_iteratorINS9_10device_ptrIsEEEESE_SE_sNS9_4plusIvEENS9_8equal_toIsEEsEE10hipError_tPvRmT2_T3_T4_T5_mT6_T7_P12ihipStream_tbENKUlT_T0_E_clISt17integral_constantIbLb0EESZ_EEDaSU_SV_EUlSU_E_NS1_11comp_targetILNS1_3genE5ELNS1_11target_archE942ELNS1_3gpuE9ELNS1_3repE0EEENS1_30default_config_static_selectorELNS0_4arch9wavefront6targetE1EEEvT1_: ; @_ZN7rocprim17ROCPRIM_400000_NS6detail17trampoline_kernelINS0_14default_configENS1_27scan_by_key_config_selectorIssEEZZNS1_16scan_by_key_implILNS1_25lookback_scan_determinismE0ELb0ES3_N6thrust23THRUST_200600_302600_NS6detail15normal_iteratorINS9_10device_ptrIsEEEESE_SE_sNS9_4plusIvEENS9_8equal_toIsEEsEE10hipError_tPvRmT2_T3_T4_T5_mT6_T7_P12ihipStream_tbENKUlT_T0_E_clISt17integral_constantIbLb0EESZ_EEDaSU_SV_EUlSU_E_NS1_11comp_targetILNS1_3genE5ELNS1_11target_archE942ELNS1_3gpuE9ELNS1_3repE0EEENS1_30default_config_static_selectorELNS0_4arch9wavefront6targetE1EEEvT1_
; %bb.0:
	s_load_dwordx8 s[52:59], s[0:1], 0x0
	s_load_dwordx4 s[68:71], s[0:1], 0x28
	s_load_dwordx2 s[74:75], s[0:1], 0x38
	s_load_dword s3, s[0:1], 0x40
	s_load_dwordx8 s[60:67], s[0:1], 0x48
	s_waitcnt lgkmcnt(0)
	s_lshl_b64 s[72:73], s[54:55], 1
	s_add_u32 s4, s52, s72
	s_addc_u32 s5, s53, s73
	s_add_u32 s6, s56, s72
	s_mul_i32 s0, s75, s3
	s_mul_hi_u32 s1, s74, s3
	s_addc_u32 s7, s57, s73
	s_add_i32 s8, s1, s0
	s_cmp_lg_u64 s[64:65], 0
	s_mul_i32 s0, s2, 0x1800
	s_mov_b32 s1, 0
	s_cselect_b64 s[76:77], -1, 0
	s_lshl_b64 s[64:65], s[0:1], 1
	s_add_u32 s56, s4, s64
	s_addc_u32 s57, s5, s65
	s_add_u32 s54, s6, s64
	s_mul_i32 s3, s74, s3
	s_addc_u32 s55, s7, s65
	s_add_u32 s78, s3, s2
	s_addc_u32 s79, s8, 0
	s_add_u32 s4, s60, -1
	s_addc_u32 s5, s61, -1
	v_mov_b64_e32 v[2:3], s[4:5]
	v_cmp_ge_u64_e64 s[0:1], s[78:79], v[2:3]
	s_mov_b64 s[12:13], 0
	s_mov_b64 s[6:7], -1
	s_and_b64 vcc, exec, s[0:1]
	s_mul_i32 s33, s4, 0xffffe800
	s_barrier
	s_cbranch_vccz .LBB319_127
; %bb.1:
	v_mov_b64_e32 v[2:3], s[56:57]
	flat_load_ushort v1, v[2:3]
	s_add_i32 s3, s33, s70
	v_cmp_gt_u32_e64 s[52:53], s3, v0
	s_waitcnt vmcnt(0) lgkmcnt(0)
	v_mov_b32_e32 v22, v1
	s_and_saveexec_b64 s[4:5], s[52:53]
	s_cbranch_execz .LBB319_3
; %bb.2:
	v_lshlrev_b32_e32 v2, 1, v0
	v_mov_b32_e32 v3, 0
	v_lshl_add_u64 v[2:3], s[56:57], 0, v[2:3]
	flat_load_ushort v22, v[2:3]
.LBB319_3:
	s_or_b64 exec, exec, s[4:5]
	v_or_b32_e32 v2, 0x100, v0
	v_cmp_gt_u32_e64 s[4:5], s3, v2
	v_mov_b32_e32 v23, v1
	s_and_saveexec_b64 s[6:7], s[4:5]
	s_cbranch_execz .LBB319_5
; %bb.4:
	v_lshlrev_b32_e32 v2, 1, v0
	v_mov_b32_e32 v3, 0
	v_lshl_add_u64 v[2:3], s[56:57], 0, v[2:3]
	flat_load_ushort v23, v[2:3] offset:512
.LBB319_5:
	s_or_b64 exec, exec, s[6:7]
	v_or_b32_e32 v2, 0x200, v0
	v_cmp_gt_u32_e64 s[6:7], s3, v2
	v_mov_b32_e32 v24, v1
	s_and_saveexec_b64 s[8:9], s[6:7]
	s_cbranch_execz .LBB319_7
; %bb.6:
	v_lshlrev_b32_e32 v2, 1, v0
	v_mov_b32_e32 v3, 0
	v_lshl_add_u64 v[2:3], s[56:57], 0, v[2:3]
	flat_load_ushort v24, v[2:3] offset:1024
.LBB319_7:
	;; [unrolled: 12-line block ×7, first 2 shown]
	s_or_b64 exec, exec, s[18:19]
	v_or_b32_e32 v2, 0x800, v0
	v_cmp_gt_u32_e64 s[18:19], s3, v2
	v_lshlrev_b32_e32 v2, 1, v2
	v_mov_b32_e32 v3, v1
	s_and_saveexec_b64 s[20:21], s[18:19]
	s_cbranch_execz .LBB319_19
; %bb.18:
	v_mov_b32_e32 v3, 0
	v_lshl_add_u64 v[4:5], s[56:57], 0, v[2:3]
	flat_load_ushort v3, v[4:5]
.LBB319_19:
	s_or_b64 exec, exec, s[20:21]
	v_or_b32_e32 v4, 0x900, v0
	v_cmp_gt_u32_e64 s[20:21], s3, v4
	v_lshlrev_b32_e32 v4, 1, v4
	v_mov_b32_e32 v5, v1
	s_and_saveexec_b64 s[22:23], s[20:21]
	s_cbranch_execz .LBB319_21
; %bb.20:
	v_mov_b32_e32 v5, 0
	v_lshl_add_u64 v[6:7], s[56:57], 0, v[4:5]
	flat_load_ushort v5, v[6:7]
.LBB319_21:
	;; [unrolled: 12-line block ×15, first 2 shown]
	s_or_b64 exec, exec, s[50:51]
	v_or_b32_e32 v36, 0x1700, v0
	v_cmp_gt_u32_e64 s[50:51], s3, v36
	v_lshlrev_b32_e32 v46, 1, v36
	s_and_saveexec_b64 s[60:61], s[50:51]
	s_cbranch_execz .LBB319_49
; %bb.48:
	v_mov_b32_e32 v47, 0
	v_lshl_add_u64 v[36:37], s[56:57], 0, v[46:47]
	flat_load_ushort v1, v[36:37]
.LBB319_49:
	s_or_b64 exec, exec, s[60:61]
	v_lshlrev_b32_e32 v36, 1, v0
	v_mad_u32_u24 v48, v0, 46, v36
	s_waitcnt vmcnt(0) lgkmcnt(0)
	ds_write_b16 v36, v22
	ds_write_b16 v36, v23 offset:512
	ds_write_b16 v36, v24 offset:1024
	;; [unrolled: 1-line block ×23, first 2 shown]
	s_waitcnt lgkmcnt(0)
	s_barrier
	ds_read_b128 v[30:33], v48
	ds_read_b128 v[26:29], v48 offset:16
	ds_read_b128 v[22:25], v48 offset:32
	s_cmp_eq_u64 s[78:79], 0
	s_mov_b64 s[60:61], s[56:57]
	s_cbranch_scc1 .LBB319_53
; %bb.50:
	s_andn2_b64 vcc, exec, s[76:77]
	s_cbranch_vccnz .LBB319_313
; %bb.51:
	s_lshl_b64 s[60:61], s[78:79], 1
	s_add_u32 s60, s66, s60
	s_addc_u32 s61, s67, s61
	s_add_u32 s60, s60, -2
	s_addc_u32 s61, s61, -1
	s_cbranch_execnz .LBB319_53
.LBB319_52:
	s_add_u32 s60, s56, -2
	s_addc_u32 s61, s57, -1
.LBB319_53:
	v_mov_b64_e32 v[50:51], s[60:61]
	flat_load_ushort v50, v[50:51]
	s_movk_i32 s60, 0xffd2
	s_waitcnt lgkmcnt(0)
	v_lshrrev_b32_e32 v49, 16, v25
	v_mad_i32_i24 v1, v0, s60, v48
	v_cmp_ne_u32_e32 vcc, 0, v0
	ds_write_b16 v1, v49 offset:12288
	s_waitcnt lgkmcnt(0)
	s_barrier
	s_and_saveexec_b64 s[60:61], vcc
	s_cbranch_execz .LBB319_55
; %bb.54:
	v_mul_i32_i24_e32 v1, 0xffffffd2, v0
	v_add_u32_e32 v1, v48, v1
	s_waitcnt vmcnt(0)
	ds_read_u16 v50, v1 offset:12286
.LBB319_55:
	s_or_b64 exec, exec, s[60:61]
	v_mov_b32_e32 v37, 0
	s_waitcnt lgkmcnt(0)
	s_barrier
	s_waitcnt lgkmcnt(0)
                                        ; implicit-def: $vgpr1
	s_and_saveexec_b64 s[60:61], s[52:53]
	s_cbranch_execnz .LBB319_290
; %bb.56:
	s_or_b64 exec, exec, s[60:61]
                                        ; implicit-def: $vgpr51
	s_and_saveexec_b64 s[52:53], s[4:5]
	s_cbranch_execnz .LBB319_291
.LBB319_57:
	s_or_b64 exec, exec, s[52:53]
                                        ; implicit-def: $vgpr52
	s_and_saveexec_b64 s[4:5], s[6:7]
	s_cbranch_execnz .LBB319_292
.LBB319_58:
	s_or_b64 exec, exec, s[4:5]
                                        ; implicit-def: $vgpr53
	s_and_saveexec_b64 s[4:5], s[8:9]
	s_cbranch_execnz .LBB319_293
.LBB319_59:
	s_or_b64 exec, exec, s[4:5]
                                        ; implicit-def: $vgpr54
	s_and_saveexec_b64 s[4:5], s[10:11]
	s_cbranch_execnz .LBB319_294
.LBB319_60:
	s_or_b64 exec, exec, s[4:5]
                                        ; implicit-def: $vgpr55
	s_and_saveexec_b64 s[4:5], s[12:13]
	s_cbranch_execnz .LBB319_295
.LBB319_61:
	s_or_b64 exec, exec, s[4:5]
                                        ; implicit-def: $vgpr56
	s_and_saveexec_b64 s[4:5], s[14:15]
	s_cbranch_execnz .LBB319_296
.LBB319_62:
	s_or_b64 exec, exec, s[4:5]
                                        ; implicit-def: $vgpr37
	s_and_saveexec_b64 s[4:5], s[16:17]
	s_cbranch_execnz .LBB319_297
.LBB319_63:
	s_or_b64 exec, exec, s[4:5]
                                        ; implicit-def: $vgpr3
	s_and_saveexec_b64 s[4:5], s[18:19]
	s_cbranch_execnz .LBB319_298
.LBB319_64:
	s_or_b64 exec, exec, s[4:5]
                                        ; implicit-def: $vgpr2
	s_and_saveexec_b64 s[4:5], s[20:21]
	s_cbranch_execnz .LBB319_299
.LBB319_65:
	s_or_b64 exec, exec, s[4:5]
                                        ; implicit-def: $vgpr4
	s_and_saveexec_b64 s[4:5], s[22:23]
	s_cbranch_execnz .LBB319_300
.LBB319_66:
	s_or_b64 exec, exec, s[4:5]
                                        ; implicit-def: $vgpr5
	s_and_saveexec_b64 s[4:5], s[24:25]
	s_cbranch_execnz .LBB319_301
.LBB319_67:
	s_or_b64 exec, exec, s[4:5]
                                        ; implicit-def: $vgpr6
	s_and_saveexec_b64 s[4:5], s[26:27]
	s_cbranch_execnz .LBB319_302
.LBB319_68:
	s_or_b64 exec, exec, s[4:5]
                                        ; implicit-def: $vgpr7
	s_and_saveexec_b64 s[4:5], s[28:29]
	s_cbranch_execnz .LBB319_303
.LBB319_69:
	s_or_b64 exec, exec, s[4:5]
                                        ; implicit-def: $vgpr8
	s_and_saveexec_b64 s[4:5], s[30:31]
	s_cbranch_execnz .LBB319_304
.LBB319_70:
	s_or_b64 exec, exec, s[4:5]
                                        ; implicit-def: $vgpr9
	s_and_saveexec_b64 s[4:5], s[34:35]
	s_cbranch_execnz .LBB319_305
.LBB319_71:
	s_or_b64 exec, exec, s[4:5]
                                        ; implicit-def: $vgpr10
	s_and_saveexec_b64 s[4:5], s[36:37]
	s_cbranch_execnz .LBB319_306
.LBB319_72:
	s_or_b64 exec, exec, s[4:5]
                                        ; implicit-def: $vgpr11
	s_and_saveexec_b64 s[4:5], s[38:39]
	s_cbranch_execnz .LBB319_307
.LBB319_73:
	s_or_b64 exec, exec, s[4:5]
                                        ; implicit-def: $vgpr12
	s_and_saveexec_b64 s[4:5], s[40:41]
	s_cbranch_execnz .LBB319_308
.LBB319_74:
	s_or_b64 exec, exec, s[4:5]
                                        ; implicit-def: $vgpr13
	s_and_saveexec_b64 s[4:5], s[42:43]
	s_cbranch_execnz .LBB319_309
.LBB319_75:
	s_or_b64 exec, exec, s[4:5]
                                        ; implicit-def: $vgpr14
	s_and_saveexec_b64 s[4:5], s[44:45]
	s_cbranch_execnz .LBB319_310
.LBB319_76:
	s_or_b64 exec, exec, s[4:5]
                                        ; implicit-def: $vgpr15
	s_and_saveexec_b64 s[4:5], s[46:47]
	s_cbranch_execnz .LBB319_311
.LBB319_77:
	s_or_b64 exec, exec, s[4:5]
                                        ; implicit-def: $vgpr16
	s_and_saveexec_b64 s[4:5], s[48:49]
	s_cbranch_execnz .LBB319_312
.LBB319_78:
	s_or_b64 exec, exec, s[4:5]
                                        ; implicit-def: $vgpr17
	s_and_saveexec_b64 s[4:5], s[50:51]
	s_cbranch_execz .LBB319_80
.LBB319_79:
	v_mov_b32_e32 v47, 0
	v_lshl_add_u64 v[18:19], s[54:55], 0, v[46:47]
	flat_load_ushort v17, v[18:19]
.LBB319_80:
	s_or_b64 exec, exec, s[4:5]
	s_mov_b32 s8, 0
	s_mov_b32 s9, s8
	s_waitcnt vmcnt(0) lgkmcnt(0)
	ds_write_b16 v36, v1
	ds_write_b16 v36, v51 offset:512
	ds_write_b16 v36, v52 offset:1024
	;; [unrolled: 1-line block ×23, first 2 shown]
	s_mov_b32 s10, s8
	s_mov_b32 s11, s8
	;; [unrolled: 1-line block ×6, first 2 shown]
	v_mov_b64_e32 v[2:3], s[8:9]
	s_mov_b32 s18, s8
	s_mov_b32 s19, s8
	v_mov_b64_e32 v[8:9], s[14:15]
	v_mul_u32_u24_e32 v41, 24, v0
	s_mov_b32 s16, s8
	s_mov_b32 s17, s8
	v_mov_b64_e32 v[20:21], s[18:19]
	v_mov_b64_e32 v[4:5], s[10:11]
	v_mov_b64_e32 v[6:7], s[12:13]
	v_mov_b64_e32 v[16:17], v[8:9]
	v_cmp_gt_u32_e32 vcc, s3, v41
	s_mov_b64 s[6:7], 0
	v_mov_b64_e32 v[18:19], s[16:17]
	v_mov_b32_e32 v1, 0
	s_mov_b64 s[12:13], 0
	v_mov_b64_e32 v[14:15], v[6:7]
	v_mov_b64_e32 v[12:13], v[4:5]
	;; [unrolled: 1-line block ×3, first 2 shown]
	v_mov_b32_e32 v38, 0
	v_mov_b32_e32 v39, 0
	s_waitcnt lgkmcnt(0)
	s_barrier
	s_waitcnt lgkmcnt(0)
                                        ; implicit-def: $sgpr4_sgpr5
                                        ; implicit-def: $vgpr40
	s_and_saveexec_b64 s[10:11], vcc
	s_cbranch_execz .LBB319_126
; %bb.81:
	ds_read_u16 v1, v48
	v_cmp_ne_u16_e32 vcc, v50, v30
	s_mov_b32 s12, 0
	v_or_b32_e32 v2, 1, v41
	v_cndmask_b32_e64 v3, 0, 1, vcc
	s_mov_b32 s13, s12
	v_cmp_gt_u32_e32 vcc, s3, v2
	s_waitcnt lgkmcnt(0)
	v_lshl_or_b32 v1, v3, 16, v1
	s_mov_b32 s14, s12
	s_mov_b32 s15, s12
	;; [unrolled: 1-line block ×6, first 2 shown]
	v_mov_b64_e32 v[2:3], s[12:13]
	s_mov_b32 s24, s12
	s_mov_b32 s25, s12
	v_mov_b64_e32 v[8:9], s[18:19]
	s_mov_b32 s26, s12
	s_mov_b32 s27, s12
	v_mov_b64_e32 v[18:19], s[24:25]
	v_mov_b64_e32 v[4:5], s[14:15]
	;; [unrolled: 1-line block ×4, first 2 shown]
	s_mov_b64 s[22:23], 0
	v_mov_b64_e32 v[20:21], s[26:27]
	v_mov_b32_e32 v38, 0
	v_mov_b64_e32 v[14:15], v[6:7]
	v_mov_b64_e32 v[12:13], v[4:5]
	v_mov_b64_e32 v[10:11], v[2:3]
	v_mov_b32_e32 v39, 0
                                        ; implicit-def: $sgpr24_sgpr25
                                        ; implicit-def: $vgpr40
	s_and_saveexec_b64 s[20:21], vcc
	s_cbranch_execz .LBB319_125
; %bb.82:
	ds_read_b128 v[34:37], v48 offset:2
	v_or_b32_e32 v2, 2, v41
	v_cmp_ne_u16_sdwa s[4:5], v30, v30 src0_sel:DWORD src1_sel:WORD_1
	v_cmp_gt_u32_e32 vcc, s3, v2
	v_mov_b32_e32 v19, 0
	v_cndmask_b32_e64 v3, 0, 1, s[4:5]
	s_waitcnt lgkmcnt(0)
	v_and_b32_e32 v2, 0xffff, v34
	v_lshl_or_b32 v18, v3, 16, v2
	v_mov_b64_e32 v[2:3], s[12:13]
	v_mov_b64_e32 v[8:9], s[18:19]
	;; [unrolled: 1-line block ×5, first 2 shown]
	v_mov_b32_e32 v20, v19
	v_mov_b32_e32 v21, v19
	s_mov_b64 s[4:5], 0
	v_mov_b64_e32 v[14:15], v[6:7]
	v_mov_b64_e32 v[12:13], v[4:5]
	v_mov_b64_e32 v[10:11], v[2:3]
	v_mov_b32_e32 v38, v19
	v_mov_b32_e32 v39, v19
                                        ; implicit-def: $sgpr12_sgpr13
                                        ; implicit-def: $vgpr40
	s_and_saveexec_b64 s[22:23], vcc
	s_cbranch_execz .LBB319_124
; %bb.83:
	v_cmp_ne_u16_sdwa s[4:5], v30, v31 src0_sel:WORD_1 src1_sel:DWORD
	s_mov_b32 s12, 0
	v_or_b32_e32 v2, 3, v41
	v_cndmask_b32_e64 v3, 0, 1, s[4:5]
	s_mov_b32 s13, s12
	v_alignbit_b32 v19, v3, v34, 16
	v_cmp_gt_u32_e32 vcc, s3, v2
	s_mov_b32 s14, s12
	s_mov_b32 s15, s12
	;; [unrolled: 1-line block ×6, first 2 shown]
	v_mov_b64_e32 v[2:3], s[12:13]
	v_mov_b64_e32 v[8:9], s[18:19]
	v_mov_b32_e32 v20, 0
	v_mov_b64_e32 v[4:5], s[14:15]
	v_mov_b64_e32 v[6:7], s[16:17]
	;; [unrolled: 1-line block ×3, first 2 shown]
	v_mov_b32_e32 v21, v20
	s_mov_b64 s[4:5], 0
	v_mov_b64_e32 v[14:15], v[6:7]
	v_mov_b64_e32 v[12:13], v[4:5]
	;; [unrolled: 1-line block ×3, first 2 shown]
	v_mov_b32_e32 v38, v20
	v_mov_b32_e32 v39, v20
                                        ; implicit-def: $sgpr26_sgpr27
                                        ; implicit-def: $vgpr40
	s_and_saveexec_b64 s[24:25], vcc
	s_cbranch_execz .LBB319_123
; %bb.84:
	v_cmp_ne_u16_sdwa s[4:5], v31, v31 src0_sel:DWORD src1_sel:WORD_1
	v_and_b32_e32 v2, 0xffff, v35
	v_or_b32_e32 v3, 4, v41
	v_cndmask_b32_e64 v4, 0, 1, s[4:5]
	v_lshl_or_b32 v20, v4, 16, v2
	v_cmp_gt_u32_e32 vcc, s3, v3
	v_mov_b64_e32 v[2:3], s[12:13]
	v_mov_b64_e32 v[8:9], s[18:19]
	;; [unrolled: 1-line block ×5, first 2 shown]
	v_mov_b32_e32 v21, s12
	s_mov_b64 s[4:5], 0
	v_mov_b32_e32 v38, 0
	v_mov_b64_e32 v[14:15], v[6:7]
	v_mov_b64_e32 v[12:13], v[4:5]
	;; [unrolled: 1-line block ×3, first 2 shown]
	v_mov_b32_e32 v39, 0
                                        ; implicit-def: $sgpr12_sgpr13
                                        ; implicit-def: $vgpr40
	s_and_saveexec_b64 s[26:27], vcc
	s_cbranch_execz .LBB319_122
; %bb.85:
	v_cmp_ne_u16_sdwa s[4:5], v31, v32 src0_sel:WORD_1 src1_sel:DWORD
	s_mov_b32 s12, 0
	v_or_b32_e32 v2, 5, v41
	v_cndmask_b32_e64 v3, 0, 1, s[4:5]
	s_mov_b32 s13, s12
	v_alignbit_b32 v21, v3, v35, 16
	v_cmp_gt_u32_e32 vcc, s3, v2
	s_mov_b32 s14, s12
	s_mov_b32 s15, s12
	;; [unrolled: 1-line block ×6, first 2 shown]
	v_mov_b64_e32 v[2:3], s[12:13]
	v_mov_b64_e32 v[8:9], s[18:19]
	;; [unrolled: 1-line block ×5, first 2 shown]
	s_mov_b64 s[4:5], 0
	v_mov_b32_e32 v38, 0
	v_mov_b64_e32 v[14:15], v[6:7]
	v_mov_b64_e32 v[12:13], v[4:5]
	;; [unrolled: 1-line block ×3, first 2 shown]
	v_mov_b32_e32 v39, 0
                                        ; implicit-def: $sgpr30_sgpr31
                                        ; implicit-def: $vgpr40
	s_and_saveexec_b64 s[28:29], vcc
	s_cbranch_execz .LBB319_121
; %bb.86:
	v_cmp_ne_u16_sdwa s[4:5], v32, v32 src0_sel:DWORD src1_sel:WORD_1
	v_and_b32_e32 v2, 0xffff, v36
	v_or_b32_e32 v3, 6, v41
	v_cndmask_b32_e64 v4, 0, 1, s[4:5]
	v_lshl_or_b32 v38, v4, 16, v2
	v_cmp_gt_u32_e32 vcc, s3, v3
	v_mov_b64_e32 v[2:3], s[12:13]
	v_mov_b64_e32 v[8:9], s[18:19]
	;; [unrolled: 1-line block ×5, first 2 shown]
	s_mov_b64 s[4:5], 0
	v_mov_b32_e32 v39, 0
	v_mov_b64_e32 v[14:15], v[6:7]
	v_mov_b64_e32 v[12:13], v[4:5]
	;; [unrolled: 1-line block ×3, first 2 shown]
                                        ; implicit-def: $sgpr12_sgpr13
                                        ; implicit-def: $vgpr40
	s_and_saveexec_b64 s[30:31], vcc
	s_cbranch_execz .LBB319_120
; %bb.87:
	s_mov_b32 s12, 0
	v_or_b32_e32 v3, 7, v41
	v_cmp_ne_u16_sdwa s[4:5], v32, v33 src0_sel:WORD_1 src1_sel:DWORD
	s_mov_b32 s13, s12
	v_cmp_gt_u32_e32 vcc, s3, v3
	v_cndmask_b32_e64 v2, 0, 1, s[4:5]
	v_mov_b32_e32 v3, 0
	s_mov_b32 s14, s12
	s_mov_b32 s15, s12
	;; [unrolled: 1-line block ×6, first 2 shown]
	v_mov_b64_e32 v[10:11], s[12:13]
	v_alignbit_b32 v2, v2, v36, 16
	v_mov_b32_e32 v4, v3
	v_mov_b32_e32 v5, v3
	;; [unrolled: 1-line block ×6, first 2 shown]
	s_mov_b64 s[4:5], 0
	v_mov_b64_e32 v[12:13], s[14:15]
	v_mov_b64_e32 v[14:15], s[16:17]
	;; [unrolled: 1-line block ×3, first 2 shown]
	v_mov_b32_e32 v39, v3
                                        ; implicit-def: $sgpr36_sgpr37
                                        ; implicit-def: $vgpr40
	s_and_saveexec_b64 s[34:35], vcc
	s_cbranch_execz .LBB319_119
; %bb.88:
	v_add_u32_e32 v4, 8, v41
	v_cmp_ne_u16_sdwa s[4:5], v33, v33 src0_sel:DWORD src1_sel:WORD_1
	v_and_b32_e32 v3, 0xffff, v37
	v_cmp_gt_u32_e32 vcc, s3, v4
	v_cndmask_b32_e64 v5, 0, 1, s[4:5]
	v_mov_b32_e32 v4, 0
	v_mov_b64_e32 v[10:11], s[12:13]
	v_lshl_or_b32 v3, v5, 16, v3
	v_mov_b32_e32 v5, v4
	v_mov_b32_e32 v6, v4
	;; [unrolled: 1-line block ×5, first 2 shown]
	s_mov_b64 s[4:5], 0
	v_mov_b64_e32 v[12:13], s[14:15]
	v_mov_b64_e32 v[14:15], s[16:17]
	;; [unrolled: 1-line block ×3, first 2 shown]
	v_mov_b32_e32 v39, v4
                                        ; implicit-def: $sgpr12_sgpr13
                                        ; implicit-def: $vgpr40
	s_and_saveexec_b64 s[36:37], vcc
	s_cbranch_execz .LBB319_118
; %bb.89:
	s_mov_b32 s12, 0
	v_add_u32_e32 v5, 9, v41
	v_cmp_ne_u16_sdwa s[4:5], v33, v26 src0_sel:WORD_1 src1_sel:DWORD
	s_mov_b32 s13, s12
	v_cmp_gt_u32_e32 vcc, s3, v5
	v_cndmask_b32_e64 v4, 0, 1, s[4:5]
	v_mov_b32_e32 v5, 0
	s_mov_b32 s14, s12
	s_mov_b32 s15, s12
	;; [unrolled: 1-line block ×6, first 2 shown]
	v_mov_b64_e32 v[10:11], s[12:13]
	v_alignbit_b32 v4, v4, v37, 16
	v_mov_b32_e32 v6, v5
	v_mov_b32_e32 v7, v5
	;; [unrolled: 1-line block ×4, first 2 shown]
	s_mov_b64 s[4:5], 0
	v_mov_b64_e32 v[12:13], s[14:15]
	v_mov_b64_e32 v[14:15], s[16:17]
	;; [unrolled: 1-line block ×3, first 2 shown]
	v_mov_b32_e32 v39, v5
                                        ; implicit-def: $sgpr40_sgpr41
                                        ; implicit-def: $vgpr40
	s_and_saveexec_b64 s[38:39], vcc
	s_cbranch_execz .LBB319_117
; %bb.90:
	ds_read_b128 v[30:33], v48 offset:18
	v_add_u32_e32 v5, 10, v41
	v_cmp_ne_u16_sdwa s[4:5], v26, v26 src0_sel:DWORD src1_sel:WORD_1
	v_cmp_gt_u32_e32 vcc, s3, v5
	v_mov_b64_e32 v[10:11], s[12:13]
	v_cndmask_b32_e64 v6, 0, 1, s[4:5]
	s_waitcnt lgkmcnt(0)
	v_and_b32_e32 v5, 0xffff, v30
	v_lshl_or_b32 v5, v6, 16, v5
	v_mov_b32_e32 v6, 0
	v_mov_b32_e32 v7, v6
	;; [unrolled: 1-line block ×4, first 2 shown]
	s_mov_b64 s[4:5], 0
	v_mov_b64_e32 v[12:13], s[14:15]
	v_mov_b64_e32 v[14:15], s[16:17]
	;; [unrolled: 1-line block ×3, first 2 shown]
	v_mov_b32_e32 v39, v6
                                        ; implicit-def: $sgpr12_sgpr13
                                        ; implicit-def: $vgpr40
	s_and_saveexec_b64 s[40:41], vcc
	s_cbranch_execz .LBB319_116
; %bb.91:
	s_mov_b32 s12, 0
	v_add_u32_e32 v7, 11, v41
	v_cmp_ne_u16_sdwa s[4:5], v26, v27 src0_sel:WORD_1 src1_sel:DWORD
	s_mov_b32 s13, s12
	v_cmp_gt_u32_e32 vcc, s3, v7
	v_cndmask_b32_e64 v6, 0, 1, s[4:5]
	v_mov_b32_e32 v7, 0
	s_mov_b32 s14, s12
	s_mov_b32 s15, s12
	;; [unrolled: 1-line block ×6, first 2 shown]
	v_mov_b64_e32 v[10:11], s[12:13]
	v_alignbit_b32 v6, v6, v30, 16
	v_mov_b32_e32 v8, v7
	v_mov_b32_e32 v9, v7
	s_mov_b64 s[4:5], 0
	v_mov_b64_e32 v[12:13], s[14:15]
	v_mov_b64_e32 v[14:15], s[16:17]
	;; [unrolled: 1-line block ×3, first 2 shown]
	v_mov_b32_e32 v39, v7
                                        ; implicit-def: $sgpr44_sgpr45
                                        ; implicit-def: $vgpr40
	s_and_saveexec_b64 s[42:43], vcc
	s_cbranch_execz .LBB319_115
; %bb.92:
	v_add_u32_e32 v8, 12, v41
	v_cmp_ne_u16_sdwa s[4:5], v27, v27 src0_sel:DWORD src1_sel:WORD_1
	v_and_b32_e32 v7, 0xffff, v31
	v_cmp_gt_u32_e32 vcc, s3, v8
	v_cndmask_b32_e64 v9, 0, 1, s[4:5]
	v_mov_b32_e32 v8, 0
	v_mov_b64_e32 v[10:11], s[12:13]
	v_lshl_or_b32 v7, v9, 16, v7
	v_mov_b32_e32 v9, v8
	s_mov_b64 s[4:5], 0
	v_mov_b64_e32 v[12:13], s[14:15]
	v_mov_b64_e32 v[14:15], s[16:17]
	;; [unrolled: 1-line block ×3, first 2 shown]
	v_mov_b32_e32 v39, v8
                                        ; implicit-def: $sgpr12_sgpr13
                                        ; implicit-def: $vgpr40
	s_and_saveexec_b64 s[44:45], vcc
	s_cbranch_execz .LBB319_114
; %bb.93:
	s_mov_b32 s12, 0
	v_cmp_ne_u16_sdwa s[4:5], v27, v28 src0_sel:WORD_1 src1_sel:DWORD
	s_mov_b32 s13, s12
	v_add_u32_e32 v9, 13, v41
	v_cndmask_b32_e64 v8, 0, 1, s[4:5]
	s_mov_b32 s14, s12
	s_mov_b32 s15, s12
	;; [unrolled: 1-line block ×6, first 2 shown]
	v_mov_b64_e32 v[10:11], s[12:13]
	v_alignbit_b32 v8, v8, v31, 16
	v_cmp_gt_u32_e32 vcc, s3, v9
	v_mov_b32_e32 v9, s12
	s_mov_b64 s[4:5], 0
	v_mov_b64_e32 v[12:13], s[14:15]
	v_mov_b64_e32 v[14:15], s[16:17]
	;; [unrolled: 1-line block ×3, first 2 shown]
	v_mov_b32_e32 v39, 0
                                        ; implicit-def: $sgpr48_sgpr49
                                        ; implicit-def: $vgpr40
	s_and_saveexec_b64 s[46:47], vcc
	s_cbranch_execz .LBB319_113
; %bb.94:
	v_cmp_ne_u16_sdwa s[4:5], v28, v28 src0_sel:DWORD src1_sel:WORD_1
	v_and_b32_e32 v9, 0xffff, v32
	v_add_u32_e32 v10, 14, v41
	v_cndmask_b32_e64 v11, 0, 1, s[4:5]
	v_lshl_or_b32 v9, v11, 16, v9
	v_cmp_gt_u32_e32 vcc, s3, v10
	v_mov_b64_e32 v[10:11], s[12:13]
	s_mov_b64 s[4:5], 0
	v_mov_b64_e32 v[12:13], s[14:15]
	v_mov_b64_e32 v[14:15], s[16:17]
	;; [unrolled: 1-line block ×3, first 2 shown]
	v_mov_b32_e32 v39, 0
                                        ; implicit-def: $sgpr14_sgpr15
                                        ; implicit-def: $vgpr40
	s_and_saveexec_b64 s[12:13], vcc
	s_cbranch_execz .LBB319_112
; %bb.95:
	v_cmp_ne_u16_sdwa s[4:5], v28, v29 src0_sel:WORD_1 src1_sel:DWORD
	s_mov_b32 s80, 0
	v_add_u32_e32 v10, 15, v41
	v_cndmask_b32_e64 v11, 0, 1, s[4:5]
	s_mov_b32 s81, s80
	v_alignbit_b32 v39, v11, v32, 16
	v_cmp_gt_u32_e32 vcc, s3, v10
	s_mov_b32 s82, s80
	s_mov_b32 s83, s80
	;; [unrolled: 1-line block ×6, first 2 shown]
	v_mov_b64_e32 v[10:11], s[80:81]
	s_mov_b64 s[4:5], 0
	v_mov_b64_e32 v[12:13], s[82:83]
	v_mov_b64_e32 v[14:15], s[84:85]
	v_mov_b64_e32 v[16:17], s[86:87]
                                        ; implicit-def: $sgpr16_sgpr17
                                        ; implicit-def: $vgpr40
	s_and_saveexec_b64 s[14:15], vcc
	s_cbranch_execz .LBB319_111
; %bb.96:
	v_cmp_ne_u16_sdwa s[4:5], v29, v29 src0_sel:DWORD src1_sel:WORD_1
	v_and_b32_e32 v10, 0xffff, v33
	v_add_u32_e32 v11, 16, v41
	v_cndmask_b32_e64 v12, 0, 1, s[4:5]
	v_lshl_or_b32 v10, v12, 16, v10
	v_mov_b32_e32 v12, 0
	v_cmp_gt_u32_e32 vcc, s3, v11
	v_mov_b32_e32 v11, v12
	v_mov_b32_e32 v13, v12
	;; [unrolled: 1-line block ×6, first 2 shown]
	s_mov_b64 s[4:5], 0
                                        ; implicit-def: $sgpr18_sgpr19
                                        ; implicit-def: $vgpr40
	s_and_saveexec_b64 s[16:17], vcc
	s_cbranch_execz .LBB319_110
; %bb.97:
	v_cmp_ne_u16_sdwa s[4:5], v29, v22 src0_sel:WORD_1 src1_sel:DWORD
	v_add_u32_e32 v13, 17, v41
	v_cmp_gt_u32_e32 vcc, s3, v13
	v_cndmask_b32_e64 v11, 0, 1, s[4:5]
	v_alignbit_b32 v11, v11, v33, 16
	v_mov_b32_e32 v13, v12
	v_mov_b32_e32 v14, v12
	;; [unrolled: 1-line block ×5, first 2 shown]
	s_mov_b64 s[4:5], 0
                                        ; implicit-def: $sgpr48_sgpr49
                                        ; implicit-def: $vgpr40
	s_and_saveexec_b64 s[18:19], vcc
	s_cbranch_execz .LBB319_109
; %bb.98:
	ds_read_b96 v[26:28], v48 offset:34
	v_add_u32_e32 v12, 18, v41
	v_cmp_ne_u16_sdwa s[4:5], v22, v22 src0_sel:DWORD src1_sel:WORD_1
	v_cmp_gt_u32_e32 vcc, s3, v12
	v_mov_b32_e32 v14, 0
	v_cndmask_b32_e64 v13, 0, 1, s[4:5]
	s_waitcnt lgkmcnt(0)
	v_and_b32_e32 v12, 0xffff, v26
	v_lshl_or_b32 v12, v13, 16, v12
	v_mov_b32_e32 v13, v14
	v_mov_b32_e32 v15, v14
	v_mov_b32_e32 v16, v14
	v_mov_b32_e32 v17, v14
	s_mov_b64 s[4:5], 0
                                        ; implicit-def: $sgpr50_sgpr51
                                        ; implicit-def: $vgpr40
	s_and_saveexec_b64 s[48:49], vcc
	s_cbranch_execz .LBB319_108
; %bb.99:
	v_cmp_ne_u16_sdwa s[4:5], v22, v23 src0_sel:WORD_1 src1_sel:DWORD
	v_add_u32_e32 v15, 19, v41
	v_cmp_gt_u32_e32 vcc, s3, v15
	v_cndmask_b32_e64 v13, 0, 1, s[4:5]
	v_alignbit_b32 v13, v13, v26, 16
	v_mov_b32_e32 v15, v14
	v_mov_b32_e32 v16, v14
	;; [unrolled: 1-line block ×3, first 2 shown]
	s_mov_b64 s[4:5], 0
                                        ; implicit-def: $sgpr52_sgpr53
                                        ; implicit-def: $vgpr40
	s_and_saveexec_b64 s[50:51], vcc
	s_cbranch_execz .LBB319_107
; %bb.100:
	v_cmp_ne_u16_sdwa s[4:5], v23, v23 src0_sel:DWORD src1_sel:WORD_1
	v_and_b32_e32 v14, 0xffff, v27
	v_add_u32_e32 v15, 20, v41
	v_cndmask_b32_e64 v16, 0, 1, s[4:5]
	v_lshl_or_b32 v14, v16, 16, v14
	v_mov_b32_e32 v16, 0
	v_cmp_gt_u32_e32 vcc, s3, v15
	v_mov_b32_e32 v15, v16
	v_mov_b32_e32 v17, v16
	s_mov_b64 s[4:5], 0
                                        ; implicit-def: $sgpr60_sgpr61
                                        ; implicit-def: $vgpr40
	s_and_saveexec_b64 s[52:53], vcc
	s_cbranch_execz .LBB319_106
; %bb.101:
	v_cmp_ne_u16_sdwa s[4:5], v23, v24 src0_sel:WORD_1 src1_sel:DWORD
	v_add_u32_e32 v17, 21, v41
	v_cmp_gt_u32_e32 vcc, s3, v17
	v_cndmask_b32_e64 v15, 0, 1, s[4:5]
	v_alignbit_b32 v15, v15, v27, 16
	s_mov_b32 s9, 0
	v_mov_b32_e32 v17, v16
	s_mov_b64 s[4:5], 0
                                        ; implicit-def: $sgpr80_sgpr81
                                        ; implicit-def: $vgpr40
	s_and_saveexec_b64 s[60:61], vcc
	s_cbranch_execz .LBB319_105
; %bb.102:
	v_cmp_ne_u16_sdwa s[4:5], v24, v24 src0_sel:DWORD src1_sel:WORD_1
	v_and_b32_e32 v16, 0xffff, v28
	v_add_u32_e32 v17, 22, v41
	v_cndmask_b32_e64 v22, 0, 1, s[4:5]
	v_lshl_or_b32 v16, v22, 16, v16
	v_cmp_gt_u32_e32 vcc, s3, v17
	v_mov_b32_e32 v17, s9
	s_mov_b64 s[4:5], 0
                                        ; implicit-def: $sgpr80_sgpr81
                                        ; implicit-def: $vgpr40
	s_and_saveexec_b64 s[82:83], vcc
	s_xor_b64 s[82:83], exec, s[82:83]
	s_cbranch_execz .LBB319_104
; %bb.103:
	ds_read_u16 v40, v48 offset:46
	v_add_u32_e32 v22, 23, v41
	v_cmp_ne_u16_sdwa s[4:5], v24, v25 src0_sel:WORD_1 src1_sel:DWORD
	v_cmp_ne_u16_e32 vcc, v25, v49
	s_and_b64 s[80:81], vcc, exec
	v_cndmask_b32_e64 v17, 0, 1, s[4:5]
	v_cmp_gt_u32_e64 s[4:5], s3, v22
	v_alignbit_b32 v17, v17, v28, 16
	s_and_b64 s[4:5], s[4:5], exec
.LBB319_104:
	s_or_b64 exec, exec, s[82:83]
	s_and_b64 s[80:81], s[80:81], exec
	s_and_b64 s[4:5], s[4:5], exec
.LBB319_105:
	s_or_b64 exec, exec, s[60:61]
	s_and_b64 s[60:61], s[80:81], exec
	s_and_b64 s[4:5], s[4:5], exec
.LBB319_106:
	s_or_b64 exec, exec, s[52:53]
	s_and_b64 s[52:53], s[60:61], exec
	s_and_b64 s[4:5], s[4:5], exec
.LBB319_107:
	s_or_b64 exec, exec, s[50:51]
	s_and_b64 s[50:51], s[52:53], exec
	s_and_b64 s[4:5], s[4:5], exec
.LBB319_108:
	s_or_b64 exec, exec, s[48:49]
	s_and_b64 s[48:49], s[50:51], exec
	s_and_b64 s[4:5], s[4:5], exec
.LBB319_109:
	s_or_b64 exec, exec, s[18:19]
	s_and_b64 s[18:19], s[48:49], exec
	s_and_b64 s[4:5], s[4:5], exec
.LBB319_110:
	s_or_b64 exec, exec, s[16:17]
	s_and_b64 s[16:17], s[18:19], exec
	s_and_b64 s[4:5], s[4:5], exec
.LBB319_111:
	s_or_b64 exec, exec, s[14:15]
	s_and_b64 s[14:15], s[16:17], exec
	s_and_b64 s[4:5], s[4:5], exec
.LBB319_112:
	s_or_b64 exec, exec, s[12:13]
	s_and_b64 s[48:49], s[14:15], exec
	s_and_b64 s[4:5], s[4:5], exec
.LBB319_113:
	s_or_b64 exec, exec, s[46:47]
	s_and_b64 s[12:13], s[48:49], exec
	s_and_b64 s[4:5], s[4:5], exec
.LBB319_114:
	s_or_b64 exec, exec, s[44:45]
	s_and_b64 s[44:45], s[12:13], exec
	s_and_b64 s[4:5], s[4:5], exec
.LBB319_115:
	s_or_b64 exec, exec, s[42:43]
	s_and_b64 s[12:13], s[44:45], exec
	s_and_b64 s[4:5], s[4:5], exec
.LBB319_116:
	s_or_b64 exec, exec, s[40:41]
	s_and_b64 s[40:41], s[12:13], exec
	s_and_b64 s[4:5], s[4:5], exec
.LBB319_117:
	s_or_b64 exec, exec, s[38:39]
	s_and_b64 s[12:13], s[40:41], exec
	s_and_b64 s[4:5], s[4:5], exec
.LBB319_118:
	s_or_b64 exec, exec, s[36:37]
	s_and_b64 s[36:37], s[12:13], exec
	s_and_b64 s[4:5], s[4:5], exec
.LBB319_119:
	s_or_b64 exec, exec, s[34:35]
	s_and_b64 s[12:13], s[36:37], exec
	s_and_b64 s[4:5], s[4:5], exec
.LBB319_120:
	s_or_b64 exec, exec, s[30:31]
	s_and_b64 s[30:31], s[12:13], exec
	s_and_b64 s[4:5], s[4:5], exec
.LBB319_121:
	s_or_b64 exec, exec, s[28:29]
	s_and_b64 s[12:13], s[30:31], exec
	s_and_b64 s[4:5], s[4:5], exec
.LBB319_122:
	s_or_b64 exec, exec, s[26:27]
	s_and_b64 s[26:27], s[12:13], exec
	s_and_b64 s[4:5], s[4:5], exec
.LBB319_123:
	s_or_b64 exec, exec, s[24:25]
	s_and_b64 s[12:13], s[26:27], exec
	s_and_b64 s[4:5], s[4:5], exec
.LBB319_124:
	s_or_b64 exec, exec, s[22:23]
	s_and_b64 s[24:25], s[12:13], exec
	s_and_b64 s[22:23], s[4:5], exec
.LBB319_125:
	s_or_b64 exec, exec, s[20:21]
	s_and_b64 s[4:5], s[24:25], exec
	s_and_b64 s[12:13], s[22:23], exec
.LBB319_126:
	s_or_b64 exec, exec, s[10:11]
	s_and_b64 vcc, exec, s[6:7]
	v_lshlrev_b32_e32 v22, 1, v0
	s_cbranch_vccnz .LBB319_128
	s_branch .LBB319_136
.LBB319_127:
                                        ; implicit-def: $sgpr4_sgpr5
                                        ; implicit-def: $vgpr18_vgpr19_vgpr20_vgpr21
                                        ; implicit-def: $vgpr2_vgpr3_vgpr4_vgpr5_vgpr6_vgpr7_vgpr8_vgpr9
                                        ; implicit-def: $vgpr10_vgpr11_vgpr12_vgpr13_vgpr14_vgpr15_vgpr16_vgpr17
                                        ; implicit-def: $vgpr40
                                        ; implicit-def: $vgpr1
                                        ; implicit-def: $vgpr38
                                        ; implicit-def: $vgpr39
                                        ; implicit-def: $sgpr8
	s_and_b64 vcc, exec, s[6:7]
	v_lshlrev_b32_e32 v22, 1, v0
	s_cbranch_vccz .LBB319_136
.LBB319_128:
	v_mov_b32_e32 v23, 0
	v_lshl_add_u64 v[2:3], s[56:57], 0, v[22:23]
	v_add_co_u32_e32 v4, vcc, 0x1000, v2
	flat_load_ushort v1, v[2:3]
	flat_load_ushort v6, v[2:3] offset:512
	flat_load_ushort v7, v[2:3] offset:1024
	;; [unrolled: 1-line block ×7, first 2 shown]
	v_addc_co_u32_e32 v5, vcc, 0, v3, vcc
	v_add_co_u32_e32 v2, vcc, 0x2000, v2
	flat_load_ushort v13, v[4:5]
	flat_load_ushort v14, v[4:5] offset:512
	flat_load_ushort v15, v[4:5] offset:1024
	;; [unrolled: 1-line block ×7, first 2 shown]
	v_addc_co_u32_e32 v3, vcc, 0, v3, vcc
	flat_load_ushort v5, v[2:3]
	flat_load_ushort v21, v[2:3] offset:512
	flat_load_ushort v23, v[2:3] offset:1024
	flat_load_ushort v24, v[2:3] offset:1536
	flat_load_ushort v25, v[2:3] offset:2048
	flat_load_ushort v26, v[2:3] offset:2560
	flat_load_ushort v27, v[2:3] offset:3072
	flat_load_ushort v28, v[2:3] offset:3584
	v_mad_u32_u24 v4, v0, 46, v22
	s_cmp_eq_u64 s[78:79], 0
	s_waitcnt vmcnt(0) lgkmcnt(0)
	ds_write_b16 v22, v1
	ds_write_b16 v22, v6 offset:512
	ds_write_b16 v22, v7 offset:1024
	;; [unrolled: 1-line block ×23, first 2 shown]
	s_waitcnt lgkmcnt(0)
	s_barrier
	ds_read_b64 v[2:3], v4
	ds_read_u16 v5, v4 offset:8
	ds_read_b128 v[10:13], v4 offset:10
	ds_read_u16 v14, v4 offset:26
	ds_read_b32 v15, v4 offset:44
	ds_read2_b32 v[26:27], v4 offset0:9 offset1:10
	ds_read2_b32 v[24:25], v4 offset0:7 offset1:8
	s_cbranch_scc1 .LBB319_133
; %bb.129:
	s_andn2_b64 vcc, exec, s[76:77]
	s_cbranch_vccnz .LBB319_314
; %bb.130:
	s_lshl_b64 s[4:5], s[78:79], 1
	s_add_u32 s3, s66, s4
	s_addc_u32 s5, s67, s5
	s_add_u32 s4, s3, -2
	s_addc_u32 s5, s5, -1
	s_cbranch_execnz .LBB319_132
.LBB319_131:
	s_add_u32 s4, s56, -2
	s_addc_u32 s5, s57, -1
.LBB319_132:
	s_mov_b64 s[56:57], s[4:5]
.LBB319_133:
	v_mov_b64_e32 v[6:7], s[56:57]
	flat_load_ushort v6, v[6:7]
	s_movk_i32 s3, 0xffd2
	s_waitcnt lgkmcnt(0)
	v_lshrrev_b32_e32 v1, 16, v15
	v_mad_i32_i24 v7, v0, s3, v4
	v_cmp_ne_u32_e32 vcc, 0, v0
	ds_write_b16 v7, v1 offset:12288
	s_waitcnt lgkmcnt(0)
	s_barrier
	s_and_saveexec_b64 s[4:5], vcc
	s_cbranch_execz .LBB319_135
; %bb.134:
	s_waitcnt vmcnt(0)
	v_mul_i32_i24_e32 v6, 0xffffffd2, v0
	v_add_u32_e32 v6, v4, v6
	ds_read_u16 v6, v6 offset:12286
.LBB319_135:
	s_or_b64 exec, exec, s[4:5]
	v_mov_b32_e32 v23, 0
	v_lshl_add_u64 v[8:9], s[54:55], 0, v[22:23]
	s_movk_i32 s3, 0x1000
	v_add_co_u32_e32 v16, vcc, s3, v8
	s_movk_i32 s3, 0x2000
	s_nop 0
	v_addc_co_u32_e32 v17, vcc, 0, v9, vcc
	s_waitcnt lgkmcnt(0)
	s_barrier
	flat_load_ushort v7, v[8:9]
	flat_load_ushort v18, v[8:9] offset:512
	flat_load_ushort v19, v[8:9] offset:1024
	;; [unrolled: 1-line block ×7, first 2 shown]
	v_add_co_u32_e32 v8, vcc, s3, v8
	flat_load_ushort v30, v[16:17]
	flat_load_ushort v31, v[16:17] offset:512
	flat_load_ushort v32, v[16:17] offset:1024
	;; [unrolled: 1-line block ×7, first 2 shown]
	v_addc_co_u32_e32 v9, vcc, 0, v9, vcc
	flat_load_ushort v16, v[8:9]
	flat_load_ushort v17, v[8:9] offset:512
	flat_load_ushort v38, v[8:9] offset:1024
	;; [unrolled: 1-line block ×7, first 2 shown]
	s_waitcnt vmcnt(0)
	v_cmp_ne_u16_e32 vcc, v6, v2
	v_cmp_ne_u16_sdwa s[6:7], v3, v5 src0_sel:WORD_1 src1_sel:DWORD
	v_cmp_ne_u16_e64 s[4:5], v15, v1
	v_cndmask_b32_e64 v1, 0, 1, vcc
	v_cndmask_b32_e64 v9, 0, 1, s[6:7]
	v_cmp_ne_u16_sdwa s[6:7], v2, v3 src0_sel:WORD_1 src1_sel:DWORD
	v_cmp_ne_u16_e32 vcc, v5, v10
	s_mov_b64 s[12:13], -1
	v_cndmask_b32_e64 v44, 0, 1, s[6:7]
	v_cmp_ne_u16_sdwa s[6:7], v3, v3 src0_sel:DWORD src1_sel:WORD_1
                                        ; implicit-def: $sgpr8
	s_waitcnt lgkmcnt(0)
	ds_write_b16 v22, v7
	ds_write_b16 v22, v18 offset:512
	ds_write_b16 v22, v19 offset:1024
	;; [unrolled: 1-line block ×23, first 2 shown]
	s_waitcnt lgkmcnt(0)
	s_barrier
	ds_read_b96 v[6:8], v4
	ds_read_b128 v[28:31], v4 offset:30
	ds_read_u16 v40, v4 offset:46
	ds_read2_b32 v[16:17], v4 offset0:3 offset1:4
	v_cndmask_b32_e64 v3, 0, 1, s[6:7]
	v_cmp_ne_u16_sdwa s[6:7], v2, v2 src0_sel:DWORD src1_sel:WORD_1
	s_waitcnt lgkmcnt(3)
	v_and_b32_e32 v19, 0xffff, v6
	v_and_b32_e32 v23, 0xffff, v7
	v_lshl_or_b32 v1, v1, 16, v19
	v_lshl_or_b32 v19, v44, 16, v23
	ds_read_u16 v23, v4 offset:28
	ds_read2_b32 v[32:33], v4 offset0:5 offset1:6
	v_cndmask_b32_e64 v2, 0, 1, s[6:7]
	v_cmp_ne_u16_sdwa s[6:7], v13, v13 src0_sel:DWORD src1_sel:WORD_1
	v_alignbit_b32 v18, v2, v6, 16
	v_cndmask_b32_e64 v2, 0, 1, vcc
	s_waitcnt lgkmcnt(0)
	v_and_b32_e32 v5, 0xffff, v33
	v_cndmask_b32_e64 v6, 0, 1, s[6:7]
	v_cmp_ne_u16_sdwa s[6:7], v12, v12 src0_sel:DWORD src1_sel:WORD_1
	v_and_b32_e32 v21, 0xffff, v8
	v_alignbit_b32 v38, v2, v8, 16
	v_and_b32_e32 v4, 0xffff, v32
	v_lshl_or_b32 v8, v6, 16, v5
	v_cndmask_b32_e64 v5, 0, 1, s[6:7]
	v_cmp_ne_u16_sdwa s[6:7], v11, v11 src0_sel:DWORD src1_sel:WORD_1
	v_alignbit_b32 v20, v3, v7, 16
	v_and_b32_e32 v3, 0xffff, v17
	v_lshl_or_b32 v6, v5, 16, v4
	v_cndmask_b32_e64 v4, 0, 1, s[6:7]
	v_cmp_ne_u16_sdwa s[6:7], v10, v10 src0_sel:DWORD src1_sel:WORD_1
	v_and_b32_e32 v2, 0xffff, v16
	v_lshl_or_b32 v4, v4, 16, v3
	v_cndmask_b32_e64 v3, 0, 1, s[6:7]
	v_cmp_ne_u16_sdwa s[6:7], v13, v14 src0_sel:WORD_1 src1_sel:DWORD
	v_lshl_or_b32 v2, v3, 16, v2
	v_lshl_or_b32 v21, v9, 16, v21
	v_cndmask_b32_e64 v3, 0, 1, s[6:7]
	v_cmp_ne_u16_sdwa s[6:7], v12, v13 src0_sel:WORD_1 src1_sel:DWORD
	v_alignbit_b32 v9, v3, v33, 16
	v_cmp_ne_u16_e32 vcc, v14, v24
	v_cndmask_b32_e64 v3, 0, 1, s[6:7]
	v_cmp_ne_u16_sdwa s[6:7], v11, v12 src0_sel:WORD_1 src1_sel:DWORD
	v_alignbit_b32 v7, v3, v32, 16
	v_and_b32_e32 v13, 0xffff, v31
	v_cndmask_b32_e64 v3, 0, 1, s[6:7]
	v_cmp_ne_u16_sdwa s[6:7], v10, v11 src0_sel:WORD_1 src1_sel:DWORD
	v_alignbit_b32 v5, v3, v17, 16
	v_and_b32_e32 v12, 0xffff, v30
	v_cndmask_b32_e64 v3, 0, 1, s[6:7]
	v_cmp_ne_u16_sdwa s[6:7], v27, v27 src0_sel:DWORD src1_sel:WORD_1
	v_alignbit_b32 v3, v3, v16, 16
	v_cndmask_b32_e64 v10, 0, 1, vcc
	v_cndmask_b32_e64 v14, 0, 1, s[6:7]
	v_cmp_ne_u16_sdwa s[6:7], v26, v26 src0_sel:DWORD src1_sel:WORD_1
	v_lshl_or_b32 v16, v14, 16, v13
	v_and_b32_e32 v11, 0xffff, v29
	v_cndmask_b32_e64 v13, 0, 1, s[6:7]
	v_cmp_ne_u16_sdwa s[6:7], v25, v25 src0_sel:DWORD src1_sel:WORD_1
	v_lshl_or_b32 v14, v13, 16, v12
	v_lshl_or_b32 v39, v10, 16, v23
	v_cndmask_b32_e64 v12, 0, 1, s[6:7]
	v_cmp_ne_u16_sdwa s[6:7], v24, v24 src0_sel:DWORD src1_sel:WORD_1
	v_and_b32_e32 v10, 0xffff, v28
	v_lshl_or_b32 v12, v12, 16, v11
	v_cndmask_b32_e64 v11, 0, 1, s[6:7]
	v_cmp_ne_u16_sdwa s[6:7], v27, v15 src0_sel:WORD_1 src1_sel:DWORD
	v_lshl_or_b32 v10, v11, 16, v10
	s_nop 0
	v_cndmask_b32_e64 v11, 0, 1, s[6:7]
	v_cmp_ne_u16_sdwa s[6:7], v26, v27 src0_sel:WORD_1 src1_sel:DWORD
	v_alignbit_b32 v17, v11, v31, 16
	s_nop 0
	v_cndmask_b32_e64 v11, 0, 1, s[6:7]
	v_cmp_ne_u16_sdwa s[6:7], v25, v26 src0_sel:WORD_1 src1_sel:DWORD
	v_alignbit_b32 v15, v11, v30, 16
	;; [unrolled: 4-line block ×3, first 2 shown]
	s_nop 0
	v_cndmask_b32_e64 v11, 0, 1, s[6:7]
	v_alignbit_b32 v11, v11, v28, 16
.LBB319_136:
	v_mov_b32_e32 v23, s8
	s_and_saveexec_b64 s[6:7], s[12:13]
	s_cbranch_execz .LBB319_138
; %bb.137:
	v_mov_b32_e32 v23, 0x10000
	v_cndmask_b32_e64 v23, 0, v23, s[4:5]
	s_waitcnt lgkmcnt(0)
	v_or_b32_sdwa v23, v23, v40 dst_sel:DWORD dst_unused:UNUSED_PAD src0_sel:DWORD src1_sel:WORD_0
.LBB319_138:
	s_or_b64 exec, exec, s[6:7]
	s_cmp_lg_u32 s2, 0
	v_mbcnt_lo_u32_b32 v34, -1, 0
	s_waitcnt lgkmcnt(0)
	s_barrier
	s_cbranch_scc0 .LBB319_205
; %bb.139:
	s_mov_b32 s3, 0x10000
	v_cmp_gt_u32_e64 s[52:53], s3, v18
	v_cmp_gt_u32_e64 s[4:5], s3, v19
	v_cmp_gt_u32_e64 s[6:7], s3, v20
	v_cndmask_b32_e64 v24, 0, v1, s[52:53]
	v_add_u16_e32 v24, v24, v18
	v_cndmask_b32_e64 v24, 0, v24, s[4:5]
	v_add_u16_e32 v24, v24, v19
	v_cndmask_b32_e64 v24, 0, v24, s[6:7]
	v_add_u16_e32 v24, v24, v20
	v_cmp_gt_u32_e64 s[8:9], s3, v21
	v_cmp_gt_u32_e64 s[10:11], s3, v38
	v_cmp_gt_u32_e64 s[12:13], s3, v2
	v_cndmask_b32_e64 v24, 0, v24, s[8:9]
	v_add_u16_e32 v24, v24, v21
	v_cndmask_b32_e64 v24, 0, v24, s[10:11]
	v_add_u16_e32 v24, v24, v38
	v_cndmask_b32_e64 v24, 0, v24, s[12:13]
	v_add_u16_e32 v24, v24, v2
	;; [unrolled: 9-line block ×5, first 2 shown]
	v_cmp_gt_u32_e64 s[34:35], s3, v11
	v_cmp_gt_u32_e64 s[36:37], s3, v12
	v_or3_b32 v25, v23, v17, v16
	v_cndmask_b32_e64 v24, 0, v24, s[34:35]
	v_add_u16_e32 v24, v24, v11
	v_cndmask_b32_e64 v24, 0, v24, s[36:37]
	v_add_u16_e32 v24, v24, v12
	v_cmp_gt_u32_e64 s[38:39], s3, v13
	v_or3_b32 v25, v25, v15, v14
	v_or3_b32 v25, v25, v13, v12
	v_cndmask_b32_e64 v24, 0, v24, s[38:39]
	v_add_u16_e32 v24, v24, v13
	v_cmp_gt_u32_e64 s[40:41], s3, v14
	v_or3_b32 v25, v25, v11, v10
	v_or3_b32 v25, v25, v39, v9
	v_cndmask_b32_e64 v24, 0, v24, s[40:41]
	v_add_u16_e32 v24, v24, v14
	v_cmp_gt_u32_e64 s[42:43], s3, v15
	v_or3_b32 v25, v25, v8, v7
	v_or3_b32 v25, v25, v6, v5
	v_cndmask_b32_e64 v24, 0, v24, s[42:43]
	v_add_u16_e32 v24, v24, v15
	v_cmp_gt_u32_e64 s[44:45], s3, v16
	v_or3_b32 v25, v25, v4, v3
	v_or3_b32 v25, v25, v2, v21
	v_cndmask_b32_e64 v24, 0, v24, s[44:45]
	v_add_u16_e32 v24, v24, v16
	v_cmp_gt_u32_e64 s[46:47], s3, v17
	v_or3_b32 v25, v25, v20, v19
	v_or3_b32 v25, v25, v18, v38
	v_cndmask_b32_e64 v24, 0, v24, s[46:47]
	v_add_u16_e32 v24, v24, v17
	v_cmp_gt_u32_e64 s[48:49], s3, v23
	v_and_b32_e32 v25, 0x10000, v25
	v_lshrrev_b32_e32 v35, 16, v1
	v_cndmask_b32_e64 v26, 0, v24, s[48:49]
	v_cmp_ne_u32_e32 vcc, 0, v25
	v_add_u16_e32 v24, v26, v23
	v_mbcnt_hi_u32_b32 v27, -1, v34
	v_cndmask_b32_e64 v25, v35, 1, vcc
	v_add_u16_e32 v26, v26, v23
	v_and_b32_e32 v29, 15, v27
	v_lshl_or_b32 v26, v25, 16, v26
	v_cmp_ne_u32_e32 vcc, 0, v29
	s_nop 0
	v_mov_b32_dpp v28, v26 row_shr:1 row_mask:0xf bank_mask:0xf
	s_and_saveexec_b64 s[50:51], vcc
	s_cbranch_execz .LBB319_141
; %bb.140:
	v_cmp_eq_u32_e32 vcc, 0, v25
	v_and_b32_e32 v25, 1, v25
	v_mov_b32_e32 v31, 1
	v_cndmask_b32_e32 v26, 0, v28, vcc
	v_and_b32_sdwa v28, v28, v31 dst_sel:DWORD dst_unused:UNUSED_PAD src0_sel:WORD_1 src1_sel:DWORD
	v_cmp_eq_u32_e32 vcc, 1, v25
	v_add_u16_e32 v30, v26, v24
	v_add_u16_e32 v24, v26, v24
	v_cndmask_b32_e64 v25, v28, 1, vcc
	v_lshlrev_b32_e32 v28, 16, v25
	v_or_b32_e32 v26, v28, v24
	v_mov_b32_e32 v24, v30
.LBB319_141:
	s_or_b64 exec, exec, s[50:51]
	v_lshrrev_b32_e32 v28, 16, v26
	v_mov_b32_dpp v30, v26 row_shr:2 row_mask:0xf bank_mask:0xf
	v_cmp_lt_u32_e32 vcc, 1, v29
	s_and_saveexec_b64 s[50:51], vcc
	s_cbranch_execz .LBB319_143
; %bb.142:
	v_cmp_gt_u32_e32 vcc, s3, v26
	v_and_b32_e32 v25, 0x10000, v26
	v_mov_b32_e32 v26, 1
	v_cndmask_b32_e32 v28, 0, v30, vcc
	v_and_b32_sdwa v26, v30, v26 dst_sel:DWORD dst_unused:UNUSED_PAD src0_sel:WORD_1 src1_sel:DWORD
	v_cmp_ne_u32_e32 vcc, 0, v25
	v_add_u16_e32 v31, v28, v24
	v_add_u16_e32 v24, v28, v24
	v_cndmask_b32_e64 v25, v26, 1, vcc
	v_lshlrev_b32_e32 v26, 16, v25
	v_or_b32_e32 v26, v26, v24
	v_mov_b32_e32 v28, v25
	v_mov_b32_e32 v24, v31
.LBB319_143:
	s_or_b64 exec, exec, s[50:51]
	v_mov_b32_dpp v30, v26 row_shr:4 row_mask:0xf bank_mask:0xf
	v_cmp_lt_u32_e32 vcc, 3, v29
	s_and_saveexec_b64 s[50:51], vcc
	s_cbranch_execz .LBB319_145
; %bb.144:
	v_mov_b32_e32 v25, 0
	v_cmp_eq_u16_sdwa vcc, v28, v25 src0_sel:BYTE_0 src1_sel:DWORD
	v_and_b32_e32 v25, 1, v28
	v_mov_b32_e32 v28, 1
	v_cndmask_b32_e32 v26, 0, v30, vcc
	v_and_b32_sdwa v28, v30, v28 dst_sel:DWORD dst_unused:UNUSED_PAD src0_sel:WORD_1 src1_sel:DWORD
	v_cmp_eq_u32_e32 vcc, 1, v25
	v_add_u16_e32 v31, v26, v24
	v_add_u16_e32 v24, v26, v24
	v_cndmask_b32_e64 v25, v28, 1, vcc
	v_lshlrev_b32_e32 v28, 16, v25
	v_or_b32_e32 v26, v28, v24
	v_mov_b32_e32 v28, v25
	v_mov_b32_e32 v24, v31
.LBB319_145:
	s_or_b64 exec, exec, s[50:51]
	v_mov_b32_dpp v30, v26 row_shr:8 row_mask:0xf bank_mask:0xf
	v_cmp_lt_u32_e32 vcc, 7, v29
	s_and_saveexec_b64 s[50:51], vcc
	s_cbranch_execz .LBB319_147
; %bb.146:
	v_mov_b32_e32 v25, 0
	v_cmp_eq_u16_sdwa vcc, v28, v25 src0_sel:BYTE_0 src1_sel:DWORD
	v_and_b32_e32 v25, 1, v28
	v_mov_b32_e32 v28, 1
	v_cndmask_b32_e32 v26, 0, v30, vcc
	v_and_b32_sdwa v28, v30, v28 dst_sel:DWORD dst_unused:UNUSED_PAD src0_sel:WORD_1 src1_sel:DWORD
	v_cmp_eq_u32_e32 vcc, 1, v25
	v_add_u16_e32 v29, v26, v24
	v_add_u16_e32 v24, v26, v24
	v_cndmask_b32_e64 v25, v28, 1, vcc
	v_lshlrev_b32_e32 v28, 16, v25
	v_or_b32_e32 v26, v28, v24
	v_mov_b32_e32 v28, v25
	v_mov_b32_e32 v24, v29
.LBB319_147:
	s_or_b64 exec, exec, s[50:51]
	v_and_b32_e32 v30, 16, v27
	v_mov_b32_dpp v29, v26 row_bcast:15 row_mask:0xf bank_mask:0xf
	v_cmp_ne_u32_e32 vcc, 0, v30
	s_and_saveexec_b64 s[50:51], vcc
	s_cbranch_execz .LBB319_149
; %bb.148:
	v_mov_b32_e32 v25, 0
	v_cmp_eq_u16_sdwa vcc, v28, v25 src0_sel:BYTE_0 src1_sel:DWORD
	v_and_b32_e32 v25, 1, v28
	v_mov_b32_e32 v28, 1
	v_cndmask_b32_e32 v26, 0, v29, vcc
	v_and_b32_sdwa v28, v29, v28 dst_sel:DWORD dst_unused:UNUSED_PAD src0_sel:WORD_1 src1_sel:DWORD
	v_cmp_eq_u32_e32 vcc, 1, v25
	v_add_u16_e32 v30, v26, v24
	v_add_u16_e32 v24, v26, v24
	v_cndmask_b32_e64 v25, v28, 1, vcc
	v_lshlrev_b32_e32 v28, 16, v25
	v_or_b32_e32 v26, v28, v24
	v_mov_b32_e32 v24, v30
	v_mov_b32_e32 v28, v25
.LBB319_149:
	s_or_b64 exec, exec, s[50:51]
	v_mov_b32_dpp v26, v26 row_bcast:31 row_mask:0xf bank_mask:0xf
	v_cmp_lt_u32_e32 vcc, 31, v27
	s_and_saveexec_b64 s[50:51], vcc
; %bb.150:
	v_mov_b32_e32 v25, 0
	v_cmp_eq_u16_sdwa vcc, v28, v25 src0_sel:BYTE_0 src1_sel:DWORD
	s_nop 1
	v_cndmask_b32_e32 v25, 0, v26, vcc
	v_add_u16_e32 v24, v25, v24
	v_and_b32_e32 v25, 1, v28
	v_mov_b32_e32 v28, 1
	v_and_b32_sdwa v26, v26, v28 dst_sel:DWORD dst_unused:UNUSED_PAD src0_sel:WORD_1 src1_sel:DWORD
	v_cmp_eq_u32_e32 vcc, 1, v25
	s_nop 1
	v_cndmask_b32_e64 v25, v26, 1, vcc
; %bb.151:
	s_or_b64 exec, exec, s[50:51]
	v_or_b32_e32 v28, 63, v0
	v_lshrrev_b32_e32 v26, 6, v0
	v_cmp_eq_u32_e32 vcc, v28, v0
	s_and_saveexec_b64 s[50:51], vcc
	s_cbranch_execz .LBB319_153
; %bb.152:
	v_lshlrev_b32_e32 v28, 2, v26
	ds_write_b16 v28, v24
	ds_write_b8 v28, v25 offset:2
.LBB319_153:
	s_or_b64 exec, exec, s[50:51]
	v_cmp_gt_u32_e32 vcc, 4, v0
	s_waitcnt lgkmcnt(0)
	s_barrier
	s_and_saveexec_b64 s[50:51], vcc
	s_cbranch_execz .LBB319_159
; %bb.154:
	v_lshlrev_b32_e32 v28, 2, v0
	ds_read_b32 v29, v28
	v_and_b32_e32 v32, 3, v27
	v_cmp_ne_u32_e32 vcc, 0, v32
	s_waitcnt lgkmcnt(0)
	v_lshrrev_b32_e32 v31, 16, v29
	v_mov_b32_dpp v33, v29 row_shr:1 row_mask:0xf bank_mask:0xf
	v_mov_b32_e32 v30, v29
	s_and_saveexec_b64 s[54:55], vcc
	s_cbranch_execz .LBB319_156
; %bb.155:
	v_mov_b32_e32 v30, 0
	v_cmp_eq_u16_sdwa vcc, v31, v30 src0_sel:BYTE_0 src1_sel:DWORD
	v_and_b32_e32 v31, 0x10000, v29
	v_mov_b32_e32 v40, 1
	v_cndmask_b32_e32 v37, 0, v33, vcc
	v_and_b32_sdwa v33, v33, v40 dst_sel:DWORD dst_unused:UNUSED_PAD src0_sel:WORD_1 src1_sel:DWORD
	v_cmp_ne_u32_e32 vcc, 0, v31
	v_and_b32_e32 v36, 0xff000000, v29
	v_add_u16_e32 v30, v37, v29
	v_cndmask_b32_e64 v31, v33, 1, vcc
	v_lshlrev_b32_e32 v33, 16, v31
	v_add_u16_e32 v29, v37, v29
	v_or3_b32 v29, v33, v36, v29
.LBB319_156:
	s_or_b64 exec, exec, s[54:55]
	s_nop 0
	v_mov_b32_dpp v33, v29 row_shr:2 row_mask:0xf bank_mask:0xf
	v_cmp_lt_u32_e32 vcc, 1, v32
	s_and_saveexec_b64 s[54:55], vcc
; %bb.157:
	v_and_b32_e32 v31, 0xff0000, v29
	v_cmp_eq_u32_e32 vcc, 0, v31
	v_and_b32_e32 v29, 0x10000, v29
	s_nop 0
	v_cndmask_b32_e32 v31, 0, v33, vcc
	v_add_u16_e32 v30, v31, v30
	v_mov_b32_e32 v31, 1
	v_and_b32_sdwa v31, v33, v31 dst_sel:DWORD dst_unused:UNUSED_PAD src0_sel:WORD_1 src1_sel:DWORD
	v_cmp_eq_u32_e32 vcc, 0, v29
	s_nop 1
	v_cndmask_b32_e32 v31, 1, v31, vcc
; %bb.158:
	s_or_b64 exec, exec, s[54:55]
	ds_write_b16 v28, v30
	ds_write_b8 v28, v31 offset:2
.LBB319_159:
	s_or_b64 exec, exec, s[50:51]
	v_cmp_gt_u32_e32 vcc, 64, v0
	v_cmp_lt_u32_e64 s[50:51], 63, v0
	v_mov_b32_e32 v36, 0
	v_mov_b32_e32 v37, 0
	s_waitcnt lgkmcnt(0)
	s_barrier
	s_and_saveexec_b64 s[54:55], s[50:51]
	s_cbranch_execz .LBB319_161
; %bb.160:
	v_lshl_add_u32 v26, v26, 2, -4
	ds_read_u16 v36, v26
	ds_read_u8 v37, v26 offset:2
	v_mov_b32_e32 v28, 0
	v_and_b32_e32 v29, 1, v25
	v_cmp_eq_u16_sdwa s[50:51], v25, v28 src0_sel:BYTE_0 src1_sel:DWORD
	s_waitcnt lgkmcnt(1)
	s_nop 0
	v_cndmask_b32_e64 v25, 0, v36, s[50:51]
	v_cmp_eq_u32_e64 s[50:51], 1, v29
	v_add_u16_e32 v24, v25, v24
	s_waitcnt lgkmcnt(0)
	v_cndmask_b32_e64 v25, v37, 1, s[50:51]
.LBB319_161:
	s_or_b64 exec, exec, s[54:55]
	v_and_b32_e32 v25, 0xff, v25
	v_and_b32_e32 v24, 0xffff, v24
	v_lshl_or_b32 v24, v25, 16, v24
	v_add_u32_e32 v25, -1, v27
	v_and_b32_e32 v26, 64, v27
	v_cmp_lt_i32_e64 s[50:51], v25, v26
	s_nop 1
	v_cndmask_b32_e64 v25, v25, v27, s[50:51]
	v_lshlrev_b32_e32 v25, 2, v25
	ds_bpermute_b32 v40, v25, v24
	v_cmp_eq_u32_e64 s[50:51], 0, v27
	s_and_saveexec_b64 s[54:55], vcc
	s_cbranch_execz .LBB319_204
; %bb.162:
	v_mov_b32_e32 v31, 0
	ds_read_b32 v24, v31 offset:12
	s_and_saveexec_b64 s[56:57], s[50:51]
	s_cbranch_execz .LBB319_164
; %bb.163:
	s_add_i32 s60, s2, 64
	s_mov_b32 s61, 0
	s_lshl_b64 s[60:61], s[60:61], 3
	s_add_u32 s60, s68, s60
	v_mov_b32_e32 v25, 1
	s_addc_u32 s61, s69, s61
	s_waitcnt lgkmcnt(0)
	global_store_dwordx2 v31, v[24:25], s[60:61] sc1
.LBB319_164:
	s_or_b64 exec, exec, s[56:57]
	v_xad_u32 v26, v27, -1, s2
	v_add_u32_e32 v30, 64, v26
	v_lshl_add_u64 v[32:33], v[30:31], 3, s[68:69]
	global_load_dwordx2 v[28:29], v[32:33], off sc1
	s_waitcnt vmcnt(0)
	v_cmp_eq_u16_sdwa s[60:61], v29, v31 src0_sel:BYTE_0 src1_sel:DWORD
	s_and_saveexec_b64 s[56:57], s[60:61]
	s_cbranch_execz .LBB319_168
; %bb.165:
	s_mov_b64 s[60:61], 0
	v_mov_b32_e32 v25, 0
.LBB319_166:                            ; =>This Inner Loop Header: Depth=1
	global_load_dwordx2 v[28:29], v[32:33], off sc1
	s_waitcnt vmcnt(0)
	v_cmp_ne_u16_sdwa s[66:67], v29, v25 src0_sel:BYTE_0 src1_sel:DWORD
	s_or_b64 s[60:61], s[66:67], s[60:61]
	s_andn2_b64 exec, exec, s[60:61]
	s_cbranch_execnz .LBB319_166
; %bb.167:
	s_or_b64 exec, exec, s[60:61]
.LBB319_168:
	s_or_b64 exec, exec, s[56:57]
	v_mov_b32_e32 v25, 2
	v_cmp_eq_u16_sdwa s[56:57], v29, v25 src0_sel:BYTE_0 src1_sel:DWORD
	v_lshlrev_b64 v[30:31], v27, -1
	v_and_b32_e32 v52, 0xffffff, v28
	v_and_b32_e32 v25, s57, v31
	v_or_b32_e32 v25, 0x80000000, v25
	v_ffbl_b32_e32 v25, v25
	v_add_u32_e32 v33, 32, v25
	v_and_b32_e32 v25, 63, v27
	v_cmp_ne_u32_e32 vcc, 63, v25
	v_and_b32_e32 v32, s56, v30
	v_ffbl_b32_e32 v32, v32
	v_addc_co_u32_e32 v41, vcc, 0, v27, vcc
	v_lshlrev_b32_e32 v41, 2, v41
	ds_bpermute_b32 v42, v41, v52
	v_min_u32_e32 v33, v32, v33
	v_lshrrev_b32_e32 v32, 16, v28
	v_cmp_lt_u32_e32 vcc, v25, v33
	v_bfe_u32 v50, v28, 16, 8
	s_and_saveexec_b64 s[56:57], vcc
	s_cbranch_execz .LBB319_170
; %bb.169:
	v_and_b32_e32 v32, 0xff0000, v28
	v_cmp_eq_u32_e32 vcc, 0, v32
	v_and_b32_e32 v32, 0x10000, v32
	v_mov_b32_e32 v45, 1
	s_waitcnt lgkmcnt(0)
	v_cndmask_b32_e32 v43, 0, v42, vcc
	v_and_b32_sdwa v42, v42, v45 dst_sel:DWORD dst_unused:UNUSED_PAD src0_sel:WORD_1 src1_sel:DWORD
	v_cmp_ne_u32_e32 vcc, 0, v32
	v_add_u16_e32 v44, v43, v28
	v_add_u16_e32 v28, v43, v28
	v_cndmask_b32_e64 v32, v42, 1, vcc
	v_lshlrev_b32_e32 v42, 16, v32
	v_or_b32_e32 v52, v42, v28
	v_mov_b32_e32 v28, v44
	v_mov_b32_e32 v50, v32
.LBB319_170:
	s_or_b64 exec, exec, s[56:57]
	v_cmp_gt_u32_e32 vcc, 62, v25
	v_add_u32_e32 v43, 2, v25
	s_waitcnt lgkmcnt(0)
	v_cndmask_b32_e64 v42, 0, 1, vcc
	v_lshlrev_b32_e32 v42, 1, v42
	v_add_lshl_u32 v42, v42, v27, 2
	ds_bpermute_b32 v44, v42, v52
	v_cmp_le_u32_e32 vcc, v43, v33
	s_and_saveexec_b64 s[56:57], vcc
	s_cbranch_execz .LBB319_172
; %bb.171:
	v_cmp_eq_u16_e32 vcc, 0, v50
	v_and_b32_e32 v32, 1, v50
	v_mov_b32_e32 v47, 1
	s_waitcnt lgkmcnt(0)
	v_cndmask_b32_e32 v45, 0, v44, vcc
	v_and_b32_sdwa v44, v44, v47 dst_sel:DWORD dst_unused:UNUSED_PAD src0_sel:WORD_1 src1_sel:DWORD
	v_cmp_eq_u32_e32 vcc, 1, v32
	v_add_u16_e32 v46, v45, v28
	v_add_u16_e32 v28, v45, v28
	v_cndmask_b32_e64 v32, v44, 1, vcc
	v_lshlrev_b32_e32 v44, 16, v32
	v_or_b32_e32 v52, v44, v28
	v_mov_b32_e32 v28, v46
	v_mov_b32_e32 v50, v32
.LBB319_172:
	s_or_b64 exec, exec, s[56:57]
	v_cmp_gt_u32_e32 vcc, 60, v25
	v_add_u32_e32 v45, 4, v25
	s_waitcnt lgkmcnt(0)
	v_cndmask_b32_e64 v44, 0, 1, vcc
	v_lshlrev_b32_e32 v44, 2, v44
	v_add_lshl_u32 v44, v44, v27, 2
	ds_bpermute_b32 v46, v44, v52
	v_cmp_le_u32_e32 vcc, v45, v33
	s_and_saveexec_b64 s[56:57], vcc
	s_cbranch_execz .LBB319_174
; %bb.173:
	v_cmp_eq_u16_e32 vcc, 0, v50
	v_and_b32_e32 v32, 1, v50
	v_mov_b32_e32 v49, 1
	s_waitcnt lgkmcnt(0)
	v_cndmask_b32_e32 v47, 0, v46, vcc
	v_and_b32_sdwa v46, v46, v49 dst_sel:DWORD dst_unused:UNUSED_PAD src0_sel:WORD_1 src1_sel:DWORD
	v_cmp_eq_u32_e32 vcc, 1, v32
	v_add_u16_e32 v48, v47, v28
	v_add_u16_e32 v28, v47, v28
	v_cndmask_b32_e64 v32, v46, 1, vcc
	v_lshlrev_b32_e32 v46, 16, v32
	v_or_b32_e32 v52, v46, v28
	v_mov_b32_e32 v28, v48
	v_mov_b32_e32 v50, v32
.LBB319_174:
	;; [unrolled: 27-line block ×4, first 2 shown]
	s_or_b64 exec, exec, s[56:57]
	v_cmp_gt_u32_e32 vcc, 32, v25
	v_add_u32_e32 v53, 32, v25
	s_waitcnt lgkmcnt(0)
	v_cndmask_b32_e64 v51, 0, 1, vcc
	v_lshlrev_b32_e32 v51, 5, v51
	v_add_lshl_u32 v51, v51, v27, 2
	ds_bpermute_b32 v27, v51, v52
	v_cmp_le_u32_e32 vcc, v53, v33
	s_and_saveexec_b64 s[56:57], vcc
	s_cbranch_execz .LBB319_180
; %bb.179:
	v_cmp_eq_u16_e32 vcc, 0, v50
	v_mov_b32_e32 v33, 1
	s_waitcnt lgkmcnt(0)
	v_cndmask_b32_e32 v32, 0, v27, vcc
	v_add_u16_e32 v28, v32, v28
	v_and_b32_e32 v32, 1, v50
	v_and_b32_sdwa v27, v27, v33 dst_sel:DWORD dst_unused:UNUSED_PAD src0_sel:WORD_1 src1_sel:DWORD
	v_cmp_eq_u32_e32 vcc, 1, v32
	s_nop 1
	v_cndmask_b32_e64 v32, v27, 1, vcc
.LBB319_180:
	s_or_b64 exec, exec, s[56:57]
	s_waitcnt lgkmcnt(0)
	v_mov_b32_e32 v27, 0
	v_mov_b32_e32 v54, 2
	;; [unrolled: 1-line block ×3, first 2 shown]
	s_branch .LBB319_182
.LBB319_181:                            ;   in Loop: Header=BB319_182 Depth=1
	s_or_b64 exec, exec, s[56:57]
	v_cmp_eq_u16_sdwa vcc, v50, v27 src0_sel:BYTE_0 src1_sel:DWORD
	v_and_b32_e32 v32, 1, v50
	v_and_b32_e32 v33, 1, v33
	v_cndmask_b32_e32 v28, 0, v28, vcc
	v_cmp_eq_u32_e32 vcc, 1, v32
	v_subrev_u32_e32 v26, 64, v26
	v_add_u16_e32 v28, v28, v52
	v_cndmask_b32_e64 v32, v33, 1, vcc
.LBB319_182:                            ; =>This Loop Header: Depth=1
                                        ;     Child Loop BB319_185 Depth 2
	v_cmp_ne_u16_sdwa s[56:57], v29, v54 src0_sel:BYTE_0 src1_sel:DWORD
	v_mov_b32_e32 v50, v32
	v_mov_b32_e32 v52, v28
	v_cndmask_b32_e64 v29, 0, 1, s[56:57]
	;;#ASMSTART
	;;#ASMEND
	s_nop 0
	v_cmp_ne_u32_e32 vcc, 0, v29
	s_cmp_lg_u64 vcc, exec
	s_cbranch_scc1 .LBB319_199
; %bb.183:                              ;   in Loop: Header=BB319_182 Depth=1
	v_lshl_add_u64 v[32:33], v[26:27], 3, s[68:69]
	global_load_dwordx2 v[28:29], v[32:33], off sc1
	s_waitcnt vmcnt(0)
	v_cmp_eq_u16_sdwa s[60:61], v29, v27 src0_sel:BYTE_0 src1_sel:DWORD
	s_and_saveexec_b64 s[56:57], s[60:61]
	s_cbranch_execz .LBB319_187
; %bb.184:                              ;   in Loop: Header=BB319_182 Depth=1
	s_mov_b64 s[60:61], 0
.LBB319_185:                            ;   Parent Loop BB319_182 Depth=1
                                        ; =>  This Inner Loop Header: Depth=2
	global_load_dwordx2 v[28:29], v[32:33], off sc1
	s_waitcnt vmcnt(0)
	v_cmp_ne_u16_sdwa s[66:67], v29, v27 src0_sel:BYTE_0 src1_sel:DWORD
	s_or_b64 s[60:61], s[66:67], s[60:61]
	s_andn2_b64 exec, exec, s[60:61]
	s_cbranch_execnz .LBB319_185
; %bb.186:                              ;   in Loop: Header=BB319_182 Depth=1
	s_or_b64 exec, exec, s[60:61]
.LBB319_187:                            ;   in Loop: Header=BB319_182 Depth=1
	s_or_b64 exec, exec, s[56:57]
	v_cmp_eq_u16_sdwa s[56:57], v29, v54 src0_sel:BYTE_0 src1_sel:DWORD
	s_waitcnt lgkmcnt(0)
	v_and_b32_e32 v57, 0xffffff, v28
	ds_bpermute_b32 v58, v41, v57
	v_and_b32_e32 v32, s57, v31
	v_or_b32_e32 v32, 0x80000000, v32
	v_and_b32_e32 v33, s56, v30
	v_ffbl_b32_e32 v32, v32
	v_add_u32_e32 v32, 32, v32
	v_ffbl_b32_e32 v33, v33
	v_min_u32_e32 v32, v33, v32
	v_lshrrev_b32_e32 v33, 16, v28
	v_cmp_lt_u32_e32 vcc, v25, v32
	v_bfe_u32 v56, v28, 16, 8
	s_and_saveexec_b64 s[56:57], vcc
	s_cbranch_execz .LBB319_189
; %bb.188:                              ;   in Loop: Header=BB319_182 Depth=1
	v_and_b32_e32 v33, 0xff0000, v28
	v_cmp_eq_u32_e32 vcc, 0, v33
	v_and_b32_e32 v33, 0x10000, v33
	s_waitcnt lgkmcnt(0)
	v_and_b32_sdwa v57, v58, v55 dst_sel:DWORD dst_unused:UNUSED_PAD src0_sel:WORD_1 src1_sel:DWORD
	v_cndmask_b32_e32 v56, 0, v58, vcc
	v_cmp_ne_u32_e32 vcc, 0, v33
	v_add_u16_e32 v59, v56, v28
	v_add_u16_e32 v28, v56, v28
	v_cndmask_b32_e64 v33, v57, 1, vcc
	v_lshlrev_b32_e32 v57, 16, v33
	v_or_b32_e32 v57, v57, v28
	v_mov_b32_e32 v28, v59
	v_mov_b32_e32 v56, v33
.LBB319_189:                            ;   in Loop: Header=BB319_182 Depth=1
	s_or_b64 exec, exec, s[56:57]
	s_waitcnt lgkmcnt(0)
	ds_bpermute_b32 v58, v42, v57
	v_cmp_le_u32_e32 vcc, v43, v32
	s_and_saveexec_b64 s[56:57], vcc
	s_cbranch_execz .LBB319_191
; %bb.190:                              ;   in Loop: Header=BB319_182 Depth=1
	v_cmp_eq_u16_e32 vcc, 0, v56
	v_and_b32_e32 v33, 1, v56
	s_waitcnt lgkmcnt(0)
	v_and_b32_sdwa v56, v58, v55 dst_sel:DWORD dst_unused:UNUSED_PAD src0_sel:WORD_1 src1_sel:DWORD
	v_cndmask_b32_e32 v57, 0, v58, vcc
	v_cmp_eq_u32_e32 vcc, 1, v33
	v_add_u16_e32 v59, v57, v28
	v_add_u16_e32 v28, v57, v28
	v_cndmask_b32_e64 v33, v56, 1, vcc
	v_lshlrev_b32_e32 v56, 16, v33
	v_or_b32_e32 v57, v56, v28
	v_mov_b32_e32 v28, v59
	v_mov_b32_e32 v56, v33
.LBB319_191:                            ;   in Loop: Header=BB319_182 Depth=1
	s_or_b64 exec, exec, s[56:57]
	s_waitcnt lgkmcnt(0)
	ds_bpermute_b32 v58, v44, v57
	v_cmp_le_u32_e32 vcc, v45, v32
	s_and_saveexec_b64 s[56:57], vcc
	s_cbranch_execz .LBB319_193
; %bb.192:                              ;   in Loop: Header=BB319_182 Depth=1
	v_cmp_eq_u16_e32 vcc, 0, v56
	v_and_b32_e32 v33, 1, v56
	s_waitcnt lgkmcnt(0)
	v_and_b32_sdwa v56, v58, v55 dst_sel:DWORD dst_unused:UNUSED_PAD src0_sel:WORD_1 src1_sel:DWORD
	v_cndmask_b32_e32 v57, 0, v58, vcc
	v_cmp_eq_u32_e32 vcc, 1, v33
	v_add_u16_e32 v59, v57, v28
	v_add_u16_e32 v28, v57, v28
	v_cndmask_b32_e64 v33, v56, 1, vcc
	v_lshlrev_b32_e32 v56, 16, v33
	v_or_b32_e32 v57, v56, v28
	v_mov_b32_e32 v28, v59
	v_mov_b32_e32 v56, v33
.LBB319_193:                            ;   in Loop: Header=BB319_182 Depth=1
	s_or_b64 exec, exec, s[56:57]
	s_waitcnt lgkmcnt(0)
	ds_bpermute_b32 v58, v46, v57
	v_cmp_le_u32_e32 vcc, v47, v32
	s_and_saveexec_b64 s[56:57], vcc
	s_cbranch_execz .LBB319_195
; %bb.194:                              ;   in Loop: Header=BB319_182 Depth=1
	v_cmp_eq_u16_e32 vcc, 0, v56
	v_and_b32_e32 v33, 1, v56
	s_waitcnt lgkmcnt(0)
	v_and_b32_sdwa v56, v58, v55 dst_sel:DWORD dst_unused:UNUSED_PAD src0_sel:WORD_1 src1_sel:DWORD
	v_cndmask_b32_e32 v57, 0, v58, vcc
	v_cmp_eq_u32_e32 vcc, 1, v33
	v_add_u16_e32 v59, v57, v28
	v_add_u16_e32 v28, v57, v28
	v_cndmask_b32_e64 v33, v56, 1, vcc
	v_lshlrev_b32_e32 v56, 16, v33
	v_or_b32_e32 v57, v56, v28
	v_mov_b32_e32 v28, v59
	v_mov_b32_e32 v56, v33
.LBB319_195:                            ;   in Loop: Header=BB319_182 Depth=1
	s_or_b64 exec, exec, s[56:57]
	s_waitcnt lgkmcnt(0)
	ds_bpermute_b32 v58, v48, v57
	v_cmp_le_u32_e32 vcc, v49, v32
	s_and_saveexec_b64 s[56:57], vcc
	s_cbranch_execz .LBB319_197
; %bb.196:                              ;   in Loop: Header=BB319_182 Depth=1
	v_cmp_eq_u16_e32 vcc, 0, v56
	v_and_b32_e32 v33, 1, v56
	s_waitcnt lgkmcnt(0)
	v_and_b32_sdwa v56, v58, v55 dst_sel:DWORD dst_unused:UNUSED_PAD src0_sel:WORD_1 src1_sel:DWORD
	v_cndmask_b32_e32 v57, 0, v58, vcc
	v_cmp_eq_u32_e32 vcc, 1, v33
	v_add_u16_e32 v59, v57, v28
	v_add_u16_e32 v28, v57, v28
	v_cndmask_b32_e64 v33, v56, 1, vcc
	v_lshlrev_b32_e32 v56, 16, v33
	v_or_b32_e32 v57, v56, v28
	v_mov_b32_e32 v28, v59
	v_mov_b32_e32 v56, v33
.LBB319_197:                            ;   in Loop: Header=BB319_182 Depth=1
	s_or_b64 exec, exec, s[56:57]
	ds_bpermute_b32 v57, v51, v57
	v_cmp_le_u32_e32 vcc, v53, v32
	s_and_saveexec_b64 s[56:57], vcc
	s_cbranch_execz .LBB319_181
; %bb.198:                              ;   in Loop: Header=BB319_182 Depth=1
	v_cmp_eq_u16_e32 vcc, 0, v56
	s_waitcnt lgkmcnt(0)
	v_lshrrev_b32_e32 v33, 16, v57
	v_cndmask_b32_e32 v32, 0, v57, vcc
	v_add_u16_e32 v28, v32, v28
	v_and_b32_e32 v32, 1, v56
	v_cmp_eq_u32_e32 vcc, 1, v32
	s_nop 1
	v_cndmask_b32_e64 v33, v33, 1, vcc
	s_branch .LBB319_181
.LBB319_199:                            ;   in Loop: Header=BB319_182 Depth=1
                                        ; implicit-def: $vgpr32
                                        ; implicit-def: $vgpr28
	s_cbranch_execz .LBB319_182
; %bb.200:
	s_and_saveexec_b64 s[56:57], s[50:51]
	s_cbranch_execz .LBB319_202
; %bb.201:
	v_and_b32_e32 v25, 0xff0000, v24
	s_mov_b32 s3, 0
	v_cmp_eq_u32_e32 vcc, 0, v25
	v_and_b32_e32 v26, 0x10000, v24
	v_mov_b32_e32 v27, 1
	s_add_i32 s2, s2, 64
	v_cndmask_b32_e32 v25, 0, v52, vcc
	v_and_b32_sdwa v27, v50, v27 dst_sel:WORD_1 dst_unused:UNUSED_PAD src0_sel:DWORD src1_sel:DWORD
	v_mov_b32_e32 v28, 0x10000
	v_cmp_eq_u32_e32 vcc, 0, v26
	s_lshl_b64 s[2:3], s[2:3], 3
	s_add_u32 s2, s68, s2
	v_cndmask_b32_e32 v26, v28, v27, vcc
	v_add_u16_e32 v24, v25, v24
	s_addc_u32 s3, s69, s3
	v_mov_b32_e32 v27, 0
	v_or_b32_e32 v24, v26, v24
	v_mov_b32_e32 v25, 2
	global_store_dwordx2 v27, v[24:25], s[2:3] sc1
.LBB319_202:
	s_or_b64 exec, exec, s[56:57]
	v_cmp_eq_u32_e32 vcc, 0, v0
	s_and_b64 exec, exec, vcc
	s_cbranch_execz .LBB319_204
; %bb.203:
	v_mov_b32_e32 v24, 0
	ds_write_b16 v24, v52 offset:12
	ds_write_b8 v24, v50 offset:14
.LBB319_204:
	s_or_b64 exec, exec, s[54:55]
	s_waitcnt lgkmcnt(0)
	v_lshrrev_b32_e32 v24, 16, v40
	v_mov_b32_e32 v26, 0
	s_mov_b32 s2, 0x10000
	v_cndmask_b32_e64 v24, v24, v37, s[50:51]
	v_cndmask_b32_e64 v25, v40, v36, s[50:51]
	s_barrier
	ds_read_b32 v27, v26 offset:12
	v_cmp_gt_u32_e32 vcc, s2, v1
	v_and_b32_e32 v28, 0x10000, v1
	v_and_b32_e32 v24, 1, v24
	v_cndmask_b32_e32 v25, 0, v25, vcc
	v_cmp_ne_u32_e32 vcc, 0, v28
	s_nop 1
	v_cndmask_b32_e64 v24, v24, 1, vcc
	v_cmp_eq_u32_e32 vcc, 0, v0
	s_nop 1
	v_cndmask_b32_e32 v24, v24, v35, vcc
	v_cndmask_b32_e64 v25, v25, 0, vcc
	v_cmp_eq_u16_sdwa vcc, v24, v26 src0_sel:BYTE_0 src1_sel:DWORD
	v_add_u16_e32 v25, v25, v1
	s_waitcnt lgkmcnt(0)
	v_cndmask_b32_e32 v24, 0, v27, vcc
	v_add_u16_e32 v50, v25, v24
	v_cndmask_b32_e64 v24, 0, v50, s[52:53]
	v_add_u16_e32 v24, v24, v18
	v_cndmask_b32_e64 v25, 0, v24, s[4:5]
	;; [unrolled: 2-line block ×23, first 2 shown]
	v_add_u16_e32 v49, v49, v23
	s_branch .LBB319_235
.LBB319_205:
                                        ; implicit-def: $vgpr50
                                        ; implicit-def: $vgpr24
                                        ; implicit-def: $vgpr25
                                        ; implicit-def: $vgpr26
                                        ; implicit-def: $vgpr27
                                        ; implicit-def: $vgpr28
                                        ; implicit-def: $vgpr29
                                        ; implicit-def: $vgpr31
                                        ; implicit-def: $vgpr30
                                        ; implicit-def: $vgpr32
                                        ; implicit-def: $vgpr33
                                        ; implicit-def: $vgpr35
                                        ; implicit-def: $vgpr36
                                        ; implicit-def: $vgpr37
                                        ; implicit-def: $vgpr40
                                        ; implicit-def: $vgpr42
                                        ; implicit-def: $vgpr41
                                        ; implicit-def: $vgpr43
                                        ; implicit-def: $vgpr44
                                        ; implicit-def: $vgpr45
                                        ; implicit-def: $vgpr46
                                        ; implicit-def: $vgpr47
                                        ; implicit-def: $vgpr48
                                        ; implicit-def: $vgpr49
	s_cbranch_execz .LBB319_235
; %bb.206:
	s_cmp_lg_u64 s[74:75], 0
	s_cselect_b32 s5, s63, 0
	s_cselect_b32 s4, s62, 0
	s_cmp_lg_u64 s[4:5], 0
	s_cselect_b64 s[6:7], -1, 0
	v_cmp_eq_u32_e32 vcc, 0, v0
	v_cmp_ne_u32_e64 s[2:3], 0, v0
	s_and_b64 s[8:9], vcc, s[6:7]
	s_and_saveexec_b64 s[6:7], s[8:9]
	s_cbranch_execz .LBB319_208
; %bb.207:
	v_mov_b32_e32 v24, 0
	global_load_ushort v25, v24, s[4:5]
	global_load_ubyte v26, v24, s[4:5] offset:2
	s_mov_b32 s4, 0x10000
	v_and_b32_e32 v24, 0x10000, v1
	v_mov_b32_e32 v27, 1
	v_cmp_gt_u32_e64 s[4:5], s4, v1
	v_mov_b32_e32 v28, 0x10000
	s_waitcnt vmcnt(0)
	v_and_b32_sdwa v26, v26, v27 dst_sel:WORD_1 dst_unused:UNUSED_PAD src0_sel:DWORD src1_sel:DWORD
	v_cndmask_b32_e64 v25, 0, v25, s[4:5]
	v_cmp_eq_u32_e64 s[4:5], 0, v24
	v_add_u16_e32 v1, v25, v1
	s_nop 0
	v_cndmask_b32_e64 v24, v28, v26, s[4:5]
	v_or_b32_e32 v1, v24, v1
.LBB319_208:
	s_or_b64 exec, exec, s[6:7]
	s_mov_b32 s50, 0x10000
	v_cmp_gt_u32_e64 s[4:5], s50, v18
	v_cmp_gt_u32_e64 s[6:7], s50, v19
	;; [unrolled: 1-line block ×3, first 2 shown]
	v_cndmask_b32_e64 v24, 0, v1, s[4:5]
	v_add_u16_e32 v24, v24, v18
	v_cndmask_b32_e64 v25, 0, v24, s[6:7]
	v_add_u16_e32 v25, v25, v19
	v_bfe_u32 v28, v19, 16, 1
	v_mov_b32_e32 v53, 1
	v_cndmask_b32_e64 v26, 0, v25, s[8:9]
	v_lshlrev_b16_e32 v28, 1, v28
	v_and_b32_sdwa v29, v18, v53 dst_sel:DWORD dst_unused:UNUSED_PAD src0_sel:WORD_1 src1_sel:DWORD
	v_add_u16_e32 v26, v26, v20
	v_cmp_gt_u32_e64 s[10:11], s50, v21
	v_or_b32_e32 v28, v29, v28
	v_bfe_u32 v29, v21, 16, 1
	v_and_b32_sdwa v30, v20, v53 dst_sel:DWORD dst_unused:UNUSED_PAD src0_sel:WORD_1 src1_sel:DWORD
	v_cndmask_b32_e64 v27, 0, v26, s[10:11]
	v_lshlrev_b16_e32 v29, 3, v29
	v_lshlrev_b16_e32 v30, 2, v30
	v_add_u16_e32 v27, v27, v21
	v_or_b32_e32 v29, v29, v30
	v_cmp_gt_u32_e64 s[12:13], s50, v38
	v_or_b32_e32 v49, v28, v29
	v_and_b32_e32 v29, 0x10000, v38
	v_cndmask_b32_e64 v28, 0, v27, s[12:13]
	v_add_u16_e32 v28, v28, v38
	v_cmp_gt_u32_e64 s[14:15], s50, v2
	v_cmp_ne_u32_e64 s[52:53], 0, v29
	v_cmp_gt_u32_e64 s[16:17], s50, v3
	v_cndmask_b32_e64 v29, 0, v28, s[14:15]
	v_add_u16_e32 v29, v29, v2
	v_cndmask_b32_e64 v30, 0, v29, s[16:17]
	v_add_u16_e32 v31, v30, v3
	v_cmp_gt_u32_e64 s[18:19], s50, v4
	v_cmp_gt_u32_e64 s[20:21], s50, v5
	;; [unrolled: 1-line block ×3, first 2 shown]
	v_cndmask_b32_e64 v30, 0, v31, s[18:19]
	v_add_u16_e32 v30, v30, v4
	v_cndmask_b32_e64 v32, 0, v30, s[20:21]
	v_add_u16_e32 v32, v32, v5
	;; [unrolled: 2-line block ×3, first 2 shown]
	v_cmp_gt_u32_e64 s[24:25], s50, v7
	v_cmp_gt_u32_e64 s[26:27], s50, v8
	;; [unrolled: 1-line block ×3, first 2 shown]
	v_cndmask_b32_e64 v35, 0, v33, s[24:25]
	v_add_u16_e32 v35, v35, v7
	v_cndmask_b32_e64 v36, 0, v35, s[26:27]
	v_add_u16_e32 v36, v36, v8
	;; [unrolled: 2-line block ×3, first 2 shown]
	v_cmp_gt_u32_e64 s[30:31], s50, v39
	v_and_b32_e32 v41, 0x10000, v39
	v_cmp_gt_u32_e64 s[34:35], s50, v10
	v_cndmask_b32_e64 v40, 0, v37, s[30:31]
	v_add_u16_e32 v40, v40, v39
	v_cmp_ne_u32_e64 s[54:55], 0, v41
	v_cndmask_b32_e64 v41, 0, v40, s[34:35]
	v_add_u16_e32 v42, v41, v10
	v_cmp_gt_u32_e64 s[36:37], s50, v11
	v_cmp_gt_u32_e64 s[38:39], s50, v12
	v_and_b32_e32 v52, 0x10000, v23
	v_cndmask_b32_e64 v41, 0, v42, s[36:37]
	v_add_u16_e32 v41, v41, v11
	v_cndmask_b32_e64 v43, 0, v41, s[38:39]
	v_add_u16_e32 v43, v43, v12
	v_cmp_gt_u32_e64 s[40:41], s50, v13
	v_cmp_ne_u32_e64 s[56:57], 0, v52
	v_or_b32_e32 v52, v16, v8
	v_or_b32_e32 v55, v17, v9
	v_or_b32_e32 v57, v15, v7
	v_cndmask_b32_e64 v44, 0, v43, s[40:41]
	v_or_b32_e32 v56, v14, v6
	v_or_b32_e32 v58, v12, v4
	;; [unrolled: 1-line block ×4, first 2 shown]
	v_bfe_u32 v57, v57, 16, 1
	v_bfe_u32 v55, v55, 16, 1
	v_and_b32_sdwa v52, v52, v53 dst_sel:DWORD dst_unused:UNUSED_PAD src0_sel:WORD_1 src1_sel:DWORD
	v_add_u16_e32 v44, v44, v13
	v_cmp_gt_u32_e64 s[42:43], s50, v14
	v_or_b32_e32 v60, v10, v2
	v_bfe_u32 v61, v61, 16, 1
	v_bfe_u32 v59, v59, 16, 1
	v_and_b32_sdwa v58, v58, v53 dst_sel:DWORD dst_unused:UNUSED_PAD src0_sel:WORD_1 src1_sel:DWORD
	v_lshlrev_b16_e32 v57, 1, v57
	v_and_b32_sdwa v56, v56, v53 dst_sel:DWORD dst_unused:UNUSED_PAD src0_sel:WORD_1 src1_sel:DWORD
	v_lshlrev_b16_e32 v55, 3, v55
	v_lshlrev_b16_e32 v52, 2, v52
	v_cndmask_b32_e64 v45, 0, v44, s[42:43]
	v_lshlrev_b16_e32 v61, 1, v61
	v_and_b32_sdwa v60, v60, v53 dst_sel:DWORD dst_unused:UNUSED_PAD src0_sel:WORD_1 src1_sel:DWORD
	v_lshlrev_b16_e32 v59, 3, v59
	v_lshlrev_b16_e32 v58, 2, v58
	v_or_b32_e32 v56, v56, v57
	v_or_b32_e32 v52, v55, v52
	v_add_u16_e32 v45, v45, v14
	v_cmp_gt_u32_e64 s[44:45], s50, v15
	v_or_b32_e32 v60, v60, v61
	v_or_b32_e32 v58, v59, v58
	;; [unrolled: 1-line block ×3, first 2 shown]
	v_cndmask_b32_e64 v46, 0, v45, s[44:45]
	v_or_b32_e32 v58, v60, v58
	v_lshlrev_b16_e32 v52, 4, v52
	v_add_u16_e32 v46, v46, v15
	v_cmp_gt_u32_e64 s[46:47], s50, v16
	v_or_b32_e32 v52, v58, v52
	v_or_b32_e32 v49, v52, v49
	v_cndmask_b32_e64 v47, 0, v46, s[46:47]
	v_mov_b32_e32 v52, 0
	v_add_u16_e32 v47, v47, v16
	v_cmp_gt_u32_e64 s[48:49], s50, v17
	v_cmp_ne_u16_sdwa s[60:61], v49, v52 src0_sel:BYTE_0 src1_sel:DWORD
	s_or_b64 s[56:57], s[56:57], s[60:61]
	v_cndmask_b32_e64 v48, 0, v47, s[48:49]
	v_add_u16_e32 v48, v48, v17
	v_cmp_gt_u32_e64 s[50:51], s50, v23
	s_or_b64 s[54:55], s[56:57], s[54:55]
	v_lshrrev_b32_e32 v50, 16, v1
	v_cndmask_b32_e64 v54, 0, v48, s[50:51]
	s_or_b64 s[52:53], s[54:55], s[52:53]
	v_cndmask_b32_e64 v52, v50, 1, s[52:53]
	v_mbcnt_hi_u32_b32 v34, -1, v34
	v_add_u16_e32 v49, v54, v23
	v_add_u16_e32 v51, v54, v23
	v_and_b32_e32 v55, 15, v34
	v_lshl_or_b32 v54, v52, 16, v49
	v_cmp_ne_u32_e64 s[52:53], 0, v55
	s_nop 0
	v_mov_b32_dpp v56, v54 row_shr:1 row_mask:0xf bank_mask:0xf
	s_and_saveexec_b64 s[54:55], s[52:53]
; %bb.209:
	v_cmp_eq_u32_e64 s[52:53], 0, v52
	v_and_b32_e32 v52, 1, v52
	v_and_b32_sdwa v53, v56, v53 dst_sel:DWORD dst_unused:UNUSED_PAD src0_sel:WORD_1 src1_sel:DWORD
	v_cndmask_b32_e64 v54, 0, v56, s[52:53]
	v_cmp_eq_u32_e64 s[52:53], 1, v52
	v_add_u16_e32 v57, v51, v54
	v_add_u16_e32 v51, v51, v54
	v_cndmask_b32_e64 v52, v53, 1, s[52:53]
	v_lshlrev_b32_e32 v53, 16, v52
	v_or_b32_e32 v54, v53, v51
	v_mov_b32_e32 v51, v57
; %bb.210:
	s_or_b64 exec, exec, s[54:55]
	v_lshrrev_b32_e32 v53, 16, v54
	v_mov_b32_dpp v56, v54 row_shr:2 row_mask:0xf bank_mask:0xf
	v_cmp_lt_u32_e64 s[52:53], 1, v55
	s_and_saveexec_b64 s[54:55], s[52:53]
	s_cbranch_execz .LBB319_212
; %bb.211:
	s_mov_b32 s52, 0x10000
	v_cmp_gt_u32_e64 s[52:53], s52, v54
	v_and_b32_e32 v52, 0x10000, v54
	v_mov_b32_e32 v54, 1
	v_cndmask_b32_e64 v53, 0, v56, s[52:53]
	v_and_b32_sdwa v54, v56, v54 dst_sel:DWORD dst_unused:UNUSED_PAD src0_sel:WORD_1 src1_sel:DWORD
	v_cmp_ne_u32_e64 s[52:53], 0, v52
	v_add_u16_e32 v57, v53, v51
	v_add_u16_e32 v51, v53, v51
	v_cndmask_b32_e64 v52, v54, 1, s[52:53]
	v_lshlrev_b32_e32 v54, 16, v52
	v_or_b32_e32 v54, v54, v51
	v_mov_b32_e32 v53, v52
	v_mov_b32_e32 v51, v57
.LBB319_212:
	s_or_b64 exec, exec, s[54:55]
	v_mov_b32_dpp v56, v54 row_shr:4 row_mask:0xf bank_mask:0xf
	v_cmp_lt_u32_e64 s[52:53], 3, v55
	s_and_saveexec_b64 s[54:55], s[52:53]
	s_cbranch_execz .LBB319_214
; %bb.213:
	v_mov_b32_e32 v52, 0
	v_cmp_eq_u16_sdwa s[52:53], v53, v52 src0_sel:BYTE_0 src1_sel:DWORD
	v_and_b32_e32 v52, 1, v53
	v_mov_b32_e32 v53, 1
	v_cndmask_b32_e64 v54, 0, v56, s[52:53]
	v_and_b32_sdwa v53, v56, v53 dst_sel:DWORD dst_unused:UNUSED_PAD src0_sel:WORD_1 src1_sel:DWORD
	v_cmp_eq_u32_e64 s[52:53], 1, v52
	v_add_u16_e32 v57, v54, v51
	v_add_u16_e32 v51, v54, v51
	v_cndmask_b32_e64 v52, v53, 1, s[52:53]
	v_lshlrev_b32_e32 v53, 16, v52
	v_or_b32_e32 v54, v53, v51
	v_mov_b32_e32 v53, v52
	v_mov_b32_e32 v51, v57
.LBB319_214:
	s_or_b64 exec, exec, s[54:55]
	v_mov_b32_dpp v56, v54 row_shr:8 row_mask:0xf bank_mask:0xf
	v_cmp_lt_u32_e64 s[52:53], 7, v55
	s_and_saveexec_b64 s[54:55], s[52:53]
	s_cbranch_execz .LBB319_216
; %bb.215:
	v_mov_b32_e32 v52, 0
	v_cmp_eq_u16_sdwa s[52:53], v53, v52 src0_sel:BYTE_0 src1_sel:DWORD
	v_and_b32_e32 v52, 1, v53
	v_mov_b32_e32 v53, 1
	v_cndmask_b32_e64 v54, 0, v56, s[52:53]
	v_and_b32_sdwa v53, v56, v53 dst_sel:DWORD dst_unused:UNUSED_PAD src0_sel:WORD_1 src1_sel:DWORD
	v_cmp_eq_u32_e64 s[52:53], 1, v52
	v_add_u16_e32 v55, v54, v51
	v_add_u16_e32 v51, v54, v51
	v_cndmask_b32_e64 v52, v53, 1, s[52:53]
	v_lshlrev_b32_e32 v53, 16, v52
	v_or_b32_e32 v54, v53, v51
	v_mov_b32_e32 v53, v52
	v_mov_b32_e32 v51, v55
.LBB319_216:
	s_or_b64 exec, exec, s[54:55]
	v_and_b32_e32 v56, 16, v34
	v_mov_b32_dpp v55, v54 row_bcast:15 row_mask:0xf bank_mask:0xf
	v_cmp_ne_u32_e64 s[52:53], 0, v56
	s_and_saveexec_b64 s[54:55], s[52:53]
	s_cbranch_execz .LBB319_218
; %bb.217:
	v_mov_b32_e32 v52, 0
	v_cmp_eq_u16_sdwa s[52:53], v53, v52 src0_sel:BYTE_0 src1_sel:DWORD
	v_and_b32_e32 v52, 1, v53
	v_mov_b32_e32 v53, 1
	v_cndmask_b32_e64 v54, 0, v55, s[52:53]
	v_and_b32_sdwa v53, v55, v53 dst_sel:DWORD dst_unused:UNUSED_PAD src0_sel:WORD_1 src1_sel:DWORD
	v_cmp_eq_u32_e64 s[52:53], 1, v52
	v_add_u16_e32 v56, v54, v51
	v_add_u16_e32 v51, v54, v51
	v_cndmask_b32_e64 v52, v53, 1, s[52:53]
	v_lshlrev_b32_e32 v53, 16, v52
	v_or_b32_e32 v54, v53, v51
	v_mov_b32_e32 v51, v56
	v_mov_b32_e32 v53, v52
.LBB319_218:
	s_or_b64 exec, exec, s[54:55]
	v_mov_b32_dpp v54, v54 row_bcast:31 row_mask:0xf bank_mask:0xf
	v_cmp_lt_u32_e64 s[52:53], 31, v34
	s_and_saveexec_b64 s[54:55], s[52:53]
; %bb.219:
	v_mov_b32_e32 v52, 0
	v_cmp_eq_u16_sdwa s[52:53], v53, v52 src0_sel:BYTE_0 src1_sel:DWORD
	s_nop 1
	v_cndmask_b32_e64 v52, 0, v54, s[52:53]
	v_add_u16_e32 v51, v52, v51
	v_and_b32_e32 v52, 1, v53
	v_mov_b32_e32 v53, 1
	v_and_b32_sdwa v53, v54, v53 dst_sel:DWORD dst_unused:UNUSED_PAD src0_sel:WORD_1 src1_sel:DWORD
	v_cmp_eq_u32_e64 s[52:53], 1, v52
	s_nop 1
	v_cndmask_b32_e64 v52, v53, 1, s[52:53]
; %bb.220:
	s_or_b64 exec, exec, s[54:55]
	v_or_b32_e32 v54, 63, v0
	v_lshrrev_b32_e32 v53, 6, v0
	v_cmp_eq_u32_e64 s[52:53], v54, v0
	s_and_saveexec_b64 s[54:55], s[52:53]
	s_cbranch_execz .LBB319_222
; %bb.221:
	v_lshlrev_b32_e32 v54, 2, v53
	ds_write_b16 v54, v51
	ds_write_b8 v54, v52 offset:2
.LBB319_222:
	s_or_b64 exec, exec, s[54:55]
	v_cmp_gt_u32_e64 s[52:53], 4, v0
	s_waitcnt lgkmcnt(0)
	s_barrier
	s_and_saveexec_b64 s[54:55], s[52:53]
	s_cbranch_execz .LBB319_228
; %bb.223:
	v_lshlrev_b32_e32 v54, 2, v0
	ds_read_b32 v55, v54
	v_and_b32_e32 v58, 3, v34
	v_cmp_ne_u32_e64 s[52:53], 0, v58
	s_waitcnt lgkmcnt(0)
	v_lshrrev_b32_e32 v57, 16, v55
	v_mov_b32_dpp v59, v55 row_shr:1 row_mask:0xf bank_mask:0xf
	v_mov_b32_e32 v56, v55
	s_and_saveexec_b64 s[56:57], s[52:53]
	s_cbranch_execz .LBB319_225
; %bb.224:
	v_mov_b32_e32 v56, 0
	v_cmp_eq_u16_sdwa s[52:53], v57, v56 src0_sel:BYTE_0 src1_sel:DWORD
	v_and_b32_e32 v57, 0x10000, v55
	v_mov_b32_e32 v62, 1
	v_cndmask_b32_e64 v61, 0, v59, s[52:53]
	v_and_b32_sdwa v59, v59, v62 dst_sel:DWORD dst_unused:UNUSED_PAD src0_sel:WORD_1 src1_sel:DWORD
	v_cmp_ne_u32_e64 s[52:53], 0, v57
	v_and_b32_e32 v60, 0xff000000, v55
	v_add_u16_e32 v56, v61, v55
	v_cndmask_b32_e64 v57, v59, 1, s[52:53]
	v_lshlrev_b32_e32 v59, 16, v57
	v_add_u16_e32 v55, v61, v55
	v_or3_b32 v55, v59, v60, v55
.LBB319_225:
	s_or_b64 exec, exec, s[56:57]
	s_nop 0
	v_mov_b32_dpp v59, v55 row_shr:2 row_mask:0xf bank_mask:0xf
	v_cmp_lt_u32_e64 s[52:53], 1, v58
	s_and_saveexec_b64 s[56:57], s[52:53]
; %bb.226:
	v_and_b32_e32 v57, 0xff0000, v55
	v_cmp_eq_u32_e64 s[52:53], 0, v57
	v_and_b32_e32 v55, 0x10000, v55
	s_nop 0
	v_cndmask_b32_e64 v57, 0, v59, s[52:53]
	v_add_u16_e32 v56, v57, v56
	v_mov_b32_e32 v57, 1
	v_and_b32_sdwa v57, v59, v57 dst_sel:DWORD dst_unused:UNUSED_PAD src0_sel:WORD_1 src1_sel:DWORD
	v_cmp_eq_u32_e64 s[52:53], 0, v55
	s_nop 1
	v_cndmask_b32_e64 v57, 1, v57, s[52:53]
; %bb.227:
	s_or_b64 exec, exec, s[56:57]
	ds_write_b16 v54, v56
	ds_write_b8 v54, v57 offset:2
.LBB319_228:
	s_or_b64 exec, exec, s[54:55]
	v_cmp_lt_u32_e64 s[52:53], 63, v0
	v_mov_b32_e32 v54, 0
	s_waitcnt lgkmcnt(0)
	s_barrier
	s_and_saveexec_b64 s[54:55], s[52:53]
	s_cbranch_execz .LBB319_230
; %bb.229:
	v_lshl_add_u32 v53, v53, 2, -4
	ds_read_u16 v54, v53
	ds_read_u8 v53, v53 offset:2
	v_mov_b32_e32 v55, 0
	v_and_b32_e32 v56, 1, v52
	v_cmp_eq_u16_sdwa s[52:53], v52, v55 src0_sel:BYTE_0 src1_sel:DWORD
	s_waitcnt lgkmcnt(1)
	s_nop 0
	v_cndmask_b32_e64 v52, 0, v54, s[52:53]
	v_cmp_eq_u32_e64 s[52:53], 1, v56
	v_add_u16_e32 v51, v52, v51
	s_waitcnt lgkmcnt(0)
	v_cndmask_b32_e64 v52, v53, 1, s[52:53]
.LBB319_230:
	s_or_b64 exec, exec, s[54:55]
	v_and_b32_e32 v52, 0xff, v52
	v_and_b32_e32 v51, 0xffff, v51
	v_lshl_or_b32 v51, v52, 16, v51
	v_add_u32_e32 v52, -1, v34
	v_and_b32_e32 v53, 64, v34
	v_cmp_lt_i32_e64 s[52:53], v52, v53
	s_nop 1
	v_cndmask_b32_e64 v52, v52, v34, s[52:53]
	v_lshlrev_b32_e32 v52, 2, v52
	ds_bpermute_b32 v51, v52, v51
	s_and_saveexec_b64 s[52:53], s[2:3]
	s_cbranch_execz .LBB319_232
; %bb.231:
	v_cmp_eq_u32_e64 s[2:3], 0, v34
	v_and_b32_e32 v25, 0xff0000, v1
	v_mov_b32_e32 v50, 0
	s_waitcnt lgkmcnt(0)
	v_cndmask_b32_e64 v24, v51, v54, s[2:3]
	v_and_b32_e32 v24, 0xffff, v24
	v_cmp_eq_u32_e64 s[2:3], 0, v25
	;;#ASMSTART
	;;#ASMEND
	s_nop 1
	v_cndmask_b32_e64 v24, 0, v24, s[2:3]
	v_add_u32_e32 v1, v24, v1
	v_cndmask_b32_e64 v24, 0, v1, s[4:5]
	v_add_u16_e32 v24, v24, v18
	v_cndmask_b32_e64 v18, 0, v24, s[6:7]
	v_add_u16_e32 v25, v18, v19
	;; [unrolled: 2-line block ×23, first 2 shown]
.LBB319_232:
	s_or_b64 exec, exec, s[52:53]
	s_and_saveexec_b64 s[2:3], vcc
	s_cbranch_execz .LBB319_234
; %bb.233:
	v_mov_b32_e32 v4, 0
	ds_read_u8 v2, v4 offset:14
	ds_read_u16 v3, v4 offset:12
	s_waitcnt lgkmcnt(1)
	v_lshlrev_b32_e32 v2, 16, v2
	s_waitcnt lgkmcnt(0)
	v_or_b32_e32 v2, v2, v3
	v_mov_b32_e32 v3, 2
	global_store_dwordx2 v4, v[2:3], s[68:69] offset:512 sc1
.LBB319_234:
	s_or_b64 exec, exec, s[2:3]
	v_lshl_or_b32 v50, v50, 16, v1
.LBB319_235:
	s_add_u32 s2, s58, s72
	s_addc_u32 s3, s59, s73
	s_add_u32 s2, s2, s64
	s_addc_u32 s3, s3, s65
	s_and_b64 vcc, exec, s[0:1]
	v_mul_u32_u24_e32 v4, 24, v0
	s_cbranch_vccz .LBB319_285
; %bb.236:
	s_add_i32 s33, s33, s70
	v_cmp_le_u32_e32 vcc, s33, v4
	v_or_b32_e32 v8, 1, v4
	v_or_b32_e32 v7, 2, v4
	;; [unrolled: 1-line block ×7, first 2 shown]
	s_and_saveexec_b64 s[0:1], vcc
	s_xor_b64 s[0:1], exec, s[0:1]
; %bb.237:
	v_or_b32_e32 v8, 1, v4
	v_or_b32_e32 v7, 2, v4
	v_or_b32_e32 v6, 3, v4
	v_or_b32_e32 v5, 4, v4
	v_or_b32_e32 v3, 5, v4
	v_or_b32_e32 v2, 6, v4
	v_or_b32_e32 v1, 7, v4
; %bb.238:
	s_andn2_saveexec_b64 s[0:1], s[0:1]
	s_or_b64 exec, exec, s[0:1]
	v_lshlrev_b32_e32 v39, 1, v4
	v_lshlrev_b32_e32 v8, 1, v8
	;; [unrolled: 1-line block ×4, first 2 shown]
	s_mov_b32 s0, 0x5040100
	s_waitcnt lgkmcnt(0)
	s_barrier
	ds_write_b16 v39, v50
	ds_write_b16 v8, v24
	;; [unrolled: 1-line block ×4, first 2 shown]
	v_lshlrev_b32_e32 v5, 1, v5
	v_lshlrev_b32_e32 v3, 1, v3
	;; [unrolled: 1-line block ×4, first 2 shown]
	v_perm_b32 v9, v42, v40, s0
	v_perm_b32 v8, v37, v36, s0
	;; [unrolled: 1-line block ×4, first 2 shown]
	ds_write_b16 v5, v27
	ds_write_b16 v3, v28
	;; [unrolled: 1-line block ×4, first 2 shown]
	ds_write_b128 v39, v[6:9] offset:16
	v_perm_b32 v9, v49, v48, s0
	v_perm_b32 v8, v47, v46, s0
	;; [unrolled: 1-line block ×4, first 2 shown]
	s_movk_i32 s0, 0xffd2
	v_mad_i32_i24 v2, v0, s0, v39
	ds_write_b128 v39, v[6:9] offset:32
	s_waitcnt lgkmcnt(0)
	s_barrier
	ds_read_u16 v53, v2 offset:512
	ds_read_u16 v52, v2 offset:1024
	;; [unrolled: 1-line block ×23, first 2 shown]
	v_mov_b32_e32 v23, 0
	v_lshl_add_u64 v[2:3], s[2:3], 0, v[22:23]
	v_cmp_gt_u32_e32 vcc, s33, v0
	s_and_saveexec_b64 s[0:1], vcc
	s_cbranch_execz .LBB319_240
; %bb.239:
	v_mul_i32_i24_e32 v54, 0xffffffd2, v0
	v_add_u32_e32 v39, v39, v54
	ds_read_u16 v39, v39
	s_waitcnt lgkmcnt(0)
	flat_store_short v[2:3], v39
.LBB319_240:
	s_or_b64 exec, exec, s[0:1]
	v_or_b32_e32 v39, 0x100, v0
	v_cmp_gt_u32_e32 vcc, s33, v39
	s_and_saveexec_b64 s[0:1], vcc
	s_cbranch_execz .LBB319_242
; %bb.241:
	s_waitcnt lgkmcnt(0)
	flat_store_short v[2:3], v53 offset:512
.LBB319_242:
	s_or_b64 exec, exec, s[0:1]
	v_or_b32_e32 v39, 0x200, v0
	v_cmp_gt_u32_e32 vcc, s33, v39
	s_and_saveexec_b64 s[0:1], vcc
	s_cbranch_execz .LBB319_244
; %bb.243:
	s_waitcnt lgkmcnt(0)
	flat_store_short v[2:3], v52 offset:1024
.LBB319_244:
	;; [unrolled: 9-line block ×4, first 2 shown]
	s_or_b64 exec, exec, s[0:1]
	s_waitcnt lgkmcnt(0)
	v_or_b32_e32 v38, 0x500, v0
	v_cmp_gt_u32_e32 vcc, s33, v38
	s_and_saveexec_b64 s[0:1], vcc
	s_cbranch_execz .LBB319_250
; %bb.249:
	flat_store_short v[2:3], v34 offset:2560
.LBB319_250:
	s_or_b64 exec, exec, s[0:1]
	v_or_b32_e32 v34, 0x600, v0
	v_cmp_gt_u32_e32 vcc, s33, v34
	s_and_saveexec_b64 s[0:1], vcc
	s_cbranch_execz .LBB319_252
; %bb.251:
	flat_store_short v[2:3], v21 offset:3072
.LBB319_252:
	s_or_b64 exec, exec, s[0:1]
	;; [unrolled: 8-line block ×3, first 2 shown]
	v_or_b32_e32 v20, 0x800, v0
	v_cmp_gt_u32_e32 vcc, s33, v20
	s_and_saveexec_b64 s[0:1], vcc
	s_cbranch_execz .LBB319_256
; %bb.255:
	v_add_co_u32_e32 v20, vcc, 0x1000, v2
	s_nop 1
	v_addc_co_u32_e32 v21, vcc, 0, v3, vcc
	flat_store_short v[20:21], v19
.LBB319_256:
	s_or_b64 exec, exec, s[0:1]
	v_or_b32_e32 v19, 0x900, v0
	v_cmp_gt_u32_e32 vcc, s33, v19
	s_and_saveexec_b64 s[0:1], vcc
	s_cbranch_execz .LBB319_258
; %bb.257:
	v_add_co_u32_e32 v20, vcc, 0x1000, v2
	s_nop 1
	v_addc_co_u32_e32 v21, vcc, 0, v3, vcc
	flat_store_short v[20:21], v18 offset:512
.LBB319_258:
	s_or_b64 exec, exec, s[0:1]
	v_or_b32_e32 v18, 0xa00, v0
	v_cmp_gt_u32_e32 vcc, s33, v18
	s_and_saveexec_b64 s[0:1], vcc
	s_cbranch_execz .LBB319_260
; %bb.259:
	v_add_co_u32_e32 v18, vcc, 0x1000, v2
	s_nop 1
	v_addc_co_u32_e32 v19, vcc, 0, v3, vcc
	flat_store_short v[18:19], v17 offset:1024
.LBB319_260:
	;; [unrolled: 11-line block ×7, first 2 shown]
	s_or_b64 exec, exec, s[0:1]
	v_or_b32_e32 v12, 0x1000, v0
	v_cmp_gt_u32_e32 vcc, s33, v12
	s_and_saveexec_b64 s[0:1], vcc
	s_cbranch_execz .LBB319_272
; %bb.271:
	v_add_co_u32_e32 v12, vcc, 0x2000, v2
	s_nop 1
	v_addc_co_u32_e32 v13, vcc, 0, v3, vcc
	flat_store_short v[12:13], v11
.LBB319_272:
	s_or_b64 exec, exec, s[0:1]
	v_or_b32_e32 v11, 0x1100, v0
	v_cmp_gt_u32_e32 vcc, s33, v11
	s_and_saveexec_b64 s[0:1], vcc
	s_cbranch_execz .LBB319_274
; %bb.273:
	v_add_co_u32_e32 v12, vcc, 0x2000, v2
	s_nop 1
	v_addc_co_u32_e32 v13, vcc, 0, v3, vcc
	flat_store_short v[12:13], v10 offset:512
.LBB319_274:
	s_or_b64 exec, exec, s[0:1]
	v_or_b32_e32 v10, 0x1200, v0
	v_cmp_gt_u32_e32 vcc, s33, v10
	s_and_saveexec_b64 s[0:1], vcc
	s_cbranch_execz .LBB319_276
; %bb.275:
	v_add_co_u32_e32 v10, vcc, 0x2000, v2
	s_nop 1
	v_addc_co_u32_e32 v11, vcc, 0, v3, vcc
	flat_store_short v[10:11], v9 offset:1024
.LBB319_276:
	;; [unrolled: 11-line block ×6, first 2 shown]
	s_or_b64 exec, exec, s[0:1]
	v_or_b32_e32 v2, 0x1700, v0
	v_mov_b32_e32 v1, v23
	v_cmp_gt_u32_e64 s[0:1], s33, v2
	s_branch .LBB319_287
.LBB319_285:
	s_mov_b64 s[0:1], 0
                                        ; implicit-def: $vgpr5
	s_cbranch_execz .LBB319_287
; %bb.286:
	s_mov_b32 s4, 0x5040100
	v_lshlrev_b32_e32 v6, 1, v4
	v_perm_b32 v5, v31, v29, s4
	v_perm_b32 v4, v28, v27, s4
	;; [unrolled: 1-line block ×4, first 2 shown]
	s_waitcnt lgkmcnt(0)
	s_barrier
	ds_write_b128 v6, v[2:5]
	v_perm_b32 v5, v42, v40, s4
	v_perm_b32 v4, v37, v36, s4
	v_perm_b32 v3, v35, v33, s4
	v_perm_b32 v2, v32, v30, s4
	ds_write_b128 v6, v[2:5] offset:16
	v_perm_b32 v4, v47, v46, s4
	v_perm_b32 v3, v45, v44, s4
	v_perm_b32 v2, v43, v41, s4
	v_perm_b32 v5, v49, v48, s4
	v_mov_b32_e32 v1, 0
	s_movk_i32 s4, 0xffd2
	ds_write_b128 v6, v[2:5] offset:32
	v_mad_i32_i24 v2, v0, s4, v6
	v_mov_b32_e32 v23, v1
	s_waitcnt lgkmcnt(0)
	s_barrier
	ds_read_u16 v4, v2
	ds_read_u16 v6, v2 offset:512
	ds_read_u16 v7, v2 offset:1024
	;; [unrolled: 1-line block ×23, first 2 shown]
	v_lshl_add_u64 v[2:3], s[2:3], 0, v[22:23]
	s_movk_i32 s4, 0x1000
	s_waitcnt lgkmcnt(0)
	flat_store_short v[2:3], v4
	flat_store_short v[2:3], v6 offset:512
	flat_store_short v[2:3], v7 offset:1024
	;; [unrolled: 1-line block ×7, first 2 shown]
	v_add_co_u32_e32 v6, vcc, s4, v2
	s_or_b64 s[0:1], s[0:1], exec
	s_nop 0
	v_addc_co_u32_e32 v7, vcc, 0, v3, vcc
	v_add_co_u32_e32 v2, vcc, 0x2000, v2
	flat_store_short v[6:7], v13
	flat_store_short v[6:7], v14 offset:512
	flat_store_short v[6:7], v15 offset:1024
	;; [unrolled: 1-line block ×7, first 2 shown]
	v_addc_co_u32_e32 v3, vcc, 0, v3, vcc
	flat_store_short v[2:3], v21
	flat_store_short v[2:3], v24 offset:512
	flat_store_short v[2:3], v25 offset:1024
	;; [unrolled: 1-line block ×6, first 2 shown]
.LBB319_287:
	s_and_saveexec_b64 s[4:5], s[0:1]
	s_cbranch_execnz .LBB319_289
; %bb.288:
	s_endpgm
.LBB319_289:
	v_lshl_add_u64 v[0:1], v[0:1], 1, s[2:3]
	v_add_co_u32_e32 v0, vcc, 0x2000, v0
	s_nop 1
	v_addc_co_u32_e32 v1, vcc, 0, v1, vcc
	flat_store_short v[0:1], v5 offset:3584
	s_endpgm
.LBB319_290:
	v_lshl_add_u64 v[52:53], s[54:55], 0, v[36:37]
	flat_load_ushort v1, v[52:53]
	s_or_b64 exec, exec, s[60:61]
                                        ; implicit-def: $vgpr51
	s_and_saveexec_b64 s[52:53], s[4:5]
	s_cbranch_execz .LBB319_57
.LBB319_291:
	v_mov_b32_e32 v37, 0
	v_lshl_add_u64 v[52:53], s[54:55], 0, v[36:37]
	flat_load_ushort v51, v[52:53] offset:512
	s_or_b64 exec, exec, s[52:53]
                                        ; implicit-def: $vgpr52
	s_and_saveexec_b64 s[4:5], s[6:7]
	s_cbranch_execz .LBB319_58
.LBB319_292:
	v_mov_b32_e32 v37, 0
	v_lshl_add_u64 v[52:53], s[54:55], 0, v[36:37]
	flat_load_ushort v52, v[52:53] offset:1024
	s_or_b64 exec, exec, s[4:5]
                                        ; implicit-def: $vgpr53
	s_and_saveexec_b64 s[4:5], s[8:9]
	s_cbranch_execz .LBB319_59
.LBB319_293:
	v_mov_b32_e32 v37, 0
	v_lshl_add_u64 v[54:55], s[54:55], 0, v[36:37]
	flat_load_ushort v53, v[54:55] offset:1536
	s_or_b64 exec, exec, s[4:5]
                                        ; implicit-def: $vgpr54
	s_and_saveexec_b64 s[4:5], s[10:11]
	s_cbranch_execz .LBB319_60
.LBB319_294:
	v_mov_b32_e32 v37, 0
	v_lshl_add_u64 v[54:55], s[54:55], 0, v[36:37]
	flat_load_ushort v54, v[54:55] offset:2048
	s_or_b64 exec, exec, s[4:5]
                                        ; implicit-def: $vgpr55
	s_and_saveexec_b64 s[4:5], s[12:13]
	s_cbranch_execz .LBB319_61
.LBB319_295:
	v_mov_b32_e32 v37, 0
	v_lshl_add_u64 v[56:57], s[54:55], 0, v[36:37]
	flat_load_ushort v55, v[56:57] offset:2560
	s_or_b64 exec, exec, s[4:5]
                                        ; implicit-def: $vgpr56
	s_and_saveexec_b64 s[4:5], s[14:15]
	s_cbranch_execz .LBB319_62
.LBB319_296:
	v_mov_b32_e32 v37, 0
	v_lshl_add_u64 v[56:57], s[54:55], 0, v[36:37]
	flat_load_ushort v56, v[56:57] offset:3072
	s_or_b64 exec, exec, s[4:5]
                                        ; implicit-def: $vgpr37
	s_and_saveexec_b64 s[4:5], s[16:17]
	s_cbranch_execz .LBB319_63
.LBB319_297:
	v_mov_b32_e32 v37, 0
	v_lshl_add_u64 v[58:59], s[54:55], 0, v[36:37]
	flat_load_ushort v37, v[58:59] offset:3584
	s_or_b64 exec, exec, s[4:5]
                                        ; implicit-def: $vgpr3
	s_and_saveexec_b64 s[4:5], s[18:19]
	s_cbranch_execz .LBB319_64
.LBB319_298:
	v_mov_b32_e32 v3, 0
	v_lshl_add_u64 v[2:3], s[54:55], 0, v[2:3]
	flat_load_ushort v3, v[2:3]
	s_or_b64 exec, exec, s[4:5]
                                        ; implicit-def: $vgpr2
	s_and_saveexec_b64 s[4:5], s[20:21]
	s_cbranch_execz .LBB319_65
.LBB319_299:
	v_mov_b32_e32 v5, 0
	v_lshl_add_u64 v[4:5], s[54:55], 0, v[4:5]
	flat_load_ushort v2, v[4:5]
	s_or_b64 exec, exec, s[4:5]
                                        ; implicit-def: $vgpr4
	s_and_saveexec_b64 s[4:5], s[22:23]
	s_cbranch_execz .LBB319_66
.LBB319_300:
	v_mov_b32_e32 v7, 0
	v_lshl_add_u64 v[4:5], s[54:55], 0, v[6:7]
	flat_load_ushort v4, v[4:5]
	s_or_b64 exec, exec, s[4:5]
                                        ; implicit-def: $vgpr5
	s_and_saveexec_b64 s[4:5], s[24:25]
	s_cbranch_execz .LBB319_67
.LBB319_301:
	v_mov_b32_e32 v9, 0
	v_lshl_add_u64 v[6:7], s[54:55], 0, v[8:9]
	flat_load_ushort v5, v[6:7]
	s_or_b64 exec, exec, s[4:5]
                                        ; implicit-def: $vgpr6
	s_and_saveexec_b64 s[4:5], s[26:27]
	s_cbranch_execz .LBB319_68
.LBB319_302:
	v_mov_b32_e32 v11, 0
	v_lshl_add_u64 v[6:7], s[54:55], 0, v[10:11]
	flat_load_ushort v6, v[6:7]
	s_or_b64 exec, exec, s[4:5]
                                        ; implicit-def: $vgpr7
	s_and_saveexec_b64 s[4:5], s[28:29]
	s_cbranch_execz .LBB319_69
.LBB319_303:
	v_mov_b32_e32 v13, 0
	v_lshl_add_u64 v[8:9], s[54:55], 0, v[12:13]
	flat_load_ushort v7, v[8:9]
	s_or_b64 exec, exec, s[4:5]
                                        ; implicit-def: $vgpr8
	s_and_saveexec_b64 s[4:5], s[30:31]
	s_cbranch_execz .LBB319_70
.LBB319_304:
	v_mov_b32_e32 v15, 0
	v_lshl_add_u64 v[8:9], s[54:55], 0, v[14:15]
	flat_load_ushort v8, v[8:9]
	s_or_b64 exec, exec, s[4:5]
                                        ; implicit-def: $vgpr9
	s_and_saveexec_b64 s[4:5], s[34:35]
	s_cbranch_execz .LBB319_71
.LBB319_305:
	v_mov_b32_e32 v17, 0
	v_lshl_add_u64 v[10:11], s[54:55], 0, v[16:17]
	flat_load_ushort v9, v[10:11]
	s_or_b64 exec, exec, s[4:5]
                                        ; implicit-def: $vgpr10
	s_and_saveexec_b64 s[4:5], s[36:37]
	s_cbranch_execz .LBB319_72
.LBB319_306:
	v_mov_b32_e32 v19, 0
	v_lshl_add_u64 v[10:11], s[54:55], 0, v[18:19]
	flat_load_ushort v10, v[10:11]
	s_or_b64 exec, exec, s[4:5]
                                        ; implicit-def: $vgpr11
	s_and_saveexec_b64 s[4:5], s[38:39]
	s_cbranch_execz .LBB319_73
.LBB319_307:
	v_mov_b32_e32 v21, 0
	v_lshl_add_u64 v[12:13], s[54:55], 0, v[20:21]
	flat_load_ushort v11, v[12:13]
	s_or_b64 exec, exec, s[4:5]
                                        ; implicit-def: $vgpr12
	s_and_saveexec_b64 s[4:5], s[40:41]
	s_cbranch_execz .LBB319_74
.LBB319_308:
	v_mov_b32_e32 v35, 0
	v_lshl_add_u64 v[12:13], s[54:55], 0, v[34:35]
	flat_load_ushort v12, v[12:13]
	s_or_b64 exec, exec, s[4:5]
                                        ; implicit-def: $vgpr13
	s_and_saveexec_b64 s[4:5], s[42:43]
	s_cbranch_execz .LBB319_75
.LBB319_309:
	v_mov_b32_e32 v39, 0
	v_lshl_add_u64 v[14:15], s[54:55], 0, v[38:39]
	flat_load_ushort v13, v[14:15]
	s_or_b64 exec, exec, s[4:5]
                                        ; implicit-def: $vgpr14
	s_and_saveexec_b64 s[4:5], s[44:45]
	s_cbranch_execz .LBB319_76
.LBB319_310:
	v_mov_b32_e32 v41, 0
	v_lshl_add_u64 v[14:15], s[54:55], 0, v[40:41]
	flat_load_ushort v14, v[14:15]
	s_or_b64 exec, exec, s[4:5]
                                        ; implicit-def: $vgpr15
	s_and_saveexec_b64 s[4:5], s[46:47]
	s_cbranch_execz .LBB319_77
.LBB319_311:
	v_mov_b32_e32 v43, 0
	v_lshl_add_u64 v[16:17], s[54:55], 0, v[42:43]
	flat_load_ushort v15, v[16:17]
	s_or_b64 exec, exec, s[4:5]
                                        ; implicit-def: $vgpr16
	s_and_saveexec_b64 s[4:5], s[48:49]
	s_cbranch_execz .LBB319_78
.LBB319_312:
	v_mov_b32_e32 v45, 0
	v_lshl_add_u64 v[16:17], s[54:55], 0, v[44:45]
	flat_load_ushort v16, v[16:17]
	s_or_b64 exec, exec, s[4:5]
                                        ; implicit-def: $vgpr17
	s_and_saveexec_b64 s[4:5], s[50:51]
	s_cbranch_execnz .LBB319_79
	s_branch .LBB319_80
.LBB319_313:
                                        ; implicit-def: $sgpr60_sgpr61
	s_branch .LBB319_52
.LBB319_314:
                                        ; implicit-def: $sgpr4_sgpr5
	s_branch .LBB319_131
	.section	.rodata,"a",@progbits
	.p2align	6, 0x0
	.amdhsa_kernel _ZN7rocprim17ROCPRIM_400000_NS6detail17trampoline_kernelINS0_14default_configENS1_27scan_by_key_config_selectorIssEEZZNS1_16scan_by_key_implILNS1_25lookback_scan_determinismE0ELb0ES3_N6thrust23THRUST_200600_302600_NS6detail15normal_iteratorINS9_10device_ptrIsEEEESE_SE_sNS9_4plusIvEENS9_8equal_toIsEEsEE10hipError_tPvRmT2_T3_T4_T5_mT6_T7_P12ihipStream_tbENKUlT_T0_E_clISt17integral_constantIbLb0EESZ_EEDaSU_SV_EUlSU_E_NS1_11comp_targetILNS1_3genE5ELNS1_11target_archE942ELNS1_3gpuE9ELNS1_3repE0EEENS1_30default_config_static_selectorELNS0_4arch9wavefront6targetE1EEEvT1_
		.amdhsa_group_segment_fixed_size 13312
		.amdhsa_private_segment_fixed_size 0
		.amdhsa_kernarg_size 112
		.amdhsa_user_sgpr_count 2
		.amdhsa_user_sgpr_dispatch_ptr 0
		.amdhsa_user_sgpr_queue_ptr 0
		.amdhsa_user_sgpr_kernarg_segment_ptr 1
		.amdhsa_user_sgpr_dispatch_id 0
		.amdhsa_user_sgpr_kernarg_preload_length 0
		.amdhsa_user_sgpr_kernarg_preload_offset 0
		.amdhsa_user_sgpr_private_segment_size 0
		.amdhsa_uses_dynamic_stack 0
		.amdhsa_enable_private_segment 0
		.amdhsa_system_sgpr_workgroup_id_x 1
		.amdhsa_system_sgpr_workgroup_id_y 0
		.amdhsa_system_sgpr_workgroup_id_z 0
		.amdhsa_system_sgpr_workgroup_info 0
		.amdhsa_system_vgpr_workitem_id 0
		.amdhsa_next_free_vgpr 63
		.amdhsa_next_free_sgpr 88
		.amdhsa_accum_offset 64
		.amdhsa_reserve_vcc 1
		.amdhsa_float_round_mode_32 0
		.amdhsa_float_round_mode_16_64 0
		.amdhsa_float_denorm_mode_32 3
		.amdhsa_float_denorm_mode_16_64 3
		.amdhsa_dx10_clamp 1
		.amdhsa_ieee_mode 1
		.amdhsa_fp16_overflow 0
		.amdhsa_tg_split 0
		.amdhsa_exception_fp_ieee_invalid_op 0
		.amdhsa_exception_fp_denorm_src 0
		.amdhsa_exception_fp_ieee_div_zero 0
		.amdhsa_exception_fp_ieee_overflow 0
		.amdhsa_exception_fp_ieee_underflow 0
		.amdhsa_exception_fp_ieee_inexact 0
		.amdhsa_exception_int_div_zero 0
	.end_amdhsa_kernel
	.section	.text._ZN7rocprim17ROCPRIM_400000_NS6detail17trampoline_kernelINS0_14default_configENS1_27scan_by_key_config_selectorIssEEZZNS1_16scan_by_key_implILNS1_25lookback_scan_determinismE0ELb0ES3_N6thrust23THRUST_200600_302600_NS6detail15normal_iteratorINS9_10device_ptrIsEEEESE_SE_sNS9_4plusIvEENS9_8equal_toIsEEsEE10hipError_tPvRmT2_T3_T4_T5_mT6_T7_P12ihipStream_tbENKUlT_T0_E_clISt17integral_constantIbLb0EESZ_EEDaSU_SV_EUlSU_E_NS1_11comp_targetILNS1_3genE5ELNS1_11target_archE942ELNS1_3gpuE9ELNS1_3repE0EEENS1_30default_config_static_selectorELNS0_4arch9wavefront6targetE1EEEvT1_,"axG",@progbits,_ZN7rocprim17ROCPRIM_400000_NS6detail17trampoline_kernelINS0_14default_configENS1_27scan_by_key_config_selectorIssEEZZNS1_16scan_by_key_implILNS1_25lookback_scan_determinismE0ELb0ES3_N6thrust23THRUST_200600_302600_NS6detail15normal_iteratorINS9_10device_ptrIsEEEESE_SE_sNS9_4plusIvEENS9_8equal_toIsEEsEE10hipError_tPvRmT2_T3_T4_T5_mT6_T7_P12ihipStream_tbENKUlT_T0_E_clISt17integral_constantIbLb0EESZ_EEDaSU_SV_EUlSU_E_NS1_11comp_targetILNS1_3genE5ELNS1_11target_archE942ELNS1_3gpuE9ELNS1_3repE0EEENS1_30default_config_static_selectorELNS0_4arch9wavefront6targetE1EEEvT1_,comdat
.Lfunc_end319:
	.size	_ZN7rocprim17ROCPRIM_400000_NS6detail17trampoline_kernelINS0_14default_configENS1_27scan_by_key_config_selectorIssEEZZNS1_16scan_by_key_implILNS1_25lookback_scan_determinismE0ELb0ES3_N6thrust23THRUST_200600_302600_NS6detail15normal_iteratorINS9_10device_ptrIsEEEESE_SE_sNS9_4plusIvEENS9_8equal_toIsEEsEE10hipError_tPvRmT2_T3_T4_T5_mT6_T7_P12ihipStream_tbENKUlT_T0_E_clISt17integral_constantIbLb0EESZ_EEDaSU_SV_EUlSU_E_NS1_11comp_targetILNS1_3genE5ELNS1_11target_archE942ELNS1_3gpuE9ELNS1_3repE0EEENS1_30default_config_static_selectorELNS0_4arch9wavefront6targetE1EEEvT1_, .Lfunc_end319-_ZN7rocprim17ROCPRIM_400000_NS6detail17trampoline_kernelINS0_14default_configENS1_27scan_by_key_config_selectorIssEEZZNS1_16scan_by_key_implILNS1_25lookback_scan_determinismE0ELb0ES3_N6thrust23THRUST_200600_302600_NS6detail15normal_iteratorINS9_10device_ptrIsEEEESE_SE_sNS9_4plusIvEENS9_8equal_toIsEEsEE10hipError_tPvRmT2_T3_T4_T5_mT6_T7_P12ihipStream_tbENKUlT_T0_E_clISt17integral_constantIbLb0EESZ_EEDaSU_SV_EUlSU_E_NS1_11comp_targetILNS1_3genE5ELNS1_11target_archE942ELNS1_3gpuE9ELNS1_3repE0EEENS1_30default_config_static_selectorELNS0_4arch9wavefront6targetE1EEEvT1_
                                        ; -- End function
	.section	.AMDGPU.csdata,"",@progbits
; Kernel info:
; codeLenInByte = 16116
; NumSgprs: 94
; NumVgprs: 63
; NumAgprs: 0
; TotalNumVgprs: 63
; ScratchSize: 0
; MemoryBound: 0
; FloatMode: 240
; IeeeMode: 1
; LDSByteSize: 13312 bytes/workgroup (compile time only)
; SGPRBlocks: 11
; VGPRBlocks: 7
; NumSGPRsForWavesPerEU: 94
; NumVGPRsForWavesPerEU: 63
; AccumOffset: 64
; Occupancy: 4
; WaveLimiterHint : 1
; COMPUTE_PGM_RSRC2:SCRATCH_EN: 0
; COMPUTE_PGM_RSRC2:USER_SGPR: 2
; COMPUTE_PGM_RSRC2:TRAP_HANDLER: 0
; COMPUTE_PGM_RSRC2:TGID_X_EN: 1
; COMPUTE_PGM_RSRC2:TGID_Y_EN: 0
; COMPUTE_PGM_RSRC2:TGID_Z_EN: 0
; COMPUTE_PGM_RSRC2:TIDIG_COMP_CNT: 0
; COMPUTE_PGM_RSRC3_GFX90A:ACCUM_OFFSET: 15
; COMPUTE_PGM_RSRC3_GFX90A:TG_SPLIT: 0
	.section	.text._ZN7rocprim17ROCPRIM_400000_NS6detail17trampoline_kernelINS0_14default_configENS1_27scan_by_key_config_selectorIssEEZZNS1_16scan_by_key_implILNS1_25lookback_scan_determinismE0ELb0ES3_N6thrust23THRUST_200600_302600_NS6detail15normal_iteratorINS9_10device_ptrIsEEEESE_SE_sNS9_4plusIvEENS9_8equal_toIsEEsEE10hipError_tPvRmT2_T3_T4_T5_mT6_T7_P12ihipStream_tbENKUlT_T0_E_clISt17integral_constantIbLb0EESZ_EEDaSU_SV_EUlSU_E_NS1_11comp_targetILNS1_3genE4ELNS1_11target_archE910ELNS1_3gpuE8ELNS1_3repE0EEENS1_30default_config_static_selectorELNS0_4arch9wavefront6targetE1EEEvT1_,"axG",@progbits,_ZN7rocprim17ROCPRIM_400000_NS6detail17trampoline_kernelINS0_14default_configENS1_27scan_by_key_config_selectorIssEEZZNS1_16scan_by_key_implILNS1_25lookback_scan_determinismE0ELb0ES3_N6thrust23THRUST_200600_302600_NS6detail15normal_iteratorINS9_10device_ptrIsEEEESE_SE_sNS9_4plusIvEENS9_8equal_toIsEEsEE10hipError_tPvRmT2_T3_T4_T5_mT6_T7_P12ihipStream_tbENKUlT_T0_E_clISt17integral_constantIbLb0EESZ_EEDaSU_SV_EUlSU_E_NS1_11comp_targetILNS1_3genE4ELNS1_11target_archE910ELNS1_3gpuE8ELNS1_3repE0EEENS1_30default_config_static_selectorELNS0_4arch9wavefront6targetE1EEEvT1_,comdat
	.protected	_ZN7rocprim17ROCPRIM_400000_NS6detail17trampoline_kernelINS0_14default_configENS1_27scan_by_key_config_selectorIssEEZZNS1_16scan_by_key_implILNS1_25lookback_scan_determinismE0ELb0ES3_N6thrust23THRUST_200600_302600_NS6detail15normal_iteratorINS9_10device_ptrIsEEEESE_SE_sNS9_4plusIvEENS9_8equal_toIsEEsEE10hipError_tPvRmT2_T3_T4_T5_mT6_T7_P12ihipStream_tbENKUlT_T0_E_clISt17integral_constantIbLb0EESZ_EEDaSU_SV_EUlSU_E_NS1_11comp_targetILNS1_3genE4ELNS1_11target_archE910ELNS1_3gpuE8ELNS1_3repE0EEENS1_30default_config_static_selectorELNS0_4arch9wavefront6targetE1EEEvT1_ ; -- Begin function _ZN7rocprim17ROCPRIM_400000_NS6detail17trampoline_kernelINS0_14default_configENS1_27scan_by_key_config_selectorIssEEZZNS1_16scan_by_key_implILNS1_25lookback_scan_determinismE0ELb0ES3_N6thrust23THRUST_200600_302600_NS6detail15normal_iteratorINS9_10device_ptrIsEEEESE_SE_sNS9_4plusIvEENS9_8equal_toIsEEsEE10hipError_tPvRmT2_T3_T4_T5_mT6_T7_P12ihipStream_tbENKUlT_T0_E_clISt17integral_constantIbLb0EESZ_EEDaSU_SV_EUlSU_E_NS1_11comp_targetILNS1_3genE4ELNS1_11target_archE910ELNS1_3gpuE8ELNS1_3repE0EEENS1_30default_config_static_selectorELNS0_4arch9wavefront6targetE1EEEvT1_
	.globl	_ZN7rocprim17ROCPRIM_400000_NS6detail17trampoline_kernelINS0_14default_configENS1_27scan_by_key_config_selectorIssEEZZNS1_16scan_by_key_implILNS1_25lookback_scan_determinismE0ELb0ES3_N6thrust23THRUST_200600_302600_NS6detail15normal_iteratorINS9_10device_ptrIsEEEESE_SE_sNS9_4plusIvEENS9_8equal_toIsEEsEE10hipError_tPvRmT2_T3_T4_T5_mT6_T7_P12ihipStream_tbENKUlT_T0_E_clISt17integral_constantIbLb0EESZ_EEDaSU_SV_EUlSU_E_NS1_11comp_targetILNS1_3genE4ELNS1_11target_archE910ELNS1_3gpuE8ELNS1_3repE0EEENS1_30default_config_static_selectorELNS0_4arch9wavefront6targetE1EEEvT1_
	.p2align	8
	.type	_ZN7rocprim17ROCPRIM_400000_NS6detail17trampoline_kernelINS0_14default_configENS1_27scan_by_key_config_selectorIssEEZZNS1_16scan_by_key_implILNS1_25lookback_scan_determinismE0ELb0ES3_N6thrust23THRUST_200600_302600_NS6detail15normal_iteratorINS9_10device_ptrIsEEEESE_SE_sNS9_4plusIvEENS9_8equal_toIsEEsEE10hipError_tPvRmT2_T3_T4_T5_mT6_T7_P12ihipStream_tbENKUlT_T0_E_clISt17integral_constantIbLb0EESZ_EEDaSU_SV_EUlSU_E_NS1_11comp_targetILNS1_3genE4ELNS1_11target_archE910ELNS1_3gpuE8ELNS1_3repE0EEENS1_30default_config_static_selectorELNS0_4arch9wavefront6targetE1EEEvT1_,@function
_ZN7rocprim17ROCPRIM_400000_NS6detail17trampoline_kernelINS0_14default_configENS1_27scan_by_key_config_selectorIssEEZZNS1_16scan_by_key_implILNS1_25lookback_scan_determinismE0ELb0ES3_N6thrust23THRUST_200600_302600_NS6detail15normal_iteratorINS9_10device_ptrIsEEEESE_SE_sNS9_4plusIvEENS9_8equal_toIsEEsEE10hipError_tPvRmT2_T3_T4_T5_mT6_T7_P12ihipStream_tbENKUlT_T0_E_clISt17integral_constantIbLb0EESZ_EEDaSU_SV_EUlSU_E_NS1_11comp_targetILNS1_3genE4ELNS1_11target_archE910ELNS1_3gpuE8ELNS1_3repE0EEENS1_30default_config_static_selectorELNS0_4arch9wavefront6targetE1EEEvT1_: ; @_ZN7rocprim17ROCPRIM_400000_NS6detail17trampoline_kernelINS0_14default_configENS1_27scan_by_key_config_selectorIssEEZZNS1_16scan_by_key_implILNS1_25lookback_scan_determinismE0ELb0ES3_N6thrust23THRUST_200600_302600_NS6detail15normal_iteratorINS9_10device_ptrIsEEEESE_SE_sNS9_4plusIvEENS9_8equal_toIsEEsEE10hipError_tPvRmT2_T3_T4_T5_mT6_T7_P12ihipStream_tbENKUlT_T0_E_clISt17integral_constantIbLb0EESZ_EEDaSU_SV_EUlSU_E_NS1_11comp_targetILNS1_3genE4ELNS1_11target_archE910ELNS1_3gpuE8ELNS1_3repE0EEENS1_30default_config_static_selectorELNS0_4arch9wavefront6targetE1EEEvT1_
; %bb.0:
	.section	.rodata,"a",@progbits
	.p2align	6, 0x0
	.amdhsa_kernel _ZN7rocprim17ROCPRIM_400000_NS6detail17trampoline_kernelINS0_14default_configENS1_27scan_by_key_config_selectorIssEEZZNS1_16scan_by_key_implILNS1_25lookback_scan_determinismE0ELb0ES3_N6thrust23THRUST_200600_302600_NS6detail15normal_iteratorINS9_10device_ptrIsEEEESE_SE_sNS9_4plusIvEENS9_8equal_toIsEEsEE10hipError_tPvRmT2_T3_T4_T5_mT6_T7_P12ihipStream_tbENKUlT_T0_E_clISt17integral_constantIbLb0EESZ_EEDaSU_SV_EUlSU_E_NS1_11comp_targetILNS1_3genE4ELNS1_11target_archE910ELNS1_3gpuE8ELNS1_3repE0EEENS1_30default_config_static_selectorELNS0_4arch9wavefront6targetE1EEEvT1_
		.amdhsa_group_segment_fixed_size 0
		.amdhsa_private_segment_fixed_size 0
		.amdhsa_kernarg_size 112
		.amdhsa_user_sgpr_count 2
		.amdhsa_user_sgpr_dispatch_ptr 0
		.amdhsa_user_sgpr_queue_ptr 0
		.amdhsa_user_sgpr_kernarg_segment_ptr 1
		.amdhsa_user_sgpr_dispatch_id 0
		.amdhsa_user_sgpr_kernarg_preload_length 0
		.amdhsa_user_sgpr_kernarg_preload_offset 0
		.amdhsa_user_sgpr_private_segment_size 0
		.amdhsa_uses_dynamic_stack 0
		.amdhsa_enable_private_segment 0
		.amdhsa_system_sgpr_workgroup_id_x 1
		.amdhsa_system_sgpr_workgroup_id_y 0
		.amdhsa_system_sgpr_workgroup_id_z 0
		.amdhsa_system_sgpr_workgroup_info 0
		.amdhsa_system_vgpr_workitem_id 0
		.amdhsa_next_free_vgpr 1
		.amdhsa_next_free_sgpr 0
		.amdhsa_accum_offset 4
		.amdhsa_reserve_vcc 0
		.amdhsa_float_round_mode_32 0
		.amdhsa_float_round_mode_16_64 0
		.amdhsa_float_denorm_mode_32 3
		.amdhsa_float_denorm_mode_16_64 3
		.amdhsa_dx10_clamp 1
		.amdhsa_ieee_mode 1
		.amdhsa_fp16_overflow 0
		.amdhsa_tg_split 0
		.amdhsa_exception_fp_ieee_invalid_op 0
		.amdhsa_exception_fp_denorm_src 0
		.amdhsa_exception_fp_ieee_div_zero 0
		.amdhsa_exception_fp_ieee_overflow 0
		.amdhsa_exception_fp_ieee_underflow 0
		.amdhsa_exception_fp_ieee_inexact 0
		.amdhsa_exception_int_div_zero 0
	.end_amdhsa_kernel
	.section	.text._ZN7rocprim17ROCPRIM_400000_NS6detail17trampoline_kernelINS0_14default_configENS1_27scan_by_key_config_selectorIssEEZZNS1_16scan_by_key_implILNS1_25lookback_scan_determinismE0ELb0ES3_N6thrust23THRUST_200600_302600_NS6detail15normal_iteratorINS9_10device_ptrIsEEEESE_SE_sNS9_4plusIvEENS9_8equal_toIsEEsEE10hipError_tPvRmT2_T3_T4_T5_mT6_T7_P12ihipStream_tbENKUlT_T0_E_clISt17integral_constantIbLb0EESZ_EEDaSU_SV_EUlSU_E_NS1_11comp_targetILNS1_3genE4ELNS1_11target_archE910ELNS1_3gpuE8ELNS1_3repE0EEENS1_30default_config_static_selectorELNS0_4arch9wavefront6targetE1EEEvT1_,"axG",@progbits,_ZN7rocprim17ROCPRIM_400000_NS6detail17trampoline_kernelINS0_14default_configENS1_27scan_by_key_config_selectorIssEEZZNS1_16scan_by_key_implILNS1_25lookback_scan_determinismE0ELb0ES3_N6thrust23THRUST_200600_302600_NS6detail15normal_iteratorINS9_10device_ptrIsEEEESE_SE_sNS9_4plusIvEENS9_8equal_toIsEEsEE10hipError_tPvRmT2_T3_T4_T5_mT6_T7_P12ihipStream_tbENKUlT_T0_E_clISt17integral_constantIbLb0EESZ_EEDaSU_SV_EUlSU_E_NS1_11comp_targetILNS1_3genE4ELNS1_11target_archE910ELNS1_3gpuE8ELNS1_3repE0EEENS1_30default_config_static_selectorELNS0_4arch9wavefront6targetE1EEEvT1_,comdat
.Lfunc_end320:
	.size	_ZN7rocprim17ROCPRIM_400000_NS6detail17trampoline_kernelINS0_14default_configENS1_27scan_by_key_config_selectorIssEEZZNS1_16scan_by_key_implILNS1_25lookback_scan_determinismE0ELb0ES3_N6thrust23THRUST_200600_302600_NS6detail15normal_iteratorINS9_10device_ptrIsEEEESE_SE_sNS9_4plusIvEENS9_8equal_toIsEEsEE10hipError_tPvRmT2_T3_T4_T5_mT6_T7_P12ihipStream_tbENKUlT_T0_E_clISt17integral_constantIbLb0EESZ_EEDaSU_SV_EUlSU_E_NS1_11comp_targetILNS1_3genE4ELNS1_11target_archE910ELNS1_3gpuE8ELNS1_3repE0EEENS1_30default_config_static_selectorELNS0_4arch9wavefront6targetE1EEEvT1_, .Lfunc_end320-_ZN7rocprim17ROCPRIM_400000_NS6detail17trampoline_kernelINS0_14default_configENS1_27scan_by_key_config_selectorIssEEZZNS1_16scan_by_key_implILNS1_25lookback_scan_determinismE0ELb0ES3_N6thrust23THRUST_200600_302600_NS6detail15normal_iteratorINS9_10device_ptrIsEEEESE_SE_sNS9_4plusIvEENS9_8equal_toIsEEsEE10hipError_tPvRmT2_T3_T4_T5_mT6_T7_P12ihipStream_tbENKUlT_T0_E_clISt17integral_constantIbLb0EESZ_EEDaSU_SV_EUlSU_E_NS1_11comp_targetILNS1_3genE4ELNS1_11target_archE910ELNS1_3gpuE8ELNS1_3repE0EEENS1_30default_config_static_selectorELNS0_4arch9wavefront6targetE1EEEvT1_
                                        ; -- End function
	.section	.AMDGPU.csdata,"",@progbits
; Kernel info:
; codeLenInByte = 0
; NumSgprs: 6
; NumVgprs: 0
; NumAgprs: 0
; TotalNumVgprs: 0
; ScratchSize: 0
; MemoryBound: 0
; FloatMode: 240
; IeeeMode: 1
; LDSByteSize: 0 bytes/workgroup (compile time only)
; SGPRBlocks: 0
; VGPRBlocks: 0
; NumSGPRsForWavesPerEU: 6
; NumVGPRsForWavesPerEU: 1
; AccumOffset: 4
; Occupancy: 8
; WaveLimiterHint : 0
; COMPUTE_PGM_RSRC2:SCRATCH_EN: 0
; COMPUTE_PGM_RSRC2:USER_SGPR: 2
; COMPUTE_PGM_RSRC2:TRAP_HANDLER: 0
; COMPUTE_PGM_RSRC2:TGID_X_EN: 1
; COMPUTE_PGM_RSRC2:TGID_Y_EN: 0
; COMPUTE_PGM_RSRC2:TGID_Z_EN: 0
; COMPUTE_PGM_RSRC2:TIDIG_COMP_CNT: 0
; COMPUTE_PGM_RSRC3_GFX90A:ACCUM_OFFSET: 0
; COMPUTE_PGM_RSRC3_GFX90A:TG_SPLIT: 0
	.section	.text._ZN7rocprim17ROCPRIM_400000_NS6detail17trampoline_kernelINS0_14default_configENS1_27scan_by_key_config_selectorIssEEZZNS1_16scan_by_key_implILNS1_25lookback_scan_determinismE0ELb0ES3_N6thrust23THRUST_200600_302600_NS6detail15normal_iteratorINS9_10device_ptrIsEEEESE_SE_sNS9_4plusIvEENS9_8equal_toIsEEsEE10hipError_tPvRmT2_T3_T4_T5_mT6_T7_P12ihipStream_tbENKUlT_T0_E_clISt17integral_constantIbLb0EESZ_EEDaSU_SV_EUlSU_E_NS1_11comp_targetILNS1_3genE3ELNS1_11target_archE908ELNS1_3gpuE7ELNS1_3repE0EEENS1_30default_config_static_selectorELNS0_4arch9wavefront6targetE1EEEvT1_,"axG",@progbits,_ZN7rocprim17ROCPRIM_400000_NS6detail17trampoline_kernelINS0_14default_configENS1_27scan_by_key_config_selectorIssEEZZNS1_16scan_by_key_implILNS1_25lookback_scan_determinismE0ELb0ES3_N6thrust23THRUST_200600_302600_NS6detail15normal_iteratorINS9_10device_ptrIsEEEESE_SE_sNS9_4plusIvEENS9_8equal_toIsEEsEE10hipError_tPvRmT2_T3_T4_T5_mT6_T7_P12ihipStream_tbENKUlT_T0_E_clISt17integral_constantIbLb0EESZ_EEDaSU_SV_EUlSU_E_NS1_11comp_targetILNS1_3genE3ELNS1_11target_archE908ELNS1_3gpuE7ELNS1_3repE0EEENS1_30default_config_static_selectorELNS0_4arch9wavefront6targetE1EEEvT1_,comdat
	.protected	_ZN7rocprim17ROCPRIM_400000_NS6detail17trampoline_kernelINS0_14default_configENS1_27scan_by_key_config_selectorIssEEZZNS1_16scan_by_key_implILNS1_25lookback_scan_determinismE0ELb0ES3_N6thrust23THRUST_200600_302600_NS6detail15normal_iteratorINS9_10device_ptrIsEEEESE_SE_sNS9_4plusIvEENS9_8equal_toIsEEsEE10hipError_tPvRmT2_T3_T4_T5_mT6_T7_P12ihipStream_tbENKUlT_T0_E_clISt17integral_constantIbLb0EESZ_EEDaSU_SV_EUlSU_E_NS1_11comp_targetILNS1_3genE3ELNS1_11target_archE908ELNS1_3gpuE7ELNS1_3repE0EEENS1_30default_config_static_selectorELNS0_4arch9wavefront6targetE1EEEvT1_ ; -- Begin function _ZN7rocprim17ROCPRIM_400000_NS6detail17trampoline_kernelINS0_14default_configENS1_27scan_by_key_config_selectorIssEEZZNS1_16scan_by_key_implILNS1_25lookback_scan_determinismE0ELb0ES3_N6thrust23THRUST_200600_302600_NS6detail15normal_iteratorINS9_10device_ptrIsEEEESE_SE_sNS9_4plusIvEENS9_8equal_toIsEEsEE10hipError_tPvRmT2_T3_T4_T5_mT6_T7_P12ihipStream_tbENKUlT_T0_E_clISt17integral_constantIbLb0EESZ_EEDaSU_SV_EUlSU_E_NS1_11comp_targetILNS1_3genE3ELNS1_11target_archE908ELNS1_3gpuE7ELNS1_3repE0EEENS1_30default_config_static_selectorELNS0_4arch9wavefront6targetE1EEEvT1_
	.globl	_ZN7rocprim17ROCPRIM_400000_NS6detail17trampoline_kernelINS0_14default_configENS1_27scan_by_key_config_selectorIssEEZZNS1_16scan_by_key_implILNS1_25lookback_scan_determinismE0ELb0ES3_N6thrust23THRUST_200600_302600_NS6detail15normal_iteratorINS9_10device_ptrIsEEEESE_SE_sNS9_4plusIvEENS9_8equal_toIsEEsEE10hipError_tPvRmT2_T3_T4_T5_mT6_T7_P12ihipStream_tbENKUlT_T0_E_clISt17integral_constantIbLb0EESZ_EEDaSU_SV_EUlSU_E_NS1_11comp_targetILNS1_3genE3ELNS1_11target_archE908ELNS1_3gpuE7ELNS1_3repE0EEENS1_30default_config_static_selectorELNS0_4arch9wavefront6targetE1EEEvT1_
	.p2align	8
	.type	_ZN7rocprim17ROCPRIM_400000_NS6detail17trampoline_kernelINS0_14default_configENS1_27scan_by_key_config_selectorIssEEZZNS1_16scan_by_key_implILNS1_25lookback_scan_determinismE0ELb0ES3_N6thrust23THRUST_200600_302600_NS6detail15normal_iteratorINS9_10device_ptrIsEEEESE_SE_sNS9_4plusIvEENS9_8equal_toIsEEsEE10hipError_tPvRmT2_T3_T4_T5_mT6_T7_P12ihipStream_tbENKUlT_T0_E_clISt17integral_constantIbLb0EESZ_EEDaSU_SV_EUlSU_E_NS1_11comp_targetILNS1_3genE3ELNS1_11target_archE908ELNS1_3gpuE7ELNS1_3repE0EEENS1_30default_config_static_selectorELNS0_4arch9wavefront6targetE1EEEvT1_,@function
_ZN7rocprim17ROCPRIM_400000_NS6detail17trampoline_kernelINS0_14default_configENS1_27scan_by_key_config_selectorIssEEZZNS1_16scan_by_key_implILNS1_25lookback_scan_determinismE0ELb0ES3_N6thrust23THRUST_200600_302600_NS6detail15normal_iteratorINS9_10device_ptrIsEEEESE_SE_sNS9_4plusIvEENS9_8equal_toIsEEsEE10hipError_tPvRmT2_T3_T4_T5_mT6_T7_P12ihipStream_tbENKUlT_T0_E_clISt17integral_constantIbLb0EESZ_EEDaSU_SV_EUlSU_E_NS1_11comp_targetILNS1_3genE3ELNS1_11target_archE908ELNS1_3gpuE7ELNS1_3repE0EEENS1_30default_config_static_selectorELNS0_4arch9wavefront6targetE1EEEvT1_: ; @_ZN7rocprim17ROCPRIM_400000_NS6detail17trampoline_kernelINS0_14default_configENS1_27scan_by_key_config_selectorIssEEZZNS1_16scan_by_key_implILNS1_25lookback_scan_determinismE0ELb0ES3_N6thrust23THRUST_200600_302600_NS6detail15normal_iteratorINS9_10device_ptrIsEEEESE_SE_sNS9_4plusIvEENS9_8equal_toIsEEsEE10hipError_tPvRmT2_T3_T4_T5_mT6_T7_P12ihipStream_tbENKUlT_T0_E_clISt17integral_constantIbLb0EESZ_EEDaSU_SV_EUlSU_E_NS1_11comp_targetILNS1_3genE3ELNS1_11target_archE908ELNS1_3gpuE7ELNS1_3repE0EEENS1_30default_config_static_selectorELNS0_4arch9wavefront6targetE1EEEvT1_
; %bb.0:
	.section	.rodata,"a",@progbits
	.p2align	6, 0x0
	.amdhsa_kernel _ZN7rocprim17ROCPRIM_400000_NS6detail17trampoline_kernelINS0_14default_configENS1_27scan_by_key_config_selectorIssEEZZNS1_16scan_by_key_implILNS1_25lookback_scan_determinismE0ELb0ES3_N6thrust23THRUST_200600_302600_NS6detail15normal_iteratorINS9_10device_ptrIsEEEESE_SE_sNS9_4plusIvEENS9_8equal_toIsEEsEE10hipError_tPvRmT2_T3_T4_T5_mT6_T7_P12ihipStream_tbENKUlT_T0_E_clISt17integral_constantIbLb0EESZ_EEDaSU_SV_EUlSU_E_NS1_11comp_targetILNS1_3genE3ELNS1_11target_archE908ELNS1_3gpuE7ELNS1_3repE0EEENS1_30default_config_static_selectorELNS0_4arch9wavefront6targetE1EEEvT1_
		.amdhsa_group_segment_fixed_size 0
		.amdhsa_private_segment_fixed_size 0
		.amdhsa_kernarg_size 112
		.amdhsa_user_sgpr_count 2
		.amdhsa_user_sgpr_dispatch_ptr 0
		.amdhsa_user_sgpr_queue_ptr 0
		.amdhsa_user_sgpr_kernarg_segment_ptr 1
		.amdhsa_user_sgpr_dispatch_id 0
		.amdhsa_user_sgpr_kernarg_preload_length 0
		.amdhsa_user_sgpr_kernarg_preload_offset 0
		.amdhsa_user_sgpr_private_segment_size 0
		.amdhsa_uses_dynamic_stack 0
		.amdhsa_enable_private_segment 0
		.amdhsa_system_sgpr_workgroup_id_x 1
		.amdhsa_system_sgpr_workgroup_id_y 0
		.amdhsa_system_sgpr_workgroup_id_z 0
		.amdhsa_system_sgpr_workgroup_info 0
		.amdhsa_system_vgpr_workitem_id 0
		.amdhsa_next_free_vgpr 1
		.amdhsa_next_free_sgpr 0
		.amdhsa_accum_offset 4
		.amdhsa_reserve_vcc 0
		.amdhsa_float_round_mode_32 0
		.amdhsa_float_round_mode_16_64 0
		.amdhsa_float_denorm_mode_32 3
		.amdhsa_float_denorm_mode_16_64 3
		.amdhsa_dx10_clamp 1
		.amdhsa_ieee_mode 1
		.amdhsa_fp16_overflow 0
		.amdhsa_tg_split 0
		.amdhsa_exception_fp_ieee_invalid_op 0
		.amdhsa_exception_fp_denorm_src 0
		.amdhsa_exception_fp_ieee_div_zero 0
		.amdhsa_exception_fp_ieee_overflow 0
		.amdhsa_exception_fp_ieee_underflow 0
		.amdhsa_exception_fp_ieee_inexact 0
		.amdhsa_exception_int_div_zero 0
	.end_amdhsa_kernel
	.section	.text._ZN7rocprim17ROCPRIM_400000_NS6detail17trampoline_kernelINS0_14default_configENS1_27scan_by_key_config_selectorIssEEZZNS1_16scan_by_key_implILNS1_25lookback_scan_determinismE0ELb0ES3_N6thrust23THRUST_200600_302600_NS6detail15normal_iteratorINS9_10device_ptrIsEEEESE_SE_sNS9_4plusIvEENS9_8equal_toIsEEsEE10hipError_tPvRmT2_T3_T4_T5_mT6_T7_P12ihipStream_tbENKUlT_T0_E_clISt17integral_constantIbLb0EESZ_EEDaSU_SV_EUlSU_E_NS1_11comp_targetILNS1_3genE3ELNS1_11target_archE908ELNS1_3gpuE7ELNS1_3repE0EEENS1_30default_config_static_selectorELNS0_4arch9wavefront6targetE1EEEvT1_,"axG",@progbits,_ZN7rocprim17ROCPRIM_400000_NS6detail17trampoline_kernelINS0_14default_configENS1_27scan_by_key_config_selectorIssEEZZNS1_16scan_by_key_implILNS1_25lookback_scan_determinismE0ELb0ES3_N6thrust23THRUST_200600_302600_NS6detail15normal_iteratorINS9_10device_ptrIsEEEESE_SE_sNS9_4plusIvEENS9_8equal_toIsEEsEE10hipError_tPvRmT2_T3_T4_T5_mT6_T7_P12ihipStream_tbENKUlT_T0_E_clISt17integral_constantIbLb0EESZ_EEDaSU_SV_EUlSU_E_NS1_11comp_targetILNS1_3genE3ELNS1_11target_archE908ELNS1_3gpuE7ELNS1_3repE0EEENS1_30default_config_static_selectorELNS0_4arch9wavefront6targetE1EEEvT1_,comdat
.Lfunc_end321:
	.size	_ZN7rocprim17ROCPRIM_400000_NS6detail17trampoline_kernelINS0_14default_configENS1_27scan_by_key_config_selectorIssEEZZNS1_16scan_by_key_implILNS1_25lookback_scan_determinismE0ELb0ES3_N6thrust23THRUST_200600_302600_NS6detail15normal_iteratorINS9_10device_ptrIsEEEESE_SE_sNS9_4plusIvEENS9_8equal_toIsEEsEE10hipError_tPvRmT2_T3_T4_T5_mT6_T7_P12ihipStream_tbENKUlT_T0_E_clISt17integral_constantIbLb0EESZ_EEDaSU_SV_EUlSU_E_NS1_11comp_targetILNS1_3genE3ELNS1_11target_archE908ELNS1_3gpuE7ELNS1_3repE0EEENS1_30default_config_static_selectorELNS0_4arch9wavefront6targetE1EEEvT1_, .Lfunc_end321-_ZN7rocprim17ROCPRIM_400000_NS6detail17trampoline_kernelINS0_14default_configENS1_27scan_by_key_config_selectorIssEEZZNS1_16scan_by_key_implILNS1_25lookback_scan_determinismE0ELb0ES3_N6thrust23THRUST_200600_302600_NS6detail15normal_iteratorINS9_10device_ptrIsEEEESE_SE_sNS9_4plusIvEENS9_8equal_toIsEEsEE10hipError_tPvRmT2_T3_T4_T5_mT6_T7_P12ihipStream_tbENKUlT_T0_E_clISt17integral_constantIbLb0EESZ_EEDaSU_SV_EUlSU_E_NS1_11comp_targetILNS1_3genE3ELNS1_11target_archE908ELNS1_3gpuE7ELNS1_3repE0EEENS1_30default_config_static_selectorELNS0_4arch9wavefront6targetE1EEEvT1_
                                        ; -- End function
	.section	.AMDGPU.csdata,"",@progbits
; Kernel info:
; codeLenInByte = 0
; NumSgprs: 6
; NumVgprs: 0
; NumAgprs: 0
; TotalNumVgprs: 0
; ScratchSize: 0
; MemoryBound: 0
; FloatMode: 240
; IeeeMode: 1
; LDSByteSize: 0 bytes/workgroup (compile time only)
; SGPRBlocks: 0
; VGPRBlocks: 0
; NumSGPRsForWavesPerEU: 6
; NumVGPRsForWavesPerEU: 1
; AccumOffset: 4
; Occupancy: 8
; WaveLimiterHint : 0
; COMPUTE_PGM_RSRC2:SCRATCH_EN: 0
; COMPUTE_PGM_RSRC2:USER_SGPR: 2
; COMPUTE_PGM_RSRC2:TRAP_HANDLER: 0
; COMPUTE_PGM_RSRC2:TGID_X_EN: 1
; COMPUTE_PGM_RSRC2:TGID_Y_EN: 0
; COMPUTE_PGM_RSRC2:TGID_Z_EN: 0
; COMPUTE_PGM_RSRC2:TIDIG_COMP_CNT: 0
; COMPUTE_PGM_RSRC3_GFX90A:ACCUM_OFFSET: 0
; COMPUTE_PGM_RSRC3_GFX90A:TG_SPLIT: 0
	.section	.text._ZN7rocprim17ROCPRIM_400000_NS6detail17trampoline_kernelINS0_14default_configENS1_27scan_by_key_config_selectorIssEEZZNS1_16scan_by_key_implILNS1_25lookback_scan_determinismE0ELb0ES3_N6thrust23THRUST_200600_302600_NS6detail15normal_iteratorINS9_10device_ptrIsEEEESE_SE_sNS9_4plusIvEENS9_8equal_toIsEEsEE10hipError_tPvRmT2_T3_T4_T5_mT6_T7_P12ihipStream_tbENKUlT_T0_E_clISt17integral_constantIbLb0EESZ_EEDaSU_SV_EUlSU_E_NS1_11comp_targetILNS1_3genE2ELNS1_11target_archE906ELNS1_3gpuE6ELNS1_3repE0EEENS1_30default_config_static_selectorELNS0_4arch9wavefront6targetE1EEEvT1_,"axG",@progbits,_ZN7rocprim17ROCPRIM_400000_NS6detail17trampoline_kernelINS0_14default_configENS1_27scan_by_key_config_selectorIssEEZZNS1_16scan_by_key_implILNS1_25lookback_scan_determinismE0ELb0ES3_N6thrust23THRUST_200600_302600_NS6detail15normal_iteratorINS9_10device_ptrIsEEEESE_SE_sNS9_4plusIvEENS9_8equal_toIsEEsEE10hipError_tPvRmT2_T3_T4_T5_mT6_T7_P12ihipStream_tbENKUlT_T0_E_clISt17integral_constantIbLb0EESZ_EEDaSU_SV_EUlSU_E_NS1_11comp_targetILNS1_3genE2ELNS1_11target_archE906ELNS1_3gpuE6ELNS1_3repE0EEENS1_30default_config_static_selectorELNS0_4arch9wavefront6targetE1EEEvT1_,comdat
	.protected	_ZN7rocprim17ROCPRIM_400000_NS6detail17trampoline_kernelINS0_14default_configENS1_27scan_by_key_config_selectorIssEEZZNS1_16scan_by_key_implILNS1_25lookback_scan_determinismE0ELb0ES3_N6thrust23THRUST_200600_302600_NS6detail15normal_iteratorINS9_10device_ptrIsEEEESE_SE_sNS9_4plusIvEENS9_8equal_toIsEEsEE10hipError_tPvRmT2_T3_T4_T5_mT6_T7_P12ihipStream_tbENKUlT_T0_E_clISt17integral_constantIbLb0EESZ_EEDaSU_SV_EUlSU_E_NS1_11comp_targetILNS1_3genE2ELNS1_11target_archE906ELNS1_3gpuE6ELNS1_3repE0EEENS1_30default_config_static_selectorELNS0_4arch9wavefront6targetE1EEEvT1_ ; -- Begin function _ZN7rocprim17ROCPRIM_400000_NS6detail17trampoline_kernelINS0_14default_configENS1_27scan_by_key_config_selectorIssEEZZNS1_16scan_by_key_implILNS1_25lookback_scan_determinismE0ELb0ES3_N6thrust23THRUST_200600_302600_NS6detail15normal_iteratorINS9_10device_ptrIsEEEESE_SE_sNS9_4plusIvEENS9_8equal_toIsEEsEE10hipError_tPvRmT2_T3_T4_T5_mT6_T7_P12ihipStream_tbENKUlT_T0_E_clISt17integral_constantIbLb0EESZ_EEDaSU_SV_EUlSU_E_NS1_11comp_targetILNS1_3genE2ELNS1_11target_archE906ELNS1_3gpuE6ELNS1_3repE0EEENS1_30default_config_static_selectorELNS0_4arch9wavefront6targetE1EEEvT1_
	.globl	_ZN7rocprim17ROCPRIM_400000_NS6detail17trampoline_kernelINS0_14default_configENS1_27scan_by_key_config_selectorIssEEZZNS1_16scan_by_key_implILNS1_25lookback_scan_determinismE0ELb0ES3_N6thrust23THRUST_200600_302600_NS6detail15normal_iteratorINS9_10device_ptrIsEEEESE_SE_sNS9_4plusIvEENS9_8equal_toIsEEsEE10hipError_tPvRmT2_T3_T4_T5_mT6_T7_P12ihipStream_tbENKUlT_T0_E_clISt17integral_constantIbLb0EESZ_EEDaSU_SV_EUlSU_E_NS1_11comp_targetILNS1_3genE2ELNS1_11target_archE906ELNS1_3gpuE6ELNS1_3repE0EEENS1_30default_config_static_selectorELNS0_4arch9wavefront6targetE1EEEvT1_
	.p2align	8
	.type	_ZN7rocprim17ROCPRIM_400000_NS6detail17trampoline_kernelINS0_14default_configENS1_27scan_by_key_config_selectorIssEEZZNS1_16scan_by_key_implILNS1_25lookback_scan_determinismE0ELb0ES3_N6thrust23THRUST_200600_302600_NS6detail15normal_iteratorINS9_10device_ptrIsEEEESE_SE_sNS9_4plusIvEENS9_8equal_toIsEEsEE10hipError_tPvRmT2_T3_T4_T5_mT6_T7_P12ihipStream_tbENKUlT_T0_E_clISt17integral_constantIbLb0EESZ_EEDaSU_SV_EUlSU_E_NS1_11comp_targetILNS1_3genE2ELNS1_11target_archE906ELNS1_3gpuE6ELNS1_3repE0EEENS1_30default_config_static_selectorELNS0_4arch9wavefront6targetE1EEEvT1_,@function
_ZN7rocprim17ROCPRIM_400000_NS6detail17trampoline_kernelINS0_14default_configENS1_27scan_by_key_config_selectorIssEEZZNS1_16scan_by_key_implILNS1_25lookback_scan_determinismE0ELb0ES3_N6thrust23THRUST_200600_302600_NS6detail15normal_iteratorINS9_10device_ptrIsEEEESE_SE_sNS9_4plusIvEENS9_8equal_toIsEEsEE10hipError_tPvRmT2_T3_T4_T5_mT6_T7_P12ihipStream_tbENKUlT_T0_E_clISt17integral_constantIbLb0EESZ_EEDaSU_SV_EUlSU_E_NS1_11comp_targetILNS1_3genE2ELNS1_11target_archE906ELNS1_3gpuE6ELNS1_3repE0EEENS1_30default_config_static_selectorELNS0_4arch9wavefront6targetE1EEEvT1_: ; @_ZN7rocprim17ROCPRIM_400000_NS6detail17trampoline_kernelINS0_14default_configENS1_27scan_by_key_config_selectorIssEEZZNS1_16scan_by_key_implILNS1_25lookback_scan_determinismE0ELb0ES3_N6thrust23THRUST_200600_302600_NS6detail15normal_iteratorINS9_10device_ptrIsEEEESE_SE_sNS9_4plusIvEENS9_8equal_toIsEEsEE10hipError_tPvRmT2_T3_T4_T5_mT6_T7_P12ihipStream_tbENKUlT_T0_E_clISt17integral_constantIbLb0EESZ_EEDaSU_SV_EUlSU_E_NS1_11comp_targetILNS1_3genE2ELNS1_11target_archE906ELNS1_3gpuE6ELNS1_3repE0EEENS1_30default_config_static_selectorELNS0_4arch9wavefront6targetE1EEEvT1_
; %bb.0:
	.section	.rodata,"a",@progbits
	.p2align	6, 0x0
	.amdhsa_kernel _ZN7rocprim17ROCPRIM_400000_NS6detail17trampoline_kernelINS0_14default_configENS1_27scan_by_key_config_selectorIssEEZZNS1_16scan_by_key_implILNS1_25lookback_scan_determinismE0ELb0ES3_N6thrust23THRUST_200600_302600_NS6detail15normal_iteratorINS9_10device_ptrIsEEEESE_SE_sNS9_4plusIvEENS9_8equal_toIsEEsEE10hipError_tPvRmT2_T3_T4_T5_mT6_T7_P12ihipStream_tbENKUlT_T0_E_clISt17integral_constantIbLb0EESZ_EEDaSU_SV_EUlSU_E_NS1_11comp_targetILNS1_3genE2ELNS1_11target_archE906ELNS1_3gpuE6ELNS1_3repE0EEENS1_30default_config_static_selectorELNS0_4arch9wavefront6targetE1EEEvT1_
		.amdhsa_group_segment_fixed_size 0
		.amdhsa_private_segment_fixed_size 0
		.amdhsa_kernarg_size 112
		.amdhsa_user_sgpr_count 2
		.amdhsa_user_sgpr_dispatch_ptr 0
		.amdhsa_user_sgpr_queue_ptr 0
		.amdhsa_user_sgpr_kernarg_segment_ptr 1
		.amdhsa_user_sgpr_dispatch_id 0
		.amdhsa_user_sgpr_kernarg_preload_length 0
		.amdhsa_user_sgpr_kernarg_preload_offset 0
		.amdhsa_user_sgpr_private_segment_size 0
		.amdhsa_uses_dynamic_stack 0
		.amdhsa_enable_private_segment 0
		.amdhsa_system_sgpr_workgroup_id_x 1
		.amdhsa_system_sgpr_workgroup_id_y 0
		.amdhsa_system_sgpr_workgroup_id_z 0
		.amdhsa_system_sgpr_workgroup_info 0
		.amdhsa_system_vgpr_workitem_id 0
		.amdhsa_next_free_vgpr 1
		.amdhsa_next_free_sgpr 0
		.amdhsa_accum_offset 4
		.amdhsa_reserve_vcc 0
		.amdhsa_float_round_mode_32 0
		.amdhsa_float_round_mode_16_64 0
		.amdhsa_float_denorm_mode_32 3
		.amdhsa_float_denorm_mode_16_64 3
		.amdhsa_dx10_clamp 1
		.amdhsa_ieee_mode 1
		.amdhsa_fp16_overflow 0
		.amdhsa_tg_split 0
		.amdhsa_exception_fp_ieee_invalid_op 0
		.amdhsa_exception_fp_denorm_src 0
		.amdhsa_exception_fp_ieee_div_zero 0
		.amdhsa_exception_fp_ieee_overflow 0
		.amdhsa_exception_fp_ieee_underflow 0
		.amdhsa_exception_fp_ieee_inexact 0
		.amdhsa_exception_int_div_zero 0
	.end_amdhsa_kernel
	.section	.text._ZN7rocprim17ROCPRIM_400000_NS6detail17trampoline_kernelINS0_14default_configENS1_27scan_by_key_config_selectorIssEEZZNS1_16scan_by_key_implILNS1_25lookback_scan_determinismE0ELb0ES3_N6thrust23THRUST_200600_302600_NS6detail15normal_iteratorINS9_10device_ptrIsEEEESE_SE_sNS9_4plusIvEENS9_8equal_toIsEEsEE10hipError_tPvRmT2_T3_T4_T5_mT6_T7_P12ihipStream_tbENKUlT_T0_E_clISt17integral_constantIbLb0EESZ_EEDaSU_SV_EUlSU_E_NS1_11comp_targetILNS1_3genE2ELNS1_11target_archE906ELNS1_3gpuE6ELNS1_3repE0EEENS1_30default_config_static_selectorELNS0_4arch9wavefront6targetE1EEEvT1_,"axG",@progbits,_ZN7rocprim17ROCPRIM_400000_NS6detail17trampoline_kernelINS0_14default_configENS1_27scan_by_key_config_selectorIssEEZZNS1_16scan_by_key_implILNS1_25lookback_scan_determinismE0ELb0ES3_N6thrust23THRUST_200600_302600_NS6detail15normal_iteratorINS9_10device_ptrIsEEEESE_SE_sNS9_4plusIvEENS9_8equal_toIsEEsEE10hipError_tPvRmT2_T3_T4_T5_mT6_T7_P12ihipStream_tbENKUlT_T0_E_clISt17integral_constantIbLb0EESZ_EEDaSU_SV_EUlSU_E_NS1_11comp_targetILNS1_3genE2ELNS1_11target_archE906ELNS1_3gpuE6ELNS1_3repE0EEENS1_30default_config_static_selectorELNS0_4arch9wavefront6targetE1EEEvT1_,comdat
.Lfunc_end322:
	.size	_ZN7rocprim17ROCPRIM_400000_NS6detail17trampoline_kernelINS0_14default_configENS1_27scan_by_key_config_selectorIssEEZZNS1_16scan_by_key_implILNS1_25lookback_scan_determinismE0ELb0ES3_N6thrust23THRUST_200600_302600_NS6detail15normal_iteratorINS9_10device_ptrIsEEEESE_SE_sNS9_4plusIvEENS9_8equal_toIsEEsEE10hipError_tPvRmT2_T3_T4_T5_mT6_T7_P12ihipStream_tbENKUlT_T0_E_clISt17integral_constantIbLb0EESZ_EEDaSU_SV_EUlSU_E_NS1_11comp_targetILNS1_3genE2ELNS1_11target_archE906ELNS1_3gpuE6ELNS1_3repE0EEENS1_30default_config_static_selectorELNS0_4arch9wavefront6targetE1EEEvT1_, .Lfunc_end322-_ZN7rocprim17ROCPRIM_400000_NS6detail17trampoline_kernelINS0_14default_configENS1_27scan_by_key_config_selectorIssEEZZNS1_16scan_by_key_implILNS1_25lookback_scan_determinismE0ELb0ES3_N6thrust23THRUST_200600_302600_NS6detail15normal_iteratorINS9_10device_ptrIsEEEESE_SE_sNS9_4plusIvEENS9_8equal_toIsEEsEE10hipError_tPvRmT2_T3_T4_T5_mT6_T7_P12ihipStream_tbENKUlT_T0_E_clISt17integral_constantIbLb0EESZ_EEDaSU_SV_EUlSU_E_NS1_11comp_targetILNS1_3genE2ELNS1_11target_archE906ELNS1_3gpuE6ELNS1_3repE0EEENS1_30default_config_static_selectorELNS0_4arch9wavefront6targetE1EEEvT1_
                                        ; -- End function
	.section	.AMDGPU.csdata,"",@progbits
; Kernel info:
; codeLenInByte = 0
; NumSgprs: 6
; NumVgprs: 0
; NumAgprs: 0
; TotalNumVgprs: 0
; ScratchSize: 0
; MemoryBound: 0
; FloatMode: 240
; IeeeMode: 1
; LDSByteSize: 0 bytes/workgroup (compile time only)
; SGPRBlocks: 0
; VGPRBlocks: 0
; NumSGPRsForWavesPerEU: 6
; NumVGPRsForWavesPerEU: 1
; AccumOffset: 4
; Occupancy: 8
; WaveLimiterHint : 0
; COMPUTE_PGM_RSRC2:SCRATCH_EN: 0
; COMPUTE_PGM_RSRC2:USER_SGPR: 2
; COMPUTE_PGM_RSRC2:TRAP_HANDLER: 0
; COMPUTE_PGM_RSRC2:TGID_X_EN: 1
; COMPUTE_PGM_RSRC2:TGID_Y_EN: 0
; COMPUTE_PGM_RSRC2:TGID_Z_EN: 0
; COMPUTE_PGM_RSRC2:TIDIG_COMP_CNT: 0
; COMPUTE_PGM_RSRC3_GFX90A:ACCUM_OFFSET: 0
; COMPUTE_PGM_RSRC3_GFX90A:TG_SPLIT: 0
	.section	.text._ZN7rocprim17ROCPRIM_400000_NS6detail17trampoline_kernelINS0_14default_configENS1_27scan_by_key_config_selectorIssEEZZNS1_16scan_by_key_implILNS1_25lookback_scan_determinismE0ELb0ES3_N6thrust23THRUST_200600_302600_NS6detail15normal_iteratorINS9_10device_ptrIsEEEESE_SE_sNS9_4plusIvEENS9_8equal_toIsEEsEE10hipError_tPvRmT2_T3_T4_T5_mT6_T7_P12ihipStream_tbENKUlT_T0_E_clISt17integral_constantIbLb0EESZ_EEDaSU_SV_EUlSU_E_NS1_11comp_targetILNS1_3genE10ELNS1_11target_archE1200ELNS1_3gpuE4ELNS1_3repE0EEENS1_30default_config_static_selectorELNS0_4arch9wavefront6targetE1EEEvT1_,"axG",@progbits,_ZN7rocprim17ROCPRIM_400000_NS6detail17trampoline_kernelINS0_14default_configENS1_27scan_by_key_config_selectorIssEEZZNS1_16scan_by_key_implILNS1_25lookback_scan_determinismE0ELb0ES3_N6thrust23THRUST_200600_302600_NS6detail15normal_iteratorINS9_10device_ptrIsEEEESE_SE_sNS9_4plusIvEENS9_8equal_toIsEEsEE10hipError_tPvRmT2_T3_T4_T5_mT6_T7_P12ihipStream_tbENKUlT_T0_E_clISt17integral_constantIbLb0EESZ_EEDaSU_SV_EUlSU_E_NS1_11comp_targetILNS1_3genE10ELNS1_11target_archE1200ELNS1_3gpuE4ELNS1_3repE0EEENS1_30default_config_static_selectorELNS0_4arch9wavefront6targetE1EEEvT1_,comdat
	.protected	_ZN7rocprim17ROCPRIM_400000_NS6detail17trampoline_kernelINS0_14default_configENS1_27scan_by_key_config_selectorIssEEZZNS1_16scan_by_key_implILNS1_25lookback_scan_determinismE0ELb0ES3_N6thrust23THRUST_200600_302600_NS6detail15normal_iteratorINS9_10device_ptrIsEEEESE_SE_sNS9_4plusIvEENS9_8equal_toIsEEsEE10hipError_tPvRmT2_T3_T4_T5_mT6_T7_P12ihipStream_tbENKUlT_T0_E_clISt17integral_constantIbLb0EESZ_EEDaSU_SV_EUlSU_E_NS1_11comp_targetILNS1_3genE10ELNS1_11target_archE1200ELNS1_3gpuE4ELNS1_3repE0EEENS1_30default_config_static_selectorELNS0_4arch9wavefront6targetE1EEEvT1_ ; -- Begin function _ZN7rocprim17ROCPRIM_400000_NS6detail17trampoline_kernelINS0_14default_configENS1_27scan_by_key_config_selectorIssEEZZNS1_16scan_by_key_implILNS1_25lookback_scan_determinismE0ELb0ES3_N6thrust23THRUST_200600_302600_NS6detail15normal_iteratorINS9_10device_ptrIsEEEESE_SE_sNS9_4plusIvEENS9_8equal_toIsEEsEE10hipError_tPvRmT2_T3_T4_T5_mT6_T7_P12ihipStream_tbENKUlT_T0_E_clISt17integral_constantIbLb0EESZ_EEDaSU_SV_EUlSU_E_NS1_11comp_targetILNS1_3genE10ELNS1_11target_archE1200ELNS1_3gpuE4ELNS1_3repE0EEENS1_30default_config_static_selectorELNS0_4arch9wavefront6targetE1EEEvT1_
	.globl	_ZN7rocprim17ROCPRIM_400000_NS6detail17trampoline_kernelINS0_14default_configENS1_27scan_by_key_config_selectorIssEEZZNS1_16scan_by_key_implILNS1_25lookback_scan_determinismE0ELb0ES3_N6thrust23THRUST_200600_302600_NS6detail15normal_iteratorINS9_10device_ptrIsEEEESE_SE_sNS9_4plusIvEENS9_8equal_toIsEEsEE10hipError_tPvRmT2_T3_T4_T5_mT6_T7_P12ihipStream_tbENKUlT_T0_E_clISt17integral_constantIbLb0EESZ_EEDaSU_SV_EUlSU_E_NS1_11comp_targetILNS1_3genE10ELNS1_11target_archE1200ELNS1_3gpuE4ELNS1_3repE0EEENS1_30default_config_static_selectorELNS0_4arch9wavefront6targetE1EEEvT1_
	.p2align	8
	.type	_ZN7rocprim17ROCPRIM_400000_NS6detail17trampoline_kernelINS0_14default_configENS1_27scan_by_key_config_selectorIssEEZZNS1_16scan_by_key_implILNS1_25lookback_scan_determinismE0ELb0ES3_N6thrust23THRUST_200600_302600_NS6detail15normal_iteratorINS9_10device_ptrIsEEEESE_SE_sNS9_4plusIvEENS9_8equal_toIsEEsEE10hipError_tPvRmT2_T3_T4_T5_mT6_T7_P12ihipStream_tbENKUlT_T0_E_clISt17integral_constantIbLb0EESZ_EEDaSU_SV_EUlSU_E_NS1_11comp_targetILNS1_3genE10ELNS1_11target_archE1200ELNS1_3gpuE4ELNS1_3repE0EEENS1_30default_config_static_selectorELNS0_4arch9wavefront6targetE1EEEvT1_,@function
_ZN7rocprim17ROCPRIM_400000_NS6detail17trampoline_kernelINS0_14default_configENS1_27scan_by_key_config_selectorIssEEZZNS1_16scan_by_key_implILNS1_25lookback_scan_determinismE0ELb0ES3_N6thrust23THRUST_200600_302600_NS6detail15normal_iteratorINS9_10device_ptrIsEEEESE_SE_sNS9_4plusIvEENS9_8equal_toIsEEsEE10hipError_tPvRmT2_T3_T4_T5_mT6_T7_P12ihipStream_tbENKUlT_T0_E_clISt17integral_constantIbLb0EESZ_EEDaSU_SV_EUlSU_E_NS1_11comp_targetILNS1_3genE10ELNS1_11target_archE1200ELNS1_3gpuE4ELNS1_3repE0EEENS1_30default_config_static_selectorELNS0_4arch9wavefront6targetE1EEEvT1_: ; @_ZN7rocprim17ROCPRIM_400000_NS6detail17trampoline_kernelINS0_14default_configENS1_27scan_by_key_config_selectorIssEEZZNS1_16scan_by_key_implILNS1_25lookback_scan_determinismE0ELb0ES3_N6thrust23THRUST_200600_302600_NS6detail15normal_iteratorINS9_10device_ptrIsEEEESE_SE_sNS9_4plusIvEENS9_8equal_toIsEEsEE10hipError_tPvRmT2_T3_T4_T5_mT6_T7_P12ihipStream_tbENKUlT_T0_E_clISt17integral_constantIbLb0EESZ_EEDaSU_SV_EUlSU_E_NS1_11comp_targetILNS1_3genE10ELNS1_11target_archE1200ELNS1_3gpuE4ELNS1_3repE0EEENS1_30default_config_static_selectorELNS0_4arch9wavefront6targetE1EEEvT1_
; %bb.0:
	.section	.rodata,"a",@progbits
	.p2align	6, 0x0
	.amdhsa_kernel _ZN7rocprim17ROCPRIM_400000_NS6detail17trampoline_kernelINS0_14default_configENS1_27scan_by_key_config_selectorIssEEZZNS1_16scan_by_key_implILNS1_25lookback_scan_determinismE0ELb0ES3_N6thrust23THRUST_200600_302600_NS6detail15normal_iteratorINS9_10device_ptrIsEEEESE_SE_sNS9_4plusIvEENS9_8equal_toIsEEsEE10hipError_tPvRmT2_T3_T4_T5_mT6_T7_P12ihipStream_tbENKUlT_T0_E_clISt17integral_constantIbLb0EESZ_EEDaSU_SV_EUlSU_E_NS1_11comp_targetILNS1_3genE10ELNS1_11target_archE1200ELNS1_3gpuE4ELNS1_3repE0EEENS1_30default_config_static_selectorELNS0_4arch9wavefront6targetE1EEEvT1_
		.amdhsa_group_segment_fixed_size 0
		.amdhsa_private_segment_fixed_size 0
		.amdhsa_kernarg_size 112
		.amdhsa_user_sgpr_count 2
		.amdhsa_user_sgpr_dispatch_ptr 0
		.amdhsa_user_sgpr_queue_ptr 0
		.amdhsa_user_sgpr_kernarg_segment_ptr 1
		.amdhsa_user_sgpr_dispatch_id 0
		.amdhsa_user_sgpr_kernarg_preload_length 0
		.amdhsa_user_sgpr_kernarg_preload_offset 0
		.amdhsa_user_sgpr_private_segment_size 0
		.amdhsa_uses_dynamic_stack 0
		.amdhsa_enable_private_segment 0
		.amdhsa_system_sgpr_workgroup_id_x 1
		.amdhsa_system_sgpr_workgroup_id_y 0
		.amdhsa_system_sgpr_workgroup_id_z 0
		.amdhsa_system_sgpr_workgroup_info 0
		.amdhsa_system_vgpr_workitem_id 0
		.amdhsa_next_free_vgpr 1
		.amdhsa_next_free_sgpr 0
		.amdhsa_accum_offset 4
		.amdhsa_reserve_vcc 0
		.amdhsa_float_round_mode_32 0
		.amdhsa_float_round_mode_16_64 0
		.amdhsa_float_denorm_mode_32 3
		.amdhsa_float_denorm_mode_16_64 3
		.amdhsa_dx10_clamp 1
		.amdhsa_ieee_mode 1
		.amdhsa_fp16_overflow 0
		.amdhsa_tg_split 0
		.amdhsa_exception_fp_ieee_invalid_op 0
		.amdhsa_exception_fp_denorm_src 0
		.amdhsa_exception_fp_ieee_div_zero 0
		.amdhsa_exception_fp_ieee_overflow 0
		.amdhsa_exception_fp_ieee_underflow 0
		.amdhsa_exception_fp_ieee_inexact 0
		.amdhsa_exception_int_div_zero 0
	.end_amdhsa_kernel
	.section	.text._ZN7rocprim17ROCPRIM_400000_NS6detail17trampoline_kernelINS0_14default_configENS1_27scan_by_key_config_selectorIssEEZZNS1_16scan_by_key_implILNS1_25lookback_scan_determinismE0ELb0ES3_N6thrust23THRUST_200600_302600_NS6detail15normal_iteratorINS9_10device_ptrIsEEEESE_SE_sNS9_4plusIvEENS9_8equal_toIsEEsEE10hipError_tPvRmT2_T3_T4_T5_mT6_T7_P12ihipStream_tbENKUlT_T0_E_clISt17integral_constantIbLb0EESZ_EEDaSU_SV_EUlSU_E_NS1_11comp_targetILNS1_3genE10ELNS1_11target_archE1200ELNS1_3gpuE4ELNS1_3repE0EEENS1_30default_config_static_selectorELNS0_4arch9wavefront6targetE1EEEvT1_,"axG",@progbits,_ZN7rocprim17ROCPRIM_400000_NS6detail17trampoline_kernelINS0_14default_configENS1_27scan_by_key_config_selectorIssEEZZNS1_16scan_by_key_implILNS1_25lookback_scan_determinismE0ELb0ES3_N6thrust23THRUST_200600_302600_NS6detail15normal_iteratorINS9_10device_ptrIsEEEESE_SE_sNS9_4plusIvEENS9_8equal_toIsEEsEE10hipError_tPvRmT2_T3_T4_T5_mT6_T7_P12ihipStream_tbENKUlT_T0_E_clISt17integral_constantIbLb0EESZ_EEDaSU_SV_EUlSU_E_NS1_11comp_targetILNS1_3genE10ELNS1_11target_archE1200ELNS1_3gpuE4ELNS1_3repE0EEENS1_30default_config_static_selectorELNS0_4arch9wavefront6targetE1EEEvT1_,comdat
.Lfunc_end323:
	.size	_ZN7rocprim17ROCPRIM_400000_NS6detail17trampoline_kernelINS0_14default_configENS1_27scan_by_key_config_selectorIssEEZZNS1_16scan_by_key_implILNS1_25lookback_scan_determinismE0ELb0ES3_N6thrust23THRUST_200600_302600_NS6detail15normal_iteratorINS9_10device_ptrIsEEEESE_SE_sNS9_4plusIvEENS9_8equal_toIsEEsEE10hipError_tPvRmT2_T3_T4_T5_mT6_T7_P12ihipStream_tbENKUlT_T0_E_clISt17integral_constantIbLb0EESZ_EEDaSU_SV_EUlSU_E_NS1_11comp_targetILNS1_3genE10ELNS1_11target_archE1200ELNS1_3gpuE4ELNS1_3repE0EEENS1_30default_config_static_selectorELNS0_4arch9wavefront6targetE1EEEvT1_, .Lfunc_end323-_ZN7rocprim17ROCPRIM_400000_NS6detail17trampoline_kernelINS0_14default_configENS1_27scan_by_key_config_selectorIssEEZZNS1_16scan_by_key_implILNS1_25lookback_scan_determinismE0ELb0ES3_N6thrust23THRUST_200600_302600_NS6detail15normal_iteratorINS9_10device_ptrIsEEEESE_SE_sNS9_4plusIvEENS9_8equal_toIsEEsEE10hipError_tPvRmT2_T3_T4_T5_mT6_T7_P12ihipStream_tbENKUlT_T0_E_clISt17integral_constantIbLb0EESZ_EEDaSU_SV_EUlSU_E_NS1_11comp_targetILNS1_3genE10ELNS1_11target_archE1200ELNS1_3gpuE4ELNS1_3repE0EEENS1_30default_config_static_selectorELNS0_4arch9wavefront6targetE1EEEvT1_
                                        ; -- End function
	.section	.AMDGPU.csdata,"",@progbits
; Kernel info:
; codeLenInByte = 0
; NumSgprs: 6
; NumVgprs: 0
; NumAgprs: 0
; TotalNumVgprs: 0
; ScratchSize: 0
; MemoryBound: 0
; FloatMode: 240
; IeeeMode: 1
; LDSByteSize: 0 bytes/workgroup (compile time only)
; SGPRBlocks: 0
; VGPRBlocks: 0
; NumSGPRsForWavesPerEU: 6
; NumVGPRsForWavesPerEU: 1
; AccumOffset: 4
; Occupancy: 8
; WaveLimiterHint : 0
; COMPUTE_PGM_RSRC2:SCRATCH_EN: 0
; COMPUTE_PGM_RSRC2:USER_SGPR: 2
; COMPUTE_PGM_RSRC2:TRAP_HANDLER: 0
; COMPUTE_PGM_RSRC2:TGID_X_EN: 1
; COMPUTE_PGM_RSRC2:TGID_Y_EN: 0
; COMPUTE_PGM_RSRC2:TGID_Z_EN: 0
; COMPUTE_PGM_RSRC2:TIDIG_COMP_CNT: 0
; COMPUTE_PGM_RSRC3_GFX90A:ACCUM_OFFSET: 0
; COMPUTE_PGM_RSRC3_GFX90A:TG_SPLIT: 0
	.section	.text._ZN7rocprim17ROCPRIM_400000_NS6detail17trampoline_kernelINS0_14default_configENS1_27scan_by_key_config_selectorIssEEZZNS1_16scan_by_key_implILNS1_25lookback_scan_determinismE0ELb0ES3_N6thrust23THRUST_200600_302600_NS6detail15normal_iteratorINS9_10device_ptrIsEEEESE_SE_sNS9_4plusIvEENS9_8equal_toIsEEsEE10hipError_tPvRmT2_T3_T4_T5_mT6_T7_P12ihipStream_tbENKUlT_T0_E_clISt17integral_constantIbLb0EESZ_EEDaSU_SV_EUlSU_E_NS1_11comp_targetILNS1_3genE9ELNS1_11target_archE1100ELNS1_3gpuE3ELNS1_3repE0EEENS1_30default_config_static_selectorELNS0_4arch9wavefront6targetE1EEEvT1_,"axG",@progbits,_ZN7rocprim17ROCPRIM_400000_NS6detail17trampoline_kernelINS0_14default_configENS1_27scan_by_key_config_selectorIssEEZZNS1_16scan_by_key_implILNS1_25lookback_scan_determinismE0ELb0ES3_N6thrust23THRUST_200600_302600_NS6detail15normal_iteratorINS9_10device_ptrIsEEEESE_SE_sNS9_4plusIvEENS9_8equal_toIsEEsEE10hipError_tPvRmT2_T3_T4_T5_mT6_T7_P12ihipStream_tbENKUlT_T0_E_clISt17integral_constantIbLb0EESZ_EEDaSU_SV_EUlSU_E_NS1_11comp_targetILNS1_3genE9ELNS1_11target_archE1100ELNS1_3gpuE3ELNS1_3repE0EEENS1_30default_config_static_selectorELNS0_4arch9wavefront6targetE1EEEvT1_,comdat
	.protected	_ZN7rocprim17ROCPRIM_400000_NS6detail17trampoline_kernelINS0_14default_configENS1_27scan_by_key_config_selectorIssEEZZNS1_16scan_by_key_implILNS1_25lookback_scan_determinismE0ELb0ES3_N6thrust23THRUST_200600_302600_NS6detail15normal_iteratorINS9_10device_ptrIsEEEESE_SE_sNS9_4plusIvEENS9_8equal_toIsEEsEE10hipError_tPvRmT2_T3_T4_T5_mT6_T7_P12ihipStream_tbENKUlT_T0_E_clISt17integral_constantIbLb0EESZ_EEDaSU_SV_EUlSU_E_NS1_11comp_targetILNS1_3genE9ELNS1_11target_archE1100ELNS1_3gpuE3ELNS1_3repE0EEENS1_30default_config_static_selectorELNS0_4arch9wavefront6targetE1EEEvT1_ ; -- Begin function _ZN7rocprim17ROCPRIM_400000_NS6detail17trampoline_kernelINS0_14default_configENS1_27scan_by_key_config_selectorIssEEZZNS1_16scan_by_key_implILNS1_25lookback_scan_determinismE0ELb0ES3_N6thrust23THRUST_200600_302600_NS6detail15normal_iteratorINS9_10device_ptrIsEEEESE_SE_sNS9_4plusIvEENS9_8equal_toIsEEsEE10hipError_tPvRmT2_T3_T4_T5_mT6_T7_P12ihipStream_tbENKUlT_T0_E_clISt17integral_constantIbLb0EESZ_EEDaSU_SV_EUlSU_E_NS1_11comp_targetILNS1_3genE9ELNS1_11target_archE1100ELNS1_3gpuE3ELNS1_3repE0EEENS1_30default_config_static_selectorELNS0_4arch9wavefront6targetE1EEEvT1_
	.globl	_ZN7rocprim17ROCPRIM_400000_NS6detail17trampoline_kernelINS0_14default_configENS1_27scan_by_key_config_selectorIssEEZZNS1_16scan_by_key_implILNS1_25lookback_scan_determinismE0ELb0ES3_N6thrust23THRUST_200600_302600_NS6detail15normal_iteratorINS9_10device_ptrIsEEEESE_SE_sNS9_4plusIvEENS9_8equal_toIsEEsEE10hipError_tPvRmT2_T3_T4_T5_mT6_T7_P12ihipStream_tbENKUlT_T0_E_clISt17integral_constantIbLb0EESZ_EEDaSU_SV_EUlSU_E_NS1_11comp_targetILNS1_3genE9ELNS1_11target_archE1100ELNS1_3gpuE3ELNS1_3repE0EEENS1_30default_config_static_selectorELNS0_4arch9wavefront6targetE1EEEvT1_
	.p2align	8
	.type	_ZN7rocprim17ROCPRIM_400000_NS6detail17trampoline_kernelINS0_14default_configENS1_27scan_by_key_config_selectorIssEEZZNS1_16scan_by_key_implILNS1_25lookback_scan_determinismE0ELb0ES3_N6thrust23THRUST_200600_302600_NS6detail15normal_iteratorINS9_10device_ptrIsEEEESE_SE_sNS9_4plusIvEENS9_8equal_toIsEEsEE10hipError_tPvRmT2_T3_T4_T5_mT6_T7_P12ihipStream_tbENKUlT_T0_E_clISt17integral_constantIbLb0EESZ_EEDaSU_SV_EUlSU_E_NS1_11comp_targetILNS1_3genE9ELNS1_11target_archE1100ELNS1_3gpuE3ELNS1_3repE0EEENS1_30default_config_static_selectorELNS0_4arch9wavefront6targetE1EEEvT1_,@function
_ZN7rocprim17ROCPRIM_400000_NS6detail17trampoline_kernelINS0_14default_configENS1_27scan_by_key_config_selectorIssEEZZNS1_16scan_by_key_implILNS1_25lookback_scan_determinismE0ELb0ES3_N6thrust23THRUST_200600_302600_NS6detail15normal_iteratorINS9_10device_ptrIsEEEESE_SE_sNS9_4plusIvEENS9_8equal_toIsEEsEE10hipError_tPvRmT2_T3_T4_T5_mT6_T7_P12ihipStream_tbENKUlT_T0_E_clISt17integral_constantIbLb0EESZ_EEDaSU_SV_EUlSU_E_NS1_11comp_targetILNS1_3genE9ELNS1_11target_archE1100ELNS1_3gpuE3ELNS1_3repE0EEENS1_30default_config_static_selectorELNS0_4arch9wavefront6targetE1EEEvT1_: ; @_ZN7rocprim17ROCPRIM_400000_NS6detail17trampoline_kernelINS0_14default_configENS1_27scan_by_key_config_selectorIssEEZZNS1_16scan_by_key_implILNS1_25lookback_scan_determinismE0ELb0ES3_N6thrust23THRUST_200600_302600_NS6detail15normal_iteratorINS9_10device_ptrIsEEEESE_SE_sNS9_4plusIvEENS9_8equal_toIsEEsEE10hipError_tPvRmT2_T3_T4_T5_mT6_T7_P12ihipStream_tbENKUlT_T0_E_clISt17integral_constantIbLb0EESZ_EEDaSU_SV_EUlSU_E_NS1_11comp_targetILNS1_3genE9ELNS1_11target_archE1100ELNS1_3gpuE3ELNS1_3repE0EEENS1_30default_config_static_selectorELNS0_4arch9wavefront6targetE1EEEvT1_
; %bb.0:
	.section	.rodata,"a",@progbits
	.p2align	6, 0x0
	.amdhsa_kernel _ZN7rocprim17ROCPRIM_400000_NS6detail17trampoline_kernelINS0_14default_configENS1_27scan_by_key_config_selectorIssEEZZNS1_16scan_by_key_implILNS1_25lookback_scan_determinismE0ELb0ES3_N6thrust23THRUST_200600_302600_NS6detail15normal_iteratorINS9_10device_ptrIsEEEESE_SE_sNS9_4plusIvEENS9_8equal_toIsEEsEE10hipError_tPvRmT2_T3_T4_T5_mT6_T7_P12ihipStream_tbENKUlT_T0_E_clISt17integral_constantIbLb0EESZ_EEDaSU_SV_EUlSU_E_NS1_11comp_targetILNS1_3genE9ELNS1_11target_archE1100ELNS1_3gpuE3ELNS1_3repE0EEENS1_30default_config_static_selectorELNS0_4arch9wavefront6targetE1EEEvT1_
		.amdhsa_group_segment_fixed_size 0
		.amdhsa_private_segment_fixed_size 0
		.amdhsa_kernarg_size 112
		.amdhsa_user_sgpr_count 2
		.amdhsa_user_sgpr_dispatch_ptr 0
		.amdhsa_user_sgpr_queue_ptr 0
		.amdhsa_user_sgpr_kernarg_segment_ptr 1
		.amdhsa_user_sgpr_dispatch_id 0
		.amdhsa_user_sgpr_kernarg_preload_length 0
		.amdhsa_user_sgpr_kernarg_preload_offset 0
		.amdhsa_user_sgpr_private_segment_size 0
		.amdhsa_uses_dynamic_stack 0
		.amdhsa_enable_private_segment 0
		.amdhsa_system_sgpr_workgroup_id_x 1
		.amdhsa_system_sgpr_workgroup_id_y 0
		.amdhsa_system_sgpr_workgroup_id_z 0
		.amdhsa_system_sgpr_workgroup_info 0
		.amdhsa_system_vgpr_workitem_id 0
		.amdhsa_next_free_vgpr 1
		.amdhsa_next_free_sgpr 0
		.amdhsa_accum_offset 4
		.amdhsa_reserve_vcc 0
		.amdhsa_float_round_mode_32 0
		.amdhsa_float_round_mode_16_64 0
		.amdhsa_float_denorm_mode_32 3
		.amdhsa_float_denorm_mode_16_64 3
		.amdhsa_dx10_clamp 1
		.amdhsa_ieee_mode 1
		.amdhsa_fp16_overflow 0
		.amdhsa_tg_split 0
		.amdhsa_exception_fp_ieee_invalid_op 0
		.amdhsa_exception_fp_denorm_src 0
		.amdhsa_exception_fp_ieee_div_zero 0
		.amdhsa_exception_fp_ieee_overflow 0
		.amdhsa_exception_fp_ieee_underflow 0
		.amdhsa_exception_fp_ieee_inexact 0
		.amdhsa_exception_int_div_zero 0
	.end_amdhsa_kernel
	.section	.text._ZN7rocprim17ROCPRIM_400000_NS6detail17trampoline_kernelINS0_14default_configENS1_27scan_by_key_config_selectorIssEEZZNS1_16scan_by_key_implILNS1_25lookback_scan_determinismE0ELb0ES3_N6thrust23THRUST_200600_302600_NS6detail15normal_iteratorINS9_10device_ptrIsEEEESE_SE_sNS9_4plusIvEENS9_8equal_toIsEEsEE10hipError_tPvRmT2_T3_T4_T5_mT6_T7_P12ihipStream_tbENKUlT_T0_E_clISt17integral_constantIbLb0EESZ_EEDaSU_SV_EUlSU_E_NS1_11comp_targetILNS1_3genE9ELNS1_11target_archE1100ELNS1_3gpuE3ELNS1_3repE0EEENS1_30default_config_static_selectorELNS0_4arch9wavefront6targetE1EEEvT1_,"axG",@progbits,_ZN7rocprim17ROCPRIM_400000_NS6detail17trampoline_kernelINS0_14default_configENS1_27scan_by_key_config_selectorIssEEZZNS1_16scan_by_key_implILNS1_25lookback_scan_determinismE0ELb0ES3_N6thrust23THRUST_200600_302600_NS6detail15normal_iteratorINS9_10device_ptrIsEEEESE_SE_sNS9_4plusIvEENS9_8equal_toIsEEsEE10hipError_tPvRmT2_T3_T4_T5_mT6_T7_P12ihipStream_tbENKUlT_T0_E_clISt17integral_constantIbLb0EESZ_EEDaSU_SV_EUlSU_E_NS1_11comp_targetILNS1_3genE9ELNS1_11target_archE1100ELNS1_3gpuE3ELNS1_3repE0EEENS1_30default_config_static_selectorELNS0_4arch9wavefront6targetE1EEEvT1_,comdat
.Lfunc_end324:
	.size	_ZN7rocprim17ROCPRIM_400000_NS6detail17trampoline_kernelINS0_14default_configENS1_27scan_by_key_config_selectorIssEEZZNS1_16scan_by_key_implILNS1_25lookback_scan_determinismE0ELb0ES3_N6thrust23THRUST_200600_302600_NS6detail15normal_iteratorINS9_10device_ptrIsEEEESE_SE_sNS9_4plusIvEENS9_8equal_toIsEEsEE10hipError_tPvRmT2_T3_T4_T5_mT6_T7_P12ihipStream_tbENKUlT_T0_E_clISt17integral_constantIbLb0EESZ_EEDaSU_SV_EUlSU_E_NS1_11comp_targetILNS1_3genE9ELNS1_11target_archE1100ELNS1_3gpuE3ELNS1_3repE0EEENS1_30default_config_static_selectorELNS0_4arch9wavefront6targetE1EEEvT1_, .Lfunc_end324-_ZN7rocprim17ROCPRIM_400000_NS6detail17trampoline_kernelINS0_14default_configENS1_27scan_by_key_config_selectorIssEEZZNS1_16scan_by_key_implILNS1_25lookback_scan_determinismE0ELb0ES3_N6thrust23THRUST_200600_302600_NS6detail15normal_iteratorINS9_10device_ptrIsEEEESE_SE_sNS9_4plusIvEENS9_8equal_toIsEEsEE10hipError_tPvRmT2_T3_T4_T5_mT6_T7_P12ihipStream_tbENKUlT_T0_E_clISt17integral_constantIbLb0EESZ_EEDaSU_SV_EUlSU_E_NS1_11comp_targetILNS1_3genE9ELNS1_11target_archE1100ELNS1_3gpuE3ELNS1_3repE0EEENS1_30default_config_static_selectorELNS0_4arch9wavefront6targetE1EEEvT1_
                                        ; -- End function
	.section	.AMDGPU.csdata,"",@progbits
; Kernel info:
; codeLenInByte = 0
; NumSgprs: 6
; NumVgprs: 0
; NumAgprs: 0
; TotalNumVgprs: 0
; ScratchSize: 0
; MemoryBound: 0
; FloatMode: 240
; IeeeMode: 1
; LDSByteSize: 0 bytes/workgroup (compile time only)
; SGPRBlocks: 0
; VGPRBlocks: 0
; NumSGPRsForWavesPerEU: 6
; NumVGPRsForWavesPerEU: 1
; AccumOffset: 4
; Occupancy: 8
; WaveLimiterHint : 0
; COMPUTE_PGM_RSRC2:SCRATCH_EN: 0
; COMPUTE_PGM_RSRC2:USER_SGPR: 2
; COMPUTE_PGM_RSRC2:TRAP_HANDLER: 0
; COMPUTE_PGM_RSRC2:TGID_X_EN: 1
; COMPUTE_PGM_RSRC2:TGID_Y_EN: 0
; COMPUTE_PGM_RSRC2:TGID_Z_EN: 0
; COMPUTE_PGM_RSRC2:TIDIG_COMP_CNT: 0
; COMPUTE_PGM_RSRC3_GFX90A:ACCUM_OFFSET: 0
; COMPUTE_PGM_RSRC3_GFX90A:TG_SPLIT: 0
	.section	.text._ZN7rocprim17ROCPRIM_400000_NS6detail17trampoline_kernelINS0_14default_configENS1_27scan_by_key_config_selectorIssEEZZNS1_16scan_by_key_implILNS1_25lookback_scan_determinismE0ELb0ES3_N6thrust23THRUST_200600_302600_NS6detail15normal_iteratorINS9_10device_ptrIsEEEESE_SE_sNS9_4plusIvEENS9_8equal_toIsEEsEE10hipError_tPvRmT2_T3_T4_T5_mT6_T7_P12ihipStream_tbENKUlT_T0_E_clISt17integral_constantIbLb0EESZ_EEDaSU_SV_EUlSU_E_NS1_11comp_targetILNS1_3genE8ELNS1_11target_archE1030ELNS1_3gpuE2ELNS1_3repE0EEENS1_30default_config_static_selectorELNS0_4arch9wavefront6targetE1EEEvT1_,"axG",@progbits,_ZN7rocprim17ROCPRIM_400000_NS6detail17trampoline_kernelINS0_14default_configENS1_27scan_by_key_config_selectorIssEEZZNS1_16scan_by_key_implILNS1_25lookback_scan_determinismE0ELb0ES3_N6thrust23THRUST_200600_302600_NS6detail15normal_iteratorINS9_10device_ptrIsEEEESE_SE_sNS9_4plusIvEENS9_8equal_toIsEEsEE10hipError_tPvRmT2_T3_T4_T5_mT6_T7_P12ihipStream_tbENKUlT_T0_E_clISt17integral_constantIbLb0EESZ_EEDaSU_SV_EUlSU_E_NS1_11comp_targetILNS1_3genE8ELNS1_11target_archE1030ELNS1_3gpuE2ELNS1_3repE0EEENS1_30default_config_static_selectorELNS0_4arch9wavefront6targetE1EEEvT1_,comdat
	.protected	_ZN7rocprim17ROCPRIM_400000_NS6detail17trampoline_kernelINS0_14default_configENS1_27scan_by_key_config_selectorIssEEZZNS1_16scan_by_key_implILNS1_25lookback_scan_determinismE0ELb0ES3_N6thrust23THRUST_200600_302600_NS6detail15normal_iteratorINS9_10device_ptrIsEEEESE_SE_sNS9_4plusIvEENS9_8equal_toIsEEsEE10hipError_tPvRmT2_T3_T4_T5_mT6_T7_P12ihipStream_tbENKUlT_T0_E_clISt17integral_constantIbLb0EESZ_EEDaSU_SV_EUlSU_E_NS1_11comp_targetILNS1_3genE8ELNS1_11target_archE1030ELNS1_3gpuE2ELNS1_3repE0EEENS1_30default_config_static_selectorELNS0_4arch9wavefront6targetE1EEEvT1_ ; -- Begin function _ZN7rocprim17ROCPRIM_400000_NS6detail17trampoline_kernelINS0_14default_configENS1_27scan_by_key_config_selectorIssEEZZNS1_16scan_by_key_implILNS1_25lookback_scan_determinismE0ELb0ES3_N6thrust23THRUST_200600_302600_NS6detail15normal_iteratorINS9_10device_ptrIsEEEESE_SE_sNS9_4plusIvEENS9_8equal_toIsEEsEE10hipError_tPvRmT2_T3_T4_T5_mT6_T7_P12ihipStream_tbENKUlT_T0_E_clISt17integral_constantIbLb0EESZ_EEDaSU_SV_EUlSU_E_NS1_11comp_targetILNS1_3genE8ELNS1_11target_archE1030ELNS1_3gpuE2ELNS1_3repE0EEENS1_30default_config_static_selectorELNS0_4arch9wavefront6targetE1EEEvT1_
	.globl	_ZN7rocprim17ROCPRIM_400000_NS6detail17trampoline_kernelINS0_14default_configENS1_27scan_by_key_config_selectorIssEEZZNS1_16scan_by_key_implILNS1_25lookback_scan_determinismE0ELb0ES3_N6thrust23THRUST_200600_302600_NS6detail15normal_iteratorINS9_10device_ptrIsEEEESE_SE_sNS9_4plusIvEENS9_8equal_toIsEEsEE10hipError_tPvRmT2_T3_T4_T5_mT6_T7_P12ihipStream_tbENKUlT_T0_E_clISt17integral_constantIbLb0EESZ_EEDaSU_SV_EUlSU_E_NS1_11comp_targetILNS1_3genE8ELNS1_11target_archE1030ELNS1_3gpuE2ELNS1_3repE0EEENS1_30default_config_static_selectorELNS0_4arch9wavefront6targetE1EEEvT1_
	.p2align	8
	.type	_ZN7rocprim17ROCPRIM_400000_NS6detail17trampoline_kernelINS0_14default_configENS1_27scan_by_key_config_selectorIssEEZZNS1_16scan_by_key_implILNS1_25lookback_scan_determinismE0ELb0ES3_N6thrust23THRUST_200600_302600_NS6detail15normal_iteratorINS9_10device_ptrIsEEEESE_SE_sNS9_4plusIvEENS9_8equal_toIsEEsEE10hipError_tPvRmT2_T3_T4_T5_mT6_T7_P12ihipStream_tbENKUlT_T0_E_clISt17integral_constantIbLb0EESZ_EEDaSU_SV_EUlSU_E_NS1_11comp_targetILNS1_3genE8ELNS1_11target_archE1030ELNS1_3gpuE2ELNS1_3repE0EEENS1_30default_config_static_selectorELNS0_4arch9wavefront6targetE1EEEvT1_,@function
_ZN7rocprim17ROCPRIM_400000_NS6detail17trampoline_kernelINS0_14default_configENS1_27scan_by_key_config_selectorIssEEZZNS1_16scan_by_key_implILNS1_25lookback_scan_determinismE0ELb0ES3_N6thrust23THRUST_200600_302600_NS6detail15normal_iteratorINS9_10device_ptrIsEEEESE_SE_sNS9_4plusIvEENS9_8equal_toIsEEsEE10hipError_tPvRmT2_T3_T4_T5_mT6_T7_P12ihipStream_tbENKUlT_T0_E_clISt17integral_constantIbLb0EESZ_EEDaSU_SV_EUlSU_E_NS1_11comp_targetILNS1_3genE8ELNS1_11target_archE1030ELNS1_3gpuE2ELNS1_3repE0EEENS1_30default_config_static_selectorELNS0_4arch9wavefront6targetE1EEEvT1_: ; @_ZN7rocprim17ROCPRIM_400000_NS6detail17trampoline_kernelINS0_14default_configENS1_27scan_by_key_config_selectorIssEEZZNS1_16scan_by_key_implILNS1_25lookback_scan_determinismE0ELb0ES3_N6thrust23THRUST_200600_302600_NS6detail15normal_iteratorINS9_10device_ptrIsEEEESE_SE_sNS9_4plusIvEENS9_8equal_toIsEEsEE10hipError_tPvRmT2_T3_T4_T5_mT6_T7_P12ihipStream_tbENKUlT_T0_E_clISt17integral_constantIbLb0EESZ_EEDaSU_SV_EUlSU_E_NS1_11comp_targetILNS1_3genE8ELNS1_11target_archE1030ELNS1_3gpuE2ELNS1_3repE0EEENS1_30default_config_static_selectorELNS0_4arch9wavefront6targetE1EEEvT1_
; %bb.0:
	.section	.rodata,"a",@progbits
	.p2align	6, 0x0
	.amdhsa_kernel _ZN7rocprim17ROCPRIM_400000_NS6detail17trampoline_kernelINS0_14default_configENS1_27scan_by_key_config_selectorIssEEZZNS1_16scan_by_key_implILNS1_25lookback_scan_determinismE0ELb0ES3_N6thrust23THRUST_200600_302600_NS6detail15normal_iteratorINS9_10device_ptrIsEEEESE_SE_sNS9_4plusIvEENS9_8equal_toIsEEsEE10hipError_tPvRmT2_T3_T4_T5_mT6_T7_P12ihipStream_tbENKUlT_T0_E_clISt17integral_constantIbLb0EESZ_EEDaSU_SV_EUlSU_E_NS1_11comp_targetILNS1_3genE8ELNS1_11target_archE1030ELNS1_3gpuE2ELNS1_3repE0EEENS1_30default_config_static_selectorELNS0_4arch9wavefront6targetE1EEEvT1_
		.amdhsa_group_segment_fixed_size 0
		.amdhsa_private_segment_fixed_size 0
		.amdhsa_kernarg_size 112
		.amdhsa_user_sgpr_count 2
		.amdhsa_user_sgpr_dispatch_ptr 0
		.amdhsa_user_sgpr_queue_ptr 0
		.amdhsa_user_sgpr_kernarg_segment_ptr 1
		.amdhsa_user_sgpr_dispatch_id 0
		.amdhsa_user_sgpr_kernarg_preload_length 0
		.amdhsa_user_sgpr_kernarg_preload_offset 0
		.amdhsa_user_sgpr_private_segment_size 0
		.amdhsa_uses_dynamic_stack 0
		.amdhsa_enable_private_segment 0
		.amdhsa_system_sgpr_workgroup_id_x 1
		.amdhsa_system_sgpr_workgroup_id_y 0
		.amdhsa_system_sgpr_workgroup_id_z 0
		.amdhsa_system_sgpr_workgroup_info 0
		.amdhsa_system_vgpr_workitem_id 0
		.amdhsa_next_free_vgpr 1
		.amdhsa_next_free_sgpr 0
		.amdhsa_accum_offset 4
		.amdhsa_reserve_vcc 0
		.amdhsa_float_round_mode_32 0
		.amdhsa_float_round_mode_16_64 0
		.amdhsa_float_denorm_mode_32 3
		.amdhsa_float_denorm_mode_16_64 3
		.amdhsa_dx10_clamp 1
		.amdhsa_ieee_mode 1
		.amdhsa_fp16_overflow 0
		.amdhsa_tg_split 0
		.amdhsa_exception_fp_ieee_invalid_op 0
		.amdhsa_exception_fp_denorm_src 0
		.amdhsa_exception_fp_ieee_div_zero 0
		.amdhsa_exception_fp_ieee_overflow 0
		.amdhsa_exception_fp_ieee_underflow 0
		.amdhsa_exception_fp_ieee_inexact 0
		.amdhsa_exception_int_div_zero 0
	.end_amdhsa_kernel
	.section	.text._ZN7rocprim17ROCPRIM_400000_NS6detail17trampoline_kernelINS0_14default_configENS1_27scan_by_key_config_selectorIssEEZZNS1_16scan_by_key_implILNS1_25lookback_scan_determinismE0ELb0ES3_N6thrust23THRUST_200600_302600_NS6detail15normal_iteratorINS9_10device_ptrIsEEEESE_SE_sNS9_4plusIvEENS9_8equal_toIsEEsEE10hipError_tPvRmT2_T3_T4_T5_mT6_T7_P12ihipStream_tbENKUlT_T0_E_clISt17integral_constantIbLb0EESZ_EEDaSU_SV_EUlSU_E_NS1_11comp_targetILNS1_3genE8ELNS1_11target_archE1030ELNS1_3gpuE2ELNS1_3repE0EEENS1_30default_config_static_selectorELNS0_4arch9wavefront6targetE1EEEvT1_,"axG",@progbits,_ZN7rocprim17ROCPRIM_400000_NS6detail17trampoline_kernelINS0_14default_configENS1_27scan_by_key_config_selectorIssEEZZNS1_16scan_by_key_implILNS1_25lookback_scan_determinismE0ELb0ES3_N6thrust23THRUST_200600_302600_NS6detail15normal_iteratorINS9_10device_ptrIsEEEESE_SE_sNS9_4plusIvEENS9_8equal_toIsEEsEE10hipError_tPvRmT2_T3_T4_T5_mT6_T7_P12ihipStream_tbENKUlT_T0_E_clISt17integral_constantIbLb0EESZ_EEDaSU_SV_EUlSU_E_NS1_11comp_targetILNS1_3genE8ELNS1_11target_archE1030ELNS1_3gpuE2ELNS1_3repE0EEENS1_30default_config_static_selectorELNS0_4arch9wavefront6targetE1EEEvT1_,comdat
.Lfunc_end325:
	.size	_ZN7rocprim17ROCPRIM_400000_NS6detail17trampoline_kernelINS0_14default_configENS1_27scan_by_key_config_selectorIssEEZZNS1_16scan_by_key_implILNS1_25lookback_scan_determinismE0ELb0ES3_N6thrust23THRUST_200600_302600_NS6detail15normal_iteratorINS9_10device_ptrIsEEEESE_SE_sNS9_4plusIvEENS9_8equal_toIsEEsEE10hipError_tPvRmT2_T3_T4_T5_mT6_T7_P12ihipStream_tbENKUlT_T0_E_clISt17integral_constantIbLb0EESZ_EEDaSU_SV_EUlSU_E_NS1_11comp_targetILNS1_3genE8ELNS1_11target_archE1030ELNS1_3gpuE2ELNS1_3repE0EEENS1_30default_config_static_selectorELNS0_4arch9wavefront6targetE1EEEvT1_, .Lfunc_end325-_ZN7rocprim17ROCPRIM_400000_NS6detail17trampoline_kernelINS0_14default_configENS1_27scan_by_key_config_selectorIssEEZZNS1_16scan_by_key_implILNS1_25lookback_scan_determinismE0ELb0ES3_N6thrust23THRUST_200600_302600_NS6detail15normal_iteratorINS9_10device_ptrIsEEEESE_SE_sNS9_4plusIvEENS9_8equal_toIsEEsEE10hipError_tPvRmT2_T3_T4_T5_mT6_T7_P12ihipStream_tbENKUlT_T0_E_clISt17integral_constantIbLb0EESZ_EEDaSU_SV_EUlSU_E_NS1_11comp_targetILNS1_3genE8ELNS1_11target_archE1030ELNS1_3gpuE2ELNS1_3repE0EEENS1_30default_config_static_selectorELNS0_4arch9wavefront6targetE1EEEvT1_
                                        ; -- End function
	.section	.AMDGPU.csdata,"",@progbits
; Kernel info:
; codeLenInByte = 0
; NumSgprs: 6
; NumVgprs: 0
; NumAgprs: 0
; TotalNumVgprs: 0
; ScratchSize: 0
; MemoryBound: 0
; FloatMode: 240
; IeeeMode: 1
; LDSByteSize: 0 bytes/workgroup (compile time only)
; SGPRBlocks: 0
; VGPRBlocks: 0
; NumSGPRsForWavesPerEU: 6
; NumVGPRsForWavesPerEU: 1
; AccumOffset: 4
; Occupancy: 8
; WaveLimiterHint : 0
; COMPUTE_PGM_RSRC2:SCRATCH_EN: 0
; COMPUTE_PGM_RSRC2:USER_SGPR: 2
; COMPUTE_PGM_RSRC2:TRAP_HANDLER: 0
; COMPUTE_PGM_RSRC2:TGID_X_EN: 1
; COMPUTE_PGM_RSRC2:TGID_Y_EN: 0
; COMPUTE_PGM_RSRC2:TGID_Z_EN: 0
; COMPUTE_PGM_RSRC2:TIDIG_COMP_CNT: 0
; COMPUTE_PGM_RSRC3_GFX90A:ACCUM_OFFSET: 0
; COMPUTE_PGM_RSRC3_GFX90A:TG_SPLIT: 0
	.section	.text._ZN7rocprim17ROCPRIM_400000_NS6detail17trampoline_kernelINS0_14default_configENS1_27scan_by_key_config_selectorIssEEZZNS1_16scan_by_key_implILNS1_25lookback_scan_determinismE0ELb0ES3_N6thrust23THRUST_200600_302600_NS6detail15normal_iteratorINS9_10device_ptrIsEEEESE_SE_sNS9_4plusIvEENS9_8equal_toIsEEsEE10hipError_tPvRmT2_T3_T4_T5_mT6_T7_P12ihipStream_tbENKUlT_T0_E_clISt17integral_constantIbLb1EESZ_EEDaSU_SV_EUlSU_E_NS1_11comp_targetILNS1_3genE0ELNS1_11target_archE4294967295ELNS1_3gpuE0ELNS1_3repE0EEENS1_30default_config_static_selectorELNS0_4arch9wavefront6targetE1EEEvT1_,"axG",@progbits,_ZN7rocprim17ROCPRIM_400000_NS6detail17trampoline_kernelINS0_14default_configENS1_27scan_by_key_config_selectorIssEEZZNS1_16scan_by_key_implILNS1_25lookback_scan_determinismE0ELb0ES3_N6thrust23THRUST_200600_302600_NS6detail15normal_iteratorINS9_10device_ptrIsEEEESE_SE_sNS9_4plusIvEENS9_8equal_toIsEEsEE10hipError_tPvRmT2_T3_T4_T5_mT6_T7_P12ihipStream_tbENKUlT_T0_E_clISt17integral_constantIbLb1EESZ_EEDaSU_SV_EUlSU_E_NS1_11comp_targetILNS1_3genE0ELNS1_11target_archE4294967295ELNS1_3gpuE0ELNS1_3repE0EEENS1_30default_config_static_selectorELNS0_4arch9wavefront6targetE1EEEvT1_,comdat
	.protected	_ZN7rocprim17ROCPRIM_400000_NS6detail17trampoline_kernelINS0_14default_configENS1_27scan_by_key_config_selectorIssEEZZNS1_16scan_by_key_implILNS1_25lookback_scan_determinismE0ELb0ES3_N6thrust23THRUST_200600_302600_NS6detail15normal_iteratorINS9_10device_ptrIsEEEESE_SE_sNS9_4plusIvEENS9_8equal_toIsEEsEE10hipError_tPvRmT2_T3_T4_T5_mT6_T7_P12ihipStream_tbENKUlT_T0_E_clISt17integral_constantIbLb1EESZ_EEDaSU_SV_EUlSU_E_NS1_11comp_targetILNS1_3genE0ELNS1_11target_archE4294967295ELNS1_3gpuE0ELNS1_3repE0EEENS1_30default_config_static_selectorELNS0_4arch9wavefront6targetE1EEEvT1_ ; -- Begin function _ZN7rocprim17ROCPRIM_400000_NS6detail17trampoline_kernelINS0_14default_configENS1_27scan_by_key_config_selectorIssEEZZNS1_16scan_by_key_implILNS1_25lookback_scan_determinismE0ELb0ES3_N6thrust23THRUST_200600_302600_NS6detail15normal_iteratorINS9_10device_ptrIsEEEESE_SE_sNS9_4plusIvEENS9_8equal_toIsEEsEE10hipError_tPvRmT2_T3_T4_T5_mT6_T7_P12ihipStream_tbENKUlT_T0_E_clISt17integral_constantIbLb1EESZ_EEDaSU_SV_EUlSU_E_NS1_11comp_targetILNS1_3genE0ELNS1_11target_archE4294967295ELNS1_3gpuE0ELNS1_3repE0EEENS1_30default_config_static_selectorELNS0_4arch9wavefront6targetE1EEEvT1_
	.globl	_ZN7rocprim17ROCPRIM_400000_NS6detail17trampoline_kernelINS0_14default_configENS1_27scan_by_key_config_selectorIssEEZZNS1_16scan_by_key_implILNS1_25lookback_scan_determinismE0ELb0ES3_N6thrust23THRUST_200600_302600_NS6detail15normal_iteratorINS9_10device_ptrIsEEEESE_SE_sNS9_4plusIvEENS9_8equal_toIsEEsEE10hipError_tPvRmT2_T3_T4_T5_mT6_T7_P12ihipStream_tbENKUlT_T0_E_clISt17integral_constantIbLb1EESZ_EEDaSU_SV_EUlSU_E_NS1_11comp_targetILNS1_3genE0ELNS1_11target_archE4294967295ELNS1_3gpuE0ELNS1_3repE0EEENS1_30default_config_static_selectorELNS0_4arch9wavefront6targetE1EEEvT1_
	.p2align	8
	.type	_ZN7rocprim17ROCPRIM_400000_NS6detail17trampoline_kernelINS0_14default_configENS1_27scan_by_key_config_selectorIssEEZZNS1_16scan_by_key_implILNS1_25lookback_scan_determinismE0ELb0ES3_N6thrust23THRUST_200600_302600_NS6detail15normal_iteratorINS9_10device_ptrIsEEEESE_SE_sNS9_4plusIvEENS9_8equal_toIsEEsEE10hipError_tPvRmT2_T3_T4_T5_mT6_T7_P12ihipStream_tbENKUlT_T0_E_clISt17integral_constantIbLb1EESZ_EEDaSU_SV_EUlSU_E_NS1_11comp_targetILNS1_3genE0ELNS1_11target_archE4294967295ELNS1_3gpuE0ELNS1_3repE0EEENS1_30default_config_static_selectorELNS0_4arch9wavefront6targetE1EEEvT1_,@function
_ZN7rocprim17ROCPRIM_400000_NS6detail17trampoline_kernelINS0_14default_configENS1_27scan_by_key_config_selectorIssEEZZNS1_16scan_by_key_implILNS1_25lookback_scan_determinismE0ELb0ES3_N6thrust23THRUST_200600_302600_NS6detail15normal_iteratorINS9_10device_ptrIsEEEESE_SE_sNS9_4plusIvEENS9_8equal_toIsEEsEE10hipError_tPvRmT2_T3_T4_T5_mT6_T7_P12ihipStream_tbENKUlT_T0_E_clISt17integral_constantIbLb1EESZ_EEDaSU_SV_EUlSU_E_NS1_11comp_targetILNS1_3genE0ELNS1_11target_archE4294967295ELNS1_3gpuE0ELNS1_3repE0EEENS1_30default_config_static_selectorELNS0_4arch9wavefront6targetE1EEEvT1_: ; @_ZN7rocprim17ROCPRIM_400000_NS6detail17trampoline_kernelINS0_14default_configENS1_27scan_by_key_config_selectorIssEEZZNS1_16scan_by_key_implILNS1_25lookback_scan_determinismE0ELb0ES3_N6thrust23THRUST_200600_302600_NS6detail15normal_iteratorINS9_10device_ptrIsEEEESE_SE_sNS9_4plusIvEENS9_8equal_toIsEEsEE10hipError_tPvRmT2_T3_T4_T5_mT6_T7_P12ihipStream_tbENKUlT_T0_E_clISt17integral_constantIbLb1EESZ_EEDaSU_SV_EUlSU_E_NS1_11comp_targetILNS1_3genE0ELNS1_11target_archE4294967295ELNS1_3gpuE0ELNS1_3repE0EEENS1_30default_config_static_selectorELNS0_4arch9wavefront6targetE1EEEvT1_
; %bb.0:
	.section	.rodata,"a",@progbits
	.p2align	6, 0x0
	.amdhsa_kernel _ZN7rocprim17ROCPRIM_400000_NS6detail17trampoline_kernelINS0_14default_configENS1_27scan_by_key_config_selectorIssEEZZNS1_16scan_by_key_implILNS1_25lookback_scan_determinismE0ELb0ES3_N6thrust23THRUST_200600_302600_NS6detail15normal_iteratorINS9_10device_ptrIsEEEESE_SE_sNS9_4plusIvEENS9_8equal_toIsEEsEE10hipError_tPvRmT2_T3_T4_T5_mT6_T7_P12ihipStream_tbENKUlT_T0_E_clISt17integral_constantIbLb1EESZ_EEDaSU_SV_EUlSU_E_NS1_11comp_targetILNS1_3genE0ELNS1_11target_archE4294967295ELNS1_3gpuE0ELNS1_3repE0EEENS1_30default_config_static_selectorELNS0_4arch9wavefront6targetE1EEEvT1_
		.amdhsa_group_segment_fixed_size 0
		.amdhsa_private_segment_fixed_size 0
		.amdhsa_kernarg_size 112
		.amdhsa_user_sgpr_count 2
		.amdhsa_user_sgpr_dispatch_ptr 0
		.amdhsa_user_sgpr_queue_ptr 0
		.amdhsa_user_sgpr_kernarg_segment_ptr 1
		.amdhsa_user_sgpr_dispatch_id 0
		.amdhsa_user_sgpr_kernarg_preload_length 0
		.amdhsa_user_sgpr_kernarg_preload_offset 0
		.amdhsa_user_sgpr_private_segment_size 0
		.amdhsa_uses_dynamic_stack 0
		.amdhsa_enable_private_segment 0
		.amdhsa_system_sgpr_workgroup_id_x 1
		.amdhsa_system_sgpr_workgroup_id_y 0
		.amdhsa_system_sgpr_workgroup_id_z 0
		.amdhsa_system_sgpr_workgroup_info 0
		.amdhsa_system_vgpr_workitem_id 0
		.amdhsa_next_free_vgpr 1
		.amdhsa_next_free_sgpr 0
		.amdhsa_accum_offset 4
		.amdhsa_reserve_vcc 0
		.amdhsa_float_round_mode_32 0
		.amdhsa_float_round_mode_16_64 0
		.amdhsa_float_denorm_mode_32 3
		.amdhsa_float_denorm_mode_16_64 3
		.amdhsa_dx10_clamp 1
		.amdhsa_ieee_mode 1
		.amdhsa_fp16_overflow 0
		.amdhsa_tg_split 0
		.amdhsa_exception_fp_ieee_invalid_op 0
		.amdhsa_exception_fp_denorm_src 0
		.amdhsa_exception_fp_ieee_div_zero 0
		.amdhsa_exception_fp_ieee_overflow 0
		.amdhsa_exception_fp_ieee_underflow 0
		.amdhsa_exception_fp_ieee_inexact 0
		.amdhsa_exception_int_div_zero 0
	.end_amdhsa_kernel
	.section	.text._ZN7rocprim17ROCPRIM_400000_NS6detail17trampoline_kernelINS0_14default_configENS1_27scan_by_key_config_selectorIssEEZZNS1_16scan_by_key_implILNS1_25lookback_scan_determinismE0ELb0ES3_N6thrust23THRUST_200600_302600_NS6detail15normal_iteratorINS9_10device_ptrIsEEEESE_SE_sNS9_4plusIvEENS9_8equal_toIsEEsEE10hipError_tPvRmT2_T3_T4_T5_mT6_T7_P12ihipStream_tbENKUlT_T0_E_clISt17integral_constantIbLb1EESZ_EEDaSU_SV_EUlSU_E_NS1_11comp_targetILNS1_3genE0ELNS1_11target_archE4294967295ELNS1_3gpuE0ELNS1_3repE0EEENS1_30default_config_static_selectorELNS0_4arch9wavefront6targetE1EEEvT1_,"axG",@progbits,_ZN7rocprim17ROCPRIM_400000_NS6detail17trampoline_kernelINS0_14default_configENS1_27scan_by_key_config_selectorIssEEZZNS1_16scan_by_key_implILNS1_25lookback_scan_determinismE0ELb0ES3_N6thrust23THRUST_200600_302600_NS6detail15normal_iteratorINS9_10device_ptrIsEEEESE_SE_sNS9_4plusIvEENS9_8equal_toIsEEsEE10hipError_tPvRmT2_T3_T4_T5_mT6_T7_P12ihipStream_tbENKUlT_T0_E_clISt17integral_constantIbLb1EESZ_EEDaSU_SV_EUlSU_E_NS1_11comp_targetILNS1_3genE0ELNS1_11target_archE4294967295ELNS1_3gpuE0ELNS1_3repE0EEENS1_30default_config_static_selectorELNS0_4arch9wavefront6targetE1EEEvT1_,comdat
.Lfunc_end326:
	.size	_ZN7rocprim17ROCPRIM_400000_NS6detail17trampoline_kernelINS0_14default_configENS1_27scan_by_key_config_selectorIssEEZZNS1_16scan_by_key_implILNS1_25lookback_scan_determinismE0ELb0ES3_N6thrust23THRUST_200600_302600_NS6detail15normal_iteratorINS9_10device_ptrIsEEEESE_SE_sNS9_4plusIvEENS9_8equal_toIsEEsEE10hipError_tPvRmT2_T3_T4_T5_mT6_T7_P12ihipStream_tbENKUlT_T0_E_clISt17integral_constantIbLb1EESZ_EEDaSU_SV_EUlSU_E_NS1_11comp_targetILNS1_3genE0ELNS1_11target_archE4294967295ELNS1_3gpuE0ELNS1_3repE0EEENS1_30default_config_static_selectorELNS0_4arch9wavefront6targetE1EEEvT1_, .Lfunc_end326-_ZN7rocprim17ROCPRIM_400000_NS6detail17trampoline_kernelINS0_14default_configENS1_27scan_by_key_config_selectorIssEEZZNS1_16scan_by_key_implILNS1_25lookback_scan_determinismE0ELb0ES3_N6thrust23THRUST_200600_302600_NS6detail15normal_iteratorINS9_10device_ptrIsEEEESE_SE_sNS9_4plusIvEENS9_8equal_toIsEEsEE10hipError_tPvRmT2_T3_T4_T5_mT6_T7_P12ihipStream_tbENKUlT_T0_E_clISt17integral_constantIbLb1EESZ_EEDaSU_SV_EUlSU_E_NS1_11comp_targetILNS1_3genE0ELNS1_11target_archE4294967295ELNS1_3gpuE0ELNS1_3repE0EEENS1_30default_config_static_selectorELNS0_4arch9wavefront6targetE1EEEvT1_
                                        ; -- End function
	.section	.AMDGPU.csdata,"",@progbits
; Kernel info:
; codeLenInByte = 0
; NumSgprs: 6
; NumVgprs: 0
; NumAgprs: 0
; TotalNumVgprs: 0
; ScratchSize: 0
; MemoryBound: 0
; FloatMode: 240
; IeeeMode: 1
; LDSByteSize: 0 bytes/workgroup (compile time only)
; SGPRBlocks: 0
; VGPRBlocks: 0
; NumSGPRsForWavesPerEU: 6
; NumVGPRsForWavesPerEU: 1
; AccumOffset: 4
; Occupancy: 8
; WaveLimiterHint : 0
; COMPUTE_PGM_RSRC2:SCRATCH_EN: 0
; COMPUTE_PGM_RSRC2:USER_SGPR: 2
; COMPUTE_PGM_RSRC2:TRAP_HANDLER: 0
; COMPUTE_PGM_RSRC2:TGID_X_EN: 1
; COMPUTE_PGM_RSRC2:TGID_Y_EN: 0
; COMPUTE_PGM_RSRC2:TGID_Z_EN: 0
; COMPUTE_PGM_RSRC2:TIDIG_COMP_CNT: 0
; COMPUTE_PGM_RSRC3_GFX90A:ACCUM_OFFSET: 0
; COMPUTE_PGM_RSRC3_GFX90A:TG_SPLIT: 0
	.section	.text._ZN7rocprim17ROCPRIM_400000_NS6detail17trampoline_kernelINS0_14default_configENS1_27scan_by_key_config_selectorIssEEZZNS1_16scan_by_key_implILNS1_25lookback_scan_determinismE0ELb0ES3_N6thrust23THRUST_200600_302600_NS6detail15normal_iteratorINS9_10device_ptrIsEEEESE_SE_sNS9_4plusIvEENS9_8equal_toIsEEsEE10hipError_tPvRmT2_T3_T4_T5_mT6_T7_P12ihipStream_tbENKUlT_T0_E_clISt17integral_constantIbLb1EESZ_EEDaSU_SV_EUlSU_E_NS1_11comp_targetILNS1_3genE10ELNS1_11target_archE1201ELNS1_3gpuE5ELNS1_3repE0EEENS1_30default_config_static_selectorELNS0_4arch9wavefront6targetE1EEEvT1_,"axG",@progbits,_ZN7rocprim17ROCPRIM_400000_NS6detail17trampoline_kernelINS0_14default_configENS1_27scan_by_key_config_selectorIssEEZZNS1_16scan_by_key_implILNS1_25lookback_scan_determinismE0ELb0ES3_N6thrust23THRUST_200600_302600_NS6detail15normal_iteratorINS9_10device_ptrIsEEEESE_SE_sNS9_4plusIvEENS9_8equal_toIsEEsEE10hipError_tPvRmT2_T3_T4_T5_mT6_T7_P12ihipStream_tbENKUlT_T0_E_clISt17integral_constantIbLb1EESZ_EEDaSU_SV_EUlSU_E_NS1_11comp_targetILNS1_3genE10ELNS1_11target_archE1201ELNS1_3gpuE5ELNS1_3repE0EEENS1_30default_config_static_selectorELNS0_4arch9wavefront6targetE1EEEvT1_,comdat
	.protected	_ZN7rocprim17ROCPRIM_400000_NS6detail17trampoline_kernelINS0_14default_configENS1_27scan_by_key_config_selectorIssEEZZNS1_16scan_by_key_implILNS1_25lookback_scan_determinismE0ELb0ES3_N6thrust23THRUST_200600_302600_NS6detail15normal_iteratorINS9_10device_ptrIsEEEESE_SE_sNS9_4plusIvEENS9_8equal_toIsEEsEE10hipError_tPvRmT2_T3_T4_T5_mT6_T7_P12ihipStream_tbENKUlT_T0_E_clISt17integral_constantIbLb1EESZ_EEDaSU_SV_EUlSU_E_NS1_11comp_targetILNS1_3genE10ELNS1_11target_archE1201ELNS1_3gpuE5ELNS1_3repE0EEENS1_30default_config_static_selectorELNS0_4arch9wavefront6targetE1EEEvT1_ ; -- Begin function _ZN7rocprim17ROCPRIM_400000_NS6detail17trampoline_kernelINS0_14default_configENS1_27scan_by_key_config_selectorIssEEZZNS1_16scan_by_key_implILNS1_25lookback_scan_determinismE0ELb0ES3_N6thrust23THRUST_200600_302600_NS6detail15normal_iteratorINS9_10device_ptrIsEEEESE_SE_sNS9_4plusIvEENS9_8equal_toIsEEsEE10hipError_tPvRmT2_T3_T4_T5_mT6_T7_P12ihipStream_tbENKUlT_T0_E_clISt17integral_constantIbLb1EESZ_EEDaSU_SV_EUlSU_E_NS1_11comp_targetILNS1_3genE10ELNS1_11target_archE1201ELNS1_3gpuE5ELNS1_3repE0EEENS1_30default_config_static_selectorELNS0_4arch9wavefront6targetE1EEEvT1_
	.globl	_ZN7rocprim17ROCPRIM_400000_NS6detail17trampoline_kernelINS0_14default_configENS1_27scan_by_key_config_selectorIssEEZZNS1_16scan_by_key_implILNS1_25lookback_scan_determinismE0ELb0ES3_N6thrust23THRUST_200600_302600_NS6detail15normal_iteratorINS9_10device_ptrIsEEEESE_SE_sNS9_4plusIvEENS9_8equal_toIsEEsEE10hipError_tPvRmT2_T3_T4_T5_mT6_T7_P12ihipStream_tbENKUlT_T0_E_clISt17integral_constantIbLb1EESZ_EEDaSU_SV_EUlSU_E_NS1_11comp_targetILNS1_3genE10ELNS1_11target_archE1201ELNS1_3gpuE5ELNS1_3repE0EEENS1_30default_config_static_selectorELNS0_4arch9wavefront6targetE1EEEvT1_
	.p2align	8
	.type	_ZN7rocprim17ROCPRIM_400000_NS6detail17trampoline_kernelINS0_14default_configENS1_27scan_by_key_config_selectorIssEEZZNS1_16scan_by_key_implILNS1_25lookback_scan_determinismE0ELb0ES3_N6thrust23THRUST_200600_302600_NS6detail15normal_iteratorINS9_10device_ptrIsEEEESE_SE_sNS9_4plusIvEENS9_8equal_toIsEEsEE10hipError_tPvRmT2_T3_T4_T5_mT6_T7_P12ihipStream_tbENKUlT_T0_E_clISt17integral_constantIbLb1EESZ_EEDaSU_SV_EUlSU_E_NS1_11comp_targetILNS1_3genE10ELNS1_11target_archE1201ELNS1_3gpuE5ELNS1_3repE0EEENS1_30default_config_static_selectorELNS0_4arch9wavefront6targetE1EEEvT1_,@function
_ZN7rocprim17ROCPRIM_400000_NS6detail17trampoline_kernelINS0_14default_configENS1_27scan_by_key_config_selectorIssEEZZNS1_16scan_by_key_implILNS1_25lookback_scan_determinismE0ELb0ES3_N6thrust23THRUST_200600_302600_NS6detail15normal_iteratorINS9_10device_ptrIsEEEESE_SE_sNS9_4plusIvEENS9_8equal_toIsEEsEE10hipError_tPvRmT2_T3_T4_T5_mT6_T7_P12ihipStream_tbENKUlT_T0_E_clISt17integral_constantIbLb1EESZ_EEDaSU_SV_EUlSU_E_NS1_11comp_targetILNS1_3genE10ELNS1_11target_archE1201ELNS1_3gpuE5ELNS1_3repE0EEENS1_30default_config_static_selectorELNS0_4arch9wavefront6targetE1EEEvT1_: ; @_ZN7rocprim17ROCPRIM_400000_NS6detail17trampoline_kernelINS0_14default_configENS1_27scan_by_key_config_selectorIssEEZZNS1_16scan_by_key_implILNS1_25lookback_scan_determinismE0ELb0ES3_N6thrust23THRUST_200600_302600_NS6detail15normal_iteratorINS9_10device_ptrIsEEEESE_SE_sNS9_4plusIvEENS9_8equal_toIsEEsEE10hipError_tPvRmT2_T3_T4_T5_mT6_T7_P12ihipStream_tbENKUlT_T0_E_clISt17integral_constantIbLb1EESZ_EEDaSU_SV_EUlSU_E_NS1_11comp_targetILNS1_3genE10ELNS1_11target_archE1201ELNS1_3gpuE5ELNS1_3repE0EEENS1_30default_config_static_selectorELNS0_4arch9wavefront6targetE1EEEvT1_
; %bb.0:
	.section	.rodata,"a",@progbits
	.p2align	6, 0x0
	.amdhsa_kernel _ZN7rocprim17ROCPRIM_400000_NS6detail17trampoline_kernelINS0_14default_configENS1_27scan_by_key_config_selectorIssEEZZNS1_16scan_by_key_implILNS1_25lookback_scan_determinismE0ELb0ES3_N6thrust23THRUST_200600_302600_NS6detail15normal_iteratorINS9_10device_ptrIsEEEESE_SE_sNS9_4plusIvEENS9_8equal_toIsEEsEE10hipError_tPvRmT2_T3_T4_T5_mT6_T7_P12ihipStream_tbENKUlT_T0_E_clISt17integral_constantIbLb1EESZ_EEDaSU_SV_EUlSU_E_NS1_11comp_targetILNS1_3genE10ELNS1_11target_archE1201ELNS1_3gpuE5ELNS1_3repE0EEENS1_30default_config_static_selectorELNS0_4arch9wavefront6targetE1EEEvT1_
		.amdhsa_group_segment_fixed_size 0
		.amdhsa_private_segment_fixed_size 0
		.amdhsa_kernarg_size 112
		.amdhsa_user_sgpr_count 2
		.amdhsa_user_sgpr_dispatch_ptr 0
		.amdhsa_user_sgpr_queue_ptr 0
		.amdhsa_user_sgpr_kernarg_segment_ptr 1
		.amdhsa_user_sgpr_dispatch_id 0
		.amdhsa_user_sgpr_kernarg_preload_length 0
		.amdhsa_user_sgpr_kernarg_preload_offset 0
		.amdhsa_user_sgpr_private_segment_size 0
		.amdhsa_uses_dynamic_stack 0
		.amdhsa_enable_private_segment 0
		.amdhsa_system_sgpr_workgroup_id_x 1
		.amdhsa_system_sgpr_workgroup_id_y 0
		.amdhsa_system_sgpr_workgroup_id_z 0
		.amdhsa_system_sgpr_workgroup_info 0
		.amdhsa_system_vgpr_workitem_id 0
		.amdhsa_next_free_vgpr 1
		.amdhsa_next_free_sgpr 0
		.amdhsa_accum_offset 4
		.amdhsa_reserve_vcc 0
		.amdhsa_float_round_mode_32 0
		.amdhsa_float_round_mode_16_64 0
		.amdhsa_float_denorm_mode_32 3
		.amdhsa_float_denorm_mode_16_64 3
		.amdhsa_dx10_clamp 1
		.amdhsa_ieee_mode 1
		.amdhsa_fp16_overflow 0
		.amdhsa_tg_split 0
		.amdhsa_exception_fp_ieee_invalid_op 0
		.amdhsa_exception_fp_denorm_src 0
		.amdhsa_exception_fp_ieee_div_zero 0
		.amdhsa_exception_fp_ieee_overflow 0
		.amdhsa_exception_fp_ieee_underflow 0
		.amdhsa_exception_fp_ieee_inexact 0
		.amdhsa_exception_int_div_zero 0
	.end_amdhsa_kernel
	.section	.text._ZN7rocprim17ROCPRIM_400000_NS6detail17trampoline_kernelINS0_14default_configENS1_27scan_by_key_config_selectorIssEEZZNS1_16scan_by_key_implILNS1_25lookback_scan_determinismE0ELb0ES3_N6thrust23THRUST_200600_302600_NS6detail15normal_iteratorINS9_10device_ptrIsEEEESE_SE_sNS9_4plusIvEENS9_8equal_toIsEEsEE10hipError_tPvRmT2_T3_T4_T5_mT6_T7_P12ihipStream_tbENKUlT_T0_E_clISt17integral_constantIbLb1EESZ_EEDaSU_SV_EUlSU_E_NS1_11comp_targetILNS1_3genE10ELNS1_11target_archE1201ELNS1_3gpuE5ELNS1_3repE0EEENS1_30default_config_static_selectorELNS0_4arch9wavefront6targetE1EEEvT1_,"axG",@progbits,_ZN7rocprim17ROCPRIM_400000_NS6detail17trampoline_kernelINS0_14default_configENS1_27scan_by_key_config_selectorIssEEZZNS1_16scan_by_key_implILNS1_25lookback_scan_determinismE0ELb0ES3_N6thrust23THRUST_200600_302600_NS6detail15normal_iteratorINS9_10device_ptrIsEEEESE_SE_sNS9_4plusIvEENS9_8equal_toIsEEsEE10hipError_tPvRmT2_T3_T4_T5_mT6_T7_P12ihipStream_tbENKUlT_T0_E_clISt17integral_constantIbLb1EESZ_EEDaSU_SV_EUlSU_E_NS1_11comp_targetILNS1_3genE10ELNS1_11target_archE1201ELNS1_3gpuE5ELNS1_3repE0EEENS1_30default_config_static_selectorELNS0_4arch9wavefront6targetE1EEEvT1_,comdat
.Lfunc_end327:
	.size	_ZN7rocprim17ROCPRIM_400000_NS6detail17trampoline_kernelINS0_14default_configENS1_27scan_by_key_config_selectorIssEEZZNS1_16scan_by_key_implILNS1_25lookback_scan_determinismE0ELb0ES3_N6thrust23THRUST_200600_302600_NS6detail15normal_iteratorINS9_10device_ptrIsEEEESE_SE_sNS9_4plusIvEENS9_8equal_toIsEEsEE10hipError_tPvRmT2_T3_T4_T5_mT6_T7_P12ihipStream_tbENKUlT_T0_E_clISt17integral_constantIbLb1EESZ_EEDaSU_SV_EUlSU_E_NS1_11comp_targetILNS1_3genE10ELNS1_11target_archE1201ELNS1_3gpuE5ELNS1_3repE0EEENS1_30default_config_static_selectorELNS0_4arch9wavefront6targetE1EEEvT1_, .Lfunc_end327-_ZN7rocprim17ROCPRIM_400000_NS6detail17trampoline_kernelINS0_14default_configENS1_27scan_by_key_config_selectorIssEEZZNS1_16scan_by_key_implILNS1_25lookback_scan_determinismE0ELb0ES3_N6thrust23THRUST_200600_302600_NS6detail15normal_iteratorINS9_10device_ptrIsEEEESE_SE_sNS9_4plusIvEENS9_8equal_toIsEEsEE10hipError_tPvRmT2_T3_T4_T5_mT6_T7_P12ihipStream_tbENKUlT_T0_E_clISt17integral_constantIbLb1EESZ_EEDaSU_SV_EUlSU_E_NS1_11comp_targetILNS1_3genE10ELNS1_11target_archE1201ELNS1_3gpuE5ELNS1_3repE0EEENS1_30default_config_static_selectorELNS0_4arch9wavefront6targetE1EEEvT1_
                                        ; -- End function
	.section	.AMDGPU.csdata,"",@progbits
; Kernel info:
; codeLenInByte = 0
; NumSgprs: 6
; NumVgprs: 0
; NumAgprs: 0
; TotalNumVgprs: 0
; ScratchSize: 0
; MemoryBound: 0
; FloatMode: 240
; IeeeMode: 1
; LDSByteSize: 0 bytes/workgroup (compile time only)
; SGPRBlocks: 0
; VGPRBlocks: 0
; NumSGPRsForWavesPerEU: 6
; NumVGPRsForWavesPerEU: 1
; AccumOffset: 4
; Occupancy: 8
; WaveLimiterHint : 0
; COMPUTE_PGM_RSRC2:SCRATCH_EN: 0
; COMPUTE_PGM_RSRC2:USER_SGPR: 2
; COMPUTE_PGM_RSRC2:TRAP_HANDLER: 0
; COMPUTE_PGM_RSRC2:TGID_X_EN: 1
; COMPUTE_PGM_RSRC2:TGID_Y_EN: 0
; COMPUTE_PGM_RSRC2:TGID_Z_EN: 0
; COMPUTE_PGM_RSRC2:TIDIG_COMP_CNT: 0
; COMPUTE_PGM_RSRC3_GFX90A:ACCUM_OFFSET: 0
; COMPUTE_PGM_RSRC3_GFX90A:TG_SPLIT: 0
	.section	.text._ZN7rocprim17ROCPRIM_400000_NS6detail17trampoline_kernelINS0_14default_configENS1_27scan_by_key_config_selectorIssEEZZNS1_16scan_by_key_implILNS1_25lookback_scan_determinismE0ELb0ES3_N6thrust23THRUST_200600_302600_NS6detail15normal_iteratorINS9_10device_ptrIsEEEESE_SE_sNS9_4plusIvEENS9_8equal_toIsEEsEE10hipError_tPvRmT2_T3_T4_T5_mT6_T7_P12ihipStream_tbENKUlT_T0_E_clISt17integral_constantIbLb1EESZ_EEDaSU_SV_EUlSU_E_NS1_11comp_targetILNS1_3genE5ELNS1_11target_archE942ELNS1_3gpuE9ELNS1_3repE0EEENS1_30default_config_static_selectorELNS0_4arch9wavefront6targetE1EEEvT1_,"axG",@progbits,_ZN7rocprim17ROCPRIM_400000_NS6detail17trampoline_kernelINS0_14default_configENS1_27scan_by_key_config_selectorIssEEZZNS1_16scan_by_key_implILNS1_25lookback_scan_determinismE0ELb0ES3_N6thrust23THRUST_200600_302600_NS6detail15normal_iteratorINS9_10device_ptrIsEEEESE_SE_sNS9_4plusIvEENS9_8equal_toIsEEsEE10hipError_tPvRmT2_T3_T4_T5_mT6_T7_P12ihipStream_tbENKUlT_T0_E_clISt17integral_constantIbLb1EESZ_EEDaSU_SV_EUlSU_E_NS1_11comp_targetILNS1_3genE5ELNS1_11target_archE942ELNS1_3gpuE9ELNS1_3repE0EEENS1_30default_config_static_selectorELNS0_4arch9wavefront6targetE1EEEvT1_,comdat
	.protected	_ZN7rocprim17ROCPRIM_400000_NS6detail17trampoline_kernelINS0_14default_configENS1_27scan_by_key_config_selectorIssEEZZNS1_16scan_by_key_implILNS1_25lookback_scan_determinismE0ELb0ES3_N6thrust23THRUST_200600_302600_NS6detail15normal_iteratorINS9_10device_ptrIsEEEESE_SE_sNS9_4plusIvEENS9_8equal_toIsEEsEE10hipError_tPvRmT2_T3_T4_T5_mT6_T7_P12ihipStream_tbENKUlT_T0_E_clISt17integral_constantIbLb1EESZ_EEDaSU_SV_EUlSU_E_NS1_11comp_targetILNS1_3genE5ELNS1_11target_archE942ELNS1_3gpuE9ELNS1_3repE0EEENS1_30default_config_static_selectorELNS0_4arch9wavefront6targetE1EEEvT1_ ; -- Begin function _ZN7rocprim17ROCPRIM_400000_NS6detail17trampoline_kernelINS0_14default_configENS1_27scan_by_key_config_selectorIssEEZZNS1_16scan_by_key_implILNS1_25lookback_scan_determinismE0ELb0ES3_N6thrust23THRUST_200600_302600_NS6detail15normal_iteratorINS9_10device_ptrIsEEEESE_SE_sNS9_4plusIvEENS9_8equal_toIsEEsEE10hipError_tPvRmT2_T3_T4_T5_mT6_T7_P12ihipStream_tbENKUlT_T0_E_clISt17integral_constantIbLb1EESZ_EEDaSU_SV_EUlSU_E_NS1_11comp_targetILNS1_3genE5ELNS1_11target_archE942ELNS1_3gpuE9ELNS1_3repE0EEENS1_30default_config_static_selectorELNS0_4arch9wavefront6targetE1EEEvT1_
	.globl	_ZN7rocprim17ROCPRIM_400000_NS6detail17trampoline_kernelINS0_14default_configENS1_27scan_by_key_config_selectorIssEEZZNS1_16scan_by_key_implILNS1_25lookback_scan_determinismE0ELb0ES3_N6thrust23THRUST_200600_302600_NS6detail15normal_iteratorINS9_10device_ptrIsEEEESE_SE_sNS9_4plusIvEENS9_8equal_toIsEEsEE10hipError_tPvRmT2_T3_T4_T5_mT6_T7_P12ihipStream_tbENKUlT_T0_E_clISt17integral_constantIbLb1EESZ_EEDaSU_SV_EUlSU_E_NS1_11comp_targetILNS1_3genE5ELNS1_11target_archE942ELNS1_3gpuE9ELNS1_3repE0EEENS1_30default_config_static_selectorELNS0_4arch9wavefront6targetE1EEEvT1_
	.p2align	8
	.type	_ZN7rocprim17ROCPRIM_400000_NS6detail17trampoline_kernelINS0_14default_configENS1_27scan_by_key_config_selectorIssEEZZNS1_16scan_by_key_implILNS1_25lookback_scan_determinismE0ELb0ES3_N6thrust23THRUST_200600_302600_NS6detail15normal_iteratorINS9_10device_ptrIsEEEESE_SE_sNS9_4plusIvEENS9_8equal_toIsEEsEE10hipError_tPvRmT2_T3_T4_T5_mT6_T7_P12ihipStream_tbENKUlT_T0_E_clISt17integral_constantIbLb1EESZ_EEDaSU_SV_EUlSU_E_NS1_11comp_targetILNS1_3genE5ELNS1_11target_archE942ELNS1_3gpuE9ELNS1_3repE0EEENS1_30default_config_static_selectorELNS0_4arch9wavefront6targetE1EEEvT1_,@function
_ZN7rocprim17ROCPRIM_400000_NS6detail17trampoline_kernelINS0_14default_configENS1_27scan_by_key_config_selectorIssEEZZNS1_16scan_by_key_implILNS1_25lookback_scan_determinismE0ELb0ES3_N6thrust23THRUST_200600_302600_NS6detail15normal_iteratorINS9_10device_ptrIsEEEESE_SE_sNS9_4plusIvEENS9_8equal_toIsEEsEE10hipError_tPvRmT2_T3_T4_T5_mT6_T7_P12ihipStream_tbENKUlT_T0_E_clISt17integral_constantIbLb1EESZ_EEDaSU_SV_EUlSU_E_NS1_11comp_targetILNS1_3genE5ELNS1_11target_archE942ELNS1_3gpuE9ELNS1_3repE0EEENS1_30default_config_static_selectorELNS0_4arch9wavefront6targetE1EEEvT1_: ; @_ZN7rocprim17ROCPRIM_400000_NS6detail17trampoline_kernelINS0_14default_configENS1_27scan_by_key_config_selectorIssEEZZNS1_16scan_by_key_implILNS1_25lookback_scan_determinismE0ELb0ES3_N6thrust23THRUST_200600_302600_NS6detail15normal_iteratorINS9_10device_ptrIsEEEESE_SE_sNS9_4plusIvEENS9_8equal_toIsEEsEE10hipError_tPvRmT2_T3_T4_T5_mT6_T7_P12ihipStream_tbENKUlT_T0_E_clISt17integral_constantIbLb1EESZ_EEDaSU_SV_EUlSU_E_NS1_11comp_targetILNS1_3genE5ELNS1_11target_archE942ELNS1_3gpuE9ELNS1_3repE0EEENS1_30default_config_static_selectorELNS0_4arch9wavefront6targetE1EEEvT1_
; %bb.0:
	s_load_dwordx4 s[76:79], s[0:1], 0x28
	s_load_dwordx2 s[80:81], s[0:1], 0x38
	v_cmp_ne_u32_e64 s[4:5], 0, v0
	v_cmp_eq_u32_e64 s[56:57], 0, v0
	s_and_saveexec_b64 s[2:3], s[56:57]
	s_cbranch_execz .LBB328_4
; %bb.1:
	s_mov_b64 s[8:9], exec
	v_mbcnt_lo_u32_b32 v1, s8, 0
	v_mbcnt_hi_u32_b32 v1, s9, v1
	v_cmp_eq_u32_e32 vcc, 0, v1
                                        ; implicit-def: $vgpr2
	s_and_saveexec_b64 s[6:7], vcc
	s_cbranch_execz .LBB328_3
; %bb.2:
	s_load_dwordx2 s[10:11], s[0:1], 0x68
	s_bcnt1_i32_b64 s8, s[8:9]
	v_mov_b32_e32 v2, 0
	v_mov_b32_e32 v3, s8
	s_waitcnt lgkmcnt(0)
	global_atomic_add v2, v2, v3, s[10:11] sc0
.LBB328_3:
	s_or_b64 exec, exec, s[6:7]
	s_waitcnt vmcnt(0)
	v_readfirstlane_b32 s6, v2
	v_mov_b32_e32 v2, 0
	s_nop 0
	v_add_u32_e32 v1, s6, v1
	ds_write_b32 v2, v1
.LBB328_4:
	s_or_b64 exec, exec, s[2:3]
	s_load_dwordx8 s[60:67], s[0:1], 0x0
	s_load_dword s2, s[0:1], 0x40
	s_load_dwordx8 s[68:75], s[0:1], 0x48
	v_mov_b32_e32 v1, 0
	s_waitcnt lgkmcnt(0)
	s_barrier
	ds_read_b32 v1, v1
	s_lshl_b64 s[58:59], s[62:63], 1
	s_add_u32 s3, s60, s58
	s_addc_u32 s6, s61, s59
	s_add_u32 s7, s64, s58
	s_mul_i32 s0, s81, s2
	s_mul_hi_u32 s1, s80, s2
	s_addc_u32 s8, s65, s59
	s_add_i32 s9, s1, s0
	s_waitcnt lgkmcnt(0)
	v_readfirstlane_b32 s79, v1
	s_cmp_lg_u64 s[72:73], 0
	s_mov_b32 s1, 0
	s_mul_i32 s0, s79, 0x1800
	s_cselect_b64 s[72:73], -1, 0
	s_lshl_b64 s[60:61], s[0:1], 1
	s_add_u32 s64, s3, s60
	s_addc_u32 s65, s6, s61
	s_add_u32 s62, s7, s60
	s_mul_i32 s2, s80, s2
	s_addc_u32 s63, s8, s61
	s_add_u32 s82, s2, s79
	s_addc_u32 s83, s9, 0
	s_add_u32 s0, s68, -1
	s_addc_u32 s1, s69, -1
	v_mov_b64_e32 v[2:3], s[0:1]
	v_cmp_ge_u64_e64 s[2:3], s[82:83], v[2:3]
	s_mov_b64 s[12:13], 0
	s_mov_b64 s[6:7], -1
	s_and_b64 vcc, exec, s[2:3]
	s_mul_i32 s33, s0, 0xffffe800
	s_barrier
	s_barrier
	s_cbranch_vccz .LBB328_131
; %bb.5:
	v_mov_b64_e32 v[2:3], s[64:65]
	flat_load_ushort v3, v[2:3]
	s_add_i32 s86, s33, s78
	v_cmp_gt_u32_e64 s[6:7], s86, v0
	s_waitcnt vmcnt(0) lgkmcnt(0)
	v_mov_b32_e32 v19, v3
	s_and_saveexec_b64 s[0:1], s[6:7]
	s_cbranch_execz .LBB328_7
; %bb.6:
	v_lshlrev_b32_e32 v4, 1, v0
	v_mov_b32_e32 v5, 0
	v_lshl_add_u64 v[4:5], s[64:65], 0, v[4:5]
	flat_load_ushort v19, v[4:5]
.LBB328_7:
	s_or_b64 exec, exec, s[0:1]
	v_or_b32_e32 v1, 0x100, v0
	v_cmp_gt_u32_e64 s[8:9], s86, v1
	v_mov_b32_e32 v20, v3
	s_and_saveexec_b64 s[0:1], s[8:9]
	s_cbranch_execz .LBB328_9
; %bb.8:
	v_lshlrev_b32_e32 v4, 1, v0
	v_mov_b32_e32 v5, 0
	v_lshl_add_u64 v[4:5], s[64:65], 0, v[4:5]
	flat_load_ushort v20, v[4:5] offset:512
.LBB328_9:
	s_or_b64 exec, exec, s[0:1]
	v_or_b32_e32 v1, 0x200, v0
	v_cmp_gt_u32_e64 s[10:11], s86, v1
	v_mov_b32_e32 v21, v3
	s_and_saveexec_b64 s[0:1], s[10:11]
	s_cbranch_execz .LBB328_11
; %bb.10:
	v_lshlrev_b32_e32 v4, 1, v0
	v_mov_b32_e32 v5, 0
	v_lshl_add_u64 v[4:5], s[64:65], 0, v[4:5]
	flat_load_ushort v21, v[4:5] offset:1024
.LBB328_11:
	;; [unrolled: 12-line block ×7, first 2 shown]
	s_or_b64 exec, exec, s[0:1]
	v_or_b32_e32 v1, 0x800, v0
	v_cmp_gt_u32_e64 s[22:23], s86, v1
	v_mov_b32_e32 v27, v3
	s_and_saveexec_b64 s[0:1], s[22:23]
	s_cbranch_execz .LBB328_23
; %bb.22:
	v_lshlrev_b32_e32 v4, 1, v1
	v_mov_b32_e32 v5, 0
	v_lshl_add_u64 v[4:5], s[64:65], 0, v[4:5]
	flat_load_ushort v27, v[4:5]
.LBB328_23:
	s_or_b64 exec, exec, s[0:1]
	v_or_b32_e32 v4, 0x900, v0
	v_cmp_gt_u32_e64 s[24:25], s86, v4
	v_mov_b32_e32 v28, v3
	s_and_saveexec_b64 s[0:1], s[24:25]
	s_cbranch_execz .LBB328_25
; %bb.24:
	v_lshlrev_b32_e32 v6, 1, v4
	v_mov_b32_e32 v7, 0
	v_lshl_add_u64 v[6:7], s[64:65], 0, v[6:7]
	flat_load_ushort v28, v[6:7]
.LBB328_25:
	;; [unrolled: 12-line block ×15, first 2 shown]
	s_or_b64 exec, exec, s[0:1]
	v_or_b32_e32 v18, 0x1700, v0
	v_cmp_gt_u32_e64 s[54:55], s86, v18
	s_and_saveexec_b64 s[0:1], s[54:55]
	s_cbranch_execz .LBB328_53
; %bb.52:
	v_lshlrev_b32_e32 v2, 1, v18
	v_mov_b32_e32 v3, 0
	v_lshl_add_u64 v[2:3], s[64:65], 0, v[2:3]
	flat_load_ushort v3, v[2:3]
.LBB328_53:
	s_or_b64 exec, exec, s[0:1]
	v_lshlrev_b32_e32 v2, 1, v0
	s_waitcnt vmcnt(0) lgkmcnt(0)
	ds_write_b16 v2, v19
	ds_write_b16 v2, v20 offset:512
	ds_write_b16 v2, v21 offset:1024
	;; [unrolled: 1-line block ×23, first 2 shown]
	v_mad_u32_u24 v40, v0, 46, v2
	s_waitcnt lgkmcnt(0)
	s_barrier
	ds_read_b128 v[30:33], v40
	ds_read_b128 v[26:29], v40 offset:16
	ds_read_b128 v[22:25], v40 offset:32
	s_cmp_eq_u64 s[82:83], 0
	s_mov_b64 s[0:1], s[64:65]
	s_cbranch_scc1 .LBB328_57
; %bb.54:
	s_andn2_b64 vcc, exec, s[72:73]
	s_cbranch_vccnz .LBB328_323
; %bb.55:
	s_lshl_b64 s[0:1], s[82:83], 1
	s_add_u32 s0, s74, s0
	s_addc_u32 s1, s75, s1
	s_add_u32 s0, s0, -2
	s_addc_u32 s1, s1, -1
	s_cbranch_execnz .LBB328_57
.LBB328_56:
	s_add_u32 s0, s64, -2
	s_addc_u32 s1, s65, -1
.LBB328_57:
	v_mov_b64_e32 v[20:21], s[0:1]
	flat_load_ushort v34, v[20:21]
	s_movk_i32 s0, 0xffd2
	s_waitcnt lgkmcnt(0)
	v_lshrrev_b32_e32 v41, 16, v25
	v_mad_i32_i24 v3, v0, s0, v40
	ds_write_b16 v3, v41 offset:12288
	s_waitcnt lgkmcnt(0)
	s_barrier
	s_and_saveexec_b64 s[0:1], s[4:5]
	s_cbranch_execz .LBB328_59
; %bb.58:
	v_mul_i32_i24_e32 v3, 0xffffffd2, v0
	v_add_u32_e32 v3, v40, v3
	s_waitcnt vmcnt(0)
	ds_read_u16 v34, v3 offset:12286
.LBB328_59:
	s_or_b64 exec, exec, s[0:1]
	v_mov_b32_e32 v3, 0
	s_waitcnt lgkmcnt(0)
	s_barrier
	s_waitcnt lgkmcnt(0)
                                        ; implicit-def: $vgpr19
	s_and_saveexec_b64 s[0:1], s[6:7]
	s_cbranch_execnz .LBB328_300
; %bb.60:
	s_or_b64 exec, exec, s[0:1]
                                        ; implicit-def: $vgpr20
	s_and_saveexec_b64 s[0:1], s[8:9]
	s_cbranch_execnz .LBB328_301
.LBB328_61:
	s_or_b64 exec, exec, s[0:1]
                                        ; implicit-def: $vgpr21
	s_and_saveexec_b64 s[0:1], s[10:11]
	s_cbranch_execnz .LBB328_302
.LBB328_62:
	s_or_b64 exec, exec, s[0:1]
                                        ; implicit-def: $vgpr35
	s_and_saveexec_b64 s[0:1], s[12:13]
	s_cbranch_execnz .LBB328_303
.LBB328_63:
	s_or_b64 exec, exec, s[0:1]
                                        ; implicit-def: $vgpr36
	s_and_saveexec_b64 s[0:1], s[14:15]
	s_cbranch_execnz .LBB328_304
.LBB328_64:
	s_or_b64 exec, exec, s[0:1]
                                        ; implicit-def: $vgpr37
	s_and_saveexec_b64 s[0:1], s[16:17]
	s_cbranch_execnz .LBB328_305
.LBB328_65:
	s_or_b64 exec, exec, s[0:1]
                                        ; implicit-def: $vgpr38
	s_and_saveexec_b64 s[0:1], s[18:19]
	s_cbranch_execnz .LBB328_306
.LBB328_66:
	s_or_b64 exec, exec, s[0:1]
                                        ; implicit-def: $vgpr3
	s_and_saveexec_b64 s[0:1], s[20:21]
	s_cbranch_execnz .LBB328_307
.LBB328_67:
	s_or_b64 exec, exec, s[0:1]
                                        ; implicit-def: $vgpr39
	s_and_saveexec_b64 s[0:1], s[22:23]
	s_cbranch_execnz .LBB328_308
.LBB328_68:
	s_or_b64 exec, exec, s[0:1]
                                        ; implicit-def: $vgpr1
	s_and_saveexec_b64 s[0:1], s[24:25]
	s_cbranch_execnz .LBB328_309
.LBB328_69:
	s_or_b64 exec, exec, s[0:1]
                                        ; implicit-def: $vgpr4
	s_and_saveexec_b64 s[0:1], s[26:27]
	s_cbranch_execnz .LBB328_310
.LBB328_70:
	s_or_b64 exec, exec, s[0:1]
                                        ; implicit-def: $vgpr5
	s_and_saveexec_b64 s[0:1], s[28:29]
	s_cbranch_execnz .LBB328_311
.LBB328_71:
	s_or_b64 exec, exec, s[0:1]
                                        ; implicit-def: $vgpr6
	s_and_saveexec_b64 s[0:1], s[30:31]
	s_cbranch_execnz .LBB328_312
.LBB328_72:
	s_or_b64 exec, exec, s[0:1]
                                        ; implicit-def: $vgpr7
	s_and_saveexec_b64 s[0:1], s[34:35]
	s_cbranch_execnz .LBB328_313
.LBB328_73:
	s_or_b64 exec, exec, s[0:1]
                                        ; implicit-def: $vgpr8
	s_and_saveexec_b64 s[0:1], s[36:37]
	s_cbranch_execnz .LBB328_314
.LBB328_74:
	s_or_b64 exec, exec, s[0:1]
                                        ; implicit-def: $vgpr9
	s_and_saveexec_b64 s[0:1], s[38:39]
	s_cbranch_execnz .LBB328_315
.LBB328_75:
	s_or_b64 exec, exec, s[0:1]
                                        ; implicit-def: $vgpr10
	s_and_saveexec_b64 s[0:1], s[40:41]
	s_cbranch_execnz .LBB328_316
.LBB328_76:
	s_or_b64 exec, exec, s[0:1]
                                        ; implicit-def: $vgpr11
	s_and_saveexec_b64 s[0:1], s[42:43]
	s_cbranch_execnz .LBB328_317
.LBB328_77:
	s_or_b64 exec, exec, s[0:1]
                                        ; implicit-def: $vgpr12
	s_and_saveexec_b64 s[0:1], s[44:45]
	s_cbranch_execnz .LBB328_318
.LBB328_78:
	s_or_b64 exec, exec, s[0:1]
                                        ; implicit-def: $vgpr13
	s_and_saveexec_b64 s[0:1], s[46:47]
	s_cbranch_execnz .LBB328_319
.LBB328_79:
	s_or_b64 exec, exec, s[0:1]
                                        ; implicit-def: $vgpr14
	s_and_saveexec_b64 s[0:1], s[48:49]
	s_cbranch_execnz .LBB328_320
.LBB328_80:
	s_or_b64 exec, exec, s[0:1]
                                        ; implicit-def: $vgpr15
	s_and_saveexec_b64 s[0:1], s[50:51]
	s_cbranch_execnz .LBB328_321
.LBB328_81:
	s_or_b64 exec, exec, s[0:1]
                                        ; implicit-def: $vgpr16
	s_and_saveexec_b64 s[0:1], s[52:53]
	s_cbranch_execnz .LBB328_322
.LBB328_82:
	s_or_b64 exec, exec, s[0:1]
                                        ; implicit-def: $vgpr17
	s_and_saveexec_b64 s[0:1], s[54:55]
	s_cbranch_execz .LBB328_84
.LBB328_83:
	v_lshlrev_b32_e32 v42, 1, v18
	v_mov_b32_e32 v43, 0
	v_lshl_add_u64 v[42:43], s[62:63], 0, v[42:43]
	flat_load_ushort v17, v[42:43]
.LBB328_84:
	s_or_b64 exec, exec, s[0:1]
	s_mov_b32 s8, 0
	s_mov_b32 s9, s8
	s_waitcnt vmcnt(0) lgkmcnt(0)
	ds_write_b16 v2, v19
	ds_write_b16 v2, v20 offset:512
	ds_write_b16 v2, v21 offset:1024
	;; [unrolled: 1-line block ×23, first 2 shown]
	s_mov_b32 s10, s8
	s_mov_b32 s11, s8
	;; [unrolled: 1-line block ×6, first 2 shown]
	v_mov_b64_e32 v[2:3], s[8:9]
	s_mov_b32 s18, s8
	s_mov_b32 s19, s8
	v_mov_b64_e32 v[8:9], s[14:15]
	v_mul_u32_u24_e32 v43, 24, v0
	s_mov_b32 s16, s8
	s_mov_b32 s17, s8
	v_mov_b64_e32 v[20:21], s[18:19]
	v_mov_b64_e32 v[4:5], s[10:11]
	;; [unrolled: 1-line block ×4, first 2 shown]
	v_cmp_gt_u32_e32 vcc, s86, v43
	s_mov_b64 s[6:7], 0
	v_mov_b64_e32 v[18:19], s[16:17]
	v_mov_b32_e32 v1, 0
	s_mov_b64 s[12:13], 0
	v_mov_b64_e32 v[14:15], v[6:7]
	v_mov_b64_e32 v[12:13], v[4:5]
	;; [unrolled: 1-line block ×3, first 2 shown]
	v_mov_b32_e32 v38, 0
	v_mov_b32_e32 v39, 0
	s_waitcnt lgkmcnt(0)
	s_barrier
	s_waitcnt lgkmcnt(0)
                                        ; implicit-def: $sgpr0_sgpr1
                                        ; implicit-def: $vgpr42
	s_and_saveexec_b64 s[10:11], vcc
	s_cbranch_execz .LBB328_130
; %bb.85:
	ds_read_u16 v1, v40
	v_cmp_ne_u16_e32 vcc, v34, v30
	s_mov_b32 s12, 0
	v_or_b32_e32 v2, 1, v43
	v_cndmask_b32_e64 v3, 0, 1, vcc
	s_mov_b32 s13, s12
	v_cmp_gt_u32_e32 vcc, s86, v2
	s_waitcnt lgkmcnt(0)
	v_lshl_or_b32 v1, v3, 16, v1
	s_mov_b32 s14, s12
	s_mov_b32 s15, s12
	;; [unrolled: 1-line block ×6, first 2 shown]
	v_mov_b64_e32 v[2:3], s[12:13]
	s_mov_b32 s24, s12
	s_mov_b32 s25, s12
	v_mov_b64_e32 v[8:9], s[18:19]
	s_mov_b32 s26, s12
	s_mov_b32 s27, s12
	v_mov_b64_e32 v[18:19], s[24:25]
	v_mov_b64_e32 v[4:5], s[14:15]
	;; [unrolled: 1-line block ×4, first 2 shown]
	s_mov_b64 s[22:23], 0
	v_mov_b64_e32 v[20:21], s[26:27]
	v_mov_b32_e32 v38, 0
	v_mov_b64_e32 v[14:15], v[6:7]
	v_mov_b64_e32 v[12:13], v[4:5]
	;; [unrolled: 1-line block ×3, first 2 shown]
	v_mov_b32_e32 v39, 0
                                        ; implicit-def: $sgpr24_sgpr25
                                        ; implicit-def: $vgpr42
	s_and_saveexec_b64 s[20:21], vcc
	s_cbranch_execz .LBB328_129
; %bb.86:
	ds_read_b128 v[34:37], v40 offset:2
	v_or_b32_e32 v2, 2, v43
	v_cmp_ne_u16_sdwa s[0:1], v30, v30 src0_sel:DWORD src1_sel:WORD_1
	v_cmp_gt_u32_e32 vcc, s86, v2
	v_mov_b32_e32 v19, 0
	v_cndmask_b32_e64 v3, 0, 1, s[0:1]
	s_waitcnt lgkmcnt(0)
	v_and_b32_e32 v2, 0xffff, v34
	v_lshl_or_b32 v18, v3, 16, v2
	v_mov_b64_e32 v[2:3], s[12:13]
	v_mov_b64_e32 v[8:9], s[18:19]
	;; [unrolled: 1-line block ×5, first 2 shown]
	v_mov_b32_e32 v20, v19
	v_mov_b32_e32 v21, v19
	s_mov_b64 s[0:1], 0
	v_mov_b64_e32 v[14:15], v[6:7]
	v_mov_b64_e32 v[12:13], v[4:5]
	;; [unrolled: 1-line block ×3, first 2 shown]
	v_mov_b32_e32 v38, v19
	v_mov_b32_e32 v39, v19
                                        ; implicit-def: $sgpr12_sgpr13
                                        ; implicit-def: $vgpr42
	s_and_saveexec_b64 s[22:23], vcc
	s_cbranch_execz .LBB328_128
; %bb.87:
	v_cmp_ne_u16_sdwa s[0:1], v30, v31 src0_sel:WORD_1 src1_sel:DWORD
	s_mov_b32 s12, 0
	v_or_b32_e32 v2, 3, v43
	v_cndmask_b32_e64 v3, 0, 1, s[0:1]
	s_mov_b32 s13, s12
	v_alignbit_b32 v19, v3, v34, 16
	v_cmp_gt_u32_e32 vcc, s86, v2
	s_mov_b32 s14, s12
	s_mov_b32 s15, s12
	;; [unrolled: 1-line block ×6, first 2 shown]
	v_mov_b64_e32 v[2:3], s[12:13]
	v_mov_b64_e32 v[8:9], s[18:19]
	v_mov_b32_e32 v20, 0
	v_mov_b64_e32 v[4:5], s[14:15]
	v_mov_b64_e32 v[6:7], s[16:17]
	;; [unrolled: 1-line block ×3, first 2 shown]
	v_mov_b32_e32 v21, v20
	s_mov_b64 s[0:1], 0
	v_mov_b64_e32 v[14:15], v[6:7]
	v_mov_b64_e32 v[12:13], v[4:5]
	;; [unrolled: 1-line block ×3, first 2 shown]
	v_mov_b32_e32 v38, v20
	v_mov_b32_e32 v39, v20
                                        ; implicit-def: $sgpr26_sgpr27
                                        ; implicit-def: $vgpr42
	s_and_saveexec_b64 s[24:25], vcc
	s_cbranch_execz .LBB328_127
; %bb.88:
	v_cmp_ne_u16_sdwa s[0:1], v31, v31 src0_sel:DWORD src1_sel:WORD_1
	v_and_b32_e32 v2, 0xffff, v35
	v_or_b32_e32 v3, 4, v43
	v_cndmask_b32_e64 v4, 0, 1, s[0:1]
	v_lshl_or_b32 v20, v4, 16, v2
	v_cmp_gt_u32_e32 vcc, s86, v3
	v_mov_b64_e32 v[2:3], s[12:13]
	v_mov_b64_e32 v[8:9], s[18:19]
	;; [unrolled: 1-line block ×5, first 2 shown]
	v_mov_b32_e32 v21, s12
	s_mov_b64 s[0:1], 0
	v_mov_b32_e32 v38, 0
	v_mov_b64_e32 v[14:15], v[6:7]
	v_mov_b64_e32 v[12:13], v[4:5]
	;; [unrolled: 1-line block ×3, first 2 shown]
	v_mov_b32_e32 v39, 0
                                        ; implicit-def: $sgpr12_sgpr13
                                        ; implicit-def: $vgpr42
	s_and_saveexec_b64 s[26:27], vcc
	s_cbranch_execz .LBB328_126
; %bb.89:
	v_cmp_ne_u16_sdwa s[0:1], v31, v32 src0_sel:WORD_1 src1_sel:DWORD
	s_mov_b32 s12, 0
	v_or_b32_e32 v2, 5, v43
	v_cndmask_b32_e64 v3, 0, 1, s[0:1]
	s_mov_b32 s13, s12
	v_alignbit_b32 v21, v3, v35, 16
	v_cmp_gt_u32_e32 vcc, s86, v2
	s_mov_b32 s14, s12
	s_mov_b32 s15, s12
	;; [unrolled: 1-line block ×6, first 2 shown]
	v_mov_b64_e32 v[2:3], s[12:13]
	v_mov_b64_e32 v[8:9], s[18:19]
	;; [unrolled: 1-line block ×5, first 2 shown]
	s_mov_b64 s[0:1], 0
	v_mov_b32_e32 v38, 0
	v_mov_b64_e32 v[14:15], v[6:7]
	v_mov_b64_e32 v[12:13], v[4:5]
	v_mov_b64_e32 v[10:11], v[2:3]
	v_mov_b32_e32 v39, 0
                                        ; implicit-def: $sgpr30_sgpr31
                                        ; implicit-def: $vgpr42
	s_and_saveexec_b64 s[28:29], vcc
	s_cbranch_execz .LBB328_125
; %bb.90:
	v_cmp_ne_u16_sdwa s[0:1], v32, v32 src0_sel:DWORD src1_sel:WORD_1
	v_and_b32_e32 v2, 0xffff, v36
	v_or_b32_e32 v3, 6, v43
	v_cndmask_b32_e64 v4, 0, 1, s[0:1]
	v_lshl_or_b32 v38, v4, 16, v2
	v_cmp_gt_u32_e32 vcc, s86, v3
	v_mov_b64_e32 v[2:3], s[12:13]
	v_mov_b64_e32 v[8:9], s[18:19]
	;; [unrolled: 1-line block ×5, first 2 shown]
	s_mov_b64 s[0:1], 0
	v_mov_b32_e32 v39, 0
	v_mov_b64_e32 v[14:15], v[6:7]
	v_mov_b64_e32 v[12:13], v[4:5]
	v_mov_b64_e32 v[10:11], v[2:3]
                                        ; implicit-def: $sgpr12_sgpr13
                                        ; implicit-def: $vgpr42
	s_and_saveexec_b64 s[30:31], vcc
	s_cbranch_execz .LBB328_124
; %bb.91:
	s_mov_b32 s12, 0
	v_or_b32_e32 v3, 7, v43
	v_cmp_ne_u16_sdwa s[0:1], v32, v33 src0_sel:WORD_1 src1_sel:DWORD
	s_mov_b32 s13, s12
	v_cmp_gt_u32_e32 vcc, s86, v3
	v_cndmask_b32_e64 v2, 0, 1, s[0:1]
	v_mov_b32_e32 v3, 0
	s_mov_b32 s14, s12
	s_mov_b32 s15, s12
	;; [unrolled: 1-line block ×6, first 2 shown]
	v_mov_b64_e32 v[10:11], s[12:13]
	v_alignbit_b32 v2, v2, v36, 16
	v_mov_b32_e32 v4, v3
	v_mov_b32_e32 v5, v3
	;; [unrolled: 1-line block ×6, first 2 shown]
	s_mov_b64 s[0:1], 0
	v_mov_b64_e32 v[12:13], s[14:15]
	v_mov_b64_e32 v[14:15], s[16:17]
	;; [unrolled: 1-line block ×3, first 2 shown]
	v_mov_b32_e32 v39, v3
                                        ; implicit-def: $sgpr36_sgpr37
                                        ; implicit-def: $vgpr42
	s_and_saveexec_b64 s[34:35], vcc
	s_cbranch_execz .LBB328_123
; %bb.92:
	v_add_u32_e32 v4, 8, v43
	v_cmp_ne_u16_sdwa s[0:1], v33, v33 src0_sel:DWORD src1_sel:WORD_1
	v_and_b32_e32 v3, 0xffff, v37
	v_cmp_gt_u32_e32 vcc, s86, v4
	v_cndmask_b32_e64 v5, 0, 1, s[0:1]
	v_mov_b32_e32 v4, 0
	v_mov_b64_e32 v[10:11], s[12:13]
	v_lshl_or_b32 v3, v5, 16, v3
	v_mov_b32_e32 v5, v4
	v_mov_b32_e32 v6, v4
	;; [unrolled: 1-line block ×5, first 2 shown]
	s_mov_b64 s[0:1], 0
	v_mov_b64_e32 v[12:13], s[14:15]
	v_mov_b64_e32 v[14:15], s[16:17]
	;; [unrolled: 1-line block ×3, first 2 shown]
	v_mov_b32_e32 v39, v4
                                        ; implicit-def: $sgpr12_sgpr13
                                        ; implicit-def: $vgpr42
	s_and_saveexec_b64 s[36:37], vcc
	s_cbranch_execz .LBB328_122
; %bb.93:
	s_mov_b32 s12, 0
	v_add_u32_e32 v5, 9, v43
	v_cmp_ne_u16_sdwa s[0:1], v33, v26 src0_sel:WORD_1 src1_sel:DWORD
	s_mov_b32 s13, s12
	v_cmp_gt_u32_e32 vcc, s86, v5
	v_cndmask_b32_e64 v4, 0, 1, s[0:1]
	v_mov_b32_e32 v5, 0
	s_mov_b32 s14, s12
	s_mov_b32 s15, s12
	;; [unrolled: 1-line block ×6, first 2 shown]
	v_mov_b64_e32 v[10:11], s[12:13]
	v_alignbit_b32 v4, v4, v37, 16
	v_mov_b32_e32 v6, v5
	v_mov_b32_e32 v7, v5
	;; [unrolled: 1-line block ×4, first 2 shown]
	s_mov_b64 s[0:1], 0
	v_mov_b64_e32 v[12:13], s[14:15]
	v_mov_b64_e32 v[14:15], s[16:17]
	;; [unrolled: 1-line block ×3, first 2 shown]
	v_mov_b32_e32 v39, v5
                                        ; implicit-def: $sgpr40_sgpr41
                                        ; implicit-def: $vgpr42
	s_and_saveexec_b64 s[38:39], vcc
	s_cbranch_execz .LBB328_121
; %bb.94:
	ds_read_b128 v[30:33], v40 offset:18
	v_add_u32_e32 v5, 10, v43
	v_cmp_ne_u16_sdwa s[0:1], v26, v26 src0_sel:DWORD src1_sel:WORD_1
	v_cmp_gt_u32_e32 vcc, s86, v5
	v_mov_b64_e32 v[10:11], s[12:13]
	v_cndmask_b32_e64 v6, 0, 1, s[0:1]
	s_waitcnt lgkmcnt(0)
	v_and_b32_e32 v5, 0xffff, v30
	v_lshl_or_b32 v5, v6, 16, v5
	v_mov_b32_e32 v6, 0
	v_mov_b32_e32 v7, v6
	;; [unrolled: 1-line block ×4, first 2 shown]
	s_mov_b64 s[0:1], 0
	v_mov_b64_e32 v[12:13], s[14:15]
	v_mov_b64_e32 v[14:15], s[16:17]
	;; [unrolled: 1-line block ×3, first 2 shown]
	v_mov_b32_e32 v39, v6
                                        ; implicit-def: $sgpr12_sgpr13
                                        ; implicit-def: $vgpr42
	s_and_saveexec_b64 s[40:41], vcc
	s_cbranch_execz .LBB328_120
; %bb.95:
	s_mov_b32 s12, 0
	v_add_u32_e32 v7, 11, v43
	v_cmp_ne_u16_sdwa s[0:1], v26, v27 src0_sel:WORD_1 src1_sel:DWORD
	s_mov_b32 s13, s12
	v_cmp_gt_u32_e32 vcc, s86, v7
	v_cndmask_b32_e64 v6, 0, 1, s[0:1]
	v_mov_b32_e32 v7, 0
	s_mov_b32 s14, s12
	s_mov_b32 s15, s12
	;; [unrolled: 1-line block ×6, first 2 shown]
	v_mov_b64_e32 v[10:11], s[12:13]
	v_alignbit_b32 v6, v6, v30, 16
	v_mov_b32_e32 v8, v7
	v_mov_b32_e32 v9, v7
	s_mov_b64 s[0:1], 0
	v_mov_b64_e32 v[12:13], s[14:15]
	v_mov_b64_e32 v[14:15], s[16:17]
	;; [unrolled: 1-line block ×3, first 2 shown]
	v_mov_b32_e32 v39, v7
                                        ; implicit-def: $sgpr44_sgpr45
                                        ; implicit-def: $vgpr42
	s_and_saveexec_b64 s[42:43], vcc
	s_cbranch_execz .LBB328_119
; %bb.96:
	v_add_u32_e32 v8, 12, v43
	v_cmp_ne_u16_sdwa s[0:1], v27, v27 src0_sel:DWORD src1_sel:WORD_1
	v_and_b32_e32 v7, 0xffff, v31
	v_cmp_gt_u32_e32 vcc, s86, v8
	v_cndmask_b32_e64 v9, 0, 1, s[0:1]
	v_mov_b32_e32 v8, 0
	v_mov_b64_e32 v[10:11], s[12:13]
	v_lshl_or_b32 v7, v9, 16, v7
	v_mov_b32_e32 v9, v8
	s_mov_b64 s[0:1], 0
	v_mov_b64_e32 v[12:13], s[14:15]
	v_mov_b64_e32 v[14:15], s[16:17]
	;; [unrolled: 1-line block ×3, first 2 shown]
	v_mov_b32_e32 v39, v8
                                        ; implicit-def: $sgpr12_sgpr13
                                        ; implicit-def: $vgpr42
	s_and_saveexec_b64 s[44:45], vcc
	s_cbranch_execz .LBB328_118
; %bb.97:
	s_mov_b32 s12, 0
	v_cmp_ne_u16_sdwa s[0:1], v27, v28 src0_sel:WORD_1 src1_sel:DWORD
	s_mov_b32 s13, s12
	v_add_u32_e32 v9, 13, v43
	v_cndmask_b32_e64 v8, 0, 1, s[0:1]
	s_mov_b32 s14, s12
	s_mov_b32 s15, s12
	;; [unrolled: 1-line block ×6, first 2 shown]
	v_mov_b64_e32 v[10:11], s[12:13]
	v_alignbit_b32 v8, v8, v31, 16
	v_cmp_gt_u32_e32 vcc, s86, v9
	v_mov_b32_e32 v9, s12
	s_mov_b64 s[0:1], 0
	v_mov_b64_e32 v[12:13], s[14:15]
	v_mov_b64_e32 v[14:15], s[16:17]
	;; [unrolled: 1-line block ×3, first 2 shown]
	v_mov_b32_e32 v39, 0
                                        ; implicit-def: $sgpr48_sgpr49
                                        ; implicit-def: $vgpr42
	s_and_saveexec_b64 s[46:47], vcc
	s_cbranch_execz .LBB328_117
; %bb.98:
	v_cmp_ne_u16_sdwa s[0:1], v28, v28 src0_sel:DWORD src1_sel:WORD_1
	v_and_b32_e32 v9, 0xffff, v32
	v_add_u32_e32 v10, 14, v43
	v_cndmask_b32_e64 v11, 0, 1, s[0:1]
	v_lshl_or_b32 v9, v11, 16, v9
	v_cmp_gt_u32_e32 vcc, s86, v10
	v_mov_b64_e32 v[10:11], s[12:13]
	s_mov_b64 s[0:1], 0
	v_mov_b64_e32 v[12:13], s[14:15]
	v_mov_b64_e32 v[14:15], s[16:17]
	;; [unrolled: 1-line block ×3, first 2 shown]
	v_mov_b32_e32 v39, 0
                                        ; implicit-def: $sgpr14_sgpr15
                                        ; implicit-def: $vgpr42
	s_and_saveexec_b64 s[12:13], vcc
	s_cbranch_execz .LBB328_116
; %bb.99:
	v_cmp_ne_u16_sdwa s[0:1], v28, v29 src0_sel:WORD_1 src1_sel:DWORD
	s_mov_b32 s48, 0
	v_add_u32_e32 v10, 15, v43
	v_cndmask_b32_e64 v11, 0, 1, s[0:1]
	s_mov_b32 s49, s48
	v_alignbit_b32 v39, v11, v32, 16
	v_cmp_gt_u32_e32 vcc, s86, v10
	s_mov_b32 s50, s48
	s_mov_b32 s51, s48
	;; [unrolled: 1-line block ×6, first 2 shown]
	v_mov_b64_e32 v[10:11], s[48:49]
	s_mov_b64 s[0:1], 0
	v_mov_b64_e32 v[12:13], s[50:51]
	v_mov_b64_e32 v[14:15], s[52:53]
	;; [unrolled: 1-line block ×3, first 2 shown]
                                        ; implicit-def: $sgpr16_sgpr17
                                        ; implicit-def: $vgpr42
	s_and_saveexec_b64 s[14:15], vcc
	s_cbranch_execz .LBB328_115
; %bb.100:
	v_cmp_ne_u16_sdwa s[0:1], v29, v29 src0_sel:DWORD src1_sel:WORD_1
	v_and_b32_e32 v10, 0xffff, v33
	v_add_u32_e32 v11, 16, v43
	v_cndmask_b32_e64 v12, 0, 1, s[0:1]
	v_lshl_or_b32 v10, v12, 16, v10
	v_mov_b32_e32 v12, 0
	v_cmp_gt_u32_e32 vcc, s86, v11
	v_mov_b32_e32 v11, v12
	v_mov_b32_e32 v13, v12
	;; [unrolled: 1-line block ×6, first 2 shown]
	s_mov_b64 s[0:1], 0
                                        ; implicit-def: $sgpr18_sgpr19
                                        ; implicit-def: $vgpr42
	s_and_saveexec_b64 s[16:17], vcc
	s_cbranch_execz .LBB328_114
; %bb.101:
	v_cmp_ne_u16_sdwa s[0:1], v29, v22 src0_sel:WORD_1 src1_sel:DWORD
	v_add_u32_e32 v13, 17, v43
	v_cmp_gt_u32_e32 vcc, s86, v13
	v_cndmask_b32_e64 v11, 0, 1, s[0:1]
	v_alignbit_b32 v11, v11, v33, 16
	v_mov_b32_e32 v13, v12
	v_mov_b32_e32 v14, v12
	;; [unrolled: 1-line block ×5, first 2 shown]
	s_mov_b64 s[0:1], 0
                                        ; implicit-def: $sgpr48_sgpr49
                                        ; implicit-def: $vgpr42
	s_and_saveexec_b64 s[18:19], vcc
	s_cbranch_execz .LBB328_113
; %bb.102:
	ds_read_b96 v[26:28], v40 offset:34
	v_add_u32_e32 v12, 18, v43
	v_cmp_ne_u16_sdwa s[0:1], v22, v22 src0_sel:DWORD src1_sel:WORD_1
	v_cmp_gt_u32_e32 vcc, s86, v12
	v_mov_b32_e32 v14, 0
	v_cndmask_b32_e64 v13, 0, 1, s[0:1]
	s_waitcnt lgkmcnt(0)
	v_and_b32_e32 v12, 0xffff, v26
	v_lshl_or_b32 v12, v13, 16, v12
	v_mov_b32_e32 v13, v14
	v_mov_b32_e32 v15, v14
	;; [unrolled: 1-line block ×4, first 2 shown]
	s_mov_b64 s[0:1], 0
                                        ; implicit-def: $sgpr50_sgpr51
                                        ; implicit-def: $vgpr42
	s_and_saveexec_b64 s[48:49], vcc
	s_cbranch_execz .LBB328_112
; %bb.103:
	v_cmp_ne_u16_sdwa s[0:1], v22, v23 src0_sel:WORD_1 src1_sel:DWORD
	v_add_u32_e32 v15, 19, v43
	v_cmp_gt_u32_e32 vcc, s86, v15
	v_cndmask_b32_e64 v13, 0, 1, s[0:1]
	v_alignbit_b32 v13, v13, v26, 16
	v_mov_b32_e32 v15, v14
	v_mov_b32_e32 v16, v14
	;; [unrolled: 1-line block ×3, first 2 shown]
	s_mov_b64 s[0:1], 0
                                        ; implicit-def: $sgpr52_sgpr53
                                        ; implicit-def: $vgpr42
	s_and_saveexec_b64 s[50:51], vcc
	s_cbranch_execz .LBB328_111
; %bb.104:
	v_cmp_ne_u16_sdwa s[0:1], v23, v23 src0_sel:DWORD src1_sel:WORD_1
	v_and_b32_e32 v14, 0xffff, v27
	v_add_u32_e32 v15, 20, v43
	v_cndmask_b32_e64 v16, 0, 1, s[0:1]
	v_lshl_or_b32 v14, v16, 16, v14
	v_mov_b32_e32 v16, 0
	v_cmp_gt_u32_e32 vcc, s86, v15
	v_mov_b32_e32 v15, v16
	v_mov_b32_e32 v17, v16
	s_mov_b64 s[0:1], 0
                                        ; implicit-def: $sgpr54_sgpr55
                                        ; implicit-def: $vgpr42
	s_and_saveexec_b64 s[52:53], vcc
	s_cbranch_execz .LBB328_110
; %bb.105:
	v_cmp_ne_u16_sdwa s[0:1], v23, v24 src0_sel:WORD_1 src1_sel:DWORD
	v_add_u32_e32 v17, 21, v43
	v_cmp_gt_u32_e32 vcc, s86, v17
	v_cndmask_b32_e64 v15, 0, 1, s[0:1]
	v_alignbit_b32 v15, v15, v27, 16
	s_mov_b32 s9, 0
	v_mov_b32_e32 v17, v16
	s_mov_b64 s[0:1], 0
                                        ; implicit-def: $sgpr68_sgpr69
                                        ; implicit-def: $vgpr42
	s_and_saveexec_b64 s[54:55], vcc
	s_cbranch_execz .LBB328_109
; %bb.106:
	v_cmp_ne_u16_sdwa s[0:1], v24, v24 src0_sel:DWORD src1_sel:WORD_1
	v_and_b32_e32 v16, 0xffff, v28
	v_add_u32_e32 v17, 22, v43
	v_cndmask_b32_e64 v22, 0, 1, s[0:1]
	v_lshl_or_b32 v16, v22, 16, v16
	v_cmp_gt_u32_e32 vcc, s86, v17
	v_mov_b32_e32 v17, s9
	s_mov_b64 s[0:1], 0
                                        ; implicit-def: $sgpr68_sgpr69
                                        ; implicit-def: $vgpr42
	s_and_saveexec_b64 s[84:85], vcc
	s_xor_b64 s[84:85], exec, s[84:85]
	s_cbranch_execz .LBB328_108
; %bb.107:
	ds_read_u16 v42, v40 offset:46
	v_add_u32_e32 v22, 23, v43
	v_cmp_ne_u16_sdwa s[0:1], v24, v25 src0_sel:WORD_1 src1_sel:DWORD
	v_cmp_ne_u16_e32 vcc, v25, v41
	s_and_b64 s[68:69], vcc, exec
	v_cndmask_b32_e64 v17, 0, 1, s[0:1]
	v_cmp_gt_u32_e64 s[0:1], s86, v22
	v_alignbit_b32 v17, v17, v28, 16
	s_and_b64 s[0:1], s[0:1], exec
.LBB328_108:
	s_or_b64 exec, exec, s[84:85]
	s_and_b64 s[68:69], s[68:69], exec
	s_and_b64 s[0:1], s[0:1], exec
.LBB328_109:
	s_or_b64 exec, exec, s[54:55]
	s_and_b64 s[54:55], s[68:69], exec
	s_and_b64 s[0:1], s[0:1], exec
.LBB328_110:
	s_or_b64 exec, exec, s[52:53]
	s_and_b64 s[52:53], s[54:55], exec
	s_and_b64 s[0:1], s[0:1], exec
.LBB328_111:
	s_or_b64 exec, exec, s[50:51]
	s_and_b64 s[50:51], s[52:53], exec
	s_and_b64 s[0:1], s[0:1], exec
.LBB328_112:
	s_or_b64 exec, exec, s[48:49]
	s_and_b64 s[48:49], s[50:51], exec
	s_and_b64 s[0:1], s[0:1], exec
.LBB328_113:
	s_or_b64 exec, exec, s[18:19]
	s_and_b64 s[18:19], s[48:49], exec
	s_and_b64 s[0:1], s[0:1], exec
.LBB328_114:
	s_or_b64 exec, exec, s[16:17]
	s_and_b64 s[16:17], s[18:19], exec
	s_and_b64 s[0:1], s[0:1], exec
.LBB328_115:
	s_or_b64 exec, exec, s[14:15]
	s_and_b64 s[14:15], s[16:17], exec
	s_and_b64 s[0:1], s[0:1], exec
.LBB328_116:
	s_or_b64 exec, exec, s[12:13]
	s_and_b64 s[48:49], s[14:15], exec
	s_and_b64 s[0:1], s[0:1], exec
.LBB328_117:
	s_or_b64 exec, exec, s[46:47]
	s_and_b64 s[12:13], s[48:49], exec
	s_and_b64 s[0:1], s[0:1], exec
.LBB328_118:
	s_or_b64 exec, exec, s[44:45]
	s_and_b64 s[44:45], s[12:13], exec
	s_and_b64 s[0:1], s[0:1], exec
.LBB328_119:
	s_or_b64 exec, exec, s[42:43]
	s_and_b64 s[12:13], s[44:45], exec
	s_and_b64 s[0:1], s[0:1], exec
.LBB328_120:
	s_or_b64 exec, exec, s[40:41]
	s_and_b64 s[40:41], s[12:13], exec
	s_and_b64 s[0:1], s[0:1], exec
.LBB328_121:
	s_or_b64 exec, exec, s[38:39]
	s_and_b64 s[12:13], s[40:41], exec
	s_and_b64 s[0:1], s[0:1], exec
.LBB328_122:
	s_or_b64 exec, exec, s[36:37]
	s_and_b64 s[36:37], s[12:13], exec
	s_and_b64 s[0:1], s[0:1], exec
.LBB328_123:
	s_or_b64 exec, exec, s[34:35]
	s_and_b64 s[12:13], s[36:37], exec
	s_and_b64 s[0:1], s[0:1], exec
.LBB328_124:
	s_or_b64 exec, exec, s[30:31]
	s_and_b64 s[30:31], s[12:13], exec
	s_and_b64 s[0:1], s[0:1], exec
.LBB328_125:
	s_or_b64 exec, exec, s[28:29]
	s_and_b64 s[12:13], s[30:31], exec
	s_and_b64 s[0:1], s[0:1], exec
.LBB328_126:
	s_or_b64 exec, exec, s[26:27]
	s_and_b64 s[26:27], s[12:13], exec
	s_and_b64 s[0:1], s[0:1], exec
.LBB328_127:
	s_or_b64 exec, exec, s[24:25]
	s_and_b64 s[12:13], s[26:27], exec
	s_and_b64 s[0:1], s[0:1], exec
.LBB328_128:
	s_or_b64 exec, exec, s[22:23]
	s_and_b64 s[24:25], s[12:13], exec
	s_and_b64 s[22:23], s[0:1], exec
.LBB328_129:
	s_or_b64 exec, exec, s[20:21]
	s_and_b64 s[0:1], s[24:25], exec
	s_and_b64 s[12:13], s[22:23], exec
.LBB328_130:
	s_or_b64 exec, exec, s[10:11]
	s_and_b64 vcc, exec, s[6:7]
	v_lshlrev_b32_e32 v22, 1, v0
	s_cbranch_vccnz .LBB328_132
	s_branch .LBB328_140
.LBB328_131:
                                        ; implicit-def: $sgpr0_sgpr1
                                        ; implicit-def: $vgpr18_vgpr19_vgpr20_vgpr21
                                        ; implicit-def: $vgpr2_vgpr3_vgpr4_vgpr5_vgpr6_vgpr7_vgpr8_vgpr9
                                        ; implicit-def: $vgpr10_vgpr11_vgpr12_vgpr13_vgpr14_vgpr15_vgpr16_vgpr17
                                        ; implicit-def: $vgpr42
                                        ; implicit-def: $vgpr1
                                        ; implicit-def: $vgpr38
                                        ; implicit-def: $vgpr39
                                        ; implicit-def: $sgpr8
	s_and_b64 vcc, exec, s[6:7]
	v_lshlrev_b32_e32 v22, 1, v0
	s_cbranch_vccz .LBB328_140
.LBB328_132:
	v_mov_b32_e32 v23, 0
	v_lshl_add_u64 v[2:3], s[64:65], 0, v[22:23]
	v_add_co_u32_e32 v4, vcc, 0x1000, v2
	flat_load_ushort v1, v[2:3]
	flat_load_ushort v6, v[2:3] offset:512
	flat_load_ushort v7, v[2:3] offset:1024
	;; [unrolled: 1-line block ×7, first 2 shown]
	v_addc_co_u32_e32 v5, vcc, 0, v3, vcc
	v_add_co_u32_e32 v2, vcc, 0x2000, v2
	flat_load_ushort v13, v[4:5]
	flat_load_ushort v14, v[4:5] offset:512
	flat_load_ushort v15, v[4:5] offset:1024
	;; [unrolled: 1-line block ×7, first 2 shown]
	v_addc_co_u32_e32 v3, vcc, 0, v3, vcc
	flat_load_ushort v5, v[2:3]
	flat_load_ushort v21, v[2:3] offset:512
	flat_load_ushort v23, v[2:3] offset:1024
	;; [unrolled: 1-line block ×7, first 2 shown]
	v_mad_u32_u24 v4, v0, 46, v22
	s_cmp_eq_u64 s[82:83], 0
	s_waitcnt vmcnt(0) lgkmcnt(0)
	ds_write_b16 v22, v1
	ds_write_b16 v22, v6 offset:512
	ds_write_b16 v22, v7 offset:1024
	;; [unrolled: 1-line block ×23, first 2 shown]
	s_waitcnt lgkmcnt(0)
	s_barrier
	ds_read_b64 v[2:3], v4
	ds_read_u16 v5, v4 offset:8
	ds_read_b128 v[10:13], v4 offset:10
	ds_read_u16 v14, v4 offset:26
	ds_read_b32 v15, v4 offset:44
	ds_read2_b32 v[26:27], v4 offset0:9 offset1:10
	ds_read2_b32 v[24:25], v4 offset0:7 offset1:8
	s_cbranch_scc1 .LBB328_137
; %bb.133:
	s_andn2_b64 vcc, exec, s[72:73]
	s_cbranch_vccnz .LBB328_324
; %bb.134:
	s_lshl_b64 s[0:1], s[82:83], 1
	s_add_u32 s0, s74, s0
	s_addc_u32 s1, s75, s1
	s_add_u32 s0, s0, -2
	s_addc_u32 s1, s1, -1
	s_cbranch_execnz .LBB328_136
.LBB328_135:
	s_add_u32 s0, s64, -2
	s_addc_u32 s1, s65, -1
.LBB328_136:
	s_mov_b64 s[64:65], s[0:1]
.LBB328_137:
	v_mov_b64_e32 v[6:7], s[64:65]
	flat_load_ushort v6, v[6:7]
	s_movk_i32 s0, 0xffd2
	s_waitcnt lgkmcnt(0)
	v_lshrrev_b32_e32 v1, 16, v15
	v_mad_i32_i24 v7, v0, s0, v4
	ds_write_b16 v7, v1 offset:12288
	s_waitcnt lgkmcnt(0)
	s_barrier
	s_and_saveexec_b64 s[0:1], s[4:5]
	s_cbranch_execz .LBB328_139
; %bb.138:
	s_waitcnt vmcnt(0)
	v_mul_i32_i24_e32 v6, 0xffffffd2, v0
	v_add_u32_e32 v6, v4, v6
	ds_read_u16 v6, v6 offset:12286
.LBB328_139:
	s_or_b64 exec, exec, s[0:1]
	v_mov_b32_e32 v23, 0
	v_lshl_add_u64 v[8:9], s[62:63], 0, v[22:23]
	s_movk_i32 s0, 0x1000
	v_add_co_u32_e32 v16, vcc, s0, v8
	s_movk_i32 s0, 0x2000
	s_nop 0
	v_addc_co_u32_e32 v17, vcc, 0, v9, vcc
	s_waitcnt lgkmcnt(0)
	s_barrier
	flat_load_ushort v7, v[8:9]
	flat_load_ushort v18, v[8:9] offset:512
	flat_load_ushort v19, v[8:9] offset:1024
	;; [unrolled: 1-line block ×7, first 2 shown]
	v_add_co_u32_e32 v8, vcc, s0, v8
	flat_load_ushort v30, v[16:17]
	flat_load_ushort v31, v[16:17] offset:512
	flat_load_ushort v32, v[16:17] offset:1024
	;; [unrolled: 1-line block ×7, first 2 shown]
	v_addc_co_u32_e32 v9, vcc, 0, v9, vcc
	flat_load_ushort v16, v[8:9]
	flat_load_ushort v17, v[8:9] offset:512
	flat_load_ushort v38, v[8:9] offset:1024
	;; [unrolled: 1-line block ×7, first 2 shown]
	s_waitcnt vmcnt(0)
	v_cmp_ne_u16_e32 vcc, v6, v2
	v_cmp_ne_u16_sdwa s[6:7], v3, v5 src0_sel:WORD_1 src1_sel:DWORD
	v_cmp_ne_u16_e64 s[0:1], v15, v1
	v_cndmask_b32_e64 v1, 0, 1, vcc
	v_cndmask_b32_e64 v9, 0, 1, s[6:7]
	v_cmp_ne_u16_sdwa s[6:7], v2, v3 src0_sel:WORD_1 src1_sel:DWORD
	v_cmp_ne_u16_e32 vcc, v5, v10
	s_mov_b64 s[12:13], -1
	v_cndmask_b32_e64 v44, 0, 1, s[6:7]
	v_cmp_ne_u16_sdwa s[6:7], v3, v3 src0_sel:DWORD src1_sel:WORD_1
                                        ; implicit-def: $sgpr8
	s_waitcnt lgkmcnt(0)
	ds_write_b16 v22, v7
	ds_write_b16 v22, v18 offset:512
	ds_write_b16 v22, v19 offset:1024
	;; [unrolled: 1-line block ×23, first 2 shown]
	s_waitcnt lgkmcnt(0)
	s_barrier
	ds_read_b96 v[6:8], v4
	ds_read_b128 v[28:31], v4 offset:30
	ds_read_u16 v42, v4 offset:46
	ds_read2_b32 v[16:17], v4 offset0:3 offset1:4
	v_cndmask_b32_e64 v3, 0, 1, s[6:7]
	v_cmp_ne_u16_sdwa s[6:7], v2, v2 src0_sel:DWORD src1_sel:WORD_1
	s_waitcnt lgkmcnt(3)
	v_and_b32_e32 v19, 0xffff, v6
	v_and_b32_e32 v23, 0xffff, v7
	v_lshl_or_b32 v1, v1, 16, v19
	v_lshl_or_b32 v19, v44, 16, v23
	ds_read_u16 v23, v4 offset:28
	ds_read2_b32 v[32:33], v4 offset0:5 offset1:6
	v_cndmask_b32_e64 v2, 0, 1, s[6:7]
	v_cmp_ne_u16_sdwa s[6:7], v13, v13 src0_sel:DWORD src1_sel:WORD_1
	v_alignbit_b32 v18, v2, v6, 16
	v_cndmask_b32_e64 v2, 0, 1, vcc
	s_waitcnt lgkmcnt(0)
	v_and_b32_e32 v5, 0xffff, v33
	v_cndmask_b32_e64 v6, 0, 1, s[6:7]
	v_cmp_ne_u16_sdwa s[6:7], v12, v12 src0_sel:DWORD src1_sel:WORD_1
	v_and_b32_e32 v21, 0xffff, v8
	v_alignbit_b32 v38, v2, v8, 16
	v_and_b32_e32 v4, 0xffff, v32
	v_lshl_or_b32 v8, v6, 16, v5
	v_cndmask_b32_e64 v5, 0, 1, s[6:7]
	v_cmp_ne_u16_sdwa s[6:7], v11, v11 src0_sel:DWORD src1_sel:WORD_1
	v_alignbit_b32 v20, v3, v7, 16
	v_and_b32_e32 v3, 0xffff, v17
	v_lshl_or_b32 v6, v5, 16, v4
	v_cndmask_b32_e64 v4, 0, 1, s[6:7]
	v_cmp_ne_u16_sdwa s[6:7], v10, v10 src0_sel:DWORD src1_sel:WORD_1
	v_and_b32_e32 v2, 0xffff, v16
	v_lshl_or_b32 v4, v4, 16, v3
	v_cndmask_b32_e64 v3, 0, 1, s[6:7]
	v_cmp_ne_u16_sdwa s[6:7], v13, v14 src0_sel:WORD_1 src1_sel:DWORD
	v_lshl_or_b32 v2, v3, 16, v2
	v_lshl_or_b32 v21, v9, 16, v21
	v_cndmask_b32_e64 v3, 0, 1, s[6:7]
	v_cmp_ne_u16_sdwa s[6:7], v12, v13 src0_sel:WORD_1 src1_sel:DWORD
	v_alignbit_b32 v9, v3, v33, 16
	v_cmp_ne_u16_e32 vcc, v14, v24
	v_cndmask_b32_e64 v3, 0, 1, s[6:7]
	v_cmp_ne_u16_sdwa s[6:7], v11, v12 src0_sel:WORD_1 src1_sel:DWORD
	v_alignbit_b32 v7, v3, v32, 16
	v_and_b32_e32 v13, 0xffff, v31
	v_cndmask_b32_e64 v3, 0, 1, s[6:7]
	v_cmp_ne_u16_sdwa s[6:7], v10, v11 src0_sel:WORD_1 src1_sel:DWORD
	v_alignbit_b32 v5, v3, v17, 16
	v_and_b32_e32 v12, 0xffff, v30
	v_cndmask_b32_e64 v3, 0, 1, s[6:7]
	v_cmp_ne_u16_sdwa s[6:7], v27, v27 src0_sel:DWORD src1_sel:WORD_1
	v_alignbit_b32 v3, v3, v16, 16
	v_cndmask_b32_e64 v10, 0, 1, vcc
	v_cndmask_b32_e64 v14, 0, 1, s[6:7]
	v_cmp_ne_u16_sdwa s[6:7], v26, v26 src0_sel:DWORD src1_sel:WORD_1
	v_lshl_or_b32 v16, v14, 16, v13
	v_and_b32_e32 v11, 0xffff, v29
	v_cndmask_b32_e64 v13, 0, 1, s[6:7]
	v_cmp_ne_u16_sdwa s[6:7], v25, v25 src0_sel:DWORD src1_sel:WORD_1
	v_lshl_or_b32 v14, v13, 16, v12
	v_lshl_or_b32 v39, v10, 16, v23
	v_cndmask_b32_e64 v12, 0, 1, s[6:7]
	v_cmp_ne_u16_sdwa s[6:7], v24, v24 src0_sel:DWORD src1_sel:WORD_1
	v_and_b32_e32 v10, 0xffff, v28
	v_lshl_or_b32 v12, v12, 16, v11
	v_cndmask_b32_e64 v11, 0, 1, s[6:7]
	v_cmp_ne_u16_sdwa s[6:7], v27, v15 src0_sel:WORD_1 src1_sel:DWORD
	v_lshl_or_b32 v10, v11, 16, v10
	s_nop 0
	v_cndmask_b32_e64 v11, 0, 1, s[6:7]
	v_cmp_ne_u16_sdwa s[6:7], v26, v27 src0_sel:WORD_1 src1_sel:DWORD
	v_alignbit_b32 v17, v11, v31, 16
	s_nop 0
	v_cndmask_b32_e64 v11, 0, 1, s[6:7]
	v_cmp_ne_u16_sdwa s[6:7], v25, v26 src0_sel:WORD_1 src1_sel:DWORD
	v_alignbit_b32 v15, v11, v30, 16
	;; [unrolled: 4-line block ×3, first 2 shown]
	s_nop 0
	v_cndmask_b32_e64 v11, 0, 1, s[6:7]
	v_alignbit_b32 v11, v11, v28, 16
.LBB328_140:
	v_mov_b32_e32 v23, s8
	s_and_saveexec_b64 s[6:7], s[12:13]
	s_cbranch_execz .LBB328_142
; %bb.141:
	v_mov_b32_e32 v23, 0x10000
	v_cndmask_b32_e64 v23, 0, v23, s[0:1]
	s_waitcnt lgkmcnt(0)
	v_or_b32_sdwa v23, v23, v42 dst_sel:DWORD dst_unused:UNUSED_PAD src0_sel:DWORD src1_sel:WORD_0
.LBB328_142:
	s_or_b64 exec, exec, s[6:7]
	s_cmp_lg_u32 s79, 0
	v_mbcnt_lo_u32_b32 v34, -1, 0
	s_waitcnt lgkmcnt(0)
	s_barrier
	s_cbranch_scc0 .LBB328_213
; %bb.143:
	s_mov_b32 s0, 0x10000
	v_cmp_gt_u32_e64 s[6:7], s0, v18
	v_cmp_gt_u32_e64 s[8:9], s0, v19
	v_cmp_gt_u32_e64 s[10:11], s0, v20
	v_cndmask_b32_e64 v24, 0, v1, s[6:7]
	v_add_u16_e32 v24, v24, v18
	v_cndmask_b32_e64 v24, 0, v24, s[8:9]
	v_add_u16_e32 v24, v24, v19
	v_cndmask_b32_e64 v24, 0, v24, s[10:11]
	v_add_u16_e32 v24, v24, v20
	v_cmp_gt_u32_e64 s[12:13], s0, v21
	v_cmp_gt_u32_e64 s[14:15], s0, v38
	v_cmp_gt_u32_e64 s[16:17], s0, v2
	v_cndmask_b32_e64 v24, 0, v24, s[12:13]
	v_add_u16_e32 v24, v24, v21
	v_cndmask_b32_e64 v24, 0, v24, s[14:15]
	v_add_u16_e32 v24, v24, v38
	v_cndmask_b32_e64 v24, 0, v24, s[16:17]
	v_add_u16_e32 v24, v24, v2
	;; [unrolled: 9-line block ×5, first 2 shown]
	v_cmp_gt_u32_e64 s[38:39], s0, v11
	v_cmp_gt_u32_e64 s[40:41], s0, v12
	v_or3_b32 v25, v23, v17, v16
	v_cndmask_b32_e64 v24, 0, v24, s[38:39]
	v_add_u16_e32 v24, v24, v11
	v_cndmask_b32_e64 v24, 0, v24, s[40:41]
	v_add_u16_e32 v24, v24, v12
	v_cmp_gt_u32_e64 s[42:43], s0, v13
	v_or3_b32 v25, v25, v15, v14
	v_or3_b32 v25, v25, v13, v12
	v_cndmask_b32_e64 v24, 0, v24, s[42:43]
	v_add_u16_e32 v24, v24, v13
	v_cmp_gt_u32_e64 s[44:45], s0, v14
	v_or3_b32 v25, v25, v11, v10
	v_or3_b32 v25, v25, v39, v9
	;; [unrolled: 5-line block ×5, first 2 shown]
	v_cndmask_b32_e64 v24, 0, v24, s[50:51]
	v_add_u16_e32 v24, v24, v17
	v_cmp_gt_u32_e64 s[52:53], s0, v23
	v_and_b32_e32 v25, 0x10000, v25
	v_lshrrev_b32_e32 v35, 16, v1
	v_cndmask_b32_e64 v26, 0, v24, s[52:53]
	v_cmp_ne_u32_e32 vcc, 0, v25
	v_add_u16_e32 v24, v26, v23
	v_mbcnt_hi_u32_b32 v27, -1, v34
	v_cndmask_b32_e64 v25, v35, 1, vcc
	v_add_u16_e32 v26, v26, v23
	v_and_b32_e32 v29, 15, v27
	v_lshl_or_b32 v26, v25, 16, v26
	v_cmp_ne_u32_e32 vcc, 0, v29
	s_nop 0
	v_mov_b32_dpp v28, v26 row_shr:1 row_mask:0xf bank_mask:0xf
	s_and_saveexec_b64 s[0:1], vcc
	s_cbranch_execz .LBB328_145
; %bb.144:
	v_cmp_eq_u32_e32 vcc, 0, v25
	v_and_b32_e32 v25, 1, v25
	v_mov_b32_e32 v31, 1
	v_cndmask_b32_e32 v26, 0, v28, vcc
	v_and_b32_sdwa v28, v28, v31 dst_sel:DWORD dst_unused:UNUSED_PAD src0_sel:WORD_1 src1_sel:DWORD
	v_cmp_eq_u32_e32 vcc, 1, v25
	v_add_u16_e32 v30, v26, v24
	v_add_u16_e32 v24, v26, v24
	v_cndmask_b32_e64 v25, v28, 1, vcc
	v_lshlrev_b32_e32 v28, 16, v25
	v_or_b32_e32 v26, v28, v24
	v_mov_b32_e32 v24, v30
.LBB328_145:
	s_or_b64 exec, exec, s[0:1]
	v_lshrrev_b32_e32 v28, 16, v26
	v_mov_b32_dpp v30, v26 row_shr:2 row_mask:0xf bank_mask:0xf
	v_cmp_lt_u32_e32 vcc, 1, v29
	s_and_saveexec_b64 s[0:1], vcc
	s_cbranch_execz .LBB328_147
; %bb.146:
	s_mov_b32 s54, 0x10000
	v_cmp_gt_u32_e32 vcc, s54, v26
	v_and_b32_e32 v25, 0x10000, v26
	v_mov_b32_e32 v26, 1
	v_cndmask_b32_e32 v28, 0, v30, vcc
	v_and_b32_sdwa v26, v30, v26 dst_sel:DWORD dst_unused:UNUSED_PAD src0_sel:WORD_1 src1_sel:DWORD
	v_cmp_ne_u32_e32 vcc, 0, v25
	v_add_u16_e32 v31, v28, v24
	v_add_u16_e32 v24, v28, v24
	v_cndmask_b32_e64 v25, v26, 1, vcc
	v_lshlrev_b32_e32 v26, 16, v25
	v_or_b32_e32 v26, v26, v24
	v_mov_b32_e32 v28, v25
	v_mov_b32_e32 v24, v31
.LBB328_147:
	s_or_b64 exec, exec, s[0:1]
	v_mov_b32_dpp v30, v26 row_shr:4 row_mask:0xf bank_mask:0xf
	v_cmp_lt_u32_e32 vcc, 3, v29
	s_and_saveexec_b64 s[0:1], vcc
	s_cbranch_execz .LBB328_149
; %bb.148:
	v_mov_b32_e32 v25, 0
	v_cmp_eq_u16_sdwa vcc, v28, v25 src0_sel:BYTE_0 src1_sel:DWORD
	v_and_b32_e32 v25, 1, v28
	v_mov_b32_e32 v28, 1
	v_cndmask_b32_e32 v26, 0, v30, vcc
	v_and_b32_sdwa v28, v30, v28 dst_sel:DWORD dst_unused:UNUSED_PAD src0_sel:WORD_1 src1_sel:DWORD
	v_cmp_eq_u32_e32 vcc, 1, v25
	v_add_u16_e32 v31, v26, v24
	v_add_u16_e32 v24, v26, v24
	v_cndmask_b32_e64 v25, v28, 1, vcc
	v_lshlrev_b32_e32 v28, 16, v25
	v_or_b32_e32 v26, v28, v24
	v_mov_b32_e32 v28, v25
	v_mov_b32_e32 v24, v31
.LBB328_149:
	s_or_b64 exec, exec, s[0:1]
	v_mov_b32_dpp v30, v26 row_shr:8 row_mask:0xf bank_mask:0xf
	v_cmp_lt_u32_e32 vcc, 7, v29
	s_and_saveexec_b64 s[0:1], vcc
	s_cbranch_execz .LBB328_151
; %bb.150:
	v_mov_b32_e32 v25, 0
	v_cmp_eq_u16_sdwa vcc, v28, v25 src0_sel:BYTE_0 src1_sel:DWORD
	v_and_b32_e32 v25, 1, v28
	v_mov_b32_e32 v28, 1
	v_cndmask_b32_e32 v26, 0, v30, vcc
	v_and_b32_sdwa v28, v30, v28 dst_sel:DWORD dst_unused:UNUSED_PAD src0_sel:WORD_1 src1_sel:DWORD
	v_cmp_eq_u32_e32 vcc, 1, v25
	v_add_u16_e32 v29, v26, v24
	v_add_u16_e32 v24, v26, v24
	v_cndmask_b32_e64 v25, v28, 1, vcc
	v_lshlrev_b32_e32 v28, 16, v25
	v_or_b32_e32 v26, v28, v24
	v_mov_b32_e32 v28, v25
	v_mov_b32_e32 v24, v29
.LBB328_151:
	s_or_b64 exec, exec, s[0:1]
	v_and_b32_e32 v30, 16, v27
	v_mov_b32_dpp v29, v26 row_bcast:15 row_mask:0xf bank_mask:0xf
	v_cmp_ne_u32_e32 vcc, 0, v30
	s_and_saveexec_b64 s[0:1], vcc
	s_cbranch_execz .LBB328_153
; %bb.152:
	v_mov_b32_e32 v25, 0
	v_cmp_eq_u16_sdwa vcc, v28, v25 src0_sel:BYTE_0 src1_sel:DWORD
	v_and_b32_e32 v25, 1, v28
	v_mov_b32_e32 v28, 1
	v_cndmask_b32_e32 v26, 0, v29, vcc
	v_and_b32_sdwa v28, v29, v28 dst_sel:DWORD dst_unused:UNUSED_PAD src0_sel:WORD_1 src1_sel:DWORD
	v_cmp_eq_u32_e32 vcc, 1, v25
	v_add_u16_e32 v30, v26, v24
	v_add_u16_e32 v24, v26, v24
	v_cndmask_b32_e64 v25, v28, 1, vcc
	v_lshlrev_b32_e32 v28, 16, v25
	v_or_b32_e32 v26, v28, v24
	v_mov_b32_e32 v24, v30
	v_mov_b32_e32 v28, v25
.LBB328_153:
	s_or_b64 exec, exec, s[0:1]
	v_mov_b32_dpp v26, v26 row_bcast:31 row_mask:0xf bank_mask:0xf
	v_cmp_lt_u32_e32 vcc, 31, v27
	s_and_saveexec_b64 s[0:1], vcc
; %bb.154:
	v_mov_b32_e32 v25, 0
	v_cmp_eq_u16_sdwa vcc, v28, v25 src0_sel:BYTE_0 src1_sel:DWORD
	s_nop 1
	v_cndmask_b32_e32 v25, 0, v26, vcc
	v_add_u16_e32 v24, v25, v24
	v_and_b32_e32 v25, 1, v28
	v_mov_b32_e32 v28, 1
	v_and_b32_sdwa v26, v26, v28 dst_sel:DWORD dst_unused:UNUSED_PAD src0_sel:WORD_1 src1_sel:DWORD
	v_cmp_eq_u32_e32 vcc, 1, v25
	s_nop 1
	v_cndmask_b32_e64 v25, v26, 1, vcc
; %bb.155:
	s_or_b64 exec, exec, s[0:1]
	v_or_b32_e32 v28, 63, v0
	v_lshrrev_b32_e32 v26, 6, v0
	v_cmp_eq_u32_e32 vcc, v28, v0
	s_and_saveexec_b64 s[0:1], vcc
	s_cbranch_execz .LBB328_157
; %bb.156:
	v_lshlrev_b32_e32 v28, 2, v26
	ds_write_b16 v28, v24
	ds_write_b8 v28, v25 offset:2
.LBB328_157:
	s_or_b64 exec, exec, s[0:1]
	v_cmp_gt_u32_e32 vcc, 4, v0
	s_waitcnt lgkmcnt(0)
	s_barrier
	s_and_saveexec_b64 s[0:1], vcc
	s_cbranch_execz .LBB328_163
; %bb.158:
	v_lshlrev_b32_e32 v28, 2, v0
	ds_read_b32 v29, v28
	v_and_b32_e32 v32, 3, v27
	v_cmp_ne_u32_e32 vcc, 0, v32
	s_waitcnt lgkmcnt(0)
	v_lshrrev_b32_e32 v31, 16, v29
	v_mov_b32_dpp v33, v29 row_shr:1 row_mask:0xf bank_mask:0xf
	v_mov_b32_e32 v30, v29
	s_and_saveexec_b64 s[54:55], vcc
	s_cbranch_execz .LBB328_160
; %bb.159:
	v_mov_b32_e32 v30, 0
	v_cmp_eq_u16_sdwa vcc, v31, v30 src0_sel:BYTE_0 src1_sel:DWORD
	v_and_b32_e32 v31, 0x10000, v29
	v_mov_b32_e32 v40, 1
	v_cndmask_b32_e32 v37, 0, v33, vcc
	v_and_b32_sdwa v33, v33, v40 dst_sel:DWORD dst_unused:UNUSED_PAD src0_sel:WORD_1 src1_sel:DWORD
	v_cmp_ne_u32_e32 vcc, 0, v31
	v_and_b32_e32 v36, 0xff000000, v29
	v_add_u16_e32 v30, v37, v29
	v_cndmask_b32_e64 v31, v33, 1, vcc
	v_lshlrev_b32_e32 v33, 16, v31
	v_add_u16_e32 v29, v37, v29
	v_or3_b32 v29, v33, v36, v29
.LBB328_160:
	s_or_b64 exec, exec, s[54:55]
	s_nop 0
	v_mov_b32_dpp v33, v29 row_shr:2 row_mask:0xf bank_mask:0xf
	v_cmp_lt_u32_e32 vcc, 1, v32
	s_and_saveexec_b64 s[54:55], vcc
; %bb.161:
	v_and_b32_e32 v31, 0xff0000, v29
	v_cmp_eq_u32_e32 vcc, 0, v31
	v_and_b32_e32 v29, 0x10000, v29
	s_nop 0
	v_cndmask_b32_e32 v31, 0, v33, vcc
	v_add_u16_e32 v30, v31, v30
	v_mov_b32_e32 v31, 1
	v_and_b32_sdwa v31, v33, v31 dst_sel:DWORD dst_unused:UNUSED_PAD src0_sel:WORD_1 src1_sel:DWORD
	v_cmp_eq_u32_e32 vcc, 0, v29
	s_nop 1
	v_cndmask_b32_e32 v31, 1, v31, vcc
; %bb.162:
	s_or_b64 exec, exec, s[54:55]
	ds_write_b16 v28, v30
	ds_write_b8 v28, v31 offset:2
.LBB328_163:
	s_or_b64 exec, exec, s[0:1]
	v_cmp_gt_u32_e32 vcc, 64, v0
	v_cmp_lt_u32_e64 s[0:1], 63, v0
	v_mov_b32_e32 v36, 0
	v_mov_b32_e32 v37, 0
	s_waitcnt lgkmcnt(0)
	s_barrier
	s_and_saveexec_b64 s[54:55], s[0:1]
	s_cbranch_execz .LBB328_165
; %bb.164:
	v_lshl_add_u32 v26, v26, 2, -4
	ds_read_u16 v36, v26
	ds_read_u8 v37, v26 offset:2
	v_mov_b32_e32 v28, 0
	v_and_b32_e32 v29, 1, v25
	v_cmp_eq_u16_sdwa s[0:1], v25, v28 src0_sel:BYTE_0 src1_sel:DWORD
	s_waitcnt lgkmcnt(1)
	s_nop 0
	v_cndmask_b32_e64 v25, 0, v36, s[0:1]
	v_cmp_eq_u32_e64 s[0:1], 1, v29
	v_add_u16_e32 v24, v25, v24
	s_waitcnt lgkmcnt(0)
	v_cndmask_b32_e64 v25, v37, 1, s[0:1]
.LBB328_165:
	s_or_b64 exec, exec, s[54:55]
	v_and_b32_e32 v25, 0xff, v25
	v_and_b32_e32 v24, 0xffff, v24
	v_lshl_or_b32 v24, v25, 16, v24
	v_add_u32_e32 v25, -1, v27
	v_and_b32_e32 v26, 64, v27
	v_cmp_lt_i32_e64 s[0:1], v25, v26
	v_cmp_eq_u32_e64 s[54:55], 0, v27
	s_nop 0
	v_cndmask_b32_e64 v25, v25, v27, s[0:1]
	v_lshlrev_b32_e32 v25, 2, v25
	ds_bpermute_b32 v40, v25, v24
	s_and_saveexec_b64 s[0:1], vcc
	s_cbranch_execz .LBB328_212
; %bb.166:
	v_mov_b32_e32 v33, 0
	ds_read_b32 v24, v33 offset:12
	s_and_saveexec_b64 s[62:63], s[54:55]
	s_cbranch_execz .LBB328_168
; %bb.167:
	s_add_i32 s64, s79, 64
	s_mov_b32 s65, 0
	s_lshl_b64 s[64:65], s[64:65], 3
	s_add_u32 s64, s76, s64
	v_mov_b32_e32 v25, 1
	s_addc_u32 s65, s77, s65
	s_waitcnt lgkmcnt(0)
	global_store_dwordx2 v33, v[24:25], s[64:65] sc1
.LBB328_168:
	s_or_b64 exec, exec, s[62:63]
	v_xad_u32 v26, v27, -1, s79
	v_add_u32_e32 v32, 64, v26
	v_lshl_add_u64 v[30:31], v[32:33], 3, s[76:77]
	global_load_dwordx2 v[28:29], v[30:31], off sc1
	s_waitcnt vmcnt(0)
	v_cmp_eq_u16_sdwa s[64:65], v29, v33 src0_sel:BYTE_0 src1_sel:DWORD
	s_and_saveexec_b64 s[62:63], s[64:65]
	s_cbranch_execz .LBB328_174
; %bb.169:
	s_mov_b32 s68, 1
	s_mov_b64 s[64:65], 0
	v_mov_b32_e32 v25, 0
.LBB328_170:                            ; =>This Loop Header: Depth=1
                                        ;     Child Loop BB328_171 Depth 2
	s_max_u32 s69, s68, 1
.LBB328_171:                            ;   Parent Loop BB328_170 Depth=1
                                        ; =>  This Inner Loop Header: Depth=2
	s_add_i32 s69, s69, -1
	s_cmp_eq_u32 s69, 0
	s_sleep 1
	s_cbranch_scc0 .LBB328_171
; %bb.172:                              ;   in Loop: Header=BB328_170 Depth=1
	global_load_dwordx2 v[28:29], v[30:31], off sc1
	s_cmp_lt_u32 s68, 32
	s_cselect_b64 s[72:73], -1, 0
	s_cmp_lg_u64 s[72:73], 0
	s_addc_u32 s68, s68, 0
	s_waitcnt vmcnt(0)
	v_cmp_ne_u16_sdwa s[72:73], v29, v25 src0_sel:BYTE_0 src1_sel:DWORD
	s_or_b64 s[64:65], s[72:73], s[64:65]
	s_andn2_b64 exec, exec, s[64:65]
	s_cbranch_execnz .LBB328_170
; %bb.173:
	s_or_b64 exec, exec, s[64:65]
.LBB328_174:
	s_or_b64 exec, exec, s[62:63]
	v_mov_b32_e32 v25, 2
	v_cmp_eq_u16_sdwa s[62:63], v29, v25 src0_sel:BYTE_0 src1_sel:DWORD
	v_lshlrev_b64 v[30:31], v27, -1
	v_and_b32_e32 v52, 0xffffff, v28
	v_and_b32_e32 v25, s63, v31
	v_or_b32_e32 v25, 0x80000000, v25
	v_ffbl_b32_e32 v25, v25
	v_add_u32_e32 v33, 32, v25
	v_and_b32_e32 v25, 63, v27
	v_cmp_ne_u32_e32 vcc, 63, v25
	v_and_b32_e32 v32, s62, v30
	v_ffbl_b32_e32 v32, v32
	v_addc_co_u32_e32 v41, vcc, 0, v27, vcc
	v_lshlrev_b32_e32 v41, 2, v41
	ds_bpermute_b32 v42, v41, v52
	v_min_u32_e32 v33, v32, v33
	v_lshrrev_b32_e32 v32, 16, v28
	v_cmp_lt_u32_e32 vcc, v25, v33
	v_bfe_u32 v50, v28, 16, 8
	s_and_saveexec_b64 s[62:63], vcc
	s_cbranch_execz .LBB328_176
; %bb.175:
	v_and_b32_e32 v32, 0xff0000, v28
	v_cmp_eq_u32_e32 vcc, 0, v32
	v_and_b32_e32 v32, 0x10000, v32
	v_mov_b32_e32 v45, 1
	s_waitcnt lgkmcnt(0)
	v_cndmask_b32_e32 v43, 0, v42, vcc
	v_and_b32_sdwa v42, v42, v45 dst_sel:DWORD dst_unused:UNUSED_PAD src0_sel:WORD_1 src1_sel:DWORD
	v_cmp_ne_u32_e32 vcc, 0, v32
	v_add_u16_e32 v44, v43, v28
	v_add_u16_e32 v28, v43, v28
	v_cndmask_b32_e64 v32, v42, 1, vcc
	v_lshlrev_b32_e32 v42, 16, v32
	v_or_b32_e32 v52, v42, v28
	v_mov_b32_e32 v28, v44
	v_mov_b32_e32 v50, v32
.LBB328_176:
	s_or_b64 exec, exec, s[62:63]
	v_cmp_gt_u32_e32 vcc, 62, v25
	v_add_u32_e32 v43, 2, v25
	s_waitcnt lgkmcnt(0)
	v_cndmask_b32_e64 v42, 0, 1, vcc
	v_lshlrev_b32_e32 v42, 1, v42
	v_add_lshl_u32 v42, v42, v27, 2
	ds_bpermute_b32 v44, v42, v52
	v_cmp_le_u32_e32 vcc, v43, v33
	s_and_saveexec_b64 s[62:63], vcc
	s_cbranch_execz .LBB328_178
; %bb.177:
	v_cmp_eq_u16_e32 vcc, 0, v50
	v_and_b32_e32 v32, 1, v50
	v_mov_b32_e32 v47, 1
	s_waitcnt lgkmcnt(0)
	v_cndmask_b32_e32 v45, 0, v44, vcc
	v_and_b32_sdwa v44, v44, v47 dst_sel:DWORD dst_unused:UNUSED_PAD src0_sel:WORD_1 src1_sel:DWORD
	v_cmp_eq_u32_e32 vcc, 1, v32
	v_add_u16_e32 v46, v45, v28
	v_add_u16_e32 v28, v45, v28
	v_cndmask_b32_e64 v32, v44, 1, vcc
	v_lshlrev_b32_e32 v44, 16, v32
	v_or_b32_e32 v52, v44, v28
	v_mov_b32_e32 v28, v46
	v_mov_b32_e32 v50, v32
.LBB328_178:
	s_or_b64 exec, exec, s[62:63]
	v_cmp_gt_u32_e32 vcc, 60, v25
	v_add_u32_e32 v45, 4, v25
	s_waitcnt lgkmcnt(0)
	v_cndmask_b32_e64 v44, 0, 1, vcc
	v_lshlrev_b32_e32 v44, 2, v44
	v_add_lshl_u32 v44, v44, v27, 2
	ds_bpermute_b32 v46, v44, v52
	v_cmp_le_u32_e32 vcc, v45, v33
	s_and_saveexec_b64 s[62:63], vcc
	s_cbranch_execz .LBB328_180
; %bb.179:
	v_cmp_eq_u16_e32 vcc, 0, v50
	v_and_b32_e32 v32, 1, v50
	v_mov_b32_e32 v49, 1
	s_waitcnt lgkmcnt(0)
	v_cndmask_b32_e32 v47, 0, v46, vcc
	v_and_b32_sdwa v46, v46, v49 dst_sel:DWORD dst_unused:UNUSED_PAD src0_sel:WORD_1 src1_sel:DWORD
	v_cmp_eq_u32_e32 vcc, 1, v32
	v_add_u16_e32 v48, v47, v28
	v_add_u16_e32 v28, v47, v28
	v_cndmask_b32_e64 v32, v46, 1, vcc
	v_lshlrev_b32_e32 v46, 16, v32
	v_or_b32_e32 v52, v46, v28
	v_mov_b32_e32 v28, v48
	v_mov_b32_e32 v50, v32
.LBB328_180:
	;; [unrolled: 27-line block ×4, first 2 shown]
	s_or_b64 exec, exec, s[62:63]
	v_cmp_gt_u32_e32 vcc, 32, v25
	s_waitcnt lgkmcnt(0)
	s_nop 0
	v_cndmask_b32_e64 v51, 0, 1, vcc
	v_lshlrev_b32_e32 v51, 5, v51
	v_add_lshl_u32 v51, v51, v27, 2
	ds_bpermute_b32 v27, v51, v52
	v_add_u32_e32 v52, 32, v25
	v_cmp_le_u32_e32 vcc, v52, v33
	s_and_saveexec_b64 s[62:63], vcc
	s_cbranch_execz .LBB328_186
; %bb.185:
	v_cmp_eq_u16_e32 vcc, 0, v50
	v_mov_b32_e32 v33, 1
	s_waitcnt lgkmcnt(0)
	v_cndmask_b32_e32 v32, 0, v27, vcc
	v_add_u16_e32 v28, v32, v28
	v_and_b32_e32 v32, 1, v50
	v_and_b32_sdwa v27, v27, v33 dst_sel:DWORD dst_unused:UNUSED_PAD src0_sel:WORD_1 src1_sel:DWORD
	v_cmp_eq_u32_e32 vcc, 1, v32
	s_nop 1
	v_cndmask_b32_e64 v32, v27, 1, vcc
.LBB328_186:
	s_or_b64 exec, exec, s[62:63]
	s_waitcnt lgkmcnt(0)
	v_mov_b32_e32 v27, 0
	v_mov_b32_e32 v54, 2
	;; [unrolled: 1-line block ×3, first 2 shown]
	s_branch .LBB328_188
.LBB328_187:                            ;   in Loop: Header=BB328_188 Depth=1
	s_or_b64 exec, exec, s[62:63]
	v_cmp_eq_u16_sdwa vcc, v50, v27 src0_sel:BYTE_0 src1_sel:DWORD
	v_and_b32_e32 v32, 1, v50
	v_and_b32_e32 v33, 1, v33
	v_cndmask_b32_e32 v28, 0, v28, vcc
	v_cmp_eq_u32_e32 vcc, 1, v32
	v_subrev_u32_e32 v26, 64, v26
	v_add_u16_e32 v28, v28, v53
	v_cndmask_b32_e64 v32, v33, 1, vcc
.LBB328_188:                            ; =>This Loop Header: Depth=1
                                        ;     Child Loop BB328_191 Depth 2
                                        ;       Child Loop BB328_192 Depth 3
	v_cmp_ne_u16_sdwa s[62:63], v29, v54 src0_sel:BYTE_0 src1_sel:DWORD
	v_mov_b32_e32 v50, v32
	v_mov_b32_e32 v53, v28
	v_cndmask_b32_e64 v29, 0, 1, s[62:63]
	;;#ASMSTART
	;;#ASMEND
	s_nop 0
	v_cmp_ne_u32_e32 vcc, 0, v29
	s_cmp_lg_u64 vcc, exec
	s_cbranch_scc1 .LBB328_207
; %bb.189:                              ;   in Loop: Header=BB328_188 Depth=1
	v_lshl_add_u64 v[32:33], v[26:27], 3, s[76:77]
	global_load_dwordx2 v[28:29], v[32:33], off sc1
	s_waitcnt vmcnt(0)
	v_cmp_eq_u16_sdwa s[64:65], v29, v27 src0_sel:BYTE_0 src1_sel:DWORD
	s_and_saveexec_b64 s[62:63], s[64:65]
	s_cbranch_execz .LBB328_195
; %bb.190:                              ;   in Loop: Header=BB328_188 Depth=1
	s_mov_b32 s68, 1
	s_mov_b64 s[64:65], 0
.LBB328_191:                            ;   Parent Loop BB328_188 Depth=1
                                        ; =>  This Loop Header: Depth=2
                                        ;       Child Loop BB328_192 Depth 3
	s_max_u32 s69, s68, 1
.LBB328_192:                            ;   Parent Loop BB328_188 Depth=1
                                        ;     Parent Loop BB328_191 Depth=2
                                        ; =>    This Inner Loop Header: Depth=3
	s_add_i32 s69, s69, -1
	s_cmp_eq_u32 s69, 0
	s_sleep 1
	s_cbranch_scc0 .LBB328_192
; %bb.193:                              ;   in Loop: Header=BB328_191 Depth=2
	global_load_dwordx2 v[28:29], v[32:33], off sc1
	s_cmp_lt_u32 s68, 32
	s_cselect_b64 s[72:73], -1, 0
	s_cmp_lg_u64 s[72:73], 0
	s_addc_u32 s68, s68, 0
	s_waitcnt vmcnt(0)
	v_cmp_ne_u16_sdwa s[72:73], v29, v27 src0_sel:BYTE_0 src1_sel:DWORD
	s_or_b64 s[64:65], s[72:73], s[64:65]
	s_andn2_b64 exec, exec, s[64:65]
	s_cbranch_execnz .LBB328_191
; %bb.194:                              ;   in Loop: Header=BB328_188 Depth=1
	s_or_b64 exec, exec, s[64:65]
.LBB328_195:                            ;   in Loop: Header=BB328_188 Depth=1
	s_or_b64 exec, exec, s[62:63]
	v_cmp_eq_u16_sdwa s[62:63], v29, v54 src0_sel:BYTE_0 src1_sel:DWORD
	s_waitcnt lgkmcnt(0)
	v_and_b32_e32 v57, 0xffffff, v28
	ds_bpermute_b32 v58, v41, v57
	v_and_b32_e32 v32, s63, v31
	v_or_b32_e32 v32, 0x80000000, v32
	v_and_b32_e32 v33, s62, v30
	v_ffbl_b32_e32 v32, v32
	v_add_u32_e32 v32, 32, v32
	v_ffbl_b32_e32 v33, v33
	v_min_u32_e32 v32, v33, v32
	v_lshrrev_b32_e32 v33, 16, v28
	v_cmp_lt_u32_e32 vcc, v25, v32
	v_bfe_u32 v56, v28, 16, 8
	s_and_saveexec_b64 s[62:63], vcc
	s_cbranch_execz .LBB328_197
; %bb.196:                              ;   in Loop: Header=BB328_188 Depth=1
	v_and_b32_e32 v33, 0xff0000, v28
	v_cmp_eq_u32_e32 vcc, 0, v33
	v_and_b32_e32 v33, 0x10000, v33
	s_waitcnt lgkmcnt(0)
	v_and_b32_sdwa v57, v58, v55 dst_sel:DWORD dst_unused:UNUSED_PAD src0_sel:WORD_1 src1_sel:DWORD
	v_cndmask_b32_e32 v56, 0, v58, vcc
	v_cmp_ne_u32_e32 vcc, 0, v33
	v_add_u16_e32 v59, v56, v28
	v_add_u16_e32 v28, v56, v28
	v_cndmask_b32_e64 v33, v57, 1, vcc
	v_lshlrev_b32_e32 v57, 16, v33
	v_or_b32_e32 v57, v57, v28
	v_mov_b32_e32 v28, v59
	v_mov_b32_e32 v56, v33
.LBB328_197:                            ;   in Loop: Header=BB328_188 Depth=1
	s_or_b64 exec, exec, s[62:63]
	s_waitcnt lgkmcnt(0)
	ds_bpermute_b32 v58, v42, v57
	v_cmp_le_u32_e32 vcc, v43, v32
	s_and_saveexec_b64 s[62:63], vcc
	s_cbranch_execz .LBB328_199
; %bb.198:                              ;   in Loop: Header=BB328_188 Depth=1
	v_cmp_eq_u16_e32 vcc, 0, v56
	v_and_b32_e32 v33, 1, v56
	s_waitcnt lgkmcnt(0)
	v_and_b32_sdwa v56, v58, v55 dst_sel:DWORD dst_unused:UNUSED_PAD src0_sel:WORD_1 src1_sel:DWORD
	v_cndmask_b32_e32 v57, 0, v58, vcc
	v_cmp_eq_u32_e32 vcc, 1, v33
	v_add_u16_e32 v59, v57, v28
	v_add_u16_e32 v28, v57, v28
	v_cndmask_b32_e64 v33, v56, 1, vcc
	v_lshlrev_b32_e32 v56, 16, v33
	v_or_b32_e32 v57, v56, v28
	v_mov_b32_e32 v28, v59
	v_mov_b32_e32 v56, v33
.LBB328_199:                            ;   in Loop: Header=BB328_188 Depth=1
	s_or_b64 exec, exec, s[62:63]
	s_waitcnt lgkmcnt(0)
	ds_bpermute_b32 v58, v44, v57
	v_cmp_le_u32_e32 vcc, v45, v32
	s_and_saveexec_b64 s[62:63], vcc
	s_cbranch_execz .LBB328_201
; %bb.200:                              ;   in Loop: Header=BB328_188 Depth=1
	v_cmp_eq_u16_e32 vcc, 0, v56
	v_and_b32_e32 v33, 1, v56
	s_waitcnt lgkmcnt(0)
	v_and_b32_sdwa v56, v58, v55 dst_sel:DWORD dst_unused:UNUSED_PAD src0_sel:WORD_1 src1_sel:DWORD
	v_cndmask_b32_e32 v57, 0, v58, vcc
	v_cmp_eq_u32_e32 vcc, 1, v33
	v_add_u16_e32 v59, v57, v28
	v_add_u16_e32 v28, v57, v28
	v_cndmask_b32_e64 v33, v56, 1, vcc
	v_lshlrev_b32_e32 v56, 16, v33
	v_or_b32_e32 v57, v56, v28
	v_mov_b32_e32 v28, v59
	v_mov_b32_e32 v56, v33
.LBB328_201:                            ;   in Loop: Header=BB328_188 Depth=1
	s_or_b64 exec, exec, s[62:63]
	s_waitcnt lgkmcnt(0)
	ds_bpermute_b32 v58, v46, v57
	v_cmp_le_u32_e32 vcc, v47, v32
	s_and_saveexec_b64 s[62:63], vcc
	s_cbranch_execz .LBB328_203
; %bb.202:                              ;   in Loop: Header=BB328_188 Depth=1
	v_cmp_eq_u16_e32 vcc, 0, v56
	v_and_b32_e32 v33, 1, v56
	s_waitcnt lgkmcnt(0)
	v_and_b32_sdwa v56, v58, v55 dst_sel:DWORD dst_unused:UNUSED_PAD src0_sel:WORD_1 src1_sel:DWORD
	v_cndmask_b32_e32 v57, 0, v58, vcc
	v_cmp_eq_u32_e32 vcc, 1, v33
	v_add_u16_e32 v59, v57, v28
	v_add_u16_e32 v28, v57, v28
	v_cndmask_b32_e64 v33, v56, 1, vcc
	v_lshlrev_b32_e32 v56, 16, v33
	v_or_b32_e32 v57, v56, v28
	v_mov_b32_e32 v28, v59
	v_mov_b32_e32 v56, v33
.LBB328_203:                            ;   in Loop: Header=BB328_188 Depth=1
	s_or_b64 exec, exec, s[62:63]
	s_waitcnt lgkmcnt(0)
	ds_bpermute_b32 v58, v48, v57
	v_cmp_le_u32_e32 vcc, v49, v32
	s_and_saveexec_b64 s[62:63], vcc
	s_cbranch_execz .LBB328_205
; %bb.204:                              ;   in Loop: Header=BB328_188 Depth=1
	v_cmp_eq_u16_e32 vcc, 0, v56
	v_and_b32_e32 v33, 1, v56
	s_waitcnt lgkmcnt(0)
	v_and_b32_sdwa v56, v58, v55 dst_sel:DWORD dst_unused:UNUSED_PAD src0_sel:WORD_1 src1_sel:DWORD
	v_cndmask_b32_e32 v57, 0, v58, vcc
	v_cmp_eq_u32_e32 vcc, 1, v33
	v_add_u16_e32 v59, v57, v28
	v_add_u16_e32 v28, v57, v28
	v_cndmask_b32_e64 v33, v56, 1, vcc
	v_lshlrev_b32_e32 v56, 16, v33
	v_or_b32_e32 v57, v56, v28
	v_mov_b32_e32 v28, v59
	v_mov_b32_e32 v56, v33
.LBB328_205:                            ;   in Loop: Header=BB328_188 Depth=1
	s_or_b64 exec, exec, s[62:63]
	ds_bpermute_b32 v57, v51, v57
	v_cmp_le_u32_e32 vcc, v52, v32
	s_and_saveexec_b64 s[62:63], vcc
	s_cbranch_execz .LBB328_187
; %bb.206:                              ;   in Loop: Header=BB328_188 Depth=1
	v_cmp_eq_u16_e32 vcc, 0, v56
	s_waitcnt lgkmcnt(0)
	v_lshrrev_b32_e32 v33, 16, v57
	v_cndmask_b32_e32 v32, 0, v57, vcc
	v_add_u16_e32 v28, v32, v28
	v_and_b32_e32 v32, 1, v56
	v_cmp_eq_u32_e32 vcc, 1, v32
	s_nop 1
	v_cndmask_b32_e64 v33, v33, 1, vcc
	s_branch .LBB328_187
.LBB328_207:                            ;   in Loop: Header=BB328_188 Depth=1
                                        ; implicit-def: $vgpr32
                                        ; implicit-def: $vgpr28
	s_cbranch_execz .LBB328_188
; %bb.208:
	s_and_saveexec_b64 s[62:63], s[54:55]
	s_cbranch_execz .LBB328_210
; %bb.209:
	v_and_b32_e32 v25, 0xff0000, v24
	s_mov_b32 s65, 0
	v_cmp_eq_u32_e32 vcc, 0, v25
	v_and_b32_e32 v26, 0x10000, v24
	v_mov_b32_e32 v27, 1
	s_add_i32 s64, s79, 64
	v_cndmask_b32_e32 v25, 0, v53, vcc
	v_and_b32_sdwa v27, v50, v27 dst_sel:WORD_1 dst_unused:UNUSED_PAD src0_sel:DWORD src1_sel:DWORD
	v_mov_b32_e32 v28, 0x10000
	v_cmp_eq_u32_e32 vcc, 0, v26
	s_lshl_b64 s[64:65], s[64:65], 3
	s_add_u32 s64, s76, s64
	v_cndmask_b32_e32 v26, v28, v27, vcc
	v_add_u16_e32 v24, v25, v24
	s_addc_u32 s65, s77, s65
	v_mov_b32_e32 v27, 0
	v_or_b32_e32 v24, v26, v24
	v_mov_b32_e32 v25, 2
	global_store_dwordx2 v27, v[24:25], s[64:65] sc1
.LBB328_210:
	s_or_b64 exec, exec, s[62:63]
	s_and_b64 exec, exec, s[56:57]
	s_cbranch_execz .LBB328_212
; %bb.211:
	v_mov_b32_e32 v24, 0
	ds_write_b16 v24, v53 offset:12
	ds_write_b8 v24, v50 offset:14
.LBB328_212:
	s_or_b64 exec, exec, s[0:1]
	s_waitcnt lgkmcnt(0)
	v_lshrrev_b32_e32 v24, 16, v40
	v_mov_b32_e32 v26, 0
	s_mov_b32 s0, 0x10000
	v_cndmask_b32_e64 v24, v24, v37, s[54:55]
	v_cndmask_b32_e64 v25, v40, v36, s[54:55]
	s_barrier
	ds_read_b32 v27, v26 offset:12
	v_cmp_gt_u32_e32 vcc, s0, v1
	v_and_b32_e32 v28, 0x10000, v1
	v_and_b32_e32 v24, 1, v24
	v_cndmask_b32_e32 v25, 0, v25, vcc
	v_cmp_ne_u32_e32 vcc, 0, v28
	v_cndmask_b32_e64 v25, v25, 0, s[56:57]
	v_add_u16_e32 v25, v25, v1
	v_cndmask_b32_e64 v24, v24, 1, vcc
	v_cndmask_b32_e64 v24, v24, v35, s[56:57]
	v_cmp_eq_u16_sdwa vcc, v24, v26 src0_sel:BYTE_0 src1_sel:DWORD
	s_waitcnt lgkmcnt(0)
	s_nop 0
	v_cndmask_b32_e32 v24, 0, v27, vcc
	v_add_u16_e32 v50, v25, v24
	v_cndmask_b32_e64 v24, 0, v50, s[6:7]
	v_add_u16_e32 v24, v24, v18
	v_cndmask_b32_e64 v25, 0, v24, s[8:9]
	;; [unrolled: 2-line block ×23, first 2 shown]
	v_add_u16_e32 v49, v49, v23
	s_branch .LBB328_243
.LBB328_213:
                                        ; implicit-def: $vgpr50
                                        ; implicit-def: $vgpr24
                                        ; implicit-def: $vgpr25
                                        ; implicit-def: $vgpr26
                                        ; implicit-def: $vgpr27
                                        ; implicit-def: $vgpr28
                                        ; implicit-def: $vgpr29
                                        ; implicit-def: $vgpr31
                                        ; implicit-def: $vgpr30
                                        ; implicit-def: $vgpr32
                                        ; implicit-def: $vgpr33
                                        ; implicit-def: $vgpr35
                                        ; implicit-def: $vgpr36
                                        ; implicit-def: $vgpr37
                                        ; implicit-def: $vgpr40
                                        ; implicit-def: $vgpr42
                                        ; implicit-def: $vgpr41
                                        ; implicit-def: $vgpr43
                                        ; implicit-def: $vgpr44
                                        ; implicit-def: $vgpr45
                                        ; implicit-def: $vgpr46
                                        ; implicit-def: $vgpr47
                                        ; implicit-def: $vgpr48
                                        ; implicit-def: $vgpr49
	s_cbranch_execz .LBB328_243
; %bb.214:
	s_cmp_lg_u64 s[80:81], 0
	s_cselect_b32 s7, s71, 0
	s_cselect_b32 s6, s70, 0
	s_cmp_lg_u64 s[6:7], 0
	s_cselect_b64 s[0:1], -1, 0
	s_and_b64 s[8:9], s[56:57], s[0:1]
	s_and_saveexec_b64 s[0:1], s[8:9]
	s_cbranch_execz .LBB328_216
; %bb.215:
	v_mov_b32_e32 v24, 0
	global_load_ushort v25, v24, s[6:7]
	global_load_ubyte v26, v24, s[6:7] offset:2
	s_mov_b32 s6, 0x10000
	v_and_b32_e32 v24, 0x10000, v1
	v_mov_b32_e32 v27, 1
	v_cmp_gt_u32_e32 vcc, s6, v1
	v_mov_b32_e32 v28, 0x10000
	s_waitcnt vmcnt(0)
	v_and_b32_sdwa v26, v26, v27 dst_sel:WORD_1 dst_unused:UNUSED_PAD src0_sel:DWORD src1_sel:DWORD
	v_cndmask_b32_e32 v25, 0, v25, vcc
	v_cmp_eq_u32_e32 vcc, 0, v24
	v_add_u16_e32 v1, v25, v1
	s_nop 0
	v_cndmask_b32_e32 v24, v28, v26, vcc
	v_or_b32_e32 v1, v24, v1
.LBB328_216:
	s_or_b64 exec, exec, s[0:1]
	s_mov_b32 s50, 0x10000
	v_cmp_gt_u32_e32 vcc, s50, v18
	v_cmp_gt_u32_e64 s[6:7], s50, v19
	v_cmp_gt_u32_e64 s[8:9], s50, v20
	v_cndmask_b32_e32 v24, 0, v1, vcc
	v_add_u16_e32 v24, v24, v18
	v_cndmask_b32_e64 v25, 0, v24, s[6:7]
	v_add_u16_e32 v25, v25, v19
	v_bfe_u32 v28, v19, 16, 1
	v_mov_b32_e32 v53, 1
	v_cndmask_b32_e64 v26, 0, v25, s[8:9]
	v_lshlrev_b16_e32 v28, 1, v28
	v_and_b32_sdwa v29, v18, v53 dst_sel:DWORD dst_unused:UNUSED_PAD src0_sel:WORD_1 src1_sel:DWORD
	v_add_u16_e32 v26, v26, v20
	v_cmp_gt_u32_e64 s[10:11], s50, v21
	v_or_b32_e32 v28, v29, v28
	v_bfe_u32 v29, v21, 16, 1
	v_and_b32_sdwa v30, v20, v53 dst_sel:DWORD dst_unused:UNUSED_PAD src0_sel:WORD_1 src1_sel:DWORD
	v_cndmask_b32_e64 v27, 0, v26, s[10:11]
	v_lshlrev_b16_e32 v29, 3, v29
	v_lshlrev_b16_e32 v30, 2, v30
	v_add_u16_e32 v27, v27, v21
	v_or_b32_e32 v29, v29, v30
	v_cmp_gt_u32_e64 s[12:13], s50, v38
	v_or_b32_e32 v49, v28, v29
	v_and_b32_e32 v29, 0x10000, v38
	v_cndmask_b32_e64 v28, 0, v27, s[12:13]
	v_add_u16_e32 v28, v28, v38
	v_cmp_gt_u32_e64 s[14:15], s50, v2
	v_cmp_ne_u32_e64 s[0:1], 0, v29
	v_cmp_gt_u32_e64 s[16:17], s50, v3
	v_cndmask_b32_e64 v29, 0, v28, s[14:15]
	v_add_u16_e32 v29, v29, v2
	v_cndmask_b32_e64 v30, 0, v29, s[16:17]
	v_add_u16_e32 v31, v30, v3
	v_cmp_gt_u32_e64 s[18:19], s50, v4
	v_cmp_gt_u32_e64 s[20:21], s50, v5
	;; [unrolled: 1-line block ×3, first 2 shown]
	v_cndmask_b32_e64 v30, 0, v31, s[18:19]
	v_add_u16_e32 v30, v30, v4
	v_cndmask_b32_e64 v32, 0, v30, s[20:21]
	v_add_u16_e32 v32, v32, v5
	;; [unrolled: 2-line block ×3, first 2 shown]
	v_cmp_gt_u32_e64 s[24:25], s50, v7
	v_cmp_gt_u32_e64 s[26:27], s50, v8
	;; [unrolled: 1-line block ×3, first 2 shown]
	v_cndmask_b32_e64 v35, 0, v33, s[24:25]
	v_add_u16_e32 v35, v35, v7
	v_cndmask_b32_e64 v36, 0, v35, s[26:27]
	v_add_u16_e32 v36, v36, v8
	;; [unrolled: 2-line block ×3, first 2 shown]
	v_cmp_gt_u32_e64 s[30:31], s50, v39
	v_and_b32_e32 v41, 0x10000, v39
	v_cmp_gt_u32_e64 s[34:35], s50, v10
	v_cndmask_b32_e64 v40, 0, v37, s[30:31]
	v_add_u16_e32 v40, v40, v39
	v_cmp_ne_u32_e64 s[52:53], 0, v41
	v_cndmask_b32_e64 v41, 0, v40, s[34:35]
	v_add_u16_e32 v42, v41, v10
	v_cmp_gt_u32_e64 s[36:37], s50, v11
	v_cmp_gt_u32_e64 s[38:39], s50, v12
	v_and_b32_e32 v52, 0x10000, v23
	v_cndmask_b32_e64 v41, 0, v42, s[36:37]
	v_add_u16_e32 v41, v41, v11
	v_cndmask_b32_e64 v43, 0, v41, s[38:39]
	v_add_u16_e32 v43, v43, v12
	v_cmp_gt_u32_e64 s[40:41], s50, v13
	v_cmp_ne_u32_e64 s[54:55], 0, v52
	v_or_b32_e32 v52, v16, v8
	v_or_b32_e32 v55, v17, v9
	;; [unrolled: 1-line block ×3, first 2 shown]
	v_cndmask_b32_e64 v44, 0, v43, s[40:41]
	v_or_b32_e32 v56, v14, v6
	v_or_b32_e32 v58, v12, v4
	;; [unrolled: 1-line block ×4, first 2 shown]
	v_bfe_u32 v57, v57, 16, 1
	v_bfe_u32 v55, v55, 16, 1
	v_and_b32_sdwa v52, v52, v53 dst_sel:DWORD dst_unused:UNUSED_PAD src0_sel:WORD_1 src1_sel:DWORD
	v_add_u16_e32 v44, v44, v13
	v_cmp_gt_u32_e64 s[42:43], s50, v14
	v_or_b32_e32 v60, v10, v2
	v_bfe_u32 v61, v61, 16, 1
	v_bfe_u32 v59, v59, 16, 1
	v_and_b32_sdwa v58, v58, v53 dst_sel:DWORD dst_unused:UNUSED_PAD src0_sel:WORD_1 src1_sel:DWORD
	v_lshlrev_b16_e32 v57, 1, v57
	v_and_b32_sdwa v56, v56, v53 dst_sel:DWORD dst_unused:UNUSED_PAD src0_sel:WORD_1 src1_sel:DWORD
	v_lshlrev_b16_e32 v55, 3, v55
	v_lshlrev_b16_e32 v52, 2, v52
	v_cndmask_b32_e64 v45, 0, v44, s[42:43]
	v_lshlrev_b16_e32 v61, 1, v61
	v_and_b32_sdwa v60, v60, v53 dst_sel:DWORD dst_unused:UNUSED_PAD src0_sel:WORD_1 src1_sel:DWORD
	v_lshlrev_b16_e32 v59, 3, v59
	v_lshlrev_b16_e32 v58, 2, v58
	v_or_b32_e32 v56, v56, v57
	v_or_b32_e32 v52, v55, v52
	v_add_u16_e32 v45, v45, v14
	v_cmp_gt_u32_e64 s[44:45], s50, v15
	v_or_b32_e32 v60, v60, v61
	v_or_b32_e32 v58, v59, v58
	;; [unrolled: 1-line block ×3, first 2 shown]
	v_cndmask_b32_e64 v46, 0, v45, s[44:45]
	v_or_b32_e32 v58, v60, v58
	v_lshlrev_b16_e32 v52, 4, v52
	v_add_u16_e32 v46, v46, v15
	v_cmp_gt_u32_e64 s[46:47], s50, v16
	v_or_b32_e32 v52, v58, v52
	v_or_b32_e32 v49, v52, v49
	v_cndmask_b32_e64 v47, 0, v46, s[46:47]
	v_mov_b32_e32 v52, 0
	v_add_u16_e32 v47, v47, v16
	v_cmp_gt_u32_e64 s[48:49], s50, v17
	v_cmp_ne_u16_sdwa s[62:63], v49, v52 src0_sel:BYTE_0 src1_sel:DWORD
	s_or_b64 s[54:55], s[54:55], s[62:63]
	v_cndmask_b32_e64 v48, 0, v47, s[48:49]
	v_add_u16_e32 v48, v48, v17
	v_cmp_gt_u32_e64 s[50:51], s50, v23
	s_or_b64 s[52:53], s[54:55], s[52:53]
	v_lshrrev_b32_e32 v50, 16, v1
	v_cndmask_b32_e64 v54, 0, v48, s[50:51]
	s_or_b64 s[0:1], s[52:53], s[0:1]
	v_cndmask_b32_e64 v52, v50, 1, s[0:1]
	v_mbcnt_hi_u32_b32 v34, -1, v34
	v_add_u16_e32 v49, v54, v23
	v_add_u16_e32 v51, v54, v23
	v_and_b32_e32 v55, 15, v34
	v_lshl_or_b32 v54, v52, 16, v49
	v_cmp_ne_u32_e64 s[0:1], 0, v55
	s_nop 0
	v_mov_b32_dpp v56, v54 row_shr:1 row_mask:0xf bank_mask:0xf
	s_and_saveexec_b64 s[52:53], s[0:1]
; %bb.217:
	v_cmp_eq_u32_e64 s[0:1], 0, v52
	v_and_b32_e32 v52, 1, v52
	v_and_b32_sdwa v53, v56, v53 dst_sel:DWORD dst_unused:UNUSED_PAD src0_sel:WORD_1 src1_sel:DWORD
	v_cndmask_b32_e64 v54, 0, v56, s[0:1]
	v_cmp_eq_u32_e64 s[0:1], 1, v52
	v_add_u16_e32 v57, v51, v54
	v_add_u16_e32 v51, v51, v54
	v_cndmask_b32_e64 v52, v53, 1, s[0:1]
	v_lshlrev_b32_e32 v53, 16, v52
	v_or_b32_e32 v54, v53, v51
	v_mov_b32_e32 v51, v57
; %bb.218:
	s_or_b64 exec, exec, s[52:53]
	v_lshrrev_b32_e32 v53, 16, v54
	v_mov_b32_dpp v56, v54 row_shr:2 row_mask:0xf bank_mask:0xf
	v_cmp_lt_u32_e64 s[0:1], 1, v55
	s_and_saveexec_b64 s[52:53], s[0:1]
	s_cbranch_execz .LBB328_220
; %bb.219:
	s_mov_b32 s0, 0x10000
	v_cmp_gt_u32_e64 s[0:1], s0, v54
	v_and_b32_e32 v52, 0x10000, v54
	v_mov_b32_e32 v54, 1
	v_cndmask_b32_e64 v53, 0, v56, s[0:1]
	v_and_b32_sdwa v54, v56, v54 dst_sel:DWORD dst_unused:UNUSED_PAD src0_sel:WORD_1 src1_sel:DWORD
	v_cmp_ne_u32_e64 s[0:1], 0, v52
	v_add_u16_e32 v57, v53, v51
	v_add_u16_e32 v51, v53, v51
	v_cndmask_b32_e64 v52, v54, 1, s[0:1]
	v_lshlrev_b32_e32 v54, 16, v52
	v_or_b32_e32 v54, v54, v51
	v_mov_b32_e32 v53, v52
	v_mov_b32_e32 v51, v57
.LBB328_220:
	s_or_b64 exec, exec, s[52:53]
	v_mov_b32_dpp v56, v54 row_shr:4 row_mask:0xf bank_mask:0xf
	v_cmp_lt_u32_e64 s[0:1], 3, v55
	s_and_saveexec_b64 s[52:53], s[0:1]
	s_cbranch_execz .LBB328_222
; %bb.221:
	v_mov_b32_e32 v52, 0
	v_cmp_eq_u16_sdwa s[0:1], v53, v52 src0_sel:BYTE_0 src1_sel:DWORD
	v_and_b32_e32 v52, 1, v53
	v_mov_b32_e32 v53, 1
	v_cndmask_b32_e64 v54, 0, v56, s[0:1]
	v_and_b32_sdwa v53, v56, v53 dst_sel:DWORD dst_unused:UNUSED_PAD src0_sel:WORD_1 src1_sel:DWORD
	v_cmp_eq_u32_e64 s[0:1], 1, v52
	v_add_u16_e32 v57, v54, v51
	v_add_u16_e32 v51, v54, v51
	v_cndmask_b32_e64 v52, v53, 1, s[0:1]
	v_lshlrev_b32_e32 v53, 16, v52
	v_or_b32_e32 v54, v53, v51
	v_mov_b32_e32 v53, v52
	v_mov_b32_e32 v51, v57
.LBB328_222:
	s_or_b64 exec, exec, s[52:53]
	v_mov_b32_dpp v56, v54 row_shr:8 row_mask:0xf bank_mask:0xf
	v_cmp_lt_u32_e64 s[0:1], 7, v55
	s_and_saveexec_b64 s[52:53], s[0:1]
	s_cbranch_execz .LBB328_224
; %bb.223:
	v_mov_b32_e32 v52, 0
	v_cmp_eq_u16_sdwa s[0:1], v53, v52 src0_sel:BYTE_0 src1_sel:DWORD
	v_and_b32_e32 v52, 1, v53
	v_mov_b32_e32 v53, 1
	v_cndmask_b32_e64 v54, 0, v56, s[0:1]
	v_and_b32_sdwa v53, v56, v53 dst_sel:DWORD dst_unused:UNUSED_PAD src0_sel:WORD_1 src1_sel:DWORD
	v_cmp_eq_u32_e64 s[0:1], 1, v52
	v_add_u16_e32 v55, v54, v51
	v_add_u16_e32 v51, v54, v51
	v_cndmask_b32_e64 v52, v53, 1, s[0:1]
	v_lshlrev_b32_e32 v53, 16, v52
	v_or_b32_e32 v54, v53, v51
	v_mov_b32_e32 v53, v52
	v_mov_b32_e32 v51, v55
.LBB328_224:
	s_or_b64 exec, exec, s[52:53]
	v_and_b32_e32 v56, 16, v34
	v_mov_b32_dpp v55, v54 row_bcast:15 row_mask:0xf bank_mask:0xf
	v_cmp_ne_u32_e64 s[0:1], 0, v56
	s_and_saveexec_b64 s[52:53], s[0:1]
	s_cbranch_execz .LBB328_226
; %bb.225:
	v_mov_b32_e32 v52, 0
	v_cmp_eq_u16_sdwa s[0:1], v53, v52 src0_sel:BYTE_0 src1_sel:DWORD
	v_and_b32_e32 v52, 1, v53
	v_mov_b32_e32 v53, 1
	v_cndmask_b32_e64 v54, 0, v55, s[0:1]
	v_and_b32_sdwa v53, v55, v53 dst_sel:DWORD dst_unused:UNUSED_PAD src0_sel:WORD_1 src1_sel:DWORD
	v_cmp_eq_u32_e64 s[0:1], 1, v52
	v_add_u16_e32 v56, v54, v51
	v_add_u16_e32 v51, v54, v51
	v_cndmask_b32_e64 v52, v53, 1, s[0:1]
	v_lshlrev_b32_e32 v53, 16, v52
	v_or_b32_e32 v54, v53, v51
	v_mov_b32_e32 v51, v56
	v_mov_b32_e32 v53, v52
.LBB328_226:
	s_or_b64 exec, exec, s[52:53]
	v_mov_b32_dpp v54, v54 row_bcast:31 row_mask:0xf bank_mask:0xf
	v_cmp_lt_u32_e64 s[0:1], 31, v34
	s_and_saveexec_b64 s[52:53], s[0:1]
; %bb.227:
	v_mov_b32_e32 v52, 0
	v_cmp_eq_u16_sdwa s[0:1], v53, v52 src0_sel:BYTE_0 src1_sel:DWORD
	s_nop 1
	v_cndmask_b32_e64 v52, 0, v54, s[0:1]
	v_add_u16_e32 v51, v52, v51
	v_and_b32_e32 v52, 1, v53
	v_mov_b32_e32 v53, 1
	v_and_b32_sdwa v53, v54, v53 dst_sel:DWORD dst_unused:UNUSED_PAD src0_sel:WORD_1 src1_sel:DWORD
	v_cmp_eq_u32_e64 s[0:1], 1, v52
	s_nop 1
	v_cndmask_b32_e64 v52, v53, 1, s[0:1]
; %bb.228:
	s_or_b64 exec, exec, s[52:53]
	v_or_b32_e32 v54, 63, v0
	v_lshrrev_b32_e32 v53, 6, v0
	v_cmp_eq_u32_e64 s[0:1], v54, v0
	s_and_saveexec_b64 s[52:53], s[0:1]
	s_cbranch_execz .LBB328_230
; %bb.229:
	v_lshlrev_b32_e32 v54, 2, v53
	ds_write_b16 v54, v51
	ds_write_b8 v54, v52 offset:2
.LBB328_230:
	s_or_b64 exec, exec, s[52:53]
	v_cmp_gt_u32_e64 s[0:1], 4, v0
	s_waitcnt lgkmcnt(0)
	s_barrier
	s_and_saveexec_b64 s[52:53], s[0:1]
	s_cbranch_execz .LBB328_236
; %bb.231:
	v_lshlrev_b32_e32 v54, 2, v0
	ds_read_b32 v55, v54
	v_and_b32_e32 v58, 3, v34
	v_cmp_ne_u32_e64 s[0:1], 0, v58
	s_waitcnt lgkmcnt(0)
	v_lshrrev_b32_e32 v57, 16, v55
	v_mov_b32_dpp v59, v55 row_shr:1 row_mask:0xf bank_mask:0xf
	v_mov_b32_e32 v56, v55
	s_and_saveexec_b64 s[54:55], s[0:1]
	s_cbranch_execz .LBB328_233
; %bb.232:
	v_mov_b32_e32 v56, 0
	v_cmp_eq_u16_sdwa s[0:1], v57, v56 src0_sel:BYTE_0 src1_sel:DWORD
	v_and_b32_e32 v57, 0x10000, v55
	v_mov_b32_e32 v62, 1
	v_cndmask_b32_e64 v61, 0, v59, s[0:1]
	v_and_b32_sdwa v59, v59, v62 dst_sel:DWORD dst_unused:UNUSED_PAD src0_sel:WORD_1 src1_sel:DWORD
	v_cmp_ne_u32_e64 s[0:1], 0, v57
	v_and_b32_e32 v60, 0xff000000, v55
	v_add_u16_e32 v56, v61, v55
	v_cndmask_b32_e64 v57, v59, 1, s[0:1]
	v_lshlrev_b32_e32 v59, 16, v57
	v_add_u16_e32 v55, v61, v55
	v_or3_b32 v55, v59, v60, v55
.LBB328_233:
	s_or_b64 exec, exec, s[54:55]
	s_nop 0
	v_mov_b32_dpp v59, v55 row_shr:2 row_mask:0xf bank_mask:0xf
	v_cmp_lt_u32_e64 s[0:1], 1, v58
	s_and_saveexec_b64 s[54:55], s[0:1]
; %bb.234:
	v_and_b32_e32 v57, 0xff0000, v55
	v_cmp_eq_u32_e64 s[0:1], 0, v57
	v_and_b32_e32 v55, 0x10000, v55
	s_nop 0
	v_cndmask_b32_e64 v57, 0, v59, s[0:1]
	v_add_u16_e32 v56, v57, v56
	v_mov_b32_e32 v57, 1
	v_and_b32_sdwa v57, v59, v57 dst_sel:DWORD dst_unused:UNUSED_PAD src0_sel:WORD_1 src1_sel:DWORD
	v_cmp_eq_u32_e64 s[0:1], 0, v55
	s_nop 1
	v_cndmask_b32_e64 v57, 1, v57, s[0:1]
; %bb.235:
	s_or_b64 exec, exec, s[54:55]
	ds_write_b16 v54, v56
	ds_write_b8 v54, v57 offset:2
.LBB328_236:
	s_or_b64 exec, exec, s[52:53]
	v_cmp_lt_u32_e64 s[0:1], 63, v0
	v_mov_b32_e32 v54, 0
	s_waitcnt lgkmcnt(0)
	s_barrier
	s_and_saveexec_b64 s[52:53], s[0:1]
	s_cbranch_execz .LBB328_238
; %bb.237:
	v_lshl_add_u32 v53, v53, 2, -4
	ds_read_u16 v54, v53
	ds_read_u8 v53, v53 offset:2
	v_mov_b32_e32 v55, 0
	v_and_b32_e32 v56, 1, v52
	v_cmp_eq_u16_sdwa s[0:1], v52, v55 src0_sel:BYTE_0 src1_sel:DWORD
	s_waitcnt lgkmcnt(1)
	s_nop 0
	v_cndmask_b32_e64 v52, 0, v54, s[0:1]
	v_cmp_eq_u32_e64 s[0:1], 1, v56
	v_add_u16_e32 v51, v52, v51
	s_waitcnt lgkmcnt(0)
	v_cndmask_b32_e64 v52, v53, 1, s[0:1]
.LBB328_238:
	s_or_b64 exec, exec, s[52:53]
	v_and_b32_e32 v52, 0xff, v52
	v_and_b32_e32 v51, 0xffff, v51
	v_lshl_or_b32 v51, v52, 16, v51
	v_add_u32_e32 v52, -1, v34
	v_and_b32_e32 v53, 64, v34
	v_cmp_lt_i32_e64 s[0:1], v52, v53
	s_nop 1
	v_cndmask_b32_e64 v52, v52, v34, s[0:1]
	v_lshlrev_b32_e32 v52, 2, v52
	ds_bpermute_b32 v51, v52, v51
	s_and_saveexec_b64 s[52:53], s[4:5]
	s_cbranch_execz .LBB328_240
; %bb.239:
	v_cmp_eq_u32_e64 s[0:1], 0, v34
	v_and_b32_e32 v25, 0xff0000, v1
	v_mov_b32_e32 v50, 0
	s_waitcnt lgkmcnt(0)
	v_cndmask_b32_e64 v24, v51, v54, s[0:1]
	v_and_b32_e32 v24, 0xffff, v24
	v_cmp_eq_u32_e64 s[0:1], 0, v25
	;;#ASMSTART
	;;#ASMEND
	s_nop 1
	v_cndmask_b32_e64 v24, 0, v24, s[0:1]
	v_add_u32_e32 v1, v24, v1
	v_cndmask_b32_e32 v24, 0, v1, vcc
	v_add_u16_e32 v24, v24, v18
	v_cndmask_b32_e64 v18, 0, v24, s[6:7]
	v_add_u16_e32 v25, v18, v19
	v_cndmask_b32_e64 v18, 0, v25, s[8:9]
	;; [unrolled: 2-line block ×22, first 2 shown]
	v_add_u16_e32 v49, v2, v23
.LBB328_240:
	s_or_b64 exec, exec, s[52:53]
	s_and_saveexec_b64 s[0:1], s[56:57]
	s_cbranch_execz .LBB328_242
; %bb.241:
	v_mov_b32_e32 v4, 0
	ds_read_u8 v2, v4 offset:14
	ds_read_u16 v3, v4 offset:12
	s_waitcnt lgkmcnt(1)
	v_lshlrev_b32_e32 v2, 16, v2
	s_waitcnt lgkmcnt(0)
	v_or_b32_e32 v2, v2, v3
	v_mov_b32_e32 v3, 2
	global_store_dwordx2 v4, v[2:3], s[76:77] offset:512 sc1
.LBB328_242:
	s_or_b64 exec, exec, s[0:1]
	v_lshl_or_b32 v50, v50, 16, v1
.LBB328_243:
	s_add_u32 s0, s66, s58
	s_addc_u32 s1, s67, s59
	s_add_u32 s0, s0, s60
	s_addc_u32 s1, s1, s61
	s_and_b64 vcc, exec, s[2:3]
	v_mul_u32_u24_e32 v4, 24, v0
	s_cbranch_vccz .LBB328_295
; %bb.244:
	s_add_i32 s33, s33, s78
	v_cmp_le_u32_e32 vcc, s33, v4
                                        ; implicit-def: $vgpr1
                                        ; implicit-def: $vgpr2
                                        ; implicit-def: $vgpr3
                                        ; implicit-def: $vgpr5
                                        ; implicit-def: $vgpr6
                                        ; implicit-def: $vgpr7
                                        ; implicit-def: $vgpr8
	s_and_saveexec_b64 s[2:3], vcc
	s_xor_b64 s[2:3], exec, s[2:3]
; %bb.245:
	v_or_b32_e32 v1, 1, v4
	v_or_b32_e32 v2, 2, v4
	;; [unrolled: 1-line block ×7, first 2 shown]
; %bb.246:
	s_andn2_saveexec_b64 s[2:3], s[2:3]
; %bb.247:
	v_or_b32_e32 v1, 1, v4
	v_or_b32_e32 v2, 2, v4
	;; [unrolled: 1-line block ×7, first 2 shown]
; %bb.248:
	s_or_b64 exec, exec, s[2:3]
	v_lshlrev_b32_e32 v39, 1, v4
	v_lshlrev_b32_e32 v1, 1, v1
	s_waitcnt lgkmcnt(0)
	s_barrier
	ds_write_b16 v39, v50
	ds_write_b16 v1, v24
	v_lshlrev_b32_e32 v1, 1, v2
	ds_write_b16 v1, v25
	v_lshlrev_b32_e32 v1, 1, v3
	;; [unrolled: 2-line block ×5, first 2 shown]
	s_mov_b32 s2, 0x5040100
	ds_write_b16 v1, v29
	v_lshlrev_b32_e32 v1, 1, v8
	v_perm_b32 v9, v42, v40, s2
	v_perm_b32 v8, v37, v36, s2
	v_perm_b32 v7, v35, v33, s2
	v_perm_b32 v6, v32, v30, s2
	ds_write_b16 v1, v31
	ds_write_b128 v39, v[6:9] offset:16
	v_perm_b32 v9, v49, v48, s2
	v_perm_b32 v8, v47, v46, s2
	;; [unrolled: 1-line block ×4, first 2 shown]
	s_movk_i32 s2, 0xffd2
	v_mad_i32_i24 v2, v0, s2, v39
	ds_write_b128 v39, v[6:9] offset:32
	s_waitcnt lgkmcnt(0)
	s_barrier
	ds_read_u16 v53, v2 offset:512
	ds_read_u16 v52, v2 offset:1024
	;; [unrolled: 1-line block ×23, first 2 shown]
	v_mov_b32_e32 v23, 0
	v_lshl_add_u64 v[2:3], s[0:1], 0, v[22:23]
	v_cmp_gt_u32_e32 vcc, s33, v0
	s_and_saveexec_b64 s[2:3], vcc
	s_cbranch_execz .LBB328_250
; %bb.249:
	v_mul_i32_i24_e32 v54, 0xffffffd2, v0
	v_add_u32_e32 v39, v39, v54
	ds_read_u16 v39, v39
	s_waitcnt lgkmcnt(0)
	flat_store_short v[2:3], v39
.LBB328_250:
	s_or_b64 exec, exec, s[2:3]
	v_or_b32_e32 v39, 0x100, v0
	v_cmp_gt_u32_e32 vcc, s33, v39
	s_and_saveexec_b64 s[2:3], vcc
	s_cbranch_execz .LBB328_252
; %bb.251:
	s_waitcnt lgkmcnt(0)
	flat_store_short v[2:3], v53 offset:512
.LBB328_252:
	s_or_b64 exec, exec, s[2:3]
	v_or_b32_e32 v39, 0x200, v0
	v_cmp_gt_u32_e32 vcc, s33, v39
	s_and_saveexec_b64 s[2:3], vcc
	s_cbranch_execz .LBB328_254
; %bb.253:
	s_waitcnt lgkmcnt(0)
	flat_store_short v[2:3], v52 offset:1024
.LBB328_254:
	;; [unrolled: 9-line block ×4, first 2 shown]
	s_or_b64 exec, exec, s[2:3]
	s_waitcnt lgkmcnt(0)
	v_or_b32_e32 v38, 0x500, v0
	v_cmp_gt_u32_e32 vcc, s33, v38
	s_and_saveexec_b64 s[2:3], vcc
	s_cbranch_execz .LBB328_260
; %bb.259:
	flat_store_short v[2:3], v34 offset:2560
.LBB328_260:
	s_or_b64 exec, exec, s[2:3]
	v_or_b32_e32 v34, 0x600, v0
	v_cmp_gt_u32_e32 vcc, s33, v34
	s_and_saveexec_b64 s[2:3], vcc
	s_cbranch_execz .LBB328_262
; %bb.261:
	flat_store_short v[2:3], v21 offset:3072
.LBB328_262:
	s_or_b64 exec, exec, s[2:3]
	;; [unrolled: 8-line block ×3, first 2 shown]
	v_or_b32_e32 v20, 0x800, v0
	v_cmp_gt_u32_e32 vcc, s33, v20
	s_and_saveexec_b64 s[2:3], vcc
	s_cbranch_execz .LBB328_266
; %bb.265:
	v_add_co_u32_e32 v20, vcc, 0x1000, v2
	s_nop 1
	v_addc_co_u32_e32 v21, vcc, 0, v3, vcc
	flat_store_short v[20:21], v19
.LBB328_266:
	s_or_b64 exec, exec, s[2:3]
	v_or_b32_e32 v19, 0x900, v0
	v_cmp_gt_u32_e32 vcc, s33, v19
	s_and_saveexec_b64 s[2:3], vcc
	s_cbranch_execz .LBB328_268
; %bb.267:
	v_add_co_u32_e32 v20, vcc, 0x1000, v2
	s_nop 1
	v_addc_co_u32_e32 v21, vcc, 0, v3, vcc
	flat_store_short v[20:21], v18 offset:512
.LBB328_268:
	s_or_b64 exec, exec, s[2:3]
	v_or_b32_e32 v18, 0xa00, v0
	v_cmp_gt_u32_e32 vcc, s33, v18
	s_and_saveexec_b64 s[2:3], vcc
	s_cbranch_execz .LBB328_270
; %bb.269:
	v_add_co_u32_e32 v18, vcc, 0x1000, v2
	s_nop 1
	v_addc_co_u32_e32 v19, vcc, 0, v3, vcc
	flat_store_short v[18:19], v17 offset:1024
.LBB328_270:
	;; [unrolled: 11-line block ×7, first 2 shown]
	s_or_b64 exec, exec, s[2:3]
	v_or_b32_e32 v12, 0x1000, v0
	v_cmp_gt_u32_e32 vcc, s33, v12
	s_and_saveexec_b64 s[2:3], vcc
	s_cbranch_execz .LBB328_282
; %bb.281:
	v_add_co_u32_e32 v12, vcc, 0x2000, v2
	s_nop 1
	v_addc_co_u32_e32 v13, vcc, 0, v3, vcc
	flat_store_short v[12:13], v11
.LBB328_282:
	s_or_b64 exec, exec, s[2:3]
	v_or_b32_e32 v11, 0x1100, v0
	v_cmp_gt_u32_e32 vcc, s33, v11
	s_and_saveexec_b64 s[2:3], vcc
	s_cbranch_execz .LBB328_284
; %bb.283:
	v_add_co_u32_e32 v12, vcc, 0x2000, v2
	s_nop 1
	v_addc_co_u32_e32 v13, vcc, 0, v3, vcc
	flat_store_short v[12:13], v10 offset:512
.LBB328_284:
	s_or_b64 exec, exec, s[2:3]
	v_or_b32_e32 v10, 0x1200, v0
	v_cmp_gt_u32_e32 vcc, s33, v10
	s_and_saveexec_b64 s[2:3], vcc
	s_cbranch_execz .LBB328_286
; %bb.285:
	v_add_co_u32_e32 v10, vcc, 0x2000, v2
	s_nop 1
	v_addc_co_u32_e32 v11, vcc, 0, v3, vcc
	flat_store_short v[10:11], v9 offset:1024
.LBB328_286:
	;; [unrolled: 11-line block ×6, first 2 shown]
	s_or_b64 exec, exec, s[2:3]
	v_or_b32_e32 v2, 0x1700, v0
	v_mov_b32_e32 v1, v23
	v_cmp_gt_u32_e64 s[2:3], s33, v2
	s_branch .LBB328_297
.LBB328_295:
	s_mov_b64 s[2:3], 0
                                        ; implicit-def: $vgpr5
	s_cbranch_execz .LBB328_297
; %bb.296:
	s_mov_b32 s4, 0x5040100
	v_lshlrev_b32_e32 v6, 1, v4
	v_perm_b32 v5, v31, v29, s4
	v_perm_b32 v4, v28, v27, s4
	;; [unrolled: 1-line block ×4, first 2 shown]
	s_waitcnt lgkmcnt(0)
	s_barrier
	ds_write_b128 v6, v[2:5]
	v_perm_b32 v5, v42, v40, s4
	v_perm_b32 v4, v37, v36, s4
	;; [unrolled: 1-line block ×4, first 2 shown]
	ds_write_b128 v6, v[2:5] offset:16
	v_perm_b32 v4, v47, v46, s4
	v_perm_b32 v3, v45, v44, s4
	;; [unrolled: 1-line block ×4, first 2 shown]
	v_mov_b32_e32 v1, 0
	s_movk_i32 s4, 0xffd2
	ds_write_b128 v6, v[2:5] offset:32
	v_mad_i32_i24 v2, v0, s4, v6
	v_mov_b32_e32 v23, v1
	s_waitcnt lgkmcnt(0)
	s_barrier
	ds_read_u16 v4, v2
	ds_read_u16 v6, v2 offset:512
	ds_read_u16 v7, v2 offset:1024
	;; [unrolled: 1-line block ×23, first 2 shown]
	v_lshl_add_u64 v[2:3], s[0:1], 0, v[22:23]
	s_movk_i32 s4, 0x1000
	s_waitcnt lgkmcnt(0)
	flat_store_short v[2:3], v4
	flat_store_short v[2:3], v6 offset:512
	flat_store_short v[2:3], v7 offset:1024
	;; [unrolled: 1-line block ×7, first 2 shown]
	v_add_co_u32_e32 v6, vcc, s4, v2
	s_or_b64 s[2:3], s[2:3], exec
	s_nop 0
	v_addc_co_u32_e32 v7, vcc, 0, v3, vcc
	v_add_co_u32_e32 v2, vcc, 0x2000, v2
	flat_store_short v[6:7], v13
	flat_store_short v[6:7], v14 offset:512
	flat_store_short v[6:7], v15 offset:1024
	;; [unrolled: 1-line block ×7, first 2 shown]
	v_addc_co_u32_e32 v3, vcc, 0, v3, vcc
	flat_store_short v[2:3], v21
	flat_store_short v[2:3], v24 offset:512
	flat_store_short v[2:3], v25 offset:1024
	;; [unrolled: 1-line block ×6, first 2 shown]
.LBB328_297:
	s_and_saveexec_b64 s[4:5], s[2:3]
	s_cbranch_execnz .LBB328_299
; %bb.298:
	s_endpgm
.LBB328_299:
	v_lshl_add_u64 v[0:1], v[0:1], 1, s[0:1]
	v_add_co_u32_e32 v0, vcc, 0x2000, v0
	s_nop 1
	v_addc_co_u32_e32 v1, vcc, 0, v1, vcc
	flat_store_short v[0:1], v5 offset:3584
	s_endpgm
.LBB328_300:
	v_lshl_add_u64 v[20:21], s[62:63], 0, v[2:3]
	flat_load_ushort v19, v[20:21]
	s_or_b64 exec, exec, s[0:1]
                                        ; implicit-def: $vgpr20
	s_and_saveexec_b64 s[0:1], s[8:9]
	s_cbranch_execz .LBB328_61
.LBB328_301:
	v_mov_b32_e32 v3, 0
	v_lshl_add_u64 v[20:21], s[62:63], 0, v[2:3]
	flat_load_ushort v20, v[20:21] offset:512
	s_or_b64 exec, exec, s[0:1]
                                        ; implicit-def: $vgpr21
	s_and_saveexec_b64 s[0:1], s[10:11]
	s_cbranch_execz .LBB328_62
.LBB328_302:
	v_mov_b32_e32 v3, 0
	v_lshl_add_u64 v[36:37], s[62:63], 0, v[2:3]
	flat_load_ushort v21, v[36:37] offset:1024
	s_or_b64 exec, exec, s[0:1]
                                        ; implicit-def: $vgpr35
	s_and_saveexec_b64 s[0:1], s[12:13]
	s_cbranch_execz .LBB328_63
.LBB328_303:
	v_mov_b32_e32 v3, 0
	v_lshl_add_u64 v[36:37], s[62:63], 0, v[2:3]
	flat_load_ushort v35, v[36:37] offset:1536
	s_or_b64 exec, exec, s[0:1]
                                        ; implicit-def: $vgpr36
	s_and_saveexec_b64 s[0:1], s[14:15]
	s_cbranch_execz .LBB328_64
.LBB328_304:
	v_mov_b32_e32 v3, 0
	v_lshl_add_u64 v[36:37], s[62:63], 0, v[2:3]
	flat_load_ushort v36, v[36:37] offset:2048
	s_or_b64 exec, exec, s[0:1]
                                        ; implicit-def: $vgpr37
	s_and_saveexec_b64 s[0:1], s[16:17]
	s_cbranch_execz .LBB328_65
.LBB328_305:
	v_mov_b32_e32 v3, 0
	v_lshl_add_u64 v[38:39], s[62:63], 0, v[2:3]
	flat_load_ushort v37, v[38:39] offset:2560
	s_or_b64 exec, exec, s[0:1]
                                        ; implicit-def: $vgpr38
	s_and_saveexec_b64 s[0:1], s[18:19]
	s_cbranch_execz .LBB328_66
.LBB328_306:
	v_mov_b32_e32 v3, 0
	v_lshl_add_u64 v[38:39], s[62:63], 0, v[2:3]
	flat_load_ushort v38, v[38:39] offset:3072
	s_or_b64 exec, exec, s[0:1]
                                        ; implicit-def: $vgpr3
	s_and_saveexec_b64 s[0:1], s[20:21]
	s_cbranch_execz .LBB328_67
.LBB328_307:
	v_mov_b32_e32 v3, 0
	v_lshl_add_u64 v[42:43], s[62:63], 0, v[2:3]
	flat_load_ushort v3, v[42:43] offset:3584
	s_or_b64 exec, exec, s[0:1]
                                        ; implicit-def: $vgpr39
	s_and_saveexec_b64 s[0:1], s[22:23]
	s_cbranch_execz .LBB328_68
.LBB328_308:
	v_lshlrev_b32_e32 v42, 1, v1
	v_mov_b32_e32 v43, 0
	v_lshl_add_u64 v[42:43], s[62:63], 0, v[42:43]
	flat_load_ushort v39, v[42:43]
	s_or_b64 exec, exec, s[0:1]
                                        ; implicit-def: $vgpr1
	s_and_saveexec_b64 s[0:1], s[24:25]
	s_cbranch_execz .LBB328_69
.LBB328_309:
	v_lshlrev_b32_e32 v42, 1, v4
	v_mov_b32_e32 v43, 0
	v_lshl_add_u64 v[42:43], s[62:63], 0, v[42:43]
	flat_load_ushort v1, v[42:43]
	s_or_b64 exec, exec, s[0:1]
                                        ; implicit-def: $vgpr4
	s_and_saveexec_b64 s[0:1], s[26:27]
	s_cbranch_execz .LBB328_70
.LBB328_310:
	v_lshlrev_b32_e32 v4, 1, v5
	v_mov_b32_e32 v5, 0
	v_lshl_add_u64 v[4:5], s[62:63], 0, v[4:5]
	flat_load_ushort v4, v[4:5]
	s_or_b64 exec, exec, s[0:1]
                                        ; implicit-def: $vgpr5
	s_and_saveexec_b64 s[0:1], s[28:29]
	s_cbranch_execz .LBB328_71
.LBB328_311:
	v_lshlrev_b32_e32 v42, 1, v6
	v_mov_b32_e32 v43, 0
	v_lshl_add_u64 v[42:43], s[62:63], 0, v[42:43]
	flat_load_ushort v5, v[42:43]
	s_or_b64 exec, exec, s[0:1]
                                        ; implicit-def: $vgpr6
	s_and_saveexec_b64 s[0:1], s[30:31]
	s_cbranch_execz .LBB328_72
.LBB328_312:
	v_lshlrev_b32_e32 v6, 1, v7
	v_mov_b32_e32 v7, 0
	v_lshl_add_u64 v[6:7], s[62:63], 0, v[6:7]
	flat_load_ushort v6, v[6:7]
	s_or_b64 exec, exec, s[0:1]
                                        ; implicit-def: $vgpr7
	s_and_saveexec_b64 s[0:1], s[34:35]
	s_cbranch_execz .LBB328_73
.LBB328_313:
	v_lshlrev_b32_e32 v42, 1, v8
	v_mov_b32_e32 v43, 0
	v_lshl_add_u64 v[42:43], s[62:63], 0, v[42:43]
	flat_load_ushort v7, v[42:43]
	s_or_b64 exec, exec, s[0:1]
                                        ; implicit-def: $vgpr8
	s_and_saveexec_b64 s[0:1], s[36:37]
	s_cbranch_execz .LBB328_74
.LBB328_314:
	v_lshlrev_b32_e32 v8, 1, v9
	v_mov_b32_e32 v9, 0
	v_lshl_add_u64 v[8:9], s[62:63], 0, v[8:9]
	flat_load_ushort v8, v[8:9]
	s_or_b64 exec, exec, s[0:1]
                                        ; implicit-def: $vgpr9
	s_and_saveexec_b64 s[0:1], s[38:39]
	s_cbranch_execz .LBB328_75
.LBB328_315:
	v_lshlrev_b32_e32 v42, 1, v10
	v_mov_b32_e32 v43, 0
	v_lshl_add_u64 v[42:43], s[62:63], 0, v[42:43]
	flat_load_ushort v9, v[42:43]
	s_or_b64 exec, exec, s[0:1]
                                        ; implicit-def: $vgpr10
	s_and_saveexec_b64 s[0:1], s[40:41]
	s_cbranch_execz .LBB328_76
.LBB328_316:
	v_lshlrev_b32_e32 v10, 1, v11
	v_mov_b32_e32 v11, 0
	v_lshl_add_u64 v[10:11], s[62:63], 0, v[10:11]
	flat_load_ushort v10, v[10:11]
	s_or_b64 exec, exec, s[0:1]
                                        ; implicit-def: $vgpr11
	s_and_saveexec_b64 s[0:1], s[42:43]
	s_cbranch_execz .LBB328_77
.LBB328_317:
	v_lshlrev_b32_e32 v42, 1, v12
	v_mov_b32_e32 v43, 0
	v_lshl_add_u64 v[42:43], s[62:63], 0, v[42:43]
	flat_load_ushort v11, v[42:43]
	s_or_b64 exec, exec, s[0:1]
                                        ; implicit-def: $vgpr12
	s_and_saveexec_b64 s[0:1], s[44:45]
	s_cbranch_execz .LBB328_78
.LBB328_318:
	v_lshlrev_b32_e32 v12, 1, v13
	v_mov_b32_e32 v13, 0
	v_lshl_add_u64 v[12:13], s[62:63], 0, v[12:13]
	flat_load_ushort v12, v[12:13]
	s_or_b64 exec, exec, s[0:1]
                                        ; implicit-def: $vgpr13
	s_and_saveexec_b64 s[0:1], s[46:47]
	s_cbranch_execz .LBB328_79
.LBB328_319:
	v_lshlrev_b32_e32 v42, 1, v14
	v_mov_b32_e32 v43, 0
	v_lshl_add_u64 v[42:43], s[62:63], 0, v[42:43]
	flat_load_ushort v13, v[42:43]
	s_or_b64 exec, exec, s[0:1]
                                        ; implicit-def: $vgpr14
	s_and_saveexec_b64 s[0:1], s[48:49]
	s_cbranch_execz .LBB328_80
.LBB328_320:
	v_lshlrev_b32_e32 v14, 1, v15
	v_mov_b32_e32 v15, 0
	v_lshl_add_u64 v[14:15], s[62:63], 0, v[14:15]
	flat_load_ushort v14, v[14:15]
	s_or_b64 exec, exec, s[0:1]
                                        ; implicit-def: $vgpr15
	s_and_saveexec_b64 s[0:1], s[50:51]
	s_cbranch_execz .LBB328_81
.LBB328_321:
	v_lshlrev_b32_e32 v42, 1, v16
	v_mov_b32_e32 v43, 0
	v_lshl_add_u64 v[42:43], s[62:63], 0, v[42:43]
	flat_load_ushort v15, v[42:43]
	s_or_b64 exec, exec, s[0:1]
                                        ; implicit-def: $vgpr16
	s_and_saveexec_b64 s[0:1], s[52:53]
	s_cbranch_execz .LBB328_82
.LBB328_322:
	v_lshlrev_b32_e32 v16, 1, v17
	v_mov_b32_e32 v17, 0
	v_lshl_add_u64 v[16:17], s[62:63], 0, v[16:17]
	flat_load_ushort v16, v[16:17]
	s_or_b64 exec, exec, s[0:1]
                                        ; implicit-def: $vgpr17
	s_and_saveexec_b64 s[0:1], s[54:55]
	s_cbranch_execnz .LBB328_83
	s_branch .LBB328_84
.LBB328_323:
                                        ; implicit-def: $sgpr0_sgpr1
	s_branch .LBB328_56
.LBB328_324:
                                        ; implicit-def: $sgpr0_sgpr1
	s_branch .LBB328_135
	.section	.rodata,"a",@progbits
	.p2align	6, 0x0
	.amdhsa_kernel _ZN7rocprim17ROCPRIM_400000_NS6detail17trampoline_kernelINS0_14default_configENS1_27scan_by_key_config_selectorIssEEZZNS1_16scan_by_key_implILNS1_25lookback_scan_determinismE0ELb0ES3_N6thrust23THRUST_200600_302600_NS6detail15normal_iteratorINS9_10device_ptrIsEEEESE_SE_sNS9_4plusIvEENS9_8equal_toIsEEsEE10hipError_tPvRmT2_T3_T4_T5_mT6_T7_P12ihipStream_tbENKUlT_T0_E_clISt17integral_constantIbLb1EESZ_EEDaSU_SV_EUlSU_E_NS1_11comp_targetILNS1_3genE5ELNS1_11target_archE942ELNS1_3gpuE9ELNS1_3repE0EEENS1_30default_config_static_selectorELNS0_4arch9wavefront6targetE1EEEvT1_
		.amdhsa_group_segment_fixed_size 13312
		.amdhsa_private_segment_fixed_size 0
		.amdhsa_kernarg_size 112
		.amdhsa_user_sgpr_count 2
		.amdhsa_user_sgpr_dispatch_ptr 0
		.amdhsa_user_sgpr_queue_ptr 0
		.amdhsa_user_sgpr_kernarg_segment_ptr 1
		.amdhsa_user_sgpr_dispatch_id 0
		.amdhsa_user_sgpr_kernarg_preload_length 0
		.amdhsa_user_sgpr_kernarg_preload_offset 0
		.amdhsa_user_sgpr_private_segment_size 0
		.amdhsa_uses_dynamic_stack 0
		.amdhsa_enable_private_segment 0
		.amdhsa_system_sgpr_workgroup_id_x 1
		.amdhsa_system_sgpr_workgroup_id_y 0
		.amdhsa_system_sgpr_workgroup_id_z 0
		.amdhsa_system_sgpr_workgroup_info 0
		.amdhsa_system_vgpr_workitem_id 0
		.amdhsa_next_free_vgpr 63
		.amdhsa_next_free_sgpr 87
		.amdhsa_accum_offset 64
		.amdhsa_reserve_vcc 1
		.amdhsa_float_round_mode_32 0
		.amdhsa_float_round_mode_16_64 0
		.amdhsa_float_denorm_mode_32 3
		.amdhsa_float_denorm_mode_16_64 3
		.amdhsa_dx10_clamp 1
		.amdhsa_ieee_mode 1
		.amdhsa_fp16_overflow 0
		.amdhsa_tg_split 0
		.amdhsa_exception_fp_ieee_invalid_op 0
		.amdhsa_exception_fp_denorm_src 0
		.amdhsa_exception_fp_ieee_div_zero 0
		.amdhsa_exception_fp_ieee_overflow 0
		.amdhsa_exception_fp_ieee_underflow 0
		.amdhsa_exception_fp_ieee_inexact 0
		.amdhsa_exception_int_div_zero 0
	.end_amdhsa_kernel
	.section	.text._ZN7rocprim17ROCPRIM_400000_NS6detail17trampoline_kernelINS0_14default_configENS1_27scan_by_key_config_selectorIssEEZZNS1_16scan_by_key_implILNS1_25lookback_scan_determinismE0ELb0ES3_N6thrust23THRUST_200600_302600_NS6detail15normal_iteratorINS9_10device_ptrIsEEEESE_SE_sNS9_4plusIvEENS9_8equal_toIsEEsEE10hipError_tPvRmT2_T3_T4_T5_mT6_T7_P12ihipStream_tbENKUlT_T0_E_clISt17integral_constantIbLb1EESZ_EEDaSU_SV_EUlSU_E_NS1_11comp_targetILNS1_3genE5ELNS1_11target_archE942ELNS1_3gpuE9ELNS1_3repE0EEENS1_30default_config_static_selectorELNS0_4arch9wavefront6targetE1EEEvT1_,"axG",@progbits,_ZN7rocprim17ROCPRIM_400000_NS6detail17trampoline_kernelINS0_14default_configENS1_27scan_by_key_config_selectorIssEEZZNS1_16scan_by_key_implILNS1_25lookback_scan_determinismE0ELb0ES3_N6thrust23THRUST_200600_302600_NS6detail15normal_iteratorINS9_10device_ptrIsEEEESE_SE_sNS9_4plusIvEENS9_8equal_toIsEEsEE10hipError_tPvRmT2_T3_T4_T5_mT6_T7_P12ihipStream_tbENKUlT_T0_E_clISt17integral_constantIbLb1EESZ_EEDaSU_SV_EUlSU_E_NS1_11comp_targetILNS1_3genE5ELNS1_11target_archE942ELNS1_3gpuE9ELNS1_3repE0EEENS1_30default_config_static_selectorELNS0_4arch9wavefront6targetE1EEEvT1_,comdat
.Lfunc_end328:
	.size	_ZN7rocprim17ROCPRIM_400000_NS6detail17trampoline_kernelINS0_14default_configENS1_27scan_by_key_config_selectorIssEEZZNS1_16scan_by_key_implILNS1_25lookback_scan_determinismE0ELb0ES3_N6thrust23THRUST_200600_302600_NS6detail15normal_iteratorINS9_10device_ptrIsEEEESE_SE_sNS9_4plusIvEENS9_8equal_toIsEEsEE10hipError_tPvRmT2_T3_T4_T5_mT6_T7_P12ihipStream_tbENKUlT_T0_E_clISt17integral_constantIbLb1EESZ_EEDaSU_SV_EUlSU_E_NS1_11comp_targetILNS1_3genE5ELNS1_11target_archE942ELNS1_3gpuE9ELNS1_3repE0EEENS1_30default_config_static_selectorELNS0_4arch9wavefront6targetE1EEEvT1_, .Lfunc_end328-_ZN7rocprim17ROCPRIM_400000_NS6detail17trampoline_kernelINS0_14default_configENS1_27scan_by_key_config_selectorIssEEZZNS1_16scan_by_key_implILNS1_25lookback_scan_determinismE0ELb0ES3_N6thrust23THRUST_200600_302600_NS6detail15normal_iteratorINS9_10device_ptrIsEEEESE_SE_sNS9_4plusIvEENS9_8equal_toIsEEsEE10hipError_tPvRmT2_T3_T4_T5_mT6_T7_P12ihipStream_tbENKUlT_T0_E_clISt17integral_constantIbLb1EESZ_EEDaSU_SV_EUlSU_E_NS1_11comp_targetILNS1_3genE5ELNS1_11target_archE942ELNS1_3gpuE9ELNS1_3repE0EEENS1_30default_config_static_selectorELNS0_4arch9wavefront6targetE1EEEvT1_
                                        ; -- End function
	.section	.AMDGPU.csdata,"",@progbits
; Kernel info:
; codeLenInByte = 16368
; NumSgprs: 93
; NumVgprs: 63
; NumAgprs: 0
; TotalNumVgprs: 63
; ScratchSize: 0
; MemoryBound: 0
; FloatMode: 240
; IeeeMode: 1
; LDSByteSize: 13312 bytes/workgroup (compile time only)
; SGPRBlocks: 11
; VGPRBlocks: 7
; NumSGPRsForWavesPerEU: 93
; NumVGPRsForWavesPerEU: 63
; AccumOffset: 64
; Occupancy: 4
; WaveLimiterHint : 1
; COMPUTE_PGM_RSRC2:SCRATCH_EN: 0
; COMPUTE_PGM_RSRC2:USER_SGPR: 2
; COMPUTE_PGM_RSRC2:TRAP_HANDLER: 0
; COMPUTE_PGM_RSRC2:TGID_X_EN: 1
; COMPUTE_PGM_RSRC2:TGID_Y_EN: 0
; COMPUTE_PGM_RSRC2:TGID_Z_EN: 0
; COMPUTE_PGM_RSRC2:TIDIG_COMP_CNT: 0
; COMPUTE_PGM_RSRC3_GFX90A:ACCUM_OFFSET: 15
; COMPUTE_PGM_RSRC3_GFX90A:TG_SPLIT: 0
	.section	.text._ZN7rocprim17ROCPRIM_400000_NS6detail17trampoline_kernelINS0_14default_configENS1_27scan_by_key_config_selectorIssEEZZNS1_16scan_by_key_implILNS1_25lookback_scan_determinismE0ELb0ES3_N6thrust23THRUST_200600_302600_NS6detail15normal_iteratorINS9_10device_ptrIsEEEESE_SE_sNS9_4plusIvEENS9_8equal_toIsEEsEE10hipError_tPvRmT2_T3_T4_T5_mT6_T7_P12ihipStream_tbENKUlT_T0_E_clISt17integral_constantIbLb1EESZ_EEDaSU_SV_EUlSU_E_NS1_11comp_targetILNS1_3genE4ELNS1_11target_archE910ELNS1_3gpuE8ELNS1_3repE0EEENS1_30default_config_static_selectorELNS0_4arch9wavefront6targetE1EEEvT1_,"axG",@progbits,_ZN7rocprim17ROCPRIM_400000_NS6detail17trampoline_kernelINS0_14default_configENS1_27scan_by_key_config_selectorIssEEZZNS1_16scan_by_key_implILNS1_25lookback_scan_determinismE0ELb0ES3_N6thrust23THRUST_200600_302600_NS6detail15normal_iteratorINS9_10device_ptrIsEEEESE_SE_sNS9_4plusIvEENS9_8equal_toIsEEsEE10hipError_tPvRmT2_T3_T4_T5_mT6_T7_P12ihipStream_tbENKUlT_T0_E_clISt17integral_constantIbLb1EESZ_EEDaSU_SV_EUlSU_E_NS1_11comp_targetILNS1_3genE4ELNS1_11target_archE910ELNS1_3gpuE8ELNS1_3repE0EEENS1_30default_config_static_selectorELNS0_4arch9wavefront6targetE1EEEvT1_,comdat
	.protected	_ZN7rocprim17ROCPRIM_400000_NS6detail17trampoline_kernelINS0_14default_configENS1_27scan_by_key_config_selectorIssEEZZNS1_16scan_by_key_implILNS1_25lookback_scan_determinismE0ELb0ES3_N6thrust23THRUST_200600_302600_NS6detail15normal_iteratorINS9_10device_ptrIsEEEESE_SE_sNS9_4plusIvEENS9_8equal_toIsEEsEE10hipError_tPvRmT2_T3_T4_T5_mT6_T7_P12ihipStream_tbENKUlT_T0_E_clISt17integral_constantIbLb1EESZ_EEDaSU_SV_EUlSU_E_NS1_11comp_targetILNS1_3genE4ELNS1_11target_archE910ELNS1_3gpuE8ELNS1_3repE0EEENS1_30default_config_static_selectorELNS0_4arch9wavefront6targetE1EEEvT1_ ; -- Begin function _ZN7rocprim17ROCPRIM_400000_NS6detail17trampoline_kernelINS0_14default_configENS1_27scan_by_key_config_selectorIssEEZZNS1_16scan_by_key_implILNS1_25lookback_scan_determinismE0ELb0ES3_N6thrust23THRUST_200600_302600_NS6detail15normal_iteratorINS9_10device_ptrIsEEEESE_SE_sNS9_4plusIvEENS9_8equal_toIsEEsEE10hipError_tPvRmT2_T3_T4_T5_mT6_T7_P12ihipStream_tbENKUlT_T0_E_clISt17integral_constantIbLb1EESZ_EEDaSU_SV_EUlSU_E_NS1_11comp_targetILNS1_3genE4ELNS1_11target_archE910ELNS1_3gpuE8ELNS1_3repE0EEENS1_30default_config_static_selectorELNS0_4arch9wavefront6targetE1EEEvT1_
	.globl	_ZN7rocprim17ROCPRIM_400000_NS6detail17trampoline_kernelINS0_14default_configENS1_27scan_by_key_config_selectorIssEEZZNS1_16scan_by_key_implILNS1_25lookback_scan_determinismE0ELb0ES3_N6thrust23THRUST_200600_302600_NS6detail15normal_iteratorINS9_10device_ptrIsEEEESE_SE_sNS9_4plusIvEENS9_8equal_toIsEEsEE10hipError_tPvRmT2_T3_T4_T5_mT6_T7_P12ihipStream_tbENKUlT_T0_E_clISt17integral_constantIbLb1EESZ_EEDaSU_SV_EUlSU_E_NS1_11comp_targetILNS1_3genE4ELNS1_11target_archE910ELNS1_3gpuE8ELNS1_3repE0EEENS1_30default_config_static_selectorELNS0_4arch9wavefront6targetE1EEEvT1_
	.p2align	8
	.type	_ZN7rocprim17ROCPRIM_400000_NS6detail17trampoline_kernelINS0_14default_configENS1_27scan_by_key_config_selectorIssEEZZNS1_16scan_by_key_implILNS1_25lookback_scan_determinismE0ELb0ES3_N6thrust23THRUST_200600_302600_NS6detail15normal_iteratorINS9_10device_ptrIsEEEESE_SE_sNS9_4plusIvEENS9_8equal_toIsEEsEE10hipError_tPvRmT2_T3_T4_T5_mT6_T7_P12ihipStream_tbENKUlT_T0_E_clISt17integral_constantIbLb1EESZ_EEDaSU_SV_EUlSU_E_NS1_11comp_targetILNS1_3genE4ELNS1_11target_archE910ELNS1_3gpuE8ELNS1_3repE0EEENS1_30default_config_static_selectorELNS0_4arch9wavefront6targetE1EEEvT1_,@function
_ZN7rocprim17ROCPRIM_400000_NS6detail17trampoline_kernelINS0_14default_configENS1_27scan_by_key_config_selectorIssEEZZNS1_16scan_by_key_implILNS1_25lookback_scan_determinismE0ELb0ES3_N6thrust23THRUST_200600_302600_NS6detail15normal_iteratorINS9_10device_ptrIsEEEESE_SE_sNS9_4plusIvEENS9_8equal_toIsEEsEE10hipError_tPvRmT2_T3_T4_T5_mT6_T7_P12ihipStream_tbENKUlT_T0_E_clISt17integral_constantIbLb1EESZ_EEDaSU_SV_EUlSU_E_NS1_11comp_targetILNS1_3genE4ELNS1_11target_archE910ELNS1_3gpuE8ELNS1_3repE0EEENS1_30default_config_static_selectorELNS0_4arch9wavefront6targetE1EEEvT1_: ; @_ZN7rocprim17ROCPRIM_400000_NS6detail17trampoline_kernelINS0_14default_configENS1_27scan_by_key_config_selectorIssEEZZNS1_16scan_by_key_implILNS1_25lookback_scan_determinismE0ELb0ES3_N6thrust23THRUST_200600_302600_NS6detail15normal_iteratorINS9_10device_ptrIsEEEESE_SE_sNS9_4plusIvEENS9_8equal_toIsEEsEE10hipError_tPvRmT2_T3_T4_T5_mT6_T7_P12ihipStream_tbENKUlT_T0_E_clISt17integral_constantIbLb1EESZ_EEDaSU_SV_EUlSU_E_NS1_11comp_targetILNS1_3genE4ELNS1_11target_archE910ELNS1_3gpuE8ELNS1_3repE0EEENS1_30default_config_static_selectorELNS0_4arch9wavefront6targetE1EEEvT1_
; %bb.0:
	.section	.rodata,"a",@progbits
	.p2align	6, 0x0
	.amdhsa_kernel _ZN7rocprim17ROCPRIM_400000_NS6detail17trampoline_kernelINS0_14default_configENS1_27scan_by_key_config_selectorIssEEZZNS1_16scan_by_key_implILNS1_25lookback_scan_determinismE0ELb0ES3_N6thrust23THRUST_200600_302600_NS6detail15normal_iteratorINS9_10device_ptrIsEEEESE_SE_sNS9_4plusIvEENS9_8equal_toIsEEsEE10hipError_tPvRmT2_T3_T4_T5_mT6_T7_P12ihipStream_tbENKUlT_T0_E_clISt17integral_constantIbLb1EESZ_EEDaSU_SV_EUlSU_E_NS1_11comp_targetILNS1_3genE4ELNS1_11target_archE910ELNS1_3gpuE8ELNS1_3repE0EEENS1_30default_config_static_selectorELNS0_4arch9wavefront6targetE1EEEvT1_
		.amdhsa_group_segment_fixed_size 0
		.amdhsa_private_segment_fixed_size 0
		.amdhsa_kernarg_size 112
		.amdhsa_user_sgpr_count 2
		.amdhsa_user_sgpr_dispatch_ptr 0
		.amdhsa_user_sgpr_queue_ptr 0
		.amdhsa_user_sgpr_kernarg_segment_ptr 1
		.amdhsa_user_sgpr_dispatch_id 0
		.amdhsa_user_sgpr_kernarg_preload_length 0
		.amdhsa_user_sgpr_kernarg_preload_offset 0
		.amdhsa_user_sgpr_private_segment_size 0
		.amdhsa_uses_dynamic_stack 0
		.amdhsa_enable_private_segment 0
		.amdhsa_system_sgpr_workgroup_id_x 1
		.amdhsa_system_sgpr_workgroup_id_y 0
		.amdhsa_system_sgpr_workgroup_id_z 0
		.amdhsa_system_sgpr_workgroup_info 0
		.amdhsa_system_vgpr_workitem_id 0
		.amdhsa_next_free_vgpr 1
		.amdhsa_next_free_sgpr 0
		.amdhsa_accum_offset 4
		.amdhsa_reserve_vcc 0
		.amdhsa_float_round_mode_32 0
		.amdhsa_float_round_mode_16_64 0
		.amdhsa_float_denorm_mode_32 3
		.amdhsa_float_denorm_mode_16_64 3
		.amdhsa_dx10_clamp 1
		.amdhsa_ieee_mode 1
		.amdhsa_fp16_overflow 0
		.amdhsa_tg_split 0
		.amdhsa_exception_fp_ieee_invalid_op 0
		.amdhsa_exception_fp_denorm_src 0
		.amdhsa_exception_fp_ieee_div_zero 0
		.amdhsa_exception_fp_ieee_overflow 0
		.amdhsa_exception_fp_ieee_underflow 0
		.amdhsa_exception_fp_ieee_inexact 0
		.amdhsa_exception_int_div_zero 0
	.end_amdhsa_kernel
	.section	.text._ZN7rocprim17ROCPRIM_400000_NS6detail17trampoline_kernelINS0_14default_configENS1_27scan_by_key_config_selectorIssEEZZNS1_16scan_by_key_implILNS1_25lookback_scan_determinismE0ELb0ES3_N6thrust23THRUST_200600_302600_NS6detail15normal_iteratorINS9_10device_ptrIsEEEESE_SE_sNS9_4plusIvEENS9_8equal_toIsEEsEE10hipError_tPvRmT2_T3_T4_T5_mT6_T7_P12ihipStream_tbENKUlT_T0_E_clISt17integral_constantIbLb1EESZ_EEDaSU_SV_EUlSU_E_NS1_11comp_targetILNS1_3genE4ELNS1_11target_archE910ELNS1_3gpuE8ELNS1_3repE0EEENS1_30default_config_static_selectorELNS0_4arch9wavefront6targetE1EEEvT1_,"axG",@progbits,_ZN7rocprim17ROCPRIM_400000_NS6detail17trampoline_kernelINS0_14default_configENS1_27scan_by_key_config_selectorIssEEZZNS1_16scan_by_key_implILNS1_25lookback_scan_determinismE0ELb0ES3_N6thrust23THRUST_200600_302600_NS6detail15normal_iteratorINS9_10device_ptrIsEEEESE_SE_sNS9_4plusIvEENS9_8equal_toIsEEsEE10hipError_tPvRmT2_T3_T4_T5_mT6_T7_P12ihipStream_tbENKUlT_T0_E_clISt17integral_constantIbLb1EESZ_EEDaSU_SV_EUlSU_E_NS1_11comp_targetILNS1_3genE4ELNS1_11target_archE910ELNS1_3gpuE8ELNS1_3repE0EEENS1_30default_config_static_selectorELNS0_4arch9wavefront6targetE1EEEvT1_,comdat
.Lfunc_end329:
	.size	_ZN7rocprim17ROCPRIM_400000_NS6detail17trampoline_kernelINS0_14default_configENS1_27scan_by_key_config_selectorIssEEZZNS1_16scan_by_key_implILNS1_25lookback_scan_determinismE0ELb0ES3_N6thrust23THRUST_200600_302600_NS6detail15normal_iteratorINS9_10device_ptrIsEEEESE_SE_sNS9_4plusIvEENS9_8equal_toIsEEsEE10hipError_tPvRmT2_T3_T4_T5_mT6_T7_P12ihipStream_tbENKUlT_T0_E_clISt17integral_constantIbLb1EESZ_EEDaSU_SV_EUlSU_E_NS1_11comp_targetILNS1_3genE4ELNS1_11target_archE910ELNS1_3gpuE8ELNS1_3repE0EEENS1_30default_config_static_selectorELNS0_4arch9wavefront6targetE1EEEvT1_, .Lfunc_end329-_ZN7rocprim17ROCPRIM_400000_NS6detail17trampoline_kernelINS0_14default_configENS1_27scan_by_key_config_selectorIssEEZZNS1_16scan_by_key_implILNS1_25lookback_scan_determinismE0ELb0ES3_N6thrust23THRUST_200600_302600_NS6detail15normal_iteratorINS9_10device_ptrIsEEEESE_SE_sNS9_4plusIvEENS9_8equal_toIsEEsEE10hipError_tPvRmT2_T3_T4_T5_mT6_T7_P12ihipStream_tbENKUlT_T0_E_clISt17integral_constantIbLb1EESZ_EEDaSU_SV_EUlSU_E_NS1_11comp_targetILNS1_3genE4ELNS1_11target_archE910ELNS1_3gpuE8ELNS1_3repE0EEENS1_30default_config_static_selectorELNS0_4arch9wavefront6targetE1EEEvT1_
                                        ; -- End function
	.section	.AMDGPU.csdata,"",@progbits
; Kernel info:
; codeLenInByte = 0
; NumSgprs: 6
; NumVgprs: 0
; NumAgprs: 0
; TotalNumVgprs: 0
; ScratchSize: 0
; MemoryBound: 0
; FloatMode: 240
; IeeeMode: 1
; LDSByteSize: 0 bytes/workgroup (compile time only)
; SGPRBlocks: 0
; VGPRBlocks: 0
; NumSGPRsForWavesPerEU: 6
; NumVGPRsForWavesPerEU: 1
; AccumOffset: 4
; Occupancy: 8
; WaveLimiterHint : 0
; COMPUTE_PGM_RSRC2:SCRATCH_EN: 0
; COMPUTE_PGM_RSRC2:USER_SGPR: 2
; COMPUTE_PGM_RSRC2:TRAP_HANDLER: 0
; COMPUTE_PGM_RSRC2:TGID_X_EN: 1
; COMPUTE_PGM_RSRC2:TGID_Y_EN: 0
; COMPUTE_PGM_RSRC2:TGID_Z_EN: 0
; COMPUTE_PGM_RSRC2:TIDIG_COMP_CNT: 0
; COMPUTE_PGM_RSRC3_GFX90A:ACCUM_OFFSET: 0
; COMPUTE_PGM_RSRC3_GFX90A:TG_SPLIT: 0
	.section	.text._ZN7rocprim17ROCPRIM_400000_NS6detail17trampoline_kernelINS0_14default_configENS1_27scan_by_key_config_selectorIssEEZZNS1_16scan_by_key_implILNS1_25lookback_scan_determinismE0ELb0ES3_N6thrust23THRUST_200600_302600_NS6detail15normal_iteratorINS9_10device_ptrIsEEEESE_SE_sNS9_4plusIvEENS9_8equal_toIsEEsEE10hipError_tPvRmT2_T3_T4_T5_mT6_T7_P12ihipStream_tbENKUlT_T0_E_clISt17integral_constantIbLb1EESZ_EEDaSU_SV_EUlSU_E_NS1_11comp_targetILNS1_3genE3ELNS1_11target_archE908ELNS1_3gpuE7ELNS1_3repE0EEENS1_30default_config_static_selectorELNS0_4arch9wavefront6targetE1EEEvT1_,"axG",@progbits,_ZN7rocprim17ROCPRIM_400000_NS6detail17trampoline_kernelINS0_14default_configENS1_27scan_by_key_config_selectorIssEEZZNS1_16scan_by_key_implILNS1_25lookback_scan_determinismE0ELb0ES3_N6thrust23THRUST_200600_302600_NS6detail15normal_iteratorINS9_10device_ptrIsEEEESE_SE_sNS9_4plusIvEENS9_8equal_toIsEEsEE10hipError_tPvRmT2_T3_T4_T5_mT6_T7_P12ihipStream_tbENKUlT_T0_E_clISt17integral_constantIbLb1EESZ_EEDaSU_SV_EUlSU_E_NS1_11comp_targetILNS1_3genE3ELNS1_11target_archE908ELNS1_3gpuE7ELNS1_3repE0EEENS1_30default_config_static_selectorELNS0_4arch9wavefront6targetE1EEEvT1_,comdat
	.protected	_ZN7rocprim17ROCPRIM_400000_NS6detail17trampoline_kernelINS0_14default_configENS1_27scan_by_key_config_selectorIssEEZZNS1_16scan_by_key_implILNS1_25lookback_scan_determinismE0ELb0ES3_N6thrust23THRUST_200600_302600_NS6detail15normal_iteratorINS9_10device_ptrIsEEEESE_SE_sNS9_4plusIvEENS9_8equal_toIsEEsEE10hipError_tPvRmT2_T3_T4_T5_mT6_T7_P12ihipStream_tbENKUlT_T0_E_clISt17integral_constantIbLb1EESZ_EEDaSU_SV_EUlSU_E_NS1_11comp_targetILNS1_3genE3ELNS1_11target_archE908ELNS1_3gpuE7ELNS1_3repE0EEENS1_30default_config_static_selectorELNS0_4arch9wavefront6targetE1EEEvT1_ ; -- Begin function _ZN7rocprim17ROCPRIM_400000_NS6detail17trampoline_kernelINS0_14default_configENS1_27scan_by_key_config_selectorIssEEZZNS1_16scan_by_key_implILNS1_25lookback_scan_determinismE0ELb0ES3_N6thrust23THRUST_200600_302600_NS6detail15normal_iteratorINS9_10device_ptrIsEEEESE_SE_sNS9_4plusIvEENS9_8equal_toIsEEsEE10hipError_tPvRmT2_T3_T4_T5_mT6_T7_P12ihipStream_tbENKUlT_T0_E_clISt17integral_constantIbLb1EESZ_EEDaSU_SV_EUlSU_E_NS1_11comp_targetILNS1_3genE3ELNS1_11target_archE908ELNS1_3gpuE7ELNS1_3repE0EEENS1_30default_config_static_selectorELNS0_4arch9wavefront6targetE1EEEvT1_
	.globl	_ZN7rocprim17ROCPRIM_400000_NS6detail17trampoline_kernelINS0_14default_configENS1_27scan_by_key_config_selectorIssEEZZNS1_16scan_by_key_implILNS1_25lookback_scan_determinismE0ELb0ES3_N6thrust23THRUST_200600_302600_NS6detail15normal_iteratorINS9_10device_ptrIsEEEESE_SE_sNS9_4plusIvEENS9_8equal_toIsEEsEE10hipError_tPvRmT2_T3_T4_T5_mT6_T7_P12ihipStream_tbENKUlT_T0_E_clISt17integral_constantIbLb1EESZ_EEDaSU_SV_EUlSU_E_NS1_11comp_targetILNS1_3genE3ELNS1_11target_archE908ELNS1_3gpuE7ELNS1_3repE0EEENS1_30default_config_static_selectorELNS0_4arch9wavefront6targetE1EEEvT1_
	.p2align	8
	.type	_ZN7rocprim17ROCPRIM_400000_NS6detail17trampoline_kernelINS0_14default_configENS1_27scan_by_key_config_selectorIssEEZZNS1_16scan_by_key_implILNS1_25lookback_scan_determinismE0ELb0ES3_N6thrust23THRUST_200600_302600_NS6detail15normal_iteratorINS9_10device_ptrIsEEEESE_SE_sNS9_4plusIvEENS9_8equal_toIsEEsEE10hipError_tPvRmT2_T3_T4_T5_mT6_T7_P12ihipStream_tbENKUlT_T0_E_clISt17integral_constantIbLb1EESZ_EEDaSU_SV_EUlSU_E_NS1_11comp_targetILNS1_3genE3ELNS1_11target_archE908ELNS1_3gpuE7ELNS1_3repE0EEENS1_30default_config_static_selectorELNS0_4arch9wavefront6targetE1EEEvT1_,@function
_ZN7rocprim17ROCPRIM_400000_NS6detail17trampoline_kernelINS0_14default_configENS1_27scan_by_key_config_selectorIssEEZZNS1_16scan_by_key_implILNS1_25lookback_scan_determinismE0ELb0ES3_N6thrust23THRUST_200600_302600_NS6detail15normal_iteratorINS9_10device_ptrIsEEEESE_SE_sNS9_4plusIvEENS9_8equal_toIsEEsEE10hipError_tPvRmT2_T3_T4_T5_mT6_T7_P12ihipStream_tbENKUlT_T0_E_clISt17integral_constantIbLb1EESZ_EEDaSU_SV_EUlSU_E_NS1_11comp_targetILNS1_3genE3ELNS1_11target_archE908ELNS1_3gpuE7ELNS1_3repE0EEENS1_30default_config_static_selectorELNS0_4arch9wavefront6targetE1EEEvT1_: ; @_ZN7rocprim17ROCPRIM_400000_NS6detail17trampoline_kernelINS0_14default_configENS1_27scan_by_key_config_selectorIssEEZZNS1_16scan_by_key_implILNS1_25lookback_scan_determinismE0ELb0ES3_N6thrust23THRUST_200600_302600_NS6detail15normal_iteratorINS9_10device_ptrIsEEEESE_SE_sNS9_4plusIvEENS9_8equal_toIsEEsEE10hipError_tPvRmT2_T3_T4_T5_mT6_T7_P12ihipStream_tbENKUlT_T0_E_clISt17integral_constantIbLb1EESZ_EEDaSU_SV_EUlSU_E_NS1_11comp_targetILNS1_3genE3ELNS1_11target_archE908ELNS1_3gpuE7ELNS1_3repE0EEENS1_30default_config_static_selectorELNS0_4arch9wavefront6targetE1EEEvT1_
; %bb.0:
	.section	.rodata,"a",@progbits
	.p2align	6, 0x0
	.amdhsa_kernel _ZN7rocprim17ROCPRIM_400000_NS6detail17trampoline_kernelINS0_14default_configENS1_27scan_by_key_config_selectorIssEEZZNS1_16scan_by_key_implILNS1_25lookback_scan_determinismE0ELb0ES3_N6thrust23THRUST_200600_302600_NS6detail15normal_iteratorINS9_10device_ptrIsEEEESE_SE_sNS9_4plusIvEENS9_8equal_toIsEEsEE10hipError_tPvRmT2_T3_T4_T5_mT6_T7_P12ihipStream_tbENKUlT_T0_E_clISt17integral_constantIbLb1EESZ_EEDaSU_SV_EUlSU_E_NS1_11comp_targetILNS1_3genE3ELNS1_11target_archE908ELNS1_3gpuE7ELNS1_3repE0EEENS1_30default_config_static_selectorELNS0_4arch9wavefront6targetE1EEEvT1_
		.amdhsa_group_segment_fixed_size 0
		.amdhsa_private_segment_fixed_size 0
		.amdhsa_kernarg_size 112
		.amdhsa_user_sgpr_count 2
		.amdhsa_user_sgpr_dispatch_ptr 0
		.amdhsa_user_sgpr_queue_ptr 0
		.amdhsa_user_sgpr_kernarg_segment_ptr 1
		.amdhsa_user_sgpr_dispatch_id 0
		.amdhsa_user_sgpr_kernarg_preload_length 0
		.amdhsa_user_sgpr_kernarg_preload_offset 0
		.amdhsa_user_sgpr_private_segment_size 0
		.amdhsa_uses_dynamic_stack 0
		.amdhsa_enable_private_segment 0
		.amdhsa_system_sgpr_workgroup_id_x 1
		.amdhsa_system_sgpr_workgroup_id_y 0
		.amdhsa_system_sgpr_workgroup_id_z 0
		.amdhsa_system_sgpr_workgroup_info 0
		.amdhsa_system_vgpr_workitem_id 0
		.amdhsa_next_free_vgpr 1
		.amdhsa_next_free_sgpr 0
		.amdhsa_accum_offset 4
		.amdhsa_reserve_vcc 0
		.amdhsa_float_round_mode_32 0
		.amdhsa_float_round_mode_16_64 0
		.amdhsa_float_denorm_mode_32 3
		.amdhsa_float_denorm_mode_16_64 3
		.amdhsa_dx10_clamp 1
		.amdhsa_ieee_mode 1
		.amdhsa_fp16_overflow 0
		.amdhsa_tg_split 0
		.amdhsa_exception_fp_ieee_invalid_op 0
		.amdhsa_exception_fp_denorm_src 0
		.amdhsa_exception_fp_ieee_div_zero 0
		.amdhsa_exception_fp_ieee_overflow 0
		.amdhsa_exception_fp_ieee_underflow 0
		.amdhsa_exception_fp_ieee_inexact 0
		.amdhsa_exception_int_div_zero 0
	.end_amdhsa_kernel
	.section	.text._ZN7rocprim17ROCPRIM_400000_NS6detail17trampoline_kernelINS0_14default_configENS1_27scan_by_key_config_selectorIssEEZZNS1_16scan_by_key_implILNS1_25lookback_scan_determinismE0ELb0ES3_N6thrust23THRUST_200600_302600_NS6detail15normal_iteratorINS9_10device_ptrIsEEEESE_SE_sNS9_4plusIvEENS9_8equal_toIsEEsEE10hipError_tPvRmT2_T3_T4_T5_mT6_T7_P12ihipStream_tbENKUlT_T0_E_clISt17integral_constantIbLb1EESZ_EEDaSU_SV_EUlSU_E_NS1_11comp_targetILNS1_3genE3ELNS1_11target_archE908ELNS1_3gpuE7ELNS1_3repE0EEENS1_30default_config_static_selectorELNS0_4arch9wavefront6targetE1EEEvT1_,"axG",@progbits,_ZN7rocprim17ROCPRIM_400000_NS6detail17trampoline_kernelINS0_14default_configENS1_27scan_by_key_config_selectorIssEEZZNS1_16scan_by_key_implILNS1_25lookback_scan_determinismE0ELb0ES3_N6thrust23THRUST_200600_302600_NS6detail15normal_iteratorINS9_10device_ptrIsEEEESE_SE_sNS9_4plusIvEENS9_8equal_toIsEEsEE10hipError_tPvRmT2_T3_T4_T5_mT6_T7_P12ihipStream_tbENKUlT_T0_E_clISt17integral_constantIbLb1EESZ_EEDaSU_SV_EUlSU_E_NS1_11comp_targetILNS1_3genE3ELNS1_11target_archE908ELNS1_3gpuE7ELNS1_3repE0EEENS1_30default_config_static_selectorELNS0_4arch9wavefront6targetE1EEEvT1_,comdat
.Lfunc_end330:
	.size	_ZN7rocprim17ROCPRIM_400000_NS6detail17trampoline_kernelINS0_14default_configENS1_27scan_by_key_config_selectorIssEEZZNS1_16scan_by_key_implILNS1_25lookback_scan_determinismE0ELb0ES3_N6thrust23THRUST_200600_302600_NS6detail15normal_iteratorINS9_10device_ptrIsEEEESE_SE_sNS9_4plusIvEENS9_8equal_toIsEEsEE10hipError_tPvRmT2_T3_T4_T5_mT6_T7_P12ihipStream_tbENKUlT_T0_E_clISt17integral_constantIbLb1EESZ_EEDaSU_SV_EUlSU_E_NS1_11comp_targetILNS1_3genE3ELNS1_11target_archE908ELNS1_3gpuE7ELNS1_3repE0EEENS1_30default_config_static_selectorELNS0_4arch9wavefront6targetE1EEEvT1_, .Lfunc_end330-_ZN7rocprim17ROCPRIM_400000_NS6detail17trampoline_kernelINS0_14default_configENS1_27scan_by_key_config_selectorIssEEZZNS1_16scan_by_key_implILNS1_25lookback_scan_determinismE0ELb0ES3_N6thrust23THRUST_200600_302600_NS6detail15normal_iteratorINS9_10device_ptrIsEEEESE_SE_sNS9_4plusIvEENS9_8equal_toIsEEsEE10hipError_tPvRmT2_T3_T4_T5_mT6_T7_P12ihipStream_tbENKUlT_T0_E_clISt17integral_constantIbLb1EESZ_EEDaSU_SV_EUlSU_E_NS1_11comp_targetILNS1_3genE3ELNS1_11target_archE908ELNS1_3gpuE7ELNS1_3repE0EEENS1_30default_config_static_selectorELNS0_4arch9wavefront6targetE1EEEvT1_
                                        ; -- End function
	.section	.AMDGPU.csdata,"",@progbits
; Kernel info:
; codeLenInByte = 0
; NumSgprs: 6
; NumVgprs: 0
; NumAgprs: 0
; TotalNumVgprs: 0
; ScratchSize: 0
; MemoryBound: 0
; FloatMode: 240
; IeeeMode: 1
; LDSByteSize: 0 bytes/workgroup (compile time only)
; SGPRBlocks: 0
; VGPRBlocks: 0
; NumSGPRsForWavesPerEU: 6
; NumVGPRsForWavesPerEU: 1
; AccumOffset: 4
; Occupancy: 8
; WaveLimiterHint : 0
; COMPUTE_PGM_RSRC2:SCRATCH_EN: 0
; COMPUTE_PGM_RSRC2:USER_SGPR: 2
; COMPUTE_PGM_RSRC2:TRAP_HANDLER: 0
; COMPUTE_PGM_RSRC2:TGID_X_EN: 1
; COMPUTE_PGM_RSRC2:TGID_Y_EN: 0
; COMPUTE_PGM_RSRC2:TGID_Z_EN: 0
; COMPUTE_PGM_RSRC2:TIDIG_COMP_CNT: 0
; COMPUTE_PGM_RSRC3_GFX90A:ACCUM_OFFSET: 0
; COMPUTE_PGM_RSRC3_GFX90A:TG_SPLIT: 0
	.section	.text._ZN7rocprim17ROCPRIM_400000_NS6detail17trampoline_kernelINS0_14default_configENS1_27scan_by_key_config_selectorIssEEZZNS1_16scan_by_key_implILNS1_25lookback_scan_determinismE0ELb0ES3_N6thrust23THRUST_200600_302600_NS6detail15normal_iteratorINS9_10device_ptrIsEEEESE_SE_sNS9_4plusIvEENS9_8equal_toIsEEsEE10hipError_tPvRmT2_T3_T4_T5_mT6_T7_P12ihipStream_tbENKUlT_T0_E_clISt17integral_constantIbLb1EESZ_EEDaSU_SV_EUlSU_E_NS1_11comp_targetILNS1_3genE2ELNS1_11target_archE906ELNS1_3gpuE6ELNS1_3repE0EEENS1_30default_config_static_selectorELNS0_4arch9wavefront6targetE1EEEvT1_,"axG",@progbits,_ZN7rocprim17ROCPRIM_400000_NS6detail17trampoline_kernelINS0_14default_configENS1_27scan_by_key_config_selectorIssEEZZNS1_16scan_by_key_implILNS1_25lookback_scan_determinismE0ELb0ES3_N6thrust23THRUST_200600_302600_NS6detail15normal_iteratorINS9_10device_ptrIsEEEESE_SE_sNS9_4plusIvEENS9_8equal_toIsEEsEE10hipError_tPvRmT2_T3_T4_T5_mT6_T7_P12ihipStream_tbENKUlT_T0_E_clISt17integral_constantIbLb1EESZ_EEDaSU_SV_EUlSU_E_NS1_11comp_targetILNS1_3genE2ELNS1_11target_archE906ELNS1_3gpuE6ELNS1_3repE0EEENS1_30default_config_static_selectorELNS0_4arch9wavefront6targetE1EEEvT1_,comdat
	.protected	_ZN7rocprim17ROCPRIM_400000_NS6detail17trampoline_kernelINS0_14default_configENS1_27scan_by_key_config_selectorIssEEZZNS1_16scan_by_key_implILNS1_25lookback_scan_determinismE0ELb0ES3_N6thrust23THRUST_200600_302600_NS6detail15normal_iteratorINS9_10device_ptrIsEEEESE_SE_sNS9_4plusIvEENS9_8equal_toIsEEsEE10hipError_tPvRmT2_T3_T4_T5_mT6_T7_P12ihipStream_tbENKUlT_T0_E_clISt17integral_constantIbLb1EESZ_EEDaSU_SV_EUlSU_E_NS1_11comp_targetILNS1_3genE2ELNS1_11target_archE906ELNS1_3gpuE6ELNS1_3repE0EEENS1_30default_config_static_selectorELNS0_4arch9wavefront6targetE1EEEvT1_ ; -- Begin function _ZN7rocprim17ROCPRIM_400000_NS6detail17trampoline_kernelINS0_14default_configENS1_27scan_by_key_config_selectorIssEEZZNS1_16scan_by_key_implILNS1_25lookback_scan_determinismE0ELb0ES3_N6thrust23THRUST_200600_302600_NS6detail15normal_iteratorINS9_10device_ptrIsEEEESE_SE_sNS9_4plusIvEENS9_8equal_toIsEEsEE10hipError_tPvRmT2_T3_T4_T5_mT6_T7_P12ihipStream_tbENKUlT_T0_E_clISt17integral_constantIbLb1EESZ_EEDaSU_SV_EUlSU_E_NS1_11comp_targetILNS1_3genE2ELNS1_11target_archE906ELNS1_3gpuE6ELNS1_3repE0EEENS1_30default_config_static_selectorELNS0_4arch9wavefront6targetE1EEEvT1_
	.globl	_ZN7rocprim17ROCPRIM_400000_NS6detail17trampoline_kernelINS0_14default_configENS1_27scan_by_key_config_selectorIssEEZZNS1_16scan_by_key_implILNS1_25lookback_scan_determinismE0ELb0ES3_N6thrust23THRUST_200600_302600_NS6detail15normal_iteratorINS9_10device_ptrIsEEEESE_SE_sNS9_4plusIvEENS9_8equal_toIsEEsEE10hipError_tPvRmT2_T3_T4_T5_mT6_T7_P12ihipStream_tbENKUlT_T0_E_clISt17integral_constantIbLb1EESZ_EEDaSU_SV_EUlSU_E_NS1_11comp_targetILNS1_3genE2ELNS1_11target_archE906ELNS1_3gpuE6ELNS1_3repE0EEENS1_30default_config_static_selectorELNS0_4arch9wavefront6targetE1EEEvT1_
	.p2align	8
	.type	_ZN7rocprim17ROCPRIM_400000_NS6detail17trampoline_kernelINS0_14default_configENS1_27scan_by_key_config_selectorIssEEZZNS1_16scan_by_key_implILNS1_25lookback_scan_determinismE0ELb0ES3_N6thrust23THRUST_200600_302600_NS6detail15normal_iteratorINS9_10device_ptrIsEEEESE_SE_sNS9_4plusIvEENS9_8equal_toIsEEsEE10hipError_tPvRmT2_T3_T4_T5_mT6_T7_P12ihipStream_tbENKUlT_T0_E_clISt17integral_constantIbLb1EESZ_EEDaSU_SV_EUlSU_E_NS1_11comp_targetILNS1_3genE2ELNS1_11target_archE906ELNS1_3gpuE6ELNS1_3repE0EEENS1_30default_config_static_selectorELNS0_4arch9wavefront6targetE1EEEvT1_,@function
_ZN7rocprim17ROCPRIM_400000_NS6detail17trampoline_kernelINS0_14default_configENS1_27scan_by_key_config_selectorIssEEZZNS1_16scan_by_key_implILNS1_25lookback_scan_determinismE0ELb0ES3_N6thrust23THRUST_200600_302600_NS6detail15normal_iteratorINS9_10device_ptrIsEEEESE_SE_sNS9_4plusIvEENS9_8equal_toIsEEsEE10hipError_tPvRmT2_T3_T4_T5_mT6_T7_P12ihipStream_tbENKUlT_T0_E_clISt17integral_constantIbLb1EESZ_EEDaSU_SV_EUlSU_E_NS1_11comp_targetILNS1_3genE2ELNS1_11target_archE906ELNS1_3gpuE6ELNS1_3repE0EEENS1_30default_config_static_selectorELNS0_4arch9wavefront6targetE1EEEvT1_: ; @_ZN7rocprim17ROCPRIM_400000_NS6detail17trampoline_kernelINS0_14default_configENS1_27scan_by_key_config_selectorIssEEZZNS1_16scan_by_key_implILNS1_25lookback_scan_determinismE0ELb0ES3_N6thrust23THRUST_200600_302600_NS6detail15normal_iteratorINS9_10device_ptrIsEEEESE_SE_sNS9_4plusIvEENS9_8equal_toIsEEsEE10hipError_tPvRmT2_T3_T4_T5_mT6_T7_P12ihipStream_tbENKUlT_T0_E_clISt17integral_constantIbLb1EESZ_EEDaSU_SV_EUlSU_E_NS1_11comp_targetILNS1_3genE2ELNS1_11target_archE906ELNS1_3gpuE6ELNS1_3repE0EEENS1_30default_config_static_selectorELNS0_4arch9wavefront6targetE1EEEvT1_
; %bb.0:
	.section	.rodata,"a",@progbits
	.p2align	6, 0x0
	.amdhsa_kernel _ZN7rocprim17ROCPRIM_400000_NS6detail17trampoline_kernelINS0_14default_configENS1_27scan_by_key_config_selectorIssEEZZNS1_16scan_by_key_implILNS1_25lookback_scan_determinismE0ELb0ES3_N6thrust23THRUST_200600_302600_NS6detail15normal_iteratorINS9_10device_ptrIsEEEESE_SE_sNS9_4plusIvEENS9_8equal_toIsEEsEE10hipError_tPvRmT2_T3_T4_T5_mT6_T7_P12ihipStream_tbENKUlT_T0_E_clISt17integral_constantIbLb1EESZ_EEDaSU_SV_EUlSU_E_NS1_11comp_targetILNS1_3genE2ELNS1_11target_archE906ELNS1_3gpuE6ELNS1_3repE0EEENS1_30default_config_static_selectorELNS0_4arch9wavefront6targetE1EEEvT1_
		.amdhsa_group_segment_fixed_size 0
		.amdhsa_private_segment_fixed_size 0
		.amdhsa_kernarg_size 112
		.amdhsa_user_sgpr_count 2
		.amdhsa_user_sgpr_dispatch_ptr 0
		.amdhsa_user_sgpr_queue_ptr 0
		.amdhsa_user_sgpr_kernarg_segment_ptr 1
		.amdhsa_user_sgpr_dispatch_id 0
		.amdhsa_user_sgpr_kernarg_preload_length 0
		.amdhsa_user_sgpr_kernarg_preload_offset 0
		.amdhsa_user_sgpr_private_segment_size 0
		.amdhsa_uses_dynamic_stack 0
		.amdhsa_enable_private_segment 0
		.amdhsa_system_sgpr_workgroup_id_x 1
		.amdhsa_system_sgpr_workgroup_id_y 0
		.amdhsa_system_sgpr_workgroup_id_z 0
		.amdhsa_system_sgpr_workgroup_info 0
		.amdhsa_system_vgpr_workitem_id 0
		.amdhsa_next_free_vgpr 1
		.amdhsa_next_free_sgpr 0
		.amdhsa_accum_offset 4
		.amdhsa_reserve_vcc 0
		.amdhsa_float_round_mode_32 0
		.amdhsa_float_round_mode_16_64 0
		.amdhsa_float_denorm_mode_32 3
		.amdhsa_float_denorm_mode_16_64 3
		.amdhsa_dx10_clamp 1
		.amdhsa_ieee_mode 1
		.amdhsa_fp16_overflow 0
		.amdhsa_tg_split 0
		.amdhsa_exception_fp_ieee_invalid_op 0
		.amdhsa_exception_fp_denorm_src 0
		.amdhsa_exception_fp_ieee_div_zero 0
		.amdhsa_exception_fp_ieee_overflow 0
		.amdhsa_exception_fp_ieee_underflow 0
		.amdhsa_exception_fp_ieee_inexact 0
		.amdhsa_exception_int_div_zero 0
	.end_amdhsa_kernel
	.section	.text._ZN7rocprim17ROCPRIM_400000_NS6detail17trampoline_kernelINS0_14default_configENS1_27scan_by_key_config_selectorIssEEZZNS1_16scan_by_key_implILNS1_25lookback_scan_determinismE0ELb0ES3_N6thrust23THRUST_200600_302600_NS6detail15normal_iteratorINS9_10device_ptrIsEEEESE_SE_sNS9_4plusIvEENS9_8equal_toIsEEsEE10hipError_tPvRmT2_T3_T4_T5_mT6_T7_P12ihipStream_tbENKUlT_T0_E_clISt17integral_constantIbLb1EESZ_EEDaSU_SV_EUlSU_E_NS1_11comp_targetILNS1_3genE2ELNS1_11target_archE906ELNS1_3gpuE6ELNS1_3repE0EEENS1_30default_config_static_selectorELNS0_4arch9wavefront6targetE1EEEvT1_,"axG",@progbits,_ZN7rocprim17ROCPRIM_400000_NS6detail17trampoline_kernelINS0_14default_configENS1_27scan_by_key_config_selectorIssEEZZNS1_16scan_by_key_implILNS1_25lookback_scan_determinismE0ELb0ES3_N6thrust23THRUST_200600_302600_NS6detail15normal_iteratorINS9_10device_ptrIsEEEESE_SE_sNS9_4plusIvEENS9_8equal_toIsEEsEE10hipError_tPvRmT2_T3_T4_T5_mT6_T7_P12ihipStream_tbENKUlT_T0_E_clISt17integral_constantIbLb1EESZ_EEDaSU_SV_EUlSU_E_NS1_11comp_targetILNS1_3genE2ELNS1_11target_archE906ELNS1_3gpuE6ELNS1_3repE0EEENS1_30default_config_static_selectorELNS0_4arch9wavefront6targetE1EEEvT1_,comdat
.Lfunc_end331:
	.size	_ZN7rocprim17ROCPRIM_400000_NS6detail17trampoline_kernelINS0_14default_configENS1_27scan_by_key_config_selectorIssEEZZNS1_16scan_by_key_implILNS1_25lookback_scan_determinismE0ELb0ES3_N6thrust23THRUST_200600_302600_NS6detail15normal_iteratorINS9_10device_ptrIsEEEESE_SE_sNS9_4plusIvEENS9_8equal_toIsEEsEE10hipError_tPvRmT2_T3_T4_T5_mT6_T7_P12ihipStream_tbENKUlT_T0_E_clISt17integral_constantIbLb1EESZ_EEDaSU_SV_EUlSU_E_NS1_11comp_targetILNS1_3genE2ELNS1_11target_archE906ELNS1_3gpuE6ELNS1_3repE0EEENS1_30default_config_static_selectorELNS0_4arch9wavefront6targetE1EEEvT1_, .Lfunc_end331-_ZN7rocprim17ROCPRIM_400000_NS6detail17trampoline_kernelINS0_14default_configENS1_27scan_by_key_config_selectorIssEEZZNS1_16scan_by_key_implILNS1_25lookback_scan_determinismE0ELb0ES3_N6thrust23THRUST_200600_302600_NS6detail15normal_iteratorINS9_10device_ptrIsEEEESE_SE_sNS9_4plusIvEENS9_8equal_toIsEEsEE10hipError_tPvRmT2_T3_T4_T5_mT6_T7_P12ihipStream_tbENKUlT_T0_E_clISt17integral_constantIbLb1EESZ_EEDaSU_SV_EUlSU_E_NS1_11comp_targetILNS1_3genE2ELNS1_11target_archE906ELNS1_3gpuE6ELNS1_3repE0EEENS1_30default_config_static_selectorELNS0_4arch9wavefront6targetE1EEEvT1_
                                        ; -- End function
	.section	.AMDGPU.csdata,"",@progbits
; Kernel info:
; codeLenInByte = 0
; NumSgprs: 6
; NumVgprs: 0
; NumAgprs: 0
; TotalNumVgprs: 0
; ScratchSize: 0
; MemoryBound: 0
; FloatMode: 240
; IeeeMode: 1
; LDSByteSize: 0 bytes/workgroup (compile time only)
; SGPRBlocks: 0
; VGPRBlocks: 0
; NumSGPRsForWavesPerEU: 6
; NumVGPRsForWavesPerEU: 1
; AccumOffset: 4
; Occupancy: 8
; WaveLimiterHint : 0
; COMPUTE_PGM_RSRC2:SCRATCH_EN: 0
; COMPUTE_PGM_RSRC2:USER_SGPR: 2
; COMPUTE_PGM_RSRC2:TRAP_HANDLER: 0
; COMPUTE_PGM_RSRC2:TGID_X_EN: 1
; COMPUTE_PGM_RSRC2:TGID_Y_EN: 0
; COMPUTE_PGM_RSRC2:TGID_Z_EN: 0
; COMPUTE_PGM_RSRC2:TIDIG_COMP_CNT: 0
; COMPUTE_PGM_RSRC3_GFX90A:ACCUM_OFFSET: 0
; COMPUTE_PGM_RSRC3_GFX90A:TG_SPLIT: 0
	.section	.text._ZN7rocprim17ROCPRIM_400000_NS6detail17trampoline_kernelINS0_14default_configENS1_27scan_by_key_config_selectorIssEEZZNS1_16scan_by_key_implILNS1_25lookback_scan_determinismE0ELb0ES3_N6thrust23THRUST_200600_302600_NS6detail15normal_iteratorINS9_10device_ptrIsEEEESE_SE_sNS9_4plusIvEENS9_8equal_toIsEEsEE10hipError_tPvRmT2_T3_T4_T5_mT6_T7_P12ihipStream_tbENKUlT_T0_E_clISt17integral_constantIbLb1EESZ_EEDaSU_SV_EUlSU_E_NS1_11comp_targetILNS1_3genE10ELNS1_11target_archE1200ELNS1_3gpuE4ELNS1_3repE0EEENS1_30default_config_static_selectorELNS0_4arch9wavefront6targetE1EEEvT1_,"axG",@progbits,_ZN7rocprim17ROCPRIM_400000_NS6detail17trampoline_kernelINS0_14default_configENS1_27scan_by_key_config_selectorIssEEZZNS1_16scan_by_key_implILNS1_25lookback_scan_determinismE0ELb0ES3_N6thrust23THRUST_200600_302600_NS6detail15normal_iteratorINS9_10device_ptrIsEEEESE_SE_sNS9_4plusIvEENS9_8equal_toIsEEsEE10hipError_tPvRmT2_T3_T4_T5_mT6_T7_P12ihipStream_tbENKUlT_T0_E_clISt17integral_constantIbLb1EESZ_EEDaSU_SV_EUlSU_E_NS1_11comp_targetILNS1_3genE10ELNS1_11target_archE1200ELNS1_3gpuE4ELNS1_3repE0EEENS1_30default_config_static_selectorELNS0_4arch9wavefront6targetE1EEEvT1_,comdat
	.protected	_ZN7rocprim17ROCPRIM_400000_NS6detail17trampoline_kernelINS0_14default_configENS1_27scan_by_key_config_selectorIssEEZZNS1_16scan_by_key_implILNS1_25lookback_scan_determinismE0ELb0ES3_N6thrust23THRUST_200600_302600_NS6detail15normal_iteratorINS9_10device_ptrIsEEEESE_SE_sNS9_4plusIvEENS9_8equal_toIsEEsEE10hipError_tPvRmT2_T3_T4_T5_mT6_T7_P12ihipStream_tbENKUlT_T0_E_clISt17integral_constantIbLb1EESZ_EEDaSU_SV_EUlSU_E_NS1_11comp_targetILNS1_3genE10ELNS1_11target_archE1200ELNS1_3gpuE4ELNS1_3repE0EEENS1_30default_config_static_selectorELNS0_4arch9wavefront6targetE1EEEvT1_ ; -- Begin function _ZN7rocprim17ROCPRIM_400000_NS6detail17trampoline_kernelINS0_14default_configENS1_27scan_by_key_config_selectorIssEEZZNS1_16scan_by_key_implILNS1_25lookback_scan_determinismE0ELb0ES3_N6thrust23THRUST_200600_302600_NS6detail15normal_iteratorINS9_10device_ptrIsEEEESE_SE_sNS9_4plusIvEENS9_8equal_toIsEEsEE10hipError_tPvRmT2_T3_T4_T5_mT6_T7_P12ihipStream_tbENKUlT_T0_E_clISt17integral_constantIbLb1EESZ_EEDaSU_SV_EUlSU_E_NS1_11comp_targetILNS1_3genE10ELNS1_11target_archE1200ELNS1_3gpuE4ELNS1_3repE0EEENS1_30default_config_static_selectorELNS0_4arch9wavefront6targetE1EEEvT1_
	.globl	_ZN7rocprim17ROCPRIM_400000_NS6detail17trampoline_kernelINS0_14default_configENS1_27scan_by_key_config_selectorIssEEZZNS1_16scan_by_key_implILNS1_25lookback_scan_determinismE0ELb0ES3_N6thrust23THRUST_200600_302600_NS6detail15normal_iteratorINS9_10device_ptrIsEEEESE_SE_sNS9_4plusIvEENS9_8equal_toIsEEsEE10hipError_tPvRmT2_T3_T4_T5_mT6_T7_P12ihipStream_tbENKUlT_T0_E_clISt17integral_constantIbLb1EESZ_EEDaSU_SV_EUlSU_E_NS1_11comp_targetILNS1_3genE10ELNS1_11target_archE1200ELNS1_3gpuE4ELNS1_3repE0EEENS1_30default_config_static_selectorELNS0_4arch9wavefront6targetE1EEEvT1_
	.p2align	8
	.type	_ZN7rocprim17ROCPRIM_400000_NS6detail17trampoline_kernelINS0_14default_configENS1_27scan_by_key_config_selectorIssEEZZNS1_16scan_by_key_implILNS1_25lookback_scan_determinismE0ELb0ES3_N6thrust23THRUST_200600_302600_NS6detail15normal_iteratorINS9_10device_ptrIsEEEESE_SE_sNS9_4plusIvEENS9_8equal_toIsEEsEE10hipError_tPvRmT2_T3_T4_T5_mT6_T7_P12ihipStream_tbENKUlT_T0_E_clISt17integral_constantIbLb1EESZ_EEDaSU_SV_EUlSU_E_NS1_11comp_targetILNS1_3genE10ELNS1_11target_archE1200ELNS1_3gpuE4ELNS1_3repE0EEENS1_30default_config_static_selectorELNS0_4arch9wavefront6targetE1EEEvT1_,@function
_ZN7rocprim17ROCPRIM_400000_NS6detail17trampoline_kernelINS0_14default_configENS1_27scan_by_key_config_selectorIssEEZZNS1_16scan_by_key_implILNS1_25lookback_scan_determinismE0ELb0ES3_N6thrust23THRUST_200600_302600_NS6detail15normal_iteratorINS9_10device_ptrIsEEEESE_SE_sNS9_4plusIvEENS9_8equal_toIsEEsEE10hipError_tPvRmT2_T3_T4_T5_mT6_T7_P12ihipStream_tbENKUlT_T0_E_clISt17integral_constantIbLb1EESZ_EEDaSU_SV_EUlSU_E_NS1_11comp_targetILNS1_3genE10ELNS1_11target_archE1200ELNS1_3gpuE4ELNS1_3repE0EEENS1_30default_config_static_selectorELNS0_4arch9wavefront6targetE1EEEvT1_: ; @_ZN7rocprim17ROCPRIM_400000_NS6detail17trampoline_kernelINS0_14default_configENS1_27scan_by_key_config_selectorIssEEZZNS1_16scan_by_key_implILNS1_25lookback_scan_determinismE0ELb0ES3_N6thrust23THRUST_200600_302600_NS6detail15normal_iteratorINS9_10device_ptrIsEEEESE_SE_sNS9_4plusIvEENS9_8equal_toIsEEsEE10hipError_tPvRmT2_T3_T4_T5_mT6_T7_P12ihipStream_tbENKUlT_T0_E_clISt17integral_constantIbLb1EESZ_EEDaSU_SV_EUlSU_E_NS1_11comp_targetILNS1_3genE10ELNS1_11target_archE1200ELNS1_3gpuE4ELNS1_3repE0EEENS1_30default_config_static_selectorELNS0_4arch9wavefront6targetE1EEEvT1_
; %bb.0:
	.section	.rodata,"a",@progbits
	.p2align	6, 0x0
	.amdhsa_kernel _ZN7rocprim17ROCPRIM_400000_NS6detail17trampoline_kernelINS0_14default_configENS1_27scan_by_key_config_selectorIssEEZZNS1_16scan_by_key_implILNS1_25lookback_scan_determinismE0ELb0ES3_N6thrust23THRUST_200600_302600_NS6detail15normal_iteratorINS9_10device_ptrIsEEEESE_SE_sNS9_4plusIvEENS9_8equal_toIsEEsEE10hipError_tPvRmT2_T3_T4_T5_mT6_T7_P12ihipStream_tbENKUlT_T0_E_clISt17integral_constantIbLb1EESZ_EEDaSU_SV_EUlSU_E_NS1_11comp_targetILNS1_3genE10ELNS1_11target_archE1200ELNS1_3gpuE4ELNS1_3repE0EEENS1_30default_config_static_selectorELNS0_4arch9wavefront6targetE1EEEvT1_
		.amdhsa_group_segment_fixed_size 0
		.amdhsa_private_segment_fixed_size 0
		.amdhsa_kernarg_size 112
		.amdhsa_user_sgpr_count 2
		.amdhsa_user_sgpr_dispatch_ptr 0
		.amdhsa_user_sgpr_queue_ptr 0
		.amdhsa_user_sgpr_kernarg_segment_ptr 1
		.amdhsa_user_sgpr_dispatch_id 0
		.amdhsa_user_sgpr_kernarg_preload_length 0
		.amdhsa_user_sgpr_kernarg_preload_offset 0
		.amdhsa_user_sgpr_private_segment_size 0
		.amdhsa_uses_dynamic_stack 0
		.amdhsa_enable_private_segment 0
		.amdhsa_system_sgpr_workgroup_id_x 1
		.amdhsa_system_sgpr_workgroup_id_y 0
		.amdhsa_system_sgpr_workgroup_id_z 0
		.amdhsa_system_sgpr_workgroup_info 0
		.amdhsa_system_vgpr_workitem_id 0
		.amdhsa_next_free_vgpr 1
		.amdhsa_next_free_sgpr 0
		.amdhsa_accum_offset 4
		.amdhsa_reserve_vcc 0
		.amdhsa_float_round_mode_32 0
		.amdhsa_float_round_mode_16_64 0
		.amdhsa_float_denorm_mode_32 3
		.amdhsa_float_denorm_mode_16_64 3
		.amdhsa_dx10_clamp 1
		.amdhsa_ieee_mode 1
		.amdhsa_fp16_overflow 0
		.amdhsa_tg_split 0
		.amdhsa_exception_fp_ieee_invalid_op 0
		.amdhsa_exception_fp_denorm_src 0
		.amdhsa_exception_fp_ieee_div_zero 0
		.amdhsa_exception_fp_ieee_overflow 0
		.amdhsa_exception_fp_ieee_underflow 0
		.amdhsa_exception_fp_ieee_inexact 0
		.amdhsa_exception_int_div_zero 0
	.end_amdhsa_kernel
	.section	.text._ZN7rocprim17ROCPRIM_400000_NS6detail17trampoline_kernelINS0_14default_configENS1_27scan_by_key_config_selectorIssEEZZNS1_16scan_by_key_implILNS1_25lookback_scan_determinismE0ELb0ES3_N6thrust23THRUST_200600_302600_NS6detail15normal_iteratorINS9_10device_ptrIsEEEESE_SE_sNS9_4plusIvEENS9_8equal_toIsEEsEE10hipError_tPvRmT2_T3_T4_T5_mT6_T7_P12ihipStream_tbENKUlT_T0_E_clISt17integral_constantIbLb1EESZ_EEDaSU_SV_EUlSU_E_NS1_11comp_targetILNS1_3genE10ELNS1_11target_archE1200ELNS1_3gpuE4ELNS1_3repE0EEENS1_30default_config_static_selectorELNS0_4arch9wavefront6targetE1EEEvT1_,"axG",@progbits,_ZN7rocprim17ROCPRIM_400000_NS6detail17trampoline_kernelINS0_14default_configENS1_27scan_by_key_config_selectorIssEEZZNS1_16scan_by_key_implILNS1_25lookback_scan_determinismE0ELb0ES3_N6thrust23THRUST_200600_302600_NS6detail15normal_iteratorINS9_10device_ptrIsEEEESE_SE_sNS9_4plusIvEENS9_8equal_toIsEEsEE10hipError_tPvRmT2_T3_T4_T5_mT6_T7_P12ihipStream_tbENKUlT_T0_E_clISt17integral_constantIbLb1EESZ_EEDaSU_SV_EUlSU_E_NS1_11comp_targetILNS1_3genE10ELNS1_11target_archE1200ELNS1_3gpuE4ELNS1_3repE0EEENS1_30default_config_static_selectorELNS0_4arch9wavefront6targetE1EEEvT1_,comdat
.Lfunc_end332:
	.size	_ZN7rocprim17ROCPRIM_400000_NS6detail17trampoline_kernelINS0_14default_configENS1_27scan_by_key_config_selectorIssEEZZNS1_16scan_by_key_implILNS1_25lookback_scan_determinismE0ELb0ES3_N6thrust23THRUST_200600_302600_NS6detail15normal_iteratorINS9_10device_ptrIsEEEESE_SE_sNS9_4plusIvEENS9_8equal_toIsEEsEE10hipError_tPvRmT2_T3_T4_T5_mT6_T7_P12ihipStream_tbENKUlT_T0_E_clISt17integral_constantIbLb1EESZ_EEDaSU_SV_EUlSU_E_NS1_11comp_targetILNS1_3genE10ELNS1_11target_archE1200ELNS1_3gpuE4ELNS1_3repE0EEENS1_30default_config_static_selectorELNS0_4arch9wavefront6targetE1EEEvT1_, .Lfunc_end332-_ZN7rocprim17ROCPRIM_400000_NS6detail17trampoline_kernelINS0_14default_configENS1_27scan_by_key_config_selectorIssEEZZNS1_16scan_by_key_implILNS1_25lookback_scan_determinismE0ELb0ES3_N6thrust23THRUST_200600_302600_NS6detail15normal_iteratorINS9_10device_ptrIsEEEESE_SE_sNS9_4plusIvEENS9_8equal_toIsEEsEE10hipError_tPvRmT2_T3_T4_T5_mT6_T7_P12ihipStream_tbENKUlT_T0_E_clISt17integral_constantIbLb1EESZ_EEDaSU_SV_EUlSU_E_NS1_11comp_targetILNS1_3genE10ELNS1_11target_archE1200ELNS1_3gpuE4ELNS1_3repE0EEENS1_30default_config_static_selectorELNS0_4arch9wavefront6targetE1EEEvT1_
                                        ; -- End function
	.section	.AMDGPU.csdata,"",@progbits
; Kernel info:
; codeLenInByte = 0
; NumSgprs: 6
; NumVgprs: 0
; NumAgprs: 0
; TotalNumVgprs: 0
; ScratchSize: 0
; MemoryBound: 0
; FloatMode: 240
; IeeeMode: 1
; LDSByteSize: 0 bytes/workgroup (compile time only)
; SGPRBlocks: 0
; VGPRBlocks: 0
; NumSGPRsForWavesPerEU: 6
; NumVGPRsForWavesPerEU: 1
; AccumOffset: 4
; Occupancy: 8
; WaveLimiterHint : 0
; COMPUTE_PGM_RSRC2:SCRATCH_EN: 0
; COMPUTE_PGM_RSRC2:USER_SGPR: 2
; COMPUTE_PGM_RSRC2:TRAP_HANDLER: 0
; COMPUTE_PGM_RSRC2:TGID_X_EN: 1
; COMPUTE_PGM_RSRC2:TGID_Y_EN: 0
; COMPUTE_PGM_RSRC2:TGID_Z_EN: 0
; COMPUTE_PGM_RSRC2:TIDIG_COMP_CNT: 0
; COMPUTE_PGM_RSRC3_GFX90A:ACCUM_OFFSET: 0
; COMPUTE_PGM_RSRC3_GFX90A:TG_SPLIT: 0
	.section	.text._ZN7rocprim17ROCPRIM_400000_NS6detail17trampoline_kernelINS0_14default_configENS1_27scan_by_key_config_selectorIssEEZZNS1_16scan_by_key_implILNS1_25lookback_scan_determinismE0ELb0ES3_N6thrust23THRUST_200600_302600_NS6detail15normal_iteratorINS9_10device_ptrIsEEEESE_SE_sNS9_4plusIvEENS9_8equal_toIsEEsEE10hipError_tPvRmT2_T3_T4_T5_mT6_T7_P12ihipStream_tbENKUlT_T0_E_clISt17integral_constantIbLb1EESZ_EEDaSU_SV_EUlSU_E_NS1_11comp_targetILNS1_3genE9ELNS1_11target_archE1100ELNS1_3gpuE3ELNS1_3repE0EEENS1_30default_config_static_selectorELNS0_4arch9wavefront6targetE1EEEvT1_,"axG",@progbits,_ZN7rocprim17ROCPRIM_400000_NS6detail17trampoline_kernelINS0_14default_configENS1_27scan_by_key_config_selectorIssEEZZNS1_16scan_by_key_implILNS1_25lookback_scan_determinismE0ELb0ES3_N6thrust23THRUST_200600_302600_NS6detail15normal_iteratorINS9_10device_ptrIsEEEESE_SE_sNS9_4plusIvEENS9_8equal_toIsEEsEE10hipError_tPvRmT2_T3_T4_T5_mT6_T7_P12ihipStream_tbENKUlT_T0_E_clISt17integral_constantIbLb1EESZ_EEDaSU_SV_EUlSU_E_NS1_11comp_targetILNS1_3genE9ELNS1_11target_archE1100ELNS1_3gpuE3ELNS1_3repE0EEENS1_30default_config_static_selectorELNS0_4arch9wavefront6targetE1EEEvT1_,comdat
	.protected	_ZN7rocprim17ROCPRIM_400000_NS6detail17trampoline_kernelINS0_14default_configENS1_27scan_by_key_config_selectorIssEEZZNS1_16scan_by_key_implILNS1_25lookback_scan_determinismE0ELb0ES3_N6thrust23THRUST_200600_302600_NS6detail15normal_iteratorINS9_10device_ptrIsEEEESE_SE_sNS9_4plusIvEENS9_8equal_toIsEEsEE10hipError_tPvRmT2_T3_T4_T5_mT6_T7_P12ihipStream_tbENKUlT_T0_E_clISt17integral_constantIbLb1EESZ_EEDaSU_SV_EUlSU_E_NS1_11comp_targetILNS1_3genE9ELNS1_11target_archE1100ELNS1_3gpuE3ELNS1_3repE0EEENS1_30default_config_static_selectorELNS0_4arch9wavefront6targetE1EEEvT1_ ; -- Begin function _ZN7rocprim17ROCPRIM_400000_NS6detail17trampoline_kernelINS0_14default_configENS1_27scan_by_key_config_selectorIssEEZZNS1_16scan_by_key_implILNS1_25lookback_scan_determinismE0ELb0ES3_N6thrust23THRUST_200600_302600_NS6detail15normal_iteratorINS9_10device_ptrIsEEEESE_SE_sNS9_4plusIvEENS9_8equal_toIsEEsEE10hipError_tPvRmT2_T3_T4_T5_mT6_T7_P12ihipStream_tbENKUlT_T0_E_clISt17integral_constantIbLb1EESZ_EEDaSU_SV_EUlSU_E_NS1_11comp_targetILNS1_3genE9ELNS1_11target_archE1100ELNS1_3gpuE3ELNS1_3repE0EEENS1_30default_config_static_selectorELNS0_4arch9wavefront6targetE1EEEvT1_
	.globl	_ZN7rocprim17ROCPRIM_400000_NS6detail17trampoline_kernelINS0_14default_configENS1_27scan_by_key_config_selectorIssEEZZNS1_16scan_by_key_implILNS1_25lookback_scan_determinismE0ELb0ES3_N6thrust23THRUST_200600_302600_NS6detail15normal_iteratorINS9_10device_ptrIsEEEESE_SE_sNS9_4plusIvEENS9_8equal_toIsEEsEE10hipError_tPvRmT2_T3_T4_T5_mT6_T7_P12ihipStream_tbENKUlT_T0_E_clISt17integral_constantIbLb1EESZ_EEDaSU_SV_EUlSU_E_NS1_11comp_targetILNS1_3genE9ELNS1_11target_archE1100ELNS1_3gpuE3ELNS1_3repE0EEENS1_30default_config_static_selectorELNS0_4arch9wavefront6targetE1EEEvT1_
	.p2align	8
	.type	_ZN7rocprim17ROCPRIM_400000_NS6detail17trampoline_kernelINS0_14default_configENS1_27scan_by_key_config_selectorIssEEZZNS1_16scan_by_key_implILNS1_25lookback_scan_determinismE0ELb0ES3_N6thrust23THRUST_200600_302600_NS6detail15normal_iteratorINS9_10device_ptrIsEEEESE_SE_sNS9_4plusIvEENS9_8equal_toIsEEsEE10hipError_tPvRmT2_T3_T4_T5_mT6_T7_P12ihipStream_tbENKUlT_T0_E_clISt17integral_constantIbLb1EESZ_EEDaSU_SV_EUlSU_E_NS1_11comp_targetILNS1_3genE9ELNS1_11target_archE1100ELNS1_3gpuE3ELNS1_3repE0EEENS1_30default_config_static_selectorELNS0_4arch9wavefront6targetE1EEEvT1_,@function
_ZN7rocprim17ROCPRIM_400000_NS6detail17trampoline_kernelINS0_14default_configENS1_27scan_by_key_config_selectorIssEEZZNS1_16scan_by_key_implILNS1_25lookback_scan_determinismE0ELb0ES3_N6thrust23THRUST_200600_302600_NS6detail15normal_iteratorINS9_10device_ptrIsEEEESE_SE_sNS9_4plusIvEENS9_8equal_toIsEEsEE10hipError_tPvRmT2_T3_T4_T5_mT6_T7_P12ihipStream_tbENKUlT_T0_E_clISt17integral_constantIbLb1EESZ_EEDaSU_SV_EUlSU_E_NS1_11comp_targetILNS1_3genE9ELNS1_11target_archE1100ELNS1_3gpuE3ELNS1_3repE0EEENS1_30default_config_static_selectorELNS0_4arch9wavefront6targetE1EEEvT1_: ; @_ZN7rocprim17ROCPRIM_400000_NS6detail17trampoline_kernelINS0_14default_configENS1_27scan_by_key_config_selectorIssEEZZNS1_16scan_by_key_implILNS1_25lookback_scan_determinismE0ELb0ES3_N6thrust23THRUST_200600_302600_NS6detail15normal_iteratorINS9_10device_ptrIsEEEESE_SE_sNS9_4plusIvEENS9_8equal_toIsEEsEE10hipError_tPvRmT2_T3_T4_T5_mT6_T7_P12ihipStream_tbENKUlT_T0_E_clISt17integral_constantIbLb1EESZ_EEDaSU_SV_EUlSU_E_NS1_11comp_targetILNS1_3genE9ELNS1_11target_archE1100ELNS1_3gpuE3ELNS1_3repE0EEENS1_30default_config_static_selectorELNS0_4arch9wavefront6targetE1EEEvT1_
; %bb.0:
	.section	.rodata,"a",@progbits
	.p2align	6, 0x0
	.amdhsa_kernel _ZN7rocprim17ROCPRIM_400000_NS6detail17trampoline_kernelINS0_14default_configENS1_27scan_by_key_config_selectorIssEEZZNS1_16scan_by_key_implILNS1_25lookback_scan_determinismE0ELb0ES3_N6thrust23THRUST_200600_302600_NS6detail15normal_iteratorINS9_10device_ptrIsEEEESE_SE_sNS9_4plusIvEENS9_8equal_toIsEEsEE10hipError_tPvRmT2_T3_T4_T5_mT6_T7_P12ihipStream_tbENKUlT_T0_E_clISt17integral_constantIbLb1EESZ_EEDaSU_SV_EUlSU_E_NS1_11comp_targetILNS1_3genE9ELNS1_11target_archE1100ELNS1_3gpuE3ELNS1_3repE0EEENS1_30default_config_static_selectorELNS0_4arch9wavefront6targetE1EEEvT1_
		.amdhsa_group_segment_fixed_size 0
		.amdhsa_private_segment_fixed_size 0
		.amdhsa_kernarg_size 112
		.amdhsa_user_sgpr_count 2
		.amdhsa_user_sgpr_dispatch_ptr 0
		.amdhsa_user_sgpr_queue_ptr 0
		.amdhsa_user_sgpr_kernarg_segment_ptr 1
		.amdhsa_user_sgpr_dispatch_id 0
		.amdhsa_user_sgpr_kernarg_preload_length 0
		.amdhsa_user_sgpr_kernarg_preload_offset 0
		.amdhsa_user_sgpr_private_segment_size 0
		.amdhsa_uses_dynamic_stack 0
		.amdhsa_enable_private_segment 0
		.amdhsa_system_sgpr_workgroup_id_x 1
		.amdhsa_system_sgpr_workgroup_id_y 0
		.amdhsa_system_sgpr_workgroup_id_z 0
		.amdhsa_system_sgpr_workgroup_info 0
		.amdhsa_system_vgpr_workitem_id 0
		.amdhsa_next_free_vgpr 1
		.amdhsa_next_free_sgpr 0
		.amdhsa_accum_offset 4
		.amdhsa_reserve_vcc 0
		.amdhsa_float_round_mode_32 0
		.amdhsa_float_round_mode_16_64 0
		.amdhsa_float_denorm_mode_32 3
		.amdhsa_float_denorm_mode_16_64 3
		.amdhsa_dx10_clamp 1
		.amdhsa_ieee_mode 1
		.amdhsa_fp16_overflow 0
		.amdhsa_tg_split 0
		.amdhsa_exception_fp_ieee_invalid_op 0
		.amdhsa_exception_fp_denorm_src 0
		.amdhsa_exception_fp_ieee_div_zero 0
		.amdhsa_exception_fp_ieee_overflow 0
		.amdhsa_exception_fp_ieee_underflow 0
		.amdhsa_exception_fp_ieee_inexact 0
		.amdhsa_exception_int_div_zero 0
	.end_amdhsa_kernel
	.section	.text._ZN7rocprim17ROCPRIM_400000_NS6detail17trampoline_kernelINS0_14default_configENS1_27scan_by_key_config_selectorIssEEZZNS1_16scan_by_key_implILNS1_25lookback_scan_determinismE0ELb0ES3_N6thrust23THRUST_200600_302600_NS6detail15normal_iteratorINS9_10device_ptrIsEEEESE_SE_sNS9_4plusIvEENS9_8equal_toIsEEsEE10hipError_tPvRmT2_T3_T4_T5_mT6_T7_P12ihipStream_tbENKUlT_T0_E_clISt17integral_constantIbLb1EESZ_EEDaSU_SV_EUlSU_E_NS1_11comp_targetILNS1_3genE9ELNS1_11target_archE1100ELNS1_3gpuE3ELNS1_3repE0EEENS1_30default_config_static_selectorELNS0_4arch9wavefront6targetE1EEEvT1_,"axG",@progbits,_ZN7rocprim17ROCPRIM_400000_NS6detail17trampoline_kernelINS0_14default_configENS1_27scan_by_key_config_selectorIssEEZZNS1_16scan_by_key_implILNS1_25lookback_scan_determinismE0ELb0ES3_N6thrust23THRUST_200600_302600_NS6detail15normal_iteratorINS9_10device_ptrIsEEEESE_SE_sNS9_4plusIvEENS9_8equal_toIsEEsEE10hipError_tPvRmT2_T3_T4_T5_mT6_T7_P12ihipStream_tbENKUlT_T0_E_clISt17integral_constantIbLb1EESZ_EEDaSU_SV_EUlSU_E_NS1_11comp_targetILNS1_3genE9ELNS1_11target_archE1100ELNS1_3gpuE3ELNS1_3repE0EEENS1_30default_config_static_selectorELNS0_4arch9wavefront6targetE1EEEvT1_,comdat
.Lfunc_end333:
	.size	_ZN7rocprim17ROCPRIM_400000_NS6detail17trampoline_kernelINS0_14default_configENS1_27scan_by_key_config_selectorIssEEZZNS1_16scan_by_key_implILNS1_25lookback_scan_determinismE0ELb0ES3_N6thrust23THRUST_200600_302600_NS6detail15normal_iteratorINS9_10device_ptrIsEEEESE_SE_sNS9_4plusIvEENS9_8equal_toIsEEsEE10hipError_tPvRmT2_T3_T4_T5_mT6_T7_P12ihipStream_tbENKUlT_T0_E_clISt17integral_constantIbLb1EESZ_EEDaSU_SV_EUlSU_E_NS1_11comp_targetILNS1_3genE9ELNS1_11target_archE1100ELNS1_3gpuE3ELNS1_3repE0EEENS1_30default_config_static_selectorELNS0_4arch9wavefront6targetE1EEEvT1_, .Lfunc_end333-_ZN7rocprim17ROCPRIM_400000_NS6detail17trampoline_kernelINS0_14default_configENS1_27scan_by_key_config_selectorIssEEZZNS1_16scan_by_key_implILNS1_25lookback_scan_determinismE0ELb0ES3_N6thrust23THRUST_200600_302600_NS6detail15normal_iteratorINS9_10device_ptrIsEEEESE_SE_sNS9_4plusIvEENS9_8equal_toIsEEsEE10hipError_tPvRmT2_T3_T4_T5_mT6_T7_P12ihipStream_tbENKUlT_T0_E_clISt17integral_constantIbLb1EESZ_EEDaSU_SV_EUlSU_E_NS1_11comp_targetILNS1_3genE9ELNS1_11target_archE1100ELNS1_3gpuE3ELNS1_3repE0EEENS1_30default_config_static_selectorELNS0_4arch9wavefront6targetE1EEEvT1_
                                        ; -- End function
	.section	.AMDGPU.csdata,"",@progbits
; Kernel info:
; codeLenInByte = 0
; NumSgprs: 6
; NumVgprs: 0
; NumAgprs: 0
; TotalNumVgprs: 0
; ScratchSize: 0
; MemoryBound: 0
; FloatMode: 240
; IeeeMode: 1
; LDSByteSize: 0 bytes/workgroup (compile time only)
; SGPRBlocks: 0
; VGPRBlocks: 0
; NumSGPRsForWavesPerEU: 6
; NumVGPRsForWavesPerEU: 1
; AccumOffset: 4
; Occupancy: 8
; WaveLimiterHint : 0
; COMPUTE_PGM_RSRC2:SCRATCH_EN: 0
; COMPUTE_PGM_RSRC2:USER_SGPR: 2
; COMPUTE_PGM_RSRC2:TRAP_HANDLER: 0
; COMPUTE_PGM_RSRC2:TGID_X_EN: 1
; COMPUTE_PGM_RSRC2:TGID_Y_EN: 0
; COMPUTE_PGM_RSRC2:TGID_Z_EN: 0
; COMPUTE_PGM_RSRC2:TIDIG_COMP_CNT: 0
; COMPUTE_PGM_RSRC3_GFX90A:ACCUM_OFFSET: 0
; COMPUTE_PGM_RSRC3_GFX90A:TG_SPLIT: 0
	.section	.text._ZN7rocprim17ROCPRIM_400000_NS6detail17trampoline_kernelINS0_14default_configENS1_27scan_by_key_config_selectorIssEEZZNS1_16scan_by_key_implILNS1_25lookback_scan_determinismE0ELb0ES3_N6thrust23THRUST_200600_302600_NS6detail15normal_iteratorINS9_10device_ptrIsEEEESE_SE_sNS9_4plusIvEENS9_8equal_toIsEEsEE10hipError_tPvRmT2_T3_T4_T5_mT6_T7_P12ihipStream_tbENKUlT_T0_E_clISt17integral_constantIbLb1EESZ_EEDaSU_SV_EUlSU_E_NS1_11comp_targetILNS1_3genE8ELNS1_11target_archE1030ELNS1_3gpuE2ELNS1_3repE0EEENS1_30default_config_static_selectorELNS0_4arch9wavefront6targetE1EEEvT1_,"axG",@progbits,_ZN7rocprim17ROCPRIM_400000_NS6detail17trampoline_kernelINS0_14default_configENS1_27scan_by_key_config_selectorIssEEZZNS1_16scan_by_key_implILNS1_25lookback_scan_determinismE0ELb0ES3_N6thrust23THRUST_200600_302600_NS6detail15normal_iteratorINS9_10device_ptrIsEEEESE_SE_sNS9_4plusIvEENS9_8equal_toIsEEsEE10hipError_tPvRmT2_T3_T4_T5_mT6_T7_P12ihipStream_tbENKUlT_T0_E_clISt17integral_constantIbLb1EESZ_EEDaSU_SV_EUlSU_E_NS1_11comp_targetILNS1_3genE8ELNS1_11target_archE1030ELNS1_3gpuE2ELNS1_3repE0EEENS1_30default_config_static_selectorELNS0_4arch9wavefront6targetE1EEEvT1_,comdat
	.protected	_ZN7rocprim17ROCPRIM_400000_NS6detail17trampoline_kernelINS0_14default_configENS1_27scan_by_key_config_selectorIssEEZZNS1_16scan_by_key_implILNS1_25lookback_scan_determinismE0ELb0ES3_N6thrust23THRUST_200600_302600_NS6detail15normal_iteratorINS9_10device_ptrIsEEEESE_SE_sNS9_4plusIvEENS9_8equal_toIsEEsEE10hipError_tPvRmT2_T3_T4_T5_mT6_T7_P12ihipStream_tbENKUlT_T0_E_clISt17integral_constantIbLb1EESZ_EEDaSU_SV_EUlSU_E_NS1_11comp_targetILNS1_3genE8ELNS1_11target_archE1030ELNS1_3gpuE2ELNS1_3repE0EEENS1_30default_config_static_selectorELNS0_4arch9wavefront6targetE1EEEvT1_ ; -- Begin function _ZN7rocprim17ROCPRIM_400000_NS6detail17trampoline_kernelINS0_14default_configENS1_27scan_by_key_config_selectorIssEEZZNS1_16scan_by_key_implILNS1_25lookback_scan_determinismE0ELb0ES3_N6thrust23THRUST_200600_302600_NS6detail15normal_iteratorINS9_10device_ptrIsEEEESE_SE_sNS9_4plusIvEENS9_8equal_toIsEEsEE10hipError_tPvRmT2_T3_T4_T5_mT6_T7_P12ihipStream_tbENKUlT_T0_E_clISt17integral_constantIbLb1EESZ_EEDaSU_SV_EUlSU_E_NS1_11comp_targetILNS1_3genE8ELNS1_11target_archE1030ELNS1_3gpuE2ELNS1_3repE0EEENS1_30default_config_static_selectorELNS0_4arch9wavefront6targetE1EEEvT1_
	.globl	_ZN7rocprim17ROCPRIM_400000_NS6detail17trampoline_kernelINS0_14default_configENS1_27scan_by_key_config_selectorIssEEZZNS1_16scan_by_key_implILNS1_25lookback_scan_determinismE0ELb0ES3_N6thrust23THRUST_200600_302600_NS6detail15normal_iteratorINS9_10device_ptrIsEEEESE_SE_sNS9_4plusIvEENS9_8equal_toIsEEsEE10hipError_tPvRmT2_T3_T4_T5_mT6_T7_P12ihipStream_tbENKUlT_T0_E_clISt17integral_constantIbLb1EESZ_EEDaSU_SV_EUlSU_E_NS1_11comp_targetILNS1_3genE8ELNS1_11target_archE1030ELNS1_3gpuE2ELNS1_3repE0EEENS1_30default_config_static_selectorELNS0_4arch9wavefront6targetE1EEEvT1_
	.p2align	8
	.type	_ZN7rocprim17ROCPRIM_400000_NS6detail17trampoline_kernelINS0_14default_configENS1_27scan_by_key_config_selectorIssEEZZNS1_16scan_by_key_implILNS1_25lookback_scan_determinismE0ELb0ES3_N6thrust23THRUST_200600_302600_NS6detail15normal_iteratorINS9_10device_ptrIsEEEESE_SE_sNS9_4plusIvEENS9_8equal_toIsEEsEE10hipError_tPvRmT2_T3_T4_T5_mT6_T7_P12ihipStream_tbENKUlT_T0_E_clISt17integral_constantIbLb1EESZ_EEDaSU_SV_EUlSU_E_NS1_11comp_targetILNS1_3genE8ELNS1_11target_archE1030ELNS1_3gpuE2ELNS1_3repE0EEENS1_30default_config_static_selectorELNS0_4arch9wavefront6targetE1EEEvT1_,@function
_ZN7rocprim17ROCPRIM_400000_NS6detail17trampoline_kernelINS0_14default_configENS1_27scan_by_key_config_selectorIssEEZZNS1_16scan_by_key_implILNS1_25lookback_scan_determinismE0ELb0ES3_N6thrust23THRUST_200600_302600_NS6detail15normal_iteratorINS9_10device_ptrIsEEEESE_SE_sNS9_4plusIvEENS9_8equal_toIsEEsEE10hipError_tPvRmT2_T3_T4_T5_mT6_T7_P12ihipStream_tbENKUlT_T0_E_clISt17integral_constantIbLb1EESZ_EEDaSU_SV_EUlSU_E_NS1_11comp_targetILNS1_3genE8ELNS1_11target_archE1030ELNS1_3gpuE2ELNS1_3repE0EEENS1_30default_config_static_selectorELNS0_4arch9wavefront6targetE1EEEvT1_: ; @_ZN7rocprim17ROCPRIM_400000_NS6detail17trampoline_kernelINS0_14default_configENS1_27scan_by_key_config_selectorIssEEZZNS1_16scan_by_key_implILNS1_25lookback_scan_determinismE0ELb0ES3_N6thrust23THRUST_200600_302600_NS6detail15normal_iteratorINS9_10device_ptrIsEEEESE_SE_sNS9_4plusIvEENS9_8equal_toIsEEsEE10hipError_tPvRmT2_T3_T4_T5_mT6_T7_P12ihipStream_tbENKUlT_T0_E_clISt17integral_constantIbLb1EESZ_EEDaSU_SV_EUlSU_E_NS1_11comp_targetILNS1_3genE8ELNS1_11target_archE1030ELNS1_3gpuE2ELNS1_3repE0EEENS1_30default_config_static_selectorELNS0_4arch9wavefront6targetE1EEEvT1_
; %bb.0:
	.section	.rodata,"a",@progbits
	.p2align	6, 0x0
	.amdhsa_kernel _ZN7rocprim17ROCPRIM_400000_NS6detail17trampoline_kernelINS0_14default_configENS1_27scan_by_key_config_selectorIssEEZZNS1_16scan_by_key_implILNS1_25lookback_scan_determinismE0ELb0ES3_N6thrust23THRUST_200600_302600_NS6detail15normal_iteratorINS9_10device_ptrIsEEEESE_SE_sNS9_4plusIvEENS9_8equal_toIsEEsEE10hipError_tPvRmT2_T3_T4_T5_mT6_T7_P12ihipStream_tbENKUlT_T0_E_clISt17integral_constantIbLb1EESZ_EEDaSU_SV_EUlSU_E_NS1_11comp_targetILNS1_3genE8ELNS1_11target_archE1030ELNS1_3gpuE2ELNS1_3repE0EEENS1_30default_config_static_selectorELNS0_4arch9wavefront6targetE1EEEvT1_
		.amdhsa_group_segment_fixed_size 0
		.amdhsa_private_segment_fixed_size 0
		.amdhsa_kernarg_size 112
		.amdhsa_user_sgpr_count 2
		.amdhsa_user_sgpr_dispatch_ptr 0
		.amdhsa_user_sgpr_queue_ptr 0
		.amdhsa_user_sgpr_kernarg_segment_ptr 1
		.amdhsa_user_sgpr_dispatch_id 0
		.amdhsa_user_sgpr_kernarg_preload_length 0
		.amdhsa_user_sgpr_kernarg_preload_offset 0
		.amdhsa_user_sgpr_private_segment_size 0
		.amdhsa_uses_dynamic_stack 0
		.amdhsa_enable_private_segment 0
		.amdhsa_system_sgpr_workgroup_id_x 1
		.amdhsa_system_sgpr_workgroup_id_y 0
		.amdhsa_system_sgpr_workgroup_id_z 0
		.amdhsa_system_sgpr_workgroup_info 0
		.amdhsa_system_vgpr_workitem_id 0
		.amdhsa_next_free_vgpr 1
		.amdhsa_next_free_sgpr 0
		.amdhsa_accum_offset 4
		.amdhsa_reserve_vcc 0
		.amdhsa_float_round_mode_32 0
		.amdhsa_float_round_mode_16_64 0
		.amdhsa_float_denorm_mode_32 3
		.amdhsa_float_denorm_mode_16_64 3
		.amdhsa_dx10_clamp 1
		.amdhsa_ieee_mode 1
		.amdhsa_fp16_overflow 0
		.amdhsa_tg_split 0
		.amdhsa_exception_fp_ieee_invalid_op 0
		.amdhsa_exception_fp_denorm_src 0
		.amdhsa_exception_fp_ieee_div_zero 0
		.amdhsa_exception_fp_ieee_overflow 0
		.amdhsa_exception_fp_ieee_underflow 0
		.amdhsa_exception_fp_ieee_inexact 0
		.amdhsa_exception_int_div_zero 0
	.end_amdhsa_kernel
	.section	.text._ZN7rocprim17ROCPRIM_400000_NS6detail17trampoline_kernelINS0_14default_configENS1_27scan_by_key_config_selectorIssEEZZNS1_16scan_by_key_implILNS1_25lookback_scan_determinismE0ELb0ES3_N6thrust23THRUST_200600_302600_NS6detail15normal_iteratorINS9_10device_ptrIsEEEESE_SE_sNS9_4plusIvEENS9_8equal_toIsEEsEE10hipError_tPvRmT2_T3_T4_T5_mT6_T7_P12ihipStream_tbENKUlT_T0_E_clISt17integral_constantIbLb1EESZ_EEDaSU_SV_EUlSU_E_NS1_11comp_targetILNS1_3genE8ELNS1_11target_archE1030ELNS1_3gpuE2ELNS1_3repE0EEENS1_30default_config_static_selectorELNS0_4arch9wavefront6targetE1EEEvT1_,"axG",@progbits,_ZN7rocprim17ROCPRIM_400000_NS6detail17trampoline_kernelINS0_14default_configENS1_27scan_by_key_config_selectorIssEEZZNS1_16scan_by_key_implILNS1_25lookback_scan_determinismE0ELb0ES3_N6thrust23THRUST_200600_302600_NS6detail15normal_iteratorINS9_10device_ptrIsEEEESE_SE_sNS9_4plusIvEENS9_8equal_toIsEEsEE10hipError_tPvRmT2_T3_T4_T5_mT6_T7_P12ihipStream_tbENKUlT_T0_E_clISt17integral_constantIbLb1EESZ_EEDaSU_SV_EUlSU_E_NS1_11comp_targetILNS1_3genE8ELNS1_11target_archE1030ELNS1_3gpuE2ELNS1_3repE0EEENS1_30default_config_static_selectorELNS0_4arch9wavefront6targetE1EEEvT1_,comdat
.Lfunc_end334:
	.size	_ZN7rocprim17ROCPRIM_400000_NS6detail17trampoline_kernelINS0_14default_configENS1_27scan_by_key_config_selectorIssEEZZNS1_16scan_by_key_implILNS1_25lookback_scan_determinismE0ELb0ES3_N6thrust23THRUST_200600_302600_NS6detail15normal_iteratorINS9_10device_ptrIsEEEESE_SE_sNS9_4plusIvEENS9_8equal_toIsEEsEE10hipError_tPvRmT2_T3_T4_T5_mT6_T7_P12ihipStream_tbENKUlT_T0_E_clISt17integral_constantIbLb1EESZ_EEDaSU_SV_EUlSU_E_NS1_11comp_targetILNS1_3genE8ELNS1_11target_archE1030ELNS1_3gpuE2ELNS1_3repE0EEENS1_30default_config_static_selectorELNS0_4arch9wavefront6targetE1EEEvT1_, .Lfunc_end334-_ZN7rocprim17ROCPRIM_400000_NS6detail17trampoline_kernelINS0_14default_configENS1_27scan_by_key_config_selectorIssEEZZNS1_16scan_by_key_implILNS1_25lookback_scan_determinismE0ELb0ES3_N6thrust23THRUST_200600_302600_NS6detail15normal_iteratorINS9_10device_ptrIsEEEESE_SE_sNS9_4plusIvEENS9_8equal_toIsEEsEE10hipError_tPvRmT2_T3_T4_T5_mT6_T7_P12ihipStream_tbENKUlT_T0_E_clISt17integral_constantIbLb1EESZ_EEDaSU_SV_EUlSU_E_NS1_11comp_targetILNS1_3genE8ELNS1_11target_archE1030ELNS1_3gpuE2ELNS1_3repE0EEENS1_30default_config_static_selectorELNS0_4arch9wavefront6targetE1EEEvT1_
                                        ; -- End function
	.section	.AMDGPU.csdata,"",@progbits
; Kernel info:
; codeLenInByte = 0
; NumSgprs: 6
; NumVgprs: 0
; NumAgprs: 0
; TotalNumVgprs: 0
; ScratchSize: 0
; MemoryBound: 0
; FloatMode: 240
; IeeeMode: 1
; LDSByteSize: 0 bytes/workgroup (compile time only)
; SGPRBlocks: 0
; VGPRBlocks: 0
; NumSGPRsForWavesPerEU: 6
; NumVGPRsForWavesPerEU: 1
; AccumOffset: 4
; Occupancy: 8
; WaveLimiterHint : 0
; COMPUTE_PGM_RSRC2:SCRATCH_EN: 0
; COMPUTE_PGM_RSRC2:USER_SGPR: 2
; COMPUTE_PGM_RSRC2:TRAP_HANDLER: 0
; COMPUTE_PGM_RSRC2:TGID_X_EN: 1
; COMPUTE_PGM_RSRC2:TGID_Y_EN: 0
; COMPUTE_PGM_RSRC2:TGID_Z_EN: 0
; COMPUTE_PGM_RSRC2:TIDIG_COMP_CNT: 0
; COMPUTE_PGM_RSRC3_GFX90A:ACCUM_OFFSET: 0
; COMPUTE_PGM_RSRC3_GFX90A:TG_SPLIT: 0
	.section	.text._ZN7rocprim17ROCPRIM_400000_NS6detail17trampoline_kernelINS0_14default_configENS1_27scan_by_key_config_selectorIssEEZZNS1_16scan_by_key_implILNS1_25lookback_scan_determinismE0ELb0ES3_N6thrust23THRUST_200600_302600_NS6detail15normal_iteratorINS9_10device_ptrIsEEEESE_SE_sNS9_4plusIvEENS9_8equal_toIsEEsEE10hipError_tPvRmT2_T3_T4_T5_mT6_T7_P12ihipStream_tbENKUlT_T0_E_clISt17integral_constantIbLb1EESY_IbLb0EEEEDaSU_SV_EUlSU_E_NS1_11comp_targetILNS1_3genE0ELNS1_11target_archE4294967295ELNS1_3gpuE0ELNS1_3repE0EEENS1_30default_config_static_selectorELNS0_4arch9wavefront6targetE1EEEvT1_,"axG",@progbits,_ZN7rocprim17ROCPRIM_400000_NS6detail17trampoline_kernelINS0_14default_configENS1_27scan_by_key_config_selectorIssEEZZNS1_16scan_by_key_implILNS1_25lookback_scan_determinismE0ELb0ES3_N6thrust23THRUST_200600_302600_NS6detail15normal_iteratorINS9_10device_ptrIsEEEESE_SE_sNS9_4plusIvEENS9_8equal_toIsEEsEE10hipError_tPvRmT2_T3_T4_T5_mT6_T7_P12ihipStream_tbENKUlT_T0_E_clISt17integral_constantIbLb1EESY_IbLb0EEEEDaSU_SV_EUlSU_E_NS1_11comp_targetILNS1_3genE0ELNS1_11target_archE4294967295ELNS1_3gpuE0ELNS1_3repE0EEENS1_30default_config_static_selectorELNS0_4arch9wavefront6targetE1EEEvT1_,comdat
	.protected	_ZN7rocprim17ROCPRIM_400000_NS6detail17trampoline_kernelINS0_14default_configENS1_27scan_by_key_config_selectorIssEEZZNS1_16scan_by_key_implILNS1_25lookback_scan_determinismE0ELb0ES3_N6thrust23THRUST_200600_302600_NS6detail15normal_iteratorINS9_10device_ptrIsEEEESE_SE_sNS9_4plusIvEENS9_8equal_toIsEEsEE10hipError_tPvRmT2_T3_T4_T5_mT6_T7_P12ihipStream_tbENKUlT_T0_E_clISt17integral_constantIbLb1EESY_IbLb0EEEEDaSU_SV_EUlSU_E_NS1_11comp_targetILNS1_3genE0ELNS1_11target_archE4294967295ELNS1_3gpuE0ELNS1_3repE0EEENS1_30default_config_static_selectorELNS0_4arch9wavefront6targetE1EEEvT1_ ; -- Begin function _ZN7rocprim17ROCPRIM_400000_NS6detail17trampoline_kernelINS0_14default_configENS1_27scan_by_key_config_selectorIssEEZZNS1_16scan_by_key_implILNS1_25lookback_scan_determinismE0ELb0ES3_N6thrust23THRUST_200600_302600_NS6detail15normal_iteratorINS9_10device_ptrIsEEEESE_SE_sNS9_4plusIvEENS9_8equal_toIsEEsEE10hipError_tPvRmT2_T3_T4_T5_mT6_T7_P12ihipStream_tbENKUlT_T0_E_clISt17integral_constantIbLb1EESY_IbLb0EEEEDaSU_SV_EUlSU_E_NS1_11comp_targetILNS1_3genE0ELNS1_11target_archE4294967295ELNS1_3gpuE0ELNS1_3repE0EEENS1_30default_config_static_selectorELNS0_4arch9wavefront6targetE1EEEvT1_
	.globl	_ZN7rocprim17ROCPRIM_400000_NS6detail17trampoline_kernelINS0_14default_configENS1_27scan_by_key_config_selectorIssEEZZNS1_16scan_by_key_implILNS1_25lookback_scan_determinismE0ELb0ES3_N6thrust23THRUST_200600_302600_NS6detail15normal_iteratorINS9_10device_ptrIsEEEESE_SE_sNS9_4plusIvEENS9_8equal_toIsEEsEE10hipError_tPvRmT2_T3_T4_T5_mT6_T7_P12ihipStream_tbENKUlT_T0_E_clISt17integral_constantIbLb1EESY_IbLb0EEEEDaSU_SV_EUlSU_E_NS1_11comp_targetILNS1_3genE0ELNS1_11target_archE4294967295ELNS1_3gpuE0ELNS1_3repE0EEENS1_30default_config_static_selectorELNS0_4arch9wavefront6targetE1EEEvT1_
	.p2align	8
	.type	_ZN7rocprim17ROCPRIM_400000_NS6detail17trampoline_kernelINS0_14default_configENS1_27scan_by_key_config_selectorIssEEZZNS1_16scan_by_key_implILNS1_25lookback_scan_determinismE0ELb0ES3_N6thrust23THRUST_200600_302600_NS6detail15normal_iteratorINS9_10device_ptrIsEEEESE_SE_sNS9_4plusIvEENS9_8equal_toIsEEsEE10hipError_tPvRmT2_T3_T4_T5_mT6_T7_P12ihipStream_tbENKUlT_T0_E_clISt17integral_constantIbLb1EESY_IbLb0EEEEDaSU_SV_EUlSU_E_NS1_11comp_targetILNS1_3genE0ELNS1_11target_archE4294967295ELNS1_3gpuE0ELNS1_3repE0EEENS1_30default_config_static_selectorELNS0_4arch9wavefront6targetE1EEEvT1_,@function
_ZN7rocprim17ROCPRIM_400000_NS6detail17trampoline_kernelINS0_14default_configENS1_27scan_by_key_config_selectorIssEEZZNS1_16scan_by_key_implILNS1_25lookback_scan_determinismE0ELb0ES3_N6thrust23THRUST_200600_302600_NS6detail15normal_iteratorINS9_10device_ptrIsEEEESE_SE_sNS9_4plusIvEENS9_8equal_toIsEEsEE10hipError_tPvRmT2_T3_T4_T5_mT6_T7_P12ihipStream_tbENKUlT_T0_E_clISt17integral_constantIbLb1EESY_IbLb0EEEEDaSU_SV_EUlSU_E_NS1_11comp_targetILNS1_3genE0ELNS1_11target_archE4294967295ELNS1_3gpuE0ELNS1_3repE0EEENS1_30default_config_static_selectorELNS0_4arch9wavefront6targetE1EEEvT1_: ; @_ZN7rocprim17ROCPRIM_400000_NS6detail17trampoline_kernelINS0_14default_configENS1_27scan_by_key_config_selectorIssEEZZNS1_16scan_by_key_implILNS1_25lookback_scan_determinismE0ELb0ES3_N6thrust23THRUST_200600_302600_NS6detail15normal_iteratorINS9_10device_ptrIsEEEESE_SE_sNS9_4plusIvEENS9_8equal_toIsEEsEE10hipError_tPvRmT2_T3_T4_T5_mT6_T7_P12ihipStream_tbENKUlT_T0_E_clISt17integral_constantIbLb1EESY_IbLb0EEEEDaSU_SV_EUlSU_E_NS1_11comp_targetILNS1_3genE0ELNS1_11target_archE4294967295ELNS1_3gpuE0ELNS1_3repE0EEENS1_30default_config_static_selectorELNS0_4arch9wavefront6targetE1EEEvT1_
; %bb.0:
	.section	.rodata,"a",@progbits
	.p2align	6, 0x0
	.amdhsa_kernel _ZN7rocprim17ROCPRIM_400000_NS6detail17trampoline_kernelINS0_14default_configENS1_27scan_by_key_config_selectorIssEEZZNS1_16scan_by_key_implILNS1_25lookback_scan_determinismE0ELb0ES3_N6thrust23THRUST_200600_302600_NS6detail15normal_iteratorINS9_10device_ptrIsEEEESE_SE_sNS9_4plusIvEENS9_8equal_toIsEEsEE10hipError_tPvRmT2_T3_T4_T5_mT6_T7_P12ihipStream_tbENKUlT_T0_E_clISt17integral_constantIbLb1EESY_IbLb0EEEEDaSU_SV_EUlSU_E_NS1_11comp_targetILNS1_3genE0ELNS1_11target_archE4294967295ELNS1_3gpuE0ELNS1_3repE0EEENS1_30default_config_static_selectorELNS0_4arch9wavefront6targetE1EEEvT1_
		.amdhsa_group_segment_fixed_size 0
		.amdhsa_private_segment_fixed_size 0
		.amdhsa_kernarg_size 112
		.amdhsa_user_sgpr_count 2
		.amdhsa_user_sgpr_dispatch_ptr 0
		.amdhsa_user_sgpr_queue_ptr 0
		.amdhsa_user_sgpr_kernarg_segment_ptr 1
		.amdhsa_user_sgpr_dispatch_id 0
		.amdhsa_user_sgpr_kernarg_preload_length 0
		.amdhsa_user_sgpr_kernarg_preload_offset 0
		.amdhsa_user_sgpr_private_segment_size 0
		.amdhsa_uses_dynamic_stack 0
		.amdhsa_enable_private_segment 0
		.amdhsa_system_sgpr_workgroup_id_x 1
		.amdhsa_system_sgpr_workgroup_id_y 0
		.amdhsa_system_sgpr_workgroup_id_z 0
		.amdhsa_system_sgpr_workgroup_info 0
		.amdhsa_system_vgpr_workitem_id 0
		.amdhsa_next_free_vgpr 1
		.amdhsa_next_free_sgpr 0
		.amdhsa_accum_offset 4
		.amdhsa_reserve_vcc 0
		.amdhsa_float_round_mode_32 0
		.amdhsa_float_round_mode_16_64 0
		.amdhsa_float_denorm_mode_32 3
		.amdhsa_float_denorm_mode_16_64 3
		.amdhsa_dx10_clamp 1
		.amdhsa_ieee_mode 1
		.amdhsa_fp16_overflow 0
		.amdhsa_tg_split 0
		.amdhsa_exception_fp_ieee_invalid_op 0
		.amdhsa_exception_fp_denorm_src 0
		.amdhsa_exception_fp_ieee_div_zero 0
		.amdhsa_exception_fp_ieee_overflow 0
		.amdhsa_exception_fp_ieee_underflow 0
		.amdhsa_exception_fp_ieee_inexact 0
		.amdhsa_exception_int_div_zero 0
	.end_amdhsa_kernel
	.section	.text._ZN7rocprim17ROCPRIM_400000_NS6detail17trampoline_kernelINS0_14default_configENS1_27scan_by_key_config_selectorIssEEZZNS1_16scan_by_key_implILNS1_25lookback_scan_determinismE0ELb0ES3_N6thrust23THRUST_200600_302600_NS6detail15normal_iteratorINS9_10device_ptrIsEEEESE_SE_sNS9_4plusIvEENS9_8equal_toIsEEsEE10hipError_tPvRmT2_T3_T4_T5_mT6_T7_P12ihipStream_tbENKUlT_T0_E_clISt17integral_constantIbLb1EESY_IbLb0EEEEDaSU_SV_EUlSU_E_NS1_11comp_targetILNS1_3genE0ELNS1_11target_archE4294967295ELNS1_3gpuE0ELNS1_3repE0EEENS1_30default_config_static_selectorELNS0_4arch9wavefront6targetE1EEEvT1_,"axG",@progbits,_ZN7rocprim17ROCPRIM_400000_NS6detail17trampoline_kernelINS0_14default_configENS1_27scan_by_key_config_selectorIssEEZZNS1_16scan_by_key_implILNS1_25lookback_scan_determinismE0ELb0ES3_N6thrust23THRUST_200600_302600_NS6detail15normal_iteratorINS9_10device_ptrIsEEEESE_SE_sNS9_4plusIvEENS9_8equal_toIsEEsEE10hipError_tPvRmT2_T3_T4_T5_mT6_T7_P12ihipStream_tbENKUlT_T0_E_clISt17integral_constantIbLb1EESY_IbLb0EEEEDaSU_SV_EUlSU_E_NS1_11comp_targetILNS1_3genE0ELNS1_11target_archE4294967295ELNS1_3gpuE0ELNS1_3repE0EEENS1_30default_config_static_selectorELNS0_4arch9wavefront6targetE1EEEvT1_,comdat
.Lfunc_end335:
	.size	_ZN7rocprim17ROCPRIM_400000_NS6detail17trampoline_kernelINS0_14default_configENS1_27scan_by_key_config_selectorIssEEZZNS1_16scan_by_key_implILNS1_25lookback_scan_determinismE0ELb0ES3_N6thrust23THRUST_200600_302600_NS6detail15normal_iteratorINS9_10device_ptrIsEEEESE_SE_sNS9_4plusIvEENS9_8equal_toIsEEsEE10hipError_tPvRmT2_T3_T4_T5_mT6_T7_P12ihipStream_tbENKUlT_T0_E_clISt17integral_constantIbLb1EESY_IbLb0EEEEDaSU_SV_EUlSU_E_NS1_11comp_targetILNS1_3genE0ELNS1_11target_archE4294967295ELNS1_3gpuE0ELNS1_3repE0EEENS1_30default_config_static_selectorELNS0_4arch9wavefront6targetE1EEEvT1_, .Lfunc_end335-_ZN7rocprim17ROCPRIM_400000_NS6detail17trampoline_kernelINS0_14default_configENS1_27scan_by_key_config_selectorIssEEZZNS1_16scan_by_key_implILNS1_25lookback_scan_determinismE0ELb0ES3_N6thrust23THRUST_200600_302600_NS6detail15normal_iteratorINS9_10device_ptrIsEEEESE_SE_sNS9_4plusIvEENS9_8equal_toIsEEsEE10hipError_tPvRmT2_T3_T4_T5_mT6_T7_P12ihipStream_tbENKUlT_T0_E_clISt17integral_constantIbLb1EESY_IbLb0EEEEDaSU_SV_EUlSU_E_NS1_11comp_targetILNS1_3genE0ELNS1_11target_archE4294967295ELNS1_3gpuE0ELNS1_3repE0EEENS1_30default_config_static_selectorELNS0_4arch9wavefront6targetE1EEEvT1_
                                        ; -- End function
	.section	.AMDGPU.csdata,"",@progbits
; Kernel info:
; codeLenInByte = 0
; NumSgprs: 6
; NumVgprs: 0
; NumAgprs: 0
; TotalNumVgprs: 0
; ScratchSize: 0
; MemoryBound: 0
; FloatMode: 240
; IeeeMode: 1
; LDSByteSize: 0 bytes/workgroup (compile time only)
; SGPRBlocks: 0
; VGPRBlocks: 0
; NumSGPRsForWavesPerEU: 6
; NumVGPRsForWavesPerEU: 1
; AccumOffset: 4
; Occupancy: 8
; WaveLimiterHint : 0
; COMPUTE_PGM_RSRC2:SCRATCH_EN: 0
; COMPUTE_PGM_RSRC2:USER_SGPR: 2
; COMPUTE_PGM_RSRC2:TRAP_HANDLER: 0
; COMPUTE_PGM_RSRC2:TGID_X_EN: 1
; COMPUTE_PGM_RSRC2:TGID_Y_EN: 0
; COMPUTE_PGM_RSRC2:TGID_Z_EN: 0
; COMPUTE_PGM_RSRC2:TIDIG_COMP_CNT: 0
; COMPUTE_PGM_RSRC3_GFX90A:ACCUM_OFFSET: 0
; COMPUTE_PGM_RSRC3_GFX90A:TG_SPLIT: 0
	.section	.text._ZN7rocprim17ROCPRIM_400000_NS6detail17trampoline_kernelINS0_14default_configENS1_27scan_by_key_config_selectorIssEEZZNS1_16scan_by_key_implILNS1_25lookback_scan_determinismE0ELb0ES3_N6thrust23THRUST_200600_302600_NS6detail15normal_iteratorINS9_10device_ptrIsEEEESE_SE_sNS9_4plusIvEENS9_8equal_toIsEEsEE10hipError_tPvRmT2_T3_T4_T5_mT6_T7_P12ihipStream_tbENKUlT_T0_E_clISt17integral_constantIbLb1EESY_IbLb0EEEEDaSU_SV_EUlSU_E_NS1_11comp_targetILNS1_3genE10ELNS1_11target_archE1201ELNS1_3gpuE5ELNS1_3repE0EEENS1_30default_config_static_selectorELNS0_4arch9wavefront6targetE1EEEvT1_,"axG",@progbits,_ZN7rocprim17ROCPRIM_400000_NS6detail17trampoline_kernelINS0_14default_configENS1_27scan_by_key_config_selectorIssEEZZNS1_16scan_by_key_implILNS1_25lookback_scan_determinismE0ELb0ES3_N6thrust23THRUST_200600_302600_NS6detail15normal_iteratorINS9_10device_ptrIsEEEESE_SE_sNS9_4plusIvEENS9_8equal_toIsEEsEE10hipError_tPvRmT2_T3_T4_T5_mT6_T7_P12ihipStream_tbENKUlT_T0_E_clISt17integral_constantIbLb1EESY_IbLb0EEEEDaSU_SV_EUlSU_E_NS1_11comp_targetILNS1_3genE10ELNS1_11target_archE1201ELNS1_3gpuE5ELNS1_3repE0EEENS1_30default_config_static_selectorELNS0_4arch9wavefront6targetE1EEEvT1_,comdat
	.protected	_ZN7rocprim17ROCPRIM_400000_NS6detail17trampoline_kernelINS0_14default_configENS1_27scan_by_key_config_selectorIssEEZZNS1_16scan_by_key_implILNS1_25lookback_scan_determinismE0ELb0ES3_N6thrust23THRUST_200600_302600_NS6detail15normal_iteratorINS9_10device_ptrIsEEEESE_SE_sNS9_4plusIvEENS9_8equal_toIsEEsEE10hipError_tPvRmT2_T3_T4_T5_mT6_T7_P12ihipStream_tbENKUlT_T0_E_clISt17integral_constantIbLb1EESY_IbLb0EEEEDaSU_SV_EUlSU_E_NS1_11comp_targetILNS1_3genE10ELNS1_11target_archE1201ELNS1_3gpuE5ELNS1_3repE0EEENS1_30default_config_static_selectorELNS0_4arch9wavefront6targetE1EEEvT1_ ; -- Begin function _ZN7rocprim17ROCPRIM_400000_NS6detail17trampoline_kernelINS0_14default_configENS1_27scan_by_key_config_selectorIssEEZZNS1_16scan_by_key_implILNS1_25lookback_scan_determinismE0ELb0ES3_N6thrust23THRUST_200600_302600_NS6detail15normal_iteratorINS9_10device_ptrIsEEEESE_SE_sNS9_4plusIvEENS9_8equal_toIsEEsEE10hipError_tPvRmT2_T3_T4_T5_mT6_T7_P12ihipStream_tbENKUlT_T0_E_clISt17integral_constantIbLb1EESY_IbLb0EEEEDaSU_SV_EUlSU_E_NS1_11comp_targetILNS1_3genE10ELNS1_11target_archE1201ELNS1_3gpuE5ELNS1_3repE0EEENS1_30default_config_static_selectorELNS0_4arch9wavefront6targetE1EEEvT1_
	.globl	_ZN7rocprim17ROCPRIM_400000_NS6detail17trampoline_kernelINS0_14default_configENS1_27scan_by_key_config_selectorIssEEZZNS1_16scan_by_key_implILNS1_25lookback_scan_determinismE0ELb0ES3_N6thrust23THRUST_200600_302600_NS6detail15normal_iteratorINS9_10device_ptrIsEEEESE_SE_sNS9_4plusIvEENS9_8equal_toIsEEsEE10hipError_tPvRmT2_T3_T4_T5_mT6_T7_P12ihipStream_tbENKUlT_T0_E_clISt17integral_constantIbLb1EESY_IbLb0EEEEDaSU_SV_EUlSU_E_NS1_11comp_targetILNS1_3genE10ELNS1_11target_archE1201ELNS1_3gpuE5ELNS1_3repE0EEENS1_30default_config_static_selectorELNS0_4arch9wavefront6targetE1EEEvT1_
	.p2align	8
	.type	_ZN7rocprim17ROCPRIM_400000_NS6detail17trampoline_kernelINS0_14default_configENS1_27scan_by_key_config_selectorIssEEZZNS1_16scan_by_key_implILNS1_25lookback_scan_determinismE0ELb0ES3_N6thrust23THRUST_200600_302600_NS6detail15normal_iteratorINS9_10device_ptrIsEEEESE_SE_sNS9_4plusIvEENS9_8equal_toIsEEsEE10hipError_tPvRmT2_T3_T4_T5_mT6_T7_P12ihipStream_tbENKUlT_T0_E_clISt17integral_constantIbLb1EESY_IbLb0EEEEDaSU_SV_EUlSU_E_NS1_11comp_targetILNS1_3genE10ELNS1_11target_archE1201ELNS1_3gpuE5ELNS1_3repE0EEENS1_30default_config_static_selectorELNS0_4arch9wavefront6targetE1EEEvT1_,@function
_ZN7rocprim17ROCPRIM_400000_NS6detail17trampoline_kernelINS0_14default_configENS1_27scan_by_key_config_selectorIssEEZZNS1_16scan_by_key_implILNS1_25lookback_scan_determinismE0ELb0ES3_N6thrust23THRUST_200600_302600_NS6detail15normal_iteratorINS9_10device_ptrIsEEEESE_SE_sNS9_4plusIvEENS9_8equal_toIsEEsEE10hipError_tPvRmT2_T3_T4_T5_mT6_T7_P12ihipStream_tbENKUlT_T0_E_clISt17integral_constantIbLb1EESY_IbLb0EEEEDaSU_SV_EUlSU_E_NS1_11comp_targetILNS1_3genE10ELNS1_11target_archE1201ELNS1_3gpuE5ELNS1_3repE0EEENS1_30default_config_static_selectorELNS0_4arch9wavefront6targetE1EEEvT1_: ; @_ZN7rocprim17ROCPRIM_400000_NS6detail17trampoline_kernelINS0_14default_configENS1_27scan_by_key_config_selectorIssEEZZNS1_16scan_by_key_implILNS1_25lookback_scan_determinismE0ELb0ES3_N6thrust23THRUST_200600_302600_NS6detail15normal_iteratorINS9_10device_ptrIsEEEESE_SE_sNS9_4plusIvEENS9_8equal_toIsEEsEE10hipError_tPvRmT2_T3_T4_T5_mT6_T7_P12ihipStream_tbENKUlT_T0_E_clISt17integral_constantIbLb1EESY_IbLb0EEEEDaSU_SV_EUlSU_E_NS1_11comp_targetILNS1_3genE10ELNS1_11target_archE1201ELNS1_3gpuE5ELNS1_3repE0EEENS1_30default_config_static_selectorELNS0_4arch9wavefront6targetE1EEEvT1_
; %bb.0:
	.section	.rodata,"a",@progbits
	.p2align	6, 0x0
	.amdhsa_kernel _ZN7rocprim17ROCPRIM_400000_NS6detail17trampoline_kernelINS0_14default_configENS1_27scan_by_key_config_selectorIssEEZZNS1_16scan_by_key_implILNS1_25lookback_scan_determinismE0ELb0ES3_N6thrust23THRUST_200600_302600_NS6detail15normal_iteratorINS9_10device_ptrIsEEEESE_SE_sNS9_4plusIvEENS9_8equal_toIsEEsEE10hipError_tPvRmT2_T3_T4_T5_mT6_T7_P12ihipStream_tbENKUlT_T0_E_clISt17integral_constantIbLb1EESY_IbLb0EEEEDaSU_SV_EUlSU_E_NS1_11comp_targetILNS1_3genE10ELNS1_11target_archE1201ELNS1_3gpuE5ELNS1_3repE0EEENS1_30default_config_static_selectorELNS0_4arch9wavefront6targetE1EEEvT1_
		.amdhsa_group_segment_fixed_size 0
		.amdhsa_private_segment_fixed_size 0
		.amdhsa_kernarg_size 112
		.amdhsa_user_sgpr_count 2
		.amdhsa_user_sgpr_dispatch_ptr 0
		.amdhsa_user_sgpr_queue_ptr 0
		.amdhsa_user_sgpr_kernarg_segment_ptr 1
		.amdhsa_user_sgpr_dispatch_id 0
		.amdhsa_user_sgpr_kernarg_preload_length 0
		.amdhsa_user_sgpr_kernarg_preload_offset 0
		.amdhsa_user_sgpr_private_segment_size 0
		.amdhsa_uses_dynamic_stack 0
		.amdhsa_enable_private_segment 0
		.amdhsa_system_sgpr_workgroup_id_x 1
		.amdhsa_system_sgpr_workgroup_id_y 0
		.amdhsa_system_sgpr_workgroup_id_z 0
		.amdhsa_system_sgpr_workgroup_info 0
		.amdhsa_system_vgpr_workitem_id 0
		.amdhsa_next_free_vgpr 1
		.amdhsa_next_free_sgpr 0
		.amdhsa_accum_offset 4
		.amdhsa_reserve_vcc 0
		.amdhsa_float_round_mode_32 0
		.amdhsa_float_round_mode_16_64 0
		.amdhsa_float_denorm_mode_32 3
		.amdhsa_float_denorm_mode_16_64 3
		.amdhsa_dx10_clamp 1
		.amdhsa_ieee_mode 1
		.amdhsa_fp16_overflow 0
		.amdhsa_tg_split 0
		.amdhsa_exception_fp_ieee_invalid_op 0
		.amdhsa_exception_fp_denorm_src 0
		.amdhsa_exception_fp_ieee_div_zero 0
		.amdhsa_exception_fp_ieee_overflow 0
		.amdhsa_exception_fp_ieee_underflow 0
		.amdhsa_exception_fp_ieee_inexact 0
		.amdhsa_exception_int_div_zero 0
	.end_amdhsa_kernel
	.section	.text._ZN7rocprim17ROCPRIM_400000_NS6detail17trampoline_kernelINS0_14default_configENS1_27scan_by_key_config_selectorIssEEZZNS1_16scan_by_key_implILNS1_25lookback_scan_determinismE0ELb0ES3_N6thrust23THRUST_200600_302600_NS6detail15normal_iteratorINS9_10device_ptrIsEEEESE_SE_sNS9_4plusIvEENS9_8equal_toIsEEsEE10hipError_tPvRmT2_T3_T4_T5_mT6_T7_P12ihipStream_tbENKUlT_T0_E_clISt17integral_constantIbLb1EESY_IbLb0EEEEDaSU_SV_EUlSU_E_NS1_11comp_targetILNS1_3genE10ELNS1_11target_archE1201ELNS1_3gpuE5ELNS1_3repE0EEENS1_30default_config_static_selectorELNS0_4arch9wavefront6targetE1EEEvT1_,"axG",@progbits,_ZN7rocprim17ROCPRIM_400000_NS6detail17trampoline_kernelINS0_14default_configENS1_27scan_by_key_config_selectorIssEEZZNS1_16scan_by_key_implILNS1_25lookback_scan_determinismE0ELb0ES3_N6thrust23THRUST_200600_302600_NS6detail15normal_iteratorINS9_10device_ptrIsEEEESE_SE_sNS9_4plusIvEENS9_8equal_toIsEEsEE10hipError_tPvRmT2_T3_T4_T5_mT6_T7_P12ihipStream_tbENKUlT_T0_E_clISt17integral_constantIbLb1EESY_IbLb0EEEEDaSU_SV_EUlSU_E_NS1_11comp_targetILNS1_3genE10ELNS1_11target_archE1201ELNS1_3gpuE5ELNS1_3repE0EEENS1_30default_config_static_selectorELNS0_4arch9wavefront6targetE1EEEvT1_,comdat
.Lfunc_end336:
	.size	_ZN7rocprim17ROCPRIM_400000_NS6detail17trampoline_kernelINS0_14default_configENS1_27scan_by_key_config_selectorIssEEZZNS1_16scan_by_key_implILNS1_25lookback_scan_determinismE0ELb0ES3_N6thrust23THRUST_200600_302600_NS6detail15normal_iteratorINS9_10device_ptrIsEEEESE_SE_sNS9_4plusIvEENS9_8equal_toIsEEsEE10hipError_tPvRmT2_T3_T4_T5_mT6_T7_P12ihipStream_tbENKUlT_T0_E_clISt17integral_constantIbLb1EESY_IbLb0EEEEDaSU_SV_EUlSU_E_NS1_11comp_targetILNS1_3genE10ELNS1_11target_archE1201ELNS1_3gpuE5ELNS1_3repE0EEENS1_30default_config_static_selectorELNS0_4arch9wavefront6targetE1EEEvT1_, .Lfunc_end336-_ZN7rocprim17ROCPRIM_400000_NS6detail17trampoline_kernelINS0_14default_configENS1_27scan_by_key_config_selectorIssEEZZNS1_16scan_by_key_implILNS1_25lookback_scan_determinismE0ELb0ES3_N6thrust23THRUST_200600_302600_NS6detail15normal_iteratorINS9_10device_ptrIsEEEESE_SE_sNS9_4plusIvEENS9_8equal_toIsEEsEE10hipError_tPvRmT2_T3_T4_T5_mT6_T7_P12ihipStream_tbENKUlT_T0_E_clISt17integral_constantIbLb1EESY_IbLb0EEEEDaSU_SV_EUlSU_E_NS1_11comp_targetILNS1_3genE10ELNS1_11target_archE1201ELNS1_3gpuE5ELNS1_3repE0EEENS1_30default_config_static_selectorELNS0_4arch9wavefront6targetE1EEEvT1_
                                        ; -- End function
	.section	.AMDGPU.csdata,"",@progbits
; Kernel info:
; codeLenInByte = 0
; NumSgprs: 6
; NumVgprs: 0
; NumAgprs: 0
; TotalNumVgprs: 0
; ScratchSize: 0
; MemoryBound: 0
; FloatMode: 240
; IeeeMode: 1
; LDSByteSize: 0 bytes/workgroup (compile time only)
; SGPRBlocks: 0
; VGPRBlocks: 0
; NumSGPRsForWavesPerEU: 6
; NumVGPRsForWavesPerEU: 1
; AccumOffset: 4
; Occupancy: 8
; WaveLimiterHint : 0
; COMPUTE_PGM_RSRC2:SCRATCH_EN: 0
; COMPUTE_PGM_RSRC2:USER_SGPR: 2
; COMPUTE_PGM_RSRC2:TRAP_HANDLER: 0
; COMPUTE_PGM_RSRC2:TGID_X_EN: 1
; COMPUTE_PGM_RSRC2:TGID_Y_EN: 0
; COMPUTE_PGM_RSRC2:TGID_Z_EN: 0
; COMPUTE_PGM_RSRC2:TIDIG_COMP_CNT: 0
; COMPUTE_PGM_RSRC3_GFX90A:ACCUM_OFFSET: 0
; COMPUTE_PGM_RSRC3_GFX90A:TG_SPLIT: 0
	.section	.text._ZN7rocprim17ROCPRIM_400000_NS6detail17trampoline_kernelINS0_14default_configENS1_27scan_by_key_config_selectorIssEEZZNS1_16scan_by_key_implILNS1_25lookback_scan_determinismE0ELb0ES3_N6thrust23THRUST_200600_302600_NS6detail15normal_iteratorINS9_10device_ptrIsEEEESE_SE_sNS9_4plusIvEENS9_8equal_toIsEEsEE10hipError_tPvRmT2_T3_T4_T5_mT6_T7_P12ihipStream_tbENKUlT_T0_E_clISt17integral_constantIbLb1EESY_IbLb0EEEEDaSU_SV_EUlSU_E_NS1_11comp_targetILNS1_3genE5ELNS1_11target_archE942ELNS1_3gpuE9ELNS1_3repE0EEENS1_30default_config_static_selectorELNS0_4arch9wavefront6targetE1EEEvT1_,"axG",@progbits,_ZN7rocprim17ROCPRIM_400000_NS6detail17trampoline_kernelINS0_14default_configENS1_27scan_by_key_config_selectorIssEEZZNS1_16scan_by_key_implILNS1_25lookback_scan_determinismE0ELb0ES3_N6thrust23THRUST_200600_302600_NS6detail15normal_iteratorINS9_10device_ptrIsEEEESE_SE_sNS9_4plusIvEENS9_8equal_toIsEEsEE10hipError_tPvRmT2_T3_T4_T5_mT6_T7_P12ihipStream_tbENKUlT_T0_E_clISt17integral_constantIbLb1EESY_IbLb0EEEEDaSU_SV_EUlSU_E_NS1_11comp_targetILNS1_3genE5ELNS1_11target_archE942ELNS1_3gpuE9ELNS1_3repE0EEENS1_30default_config_static_selectorELNS0_4arch9wavefront6targetE1EEEvT1_,comdat
	.protected	_ZN7rocprim17ROCPRIM_400000_NS6detail17trampoline_kernelINS0_14default_configENS1_27scan_by_key_config_selectorIssEEZZNS1_16scan_by_key_implILNS1_25lookback_scan_determinismE0ELb0ES3_N6thrust23THRUST_200600_302600_NS6detail15normal_iteratorINS9_10device_ptrIsEEEESE_SE_sNS9_4plusIvEENS9_8equal_toIsEEsEE10hipError_tPvRmT2_T3_T4_T5_mT6_T7_P12ihipStream_tbENKUlT_T0_E_clISt17integral_constantIbLb1EESY_IbLb0EEEEDaSU_SV_EUlSU_E_NS1_11comp_targetILNS1_3genE5ELNS1_11target_archE942ELNS1_3gpuE9ELNS1_3repE0EEENS1_30default_config_static_selectorELNS0_4arch9wavefront6targetE1EEEvT1_ ; -- Begin function _ZN7rocprim17ROCPRIM_400000_NS6detail17trampoline_kernelINS0_14default_configENS1_27scan_by_key_config_selectorIssEEZZNS1_16scan_by_key_implILNS1_25lookback_scan_determinismE0ELb0ES3_N6thrust23THRUST_200600_302600_NS6detail15normal_iteratorINS9_10device_ptrIsEEEESE_SE_sNS9_4plusIvEENS9_8equal_toIsEEsEE10hipError_tPvRmT2_T3_T4_T5_mT6_T7_P12ihipStream_tbENKUlT_T0_E_clISt17integral_constantIbLb1EESY_IbLb0EEEEDaSU_SV_EUlSU_E_NS1_11comp_targetILNS1_3genE5ELNS1_11target_archE942ELNS1_3gpuE9ELNS1_3repE0EEENS1_30default_config_static_selectorELNS0_4arch9wavefront6targetE1EEEvT1_
	.globl	_ZN7rocprim17ROCPRIM_400000_NS6detail17trampoline_kernelINS0_14default_configENS1_27scan_by_key_config_selectorIssEEZZNS1_16scan_by_key_implILNS1_25lookback_scan_determinismE0ELb0ES3_N6thrust23THRUST_200600_302600_NS6detail15normal_iteratorINS9_10device_ptrIsEEEESE_SE_sNS9_4plusIvEENS9_8equal_toIsEEsEE10hipError_tPvRmT2_T3_T4_T5_mT6_T7_P12ihipStream_tbENKUlT_T0_E_clISt17integral_constantIbLb1EESY_IbLb0EEEEDaSU_SV_EUlSU_E_NS1_11comp_targetILNS1_3genE5ELNS1_11target_archE942ELNS1_3gpuE9ELNS1_3repE0EEENS1_30default_config_static_selectorELNS0_4arch9wavefront6targetE1EEEvT1_
	.p2align	8
	.type	_ZN7rocprim17ROCPRIM_400000_NS6detail17trampoline_kernelINS0_14default_configENS1_27scan_by_key_config_selectorIssEEZZNS1_16scan_by_key_implILNS1_25lookback_scan_determinismE0ELb0ES3_N6thrust23THRUST_200600_302600_NS6detail15normal_iteratorINS9_10device_ptrIsEEEESE_SE_sNS9_4plusIvEENS9_8equal_toIsEEsEE10hipError_tPvRmT2_T3_T4_T5_mT6_T7_P12ihipStream_tbENKUlT_T0_E_clISt17integral_constantIbLb1EESY_IbLb0EEEEDaSU_SV_EUlSU_E_NS1_11comp_targetILNS1_3genE5ELNS1_11target_archE942ELNS1_3gpuE9ELNS1_3repE0EEENS1_30default_config_static_selectorELNS0_4arch9wavefront6targetE1EEEvT1_,@function
_ZN7rocprim17ROCPRIM_400000_NS6detail17trampoline_kernelINS0_14default_configENS1_27scan_by_key_config_selectorIssEEZZNS1_16scan_by_key_implILNS1_25lookback_scan_determinismE0ELb0ES3_N6thrust23THRUST_200600_302600_NS6detail15normal_iteratorINS9_10device_ptrIsEEEESE_SE_sNS9_4plusIvEENS9_8equal_toIsEEsEE10hipError_tPvRmT2_T3_T4_T5_mT6_T7_P12ihipStream_tbENKUlT_T0_E_clISt17integral_constantIbLb1EESY_IbLb0EEEEDaSU_SV_EUlSU_E_NS1_11comp_targetILNS1_3genE5ELNS1_11target_archE942ELNS1_3gpuE9ELNS1_3repE0EEENS1_30default_config_static_selectorELNS0_4arch9wavefront6targetE1EEEvT1_: ; @_ZN7rocprim17ROCPRIM_400000_NS6detail17trampoline_kernelINS0_14default_configENS1_27scan_by_key_config_selectorIssEEZZNS1_16scan_by_key_implILNS1_25lookback_scan_determinismE0ELb0ES3_N6thrust23THRUST_200600_302600_NS6detail15normal_iteratorINS9_10device_ptrIsEEEESE_SE_sNS9_4plusIvEENS9_8equal_toIsEEsEE10hipError_tPvRmT2_T3_T4_T5_mT6_T7_P12ihipStream_tbENKUlT_T0_E_clISt17integral_constantIbLb1EESY_IbLb0EEEEDaSU_SV_EUlSU_E_NS1_11comp_targetILNS1_3genE5ELNS1_11target_archE942ELNS1_3gpuE9ELNS1_3repE0EEENS1_30default_config_static_selectorELNS0_4arch9wavefront6targetE1EEEvT1_
; %bb.0:
	s_load_dwordx8 s[52:59], s[0:1], 0x0
	s_load_dwordx4 s[68:71], s[0:1], 0x28
	s_load_dwordx2 s[74:75], s[0:1], 0x38
	s_load_dword s3, s[0:1], 0x40
	s_load_dwordx8 s[60:67], s[0:1], 0x48
	s_waitcnt lgkmcnt(0)
	s_lshl_b64 s[72:73], s[54:55], 1
	s_add_u32 s4, s52, s72
	s_addc_u32 s5, s53, s73
	s_add_u32 s6, s56, s72
	s_mul_i32 s0, s75, s3
	s_mul_hi_u32 s1, s74, s3
	s_addc_u32 s7, s57, s73
	s_add_i32 s8, s1, s0
	s_cmp_lg_u64 s[64:65], 0
	s_mul_i32 s0, s2, 0x1800
	s_mov_b32 s1, 0
	s_cselect_b64 s[76:77], -1, 0
	s_lshl_b64 s[64:65], s[0:1], 1
	s_add_u32 s56, s4, s64
	s_addc_u32 s57, s5, s65
	s_add_u32 s54, s6, s64
	s_mul_i32 s3, s74, s3
	s_addc_u32 s55, s7, s65
	s_add_u32 s78, s3, s2
	s_addc_u32 s79, s8, 0
	s_add_u32 s4, s60, -1
	s_addc_u32 s5, s61, -1
	v_mov_b64_e32 v[2:3], s[4:5]
	v_cmp_ge_u64_e64 s[0:1], s[78:79], v[2:3]
	s_mov_b64 s[12:13], 0
	s_mov_b64 s[6:7], -1
	s_and_b64 vcc, exec, s[0:1]
	s_mul_i32 s33, s4, 0xffffe800
	s_barrier
	s_cbranch_vccz .LBB337_127
; %bb.1:
	v_mov_b64_e32 v[2:3], s[56:57]
	flat_load_ushort v3, v[2:3]
	s_add_i32 s3, s33, s70
	v_cmp_gt_u32_e64 s[52:53], s3, v0
	s_waitcnt vmcnt(0) lgkmcnt(0)
	v_mov_b32_e32 v19, v3
	s_and_saveexec_b64 s[4:5], s[52:53]
	s_cbranch_execz .LBB337_3
; %bb.2:
	v_lshlrev_b32_e32 v4, 1, v0
	v_mov_b32_e32 v5, 0
	v_lshl_add_u64 v[4:5], s[56:57], 0, v[4:5]
	flat_load_ushort v19, v[4:5]
.LBB337_3:
	s_or_b64 exec, exec, s[4:5]
	v_or_b32_e32 v1, 0x100, v0
	v_cmp_gt_u32_e64 s[4:5], s3, v1
	v_mov_b32_e32 v20, v3
	s_and_saveexec_b64 s[6:7], s[4:5]
	s_cbranch_execz .LBB337_5
; %bb.4:
	v_lshlrev_b32_e32 v4, 1, v0
	v_mov_b32_e32 v5, 0
	v_lshl_add_u64 v[4:5], s[56:57], 0, v[4:5]
	flat_load_ushort v20, v[4:5] offset:512
.LBB337_5:
	s_or_b64 exec, exec, s[6:7]
	v_or_b32_e32 v1, 0x200, v0
	v_cmp_gt_u32_e64 s[6:7], s3, v1
	v_mov_b32_e32 v21, v3
	s_and_saveexec_b64 s[8:9], s[6:7]
	s_cbranch_execz .LBB337_7
; %bb.6:
	v_lshlrev_b32_e32 v4, 1, v0
	v_mov_b32_e32 v5, 0
	v_lshl_add_u64 v[4:5], s[56:57], 0, v[4:5]
	flat_load_ushort v21, v[4:5] offset:1024
.LBB337_7:
	;; [unrolled: 12-line block ×7, first 2 shown]
	s_or_b64 exec, exec, s[18:19]
	v_or_b32_e32 v1, 0x800, v0
	v_cmp_gt_u32_e64 s[18:19], s3, v1
	v_mov_b32_e32 v27, v3
	s_and_saveexec_b64 s[20:21], s[18:19]
	s_cbranch_execz .LBB337_19
; %bb.18:
	v_lshlrev_b32_e32 v4, 1, v1
	v_mov_b32_e32 v5, 0
	v_lshl_add_u64 v[4:5], s[56:57], 0, v[4:5]
	flat_load_ushort v27, v[4:5]
.LBB337_19:
	s_or_b64 exec, exec, s[20:21]
	v_or_b32_e32 v4, 0x900, v0
	v_cmp_gt_u32_e64 s[20:21], s3, v4
	v_mov_b32_e32 v28, v3
	s_and_saveexec_b64 s[22:23], s[20:21]
	s_cbranch_execz .LBB337_21
; %bb.20:
	v_lshlrev_b32_e32 v6, 1, v4
	v_mov_b32_e32 v7, 0
	v_lshl_add_u64 v[6:7], s[56:57], 0, v[6:7]
	flat_load_ushort v28, v[6:7]
.LBB337_21:
	;; [unrolled: 12-line block ×15, first 2 shown]
	s_or_b64 exec, exec, s[50:51]
	v_or_b32_e32 v18, 0x1700, v0
	v_cmp_gt_u32_e64 s[50:51], s3, v18
	s_and_saveexec_b64 s[60:61], s[50:51]
	s_cbranch_execz .LBB337_49
; %bb.48:
	v_lshlrev_b32_e32 v2, 1, v18
	v_mov_b32_e32 v3, 0
	v_lshl_add_u64 v[2:3], s[56:57], 0, v[2:3]
	flat_load_ushort v3, v[2:3]
.LBB337_49:
	s_or_b64 exec, exec, s[60:61]
	v_lshlrev_b32_e32 v2, 1, v0
	s_waitcnt vmcnt(0) lgkmcnt(0)
	ds_write_b16 v2, v19
	ds_write_b16 v2, v20 offset:512
	ds_write_b16 v2, v21 offset:1024
	;; [unrolled: 1-line block ×23, first 2 shown]
	v_mad_u32_u24 v40, v0, 46, v2
	s_waitcnt lgkmcnt(0)
	s_barrier
	ds_read_b128 v[30:33], v40
	ds_read_b128 v[26:29], v40 offset:16
	ds_read_b128 v[22:25], v40 offset:32
	s_cmp_eq_u64 s[78:79], 0
	s_mov_b64 s[60:61], s[56:57]
	s_cbranch_scc1 .LBB337_53
; %bb.50:
	s_andn2_b64 vcc, exec, s[76:77]
	s_cbranch_vccnz .LBB337_319
; %bb.51:
	s_lshl_b64 s[60:61], s[78:79], 1
	s_add_u32 s60, s66, s60
	s_addc_u32 s61, s67, s61
	s_add_u32 s60, s60, -2
	s_addc_u32 s61, s61, -1
	s_cbranch_execnz .LBB337_53
.LBB337_52:
	s_add_u32 s60, s56, -2
	s_addc_u32 s61, s57, -1
.LBB337_53:
	v_mov_b64_e32 v[20:21], s[60:61]
	flat_load_ushort v34, v[20:21]
	s_movk_i32 s60, 0xffd2
	s_waitcnt lgkmcnt(0)
	v_lshrrev_b32_e32 v41, 16, v25
	v_mad_i32_i24 v3, v0, s60, v40
	v_cmp_ne_u32_e32 vcc, 0, v0
	ds_write_b16 v3, v41 offset:12288
	s_waitcnt lgkmcnt(0)
	s_barrier
	s_and_saveexec_b64 s[60:61], vcc
	s_cbranch_execz .LBB337_55
; %bb.54:
	v_mul_i32_i24_e32 v3, 0xffffffd2, v0
	v_add_u32_e32 v3, v40, v3
	s_waitcnt vmcnt(0)
	ds_read_u16 v34, v3 offset:12286
.LBB337_55:
	s_or_b64 exec, exec, s[60:61]
	v_mov_b32_e32 v3, 0
	s_waitcnt lgkmcnt(0)
	s_barrier
	s_waitcnt lgkmcnt(0)
                                        ; implicit-def: $vgpr19
	s_and_saveexec_b64 s[60:61], s[52:53]
	s_cbranch_execnz .LBB337_296
; %bb.56:
	s_or_b64 exec, exec, s[60:61]
                                        ; implicit-def: $vgpr20
	s_and_saveexec_b64 s[52:53], s[4:5]
	s_cbranch_execnz .LBB337_297
.LBB337_57:
	s_or_b64 exec, exec, s[52:53]
                                        ; implicit-def: $vgpr21
	s_and_saveexec_b64 s[4:5], s[6:7]
	s_cbranch_execnz .LBB337_298
.LBB337_58:
	s_or_b64 exec, exec, s[4:5]
                                        ; implicit-def: $vgpr35
	s_and_saveexec_b64 s[4:5], s[8:9]
	s_cbranch_execnz .LBB337_299
.LBB337_59:
	s_or_b64 exec, exec, s[4:5]
                                        ; implicit-def: $vgpr36
	s_and_saveexec_b64 s[4:5], s[10:11]
	s_cbranch_execnz .LBB337_300
.LBB337_60:
	s_or_b64 exec, exec, s[4:5]
                                        ; implicit-def: $vgpr37
	s_and_saveexec_b64 s[4:5], s[12:13]
	s_cbranch_execnz .LBB337_301
.LBB337_61:
	s_or_b64 exec, exec, s[4:5]
                                        ; implicit-def: $vgpr38
	s_and_saveexec_b64 s[4:5], s[14:15]
	s_cbranch_execnz .LBB337_302
.LBB337_62:
	s_or_b64 exec, exec, s[4:5]
                                        ; implicit-def: $vgpr3
	s_and_saveexec_b64 s[4:5], s[16:17]
	s_cbranch_execnz .LBB337_303
.LBB337_63:
	s_or_b64 exec, exec, s[4:5]
                                        ; implicit-def: $vgpr39
	s_and_saveexec_b64 s[4:5], s[18:19]
	s_cbranch_execnz .LBB337_304
.LBB337_64:
	s_or_b64 exec, exec, s[4:5]
                                        ; implicit-def: $vgpr1
	s_and_saveexec_b64 s[4:5], s[20:21]
	s_cbranch_execnz .LBB337_305
.LBB337_65:
	s_or_b64 exec, exec, s[4:5]
                                        ; implicit-def: $vgpr4
	s_and_saveexec_b64 s[4:5], s[22:23]
	s_cbranch_execnz .LBB337_306
.LBB337_66:
	s_or_b64 exec, exec, s[4:5]
                                        ; implicit-def: $vgpr5
	s_and_saveexec_b64 s[4:5], s[24:25]
	s_cbranch_execnz .LBB337_307
.LBB337_67:
	s_or_b64 exec, exec, s[4:5]
                                        ; implicit-def: $vgpr6
	s_and_saveexec_b64 s[4:5], s[26:27]
	s_cbranch_execnz .LBB337_308
.LBB337_68:
	s_or_b64 exec, exec, s[4:5]
                                        ; implicit-def: $vgpr7
	s_and_saveexec_b64 s[4:5], s[28:29]
	s_cbranch_execnz .LBB337_309
.LBB337_69:
	s_or_b64 exec, exec, s[4:5]
                                        ; implicit-def: $vgpr8
	s_and_saveexec_b64 s[4:5], s[30:31]
	s_cbranch_execnz .LBB337_310
.LBB337_70:
	s_or_b64 exec, exec, s[4:5]
                                        ; implicit-def: $vgpr9
	s_and_saveexec_b64 s[4:5], s[34:35]
	s_cbranch_execnz .LBB337_311
.LBB337_71:
	s_or_b64 exec, exec, s[4:5]
                                        ; implicit-def: $vgpr10
	s_and_saveexec_b64 s[4:5], s[36:37]
	s_cbranch_execnz .LBB337_312
.LBB337_72:
	s_or_b64 exec, exec, s[4:5]
                                        ; implicit-def: $vgpr11
	s_and_saveexec_b64 s[4:5], s[38:39]
	s_cbranch_execnz .LBB337_313
.LBB337_73:
	s_or_b64 exec, exec, s[4:5]
                                        ; implicit-def: $vgpr12
	s_and_saveexec_b64 s[4:5], s[40:41]
	s_cbranch_execnz .LBB337_314
.LBB337_74:
	s_or_b64 exec, exec, s[4:5]
                                        ; implicit-def: $vgpr13
	s_and_saveexec_b64 s[4:5], s[42:43]
	s_cbranch_execnz .LBB337_315
.LBB337_75:
	s_or_b64 exec, exec, s[4:5]
                                        ; implicit-def: $vgpr14
	s_and_saveexec_b64 s[4:5], s[44:45]
	s_cbranch_execnz .LBB337_316
.LBB337_76:
	s_or_b64 exec, exec, s[4:5]
                                        ; implicit-def: $vgpr15
	s_and_saveexec_b64 s[4:5], s[46:47]
	s_cbranch_execnz .LBB337_317
.LBB337_77:
	s_or_b64 exec, exec, s[4:5]
                                        ; implicit-def: $vgpr16
	s_and_saveexec_b64 s[4:5], s[48:49]
	s_cbranch_execnz .LBB337_318
.LBB337_78:
	s_or_b64 exec, exec, s[4:5]
                                        ; implicit-def: $vgpr17
	s_and_saveexec_b64 s[4:5], s[50:51]
	s_cbranch_execz .LBB337_80
.LBB337_79:
	v_lshlrev_b32_e32 v42, 1, v18
	v_mov_b32_e32 v43, 0
	v_lshl_add_u64 v[42:43], s[54:55], 0, v[42:43]
	flat_load_ushort v17, v[42:43]
.LBB337_80:
	s_or_b64 exec, exec, s[4:5]
	s_mov_b32 s8, 0
	s_mov_b32 s9, s8
	s_waitcnt vmcnt(0) lgkmcnt(0)
	ds_write_b16 v2, v19
	ds_write_b16 v2, v20 offset:512
	ds_write_b16 v2, v21 offset:1024
	;; [unrolled: 1-line block ×23, first 2 shown]
	s_mov_b32 s10, s8
	s_mov_b32 s11, s8
	;; [unrolled: 1-line block ×6, first 2 shown]
	v_mov_b64_e32 v[2:3], s[8:9]
	s_mov_b32 s18, s8
	s_mov_b32 s19, s8
	v_mov_b64_e32 v[8:9], s[14:15]
	v_mul_u32_u24_e32 v43, 24, v0
	s_mov_b32 s16, s8
	s_mov_b32 s17, s8
	v_mov_b64_e32 v[20:21], s[18:19]
	v_mov_b64_e32 v[4:5], s[10:11]
	;; [unrolled: 1-line block ×4, first 2 shown]
	v_cmp_gt_u32_e32 vcc, s3, v43
	s_mov_b64 s[6:7], 0
	v_mov_b64_e32 v[18:19], s[16:17]
	v_mov_b32_e32 v1, 0
	s_mov_b64 s[12:13], 0
	v_mov_b64_e32 v[14:15], v[6:7]
	v_mov_b64_e32 v[12:13], v[4:5]
	;; [unrolled: 1-line block ×3, first 2 shown]
	v_mov_b32_e32 v38, 0
	v_mov_b32_e32 v39, 0
	s_waitcnt lgkmcnt(0)
	s_barrier
	s_waitcnt lgkmcnt(0)
                                        ; implicit-def: $sgpr4_sgpr5
                                        ; implicit-def: $vgpr42
	s_and_saveexec_b64 s[10:11], vcc
	s_cbranch_execz .LBB337_126
; %bb.81:
	ds_read_u16 v1, v40
	v_cmp_ne_u16_e32 vcc, v34, v30
	s_mov_b32 s12, 0
	v_or_b32_e32 v2, 1, v43
	v_cndmask_b32_e64 v3, 0, 1, vcc
	s_mov_b32 s13, s12
	v_cmp_gt_u32_e32 vcc, s3, v2
	s_waitcnt lgkmcnt(0)
	v_lshl_or_b32 v1, v3, 16, v1
	s_mov_b32 s14, s12
	s_mov_b32 s15, s12
	;; [unrolled: 1-line block ×6, first 2 shown]
	v_mov_b64_e32 v[2:3], s[12:13]
	s_mov_b32 s24, s12
	s_mov_b32 s25, s12
	v_mov_b64_e32 v[8:9], s[18:19]
	s_mov_b32 s26, s12
	s_mov_b32 s27, s12
	v_mov_b64_e32 v[18:19], s[24:25]
	v_mov_b64_e32 v[4:5], s[14:15]
	;; [unrolled: 1-line block ×4, first 2 shown]
	s_mov_b64 s[22:23], 0
	v_mov_b64_e32 v[20:21], s[26:27]
	v_mov_b32_e32 v38, 0
	v_mov_b64_e32 v[14:15], v[6:7]
	v_mov_b64_e32 v[12:13], v[4:5]
	;; [unrolled: 1-line block ×3, first 2 shown]
	v_mov_b32_e32 v39, 0
                                        ; implicit-def: $sgpr24_sgpr25
                                        ; implicit-def: $vgpr42
	s_and_saveexec_b64 s[20:21], vcc
	s_cbranch_execz .LBB337_125
; %bb.82:
	ds_read_b128 v[34:37], v40 offset:2
	v_or_b32_e32 v2, 2, v43
	v_cmp_ne_u16_sdwa s[4:5], v30, v30 src0_sel:DWORD src1_sel:WORD_1
	v_cmp_gt_u32_e32 vcc, s3, v2
	v_mov_b32_e32 v19, 0
	v_cndmask_b32_e64 v3, 0, 1, s[4:5]
	s_waitcnt lgkmcnt(0)
	v_and_b32_e32 v2, 0xffff, v34
	v_lshl_or_b32 v18, v3, 16, v2
	v_mov_b64_e32 v[2:3], s[12:13]
	v_mov_b64_e32 v[8:9], s[18:19]
	;; [unrolled: 1-line block ×5, first 2 shown]
	v_mov_b32_e32 v20, v19
	v_mov_b32_e32 v21, v19
	s_mov_b64 s[4:5], 0
	v_mov_b64_e32 v[14:15], v[6:7]
	v_mov_b64_e32 v[12:13], v[4:5]
	;; [unrolled: 1-line block ×3, first 2 shown]
	v_mov_b32_e32 v38, v19
	v_mov_b32_e32 v39, v19
                                        ; implicit-def: $sgpr12_sgpr13
                                        ; implicit-def: $vgpr42
	s_and_saveexec_b64 s[22:23], vcc
	s_cbranch_execz .LBB337_124
; %bb.83:
	v_cmp_ne_u16_sdwa s[4:5], v30, v31 src0_sel:WORD_1 src1_sel:DWORD
	s_mov_b32 s12, 0
	v_or_b32_e32 v2, 3, v43
	v_cndmask_b32_e64 v3, 0, 1, s[4:5]
	s_mov_b32 s13, s12
	v_alignbit_b32 v19, v3, v34, 16
	v_cmp_gt_u32_e32 vcc, s3, v2
	s_mov_b32 s14, s12
	s_mov_b32 s15, s12
	;; [unrolled: 1-line block ×6, first 2 shown]
	v_mov_b64_e32 v[2:3], s[12:13]
	v_mov_b64_e32 v[8:9], s[18:19]
	v_mov_b32_e32 v20, 0
	v_mov_b64_e32 v[4:5], s[14:15]
	v_mov_b64_e32 v[6:7], s[16:17]
	;; [unrolled: 1-line block ×3, first 2 shown]
	v_mov_b32_e32 v21, v20
	s_mov_b64 s[4:5], 0
	v_mov_b64_e32 v[14:15], v[6:7]
	v_mov_b64_e32 v[12:13], v[4:5]
	;; [unrolled: 1-line block ×3, first 2 shown]
	v_mov_b32_e32 v38, v20
	v_mov_b32_e32 v39, v20
                                        ; implicit-def: $sgpr26_sgpr27
                                        ; implicit-def: $vgpr42
	s_and_saveexec_b64 s[24:25], vcc
	s_cbranch_execz .LBB337_123
; %bb.84:
	v_cmp_ne_u16_sdwa s[4:5], v31, v31 src0_sel:DWORD src1_sel:WORD_1
	v_and_b32_e32 v2, 0xffff, v35
	v_or_b32_e32 v3, 4, v43
	v_cndmask_b32_e64 v4, 0, 1, s[4:5]
	v_lshl_or_b32 v20, v4, 16, v2
	v_cmp_gt_u32_e32 vcc, s3, v3
	v_mov_b64_e32 v[2:3], s[12:13]
	v_mov_b64_e32 v[8:9], s[18:19]
	v_mov_b64_e32 v[4:5], s[14:15]
	v_mov_b64_e32 v[6:7], s[16:17]
	v_mov_b64_e32 v[16:17], v[8:9]
	v_mov_b32_e32 v21, s12
	s_mov_b64 s[4:5], 0
	v_mov_b32_e32 v38, 0
	v_mov_b64_e32 v[14:15], v[6:7]
	v_mov_b64_e32 v[12:13], v[4:5]
	;; [unrolled: 1-line block ×3, first 2 shown]
	v_mov_b32_e32 v39, 0
                                        ; implicit-def: $sgpr12_sgpr13
                                        ; implicit-def: $vgpr42
	s_and_saveexec_b64 s[26:27], vcc
	s_cbranch_execz .LBB337_122
; %bb.85:
	v_cmp_ne_u16_sdwa s[4:5], v31, v32 src0_sel:WORD_1 src1_sel:DWORD
	s_mov_b32 s12, 0
	v_or_b32_e32 v2, 5, v43
	v_cndmask_b32_e64 v3, 0, 1, s[4:5]
	s_mov_b32 s13, s12
	v_alignbit_b32 v21, v3, v35, 16
	v_cmp_gt_u32_e32 vcc, s3, v2
	s_mov_b32 s14, s12
	s_mov_b32 s15, s12
	;; [unrolled: 1-line block ×6, first 2 shown]
	v_mov_b64_e32 v[2:3], s[12:13]
	v_mov_b64_e32 v[8:9], s[18:19]
	;; [unrolled: 1-line block ×5, first 2 shown]
	s_mov_b64 s[4:5], 0
	v_mov_b32_e32 v38, 0
	v_mov_b64_e32 v[14:15], v[6:7]
	v_mov_b64_e32 v[12:13], v[4:5]
	;; [unrolled: 1-line block ×3, first 2 shown]
	v_mov_b32_e32 v39, 0
                                        ; implicit-def: $sgpr30_sgpr31
                                        ; implicit-def: $vgpr42
	s_and_saveexec_b64 s[28:29], vcc
	s_cbranch_execz .LBB337_121
; %bb.86:
	v_cmp_ne_u16_sdwa s[4:5], v32, v32 src0_sel:DWORD src1_sel:WORD_1
	v_and_b32_e32 v2, 0xffff, v36
	v_or_b32_e32 v3, 6, v43
	v_cndmask_b32_e64 v4, 0, 1, s[4:5]
	v_lshl_or_b32 v38, v4, 16, v2
	v_cmp_gt_u32_e32 vcc, s3, v3
	v_mov_b64_e32 v[2:3], s[12:13]
	v_mov_b64_e32 v[8:9], s[18:19]
	;; [unrolled: 1-line block ×5, first 2 shown]
	s_mov_b64 s[4:5], 0
	v_mov_b32_e32 v39, 0
	v_mov_b64_e32 v[14:15], v[6:7]
	v_mov_b64_e32 v[12:13], v[4:5]
	v_mov_b64_e32 v[10:11], v[2:3]
                                        ; implicit-def: $sgpr12_sgpr13
                                        ; implicit-def: $vgpr42
	s_and_saveexec_b64 s[30:31], vcc
	s_cbranch_execz .LBB337_120
; %bb.87:
	s_mov_b32 s12, 0
	v_or_b32_e32 v3, 7, v43
	v_cmp_ne_u16_sdwa s[4:5], v32, v33 src0_sel:WORD_1 src1_sel:DWORD
	s_mov_b32 s13, s12
	v_cmp_gt_u32_e32 vcc, s3, v3
	v_cndmask_b32_e64 v2, 0, 1, s[4:5]
	v_mov_b32_e32 v3, 0
	s_mov_b32 s14, s12
	s_mov_b32 s15, s12
	;; [unrolled: 1-line block ×6, first 2 shown]
	v_mov_b64_e32 v[10:11], s[12:13]
	v_alignbit_b32 v2, v2, v36, 16
	v_mov_b32_e32 v4, v3
	v_mov_b32_e32 v5, v3
	;; [unrolled: 1-line block ×6, first 2 shown]
	s_mov_b64 s[4:5], 0
	v_mov_b64_e32 v[12:13], s[14:15]
	v_mov_b64_e32 v[14:15], s[16:17]
	;; [unrolled: 1-line block ×3, first 2 shown]
	v_mov_b32_e32 v39, v3
                                        ; implicit-def: $sgpr36_sgpr37
                                        ; implicit-def: $vgpr42
	s_and_saveexec_b64 s[34:35], vcc
	s_cbranch_execz .LBB337_119
; %bb.88:
	v_add_u32_e32 v4, 8, v43
	v_cmp_ne_u16_sdwa s[4:5], v33, v33 src0_sel:DWORD src1_sel:WORD_1
	v_and_b32_e32 v3, 0xffff, v37
	v_cmp_gt_u32_e32 vcc, s3, v4
	v_cndmask_b32_e64 v5, 0, 1, s[4:5]
	v_mov_b32_e32 v4, 0
	v_mov_b64_e32 v[10:11], s[12:13]
	v_lshl_or_b32 v3, v5, 16, v3
	v_mov_b32_e32 v5, v4
	v_mov_b32_e32 v6, v4
	;; [unrolled: 1-line block ×5, first 2 shown]
	s_mov_b64 s[4:5], 0
	v_mov_b64_e32 v[12:13], s[14:15]
	v_mov_b64_e32 v[14:15], s[16:17]
	v_mov_b64_e32 v[16:17], s[18:19]
	v_mov_b32_e32 v39, v4
                                        ; implicit-def: $sgpr12_sgpr13
                                        ; implicit-def: $vgpr42
	s_and_saveexec_b64 s[36:37], vcc
	s_cbranch_execz .LBB337_118
; %bb.89:
	s_mov_b32 s12, 0
	v_add_u32_e32 v5, 9, v43
	v_cmp_ne_u16_sdwa s[4:5], v33, v26 src0_sel:WORD_1 src1_sel:DWORD
	s_mov_b32 s13, s12
	v_cmp_gt_u32_e32 vcc, s3, v5
	v_cndmask_b32_e64 v4, 0, 1, s[4:5]
	v_mov_b32_e32 v5, 0
	s_mov_b32 s14, s12
	s_mov_b32 s15, s12
	;; [unrolled: 1-line block ×6, first 2 shown]
	v_mov_b64_e32 v[10:11], s[12:13]
	v_alignbit_b32 v4, v4, v37, 16
	v_mov_b32_e32 v6, v5
	v_mov_b32_e32 v7, v5
	;; [unrolled: 1-line block ×4, first 2 shown]
	s_mov_b64 s[4:5], 0
	v_mov_b64_e32 v[12:13], s[14:15]
	v_mov_b64_e32 v[14:15], s[16:17]
	;; [unrolled: 1-line block ×3, first 2 shown]
	v_mov_b32_e32 v39, v5
                                        ; implicit-def: $sgpr40_sgpr41
                                        ; implicit-def: $vgpr42
	s_and_saveexec_b64 s[38:39], vcc
	s_cbranch_execz .LBB337_117
; %bb.90:
	ds_read_b128 v[30:33], v40 offset:18
	v_add_u32_e32 v5, 10, v43
	v_cmp_ne_u16_sdwa s[4:5], v26, v26 src0_sel:DWORD src1_sel:WORD_1
	v_cmp_gt_u32_e32 vcc, s3, v5
	v_mov_b64_e32 v[10:11], s[12:13]
	v_cndmask_b32_e64 v6, 0, 1, s[4:5]
	s_waitcnt lgkmcnt(0)
	v_and_b32_e32 v5, 0xffff, v30
	v_lshl_or_b32 v5, v6, 16, v5
	v_mov_b32_e32 v6, 0
	v_mov_b32_e32 v7, v6
	;; [unrolled: 1-line block ×4, first 2 shown]
	s_mov_b64 s[4:5], 0
	v_mov_b64_e32 v[12:13], s[14:15]
	v_mov_b64_e32 v[14:15], s[16:17]
	;; [unrolled: 1-line block ×3, first 2 shown]
	v_mov_b32_e32 v39, v6
                                        ; implicit-def: $sgpr12_sgpr13
                                        ; implicit-def: $vgpr42
	s_and_saveexec_b64 s[40:41], vcc
	s_cbranch_execz .LBB337_116
; %bb.91:
	s_mov_b32 s12, 0
	v_add_u32_e32 v7, 11, v43
	v_cmp_ne_u16_sdwa s[4:5], v26, v27 src0_sel:WORD_1 src1_sel:DWORD
	s_mov_b32 s13, s12
	v_cmp_gt_u32_e32 vcc, s3, v7
	v_cndmask_b32_e64 v6, 0, 1, s[4:5]
	v_mov_b32_e32 v7, 0
	s_mov_b32 s14, s12
	s_mov_b32 s15, s12
	;; [unrolled: 1-line block ×6, first 2 shown]
	v_mov_b64_e32 v[10:11], s[12:13]
	v_alignbit_b32 v6, v6, v30, 16
	v_mov_b32_e32 v8, v7
	v_mov_b32_e32 v9, v7
	s_mov_b64 s[4:5], 0
	v_mov_b64_e32 v[12:13], s[14:15]
	v_mov_b64_e32 v[14:15], s[16:17]
	;; [unrolled: 1-line block ×3, first 2 shown]
	v_mov_b32_e32 v39, v7
                                        ; implicit-def: $sgpr44_sgpr45
                                        ; implicit-def: $vgpr42
	s_and_saveexec_b64 s[42:43], vcc
	s_cbranch_execz .LBB337_115
; %bb.92:
	v_add_u32_e32 v8, 12, v43
	v_cmp_ne_u16_sdwa s[4:5], v27, v27 src0_sel:DWORD src1_sel:WORD_1
	v_and_b32_e32 v7, 0xffff, v31
	v_cmp_gt_u32_e32 vcc, s3, v8
	v_cndmask_b32_e64 v9, 0, 1, s[4:5]
	v_mov_b32_e32 v8, 0
	v_mov_b64_e32 v[10:11], s[12:13]
	v_lshl_or_b32 v7, v9, 16, v7
	v_mov_b32_e32 v9, v8
	s_mov_b64 s[4:5], 0
	v_mov_b64_e32 v[12:13], s[14:15]
	v_mov_b64_e32 v[14:15], s[16:17]
	;; [unrolled: 1-line block ×3, first 2 shown]
	v_mov_b32_e32 v39, v8
                                        ; implicit-def: $sgpr12_sgpr13
                                        ; implicit-def: $vgpr42
	s_and_saveexec_b64 s[44:45], vcc
	s_cbranch_execz .LBB337_114
; %bb.93:
	s_mov_b32 s12, 0
	v_cmp_ne_u16_sdwa s[4:5], v27, v28 src0_sel:WORD_1 src1_sel:DWORD
	s_mov_b32 s13, s12
	v_add_u32_e32 v9, 13, v43
	v_cndmask_b32_e64 v8, 0, 1, s[4:5]
	s_mov_b32 s14, s12
	s_mov_b32 s15, s12
	;; [unrolled: 1-line block ×6, first 2 shown]
	v_mov_b64_e32 v[10:11], s[12:13]
	v_alignbit_b32 v8, v8, v31, 16
	v_cmp_gt_u32_e32 vcc, s3, v9
	v_mov_b32_e32 v9, s12
	s_mov_b64 s[4:5], 0
	v_mov_b64_e32 v[12:13], s[14:15]
	v_mov_b64_e32 v[14:15], s[16:17]
	;; [unrolled: 1-line block ×3, first 2 shown]
	v_mov_b32_e32 v39, 0
                                        ; implicit-def: $sgpr48_sgpr49
                                        ; implicit-def: $vgpr42
	s_and_saveexec_b64 s[46:47], vcc
	s_cbranch_execz .LBB337_113
; %bb.94:
	v_cmp_ne_u16_sdwa s[4:5], v28, v28 src0_sel:DWORD src1_sel:WORD_1
	v_and_b32_e32 v9, 0xffff, v32
	v_add_u32_e32 v10, 14, v43
	v_cndmask_b32_e64 v11, 0, 1, s[4:5]
	v_lshl_or_b32 v9, v11, 16, v9
	v_cmp_gt_u32_e32 vcc, s3, v10
	v_mov_b64_e32 v[10:11], s[12:13]
	s_mov_b64 s[4:5], 0
	v_mov_b64_e32 v[12:13], s[14:15]
	v_mov_b64_e32 v[14:15], s[16:17]
	;; [unrolled: 1-line block ×3, first 2 shown]
	v_mov_b32_e32 v39, 0
                                        ; implicit-def: $sgpr14_sgpr15
                                        ; implicit-def: $vgpr42
	s_and_saveexec_b64 s[12:13], vcc
	s_cbranch_execz .LBB337_112
; %bb.95:
	v_cmp_ne_u16_sdwa s[4:5], v28, v29 src0_sel:WORD_1 src1_sel:DWORD
	s_mov_b32 s80, 0
	v_add_u32_e32 v10, 15, v43
	v_cndmask_b32_e64 v11, 0, 1, s[4:5]
	s_mov_b32 s81, s80
	v_alignbit_b32 v39, v11, v32, 16
	v_cmp_gt_u32_e32 vcc, s3, v10
	s_mov_b32 s82, s80
	s_mov_b32 s83, s80
	;; [unrolled: 1-line block ×6, first 2 shown]
	v_mov_b64_e32 v[10:11], s[80:81]
	s_mov_b64 s[4:5], 0
	v_mov_b64_e32 v[12:13], s[82:83]
	v_mov_b64_e32 v[14:15], s[84:85]
	;; [unrolled: 1-line block ×3, first 2 shown]
                                        ; implicit-def: $sgpr16_sgpr17
                                        ; implicit-def: $vgpr42
	s_and_saveexec_b64 s[14:15], vcc
	s_cbranch_execz .LBB337_111
; %bb.96:
	v_cmp_ne_u16_sdwa s[4:5], v29, v29 src0_sel:DWORD src1_sel:WORD_1
	v_and_b32_e32 v10, 0xffff, v33
	v_add_u32_e32 v11, 16, v43
	v_cndmask_b32_e64 v12, 0, 1, s[4:5]
	v_lshl_or_b32 v10, v12, 16, v10
	v_mov_b32_e32 v12, 0
	v_cmp_gt_u32_e32 vcc, s3, v11
	v_mov_b32_e32 v11, v12
	v_mov_b32_e32 v13, v12
	;; [unrolled: 1-line block ×6, first 2 shown]
	s_mov_b64 s[4:5], 0
                                        ; implicit-def: $sgpr18_sgpr19
                                        ; implicit-def: $vgpr42
	s_and_saveexec_b64 s[16:17], vcc
	s_cbranch_execz .LBB337_110
; %bb.97:
	v_cmp_ne_u16_sdwa s[4:5], v29, v22 src0_sel:WORD_1 src1_sel:DWORD
	v_add_u32_e32 v13, 17, v43
	v_cmp_gt_u32_e32 vcc, s3, v13
	v_cndmask_b32_e64 v11, 0, 1, s[4:5]
	v_alignbit_b32 v11, v11, v33, 16
	v_mov_b32_e32 v13, v12
	v_mov_b32_e32 v14, v12
	;; [unrolled: 1-line block ×5, first 2 shown]
	s_mov_b64 s[4:5], 0
                                        ; implicit-def: $sgpr48_sgpr49
                                        ; implicit-def: $vgpr42
	s_and_saveexec_b64 s[18:19], vcc
	s_cbranch_execz .LBB337_109
; %bb.98:
	ds_read_b96 v[26:28], v40 offset:34
	v_add_u32_e32 v12, 18, v43
	v_cmp_ne_u16_sdwa s[4:5], v22, v22 src0_sel:DWORD src1_sel:WORD_1
	v_cmp_gt_u32_e32 vcc, s3, v12
	v_mov_b32_e32 v14, 0
	v_cndmask_b32_e64 v13, 0, 1, s[4:5]
	s_waitcnt lgkmcnt(0)
	v_and_b32_e32 v12, 0xffff, v26
	v_lshl_or_b32 v12, v13, 16, v12
	v_mov_b32_e32 v13, v14
	v_mov_b32_e32 v15, v14
	;; [unrolled: 1-line block ×4, first 2 shown]
	s_mov_b64 s[4:5], 0
                                        ; implicit-def: $sgpr50_sgpr51
                                        ; implicit-def: $vgpr42
	s_and_saveexec_b64 s[48:49], vcc
	s_cbranch_execz .LBB337_108
; %bb.99:
	v_cmp_ne_u16_sdwa s[4:5], v22, v23 src0_sel:WORD_1 src1_sel:DWORD
	v_add_u32_e32 v15, 19, v43
	v_cmp_gt_u32_e32 vcc, s3, v15
	v_cndmask_b32_e64 v13, 0, 1, s[4:5]
	v_alignbit_b32 v13, v13, v26, 16
	v_mov_b32_e32 v15, v14
	v_mov_b32_e32 v16, v14
	;; [unrolled: 1-line block ×3, first 2 shown]
	s_mov_b64 s[4:5], 0
                                        ; implicit-def: $sgpr52_sgpr53
                                        ; implicit-def: $vgpr42
	s_and_saveexec_b64 s[50:51], vcc
	s_cbranch_execz .LBB337_107
; %bb.100:
	v_cmp_ne_u16_sdwa s[4:5], v23, v23 src0_sel:DWORD src1_sel:WORD_1
	v_and_b32_e32 v14, 0xffff, v27
	v_add_u32_e32 v15, 20, v43
	v_cndmask_b32_e64 v16, 0, 1, s[4:5]
	v_lshl_or_b32 v14, v16, 16, v14
	v_mov_b32_e32 v16, 0
	v_cmp_gt_u32_e32 vcc, s3, v15
	v_mov_b32_e32 v15, v16
	v_mov_b32_e32 v17, v16
	s_mov_b64 s[4:5], 0
                                        ; implicit-def: $sgpr60_sgpr61
                                        ; implicit-def: $vgpr42
	s_and_saveexec_b64 s[52:53], vcc
	s_cbranch_execz .LBB337_106
; %bb.101:
	v_cmp_ne_u16_sdwa s[4:5], v23, v24 src0_sel:WORD_1 src1_sel:DWORD
	v_add_u32_e32 v17, 21, v43
	v_cmp_gt_u32_e32 vcc, s3, v17
	v_cndmask_b32_e64 v15, 0, 1, s[4:5]
	v_alignbit_b32 v15, v15, v27, 16
	s_mov_b32 s9, 0
	v_mov_b32_e32 v17, v16
	s_mov_b64 s[4:5], 0
                                        ; implicit-def: $sgpr80_sgpr81
                                        ; implicit-def: $vgpr42
	s_and_saveexec_b64 s[60:61], vcc
	s_cbranch_execz .LBB337_105
; %bb.102:
	v_cmp_ne_u16_sdwa s[4:5], v24, v24 src0_sel:DWORD src1_sel:WORD_1
	v_and_b32_e32 v16, 0xffff, v28
	v_add_u32_e32 v17, 22, v43
	v_cndmask_b32_e64 v22, 0, 1, s[4:5]
	v_lshl_or_b32 v16, v22, 16, v16
	v_cmp_gt_u32_e32 vcc, s3, v17
	v_mov_b32_e32 v17, s9
	s_mov_b64 s[4:5], 0
                                        ; implicit-def: $sgpr80_sgpr81
                                        ; implicit-def: $vgpr42
	s_and_saveexec_b64 s[82:83], vcc
	s_xor_b64 s[82:83], exec, s[82:83]
	s_cbranch_execz .LBB337_104
; %bb.103:
	ds_read_u16 v42, v40 offset:46
	v_add_u32_e32 v22, 23, v43
	v_cmp_ne_u16_sdwa s[4:5], v24, v25 src0_sel:WORD_1 src1_sel:DWORD
	v_cmp_ne_u16_e32 vcc, v25, v41
	s_and_b64 s[80:81], vcc, exec
	v_cndmask_b32_e64 v17, 0, 1, s[4:5]
	v_cmp_gt_u32_e64 s[4:5], s3, v22
	v_alignbit_b32 v17, v17, v28, 16
	s_and_b64 s[4:5], s[4:5], exec
.LBB337_104:
	s_or_b64 exec, exec, s[82:83]
	s_and_b64 s[80:81], s[80:81], exec
	s_and_b64 s[4:5], s[4:5], exec
.LBB337_105:
	s_or_b64 exec, exec, s[60:61]
	s_and_b64 s[60:61], s[80:81], exec
	s_and_b64 s[4:5], s[4:5], exec
.LBB337_106:
	s_or_b64 exec, exec, s[52:53]
	s_and_b64 s[52:53], s[60:61], exec
	s_and_b64 s[4:5], s[4:5], exec
.LBB337_107:
	s_or_b64 exec, exec, s[50:51]
	s_and_b64 s[50:51], s[52:53], exec
	s_and_b64 s[4:5], s[4:5], exec
.LBB337_108:
	s_or_b64 exec, exec, s[48:49]
	s_and_b64 s[48:49], s[50:51], exec
	s_and_b64 s[4:5], s[4:5], exec
.LBB337_109:
	s_or_b64 exec, exec, s[18:19]
	s_and_b64 s[18:19], s[48:49], exec
	s_and_b64 s[4:5], s[4:5], exec
.LBB337_110:
	s_or_b64 exec, exec, s[16:17]
	s_and_b64 s[16:17], s[18:19], exec
	s_and_b64 s[4:5], s[4:5], exec
.LBB337_111:
	s_or_b64 exec, exec, s[14:15]
	s_and_b64 s[14:15], s[16:17], exec
	s_and_b64 s[4:5], s[4:5], exec
.LBB337_112:
	s_or_b64 exec, exec, s[12:13]
	s_and_b64 s[48:49], s[14:15], exec
	s_and_b64 s[4:5], s[4:5], exec
.LBB337_113:
	s_or_b64 exec, exec, s[46:47]
	s_and_b64 s[12:13], s[48:49], exec
	s_and_b64 s[4:5], s[4:5], exec
.LBB337_114:
	s_or_b64 exec, exec, s[44:45]
	s_and_b64 s[44:45], s[12:13], exec
	s_and_b64 s[4:5], s[4:5], exec
.LBB337_115:
	s_or_b64 exec, exec, s[42:43]
	s_and_b64 s[12:13], s[44:45], exec
	s_and_b64 s[4:5], s[4:5], exec
.LBB337_116:
	s_or_b64 exec, exec, s[40:41]
	s_and_b64 s[40:41], s[12:13], exec
	s_and_b64 s[4:5], s[4:5], exec
.LBB337_117:
	s_or_b64 exec, exec, s[38:39]
	s_and_b64 s[12:13], s[40:41], exec
	s_and_b64 s[4:5], s[4:5], exec
.LBB337_118:
	s_or_b64 exec, exec, s[36:37]
	s_and_b64 s[36:37], s[12:13], exec
	s_and_b64 s[4:5], s[4:5], exec
.LBB337_119:
	s_or_b64 exec, exec, s[34:35]
	s_and_b64 s[12:13], s[36:37], exec
	s_and_b64 s[4:5], s[4:5], exec
.LBB337_120:
	s_or_b64 exec, exec, s[30:31]
	s_and_b64 s[30:31], s[12:13], exec
	s_and_b64 s[4:5], s[4:5], exec
.LBB337_121:
	s_or_b64 exec, exec, s[28:29]
	s_and_b64 s[12:13], s[30:31], exec
	s_and_b64 s[4:5], s[4:5], exec
.LBB337_122:
	s_or_b64 exec, exec, s[26:27]
	s_and_b64 s[26:27], s[12:13], exec
	s_and_b64 s[4:5], s[4:5], exec
.LBB337_123:
	s_or_b64 exec, exec, s[24:25]
	s_and_b64 s[12:13], s[26:27], exec
	s_and_b64 s[4:5], s[4:5], exec
.LBB337_124:
	s_or_b64 exec, exec, s[22:23]
	s_and_b64 s[24:25], s[12:13], exec
	s_and_b64 s[22:23], s[4:5], exec
.LBB337_125:
	s_or_b64 exec, exec, s[20:21]
	s_and_b64 s[4:5], s[24:25], exec
	s_and_b64 s[12:13], s[22:23], exec
.LBB337_126:
	s_or_b64 exec, exec, s[10:11]
	s_and_b64 vcc, exec, s[6:7]
	v_lshlrev_b32_e32 v22, 1, v0
	s_cbranch_vccnz .LBB337_128
	s_branch .LBB337_136
.LBB337_127:
                                        ; implicit-def: $sgpr4_sgpr5
                                        ; implicit-def: $vgpr18_vgpr19_vgpr20_vgpr21
                                        ; implicit-def: $vgpr2_vgpr3_vgpr4_vgpr5_vgpr6_vgpr7_vgpr8_vgpr9
                                        ; implicit-def: $vgpr10_vgpr11_vgpr12_vgpr13_vgpr14_vgpr15_vgpr16_vgpr17
                                        ; implicit-def: $vgpr42
                                        ; implicit-def: $vgpr1
                                        ; implicit-def: $vgpr38
                                        ; implicit-def: $vgpr39
                                        ; implicit-def: $sgpr8
	s_and_b64 vcc, exec, s[6:7]
	v_lshlrev_b32_e32 v22, 1, v0
	s_cbranch_vccz .LBB337_136
.LBB337_128:
	v_mov_b32_e32 v23, 0
	v_lshl_add_u64 v[2:3], s[56:57], 0, v[22:23]
	v_add_co_u32_e32 v4, vcc, 0x1000, v2
	flat_load_ushort v1, v[2:3]
	flat_load_ushort v6, v[2:3] offset:512
	flat_load_ushort v7, v[2:3] offset:1024
	;; [unrolled: 1-line block ×7, first 2 shown]
	v_addc_co_u32_e32 v5, vcc, 0, v3, vcc
	v_add_co_u32_e32 v2, vcc, 0x2000, v2
	flat_load_ushort v13, v[4:5]
	flat_load_ushort v14, v[4:5] offset:512
	flat_load_ushort v15, v[4:5] offset:1024
	;; [unrolled: 1-line block ×7, first 2 shown]
	v_addc_co_u32_e32 v3, vcc, 0, v3, vcc
	flat_load_ushort v5, v[2:3]
	flat_load_ushort v21, v[2:3] offset:512
	flat_load_ushort v23, v[2:3] offset:1024
	;; [unrolled: 1-line block ×7, first 2 shown]
	v_mad_u32_u24 v4, v0, 46, v22
	s_cmp_eq_u64 s[78:79], 0
	s_waitcnt vmcnt(0) lgkmcnt(0)
	ds_write_b16 v22, v1
	ds_write_b16 v22, v6 offset:512
	ds_write_b16 v22, v7 offset:1024
	;; [unrolled: 1-line block ×23, first 2 shown]
	s_waitcnt lgkmcnt(0)
	s_barrier
	ds_read_b64 v[2:3], v4
	ds_read_u16 v5, v4 offset:8
	ds_read_b128 v[10:13], v4 offset:10
	ds_read_u16 v14, v4 offset:26
	ds_read_b32 v15, v4 offset:44
	ds_read2_b32 v[26:27], v4 offset0:9 offset1:10
	ds_read2_b32 v[24:25], v4 offset0:7 offset1:8
	s_cbranch_scc1 .LBB337_133
; %bb.129:
	s_andn2_b64 vcc, exec, s[76:77]
	s_cbranch_vccnz .LBB337_320
; %bb.130:
	s_lshl_b64 s[4:5], s[78:79], 1
	s_add_u32 s3, s66, s4
	s_addc_u32 s5, s67, s5
	s_add_u32 s4, s3, -2
	s_addc_u32 s5, s5, -1
	s_cbranch_execnz .LBB337_132
.LBB337_131:
	s_add_u32 s4, s56, -2
	s_addc_u32 s5, s57, -1
.LBB337_132:
	s_mov_b64 s[56:57], s[4:5]
.LBB337_133:
	v_mov_b64_e32 v[6:7], s[56:57]
	flat_load_ushort v6, v[6:7]
	s_movk_i32 s3, 0xffd2
	s_waitcnt lgkmcnt(0)
	v_lshrrev_b32_e32 v1, 16, v15
	v_mad_i32_i24 v7, v0, s3, v4
	v_cmp_ne_u32_e32 vcc, 0, v0
	ds_write_b16 v7, v1 offset:12288
	s_waitcnt lgkmcnt(0)
	s_barrier
	s_and_saveexec_b64 s[4:5], vcc
	s_cbranch_execz .LBB337_135
; %bb.134:
	s_waitcnt vmcnt(0)
	v_mul_i32_i24_e32 v6, 0xffffffd2, v0
	v_add_u32_e32 v6, v4, v6
	ds_read_u16 v6, v6 offset:12286
.LBB337_135:
	s_or_b64 exec, exec, s[4:5]
	v_mov_b32_e32 v23, 0
	v_lshl_add_u64 v[8:9], s[54:55], 0, v[22:23]
	s_movk_i32 s3, 0x1000
	v_add_co_u32_e32 v16, vcc, s3, v8
	s_movk_i32 s3, 0x2000
	s_nop 0
	v_addc_co_u32_e32 v17, vcc, 0, v9, vcc
	s_waitcnt lgkmcnt(0)
	s_barrier
	flat_load_ushort v7, v[8:9]
	flat_load_ushort v18, v[8:9] offset:512
	flat_load_ushort v19, v[8:9] offset:1024
	;; [unrolled: 1-line block ×7, first 2 shown]
	v_add_co_u32_e32 v8, vcc, s3, v8
	flat_load_ushort v30, v[16:17]
	flat_load_ushort v31, v[16:17] offset:512
	flat_load_ushort v32, v[16:17] offset:1024
	;; [unrolled: 1-line block ×7, first 2 shown]
	v_addc_co_u32_e32 v9, vcc, 0, v9, vcc
	flat_load_ushort v16, v[8:9]
	flat_load_ushort v17, v[8:9] offset:512
	flat_load_ushort v38, v[8:9] offset:1024
	;; [unrolled: 1-line block ×7, first 2 shown]
	s_waitcnt vmcnt(0)
	v_cmp_ne_u16_e32 vcc, v6, v2
	v_cmp_ne_u16_sdwa s[6:7], v3, v5 src0_sel:WORD_1 src1_sel:DWORD
	v_cmp_ne_u16_e64 s[4:5], v15, v1
	v_cndmask_b32_e64 v1, 0, 1, vcc
	v_cndmask_b32_e64 v9, 0, 1, s[6:7]
	v_cmp_ne_u16_sdwa s[6:7], v2, v3 src0_sel:WORD_1 src1_sel:DWORD
	v_cmp_ne_u16_e32 vcc, v5, v10
	s_mov_b64 s[12:13], -1
	v_cndmask_b32_e64 v44, 0, 1, s[6:7]
	v_cmp_ne_u16_sdwa s[6:7], v3, v3 src0_sel:DWORD src1_sel:WORD_1
                                        ; implicit-def: $sgpr8
	s_waitcnt lgkmcnt(0)
	ds_write_b16 v22, v7
	ds_write_b16 v22, v18 offset:512
	ds_write_b16 v22, v19 offset:1024
	;; [unrolled: 1-line block ×23, first 2 shown]
	s_waitcnt lgkmcnt(0)
	s_barrier
	ds_read_b96 v[6:8], v4
	ds_read_b128 v[28:31], v4 offset:30
	ds_read_u16 v42, v4 offset:46
	ds_read2_b32 v[16:17], v4 offset0:3 offset1:4
	v_cndmask_b32_e64 v3, 0, 1, s[6:7]
	v_cmp_ne_u16_sdwa s[6:7], v2, v2 src0_sel:DWORD src1_sel:WORD_1
	s_waitcnt lgkmcnt(3)
	v_and_b32_e32 v19, 0xffff, v6
	v_and_b32_e32 v23, 0xffff, v7
	v_lshl_or_b32 v1, v1, 16, v19
	v_lshl_or_b32 v19, v44, 16, v23
	ds_read_u16 v23, v4 offset:28
	ds_read2_b32 v[32:33], v4 offset0:5 offset1:6
	v_cndmask_b32_e64 v2, 0, 1, s[6:7]
	v_cmp_ne_u16_sdwa s[6:7], v13, v13 src0_sel:DWORD src1_sel:WORD_1
	v_alignbit_b32 v18, v2, v6, 16
	v_cndmask_b32_e64 v2, 0, 1, vcc
	s_waitcnt lgkmcnt(0)
	v_and_b32_e32 v5, 0xffff, v33
	v_cndmask_b32_e64 v6, 0, 1, s[6:7]
	v_cmp_ne_u16_sdwa s[6:7], v12, v12 src0_sel:DWORD src1_sel:WORD_1
	v_and_b32_e32 v21, 0xffff, v8
	v_alignbit_b32 v38, v2, v8, 16
	v_and_b32_e32 v4, 0xffff, v32
	v_lshl_or_b32 v8, v6, 16, v5
	v_cndmask_b32_e64 v5, 0, 1, s[6:7]
	v_cmp_ne_u16_sdwa s[6:7], v11, v11 src0_sel:DWORD src1_sel:WORD_1
	v_alignbit_b32 v20, v3, v7, 16
	v_and_b32_e32 v3, 0xffff, v17
	v_lshl_or_b32 v6, v5, 16, v4
	v_cndmask_b32_e64 v4, 0, 1, s[6:7]
	v_cmp_ne_u16_sdwa s[6:7], v10, v10 src0_sel:DWORD src1_sel:WORD_1
	v_and_b32_e32 v2, 0xffff, v16
	v_lshl_or_b32 v4, v4, 16, v3
	v_cndmask_b32_e64 v3, 0, 1, s[6:7]
	v_cmp_ne_u16_sdwa s[6:7], v13, v14 src0_sel:WORD_1 src1_sel:DWORD
	v_lshl_or_b32 v2, v3, 16, v2
	v_lshl_or_b32 v21, v9, 16, v21
	v_cndmask_b32_e64 v3, 0, 1, s[6:7]
	v_cmp_ne_u16_sdwa s[6:7], v12, v13 src0_sel:WORD_1 src1_sel:DWORD
	v_alignbit_b32 v9, v3, v33, 16
	v_cmp_ne_u16_e32 vcc, v14, v24
	v_cndmask_b32_e64 v3, 0, 1, s[6:7]
	v_cmp_ne_u16_sdwa s[6:7], v11, v12 src0_sel:WORD_1 src1_sel:DWORD
	v_alignbit_b32 v7, v3, v32, 16
	v_and_b32_e32 v13, 0xffff, v31
	v_cndmask_b32_e64 v3, 0, 1, s[6:7]
	v_cmp_ne_u16_sdwa s[6:7], v10, v11 src0_sel:WORD_1 src1_sel:DWORD
	v_alignbit_b32 v5, v3, v17, 16
	v_and_b32_e32 v12, 0xffff, v30
	v_cndmask_b32_e64 v3, 0, 1, s[6:7]
	v_cmp_ne_u16_sdwa s[6:7], v27, v27 src0_sel:DWORD src1_sel:WORD_1
	v_alignbit_b32 v3, v3, v16, 16
	v_cndmask_b32_e64 v10, 0, 1, vcc
	v_cndmask_b32_e64 v14, 0, 1, s[6:7]
	v_cmp_ne_u16_sdwa s[6:7], v26, v26 src0_sel:DWORD src1_sel:WORD_1
	v_lshl_or_b32 v16, v14, 16, v13
	v_and_b32_e32 v11, 0xffff, v29
	v_cndmask_b32_e64 v13, 0, 1, s[6:7]
	v_cmp_ne_u16_sdwa s[6:7], v25, v25 src0_sel:DWORD src1_sel:WORD_1
	v_lshl_or_b32 v14, v13, 16, v12
	v_lshl_or_b32 v39, v10, 16, v23
	v_cndmask_b32_e64 v12, 0, 1, s[6:7]
	v_cmp_ne_u16_sdwa s[6:7], v24, v24 src0_sel:DWORD src1_sel:WORD_1
	v_and_b32_e32 v10, 0xffff, v28
	v_lshl_or_b32 v12, v12, 16, v11
	v_cndmask_b32_e64 v11, 0, 1, s[6:7]
	v_cmp_ne_u16_sdwa s[6:7], v27, v15 src0_sel:WORD_1 src1_sel:DWORD
	v_lshl_or_b32 v10, v11, 16, v10
	s_nop 0
	v_cndmask_b32_e64 v11, 0, 1, s[6:7]
	v_cmp_ne_u16_sdwa s[6:7], v26, v27 src0_sel:WORD_1 src1_sel:DWORD
	v_alignbit_b32 v17, v11, v31, 16
	s_nop 0
	v_cndmask_b32_e64 v11, 0, 1, s[6:7]
	v_cmp_ne_u16_sdwa s[6:7], v25, v26 src0_sel:WORD_1 src1_sel:DWORD
	v_alignbit_b32 v15, v11, v30, 16
	;; [unrolled: 4-line block ×3, first 2 shown]
	s_nop 0
	v_cndmask_b32_e64 v11, 0, 1, s[6:7]
	v_alignbit_b32 v11, v11, v28, 16
.LBB337_136:
	v_mov_b32_e32 v23, s8
	s_and_saveexec_b64 s[6:7], s[12:13]
	s_cbranch_execz .LBB337_138
; %bb.137:
	v_mov_b32_e32 v23, 0x10000
	v_cndmask_b32_e64 v23, 0, v23, s[4:5]
	s_waitcnt lgkmcnt(0)
	v_or_b32_sdwa v23, v23, v42 dst_sel:DWORD dst_unused:UNUSED_PAD src0_sel:DWORD src1_sel:WORD_0
.LBB337_138:
	s_or_b64 exec, exec, s[6:7]
	s_cmp_lg_u32 s2, 0
	v_mbcnt_lo_u32_b32 v34, -1, 0
	s_waitcnt lgkmcnt(0)
	s_barrier
	s_cbranch_scc0 .LBB337_209
; %bb.139:
	s_mov_b32 s3, 0x10000
	v_cmp_gt_u32_e64 s[52:53], s3, v18
	v_cmp_gt_u32_e64 s[4:5], s3, v19
	v_cmp_gt_u32_e64 s[6:7], s3, v20
	v_cndmask_b32_e64 v24, 0, v1, s[52:53]
	v_add_u16_e32 v24, v24, v18
	v_cndmask_b32_e64 v24, 0, v24, s[4:5]
	v_add_u16_e32 v24, v24, v19
	v_cndmask_b32_e64 v24, 0, v24, s[6:7]
	v_add_u16_e32 v24, v24, v20
	v_cmp_gt_u32_e64 s[8:9], s3, v21
	v_cmp_gt_u32_e64 s[10:11], s3, v38
	v_cmp_gt_u32_e64 s[12:13], s3, v2
	v_cndmask_b32_e64 v24, 0, v24, s[8:9]
	v_add_u16_e32 v24, v24, v21
	v_cndmask_b32_e64 v24, 0, v24, s[10:11]
	v_add_u16_e32 v24, v24, v38
	v_cndmask_b32_e64 v24, 0, v24, s[12:13]
	v_add_u16_e32 v24, v24, v2
	;; [unrolled: 9-line block ×5, first 2 shown]
	v_cmp_gt_u32_e64 s[34:35], s3, v11
	v_cmp_gt_u32_e64 s[36:37], s3, v12
	v_or3_b32 v25, v23, v17, v16
	v_cndmask_b32_e64 v24, 0, v24, s[34:35]
	v_add_u16_e32 v24, v24, v11
	v_cndmask_b32_e64 v24, 0, v24, s[36:37]
	v_add_u16_e32 v24, v24, v12
	v_cmp_gt_u32_e64 s[38:39], s3, v13
	v_or3_b32 v25, v25, v15, v14
	v_or3_b32 v25, v25, v13, v12
	v_cndmask_b32_e64 v24, 0, v24, s[38:39]
	v_add_u16_e32 v24, v24, v13
	v_cmp_gt_u32_e64 s[40:41], s3, v14
	v_or3_b32 v25, v25, v11, v10
	v_or3_b32 v25, v25, v39, v9
	;; [unrolled: 5-line block ×5, first 2 shown]
	v_cndmask_b32_e64 v24, 0, v24, s[46:47]
	v_add_u16_e32 v24, v24, v17
	v_cmp_gt_u32_e64 s[48:49], s3, v23
	v_and_b32_e32 v25, 0x10000, v25
	v_lshrrev_b32_e32 v35, 16, v1
	v_cndmask_b32_e64 v26, 0, v24, s[48:49]
	v_cmp_ne_u32_e32 vcc, 0, v25
	v_add_u16_e32 v24, v26, v23
	v_mbcnt_hi_u32_b32 v27, -1, v34
	v_cndmask_b32_e64 v25, v35, 1, vcc
	v_add_u16_e32 v26, v26, v23
	v_and_b32_e32 v29, 15, v27
	v_lshl_or_b32 v26, v25, 16, v26
	v_cmp_ne_u32_e32 vcc, 0, v29
	s_nop 0
	v_mov_b32_dpp v28, v26 row_shr:1 row_mask:0xf bank_mask:0xf
	s_and_saveexec_b64 s[50:51], vcc
	s_cbranch_execz .LBB337_141
; %bb.140:
	v_cmp_eq_u32_e32 vcc, 0, v25
	v_and_b32_e32 v25, 1, v25
	v_mov_b32_e32 v31, 1
	v_cndmask_b32_e32 v26, 0, v28, vcc
	v_and_b32_sdwa v28, v28, v31 dst_sel:DWORD dst_unused:UNUSED_PAD src0_sel:WORD_1 src1_sel:DWORD
	v_cmp_eq_u32_e32 vcc, 1, v25
	v_add_u16_e32 v30, v26, v24
	v_add_u16_e32 v24, v26, v24
	v_cndmask_b32_e64 v25, v28, 1, vcc
	v_lshlrev_b32_e32 v28, 16, v25
	v_or_b32_e32 v26, v28, v24
	v_mov_b32_e32 v24, v30
.LBB337_141:
	s_or_b64 exec, exec, s[50:51]
	v_lshrrev_b32_e32 v28, 16, v26
	v_mov_b32_dpp v30, v26 row_shr:2 row_mask:0xf bank_mask:0xf
	v_cmp_lt_u32_e32 vcc, 1, v29
	s_and_saveexec_b64 s[50:51], vcc
	s_cbranch_execz .LBB337_143
; %bb.142:
	v_cmp_gt_u32_e32 vcc, s3, v26
	v_and_b32_e32 v25, 0x10000, v26
	v_mov_b32_e32 v26, 1
	v_cndmask_b32_e32 v28, 0, v30, vcc
	v_and_b32_sdwa v26, v30, v26 dst_sel:DWORD dst_unused:UNUSED_PAD src0_sel:WORD_1 src1_sel:DWORD
	v_cmp_ne_u32_e32 vcc, 0, v25
	v_add_u16_e32 v31, v28, v24
	v_add_u16_e32 v24, v28, v24
	v_cndmask_b32_e64 v25, v26, 1, vcc
	v_lshlrev_b32_e32 v26, 16, v25
	v_or_b32_e32 v26, v26, v24
	v_mov_b32_e32 v28, v25
	v_mov_b32_e32 v24, v31
.LBB337_143:
	s_or_b64 exec, exec, s[50:51]
	v_mov_b32_dpp v30, v26 row_shr:4 row_mask:0xf bank_mask:0xf
	v_cmp_lt_u32_e32 vcc, 3, v29
	s_and_saveexec_b64 s[50:51], vcc
	s_cbranch_execz .LBB337_145
; %bb.144:
	v_mov_b32_e32 v25, 0
	v_cmp_eq_u16_sdwa vcc, v28, v25 src0_sel:BYTE_0 src1_sel:DWORD
	v_and_b32_e32 v25, 1, v28
	v_mov_b32_e32 v28, 1
	v_cndmask_b32_e32 v26, 0, v30, vcc
	v_and_b32_sdwa v28, v30, v28 dst_sel:DWORD dst_unused:UNUSED_PAD src0_sel:WORD_1 src1_sel:DWORD
	v_cmp_eq_u32_e32 vcc, 1, v25
	v_add_u16_e32 v31, v26, v24
	v_add_u16_e32 v24, v26, v24
	v_cndmask_b32_e64 v25, v28, 1, vcc
	v_lshlrev_b32_e32 v28, 16, v25
	v_or_b32_e32 v26, v28, v24
	v_mov_b32_e32 v28, v25
	v_mov_b32_e32 v24, v31
.LBB337_145:
	s_or_b64 exec, exec, s[50:51]
	v_mov_b32_dpp v30, v26 row_shr:8 row_mask:0xf bank_mask:0xf
	v_cmp_lt_u32_e32 vcc, 7, v29
	s_and_saveexec_b64 s[50:51], vcc
	s_cbranch_execz .LBB337_147
; %bb.146:
	v_mov_b32_e32 v25, 0
	v_cmp_eq_u16_sdwa vcc, v28, v25 src0_sel:BYTE_0 src1_sel:DWORD
	v_and_b32_e32 v25, 1, v28
	v_mov_b32_e32 v28, 1
	v_cndmask_b32_e32 v26, 0, v30, vcc
	v_and_b32_sdwa v28, v30, v28 dst_sel:DWORD dst_unused:UNUSED_PAD src0_sel:WORD_1 src1_sel:DWORD
	v_cmp_eq_u32_e32 vcc, 1, v25
	v_add_u16_e32 v29, v26, v24
	v_add_u16_e32 v24, v26, v24
	v_cndmask_b32_e64 v25, v28, 1, vcc
	v_lshlrev_b32_e32 v28, 16, v25
	v_or_b32_e32 v26, v28, v24
	v_mov_b32_e32 v28, v25
	v_mov_b32_e32 v24, v29
.LBB337_147:
	s_or_b64 exec, exec, s[50:51]
	v_and_b32_e32 v30, 16, v27
	v_mov_b32_dpp v29, v26 row_bcast:15 row_mask:0xf bank_mask:0xf
	v_cmp_ne_u32_e32 vcc, 0, v30
	s_and_saveexec_b64 s[50:51], vcc
	s_cbranch_execz .LBB337_149
; %bb.148:
	v_mov_b32_e32 v25, 0
	v_cmp_eq_u16_sdwa vcc, v28, v25 src0_sel:BYTE_0 src1_sel:DWORD
	v_and_b32_e32 v25, 1, v28
	v_mov_b32_e32 v28, 1
	v_cndmask_b32_e32 v26, 0, v29, vcc
	v_and_b32_sdwa v28, v29, v28 dst_sel:DWORD dst_unused:UNUSED_PAD src0_sel:WORD_1 src1_sel:DWORD
	v_cmp_eq_u32_e32 vcc, 1, v25
	v_add_u16_e32 v30, v26, v24
	v_add_u16_e32 v24, v26, v24
	v_cndmask_b32_e64 v25, v28, 1, vcc
	v_lshlrev_b32_e32 v28, 16, v25
	v_or_b32_e32 v26, v28, v24
	v_mov_b32_e32 v24, v30
	v_mov_b32_e32 v28, v25
.LBB337_149:
	s_or_b64 exec, exec, s[50:51]
	v_mov_b32_dpp v26, v26 row_bcast:31 row_mask:0xf bank_mask:0xf
	v_cmp_lt_u32_e32 vcc, 31, v27
	s_and_saveexec_b64 s[50:51], vcc
; %bb.150:
	v_mov_b32_e32 v25, 0
	v_cmp_eq_u16_sdwa vcc, v28, v25 src0_sel:BYTE_0 src1_sel:DWORD
	s_nop 1
	v_cndmask_b32_e32 v25, 0, v26, vcc
	v_add_u16_e32 v24, v25, v24
	v_and_b32_e32 v25, 1, v28
	v_mov_b32_e32 v28, 1
	v_and_b32_sdwa v26, v26, v28 dst_sel:DWORD dst_unused:UNUSED_PAD src0_sel:WORD_1 src1_sel:DWORD
	v_cmp_eq_u32_e32 vcc, 1, v25
	s_nop 1
	v_cndmask_b32_e64 v25, v26, 1, vcc
; %bb.151:
	s_or_b64 exec, exec, s[50:51]
	v_or_b32_e32 v28, 63, v0
	v_lshrrev_b32_e32 v26, 6, v0
	v_cmp_eq_u32_e32 vcc, v28, v0
	s_and_saveexec_b64 s[50:51], vcc
	s_cbranch_execz .LBB337_153
; %bb.152:
	v_lshlrev_b32_e32 v28, 2, v26
	ds_write_b16 v28, v24
	ds_write_b8 v28, v25 offset:2
.LBB337_153:
	s_or_b64 exec, exec, s[50:51]
	v_cmp_gt_u32_e32 vcc, 4, v0
	s_waitcnt lgkmcnt(0)
	s_barrier
	s_and_saveexec_b64 s[50:51], vcc
	s_cbranch_execz .LBB337_159
; %bb.154:
	v_lshlrev_b32_e32 v28, 2, v0
	ds_read_b32 v29, v28
	v_and_b32_e32 v32, 3, v27
	v_cmp_ne_u32_e32 vcc, 0, v32
	s_waitcnt lgkmcnt(0)
	v_lshrrev_b32_e32 v31, 16, v29
	v_mov_b32_dpp v33, v29 row_shr:1 row_mask:0xf bank_mask:0xf
	v_mov_b32_e32 v30, v29
	s_and_saveexec_b64 s[54:55], vcc
	s_cbranch_execz .LBB337_156
; %bb.155:
	v_mov_b32_e32 v30, 0
	v_cmp_eq_u16_sdwa vcc, v31, v30 src0_sel:BYTE_0 src1_sel:DWORD
	v_and_b32_e32 v31, 0x10000, v29
	v_mov_b32_e32 v40, 1
	v_cndmask_b32_e32 v37, 0, v33, vcc
	v_and_b32_sdwa v33, v33, v40 dst_sel:DWORD dst_unused:UNUSED_PAD src0_sel:WORD_1 src1_sel:DWORD
	v_cmp_ne_u32_e32 vcc, 0, v31
	v_and_b32_e32 v36, 0xff000000, v29
	v_add_u16_e32 v30, v37, v29
	v_cndmask_b32_e64 v31, v33, 1, vcc
	v_lshlrev_b32_e32 v33, 16, v31
	v_add_u16_e32 v29, v37, v29
	v_or3_b32 v29, v33, v36, v29
.LBB337_156:
	s_or_b64 exec, exec, s[54:55]
	s_nop 0
	v_mov_b32_dpp v33, v29 row_shr:2 row_mask:0xf bank_mask:0xf
	v_cmp_lt_u32_e32 vcc, 1, v32
	s_and_saveexec_b64 s[54:55], vcc
; %bb.157:
	v_and_b32_e32 v31, 0xff0000, v29
	v_cmp_eq_u32_e32 vcc, 0, v31
	v_and_b32_e32 v29, 0x10000, v29
	s_nop 0
	v_cndmask_b32_e32 v31, 0, v33, vcc
	v_add_u16_e32 v30, v31, v30
	v_mov_b32_e32 v31, 1
	v_and_b32_sdwa v31, v33, v31 dst_sel:DWORD dst_unused:UNUSED_PAD src0_sel:WORD_1 src1_sel:DWORD
	v_cmp_eq_u32_e32 vcc, 0, v29
	s_nop 1
	v_cndmask_b32_e32 v31, 1, v31, vcc
; %bb.158:
	s_or_b64 exec, exec, s[54:55]
	ds_write_b16 v28, v30
	ds_write_b8 v28, v31 offset:2
.LBB337_159:
	s_or_b64 exec, exec, s[50:51]
	v_cmp_gt_u32_e32 vcc, 64, v0
	v_cmp_lt_u32_e64 s[50:51], 63, v0
	v_mov_b32_e32 v36, 0
	v_mov_b32_e32 v37, 0
	s_waitcnt lgkmcnt(0)
	s_barrier
	s_and_saveexec_b64 s[54:55], s[50:51]
	s_cbranch_execz .LBB337_161
; %bb.160:
	v_lshl_add_u32 v26, v26, 2, -4
	ds_read_u16 v36, v26
	ds_read_u8 v37, v26 offset:2
	v_mov_b32_e32 v28, 0
	v_and_b32_e32 v29, 1, v25
	v_cmp_eq_u16_sdwa s[50:51], v25, v28 src0_sel:BYTE_0 src1_sel:DWORD
	s_waitcnt lgkmcnt(1)
	s_nop 0
	v_cndmask_b32_e64 v25, 0, v36, s[50:51]
	v_cmp_eq_u32_e64 s[50:51], 1, v29
	v_add_u16_e32 v24, v25, v24
	s_waitcnt lgkmcnt(0)
	v_cndmask_b32_e64 v25, v37, 1, s[50:51]
.LBB337_161:
	s_or_b64 exec, exec, s[54:55]
	v_and_b32_e32 v25, 0xff, v25
	v_and_b32_e32 v24, 0xffff, v24
	v_lshl_or_b32 v24, v25, 16, v24
	v_add_u32_e32 v25, -1, v27
	v_and_b32_e32 v26, 64, v27
	v_cmp_lt_i32_e64 s[50:51], v25, v26
	s_nop 1
	v_cndmask_b32_e64 v25, v25, v27, s[50:51]
	v_lshlrev_b32_e32 v25, 2, v25
	ds_bpermute_b32 v40, v25, v24
	v_cmp_eq_u32_e64 s[50:51], 0, v27
	s_and_saveexec_b64 s[54:55], vcc
	s_cbranch_execz .LBB337_208
; %bb.162:
	v_mov_b32_e32 v33, 0
	ds_read_b32 v24, v33 offset:12
	s_and_saveexec_b64 s[56:57], s[50:51]
	s_cbranch_execz .LBB337_164
; %bb.163:
	s_add_i32 s60, s2, 64
	s_mov_b32 s61, 0
	s_lshl_b64 s[60:61], s[60:61], 3
	s_add_u32 s60, s68, s60
	v_mov_b32_e32 v25, 1
	s_addc_u32 s61, s69, s61
	s_waitcnt lgkmcnt(0)
	global_store_dwordx2 v33, v[24:25], s[60:61] sc1
.LBB337_164:
	s_or_b64 exec, exec, s[56:57]
	v_xad_u32 v26, v27, -1, s2
	v_add_u32_e32 v32, 64, v26
	v_lshl_add_u64 v[30:31], v[32:33], 3, s[68:69]
	global_load_dwordx2 v[28:29], v[30:31], off sc1
	s_waitcnt vmcnt(0)
	v_cmp_eq_u16_sdwa s[60:61], v29, v33 src0_sel:BYTE_0 src1_sel:DWORD
	s_and_saveexec_b64 s[56:57], s[60:61]
	s_cbranch_execz .LBB337_170
; %bb.165:
	s_mov_b32 s3, 1
	s_mov_b64 s[60:61], 0
	v_mov_b32_e32 v25, 0
.LBB337_166:                            ; =>This Loop Header: Depth=1
                                        ;     Child Loop BB337_167 Depth 2
	s_max_u32 s66, s3, 1
.LBB337_167:                            ;   Parent Loop BB337_166 Depth=1
                                        ; =>  This Inner Loop Header: Depth=2
	s_add_i32 s66, s66, -1
	s_cmp_eq_u32 s66, 0
	s_sleep 1
	s_cbranch_scc0 .LBB337_167
; %bb.168:                              ;   in Loop: Header=BB337_166 Depth=1
	global_load_dwordx2 v[28:29], v[30:31], off sc1
	s_cmp_lt_u32 s3, 32
	s_cselect_b64 s[66:67], -1, 0
	s_cmp_lg_u64 s[66:67], 0
	s_addc_u32 s3, s3, 0
	s_waitcnt vmcnt(0)
	v_cmp_ne_u16_sdwa s[66:67], v29, v25 src0_sel:BYTE_0 src1_sel:DWORD
	s_or_b64 s[60:61], s[66:67], s[60:61]
	s_andn2_b64 exec, exec, s[60:61]
	s_cbranch_execnz .LBB337_166
; %bb.169:
	s_or_b64 exec, exec, s[60:61]
.LBB337_170:
	s_or_b64 exec, exec, s[56:57]
	v_mov_b32_e32 v25, 2
	v_cmp_eq_u16_sdwa s[56:57], v29, v25 src0_sel:BYTE_0 src1_sel:DWORD
	v_lshlrev_b64 v[30:31], v27, -1
	v_and_b32_e32 v52, 0xffffff, v28
	v_and_b32_e32 v25, s57, v31
	v_or_b32_e32 v25, 0x80000000, v25
	v_ffbl_b32_e32 v25, v25
	v_add_u32_e32 v33, 32, v25
	v_and_b32_e32 v25, 63, v27
	v_cmp_ne_u32_e32 vcc, 63, v25
	v_and_b32_e32 v32, s56, v30
	v_ffbl_b32_e32 v32, v32
	v_addc_co_u32_e32 v41, vcc, 0, v27, vcc
	v_lshlrev_b32_e32 v41, 2, v41
	ds_bpermute_b32 v42, v41, v52
	v_min_u32_e32 v33, v32, v33
	v_lshrrev_b32_e32 v32, 16, v28
	v_cmp_lt_u32_e32 vcc, v25, v33
	v_bfe_u32 v50, v28, 16, 8
	s_and_saveexec_b64 s[56:57], vcc
	s_cbranch_execz .LBB337_172
; %bb.171:
	v_and_b32_e32 v32, 0xff0000, v28
	v_cmp_eq_u32_e32 vcc, 0, v32
	v_and_b32_e32 v32, 0x10000, v32
	v_mov_b32_e32 v45, 1
	s_waitcnt lgkmcnt(0)
	v_cndmask_b32_e32 v43, 0, v42, vcc
	v_and_b32_sdwa v42, v42, v45 dst_sel:DWORD dst_unused:UNUSED_PAD src0_sel:WORD_1 src1_sel:DWORD
	v_cmp_ne_u32_e32 vcc, 0, v32
	v_add_u16_e32 v44, v43, v28
	v_add_u16_e32 v28, v43, v28
	v_cndmask_b32_e64 v32, v42, 1, vcc
	v_lshlrev_b32_e32 v42, 16, v32
	v_or_b32_e32 v52, v42, v28
	v_mov_b32_e32 v28, v44
	v_mov_b32_e32 v50, v32
.LBB337_172:
	s_or_b64 exec, exec, s[56:57]
	v_cmp_gt_u32_e32 vcc, 62, v25
	v_add_u32_e32 v43, 2, v25
	s_waitcnt lgkmcnt(0)
	v_cndmask_b32_e64 v42, 0, 1, vcc
	v_lshlrev_b32_e32 v42, 1, v42
	v_add_lshl_u32 v42, v42, v27, 2
	ds_bpermute_b32 v44, v42, v52
	v_cmp_le_u32_e32 vcc, v43, v33
	s_and_saveexec_b64 s[56:57], vcc
	s_cbranch_execz .LBB337_174
; %bb.173:
	v_cmp_eq_u16_e32 vcc, 0, v50
	v_and_b32_e32 v32, 1, v50
	v_mov_b32_e32 v47, 1
	s_waitcnt lgkmcnt(0)
	v_cndmask_b32_e32 v45, 0, v44, vcc
	v_and_b32_sdwa v44, v44, v47 dst_sel:DWORD dst_unused:UNUSED_PAD src0_sel:WORD_1 src1_sel:DWORD
	v_cmp_eq_u32_e32 vcc, 1, v32
	v_add_u16_e32 v46, v45, v28
	v_add_u16_e32 v28, v45, v28
	v_cndmask_b32_e64 v32, v44, 1, vcc
	v_lshlrev_b32_e32 v44, 16, v32
	v_or_b32_e32 v52, v44, v28
	v_mov_b32_e32 v28, v46
	v_mov_b32_e32 v50, v32
.LBB337_174:
	s_or_b64 exec, exec, s[56:57]
	v_cmp_gt_u32_e32 vcc, 60, v25
	v_add_u32_e32 v45, 4, v25
	s_waitcnt lgkmcnt(0)
	v_cndmask_b32_e64 v44, 0, 1, vcc
	v_lshlrev_b32_e32 v44, 2, v44
	v_add_lshl_u32 v44, v44, v27, 2
	ds_bpermute_b32 v46, v44, v52
	v_cmp_le_u32_e32 vcc, v45, v33
	s_and_saveexec_b64 s[56:57], vcc
	s_cbranch_execz .LBB337_176
; %bb.175:
	v_cmp_eq_u16_e32 vcc, 0, v50
	v_and_b32_e32 v32, 1, v50
	v_mov_b32_e32 v49, 1
	s_waitcnt lgkmcnt(0)
	v_cndmask_b32_e32 v47, 0, v46, vcc
	v_and_b32_sdwa v46, v46, v49 dst_sel:DWORD dst_unused:UNUSED_PAD src0_sel:WORD_1 src1_sel:DWORD
	v_cmp_eq_u32_e32 vcc, 1, v32
	v_add_u16_e32 v48, v47, v28
	v_add_u16_e32 v28, v47, v28
	v_cndmask_b32_e64 v32, v46, 1, vcc
	v_lshlrev_b32_e32 v46, 16, v32
	v_or_b32_e32 v52, v46, v28
	v_mov_b32_e32 v28, v48
	v_mov_b32_e32 v50, v32
.LBB337_176:
	s_or_b64 exec, exec, s[56:57]
	v_cmp_gt_u32_e32 vcc, 56, v25
	v_add_u32_e32 v47, 8, v25
	s_waitcnt lgkmcnt(0)
	v_cndmask_b32_e64 v46, 0, 1, vcc
	v_lshlrev_b32_e32 v46, 3, v46
	v_add_lshl_u32 v46, v46, v27, 2
	ds_bpermute_b32 v48, v46, v52
	v_cmp_le_u32_e32 vcc, v47, v33
	s_and_saveexec_b64 s[56:57], vcc
	s_cbranch_execz .LBB337_178
; %bb.177:
	v_cmp_eq_u16_e32 vcc, 0, v50
	v_and_b32_e32 v32, 1, v50
	v_mov_b32_e32 v50, 1
	s_waitcnt lgkmcnt(0)
	v_cndmask_b32_e32 v49, 0, v48, vcc
	v_and_b32_sdwa v48, v48, v50 dst_sel:DWORD dst_unused:UNUSED_PAD src0_sel:WORD_1 src1_sel:DWORD
	v_cmp_eq_u32_e32 vcc, 1, v32
	v_add_u16_e32 v51, v49, v28
	v_add_u16_e32 v28, v49, v28
	v_cndmask_b32_e64 v32, v48, 1, vcc
	v_lshlrev_b32_e32 v48, 16, v32
	v_or_b32_e32 v52, v48, v28
	v_mov_b32_e32 v28, v51
	v_mov_b32_e32 v50, v32
.LBB337_178:
	s_or_b64 exec, exec, s[56:57]
	v_cmp_gt_u32_e32 vcc, 48, v25
	v_add_u32_e32 v49, 16, v25
	s_waitcnt lgkmcnt(0)
	v_cndmask_b32_e64 v48, 0, 1, vcc
	v_lshlrev_b32_e32 v48, 4, v48
	v_add_lshl_u32 v48, v48, v27, 2
	ds_bpermute_b32 v51, v48, v52
	v_cmp_le_u32_e32 vcc, v49, v33
	s_and_saveexec_b64 s[56:57], vcc
	s_cbranch_execz .LBB337_180
; %bb.179:
	v_cmp_eq_u16_e32 vcc, 0, v50
	v_and_b32_e32 v32, 1, v50
	v_mov_b32_e32 v50, 1
	s_waitcnt lgkmcnt(0)
	v_cndmask_b32_e32 v52, 0, v51, vcc
	v_and_b32_sdwa v50, v51, v50 dst_sel:DWORD dst_unused:UNUSED_PAD src0_sel:WORD_1 src1_sel:DWORD
	v_cmp_eq_u32_e32 vcc, 1, v32
	v_add_u16_e32 v53, v52, v28
	v_add_u16_e32 v28, v52, v28
	v_cndmask_b32_e64 v32, v50, 1, vcc
	v_lshlrev_b32_e32 v50, 16, v32
	v_or_b32_e32 v52, v50, v28
	v_mov_b32_e32 v28, v53
	v_mov_b32_e32 v50, v32
.LBB337_180:
	s_or_b64 exec, exec, s[56:57]
	v_cmp_gt_u32_e32 vcc, 32, v25
	v_add_u32_e32 v53, 32, v25
	s_waitcnt lgkmcnt(0)
	v_cndmask_b32_e64 v51, 0, 1, vcc
	v_lshlrev_b32_e32 v51, 5, v51
	v_add_lshl_u32 v51, v51, v27, 2
	ds_bpermute_b32 v27, v51, v52
	v_cmp_le_u32_e32 vcc, v53, v33
	s_and_saveexec_b64 s[56:57], vcc
	s_cbranch_execz .LBB337_182
; %bb.181:
	v_cmp_eq_u16_e32 vcc, 0, v50
	v_mov_b32_e32 v33, 1
	s_waitcnt lgkmcnt(0)
	v_cndmask_b32_e32 v32, 0, v27, vcc
	v_add_u16_e32 v28, v32, v28
	v_and_b32_e32 v32, 1, v50
	v_and_b32_sdwa v27, v27, v33 dst_sel:DWORD dst_unused:UNUSED_PAD src0_sel:WORD_1 src1_sel:DWORD
	v_cmp_eq_u32_e32 vcc, 1, v32
	s_nop 1
	v_cndmask_b32_e64 v32, v27, 1, vcc
.LBB337_182:
	s_or_b64 exec, exec, s[56:57]
	s_waitcnt lgkmcnt(0)
	v_mov_b32_e32 v27, 0
	v_mov_b32_e32 v54, 2
	;; [unrolled: 1-line block ×3, first 2 shown]
	s_branch .LBB337_184
.LBB337_183:                            ;   in Loop: Header=BB337_184 Depth=1
	s_or_b64 exec, exec, s[56:57]
	v_cmp_eq_u16_sdwa vcc, v50, v27 src0_sel:BYTE_0 src1_sel:DWORD
	v_and_b32_e32 v32, 1, v50
	v_and_b32_e32 v33, 1, v33
	v_cndmask_b32_e32 v28, 0, v28, vcc
	v_cmp_eq_u32_e32 vcc, 1, v32
	v_subrev_u32_e32 v26, 64, v26
	v_add_u16_e32 v28, v28, v52
	v_cndmask_b32_e64 v32, v33, 1, vcc
.LBB337_184:                            ; =>This Loop Header: Depth=1
                                        ;     Child Loop BB337_187 Depth 2
                                        ;       Child Loop BB337_188 Depth 3
	v_cmp_ne_u16_sdwa s[56:57], v29, v54 src0_sel:BYTE_0 src1_sel:DWORD
	v_mov_b32_e32 v50, v32
	v_mov_b32_e32 v52, v28
	v_cndmask_b32_e64 v29, 0, 1, s[56:57]
	;;#ASMSTART
	;;#ASMEND
	s_nop 0
	v_cmp_ne_u32_e32 vcc, 0, v29
	s_cmp_lg_u64 vcc, exec
	s_cbranch_scc1 .LBB337_203
; %bb.185:                              ;   in Loop: Header=BB337_184 Depth=1
	v_lshl_add_u64 v[32:33], v[26:27], 3, s[68:69]
	global_load_dwordx2 v[28:29], v[32:33], off sc1
	s_waitcnt vmcnt(0)
	v_cmp_eq_u16_sdwa s[60:61], v29, v27 src0_sel:BYTE_0 src1_sel:DWORD
	s_and_saveexec_b64 s[56:57], s[60:61]
	s_cbranch_execz .LBB337_191
; %bb.186:                              ;   in Loop: Header=BB337_184 Depth=1
	s_mov_b32 s3, 1
	s_mov_b64 s[60:61], 0
.LBB337_187:                            ;   Parent Loop BB337_184 Depth=1
                                        ; =>  This Loop Header: Depth=2
                                        ;       Child Loop BB337_188 Depth 3
	s_max_u32 s66, s3, 1
.LBB337_188:                            ;   Parent Loop BB337_184 Depth=1
                                        ;     Parent Loop BB337_187 Depth=2
                                        ; =>    This Inner Loop Header: Depth=3
	s_add_i32 s66, s66, -1
	s_cmp_eq_u32 s66, 0
	s_sleep 1
	s_cbranch_scc0 .LBB337_188
; %bb.189:                              ;   in Loop: Header=BB337_187 Depth=2
	global_load_dwordx2 v[28:29], v[32:33], off sc1
	s_cmp_lt_u32 s3, 32
	s_cselect_b64 s[66:67], -1, 0
	s_cmp_lg_u64 s[66:67], 0
	s_addc_u32 s3, s3, 0
	s_waitcnt vmcnt(0)
	v_cmp_ne_u16_sdwa s[66:67], v29, v27 src0_sel:BYTE_0 src1_sel:DWORD
	s_or_b64 s[60:61], s[66:67], s[60:61]
	s_andn2_b64 exec, exec, s[60:61]
	s_cbranch_execnz .LBB337_187
; %bb.190:                              ;   in Loop: Header=BB337_184 Depth=1
	s_or_b64 exec, exec, s[60:61]
.LBB337_191:                            ;   in Loop: Header=BB337_184 Depth=1
	s_or_b64 exec, exec, s[56:57]
	v_cmp_eq_u16_sdwa s[56:57], v29, v54 src0_sel:BYTE_0 src1_sel:DWORD
	s_waitcnt lgkmcnt(0)
	v_and_b32_e32 v57, 0xffffff, v28
	ds_bpermute_b32 v58, v41, v57
	v_and_b32_e32 v32, s57, v31
	v_or_b32_e32 v32, 0x80000000, v32
	v_and_b32_e32 v33, s56, v30
	v_ffbl_b32_e32 v32, v32
	v_add_u32_e32 v32, 32, v32
	v_ffbl_b32_e32 v33, v33
	v_min_u32_e32 v32, v33, v32
	v_lshrrev_b32_e32 v33, 16, v28
	v_cmp_lt_u32_e32 vcc, v25, v32
	v_bfe_u32 v56, v28, 16, 8
	s_and_saveexec_b64 s[56:57], vcc
	s_cbranch_execz .LBB337_193
; %bb.192:                              ;   in Loop: Header=BB337_184 Depth=1
	v_and_b32_e32 v33, 0xff0000, v28
	v_cmp_eq_u32_e32 vcc, 0, v33
	v_and_b32_e32 v33, 0x10000, v33
	s_waitcnt lgkmcnt(0)
	v_and_b32_sdwa v57, v58, v55 dst_sel:DWORD dst_unused:UNUSED_PAD src0_sel:WORD_1 src1_sel:DWORD
	v_cndmask_b32_e32 v56, 0, v58, vcc
	v_cmp_ne_u32_e32 vcc, 0, v33
	v_add_u16_e32 v59, v56, v28
	v_add_u16_e32 v28, v56, v28
	v_cndmask_b32_e64 v33, v57, 1, vcc
	v_lshlrev_b32_e32 v57, 16, v33
	v_or_b32_e32 v57, v57, v28
	v_mov_b32_e32 v28, v59
	v_mov_b32_e32 v56, v33
.LBB337_193:                            ;   in Loop: Header=BB337_184 Depth=1
	s_or_b64 exec, exec, s[56:57]
	s_waitcnt lgkmcnt(0)
	ds_bpermute_b32 v58, v42, v57
	v_cmp_le_u32_e32 vcc, v43, v32
	s_and_saveexec_b64 s[56:57], vcc
	s_cbranch_execz .LBB337_195
; %bb.194:                              ;   in Loop: Header=BB337_184 Depth=1
	v_cmp_eq_u16_e32 vcc, 0, v56
	v_and_b32_e32 v33, 1, v56
	s_waitcnt lgkmcnt(0)
	v_and_b32_sdwa v56, v58, v55 dst_sel:DWORD dst_unused:UNUSED_PAD src0_sel:WORD_1 src1_sel:DWORD
	v_cndmask_b32_e32 v57, 0, v58, vcc
	v_cmp_eq_u32_e32 vcc, 1, v33
	v_add_u16_e32 v59, v57, v28
	v_add_u16_e32 v28, v57, v28
	v_cndmask_b32_e64 v33, v56, 1, vcc
	v_lshlrev_b32_e32 v56, 16, v33
	v_or_b32_e32 v57, v56, v28
	v_mov_b32_e32 v28, v59
	v_mov_b32_e32 v56, v33
.LBB337_195:                            ;   in Loop: Header=BB337_184 Depth=1
	s_or_b64 exec, exec, s[56:57]
	s_waitcnt lgkmcnt(0)
	ds_bpermute_b32 v58, v44, v57
	v_cmp_le_u32_e32 vcc, v45, v32
	s_and_saveexec_b64 s[56:57], vcc
	s_cbranch_execz .LBB337_197
; %bb.196:                              ;   in Loop: Header=BB337_184 Depth=1
	v_cmp_eq_u16_e32 vcc, 0, v56
	v_and_b32_e32 v33, 1, v56
	s_waitcnt lgkmcnt(0)
	v_and_b32_sdwa v56, v58, v55 dst_sel:DWORD dst_unused:UNUSED_PAD src0_sel:WORD_1 src1_sel:DWORD
	v_cndmask_b32_e32 v57, 0, v58, vcc
	v_cmp_eq_u32_e32 vcc, 1, v33
	v_add_u16_e32 v59, v57, v28
	v_add_u16_e32 v28, v57, v28
	v_cndmask_b32_e64 v33, v56, 1, vcc
	v_lshlrev_b32_e32 v56, 16, v33
	v_or_b32_e32 v57, v56, v28
	v_mov_b32_e32 v28, v59
	v_mov_b32_e32 v56, v33
.LBB337_197:                            ;   in Loop: Header=BB337_184 Depth=1
	;; [unrolled: 21-line block ×4, first 2 shown]
	s_or_b64 exec, exec, s[56:57]
	ds_bpermute_b32 v57, v51, v57
	v_cmp_le_u32_e32 vcc, v53, v32
	s_and_saveexec_b64 s[56:57], vcc
	s_cbranch_execz .LBB337_183
; %bb.202:                              ;   in Loop: Header=BB337_184 Depth=1
	v_cmp_eq_u16_e32 vcc, 0, v56
	s_waitcnt lgkmcnt(0)
	v_lshrrev_b32_e32 v33, 16, v57
	v_cndmask_b32_e32 v32, 0, v57, vcc
	v_add_u16_e32 v28, v32, v28
	v_and_b32_e32 v32, 1, v56
	v_cmp_eq_u32_e32 vcc, 1, v32
	s_nop 1
	v_cndmask_b32_e64 v33, v33, 1, vcc
	s_branch .LBB337_183
.LBB337_203:                            ;   in Loop: Header=BB337_184 Depth=1
                                        ; implicit-def: $vgpr32
                                        ; implicit-def: $vgpr28
	s_cbranch_execz .LBB337_184
; %bb.204:
	s_and_saveexec_b64 s[56:57], s[50:51]
	s_cbranch_execz .LBB337_206
; %bb.205:
	v_and_b32_e32 v25, 0xff0000, v24
	s_mov_b32 s3, 0
	v_cmp_eq_u32_e32 vcc, 0, v25
	v_and_b32_e32 v26, 0x10000, v24
	v_mov_b32_e32 v27, 1
	s_add_i32 s2, s2, 64
	v_cndmask_b32_e32 v25, 0, v52, vcc
	v_and_b32_sdwa v27, v50, v27 dst_sel:WORD_1 dst_unused:UNUSED_PAD src0_sel:DWORD src1_sel:DWORD
	v_mov_b32_e32 v28, 0x10000
	v_cmp_eq_u32_e32 vcc, 0, v26
	s_lshl_b64 s[2:3], s[2:3], 3
	s_add_u32 s2, s68, s2
	v_cndmask_b32_e32 v26, v28, v27, vcc
	v_add_u16_e32 v24, v25, v24
	s_addc_u32 s3, s69, s3
	v_mov_b32_e32 v27, 0
	v_or_b32_e32 v24, v26, v24
	v_mov_b32_e32 v25, 2
	global_store_dwordx2 v27, v[24:25], s[2:3] sc1
.LBB337_206:
	s_or_b64 exec, exec, s[56:57]
	v_cmp_eq_u32_e32 vcc, 0, v0
	s_and_b64 exec, exec, vcc
	s_cbranch_execz .LBB337_208
; %bb.207:
	v_mov_b32_e32 v24, 0
	ds_write_b16 v24, v52 offset:12
	ds_write_b8 v24, v50 offset:14
.LBB337_208:
	s_or_b64 exec, exec, s[54:55]
	s_waitcnt lgkmcnt(0)
	v_lshrrev_b32_e32 v24, 16, v40
	v_mov_b32_e32 v26, 0
	s_mov_b32 s2, 0x10000
	v_cndmask_b32_e64 v24, v24, v37, s[50:51]
	v_cndmask_b32_e64 v25, v40, v36, s[50:51]
	s_barrier
	ds_read_b32 v27, v26 offset:12
	v_cmp_gt_u32_e32 vcc, s2, v1
	v_and_b32_e32 v28, 0x10000, v1
	v_and_b32_e32 v24, 1, v24
	v_cndmask_b32_e32 v25, 0, v25, vcc
	v_cmp_ne_u32_e32 vcc, 0, v28
	s_nop 1
	v_cndmask_b32_e64 v24, v24, 1, vcc
	v_cmp_eq_u32_e32 vcc, 0, v0
	s_nop 1
	v_cndmask_b32_e32 v24, v24, v35, vcc
	v_cndmask_b32_e64 v25, v25, 0, vcc
	v_cmp_eq_u16_sdwa vcc, v24, v26 src0_sel:BYTE_0 src1_sel:DWORD
	v_add_u16_e32 v25, v25, v1
	s_waitcnt lgkmcnt(0)
	v_cndmask_b32_e32 v24, 0, v27, vcc
	v_add_u16_e32 v50, v25, v24
	v_cndmask_b32_e64 v24, 0, v50, s[52:53]
	v_add_u16_e32 v24, v24, v18
	v_cndmask_b32_e64 v25, 0, v24, s[4:5]
	;; [unrolled: 2-line block ×23, first 2 shown]
	v_add_u16_e32 v49, v49, v23
	s_branch .LBB337_239
.LBB337_209:
                                        ; implicit-def: $vgpr50
                                        ; implicit-def: $vgpr24
                                        ; implicit-def: $vgpr25
                                        ; implicit-def: $vgpr26
                                        ; implicit-def: $vgpr27
                                        ; implicit-def: $vgpr28
                                        ; implicit-def: $vgpr29
                                        ; implicit-def: $vgpr31
                                        ; implicit-def: $vgpr30
                                        ; implicit-def: $vgpr32
                                        ; implicit-def: $vgpr33
                                        ; implicit-def: $vgpr35
                                        ; implicit-def: $vgpr36
                                        ; implicit-def: $vgpr37
                                        ; implicit-def: $vgpr40
                                        ; implicit-def: $vgpr42
                                        ; implicit-def: $vgpr41
                                        ; implicit-def: $vgpr43
                                        ; implicit-def: $vgpr44
                                        ; implicit-def: $vgpr45
                                        ; implicit-def: $vgpr46
                                        ; implicit-def: $vgpr47
                                        ; implicit-def: $vgpr48
                                        ; implicit-def: $vgpr49
	s_cbranch_execz .LBB337_239
; %bb.210:
	s_cmp_lg_u64 s[74:75], 0
	s_cselect_b32 s5, s63, 0
	s_cselect_b32 s4, s62, 0
	s_cmp_lg_u64 s[4:5], 0
	s_cselect_b64 s[6:7], -1, 0
	v_cmp_eq_u32_e32 vcc, 0, v0
	v_cmp_ne_u32_e64 s[2:3], 0, v0
	s_and_b64 s[8:9], vcc, s[6:7]
	s_and_saveexec_b64 s[6:7], s[8:9]
	s_cbranch_execz .LBB337_212
; %bb.211:
	v_mov_b32_e32 v24, 0
	global_load_ushort v25, v24, s[4:5]
	global_load_ubyte v26, v24, s[4:5] offset:2
	s_mov_b32 s4, 0x10000
	v_and_b32_e32 v24, 0x10000, v1
	v_mov_b32_e32 v27, 1
	v_cmp_gt_u32_e64 s[4:5], s4, v1
	v_mov_b32_e32 v28, 0x10000
	s_waitcnt vmcnt(0)
	v_and_b32_sdwa v26, v26, v27 dst_sel:WORD_1 dst_unused:UNUSED_PAD src0_sel:DWORD src1_sel:DWORD
	v_cndmask_b32_e64 v25, 0, v25, s[4:5]
	v_cmp_eq_u32_e64 s[4:5], 0, v24
	v_add_u16_e32 v1, v25, v1
	s_nop 0
	v_cndmask_b32_e64 v24, v28, v26, s[4:5]
	v_or_b32_e32 v1, v24, v1
.LBB337_212:
	s_or_b64 exec, exec, s[6:7]
	s_mov_b32 s50, 0x10000
	v_cmp_gt_u32_e64 s[4:5], s50, v18
	v_cmp_gt_u32_e64 s[6:7], s50, v19
	;; [unrolled: 1-line block ×3, first 2 shown]
	v_cndmask_b32_e64 v24, 0, v1, s[4:5]
	v_add_u16_e32 v24, v24, v18
	v_cndmask_b32_e64 v25, 0, v24, s[6:7]
	v_add_u16_e32 v25, v25, v19
	v_bfe_u32 v28, v19, 16, 1
	v_mov_b32_e32 v53, 1
	v_cndmask_b32_e64 v26, 0, v25, s[8:9]
	v_lshlrev_b16_e32 v28, 1, v28
	v_and_b32_sdwa v29, v18, v53 dst_sel:DWORD dst_unused:UNUSED_PAD src0_sel:WORD_1 src1_sel:DWORD
	v_add_u16_e32 v26, v26, v20
	v_cmp_gt_u32_e64 s[10:11], s50, v21
	v_or_b32_e32 v28, v29, v28
	v_bfe_u32 v29, v21, 16, 1
	v_and_b32_sdwa v30, v20, v53 dst_sel:DWORD dst_unused:UNUSED_PAD src0_sel:WORD_1 src1_sel:DWORD
	v_cndmask_b32_e64 v27, 0, v26, s[10:11]
	v_lshlrev_b16_e32 v29, 3, v29
	v_lshlrev_b16_e32 v30, 2, v30
	v_add_u16_e32 v27, v27, v21
	v_or_b32_e32 v29, v29, v30
	v_cmp_gt_u32_e64 s[12:13], s50, v38
	v_or_b32_e32 v49, v28, v29
	v_and_b32_e32 v29, 0x10000, v38
	v_cndmask_b32_e64 v28, 0, v27, s[12:13]
	v_add_u16_e32 v28, v28, v38
	v_cmp_gt_u32_e64 s[14:15], s50, v2
	v_cmp_ne_u32_e64 s[52:53], 0, v29
	v_cmp_gt_u32_e64 s[16:17], s50, v3
	v_cndmask_b32_e64 v29, 0, v28, s[14:15]
	v_add_u16_e32 v29, v29, v2
	v_cndmask_b32_e64 v30, 0, v29, s[16:17]
	v_add_u16_e32 v31, v30, v3
	v_cmp_gt_u32_e64 s[18:19], s50, v4
	v_cmp_gt_u32_e64 s[20:21], s50, v5
	;; [unrolled: 1-line block ×3, first 2 shown]
	v_cndmask_b32_e64 v30, 0, v31, s[18:19]
	v_add_u16_e32 v30, v30, v4
	v_cndmask_b32_e64 v32, 0, v30, s[20:21]
	v_add_u16_e32 v32, v32, v5
	v_cndmask_b32_e64 v33, 0, v32, s[22:23]
	v_add_u16_e32 v33, v33, v6
	v_cmp_gt_u32_e64 s[24:25], s50, v7
	v_cmp_gt_u32_e64 s[26:27], s50, v8
	;; [unrolled: 1-line block ×3, first 2 shown]
	v_cndmask_b32_e64 v35, 0, v33, s[24:25]
	v_add_u16_e32 v35, v35, v7
	v_cndmask_b32_e64 v36, 0, v35, s[26:27]
	v_add_u16_e32 v36, v36, v8
	;; [unrolled: 2-line block ×3, first 2 shown]
	v_cmp_gt_u32_e64 s[30:31], s50, v39
	v_and_b32_e32 v41, 0x10000, v39
	v_cmp_gt_u32_e64 s[34:35], s50, v10
	v_cndmask_b32_e64 v40, 0, v37, s[30:31]
	v_add_u16_e32 v40, v40, v39
	v_cmp_ne_u32_e64 s[54:55], 0, v41
	v_cndmask_b32_e64 v41, 0, v40, s[34:35]
	v_add_u16_e32 v42, v41, v10
	v_cmp_gt_u32_e64 s[36:37], s50, v11
	v_cmp_gt_u32_e64 s[38:39], s50, v12
	v_and_b32_e32 v52, 0x10000, v23
	v_cndmask_b32_e64 v41, 0, v42, s[36:37]
	v_add_u16_e32 v41, v41, v11
	v_cndmask_b32_e64 v43, 0, v41, s[38:39]
	v_add_u16_e32 v43, v43, v12
	v_cmp_gt_u32_e64 s[40:41], s50, v13
	v_cmp_ne_u32_e64 s[56:57], 0, v52
	v_or_b32_e32 v52, v16, v8
	v_or_b32_e32 v55, v17, v9
	;; [unrolled: 1-line block ×3, first 2 shown]
	v_cndmask_b32_e64 v44, 0, v43, s[40:41]
	v_or_b32_e32 v56, v14, v6
	v_or_b32_e32 v58, v12, v4
	;; [unrolled: 1-line block ×4, first 2 shown]
	v_bfe_u32 v57, v57, 16, 1
	v_bfe_u32 v55, v55, 16, 1
	v_and_b32_sdwa v52, v52, v53 dst_sel:DWORD dst_unused:UNUSED_PAD src0_sel:WORD_1 src1_sel:DWORD
	v_add_u16_e32 v44, v44, v13
	v_cmp_gt_u32_e64 s[42:43], s50, v14
	v_or_b32_e32 v60, v10, v2
	v_bfe_u32 v61, v61, 16, 1
	v_bfe_u32 v59, v59, 16, 1
	v_and_b32_sdwa v58, v58, v53 dst_sel:DWORD dst_unused:UNUSED_PAD src0_sel:WORD_1 src1_sel:DWORD
	v_lshlrev_b16_e32 v57, 1, v57
	v_and_b32_sdwa v56, v56, v53 dst_sel:DWORD dst_unused:UNUSED_PAD src0_sel:WORD_1 src1_sel:DWORD
	v_lshlrev_b16_e32 v55, 3, v55
	v_lshlrev_b16_e32 v52, 2, v52
	v_cndmask_b32_e64 v45, 0, v44, s[42:43]
	v_lshlrev_b16_e32 v61, 1, v61
	v_and_b32_sdwa v60, v60, v53 dst_sel:DWORD dst_unused:UNUSED_PAD src0_sel:WORD_1 src1_sel:DWORD
	v_lshlrev_b16_e32 v59, 3, v59
	v_lshlrev_b16_e32 v58, 2, v58
	v_or_b32_e32 v56, v56, v57
	v_or_b32_e32 v52, v55, v52
	v_add_u16_e32 v45, v45, v14
	v_cmp_gt_u32_e64 s[44:45], s50, v15
	v_or_b32_e32 v60, v60, v61
	v_or_b32_e32 v58, v59, v58
	;; [unrolled: 1-line block ×3, first 2 shown]
	v_cndmask_b32_e64 v46, 0, v45, s[44:45]
	v_or_b32_e32 v58, v60, v58
	v_lshlrev_b16_e32 v52, 4, v52
	v_add_u16_e32 v46, v46, v15
	v_cmp_gt_u32_e64 s[46:47], s50, v16
	v_or_b32_e32 v52, v58, v52
	v_or_b32_e32 v49, v52, v49
	v_cndmask_b32_e64 v47, 0, v46, s[46:47]
	v_mov_b32_e32 v52, 0
	v_add_u16_e32 v47, v47, v16
	v_cmp_gt_u32_e64 s[48:49], s50, v17
	v_cmp_ne_u16_sdwa s[60:61], v49, v52 src0_sel:BYTE_0 src1_sel:DWORD
	s_or_b64 s[56:57], s[56:57], s[60:61]
	v_cndmask_b32_e64 v48, 0, v47, s[48:49]
	v_add_u16_e32 v48, v48, v17
	v_cmp_gt_u32_e64 s[50:51], s50, v23
	s_or_b64 s[54:55], s[56:57], s[54:55]
	v_lshrrev_b32_e32 v50, 16, v1
	v_cndmask_b32_e64 v54, 0, v48, s[50:51]
	s_or_b64 s[52:53], s[54:55], s[52:53]
	v_cndmask_b32_e64 v52, v50, 1, s[52:53]
	v_mbcnt_hi_u32_b32 v34, -1, v34
	v_add_u16_e32 v49, v54, v23
	v_add_u16_e32 v51, v54, v23
	v_and_b32_e32 v55, 15, v34
	v_lshl_or_b32 v54, v52, 16, v49
	v_cmp_ne_u32_e64 s[52:53], 0, v55
	s_nop 0
	v_mov_b32_dpp v56, v54 row_shr:1 row_mask:0xf bank_mask:0xf
	s_and_saveexec_b64 s[54:55], s[52:53]
; %bb.213:
	v_cmp_eq_u32_e64 s[52:53], 0, v52
	v_and_b32_e32 v52, 1, v52
	v_and_b32_sdwa v53, v56, v53 dst_sel:DWORD dst_unused:UNUSED_PAD src0_sel:WORD_1 src1_sel:DWORD
	v_cndmask_b32_e64 v54, 0, v56, s[52:53]
	v_cmp_eq_u32_e64 s[52:53], 1, v52
	v_add_u16_e32 v57, v51, v54
	v_add_u16_e32 v51, v51, v54
	v_cndmask_b32_e64 v52, v53, 1, s[52:53]
	v_lshlrev_b32_e32 v53, 16, v52
	v_or_b32_e32 v54, v53, v51
	v_mov_b32_e32 v51, v57
; %bb.214:
	s_or_b64 exec, exec, s[54:55]
	v_lshrrev_b32_e32 v53, 16, v54
	v_mov_b32_dpp v56, v54 row_shr:2 row_mask:0xf bank_mask:0xf
	v_cmp_lt_u32_e64 s[52:53], 1, v55
	s_and_saveexec_b64 s[54:55], s[52:53]
	s_cbranch_execz .LBB337_216
; %bb.215:
	s_mov_b32 s52, 0x10000
	v_cmp_gt_u32_e64 s[52:53], s52, v54
	v_and_b32_e32 v52, 0x10000, v54
	v_mov_b32_e32 v54, 1
	v_cndmask_b32_e64 v53, 0, v56, s[52:53]
	v_and_b32_sdwa v54, v56, v54 dst_sel:DWORD dst_unused:UNUSED_PAD src0_sel:WORD_1 src1_sel:DWORD
	v_cmp_ne_u32_e64 s[52:53], 0, v52
	v_add_u16_e32 v57, v53, v51
	v_add_u16_e32 v51, v53, v51
	v_cndmask_b32_e64 v52, v54, 1, s[52:53]
	v_lshlrev_b32_e32 v54, 16, v52
	v_or_b32_e32 v54, v54, v51
	v_mov_b32_e32 v53, v52
	v_mov_b32_e32 v51, v57
.LBB337_216:
	s_or_b64 exec, exec, s[54:55]
	v_mov_b32_dpp v56, v54 row_shr:4 row_mask:0xf bank_mask:0xf
	v_cmp_lt_u32_e64 s[52:53], 3, v55
	s_and_saveexec_b64 s[54:55], s[52:53]
	s_cbranch_execz .LBB337_218
; %bb.217:
	v_mov_b32_e32 v52, 0
	v_cmp_eq_u16_sdwa s[52:53], v53, v52 src0_sel:BYTE_0 src1_sel:DWORD
	v_and_b32_e32 v52, 1, v53
	v_mov_b32_e32 v53, 1
	v_cndmask_b32_e64 v54, 0, v56, s[52:53]
	v_and_b32_sdwa v53, v56, v53 dst_sel:DWORD dst_unused:UNUSED_PAD src0_sel:WORD_1 src1_sel:DWORD
	v_cmp_eq_u32_e64 s[52:53], 1, v52
	v_add_u16_e32 v57, v54, v51
	v_add_u16_e32 v51, v54, v51
	v_cndmask_b32_e64 v52, v53, 1, s[52:53]
	v_lshlrev_b32_e32 v53, 16, v52
	v_or_b32_e32 v54, v53, v51
	v_mov_b32_e32 v53, v52
	v_mov_b32_e32 v51, v57
.LBB337_218:
	s_or_b64 exec, exec, s[54:55]
	v_mov_b32_dpp v56, v54 row_shr:8 row_mask:0xf bank_mask:0xf
	v_cmp_lt_u32_e64 s[52:53], 7, v55
	s_and_saveexec_b64 s[54:55], s[52:53]
	s_cbranch_execz .LBB337_220
; %bb.219:
	v_mov_b32_e32 v52, 0
	v_cmp_eq_u16_sdwa s[52:53], v53, v52 src0_sel:BYTE_0 src1_sel:DWORD
	v_and_b32_e32 v52, 1, v53
	v_mov_b32_e32 v53, 1
	v_cndmask_b32_e64 v54, 0, v56, s[52:53]
	v_and_b32_sdwa v53, v56, v53 dst_sel:DWORD dst_unused:UNUSED_PAD src0_sel:WORD_1 src1_sel:DWORD
	v_cmp_eq_u32_e64 s[52:53], 1, v52
	v_add_u16_e32 v55, v54, v51
	v_add_u16_e32 v51, v54, v51
	v_cndmask_b32_e64 v52, v53, 1, s[52:53]
	v_lshlrev_b32_e32 v53, 16, v52
	v_or_b32_e32 v54, v53, v51
	v_mov_b32_e32 v53, v52
	v_mov_b32_e32 v51, v55
.LBB337_220:
	s_or_b64 exec, exec, s[54:55]
	v_and_b32_e32 v56, 16, v34
	v_mov_b32_dpp v55, v54 row_bcast:15 row_mask:0xf bank_mask:0xf
	v_cmp_ne_u32_e64 s[52:53], 0, v56
	s_and_saveexec_b64 s[54:55], s[52:53]
	s_cbranch_execz .LBB337_222
; %bb.221:
	v_mov_b32_e32 v52, 0
	v_cmp_eq_u16_sdwa s[52:53], v53, v52 src0_sel:BYTE_0 src1_sel:DWORD
	v_and_b32_e32 v52, 1, v53
	v_mov_b32_e32 v53, 1
	v_cndmask_b32_e64 v54, 0, v55, s[52:53]
	v_and_b32_sdwa v53, v55, v53 dst_sel:DWORD dst_unused:UNUSED_PAD src0_sel:WORD_1 src1_sel:DWORD
	v_cmp_eq_u32_e64 s[52:53], 1, v52
	v_add_u16_e32 v56, v54, v51
	v_add_u16_e32 v51, v54, v51
	v_cndmask_b32_e64 v52, v53, 1, s[52:53]
	v_lshlrev_b32_e32 v53, 16, v52
	v_or_b32_e32 v54, v53, v51
	v_mov_b32_e32 v51, v56
	v_mov_b32_e32 v53, v52
.LBB337_222:
	s_or_b64 exec, exec, s[54:55]
	v_mov_b32_dpp v54, v54 row_bcast:31 row_mask:0xf bank_mask:0xf
	v_cmp_lt_u32_e64 s[52:53], 31, v34
	s_and_saveexec_b64 s[54:55], s[52:53]
; %bb.223:
	v_mov_b32_e32 v52, 0
	v_cmp_eq_u16_sdwa s[52:53], v53, v52 src0_sel:BYTE_0 src1_sel:DWORD
	s_nop 1
	v_cndmask_b32_e64 v52, 0, v54, s[52:53]
	v_add_u16_e32 v51, v52, v51
	v_and_b32_e32 v52, 1, v53
	v_mov_b32_e32 v53, 1
	v_and_b32_sdwa v53, v54, v53 dst_sel:DWORD dst_unused:UNUSED_PAD src0_sel:WORD_1 src1_sel:DWORD
	v_cmp_eq_u32_e64 s[52:53], 1, v52
	s_nop 1
	v_cndmask_b32_e64 v52, v53, 1, s[52:53]
; %bb.224:
	s_or_b64 exec, exec, s[54:55]
	v_or_b32_e32 v54, 63, v0
	v_lshrrev_b32_e32 v53, 6, v0
	v_cmp_eq_u32_e64 s[52:53], v54, v0
	s_and_saveexec_b64 s[54:55], s[52:53]
	s_cbranch_execz .LBB337_226
; %bb.225:
	v_lshlrev_b32_e32 v54, 2, v53
	ds_write_b16 v54, v51
	ds_write_b8 v54, v52 offset:2
.LBB337_226:
	s_or_b64 exec, exec, s[54:55]
	v_cmp_gt_u32_e64 s[52:53], 4, v0
	s_waitcnt lgkmcnt(0)
	s_barrier
	s_and_saveexec_b64 s[54:55], s[52:53]
	s_cbranch_execz .LBB337_232
; %bb.227:
	v_lshlrev_b32_e32 v54, 2, v0
	ds_read_b32 v55, v54
	v_and_b32_e32 v58, 3, v34
	v_cmp_ne_u32_e64 s[52:53], 0, v58
	s_waitcnt lgkmcnt(0)
	v_lshrrev_b32_e32 v57, 16, v55
	v_mov_b32_dpp v59, v55 row_shr:1 row_mask:0xf bank_mask:0xf
	v_mov_b32_e32 v56, v55
	s_and_saveexec_b64 s[56:57], s[52:53]
	s_cbranch_execz .LBB337_229
; %bb.228:
	v_mov_b32_e32 v56, 0
	v_cmp_eq_u16_sdwa s[52:53], v57, v56 src0_sel:BYTE_0 src1_sel:DWORD
	v_and_b32_e32 v57, 0x10000, v55
	v_mov_b32_e32 v62, 1
	v_cndmask_b32_e64 v61, 0, v59, s[52:53]
	v_and_b32_sdwa v59, v59, v62 dst_sel:DWORD dst_unused:UNUSED_PAD src0_sel:WORD_1 src1_sel:DWORD
	v_cmp_ne_u32_e64 s[52:53], 0, v57
	v_and_b32_e32 v60, 0xff000000, v55
	v_add_u16_e32 v56, v61, v55
	v_cndmask_b32_e64 v57, v59, 1, s[52:53]
	v_lshlrev_b32_e32 v59, 16, v57
	v_add_u16_e32 v55, v61, v55
	v_or3_b32 v55, v59, v60, v55
.LBB337_229:
	s_or_b64 exec, exec, s[56:57]
	s_nop 0
	v_mov_b32_dpp v59, v55 row_shr:2 row_mask:0xf bank_mask:0xf
	v_cmp_lt_u32_e64 s[52:53], 1, v58
	s_and_saveexec_b64 s[56:57], s[52:53]
; %bb.230:
	v_and_b32_e32 v57, 0xff0000, v55
	v_cmp_eq_u32_e64 s[52:53], 0, v57
	v_and_b32_e32 v55, 0x10000, v55
	s_nop 0
	v_cndmask_b32_e64 v57, 0, v59, s[52:53]
	v_add_u16_e32 v56, v57, v56
	v_mov_b32_e32 v57, 1
	v_and_b32_sdwa v57, v59, v57 dst_sel:DWORD dst_unused:UNUSED_PAD src0_sel:WORD_1 src1_sel:DWORD
	v_cmp_eq_u32_e64 s[52:53], 0, v55
	s_nop 1
	v_cndmask_b32_e64 v57, 1, v57, s[52:53]
; %bb.231:
	s_or_b64 exec, exec, s[56:57]
	ds_write_b16 v54, v56
	ds_write_b8 v54, v57 offset:2
.LBB337_232:
	s_or_b64 exec, exec, s[54:55]
	v_cmp_lt_u32_e64 s[52:53], 63, v0
	v_mov_b32_e32 v54, 0
	s_waitcnt lgkmcnt(0)
	s_barrier
	s_and_saveexec_b64 s[54:55], s[52:53]
	s_cbranch_execz .LBB337_234
; %bb.233:
	v_lshl_add_u32 v53, v53, 2, -4
	ds_read_u16 v54, v53
	ds_read_u8 v53, v53 offset:2
	v_mov_b32_e32 v55, 0
	v_and_b32_e32 v56, 1, v52
	v_cmp_eq_u16_sdwa s[52:53], v52, v55 src0_sel:BYTE_0 src1_sel:DWORD
	s_waitcnt lgkmcnt(1)
	s_nop 0
	v_cndmask_b32_e64 v52, 0, v54, s[52:53]
	v_cmp_eq_u32_e64 s[52:53], 1, v56
	v_add_u16_e32 v51, v52, v51
	s_waitcnt lgkmcnt(0)
	v_cndmask_b32_e64 v52, v53, 1, s[52:53]
.LBB337_234:
	s_or_b64 exec, exec, s[54:55]
	v_and_b32_e32 v52, 0xff, v52
	v_and_b32_e32 v51, 0xffff, v51
	v_lshl_or_b32 v51, v52, 16, v51
	v_add_u32_e32 v52, -1, v34
	v_and_b32_e32 v53, 64, v34
	v_cmp_lt_i32_e64 s[52:53], v52, v53
	s_nop 1
	v_cndmask_b32_e64 v52, v52, v34, s[52:53]
	v_lshlrev_b32_e32 v52, 2, v52
	ds_bpermute_b32 v51, v52, v51
	s_and_saveexec_b64 s[52:53], s[2:3]
	s_cbranch_execz .LBB337_236
; %bb.235:
	v_cmp_eq_u32_e64 s[2:3], 0, v34
	v_and_b32_e32 v25, 0xff0000, v1
	v_mov_b32_e32 v50, 0
	s_waitcnt lgkmcnt(0)
	v_cndmask_b32_e64 v24, v51, v54, s[2:3]
	v_and_b32_e32 v24, 0xffff, v24
	v_cmp_eq_u32_e64 s[2:3], 0, v25
	;;#ASMSTART
	;;#ASMEND
	s_nop 1
	v_cndmask_b32_e64 v24, 0, v24, s[2:3]
	v_add_u32_e32 v1, v24, v1
	v_cndmask_b32_e64 v24, 0, v1, s[4:5]
	v_add_u16_e32 v24, v24, v18
	v_cndmask_b32_e64 v18, 0, v24, s[6:7]
	v_add_u16_e32 v25, v18, v19
	;; [unrolled: 2-line block ×23, first 2 shown]
.LBB337_236:
	s_or_b64 exec, exec, s[52:53]
	s_and_saveexec_b64 s[2:3], vcc
	s_cbranch_execz .LBB337_238
; %bb.237:
	v_mov_b32_e32 v4, 0
	ds_read_u8 v2, v4 offset:14
	ds_read_u16 v3, v4 offset:12
	s_waitcnt lgkmcnt(1)
	v_lshlrev_b32_e32 v2, 16, v2
	s_waitcnt lgkmcnt(0)
	v_or_b32_e32 v2, v2, v3
	v_mov_b32_e32 v3, 2
	global_store_dwordx2 v4, v[2:3], s[68:69] offset:512 sc1
.LBB337_238:
	s_or_b64 exec, exec, s[2:3]
	v_lshl_or_b32 v50, v50, 16, v1
.LBB337_239:
	s_add_u32 s2, s58, s72
	s_addc_u32 s3, s59, s73
	s_add_u32 s2, s2, s64
	s_addc_u32 s3, s3, s65
	s_and_b64 vcc, exec, s[0:1]
	v_mul_u32_u24_e32 v4, 24, v0
	s_cbranch_vccz .LBB337_291
; %bb.240:
	s_add_i32 s33, s33, s70
	v_cmp_le_u32_e32 vcc, s33, v4
                                        ; implicit-def: $vgpr1
                                        ; implicit-def: $vgpr2
                                        ; implicit-def: $vgpr3
                                        ; implicit-def: $vgpr5
                                        ; implicit-def: $vgpr6
                                        ; implicit-def: $vgpr7
                                        ; implicit-def: $vgpr8
	s_and_saveexec_b64 s[0:1], vcc
	s_xor_b64 s[0:1], exec, s[0:1]
; %bb.241:
	v_or_b32_e32 v1, 1, v4
	v_or_b32_e32 v2, 2, v4
	;; [unrolled: 1-line block ×7, first 2 shown]
; %bb.242:
	s_andn2_saveexec_b64 s[0:1], s[0:1]
; %bb.243:
	v_or_b32_e32 v1, 1, v4
	v_or_b32_e32 v2, 2, v4
	v_or_b32_e32 v3, 3, v4
	v_or_b32_e32 v5, 4, v4
	v_or_b32_e32 v6, 5, v4
	v_or_b32_e32 v7, 6, v4
	v_or_b32_e32 v8, 7, v4
; %bb.244:
	s_or_b64 exec, exec, s[0:1]
	v_lshlrev_b32_e32 v39, 1, v4
	v_lshlrev_b32_e32 v1, 1, v1
	s_waitcnt lgkmcnt(0)
	s_barrier
	ds_write_b16 v39, v50
	ds_write_b16 v1, v24
	v_lshlrev_b32_e32 v1, 1, v2
	ds_write_b16 v1, v25
	v_lshlrev_b32_e32 v1, 1, v3
	;; [unrolled: 2-line block ×5, first 2 shown]
	s_mov_b32 s0, 0x5040100
	ds_write_b16 v1, v29
	v_lshlrev_b32_e32 v1, 1, v8
	v_perm_b32 v9, v42, v40, s0
	v_perm_b32 v8, v37, v36, s0
	;; [unrolled: 1-line block ×4, first 2 shown]
	ds_write_b16 v1, v31
	ds_write_b128 v39, v[6:9] offset:16
	v_perm_b32 v9, v49, v48, s0
	v_perm_b32 v8, v47, v46, s0
	v_perm_b32 v7, v45, v44, s0
	v_perm_b32 v6, v43, v41, s0
	s_movk_i32 s0, 0xffd2
	v_mad_i32_i24 v2, v0, s0, v39
	ds_write_b128 v39, v[6:9] offset:32
	s_waitcnt lgkmcnt(0)
	s_barrier
	ds_read_u16 v53, v2 offset:512
	ds_read_u16 v52, v2 offset:1024
	;; [unrolled: 1-line block ×23, first 2 shown]
	v_mov_b32_e32 v23, 0
	v_lshl_add_u64 v[2:3], s[2:3], 0, v[22:23]
	v_cmp_gt_u32_e32 vcc, s33, v0
	s_and_saveexec_b64 s[0:1], vcc
	s_cbranch_execz .LBB337_246
; %bb.245:
	v_mul_i32_i24_e32 v54, 0xffffffd2, v0
	v_add_u32_e32 v39, v39, v54
	ds_read_u16 v39, v39
	s_waitcnt lgkmcnt(0)
	flat_store_short v[2:3], v39
.LBB337_246:
	s_or_b64 exec, exec, s[0:1]
	v_or_b32_e32 v39, 0x100, v0
	v_cmp_gt_u32_e32 vcc, s33, v39
	s_and_saveexec_b64 s[0:1], vcc
	s_cbranch_execz .LBB337_248
; %bb.247:
	s_waitcnt lgkmcnt(0)
	flat_store_short v[2:3], v53 offset:512
.LBB337_248:
	s_or_b64 exec, exec, s[0:1]
	v_or_b32_e32 v39, 0x200, v0
	v_cmp_gt_u32_e32 vcc, s33, v39
	s_and_saveexec_b64 s[0:1], vcc
	s_cbranch_execz .LBB337_250
; %bb.249:
	s_waitcnt lgkmcnt(0)
	flat_store_short v[2:3], v52 offset:1024
.LBB337_250:
	;; [unrolled: 9-line block ×4, first 2 shown]
	s_or_b64 exec, exec, s[0:1]
	s_waitcnt lgkmcnt(0)
	v_or_b32_e32 v38, 0x500, v0
	v_cmp_gt_u32_e32 vcc, s33, v38
	s_and_saveexec_b64 s[0:1], vcc
	s_cbranch_execz .LBB337_256
; %bb.255:
	flat_store_short v[2:3], v34 offset:2560
.LBB337_256:
	s_or_b64 exec, exec, s[0:1]
	v_or_b32_e32 v34, 0x600, v0
	v_cmp_gt_u32_e32 vcc, s33, v34
	s_and_saveexec_b64 s[0:1], vcc
	s_cbranch_execz .LBB337_258
; %bb.257:
	flat_store_short v[2:3], v21 offset:3072
.LBB337_258:
	s_or_b64 exec, exec, s[0:1]
	;; [unrolled: 8-line block ×3, first 2 shown]
	v_or_b32_e32 v20, 0x800, v0
	v_cmp_gt_u32_e32 vcc, s33, v20
	s_and_saveexec_b64 s[0:1], vcc
	s_cbranch_execz .LBB337_262
; %bb.261:
	v_add_co_u32_e32 v20, vcc, 0x1000, v2
	s_nop 1
	v_addc_co_u32_e32 v21, vcc, 0, v3, vcc
	flat_store_short v[20:21], v19
.LBB337_262:
	s_or_b64 exec, exec, s[0:1]
	v_or_b32_e32 v19, 0x900, v0
	v_cmp_gt_u32_e32 vcc, s33, v19
	s_and_saveexec_b64 s[0:1], vcc
	s_cbranch_execz .LBB337_264
; %bb.263:
	v_add_co_u32_e32 v20, vcc, 0x1000, v2
	s_nop 1
	v_addc_co_u32_e32 v21, vcc, 0, v3, vcc
	flat_store_short v[20:21], v18 offset:512
.LBB337_264:
	s_or_b64 exec, exec, s[0:1]
	v_or_b32_e32 v18, 0xa00, v0
	v_cmp_gt_u32_e32 vcc, s33, v18
	s_and_saveexec_b64 s[0:1], vcc
	s_cbranch_execz .LBB337_266
; %bb.265:
	v_add_co_u32_e32 v18, vcc, 0x1000, v2
	s_nop 1
	v_addc_co_u32_e32 v19, vcc, 0, v3, vcc
	flat_store_short v[18:19], v17 offset:1024
.LBB337_266:
	;; [unrolled: 11-line block ×7, first 2 shown]
	s_or_b64 exec, exec, s[0:1]
	v_or_b32_e32 v12, 0x1000, v0
	v_cmp_gt_u32_e32 vcc, s33, v12
	s_and_saveexec_b64 s[0:1], vcc
	s_cbranch_execz .LBB337_278
; %bb.277:
	v_add_co_u32_e32 v12, vcc, 0x2000, v2
	s_nop 1
	v_addc_co_u32_e32 v13, vcc, 0, v3, vcc
	flat_store_short v[12:13], v11
.LBB337_278:
	s_or_b64 exec, exec, s[0:1]
	v_or_b32_e32 v11, 0x1100, v0
	v_cmp_gt_u32_e32 vcc, s33, v11
	s_and_saveexec_b64 s[0:1], vcc
	s_cbranch_execz .LBB337_280
; %bb.279:
	v_add_co_u32_e32 v12, vcc, 0x2000, v2
	s_nop 1
	v_addc_co_u32_e32 v13, vcc, 0, v3, vcc
	flat_store_short v[12:13], v10 offset:512
.LBB337_280:
	s_or_b64 exec, exec, s[0:1]
	v_or_b32_e32 v10, 0x1200, v0
	v_cmp_gt_u32_e32 vcc, s33, v10
	s_and_saveexec_b64 s[0:1], vcc
	s_cbranch_execz .LBB337_282
; %bb.281:
	v_add_co_u32_e32 v10, vcc, 0x2000, v2
	s_nop 1
	v_addc_co_u32_e32 v11, vcc, 0, v3, vcc
	flat_store_short v[10:11], v9 offset:1024
.LBB337_282:
	;; [unrolled: 11-line block ×6, first 2 shown]
	s_or_b64 exec, exec, s[0:1]
	v_or_b32_e32 v2, 0x1700, v0
	v_mov_b32_e32 v1, v23
	v_cmp_gt_u32_e64 s[0:1], s33, v2
	s_branch .LBB337_293
.LBB337_291:
	s_mov_b64 s[0:1], 0
                                        ; implicit-def: $vgpr5
	s_cbranch_execz .LBB337_293
; %bb.292:
	s_mov_b32 s4, 0x5040100
	v_lshlrev_b32_e32 v6, 1, v4
	v_perm_b32 v5, v31, v29, s4
	v_perm_b32 v4, v28, v27, s4
	;; [unrolled: 1-line block ×4, first 2 shown]
	s_waitcnt lgkmcnt(0)
	s_barrier
	ds_write_b128 v6, v[2:5]
	v_perm_b32 v5, v42, v40, s4
	v_perm_b32 v4, v37, v36, s4
	;; [unrolled: 1-line block ×4, first 2 shown]
	ds_write_b128 v6, v[2:5] offset:16
	v_perm_b32 v4, v47, v46, s4
	v_perm_b32 v3, v45, v44, s4
	;; [unrolled: 1-line block ×4, first 2 shown]
	v_mov_b32_e32 v1, 0
	s_movk_i32 s4, 0xffd2
	ds_write_b128 v6, v[2:5] offset:32
	v_mad_i32_i24 v2, v0, s4, v6
	v_mov_b32_e32 v23, v1
	s_waitcnt lgkmcnt(0)
	s_barrier
	ds_read_u16 v4, v2
	ds_read_u16 v6, v2 offset:512
	ds_read_u16 v7, v2 offset:1024
	;; [unrolled: 1-line block ×23, first 2 shown]
	v_lshl_add_u64 v[2:3], s[2:3], 0, v[22:23]
	s_movk_i32 s4, 0x1000
	s_waitcnt lgkmcnt(0)
	flat_store_short v[2:3], v4
	flat_store_short v[2:3], v6 offset:512
	flat_store_short v[2:3], v7 offset:1024
	;; [unrolled: 1-line block ×7, first 2 shown]
	v_add_co_u32_e32 v6, vcc, s4, v2
	s_or_b64 s[0:1], s[0:1], exec
	s_nop 0
	v_addc_co_u32_e32 v7, vcc, 0, v3, vcc
	v_add_co_u32_e32 v2, vcc, 0x2000, v2
	flat_store_short v[6:7], v13
	flat_store_short v[6:7], v14 offset:512
	flat_store_short v[6:7], v15 offset:1024
	;; [unrolled: 1-line block ×7, first 2 shown]
	v_addc_co_u32_e32 v3, vcc, 0, v3, vcc
	flat_store_short v[2:3], v21
	flat_store_short v[2:3], v24 offset:512
	flat_store_short v[2:3], v25 offset:1024
	;; [unrolled: 1-line block ×6, first 2 shown]
.LBB337_293:
	s_and_saveexec_b64 s[4:5], s[0:1]
	s_cbranch_execnz .LBB337_295
; %bb.294:
	s_endpgm
.LBB337_295:
	v_lshl_add_u64 v[0:1], v[0:1], 1, s[2:3]
	v_add_co_u32_e32 v0, vcc, 0x2000, v0
	s_nop 1
	v_addc_co_u32_e32 v1, vcc, 0, v1, vcc
	flat_store_short v[0:1], v5 offset:3584
	s_endpgm
.LBB337_296:
	v_lshl_add_u64 v[20:21], s[54:55], 0, v[2:3]
	flat_load_ushort v19, v[20:21]
	s_or_b64 exec, exec, s[60:61]
                                        ; implicit-def: $vgpr20
	s_and_saveexec_b64 s[52:53], s[4:5]
	s_cbranch_execz .LBB337_57
.LBB337_297:
	v_mov_b32_e32 v3, 0
	v_lshl_add_u64 v[20:21], s[54:55], 0, v[2:3]
	flat_load_ushort v20, v[20:21] offset:512
	s_or_b64 exec, exec, s[52:53]
                                        ; implicit-def: $vgpr21
	s_and_saveexec_b64 s[4:5], s[6:7]
	s_cbranch_execz .LBB337_58
.LBB337_298:
	v_mov_b32_e32 v3, 0
	v_lshl_add_u64 v[36:37], s[54:55], 0, v[2:3]
	flat_load_ushort v21, v[36:37] offset:1024
	s_or_b64 exec, exec, s[4:5]
                                        ; implicit-def: $vgpr35
	s_and_saveexec_b64 s[4:5], s[8:9]
	s_cbranch_execz .LBB337_59
.LBB337_299:
	v_mov_b32_e32 v3, 0
	v_lshl_add_u64 v[36:37], s[54:55], 0, v[2:3]
	flat_load_ushort v35, v[36:37] offset:1536
	s_or_b64 exec, exec, s[4:5]
                                        ; implicit-def: $vgpr36
	s_and_saveexec_b64 s[4:5], s[10:11]
	s_cbranch_execz .LBB337_60
.LBB337_300:
	v_mov_b32_e32 v3, 0
	v_lshl_add_u64 v[36:37], s[54:55], 0, v[2:3]
	flat_load_ushort v36, v[36:37] offset:2048
	s_or_b64 exec, exec, s[4:5]
                                        ; implicit-def: $vgpr37
	s_and_saveexec_b64 s[4:5], s[12:13]
	s_cbranch_execz .LBB337_61
.LBB337_301:
	v_mov_b32_e32 v3, 0
	v_lshl_add_u64 v[38:39], s[54:55], 0, v[2:3]
	flat_load_ushort v37, v[38:39] offset:2560
	s_or_b64 exec, exec, s[4:5]
                                        ; implicit-def: $vgpr38
	s_and_saveexec_b64 s[4:5], s[14:15]
	s_cbranch_execz .LBB337_62
.LBB337_302:
	v_mov_b32_e32 v3, 0
	v_lshl_add_u64 v[38:39], s[54:55], 0, v[2:3]
	flat_load_ushort v38, v[38:39] offset:3072
	s_or_b64 exec, exec, s[4:5]
                                        ; implicit-def: $vgpr3
	s_and_saveexec_b64 s[4:5], s[16:17]
	s_cbranch_execz .LBB337_63
.LBB337_303:
	v_mov_b32_e32 v3, 0
	v_lshl_add_u64 v[42:43], s[54:55], 0, v[2:3]
	flat_load_ushort v3, v[42:43] offset:3584
	s_or_b64 exec, exec, s[4:5]
                                        ; implicit-def: $vgpr39
	s_and_saveexec_b64 s[4:5], s[18:19]
	s_cbranch_execz .LBB337_64
.LBB337_304:
	v_lshlrev_b32_e32 v42, 1, v1
	v_mov_b32_e32 v43, 0
	v_lshl_add_u64 v[42:43], s[54:55], 0, v[42:43]
	flat_load_ushort v39, v[42:43]
	s_or_b64 exec, exec, s[4:5]
                                        ; implicit-def: $vgpr1
	s_and_saveexec_b64 s[4:5], s[20:21]
	s_cbranch_execz .LBB337_65
.LBB337_305:
	v_lshlrev_b32_e32 v42, 1, v4
	v_mov_b32_e32 v43, 0
	v_lshl_add_u64 v[42:43], s[54:55], 0, v[42:43]
	flat_load_ushort v1, v[42:43]
	s_or_b64 exec, exec, s[4:5]
                                        ; implicit-def: $vgpr4
	s_and_saveexec_b64 s[4:5], s[22:23]
	s_cbranch_execz .LBB337_66
.LBB337_306:
	v_lshlrev_b32_e32 v4, 1, v5
	v_mov_b32_e32 v5, 0
	v_lshl_add_u64 v[4:5], s[54:55], 0, v[4:5]
	flat_load_ushort v4, v[4:5]
	s_or_b64 exec, exec, s[4:5]
                                        ; implicit-def: $vgpr5
	s_and_saveexec_b64 s[4:5], s[24:25]
	s_cbranch_execz .LBB337_67
.LBB337_307:
	v_lshlrev_b32_e32 v42, 1, v6
	v_mov_b32_e32 v43, 0
	v_lshl_add_u64 v[42:43], s[54:55], 0, v[42:43]
	flat_load_ushort v5, v[42:43]
	s_or_b64 exec, exec, s[4:5]
                                        ; implicit-def: $vgpr6
	s_and_saveexec_b64 s[4:5], s[26:27]
	s_cbranch_execz .LBB337_68
.LBB337_308:
	v_lshlrev_b32_e32 v6, 1, v7
	v_mov_b32_e32 v7, 0
	v_lshl_add_u64 v[6:7], s[54:55], 0, v[6:7]
	flat_load_ushort v6, v[6:7]
	s_or_b64 exec, exec, s[4:5]
                                        ; implicit-def: $vgpr7
	s_and_saveexec_b64 s[4:5], s[28:29]
	s_cbranch_execz .LBB337_69
.LBB337_309:
	v_lshlrev_b32_e32 v42, 1, v8
	v_mov_b32_e32 v43, 0
	v_lshl_add_u64 v[42:43], s[54:55], 0, v[42:43]
	flat_load_ushort v7, v[42:43]
	s_or_b64 exec, exec, s[4:5]
                                        ; implicit-def: $vgpr8
	s_and_saveexec_b64 s[4:5], s[30:31]
	s_cbranch_execz .LBB337_70
.LBB337_310:
	v_lshlrev_b32_e32 v8, 1, v9
	v_mov_b32_e32 v9, 0
	v_lshl_add_u64 v[8:9], s[54:55], 0, v[8:9]
	flat_load_ushort v8, v[8:9]
	s_or_b64 exec, exec, s[4:5]
                                        ; implicit-def: $vgpr9
	s_and_saveexec_b64 s[4:5], s[34:35]
	s_cbranch_execz .LBB337_71
.LBB337_311:
	v_lshlrev_b32_e32 v42, 1, v10
	v_mov_b32_e32 v43, 0
	v_lshl_add_u64 v[42:43], s[54:55], 0, v[42:43]
	flat_load_ushort v9, v[42:43]
	s_or_b64 exec, exec, s[4:5]
                                        ; implicit-def: $vgpr10
	s_and_saveexec_b64 s[4:5], s[36:37]
	s_cbranch_execz .LBB337_72
.LBB337_312:
	v_lshlrev_b32_e32 v10, 1, v11
	v_mov_b32_e32 v11, 0
	v_lshl_add_u64 v[10:11], s[54:55], 0, v[10:11]
	flat_load_ushort v10, v[10:11]
	s_or_b64 exec, exec, s[4:5]
                                        ; implicit-def: $vgpr11
	s_and_saveexec_b64 s[4:5], s[38:39]
	s_cbranch_execz .LBB337_73
.LBB337_313:
	v_lshlrev_b32_e32 v42, 1, v12
	v_mov_b32_e32 v43, 0
	v_lshl_add_u64 v[42:43], s[54:55], 0, v[42:43]
	flat_load_ushort v11, v[42:43]
	s_or_b64 exec, exec, s[4:5]
                                        ; implicit-def: $vgpr12
	s_and_saveexec_b64 s[4:5], s[40:41]
	s_cbranch_execz .LBB337_74
.LBB337_314:
	v_lshlrev_b32_e32 v12, 1, v13
	v_mov_b32_e32 v13, 0
	v_lshl_add_u64 v[12:13], s[54:55], 0, v[12:13]
	flat_load_ushort v12, v[12:13]
	s_or_b64 exec, exec, s[4:5]
                                        ; implicit-def: $vgpr13
	s_and_saveexec_b64 s[4:5], s[42:43]
	s_cbranch_execz .LBB337_75
.LBB337_315:
	v_lshlrev_b32_e32 v42, 1, v14
	v_mov_b32_e32 v43, 0
	v_lshl_add_u64 v[42:43], s[54:55], 0, v[42:43]
	flat_load_ushort v13, v[42:43]
	s_or_b64 exec, exec, s[4:5]
                                        ; implicit-def: $vgpr14
	s_and_saveexec_b64 s[4:5], s[44:45]
	s_cbranch_execz .LBB337_76
.LBB337_316:
	v_lshlrev_b32_e32 v14, 1, v15
	v_mov_b32_e32 v15, 0
	v_lshl_add_u64 v[14:15], s[54:55], 0, v[14:15]
	flat_load_ushort v14, v[14:15]
	s_or_b64 exec, exec, s[4:5]
                                        ; implicit-def: $vgpr15
	s_and_saveexec_b64 s[4:5], s[46:47]
	s_cbranch_execz .LBB337_77
.LBB337_317:
	v_lshlrev_b32_e32 v42, 1, v16
	v_mov_b32_e32 v43, 0
	v_lshl_add_u64 v[42:43], s[54:55], 0, v[42:43]
	flat_load_ushort v15, v[42:43]
	s_or_b64 exec, exec, s[4:5]
                                        ; implicit-def: $vgpr16
	s_and_saveexec_b64 s[4:5], s[48:49]
	s_cbranch_execz .LBB337_78
.LBB337_318:
	v_lshlrev_b32_e32 v16, 1, v17
	v_mov_b32_e32 v17, 0
	v_lshl_add_u64 v[16:17], s[54:55], 0, v[16:17]
	flat_load_ushort v16, v[16:17]
	s_or_b64 exec, exec, s[4:5]
                                        ; implicit-def: $vgpr17
	s_and_saveexec_b64 s[4:5], s[50:51]
	s_cbranch_execnz .LBB337_79
	s_branch .LBB337_80
.LBB337_319:
                                        ; implicit-def: $sgpr60_sgpr61
	s_branch .LBB337_52
.LBB337_320:
                                        ; implicit-def: $sgpr4_sgpr5
	s_branch .LBB337_131
	.section	.rodata,"a",@progbits
	.p2align	6, 0x0
	.amdhsa_kernel _ZN7rocprim17ROCPRIM_400000_NS6detail17trampoline_kernelINS0_14default_configENS1_27scan_by_key_config_selectorIssEEZZNS1_16scan_by_key_implILNS1_25lookback_scan_determinismE0ELb0ES3_N6thrust23THRUST_200600_302600_NS6detail15normal_iteratorINS9_10device_ptrIsEEEESE_SE_sNS9_4plusIvEENS9_8equal_toIsEEsEE10hipError_tPvRmT2_T3_T4_T5_mT6_T7_P12ihipStream_tbENKUlT_T0_E_clISt17integral_constantIbLb1EESY_IbLb0EEEEDaSU_SV_EUlSU_E_NS1_11comp_targetILNS1_3genE5ELNS1_11target_archE942ELNS1_3gpuE9ELNS1_3repE0EEENS1_30default_config_static_selectorELNS0_4arch9wavefront6targetE1EEEvT1_
		.amdhsa_group_segment_fixed_size 13312
		.amdhsa_private_segment_fixed_size 0
		.amdhsa_kernarg_size 112
		.amdhsa_user_sgpr_count 2
		.amdhsa_user_sgpr_dispatch_ptr 0
		.amdhsa_user_sgpr_queue_ptr 0
		.amdhsa_user_sgpr_kernarg_segment_ptr 1
		.amdhsa_user_sgpr_dispatch_id 0
		.amdhsa_user_sgpr_kernarg_preload_length 0
		.amdhsa_user_sgpr_kernarg_preload_offset 0
		.amdhsa_user_sgpr_private_segment_size 0
		.amdhsa_uses_dynamic_stack 0
		.amdhsa_enable_private_segment 0
		.amdhsa_system_sgpr_workgroup_id_x 1
		.amdhsa_system_sgpr_workgroup_id_y 0
		.amdhsa_system_sgpr_workgroup_id_z 0
		.amdhsa_system_sgpr_workgroup_info 0
		.amdhsa_system_vgpr_workitem_id 0
		.amdhsa_next_free_vgpr 63
		.amdhsa_next_free_sgpr 88
		.amdhsa_accum_offset 64
		.amdhsa_reserve_vcc 1
		.amdhsa_float_round_mode_32 0
		.amdhsa_float_round_mode_16_64 0
		.amdhsa_float_denorm_mode_32 3
		.amdhsa_float_denorm_mode_16_64 3
		.amdhsa_dx10_clamp 1
		.amdhsa_ieee_mode 1
		.amdhsa_fp16_overflow 0
		.amdhsa_tg_split 0
		.amdhsa_exception_fp_ieee_invalid_op 0
		.amdhsa_exception_fp_denorm_src 0
		.amdhsa_exception_fp_ieee_div_zero 0
		.amdhsa_exception_fp_ieee_overflow 0
		.amdhsa_exception_fp_ieee_underflow 0
		.amdhsa_exception_fp_ieee_inexact 0
		.amdhsa_exception_int_div_zero 0
	.end_amdhsa_kernel
	.section	.text._ZN7rocprim17ROCPRIM_400000_NS6detail17trampoline_kernelINS0_14default_configENS1_27scan_by_key_config_selectorIssEEZZNS1_16scan_by_key_implILNS1_25lookback_scan_determinismE0ELb0ES3_N6thrust23THRUST_200600_302600_NS6detail15normal_iteratorINS9_10device_ptrIsEEEESE_SE_sNS9_4plusIvEENS9_8equal_toIsEEsEE10hipError_tPvRmT2_T3_T4_T5_mT6_T7_P12ihipStream_tbENKUlT_T0_E_clISt17integral_constantIbLb1EESY_IbLb0EEEEDaSU_SV_EUlSU_E_NS1_11comp_targetILNS1_3genE5ELNS1_11target_archE942ELNS1_3gpuE9ELNS1_3repE0EEENS1_30default_config_static_selectorELNS0_4arch9wavefront6targetE1EEEvT1_,"axG",@progbits,_ZN7rocprim17ROCPRIM_400000_NS6detail17trampoline_kernelINS0_14default_configENS1_27scan_by_key_config_selectorIssEEZZNS1_16scan_by_key_implILNS1_25lookback_scan_determinismE0ELb0ES3_N6thrust23THRUST_200600_302600_NS6detail15normal_iteratorINS9_10device_ptrIsEEEESE_SE_sNS9_4plusIvEENS9_8equal_toIsEEsEE10hipError_tPvRmT2_T3_T4_T5_mT6_T7_P12ihipStream_tbENKUlT_T0_E_clISt17integral_constantIbLb1EESY_IbLb0EEEEDaSU_SV_EUlSU_E_NS1_11comp_targetILNS1_3genE5ELNS1_11target_archE942ELNS1_3gpuE9ELNS1_3repE0EEENS1_30default_config_static_selectorELNS0_4arch9wavefront6targetE1EEEvT1_,comdat
.Lfunc_end337:
	.size	_ZN7rocprim17ROCPRIM_400000_NS6detail17trampoline_kernelINS0_14default_configENS1_27scan_by_key_config_selectorIssEEZZNS1_16scan_by_key_implILNS1_25lookback_scan_determinismE0ELb0ES3_N6thrust23THRUST_200600_302600_NS6detail15normal_iteratorINS9_10device_ptrIsEEEESE_SE_sNS9_4plusIvEENS9_8equal_toIsEEsEE10hipError_tPvRmT2_T3_T4_T5_mT6_T7_P12ihipStream_tbENKUlT_T0_E_clISt17integral_constantIbLb1EESY_IbLb0EEEEDaSU_SV_EUlSU_E_NS1_11comp_targetILNS1_3genE5ELNS1_11target_archE942ELNS1_3gpuE9ELNS1_3repE0EEENS1_30default_config_static_selectorELNS0_4arch9wavefront6targetE1EEEvT1_, .Lfunc_end337-_ZN7rocprim17ROCPRIM_400000_NS6detail17trampoline_kernelINS0_14default_configENS1_27scan_by_key_config_selectorIssEEZZNS1_16scan_by_key_implILNS1_25lookback_scan_determinismE0ELb0ES3_N6thrust23THRUST_200600_302600_NS6detail15normal_iteratorINS9_10device_ptrIsEEEESE_SE_sNS9_4plusIvEENS9_8equal_toIsEEsEE10hipError_tPvRmT2_T3_T4_T5_mT6_T7_P12ihipStream_tbENKUlT_T0_E_clISt17integral_constantIbLb1EESY_IbLb0EEEEDaSU_SV_EUlSU_E_NS1_11comp_targetILNS1_3genE5ELNS1_11target_archE942ELNS1_3gpuE9ELNS1_3repE0EEENS1_30default_config_static_selectorELNS0_4arch9wavefront6targetE1EEEvT1_
                                        ; -- End function
	.section	.AMDGPU.csdata,"",@progbits
; Kernel info:
; codeLenInByte = 16260
; NumSgprs: 94
; NumVgprs: 63
; NumAgprs: 0
; TotalNumVgprs: 63
; ScratchSize: 0
; MemoryBound: 0
; FloatMode: 240
; IeeeMode: 1
; LDSByteSize: 13312 bytes/workgroup (compile time only)
; SGPRBlocks: 11
; VGPRBlocks: 7
; NumSGPRsForWavesPerEU: 94
; NumVGPRsForWavesPerEU: 63
; AccumOffset: 64
; Occupancy: 4
; WaveLimiterHint : 1
; COMPUTE_PGM_RSRC2:SCRATCH_EN: 0
; COMPUTE_PGM_RSRC2:USER_SGPR: 2
; COMPUTE_PGM_RSRC2:TRAP_HANDLER: 0
; COMPUTE_PGM_RSRC2:TGID_X_EN: 1
; COMPUTE_PGM_RSRC2:TGID_Y_EN: 0
; COMPUTE_PGM_RSRC2:TGID_Z_EN: 0
; COMPUTE_PGM_RSRC2:TIDIG_COMP_CNT: 0
; COMPUTE_PGM_RSRC3_GFX90A:ACCUM_OFFSET: 15
; COMPUTE_PGM_RSRC3_GFX90A:TG_SPLIT: 0
	.section	.text._ZN7rocprim17ROCPRIM_400000_NS6detail17trampoline_kernelINS0_14default_configENS1_27scan_by_key_config_selectorIssEEZZNS1_16scan_by_key_implILNS1_25lookback_scan_determinismE0ELb0ES3_N6thrust23THRUST_200600_302600_NS6detail15normal_iteratorINS9_10device_ptrIsEEEESE_SE_sNS9_4plusIvEENS9_8equal_toIsEEsEE10hipError_tPvRmT2_T3_T4_T5_mT6_T7_P12ihipStream_tbENKUlT_T0_E_clISt17integral_constantIbLb1EESY_IbLb0EEEEDaSU_SV_EUlSU_E_NS1_11comp_targetILNS1_3genE4ELNS1_11target_archE910ELNS1_3gpuE8ELNS1_3repE0EEENS1_30default_config_static_selectorELNS0_4arch9wavefront6targetE1EEEvT1_,"axG",@progbits,_ZN7rocprim17ROCPRIM_400000_NS6detail17trampoline_kernelINS0_14default_configENS1_27scan_by_key_config_selectorIssEEZZNS1_16scan_by_key_implILNS1_25lookback_scan_determinismE0ELb0ES3_N6thrust23THRUST_200600_302600_NS6detail15normal_iteratorINS9_10device_ptrIsEEEESE_SE_sNS9_4plusIvEENS9_8equal_toIsEEsEE10hipError_tPvRmT2_T3_T4_T5_mT6_T7_P12ihipStream_tbENKUlT_T0_E_clISt17integral_constantIbLb1EESY_IbLb0EEEEDaSU_SV_EUlSU_E_NS1_11comp_targetILNS1_3genE4ELNS1_11target_archE910ELNS1_3gpuE8ELNS1_3repE0EEENS1_30default_config_static_selectorELNS0_4arch9wavefront6targetE1EEEvT1_,comdat
	.protected	_ZN7rocprim17ROCPRIM_400000_NS6detail17trampoline_kernelINS0_14default_configENS1_27scan_by_key_config_selectorIssEEZZNS1_16scan_by_key_implILNS1_25lookback_scan_determinismE0ELb0ES3_N6thrust23THRUST_200600_302600_NS6detail15normal_iteratorINS9_10device_ptrIsEEEESE_SE_sNS9_4plusIvEENS9_8equal_toIsEEsEE10hipError_tPvRmT2_T3_T4_T5_mT6_T7_P12ihipStream_tbENKUlT_T0_E_clISt17integral_constantIbLb1EESY_IbLb0EEEEDaSU_SV_EUlSU_E_NS1_11comp_targetILNS1_3genE4ELNS1_11target_archE910ELNS1_3gpuE8ELNS1_3repE0EEENS1_30default_config_static_selectorELNS0_4arch9wavefront6targetE1EEEvT1_ ; -- Begin function _ZN7rocprim17ROCPRIM_400000_NS6detail17trampoline_kernelINS0_14default_configENS1_27scan_by_key_config_selectorIssEEZZNS1_16scan_by_key_implILNS1_25lookback_scan_determinismE0ELb0ES3_N6thrust23THRUST_200600_302600_NS6detail15normal_iteratorINS9_10device_ptrIsEEEESE_SE_sNS9_4plusIvEENS9_8equal_toIsEEsEE10hipError_tPvRmT2_T3_T4_T5_mT6_T7_P12ihipStream_tbENKUlT_T0_E_clISt17integral_constantIbLb1EESY_IbLb0EEEEDaSU_SV_EUlSU_E_NS1_11comp_targetILNS1_3genE4ELNS1_11target_archE910ELNS1_3gpuE8ELNS1_3repE0EEENS1_30default_config_static_selectorELNS0_4arch9wavefront6targetE1EEEvT1_
	.globl	_ZN7rocprim17ROCPRIM_400000_NS6detail17trampoline_kernelINS0_14default_configENS1_27scan_by_key_config_selectorIssEEZZNS1_16scan_by_key_implILNS1_25lookback_scan_determinismE0ELb0ES3_N6thrust23THRUST_200600_302600_NS6detail15normal_iteratorINS9_10device_ptrIsEEEESE_SE_sNS9_4plusIvEENS9_8equal_toIsEEsEE10hipError_tPvRmT2_T3_T4_T5_mT6_T7_P12ihipStream_tbENKUlT_T0_E_clISt17integral_constantIbLb1EESY_IbLb0EEEEDaSU_SV_EUlSU_E_NS1_11comp_targetILNS1_3genE4ELNS1_11target_archE910ELNS1_3gpuE8ELNS1_3repE0EEENS1_30default_config_static_selectorELNS0_4arch9wavefront6targetE1EEEvT1_
	.p2align	8
	.type	_ZN7rocprim17ROCPRIM_400000_NS6detail17trampoline_kernelINS0_14default_configENS1_27scan_by_key_config_selectorIssEEZZNS1_16scan_by_key_implILNS1_25lookback_scan_determinismE0ELb0ES3_N6thrust23THRUST_200600_302600_NS6detail15normal_iteratorINS9_10device_ptrIsEEEESE_SE_sNS9_4plusIvEENS9_8equal_toIsEEsEE10hipError_tPvRmT2_T3_T4_T5_mT6_T7_P12ihipStream_tbENKUlT_T0_E_clISt17integral_constantIbLb1EESY_IbLb0EEEEDaSU_SV_EUlSU_E_NS1_11comp_targetILNS1_3genE4ELNS1_11target_archE910ELNS1_3gpuE8ELNS1_3repE0EEENS1_30default_config_static_selectorELNS0_4arch9wavefront6targetE1EEEvT1_,@function
_ZN7rocprim17ROCPRIM_400000_NS6detail17trampoline_kernelINS0_14default_configENS1_27scan_by_key_config_selectorIssEEZZNS1_16scan_by_key_implILNS1_25lookback_scan_determinismE0ELb0ES3_N6thrust23THRUST_200600_302600_NS6detail15normal_iteratorINS9_10device_ptrIsEEEESE_SE_sNS9_4plusIvEENS9_8equal_toIsEEsEE10hipError_tPvRmT2_T3_T4_T5_mT6_T7_P12ihipStream_tbENKUlT_T0_E_clISt17integral_constantIbLb1EESY_IbLb0EEEEDaSU_SV_EUlSU_E_NS1_11comp_targetILNS1_3genE4ELNS1_11target_archE910ELNS1_3gpuE8ELNS1_3repE0EEENS1_30default_config_static_selectorELNS0_4arch9wavefront6targetE1EEEvT1_: ; @_ZN7rocprim17ROCPRIM_400000_NS6detail17trampoline_kernelINS0_14default_configENS1_27scan_by_key_config_selectorIssEEZZNS1_16scan_by_key_implILNS1_25lookback_scan_determinismE0ELb0ES3_N6thrust23THRUST_200600_302600_NS6detail15normal_iteratorINS9_10device_ptrIsEEEESE_SE_sNS9_4plusIvEENS9_8equal_toIsEEsEE10hipError_tPvRmT2_T3_T4_T5_mT6_T7_P12ihipStream_tbENKUlT_T0_E_clISt17integral_constantIbLb1EESY_IbLb0EEEEDaSU_SV_EUlSU_E_NS1_11comp_targetILNS1_3genE4ELNS1_11target_archE910ELNS1_3gpuE8ELNS1_3repE0EEENS1_30default_config_static_selectorELNS0_4arch9wavefront6targetE1EEEvT1_
; %bb.0:
	.section	.rodata,"a",@progbits
	.p2align	6, 0x0
	.amdhsa_kernel _ZN7rocprim17ROCPRIM_400000_NS6detail17trampoline_kernelINS0_14default_configENS1_27scan_by_key_config_selectorIssEEZZNS1_16scan_by_key_implILNS1_25lookback_scan_determinismE0ELb0ES3_N6thrust23THRUST_200600_302600_NS6detail15normal_iteratorINS9_10device_ptrIsEEEESE_SE_sNS9_4plusIvEENS9_8equal_toIsEEsEE10hipError_tPvRmT2_T3_T4_T5_mT6_T7_P12ihipStream_tbENKUlT_T0_E_clISt17integral_constantIbLb1EESY_IbLb0EEEEDaSU_SV_EUlSU_E_NS1_11comp_targetILNS1_3genE4ELNS1_11target_archE910ELNS1_3gpuE8ELNS1_3repE0EEENS1_30default_config_static_selectorELNS0_4arch9wavefront6targetE1EEEvT1_
		.amdhsa_group_segment_fixed_size 0
		.amdhsa_private_segment_fixed_size 0
		.amdhsa_kernarg_size 112
		.amdhsa_user_sgpr_count 2
		.amdhsa_user_sgpr_dispatch_ptr 0
		.amdhsa_user_sgpr_queue_ptr 0
		.amdhsa_user_sgpr_kernarg_segment_ptr 1
		.amdhsa_user_sgpr_dispatch_id 0
		.amdhsa_user_sgpr_kernarg_preload_length 0
		.amdhsa_user_sgpr_kernarg_preload_offset 0
		.amdhsa_user_sgpr_private_segment_size 0
		.amdhsa_uses_dynamic_stack 0
		.amdhsa_enable_private_segment 0
		.amdhsa_system_sgpr_workgroup_id_x 1
		.amdhsa_system_sgpr_workgroup_id_y 0
		.amdhsa_system_sgpr_workgroup_id_z 0
		.amdhsa_system_sgpr_workgroup_info 0
		.amdhsa_system_vgpr_workitem_id 0
		.amdhsa_next_free_vgpr 1
		.amdhsa_next_free_sgpr 0
		.amdhsa_accum_offset 4
		.amdhsa_reserve_vcc 0
		.amdhsa_float_round_mode_32 0
		.amdhsa_float_round_mode_16_64 0
		.amdhsa_float_denorm_mode_32 3
		.amdhsa_float_denorm_mode_16_64 3
		.amdhsa_dx10_clamp 1
		.amdhsa_ieee_mode 1
		.amdhsa_fp16_overflow 0
		.amdhsa_tg_split 0
		.amdhsa_exception_fp_ieee_invalid_op 0
		.amdhsa_exception_fp_denorm_src 0
		.amdhsa_exception_fp_ieee_div_zero 0
		.amdhsa_exception_fp_ieee_overflow 0
		.amdhsa_exception_fp_ieee_underflow 0
		.amdhsa_exception_fp_ieee_inexact 0
		.amdhsa_exception_int_div_zero 0
	.end_amdhsa_kernel
	.section	.text._ZN7rocprim17ROCPRIM_400000_NS6detail17trampoline_kernelINS0_14default_configENS1_27scan_by_key_config_selectorIssEEZZNS1_16scan_by_key_implILNS1_25lookback_scan_determinismE0ELb0ES3_N6thrust23THRUST_200600_302600_NS6detail15normal_iteratorINS9_10device_ptrIsEEEESE_SE_sNS9_4plusIvEENS9_8equal_toIsEEsEE10hipError_tPvRmT2_T3_T4_T5_mT6_T7_P12ihipStream_tbENKUlT_T0_E_clISt17integral_constantIbLb1EESY_IbLb0EEEEDaSU_SV_EUlSU_E_NS1_11comp_targetILNS1_3genE4ELNS1_11target_archE910ELNS1_3gpuE8ELNS1_3repE0EEENS1_30default_config_static_selectorELNS0_4arch9wavefront6targetE1EEEvT1_,"axG",@progbits,_ZN7rocprim17ROCPRIM_400000_NS6detail17trampoline_kernelINS0_14default_configENS1_27scan_by_key_config_selectorIssEEZZNS1_16scan_by_key_implILNS1_25lookback_scan_determinismE0ELb0ES3_N6thrust23THRUST_200600_302600_NS6detail15normal_iteratorINS9_10device_ptrIsEEEESE_SE_sNS9_4plusIvEENS9_8equal_toIsEEsEE10hipError_tPvRmT2_T3_T4_T5_mT6_T7_P12ihipStream_tbENKUlT_T0_E_clISt17integral_constantIbLb1EESY_IbLb0EEEEDaSU_SV_EUlSU_E_NS1_11comp_targetILNS1_3genE4ELNS1_11target_archE910ELNS1_3gpuE8ELNS1_3repE0EEENS1_30default_config_static_selectorELNS0_4arch9wavefront6targetE1EEEvT1_,comdat
.Lfunc_end338:
	.size	_ZN7rocprim17ROCPRIM_400000_NS6detail17trampoline_kernelINS0_14default_configENS1_27scan_by_key_config_selectorIssEEZZNS1_16scan_by_key_implILNS1_25lookback_scan_determinismE0ELb0ES3_N6thrust23THRUST_200600_302600_NS6detail15normal_iteratorINS9_10device_ptrIsEEEESE_SE_sNS9_4plusIvEENS9_8equal_toIsEEsEE10hipError_tPvRmT2_T3_T4_T5_mT6_T7_P12ihipStream_tbENKUlT_T0_E_clISt17integral_constantIbLb1EESY_IbLb0EEEEDaSU_SV_EUlSU_E_NS1_11comp_targetILNS1_3genE4ELNS1_11target_archE910ELNS1_3gpuE8ELNS1_3repE0EEENS1_30default_config_static_selectorELNS0_4arch9wavefront6targetE1EEEvT1_, .Lfunc_end338-_ZN7rocprim17ROCPRIM_400000_NS6detail17trampoline_kernelINS0_14default_configENS1_27scan_by_key_config_selectorIssEEZZNS1_16scan_by_key_implILNS1_25lookback_scan_determinismE0ELb0ES3_N6thrust23THRUST_200600_302600_NS6detail15normal_iteratorINS9_10device_ptrIsEEEESE_SE_sNS9_4plusIvEENS9_8equal_toIsEEsEE10hipError_tPvRmT2_T3_T4_T5_mT6_T7_P12ihipStream_tbENKUlT_T0_E_clISt17integral_constantIbLb1EESY_IbLb0EEEEDaSU_SV_EUlSU_E_NS1_11comp_targetILNS1_3genE4ELNS1_11target_archE910ELNS1_3gpuE8ELNS1_3repE0EEENS1_30default_config_static_selectorELNS0_4arch9wavefront6targetE1EEEvT1_
                                        ; -- End function
	.section	.AMDGPU.csdata,"",@progbits
; Kernel info:
; codeLenInByte = 0
; NumSgprs: 6
; NumVgprs: 0
; NumAgprs: 0
; TotalNumVgprs: 0
; ScratchSize: 0
; MemoryBound: 0
; FloatMode: 240
; IeeeMode: 1
; LDSByteSize: 0 bytes/workgroup (compile time only)
; SGPRBlocks: 0
; VGPRBlocks: 0
; NumSGPRsForWavesPerEU: 6
; NumVGPRsForWavesPerEU: 1
; AccumOffset: 4
; Occupancy: 8
; WaveLimiterHint : 0
; COMPUTE_PGM_RSRC2:SCRATCH_EN: 0
; COMPUTE_PGM_RSRC2:USER_SGPR: 2
; COMPUTE_PGM_RSRC2:TRAP_HANDLER: 0
; COMPUTE_PGM_RSRC2:TGID_X_EN: 1
; COMPUTE_PGM_RSRC2:TGID_Y_EN: 0
; COMPUTE_PGM_RSRC2:TGID_Z_EN: 0
; COMPUTE_PGM_RSRC2:TIDIG_COMP_CNT: 0
; COMPUTE_PGM_RSRC3_GFX90A:ACCUM_OFFSET: 0
; COMPUTE_PGM_RSRC3_GFX90A:TG_SPLIT: 0
	.section	.text._ZN7rocprim17ROCPRIM_400000_NS6detail17trampoline_kernelINS0_14default_configENS1_27scan_by_key_config_selectorIssEEZZNS1_16scan_by_key_implILNS1_25lookback_scan_determinismE0ELb0ES3_N6thrust23THRUST_200600_302600_NS6detail15normal_iteratorINS9_10device_ptrIsEEEESE_SE_sNS9_4plusIvEENS9_8equal_toIsEEsEE10hipError_tPvRmT2_T3_T4_T5_mT6_T7_P12ihipStream_tbENKUlT_T0_E_clISt17integral_constantIbLb1EESY_IbLb0EEEEDaSU_SV_EUlSU_E_NS1_11comp_targetILNS1_3genE3ELNS1_11target_archE908ELNS1_3gpuE7ELNS1_3repE0EEENS1_30default_config_static_selectorELNS0_4arch9wavefront6targetE1EEEvT1_,"axG",@progbits,_ZN7rocprim17ROCPRIM_400000_NS6detail17trampoline_kernelINS0_14default_configENS1_27scan_by_key_config_selectorIssEEZZNS1_16scan_by_key_implILNS1_25lookback_scan_determinismE0ELb0ES3_N6thrust23THRUST_200600_302600_NS6detail15normal_iteratorINS9_10device_ptrIsEEEESE_SE_sNS9_4plusIvEENS9_8equal_toIsEEsEE10hipError_tPvRmT2_T3_T4_T5_mT6_T7_P12ihipStream_tbENKUlT_T0_E_clISt17integral_constantIbLb1EESY_IbLb0EEEEDaSU_SV_EUlSU_E_NS1_11comp_targetILNS1_3genE3ELNS1_11target_archE908ELNS1_3gpuE7ELNS1_3repE0EEENS1_30default_config_static_selectorELNS0_4arch9wavefront6targetE1EEEvT1_,comdat
	.protected	_ZN7rocprim17ROCPRIM_400000_NS6detail17trampoline_kernelINS0_14default_configENS1_27scan_by_key_config_selectorIssEEZZNS1_16scan_by_key_implILNS1_25lookback_scan_determinismE0ELb0ES3_N6thrust23THRUST_200600_302600_NS6detail15normal_iteratorINS9_10device_ptrIsEEEESE_SE_sNS9_4plusIvEENS9_8equal_toIsEEsEE10hipError_tPvRmT2_T3_T4_T5_mT6_T7_P12ihipStream_tbENKUlT_T0_E_clISt17integral_constantIbLb1EESY_IbLb0EEEEDaSU_SV_EUlSU_E_NS1_11comp_targetILNS1_3genE3ELNS1_11target_archE908ELNS1_3gpuE7ELNS1_3repE0EEENS1_30default_config_static_selectorELNS0_4arch9wavefront6targetE1EEEvT1_ ; -- Begin function _ZN7rocprim17ROCPRIM_400000_NS6detail17trampoline_kernelINS0_14default_configENS1_27scan_by_key_config_selectorIssEEZZNS1_16scan_by_key_implILNS1_25lookback_scan_determinismE0ELb0ES3_N6thrust23THRUST_200600_302600_NS6detail15normal_iteratorINS9_10device_ptrIsEEEESE_SE_sNS9_4plusIvEENS9_8equal_toIsEEsEE10hipError_tPvRmT2_T3_T4_T5_mT6_T7_P12ihipStream_tbENKUlT_T0_E_clISt17integral_constantIbLb1EESY_IbLb0EEEEDaSU_SV_EUlSU_E_NS1_11comp_targetILNS1_3genE3ELNS1_11target_archE908ELNS1_3gpuE7ELNS1_3repE0EEENS1_30default_config_static_selectorELNS0_4arch9wavefront6targetE1EEEvT1_
	.globl	_ZN7rocprim17ROCPRIM_400000_NS6detail17trampoline_kernelINS0_14default_configENS1_27scan_by_key_config_selectorIssEEZZNS1_16scan_by_key_implILNS1_25lookback_scan_determinismE0ELb0ES3_N6thrust23THRUST_200600_302600_NS6detail15normal_iteratorINS9_10device_ptrIsEEEESE_SE_sNS9_4plusIvEENS9_8equal_toIsEEsEE10hipError_tPvRmT2_T3_T4_T5_mT6_T7_P12ihipStream_tbENKUlT_T0_E_clISt17integral_constantIbLb1EESY_IbLb0EEEEDaSU_SV_EUlSU_E_NS1_11comp_targetILNS1_3genE3ELNS1_11target_archE908ELNS1_3gpuE7ELNS1_3repE0EEENS1_30default_config_static_selectorELNS0_4arch9wavefront6targetE1EEEvT1_
	.p2align	8
	.type	_ZN7rocprim17ROCPRIM_400000_NS6detail17trampoline_kernelINS0_14default_configENS1_27scan_by_key_config_selectorIssEEZZNS1_16scan_by_key_implILNS1_25lookback_scan_determinismE0ELb0ES3_N6thrust23THRUST_200600_302600_NS6detail15normal_iteratorINS9_10device_ptrIsEEEESE_SE_sNS9_4plusIvEENS9_8equal_toIsEEsEE10hipError_tPvRmT2_T3_T4_T5_mT6_T7_P12ihipStream_tbENKUlT_T0_E_clISt17integral_constantIbLb1EESY_IbLb0EEEEDaSU_SV_EUlSU_E_NS1_11comp_targetILNS1_3genE3ELNS1_11target_archE908ELNS1_3gpuE7ELNS1_3repE0EEENS1_30default_config_static_selectorELNS0_4arch9wavefront6targetE1EEEvT1_,@function
_ZN7rocprim17ROCPRIM_400000_NS6detail17trampoline_kernelINS0_14default_configENS1_27scan_by_key_config_selectorIssEEZZNS1_16scan_by_key_implILNS1_25lookback_scan_determinismE0ELb0ES3_N6thrust23THRUST_200600_302600_NS6detail15normal_iteratorINS9_10device_ptrIsEEEESE_SE_sNS9_4plusIvEENS9_8equal_toIsEEsEE10hipError_tPvRmT2_T3_T4_T5_mT6_T7_P12ihipStream_tbENKUlT_T0_E_clISt17integral_constantIbLb1EESY_IbLb0EEEEDaSU_SV_EUlSU_E_NS1_11comp_targetILNS1_3genE3ELNS1_11target_archE908ELNS1_3gpuE7ELNS1_3repE0EEENS1_30default_config_static_selectorELNS0_4arch9wavefront6targetE1EEEvT1_: ; @_ZN7rocprim17ROCPRIM_400000_NS6detail17trampoline_kernelINS0_14default_configENS1_27scan_by_key_config_selectorIssEEZZNS1_16scan_by_key_implILNS1_25lookback_scan_determinismE0ELb0ES3_N6thrust23THRUST_200600_302600_NS6detail15normal_iteratorINS9_10device_ptrIsEEEESE_SE_sNS9_4plusIvEENS9_8equal_toIsEEsEE10hipError_tPvRmT2_T3_T4_T5_mT6_T7_P12ihipStream_tbENKUlT_T0_E_clISt17integral_constantIbLb1EESY_IbLb0EEEEDaSU_SV_EUlSU_E_NS1_11comp_targetILNS1_3genE3ELNS1_11target_archE908ELNS1_3gpuE7ELNS1_3repE0EEENS1_30default_config_static_selectorELNS0_4arch9wavefront6targetE1EEEvT1_
; %bb.0:
	.section	.rodata,"a",@progbits
	.p2align	6, 0x0
	.amdhsa_kernel _ZN7rocprim17ROCPRIM_400000_NS6detail17trampoline_kernelINS0_14default_configENS1_27scan_by_key_config_selectorIssEEZZNS1_16scan_by_key_implILNS1_25lookback_scan_determinismE0ELb0ES3_N6thrust23THRUST_200600_302600_NS6detail15normal_iteratorINS9_10device_ptrIsEEEESE_SE_sNS9_4plusIvEENS9_8equal_toIsEEsEE10hipError_tPvRmT2_T3_T4_T5_mT6_T7_P12ihipStream_tbENKUlT_T0_E_clISt17integral_constantIbLb1EESY_IbLb0EEEEDaSU_SV_EUlSU_E_NS1_11comp_targetILNS1_3genE3ELNS1_11target_archE908ELNS1_3gpuE7ELNS1_3repE0EEENS1_30default_config_static_selectorELNS0_4arch9wavefront6targetE1EEEvT1_
		.amdhsa_group_segment_fixed_size 0
		.amdhsa_private_segment_fixed_size 0
		.amdhsa_kernarg_size 112
		.amdhsa_user_sgpr_count 2
		.amdhsa_user_sgpr_dispatch_ptr 0
		.amdhsa_user_sgpr_queue_ptr 0
		.amdhsa_user_sgpr_kernarg_segment_ptr 1
		.amdhsa_user_sgpr_dispatch_id 0
		.amdhsa_user_sgpr_kernarg_preload_length 0
		.amdhsa_user_sgpr_kernarg_preload_offset 0
		.amdhsa_user_sgpr_private_segment_size 0
		.amdhsa_uses_dynamic_stack 0
		.amdhsa_enable_private_segment 0
		.amdhsa_system_sgpr_workgroup_id_x 1
		.amdhsa_system_sgpr_workgroup_id_y 0
		.amdhsa_system_sgpr_workgroup_id_z 0
		.amdhsa_system_sgpr_workgroup_info 0
		.amdhsa_system_vgpr_workitem_id 0
		.amdhsa_next_free_vgpr 1
		.amdhsa_next_free_sgpr 0
		.amdhsa_accum_offset 4
		.amdhsa_reserve_vcc 0
		.amdhsa_float_round_mode_32 0
		.amdhsa_float_round_mode_16_64 0
		.amdhsa_float_denorm_mode_32 3
		.amdhsa_float_denorm_mode_16_64 3
		.amdhsa_dx10_clamp 1
		.amdhsa_ieee_mode 1
		.amdhsa_fp16_overflow 0
		.amdhsa_tg_split 0
		.amdhsa_exception_fp_ieee_invalid_op 0
		.amdhsa_exception_fp_denorm_src 0
		.amdhsa_exception_fp_ieee_div_zero 0
		.amdhsa_exception_fp_ieee_overflow 0
		.amdhsa_exception_fp_ieee_underflow 0
		.amdhsa_exception_fp_ieee_inexact 0
		.amdhsa_exception_int_div_zero 0
	.end_amdhsa_kernel
	.section	.text._ZN7rocprim17ROCPRIM_400000_NS6detail17trampoline_kernelINS0_14default_configENS1_27scan_by_key_config_selectorIssEEZZNS1_16scan_by_key_implILNS1_25lookback_scan_determinismE0ELb0ES3_N6thrust23THRUST_200600_302600_NS6detail15normal_iteratorINS9_10device_ptrIsEEEESE_SE_sNS9_4plusIvEENS9_8equal_toIsEEsEE10hipError_tPvRmT2_T3_T4_T5_mT6_T7_P12ihipStream_tbENKUlT_T0_E_clISt17integral_constantIbLb1EESY_IbLb0EEEEDaSU_SV_EUlSU_E_NS1_11comp_targetILNS1_3genE3ELNS1_11target_archE908ELNS1_3gpuE7ELNS1_3repE0EEENS1_30default_config_static_selectorELNS0_4arch9wavefront6targetE1EEEvT1_,"axG",@progbits,_ZN7rocprim17ROCPRIM_400000_NS6detail17trampoline_kernelINS0_14default_configENS1_27scan_by_key_config_selectorIssEEZZNS1_16scan_by_key_implILNS1_25lookback_scan_determinismE0ELb0ES3_N6thrust23THRUST_200600_302600_NS6detail15normal_iteratorINS9_10device_ptrIsEEEESE_SE_sNS9_4plusIvEENS9_8equal_toIsEEsEE10hipError_tPvRmT2_T3_T4_T5_mT6_T7_P12ihipStream_tbENKUlT_T0_E_clISt17integral_constantIbLb1EESY_IbLb0EEEEDaSU_SV_EUlSU_E_NS1_11comp_targetILNS1_3genE3ELNS1_11target_archE908ELNS1_3gpuE7ELNS1_3repE0EEENS1_30default_config_static_selectorELNS0_4arch9wavefront6targetE1EEEvT1_,comdat
.Lfunc_end339:
	.size	_ZN7rocprim17ROCPRIM_400000_NS6detail17trampoline_kernelINS0_14default_configENS1_27scan_by_key_config_selectorIssEEZZNS1_16scan_by_key_implILNS1_25lookback_scan_determinismE0ELb0ES3_N6thrust23THRUST_200600_302600_NS6detail15normal_iteratorINS9_10device_ptrIsEEEESE_SE_sNS9_4plusIvEENS9_8equal_toIsEEsEE10hipError_tPvRmT2_T3_T4_T5_mT6_T7_P12ihipStream_tbENKUlT_T0_E_clISt17integral_constantIbLb1EESY_IbLb0EEEEDaSU_SV_EUlSU_E_NS1_11comp_targetILNS1_3genE3ELNS1_11target_archE908ELNS1_3gpuE7ELNS1_3repE0EEENS1_30default_config_static_selectorELNS0_4arch9wavefront6targetE1EEEvT1_, .Lfunc_end339-_ZN7rocprim17ROCPRIM_400000_NS6detail17trampoline_kernelINS0_14default_configENS1_27scan_by_key_config_selectorIssEEZZNS1_16scan_by_key_implILNS1_25lookback_scan_determinismE0ELb0ES3_N6thrust23THRUST_200600_302600_NS6detail15normal_iteratorINS9_10device_ptrIsEEEESE_SE_sNS9_4plusIvEENS9_8equal_toIsEEsEE10hipError_tPvRmT2_T3_T4_T5_mT6_T7_P12ihipStream_tbENKUlT_T0_E_clISt17integral_constantIbLb1EESY_IbLb0EEEEDaSU_SV_EUlSU_E_NS1_11comp_targetILNS1_3genE3ELNS1_11target_archE908ELNS1_3gpuE7ELNS1_3repE0EEENS1_30default_config_static_selectorELNS0_4arch9wavefront6targetE1EEEvT1_
                                        ; -- End function
	.section	.AMDGPU.csdata,"",@progbits
; Kernel info:
; codeLenInByte = 0
; NumSgprs: 6
; NumVgprs: 0
; NumAgprs: 0
; TotalNumVgprs: 0
; ScratchSize: 0
; MemoryBound: 0
; FloatMode: 240
; IeeeMode: 1
; LDSByteSize: 0 bytes/workgroup (compile time only)
; SGPRBlocks: 0
; VGPRBlocks: 0
; NumSGPRsForWavesPerEU: 6
; NumVGPRsForWavesPerEU: 1
; AccumOffset: 4
; Occupancy: 8
; WaveLimiterHint : 0
; COMPUTE_PGM_RSRC2:SCRATCH_EN: 0
; COMPUTE_PGM_RSRC2:USER_SGPR: 2
; COMPUTE_PGM_RSRC2:TRAP_HANDLER: 0
; COMPUTE_PGM_RSRC2:TGID_X_EN: 1
; COMPUTE_PGM_RSRC2:TGID_Y_EN: 0
; COMPUTE_PGM_RSRC2:TGID_Z_EN: 0
; COMPUTE_PGM_RSRC2:TIDIG_COMP_CNT: 0
; COMPUTE_PGM_RSRC3_GFX90A:ACCUM_OFFSET: 0
; COMPUTE_PGM_RSRC3_GFX90A:TG_SPLIT: 0
	.section	.text._ZN7rocprim17ROCPRIM_400000_NS6detail17trampoline_kernelINS0_14default_configENS1_27scan_by_key_config_selectorIssEEZZNS1_16scan_by_key_implILNS1_25lookback_scan_determinismE0ELb0ES3_N6thrust23THRUST_200600_302600_NS6detail15normal_iteratorINS9_10device_ptrIsEEEESE_SE_sNS9_4plusIvEENS9_8equal_toIsEEsEE10hipError_tPvRmT2_T3_T4_T5_mT6_T7_P12ihipStream_tbENKUlT_T0_E_clISt17integral_constantIbLb1EESY_IbLb0EEEEDaSU_SV_EUlSU_E_NS1_11comp_targetILNS1_3genE2ELNS1_11target_archE906ELNS1_3gpuE6ELNS1_3repE0EEENS1_30default_config_static_selectorELNS0_4arch9wavefront6targetE1EEEvT1_,"axG",@progbits,_ZN7rocprim17ROCPRIM_400000_NS6detail17trampoline_kernelINS0_14default_configENS1_27scan_by_key_config_selectorIssEEZZNS1_16scan_by_key_implILNS1_25lookback_scan_determinismE0ELb0ES3_N6thrust23THRUST_200600_302600_NS6detail15normal_iteratorINS9_10device_ptrIsEEEESE_SE_sNS9_4plusIvEENS9_8equal_toIsEEsEE10hipError_tPvRmT2_T3_T4_T5_mT6_T7_P12ihipStream_tbENKUlT_T0_E_clISt17integral_constantIbLb1EESY_IbLb0EEEEDaSU_SV_EUlSU_E_NS1_11comp_targetILNS1_3genE2ELNS1_11target_archE906ELNS1_3gpuE6ELNS1_3repE0EEENS1_30default_config_static_selectorELNS0_4arch9wavefront6targetE1EEEvT1_,comdat
	.protected	_ZN7rocprim17ROCPRIM_400000_NS6detail17trampoline_kernelINS0_14default_configENS1_27scan_by_key_config_selectorIssEEZZNS1_16scan_by_key_implILNS1_25lookback_scan_determinismE0ELb0ES3_N6thrust23THRUST_200600_302600_NS6detail15normal_iteratorINS9_10device_ptrIsEEEESE_SE_sNS9_4plusIvEENS9_8equal_toIsEEsEE10hipError_tPvRmT2_T3_T4_T5_mT6_T7_P12ihipStream_tbENKUlT_T0_E_clISt17integral_constantIbLb1EESY_IbLb0EEEEDaSU_SV_EUlSU_E_NS1_11comp_targetILNS1_3genE2ELNS1_11target_archE906ELNS1_3gpuE6ELNS1_3repE0EEENS1_30default_config_static_selectorELNS0_4arch9wavefront6targetE1EEEvT1_ ; -- Begin function _ZN7rocprim17ROCPRIM_400000_NS6detail17trampoline_kernelINS0_14default_configENS1_27scan_by_key_config_selectorIssEEZZNS1_16scan_by_key_implILNS1_25lookback_scan_determinismE0ELb0ES3_N6thrust23THRUST_200600_302600_NS6detail15normal_iteratorINS9_10device_ptrIsEEEESE_SE_sNS9_4plusIvEENS9_8equal_toIsEEsEE10hipError_tPvRmT2_T3_T4_T5_mT6_T7_P12ihipStream_tbENKUlT_T0_E_clISt17integral_constantIbLb1EESY_IbLb0EEEEDaSU_SV_EUlSU_E_NS1_11comp_targetILNS1_3genE2ELNS1_11target_archE906ELNS1_3gpuE6ELNS1_3repE0EEENS1_30default_config_static_selectorELNS0_4arch9wavefront6targetE1EEEvT1_
	.globl	_ZN7rocprim17ROCPRIM_400000_NS6detail17trampoline_kernelINS0_14default_configENS1_27scan_by_key_config_selectorIssEEZZNS1_16scan_by_key_implILNS1_25lookback_scan_determinismE0ELb0ES3_N6thrust23THRUST_200600_302600_NS6detail15normal_iteratorINS9_10device_ptrIsEEEESE_SE_sNS9_4plusIvEENS9_8equal_toIsEEsEE10hipError_tPvRmT2_T3_T4_T5_mT6_T7_P12ihipStream_tbENKUlT_T0_E_clISt17integral_constantIbLb1EESY_IbLb0EEEEDaSU_SV_EUlSU_E_NS1_11comp_targetILNS1_3genE2ELNS1_11target_archE906ELNS1_3gpuE6ELNS1_3repE0EEENS1_30default_config_static_selectorELNS0_4arch9wavefront6targetE1EEEvT1_
	.p2align	8
	.type	_ZN7rocprim17ROCPRIM_400000_NS6detail17trampoline_kernelINS0_14default_configENS1_27scan_by_key_config_selectorIssEEZZNS1_16scan_by_key_implILNS1_25lookback_scan_determinismE0ELb0ES3_N6thrust23THRUST_200600_302600_NS6detail15normal_iteratorINS9_10device_ptrIsEEEESE_SE_sNS9_4plusIvEENS9_8equal_toIsEEsEE10hipError_tPvRmT2_T3_T4_T5_mT6_T7_P12ihipStream_tbENKUlT_T0_E_clISt17integral_constantIbLb1EESY_IbLb0EEEEDaSU_SV_EUlSU_E_NS1_11comp_targetILNS1_3genE2ELNS1_11target_archE906ELNS1_3gpuE6ELNS1_3repE0EEENS1_30default_config_static_selectorELNS0_4arch9wavefront6targetE1EEEvT1_,@function
_ZN7rocprim17ROCPRIM_400000_NS6detail17trampoline_kernelINS0_14default_configENS1_27scan_by_key_config_selectorIssEEZZNS1_16scan_by_key_implILNS1_25lookback_scan_determinismE0ELb0ES3_N6thrust23THRUST_200600_302600_NS6detail15normal_iteratorINS9_10device_ptrIsEEEESE_SE_sNS9_4plusIvEENS9_8equal_toIsEEsEE10hipError_tPvRmT2_T3_T4_T5_mT6_T7_P12ihipStream_tbENKUlT_T0_E_clISt17integral_constantIbLb1EESY_IbLb0EEEEDaSU_SV_EUlSU_E_NS1_11comp_targetILNS1_3genE2ELNS1_11target_archE906ELNS1_3gpuE6ELNS1_3repE0EEENS1_30default_config_static_selectorELNS0_4arch9wavefront6targetE1EEEvT1_: ; @_ZN7rocprim17ROCPRIM_400000_NS6detail17trampoline_kernelINS0_14default_configENS1_27scan_by_key_config_selectorIssEEZZNS1_16scan_by_key_implILNS1_25lookback_scan_determinismE0ELb0ES3_N6thrust23THRUST_200600_302600_NS6detail15normal_iteratorINS9_10device_ptrIsEEEESE_SE_sNS9_4plusIvEENS9_8equal_toIsEEsEE10hipError_tPvRmT2_T3_T4_T5_mT6_T7_P12ihipStream_tbENKUlT_T0_E_clISt17integral_constantIbLb1EESY_IbLb0EEEEDaSU_SV_EUlSU_E_NS1_11comp_targetILNS1_3genE2ELNS1_11target_archE906ELNS1_3gpuE6ELNS1_3repE0EEENS1_30default_config_static_selectorELNS0_4arch9wavefront6targetE1EEEvT1_
; %bb.0:
	.section	.rodata,"a",@progbits
	.p2align	6, 0x0
	.amdhsa_kernel _ZN7rocprim17ROCPRIM_400000_NS6detail17trampoline_kernelINS0_14default_configENS1_27scan_by_key_config_selectorIssEEZZNS1_16scan_by_key_implILNS1_25lookback_scan_determinismE0ELb0ES3_N6thrust23THRUST_200600_302600_NS6detail15normal_iteratorINS9_10device_ptrIsEEEESE_SE_sNS9_4plusIvEENS9_8equal_toIsEEsEE10hipError_tPvRmT2_T3_T4_T5_mT6_T7_P12ihipStream_tbENKUlT_T0_E_clISt17integral_constantIbLb1EESY_IbLb0EEEEDaSU_SV_EUlSU_E_NS1_11comp_targetILNS1_3genE2ELNS1_11target_archE906ELNS1_3gpuE6ELNS1_3repE0EEENS1_30default_config_static_selectorELNS0_4arch9wavefront6targetE1EEEvT1_
		.amdhsa_group_segment_fixed_size 0
		.amdhsa_private_segment_fixed_size 0
		.amdhsa_kernarg_size 112
		.amdhsa_user_sgpr_count 2
		.amdhsa_user_sgpr_dispatch_ptr 0
		.amdhsa_user_sgpr_queue_ptr 0
		.amdhsa_user_sgpr_kernarg_segment_ptr 1
		.amdhsa_user_sgpr_dispatch_id 0
		.amdhsa_user_sgpr_kernarg_preload_length 0
		.amdhsa_user_sgpr_kernarg_preload_offset 0
		.amdhsa_user_sgpr_private_segment_size 0
		.amdhsa_uses_dynamic_stack 0
		.amdhsa_enable_private_segment 0
		.amdhsa_system_sgpr_workgroup_id_x 1
		.amdhsa_system_sgpr_workgroup_id_y 0
		.amdhsa_system_sgpr_workgroup_id_z 0
		.amdhsa_system_sgpr_workgroup_info 0
		.amdhsa_system_vgpr_workitem_id 0
		.amdhsa_next_free_vgpr 1
		.amdhsa_next_free_sgpr 0
		.amdhsa_accum_offset 4
		.amdhsa_reserve_vcc 0
		.amdhsa_float_round_mode_32 0
		.amdhsa_float_round_mode_16_64 0
		.amdhsa_float_denorm_mode_32 3
		.amdhsa_float_denorm_mode_16_64 3
		.amdhsa_dx10_clamp 1
		.amdhsa_ieee_mode 1
		.amdhsa_fp16_overflow 0
		.amdhsa_tg_split 0
		.amdhsa_exception_fp_ieee_invalid_op 0
		.amdhsa_exception_fp_denorm_src 0
		.amdhsa_exception_fp_ieee_div_zero 0
		.amdhsa_exception_fp_ieee_overflow 0
		.amdhsa_exception_fp_ieee_underflow 0
		.amdhsa_exception_fp_ieee_inexact 0
		.amdhsa_exception_int_div_zero 0
	.end_amdhsa_kernel
	.section	.text._ZN7rocprim17ROCPRIM_400000_NS6detail17trampoline_kernelINS0_14default_configENS1_27scan_by_key_config_selectorIssEEZZNS1_16scan_by_key_implILNS1_25lookback_scan_determinismE0ELb0ES3_N6thrust23THRUST_200600_302600_NS6detail15normal_iteratorINS9_10device_ptrIsEEEESE_SE_sNS9_4plusIvEENS9_8equal_toIsEEsEE10hipError_tPvRmT2_T3_T4_T5_mT6_T7_P12ihipStream_tbENKUlT_T0_E_clISt17integral_constantIbLb1EESY_IbLb0EEEEDaSU_SV_EUlSU_E_NS1_11comp_targetILNS1_3genE2ELNS1_11target_archE906ELNS1_3gpuE6ELNS1_3repE0EEENS1_30default_config_static_selectorELNS0_4arch9wavefront6targetE1EEEvT1_,"axG",@progbits,_ZN7rocprim17ROCPRIM_400000_NS6detail17trampoline_kernelINS0_14default_configENS1_27scan_by_key_config_selectorIssEEZZNS1_16scan_by_key_implILNS1_25lookback_scan_determinismE0ELb0ES3_N6thrust23THRUST_200600_302600_NS6detail15normal_iteratorINS9_10device_ptrIsEEEESE_SE_sNS9_4plusIvEENS9_8equal_toIsEEsEE10hipError_tPvRmT2_T3_T4_T5_mT6_T7_P12ihipStream_tbENKUlT_T0_E_clISt17integral_constantIbLb1EESY_IbLb0EEEEDaSU_SV_EUlSU_E_NS1_11comp_targetILNS1_3genE2ELNS1_11target_archE906ELNS1_3gpuE6ELNS1_3repE0EEENS1_30default_config_static_selectorELNS0_4arch9wavefront6targetE1EEEvT1_,comdat
.Lfunc_end340:
	.size	_ZN7rocprim17ROCPRIM_400000_NS6detail17trampoline_kernelINS0_14default_configENS1_27scan_by_key_config_selectorIssEEZZNS1_16scan_by_key_implILNS1_25lookback_scan_determinismE0ELb0ES3_N6thrust23THRUST_200600_302600_NS6detail15normal_iteratorINS9_10device_ptrIsEEEESE_SE_sNS9_4plusIvEENS9_8equal_toIsEEsEE10hipError_tPvRmT2_T3_T4_T5_mT6_T7_P12ihipStream_tbENKUlT_T0_E_clISt17integral_constantIbLb1EESY_IbLb0EEEEDaSU_SV_EUlSU_E_NS1_11comp_targetILNS1_3genE2ELNS1_11target_archE906ELNS1_3gpuE6ELNS1_3repE0EEENS1_30default_config_static_selectorELNS0_4arch9wavefront6targetE1EEEvT1_, .Lfunc_end340-_ZN7rocprim17ROCPRIM_400000_NS6detail17trampoline_kernelINS0_14default_configENS1_27scan_by_key_config_selectorIssEEZZNS1_16scan_by_key_implILNS1_25lookback_scan_determinismE0ELb0ES3_N6thrust23THRUST_200600_302600_NS6detail15normal_iteratorINS9_10device_ptrIsEEEESE_SE_sNS9_4plusIvEENS9_8equal_toIsEEsEE10hipError_tPvRmT2_T3_T4_T5_mT6_T7_P12ihipStream_tbENKUlT_T0_E_clISt17integral_constantIbLb1EESY_IbLb0EEEEDaSU_SV_EUlSU_E_NS1_11comp_targetILNS1_3genE2ELNS1_11target_archE906ELNS1_3gpuE6ELNS1_3repE0EEENS1_30default_config_static_selectorELNS0_4arch9wavefront6targetE1EEEvT1_
                                        ; -- End function
	.section	.AMDGPU.csdata,"",@progbits
; Kernel info:
; codeLenInByte = 0
; NumSgprs: 6
; NumVgprs: 0
; NumAgprs: 0
; TotalNumVgprs: 0
; ScratchSize: 0
; MemoryBound: 0
; FloatMode: 240
; IeeeMode: 1
; LDSByteSize: 0 bytes/workgroup (compile time only)
; SGPRBlocks: 0
; VGPRBlocks: 0
; NumSGPRsForWavesPerEU: 6
; NumVGPRsForWavesPerEU: 1
; AccumOffset: 4
; Occupancy: 8
; WaveLimiterHint : 0
; COMPUTE_PGM_RSRC2:SCRATCH_EN: 0
; COMPUTE_PGM_RSRC2:USER_SGPR: 2
; COMPUTE_PGM_RSRC2:TRAP_HANDLER: 0
; COMPUTE_PGM_RSRC2:TGID_X_EN: 1
; COMPUTE_PGM_RSRC2:TGID_Y_EN: 0
; COMPUTE_PGM_RSRC2:TGID_Z_EN: 0
; COMPUTE_PGM_RSRC2:TIDIG_COMP_CNT: 0
; COMPUTE_PGM_RSRC3_GFX90A:ACCUM_OFFSET: 0
; COMPUTE_PGM_RSRC3_GFX90A:TG_SPLIT: 0
	.section	.text._ZN7rocprim17ROCPRIM_400000_NS6detail17trampoline_kernelINS0_14default_configENS1_27scan_by_key_config_selectorIssEEZZNS1_16scan_by_key_implILNS1_25lookback_scan_determinismE0ELb0ES3_N6thrust23THRUST_200600_302600_NS6detail15normal_iteratorINS9_10device_ptrIsEEEESE_SE_sNS9_4plusIvEENS9_8equal_toIsEEsEE10hipError_tPvRmT2_T3_T4_T5_mT6_T7_P12ihipStream_tbENKUlT_T0_E_clISt17integral_constantIbLb1EESY_IbLb0EEEEDaSU_SV_EUlSU_E_NS1_11comp_targetILNS1_3genE10ELNS1_11target_archE1200ELNS1_3gpuE4ELNS1_3repE0EEENS1_30default_config_static_selectorELNS0_4arch9wavefront6targetE1EEEvT1_,"axG",@progbits,_ZN7rocprim17ROCPRIM_400000_NS6detail17trampoline_kernelINS0_14default_configENS1_27scan_by_key_config_selectorIssEEZZNS1_16scan_by_key_implILNS1_25lookback_scan_determinismE0ELb0ES3_N6thrust23THRUST_200600_302600_NS6detail15normal_iteratorINS9_10device_ptrIsEEEESE_SE_sNS9_4plusIvEENS9_8equal_toIsEEsEE10hipError_tPvRmT2_T3_T4_T5_mT6_T7_P12ihipStream_tbENKUlT_T0_E_clISt17integral_constantIbLb1EESY_IbLb0EEEEDaSU_SV_EUlSU_E_NS1_11comp_targetILNS1_3genE10ELNS1_11target_archE1200ELNS1_3gpuE4ELNS1_3repE0EEENS1_30default_config_static_selectorELNS0_4arch9wavefront6targetE1EEEvT1_,comdat
	.protected	_ZN7rocprim17ROCPRIM_400000_NS6detail17trampoline_kernelINS0_14default_configENS1_27scan_by_key_config_selectorIssEEZZNS1_16scan_by_key_implILNS1_25lookback_scan_determinismE0ELb0ES3_N6thrust23THRUST_200600_302600_NS6detail15normal_iteratorINS9_10device_ptrIsEEEESE_SE_sNS9_4plusIvEENS9_8equal_toIsEEsEE10hipError_tPvRmT2_T3_T4_T5_mT6_T7_P12ihipStream_tbENKUlT_T0_E_clISt17integral_constantIbLb1EESY_IbLb0EEEEDaSU_SV_EUlSU_E_NS1_11comp_targetILNS1_3genE10ELNS1_11target_archE1200ELNS1_3gpuE4ELNS1_3repE0EEENS1_30default_config_static_selectorELNS0_4arch9wavefront6targetE1EEEvT1_ ; -- Begin function _ZN7rocprim17ROCPRIM_400000_NS6detail17trampoline_kernelINS0_14default_configENS1_27scan_by_key_config_selectorIssEEZZNS1_16scan_by_key_implILNS1_25lookback_scan_determinismE0ELb0ES3_N6thrust23THRUST_200600_302600_NS6detail15normal_iteratorINS9_10device_ptrIsEEEESE_SE_sNS9_4plusIvEENS9_8equal_toIsEEsEE10hipError_tPvRmT2_T3_T4_T5_mT6_T7_P12ihipStream_tbENKUlT_T0_E_clISt17integral_constantIbLb1EESY_IbLb0EEEEDaSU_SV_EUlSU_E_NS1_11comp_targetILNS1_3genE10ELNS1_11target_archE1200ELNS1_3gpuE4ELNS1_3repE0EEENS1_30default_config_static_selectorELNS0_4arch9wavefront6targetE1EEEvT1_
	.globl	_ZN7rocprim17ROCPRIM_400000_NS6detail17trampoline_kernelINS0_14default_configENS1_27scan_by_key_config_selectorIssEEZZNS1_16scan_by_key_implILNS1_25lookback_scan_determinismE0ELb0ES3_N6thrust23THRUST_200600_302600_NS6detail15normal_iteratorINS9_10device_ptrIsEEEESE_SE_sNS9_4plusIvEENS9_8equal_toIsEEsEE10hipError_tPvRmT2_T3_T4_T5_mT6_T7_P12ihipStream_tbENKUlT_T0_E_clISt17integral_constantIbLb1EESY_IbLb0EEEEDaSU_SV_EUlSU_E_NS1_11comp_targetILNS1_3genE10ELNS1_11target_archE1200ELNS1_3gpuE4ELNS1_3repE0EEENS1_30default_config_static_selectorELNS0_4arch9wavefront6targetE1EEEvT1_
	.p2align	8
	.type	_ZN7rocprim17ROCPRIM_400000_NS6detail17trampoline_kernelINS0_14default_configENS1_27scan_by_key_config_selectorIssEEZZNS1_16scan_by_key_implILNS1_25lookback_scan_determinismE0ELb0ES3_N6thrust23THRUST_200600_302600_NS6detail15normal_iteratorINS9_10device_ptrIsEEEESE_SE_sNS9_4plusIvEENS9_8equal_toIsEEsEE10hipError_tPvRmT2_T3_T4_T5_mT6_T7_P12ihipStream_tbENKUlT_T0_E_clISt17integral_constantIbLb1EESY_IbLb0EEEEDaSU_SV_EUlSU_E_NS1_11comp_targetILNS1_3genE10ELNS1_11target_archE1200ELNS1_3gpuE4ELNS1_3repE0EEENS1_30default_config_static_selectorELNS0_4arch9wavefront6targetE1EEEvT1_,@function
_ZN7rocprim17ROCPRIM_400000_NS6detail17trampoline_kernelINS0_14default_configENS1_27scan_by_key_config_selectorIssEEZZNS1_16scan_by_key_implILNS1_25lookback_scan_determinismE0ELb0ES3_N6thrust23THRUST_200600_302600_NS6detail15normal_iteratorINS9_10device_ptrIsEEEESE_SE_sNS9_4plusIvEENS9_8equal_toIsEEsEE10hipError_tPvRmT2_T3_T4_T5_mT6_T7_P12ihipStream_tbENKUlT_T0_E_clISt17integral_constantIbLb1EESY_IbLb0EEEEDaSU_SV_EUlSU_E_NS1_11comp_targetILNS1_3genE10ELNS1_11target_archE1200ELNS1_3gpuE4ELNS1_3repE0EEENS1_30default_config_static_selectorELNS0_4arch9wavefront6targetE1EEEvT1_: ; @_ZN7rocprim17ROCPRIM_400000_NS6detail17trampoline_kernelINS0_14default_configENS1_27scan_by_key_config_selectorIssEEZZNS1_16scan_by_key_implILNS1_25lookback_scan_determinismE0ELb0ES3_N6thrust23THRUST_200600_302600_NS6detail15normal_iteratorINS9_10device_ptrIsEEEESE_SE_sNS9_4plusIvEENS9_8equal_toIsEEsEE10hipError_tPvRmT2_T3_T4_T5_mT6_T7_P12ihipStream_tbENKUlT_T0_E_clISt17integral_constantIbLb1EESY_IbLb0EEEEDaSU_SV_EUlSU_E_NS1_11comp_targetILNS1_3genE10ELNS1_11target_archE1200ELNS1_3gpuE4ELNS1_3repE0EEENS1_30default_config_static_selectorELNS0_4arch9wavefront6targetE1EEEvT1_
; %bb.0:
	.section	.rodata,"a",@progbits
	.p2align	6, 0x0
	.amdhsa_kernel _ZN7rocprim17ROCPRIM_400000_NS6detail17trampoline_kernelINS0_14default_configENS1_27scan_by_key_config_selectorIssEEZZNS1_16scan_by_key_implILNS1_25lookback_scan_determinismE0ELb0ES3_N6thrust23THRUST_200600_302600_NS6detail15normal_iteratorINS9_10device_ptrIsEEEESE_SE_sNS9_4plusIvEENS9_8equal_toIsEEsEE10hipError_tPvRmT2_T3_T4_T5_mT6_T7_P12ihipStream_tbENKUlT_T0_E_clISt17integral_constantIbLb1EESY_IbLb0EEEEDaSU_SV_EUlSU_E_NS1_11comp_targetILNS1_3genE10ELNS1_11target_archE1200ELNS1_3gpuE4ELNS1_3repE0EEENS1_30default_config_static_selectorELNS0_4arch9wavefront6targetE1EEEvT1_
		.amdhsa_group_segment_fixed_size 0
		.amdhsa_private_segment_fixed_size 0
		.amdhsa_kernarg_size 112
		.amdhsa_user_sgpr_count 2
		.amdhsa_user_sgpr_dispatch_ptr 0
		.amdhsa_user_sgpr_queue_ptr 0
		.amdhsa_user_sgpr_kernarg_segment_ptr 1
		.amdhsa_user_sgpr_dispatch_id 0
		.amdhsa_user_sgpr_kernarg_preload_length 0
		.amdhsa_user_sgpr_kernarg_preload_offset 0
		.amdhsa_user_sgpr_private_segment_size 0
		.amdhsa_uses_dynamic_stack 0
		.amdhsa_enable_private_segment 0
		.amdhsa_system_sgpr_workgroup_id_x 1
		.amdhsa_system_sgpr_workgroup_id_y 0
		.amdhsa_system_sgpr_workgroup_id_z 0
		.amdhsa_system_sgpr_workgroup_info 0
		.amdhsa_system_vgpr_workitem_id 0
		.amdhsa_next_free_vgpr 1
		.amdhsa_next_free_sgpr 0
		.amdhsa_accum_offset 4
		.amdhsa_reserve_vcc 0
		.amdhsa_float_round_mode_32 0
		.amdhsa_float_round_mode_16_64 0
		.amdhsa_float_denorm_mode_32 3
		.amdhsa_float_denorm_mode_16_64 3
		.amdhsa_dx10_clamp 1
		.amdhsa_ieee_mode 1
		.amdhsa_fp16_overflow 0
		.amdhsa_tg_split 0
		.amdhsa_exception_fp_ieee_invalid_op 0
		.amdhsa_exception_fp_denorm_src 0
		.amdhsa_exception_fp_ieee_div_zero 0
		.amdhsa_exception_fp_ieee_overflow 0
		.amdhsa_exception_fp_ieee_underflow 0
		.amdhsa_exception_fp_ieee_inexact 0
		.amdhsa_exception_int_div_zero 0
	.end_amdhsa_kernel
	.section	.text._ZN7rocprim17ROCPRIM_400000_NS6detail17trampoline_kernelINS0_14default_configENS1_27scan_by_key_config_selectorIssEEZZNS1_16scan_by_key_implILNS1_25lookback_scan_determinismE0ELb0ES3_N6thrust23THRUST_200600_302600_NS6detail15normal_iteratorINS9_10device_ptrIsEEEESE_SE_sNS9_4plusIvEENS9_8equal_toIsEEsEE10hipError_tPvRmT2_T3_T4_T5_mT6_T7_P12ihipStream_tbENKUlT_T0_E_clISt17integral_constantIbLb1EESY_IbLb0EEEEDaSU_SV_EUlSU_E_NS1_11comp_targetILNS1_3genE10ELNS1_11target_archE1200ELNS1_3gpuE4ELNS1_3repE0EEENS1_30default_config_static_selectorELNS0_4arch9wavefront6targetE1EEEvT1_,"axG",@progbits,_ZN7rocprim17ROCPRIM_400000_NS6detail17trampoline_kernelINS0_14default_configENS1_27scan_by_key_config_selectorIssEEZZNS1_16scan_by_key_implILNS1_25lookback_scan_determinismE0ELb0ES3_N6thrust23THRUST_200600_302600_NS6detail15normal_iteratorINS9_10device_ptrIsEEEESE_SE_sNS9_4plusIvEENS9_8equal_toIsEEsEE10hipError_tPvRmT2_T3_T4_T5_mT6_T7_P12ihipStream_tbENKUlT_T0_E_clISt17integral_constantIbLb1EESY_IbLb0EEEEDaSU_SV_EUlSU_E_NS1_11comp_targetILNS1_3genE10ELNS1_11target_archE1200ELNS1_3gpuE4ELNS1_3repE0EEENS1_30default_config_static_selectorELNS0_4arch9wavefront6targetE1EEEvT1_,comdat
.Lfunc_end341:
	.size	_ZN7rocprim17ROCPRIM_400000_NS6detail17trampoline_kernelINS0_14default_configENS1_27scan_by_key_config_selectorIssEEZZNS1_16scan_by_key_implILNS1_25lookback_scan_determinismE0ELb0ES3_N6thrust23THRUST_200600_302600_NS6detail15normal_iteratorINS9_10device_ptrIsEEEESE_SE_sNS9_4plusIvEENS9_8equal_toIsEEsEE10hipError_tPvRmT2_T3_T4_T5_mT6_T7_P12ihipStream_tbENKUlT_T0_E_clISt17integral_constantIbLb1EESY_IbLb0EEEEDaSU_SV_EUlSU_E_NS1_11comp_targetILNS1_3genE10ELNS1_11target_archE1200ELNS1_3gpuE4ELNS1_3repE0EEENS1_30default_config_static_selectorELNS0_4arch9wavefront6targetE1EEEvT1_, .Lfunc_end341-_ZN7rocprim17ROCPRIM_400000_NS6detail17trampoline_kernelINS0_14default_configENS1_27scan_by_key_config_selectorIssEEZZNS1_16scan_by_key_implILNS1_25lookback_scan_determinismE0ELb0ES3_N6thrust23THRUST_200600_302600_NS6detail15normal_iteratorINS9_10device_ptrIsEEEESE_SE_sNS9_4plusIvEENS9_8equal_toIsEEsEE10hipError_tPvRmT2_T3_T4_T5_mT6_T7_P12ihipStream_tbENKUlT_T0_E_clISt17integral_constantIbLb1EESY_IbLb0EEEEDaSU_SV_EUlSU_E_NS1_11comp_targetILNS1_3genE10ELNS1_11target_archE1200ELNS1_3gpuE4ELNS1_3repE0EEENS1_30default_config_static_selectorELNS0_4arch9wavefront6targetE1EEEvT1_
                                        ; -- End function
	.section	.AMDGPU.csdata,"",@progbits
; Kernel info:
; codeLenInByte = 0
; NumSgprs: 6
; NumVgprs: 0
; NumAgprs: 0
; TotalNumVgprs: 0
; ScratchSize: 0
; MemoryBound: 0
; FloatMode: 240
; IeeeMode: 1
; LDSByteSize: 0 bytes/workgroup (compile time only)
; SGPRBlocks: 0
; VGPRBlocks: 0
; NumSGPRsForWavesPerEU: 6
; NumVGPRsForWavesPerEU: 1
; AccumOffset: 4
; Occupancy: 8
; WaveLimiterHint : 0
; COMPUTE_PGM_RSRC2:SCRATCH_EN: 0
; COMPUTE_PGM_RSRC2:USER_SGPR: 2
; COMPUTE_PGM_RSRC2:TRAP_HANDLER: 0
; COMPUTE_PGM_RSRC2:TGID_X_EN: 1
; COMPUTE_PGM_RSRC2:TGID_Y_EN: 0
; COMPUTE_PGM_RSRC2:TGID_Z_EN: 0
; COMPUTE_PGM_RSRC2:TIDIG_COMP_CNT: 0
; COMPUTE_PGM_RSRC3_GFX90A:ACCUM_OFFSET: 0
; COMPUTE_PGM_RSRC3_GFX90A:TG_SPLIT: 0
	.section	.text._ZN7rocprim17ROCPRIM_400000_NS6detail17trampoline_kernelINS0_14default_configENS1_27scan_by_key_config_selectorIssEEZZNS1_16scan_by_key_implILNS1_25lookback_scan_determinismE0ELb0ES3_N6thrust23THRUST_200600_302600_NS6detail15normal_iteratorINS9_10device_ptrIsEEEESE_SE_sNS9_4plusIvEENS9_8equal_toIsEEsEE10hipError_tPvRmT2_T3_T4_T5_mT6_T7_P12ihipStream_tbENKUlT_T0_E_clISt17integral_constantIbLb1EESY_IbLb0EEEEDaSU_SV_EUlSU_E_NS1_11comp_targetILNS1_3genE9ELNS1_11target_archE1100ELNS1_3gpuE3ELNS1_3repE0EEENS1_30default_config_static_selectorELNS0_4arch9wavefront6targetE1EEEvT1_,"axG",@progbits,_ZN7rocprim17ROCPRIM_400000_NS6detail17trampoline_kernelINS0_14default_configENS1_27scan_by_key_config_selectorIssEEZZNS1_16scan_by_key_implILNS1_25lookback_scan_determinismE0ELb0ES3_N6thrust23THRUST_200600_302600_NS6detail15normal_iteratorINS9_10device_ptrIsEEEESE_SE_sNS9_4plusIvEENS9_8equal_toIsEEsEE10hipError_tPvRmT2_T3_T4_T5_mT6_T7_P12ihipStream_tbENKUlT_T0_E_clISt17integral_constantIbLb1EESY_IbLb0EEEEDaSU_SV_EUlSU_E_NS1_11comp_targetILNS1_3genE9ELNS1_11target_archE1100ELNS1_3gpuE3ELNS1_3repE0EEENS1_30default_config_static_selectorELNS0_4arch9wavefront6targetE1EEEvT1_,comdat
	.protected	_ZN7rocprim17ROCPRIM_400000_NS6detail17trampoline_kernelINS0_14default_configENS1_27scan_by_key_config_selectorIssEEZZNS1_16scan_by_key_implILNS1_25lookback_scan_determinismE0ELb0ES3_N6thrust23THRUST_200600_302600_NS6detail15normal_iteratorINS9_10device_ptrIsEEEESE_SE_sNS9_4plusIvEENS9_8equal_toIsEEsEE10hipError_tPvRmT2_T3_T4_T5_mT6_T7_P12ihipStream_tbENKUlT_T0_E_clISt17integral_constantIbLb1EESY_IbLb0EEEEDaSU_SV_EUlSU_E_NS1_11comp_targetILNS1_3genE9ELNS1_11target_archE1100ELNS1_3gpuE3ELNS1_3repE0EEENS1_30default_config_static_selectorELNS0_4arch9wavefront6targetE1EEEvT1_ ; -- Begin function _ZN7rocprim17ROCPRIM_400000_NS6detail17trampoline_kernelINS0_14default_configENS1_27scan_by_key_config_selectorIssEEZZNS1_16scan_by_key_implILNS1_25lookback_scan_determinismE0ELb0ES3_N6thrust23THRUST_200600_302600_NS6detail15normal_iteratorINS9_10device_ptrIsEEEESE_SE_sNS9_4plusIvEENS9_8equal_toIsEEsEE10hipError_tPvRmT2_T3_T4_T5_mT6_T7_P12ihipStream_tbENKUlT_T0_E_clISt17integral_constantIbLb1EESY_IbLb0EEEEDaSU_SV_EUlSU_E_NS1_11comp_targetILNS1_3genE9ELNS1_11target_archE1100ELNS1_3gpuE3ELNS1_3repE0EEENS1_30default_config_static_selectorELNS0_4arch9wavefront6targetE1EEEvT1_
	.globl	_ZN7rocprim17ROCPRIM_400000_NS6detail17trampoline_kernelINS0_14default_configENS1_27scan_by_key_config_selectorIssEEZZNS1_16scan_by_key_implILNS1_25lookback_scan_determinismE0ELb0ES3_N6thrust23THRUST_200600_302600_NS6detail15normal_iteratorINS9_10device_ptrIsEEEESE_SE_sNS9_4plusIvEENS9_8equal_toIsEEsEE10hipError_tPvRmT2_T3_T4_T5_mT6_T7_P12ihipStream_tbENKUlT_T0_E_clISt17integral_constantIbLb1EESY_IbLb0EEEEDaSU_SV_EUlSU_E_NS1_11comp_targetILNS1_3genE9ELNS1_11target_archE1100ELNS1_3gpuE3ELNS1_3repE0EEENS1_30default_config_static_selectorELNS0_4arch9wavefront6targetE1EEEvT1_
	.p2align	8
	.type	_ZN7rocprim17ROCPRIM_400000_NS6detail17trampoline_kernelINS0_14default_configENS1_27scan_by_key_config_selectorIssEEZZNS1_16scan_by_key_implILNS1_25lookback_scan_determinismE0ELb0ES3_N6thrust23THRUST_200600_302600_NS6detail15normal_iteratorINS9_10device_ptrIsEEEESE_SE_sNS9_4plusIvEENS9_8equal_toIsEEsEE10hipError_tPvRmT2_T3_T4_T5_mT6_T7_P12ihipStream_tbENKUlT_T0_E_clISt17integral_constantIbLb1EESY_IbLb0EEEEDaSU_SV_EUlSU_E_NS1_11comp_targetILNS1_3genE9ELNS1_11target_archE1100ELNS1_3gpuE3ELNS1_3repE0EEENS1_30default_config_static_selectorELNS0_4arch9wavefront6targetE1EEEvT1_,@function
_ZN7rocprim17ROCPRIM_400000_NS6detail17trampoline_kernelINS0_14default_configENS1_27scan_by_key_config_selectorIssEEZZNS1_16scan_by_key_implILNS1_25lookback_scan_determinismE0ELb0ES3_N6thrust23THRUST_200600_302600_NS6detail15normal_iteratorINS9_10device_ptrIsEEEESE_SE_sNS9_4plusIvEENS9_8equal_toIsEEsEE10hipError_tPvRmT2_T3_T4_T5_mT6_T7_P12ihipStream_tbENKUlT_T0_E_clISt17integral_constantIbLb1EESY_IbLb0EEEEDaSU_SV_EUlSU_E_NS1_11comp_targetILNS1_3genE9ELNS1_11target_archE1100ELNS1_3gpuE3ELNS1_3repE0EEENS1_30default_config_static_selectorELNS0_4arch9wavefront6targetE1EEEvT1_: ; @_ZN7rocprim17ROCPRIM_400000_NS6detail17trampoline_kernelINS0_14default_configENS1_27scan_by_key_config_selectorIssEEZZNS1_16scan_by_key_implILNS1_25lookback_scan_determinismE0ELb0ES3_N6thrust23THRUST_200600_302600_NS6detail15normal_iteratorINS9_10device_ptrIsEEEESE_SE_sNS9_4plusIvEENS9_8equal_toIsEEsEE10hipError_tPvRmT2_T3_T4_T5_mT6_T7_P12ihipStream_tbENKUlT_T0_E_clISt17integral_constantIbLb1EESY_IbLb0EEEEDaSU_SV_EUlSU_E_NS1_11comp_targetILNS1_3genE9ELNS1_11target_archE1100ELNS1_3gpuE3ELNS1_3repE0EEENS1_30default_config_static_selectorELNS0_4arch9wavefront6targetE1EEEvT1_
; %bb.0:
	.section	.rodata,"a",@progbits
	.p2align	6, 0x0
	.amdhsa_kernel _ZN7rocprim17ROCPRIM_400000_NS6detail17trampoline_kernelINS0_14default_configENS1_27scan_by_key_config_selectorIssEEZZNS1_16scan_by_key_implILNS1_25lookback_scan_determinismE0ELb0ES3_N6thrust23THRUST_200600_302600_NS6detail15normal_iteratorINS9_10device_ptrIsEEEESE_SE_sNS9_4plusIvEENS9_8equal_toIsEEsEE10hipError_tPvRmT2_T3_T4_T5_mT6_T7_P12ihipStream_tbENKUlT_T0_E_clISt17integral_constantIbLb1EESY_IbLb0EEEEDaSU_SV_EUlSU_E_NS1_11comp_targetILNS1_3genE9ELNS1_11target_archE1100ELNS1_3gpuE3ELNS1_3repE0EEENS1_30default_config_static_selectorELNS0_4arch9wavefront6targetE1EEEvT1_
		.amdhsa_group_segment_fixed_size 0
		.amdhsa_private_segment_fixed_size 0
		.amdhsa_kernarg_size 112
		.amdhsa_user_sgpr_count 2
		.amdhsa_user_sgpr_dispatch_ptr 0
		.amdhsa_user_sgpr_queue_ptr 0
		.amdhsa_user_sgpr_kernarg_segment_ptr 1
		.amdhsa_user_sgpr_dispatch_id 0
		.amdhsa_user_sgpr_kernarg_preload_length 0
		.amdhsa_user_sgpr_kernarg_preload_offset 0
		.amdhsa_user_sgpr_private_segment_size 0
		.amdhsa_uses_dynamic_stack 0
		.amdhsa_enable_private_segment 0
		.amdhsa_system_sgpr_workgroup_id_x 1
		.amdhsa_system_sgpr_workgroup_id_y 0
		.amdhsa_system_sgpr_workgroup_id_z 0
		.amdhsa_system_sgpr_workgroup_info 0
		.amdhsa_system_vgpr_workitem_id 0
		.amdhsa_next_free_vgpr 1
		.amdhsa_next_free_sgpr 0
		.amdhsa_accum_offset 4
		.amdhsa_reserve_vcc 0
		.amdhsa_float_round_mode_32 0
		.amdhsa_float_round_mode_16_64 0
		.amdhsa_float_denorm_mode_32 3
		.amdhsa_float_denorm_mode_16_64 3
		.amdhsa_dx10_clamp 1
		.amdhsa_ieee_mode 1
		.amdhsa_fp16_overflow 0
		.amdhsa_tg_split 0
		.amdhsa_exception_fp_ieee_invalid_op 0
		.amdhsa_exception_fp_denorm_src 0
		.amdhsa_exception_fp_ieee_div_zero 0
		.amdhsa_exception_fp_ieee_overflow 0
		.amdhsa_exception_fp_ieee_underflow 0
		.amdhsa_exception_fp_ieee_inexact 0
		.amdhsa_exception_int_div_zero 0
	.end_amdhsa_kernel
	.section	.text._ZN7rocprim17ROCPRIM_400000_NS6detail17trampoline_kernelINS0_14default_configENS1_27scan_by_key_config_selectorIssEEZZNS1_16scan_by_key_implILNS1_25lookback_scan_determinismE0ELb0ES3_N6thrust23THRUST_200600_302600_NS6detail15normal_iteratorINS9_10device_ptrIsEEEESE_SE_sNS9_4plusIvEENS9_8equal_toIsEEsEE10hipError_tPvRmT2_T3_T4_T5_mT6_T7_P12ihipStream_tbENKUlT_T0_E_clISt17integral_constantIbLb1EESY_IbLb0EEEEDaSU_SV_EUlSU_E_NS1_11comp_targetILNS1_3genE9ELNS1_11target_archE1100ELNS1_3gpuE3ELNS1_3repE0EEENS1_30default_config_static_selectorELNS0_4arch9wavefront6targetE1EEEvT1_,"axG",@progbits,_ZN7rocprim17ROCPRIM_400000_NS6detail17trampoline_kernelINS0_14default_configENS1_27scan_by_key_config_selectorIssEEZZNS1_16scan_by_key_implILNS1_25lookback_scan_determinismE0ELb0ES3_N6thrust23THRUST_200600_302600_NS6detail15normal_iteratorINS9_10device_ptrIsEEEESE_SE_sNS9_4plusIvEENS9_8equal_toIsEEsEE10hipError_tPvRmT2_T3_T4_T5_mT6_T7_P12ihipStream_tbENKUlT_T0_E_clISt17integral_constantIbLb1EESY_IbLb0EEEEDaSU_SV_EUlSU_E_NS1_11comp_targetILNS1_3genE9ELNS1_11target_archE1100ELNS1_3gpuE3ELNS1_3repE0EEENS1_30default_config_static_selectorELNS0_4arch9wavefront6targetE1EEEvT1_,comdat
.Lfunc_end342:
	.size	_ZN7rocprim17ROCPRIM_400000_NS6detail17trampoline_kernelINS0_14default_configENS1_27scan_by_key_config_selectorIssEEZZNS1_16scan_by_key_implILNS1_25lookback_scan_determinismE0ELb0ES3_N6thrust23THRUST_200600_302600_NS6detail15normal_iteratorINS9_10device_ptrIsEEEESE_SE_sNS9_4plusIvEENS9_8equal_toIsEEsEE10hipError_tPvRmT2_T3_T4_T5_mT6_T7_P12ihipStream_tbENKUlT_T0_E_clISt17integral_constantIbLb1EESY_IbLb0EEEEDaSU_SV_EUlSU_E_NS1_11comp_targetILNS1_3genE9ELNS1_11target_archE1100ELNS1_3gpuE3ELNS1_3repE0EEENS1_30default_config_static_selectorELNS0_4arch9wavefront6targetE1EEEvT1_, .Lfunc_end342-_ZN7rocprim17ROCPRIM_400000_NS6detail17trampoline_kernelINS0_14default_configENS1_27scan_by_key_config_selectorIssEEZZNS1_16scan_by_key_implILNS1_25lookback_scan_determinismE0ELb0ES3_N6thrust23THRUST_200600_302600_NS6detail15normal_iteratorINS9_10device_ptrIsEEEESE_SE_sNS9_4plusIvEENS9_8equal_toIsEEsEE10hipError_tPvRmT2_T3_T4_T5_mT6_T7_P12ihipStream_tbENKUlT_T0_E_clISt17integral_constantIbLb1EESY_IbLb0EEEEDaSU_SV_EUlSU_E_NS1_11comp_targetILNS1_3genE9ELNS1_11target_archE1100ELNS1_3gpuE3ELNS1_3repE0EEENS1_30default_config_static_selectorELNS0_4arch9wavefront6targetE1EEEvT1_
                                        ; -- End function
	.section	.AMDGPU.csdata,"",@progbits
; Kernel info:
; codeLenInByte = 0
; NumSgprs: 6
; NumVgprs: 0
; NumAgprs: 0
; TotalNumVgprs: 0
; ScratchSize: 0
; MemoryBound: 0
; FloatMode: 240
; IeeeMode: 1
; LDSByteSize: 0 bytes/workgroup (compile time only)
; SGPRBlocks: 0
; VGPRBlocks: 0
; NumSGPRsForWavesPerEU: 6
; NumVGPRsForWavesPerEU: 1
; AccumOffset: 4
; Occupancy: 8
; WaveLimiterHint : 0
; COMPUTE_PGM_RSRC2:SCRATCH_EN: 0
; COMPUTE_PGM_RSRC2:USER_SGPR: 2
; COMPUTE_PGM_RSRC2:TRAP_HANDLER: 0
; COMPUTE_PGM_RSRC2:TGID_X_EN: 1
; COMPUTE_PGM_RSRC2:TGID_Y_EN: 0
; COMPUTE_PGM_RSRC2:TGID_Z_EN: 0
; COMPUTE_PGM_RSRC2:TIDIG_COMP_CNT: 0
; COMPUTE_PGM_RSRC3_GFX90A:ACCUM_OFFSET: 0
; COMPUTE_PGM_RSRC3_GFX90A:TG_SPLIT: 0
	.section	.text._ZN7rocprim17ROCPRIM_400000_NS6detail17trampoline_kernelINS0_14default_configENS1_27scan_by_key_config_selectorIssEEZZNS1_16scan_by_key_implILNS1_25lookback_scan_determinismE0ELb0ES3_N6thrust23THRUST_200600_302600_NS6detail15normal_iteratorINS9_10device_ptrIsEEEESE_SE_sNS9_4plusIvEENS9_8equal_toIsEEsEE10hipError_tPvRmT2_T3_T4_T5_mT6_T7_P12ihipStream_tbENKUlT_T0_E_clISt17integral_constantIbLb1EESY_IbLb0EEEEDaSU_SV_EUlSU_E_NS1_11comp_targetILNS1_3genE8ELNS1_11target_archE1030ELNS1_3gpuE2ELNS1_3repE0EEENS1_30default_config_static_selectorELNS0_4arch9wavefront6targetE1EEEvT1_,"axG",@progbits,_ZN7rocprim17ROCPRIM_400000_NS6detail17trampoline_kernelINS0_14default_configENS1_27scan_by_key_config_selectorIssEEZZNS1_16scan_by_key_implILNS1_25lookback_scan_determinismE0ELb0ES3_N6thrust23THRUST_200600_302600_NS6detail15normal_iteratorINS9_10device_ptrIsEEEESE_SE_sNS9_4plusIvEENS9_8equal_toIsEEsEE10hipError_tPvRmT2_T3_T4_T5_mT6_T7_P12ihipStream_tbENKUlT_T0_E_clISt17integral_constantIbLb1EESY_IbLb0EEEEDaSU_SV_EUlSU_E_NS1_11comp_targetILNS1_3genE8ELNS1_11target_archE1030ELNS1_3gpuE2ELNS1_3repE0EEENS1_30default_config_static_selectorELNS0_4arch9wavefront6targetE1EEEvT1_,comdat
	.protected	_ZN7rocprim17ROCPRIM_400000_NS6detail17trampoline_kernelINS0_14default_configENS1_27scan_by_key_config_selectorIssEEZZNS1_16scan_by_key_implILNS1_25lookback_scan_determinismE0ELb0ES3_N6thrust23THRUST_200600_302600_NS6detail15normal_iteratorINS9_10device_ptrIsEEEESE_SE_sNS9_4plusIvEENS9_8equal_toIsEEsEE10hipError_tPvRmT2_T3_T4_T5_mT6_T7_P12ihipStream_tbENKUlT_T0_E_clISt17integral_constantIbLb1EESY_IbLb0EEEEDaSU_SV_EUlSU_E_NS1_11comp_targetILNS1_3genE8ELNS1_11target_archE1030ELNS1_3gpuE2ELNS1_3repE0EEENS1_30default_config_static_selectorELNS0_4arch9wavefront6targetE1EEEvT1_ ; -- Begin function _ZN7rocprim17ROCPRIM_400000_NS6detail17trampoline_kernelINS0_14default_configENS1_27scan_by_key_config_selectorIssEEZZNS1_16scan_by_key_implILNS1_25lookback_scan_determinismE0ELb0ES3_N6thrust23THRUST_200600_302600_NS6detail15normal_iteratorINS9_10device_ptrIsEEEESE_SE_sNS9_4plusIvEENS9_8equal_toIsEEsEE10hipError_tPvRmT2_T3_T4_T5_mT6_T7_P12ihipStream_tbENKUlT_T0_E_clISt17integral_constantIbLb1EESY_IbLb0EEEEDaSU_SV_EUlSU_E_NS1_11comp_targetILNS1_3genE8ELNS1_11target_archE1030ELNS1_3gpuE2ELNS1_3repE0EEENS1_30default_config_static_selectorELNS0_4arch9wavefront6targetE1EEEvT1_
	.globl	_ZN7rocprim17ROCPRIM_400000_NS6detail17trampoline_kernelINS0_14default_configENS1_27scan_by_key_config_selectorIssEEZZNS1_16scan_by_key_implILNS1_25lookback_scan_determinismE0ELb0ES3_N6thrust23THRUST_200600_302600_NS6detail15normal_iteratorINS9_10device_ptrIsEEEESE_SE_sNS9_4plusIvEENS9_8equal_toIsEEsEE10hipError_tPvRmT2_T3_T4_T5_mT6_T7_P12ihipStream_tbENKUlT_T0_E_clISt17integral_constantIbLb1EESY_IbLb0EEEEDaSU_SV_EUlSU_E_NS1_11comp_targetILNS1_3genE8ELNS1_11target_archE1030ELNS1_3gpuE2ELNS1_3repE0EEENS1_30default_config_static_selectorELNS0_4arch9wavefront6targetE1EEEvT1_
	.p2align	8
	.type	_ZN7rocprim17ROCPRIM_400000_NS6detail17trampoline_kernelINS0_14default_configENS1_27scan_by_key_config_selectorIssEEZZNS1_16scan_by_key_implILNS1_25lookback_scan_determinismE0ELb0ES3_N6thrust23THRUST_200600_302600_NS6detail15normal_iteratorINS9_10device_ptrIsEEEESE_SE_sNS9_4plusIvEENS9_8equal_toIsEEsEE10hipError_tPvRmT2_T3_T4_T5_mT6_T7_P12ihipStream_tbENKUlT_T0_E_clISt17integral_constantIbLb1EESY_IbLb0EEEEDaSU_SV_EUlSU_E_NS1_11comp_targetILNS1_3genE8ELNS1_11target_archE1030ELNS1_3gpuE2ELNS1_3repE0EEENS1_30default_config_static_selectorELNS0_4arch9wavefront6targetE1EEEvT1_,@function
_ZN7rocprim17ROCPRIM_400000_NS6detail17trampoline_kernelINS0_14default_configENS1_27scan_by_key_config_selectorIssEEZZNS1_16scan_by_key_implILNS1_25lookback_scan_determinismE0ELb0ES3_N6thrust23THRUST_200600_302600_NS6detail15normal_iteratorINS9_10device_ptrIsEEEESE_SE_sNS9_4plusIvEENS9_8equal_toIsEEsEE10hipError_tPvRmT2_T3_T4_T5_mT6_T7_P12ihipStream_tbENKUlT_T0_E_clISt17integral_constantIbLb1EESY_IbLb0EEEEDaSU_SV_EUlSU_E_NS1_11comp_targetILNS1_3genE8ELNS1_11target_archE1030ELNS1_3gpuE2ELNS1_3repE0EEENS1_30default_config_static_selectorELNS0_4arch9wavefront6targetE1EEEvT1_: ; @_ZN7rocprim17ROCPRIM_400000_NS6detail17trampoline_kernelINS0_14default_configENS1_27scan_by_key_config_selectorIssEEZZNS1_16scan_by_key_implILNS1_25lookback_scan_determinismE0ELb0ES3_N6thrust23THRUST_200600_302600_NS6detail15normal_iteratorINS9_10device_ptrIsEEEESE_SE_sNS9_4plusIvEENS9_8equal_toIsEEsEE10hipError_tPvRmT2_T3_T4_T5_mT6_T7_P12ihipStream_tbENKUlT_T0_E_clISt17integral_constantIbLb1EESY_IbLb0EEEEDaSU_SV_EUlSU_E_NS1_11comp_targetILNS1_3genE8ELNS1_11target_archE1030ELNS1_3gpuE2ELNS1_3repE0EEENS1_30default_config_static_selectorELNS0_4arch9wavefront6targetE1EEEvT1_
; %bb.0:
	.section	.rodata,"a",@progbits
	.p2align	6, 0x0
	.amdhsa_kernel _ZN7rocprim17ROCPRIM_400000_NS6detail17trampoline_kernelINS0_14default_configENS1_27scan_by_key_config_selectorIssEEZZNS1_16scan_by_key_implILNS1_25lookback_scan_determinismE0ELb0ES3_N6thrust23THRUST_200600_302600_NS6detail15normal_iteratorINS9_10device_ptrIsEEEESE_SE_sNS9_4plusIvEENS9_8equal_toIsEEsEE10hipError_tPvRmT2_T3_T4_T5_mT6_T7_P12ihipStream_tbENKUlT_T0_E_clISt17integral_constantIbLb1EESY_IbLb0EEEEDaSU_SV_EUlSU_E_NS1_11comp_targetILNS1_3genE8ELNS1_11target_archE1030ELNS1_3gpuE2ELNS1_3repE0EEENS1_30default_config_static_selectorELNS0_4arch9wavefront6targetE1EEEvT1_
		.amdhsa_group_segment_fixed_size 0
		.amdhsa_private_segment_fixed_size 0
		.amdhsa_kernarg_size 112
		.amdhsa_user_sgpr_count 2
		.amdhsa_user_sgpr_dispatch_ptr 0
		.amdhsa_user_sgpr_queue_ptr 0
		.amdhsa_user_sgpr_kernarg_segment_ptr 1
		.amdhsa_user_sgpr_dispatch_id 0
		.amdhsa_user_sgpr_kernarg_preload_length 0
		.amdhsa_user_sgpr_kernarg_preload_offset 0
		.amdhsa_user_sgpr_private_segment_size 0
		.amdhsa_uses_dynamic_stack 0
		.amdhsa_enable_private_segment 0
		.amdhsa_system_sgpr_workgroup_id_x 1
		.amdhsa_system_sgpr_workgroup_id_y 0
		.amdhsa_system_sgpr_workgroup_id_z 0
		.amdhsa_system_sgpr_workgroup_info 0
		.amdhsa_system_vgpr_workitem_id 0
		.amdhsa_next_free_vgpr 1
		.amdhsa_next_free_sgpr 0
		.amdhsa_accum_offset 4
		.amdhsa_reserve_vcc 0
		.amdhsa_float_round_mode_32 0
		.amdhsa_float_round_mode_16_64 0
		.amdhsa_float_denorm_mode_32 3
		.amdhsa_float_denorm_mode_16_64 3
		.amdhsa_dx10_clamp 1
		.amdhsa_ieee_mode 1
		.amdhsa_fp16_overflow 0
		.amdhsa_tg_split 0
		.amdhsa_exception_fp_ieee_invalid_op 0
		.amdhsa_exception_fp_denorm_src 0
		.amdhsa_exception_fp_ieee_div_zero 0
		.amdhsa_exception_fp_ieee_overflow 0
		.amdhsa_exception_fp_ieee_underflow 0
		.amdhsa_exception_fp_ieee_inexact 0
		.amdhsa_exception_int_div_zero 0
	.end_amdhsa_kernel
	.section	.text._ZN7rocprim17ROCPRIM_400000_NS6detail17trampoline_kernelINS0_14default_configENS1_27scan_by_key_config_selectorIssEEZZNS1_16scan_by_key_implILNS1_25lookback_scan_determinismE0ELb0ES3_N6thrust23THRUST_200600_302600_NS6detail15normal_iteratorINS9_10device_ptrIsEEEESE_SE_sNS9_4plusIvEENS9_8equal_toIsEEsEE10hipError_tPvRmT2_T3_T4_T5_mT6_T7_P12ihipStream_tbENKUlT_T0_E_clISt17integral_constantIbLb1EESY_IbLb0EEEEDaSU_SV_EUlSU_E_NS1_11comp_targetILNS1_3genE8ELNS1_11target_archE1030ELNS1_3gpuE2ELNS1_3repE0EEENS1_30default_config_static_selectorELNS0_4arch9wavefront6targetE1EEEvT1_,"axG",@progbits,_ZN7rocprim17ROCPRIM_400000_NS6detail17trampoline_kernelINS0_14default_configENS1_27scan_by_key_config_selectorIssEEZZNS1_16scan_by_key_implILNS1_25lookback_scan_determinismE0ELb0ES3_N6thrust23THRUST_200600_302600_NS6detail15normal_iteratorINS9_10device_ptrIsEEEESE_SE_sNS9_4plusIvEENS9_8equal_toIsEEsEE10hipError_tPvRmT2_T3_T4_T5_mT6_T7_P12ihipStream_tbENKUlT_T0_E_clISt17integral_constantIbLb1EESY_IbLb0EEEEDaSU_SV_EUlSU_E_NS1_11comp_targetILNS1_3genE8ELNS1_11target_archE1030ELNS1_3gpuE2ELNS1_3repE0EEENS1_30default_config_static_selectorELNS0_4arch9wavefront6targetE1EEEvT1_,comdat
.Lfunc_end343:
	.size	_ZN7rocprim17ROCPRIM_400000_NS6detail17trampoline_kernelINS0_14default_configENS1_27scan_by_key_config_selectorIssEEZZNS1_16scan_by_key_implILNS1_25lookback_scan_determinismE0ELb0ES3_N6thrust23THRUST_200600_302600_NS6detail15normal_iteratorINS9_10device_ptrIsEEEESE_SE_sNS9_4plusIvEENS9_8equal_toIsEEsEE10hipError_tPvRmT2_T3_T4_T5_mT6_T7_P12ihipStream_tbENKUlT_T0_E_clISt17integral_constantIbLb1EESY_IbLb0EEEEDaSU_SV_EUlSU_E_NS1_11comp_targetILNS1_3genE8ELNS1_11target_archE1030ELNS1_3gpuE2ELNS1_3repE0EEENS1_30default_config_static_selectorELNS0_4arch9wavefront6targetE1EEEvT1_, .Lfunc_end343-_ZN7rocprim17ROCPRIM_400000_NS6detail17trampoline_kernelINS0_14default_configENS1_27scan_by_key_config_selectorIssEEZZNS1_16scan_by_key_implILNS1_25lookback_scan_determinismE0ELb0ES3_N6thrust23THRUST_200600_302600_NS6detail15normal_iteratorINS9_10device_ptrIsEEEESE_SE_sNS9_4plusIvEENS9_8equal_toIsEEsEE10hipError_tPvRmT2_T3_T4_T5_mT6_T7_P12ihipStream_tbENKUlT_T0_E_clISt17integral_constantIbLb1EESY_IbLb0EEEEDaSU_SV_EUlSU_E_NS1_11comp_targetILNS1_3genE8ELNS1_11target_archE1030ELNS1_3gpuE2ELNS1_3repE0EEENS1_30default_config_static_selectorELNS0_4arch9wavefront6targetE1EEEvT1_
                                        ; -- End function
	.section	.AMDGPU.csdata,"",@progbits
; Kernel info:
; codeLenInByte = 0
; NumSgprs: 6
; NumVgprs: 0
; NumAgprs: 0
; TotalNumVgprs: 0
; ScratchSize: 0
; MemoryBound: 0
; FloatMode: 240
; IeeeMode: 1
; LDSByteSize: 0 bytes/workgroup (compile time only)
; SGPRBlocks: 0
; VGPRBlocks: 0
; NumSGPRsForWavesPerEU: 6
; NumVGPRsForWavesPerEU: 1
; AccumOffset: 4
; Occupancy: 8
; WaveLimiterHint : 0
; COMPUTE_PGM_RSRC2:SCRATCH_EN: 0
; COMPUTE_PGM_RSRC2:USER_SGPR: 2
; COMPUTE_PGM_RSRC2:TRAP_HANDLER: 0
; COMPUTE_PGM_RSRC2:TGID_X_EN: 1
; COMPUTE_PGM_RSRC2:TGID_Y_EN: 0
; COMPUTE_PGM_RSRC2:TGID_Z_EN: 0
; COMPUTE_PGM_RSRC2:TIDIG_COMP_CNT: 0
; COMPUTE_PGM_RSRC3_GFX90A:ACCUM_OFFSET: 0
; COMPUTE_PGM_RSRC3_GFX90A:TG_SPLIT: 0
	.section	.text._ZN7rocprim17ROCPRIM_400000_NS6detail17trampoline_kernelINS0_14default_configENS1_27scan_by_key_config_selectorIssEEZZNS1_16scan_by_key_implILNS1_25lookback_scan_determinismE0ELb0ES3_N6thrust23THRUST_200600_302600_NS6detail15normal_iteratorINS9_10device_ptrIsEEEESE_SE_sNS9_4plusIvEENS9_8equal_toIsEEsEE10hipError_tPvRmT2_T3_T4_T5_mT6_T7_P12ihipStream_tbENKUlT_T0_E_clISt17integral_constantIbLb0EESY_IbLb1EEEEDaSU_SV_EUlSU_E_NS1_11comp_targetILNS1_3genE0ELNS1_11target_archE4294967295ELNS1_3gpuE0ELNS1_3repE0EEENS1_30default_config_static_selectorELNS0_4arch9wavefront6targetE1EEEvT1_,"axG",@progbits,_ZN7rocprim17ROCPRIM_400000_NS6detail17trampoline_kernelINS0_14default_configENS1_27scan_by_key_config_selectorIssEEZZNS1_16scan_by_key_implILNS1_25lookback_scan_determinismE0ELb0ES3_N6thrust23THRUST_200600_302600_NS6detail15normal_iteratorINS9_10device_ptrIsEEEESE_SE_sNS9_4plusIvEENS9_8equal_toIsEEsEE10hipError_tPvRmT2_T3_T4_T5_mT6_T7_P12ihipStream_tbENKUlT_T0_E_clISt17integral_constantIbLb0EESY_IbLb1EEEEDaSU_SV_EUlSU_E_NS1_11comp_targetILNS1_3genE0ELNS1_11target_archE4294967295ELNS1_3gpuE0ELNS1_3repE0EEENS1_30default_config_static_selectorELNS0_4arch9wavefront6targetE1EEEvT1_,comdat
	.protected	_ZN7rocprim17ROCPRIM_400000_NS6detail17trampoline_kernelINS0_14default_configENS1_27scan_by_key_config_selectorIssEEZZNS1_16scan_by_key_implILNS1_25lookback_scan_determinismE0ELb0ES3_N6thrust23THRUST_200600_302600_NS6detail15normal_iteratorINS9_10device_ptrIsEEEESE_SE_sNS9_4plusIvEENS9_8equal_toIsEEsEE10hipError_tPvRmT2_T3_T4_T5_mT6_T7_P12ihipStream_tbENKUlT_T0_E_clISt17integral_constantIbLb0EESY_IbLb1EEEEDaSU_SV_EUlSU_E_NS1_11comp_targetILNS1_3genE0ELNS1_11target_archE4294967295ELNS1_3gpuE0ELNS1_3repE0EEENS1_30default_config_static_selectorELNS0_4arch9wavefront6targetE1EEEvT1_ ; -- Begin function _ZN7rocprim17ROCPRIM_400000_NS6detail17trampoline_kernelINS0_14default_configENS1_27scan_by_key_config_selectorIssEEZZNS1_16scan_by_key_implILNS1_25lookback_scan_determinismE0ELb0ES3_N6thrust23THRUST_200600_302600_NS6detail15normal_iteratorINS9_10device_ptrIsEEEESE_SE_sNS9_4plusIvEENS9_8equal_toIsEEsEE10hipError_tPvRmT2_T3_T4_T5_mT6_T7_P12ihipStream_tbENKUlT_T0_E_clISt17integral_constantIbLb0EESY_IbLb1EEEEDaSU_SV_EUlSU_E_NS1_11comp_targetILNS1_3genE0ELNS1_11target_archE4294967295ELNS1_3gpuE0ELNS1_3repE0EEENS1_30default_config_static_selectorELNS0_4arch9wavefront6targetE1EEEvT1_
	.globl	_ZN7rocprim17ROCPRIM_400000_NS6detail17trampoline_kernelINS0_14default_configENS1_27scan_by_key_config_selectorIssEEZZNS1_16scan_by_key_implILNS1_25lookback_scan_determinismE0ELb0ES3_N6thrust23THRUST_200600_302600_NS6detail15normal_iteratorINS9_10device_ptrIsEEEESE_SE_sNS9_4plusIvEENS9_8equal_toIsEEsEE10hipError_tPvRmT2_T3_T4_T5_mT6_T7_P12ihipStream_tbENKUlT_T0_E_clISt17integral_constantIbLb0EESY_IbLb1EEEEDaSU_SV_EUlSU_E_NS1_11comp_targetILNS1_3genE0ELNS1_11target_archE4294967295ELNS1_3gpuE0ELNS1_3repE0EEENS1_30default_config_static_selectorELNS0_4arch9wavefront6targetE1EEEvT1_
	.p2align	8
	.type	_ZN7rocprim17ROCPRIM_400000_NS6detail17trampoline_kernelINS0_14default_configENS1_27scan_by_key_config_selectorIssEEZZNS1_16scan_by_key_implILNS1_25lookback_scan_determinismE0ELb0ES3_N6thrust23THRUST_200600_302600_NS6detail15normal_iteratorINS9_10device_ptrIsEEEESE_SE_sNS9_4plusIvEENS9_8equal_toIsEEsEE10hipError_tPvRmT2_T3_T4_T5_mT6_T7_P12ihipStream_tbENKUlT_T0_E_clISt17integral_constantIbLb0EESY_IbLb1EEEEDaSU_SV_EUlSU_E_NS1_11comp_targetILNS1_3genE0ELNS1_11target_archE4294967295ELNS1_3gpuE0ELNS1_3repE0EEENS1_30default_config_static_selectorELNS0_4arch9wavefront6targetE1EEEvT1_,@function
_ZN7rocprim17ROCPRIM_400000_NS6detail17trampoline_kernelINS0_14default_configENS1_27scan_by_key_config_selectorIssEEZZNS1_16scan_by_key_implILNS1_25lookback_scan_determinismE0ELb0ES3_N6thrust23THRUST_200600_302600_NS6detail15normal_iteratorINS9_10device_ptrIsEEEESE_SE_sNS9_4plusIvEENS9_8equal_toIsEEsEE10hipError_tPvRmT2_T3_T4_T5_mT6_T7_P12ihipStream_tbENKUlT_T0_E_clISt17integral_constantIbLb0EESY_IbLb1EEEEDaSU_SV_EUlSU_E_NS1_11comp_targetILNS1_3genE0ELNS1_11target_archE4294967295ELNS1_3gpuE0ELNS1_3repE0EEENS1_30default_config_static_selectorELNS0_4arch9wavefront6targetE1EEEvT1_: ; @_ZN7rocprim17ROCPRIM_400000_NS6detail17trampoline_kernelINS0_14default_configENS1_27scan_by_key_config_selectorIssEEZZNS1_16scan_by_key_implILNS1_25lookback_scan_determinismE0ELb0ES3_N6thrust23THRUST_200600_302600_NS6detail15normal_iteratorINS9_10device_ptrIsEEEESE_SE_sNS9_4plusIvEENS9_8equal_toIsEEsEE10hipError_tPvRmT2_T3_T4_T5_mT6_T7_P12ihipStream_tbENKUlT_T0_E_clISt17integral_constantIbLb0EESY_IbLb1EEEEDaSU_SV_EUlSU_E_NS1_11comp_targetILNS1_3genE0ELNS1_11target_archE4294967295ELNS1_3gpuE0ELNS1_3repE0EEENS1_30default_config_static_selectorELNS0_4arch9wavefront6targetE1EEEvT1_
; %bb.0:
	.section	.rodata,"a",@progbits
	.p2align	6, 0x0
	.amdhsa_kernel _ZN7rocprim17ROCPRIM_400000_NS6detail17trampoline_kernelINS0_14default_configENS1_27scan_by_key_config_selectorIssEEZZNS1_16scan_by_key_implILNS1_25lookback_scan_determinismE0ELb0ES3_N6thrust23THRUST_200600_302600_NS6detail15normal_iteratorINS9_10device_ptrIsEEEESE_SE_sNS9_4plusIvEENS9_8equal_toIsEEsEE10hipError_tPvRmT2_T3_T4_T5_mT6_T7_P12ihipStream_tbENKUlT_T0_E_clISt17integral_constantIbLb0EESY_IbLb1EEEEDaSU_SV_EUlSU_E_NS1_11comp_targetILNS1_3genE0ELNS1_11target_archE4294967295ELNS1_3gpuE0ELNS1_3repE0EEENS1_30default_config_static_selectorELNS0_4arch9wavefront6targetE1EEEvT1_
		.amdhsa_group_segment_fixed_size 0
		.amdhsa_private_segment_fixed_size 0
		.amdhsa_kernarg_size 112
		.amdhsa_user_sgpr_count 2
		.amdhsa_user_sgpr_dispatch_ptr 0
		.amdhsa_user_sgpr_queue_ptr 0
		.amdhsa_user_sgpr_kernarg_segment_ptr 1
		.amdhsa_user_sgpr_dispatch_id 0
		.amdhsa_user_sgpr_kernarg_preload_length 0
		.amdhsa_user_sgpr_kernarg_preload_offset 0
		.amdhsa_user_sgpr_private_segment_size 0
		.amdhsa_uses_dynamic_stack 0
		.amdhsa_enable_private_segment 0
		.amdhsa_system_sgpr_workgroup_id_x 1
		.amdhsa_system_sgpr_workgroup_id_y 0
		.amdhsa_system_sgpr_workgroup_id_z 0
		.amdhsa_system_sgpr_workgroup_info 0
		.amdhsa_system_vgpr_workitem_id 0
		.amdhsa_next_free_vgpr 1
		.amdhsa_next_free_sgpr 0
		.amdhsa_accum_offset 4
		.amdhsa_reserve_vcc 0
		.amdhsa_float_round_mode_32 0
		.amdhsa_float_round_mode_16_64 0
		.amdhsa_float_denorm_mode_32 3
		.amdhsa_float_denorm_mode_16_64 3
		.amdhsa_dx10_clamp 1
		.amdhsa_ieee_mode 1
		.amdhsa_fp16_overflow 0
		.amdhsa_tg_split 0
		.amdhsa_exception_fp_ieee_invalid_op 0
		.amdhsa_exception_fp_denorm_src 0
		.amdhsa_exception_fp_ieee_div_zero 0
		.amdhsa_exception_fp_ieee_overflow 0
		.amdhsa_exception_fp_ieee_underflow 0
		.amdhsa_exception_fp_ieee_inexact 0
		.amdhsa_exception_int_div_zero 0
	.end_amdhsa_kernel
	.section	.text._ZN7rocprim17ROCPRIM_400000_NS6detail17trampoline_kernelINS0_14default_configENS1_27scan_by_key_config_selectorIssEEZZNS1_16scan_by_key_implILNS1_25lookback_scan_determinismE0ELb0ES3_N6thrust23THRUST_200600_302600_NS6detail15normal_iteratorINS9_10device_ptrIsEEEESE_SE_sNS9_4plusIvEENS9_8equal_toIsEEsEE10hipError_tPvRmT2_T3_T4_T5_mT6_T7_P12ihipStream_tbENKUlT_T0_E_clISt17integral_constantIbLb0EESY_IbLb1EEEEDaSU_SV_EUlSU_E_NS1_11comp_targetILNS1_3genE0ELNS1_11target_archE4294967295ELNS1_3gpuE0ELNS1_3repE0EEENS1_30default_config_static_selectorELNS0_4arch9wavefront6targetE1EEEvT1_,"axG",@progbits,_ZN7rocprim17ROCPRIM_400000_NS6detail17trampoline_kernelINS0_14default_configENS1_27scan_by_key_config_selectorIssEEZZNS1_16scan_by_key_implILNS1_25lookback_scan_determinismE0ELb0ES3_N6thrust23THRUST_200600_302600_NS6detail15normal_iteratorINS9_10device_ptrIsEEEESE_SE_sNS9_4plusIvEENS9_8equal_toIsEEsEE10hipError_tPvRmT2_T3_T4_T5_mT6_T7_P12ihipStream_tbENKUlT_T0_E_clISt17integral_constantIbLb0EESY_IbLb1EEEEDaSU_SV_EUlSU_E_NS1_11comp_targetILNS1_3genE0ELNS1_11target_archE4294967295ELNS1_3gpuE0ELNS1_3repE0EEENS1_30default_config_static_selectorELNS0_4arch9wavefront6targetE1EEEvT1_,comdat
.Lfunc_end344:
	.size	_ZN7rocprim17ROCPRIM_400000_NS6detail17trampoline_kernelINS0_14default_configENS1_27scan_by_key_config_selectorIssEEZZNS1_16scan_by_key_implILNS1_25lookback_scan_determinismE0ELb0ES3_N6thrust23THRUST_200600_302600_NS6detail15normal_iteratorINS9_10device_ptrIsEEEESE_SE_sNS9_4plusIvEENS9_8equal_toIsEEsEE10hipError_tPvRmT2_T3_T4_T5_mT6_T7_P12ihipStream_tbENKUlT_T0_E_clISt17integral_constantIbLb0EESY_IbLb1EEEEDaSU_SV_EUlSU_E_NS1_11comp_targetILNS1_3genE0ELNS1_11target_archE4294967295ELNS1_3gpuE0ELNS1_3repE0EEENS1_30default_config_static_selectorELNS0_4arch9wavefront6targetE1EEEvT1_, .Lfunc_end344-_ZN7rocprim17ROCPRIM_400000_NS6detail17trampoline_kernelINS0_14default_configENS1_27scan_by_key_config_selectorIssEEZZNS1_16scan_by_key_implILNS1_25lookback_scan_determinismE0ELb0ES3_N6thrust23THRUST_200600_302600_NS6detail15normal_iteratorINS9_10device_ptrIsEEEESE_SE_sNS9_4plusIvEENS9_8equal_toIsEEsEE10hipError_tPvRmT2_T3_T4_T5_mT6_T7_P12ihipStream_tbENKUlT_T0_E_clISt17integral_constantIbLb0EESY_IbLb1EEEEDaSU_SV_EUlSU_E_NS1_11comp_targetILNS1_3genE0ELNS1_11target_archE4294967295ELNS1_3gpuE0ELNS1_3repE0EEENS1_30default_config_static_selectorELNS0_4arch9wavefront6targetE1EEEvT1_
                                        ; -- End function
	.section	.AMDGPU.csdata,"",@progbits
; Kernel info:
; codeLenInByte = 0
; NumSgprs: 6
; NumVgprs: 0
; NumAgprs: 0
; TotalNumVgprs: 0
; ScratchSize: 0
; MemoryBound: 0
; FloatMode: 240
; IeeeMode: 1
; LDSByteSize: 0 bytes/workgroup (compile time only)
; SGPRBlocks: 0
; VGPRBlocks: 0
; NumSGPRsForWavesPerEU: 6
; NumVGPRsForWavesPerEU: 1
; AccumOffset: 4
; Occupancy: 8
; WaveLimiterHint : 0
; COMPUTE_PGM_RSRC2:SCRATCH_EN: 0
; COMPUTE_PGM_RSRC2:USER_SGPR: 2
; COMPUTE_PGM_RSRC2:TRAP_HANDLER: 0
; COMPUTE_PGM_RSRC2:TGID_X_EN: 1
; COMPUTE_PGM_RSRC2:TGID_Y_EN: 0
; COMPUTE_PGM_RSRC2:TGID_Z_EN: 0
; COMPUTE_PGM_RSRC2:TIDIG_COMP_CNT: 0
; COMPUTE_PGM_RSRC3_GFX90A:ACCUM_OFFSET: 0
; COMPUTE_PGM_RSRC3_GFX90A:TG_SPLIT: 0
	.section	.text._ZN7rocprim17ROCPRIM_400000_NS6detail17trampoline_kernelINS0_14default_configENS1_27scan_by_key_config_selectorIssEEZZNS1_16scan_by_key_implILNS1_25lookback_scan_determinismE0ELb0ES3_N6thrust23THRUST_200600_302600_NS6detail15normal_iteratorINS9_10device_ptrIsEEEESE_SE_sNS9_4plusIvEENS9_8equal_toIsEEsEE10hipError_tPvRmT2_T3_T4_T5_mT6_T7_P12ihipStream_tbENKUlT_T0_E_clISt17integral_constantIbLb0EESY_IbLb1EEEEDaSU_SV_EUlSU_E_NS1_11comp_targetILNS1_3genE10ELNS1_11target_archE1201ELNS1_3gpuE5ELNS1_3repE0EEENS1_30default_config_static_selectorELNS0_4arch9wavefront6targetE1EEEvT1_,"axG",@progbits,_ZN7rocprim17ROCPRIM_400000_NS6detail17trampoline_kernelINS0_14default_configENS1_27scan_by_key_config_selectorIssEEZZNS1_16scan_by_key_implILNS1_25lookback_scan_determinismE0ELb0ES3_N6thrust23THRUST_200600_302600_NS6detail15normal_iteratorINS9_10device_ptrIsEEEESE_SE_sNS9_4plusIvEENS9_8equal_toIsEEsEE10hipError_tPvRmT2_T3_T4_T5_mT6_T7_P12ihipStream_tbENKUlT_T0_E_clISt17integral_constantIbLb0EESY_IbLb1EEEEDaSU_SV_EUlSU_E_NS1_11comp_targetILNS1_3genE10ELNS1_11target_archE1201ELNS1_3gpuE5ELNS1_3repE0EEENS1_30default_config_static_selectorELNS0_4arch9wavefront6targetE1EEEvT1_,comdat
	.protected	_ZN7rocprim17ROCPRIM_400000_NS6detail17trampoline_kernelINS0_14default_configENS1_27scan_by_key_config_selectorIssEEZZNS1_16scan_by_key_implILNS1_25lookback_scan_determinismE0ELb0ES3_N6thrust23THRUST_200600_302600_NS6detail15normal_iteratorINS9_10device_ptrIsEEEESE_SE_sNS9_4plusIvEENS9_8equal_toIsEEsEE10hipError_tPvRmT2_T3_T4_T5_mT6_T7_P12ihipStream_tbENKUlT_T0_E_clISt17integral_constantIbLb0EESY_IbLb1EEEEDaSU_SV_EUlSU_E_NS1_11comp_targetILNS1_3genE10ELNS1_11target_archE1201ELNS1_3gpuE5ELNS1_3repE0EEENS1_30default_config_static_selectorELNS0_4arch9wavefront6targetE1EEEvT1_ ; -- Begin function _ZN7rocprim17ROCPRIM_400000_NS6detail17trampoline_kernelINS0_14default_configENS1_27scan_by_key_config_selectorIssEEZZNS1_16scan_by_key_implILNS1_25lookback_scan_determinismE0ELb0ES3_N6thrust23THRUST_200600_302600_NS6detail15normal_iteratorINS9_10device_ptrIsEEEESE_SE_sNS9_4plusIvEENS9_8equal_toIsEEsEE10hipError_tPvRmT2_T3_T4_T5_mT6_T7_P12ihipStream_tbENKUlT_T0_E_clISt17integral_constantIbLb0EESY_IbLb1EEEEDaSU_SV_EUlSU_E_NS1_11comp_targetILNS1_3genE10ELNS1_11target_archE1201ELNS1_3gpuE5ELNS1_3repE0EEENS1_30default_config_static_selectorELNS0_4arch9wavefront6targetE1EEEvT1_
	.globl	_ZN7rocprim17ROCPRIM_400000_NS6detail17trampoline_kernelINS0_14default_configENS1_27scan_by_key_config_selectorIssEEZZNS1_16scan_by_key_implILNS1_25lookback_scan_determinismE0ELb0ES3_N6thrust23THRUST_200600_302600_NS6detail15normal_iteratorINS9_10device_ptrIsEEEESE_SE_sNS9_4plusIvEENS9_8equal_toIsEEsEE10hipError_tPvRmT2_T3_T4_T5_mT6_T7_P12ihipStream_tbENKUlT_T0_E_clISt17integral_constantIbLb0EESY_IbLb1EEEEDaSU_SV_EUlSU_E_NS1_11comp_targetILNS1_3genE10ELNS1_11target_archE1201ELNS1_3gpuE5ELNS1_3repE0EEENS1_30default_config_static_selectorELNS0_4arch9wavefront6targetE1EEEvT1_
	.p2align	8
	.type	_ZN7rocprim17ROCPRIM_400000_NS6detail17trampoline_kernelINS0_14default_configENS1_27scan_by_key_config_selectorIssEEZZNS1_16scan_by_key_implILNS1_25lookback_scan_determinismE0ELb0ES3_N6thrust23THRUST_200600_302600_NS6detail15normal_iteratorINS9_10device_ptrIsEEEESE_SE_sNS9_4plusIvEENS9_8equal_toIsEEsEE10hipError_tPvRmT2_T3_T4_T5_mT6_T7_P12ihipStream_tbENKUlT_T0_E_clISt17integral_constantIbLb0EESY_IbLb1EEEEDaSU_SV_EUlSU_E_NS1_11comp_targetILNS1_3genE10ELNS1_11target_archE1201ELNS1_3gpuE5ELNS1_3repE0EEENS1_30default_config_static_selectorELNS0_4arch9wavefront6targetE1EEEvT1_,@function
_ZN7rocprim17ROCPRIM_400000_NS6detail17trampoline_kernelINS0_14default_configENS1_27scan_by_key_config_selectorIssEEZZNS1_16scan_by_key_implILNS1_25lookback_scan_determinismE0ELb0ES3_N6thrust23THRUST_200600_302600_NS6detail15normal_iteratorINS9_10device_ptrIsEEEESE_SE_sNS9_4plusIvEENS9_8equal_toIsEEsEE10hipError_tPvRmT2_T3_T4_T5_mT6_T7_P12ihipStream_tbENKUlT_T0_E_clISt17integral_constantIbLb0EESY_IbLb1EEEEDaSU_SV_EUlSU_E_NS1_11comp_targetILNS1_3genE10ELNS1_11target_archE1201ELNS1_3gpuE5ELNS1_3repE0EEENS1_30default_config_static_selectorELNS0_4arch9wavefront6targetE1EEEvT1_: ; @_ZN7rocprim17ROCPRIM_400000_NS6detail17trampoline_kernelINS0_14default_configENS1_27scan_by_key_config_selectorIssEEZZNS1_16scan_by_key_implILNS1_25lookback_scan_determinismE0ELb0ES3_N6thrust23THRUST_200600_302600_NS6detail15normal_iteratorINS9_10device_ptrIsEEEESE_SE_sNS9_4plusIvEENS9_8equal_toIsEEsEE10hipError_tPvRmT2_T3_T4_T5_mT6_T7_P12ihipStream_tbENKUlT_T0_E_clISt17integral_constantIbLb0EESY_IbLb1EEEEDaSU_SV_EUlSU_E_NS1_11comp_targetILNS1_3genE10ELNS1_11target_archE1201ELNS1_3gpuE5ELNS1_3repE0EEENS1_30default_config_static_selectorELNS0_4arch9wavefront6targetE1EEEvT1_
; %bb.0:
	.section	.rodata,"a",@progbits
	.p2align	6, 0x0
	.amdhsa_kernel _ZN7rocprim17ROCPRIM_400000_NS6detail17trampoline_kernelINS0_14default_configENS1_27scan_by_key_config_selectorIssEEZZNS1_16scan_by_key_implILNS1_25lookback_scan_determinismE0ELb0ES3_N6thrust23THRUST_200600_302600_NS6detail15normal_iteratorINS9_10device_ptrIsEEEESE_SE_sNS9_4plusIvEENS9_8equal_toIsEEsEE10hipError_tPvRmT2_T3_T4_T5_mT6_T7_P12ihipStream_tbENKUlT_T0_E_clISt17integral_constantIbLb0EESY_IbLb1EEEEDaSU_SV_EUlSU_E_NS1_11comp_targetILNS1_3genE10ELNS1_11target_archE1201ELNS1_3gpuE5ELNS1_3repE0EEENS1_30default_config_static_selectorELNS0_4arch9wavefront6targetE1EEEvT1_
		.amdhsa_group_segment_fixed_size 0
		.amdhsa_private_segment_fixed_size 0
		.amdhsa_kernarg_size 112
		.amdhsa_user_sgpr_count 2
		.amdhsa_user_sgpr_dispatch_ptr 0
		.amdhsa_user_sgpr_queue_ptr 0
		.amdhsa_user_sgpr_kernarg_segment_ptr 1
		.amdhsa_user_sgpr_dispatch_id 0
		.amdhsa_user_sgpr_kernarg_preload_length 0
		.amdhsa_user_sgpr_kernarg_preload_offset 0
		.amdhsa_user_sgpr_private_segment_size 0
		.amdhsa_uses_dynamic_stack 0
		.amdhsa_enable_private_segment 0
		.amdhsa_system_sgpr_workgroup_id_x 1
		.amdhsa_system_sgpr_workgroup_id_y 0
		.amdhsa_system_sgpr_workgroup_id_z 0
		.amdhsa_system_sgpr_workgroup_info 0
		.amdhsa_system_vgpr_workitem_id 0
		.amdhsa_next_free_vgpr 1
		.amdhsa_next_free_sgpr 0
		.amdhsa_accum_offset 4
		.amdhsa_reserve_vcc 0
		.amdhsa_float_round_mode_32 0
		.amdhsa_float_round_mode_16_64 0
		.amdhsa_float_denorm_mode_32 3
		.amdhsa_float_denorm_mode_16_64 3
		.amdhsa_dx10_clamp 1
		.amdhsa_ieee_mode 1
		.amdhsa_fp16_overflow 0
		.amdhsa_tg_split 0
		.amdhsa_exception_fp_ieee_invalid_op 0
		.amdhsa_exception_fp_denorm_src 0
		.amdhsa_exception_fp_ieee_div_zero 0
		.amdhsa_exception_fp_ieee_overflow 0
		.amdhsa_exception_fp_ieee_underflow 0
		.amdhsa_exception_fp_ieee_inexact 0
		.amdhsa_exception_int_div_zero 0
	.end_amdhsa_kernel
	.section	.text._ZN7rocprim17ROCPRIM_400000_NS6detail17trampoline_kernelINS0_14default_configENS1_27scan_by_key_config_selectorIssEEZZNS1_16scan_by_key_implILNS1_25lookback_scan_determinismE0ELb0ES3_N6thrust23THRUST_200600_302600_NS6detail15normal_iteratorINS9_10device_ptrIsEEEESE_SE_sNS9_4plusIvEENS9_8equal_toIsEEsEE10hipError_tPvRmT2_T3_T4_T5_mT6_T7_P12ihipStream_tbENKUlT_T0_E_clISt17integral_constantIbLb0EESY_IbLb1EEEEDaSU_SV_EUlSU_E_NS1_11comp_targetILNS1_3genE10ELNS1_11target_archE1201ELNS1_3gpuE5ELNS1_3repE0EEENS1_30default_config_static_selectorELNS0_4arch9wavefront6targetE1EEEvT1_,"axG",@progbits,_ZN7rocprim17ROCPRIM_400000_NS6detail17trampoline_kernelINS0_14default_configENS1_27scan_by_key_config_selectorIssEEZZNS1_16scan_by_key_implILNS1_25lookback_scan_determinismE0ELb0ES3_N6thrust23THRUST_200600_302600_NS6detail15normal_iteratorINS9_10device_ptrIsEEEESE_SE_sNS9_4plusIvEENS9_8equal_toIsEEsEE10hipError_tPvRmT2_T3_T4_T5_mT6_T7_P12ihipStream_tbENKUlT_T0_E_clISt17integral_constantIbLb0EESY_IbLb1EEEEDaSU_SV_EUlSU_E_NS1_11comp_targetILNS1_3genE10ELNS1_11target_archE1201ELNS1_3gpuE5ELNS1_3repE0EEENS1_30default_config_static_selectorELNS0_4arch9wavefront6targetE1EEEvT1_,comdat
.Lfunc_end345:
	.size	_ZN7rocprim17ROCPRIM_400000_NS6detail17trampoline_kernelINS0_14default_configENS1_27scan_by_key_config_selectorIssEEZZNS1_16scan_by_key_implILNS1_25lookback_scan_determinismE0ELb0ES3_N6thrust23THRUST_200600_302600_NS6detail15normal_iteratorINS9_10device_ptrIsEEEESE_SE_sNS9_4plusIvEENS9_8equal_toIsEEsEE10hipError_tPvRmT2_T3_T4_T5_mT6_T7_P12ihipStream_tbENKUlT_T0_E_clISt17integral_constantIbLb0EESY_IbLb1EEEEDaSU_SV_EUlSU_E_NS1_11comp_targetILNS1_3genE10ELNS1_11target_archE1201ELNS1_3gpuE5ELNS1_3repE0EEENS1_30default_config_static_selectorELNS0_4arch9wavefront6targetE1EEEvT1_, .Lfunc_end345-_ZN7rocprim17ROCPRIM_400000_NS6detail17trampoline_kernelINS0_14default_configENS1_27scan_by_key_config_selectorIssEEZZNS1_16scan_by_key_implILNS1_25lookback_scan_determinismE0ELb0ES3_N6thrust23THRUST_200600_302600_NS6detail15normal_iteratorINS9_10device_ptrIsEEEESE_SE_sNS9_4plusIvEENS9_8equal_toIsEEsEE10hipError_tPvRmT2_T3_T4_T5_mT6_T7_P12ihipStream_tbENKUlT_T0_E_clISt17integral_constantIbLb0EESY_IbLb1EEEEDaSU_SV_EUlSU_E_NS1_11comp_targetILNS1_3genE10ELNS1_11target_archE1201ELNS1_3gpuE5ELNS1_3repE0EEENS1_30default_config_static_selectorELNS0_4arch9wavefront6targetE1EEEvT1_
                                        ; -- End function
	.section	.AMDGPU.csdata,"",@progbits
; Kernel info:
; codeLenInByte = 0
; NumSgprs: 6
; NumVgprs: 0
; NumAgprs: 0
; TotalNumVgprs: 0
; ScratchSize: 0
; MemoryBound: 0
; FloatMode: 240
; IeeeMode: 1
; LDSByteSize: 0 bytes/workgroup (compile time only)
; SGPRBlocks: 0
; VGPRBlocks: 0
; NumSGPRsForWavesPerEU: 6
; NumVGPRsForWavesPerEU: 1
; AccumOffset: 4
; Occupancy: 8
; WaveLimiterHint : 0
; COMPUTE_PGM_RSRC2:SCRATCH_EN: 0
; COMPUTE_PGM_RSRC2:USER_SGPR: 2
; COMPUTE_PGM_RSRC2:TRAP_HANDLER: 0
; COMPUTE_PGM_RSRC2:TGID_X_EN: 1
; COMPUTE_PGM_RSRC2:TGID_Y_EN: 0
; COMPUTE_PGM_RSRC2:TGID_Z_EN: 0
; COMPUTE_PGM_RSRC2:TIDIG_COMP_CNT: 0
; COMPUTE_PGM_RSRC3_GFX90A:ACCUM_OFFSET: 0
; COMPUTE_PGM_RSRC3_GFX90A:TG_SPLIT: 0
	.section	.text._ZN7rocprim17ROCPRIM_400000_NS6detail17trampoline_kernelINS0_14default_configENS1_27scan_by_key_config_selectorIssEEZZNS1_16scan_by_key_implILNS1_25lookback_scan_determinismE0ELb0ES3_N6thrust23THRUST_200600_302600_NS6detail15normal_iteratorINS9_10device_ptrIsEEEESE_SE_sNS9_4plusIvEENS9_8equal_toIsEEsEE10hipError_tPvRmT2_T3_T4_T5_mT6_T7_P12ihipStream_tbENKUlT_T0_E_clISt17integral_constantIbLb0EESY_IbLb1EEEEDaSU_SV_EUlSU_E_NS1_11comp_targetILNS1_3genE5ELNS1_11target_archE942ELNS1_3gpuE9ELNS1_3repE0EEENS1_30default_config_static_selectorELNS0_4arch9wavefront6targetE1EEEvT1_,"axG",@progbits,_ZN7rocprim17ROCPRIM_400000_NS6detail17trampoline_kernelINS0_14default_configENS1_27scan_by_key_config_selectorIssEEZZNS1_16scan_by_key_implILNS1_25lookback_scan_determinismE0ELb0ES3_N6thrust23THRUST_200600_302600_NS6detail15normal_iteratorINS9_10device_ptrIsEEEESE_SE_sNS9_4plusIvEENS9_8equal_toIsEEsEE10hipError_tPvRmT2_T3_T4_T5_mT6_T7_P12ihipStream_tbENKUlT_T0_E_clISt17integral_constantIbLb0EESY_IbLb1EEEEDaSU_SV_EUlSU_E_NS1_11comp_targetILNS1_3genE5ELNS1_11target_archE942ELNS1_3gpuE9ELNS1_3repE0EEENS1_30default_config_static_selectorELNS0_4arch9wavefront6targetE1EEEvT1_,comdat
	.protected	_ZN7rocprim17ROCPRIM_400000_NS6detail17trampoline_kernelINS0_14default_configENS1_27scan_by_key_config_selectorIssEEZZNS1_16scan_by_key_implILNS1_25lookback_scan_determinismE0ELb0ES3_N6thrust23THRUST_200600_302600_NS6detail15normal_iteratorINS9_10device_ptrIsEEEESE_SE_sNS9_4plusIvEENS9_8equal_toIsEEsEE10hipError_tPvRmT2_T3_T4_T5_mT6_T7_P12ihipStream_tbENKUlT_T0_E_clISt17integral_constantIbLb0EESY_IbLb1EEEEDaSU_SV_EUlSU_E_NS1_11comp_targetILNS1_3genE5ELNS1_11target_archE942ELNS1_3gpuE9ELNS1_3repE0EEENS1_30default_config_static_selectorELNS0_4arch9wavefront6targetE1EEEvT1_ ; -- Begin function _ZN7rocprim17ROCPRIM_400000_NS6detail17trampoline_kernelINS0_14default_configENS1_27scan_by_key_config_selectorIssEEZZNS1_16scan_by_key_implILNS1_25lookback_scan_determinismE0ELb0ES3_N6thrust23THRUST_200600_302600_NS6detail15normal_iteratorINS9_10device_ptrIsEEEESE_SE_sNS9_4plusIvEENS9_8equal_toIsEEsEE10hipError_tPvRmT2_T3_T4_T5_mT6_T7_P12ihipStream_tbENKUlT_T0_E_clISt17integral_constantIbLb0EESY_IbLb1EEEEDaSU_SV_EUlSU_E_NS1_11comp_targetILNS1_3genE5ELNS1_11target_archE942ELNS1_3gpuE9ELNS1_3repE0EEENS1_30default_config_static_selectorELNS0_4arch9wavefront6targetE1EEEvT1_
	.globl	_ZN7rocprim17ROCPRIM_400000_NS6detail17trampoline_kernelINS0_14default_configENS1_27scan_by_key_config_selectorIssEEZZNS1_16scan_by_key_implILNS1_25lookback_scan_determinismE0ELb0ES3_N6thrust23THRUST_200600_302600_NS6detail15normal_iteratorINS9_10device_ptrIsEEEESE_SE_sNS9_4plusIvEENS9_8equal_toIsEEsEE10hipError_tPvRmT2_T3_T4_T5_mT6_T7_P12ihipStream_tbENKUlT_T0_E_clISt17integral_constantIbLb0EESY_IbLb1EEEEDaSU_SV_EUlSU_E_NS1_11comp_targetILNS1_3genE5ELNS1_11target_archE942ELNS1_3gpuE9ELNS1_3repE0EEENS1_30default_config_static_selectorELNS0_4arch9wavefront6targetE1EEEvT1_
	.p2align	8
	.type	_ZN7rocprim17ROCPRIM_400000_NS6detail17trampoline_kernelINS0_14default_configENS1_27scan_by_key_config_selectorIssEEZZNS1_16scan_by_key_implILNS1_25lookback_scan_determinismE0ELb0ES3_N6thrust23THRUST_200600_302600_NS6detail15normal_iteratorINS9_10device_ptrIsEEEESE_SE_sNS9_4plusIvEENS9_8equal_toIsEEsEE10hipError_tPvRmT2_T3_T4_T5_mT6_T7_P12ihipStream_tbENKUlT_T0_E_clISt17integral_constantIbLb0EESY_IbLb1EEEEDaSU_SV_EUlSU_E_NS1_11comp_targetILNS1_3genE5ELNS1_11target_archE942ELNS1_3gpuE9ELNS1_3repE0EEENS1_30default_config_static_selectorELNS0_4arch9wavefront6targetE1EEEvT1_,@function
_ZN7rocprim17ROCPRIM_400000_NS6detail17trampoline_kernelINS0_14default_configENS1_27scan_by_key_config_selectorIssEEZZNS1_16scan_by_key_implILNS1_25lookback_scan_determinismE0ELb0ES3_N6thrust23THRUST_200600_302600_NS6detail15normal_iteratorINS9_10device_ptrIsEEEESE_SE_sNS9_4plusIvEENS9_8equal_toIsEEsEE10hipError_tPvRmT2_T3_T4_T5_mT6_T7_P12ihipStream_tbENKUlT_T0_E_clISt17integral_constantIbLb0EESY_IbLb1EEEEDaSU_SV_EUlSU_E_NS1_11comp_targetILNS1_3genE5ELNS1_11target_archE942ELNS1_3gpuE9ELNS1_3repE0EEENS1_30default_config_static_selectorELNS0_4arch9wavefront6targetE1EEEvT1_: ; @_ZN7rocprim17ROCPRIM_400000_NS6detail17trampoline_kernelINS0_14default_configENS1_27scan_by_key_config_selectorIssEEZZNS1_16scan_by_key_implILNS1_25lookback_scan_determinismE0ELb0ES3_N6thrust23THRUST_200600_302600_NS6detail15normal_iteratorINS9_10device_ptrIsEEEESE_SE_sNS9_4plusIvEENS9_8equal_toIsEEsEE10hipError_tPvRmT2_T3_T4_T5_mT6_T7_P12ihipStream_tbENKUlT_T0_E_clISt17integral_constantIbLb0EESY_IbLb1EEEEDaSU_SV_EUlSU_E_NS1_11comp_targetILNS1_3genE5ELNS1_11target_archE942ELNS1_3gpuE9ELNS1_3repE0EEENS1_30default_config_static_selectorELNS0_4arch9wavefront6targetE1EEEvT1_
; %bb.0:
	s_load_dwordx4 s[76:79], s[0:1], 0x28
	s_load_dwordx2 s[80:81], s[0:1], 0x38
	v_cmp_ne_u32_e64 s[4:5], 0, v0
	v_cmp_eq_u32_e64 s[56:57], 0, v0
	s_and_saveexec_b64 s[2:3], s[56:57]
	s_cbranch_execz .LBB346_4
; %bb.1:
	s_mov_b64 s[8:9], exec
	v_mbcnt_lo_u32_b32 v1, s8, 0
	v_mbcnt_hi_u32_b32 v1, s9, v1
	v_cmp_eq_u32_e32 vcc, 0, v1
                                        ; implicit-def: $vgpr2
	s_and_saveexec_b64 s[6:7], vcc
	s_cbranch_execz .LBB346_3
; %bb.2:
	s_load_dwordx2 s[10:11], s[0:1], 0x68
	s_bcnt1_i32_b64 s8, s[8:9]
	v_mov_b32_e32 v2, 0
	v_mov_b32_e32 v3, s8
	s_waitcnt lgkmcnt(0)
	global_atomic_add v2, v2, v3, s[10:11] sc0
.LBB346_3:
	s_or_b64 exec, exec, s[6:7]
	s_waitcnt vmcnt(0)
	v_readfirstlane_b32 s6, v2
	v_mov_b32_e32 v2, 0
	s_nop 0
	v_add_u32_e32 v1, s6, v1
	ds_write_b32 v2, v1
.LBB346_4:
	s_or_b64 exec, exec, s[2:3]
	s_load_dwordx8 s[60:67], s[0:1], 0x0
	s_load_dword s2, s[0:1], 0x40
	s_load_dwordx8 s[68:75], s[0:1], 0x48
	v_mov_b32_e32 v1, 0
	s_waitcnt lgkmcnt(0)
	s_barrier
	ds_read_b32 v1, v1
	s_lshl_b64 s[58:59], s[62:63], 1
	s_add_u32 s3, s60, s58
	s_addc_u32 s6, s61, s59
	s_add_u32 s7, s64, s58
	s_mul_i32 s0, s81, s2
	s_mul_hi_u32 s1, s80, s2
	s_addc_u32 s8, s65, s59
	s_add_i32 s9, s1, s0
	s_waitcnt lgkmcnt(0)
	v_readfirstlane_b32 s79, v1
	s_cmp_lg_u64 s[72:73], 0
	s_mov_b32 s1, 0
	s_mul_i32 s0, s79, 0x1800
	s_cselect_b64 s[72:73], -1, 0
	s_lshl_b64 s[60:61], s[0:1], 1
	s_add_u32 s64, s3, s60
	s_addc_u32 s65, s6, s61
	s_add_u32 s62, s7, s60
	s_mul_i32 s2, s80, s2
	s_addc_u32 s63, s8, s61
	s_add_u32 s82, s2, s79
	s_addc_u32 s83, s9, 0
	s_add_u32 s0, s68, -1
	s_addc_u32 s1, s69, -1
	v_mov_b64_e32 v[2:3], s[0:1]
	v_cmp_ge_u64_e64 s[2:3], s[82:83], v[2:3]
	s_mov_b64 s[12:13], 0
	s_mov_b64 s[6:7], -1
	s_and_b64 vcc, exec, s[2:3]
	s_mul_i32 s33, s0, 0xffffe800
	s_barrier
	s_barrier
	s_cbranch_vccz .LBB346_131
; %bb.5:
	v_mov_b64_e32 v[2:3], s[64:65]
	flat_load_ushort v1, v[2:3]
	s_add_i32 s86, s33, s78
	v_cmp_gt_u32_e64 s[6:7], s86, v0
	s_waitcnt vmcnt(0) lgkmcnt(0)
	v_mov_b32_e32 v22, v1
	s_and_saveexec_b64 s[0:1], s[6:7]
	s_cbranch_execz .LBB346_7
; %bb.6:
	v_lshlrev_b32_e32 v2, 1, v0
	v_mov_b32_e32 v3, 0
	v_lshl_add_u64 v[2:3], s[64:65], 0, v[2:3]
	flat_load_ushort v22, v[2:3]
.LBB346_7:
	s_or_b64 exec, exec, s[0:1]
	v_or_b32_e32 v2, 0x100, v0
	v_cmp_gt_u32_e64 s[8:9], s86, v2
	v_mov_b32_e32 v23, v1
	s_and_saveexec_b64 s[0:1], s[8:9]
	s_cbranch_execz .LBB346_9
; %bb.8:
	v_lshlrev_b32_e32 v2, 1, v0
	v_mov_b32_e32 v3, 0
	v_lshl_add_u64 v[2:3], s[64:65], 0, v[2:3]
	flat_load_ushort v23, v[2:3] offset:512
.LBB346_9:
	s_or_b64 exec, exec, s[0:1]
	v_or_b32_e32 v2, 0x200, v0
	v_cmp_gt_u32_e64 s[10:11], s86, v2
	v_mov_b32_e32 v24, v1
	s_and_saveexec_b64 s[0:1], s[10:11]
	s_cbranch_execz .LBB346_11
; %bb.10:
	v_lshlrev_b32_e32 v2, 1, v0
	v_mov_b32_e32 v3, 0
	v_lshl_add_u64 v[2:3], s[64:65], 0, v[2:3]
	flat_load_ushort v24, v[2:3] offset:1024
.LBB346_11:
	;; [unrolled: 12-line block ×7, first 2 shown]
	s_or_b64 exec, exec, s[0:1]
	v_or_b32_e32 v2, 0x800, v0
	v_cmp_gt_u32_e64 s[22:23], s86, v2
	v_lshlrev_b32_e32 v2, 1, v2
	v_mov_b32_e32 v3, v1
	s_and_saveexec_b64 s[0:1], s[22:23]
	s_cbranch_execz .LBB346_23
; %bb.22:
	v_mov_b32_e32 v3, 0
	v_lshl_add_u64 v[4:5], s[64:65], 0, v[2:3]
	flat_load_ushort v3, v[4:5]
.LBB346_23:
	s_or_b64 exec, exec, s[0:1]
	v_or_b32_e32 v4, 0x900, v0
	v_cmp_gt_u32_e64 s[24:25], s86, v4
	v_lshlrev_b32_e32 v4, 1, v4
	v_mov_b32_e32 v5, v1
	s_and_saveexec_b64 s[0:1], s[24:25]
	s_cbranch_execz .LBB346_25
; %bb.24:
	v_mov_b32_e32 v5, 0
	v_lshl_add_u64 v[6:7], s[64:65], 0, v[4:5]
	flat_load_ushort v5, v[6:7]
.LBB346_25:
	;; [unrolled: 12-line block ×15, first 2 shown]
	s_or_b64 exec, exec, s[0:1]
	v_or_b32_e32 v36, 0x1700, v0
	v_cmp_gt_u32_e64 s[54:55], s86, v36
	v_lshlrev_b32_e32 v46, 1, v36
	s_and_saveexec_b64 s[0:1], s[54:55]
	s_cbranch_execz .LBB346_53
; %bb.52:
	v_mov_b32_e32 v47, 0
	v_lshl_add_u64 v[36:37], s[64:65], 0, v[46:47]
	flat_load_ushort v1, v[36:37]
.LBB346_53:
	s_or_b64 exec, exec, s[0:1]
	v_lshlrev_b32_e32 v36, 1, v0
	v_mad_u32_u24 v48, v0, 46, v36
	s_waitcnt vmcnt(0) lgkmcnt(0)
	ds_write_b16 v36, v22
	ds_write_b16 v36, v23 offset:512
	ds_write_b16 v36, v24 offset:1024
	;; [unrolled: 1-line block ×23, first 2 shown]
	s_waitcnt lgkmcnt(0)
	s_barrier
	ds_read_b128 v[30:33], v48
	ds_read_b128 v[26:29], v48 offset:16
	ds_read_b128 v[22:25], v48 offset:32
	s_cmp_eq_u64 s[82:83], 0
	s_mov_b64 s[0:1], s[64:65]
	s_cbranch_scc1 .LBB346_57
; %bb.54:
	s_andn2_b64 vcc, exec, s[72:73]
	s_cbranch_vccnz .LBB346_317
; %bb.55:
	s_lshl_b64 s[0:1], s[82:83], 1
	s_add_u32 s0, s74, s0
	s_addc_u32 s1, s75, s1
	s_add_u32 s0, s0, -2
	s_addc_u32 s1, s1, -1
	s_cbranch_execnz .LBB346_57
.LBB346_56:
	s_add_u32 s0, s64, -2
	s_addc_u32 s1, s65, -1
.LBB346_57:
	v_mov_b64_e32 v[50:51], s[0:1]
	flat_load_ushort v50, v[50:51]
	s_movk_i32 s0, 0xffd2
	s_waitcnt lgkmcnt(0)
	v_lshrrev_b32_e32 v49, 16, v25
	v_mad_i32_i24 v1, v0, s0, v48
	ds_write_b16 v1, v49 offset:12288
	s_waitcnt lgkmcnt(0)
	s_barrier
	s_and_saveexec_b64 s[0:1], s[4:5]
	s_cbranch_execz .LBB346_59
; %bb.58:
	v_mul_i32_i24_e32 v1, 0xffffffd2, v0
	v_add_u32_e32 v1, v48, v1
	s_waitcnt vmcnt(0)
	ds_read_u16 v50, v1 offset:12286
.LBB346_59:
	s_or_b64 exec, exec, s[0:1]
	v_mov_b32_e32 v37, 0
	s_waitcnt lgkmcnt(0)
	s_barrier
	s_waitcnt lgkmcnt(0)
                                        ; implicit-def: $vgpr1
	s_and_saveexec_b64 s[0:1], s[6:7]
	s_cbranch_execnz .LBB346_294
; %bb.60:
	s_or_b64 exec, exec, s[0:1]
                                        ; implicit-def: $vgpr51
	s_and_saveexec_b64 s[0:1], s[8:9]
	s_cbranch_execnz .LBB346_295
.LBB346_61:
	s_or_b64 exec, exec, s[0:1]
                                        ; implicit-def: $vgpr52
	s_and_saveexec_b64 s[0:1], s[10:11]
	s_cbranch_execnz .LBB346_296
.LBB346_62:
	s_or_b64 exec, exec, s[0:1]
                                        ; implicit-def: $vgpr53
	s_and_saveexec_b64 s[0:1], s[12:13]
	s_cbranch_execnz .LBB346_297
.LBB346_63:
	s_or_b64 exec, exec, s[0:1]
                                        ; implicit-def: $vgpr54
	s_and_saveexec_b64 s[0:1], s[14:15]
	s_cbranch_execnz .LBB346_298
.LBB346_64:
	s_or_b64 exec, exec, s[0:1]
                                        ; implicit-def: $vgpr55
	s_and_saveexec_b64 s[0:1], s[16:17]
	s_cbranch_execnz .LBB346_299
.LBB346_65:
	s_or_b64 exec, exec, s[0:1]
                                        ; implicit-def: $vgpr56
	s_and_saveexec_b64 s[0:1], s[18:19]
	s_cbranch_execnz .LBB346_300
.LBB346_66:
	s_or_b64 exec, exec, s[0:1]
                                        ; implicit-def: $vgpr37
	s_and_saveexec_b64 s[0:1], s[20:21]
	s_cbranch_execnz .LBB346_301
.LBB346_67:
	s_or_b64 exec, exec, s[0:1]
                                        ; implicit-def: $vgpr3
	s_and_saveexec_b64 s[0:1], s[22:23]
	s_cbranch_execnz .LBB346_302
.LBB346_68:
	s_or_b64 exec, exec, s[0:1]
                                        ; implicit-def: $vgpr2
	s_and_saveexec_b64 s[0:1], s[24:25]
	s_cbranch_execnz .LBB346_303
.LBB346_69:
	s_or_b64 exec, exec, s[0:1]
                                        ; implicit-def: $vgpr4
	s_and_saveexec_b64 s[0:1], s[26:27]
	s_cbranch_execnz .LBB346_304
.LBB346_70:
	s_or_b64 exec, exec, s[0:1]
                                        ; implicit-def: $vgpr5
	s_and_saveexec_b64 s[0:1], s[28:29]
	s_cbranch_execnz .LBB346_305
.LBB346_71:
	s_or_b64 exec, exec, s[0:1]
                                        ; implicit-def: $vgpr6
	s_and_saveexec_b64 s[0:1], s[30:31]
	s_cbranch_execnz .LBB346_306
.LBB346_72:
	s_or_b64 exec, exec, s[0:1]
                                        ; implicit-def: $vgpr7
	s_and_saveexec_b64 s[0:1], s[34:35]
	s_cbranch_execnz .LBB346_307
.LBB346_73:
	s_or_b64 exec, exec, s[0:1]
                                        ; implicit-def: $vgpr8
	s_and_saveexec_b64 s[0:1], s[36:37]
	s_cbranch_execnz .LBB346_308
.LBB346_74:
	s_or_b64 exec, exec, s[0:1]
                                        ; implicit-def: $vgpr9
	s_and_saveexec_b64 s[0:1], s[38:39]
	s_cbranch_execnz .LBB346_309
.LBB346_75:
	s_or_b64 exec, exec, s[0:1]
                                        ; implicit-def: $vgpr10
	s_and_saveexec_b64 s[0:1], s[40:41]
	s_cbranch_execnz .LBB346_310
.LBB346_76:
	s_or_b64 exec, exec, s[0:1]
                                        ; implicit-def: $vgpr11
	s_and_saveexec_b64 s[0:1], s[42:43]
	s_cbranch_execnz .LBB346_311
.LBB346_77:
	s_or_b64 exec, exec, s[0:1]
                                        ; implicit-def: $vgpr12
	s_and_saveexec_b64 s[0:1], s[44:45]
	s_cbranch_execnz .LBB346_312
.LBB346_78:
	s_or_b64 exec, exec, s[0:1]
                                        ; implicit-def: $vgpr13
	s_and_saveexec_b64 s[0:1], s[46:47]
	s_cbranch_execnz .LBB346_313
.LBB346_79:
	s_or_b64 exec, exec, s[0:1]
                                        ; implicit-def: $vgpr14
	s_and_saveexec_b64 s[0:1], s[48:49]
	s_cbranch_execnz .LBB346_314
.LBB346_80:
	s_or_b64 exec, exec, s[0:1]
                                        ; implicit-def: $vgpr15
	s_and_saveexec_b64 s[0:1], s[50:51]
	s_cbranch_execnz .LBB346_315
.LBB346_81:
	s_or_b64 exec, exec, s[0:1]
                                        ; implicit-def: $vgpr16
	s_and_saveexec_b64 s[0:1], s[52:53]
	s_cbranch_execnz .LBB346_316
.LBB346_82:
	s_or_b64 exec, exec, s[0:1]
                                        ; implicit-def: $vgpr17
	s_and_saveexec_b64 s[0:1], s[54:55]
	s_cbranch_execz .LBB346_84
.LBB346_83:
	v_mov_b32_e32 v47, 0
	v_lshl_add_u64 v[18:19], s[62:63], 0, v[46:47]
	flat_load_ushort v17, v[18:19]
.LBB346_84:
	s_or_b64 exec, exec, s[0:1]
	s_mov_b32 s8, 0
	s_mov_b32 s9, s8
	s_waitcnt vmcnt(0) lgkmcnt(0)
	ds_write_b16 v36, v1
	ds_write_b16 v36, v51 offset:512
	ds_write_b16 v36, v52 offset:1024
	;; [unrolled: 1-line block ×23, first 2 shown]
	s_mov_b32 s10, s8
	s_mov_b32 s11, s8
	;; [unrolled: 1-line block ×6, first 2 shown]
	v_mov_b64_e32 v[2:3], s[8:9]
	s_mov_b32 s18, s8
	s_mov_b32 s19, s8
	v_mov_b64_e32 v[8:9], s[14:15]
	v_mul_u32_u24_e32 v41, 24, v0
	s_mov_b32 s16, s8
	s_mov_b32 s17, s8
	v_mov_b64_e32 v[20:21], s[18:19]
	v_mov_b64_e32 v[4:5], s[10:11]
	;; [unrolled: 1-line block ×4, first 2 shown]
	v_cmp_gt_u32_e32 vcc, s86, v41
	s_mov_b64 s[6:7], 0
	v_mov_b64_e32 v[18:19], s[16:17]
	v_mov_b32_e32 v1, 0
	s_mov_b64 s[12:13], 0
	v_mov_b64_e32 v[14:15], v[6:7]
	v_mov_b64_e32 v[12:13], v[4:5]
	;; [unrolled: 1-line block ×3, first 2 shown]
	v_mov_b32_e32 v38, 0
	v_mov_b32_e32 v39, 0
	s_waitcnt lgkmcnt(0)
	s_barrier
	s_waitcnt lgkmcnt(0)
                                        ; implicit-def: $sgpr0_sgpr1
                                        ; implicit-def: $vgpr40
	s_and_saveexec_b64 s[10:11], vcc
	s_cbranch_execz .LBB346_130
; %bb.85:
	ds_read_u16 v1, v48
	v_cmp_ne_u16_e32 vcc, v50, v30
	s_mov_b32 s12, 0
	v_or_b32_e32 v2, 1, v41
	v_cndmask_b32_e64 v3, 0, 1, vcc
	s_mov_b32 s13, s12
	v_cmp_gt_u32_e32 vcc, s86, v2
	s_waitcnt lgkmcnt(0)
	v_lshl_or_b32 v1, v3, 16, v1
	s_mov_b32 s14, s12
	s_mov_b32 s15, s12
	;; [unrolled: 1-line block ×6, first 2 shown]
	v_mov_b64_e32 v[2:3], s[12:13]
	s_mov_b32 s24, s12
	s_mov_b32 s25, s12
	v_mov_b64_e32 v[8:9], s[18:19]
	s_mov_b32 s26, s12
	s_mov_b32 s27, s12
	v_mov_b64_e32 v[18:19], s[24:25]
	v_mov_b64_e32 v[4:5], s[14:15]
	;; [unrolled: 1-line block ×4, first 2 shown]
	s_mov_b64 s[22:23], 0
	v_mov_b64_e32 v[20:21], s[26:27]
	v_mov_b32_e32 v38, 0
	v_mov_b64_e32 v[14:15], v[6:7]
	v_mov_b64_e32 v[12:13], v[4:5]
	;; [unrolled: 1-line block ×3, first 2 shown]
	v_mov_b32_e32 v39, 0
                                        ; implicit-def: $sgpr24_sgpr25
                                        ; implicit-def: $vgpr40
	s_and_saveexec_b64 s[20:21], vcc
	s_cbranch_execz .LBB346_129
; %bb.86:
	ds_read_b128 v[34:37], v48 offset:2
	v_or_b32_e32 v2, 2, v41
	v_cmp_ne_u16_sdwa s[0:1], v30, v30 src0_sel:DWORD src1_sel:WORD_1
	v_cmp_gt_u32_e32 vcc, s86, v2
	v_mov_b32_e32 v19, 0
	v_cndmask_b32_e64 v3, 0, 1, s[0:1]
	s_waitcnt lgkmcnt(0)
	v_and_b32_e32 v2, 0xffff, v34
	v_lshl_or_b32 v18, v3, 16, v2
	v_mov_b64_e32 v[2:3], s[12:13]
	v_mov_b64_e32 v[8:9], s[18:19]
	v_mov_b64_e32 v[4:5], s[14:15]
	v_mov_b64_e32 v[6:7], s[16:17]
	v_mov_b64_e32 v[16:17], v[8:9]
	v_mov_b32_e32 v20, v19
	v_mov_b32_e32 v21, v19
	s_mov_b64 s[0:1], 0
	v_mov_b64_e32 v[14:15], v[6:7]
	v_mov_b64_e32 v[12:13], v[4:5]
	v_mov_b64_e32 v[10:11], v[2:3]
	v_mov_b32_e32 v38, v19
	v_mov_b32_e32 v39, v19
                                        ; implicit-def: $sgpr12_sgpr13
                                        ; implicit-def: $vgpr40
	s_and_saveexec_b64 s[22:23], vcc
	s_cbranch_execz .LBB346_128
; %bb.87:
	v_cmp_ne_u16_sdwa s[0:1], v30, v31 src0_sel:WORD_1 src1_sel:DWORD
	s_mov_b32 s12, 0
	v_or_b32_e32 v2, 3, v41
	v_cndmask_b32_e64 v3, 0, 1, s[0:1]
	s_mov_b32 s13, s12
	v_alignbit_b32 v19, v3, v34, 16
	v_cmp_gt_u32_e32 vcc, s86, v2
	s_mov_b32 s14, s12
	s_mov_b32 s15, s12
	;; [unrolled: 1-line block ×6, first 2 shown]
	v_mov_b64_e32 v[2:3], s[12:13]
	v_mov_b64_e32 v[8:9], s[18:19]
	v_mov_b32_e32 v20, 0
	v_mov_b64_e32 v[4:5], s[14:15]
	v_mov_b64_e32 v[6:7], s[16:17]
	;; [unrolled: 1-line block ×3, first 2 shown]
	v_mov_b32_e32 v21, v20
	s_mov_b64 s[0:1], 0
	v_mov_b64_e32 v[14:15], v[6:7]
	v_mov_b64_e32 v[12:13], v[4:5]
	;; [unrolled: 1-line block ×3, first 2 shown]
	v_mov_b32_e32 v38, v20
	v_mov_b32_e32 v39, v20
                                        ; implicit-def: $sgpr26_sgpr27
                                        ; implicit-def: $vgpr40
	s_and_saveexec_b64 s[24:25], vcc
	s_cbranch_execz .LBB346_127
; %bb.88:
	v_cmp_ne_u16_sdwa s[0:1], v31, v31 src0_sel:DWORD src1_sel:WORD_1
	v_and_b32_e32 v2, 0xffff, v35
	v_or_b32_e32 v3, 4, v41
	v_cndmask_b32_e64 v4, 0, 1, s[0:1]
	v_lshl_or_b32 v20, v4, 16, v2
	v_cmp_gt_u32_e32 vcc, s86, v3
	v_mov_b64_e32 v[2:3], s[12:13]
	v_mov_b64_e32 v[8:9], s[18:19]
	;; [unrolled: 1-line block ×5, first 2 shown]
	v_mov_b32_e32 v21, s12
	s_mov_b64 s[0:1], 0
	v_mov_b32_e32 v38, 0
	v_mov_b64_e32 v[14:15], v[6:7]
	v_mov_b64_e32 v[12:13], v[4:5]
	;; [unrolled: 1-line block ×3, first 2 shown]
	v_mov_b32_e32 v39, 0
                                        ; implicit-def: $sgpr12_sgpr13
                                        ; implicit-def: $vgpr40
	s_and_saveexec_b64 s[26:27], vcc
	s_cbranch_execz .LBB346_126
; %bb.89:
	v_cmp_ne_u16_sdwa s[0:1], v31, v32 src0_sel:WORD_1 src1_sel:DWORD
	s_mov_b32 s12, 0
	v_or_b32_e32 v2, 5, v41
	v_cndmask_b32_e64 v3, 0, 1, s[0:1]
	s_mov_b32 s13, s12
	v_alignbit_b32 v21, v3, v35, 16
	v_cmp_gt_u32_e32 vcc, s86, v2
	s_mov_b32 s14, s12
	s_mov_b32 s15, s12
	;; [unrolled: 1-line block ×6, first 2 shown]
	v_mov_b64_e32 v[2:3], s[12:13]
	v_mov_b64_e32 v[8:9], s[18:19]
	v_mov_b64_e32 v[4:5], s[14:15]
	v_mov_b64_e32 v[6:7], s[16:17]
	v_mov_b64_e32 v[16:17], v[8:9]
	s_mov_b64 s[0:1], 0
	v_mov_b32_e32 v38, 0
	v_mov_b64_e32 v[14:15], v[6:7]
	v_mov_b64_e32 v[12:13], v[4:5]
	;; [unrolled: 1-line block ×3, first 2 shown]
	v_mov_b32_e32 v39, 0
                                        ; implicit-def: $sgpr30_sgpr31
                                        ; implicit-def: $vgpr40
	s_and_saveexec_b64 s[28:29], vcc
	s_cbranch_execz .LBB346_125
; %bb.90:
	v_cmp_ne_u16_sdwa s[0:1], v32, v32 src0_sel:DWORD src1_sel:WORD_1
	v_and_b32_e32 v2, 0xffff, v36
	v_or_b32_e32 v3, 6, v41
	v_cndmask_b32_e64 v4, 0, 1, s[0:1]
	v_lshl_or_b32 v38, v4, 16, v2
	v_cmp_gt_u32_e32 vcc, s86, v3
	v_mov_b64_e32 v[2:3], s[12:13]
	v_mov_b64_e32 v[8:9], s[18:19]
	v_mov_b64_e32 v[4:5], s[14:15]
	v_mov_b64_e32 v[6:7], s[16:17]
	v_mov_b64_e32 v[16:17], v[8:9]
	s_mov_b64 s[0:1], 0
	v_mov_b32_e32 v39, 0
	v_mov_b64_e32 v[14:15], v[6:7]
	v_mov_b64_e32 v[12:13], v[4:5]
	;; [unrolled: 1-line block ×3, first 2 shown]
                                        ; implicit-def: $sgpr12_sgpr13
                                        ; implicit-def: $vgpr40
	s_and_saveexec_b64 s[30:31], vcc
	s_cbranch_execz .LBB346_124
; %bb.91:
	s_mov_b32 s12, 0
	v_or_b32_e32 v3, 7, v41
	v_cmp_ne_u16_sdwa s[0:1], v32, v33 src0_sel:WORD_1 src1_sel:DWORD
	s_mov_b32 s13, s12
	v_cmp_gt_u32_e32 vcc, s86, v3
	v_cndmask_b32_e64 v2, 0, 1, s[0:1]
	v_mov_b32_e32 v3, 0
	s_mov_b32 s14, s12
	s_mov_b32 s15, s12
	;; [unrolled: 1-line block ×6, first 2 shown]
	v_mov_b64_e32 v[10:11], s[12:13]
	v_alignbit_b32 v2, v2, v36, 16
	v_mov_b32_e32 v4, v3
	v_mov_b32_e32 v5, v3
	;; [unrolled: 1-line block ×6, first 2 shown]
	s_mov_b64 s[0:1], 0
	v_mov_b64_e32 v[12:13], s[14:15]
	v_mov_b64_e32 v[14:15], s[16:17]
	;; [unrolled: 1-line block ×3, first 2 shown]
	v_mov_b32_e32 v39, v3
                                        ; implicit-def: $sgpr36_sgpr37
                                        ; implicit-def: $vgpr40
	s_and_saveexec_b64 s[34:35], vcc
	s_cbranch_execz .LBB346_123
; %bb.92:
	v_add_u32_e32 v4, 8, v41
	v_cmp_ne_u16_sdwa s[0:1], v33, v33 src0_sel:DWORD src1_sel:WORD_1
	v_and_b32_e32 v3, 0xffff, v37
	v_cmp_gt_u32_e32 vcc, s86, v4
	v_cndmask_b32_e64 v5, 0, 1, s[0:1]
	v_mov_b32_e32 v4, 0
	v_mov_b64_e32 v[10:11], s[12:13]
	v_lshl_or_b32 v3, v5, 16, v3
	v_mov_b32_e32 v5, v4
	v_mov_b32_e32 v6, v4
	;; [unrolled: 1-line block ×5, first 2 shown]
	s_mov_b64 s[0:1], 0
	v_mov_b64_e32 v[12:13], s[14:15]
	v_mov_b64_e32 v[14:15], s[16:17]
	;; [unrolled: 1-line block ×3, first 2 shown]
	v_mov_b32_e32 v39, v4
                                        ; implicit-def: $sgpr12_sgpr13
                                        ; implicit-def: $vgpr40
	s_and_saveexec_b64 s[36:37], vcc
	s_cbranch_execz .LBB346_122
; %bb.93:
	s_mov_b32 s12, 0
	v_add_u32_e32 v5, 9, v41
	v_cmp_ne_u16_sdwa s[0:1], v33, v26 src0_sel:WORD_1 src1_sel:DWORD
	s_mov_b32 s13, s12
	v_cmp_gt_u32_e32 vcc, s86, v5
	v_cndmask_b32_e64 v4, 0, 1, s[0:1]
	v_mov_b32_e32 v5, 0
	s_mov_b32 s14, s12
	s_mov_b32 s15, s12
	;; [unrolled: 1-line block ×6, first 2 shown]
	v_mov_b64_e32 v[10:11], s[12:13]
	v_alignbit_b32 v4, v4, v37, 16
	v_mov_b32_e32 v6, v5
	v_mov_b32_e32 v7, v5
	;; [unrolled: 1-line block ×4, first 2 shown]
	s_mov_b64 s[0:1], 0
	v_mov_b64_e32 v[12:13], s[14:15]
	v_mov_b64_e32 v[14:15], s[16:17]
	;; [unrolled: 1-line block ×3, first 2 shown]
	v_mov_b32_e32 v39, v5
                                        ; implicit-def: $sgpr40_sgpr41
                                        ; implicit-def: $vgpr40
	s_and_saveexec_b64 s[38:39], vcc
	s_cbranch_execz .LBB346_121
; %bb.94:
	ds_read_b128 v[30:33], v48 offset:18
	v_add_u32_e32 v5, 10, v41
	v_cmp_ne_u16_sdwa s[0:1], v26, v26 src0_sel:DWORD src1_sel:WORD_1
	v_cmp_gt_u32_e32 vcc, s86, v5
	v_mov_b64_e32 v[10:11], s[12:13]
	v_cndmask_b32_e64 v6, 0, 1, s[0:1]
	s_waitcnt lgkmcnt(0)
	v_and_b32_e32 v5, 0xffff, v30
	v_lshl_or_b32 v5, v6, 16, v5
	v_mov_b32_e32 v6, 0
	v_mov_b32_e32 v7, v6
	;; [unrolled: 1-line block ×4, first 2 shown]
	s_mov_b64 s[0:1], 0
	v_mov_b64_e32 v[12:13], s[14:15]
	v_mov_b64_e32 v[14:15], s[16:17]
	;; [unrolled: 1-line block ×3, first 2 shown]
	v_mov_b32_e32 v39, v6
                                        ; implicit-def: $sgpr12_sgpr13
                                        ; implicit-def: $vgpr40
	s_and_saveexec_b64 s[40:41], vcc
	s_cbranch_execz .LBB346_120
; %bb.95:
	s_mov_b32 s12, 0
	v_add_u32_e32 v7, 11, v41
	v_cmp_ne_u16_sdwa s[0:1], v26, v27 src0_sel:WORD_1 src1_sel:DWORD
	s_mov_b32 s13, s12
	v_cmp_gt_u32_e32 vcc, s86, v7
	v_cndmask_b32_e64 v6, 0, 1, s[0:1]
	v_mov_b32_e32 v7, 0
	s_mov_b32 s14, s12
	s_mov_b32 s15, s12
	;; [unrolled: 1-line block ×6, first 2 shown]
	v_mov_b64_e32 v[10:11], s[12:13]
	v_alignbit_b32 v6, v6, v30, 16
	v_mov_b32_e32 v8, v7
	v_mov_b32_e32 v9, v7
	s_mov_b64 s[0:1], 0
	v_mov_b64_e32 v[12:13], s[14:15]
	v_mov_b64_e32 v[14:15], s[16:17]
	;; [unrolled: 1-line block ×3, first 2 shown]
	v_mov_b32_e32 v39, v7
                                        ; implicit-def: $sgpr44_sgpr45
                                        ; implicit-def: $vgpr40
	s_and_saveexec_b64 s[42:43], vcc
	s_cbranch_execz .LBB346_119
; %bb.96:
	v_add_u32_e32 v8, 12, v41
	v_cmp_ne_u16_sdwa s[0:1], v27, v27 src0_sel:DWORD src1_sel:WORD_1
	v_and_b32_e32 v7, 0xffff, v31
	v_cmp_gt_u32_e32 vcc, s86, v8
	v_cndmask_b32_e64 v9, 0, 1, s[0:1]
	v_mov_b32_e32 v8, 0
	v_mov_b64_e32 v[10:11], s[12:13]
	v_lshl_or_b32 v7, v9, 16, v7
	v_mov_b32_e32 v9, v8
	s_mov_b64 s[0:1], 0
	v_mov_b64_e32 v[12:13], s[14:15]
	v_mov_b64_e32 v[14:15], s[16:17]
	;; [unrolled: 1-line block ×3, first 2 shown]
	v_mov_b32_e32 v39, v8
                                        ; implicit-def: $sgpr12_sgpr13
                                        ; implicit-def: $vgpr40
	s_and_saveexec_b64 s[44:45], vcc
	s_cbranch_execz .LBB346_118
; %bb.97:
	s_mov_b32 s12, 0
	v_cmp_ne_u16_sdwa s[0:1], v27, v28 src0_sel:WORD_1 src1_sel:DWORD
	s_mov_b32 s13, s12
	v_add_u32_e32 v9, 13, v41
	v_cndmask_b32_e64 v8, 0, 1, s[0:1]
	s_mov_b32 s14, s12
	s_mov_b32 s15, s12
	;; [unrolled: 1-line block ×6, first 2 shown]
	v_mov_b64_e32 v[10:11], s[12:13]
	v_alignbit_b32 v8, v8, v31, 16
	v_cmp_gt_u32_e32 vcc, s86, v9
	v_mov_b32_e32 v9, s12
	s_mov_b64 s[0:1], 0
	v_mov_b64_e32 v[12:13], s[14:15]
	v_mov_b64_e32 v[14:15], s[16:17]
	;; [unrolled: 1-line block ×3, first 2 shown]
	v_mov_b32_e32 v39, 0
                                        ; implicit-def: $sgpr48_sgpr49
                                        ; implicit-def: $vgpr40
	s_and_saveexec_b64 s[46:47], vcc
	s_cbranch_execz .LBB346_117
; %bb.98:
	v_cmp_ne_u16_sdwa s[0:1], v28, v28 src0_sel:DWORD src1_sel:WORD_1
	v_and_b32_e32 v9, 0xffff, v32
	v_add_u32_e32 v10, 14, v41
	v_cndmask_b32_e64 v11, 0, 1, s[0:1]
	v_lshl_or_b32 v9, v11, 16, v9
	v_cmp_gt_u32_e32 vcc, s86, v10
	v_mov_b64_e32 v[10:11], s[12:13]
	s_mov_b64 s[0:1], 0
	v_mov_b64_e32 v[12:13], s[14:15]
	v_mov_b64_e32 v[14:15], s[16:17]
	;; [unrolled: 1-line block ×3, first 2 shown]
	v_mov_b32_e32 v39, 0
                                        ; implicit-def: $sgpr14_sgpr15
                                        ; implicit-def: $vgpr40
	s_and_saveexec_b64 s[12:13], vcc
	s_cbranch_execz .LBB346_116
; %bb.99:
	v_cmp_ne_u16_sdwa s[0:1], v28, v29 src0_sel:WORD_1 src1_sel:DWORD
	s_mov_b32 s48, 0
	v_add_u32_e32 v10, 15, v41
	v_cndmask_b32_e64 v11, 0, 1, s[0:1]
	s_mov_b32 s49, s48
	v_alignbit_b32 v39, v11, v32, 16
	v_cmp_gt_u32_e32 vcc, s86, v10
	s_mov_b32 s50, s48
	s_mov_b32 s51, s48
	;; [unrolled: 1-line block ×6, first 2 shown]
	v_mov_b64_e32 v[10:11], s[48:49]
	s_mov_b64 s[0:1], 0
	v_mov_b64_e32 v[12:13], s[50:51]
	v_mov_b64_e32 v[14:15], s[52:53]
	;; [unrolled: 1-line block ×3, first 2 shown]
                                        ; implicit-def: $sgpr16_sgpr17
                                        ; implicit-def: $vgpr40
	s_and_saveexec_b64 s[14:15], vcc
	s_cbranch_execz .LBB346_115
; %bb.100:
	v_cmp_ne_u16_sdwa s[0:1], v29, v29 src0_sel:DWORD src1_sel:WORD_1
	v_and_b32_e32 v10, 0xffff, v33
	v_add_u32_e32 v11, 16, v41
	v_cndmask_b32_e64 v12, 0, 1, s[0:1]
	v_lshl_or_b32 v10, v12, 16, v10
	v_mov_b32_e32 v12, 0
	v_cmp_gt_u32_e32 vcc, s86, v11
	v_mov_b32_e32 v11, v12
	v_mov_b32_e32 v13, v12
	;; [unrolled: 1-line block ×6, first 2 shown]
	s_mov_b64 s[0:1], 0
                                        ; implicit-def: $sgpr18_sgpr19
                                        ; implicit-def: $vgpr40
	s_and_saveexec_b64 s[16:17], vcc
	s_cbranch_execz .LBB346_114
; %bb.101:
	v_cmp_ne_u16_sdwa s[0:1], v29, v22 src0_sel:WORD_1 src1_sel:DWORD
	v_add_u32_e32 v13, 17, v41
	v_cmp_gt_u32_e32 vcc, s86, v13
	v_cndmask_b32_e64 v11, 0, 1, s[0:1]
	v_alignbit_b32 v11, v11, v33, 16
	v_mov_b32_e32 v13, v12
	v_mov_b32_e32 v14, v12
	v_mov_b32_e32 v15, v12
	v_mov_b32_e32 v16, v12
	v_mov_b32_e32 v17, v12
	s_mov_b64 s[0:1], 0
                                        ; implicit-def: $sgpr48_sgpr49
                                        ; implicit-def: $vgpr40
	s_and_saveexec_b64 s[18:19], vcc
	s_cbranch_execz .LBB346_113
; %bb.102:
	ds_read_b96 v[26:28], v48 offset:34
	v_add_u32_e32 v12, 18, v41
	v_cmp_ne_u16_sdwa s[0:1], v22, v22 src0_sel:DWORD src1_sel:WORD_1
	v_cmp_gt_u32_e32 vcc, s86, v12
	v_mov_b32_e32 v14, 0
	v_cndmask_b32_e64 v13, 0, 1, s[0:1]
	s_waitcnt lgkmcnt(0)
	v_and_b32_e32 v12, 0xffff, v26
	v_lshl_or_b32 v12, v13, 16, v12
	v_mov_b32_e32 v13, v14
	v_mov_b32_e32 v15, v14
	;; [unrolled: 1-line block ×4, first 2 shown]
	s_mov_b64 s[0:1], 0
                                        ; implicit-def: $sgpr50_sgpr51
                                        ; implicit-def: $vgpr40
	s_and_saveexec_b64 s[48:49], vcc
	s_cbranch_execz .LBB346_112
; %bb.103:
	v_cmp_ne_u16_sdwa s[0:1], v22, v23 src0_sel:WORD_1 src1_sel:DWORD
	v_add_u32_e32 v15, 19, v41
	v_cmp_gt_u32_e32 vcc, s86, v15
	v_cndmask_b32_e64 v13, 0, 1, s[0:1]
	v_alignbit_b32 v13, v13, v26, 16
	v_mov_b32_e32 v15, v14
	v_mov_b32_e32 v16, v14
	;; [unrolled: 1-line block ×3, first 2 shown]
	s_mov_b64 s[0:1], 0
                                        ; implicit-def: $sgpr52_sgpr53
                                        ; implicit-def: $vgpr40
	s_and_saveexec_b64 s[50:51], vcc
	s_cbranch_execz .LBB346_111
; %bb.104:
	v_cmp_ne_u16_sdwa s[0:1], v23, v23 src0_sel:DWORD src1_sel:WORD_1
	v_and_b32_e32 v14, 0xffff, v27
	v_add_u32_e32 v15, 20, v41
	v_cndmask_b32_e64 v16, 0, 1, s[0:1]
	v_lshl_or_b32 v14, v16, 16, v14
	v_mov_b32_e32 v16, 0
	v_cmp_gt_u32_e32 vcc, s86, v15
	v_mov_b32_e32 v15, v16
	v_mov_b32_e32 v17, v16
	s_mov_b64 s[0:1], 0
                                        ; implicit-def: $sgpr54_sgpr55
                                        ; implicit-def: $vgpr40
	s_and_saveexec_b64 s[52:53], vcc
	s_cbranch_execz .LBB346_110
; %bb.105:
	v_cmp_ne_u16_sdwa s[0:1], v23, v24 src0_sel:WORD_1 src1_sel:DWORD
	v_add_u32_e32 v17, 21, v41
	v_cmp_gt_u32_e32 vcc, s86, v17
	v_cndmask_b32_e64 v15, 0, 1, s[0:1]
	v_alignbit_b32 v15, v15, v27, 16
	s_mov_b32 s9, 0
	v_mov_b32_e32 v17, v16
	s_mov_b64 s[0:1], 0
                                        ; implicit-def: $sgpr68_sgpr69
                                        ; implicit-def: $vgpr40
	s_and_saveexec_b64 s[54:55], vcc
	s_cbranch_execz .LBB346_109
; %bb.106:
	v_cmp_ne_u16_sdwa s[0:1], v24, v24 src0_sel:DWORD src1_sel:WORD_1
	v_and_b32_e32 v16, 0xffff, v28
	v_add_u32_e32 v17, 22, v41
	v_cndmask_b32_e64 v22, 0, 1, s[0:1]
	v_lshl_or_b32 v16, v22, 16, v16
	v_cmp_gt_u32_e32 vcc, s86, v17
	v_mov_b32_e32 v17, s9
	s_mov_b64 s[0:1], 0
                                        ; implicit-def: $sgpr68_sgpr69
                                        ; implicit-def: $vgpr40
	s_and_saveexec_b64 s[84:85], vcc
	s_xor_b64 s[84:85], exec, s[84:85]
	s_cbranch_execz .LBB346_108
; %bb.107:
	ds_read_u16 v40, v48 offset:46
	v_add_u32_e32 v22, 23, v41
	v_cmp_ne_u16_sdwa s[0:1], v24, v25 src0_sel:WORD_1 src1_sel:DWORD
	v_cmp_ne_u16_e32 vcc, v25, v49
	s_and_b64 s[68:69], vcc, exec
	v_cndmask_b32_e64 v17, 0, 1, s[0:1]
	v_cmp_gt_u32_e64 s[0:1], s86, v22
	v_alignbit_b32 v17, v17, v28, 16
	s_and_b64 s[0:1], s[0:1], exec
.LBB346_108:
	s_or_b64 exec, exec, s[84:85]
	s_and_b64 s[68:69], s[68:69], exec
	s_and_b64 s[0:1], s[0:1], exec
.LBB346_109:
	s_or_b64 exec, exec, s[54:55]
	s_and_b64 s[54:55], s[68:69], exec
	s_and_b64 s[0:1], s[0:1], exec
.LBB346_110:
	s_or_b64 exec, exec, s[52:53]
	s_and_b64 s[52:53], s[54:55], exec
	s_and_b64 s[0:1], s[0:1], exec
.LBB346_111:
	s_or_b64 exec, exec, s[50:51]
	s_and_b64 s[50:51], s[52:53], exec
	s_and_b64 s[0:1], s[0:1], exec
.LBB346_112:
	s_or_b64 exec, exec, s[48:49]
	s_and_b64 s[48:49], s[50:51], exec
	s_and_b64 s[0:1], s[0:1], exec
.LBB346_113:
	s_or_b64 exec, exec, s[18:19]
	s_and_b64 s[18:19], s[48:49], exec
	s_and_b64 s[0:1], s[0:1], exec
.LBB346_114:
	s_or_b64 exec, exec, s[16:17]
	s_and_b64 s[16:17], s[18:19], exec
	s_and_b64 s[0:1], s[0:1], exec
.LBB346_115:
	s_or_b64 exec, exec, s[14:15]
	s_and_b64 s[14:15], s[16:17], exec
	s_and_b64 s[0:1], s[0:1], exec
.LBB346_116:
	s_or_b64 exec, exec, s[12:13]
	s_and_b64 s[48:49], s[14:15], exec
	s_and_b64 s[0:1], s[0:1], exec
.LBB346_117:
	s_or_b64 exec, exec, s[46:47]
	s_and_b64 s[12:13], s[48:49], exec
	s_and_b64 s[0:1], s[0:1], exec
.LBB346_118:
	s_or_b64 exec, exec, s[44:45]
	s_and_b64 s[44:45], s[12:13], exec
	s_and_b64 s[0:1], s[0:1], exec
.LBB346_119:
	s_or_b64 exec, exec, s[42:43]
	s_and_b64 s[12:13], s[44:45], exec
	s_and_b64 s[0:1], s[0:1], exec
.LBB346_120:
	s_or_b64 exec, exec, s[40:41]
	s_and_b64 s[40:41], s[12:13], exec
	s_and_b64 s[0:1], s[0:1], exec
.LBB346_121:
	s_or_b64 exec, exec, s[38:39]
	s_and_b64 s[12:13], s[40:41], exec
	s_and_b64 s[0:1], s[0:1], exec
.LBB346_122:
	s_or_b64 exec, exec, s[36:37]
	s_and_b64 s[36:37], s[12:13], exec
	s_and_b64 s[0:1], s[0:1], exec
.LBB346_123:
	s_or_b64 exec, exec, s[34:35]
	s_and_b64 s[12:13], s[36:37], exec
	s_and_b64 s[0:1], s[0:1], exec
.LBB346_124:
	s_or_b64 exec, exec, s[30:31]
	s_and_b64 s[30:31], s[12:13], exec
	s_and_b64 s[0:1], s[0:1], exec
.LBB346_125:
	s_or_b64 exec, exec, s[28:29]
	s_and_b64 s[12:13], s[30:31], exec
	s_and_b64 s[0:1], s[0:1], exec
.LBB346_126:
	s_or_b64 exec, exec, s[26:27]
	s_and_b64 s[26:27], s[12:13], exec
	s_and_b64 s[0:1], s[0:1], exec
.LBB346_127:
	s_or_b64 exec, exec, s[24:25]
	s_and_b64 s[12:13], s[26:27], exec
	s_and_b64 s[0:1], s[0:1], exec
.LBB346_128:
	s_or_b64 exec, exec, s[22:23]
	s_and_b64 s[24:25], s[12:13], exec
	s_and_b64 s[22:23], s[0:1], exec
.LBB346_129:
	s_or_b64 exec, exec, s[20:21]
	s_and_b64 s[0:1], s[24:25], exec
	s_and_b64 s[12:13], s[22:23], exec
.LBB346_130:
	s_or_b64 exec, exec, s[10:11]
	s_and_b64 vcc, exec, s[6:7]
	v_lshlrev_b32_e32 v22, 1, v0
	s_cbranch_vccnz .LBB346_132
	s_branch .LBB346_140
.LBB346_131:
                                        ; implicit-def: $sgpr0_sgpr1
                                        ; implicit-def: $vgpr18_vgpr19_vgpr20_vgpr21
                                        ; implicit-def: $vgpr2_vgpr3_vgpr4_vgpr5_vgpr6_vgpr7_vgpr8_vgpr9
                                        ; implicit-def: $vgpr10_vgpr11_vgpr12_vgpr13_vgpr14_vgpr15_vgpr16_vgpr17
                                        ; implicit-def: $vgpr40
                                        ; implicit-def: $vgpr1
                                        ; implicit-def: $vgpr38
                                        ; implicit-def: $vgpr39
                                        ; implicit-def: $sgpr8
	s_and_b64 vcc, exec, s[6:7]
	v_lshlrev_b32_e32 v22, 1, v0
	s_cbranch_vccz .LBB346_140
.LBB346_132:
	v_mov_b32_e32 v23, 0
	v_lshl_add_u64 v[2:3], s[64:65], 0, v[22:23]
	v_add_co_u32_e32 v4, vcc, 0x1000, v2
	flat_load_ushort v1, v[2:3]
	flat_load_ushort v6, v[2:3] offset:512
	flat_load_ushort v7, v[2:3] offset:1024
	;; [unrolled: 1-line block ×7, first 2 shown]
	v_addc_co_u32_e32 v5, vcc, 0, v3, vcc
	v_add_co_u32_e32 v2, vcc, 0x2000, v2
	flat_load_ushort v13, v[4:5]
	flat_load_ushort v14, v[4:5] offset:512
	flat_load_ushort v15, v[4:5] offset:1024
	;; [unrolled: 1-line block ×7, first 2 shown]
	v_addc_co_u32_e32 v3, vcc, 0, v3, vcc
	flat_load_ushort v5, v[2:3]
	flat_load_ushort v21, v[2:3] offset:512
	flat_load_ushort v23, v[2:3] offset:1024
	;; [unrolled: 1-line block ×7, first 2 shown]
	v_mad_u32_u24 v4, v0, 46, v22
	s_cmp_eq_u64 s[82:83], 0
	s_waitcnt vmcnt(0) lgkmcnt(0)
	ds_write_b16 v22, v1
	ds_write_b16 v22, v6 offset:512
	ds_write_b16 v22, v7 offset:1024
	;; [unrolled: 1-line block ×23, first 2 shown]
	s_waitcnt lgkmcnt(0)
	s_barrier
	ds_read_b64 v[2:3], v4
	ds_read_u16 v5, v4 offset:8
	ds_read_b128 v[10:13], v4 offset:10
	ds_read_u16 v14, v4 offset:26
	ds_read_b32 v15, v4 offset:44
	ds_read2_b32 v[26:27], v4 offset0:9 offset1:10
	ds_read2_b32 v[24:25], v4 offset0:7 offset1:8
	s_cbranch_scc1 .LBB346_137
; %bb.133:
	s_andn2_b64 vcc, exec, s[72:73]
	s_cbranch_vccnz .LBB346_318
; %bb.134:
	s_lshl_b64 s[0:1], s[82:83], 1
	s_add_u32 s0, s74, s0
	s_addc_u32 s1, s75, s1
	s_add_u32 s0, s0, -2
	s_addc_u32 s1, s1, -1
	s_cbranch_execnz .LBB346_136
.LBB346_135:
	s_add_u32 s0, s64, -2
	s_addc_u32 s1, s65, -1
.LBB346_136:
	s_mov_b64 s[64:65], s[0:1]
.LBB346_137:
	v_mov_b64_e32 v[6:7], s[64:65]
	flat_load_ushort v6, v[6:7]
	s_movk_i32 s0, 0xffd2
	s_waitcnt lgkmcnt(0)
	v_lshrrev_b32_e32 v1, 16, v15
	v_mad_i32_i24 v7, v0, s0, v4
	ds_write_b16 v7, v1 offset:12288
	s_waitcnt lgkmcnt(0)
	s_barrier
	s_and_saveexec_b64 s[0:1], s[4:5]
	s_cbranch_execz .LBB346_139
; %bb.138:
	s_waitcnt vmcnt(0)
	v_mul_i32_i24_e32 v6, 0xffffffd2, v0
	v_add_u32_e32 v6, v4, v6
	ds_read_u16 v6, v6 offset:12286
.LBB346_139:
	s_or_b64 exec, exec, s[0:1]
	v_mov_b32_e32 v23, 0
	v_lshl_add_u64 v[8:9], s[62:63], 0, v[22:23]
	s_movk_i32 s0, 0x1000
	v_add_co_u32_e32 v16, vcc, s0, v8
	s_movk_i32 s0, 0x2000
	s_nop 0
	v_addc_co_u32_e32 v17, vcc, 0, v9, vcc
	s_waitcnt lgkmcnt(0)
	s_barrier
	flat_load_ushort v7, v[8:9]
	flat_load_ushort v18, v[8:9] offset:512
	flat_load_ushort v19, v[8:9] offset:1024
	;; [unrolled: 1-line block ×7, first 2 shown]
	v_add_co_u32_e32 v8, vcc, s0, v8
	flat_load_ushort v30, v[16:17]
	flat_load_ushort v31, v[16:17] offset:512
	flat_load_ushort v32, v[16:17] offset:1024
	;; [unrolled: 1-line block ×7, first 2 shown]
	v_addc_co_u32_e32 v9, vcc, 0, v9, vcc
	flat_load_ushort v16, v[8:9]
	flat_load_ushort v17, v[8:9] offset:512
	flat_load_ushort v38, v[8:9] offset:1024
	;; [unrolled: 1-line block ×7, first 2 shown]
	s_waitcnt vmcnt(0)
	v_cmp_ne_u16_e32 vcc, v6, v2
	v_cmp_ne_u16_sdwa s[6:7], v3, v5 src0_sel:WORD_1 src1_sel:DWORD
	v_cmp_ne_u16_e64 s[0:1], v15, v1
	v_cndmask_b32_e64 v1, 0, 1, vcc
	v_cndmask_b32_e64 v9, 0, 1, s[6:7]
	v_cmp_ne_u16_sdwa s[6:7], v2, v3 src0_sel:WORD_1 src1_sel:DWORD
	v_cmp_ne_u16_e32 vcc, v5, v10
	s_mov_b64 s[12:13], -1
	v_cndmask_b32_e64 v44, 0, 1, s[6:7]
	v_cmp_ne_u16_sdwa s[6:7], v3, v3 src0_sel:DWORD src1_sel:WORD_1
                                        ; implicit-def: $sgpr8
	s_waitcnt lgkmcnt(0)
	ds_write_b16 v22, v7
	ds_write_b16 v22, v18 offset:512
	ds_write_b16 v22, v19 offset:1024
	;; [unrolled: 1-line block ×23, first 2 shown]
	s_waitcnt lgkmcnt(0)
	s_barrier
	ds_read_b96 v[6:8], v4
	ds_read_b128 v[28:31], v4 offset:30
	ds_read_u16 v40, v4 offset:46
	ds_read2_b32 v[16:17], v4 offset0:3 offset1:4
	v_cndmask_b32_e64 v3, 0, 1, s[6:7]
	v_cmp_ne_u16_sdwa s[6:7], v2, v2 src0_sel:DWORD src1_sel:WORD_1
	s_waitcnt lgkmcnt(3)
	v_and_b32_e32 v19, 0xffff, v6
	v_and_b32_e32 v23, 0xffff, v7
	v_lshl_or_b32 v1, v1, 16, v19
	v_lshl_or_b32 v19, v44, 16, v23
	ds_read_u16 v23, v4 offset:28
	ds_read2_b32 v[32:33], v4 offset0:5 offset1:6
	v_cndmask_b32_e64 v2, 0, 1, s[6:7]
	v_cmp_ne_u16_sdwa s[6:7], v13, v13 src0_sel:DWORD src1_sel:WORD_1
	v_alignbit_b32 v18, v2, v6, 16
	v_cndmask_b32_e64 v2, 0, 1, vcc
	s_waitcnt lgkmcnt(0)
	v_and_b32_e32 v5, 0xffff, v33
	v_cndmask_b32_e64 v6, 0, 1, s[6:7]
	v_cmp_ne_u16_sdwa s[6:7], v12, v12 src0_sel:DWORD src1_sel:WORD_1
	v_and_b32_e32 v21, 0xffff, v8
	v_alignbit_b32 v38, v2, v8, 16
	v_and_b32_e32 v4, 0xffff, v32
	v_lshl_or_b32 v8, v6, 16, v5
	v_cndmask_b32_e64 v5, 0, 1, s[6:7]
	v_cmp_ne_u16_sdwa s[6:7], v11, v11 src0_sel:DWORD src1_sel:WORD_1
	v_alignbit_b32 v20, v3, v7, 16
	v_and_b32_e32 v3, 0xffff, v17
	v_lshl_or_b32 v6, v5, 16, v4
	v_cndmask_b32_e64 v4, 0, 1, s[6:7]
	v_cmp_ne_u16_sdwa s[6:7], v10, v10 src0_sel:DWORD src1_sel:WORD_1
	v_and_b32_e32 v2, 0xffff, v16
	v_lshl_or_b32 v4, v4, 16, v3
	v_cndmask_b32_e64 v3, 0, 1, s[6:7]
	v_cmp_ne_u16_sdwa s[6:7], v13, v14 src0_sel:WORD_1 src1_sel:DWORD
	v_lshl_or_b32 v2, v3, 16, v2
	v_lshl_or_b32 v21, v9, 16, v21
	v_cndmask_b32_e64 v3, 0, 1, s[6:7]
	v_cmp_ne_u16_sdwa s[6:7], v12, v13 src0_sel:WORD_1 src1_sel:DWORD
	v_alignbit_b32 v9, v3, v33, 16
	v_cmp_ne_u16_e32 vcc, v14, v24
	v_cndmask_b32_e64 v3, 0, 1, s[6:7]
	v_cmp_ne_u16_sdwa s[6:7], v11, v12 src0_sel:WORD_1 src1_sel:DWORD
	v_alignbit_b32 v7, v3, v32, 16
	v_and_b32_e32 v13, 0xffff, v31
	v_cndmask_b32_e64 v3, 0, 1, s[6:7]
	v_cmp_ne_u16_sdwa s[6:7], v10, v11 src0_sel:WORD_1 src1_sel:DWORD
	v_alignbit_b32 v5, v3, v17, 16
	v_and_b32_e32 v12, 0xffff, v30
	v_cndmask_b32_e64 v3, 0, 1, s[6:7]
	v_cmp_ne_u16_sdwa s[6:7], v27, v27 src0_sel:DWORD src1_sel:WORD_1
	v_alignbit_b32 v3, v3, v16, 16
	v_cndmask_b32_e64 v10, 0, 1, vcc
	v_cndmask_b32_e64 v14, 0, 1, s[6:7]
	v_cmp_ne_u16_sdwa s[6:7], v26, v26 src0_sel:DWORD src1_sel:WORD_1
	v_lshl_or_b32 v16, v14, 16, v13
	v_and_b32_e32 v11, 0xffff, v29
	v_cndmask_b32_e64 v13, 0, 1, s[6:7]
	v_cmp_ne_u16_sdwa s[6:7], v25, v25 src0_sel:DWORD src1_sel:WORD_1
	v_lshl_or_b32 v14, v13, 16, v12
	v_lshl_or_b32 v39, v10, 16, v23
	v_cndmask_b32_e64 v12, 0, 1, s[6:7]
	v_cmp_ne_u16_sdwa s[6:7], v24, v24 src0_sel:DWORD src1_sel:WORD_1
	v_and_b32_e32 v10, 0xffff, v28
	v_lshl_or_b32 v12, v12, 16, v11
	v_cndmask_b32_e64 v11, 0, 1, s[6:7]
	v_cmp_ne_u16_sdwa s[6:7], v27, v15 src0_sel:WORD_1 src1_sel:DWORD
	v_lshl_or_b32 v10, v11, 16, v10
	s_nop 0
	v_cndmask_b32_e64 v11, 0, 1, s[6:7]
	v_cmp_ne_u16_sdwa s[6:7], v26, v27 src0_sel:WORD_1 src1_sel:DWORD
	v_alignbit_b32 v17, v11, v31, 16
	s_nop 0
	v_cndmask_b32_e64 v11, 0, 1, s[6:7]
	v_cmp_ne_u16_sdwa s[6:7], v25, v26 src0_sel:WORD_1 src1_sel:DWORD
	v_alignbit_b32 v15, v11, v30, 16
	;; [unrolled: 4-line block ×3, first 2 shown]
	s_nop 0
	v_cndmask_b32_e64 v11, 0, 1, s[6:7]
	v_alignbit_b32 v11, v11, v28, 16
.LBB346_140:
	v_mov_b32_e32 v23, s8
	s_and_saveexec_b64 s[6:7], s[12:13]
	s_cbranch_execz .LBB346_142
; %bb.141:
	v_mov_b32_e32 v23, 0x10000
	v_cndmask_b32_e64 v23, 0, v23, s[0:1]
	s_waitcnt lgkmcnt(0)
	v_or_b32_sdwa v23, v23, v40 dst_sel:DWORD dst_unused:UNUSED_PAD src0_sel:DWORD src1_sel:WORD_0
.LBB346_142:
	s_or_b64 exec, exec, s[6:7]
	s_cmp_lg_u32 s79, 0
	v_mbcnt_lo_u32_b32 v34, -1, 0
	s_waitcnt lgkmcnt(0)
	s_barrier
	s_cbranch_scc0 .LBB346_209
; %bb.143:
	s_mov_b32 s0, 0x10000
	v_cmp_gt_u32_e64 s[6:7], s0, v18
	v_cmp_gt_u32_e64 s[8:9], s0, v19
	v_cmp_gt_u32_e64 s[10:11], s0, v20
	v_cndmask_b32_e64 v24, 0, v1, s[6:7]
	v_add_u16_e32 v24, v24, v18
	v_cndmask_b32_e64 v24, 0, v24, s[8:9]
	v_add_u16_e32 v24, v24, v19
	v_cndmask_b32_e64 v24, 0, v24, s[10:11]
	v_add_u16_e32 v24, v24, v20
	v_cmp_gt_u32_e64 s[12:13], s0, v21
	v_cmp_gt_u32_e64 s[14:15], s0, v38
	v_cmp_gt_u32_e64 s[16:17], s0, v2
	v_cndmask_b32_e64 v24, 0, v24, s[12:13]
	v_add_u16_e32 v24, v24, v21
	v_cndmask_b32_e64 v24, 0, v24, s[14:15]
	v_add_u16_e32 v24, v24, v38
	v_cndmask_b32_e64 v24, 0, v24, s[16:17]
	v_add_u16_e32 v24, v24, v2
	;; [unrolled: 9-line block ×5, first 2 shown]
	v_cmp_gt_u32_e64 s[38:39], s0, v11
	v_cmp_gt_u32_e64 s[40:41], s0, v12
	v_or3_b32 v25, v23, v17, v16
	v_cndmask_b32_e64 v24, 0, v24, s[38:39]
	v_add_u16_e32 v24, v24, v11
	v_cndmask_b32_e64 v24, 0, v24, s[40:41]
	v_add_u16_e32 v24, v24, v12
	v_cmp_gt_u32_e64 s[42:43], s0, v13
	v_or3_b32 v25, v25, v15, v14
	v_or3_b32 v25, v25, v13, v12
	v_cndmask_b32_e64 v24, 0, v24, s[42:43]
	v_add_u16_e32 v24, v24, v13
	v_cmp_gt_u32_e64 s[44:45], s0, v14
	v_or3_b32 v25, v25, v11, v10
	v_or3_b32 v25, v25, v39, v9
	;; [unrolled: 5-line block ×5, first 2 shown]
	v_cndmask_b32_e64 v24, 0, v24, s[50:51]
	v_add_u16_e32 v24, v24, v17
	v_cmp_gt_u32_e64 s[52:53], s0, v23
	v_and_b32_e32 v25, 0x10000, v25
	v_lshrrev_b32_e32 v35, 16, v1
	v_cndmask_b32_e64 v26, 0, v24, s[52:53]
	v_cmp_ne_u32_e32 vcc, 0, v25
	v_add_u16_e32 v24, v26, v23
	v_mbcnt_hi_u32_b32 v27, -1, v34
	v_cndmask_b32_e64 v25, v35, 1, vcc
	v_add_u16_e32 v26, v26, v23
	v_and_b32_e32 v29, 15, v27
	v_lshl_or_b32 v26, v25, 16, v26
	v_cmp_ne_u32_e32 vcc, 0, v29
	s_nop 0
	v_mov_b32_dpp v28, v26 row_shr:1 row_mask:0xf bank_mask:0xf
	s_and_saveexec_b64 s[0:1], vcc
	s_cbranch_execz .LBB346_145
; %bb.144:
	v_cmp_eq_u32_e32 vcc, 0, v25
	v_and_b32_e32 v25, 1, v25
	v_mov_b32_e32 v31, 1
	v_cndmask_b32_e32 v26, 0, v28, vcc
	v_and_b32_sdwa v28, v28, v31 dst_sel:DWORD dst_unused:UNUSED_PAD src0_sel:WORD_1 src1_sel:DWORD
	v_cmp_eq_u32_e32 vcc, 1, v25
	v_add_u16_e32 v30, v26, v24
	v_add_u16_e32 v24, v26, v24
	v_cndmask_b32_e64 v25, v28, 1, vcc
	v_lshlrev_b32_e32 v28, 16, v25
	v_or_b32_e32 v26, v28, v24
	v_mov_b32_e32 v24, v30
.LBB346_145:
	s_or_b64 exec, exec, s[0:1]
	v_lshrrev_b32_e32 v28, 16, v26
	v_mov_b32_dpp v30, v26 row_shr:2 row_mask:0xf bank_mask:0xf
	v_cmp_lt_u32_e32 vcc, 1, v29
	s_and_saveexec_b64 s[0:1], vcc
	s_cbranch_execz .LBB346_147
; %bb.146:
	s_mov_b32 s54, 0x10000
	v_cmp_gt_u32_e32 vcc, s54, v26
	v_and_b32_e32 v25, 0x10000, v26
	v_mov_b32_e32 v26, 1
	v_cndmask_b32_e32 v28, 0, v30, vcc
	v_and_b32_sdwa v26, v30, v26 dst_sel:DWORD dst_unused:UNUSED_PAD src0_sel:WORD_1 src1_sel:DWORD
	v_cmp_ne_u32_e32 vcc, 0, v25
	v_add_u16_e32 v31, v28, v24
	v_add_u16_e32 v24, v28, v24
	v_cndmask_b32_e64 v25, v26, 1, vcc
	v_lshlrev_b32_e32 v26, 16, v25
	v_or_b32_e32 v26, v26, v24
	v_mov_b32_e32 v28, v25
	v_mov_b32_e32 v24, v31
.LBB346_147:
	s_or_b64 exec, exec, s[0:1]
	v_mov_b32_dpp v30, v26 row_shr:4 row_mask:0xf bank_mask:0xf
	v_cmp_lt_u32_e32 vcc, 3, v29
	s_and_saveexec_b64 s[0:1], vcc
	s_cbranch_execz .LBB346_149
; %bb.148:
	v_mov_b32_e32 v25, 0
	v_cmp_eq_u16_sdwa vcc, v28, v25 src0_sel:BYTE_0 src1_sel:DWORD
	v_and_b32_e32 v25, 1, v28
	v_mov_b32_e32 v28, 1
	v_cndmask_b32_e32 v26, 0, v30, vcc
	v_and_b32_sdwa v28, v30, v28 dst_sel:DWORD dst_unused:UNUSED_PAD src0_sel:WORD_1 src1_sel:DWORD
	v_cmp_eq_u32_e32 vcc, 1, v25
	v_add_u16_e32 v31, v26, v24
	v_add_u16_e32 v24, v26, v24
	v_cndmask_b32_e64 v25, v28, 1, vcc
	v_lshlrev_b32_e32 v28, 16, v25
	v_or_b32_e32 v26, v28, v24
	v_mov_b32_e32 v28, v25
	v_mov_b32_e32 v24, v31
.LBB346_149:
	s_or_b64 exec, exec, s[0:1]
	v_mov_b32_dpp v30, v26 row_shr:8 row_mask:0xf bank_mask:0xf
	v_cmp_lt_u32_e32 vcc, 7, v29
	s_and_saveexec_b64 s[0:1], vcc
	s_cbranch_execz .LBB346_151
; %bb.150:
	v_mov_b32_e32 v25, 0
	v_cmp_eq_u16_sdwa vcc, v28, v25 src0_sel:BYTE_0 src1_sel:DWORD
	v_and_b32_e32 v25, 1, v28
	v_mov_b32_e32 v28, 1
	v_cndmask_b32_e32 v26, 0, v30, vcc
	v_and_b32_sdwa v28, v30, v28 dst_sel:DWORD dst_unused:UNUSED_PAD src0_sel:WORD_1 src1_sel:DWORD
	v_cmp_eq_u32_e32 vcc, 1, v25
	v_add_u16_e32 v29, v26, v24
	v_add_u16_e32 v24, v26, v24
	v_cndmask_b32_e64 v25, v28, 1, vcc
	v_lshlrev_b32_e32 v28, 16, v25
	v_or_b32_e32 v26, v28, v24
	v_mov_b32_e32 v28, v25
	v_mov_b32_e32 v24, v29
.LBB346_151:
	s_or_b64 exec, exec, s[0:1]
	v_and_b32_e32 v30, 16, v27
	v_mov_b32_dpp v29, v26 row_bcast:15 row_mask:0xf bank_mask:0xf
	v_cmp_ne_u32_e32 vcc, 0, v30
	s_and_saveexec_b64 s[0:1], vcc
	s_cbranch_execz .LBB346_153
; %bb.152:
	v_mov_b32_e32 v25, 0
	v_cmp_eq_u16_sdwa vcc, v28, v25 src0_sel:BYTE_0 src1_sel:DWORD
	v_and_b32_e32 v25, 1, v28
	v_mov_b32_e32 v28, 1
	v_cndmask_b32_e32 v26, 0, v29, vcc
	v_and_b32_sdwa v28, v29, v28 dst_sel:DWORD dst_unused:UNUSED_PAD src0_sel:WORD_1 src1_sel:DWORD
	v_cmp_eq_u32_e32 vcc, 1, v25
	v_add_u16_e32 v30, v26, v24
	v_add_u16_e32 v24, v26, v24
	v_cndmask_b32_e64 v25, v28, 1, vcc
	v_lshlrev_b32_e32 v28, 16, v25
	v_or_b32_e32 v26, v28, v24
	v_mov_b32_e32 v24, v30
	v_mov_b32_e32 v28, v25
.LBB346_153:
	s_or_b64 exec, exec, s[0:1]
	v_mov_b32_dpp v26, v26 row_bcast:31 row_mask:0xf bank_mask:0xf
	v_cmp_lt_u32_e32 vcc, 31, v27
	s_and_saveexec_b64 s[0:1], vcc
; %bb.154:
	v_mov_b32_e32 v25, 0
	v_cmp_eq_u16_sdwa vcc, v28, v25 src0_sel:BYTE_0 src1_sel:DWORD
	s_nop 1
	v_cndmask_b32_e32 v25, 0, v26, vcc
	v_add_u16_e32 v24, v25, v24
	v_and_b32_e32 v25, 1, v28
	v_mov_b32_e32 v28, 1
	v_and_b32_sdwa v26, v26, v28 dst_sel:DWORD dst_unused:UNUSED_PAD src0_sel:WORD_1 src1_sel:DWORD
	v_cmp_eq_u32_e32 vcc, 1, v25
	s_nop 1
	v_cndmask_b32_e64 v25, v26, 1, vcc
; %bb.155:
	s_or_b64 exec, exec, s[0:1]
	v_or_b32_e32 v28, 63, v0
	v_lshrrev_b32_e32 v26, 6, v0
	v_cmp_eq_u32_e32 vcc, v28, v0
	s_and_saveexec_b64 s[0:1], vcc
	s_cbranch_execz .LBB346_157
; %bb.156:
	v_lshlrev_b32_e32 v28, 2, v26
	ds_write_b16 v28, v24
	ds_write_b8 v28, v25 offset:2
.LBB346_157:
	s_or_b64 exec, exec, s[0:1]
	v_cmp_gt_u32_e32 vcc, 4, v0
	s_waitcnt lgkmcnt(0)
	s_barrier
	s_and_saveexec_b64 s[0:1], vcc
	s_cbranch_execz .LBB346_163
; %bb.158:
	v_lshlrev_b32_e32 v28, 2, v0
	ds_read_b32 v29, v28
	v_and_b32_e32 v32, 3, v27
	v_cmp_ne_u32_e32 vcc, 0, v32
	s_waitcnt lgkmcnt(0)
	v_lshrrev_b32_e32 v31, 16, v29
	v_mov_b32_dpp v33, v29 row_shr:1 row_mask:0xf bank_mask:0xf
	v_mov_b32_e32 v30, v29
	s_and_saveexec_b64 s[54:55], vcc
	s_cbranch_execz .LBB346_160
; %bb.159:
	v_mov_b32_e32 v30, 0
	v_cmp_eq_u16_sdwa vcc, v31, v30 src0_sel:BYTE_0 src1_sel:DWORD
	v_and_b32_e32 v31, 0x10000, v29
	v_mov_b32_e32 v40, 1
	v_cndmask_b32_e32 v37, 0, v33, vcc
	v_and_b32_sdwa v33, v33, v40 dst_sel:DWORD dst_unused:UNUSED_PAD src0_sel:WORD_1 src1_sel:DWORD
	v_cmp_ne_u32_e32 vcc, 0, v31
	v_and_b32_e32 v36, 0xff000000, v29
	v_add_u16_e32 v30, v37, v29
	v_cndmask_b32_e64 v31, v33, 1, vcc
	v_lshlrev_b32_e32 v33, 16, v31
	v_add_u16_e32 v29, v37, v29
	v_or3_b32 v29, v33, v36, v29
.LBB346_160:
	s_or_b64 exec, exec, s[54:55]
	s_nop 0
	v_mov_b32_dpp v33, v29 row_shr:2 row_mask:0xf bank_mask:0xf
	v_cmp_lt_u32_e32 vcc, 1, v32
	s_and_saveexec_b64 s[54:55], vcc
; %bb.161:
	v_and_b32_e32 v31, 0xff0000, v29
	v_cmp_eq_u32_e32 vcc, 0, v31
	v_and_b32_e32 v29, 0x10000, v29
	s_nop 0
	v_cndmask_b32_e32 v31, 0, v33, vcc
	v_add_u16_e32 v30, v31, v30
	v_mov_b32_e32 v31, 1
	v_and_b32_sdwa v31, v33, v31 dst_sel:DWORD dst_unused:UNUSED_PAD src0_sel:WORD_1 src1_sel:DWORD
	v_cmp_eq_u32_e32 vcc, 0, v29
	s_nop 1
	v_cndmask_b32_e32 v31, 1, v31, vcc
; %bb.162:
	s_or_b64 exec, exec, s[54:55]
	ds_write_b16 v28, v30
	ds_write_b8 v28, v31 offset:2
.LBB346_163:
	s_or_b64 exec, exec, s[0:1]
	v_cmp_gt_u32_e32 vcc, 64, v0
	v_cmp_lt_u32_e64 s[0:1], 63, v0
	v_mov_b32_e32 v36, 0
	v_mov_b32_e32 v37, 0
	s_waitcnt lgkmcnt(0)
	s_barrier
	s_and_saveexec_b64 s[54:55], s[0:1]
	s_cbranch_execz .LBB346_165
; %bb.164:
	v_lshl_add_u32 v26, v26, 2, -4
	ds_read_u16 v36, v26
	ds_read_u8 v37, v26 offset:2
	v_mov_b32_e32 v28, 0
	v_and_b32_e32 v29, 1, v25
	v_cmp_eq_u16_sdwa s[0:1], v25, v28 src0_sel:BYTE_0 src1_sel:DWORD
	s_waitcnt lgkmcnt(1)
	s_nop 0
	v_cndmask_b32_e64 v25, 0, v36, s[0:1]
	v_cmp_eq_u32_e64 s[0:1], 1, v29
	v_add_u16_e32 v24, v25, v24
	s_waitcnt lgkmcnt(0)
	v_cndmask_b32_e64 v25, v37, 1, s[0:1]
.LBB346_165:
	s_or_b64 exec, exec, s[54:55]
	v_and_b32_e32 v25, 0xff, v25
	v_and_b32_e32 v24, 0xffff, v24
	v_lshl_or_b32 v24, v25, 16, v24
	v_add_u32_e32 v25, -1, v27
	v_and_b32_e32 v26, 64, v27
	v_cmp_lt_i32_e64 s[0:1], v25, v26
	v_cmp_eq_u32_e64 s[54:55], 0, v27
	s_nop 0
	v_cndmask_b32_e64 v25, v25, v27, s[0:1]
	v_lshlrev_b32_e32 v25, 2, v25
	ds_bpermute_b32 v40, v25, v24
	s_and_saveexec_b64 s[0:1], vcc
	s_cbranch_execz .LBB346_208
; %bb.166:
	v_mov_b32_e32 v31, 0
	ds_read_b32 v24, v31 offset:12
	s_and_saveexec_b64 s[62:63], s[54:55]
	s_cbranch_execz .LBB346_168
; %bb.167:
	s_add_i32 s64, s79, 64
	s_mov_b32 s65, 0
	s_lshl_b64 s[64:65], s[64:65], 3
	s_add_u32 s64, s76, s64
	v_mov_b32_e32 v25, 1
	s_addc_u32 s65, s77, s65
	s_waitcnt lgkmcnt(0)
	global_store_dwordx2 v31, v[24:25], s[64:65] sc1
.LBB346_168:
	s_or_b64 exec, exec, s[62:63]
	v_xad_u32 v26, v27, -1, s79
	v_add_u32_e32 v30, 64, v26
	v_lshl_add_u64 v[32:33], v[30:31], 3, s[76:77]
	global_load_dwordx2 v[28:29], v[32:33], off sc1
	s_waitcnt vmcnt(0)
	v_cmp_eq_u16_sdwa s[64:65], v29, v31 src0_sel:BYTE_0 src1_sel:DWORD
	s_and_saveexec_b64 s[62:63], s[64:65]
	s_cbranch_execz .LBB346_172
; %bb.169:
	s_mov_b64 s[64:65], 0
	v_mov_b32_e32 v25, 0
.LBB346_170:                            ; =>This Inner Loop Header: Depth=1
	global_load_dwordx2 v[28:29], v[32:33], off sc1
	s_waitcnt vmcnt(0)
	v_cmp_ne_u16_sdwa s[68:69], v29, v25 src0_sel:BYTE_0 src1_sel:DWORD
	s_or_b64 s[64:65], s[68:69], s[64:65]
	s_andn2_b64 exec, exec, s[64:65]
	s_cbranch_execnz .LBB346_170
; %bb.171:
	s_or_b64 exec, exec, s[64:65]
.LBB346_172:
	s_or_b64 exec, exec, s[62:63]
	v_mov_b32_e32 v25, 2
	v_cmp_eq_u16_sdwa s[62:63], v29, v25 src0_sel:BYTE_0 src1_sel:DWORD
	v_lshlrev_b64 v[30:31], v27, -1
	v_and_b32_e32 v52, 0xffffff, v28
	v_and_b32_e32 v25, s63, v31
	v_or_b32_e32 v25, 0x80000000, v25
	v_ffbl_b32_e32 v25, v25
	v_add_u32_e32 v33, 32, v25
	v_and_b32_e32 v25, 63, v27
	v_cmp_ne_u32_e32 vcc, 63, v25
	v_and_b32_e32 v32, s62, v30
	v_ffbl_b32_e32 v32, v32
	v_addc_co_u32_e32 v41, vcc, 0, v27, vcc
	v_lshlrev_b32_e32 v41, 2, v41
	ds_bpermute_b32 v42, v41, v52
	v_min_u32_e32 v33, v32, v33
	v_lshrrev_b32_e32 v32, 16, v28
	v_cmp_lt_u32_e32 vcc, v25, v33
	v_bfe_u32 v50, v28, 16, 8
	s_and_saveexec_b64 s[62:63], vcc
	s_cbranch_execz .LBB346_174
; %bb.173:
	v_and_b32_e32 v32, 0xff0000, v28
	v_cmp_eq_u32_e32 vcc, 0, v32
	v_and_b32_e32 v32, 0x10000, v32
	v_mov_b32_e32 v45, 1
	s_waitcnt lgkmcnt(0)
	v_cndmask_b32_e32 v43, 0, v42, vcc
	v_and_b32_sdwa v42, v42, v45 dst_sel:DWORD dst_unused:UNUSED_PAD src0_sel:WORD_1 src1_sel:DWORD
	v_cmp_ne_u32_e32 vcc, 0, v32
	v_add_u16_e32 v44, v43, v28
	v_add_u16_e32 v28, v43, v28
	v_cndmask_b32_e64 v32, v42, 1, vcc
	v_lshlrev_b32_e32 v42, 16, v32
	v_or_b32_e32 v52, v42, v28
	v_mov_b32_e32 v28, v44
	v_mov_b32_e32 v50, v32
.LBB346_174:
	s_or_b64 exec, exec, s[62:63]
	v_cmp_gt_u32_e32 vcc, 62, v25
	v_add_u32_e32 v43, 2, v25
	s_waitcnt lgkmcnt(0)
	v_cndmask_b32_e64 v42, 0, 1, vcc
	v_lshlrev_b32_e32 v42, 1, v42
	v_add_lshl_u32 v42, v42, v27, 2
	ds_bpermute_b32 v44, v42, v52
	v_cmp_le_u32_e32 vcc, v43, v33
	s_and_saveexec_b64 s[62:63], vcc
	s_cbranch_execz .LBB346_176
; %bb.175:
	v_cmp_eq_u16_e32 vcc, 0, v50
	v_and_b32_e32 v32, 1, v50
	v_mov_b32_e32 v47, 1
	s_waitcnt lgkmcnt(0)
	v_cndmask_b32_e32 v45, 0, v44, vcc
	v_and_b32_sdwa v44, v44, v47 dst_sel:DWORD dst_unused:UNUSED_PAD src0_sel:WORD_1 src1_sel:DWORD
	v_cmp_eq_u32_e32 vcc, 1, v32
	v_add_u16_e32 v46, v45, v28
	v_add_u16_e32 v28, v45, v28
	v_cndmask_b32_e64 v32, v44, 1, vcc
	v_lshlrev_b32_e32 v44, 16, v32
	v_or_b32_e32 v52, v44, v28
	v_mov_b32_e32 v28, v46
	v_mov_b32_e32 v50, v32
.LBB346_176:
	s_or_b64 exec, exec, s[62:63]
	v_cmp_gt_u32_e32 vcc, 60, v25
	v_add_u32_e32 v45, 4, v25
	s_waitcnt lgkmcnt(0)
	v_cndmask_b32_e64 v44, 0, 1, vcc
	v_lshlrev_b32_e32 v44, 2, v44
	v_add_lshl_u32 v44, v44, v27, 2
	ds_bpermute_b32 v46, v44, v52
	v_cmp_le_u32_e32 vcc, v45, v33
	s_and_saveexec_b64 s[62:63], vcc
	s_cbranch_execz .LBB346_178
; %bb.177:
	v_cmp_eq_u16_e32 vcc, 0, v50
	v_and_b32_e32 v32, 1, v50
	v_mov_b32_e32 v49, 1
	s_waitcnt lgkmcnt(0)
	v_cndmask_b32_e32 v47, 0, v46, vcc
	v_and_b32_sdwa v46, v46, v49 dst_sel:DWORD dst_unused:UNUSED_PAD src0_sel:WORD_1 src1_sel:DWORD
	v_cmp_eq_u32_e32 vcc, 1, v32
	v_add_u16_e32 v48, v47, v28
	v_add_u16_e32 v28, v47, v28
	v_cndmask_b32_e64 v32, v46, 1, vcc
	v_lshlrev_b32_e32 v46, 16, v32
	v_or_b32_e32 v52, v46, v28
	v_mov_b32_e32 v28, v48
	v_mov_b32_e32 v50, v32
.LBB346_178:
	s_or_b64 exec, exec, s[62:63]
	v_cmp_gt_u32_e32 vcc, 56, v25
	v_add_u32_e32 v47, 8, v25
	s_waitcnt lgkmcnt(0)
	v_cndmask_b32_e64 v46, 0, 1, vcc
	v_lshlrev_b32_e32 v46, 3, v46
	v_add_lshl_u32 v46, v46, v27, 2
	ds_bpermute_b32 v48, v46, v52
	v_cmp_le_u32_e32 vcc, v47, v33
	s_and_saveexec_b64 s[62:63], vcc
	s_cbranch_execz .LBB346_180
; %bb.179:
	v_cmp_eq_u16_e32 vcc, 0, v50
	v_and_b32_e32 v32, 1, v50
	v_mov_b32_e32 v50, 1
	s_waitcnt lgkmcnt(0)
	v_cndmask_b32_e32 v49, 0, v48, vcc
	v_and_b32_sdwa v48, v48, v50 dst_sel:DWORD dst_unused:UNUSED_PAD src0_sel:WORD_1 src1_sel:DWORD
	v_cmp_eq_u32_e32 vcc, 1, v32
	v_add_u16_e32 v51, v49, v28
	v_add_u16_e32 v28, v49, v28
	v_cndmask_b32_e64 v32, v48, 1, vcc
	v_lshlrev_b32_e32 v48, 16, v32
	v_or_b32_e32 v52, v48, v28
	v_mov_b32_e32 v28, v51
	v_mov_b32_e32 v50, v32
.LBB346_180:
	s_or_b64 exec, exec, s[62:63]
	v_cmp_gt_u32_e32 vcc, 48, v25
	v_add_u32_e32 v49, 16, v25
	s_waitcnt lgkmcnt(0)
	v_cndmask_b32_e64 v48, 0, 1, vcc
	v_lshlrev_b32_e32 v48, 4, v48
	v_add_lshl_u32 v48, v48, v27, 2
	ds_bpermute_b32 v51, v48, v52
	v_cmp_le_u32_e32 vcc, v49, v33
	s_and_saveexec_b64 s[62:63], vcc
	s_cbranch_execz .LBB346_182
; %bb.181:
	v_cmp_eq_u16_e32 vcc, 0, v50
	v_and_b32_e32 v32, 1, v50
	v_mov_b32_e32 v50, 1
	s_waitcnt lgkmcnt(0)
	v_cndmask_b32_e32 v52, 0, v51, vcc
	v_and_b32_sdwa v50, v51, v50 dst_sel:DWORD dst_unused:UNUSED_PAD src0_sel:WORD_1 src1_sel:DWORD
	v_cmp_eq_u32_e32 vcc, 1, v32
	v_add_u16_e32 v53, v52, v28
	v_add_u16_e32 v28, v52, v28
	v_cndmask_b32_e64 v32, v50, 1, vcc
	v_lshlrev_b32_e32 v50, 16, v32
	v_or_b32_e32 v52, v50, v28
	v_mov_b32_e32 v28, v53
	v_mov_b32_e32 v50, v32
.LBB346_182:
	s_or_b64 exec, exec, s[62:63]
	v_cmp_gt_u32_e32 vcc, 32, v25
	s_waitcnt lgkmcnt(0)
	s_nop 0
	v_cndmask_b32_e64 v51, 0, 1, vcc
	v_lshlrev_b32_e32 v51, 5, v51
	v_add_lshl_u32 v51, v51, v27, 2
	ds_bpermute_b32 v27, v51, v52
	v_add_u32_e32 v52, 32, v25
	v_cmp_le_u32_e32 vcc, v52, v33
	s_and_saveexec_b64 s[62:63], vcc
	s_cbranch_execz .LBB346_184
; %bb.183:
	v_cmp_eq_u16_e32 vcc, 0, v50
	v_mov_b32_e32 v33, 1
	s_waitcnt lgkmcnt(0)
	v_cndmask_b32_e32 v32, 0, v27, vcc
	v_add_u16_e32 v28, v32, v28
	v_and_b32_e32 v32, 1, v50
	v_and_b32_sdwa v27, v27, v33 dst_sel:DWORD dst_unused:UNUSED_PAD src0_sel:WORD_1 src1_sel:DWORD
	v_cmp_eq_u32_e32 vcc, 1, v32
	s_nop 1
	v_cndmask_b32_e64 v32, v27, 1, vcc
.LBB346_184:
	s_or_b64 exec, exec, s[62:63]
	s_waitcnt lgkmcnt(0)
	v_mov_b32_e32 v27, 0
	v_mov_b32_e32 v54, 2
	;; [unrolled: 1-line block ×3, first 2 shown]
	s_branch .LBB346_186
.LBB346_185:                            ;   in Loop: Header=BB346_186 Depth=1
	s_or_b64 exec, exec, s[62:63]
	v_cmp_eq_u16_sdwa vcc, v50, v27 src0_sel:BYTE_0 src1_sel:DWORD
	v_and_b32_e32 v32, 1, v50
	v_and_b32_e32 v33, 1, v33
	v_cndmask_b32_e32 v28, 0, v28, vcc
	v_cmp_eq_u32_e32 vcc, 1, v32
	v_subrev_u32_e32 v26, 64, v26
	v_add_u16_e32 v28, v28, v53
	v_cndmask_b32_e64 v32, v33, 1, vcc
.LBB346_186:                            ; =>This Loop Header: Depth=1
                                        ;     Child Loop BB346_189 Depth 2
	v_cmp_ne_u16_sdwa s[62:63], v29, v54 src0_sel:BYTE_0 src1_sel:DWORD
	v_mov_b32_e32 v50, v32
	v_mov_b32_e32 v53, v28
	v_cndmask_b32_e64 v29, 0, 1, s[62:63]
	;;#ASMSTART
	;;#ASMEND
	s_nop 0
	v_cmp_ne_u32_e32 vcc, 0, v29
	s_cmp_lg_u64 vcc, exec
	s_cbranch_scc1 .LBB346_203
; %bb.187:                              ;   in Loop: Header=BB346_186 Depth=1
	v_lshl_add_u64 v[32:33], v[26:27], 3, s[76:77]
	global_load_dwordx2 v[28:29], v[32:33], off sc1
	s_waitcnt vmcnt(0)
	v_cmp_eq_u16_sdwa s[64:65], v29, v27 src0_sel:BYTE_0 src1_sel:DWORD
	s_and_saveexec_b64 s[62:63], s[64:65]
	s_cbranch_execz .LBB346_191
; %bb.188:                              ;   in Loop: Header=BB346_186 Depth=1
	s_mov_b64 s[64:65], 0
.LBB346_189:                            ;   Parent Loop BB346_186 Depth=1
                                        ; =>  This Inner Loop Header: Depth=2
	global_load_dwordx2 v[28:29], v[32:33], off sc1
	s_waitcnt vmcnt(0)
	v_cmp_ne_u16_sdwa s[68:69], v29, v27 src0_sel:BYTE_0 src1_sel:DWORD
	s_or_b64 s[64:65], s[68:69], s[64:65]
	s_andn2_b64 exec, exec, s[64:65]
	s_cbranch_execnz .LBB346_189
; %bb.190:                              ;   in Loop: Header=BB346_186 Depth=1
	s_or_b64 exec, exec, s[64:65]
.LBB346_191:                            ;   in Loop: Header=BB346_186 Depth=1
	s_or_b64 exec, exec, s[62:63]
	v_cmp_eq_u16_sdwa s[62:63], v29, v54 src0_sel:BYTE_0 src1_sel:DWORD
	s_waitcnt lgkmcnt(0)
	v_and_b32_e32 v57, 0xffffff, v28
	ds_bpermute_b32 v58, v41, v57
	v_and_b32_e32 v32, s63, v31
	v_or_b32_e32 v32, 0x80000000, v32
	v_and_b32_e32 v33, s62, v30
	v_ffbl_b32_e32 v32, v32
	v_add_u32_e32 v32, 32, v32
	v_ffbl_b32_e32 v33, v33
	v_min_u32_e32 v32, v33, v32
	v_lshrrev_b32_e32 v33, 16, v28
	v_cmp_lt_u32_e32 vcc, v25, v32
	v_bfe_u32 v56, v28, 16, 8
	s_and_saveexec_b64 s[62:63], vcc
	s_cbranch_execz .LBB346_193
; %bb.192:                              ;   in Loop: Header=BB346_186 Depth=1
	v_and_b32_e32 v33, 0xff0000, v28
	v_cmp_eq_u32_e32 vcc, 0, v33
	v_and_b32_e32 v33, 0x10000, v33
	s_waitcnt lgkmcnt(0)
	v_and_b32_sdwa v57, v58, v55 dst_sel:DWORD dst_unused:UNUSED_PAD src0_sel:WORD_1 src1_sel:DWORD
	v_cndmask_b32_e32 v56, 0, v58, vcc
	v_cmp_ne_u32_e32 vcc, 0, v33
	v_add_u16_e32 v59, v56, v28
	v_add_u16_e32 v28, v56, v28
	v_cndmask_b32_e64 v33, v57, 1, vcc
	v_lshlrev_b32_e32 v57, 16, v33
	v_or_b32_e32 v57, v57, v28
	v_mov_b32_e32 v28, v59
	v_mov_b32_e32 v56, v33
.LBB346_193:                            ;   in Loop: Header=BB346_186 Depth=1
	s_or_b64 exec, exec, s[62:63]
	s_waitcnt lgkmcnt(0)
	ds_bpermute_b32 v58, v42, v57
	v_cmp_le_u32_e32 vcc, v43, v32
	s_and_saveexec_b64 s[62:63], vcc
	s_cbranch_execz .LBB346_195
; %bb.194:                              ;   in Loop: Header=BB346_186 Depth=1
	v_cmp_eq_u16_e32 vcc, 0, v56
	v_and_b32_e32 v33, 1, v56
	s_waitcnt lgkmcnt(0)
	v_and_b32_sdwa v56, v58, v55 dst_sel:DWORD dst_unused:UNUSED_PAD src0_sel:WORD_1 src1_sel:DWORD
	v_cndmask_b32_e32 v57, 0, v58, vcc
	v_cmp_eq_u32_e32 vcc, 1, v33
	v_add_u16_e32 v59, v57, v28
	v_add_u16_e32 v28, v57, v28
	v_cndmask_b32_e64 v33, v56, 1, vcc
	v_lshlrev_b32_e32 v56, 16, v33
	v_or_b32_e32 v57, v56, v28
	v_mov_b32_e32 v28, v59
	v_mov_b32_e32 v56, v33
.LBB346_195:                            ;   in Loop: Header=BB346_186 Depth=1
	s_or_b64 exec, exec, s[62:63]
	s_waitcnt lgkmcnt(0)
	ds_bpermute_b32 v58, v44, v57
	v_cmp_le_u32_e32 vcc, v45, v32
	s_and_saveexec_b64 s[62:63], vcc
	s_cbranch_execz .LBB346_197
; %bb.196:                              ;   in Loop: Header=BB346_186 Depth=1
	v_cmp_eq_u16_e32 vcc, 0, v56
	v_and_b32_e32 v33, 1, v56
	s_waitcnt lgkmcnt(0)
	v_and_b32_sdwa v56, v58, v55 dst_sel:DWORD dst_unused:UNUSED_PAD src0_sel:WORD_1 src1_sel:DWORD
	v_cndmask_b32_e32 v57, 0, v58, vcc
	v_cmp_eq_u32_e32 vcc, 1, v33
	v_add_u16_e32 v59, v57, v28
	v_add_u16_e32 v28, v57, v28
	v_cndmask_b32_e64 v33, v56, 1, vcc
	v_lshlrev_b32_e32 v56, 16, v33
	v_or_b32_e32 v57, v56, v28
	v_mov_b32_e32 v28, v59
	v_mov_b32_e32 v56, v33
.LBB346_197:                            ;   in Loop: Header=BB346_186 Depth=1
	;; [unrolled: 21-line block ×4, first 2 shown]
	s_or_b64 exec, exec, s[62:63]
	ds_bpermute_b32 v57, v51, v57
	v_cmp_le_u32_e32 vcc, v52, v32
	s_and_saveexec_b64 s[62:63], vcc
	s_cbranch_execz .LBB346_185
; %bb.202:                              ;   in Loop: Header=BB346_186 Depth=1
	v_cmp_eq_u16_e32 vcc, 0, v56
	s_waitcnt lgkmcnt(0)
	v_lshrrev_b32_e32 v33, 16, v57
	v_cndmask_b32_e32 v32, 0, v57, vcc
	v_add_u16_e32 v28, v32, v28
	v_and_b32_e32 v32, 1, v56
	v_cmp_eq_u32_e32 vcc, 1, v32
	s_nop 1
	v_cndmask_b32_e64 v33, v33, 1, vcc
	s_branch .LBB346_185
.LBB346_203:                            ;   in Loop: Header=BB346_186 Depth=1
                                        ; implicit-def: $vgpr32
                                        ; implicit-def: $vgpr28
	s_cbranch_execz .LBB346_186
; %bb.204:
	s_and_saveexec_b64 s[62:63], s[54:55]
	s_cbranch_execz .LBB346_206
; %bb.205:
	v_and_b32_e32 v25, 0xff0000, v24
	s_mov_b32 s65, 0
	v_cmp_eq_u32_e32 vcc, 0, v25
	v_and_b32_e32 v26, 0x10000, v24
	v_mov_b32_e32 v27, 1
	s_add_i32 s64, s79, 64
	v_cndmask_b32_e32 v25, 0, v53, vcc
	v_and_b32_sdwa v27, v50, v27 dst_sel:WORD_1 dst_unused:UNUSED_PAD src0_sel:DWORD src1_sel:DWORD
	v_mov_b32_e32 v28, 0x10000
	v_cmp_eq_u32_e32 vcc, 0, v26
	s_lshl_b64 s[64:65], s[64:65], 3
	s_add_u32 s64, s76, s64
	v_cndmask_b32_e32 v26, v28, v27, vcc
	v_add_u16_e32 v24, v25, v24
	s_addc_u32 s65, s77, s65
	v_mov_b32_e32 v27, 0
	v_or_b32_e32 v24, v26, v24
	v_mov_b32_e32 v25, 2
	global_store_dwordx2 v27, v[24:25], s[64:65] sc1
.LBB346_206:
	s_or_b64 exec, exec, s[62:63]
	s_and_b64 exec, exec, s[56:57]
	s_cbranch_execz .LBB346_208
; %bb.207:
	v_mov_b32_e32 v24, 0
	ds_write_b16 v24, v53 offset:12
	ds_write_b8 v24, v50 offset:14
.LBB346_208:
	s_or_b64 exec, exec, s[0:1]
	s_waitcnt lgkmcnt(0)
	v_lshrrev_b32_e32 v24, 16, v40
	v_mov_b32_e32 v26, 0
	s_mov_b32 s0, 0x10000
	v_cndmask_b32_e64 v24, v24, v37, s[54:55]
	v_cndmask_b32_e64 v25, v40, v36, s[54:55]
	s_barrier
	ds_read_b32 v27, v26 offset:12
	v_cmp_gt_u32_e32 vcc, s0, v1
	v_and_b32_e32 v28, 0x10000, v1
	v_and_b32_e32 v24, 1, v24
	v_cndmask_b32_e32 v25, 0, v25, vcc
	v_cmp_ne_u32_e32 vcc, 0, v28
	v_cndmask_b32_e64 v25, v25, 0, s[56:57]
	v_add_u16_e32 v25, v25, v1
	v_cndmask_b32_e64 v24, v24, 1, vcc
	v_cndmask_b32_e64 v24, v24, v35, s[56:57]
	v_cmp_eq_u16_sdwa vcc, v24, v26 src0_sel:BYTE_0 src1_sel:DWORD
	s_waitcnt lgkmcnt(0)
	s_nop 0
	v_cndmask_b32_e32 v24, 0, v27, vcc
	v_add_u16_e32 v50, v25, v24
	v_cndmask_b32_e64 v24, 0, v50, s[6:7]
	v_add_u16_e32 v24, v24, v18
	v_cndmask_b32_e64 v25, 0, v24, s[8:9]
	;; [unrolled: 2-line block ×23, first 2 shown]
	v_add_u16_e32 v49, v49, v23
	s_branch .LBB346_239
.LBB346_209:
                                        ; implicit-def: $vgpr50
                                        ; implicit-def: $vgpr24
                                        ; implicit-def: $vgpr25
                                        ; implicit-def: $vgpr26
                                        ; implicit-def: $vgpr27
                                        ; implicit-def: $vgpr28
                                        ; implicit-def: $vgpr29
                                        ; implicit-def: $vgpr31
                                        ; implicit-def: $vgpr30
                                        ; implicit-def: $vgpr32
                                        ; implicit-def: $vgpr33
                                        ; implicit-def: $vgpr35
                                        ; implicit-def: $vgpr36
                                        ; implicit-def: $vgpr37
                                        ; implicit-def: $vgpr40
                                        ; implicit-def: $vgpr42
                                        ; implicit-def: $vgpr41
                                        ; implicit-def: $vgpr43
                                        ; implicit-def: $vgpr44
                                        ; implicit-def: $vgpr45
                                        ; implicit-def: $vgpr46
                                        ; implicit-def: $vgpr47
                                        ; implicit-def: $vgpr48
                                        ; implicit-def: $vgpr49
	s_cbranch_execz .LBB346_239
; %bb.210:
	s_cmp_lg_u64 s[80:81], 0
	s_cselect_b32 s7, s71, 0
	s_cselect_b32 s6, s70, 0
	s_cmp_lg_u64 s[6:7], 0
	s_cselect_b64 s[0:1], -1, 0
	s_and_b64 s[8:9], s[56:57], s[0:1]
	s_and_saveexec_b64 s[0:1], s[8:9]
	s_cbranch_execz .LBB346_212
; %bb.211:
	v_mov_b32_e32 v24, 0
	global_load_ushort v25, v24, s[6:7]
	global_load_ubyte v26, v24, s[6:7] offset:2
	s_mov_b32 s6, 0x10000
	v_and_b32_e32 v24, 0x10000, v1
	v_mov_b32_e32 v27, 1
	v_cmp_gt_u32_e32 vcc, s6, v1
	v_mov_b32_e32 v28, 0x10000
	s_waitcnt vmcnt(0)
	v_and_b32_sdwa v26, v26, v27 dst_sel:WORD_1 dst_unused:UNUSED_PAD src0_sel:DWORD src1_sel:DWORD
	v_cndmask_b32_e32 v25, 0, v25, vcc
	v_cmp_eq_u32_e32 vcc, 0, v24
	v_add_u16_e32 v1, v25, v1
	s_nop 0
	v_cndmask_b32_e32 v24, v28, v26, vcc
	v_or_b32_e32 v1, v24, v1
.LBB346_212:
	s_or_b64 exec, exec, s[0:1]
	s_mov_b32 s50, 0x10000
	v_cmp_gt_u32_e32 vcc, s50, v18
	v_cmp_gt_u32_e64 s[6:7], s50, v19
	v_cmp_gt_u32_e64 s[8:9], s50, v20
	v_cndmask_b32_e32 v24, 0, v1, vcc
	v_add_u16_e32 v24, v24, v18
	v_cndmask_b32_e64 v25, 0, v24, s[6:7]
	v_add_u16_e32 v25, v25, v19
	v_bfe_u32 v28, v19, 16, 1
	v_mov_b32_e32 v53, 1
	v_cndmask_b32_e64 v26, 0, v25, s[8:9]
	v_lshlrev_b16_e32 v28, 1, v28
	v_and_b32_sdwa v29, v18, v53 dst_sel:DWORD dst_unused:UNUSED_PAD src0_sel:WORD_1 src1_sel:DWORD
	v_add_u16_e32 v26, v26, v20
	v_cmp_gt_u32_e64 s[10:11], s50, v21
	v_or_b32_e32 v28, v29, v28
	v_bfe_u32 v29, v21, 16, 1
	v_and_b32_sdwa v30, v20, v53 dst_sel:DWORD dst_unused:UNUSED_PAD src0_sel:WORD_1 src1_sel:DWORD
	v_cndmask_b32_e64 v27, 0, v26, s[10:11]
	v_lshlrev_b16_e32 v29, 3, v29
	v_lshlrev_b16_e32 v30, 2, v30
	v_add_u16_e32 v27, v27, v21
	v_or_b32_e32 v29, v29, v30
	v_cmp_gt_u32_e64 s[12:13], s50, v38
	v_or_b32_e32 v49, v28, v29
	v_and_b32_e32 v29, 0x10000, v38
	v_cndmask_b32_e64 v28, 0, v27, s[12:13]
	v_add_u16_e32 v28, v28, v38
	v_cmp_gt_u32_e64 s[14:15], s50, v2
	v_cmp_ne_u32_e64 s[0:1], 0, v29
	v_cmp_gt_u32_e64 s[16:17], s50, v3
	v_cndmask_b32_e64 v29, 0, v28, s[14:15]
	v_add_u16_e32 v29, v29, v2
	v_cndmask_b32_e64 v30, 0, v29, s[16:17]
	v_add_u16_e32 v31, v30, v3
	v_cmp_gt_u32_e64 s[18:19], s50, v4
	v_cmp_gt_u32_e64 s[20:21], s50, v5
	;; [unrolled: 1-line block ×3, first 2 shown]
	v_cndmask_b32_e64 v30, 0, v31, s[18:19]
	v_add_u16_e32 v30, v30, v4
	v_cndmask_b32_e64 v32, 0, v30, s[20:21]
	v_add_u16_e32 v32, v32, v5
	;; [unrolled: 2-line block ×3, first 2 shown]
	v_cmp_gt_u32_e64 s[24:25], s50, v7
	v_cmp_gt_u32_e64 s[26:27], s50, v8
	;; [unrolled: 1-line block ×3, first 2 shown]
	v_cndmask_b32_e64 v35, 0, v33, s[24:25]
	v_add_u16_e32 v35, v35, v7
	v_cndmask_b32_e64 v36, 0, v35, s[26:27]
	v_add_u16_e32 v36, v36, v8
	;; [unrolled: 2-line block ×3, first 2 shown]
	v_cmp_gt_u32_e64 s[30:31], s50, v39
	v_and_b32_e32 v41, 0x10000, v39
	v_cmp_gt_u32_e64 s[34:35], s50, v10
	v_cndmask_b32_e64 v40, 0, v37, s[30:31]
	v_add_u16_e32 v40, v40, v39
	v_cmp_ne_u32_e64 s[52:53], 0, v41
	v_cndmask_b32_e64 v41, 0, v40, s[34:35]
	v_add_u16_e32 v42, v41, v10
	v_cmp_gt_u32_e64 s[36:37], s50, v11
	v_cmp_gt_u32_e64 s[38:39], s50, v12
	v_and_b32_e32 v52, 0x10000, v23
	v_cndmask_b32_e64 v41, 0, v42, s[36:37]
	v_add_u16_e32 v41, v41, v11
	v_cndmask_b32_e64 v43, 0, v41, s[38:39]
	v_add_u16_e32 v43, v43, v12
	v_cmp_gt_u32_e64 s[40:41], s50, v13
	v_cmp_ne_u32_e64 s[54:55], 0, v52
	v_or_b32_e32 v52, v16, v8
	v_or_b32_e32 v55, v17, v9
	;; [unrolled: 1-line block ×3, first 2 shown]
	v_cndmask_b32_e64 v44, 0, v43, s[40:41]
	v_or_b32_e32 v56, v14, v6
	v_or_b32_e32 v58, v12, v4
	;; [unrolled: 1-line block ×4, first 2 shown]
	v_bfe_u32 v57, v57, 16, 1
	v_bfe_u32 v55, v55, 16, 1
	v_and_b32_sdwa v52, v52, v53 dst_sel:DWORD dst_unused:UNUSED_PAD src0_sel:WORD_1 src1_sel:DWORD
	v_add_u16_e32 v44, v44, v13
	v_cmp_gt_u32_e64 s[42:43], s50, v14
	v_or_b32_e32 v60, v10, v2
	v_bfe_u32 v61, v61, 16, 1
	v_bfe_u32 v59, v59, 16, 1
	v_and_b32_sdwa v58, v58, v53 dst_sel:DWORD dst_unused:UNUSED_PAD src0_sel:WORD_1 src1_sel:DWORD
	v_lshlrev_b16_e32 v57, 1, v57
	v_and_b32_sdwa v56, v56, v53 dst_sel:DWORD dst_unused:UNUSED_PAD src0_sel:WORD_1 src1_sel:DWORD
	v_lshlrev_b16_e32 v55, 3, v55
	v_lshlrev_b16_e32 v52, 2, v52
	v_cndmask_b32_e64 v45, 0, v44, s[42:43]
	v_lshlrev_b16_e32 v61, 1, v61
	v_and_b32_sdwa v60, v60, v53 dst_sel:DWORD dst_unused:UNUSED_PAD src0_sel:WORD_1 src1_sel:DWORD
	v_lshlrev_b16_e32 v59, 3, v59
	v_lshlrev_b16_e32 v58, 2, v58
	v_or_b32_e32 v56, v56, v57
	v_or_b32_e32 v52, v55, v52
	v_add_u16_e32 v45, v45, v14
	v_cmp_gt_u32_e64 s[44:45], s50, v15
	v_or_b32_e32 v60, v60, v61
	v_or_b32_e32 v58, v59, v58
	;; [unrolled: 1-line block ×3, first 2 shown]
	v_cndmask_b32_e64 v46, 0, v45, s[44:45]
	v_or_b32_e32 v58, v60, v58
	v_lshlrev_b16_e32 v52, 4, v52
	v_add_u16_e32 v46, v46, v15
	v_cmp_gt_u32_e64 s[46:47], s50, v16
	v_or_b32_e32 v52, v58, v52
	v_or_b32_e32 v49, v52, v49
	v_cndmask_b32_e64 v47, 0, v46, s[46:47]
	v_mov_b32_e32 v52, 0
	v_add_u16_e32 v47, v47, v16
	v_cmp_gt_u32_e64 s[48:49], s50, v17
	v_cmp_ne_u16_sdwa s[62:63], v49, v52 src0_sel:BYTE_0 src1_sel:DWORD
	s_or_b64 s[54:55], s[54:55], s[62:63]
	v_cndmask_b32_e64 v48, 0, v47, s[48:49]
	v_add_u16_e32 v48, v48, v17
	v_cmp_gt_u32_e64 s[50:51], s50, v23
	s_or_b64 s[52:53], s[54:55], s[52:53]
	v_lshrrev_b32_e32 v50, 16, v1
	v_cndmask_b32_e64 v54, 0, v48, s[50:51]
	s_or_b64 s[0:1], s[52:53], s[0:1]
	v_cndmask_b32_e64 v52, v50, 1, s[0:1]
	v_mbcnt_hi_u32_b32 v34, -1, v34
	v_add_u16_e32 v49, v54, v23
	v_add_u16_e32 v51, v54, v23
	v_and_b32_e32 v55, 15, v34
	v_lshl_or_b32 v54, v52, 16, v49
	v_cmp_ne_u32_e64 s[0:1], 0, v55
	s_nop 0
	v_mov_b32_dpp v56, v54 row_shr:1 row_mask:0xf bank_mask:0xf
	s_and_saveexec_b64 s[52:53], s[0:1]
; %bb.213:
	v_cmp_eq_u32_e64 s[0:1], 0, v52
	v_and_b32_e32 v52, 1, v52
	v_and_b32_sdwa v53, v56, v53 dst_sel:DWORD dst_unused:UNUSED_PAD src0_sel:WORD_1 src1_sel:DWORD
	v_cndmask_b32_e64 v54, 0, v56, s[0:1]
	v_cmp_eq_u32_e64 s[0:1], 1, v52
	v_add_u16_e32 v57, v51, v54
	v_add_u16_e32 v51, v51, v54
	v_cndmask_b32_e64 v52, v53, 1, s[0:1]
	v_lshlrev_b32_e32 v53, 16, v52
	v_or_b32_e32 v54, v53, v51
	v_mov_b32_e32 v51, v57
; %bb.214:
	s_or_b64 exec, exec, s[52:53]
	v_lshrrev_b32_e32 v53, 16, v54
	v_mov_b32_dpp v56, v54 row_shr:2 row_mask:0xf bank_mask:0xf
	v_cmp_lt_u32_e64 s[0:1], 1, v55
	s_and_saveexec_b64 s[52:53], s[0:1]
	s_cbranch_execz .LBB346_216
; %bb.215:
	s_mov_b32 s0, 0x10000
	v_cmp_gt_u32_e64 s[0:1], s0, v54
	v_and_b32_e32 v52, 0x10000, v54
	v_mov_b32_e32 v54, 1
	v_cndmask_b32_e64 v53, 0, v56, s[0:1]
	v_and_b32_sdwa v54, v56, v54 dst_sel:DWORD dst_unused:UNUSED_PAD src0_sel:WORD_1 src1_sel:DWORD
	v_cmp_ne_u32_e64 s[0:1], 0, v52
	v_add_u16_e32 v57, v53, v51
	v_add_u16_e32 v51, v53, v51
	v_cndmask_b32_e64 v52, v54, 1, s[0:1]
	v_lshlrev_b32_e32 v54, 16, v52
	v_or_b32_e32 v54, v54, v51
	v_mov_b32_e32 v53, v52
	v_mov_b32_e32 v51, v57
.LBB346_216:
	s_or_b64 exec, exec, s[52:53]
	v_mov_b32_dpp v56, v54 row_shr:4 row_mask:0xf bank_mask:0xf
	v_cmp_lt_u32_e64 s[0:1], 3, v55
	s_and_saveexec_b64 s[52:53], s[0:1]
	s_cbranch_execz .LBB346_218
; %bb.217:
	v_mov_b32_e32 v52, 0
	v_cmp_eq_u16_sdwa s[0:1], v53, v52 src0_sel:BYTE_0 src1_sel:DWORD
	v_and_b32_e32 v52, 1, v53
	v_mov_b32_e32 v53, 1
	v_cndmask_b32_e64 v54, 0, v56, s[0:1]
	v_and_b32_sdwa v53, v56, v53 dst_sel:DWORD dst_unused:UNUSED_PAD src0_sel:WORD_1 src1_sel:DWORD
	v_cmp_eq_u32_e64 s[0:1], 1, v52
	v_add_u16_e32 v57, v54, v51
	v_add_u16_e32 v51, v54, v51
	v_cndmask_b32_e64 v52, v53, 1, s[0:1]
	v_lshlrev_b32_e32 v53, 16, v52
	v_or_b32_e32 v54, v53, v51
	v_mov_b32_e32 v53, v52
	v_mov_b32_e32 v51, v57
.LBB346_218:
	s_or_b64 exec, exec, s[52:53]
	v_mov_b32_dpp v56, v54 row_shr:8 row_mask:0xf bank_mask:0xf
	v_cmp_lt_u32_e64 s[0:1], 7, v55
	s_and_saveexec_b64 s[52:53], s[0:1]
	s_cbranch_execz .LBB346_220
; %bb.219:
	v_mov_b32_e32 v52, 0
	v_cmp_eq_u16_sdwa s[0:1], v53, v52 src0_sel:BYTE_0 src1_sel:DWORD
	v_and_b32_e32 v52, 1, v53
	v_mov_b32_e32 v53, 1
	v_cndmask_b32_e64 v54, 0, v56, s[0:1]
	v_and_b32_sdwa v53, v56, v53 dst_sel:DWORD dst_unused:UNUSED_PAD src0_sel:WORD_1 src1_sel:DWORD
	v_cmp_eq_u32_e64 s[0:1], 1, v52
	v_add_u16_e32 v55, v54, v51
	v_add_u16_e32 v51, v54, v51
	v_cndmask_b32_e64 v52, v53, 1, s[0:1]
	v_lshlrev_b32_e32 v53, 16, v52
	v_or_b32_e32 v54, v53, v51
	v_mov_b32_e32 v53, v52
	v_mov_b32_e32 v51, v55
.LBB346_220:
	s_or_b64 exec, exec, s[52:53]
	v_and_b32_e32 v56, 16, v34
	v_mov_b32_dpp v55, v54 row_bcast:15 row_mask:0xf bank_mask:0xf
	v_cmp_ne_u32_e64 s[0:1], 0, v56
	s_and_saveexec_b64 s[52:53], s[0:1]
	s_cbranch_execz .LBB346_222
; %bb.221:
	v_mov_b32_e32 v52, 0
	v_cmp_eq_u16_sdwa s[0:1], v53, v52 src0_sel:BYTE_0 src1_sel:DWORD
	v_and_b32_e32 v52, 1, v53
	v_mov_b32_e32 v53, 1
	v_cndmask_b32_e64 v54, 0, v55, s[0:1]
	v_and_b32_sdwa v53, v55, v53 dst_sel:DWORD dst_unused:UNUSED_PAD src0_sel:WORD_1 src1_sel:DWORD
	v_cmp_eq_u32_e64 s[0:1], 1, v52
	v_add_u16_e32 v56, v54, v51
	v_add_u16_e32 v51, v54, v51
	v_cndmask_b32_e64 v52, v53, 1, s[0:1]
	v_lshlrev_b32_e32 v53, 16, v52
	v_or_b32_e32 v54, v53, v51
	v_mov_b32_e32 v51, v56
	v_mov_b32_e32 v53, v52
.LBB346_222:
	s_or_b64 exec, exec, s[52:53]
	v_mov_b32_dpp v54, v54 row_bcast:31 row_mask:0xf bank_mask:0xf
	v_cmp_lt_u32_e64 s[0:1], 31, v34
	s_and_saveexec_b64 s[52:53], s[0:1]
; %bb.223:
	v_mov_b32_e32 v52, 0
	v_cmp_eq_u16_sdwa s[0:1], v53, v52 src0_sel:BYTE_0 src1_sel:DWORD
	s_nop 1
	v_cndmask_b32_e64 v52, 0, v54, s[0:1]
	v_add_u16_e32 v51, v52, v51
	v_and_b32_e32 v52, 1, v53
	v_mov_b32_e32 v53, 1
	v_and_b32_sdwa v53, v54, v53 dst_sel:DWORD dst_unused:UNUSED_PAD src0_sel:WORD_1 src1_sel:DWORD
	v_cmp_eq_u32_e64 s[0:1], 1, v52
	s_nop 1
	v_cndmask_b32_e64 v52, v53, 1, s[0:1]
; %bb.224:
	s_or_b64 exec, exec, s[52:53]
	v_or_b32_e32 v54, 63, v0
	v_lshrrev_b32_e32 v53, 6, v0
	v_cmp_eq_u32_e64 s[0:1], v54, v0
	s_and_saveexec_b64 s[52:53], s[0:1]
	s_cbranch_execz .LBB346_226
; %bb.225:
	v_lshlrev_b32_e32 v54, 2, v53
	ds_write_b16 v54, v51
	ds_write_b8 v54, v52 offset:2
.LBB346_226:
	s_or_b64 exec, exec, s[52:53]
	v_cmp_gt_u32_e64 s[0:1], 4, v0
	s_waitcnt lgkmcnt(0)
	s_barrier
	s_and_saveexec_b64 s[52:53], s[0:1]
	s_cbranch_execz .LBB346_232
; %bb.227:
	v_lshlrev_b32_e32 v54, 2, v0
	ds_read_b32 v55, v54
	v_and_b32_e32 v58, 3, v34
	v_cmp_ne_u32_e64 s[0:1], 0, v58
	s_waitcnt lgkmcnt(0)
	v_lshrrev_b32_e32 v57, 16, v55
	v_mov_b32_dpp v59, v55 row_shr:1 row_mask:0xf bank_mask:0xf
	v_mov_b32_e32 v56, v55
	s_and_saveexec_b64 s[54:55], s[0:1]
	s_cbranch_execz .LBB346_229
; %bb.228:
	v_mov_b32_e32 v56, 0
	v_cmp_eq_u16_sdwa s[0:1], v57, v56 src0_sel:BYTE_0 src1_sel:DWORD
	v_and_b32_e32 v57, 0x10000, v55
	v_mov_b32_e32 v62, 1
	v_cndmask_b32_e64 v61, 0, v59, s[0:1]
	v_and_b32_sdwa v59, v59, v62 dst_sel:DWORD dst_unused:UNUSED_PAD src0_sel:WORD_1 src1_sel:DWORD
	v_cmp_ne_u32_e64 s[0:1], 0, v57
	v_and_b32_e32 v60, 0xff000000, v55
	v_add_u16_e32 v56, v61, v55
	v_cndmask_b32_e64 v57, v59, 1, s[0:1]
	v_lshlrev_b32_e32 v59, 16, v57
	v_add_u16_e32 v55, v61, v55
	v_or3_b32 v55, v59, v60, v55
.LBB346_229:
	s_or_b64 exec, exec, s[54:55]
	s_nop 0
	v_mov_b32_dpp v59, v55 row_shr:2 row_mask:0xf bank_mask:0xf
	v_cmp_lt_u32_e64 s[0:1], 1, v58
	s_and_saveexec_b64 s[54:55], s[0:1]
; %bb.230:
	v_and_b32_e32 v57, 0xff0000, v55
	v_cmp_eq_u32_e64 s[0:1], 0, v57
	v_and_b32_e32 v55, 0x10000, v55
	s_nop 0
	v_cndmask_b32_e64 v57, 0, v59, s[0:1]
	v_add_u16_e32 v56, v57, v56
	v_mov_b32_e32 v57, 1
	v_and_b32_sdwa v57, v59, v57 dst_sel:DWORD dst_unused:UNUSED_PAD src0_sel:WORD_1 src1_sel:DWORD
	v_cmp_eq_u32_e64 s[0:1], 0, v55
	s_nop 1
	v_cndmask_b32_e64 v57, 1, v57, s[0:1]
; %bb.231:
	s_or_b64 exec, exec, s[54:55]
	ds_write_b16 v54, v56
	ds_write_b8 v54, v57 offset:2
.LBB346_232:
	s_or_b64 exec, exec, s[52:53]
	v_cmp_lt_u32_e64 s[0:1], 63, v0
	v_mov_b32_e32 v54, 0
	s_waitcnt lgkmcnt(0)
	s_barrier
	s_and_saveexec_b64 s[52:53], s[0:1]
	s_cbranch_execz .LBB346_234
; %bb.233:
	v_lshl_add_u32 v53, v53, 2, -4
	ds_read_u16 v54, v53
	ds_read_u8 v53, v53 offset:2
	v_mov_b32_e32 v55, 0
	v_and_b32_e32 v56, 1, v52
	v_cmp_eq_u16_sdwa s[0:1], v52, v55 src0_sel:BYTE_0 src1_sel:DWORD
	s_waitcnt lgkmcnt(1)
	s_nop 0
	v_cndmask_b32_e64 v52, 0, v54, s[0:1]
	v_cmp_eq_u32_e64 s[0:1], 1, v56
	v_add_u16_e32 v51, v52, v51
	s_waitcnt lgkmcnt(0)
	v_cndmask_b32_e64 v52, v53, 1, s[0:1]
.LBB346_234:
	s_or_b64 exec, exec, s[52:53]
	v_and_b32_e32 v52, 0xff, v52
	v_and_b32_e32 v51, 0xffff, v51
	v_lshl_or_b32 v51, v52, 16, v51
	v_add_u32_e32 v52, -1, v34
	v_and_b32_e32 v53, 64, v34
	v_cmp_lt_i32_e64 s[0:1], v52, v53
	s_nop 1
	v_cndmask_b32_e64 v52, v52, v34, s[0:1]
	v_lshlrev_b32_e32 v52, 2, v52
	ds_bpermute_b32 v51, v52, v51
	s_and_saveexec_b64 s[52:53], s[4:5]
	s_cbranch_execz .LBB346_236
; %bb.235:
	v_cmp_eq_u32_e64 s[0:1], 0, v34
	v_and_b32_e32 v25, 0xff0000, v1
	v_mov_b32_e32 v50, 0
	s_waitcnt lgkmcnt(0)
	v_cndmask_b32_e64 v24, v51, v54, s[0:1]
	v_and_b32_e32 v24, 0xffff, v24
	v_cmp_eq_u32_e64 s[0:1], 0, v25
	;;#ASMSTART
	;;#ASMEND
	s_nop 1
	v_cndmask_b32_e64 v24, 0, v24, s[0:1]
	v_add_u32_e32 v1, v24, v1
	v_cndmask_b32_e32 v24, 0, v1, vcc
	v_add_u16_e32 v24, v24, v18
	v_cndmask_b32_e64 v18, 0, v24, s[6:7]
	v_add_u16_e32 v25, v18, v19
	v_cndmask_b32_e64 v18, 0, v25, s[8:9]
	;; [unrolled: 2-line block ×22, first 2 shown]
	v_add_u16_e32 v49, v2, v23
.LBB346_236:
	s_or_b64 exec, exec, s[52:53]
	s_and_saveexec_b64 s[0:1], s[56:57]
	s_cbranch_execz .LBB346_238
; %bb.237:
	v_mov_b32_e32 v4, 0
	ds_read_u8 v2, v4 offset:14
	ds_read_u16 v3, v4 offset:12
	s_waitcnt lgkmcnt(1)
	v_lshlrev_b32_e32 v2, 16, v2
	s_waitcnt lgkmcnt(0)
	v_or_b32_e32 v2, v2, v3
	v_mov_b32_e32 v3, 2
	global_store_dwordx2 v4, v[2:3], s[76:77] offset:512 sc1
.LBB346_238:
	s_or_b64 exec, exec, s[0:1]
	v_lshl_or_b32 v50, v50, 16, v1
.LBB346_239:
	s_add_u32 s0, s66, s58
	s_addc_u32 s1, s67, s59
	s_add_u32 s0, s0, s60
	s_addc_u32 s1, s1, s61
	s_and_b64 vcc, exec, s[2:3]
	v_mul_u32_u24_e32 v4, 24, v0
	s_cbranch_vccz .LBB346_289
; %bb.240:
	s_add_i32 s33, s33, s78
	v_cmp_le_u32_e32 vcc, s33, v4
	v_or_b32_e32 v8, 1, v4
	v_or_b32_e32 v7, 2, v4
	;; [unrolled: 1-line block ×7, first 2 shown]
	s_and_saveexec_b64 s[2:3], vcc
	s_xor_b64 s[2:3], exec, s[2:3]
; %bb.241:
	v_or_b32_e32 v8, 1, v4
	v_or_b32_e32 v7, 2, v4
	;; [unrolled: 1-line block ×7, first 2 shown]
; %bb.242:
	s_andn2_saveexec_b64 s[2:3], s[2:3]
	s_or_b64 exec, exec, s[2:3]
	v_lshlrev_b32_e32 v39, 1, v4
	v_lshlrev_b32_e32 v8, 1, v8
	v_lshlrev_b32_e32 v7, 1, v7
	v_lshlrev_b32_e32 v6, 1, v6
	s_mov_b32 s2, 0x5040100
	s_waitcnt lgkmcnt(0)
	s_barrier
	ds_write_b16 v39, v50
	ds_write_b16 v8, v24
	;; [unrolled: 1-line block ×4, first 2 shown]
	v_lshlrev_b32_e32 v5, 1, v5
	v_lshlrev_b32_e32 v3, 1, v3
	;; [unrolled: 1-line block ×4, first 2 shown]
	v_perm_b32 v9, v42, v40, s2
	v_perm_b32 v8, v37, v36, s2
	;; [unrolled: 1-line block ×4, first 2 shown]
	ds_write_b16 v5, v27
	ds_write_b16 v3, v28
	;; [unrolled: 1-line block ×4, first 2 shown]
	ds_write_b128 v39, v[6:9] offset:16
	v_perm_b32 v9, v49, v48, s2
	v_perm_b32 v8, v47, v46, s2
	v_perm_b32 v7, v45, v44, s2
	v_perm_b32 v6, v43, v41, s2
	s_movk_i32 s2, 0xffd2
	v_mad_i32_i24 v2, v0, s2, v39
	ds_write_b128 v39, v[6:9] offset:32
	s_waitcnt lgkmcnt(0)
	s_barrier
	ds_read_u16 v53, v2 offset:512
	ds_read_u16 v52, v2 offset:1024
	;; [unrolled: 1-line block ×23, first 2 shown]
	v_mov_b32_e32 v23, 0
	v_lshl_add_u64 v[2:3], s[0:1], 0, v[22:23]
	v_cmp_gt_u32_e32 vcc, s33, v0
	s_and_saveexec_b64 s[2:3], vcc
	s_cbranch_execz .LBB346_244
; %bb.243:
	v_mul_i32_i24_e32 v54, 0xffffffd2, v0
	v_add_u32_e32 v39, v39, v54
	ds_read_u16 v39, v39
	s_waitcnt lgkmcnt(0)
	flat_store_short v[2:3], v39
.LBB346_244:
	s_or_b64 exec, exec, s[2:3]
	v_or_b32_e32 v39, 0x100, v0
	v_cmp_gt_u32_e32 vcc, s33, v39
	s_and_saveexec_b64 s[2:3], vcc
	s_cbranch_execz .LBB346_246
; %bb.245:
	s_waitcnt lgkmcnt(0)
	flat_store_short v[2:3], v53 offset:512
.LBB346_246:
	s_or_b64 exec, exec, s[2:3]
	v_or_b32_e32 v39, 0x200, v0
	v_cmp_gt_u32_e32 vcc, s33, v39
	s_and_saveexec_b64 s[2:3], vcc
	s_cbranch_execz .LBB346_248
; %bb.247:
	s_waitcnt lgkmcnt(0)
	flat_store_short v[2:3], v52 offset:1024
.LBB346_248:
	;; [unrolled: 9-line block ×4, first 2 shown]
	s_or_b64 exec, exec, s[2:3]
	s_waitcnt lgkmcnt(0)
	v_or_b32_e32 v38, 0x500, v0
	v_cmp_gt_u32_e32 vcc, s33, v38
	s_and_saveexec_b64 s[2:3], vcc
	s_cbranch_execz .LBB346_254
; %bb.253:
	flat_store_short v[2:3], v34 offset:2560
.LBB346_254:
	s_or_b64 exec, exec, s[2:3]
	v_or_b32_e32 v34, 0x600, v0
	v_cmp_gt_u32_e32 vcc, s33, v34
	s_and_saveexec_b64 s[2:3], vcc
	s_cbranch_execz .LBB346_256
; %bb.255:
	flat_store_short v[2:3], v21 offset:3072
.LBB346_256:
	s_or_b64 exec, exec, s[2:3]
	;; [unrolled: 8-line block ×3, first 2 shown]
	v_or_b32_e32 v20, 0x800, v0
	v_cmp_gt_u32_e32 vcc, s33, v20
	s_and_saveexec_b64 s[2:3], vcc
	s_cbranch_execz .LBB346_260
; %bb.259:
	v_add_co_u32_e32 v20, vcc, 0x1000, v2
	s_nop 1
	v_addc_co_u32_e32 v21, vcc, 0, v3, vcc
	flat_store_short v[20:21], v19
.LBB346_260:
	s_or_b64 exec, exec, s[2:3]
	v_or_b32_e32 v19, 0x900, v0
	v_cmp_gt_u32_e32 vcc, s33, v19
	s_and_saveexec_b64 s[2:3], vcc
	s_cbranch_execz .LBB346_262
; %bb.261:
	v_add_co_u32_e32 v20, vcc, 0x1000, v2
	s_nop 1
	v_addc_co_u32_e32 v21, vcc, 0, v3, vcc
	flat_store_short v[20:21], v18 offset:512
.LBB346_262:
	s_or_b64 exec, exec, s[2:3]
	v_or_b32_e32 v18, 0xa00, v0
	v_cmp_gt_u32_e32 vcc, s33, v18
	s_and_saveexec_b64 s[2:3], vcc
	s_cbranch_execz .LBB346_264
; %bb.263:
	v_add_co_u32_e32 v18, vcc, 0x1000, v2
	s_nop 1
	v_addc_co_u32_e32 v19, vcc, 0, v3, vcc
	flat_store_short v[18:19], v17 offset:1024
.LBB346_264:
	;; [unrolled: 11-line block ×7, first 2 shown]
	s_or_b64 exec, exec, s[2:3]
	v_or_b32_e32 v12, 0x1000, v0
	v_cmp_gt_u32_e32 vcc, s33, v12
	s_and_saveexec_b64 s[2:3], vcc
	s_cbranch_execz .LBB346_276
; %bb.275:
	v_add_co_u32_e32 v12, vcc, 0x2000, v2
	s_nop 1
	v_addc_co_u32_e32 v13, vcc, 0, v3, vcc
	flat_store_short v[12:13], v11
.LBB346_276:
	s_or_b64 exec, exec, s[2:3]
	v_or_b32_e32 v11, 0x1100, v0
	v_cmp_gt_u32_e32 vcc, s33, v11
	s_and_saveexec_b64 s[2:3], vcc
	s_cbranch_execz .LBB346_278
; %bb.277:
	v_add_co_u32_e32 v12, vcc, 0x2000, v2
	s_nop 1
	v_addc_co_u32_e32 v13, vcc, 0, v3, vcc
	flat_store_short v[12:13], v10 offset:512
.LBB346_278:
	s_or_b64 exec, exec, s[2:3]
	v_or_b32_e32 v10, 0x1200, v0
	v_cmp_gt_u32_e32 vcc, s33, v10
	s_and_saveexec_b64 s[2:3], vcc
	s_cbranch_execz .LBB346_280
; %bb.279:
	v_add_co_u32_e32 v10, vcc, 0x2000, v2
	s_nop 1
	v_addc_co_u32_e32 v11, vcc, 0, v3, vcc
	flat_store_short v[10:11], v9 offset:1024
.LBB346_280:
	;; [unrolled: 11-line block ×6, first 2 shown]
	s_or_b64 exec, exec, s[2:3]
	v_or_b32_e32 v2, 0x1700, v0
	v_mov_b32_e32 v1, v23
	v_cmp_gt_u32_e64 s[2:3], s33, v2
	s_branch .LBB346_291
.LBB346_289:
	s_mov_b64 s[2:3], 0
                                        ; implicit-def: $vgpr5
	s_cbranch_execz .LBB346_291
; %bb.290:
	s_mov_b32 s4, 0x5040100
	v_lshlrev_b32_e32 v6, 1, v4
	v_perm_b32 v5, v31, v29, s4
	v_perm_b32 v4, v28, v27, s4
	;; [unrolled: 1-line block ×4, first 2 shown]
	s_waitcnt lgkmcnt(0)
	s_barrier
	ds_write_b128 v6, v[2:5]
	v_perm_b32 v5, v42, v40, s4
	v_perm_b32 v4, v37, v36, s4
	;; [unrolled: 1-line block ×4, first 2 shown]
	ds_write_b128 v6, v[2:5] offset:16
	v_perm_b32 v4, v47, v46, s4
	v_perm_b32 v3, v45, v44, s4
	;; [unrolled: 1-line block ×4, first 2 shown]
	v_mov_b32_e32 v1, 0
	s_movk_i32 s4, 0xffd2
	ds_write_b128 v6, v[2:5] offset:32
	v_mad_i32_i24 v2, v0, s4, v6
	v_mov_b32_e32 v23, v1
	s_waitcnt lgkmcnt(0)
	s_barrier
	ds_read_u16 v4, v2
	ds_read_u16 v6, v2 offset:512
	ds_read_u16 v7, v2 offset:1024
	;; [unrolled: 1-line block ×23, first 2 shown]
	v_lshl_add_u64 v[2:3], s[0:1], 0, v[22:23]
	s_movk_i32 s4, 0x1000
	s_waitcnt lgkmcnt(0)
	flat_store_short v[2:3], v4
	flat_store_short v[2:3], v6 offset:512
	flat_store_short v[2:3], v7 offset:1024
	flat_store_short v[2:3], v8 offset:1536
	flat_store_short v[2:3], v9 offset:2048
	flat_store_short v[2:3], v10 offset:2560
	flat_store_short v[2:3], v11 offset:3072
	flat_store_short v[2:3], v12 offset:3584
	v_add_co_u32_e32 v6, vcc, s4, v2
	s_or_b64 s[2:3], s[2:3], exec
	s_nop 0
	v_addc_co_u32_e32 v7, vcc, 0, v3, vcc
	v_add_co_u32_e32 v2, vcc, 0x2000, v2
	flat_store_short v[6:7], v13
	flat_store_short v[6:7], v14 offset:512
	flat_store_short v[6:7], v15 offset:1024
	;; [unrolled: 1-line block ×7, first 2 shown]
	v_addc_co_u32_e32 v3, vcc, 0, v3, vcc
	flat_store_short v[2:3], v21
	flat_store_short v[2:3], v24 offset:512
	flat_store_short v[2:3], v25 offset:1024
	;; [unrolled: 1-line block ×6, first 2 shown]
.LBB346_291:
	s_and_saveexec_b64 s[4:5], s[2:3]
	s_cbranch_execnz .LBB346_293
; %bb.292:
	s_endpgm
.LBB346_293:
	v_lshl_add_u64 v[0:1], v[0:1], 1, s[0:1]
	v_add_co_u32_e32 v0, vcc, 0x2000, v0
	s_nop 1
	v_addc_co_u32_e32 v1, vcc, 0, v1, vcc
	flat_store_short v[0:1], v5 offset:3584
	s_endpgm
.LBB346_294:
	v_lshl_add_u64 v[52:53], s[62:63], 0, v[36:37]
	flat_load_ushort v1, v[52:53]
	s_or_b64 exec, exec, s[0:1]
                                        ; implicit-def: $vgpr51
	s_and_saveexec_b64 s[0:1], s[8:9]
	s_cbranch_execz .LBB346_61
.LBB346_295:
	v_mov_b32_e32 v37, 0
	v_lshl_add_u64 v[52:53], s[62:63], 0, v[36:37]
	flat_load_ushort v51, v[52:53] offset:512
	s_or_b64 exec, exec, s[0:1]
                                        ; implicit-def: $vgpr52
	s_and_saveexec_b64 s[0:1], s[10:11]
	s_cbranch_execz .LBB346_62
.LBB346_296:
	v_mov_b32_e32 v37, 0
	v_lshl_add_u64 v[52:53], s[62:63], 0, v[36:37]
	flat_load_ushort v52, v[52:53] offset:1024
	s_or_b64 exec, exec, s[0:1]
                                        ; implicit-def: $vgpr53
	s_and_saveexec_b64 s[0:1], s[12:13]
	s_cbranch_execz .LBB346_63
.LBB346_297:
	v_mov_b32_e32 v37, 0
	v_lshl_add_u64 v[54:55], s[62:63], 0, v[36:37]
	flat_load_ushort v53, v[54:55] offset:1536
	s_or_b64 exec, exec, s[0:1]
                                        ; implicit-def: $vgpr54
	s_and_saveexec_b64 s[0:1], s[14:15]
	s_cbranch_execz .LBB346_64
.LBB346_298:
	v_mov_b32_e32 v37, 0
	v_lshl_add_u64 v[54:55], s[62:63], 0, v[36:37]
	flat_load_ushort v54, v[54:55] offset:2048
	s_or_b64 exec, exec, s[0:1]
                                        ; implicit-def: $vgpr55
	s_and_saveexec_b64 s[0:1], s[16:17]
	s_cbranch_execz .LBB346_65
.LBB346_299:
	v_mov_b32_e32 v37, 0
	v_lshl_add_u64 v[56:57], s[62:63], 0, v[36:37]
	flat_load_ushort v55, v[56:57] offset:2560
	s_or_b64 exec, exec, s[0:1]
                                        ; implicit-def: $vgpr56
	s_and_saveexec_b64 s[0:1], s[18:19]
	s_cbranch_execz .LBB346_66
.LBB346_300:
	v_mov_b32_e32 v37, 0
	v_lshl_add_u64 v[56:57], s[62:63], 0, v[36:37]
	flat_load_ushort v56, v[56:57] offset:3072
	s_or_b64 exec, exec, s[0:1]
                                        ; implicit-def: $vgpr37
	s_and_saveexec_b64 s[0:1], s[20:21]
	s_cbranch_execz .LBB346_67
.LBB346_301:
	v_mov_b32_e32 v37, 0
	v_lshl_add_u64 v[58:59], s[62:63], 0, v[36:37]
	flat_load_ushort v37, v[58:59] offset:3584
	s_or_b64 exec, exec, s[0:1]
                                        ; implicit-def: $vgpr3
	s_and_saveexec_b64 s[0:1], s[22:23]
	s_cbranch_execz .LBB346_68
.LBB346_302:
	v_mov_b32_e32 v3, 0
	v_lshl_add_u64 v[2:3], s[62:63], 0, v[2:3]
	flat_load_ushort v3, v[2:3]
	s_or_b64 exec, exec, s[0:1]
                                        ; implicit-def: $vgpr2
	s_and_saveexec_b64 s[0:1], s[24:25]
	s_cbranch_execz .LBB346_69
.LBB346_303:
	v_mov_b32_e32 v5, 0
	v_lshl_add_u64 v[4:5], s[62:63], 0, v[4:5]
	flat_load_ushort v2, v[4:5]
	s_or_b64 exec, exec, s[0:1]
                                        ; implicit-def: $vgpr4
	s_and_saveexec_b64 s[0:1], s[26:27]
	s_cbranch_execz .LBB346_70
.LBB346_304:
	v_mov_b32_e32 v7, 0
	v_lshl_add_u64 v[4:5], s[62:63], 0, v[6:7]
	flat_load_ushort v4, v[4:5]
	s_or_b64 exec, exec, s[0:1]
                                        ; implicit-def: $vgpr5
	s_and_saveexec_b64 s[0:1], s[28:29]
	s_cbranch_execz .LBB346_71
.LBB346_305:
	v_mov_b32_e32 v9, 0
	v_lshl_add_u64 v[6:7], s[62:63], 0, v[8:9]
	flat_load_ushort v5, v[6:7]
	s_or_b64 exec, exec, s[0:1]
                                        ; implicit-def: $vgpr6
	s_and_saveexec_b64 s[0:1], s[30:31]
	s_cbranch_execz .LBB346_72
.LBB346_306:
	v_mov_b32_e32 v11, 0
	v_lshl_add_u64 v[6:7], s[62:63], 0, v[10:11]
	flat_load_ushort v6, v[6:7]
	s_or_b64 exec, exec, s[0:1]
                                        ; implicit-def: $vgpr7
	s_and_saveexec_b64 s[0:1], s[34:35]
	s_cbranch_execz .LBB346_73
.LBB346_307:
	v_mov_b32_e32 v13, 0
	v_lshl_add_u64 v[8:9], s[62:63], 0, v[12:13]
	flat_load_ushort v7, v[8:9]
	s_or_b64 exec, exec, s[0:1]
                                        ; implicit-def: $vgpr8
	s_and_saveexec_b64 s[0:1], s[36:37]
	s_cbranch_execz .LBB346_74
.LBB346_308:
	v_mov_b32_e32 v15, 0
	v_lshl_add_u64 v[8:9], s[62:63], 0, v[14:15]
	flat_load_ushort v8, v[8:9]
	s_or_b64 exec, exec, s[0:1]
                                        ; implicit-def: $vgpr9
	s_and_saveexec_b64 s[0:1], s[38:39]
	s_cbranch_execz .LBB346_75
.LBB346_309:
	v_mov_b32_e32 v17, 0
	v_lshl_add_u64 v[10:11], s[62:63], 0, v[16:17]
	flat_load_ushort v9, v[10:11]
	s_or_b64 exec, exec, s[0:1]
                                        ; implicit-def: $vgpr10
	s_and_saveexec_b64 s[0:1], s[40:41]
	s_cbranch_execz .LBB346_76
.LBB346_310:
	v_mov_b32_e32 v19, 0
	v_lshl_add_u64 v[10:11], s[62:63], 0, v[18:19]
	flat_load_ushort v10, v[10:11]
	s_or_b64 exec, exec, s[0:1]
                                        ; implicit-def: $vgpr11
	s_and_saveexec_b64 s[0:1], s[42:43]
	s_cbranch_execz .LBB346_77
.LBB346_311:
	v_mov_b32_e32 v21, 0
	v_lshl_add_u64 v[12:13], s[62:63], 0, v[20:21]
	flat_load_ushort v11, v[12:13]
	s_or_b64 exec, exec, s[0:1]
                                        ; implicit-def: $vgpr12
	s_and_saveexec_b64 s[0:1], s[44:45]
	s_cbranch_execz .LBB346_78
.LBB346_312:
	v_mov_b32_e32 v35, 0
	v_lshl_add_u64 v[12:13], s[62:63], 0, v[34:35]
	flat_load_ushort v12, v[12:13]
	s_or_b64 exec, exec, s[0:1]
                                        ; implicit-def: $vgpr13
	s_and_saveexec_b64 s[0:1], s[46:47]
	s_cbranch_execz .LBB346_79
.LBB346_313:
	v_mov_b32_e32 v39, 0
	v_lshl_add_u64 v[14:15], s[62:63], 0, v[38:39]
	flat_load_ushort v13, v[14:15]
	s_or_b64 exec, exec, s[0:1]
                                        ; implicit-def: $vgpr14
	s_and_saveexec_b64 s[0:1], s[48:49]
	s_cbranch_execz .LBB346_80
.LBB346_314:
	v_mov_b32_e32 v41, 0
	v_lshl_add_u64 v[14:15], s[62:63], 0, v[40:41]
	flat_load_ushort v14, v[14:15]
	s_or_b64 exec, exec, s[0:1]
                                        ; implicit-def: $vgpr15
	s_and_saveexec_b64 s[0:1], s[50:51]
	s_cbranch_execz .LBB346_81
.LBB346_315:
	v_mov_b32_e32 v43, 0
	v_lshl_add_u64 v[16:17], s[62:63], 0, v[42:43]
	flat_load_ushort v15, v[16:17]
	s_or_b64 exec, exec, s[0:1]
                                        ; implicit-def: $vgpr16
	s_and_saveexec_b64 s[0:1], s[52:53]
	s_cbranch_execz .LBB346_82
.LBB346_316:
	v_mov_b32_e32 v45, 0
	v_lshl_add_u64 v[16:17], s[62:63], 0, v[44:45]
	flat_load_ushort v16, v[16:17]
	s_or_b64 exec, exec, s[0:1]
                                        ; implicit-def: $vgpr17
	s_and_saveexec_b64 s[0:1], s[54:55]
	s_cbranch_execnz .LBB346_83
	s_branch .LBB346_84
.LBB346_317:
                                        ; implicit-def: $sgpr0_sgpr1
	s_branch .LBB346_56
.LBB346_318:
                                        ; implicit-def: $sgpr0_sgpr1
	s_branch .LBB346_135
	.section	.rodata,"a",@progbits
	.p2align	6, 0x0
	.amdhsa_kernel _ZN7rocprim17ROCPRIM_400000_NS6detail17trampoline_kernelINS0_14default_configENS1_27scan_by_key_config_selectorIssEEZZNS1_16scan_by_key_implILNS1_25lookback_scan_determinismE0ELb0ES3_N6thrust23THRUST_200600_302600_NS6detail15normal_iteratorINS9_10device_ptrIsEEEESE_SE_sNS9_4plusIvEENS9_8equal_toIsEEsEE10hipError_tPvRmT2_T3_T4_T5_mT6_T7_P12ihipStream_tbENKUlT_T0_E_clISt17integral_constantIbLb0EESY_IbLb1EEEEDaSU_SV_EUlSU_E_NS1_11comp_targetILNS1_3genE5ELNS1_11target_archE942ELNS1_3gpuE9ELNS1_3repE0EEENS1_30default_config_static_selectorELNS0_4arch9wavefront6targetE1EEEvT1_
		.amdhsa_group_segment_fixed_size 13312
		.amdhsa_private_segment_fixed_size 0
		.amdhsa_kernarg_size 112
		.amdhsa_user_sgpr_count 2
		.amdhsa_user_sgpr_dispatch_ptr 0
		.amdhsa_user_sgpr_queue_ptr 0
		.amdhsa_user_sgpr_kernarg_segment_ptr 1
		.amdhsa_user_sgpr_dispatch_id 0
		.amdhsa_user_sgpr_kernarg_preload_length 0
		.amdhsa_user_sgpr_kernarg_preload_offset 0
		.amdhsa_user_sgpr_private_segment_size 0
		.amdhsa_uses_dynamic_stack 0
		.amdhsa_enable_private_segment 0
		.amdhsa_system_sgpr_workgroup_id_x 1
		.amdhsa_system_sgpr_workgroup_id_y 0
		.amdhsa_system_sgpr_workgroup_id_z 0
		.amdhsa_system_sgpr_workgroup_info 0
		.amdhsa_system_vgpr_workitem_id 0
		.amdhsa_next_free_vgpr 63
		.amdhsa_next_free_sgpr 87
		.amdhsa_accum_offset 64
		.amdhsa_reserve_vcc 1
		.amdhsa_float_round_mode_32 0
		.amdhsa_float_round_mode_16_64 0
		.amdhsa_float_denorm_mode_32 3
		.amdhsa_float_denorm_mode_16_64 3
		.amdhsa_dx10_clamp 1
		.amdhsa_ieee_mode 1
		.amdhsa_fp16_overflow 0
		.amdhsa_tg_split 0
		.amdhsa_exception_fp_ieee_invalid_op 0
		.amdhsa_exception_fp_denorm_src 0
		.amdhsa_exception_fp_ieee_div_zero 0
		.amdhsa_exception_fp_ieee_overflow 0
		.amdhsa_exception_fp_ieee_underflow 0
		.amdhsa_exception_fp_ieee_inexact 0
		.amdhsa_exception_int_div_zero 0
	.end_amdhsa_kernel
	.section	.text._ZN7rocprim17ROCPRIM_400000_NS6detail17trampoline_kernelINS0_14default_configENS1_27scan_by_key_config_selectorIssEEZZNS1_16scan_by_key_implILNS1_25lookback_scan_determinismE0ELb0ES3_N6thrust23THRUST_200600_302600_NS6detail15normal_iteratorINS9_10device_ptrIsEEEESE_SE_sNS9_4plusIvEENS9_8equal_toIsEEsEE10hipError_tPvRmT2_T3_T4_T5_mT6_T7_P12ihipStream_tbENKUlT_T0_E_clISt17integral_constantIbLb0EESY_IbLb1EEEEDaSU_SV_EUlSU_E_NS1_11comp_targetILNS1_3genE5ELNS1_11target_archE942ELNS1_3gpuE9ELNS1_3repE0EEENS1_30default_config_static_selectorELNS0_4arch9wavefront6targetE1EEEvT1_,"axG",@progbits,_ZN7rocprim17ROCPRIM_400000_NS6detail17trampoline_kernelINS0_14default_configENS1_27scan_by_key_config_selectorIssEEZZNS1_16scan_by_key_implILNS1_25lookback_scan_determinismE0ELb0ES3_N6thrust23THRUST_200600_302600_NS6detail15normal_iteratorINS9_10device_ptrIsEEEESE_SE_sNS9_4plusIvEENS9_8equal_toIsEEsEE10hipError_tPvRmT2_T3_T4_T5_mT6_T7_P12ihipStream_tbENKUlT_T0_E_clISt17integral_constantIbLb0EESY_IbLb1EEEEDaSU_SV_EUlSU_E_NS1_11comp_targetILNS1_3genE5ELNS1_11target_archE942ELNS1_3gpuE9ELNS1_3repE0EEENS1_30default_config_static_selectorELNS0_4arch9wavefront6targetE1EEEvT1_,comdat
.Lfunc_end346:
	.size	_ZN7rocprim17ROCPRIM_400000_NS6detail17trampoline_kernelINS0_14default_configENS1_27scan_by_key_config_selectorIssEEZZNS1_16scan_by_key_implILNS1_25lookback_scan_determinismE0ELb0ES3_N6thrust23THRUST_200600_302600_NS6detail15normal_iteratorINS9_10device_ptrIsEEEESE_SE_sNS9_4plusIvEENS9_8equal_toIsEEsEE10hipError_tPvRmT2_T3_T4_T5_mT6_T7_P12ihipStream_tbENKUlT_T0_E_clISt17integral_constantIbLb0EESY_IbLb1EEEEDaSU_SV_EUlSU_E_NS1_11comp_targetILNS1_3genE5ELNS1_11target_archE942ELNS1_3gpuE9ELNS1_3repE0EEENS1_30default_config_static_selectorELNS0_4arch9wavefront6targetE1EEEvT1_, .Lfunc_end346-_ZN7rocprim17ROCPRIM_400000_NS6detail17trampoline_kernelINS0_14default_configENS1_27scan_by_key_config_selectorIssEEZZNS1_16scan_by_key_implILNS1_25lookback_scan_determinismE0ELb0ES3_N6thrust23THRUST_200600_302600_NS6detail15normal_iteratorINS9_10device_ptrIsEEEESE_SE_sNS9_4plusIvEENS9_8equal_toIsEEsEE10hipError_tPvRmT2_T3_T4_T5_mT6_T7_P12ihipStream_tbENKUlT_T0_E_clISt17integral_constantIbLb0EESY_IbLb1EEEEDaSU_SV_EUlSU_E_NS1_11comp_targetILNS1_3genE5ELNS1_11target_archE942ELNS1_3gpuE9ELNS1_3repE0EEENS1_30default_config_static_selectorELNS0_4arch9wavefront6targetE1EEEvT1_
                                        ; -- End function
	.section	.AMDGPU.csdata,"",@progbits
; Kernel info:
; codeLenInByte = 16224
; NumSgprs: 93
; NumVgprs: 63
; NumAgprs: 0
; TotalNumVgprs: 63
; ScratchSize: 0
; MemoryBound: 0
; FloatMode: 240
; IeeeMode: 1
; LDSByteSize: 13312 bytes/workgroup (compile time only)
; SGPRBlocks: 11
; VGPRBlocks: 7
; NumSGPRsForWavesPerEU: 93
; NumVGPRsForWavesPerEU: 63
; AccumOffset: 64
; Occupancy: 4
; WaveLimiterHint : 1
; COMPUTE_PGM_RSRC2:SCRATCH_EN: 0
; COMPUTE_PGM_RSRC2:USER_SGPR: 2
; COMPUTE_PGM_RSRC2:TRAP_HANDLER: 0
; COMPUTE_PGM_RSRC2:TGID_X_EN: 1
; COMPUTE_PGM_RSRC2:TGID_Y_EN: 0
; COMPUTE_PGM_RSRC2:TGID_Z_EN: 0
; COMPUTE_PGM_RSRC2:TIDIG_COMP_CNT: 0
; COMPUTE_PGM_RSRC3_GFX90A:ACCUM_OFFSET: 15
; COMPUTE_PGM_RSRC3_GFX90A:TG_SPLIT: 0
	.section	.text._ZN7rocprim17ROCPRIM_400000_NS6detail17trampoline_kernelINS0_14default_configENS1_27scan_by_key_config_selectorIssEEZZNS1_16scan_by_key_implILNS1_25lookback_scan_determinismE0ELb0ES3_N6thrust23THRUST_200600_302600_NS6detail15normal_iteratorINS9_10device_ptrIsEEEESE_SE_sNS9_4plusIvEENS9_8equal_toIsEEsEE10hipError_tPvRmT2_T3_T4_T5_mT6_T7_P12ihipStream_tbENKUlT_T0_E_clISt17integral_constantIbLb0EESY_IbLb1EEEEDaSU_SV_EUlSU_E_NS1_11comp_targetILNS1_3genE4ELNS1_11target_archE910ELNS1_3gpuE8ELNS1_3repE0EEENS1_30default_config_static_selectorELNS0_4arch9wavefront6targetE1EEEvT1_,"axG",@progbits,_ZN7rocprim17ROCPRIM_400000_NS6detail17trampoline_kernelINS0_14default_configENS1_27scan_by_key_config_selectorIssEEZZNS1_16scan_by_key_implILNS1_25lookback_scan_determinismE0ELb0ES3_N6thrust23THRUST_200600_302600_NS6detail15normal_iteratorINS9_10device_ptrIsEEEESE_SE_sNS9_4plusIvEENS9_8equal_toIsEEsEE10hipError_tPvRmT2_T3_T4_T5_mT6_T7_P12ihipStream_tbENKUlT_T0_E_clISt17integral_constantIbLb0EESY_IbLb1EEEEDaSU_SV_EUlSU_E_NS1_11comp_targetILNS1_3genE4ELNS1_11target_archE910ELNS1_3gpuE8ELNS1_3repE0EEENS1_30default_config_static_selectorELNS0_4arch9wavefront6targetE1EEEvT1_,comdat
	.protected	_ZN7rocprim17ROCPRIM_400000_NS6detail17trampoline_kernelINS0_14default_configENS1_27scan_by_key_config_selectorIssEEZZNS1_16scan_by_key_implILNS1_25lookback_scan_determinismE0ELb0ES3_N6thrust23THRUST_200600_302600_NS6detail15normal_iteratorINS9_10device_ptrIsEEEESE_SE_sNS9_4plusIvEENS9_8equal_toIsEEsEE10hipError_tPvRmT2_T3_T4_T5_mT6_T7_P12ihipStream_tbENKUlT_T0_E_clISt17integral_constantIbLb0EESY_IbLb1EEEEDaSU_SV_EUlSU_E_NS1_11comp_targetILNS1_3genE4ELNS1_11target_archE910ELNS1_3gpuE8ELNS1_3repE0EEENS1_30default_config_static_selectorELNS0_4arch9wavefront6targetE1EEEvT1_ ; -- Begin function _ZN7rocprim17ROCPRIM_400000_NS6detail17trampoline_kernelINS0_14default_configENS1_27scan_by_key_config_selectorIssEEZZNS1_16scan_by_key_implILNS1_25lookback_scan_determinismE0ELb0ES3_N6thrust23THRUST_200600_302600_NS6detail15normal_iteratorINS9_10device_ptrIsEEEESE_SE_sNS9_4plusIvEENS9_8equal_toIsEEsEE10hipError_tPvRmT2_T3_T4_T5_mT6_T7_P12ihipStream_tbENKUlT_T0_E_clISt17integral_constantIbLb0EESY_IbLb1EEEEDaSU_SV_EUlSU_E_NS1_11comp_targetILNS1_3genE4ELNS1_11target_archE910ELNS1_3gpuE8ELNS1_3repE0EEENS1_30default_config_static_selectorELNS0_4arch9wavefront6targetE1EEEvT1_
	.globl	_ZN7rocprim17ROCPRIM_400000_NS6detail17trampoline_kernelINS0_14default_configENS1_27scan_by_key_config_selectorIssEEZZNS1_16scan_by_key_implILNS1_25lookback_scan_determinismE0ELb0ES3_N6thrust23THRUST_200600_302600_NS6detail15normal_iteratorINS9_10device_ptrIsEEEESE_SE_sNS9_4plusIvEENS9_8equal_toIsEEsEE10hipError_tPvRmT2_T3_T4_T5_mT6_T7_P12ihipStream_tbENKUlT_T0_E_clISt17integral_constantIbLb0EESY_IbLb1EEEEDaSU_SV_EUlSU_E_NS1_11comp_targetILNS1_3genE4ELNS1_11target_archE910ELNS1_3gpuE8ELNS1_3repE0EEENS1_30default_config_static_selectorELNS0_4arch9wavefront6targetE1EEEvT1_
	.p2align	8
	.type	_ZN7rocprim17ROCPRIM_400000_NS6detail17trampoline_kernelINS0_14default_configENS1_27scan_by_key_config_selectorIssEEZZNS1_16scan_by_key_implILNS1_25lookback_scan_determinismE0ELb0ES3_N6thrust23THRUST_200600_302600_NS6detail15normal_iteratorINS9_10device_ptrIsEEEESE_SE_sNS9_4plusIvEENS9_8equal_toIsEEsEE10hipError_tPvRmT2_T3_T4_T5_mT6_T7_P12ihipStream_tbENKUlT_T0_E_clISt17integral_constantIbLb0EESY_IbLb1EEEEDaSU_SV_EUlSU_E_NS1_11comp_targetILNS1_3genE4ELNS1_11target_archE910ELNS1_3gpuE8ELNS1_3repE0EEENS1_30default_config_static_selectorELNS0_4arch9wavefront6targetE1EEEvT1_,@function
_ZN7rocprim17ROCPRIM_400000_NS6detail17trampoline_kernelINS0_14default_configENS1_27scan_by_key_config_selectorIssEEZZNS1_16scan_by_key_implILNS1_25lookback_scan_determinismE0ELb0ES3_N6thrust23THRUST_200600_302600_NS6detail15normal_iteratorINS9_10device_ptrIsEEEESE_SE_sNS9_4plusIvEENS9_8equal_toIsEEsEE10hipError_tPvRmT2_T3_T4_T5_mT6_T7_P12ihipStream_tbENKUlT_T0_E_clISt17integral_constantIbLb0EESY_IbLb1EEEEDaSU_SV_EUlSU_E_NS1_11comp_targetILNS1_3genE4ELNS1_11target_archE910ELNS1_3gpuE8ELNS1_3repE0EEENS1_30default_config_static_selectorELNS0_4arch9wavefront6targetE1EEEvT1_: ; @_ZN7rocprim17ROCPRIM_400000_NS6detail17trampoline_kernelINS0_14default_configENS1_27scan_by_key_config_selectorIssEEZZNS1_16scan_by_key_implILNS1_25lookback_scan_determinismE0ELb0ES3_N6thrust23THRUST_200600_302600_NS6detail15normal_iteratorINS9_10device_ptrIsEEEESE_SE_sNS9_4plusIvEENS9_8equal_toIsEEsEE10hipError_tPvRmT2_T3_T4_T5_mT6_T7_P12ihipStream_tbENKUlT_T0_E_clISt17integral_constantIbLb0EESY_IbLb1EEEEDaSU_SV_EUlSU_E_NS1_11comp_targetILNS1_3genE4ELNS1_11target_archE910ELNS1_3gpuE8ELNS1_3repE0EEENS1_30default_config_static_selectorELNS0_4arch9wavefront6targetE1EEEvT1_
; %bb.0:
	.section	.rodata,"a",@progbits
	.p2align	6, 0x0
	.amdhsa_kernel _ZN7rocprim17ROCPRIM_400000_NS6detail17trampoline_kernelINS0_14default_configENS1_27scan_by_key_config_selectorIssEEZZNS1_16scan_by_key_implILNS1_25lookback_scan_determinismE0ELb0ES3_N6thrust23THRUST_200600_302600_NS6detail15normal_iteratorINS9_10device_ptrIsEEEESE_SE_sNS9_4plusIvEENS9_8equal_toIsEEsEE10hipError_tPvRmT2_T3_T4_T5_mT6_T7_P12ihipStream_tbENKUlT_T0_E_clISt17integral_constantIbLb0EESY_IbLb1EEEEDaSU_SV_EUlSU_E_NS1_11comp_targetILNS1_3genE4ELNS1_11target_archE910ELNS1_3gpuE8ELNS1_3repE0EEENS1_30default_config_static_selectorELNS0_4arch9wavefront6targetE1EEEvT1_
		.amdhsa_group_segment_fixed_size 0
		.amdhsa_private_segment_fixed_size 0
		.amdhsa_kernarg_size 112
		.amdhsa_user_sgpr_count 2
		.amdhsa_user_sgpr_dispatch_ptr 0
		.amdhsa_user_sgpr_queue_ptr 0
		.amdhsa_user_sgpr_kernarg_segment_ptr 1
		.amdhsa_user_sgpr_dispatch_id 0
		.amdhsa_user_sgpr_kernarg_preload_length 0
		.amdhsa_user_sgpr_kernarg_preload_offset 0
		.amdhsa_user_sgpr_private_segment_size 0
		.amdhsa_uses_dynamic_stack 0
		.amdhsa_enable_private_segment 0
		.amdhsa_system_sgpr_workgroup_id_x 1
		.amdhsa_system_sgpr_workgroup_id_y 0
		.amdhsa_system_sgpr_workgroup_id_z 0
		.amdhsa_system_sgpr_workgroup_info 0
		.amdhsa_system_vgpr_workitem_id 0
		.amdhsa_next_free_vgpr 1
		.amdhsa_next_free_sgpr 0
		.amdhsa_accum_offset 4
		.amdhsa_reserve_vcc 0
		.amdhsa_float_round_mode_32 0
		.amdhsa_float_round_mode_16_64 0
		.amdhsa_float_denorm_mode_32 3
		.amdhsa_float_denorm_mode_16_64 3
		.amdhsa_dx10_clamp 1
		.amdhsa_ieee_mode 1
		.amdhsa_fp16_overflow 0
		.amdhsa_tg_split 0
		.amdhsa_exception_fp_ieee_invalid_op 0
		.amdhsa_exception_fp_denorm_src 0
		.amdhsa_exception_fp_ieee_div_zero 0
		.amdhsa_exception_fp_ieee_overflow 0
		.amdhsa_exception_fp_ieee_underflow 0
		.amdhsa_exception_fp_ieee_inexact 0
		.amdhsa_exception_int_div_zero 0
	.end_amdhsa_kernel
	.section	.text._ZN7rocprim17ROCPRIM_400000_NS6detail17trampoline_kernelINS0_14default_configENS1_27scan_by_key_config_selectorIssEEZZNS1_16scan_by_key_implILNS1_25lookback_scan_determinismE0ELb0ES3_N6thrust23THRUST_200600_302600_NS6detail15normal_iteratorINS9_10device_ptrIsEEEESE_SE_sNS9_4plusIvEENS9_8equal_toIsEEsEE10hipError_tPvRmT2_T3_T4_T5_mT6_T7_P12ihipStream_tbENKUlT_T0_E_clISt17integral_constantIbLb0EESY_IbLb1EEEEDaSU_SV_EUlSU_E_NS1_11comp_targetILNS1_3genE4ELNS1_11target_archE910ELNS1_3gpuE8ELNS1_3repE0EEENS1_30default_config_static_selectorELNS0_4arch9wavefront6targetE1EEEvT1_,"axG",@progbits,_ZN7rocprim17ROCPRIM_400000_NS6detail17trampoline_kernelINS0_14default_configENS1_27scan_by_key_config_selectorIssEEZZNS1_16scan_by_key_implILNS1_25lookback_scan_determinismE0ELb0ES3_N6thrust23THRUST_200600_302600_NS6detail15normal_iteratorINS9_10device_ptrIsEEEESE_SE_sNS9_4plusIvEENS9_8equal_toIsEEsEE10hipError_tPvRmT2_T3_T4_T5_mT6_T7_P12ihipStream_tbENKUlT_T0_E_clISt17integral_constantIbLb0EESY_IbLb1EEEEDaSU_SV_EUlSU_E_NS1_11comp_targetILNS1_3genE4ELNS1_11target_archE910ELNS1_3gpuE8ELNS1_3repE0EEENS1_30default_config_static_selectorELNS0_4arch9wavefront6targetE1EEEvT1_,comdat
.Lfunc_end347:
	.size	_ZN7rocprim17ROCPRIM_400000_NS6detail17trampoline_kernelINS0_14default_configENS1_27scan_by_key_config_selectorIssEEZZNS1_16scan_by_key_implILNS1_25lookback_scan_determinismE0ELb0ES3_N6thrust23THRUST_200600_302600_NS6detail15normal_iteratorINS9_10device_ptrIsEEEESE_SE_sNS9_4plusIvEENS9_8equal_toIsEEsEE10hipError_tPvRmT2_T3_T4_T5_mT6_T7_P12ihipStream_tbENKUlT_T0_E_clISt17integral_constantIbLb0EESY_IbLb1EEEEDaSU_SV_EUlSU_E_NS1_11comp_targetILNS1_3genE4ELNS1_11target_archE910ELNS1_3gpuE8ELNS1_3repE0EEENS1_30default_config_static_selectorELNS0_4arch9wavefront6targetE1EEEvT1_, .Lfunc_end347-_ZN7rocprim17ROCPRIM_400000_NS6detail17trampoline_kernelINS0_14default_configENS1_27scan_by_key_config_selectorIssEEZZNS1_16scan_by_key_implILNS1_25lookback_scan_determinismE0ELb0ES3_N6thrust23THRUST_200600_302600_NS6detail15normal_iteratorINS9_10device_ptrIsEEEESE_SE_sNS9_4plusIvEENS9_8equal_toIsEEsEE10hipError_tPvRmT2_T3_T4_T5_mT6_T7_P12ihipStream_tbENKUlT_T0_E_clISt17integral_constantIbLb0EESY_IbLb1EEEEDaSU_SV_EUlSU_E_NS1_11comp_targetILNS1_3genE4ELNS1_11target_archE910ELNS1_3gpuE8ELNS1_3repE0EEENS1_30default_config_static_selectorELNS0_4arch9wavefront6targetE1EEEvT1_
                                        ; -- End function
	.section	.AMDGPU.csdata,"",@progbits
; Kernel info:
; codeLenInByte = 0
; NumSgprs: 6
; NumVgprs: 0
; NumAgprs: 0
; TotalNumVgprs: 0
; ScratchSize: 0
; MemoryBound: 0
; FloatMode: 240
; IeeeMode: 1
; LDSByteSize: 0 bytes/workgroup (compile time only)
; SGPRBlocks: 0
; VGPRBlocks: 0
; NumSGPRsForWavesPerEU: 6
; NumVGPRsForWavesPerEU: 1
; AccumOffset: 4
; Occupancy: 8
; WaveLimiterHint : 0
; COMPUTE_PGM_RSRC2:SCRATCH_EN: 0
; COMPUTE_PGM_RSRC2:USER_SGPR: 2
; COMPUTE_PGM_RSRC2:TRAP_HANDLER: 0
; COMPUTE_PGM_RSRC2:TGID_X_EN: 1
; COMPUTE_PGM_RSRC2:TGID_Y_EN: 0
; COMPUTE_PGM_RSRC2:TGID_Z_EN: 0
; COMPUTE_PGM_RSRC2:TIDIG_COMP_CNT: 0
; COMPUTE_PGM_RSRC3_GFX90A:ACCUM_OFFSET: 0
; COMPUTE_PGM_RSRC3_GFX90A:TG_SPLIT: 0
	.section	.text._ZN7rocprim17ROCPRIM_400000_NS6detail17trampoline_kernelINS0_14default_configENS1_27scan_by_key_config_selectorIssEEZZNS1_16scan_by_key_implILNS1_25lookback_scan_determinismE0ELb0ES3_N6thrust23THRUST_200600_302600_NS6detail15normal_iteratorINS9_10device_ptrIsEEEESE_SE_sNS9_4plusIvEENS9_8equal_toIsEEsEE10hipError_tPvRmT2_T3_T4_T5_mT6_T7_P12ihipStream_tbENKUlT_T0_E_clISt17integral_constantIbLb0EESY_IbLb1EEEEDaSU_SV_EUlSU_E_NS1_11comp_targetILNS1_3genE3ELNS1_11target_archE908ELNS1_3gpuE7ELNS1_3repE0EEENS1_30default_config_static_selectorELNS0_4arch9wavefront6targetE1EEEvT1_,"axG",@progbits,_ZN7rocprim17ROCPRIM_400000_NS6detail17trampoline_kernelINS0_14default_configENS1_27scan_by_key_config_selectorIssEEZZNS1_16scan_by_key_implILNS1_25lookback_scan_determinismE0ELb0ES3_N6thrust23THRUST_200600_302600_NS6detail15normal_iteratorINS9_10device_ptrIsEEEESE_SE_sNS9_4plusIvEENS9_8equal_toIsEEsEE10hipError_tPvRmT2_T3_T4_T5_mT6_T7_P12ihipStream_tbENKUlT_T0_E_clISt17integral_constantIbLb0EESY_IbLb1EEEEDaSU_SV_EUlSU_E_NS1_11comp_targetILNS1_3genE3ELNS1_11target_archE908ELNS1_3gpuE7ELNS1_3repE0EEENS1_30default_config_static_selectorELNS0_4arch9wavefront6targetE1EEEvT1_,comdat
	.protected	_ZN7rocprim17ROCPRIM_400000_NS6detail17trampoline_kernelINS0_14default_configENS1_27scan_by_key_config_selectorIssEEZZNS1_16scan_by_key_implILNS1_25lookback_scan_determinismE0ELb0ES3_N6thrust23THRUST_200600_302600_NS6detail15normal_iteratorINS9_10device_ptrIsEEEESE_SE_sNS9_4plusIvEENS9_8equal_toIsEEsEE10hipError_tPvRmT2_T3_T4_T5_mT6_T7_P12ihipStream_tbENKUlT_T0_E_clISt17integral_constantIbLb0EESY_IbLb1EEEEDaSU_SV_EUlSU_E_NS1_11comp_targetILNS1_3genE3ELNS1_11target_archE908ELNS1_3gpuE7ELNS1_3repE0EEENS1_30default_config_static_selectorELNS0_4arch9wavefront6targetE1EEEvT1_ ; -- Begin function _ZN7rocprim17ROCPRIM_400000_NS6detail17trampoline_kernelINS0_14default_configENS1_27scan_by_key_config_selectorIssEEZZNS1_16scan_by_key_implILNS1_25lookback_scan_determinismE0ELb0ES3_N6thrust23THRUST_200600_302600_NS6detail15normal_iteratorINS9_10device_ptrIsEEEESE_SE_sNS9_4plusIvEENS9_8equal_toIsEEsEE10hipError_tPvRmT2_T3_T4_T5_mT6_T7_P12ihipStream_tbENKUlT_T0_E_clISt17integral_constantIbLb0EESY_IbLb1EEEEDaSU_SV_EUlSU_E_NS1_11comp_targetILNS1_3genE3ELNS1_11target_archE908ELNS1_3gpuE7ELNS1_3repE0EEENS1_30default_config_static_selectorELNS0_4arch9wavefront6targetE1EEEvT1_
	.globl	_ZN7rocprim17ROCPRIM_400000_NS6detail17trampoline_kernelINS0_14default_configENS1_27scan_by_key_config_selectorIssEEZZNS1_16scan_by_key_implILNS1_25lookback_scan_determinismE0ELb0ES3_N6thrust23THRUST_200600_302600_NS6detail15normal_iteratorINS9_10device_ptrIsEEEESE_SE_sNS9_4plusIvEENS9_8equal_toIsEEsEE10hipError_tPvRmT2_T3_T4_T5_mT6_T7_P12ihipStream_tbENKUlT_T0_E_clISt17integral_constantIbLb0EESY_IbLb1EEEEDaSU_SV_EUlSU_E_NS1_11comp_targetILNS1_3genE3ELNS1_11target_archE908ELNS1_3gpuE7ELNS1_3repE0EEENS1_30default_config_static_selectorELNS0_4arch9wavefront6targetE1EEEvT1_
	.p2align	8
	.type	_ZN7rocprim17ROCPRIM_400000_NS6detail17trampoline_kernelINS0_14default_configENS1_27scan_by_key_config_selectorIssEEZZNS1_16scan_by_key_implILNS1_25lookback_scan_determinismE0ELb0ES3_N6thrust23THRUST_200600_302600_NS6detail15normal_iteratorINS9_10device_ptrIsEEEESE_SE_sNS9_4plusIvEENS9_8equal_toIsEEsEE10hipError_tPvRmT2_T3_T4_T5_mT6_T7_P12ihipStream_tbENKUlT_T0_E_clISt17integral_constantIbLb0EESY_IbLb1EEEEDaSU_SV_EUlSU_E_NS1_11comp_targetILNS1_3genE3ELNS1_11target_archE908ELNS1_3gpuE7ELNS1_3repE0EEENS1_30default_config_static_selectorELNS0_4arch9wavefront6targetE1EEEvT1_,@function
_ZN7rocprim17ROCPRIM_400000_NS6detail17trampoline_kernelINS0_14default_configENS1_27scan_by_key_config_selectorIssEEZZNS1_16scan_by_key_implILNS1_25lookback_scan_determinismE0ELb0ES3_N6thrust23THRUST_200600_302600_NS6detail15normal_iteratorINS9_10device_ptrIsEEEESE_SE_sNS9_4plusIvEENS9_8equal_toIsEEsEE10hipError_tPvRmT2_T3_T4_T5_mT6_T7_P12ihipStream_tbENKUlT_T0_E_clISt17integral_constantIbLb0EESY_IbLb1EEEEDaSU_SV_EUlSU_E_NS1_11comp_targetILNS1_3genE3ELNS1_11target_archE908ELNS1_3gpuE7ELNS1_3repE0EEENS1_30default_config_static_selectorELNS0_4arch9wavefront6targetE1EEEvT1_: ; @_ZN7rocprim17ROCPRIM_400000_NS6detail17trampoline_kernelINS0_14default_configENS1_27scan_by_key_config_selectorIssEEZZNS1_16scan_by_key_implILNS1_25lookback_scan_determinismE0ELb0ES3_N6thrust23THRUST_200600_302600_NS6detail15normal_iteratorINS9_10device_ptrIsEEEESE_SE_sNS9_4plusIvEENS9_8equal_toIsEEsEE10hipError_tPvRmT2_T3_T4_T5_mT6_T7_P12ihipStream_tbENKUlT_T0_E_clISt17integral_constantIbLb0EESY_IbLb1EEEEDaSU_SV_EUlSU_E_NS1_11comp_targetILNS1_3genE3ELNS1_11target_archE908ELNS1_3gpuE7ELNS1_3repE0EEENS1_30default_config_static_selectorELNS0_4arch9wavefront6targetE1EEEvT1_
; %bb.0:
	.section	.rodata,"a",@progbits
	.p2align	6, 0x0
	.amdhsa_kernel _ZN7rocprim17ROCPRIM_400000_NS6detail17trampoline_kernelINS0_14default_configENS1_27scan_by_key_config_selectorIssEEZZNS1_16scan_by_key_implILNS1_25lookback_scan_determinismE0ELb0ES3_N6thrust23THRUST_200600_302600_NS6detail15normal_iteratorINS9_10device_ptrIsEEEESE_SE_sNS9_4plusIvEENS9_8equal_toIsEEsEE10hipError_tPvRmT2_T3_T4_T5_mT6_T7_P12ihipStream_tbENKUlT_T0_E_clISt17integral_constantIbLb0EESY_IbLb1EEEEDaSU_SV_EUlSU_E_NS1_11comp_targetILNS1_3genE3ELNS1_11target_archE908ELNS1_3gpuE7ELNS1_3repE0EEENS1_30default_config_static_selectorELNS0_4arch9wavefront6targetE1EEEvT1_
		.amdhsa_group_segment_fixed_size 0
		.amdhsa_private_segment_fixed_size 0
		.amdhsa_kernarg_size 112
		.amdhsa_user_sgpr_count 2
		.amdhsa_user_sgpr_dispatch_ptr 0
		.amdhsa_user_sgpr_queue_ptr 0
		.amdhsa_user_sgpr_kernarg_segment_ptr 1
		.amdhsa_user_sgpr_dispatch_id 0
		.amdhsa_user_sgpr_kernarg_preload_length 0
		.amdhsa_user_sgpr_kernarg_preload_offset 0
		.amdhsa_user_sgpr_private_segment_size 0
		.amdhsa_uses_dynamic_stack 0
		.amdhsa_enable_private_segment 0
		.amdhsa_system_sgpr_workgroup_id_x 1
		.amdhsa_system_sgpr_workgroup_id_y 0
		.amdhsa_system_sgpr_workgroup_id_z 0
		.amdhsa_system_sgpr_workgroup_info 0
		.amdhsa_system_vgpr_workitem_id 0
		.amdhsa_next_free_vgpr 1
		.amdhsa_next_free_sgpr 0
		.amdhsa_accum_offset 4
		.amdhsa_reserve_vcc 0
		.amdhsa_float_round_mode_32 0
		.amdhsa_float_round_mode_16_64 0
		.amdhsa_float_denorm_mode_32 3
		.amdhsa_float_denorm_mode_16_64 3
		.amdhsa_dx10_clamp 1
		.amdhsa_ieee_mode 1
		.amdhsa_fp16_overflow 0
		.amdhsa_tg_split 0
		.amdhsa_exception_fp_ieee_invalid_op 0
		.amdhsa_exception_fp_denorm_src 0
		.amdhsa_exception_fp_ieee_div_zero 0
		.amdhsa_exception_fp_ieee_overflow 0
		.amdhsa_exception_fp_ieee_underflow 0
		.amdhsa_exception_fp_ieee_inexact 0
		.amdhsa_exception_int_div_zero 0
	.end_amdhsa_kernel
	.section	.text._ZN7rocprim17ROCPRIM_400000_NS6detail17trampoline_kernelINS0_14default_configENS1_27scan_by_key_config_selectorIssEEZZNS1_16scan_by_key_implILNS1_25lookback_scan_determinismE0ELb0ES3_N6thrust23THRUST_200600_302600_NS6detail15normal_iteratorINS9_10device_ptrIsEEEESE_SE_sNS9_4plusIvEENS9_8equal_toIsEEsEE10hipError_tPvRmT2_T3_T4_T5_mT6_T7_P12ihipStream_tbENKUlT_T0_E_clISt17integral_constantIbLb0EESY_IbLb1EEEEDaSU_SV_EUlSU_E_NS1_11comp_targetILNS1_3genE3ELNS1_11target_archE908ELNS1_3gpuE7ELNS1_3repE0EEENS1_30default_config_static_selectorELNS0_4arch9wavefront6targetE1EEEvT1_,"axG",@progbits,_ZN7rocprim17ROCPRIM_400000_NS6detail17trampoline_kernelINS0_14default_configENS1_27scan_by_key_config_selectorIssEEZZNS1_16scan_by_key_implILNS1_25lookback_scan_determinismE0ELb0ES3_N6thrust23THRUST_200600_302600_NS6detail15normal_iteratorINS9_10device_ptrIsEEEESE_SE_sNS9_4plusIvEENS9_8equal_toIsEEsEE10hipError_tPvRmT2_T3_T4_T5_mT6_T7_P12ihipStream_tbENKUlT_T0_E_clISt17integral_constantIbLb0EESY_IbLb1EEEEDaSU_SV_EUlSU_E_NS1_11comp_targetILNS1_3genE3ELNS1_11target_archE908ELNS1_3gpuE7ELNS1_3repE0EEENS1_30default_config_static_selectorELNS0_4arch9wavefront6targetE1EEEvT1_,comdat
.Lfunc_end348:
	.size	_ZN7rocprim17ROCPRIM_400000_NS6detail17trampoline_kernelINS0_14default_configENS1_27scan_by_key_config_selectorIssEEZZNS1_16scan_by_key_implILNS1_25lookback_scan_determinismE0ELb0ES3_N6thrust23THRUST_200600_302600_NS6detail15normal_iteratorINS9_10device_ptrIsEEEESE_SE_sNS9_4plusIvEENS9_8equal_toIsEEsEE10hipError_tPvRmT2_T3_T4_T5_mT6_T7_P12ihipStream_tbENKUlT_T0_E_clISt17integral_constantIbLb0EESY_IbLb1EEEEDaSU_SV_EUlSU_E_NS1_11comp_targetILNS1_3genE3ELNS1_11target_archE908ELNS1_3gpuE7ELNS1_3repE0EEENS1_30default_config_static_selectorELNS0_4arch9wavefront6targetE1EEEvT1_, .Lfunc_end348-_ZN7rocprim17ROCPRIM_400000_NS6detail17trampoline_kernelINS0_14default_configENS1_27scan_by_key_config_selectorIssEEZZNS1_16scan_by_key_implILNS1_25lookback_scan_determinismE0ELb0ES3_N6thrust23THRUST_200600_302600_NS6detail15normal_iteratorINS9_10device_ptrIsEEEESE_SE_sNS9_4plusIvEENS9_8equal_toIsEEsEE10hipError_tPvRmT2_T3_T4_T5_mT6_T7_P12ihipStream_tbENKUlT_T0_E_clISt17integral_constantIbLb0EESY_IbLb1EEEEDaSU_SV_EUlSU_E_NS1_11comp_targetILNS1_3genE3ELNS1_11target_archE908ELNS1_3gpuE7ELNS1_3repE0EEENS1_30default_config_static_selectorELNS0_4arch9wavefront6targetE1EEEvT1_
                                        ; -- End function
	.section	.AMDGPU.csdata,"",@progbits
; Kernel info:
; codeLenInByte = 0
; NumSgprs: 6
; NumVgprs: 0
; NumAgprs: 0
; TotalNumVgprs: 0
; ScratchSize: 0
; MemoryBound: 0
; FloatMode: 240
; IeeeMode: 1
; LDSByteSize: 0 bytes/workgroup (compile time only)
; SGPRBlocks: 0
; VGPRBlocks: 0
; NumSGPRsForWavesPerEU: 6
; NumVGPRsForWavesPerEU: 1
; AccumOffset: 4
; Occupancy: 8
; WaveLimiterHint : 0
; COMPUTE_PGM_RSRC2:SCRATCH_EN: 0
; COMPUTE_PGM_RSRC2:USER_SGPR: 2
; COMPUTE_PGM_RSRC2:TRAP_HANDLER: 0
; COMPUTE_PGM_RSRC2:TGID_X_EN: 1
; COMPUTE_PGM_RSRC2:TGID_Y_EN: 0
; COMPUTE_PGM_RSRC2:TGID_Z_EN: 0
; COMPUTE_PGM_RSRC2:TIDIG_COMP_CNT: 0
; COMPUTE_PGM_RSRC3_GFX90A:ACCUM_OFFSET: 0
; COMPUTE_PGM_RSRC3_GFX90A:TG_SPLIT: 0
	.section	.text._ZN7rocprim17ROCPRIM_400000_NS6detail17trampoline_kernelINS0_14default_configENS1_27scan_by_key_config_selectorIssEEZZNS1_16scan_by_key_implILNS1_25lookback_scan_determinismE0ELb0ES3_N6thrust23THRUST_200600_302600_NS6detail15normal_iteratorINS9_10device_ptrIsEEEESE_SE_sNS9_4plusIvEENS9_8equal_toIsEEsEE10hipError_tPvRmT2_T3_T4_T5_mT6_T7_P12ihipStream_tbENKUlT_T0_E_clISt17integral_constantIbLb0EESY_IbLb1EEEEDaSU_SV_EUlSU_E_NS1_11comp_targetILNS1_3genE2ELNS1_11target_archE906ELNS1_3gpuE6ELNS1_3repE0EEENS1_30default_config_static_selectorELNS0_4arch9wavefront6targetE1EEEvT1_,"axG",@progbits,_ZN7rocprim17ROCPRIM_400000_NS6detail17trampoline_kernelINS0_14default_configENS1_27scan_by_key_config_selectorIssEEZZNS1_16scan_by_key_implILNS1_25lookback_scan_determinismE0ELb0ES3_N6thrust23THRUST_200600_302600_NS6detail15normal_iteratorINS9_10device_ptrIsEEEESE_SE_sNS9_4plusIvEENS9_8equal_toIsEEsEE10hipError_tPvRmT2_T3_T4_T5_mT6_T7_P12ihipStream_tbENKUlT_T0_E_clISt17integral_constantIbLb0EESY_IbLb1EEEEDaSU_SV_EUlSU_E_NS1_11comp_targetILNS1_3genE2ELNS1_11target_archE906ELNS1_3gpuE6ELNS1_3repE0EEENS1_30default_config_static_selectorELNS0_4arch9wavefront6targetE1EEEvT1_,comdat
	.protected	_ZN7rocprim17ROCPRIM_400000_NS6detail17trampoline_kernelINS0_14default_configENS1_27scan_by_key_config_selectorIssEEZZNS1_16scan_by_key_implILNS1_25lookback_scan_determinismE0ELb0ES3_N6thrust23THRUST_200600_302600_NS6detail15normal_iteratorINS9_10device_ptrIsEEEESE_SE_sNS9_4plusIvEENS9_8equal_toIsEEsEE10hipError_tPvRmT2_T3_T4_T5_mT6_T7_P12ihipStream_tbENKUlT_T0_E_clISt17integral_constantIbLb0EESY_IbLb1EEEEDaSU_SV_EUlSU_E_NS1_11comp_targetILNS1_3genE2ELNS1_11target_archE906ELNS1_3gpuE6ELNS1_3repE0EEENS1_30default_config_static_selectorELNS0_4arch9wavefront6targetE1EEEvT1_ ; -- Begin function _ZN7rocprim17ROCPRIM_400000_NS6detail17trampoline_kernelINS0_14default_configENS1_27scan_by_key_config_selectorIssEEZZNS1_16scan_by_key_implILNS1_25lookback_scan_determinismE0ELb0ES3_N6thrust23THRUST_200600_302600_NS6detail15normal_iteratorINS9_10device_ptrIsEEEESE_SE_sNS9_4plusIvEENS9_8equal_toIsEEsEE10hipError_tPvRmT2_T3_T4_T5_mT6_T7_P12ihipStream_tbENKUlT_T0_E_clISt17integral_constantIbLb0EESY_IbLb1EEEEDaSU_SV_EUlSU_E_NS1_11comp_targetILNS1_3genE2ELNS1_11target_archE906ELNS1_3gpuE6ELNS1_3repE0EEENS1_30default_config_static_selectorELNS0_4arch9wavefront6targetE1EEEvT1_
	.globl	_ZN7rocprim17ROCPRIM_400000_NS6detail17trampoline_kernelINS0_14default_configENS1_27scan_by_key_config_selectorIssEEZZNS1_16scan_by_key_implILNS1_25lookback_scan_determinismE0ELb0ES3_N6thrust23THRUST_200600_302600_NS6detail15normal_iteratorINS9_10device_ptrIsEEEESE_SE_sNS9_4plusIvEENS9_8equal_toIsEEsEE10hipError_tPvRmT2_T3_T4_T5_mT6_T7_P12ihipStream_tbENKUlT_T0_E_clISt17integral_constantIbLb0EESY_IbLb1EEEEDaSU_SV_EUlSU_E_NS1_11comp_targetILNS1_3genE2ELNS1_11target_archE906ELNS1_3gpuE6ELNS1_3repE0EEENS1_30default_config_static_selectorELNS0_4arch9wavefront6targetE1EEEvT1_
	.p2align	8
	.type	_ZN7rocprim17ROCPRIM_400000_NS6detail17trampoline_kernelINS0_14default_configENS1_27scan_by_key_config_selectorIssEEZZNS1_16scan_by_key_implILNS1_25lookback_scan_determinismE0ELb0ES3_N6thrust23THRUST_200600_302600_NS6detail15normal_iteratorINS9_10device_ptrIsEEEESE_SE_sNS9_4plusIvEENS9_8equal_toIsEEsEE10hipError_tPvRmT2_T3_T4_T5_mT6_T7_P12ihipStream_tbENKUlT_T0_E_clISt17integral_constantIbLb0EESY_IbLb1EEEEDaSU_SV_EUlSU_E_NS1_11comp_targetILNS1_3genE2ELNS1_11target_archE906ELNS1_3gpuE6ELNS1_3repE0EEENS1_30default_config_static_selectorELNS0_4arch9wavefront6targetE1EEEvT1_,@function
_ZN7rocprim17ROCPRIM_400000_NS6detail17trampoline_kernelINS0_14default_configENS1_27scan_by_key_config_selectorIssEEZZNS1_16scan_by_key_implILNS1_25lookback_scan_determinismE0ELb0ES3_N6thrust23THRUST_200600_302600_NS6detail15normal_iteratorINS9_10device_ptrIsEEEESE_SE_sNS9_4plusIvEENS9_8equal_toIsEEsEE10hipError_tPvRmT2_T3_T4_T5_mT6_T7_P12ihipStream_tbENKUlT_T0_E_clISt17integral_constantIbLb0EESY_IbLb1EEEEDaSU_SV_EUlSU_E_NS1_11comp_targetILNS1_3genE2ELNS1_11target_archE906ELNS1_3gpuE6ELNS1_3repE0EEENS1_30default_config_static_selectorELNS0_4arch9wavefront6targetE1EEEvT1_: ; @_ZN7rocprim17ROCPRIM_400000_NS6detail17trampoline_kernelINS0_14default_configENS1_27scan_by_key_config_selectorIssEEZZNS1_16scan_by_key_implILNS1_25lookback_scan_determinismE0ELb0ES3_N6thrust23THRUST_200600_302600_NS6detail15normal_iteratorINS9_10device_ptrIsEEEESE_SE_sNS9_4plusIvEENS9_8equal_toIsEEsEE10hipError_tPvRmT2_T3_T4_T5_mT6_T7_P12ihipStream_tbENKUlT_T0_E_clISt17integral_constantIbLb0EESY_IbLb1EEEEDaSU_SV_EUlSU_E_NS1_11comp_targetILNS1_3genE2ELNS1_11target_archE906ELNS1_3gpuE6ELNS1_3repE0EEENS1_30default_config_static_selectorELNS0_4arch9wavefront6targetE1EEEvT1_
; %bb.0:
	.section	.rodata,"a",@progbits
	.p2align	6, 0x0
	.amdhsa_kernel _ZN7rocprim17ROCPRIM_400000_NS6detail17trampoline_kernelINS0_14default_configENS1_27scan_by_key_config_selectorIssEEZZNS1_16scan_by_key_implILNS1_25lookback_scan_determinismE0ELb0ES3_N6thrust23THRUST_200600_302600_NS6detail15normal_iteratorINS9_10device_ptrIsEEEESE_SE_sNS9_4plusIvEENS9_8equal_toIsEEsEE10hipError_tPvRmT2_T3_T4_T5_mT6_T7_P12ihipStream_tbENKUlT_T0_E_clISt17integral_constantIbLb0EESY_IbLb1EEEEDaSU_SV_EUlSU_E_NS1_11comp_targetILNS1_3genE2ELNS1_11target_archE906ELNS1_3gpuE6ELNS1_3repE0EEENS1_30default_config_static_selectorELNS0_4arch9wavefront6targetE1EEEvT1_
		.amdhsa_group_segment_fixed_size 0
		.amdhsa_private_segment_fixed_size 0
		.amdhsa_kernarg_size 112
		.amdhsa_user_sgpr_count 2
		.amdhsa_user_sgpr_dispatch_ptr 0
		.amdhsa_user_sgpr_queue_ptr 0
		.amdhsa_user_sgpr_kernarg_segment_ptr 1
		.amdhsa_user_sgpr_dispatch_id 0
		.amdhsa_user_sgpr_kernarg_preload_length 0
		.amdhsa_user_sgpr_kernarg_preload_offset 0
		.amdhsa_user_sgpr_private_segment_size 0
		.amdhsa_uses_dynamic_stack 0
		.amdhsa_enable_private_segment 0
		.amdhsa_system_sgpr_workgroup_id_x 1
		.amdhsa_system_sgpr_workgroup_id_y 0
		.amdhsa_system_sgpr_workgroup_id_z 0
		.amdhsa_system_sgpr_workgroup_info 0
		.amdhsa_system_vgpr_workitem_id 0
		.amdhsa_next_free_vgpr 1
		.amdhsa_next_free_sgpr 0
		.amdhsa_accum_offset 4
		.amdhsa_reserve_vcc 0
		.amdhsa_float_round_mode_32 0
		.amdhsa_float_round_mode_16_64 0
		.amdhsa_float_denorm_mode_32 3
		.amdhsa_float_denorm_mode_16_64 3
		.amdhsa_dx10_clamp 1
		.amdhsa_ieee_mode 1
		.amdhsa_fp16_overflow 0
		.amdhsa_tg_split 0
		.amdhsa_exception_fp_ieee_invalid_op 0
		.amdhsa_exception_fp_denorm_src 0
		.amdhsa_exception_fp_ieee_div_zero 0
		.amdhsa_exception_fp_ieee_overflow 0
		.amdhsa_exception_fp_ieee_underflow 0
		.amdhsa_exception_fp_ieee_inexact 0
		.amdhsa_exception_int_div_zero 0
	.end_amdhsa_kernel
	.section	.text._ZN7rocprim17ROCPRIM_400000_NS6detail17trampoline_kernelINS0_14default_configENS1_27scan_by_key_config_selectorIssEEZZNS1_16scan_by_key_implILNS1_25lookback_scan_determinismE0ELb0ES3_N6thrust23THRUST_200600_302600_NS6detail15normal_iteratorINS9_10device_ptrIsEEEESE_SE_sNS9_4plusIvEENS9_8equal_toIsEEsEE10hipError_tPvRmT2_T3_T4_T5_mT6_T7_P12ihipStream_tbENKUlT_T0_E_clISt17integral_constantIbLb0EESY_IbLb1EEEEDaSU_SV_EUlSU_E_NS1_11comp_targetILNS1_3genE2ELNS1_11target_archE906ELNS1_3gpuE6ELNS1_3repE0EEENS1_30default_config_static_selectorELNS0_4arch9wavefront6targetE1EEEvT1_,"axG",@progbits,_ZN7rocprim17ROCPRIM_400000_NS6detail17trampoline_kernelINS0_14default_configENS1_27scan_by_key_config_selectorIssEEZZNS1_16scan_by_key_implILNS1_25lookback_scan_determinismE0ELb0ES3_N6thrust23THRUST_200600_302600_NS6detail15normal_iteratorINS9_10device_ptrIsEEEESE_SE_sNS9_4plusIvEENS9_8equal_toIsEEsEE10hipError_tPvRmT2_T3_T4_T5_mT6_T7_P12ihipStream_tbENKUlT_T0_E_clISt17integral_constantIbLb0EESY_IbLb1EEEEDaSU_SV_EUlSU_E_NS1_11comp_targetILNS1_3genE2ELNS1_11target_archE906ELNS1_3gpuE6ELNS1_3repE0EEENS1_30default_config_static_selectorELNS0_4arch9wavefront6targetE1EEEvT1_,comdat
.Lfunc_end349:
	.size	_ZN7rocprim17ROCPRIM_400000_NS6detail17trampoline_kernelINS0_14default_configENS1_27scan_by_key_config_selectorIssEEZZNS1_16scan_by_key_implILNS1_25lookback_scan_determinismE0ELb0ES3_N6thrust23THRUST_200600_302600_NS6detail15normal_iteratorINS9_10device_ptrIsEEEESE_SE_sNS9_4plusIvEENS9_8equal_toIsEEsEE10hipError_tPvRmT2_T3_T4_T5_mT6_T7_P12ihipStream_tbENKUlT_T0_E_clISt17integral_constantIbLb0EESY_IbLb1EEEEDaSU_SV_EUlSU_E_NS1_11comp_targetILNS1_3genE2ELNS1_11target_archE906ELNS1_3gpuE6ELNS1_3repE0EEENS1_30default_config_static_selectorELNS0_4arch9wavefront6targetE1EEEvT1_, .Lfunc_end349-_ZN7rocprim17ROCPRIM_400000_NS6detail17trampoline_kernelINS0_14default_configENS1_27scan_by_key_config_selectorIssEEZZNS1_16scan_by_key_implILNS1_25lookback_scan_determinismE0ELb0ES3_N6thrust23THRUST_200600_302600_NS6detail15normal_iteratorINS9_10device_ptrIsEEEESE_SE_sNS9_4plusIvEENS9_8equal_toIsEEsEE10hipError_tPvRmT2_T3_T4_T5_mT6_T7_P12ihipStream_tbENKUlT_T0_E_clISt17integral_constantIbLb0EESY_IbLb1EEEEDaSU_SV_EUlSU_E_NS1_11comp_targetILNS1_3genE2ELNS1_11target_archE906ELNS1_3gpuE6ELNS1_3repE0EEENS1_30default_config_static_selectorELNS0_4arch9wavefront6targetE1EEEvT1_
                                        ; -- End function
	.section	.AMDGPU.csdata,"",@progbits
; Kernel info:
; codeLenInByte = 0
; NumSgprs: 6
; NumVgprs: 0
; NumAgprs: 0
; TotalNumVgprs: 0
; ScratchSize: 0
; MemoryBound: 0
; FloatMode: 240
; IeeeMode: 1
; LDSByteSize: 0 bytes/workgroup (compile time only)
; SGPRBlocks: 0
; VGPRBlocks: 0
; NumSGPRsForWavesPerEU: 6
; NumVGPRsForWavesPerEU: 1
; AccumOffset: 4
; Occupancy: 8
; WaveLimiterHint : 0
; COMPUTE_PGM_RSRC2:SCRATCH_EN: 0
; COMPUTE_PGM_RSRC2:USER_SGPR: 2
; COMPUTE_PGM_RSRC2:TRAP_HANDLER: 0
; COMPUTE_PGM_RSRC2:TGID_X_EN: 1
; COMPUTE_PGM_RSRC2:TGID_Y_EN: 0
; COMPUTE_PGM_RSRC2:TGID_Z_EN: 0
; COMPUTE_PGM_RSRC2:TIDIG_COMP_CNT: 0
; COMPUTE_PGM_RSRC3_GFX90A:ACCUM_OFFSET: 0
; COMPUTE_PGM_RSRC3_GFX90A:TG_SPLIT: 0
	.section	.text._ZN7rocprim17ROCPRIM_400000_NS6detail17trampoline_kernelINS0_14default_configENS1_27scan_by_key_config_selectorIssEEZZNS1_16scan_by_key_implILNS1_25lookback_scan_determinismE0ELb0ES3_N6thrust23THRUST_200600_302600_NS6detail15normal_iteratorINS9_10device_ptrIsEEEESE_SE_sNS9_4plusIvEENS9_8equal_toIsEEsEE10hipError_tPvRmT2_T3_T4_T5_mT6_T7_P12ihipStream_tbENKUlT_T0_E_clISt17integral_constantIbLb0EESY_IbLb1EEEEDaSU_SV_EUlSU_E_NS1_11comp_targetILNS1_3genE10ELNS1_11target_archE1200ELNS1_3gpuE4ELNS1_3repE0EEENS1_30default_config_static_selectorELNS0_4arch9wavefront6targetE1EEEvT1_,"axG",@progbits,_ZN7rocprim17ROCPRIM_400000_NS6detail17trampoline_kernelINS0_14default_configENS1_27scan_by_key_config_selectorIssEEZZNS1_16scan_by_key_implILNS1_25lookback_scan_determinismE0ELb0ES3_N6thrust23THRUST_200600_302600_NS6detail15normal_iteratorINS9_10device_ptrIsEEEESE_SE_sNS9_4plusIvEENS9_8equal_toIsEEsEE10hipError_tPvRmT2_T3_T4_T5_mT6_T7_P12ihipStream_tbENKUlT_T0_E_clISt17integral_constantIbLb0EESY_IbLb1EEEEDaSU_SV_EUlSU_E_NS1_11comp_targetILNS1_3genE10ELNS1_11target_archE1200ELNS1_3gpuE4ELNS1_3repE0EEENS1_30default_config_static_selectorELNS0_4arch9wavefront6targetE1EEEvT1_,comdat
	.protected	_ZN7rocprim17ROCPRIM_400000_NS6detail17trampoline_kernelINS0_14default_configENS1_27scan_by_key_config_selectorIssEEZZNS1_16scan_by_key_implILNS1_25lookback_scan_determinismE0ELb0ES3_N6thrust23THRUST_200600_302600_NS6detail15normal_iteratorINS9_10device_ptrIsEEEESE_SE_sNS9_4plusIvEENS9_8equal_toIsEEsEE10hipError_tPvRmT2_T3_T4_T5_mT6_T7_P12ihipStream_tbENKUlT_T0_E_clISt17integral_constantIbLb0EESY_IbLb1EEEEDaSU_SV_EUlSU_E_NS1_11comp_targetILNS1_3genE10ELNS1_11target_archE1200ELNS1_3gpuE4ELNS1_3repE0EEENS1_30default_config_static_selectorELNS0_4arch9wavefront6targetE1EEEvT1_ ; -- Begin function _ZN7rocprim17ROCPRIM_400000_NS6detail17trampoline_kernelINS0_14default_configENS1_27scan_by_key_config_selectorIssEEZZNS1_16scan_by_key_implILNS1_25lookback_scan_determinismE0ELb0ES3_N6thrust23THRUST_200600_302600_NS6detail15normal_iteratorINS9_10device_ptrIsEEEESE_SE_sNS9_4plusIvEENS9_8equal_toIsEEsEE10hipError_tPvRmT2_T3_T4_T5_mT6_T7_P12ihipStream_tbENKUlT_T0_E_clISt17integral_constantIbLb0EESY_IbLb1EEEEDaSU_SV_EUlSU_E_NS1_11comp_targetILNS1_3genE10ELNS1_11target_archE1200ELNS1_3gpuE4ELNS1_3repE0EEENS1_30default_config_static_selectorELNS0_4arch9wavefront6targetE1EEEvT1_
	.globl	_ZN7rocprim17ROCPRIM_400000_NS6detail17trampoline_kernelINS0_14default_configENS1_27scan_by_key_config_selectorIssEEZZNS1_16scan_by_key_implILNS1_25lookback_scan_determinismE0ELb0ES3_N6thrust23THRUST_200600_302600_NS6detail15normal_iteratorINS9_10device_ptrIsEEEESE_SE_sNS9_4plusIvEENS9_8equal_toIsEEsEE10hipError_tPvRmT2_T3_T4_T5_mT6_T7_P12ihipStream_tbENKUlT_T0_E_clISt17integral_constantIbLb0EESY_IbLb1EEEEDaSU_SV_EUlSU_E_NS1_11comp_targetILNS1_3genE10ELNS1_11target_archE1200ELNS1_3gpuE4ELNS1_3repE0EEENS1_30default_config_static_selectorELNS0_4arch9wavefront6targetE1EEEvT1_
	.p2align	8
	.type	_ZN7rocprim17ROCPRIM_400000_NS6detail17trampoline_kernelINS0_14default_configENS1_27scan_by_key_config_selectorIssEEZZNS1_16scan_by_key_implILNS1_25lookback_scan_determinismE0ELb0ES3_N6thrust23THRUST_200600_302600_NS6detail15normal_iteratorINS9_10device_ptrIsEEEESE_SE_sNS9_4plusIvEENS9_8equal_toIsEEsEE10hipError_tPvRmT2_T3_T4_T5_mT6_T7_P12ihipStream_tbENKUlT_T0_E_clISt17integral_constantIbLb0EESY_IbLb1EEEEDaSU_SV_EUlSU_E_NS1_11comp_targetILNS1_3genE10ELNS1_11target_archE1200ELNS1_3gpuE4ELNS1_3repE0EEENS1_30default_config_static_selectorELNS0_4arch9wavefront6targetE1EEEvT1_,@function
_ZN7rocprim17ROCPRIM_400000_NS6detail17trampoline_kernelINS0_14default_configENS1_27scan_by_key_config_selectorIssEEZZNS1_16scan_by_key_implILNS1_25lookback_scan_determinismE0ELb0ES3_N6thrust23THRUST_200600_302600_NS6detail15normal_iteratorINS9_10device_ptrIsEEEESE_SE_sNS9_4plusIvEENS9_8equal_toIsEEsEE10hipError_tPvRmT2_T3_T4_T5_mT6_T7_P12ihipStream_tbENKUlT_T0_E_clISt17integral_constantIbLb0EESY_IbLb1EEEEDaSU_SV_EUlSU_E_NS1_11comp_targetILNS1_3genE10ELNS1_11target_archE1200ELNS1_3gpuE4ELNS1_3repE0EEENS1_30default_config_static_selectorELNS0_4arch9wavefront6targetE1EEEvT1_: ; @_ZN7rocprim17ROCPRIM_400000_NS6detail17trampoline_kernelINS0_14default_configENS1_27scan_by_key_config_selectorIssEEZZNS1_16scan_by_key_implILNS1_25lookback_scan_determinismE0ELb0ES3_N6thrust23THRUST_200600_302600_NS6detail15normal_iteratorINS9_10device_ptrIsEEEESE_SE_sNS9_4plusIvEENS9_8equal_toIsEEsEE10hipError_tPvRmT2_T3_T4_T5_mT6_T7_P12ihipStream_tbENKUlT_T0_E_clISt17integral_constantIbLb0EESY_IbLb1EEEEDaSU_SV_EUlSU_E_NS1_11comp_targetILNS1_3genE10ELNS1_11target_archE1200ELNS1_3gpuE4ELNS1_3repE0EEENS1_30default_config_static_selectorELNS0_4arch9wavefront6targetE1EEEvT1_
; %bb.0:
	.section	.rodata,"a",@progbits
	.p2align	6, 0x0
	.amdhsa_kernel _ZN7rocprim17ROCPRIM_400000_NS6detail17trampoline_kernelINS0_14default_configENS1_27scan_by_key_config_selectorIssEEZZNS1_16scan_by_key_implILNS1_25lookback_scan_determinismE0ELb0ES3_N6thrust23THRUST_200600_302600_NS6detail15normal_iteratorINS9_10device_ptrIsEEEESE_SE_sNS9_4plusIvEENS9_8equal_toIsEEsEE10hipError_tPvRmT2_T3_T4_T5_mT6_T7_P12ihipStream_tbENKUlT_T0_E_clISt17integral_constantIbLb0EESY_IbLb1EEEEDaSU_SV_EUlSU_E_NS1_11comp_targetILNS1_3genE10ELNS1_11target_archE1200ELNS1_3gpuE4ELNS1_3repE0EEENS1_30default_config_static_selectorELNS0_4arch9wavefront6targetE1EEEvT1_
		.amdhsa_group_segment_fixed_size 0
		.amdhsa_private_segment_fixed_size 0
		.amdhsa_kernarg_size 112
		.amdhsa_user_sgpr_count 2
		.amdhsa_user_sgpr_dispatch_ptr 0
		.amdhsa_user_sgpr_queue_ptr 0
		.amdhsa_user_sgpr_kernarg_segment_ptr 1
		.amdhsa_user_sgpr_dispatch_id 0
		.amdhsa_user_sgpr_kernarg_preload_length 0
		.amdhsa_user_sgpr_kernarg_preload_offset 0
		.amdhsa_user_sgpr_private_segment_size 0
		.amdhsa_uses_dynamic_stack 0
		.amdhsa_enable_private_segment 0
		.amdhsa_system_sgpr_workgroup_id_x 1
		.amdhsa_system_sgpr_workgroup_id_y 0
		.amdhsa_system_sgpr_workgroup_id_z 0
		.amdhsa_system_sgpr_workgroup_info 0
		.amdhsa_system_vgpr_workitem_id 0
		.amdhsa_next_free_vgpr 1
		.amdhsa_next_free_sgpr 0
		.amdhsa_accum_offset 4
		.amdhsa_reserve_vcc 0
		.amdhsa_float_round_mode_32 0
		.amdhsa_float_round_mode_16_64 0
		.amdhsa_float_denorm_mode_32 3
		.amdhsa_float_denorm_mode_16_64 3
		.amdhsa_dx10_clamp 1
		.amdhsa_ieee_mode 1
		.amdhsa_fp16_overflow 0
		.amdhsa_tg_split 0
		.amdhsa_exception_fp_ieee_invalid_op 0
		.amdhsa_exception_fp_denorm_src 0
		.amdhsa_exception_fp_ieee_div_zero 0
		.amdhsa_exception_fp_ieee_overflow 0
		.amdhsa_exception_fp_ieee_underflow 0
		.amdhsa_exception_fp_ieee_inexact 0
		.amdhsa_exception_int_div_zero 0
	.end_amdhsa_kernel
	.section	.text._ZN7rocprim17ROCPRIM_400000_NS6detail17trampoline_kernelINS0_14default_configENS1_27scan_by_key_config_selectorIssEEZZNS1_16scan_by_key_implILNS1_25lookback_scan_determinismE0ELb0ES3_N6thrust23THRUST_200600_302600_NS6detail15normal_iteratorINS9_10device_ptrIsEEEESE_SE_sNS9_4plusIvEENS9_8equal_toIsEEsEE10hipError_tPvRmT2_T3_T4_T5_mT6_T7_P12ihipStream_tbENKUlT_T0_E_clISt17integral_constantIbLb0EESY_IbLb1EEEEDaSU_SV_EUlSU_E_NS1_11comp_targetILNS1_3genE10ELNS1_11target_archE1200ELNS1_3gpuE4ELNS1_3repE0EEENS1_30default_config_static_selectorELNS0_4arch9wavefront6targetE1EEEvT1_,"axG",@progbits,_ZN7rocprim17ROCPRIM_400000_NS6detail17trampoline_kernelINS0_14default_configENS1_27scan_by_key_config_selectorIssEEZZNS1_16scan_by_key_implILNS1_25lookback_scan_determinismE0ELb0ES3_N6thrust23THRUST_200600_302600_NS6detail15normal_iteratorINS9_10device_ptrIsEEEESE_SE_sNS9_4plusIvEENS9_8equal_toIsEEsEE10hipError_tPvRmT2_T3_T4_T5_mT6_T7_P12ihipStream_tbENKUlT_T0_E_clISt17integral_constantIbLb0EESY_IbLb1EEEEDaSU_SV_EUlSU_E_NS1_11comp_targetILNS1_3genE10ELNS1_11target_archE1200ELNS1_3gpuE4ELNS1_3repE0EEENS1_30default_config_static_selectorELNS0_4arch9wavefront6targetE1EEEvT1_,comdat
.Lfunc_end350:
	.size	_ZN7rocprim17ROCPRIM_400000_NS6detail17trampoline_kernelINS0_14default_configENS1_27scan_by_key_config_selectorIssEEZZNS1_16scan_by_key_implILNS1_25lookback_scan_determinismE0ELb0ES3_N6thrust23THRUST_200600_302600_NS6detail15normal_iteratorINS9_10device_ptrIsEEEESE_SE_sNS9_4plusIvEENS9_8equal_toIsEEsEE10hipError_tPvRmT2_T3_T4_T5_mT6_T7_P12ihipStream_tbENKUlT_T0_E_clISt17integral_constantIbLb0EESY_IbLb1EEEEDaSU_SV_EUlSU_E_NS1_11comp_targetILNS1_3genE10ELNS1_11target_archE1200ELNS1_3gpuE4ELNS1_3repE0EEENS1_30default_config_static_selectorELNS0_4arch9wavefront6targetE1EEEvT1_, .Lfunc_end350-_ZN7rocprim17ROCPRIM_400000_NS6detail17trampoline_kernelINS0_14default_configENS1_27scan_by_key_config_selectorIssEEZZNS1_16scan_by_key_implILNS1_25lookback_scan_determinismE0ELb0ES3_N6thrust23THRUST_200600_302600_NS6detail15normal_iteratorINS9_10device_ptrIsEEEESE_SE_sNS9_4plusIvEENS9_8equal_toIsEEsEE10hipError_tPvRmT2_T3_T4_T5_mT6_T7_P12ihipStream_tbENKUlT_T0_E_clISt17integral_constantIbLb0EESY_IbLb1EEEEDaSU_SV_EUlSU_E_NS1_11comp_targetILNS1_3genE10ELNS1_11target_archE1200ELNS1_3gpuE4ELNS1_3repE0EEENS1_30default_config_static_selectorELNS0_4arch9wavefront6targetE1EEEvT1_
                                        ; -- End function
	.section	.AMDGPU.csdata,"",@progbits
; Kernel info:
; codeLenInByte = 0
; NumSgprs: 6
; NumVgprs: 0
; NumAgprs: 0
; TotalNumVgprs: 0
; ScratchSize: 0
; MemoryBound: 0
; FloatMode: 240
; IeeeMode: 1
; LDSByteSize: 0 bytes/workgroup (compile time only)
; SGPRBlocks: 0
; VGPRBlocks: 0
; NumSGPRsForWavesPerEU: 6
; NumVGPRsForWavesPerEU: 1
; AccumOffset: 4
; Occupancy: 8
; WaveLimiterHint : 0
; COMPUTE_PGM_RSRC2:SCRATCH_EN: 0
; COMPUTE_PGM_RSRC2:USER_SGPR: 2
; COMPUTE_PGM_RSRC2:TRAP_HANDLER: 0
; COMPUTE_PGM_RSRC2:TGID_X_EN: 1
; COMPUTE_PGM_RSRC2:TGID_Y_EN: 0
; COMPUTE_PGM_RSRC2:TGID_Z_EN: 0
; COMPUTE_PGM_RSRC2:TIDIG_COMP_CNT: 0
; COMPUTE_PGM_RSRC3_GFX90A:ACCUM_OFFSET: 0
; COMPUTE_PGM_RSRC3_GFX90A:TG_SPLIT: 0
	.section	.text._ZN7rocprim17ROCPRIM_400000_NS6detail17trampoline_kernelINS0_14default_configENS1_27scan_by_key_config_selectorIssEEZZNS1_16scan_by_key_implILNS1_25lookback_scan_determinismE0ELb0ES3_N6thrust23THRUST_200600_302600_NS6detail15normal_iteratorINS9_10device_ptrIsEEEESE_SE_sNS9_4plusIvEENS9_8equal_toIsEEsEE10hipError_tPvRmT2_T3_T4_T5_mT6_T7_P12ihipStream_tbENKUlT_T0_E_clISt17integral_constantIbLb0EESY_IbLb1EEEEDaSU_SV_EUlSU_E_NS1_11comp_targetILNS1_3genE9ELNS1_11target_archE1100ELNS1_3gpuE3ELNS1_3repE0EEENS1_30default_config_static_selectorELNS0_4arch9wavefront6targetE1EEEvT1_,"axG",@progbits,_ZN7rocprim17ROCPRIM_400000_NS6detail17trampoline_kernelINS0_14default_configENS1_27scan_by_key_config_selectorIssEEZZNS1_16scan_by_key_implILNS1_25lookback_scan_determinismE0ELb0ES3_N6thrust23THRUST_200600_302600_NS6detail15normal_iteratorINS9_10device_ptrIsEEEESE_SE_sNS9_4plusIvEENS9_8equal_toIsEEsEE10hipError_tPvRmT2_T3_T4_T5_mT6_T7_P12ihipStream_tbENKUlT_T0_E_clISt17integral_constantIbLb0EESY_IbLb1EEEEDaSU_SV_EUlSU_E_NS1_11comp_targetILNS1_3genE9ELNS1_11target_archE1100ELNS1_3gpuE3ELNS1_3repE0EEENS1_30default_config_static_selectorELNS0_4arch9wavefront6targetE1EEEvT1_,comdat
	.protected	_ZN7rocprim17ROCPRIM_400000_NS6detail17trampoline_kernelINS0_14default_configENS1_27scan_by_key_config_selectorIssEEZZNS1_16scan_by_key_implILNS1_25lookback_scan_determinismE0ELb0ES3_N6thrust23THRUST_200600_302600_NS6detail15normal_iteratorINS9_10device_ptrIsEEEESE_SE_sNS9_4plusIvEENS9_8equal_toIsEEsEE10hipError_tPvRmT2_T3_T4_T5_mT6_T7_P12ihipStream_tbENKUlT_T0_E_clISt17integral_constantIbLb0EESY_IbLb1EEEEDaSU_SV_EUlSU_E_NS1_11comp_targetILNS1_3genE9ELNS1_11target_archE1100ELNS1_3gpuE3ELNS1_3repE0EEENS1_30default_config_static_selectorELNS0_4arch9wavefront6targetE1EEEvT1_ ; -- Begin function _ZN7rocprim17ROCPRIM_400000_NS6detail17trampoline_kernelINS0_14default_configENS1_27scan_by_key_config_selectorIssEEZZNS1_16scan_by_key_implILNS1_25lookback_scan_determinismE0ELb0ES3_N6thrust23THRUST_200600_302600_NS6detail15normal_iteratorINS9_10device_ptrIsEEEESE_SE_sNS9_4plusIvEENS9_8equal_toIsEEsEE10hipError_tPvRmT2_T3_T4_T5_mT6_T7_P12ihipStream_tbENKUlT_T0_E_clISt17integral_constantIbLb0EESY_IbLb1EEEEDaSU_SV_EUlSU_E_NS1_11comp_targetILNS1_3genE9ELNS1_11target_archE1100ELNS1_3gpuE3ELNS1_3repE0EEENS1_30default_config_static_selectorELNS0_4arch9wavefront6targetE1EEEvT1_
	.globl	_ZN7rocprim17ROCPRIM_400000_NS6detail17trampoline_kernelINS0_14default_configENS1_27scan_by_key_config_selectorIssEEZZNS1_16scan_by_key_implILNS1_25lookback_scan_determinismE0ELb0ES3_N6thrust23THRUST_200600_302600_NS6detail15normal_iteratorINS9_10device_ptrIsEEEESE_SE_sNS9_4plusIvEENS9_8equal_toIsEEsEE10hipError_tPvRmT2_T3_T4_T5_mT6_T7_P12ihipStream_tbENKUlT_T0_E_clISt17integral_constantIbLb0EESY_IbLb1EEEEDaSU_SV_EUlSU_E_NS1_11comp_targetILNS1_3genE9ELNS1_11target_archE1100ELNS1_3gpuE3ELNS1_3repE0EEENS1_30default_config_static_selectorELNS0_4arch9wavefront6targetE1EEEvT1_
	.p2align	8
	.type	_ZN7rocprim17ROCPRIM_400000_NS6detail17trampoline_kernelINS0_14default_configENS1_27scan_by_key_config_selectorIssEEZZNS1_16scan_by_key_implILNS1_25lookback_scan_determinismE0ELb0ES3_N6thrust23THRUST_200600_302600_NS6detail15normal_iteratorINS9_10device_ptrIsEEEESE_SE_sNS9_4plusIvEENS9_8equal_toIsEEsEE10hipError_tPvRmT2_T3_T4_T5_mT6_T7_P12ihipStream_tbENKUlT_T0_E_clISt17integral_constantIbLb0EESY_IbLb1EEEEDaSU_SV_EUlSU_E_NS1_11comp_targetILNS1_3genE9ELNS1_11target_archE1100ELNS1_3gpuE3ELNS1_3repE0EEENS1_30default_config_static_selectorELNS0_4arch9wavefront6targetE1EEEvT1_,@function
_ZN7rocprim17ROCPRIM_400000_NS6detail17trampoline_kernelINS0_14default_configENS1_27scan_by_key_config_selectorIssEEZZNS1_16scan_by_key_implILNS1_25lookback_scan_determinismE0ELb0ES3_N6thrust23THRUST_200600_302600_NS6detail15normal_iteratorINS9_10device_ptrIsEEEESE_SE_sNS9_4plusIvEENS9_8equal_toIsEEsEE10hipError_tPvRmT2_T3_T4_T5_mT6_T7_P12ihipStream_tbENKUlT_T0_E_clISt17integral_constantIbLb0EESY_IbLb1EEEEDaSU_SV_EUlSU_E_NS1_11comp_targetILNS1_3genE9ELNS1_11target_archE1100ELNS1_3gpuE3ELNS1_3repE0EEENS1_30default_config_static_selectorELNS0_4arch9wavefront6targetE1EEEvT1_: ; @_ZN7rocprim17ROCPRIM_400000_NS6detail17trampoline_kernelINS0_14default_configENS1_27scan_by_key_config_selectorIssEEZZNS1_16scan_by_key_implILNS1_25lookback_scan_determinismE0ELb0ES3_N6thrust23THRUST_200600_302600_NS6detail15normal_iteratorINS9_10device_ptrIsEEEESE_SE_sNS9_4plusIvEENS9_8equal_toIsEEsEE10hipError_tPvRmT2_T3_T4_T5_mT6_T7_P12ihipStream_tbENKUlT_T0_E_clISt17integral_constantIbLb0EESY_IbLb1EEEEDaSU_SV_EUlSU_E_NS1_11comp_targetILNS1_3genE9ELNS1_11target_archE1100ELNS1_3gpuE3ELNS1_3repE0EEENS1_30default_config_static_selectorELNS0_4arch9wavefront6targetE1EEEvT1_
; %bb.0:
	.section	.rodata,"a",@progbits
	.p2align	6, 0x0
	.amdhsa_kernel _ZN7rocprim17ROCPRIM_400000_NS6detail17trampoline_kernelINS0_14default_configENS1_27scan_by_key_config_selectorIssEEZZNS1_16scan_by_key_implILNS1_25lookback_scan_determinismE0ELb0ES3_N6thrust23THRUST_200600_302600_NS6detail15normal_iteratorINS9_10device_ptrIsEEEESE_SE_sNS9_4plusIvEENS9_8equal_toIsEEsEE10hipError_tPvRmT2_T3_T4_T5_mT6_T7_P12ihipStream_tbENKUlT_T0_E_clISt17integral_constantIbLb0EESY_IbLb1EEEEDaSU_SV_EUlSU_E_NS1_11comp_targetILNS1_3genE9ELNS1_11target_archE1100ELNS1_3gpuE3ELNS1_3repE0EEENS1_30default_config_static_selectorELNS0_4arch9wavefront6targetE1EEEvT1_
		.amdhsa_group_segment_fixed_size 0
		.amdhsa_private_segment_fixed_size 0
		.amdhsa_kernarg_size 112
		.amdhsa_user_sgpr_count 2
		.amdhsa_user_sgpr_dispatch_ptr 0
		.amdhsa_user_sgpr_queue_ptr 0
		.amdhsa_user_sgpr_kernarg_segment_ptr 1
		.amdhsa_user_sgpr_dispatch_id 0
		.amdhsa_user_sgpr_kernarg_preload_length 0
		.amdhsa_user_sgpr_kernarg_preload_offset 0
		.amdhsa_user_sgpr_private_segment_size 0
		.amdhsa_uses_dynamic_stack 0
		.amdhsa_enable_private_segment 0
		.amdhsa_system_sgpr_workgroup_id_x 1
		.amdhsa_system_sgpr_workgroup_id_y 0
		.amdhsa_system_sgpr_workgroup_id_z 0
		.amdhsa_system_sgpr_workgroup_info 0
		.amdhsa_system_vgpr_workitem_id 0
		.amdhsa_next_free_vgpr 1
		.amdhsa_next_free_sgpr 0
		.amdhsa_accum_offset 4
		.amdhsa_reserve_vcc 0
		.amdhsa_float_round_mode_32 0
		.amdhsa_float_round_mode_16_64 0
		.amdhsa_float_denorm_mode_32 3
		.amdhsa_float_denorm_mode_16_64 3
		.amdhsa_dx10_clamp 1
		.amdhsa_ieee_mode 1
		.amdhsa_fp16_overflow 0
		.amdhsa_tg_split 0
		.amdhsa_exception_fp_ieee_invalid_op 0
		.amdhsa_exception_fp_denorm_src 0
		.amdhsa_exception_fp_ieee_div_zero 0
		.amdhsa_exception_fp_ieee_overflow 0
		.amdhsa_exception_fp_ieee_underflow 0
		.amdhsa_exception_fp_ieee_inexact 0
		.amdhsa_exception_int_div_zero 0
	.end_amdhsa_kernel
	.section	.text._ZN7rocprim17ROCPRIM_400000_NS6detail17trampoline_kernelINS0_14default_configENS1_27scan_by_key_config_selectorIssEEZZNS1_16scan_by_key_implILNS1_25lookback_scan_determinismE0ELb0ES3_N6thrust23THRUST_200600_302600_NS6detail15normal_iteratorINS9_10device_ptrIsEEEESE_SE_sNS9_4plusIvEENS9_8equal_toIsEEsEE10hipError_tPvRmT2_T3_T4_T5_mT6_T7_P12ihipStream_tbENKUlT_T0_E_clISt17integral_constantIbLb0EESY_IbLb1EEEEDaSU_SV_EUlSU_E_NS1_11comp_targetILNS1_3genE9ELNS1_11target_archE1100ELNS1_3gpuE3ELNS1_3repE0EEENS1_30default_config_static_selectorELNS0_4arch9wavefront6targetE1EEEvT1_,"axG",@progbits,_ZN7rocprim17ROCPRIM_400000_NS6detail17trampoline_kernelINS0_14default_configENS1_27scan_by_key_config_selectorIssEEZZNS1_16scan_by_key_implILNS1_25lookback_scan_determinismE0ELb0ES3_N6thrust23THRUST_200600_302600_NS6detail15normal_iteratorINS9_10device_ptrIsEEEESE_SE_sNS9_4plusIvEENS9_8equal_toIsEEsEE10hipError_tPvRmT2_T3_T4_T5_mT6_T7_P12ihipStream_tbENKUlT_T0_E_clISt17integral_constantIbLb0EESY_IbLb1EEEEDaSU_SV_EUlSU_E_NS1_11comp_targetILNS1_3genE9ELNS1_11target_archE1100ELNS1_3gpuE3ELNS1_3repE0EEENS1_30default_config_static_selectorELNS0_4arch9wavefront6targetE1EEEvT1_,comdat
.Lfunc_end351:
	.size	_ZN7rocprim17ROCPRIM_400000_NS6detail17trampoline_kernelINS0_14default_configENS1_27scan_by_key_config_selectorIssEEZZNS1_16scan_by_key_implILNS1_25lookback_scan_determinismE0ELb0ES3_N6thrust23THRUST_200600_302600_NS6detail15normal_iteratorINS9_10device_ptrIsEEEESE_SE_sNS9_4plusIvEENS9_8equal_toIsEEsEE10hipError_tPvRmT2_T3_T4_T5_mT6_T7_P12ihipStream_tbENKUlT_T0_E_clISt17integral_constantIbLb0EESY_IbLb1EEEEDaSU_SV_EUlSU_E_NS1_11comp_targetILNS1_3genE9ELNS1_11target_archE1100ELNS1_3gpuE3ELNS1_3repE0EEENS1_30default_config_static_selectorELNS0_4arch9wavefront6targetE1EEEvT1_, .Lfunc_end351-_ZN7rocprim17ROCPRIM_400000_NS6detail17trampoline_kernelINS0_14default_configENS1_27scan_by_key_config_selectorIssEEZZNS1_16scan_by_key_implILNS1_25lookback_scan_determinismE0ELb0ES3_N6thrust23THRUST_200600_302600_NS6detail15normal_iteratorINS9_10device_ptrIsEEEESE_SE_sNS9_4plusIvEENS9_8equal_toIsEEsEE10hipError_tPvRmT2_T3_T4_T5_mT6_T7_P12ihipStream_tbENKUlT_T0_E_clISt17integral_constantIbLb0EESY_IbLb1EEEEDaSU_SV_EUlSU_E_NS1_11comp_targetILNS1_3genE9ELNS1_11target_archE1100ELNS1_3gpuE3ELNS1_3repE0EEENS1_30default_config_static_selectorELNS0_4arch9wavefront6targetE1EEEvT1_
                                        ; -- End function
	.section	.AMDGPU.csdata,"",@progbits
; Kernel info:
; codeLenInByte = 0
; NumSgprs: 6
; NumVgprs: 0
; NumAgprs: 0
; TotalNumVgprs: 0
; ScratchSize: 0
; MemoryBound: 0
; FloatMode: 240
; IeeeMode: 1
; LDSByteSize: 0 bytes/workgroup (compile time only)
; SGPRBlocks: 0
; VGPRBlocks: 0
; NumSGPRsForWavesPerEU: 6
; NumVGPRsForWavesPerEU: 1
; AccumOffset: 4
; Occupancy: 8
; WaveLimiterHint : 0
; COMPUTE_PGM_RSRC2:SCRATCH_EN: 0
; COMPUTE_PGM_RSRC2:USER_SGPR: 2
; COMPUTE_PGM_RSRC2:TRAP_HANDLER: 0
; COMPUTE_PGM_RSRC2:TGID_X_EN: 1
; COMPUTE_PGM_RSRC2:TGID_Y_EN: 0
; COMPUTE_PGM_RSRC2:TGID_Z_EN: 0
; COMPUTE_PGM_RSRC2:TIDIG_COMP_CNT: 0
; COMPUTE_PGM_RSRC3_GFX90A:ACCUM_OFFSET: 0
; COMPUTE_PGM_RSRC3_GFX90A:TG_SPLIT: 0
	.section	.text._ZN7rocprim17ROCPRIM_400000_NS6detail17trampoline_kernelINS0_14default_configENS1_27scan_by_key_config_selectorIssEEZZNS1_16scan_by_key_implILNS1_25lookback_scan_determinismE0ELb0ES3_N6thrust23THRUST_200600_302600_NS6detail15normal_iteratorINS9_10device_ptrIsEEEESE_SE_sNS9_4plusIvEENS9_8equal_toIsEEsEE10hipError_tPvRmT2_T3_T4_T5_mT6_T7_P12ihipStream_tbENKUlT_T0_E_clISt17integral_constantIbLb0EESY_IbLb1EEEEDaSU_SV_EUlSU_E_NS1_11comp_targetILNS1_3genE8ELNS1_11target_archE1030ELNS1_3gpuE2ELNS1_3repE0EEENS1_30default_config_static_selectorELNS0_4arch9wavefront6targetE1EEEvT1_,"axG",@progbits,_ZN7rocprim17ROCPRIM_400000_NS6detail17trampoline_kernelINS0_14default_configENS1_27scan_by_key_config_selectorIssEEZZNS1_16scan_by_key_implILNS1_25lookback_scan_determinismE0ELb0ES3_N6thrust23THRUST_200600_302600_NS6detail15normal_iteratorINS9_10device_ptrIsEEEESE_SE_sNS9_4plusIvEENS9_8equal_toIsEEsEE10hipError_tPvRmT2_T3_T4_T5_mT6_T7_P12ihipStream_tbENKUlT_T0_E_clISt17integral_constantIbLb0EESY_IbLb1EEEEDaSU_SV_EUlSU_E_NS1_11comp_targetILNS1_3genE8ELNS1_11target_archE1030ELNS1_3gpuE2ELNS1_3repE0EEENS1_30default_config_static_selectorELNS0_4arch9wavefront6targetE1EEEvT1_,comdat
	.protected	_ZN7rocprim17ROCPRIM_400000_NS6detail17trampoline_kernelINS0_14default_configENS1_27scan_by_key_config_selectorIssEEZZNS1_16scan_by_key_implILNS1_25lookback_scan_determinismE0ELb0ES3_N6thrust23THRUST_200600_302600_NS6detail15normal_iteratorINS9_10device_ptrIsEEEESE_SE_sNS9_4plusIvEENS9_8equal_toIsEEsEE10hipError_tPvRmT2_T3_T4_T5_mT6_T7_P12ihipStream_tbENKUlT_T0_E_clISt17integral_constantIbLb0EESY_IbLb1EEEEDaSU_SV_EUlSU_E_NS1_11comp_targetILNS1_3genE8ELNS1_11target_archE1030ELNS1_3gpuE2ELNS1_3repE0EEENS1_30default_config_static_selectorELNS0_4arch9wavefront6targetE1EEEvT1_ ; -- Begin function _ZN7rocprim17ROCPRIM_400000_NS6detail17trampoline_kernelINS0_14default_configENS1_27scan_by_key_config_selectorIssEEZZNS1_16scan_by_key_implILNS1_25lookback_scan_determinismE0ELb0ES3_N6thrust23THRUST_200600_302600_NS6detail15normal_iteratorINS9_10device_ptrIsEEEESE_SE_sNS9_4plusIvEENS9_8equal_toIsEEsEE10hipError_tPvRmT2_T3_T4_T5_mT6_T7_P12ihipStream_tbENKUlT_T0_E_clISt17integral_constantIbLb0EESY_IbLb1EEEEDaSU_SV_EUlSU_E_NS1_11comp_targetILNS1_3genE8ELNS1_11target_archE1030ELNS1_3gpuE2ELNS1_3repE0EEENS1_30default_config_static_selectorELNS0_4arch9wavefront6targetE1EEEvT1_
	.globl	_ZN7rocprim17ROCPRIM_400000_NS6detail17trampoline_kernelINS0_14default_configENS1_27scan_by_key_config_selectorIssEEZZNS1_16scan_by_key_implILNS1_25lookback_scan_determinismE0ELb0ES3_N6thrust23THRUST_200600_302600_NS6detail15normal_iteratorINS9_10device_ptrIsEEEESE_SE_sNS9_4plusIvEENS9_8equal_toIsEEsEE10hipError_tPvRmT2_T3_T4_T5_mT6_T7_P12ihipStream_tbENKUlT_T0_E_clISt17integral_constantIbLb0EESY_IbLb1EEEEDaSU_SV_EUlSU_E_NS1_11comp_targetILNS1_3genE8ELNS1_11target_archE1030ELNS1_3gpuE2ELNS1_3repE0EEENS1_30default_config_static_selectorELNS0_4arch9wavefront6targetE1EEEvT1_
	.p2align	8
	.type	_ZN7rocprim17ROCPRIM_400000_NS6detail17trampoline_kernelINS0_14default_configENS1_27scan_by_key_config_selectorIssEEZZNS1_16scan_by_key_implILNS1_25lookback_scan_determinismE0ELb0ES3_N6thrust23THRUST_200600_302600_NS6detail15normal_iteratorINS9_10device_ptrIsEEEESE_SE_sNS9_4plusIvEENS9_8equal_toIsEEsEE10hipError_tPvRmT2_T3_T4_T5_mT6_T7_P12ihipStream_tbENKUlT_T0_E_clISt17integral_constantIbLb0EESY_IbLb1EEEEDaSU_SV_EUlSU_E_NS1_11comp_targetILNS1_3genE8ELNS1_11target_archE1030ELNS1_3gpuE2ELNS1_3repE0EEENS1_30default_config_static_selectorELNS0_4arch9wavefront6targetE1EEEvT1_,@function
_ZN7rocprim17ROCPRIM_400000_NS6detail17trampoline_kernelINS0_14default_configENS1_27scan_by_key_config_selectorIssEEZZNS1_16scan_by_key_implILNS1_25lookback_scan_determinismE0ELb0ES3_N6thrust23THRUST_200600_302600_NS6detail15normal_iteratorINS9_10device_ptrIsEEEESE_SE_sNS9_4plusIvEENS9_8equal_toIsEEsEE10hipError_tPvRmT2_T3_T4_T5_mT6_T7_P12ihipStream_tbENKUlT_T0_E_clISt17integral_constantIbLb0EESY_IbLb1EEEEDaSU_SV_EUlSU_E_NS1_11comp_targetILNS1_3genE8ELNS1_11target_archE1030ELNS1_3gpuE2ELNS1_3repE0EEENS1_30default_config_static_selectorELNS0_4arch9wavefront6targetE1EEEvT1_: ; @_ZN7rocprim17ROCPRIM_400000_NS6detail17trampoline_kernelINS0_14default_configENS1_27scan_by_key_config_selectorIssEEZZNS1_16scan_by_key_implILNS1_25lookback_scan_determinismE0ELb0ES3_N6thrust23THRUST_200600_302600_NS6detail15normal_iteratorINS9_10device_ptrIsEEEESE_SE_sNS9_4plusIvEENS9_8equal_toIsEEsEE10hipError_tPvRmT2_T3_T4_T5_mT6_T7_P12ihipStream_tbENKUlT_T0_E_clISt17integral_constantIbLb0EESY_IbLb1EEEEDaSU_SV_EUlSU_E_NS1_11comp_targetILNS1_3genE8ELNS1_11target_archE1030ELNS1_3gpuE2ELNS1_3repE0EEENS1_30default_config_static_selectorELNS0_4arch9wavefront6targetE1EEEvT1_
; %bb.0:
	.section	.rodata,"a",@progbits
	.p2align	6, 0x0
	.amdhsa_kernel _ZN7rocprim17ROCPRIM_400000_NS6detail17trampoline_kernelINS0_14default_configENS1_27scan_by_key_config_selectorIssEEZZNS1_16scan_by_key_implILNS1_25lookback_scan_determinismE0ELb0ES3_N6thrust23THRUST_200600_302600_NS6detail15normal_iteratorINS9_10device_ptrIsEEEESE_SE_sNS9_4plusIvEENS9_8equal_toIsEEsEE10hipError_tPvRmT2_T3_T4_T5_mT6_T7_P12ihipStream_tbENKUlT_T0_E_clISt17integral_constantIbLb0EESY_IbLb1EEEEDaSU_SV_EUlSU_E_NS1_11comp_targetILNS1_3genE8ELNS1_11target_archE1030ELNS1_3gpuE2ELNS1_3repE0EEENS1_30default_config_static_selectorELNS0_4arch9wavefront6targetE1EEEvT1_
		.amdhsa_group_segment_fixed_size 0
		.amdhsa_private_segment_fixed_size 0
		.amdhsa_kernarg_size 112
		.amdhsa_user_sgpr_count 2
		.amdhsa_user_sgpr_dispatch_ptr 0
		.amdhsa_user_sgpr_queue_ptr 0
		.amdhsa_user_sgpr_kernarg_segment_ptr 1
		.amdhsa_user_sgpr_dispatch_id 0
		.amdhsa_user_sgpr_kernarg_preload_length 0
		.amdhsa_user_sgpr_kernarg_preload_offset 0
		.amdhsa_user_sgpr_private_segment_size 0
		.amdhsa_uses_dynamic_stack 0
		.amdhsa_enable_private_segment 0
		.amdhsa_system_sgpr_workgroup_id_x 1
		.amdhsa_system_sgpr_workgroup_id_y 0
		.amdhsa_system_sgpr_workgroup_id_z 0
		.amdhsa_system_sgpr_workgroup_info 0
		.amdhsa_system_vgpr_workitem_id 0
		.amdhsa_next_free_vgpr 1
		.amdhsa_next_free_sgpr 0
		.amdhsa_accum_offset 4
		.amdhsa_reserve_vcc 0
		.amdhsa_float_round_mode_32 0
		.amdhsa_float_round_mode_16_64 0
		.amdhsa_float_denorm_mode_32 3
		.amdhsa_float_denorm_mode_16_64 3
		.amdhsa_dx10_clamp 1
		.amdhsa_ieee_mode 1
		.amdhsa_fp16_overflow 0
		.amdhsa_tg_split 0
		.amdhsa_exception_fp_ieee_invalid_op 0
		.amdhsa_exception_fp_denorm_src 0
		.amdhsa_exception_fp_ieee_div_zero 0
		.amdhsa_exception_fp_ieee_overflow 0
		.amdhsa_exception_fp_ieee_underflow 0
		.amdhsa_exception_fp_ieee_inexact 0
		.amdhsa_exception_int_div_zero 0
	.end_amdhsa_kernel
	.section	.text._ZN7rocprim17ROCPRIM_400000_NS6detail17trampoline_kernelINS0_14default_configENS1_27scan_by_key_config_selectorIssEEZZNS1_16scan_by_key_implILNS1_25lookback_scan_determinismE0ELb0ES3_N6thrust23THRUST_200600_302600_NS6detail15normal_iteratorINS9_10device_ptrIsEEEESE_SE_sNS9_4plusIvEENS9_8equal_toIsEEsEE10hipError_tPvRmT2_T3_T4_T5_mT6_T7_P12ihipStream_tbENKUlT_T0_E_clISt17integral_constantIbLb0EESY_IbLb1EEEEDaSU_SV_EUlSU_E_NS1_11comp_targetILNS1_3genE8ELNS1_11target_archE1030ELNS1_3gpuE2ELNS1_3repE0EEENS1_30default_config_static_selectorELNS0_4arch9wavefront6targetE1EEEvT1_,"axG",@progbits,_ZN7rocprim17ROCPRIM_400000_NS6detail17trampoline_kernelINS0_14default_configENS1_27scan_by_key_config_selectorIssEEZZNS1_16scan_by_key_implILNS1_25lookback_scan_determinismE0ELb0ES3_N6thrust23THRUST_200600_302600_NS6detail15normal_iteratorINS9_10device_ptrIsEEEESE_SE_sNS9_4plusIvEENS9_8equal_toIsEEsEE10hipError_tPvRmT2_T3_T4_T5_mT6_T7_P12ihipStream_tbENKUlT_T0_E_clISt17integral_constantIbLb0EESY_IbLb1EEEEDaSU_SV_EUlSU_E_NS1_11comp_targetILNS1_3genE8ELNS1_11target_archE1030ELNS1_3gpuE2ELNS1_3repE0EEENS1_30default_config_static_selectorELNS0_4arch9wavefront6targetE1EEEvT1_,comdat
.Lfunc_end352:
	.size	_ZN7rocprim17ROCPRIM_400000_NS6detail17trampoline_kernelINS0_14default_configENS1_27scan_by_key_config_selectorIssEEZZNS1_16scan_by_key_implILNS1_25lookback_scan_determinismE0ELb0ES3_N6thrust23THRUST_200600_302600_NS6detail15normal_iteratorINS9_10device_ptrIsEEEESE_SE_sNS9_4plusIvEENS9_8equal_toIsEEsEE10hipError_tPvRmT2_T3_T4_T5_mT6_T7_P12ihipStream_tbENKUlT_T0_E_clISt17integral_constantIbLb0EESY_IbLb1EEEEDaSU_SV_EUlSU_E_NS1_11comp_targetILNS1_3genE8ELNS1_11target_archE1030ELNS1_3gpuE2ELNS1_3repE0EEENS1_30default_config_static_selectorELNS0_4arch9wavefront6targetE1EEEvT1_, .Lfunc_end352-_ZN7rocprim17ROCPRIM_400000_NS6detail17trampoline_kernelINS0_14default_configENS1_27scan_by_key_config_selectorIssEEZZNS1_16scan_by_key_implILNS1_25lookback_scan_determinismE0ELb0ES3_N6thrust23THRUST_200600_302600_NS6detail15normal_iteratorINS9_10device_ptrIsEEEESE_SE_sNS9_4plusIvEENS9_8equal_toIsEEsEE10hipError_tPvRmT2_T3_T4_T5_mT6_T7_P12ihipStream_tbENKUlT_T0_E_clISt17integral_constantIbLb0EESY_IbLb1EEEEDaSU_SV_EUlSU_E_NS1_11comp_targetILNS1_3genE8ELNS1_11target_archE1030ELNS1_3gpuE2ELNS1_3repE0EEENS1_30default_config_static_selectorELNS0_4arch9wavefront6targetE1EEEvT1_
                                        ; -- End function
	.section	.AMDGPU.csdata,"",@progbits
; Kernel info:
; codeLenInByte = 0
; NumSgprs: 6
; NumVgprs: 0
; NumAgprs: 0
; TotalNumVgprs: 0
; ScratchSize: 0
; MemoryBound: 0
; FloatMode: 240
; IeeeMode: 1
; LDSByteSize: 0 bytes/workgroup (compile time only)
; SGPRBlocks: 0
; VGPRBlocks: 0
; NumSGPRsForWavesPerEU: 6
; NumVGPRsForWavesPerEU: 1
; AccumOffset: 4
; Occupancy: 8
; WaveLimiterHint : 0
; COMPUTE_PGM_RSRC2:SCRATCH_EN: 0
; COMPUTE_PGM_RSRC2:USER_SGPR: 2
; COMPUTE_PGM_RSRC2:TRAP_HANDLER: 0
; COMPUTE_PGM_RSRC2:TGID_X_EN: 1
; COMPUTE_PGM_RSRC2:TGID_Y_EN: 0
; COMPUTE_PGM_RSRC2:TGID_Z_EN: 0
; COMPUTE_PGM_RSRC2:TIDIG_COMP_CNT: 0
; COMPUTE_PGM_RSRC3_GFX90A:ACCUM_OFFSET: 0
; COMPUTE_PGM_RSRC3_GFX90A:TG_SPLIT: 0
	.section	.text._ZN7rocprim17ROCPRIM_400000_NS6detail17trampoline_kernelINS0_14default_configENS1_27scan_by_key_config_selectorIxxEEZZNS1_16scan_by_key_implILNS1_25lookback_scan_determinismE0ELb1ES3_N6thrust23THRUST_200600_302600_NS6detail15normal_iteratorINS9_10device_ptrIxEEEESE_SE_xNS9_4plusIvEENS9_8equal_toIvEExEE10hipError_tPvRmT2_T3_T4_T5_mT6_T7_P12ihipStream_tbENKUlT_T0_E_clISt17integral_constantIbLb0EESZ_EEDaSU_SV_EUlSU_E_NS1_11comp_targetILNS1_3genE0ELNS1_11target_archE4294967295ELNS1_3gpuE0ELNS1_3repE0EEENS1_30default_config_static_selectorELNS0_4arch9wavefront6targetE1EEEvT1_,"axG",@progbits,_ZN7rocprim17ROCPRIM_400000_NS6detail17trampoline_kernelINS0_14default_configENS1_27scan_by_key_config_selectorIxxEEZZNS1_16scan_by_key_implILNS1_25lookback_scan_determinismE0ELb1ES3_N6thrust23THRUST_200600_302600_NS6detail15normal_iteratorINS9_10device_ptrIxEEEESE_SE_xNS9_4plusIvEENS9_8equal_toIvEExEE10hipError_tPvRmT2_T3_T4_T5_mT6_T7_P12ihipStream_tbENKUlT_T0_E_clISt17integral_constantIbLb0EESZ_EEDaSU_SV_EUlSU_E_NS1_11comp_targetILNS1_3genE0ELNS1_11target_archE4294967295ELNS1_3gpuE0ELNS1_3repE0EEENS1_30default_config_static_selectorELNS0_4arch9wavefront6targetE1EEEvT1_,comdat
	.protected	_ZN7rocprim17ROCPRIM_400000_NS6detail17trampoline_kernelINS0_14default_configENS1_27scan_by_key_config_selectorIxxEEZZNS1_16scan_by_key_implILNS1_25lookback_scan_determinismE0ELb1ES3_N6thrust23THRUST_200600_302600_NS6detail15normal_iteratorINS9_10device_ptrIxEEEESE_SE_xNS9_4plusIvEENS9_8equal_toIvEExEE10hipError_tPvRmT2_T3_T4_T5_mT6_T7_P12ihipStream_tbENKUlT_T0_E_clISt17integral_constantIbLb0EESZ_EEDaSU_SV_EUlSU_E_NS1_11comp_targetILNS1_3genE0ELNS1_11target_archE4294967295ELNS1_3gpuE0ELNS1_3repE0EEENS1_30default_config_static_selectorELNS0_4arch9wavefront6targetE1EEEvT1_ ; -- Begin function _ZN7rocprim17ROCPRIM_400000_NS6detail17trampoline_kernelINS0_14default_configENS1_27scan_by_key_config_selectorIxxEEZZNS1_16scan_by_key_implILNS1_25lookback_scan_determinismE0ELb1ES3_N6thrust23THRUST_200600_302600_NS6detail15normal_iteratorINS9_10device_ptrIxEEEESE_SE_xNS9_4plusIvEENS9_8equal_toIvEExEE10hipError_tPvRmT2_T3_T4_T5_mT6_T7_P12ihipStream_tbENKUlT_T0_E_clISt17integral_constantIbLb0EESZ_EEDaSU_SV_EUlSU_E_NS1_11comp_targetILNS1_3genE0ELNS1_11target_archE4294967295ELNS1_3gpuE0ELNS1_3repE0EEENS1_30default_config_static_selectorELNS0_4arch9wavefront6targetE1EEEvT1_
	.globl	_ZN7rocprim17ROCPRIM_400000_NS6detail17trampoline_kernelINS0_14default_configENS1_27scan_by_key_config_selectorIxxEEZZNS1_16scan_by_key_implILNS1_25lookback_scan_determinismE0ELb1ES3_N6thrust23THRUST_200600_302600_NS6detail15normal_iteratorINS9_10device_ptrIxEEEESE_SE_xNS9_4plusIvEENS9_8equal_toIvEExEE10hipError_tPvRmT2_T3_T4_T5_mT6_T7_P12ihipStream_tbENKUlT_T0_E_clISt17integral_constantIbLb0EESZ_EEDaSU_SV_EUlSU_E_NS1_11comp_targetILNS1_3genE0ELNS1_11target_archE4294967295ELNS1_3gpuE0ELNS1_3repE0EEENS1_30default_config_static_selectorELNS0_4arch9wavefront6targetE1EEEvT1_
	.p2align	8
	.type	_ZN7rocprim17ROCPRIM_400000_NS6detail17trampoline_kernelINS0_14default_configENS1_27scan_by_key_config_selectorIxxEEZZNS1_16scan_by_key_implILNS1_25lookback_scan_determinismE0ELb1ES3_N6thrust23THRUST_200600_302600_NS6detail15normal_iteratorINS9_10device_ptrIxEEEESE_SE_xNS9_4plusIvEENS9_8equal_toIvEExEE10hipError_tPvRmT2_T3_T4_T5_mT6_T7_P12ihipStream_tbENKUlT_T0_E_clISt17integral_constantIbLb0EESZ_EEDaSU_SV_EUlSU_E_NS1_11comp_targetILNS1_3genE0ELNS1_11target_archE4294967295ELNS1_3gpuE0ELNS1_3repE0EEENS1_30default_config_static_selectorELNS0_4arch9wavefront6targetE1EEEvT1_,@function
_ZN7rocprim17ROCPRIM_400000_NS6detail17trampoline_kernelINS0_14default_configENS1_27scan_by_key_config_selectorIxxEEZZNS1_16scan_by_key_implILNS1_25lookback_scan_determinismE0ELb1ES3_N6thrust23THRUST_200600_302600_NS6detail15normal_iteratorINS9_10device_ptrIxEEEESE_SE_xNS9_4plusIvEENS9_8equal_toIvEExEE10hipError_tPvRmT2_T3_T4_T5_mT6_T7_P12ihipStream_tbENKUlT_T0_E_clISt17integral_constantIbLb0EESZ_EEDaSU_SV_EUlSU_E_NS1_11comp_targetILNS1_3genE0ELNS1_11target_archE4294967295ELNS1_3gpuE0ELNS1_3repE0EEENS1_30default_config_static_selectorELNS0_4arch9wavefront6targetE1EEEvT1_: ; @_ZN7rocprim17ROCPRIM_400000_NS6detail17trampoline_kernelINS0_14default_configENS1_27scan_by_key_config_selectorIxxEEZZNS1_16scan_by_key_implILNS1_25lookback_scan_determinismE0ELb1ES3_N6thrust23THRUST_200600_302600_NS6detail15normal_iteratorINS9_10device_ptrIxEEEESE_SE_xNS9_4plusIvEENS9_8equal_toIvEExEE10hipError_tPvRmT2_T3_T4_T5_mT6_T7_P12ihipStream_tbENKUlT_T0_E_clISt17integral_constantIbLb0EESZ_EEDaSU_SV_EUlSU_E_NS1_11comp_targetILNS1_3genE0ELNS1_11target_archE4294967295ELNS1_3gpuE0ELNS1_3repE0EEENS1_30default_config_static_selectorELNS0_4arch9wavefront6targetE1EEEvT1_
; %bb.0:
	.section	.rodata,"a",@progbits
	.p2align	6, 0x0
	.amdhsa_kernel _ZN7rocprim17ROCPRIM_400000_NS6detail17trampoline_kernelINS0_14default_configENS1_27scan_by_key_config_selectorIxxEEZZNS1_16scan_by_key_implILNS1_25lookback_scan_determinismE0ELb1ES3_N6thrust23THRUST_200600_302600_NS6detail15normal_iteratorINS9_10device_ptrIxEEEESE_SE_xNS9_4plusIvEENS9_8equal_toIvEExEE10hipError_tPvRmT2_T3_T4_T5_mT6_T7_P12ihipStream_tbENKUlT_T0_E_clISt17integral_constantIbLb0EESZ_EEDaSU_SV_EUlSU_E_NS1_11comp_targetILNS1_3genE0ELNS1_11target_archE4294967295ELNS1_3gpuE0ELNS1_3repE0EEENS1_30default_config_static_selectorELNS0_4arch9wavefront6targetE1EEEvT1_
		.amdhsa_group_segment_fixed_size 0
		.amdhsa_private_segment_fixed_size 0
		.amdhsa_kernarg_size 136
		.amdhsa_user_sgpr_count 2
		.amdhsa_user_sgpr_dispatch_ptr 0
		.amdhsa_user_sgpr_queue_ptr 0
		.amdhsa_user_sgpr_kernarg_segment_ptr 1
		.amdhsa_user_sgpr_dispatch_id 0
		.amdhsa_user_sgpr_kernarg_preload_length 0
		.amdhsa_user_sgpr_kernarg_preload_offset 0
		.amdhsa_user_sgpr_private_segment_size 0
		.amdhsa_uses_dynamic_stack 0
		.amdhsa_enable_private_segment 0
		.amdhsa_system_sgpr_workgroup_id_x 1
		.amdhsa_system_sgpr_workgroup_id_y 0
		.amdhsa_system_sgpr_workgroup_id_z 0
		.amdhsa_system_sgpr_workgroup_info 0
		.amdhsa_system_vgpr_workitem_id 0
		.amdhsa_next_free_vgpr 1
		.amdhsa_next_free_sgpr 0
		.amdhsa_accum_offset 4
		.amdhsa_reserve_vcc 0
		.amdhsa_float_round_mode_32 0
		.amdhsa_float_round_mode_16_64 0
		.amdhsa_float_denorm_mode_32 3
		.amdhsa_float_denorm_mode_16_64 3
		.amdhsa_dx10_clamp 1
		.amdhsa_ieee_mode 1
		.amdhsa_fp16_overflow 0
		.amdhsa_tg_split 0
		.amdhsa_exception_fp_ieee_invalid_op 0
		.amdhsa_exception_fp_denorm_src 0
		.amdhsa_exception_fp_ieee_div_zero 0
		.amdhsa_exception_fp_ieee_overflow 0
		.amdhsa_exception_fp_ieee_underflow 0
		.amdhsa_exception_fp_ieee_inexact 0
		.amdhsa_exception_int_div_zero 0
	.end_amdhsa_kernel
	.section	.text._ZN7rocprim17ROCPRIM_400000_NS6detail17trampoline_kernelINS0_14default_configENS1_27scan_by_key_config_selectorIxxEEZZNS1_16scan_by_key_implILNS1_25lookback_scan_determinismE0ELb1ES3_N6thrust23THRUST_200600_302600_NS6detail15normal_iteratorINS9_10device_ptrIxEEEESE_SE_xNS9_4plusIvEENS9_8equal_toIvEExEE10hipError_tPvRmT2_T3_T4_T5_mT6_T7_P12ihipStream_tbENKUlT_T0_E_clISt17integral_constantIbLb0EESZ_EEDaSU_SV_EUlSU_E_NS1_11comp_targetILNS1_3genE0ELNS1_11target_archE4294967295ELNS1_3gpuE0ELNS1_3repE0EEENS1_30default_config_static_selectorELNS0_4arch9wavefront6targetE1EEEvT1_,"axG",@progbits,_ZN7rocprim17ROCPRIM_400000_NS6detail17trampoline_kernelINS0_14default_configENS1_27scan_by_key_config_selectorIxxEEZZNS1_16scan_by_key_implILNS1_25lookback_scan_determinismE0ELb1ES3_N6thrust23THRUST_200600_302600_NS6detail15normal_iteratorINS9_10device_ptrIxEEEESE_SE_xNS9_4plusIvEENS9_8equal_toIvEExEE10hipError_tPvRmT2_T3_T4_T5_mT6_T7_P12ihipStream_tbENKUlT_T0_E_clISt17integral_constantIbLb0EESZ_EEDaSU_SV_EUlSU_E_NS1_11comp_targetILNS1_3genE0ELNS1_11target_archE4294967295ELNS1_3gpuE0ELNS1_3repE0EEENS1_30default_config_static_selectorELNS0_4arch9wavefront6targetE1EEEvT1_,comdat
.Lfunc_end353:
	.size	_ZN7rocprim17ROCPRIM_400000_NS6detail17trampoline_kernelINS0_14default_configENS1_27scan_by_key_config_selectorIxxEEZZNS1_16scan_by_key_implILNS1_25lookback_scan_determinismE0ELb1ES3_N6thrust23THRUST_200600_302600_NS6detail15normal_iteratorINS9_10device_ptrIxEEEESE_SE_xNS9_4plusIvEENS9_8equal_toIvEExEE10hipError_tPvRmT2_T3_T4_T5_mT6_T7_P12ihipStream_tbENKUlT_T0_E_clISt17integral_constantIbLb0EESZ_EEDaSU_SV_EUlSU_E_NS1_11comp_targetILNS1_3genE0ELNS1_11target_archE4294967295ELNS1_3gpuE0ELNS1_3repE0EEENS1_30default_config_static_selectorELNS0_4arch9wavefront6targetE1EEEvT1_, .Lfunc_end353-_ZN7rocprim17ROCPRIM_400000_NS6detail17trampoline_kernelINS0_14default_configENS1_27scan_by_key_config_selectorIxxEEZZNS1_16scan_by_key_implILNS1_25lookback_scan_determinismE0ELb1ES3_N6thrust23THRUST_200600_302600_NS6detail15normal_iteratorINS9_10device_ptrIxEEEESE_SE_xNS9_4plusIvEENS9_8equal_toIvEExEE10hipError_tPvRmT2_T3_T4_T5_mT6_T7_P12ihipStream_tbENKUlT_T0_E_clISt17integral_constantIbLb0EESZ_EEDaSU_SV_EUlSU_E_NS1_11comp_targetILNS1_3genE0ELNS1_11target_archE4294967295ELNS1_3gpuE0ELNS1_3repE0EEENS1_30default_config_static_selectorELNS0_4arch9wavefront6targetE1EEEvT1_
                                        ; -- End function
	.section	.AMDGPU.csdata,"",@progbits
; Kernel info:
; codeLenInByte = 0
; NumSgprs: 6
; NumVgprs: 0
; NumAgprs: 0
; TotalNumVgprs: 0
; ScratchSize: 0
; MemoryBound: 0
; FloatMode: 240
; IeeeMode: 1
; LDSByteSize: 0 bytes/workgroup (compile time only)
; SGPRBlocks: 0
; VGPRBlocks: 0
; NumSGPRsForWavesPerEU: 6
; NumVGPRsForWavesPerEU: 1
; AccumOffset: 4
; Occupancy: 8
; WaveLimiterHint : 0
; COMPUTE_PGM_RSRC2:SCRATCH_EN: 0
; COMPUTE_PGM_RSRC2:USER_SGPR: 2
; COMPUTE_PGM_RSRC2:TRAP_HANDLER: 0
; COMPUTE_PGM_RSRC2:TGID_X_EN: 1
; COMPUTE_PGM_RSRC2:TGID_Y_EN: 0
; COMPUTE_PGM_RSRC2:TGID_Z_EN: 0
; COMPUTE_PGM_RSRC2:TIDIG_COMP_CNT: 0
; COMPUTE_PGM_RSRC3_GFX90A:ACCUM_OFFSET: 0
; COMPUTE_PGM_RSRC3_GFX90A:TG_SPLIT: 0
	.section	.text._ZN7rocprim17ROCPRIM_400000_NS6detail17trampoline_kernelINS0_14default_configENS1_27scan_by_key_config_selectorIxxEEZZNS1_16scan_by_key_implILNS1_25lookback_scan_determinismE0ELb1ES3_N6thrust23THRUST_200600_302600_NS6detail15normal_iteratorINS9_10device_ptrIxEEEESE_SE_xNS9_4plusIvEENS9_8equal_toIvEExEE10hipError_tPvRmT2_T3_T4_T5_mT6_T7_P12ihipStream_tbENKUlT_T0_E_clISt17integral_constantIbLb0EESZ_EEDaSU_SV_EUlSU_E_NS1_11comp_targetILNS1_3genE10ELNS1_11target_archE1201ELNS1_3gpuE5ELNS1_3repE0EEENS1_30default_config_static_selectorELNS0_4arch9wavefront6targetE1EEEvT1_,"axG",@progbits,_ZN7rocprim17ROCPRIM_400000_NS6detail17trampoline_kernelINS0_14default_configENS1_27scan_by_key_config_selectorIxxEEZZNS1_16scan_by_key_implILNS1_25lookback_scan_determinismE0ELb1ES3_N6thrust23THRUST_200600_302600_NS6detail15normal_iteratorINS9_10device_ptrIxEEEESE_SE_xNS9_4plusIvEENS9_8equal_toIvEExEE10hipError_tPvRmT2_T3_T4_T5_mT6_T7_P12ihipStream_tbENKUlT_T0_E_clISt17integral_constantIbLb0EESZ_EEDaSU_SV_EUlSU_E_NS1_11comp_targetILNS1_3genE10ELNS1_11target_archE1201ELNS1_3gpuE5ELNS1_3repE0EEENS1_30default_config_static_selectorELNS0_4arch9wavefront6targetE1EEEvT1_,comdat
	.protected	_ZN7rocprim17ROCPRIM_400000_NS6detail17trampoline_kernelINS0_14default_configENS1_27scan_by_key_config_selectorIxxEEZZNS1_16scan_by_key_implILNS1_25lookback_scan_determinismE0ELb1ES3_N6thrust23THRUST_200600_302600_NS6detail15normal_iteratorINS9_10device_ptrIxEEEESE_SE_xNS9_4plusIvEENS9_8equal_toIvEExEE10hipError_tPvRmT2_T3_T4_T5_mT6_T7_P12ihipStream_tbENKUlT_T0_E_clISt17integral_constantIbLb0EESZ_EEDaSU_SV_EUlSU_E_NS1_11comp_targetILNS1_3genE10ELNS1_11target_archE1201ELNS1_3gpuE5ELNS1_3repE0EEENS1_30default_config_static_selectorELNS0_4arch9wavefront6targetE1EEEvT1_ ; -- Begin function _ZN7rocprim17ROCPRIM_400000_NS6detail17trampoline_kernelINS0_14default_configENS1_27scan_by_key_config_selectorIxxEEZZNS1_16scan_by_key_implILNS1_25lookback_scan_determinismE0ELb1ES3_N6thrust23THRUST_200600_302600_NS6detail15normal_iteratorINS9_10device_ptrIxEEEESE_SE_xNS9_4plusIvEENS9_8equal_toIvEExEE10hipError_tPvRmT2_T3_T4_T5_mT6_T7_P12ihipStream_tbENKUlT_T0_E_clISt17integral_constantIbLb0EESZ_EEDaSU_SV_EUlSU_E_NS1_11comp_targetILNS1_3genE10ELNS1_11target_archE1201ELNS1_3gpuE5ELNS1_3repE0EEENS1_30default_config_static_selectorELNS0_4arch9wavefront6targetE1EEEvT1_
	.globl	_ZN7rocprim17ROCPRIM_400000_NS6detail17trampoline_kernelINS0_14default_configENS1_27scan_by_key_config_selectorIxxEEZZNS1_16scan_by_key_implILNS1_25lookback_scan_determinismE0ELb1ES3_N6thrust23THRUST_200600_302600_NS6detail15normal_iteratorINS9_10device_ptrIxEEEESE_SE_xNS9_4plusIvEENS9_8equal_toIvEExEE10hipError_tPvRmT2_T3_T4_T5_mT6_T7_P12ihipStream_tbENKUlT_T0_E_clISt17integral_constantIbLb0EESZ_EEDaSU_SV_EUlSU_E_NS1_11comp_targetILNS1_3genE10ELNS1_11target_archE1201ELNS1_3gpuE5ELNS1_3repE0EEENS1_30default_config_static_selectorELNS0_4arch9wavefront6targetE1EEEvT1_
	.p2align	8
	.type	_ZN7rocprim17ROCPRIM_400000_NS6detail17trampoline_kernelINS0_14default_configENS1_27scan_by_key_config_selectorIxxEEZZNS1_16scan_by_key_implILNS1_25lookback_scan_determinismE0ELb1ES3_N6thrust23THRUST_200600_302600_NS6detail15normal_iteratorINS9_10device_ptrIxEEEESE_SE_xNS9_4plusIvEENS9_8equal_toIvEExEE10hipError_tPvRmT2_T3_T4_T5_mT6_T7_P12ihipStream_tbENKUlT_T0_E_clISt17integral_constantIbLb0EESZ_EEDaSU_SV_EUlSU_E_NS1_11comp_targetILNS1_3genE10ELNS1_11target_archE1201ELNS1_3gpuE5ELNS1_3repE0EEENS1_30default_config_static_selectorELNS0_4arch9wavefront6targetE1EEEvT1_,@function
_ZN7rocprim17ROCPRIM_400000_NS6detail17trampoline_kernelINS0_14default_configENS1_27scan_by_key_config_selectorIxxEEZZNS1_16scan_by_key_implILNS1_25lookback_scan_determinismE0ELb1ES3_N6thrust23THRUST_200600_302600_NS6detail15normal_iteratorINS9_10device_ptrIxEEEESE_SE_xNS9_4plusIvEENS9_8equal_toIvEExEE10hipError_tPvRmT2_T3_T4_T5_mT6_T7_P12ihipStream_tbENKUlT_T0_E_clISt17integral_constantIbLb0EESZ_EEDaSU_SV_EUlSU_E_NS1_11comp_targetILNS1_3genE10ELNS1_11target_archE1201ELNS1_3gpuE5ELNS1_3repE0EEENS1_30default_config_static_selectorELNS0_4arch9wavefront6targetE1EEEvT1_: ; @_ZN7rocprim17ROCPRIM_400000_NS6detail17trampoline_kernelINS0_14default_configENS1_27scan_by_key_config_selectorIxxEEZZNS1_16scan_by_key_implILNS1_25lookback_scan_determinismE0ELb1ES3_N6thrust23THRUST_200600_302600_NS6detail15normal_iteratorINS9_10device_ptrIxEEEESE_SE_xNS9_4plusIvEENS9_8equal_toIvEExEE10hipError_tPvRmT2_T3_T4_T5_mT6_T7_P12ihipStream_tbENKUlT_T0_E_clISt17integral_constantIbLb0EESZ_EEDaSU_SV_EUlSU_E_NS1_11comp_targetILNS1_3genE10ELNS1_11target_archE1201ELNS1_3gpuE5ELNS1_3repE0EEENS1_30default_config_static_selectorELNS0_4arch9wavefront6targetE1EEEvT1_
; %bb.0:
	.section	.rodata,"a",@progbits
	.p2align	6, 0x0
	.amdhsa_kernel _ZN7rocprim17ROCPRIM_400000_NS6detail17trampoline_kernelINS0_14default_configENS1_27scan_by_key_config_selectorIxxEEZZNS1_16scan_by_key_implILNS1_25lookback_scan_determinismE0ELb1ES3_N6thrust23THRUST_200600_302600_NS6detail15normal_iteratorINS9_10device_ptrIxEEEESE_SE_xNS9_4plusIvEENS9_8equal_toIvEExEE10hipError_tPvRmT2_T3_T4_T5_mT6_T7_P12ihipStream_tbENKUlT_T0_E_clISt17integral_constantIbLb0EESZ_EEDaSU_SV_EUlSU_E_NS1_11comp_targetILNS1_3genE10ELNS1_11target_archE1201ELNS1_3gpuE5ELNS1_3repE0EEENS1_30default_config_static_selectorELNS0_4arch9wavefront6targetE1EEEvT1_
		.amdhsa_group_segment_fixed_size 0
		.amdhsa_private_segment_fixed_size 0
		.amdhsa_kernarg_size 136
		.amdhsa_user_sgpr_count 2
		.amdhsa_user_sgpr_dispatch_ptr 0
		.amdhsa_user_sgpr_queue_ptr 0
		.amdhsa_user_sgpr_kernarg_segment_ptr 1
		.amdhsa_user_sgpr_dispatch_id 0
		.amdhsa_user_sgpr_kernarg_preload_length 0
		.amdhsa_user_sgpr_kernarg_preload_offset 0
		.amdhsa_user_sgpr_private_segment_size 0
		.amdhsa_uses_dynamic_stack 0
		.amdhsa_enable_private_segment 0
		.amdhsa_system_sgpr_workgroup_id_x 1
		.amdhsa_system_sgpr_workgroup_id_y 0
		.amdhsa_system_sgpr_workgroup_id_z 0
		.amdhsa_system_sgpr_workgroup_info 0
		.amdhsa_system_vgpr_workitem_id 0
		.amdhsa_next_free_vgpr 1
		.amdhsa_next_free_sgpr 0
		.amdhsa_accum_offset 4
		.amdhsa_reserve_vcc 0
		.amdhsa_float_round_mode_32 0
		.amdhsa_float_round_mode_16_64 0
		.amdhsa_float_denorm_mode_32 3
		.amdhsa_float_denorm_mode_16_64 3
		.amdhsa_dx10_clamp 1
		.amdhsa_ieee_mode 1
		.amdhsa_fp16_overflow 0
		.amdhsa_tg_split 0
		.amdhsa_exception_fp_ieee_invalid_op 0
		.amdhsa_exception_fp_denorm_src 0
		.amdhsa_exception_fp_ieee_div_zero 0
		.amdhsa_exception_fp_ieee_overflow 0
		.amdhsa_exception_fp_ieee_underflow 0
		.amdhsa_exception_fp_ieee_inexact 0
		.amdhsa_exception_int_div_zero 0
	.end_amdhsa_kernel
	.section	.text._ZN7rocprim17ROCPRIM_400000_NS6detail17trampoline_kernelINS0_14default_configENS1_27scan_by_key_config_selectorIxxEEZZNS1_16scan_by_key_implILNS1_25lookback_scan_determinismE0ELb1ES3_N6thrust23THRUST_200600_302600_NS6detail15normal_iteratorINS9_10device_ptrIxEEEESE_SE_xNS9_4plusIvEENS9_8equal_toIvEExEE10hipError_tPvRmT2_T3_T4_T5_mT6_T7_P12ihipStream_tbENKUlT_T0_E_clISt17integral_constantIbLb0EESZ_EEDaSU_SV_EUlSU_E_NS1_11comp_targetILNS1_3genE10ELNS1_11target_archE1201ELNS1_3gpuE5ELNS1_3repE0EEENS1_30default_config_static_selectorELNS0_4arch9wavefront6targetE1EEEvT1_,"axG",@progbits,_ZN7rocprim17ROCPRIM_400000_NS6detail17trampoline_kernelINS0_14default_configENS1_27scan_by_key_config_selectorIxxEEZZNS1_16scan_by_key_implILNS1_25lookback_scan_determinismE0ELb1ES3_N6thrust23THRUST_200600_302600_NS6detail15normal_iteratorINS9_10device_ptrIxEEEESE_SE_xNS9_4plusIvEENS9_8equal_toIvEExEE10hipError_tPvRmT2_T3_T4_T5_mT6_T7_P12ihipStream_tbENKUlT_T0_E_clISt17integral_constantIbLb0EESZ_EEDaSU_SV_EUlSU_E_NS1_11comp_targetILNS1_3genE10ELNS1_11target_archE1201ELNS1_3gpuE5ELNS1_3repE0EEENS1_30default_config_static_selectorELNS0_4arch9wavefront6targetE1EEEvT1_,comdat
.Lfunc_end354:
	.size	_ZN7rocprim17ROCPRIM_400000_NS6detail17trampoline_kernelINS0_14default_configENS1_27scan_by_key_config_selectorIxxEEZZNS1_16scan_by_key_implILNS1_25lookback_scan_determinismE0ELb1ES3_N6thrust23THRUST_200600_302600_NS6detail15normal_iteratorINS9_10device_ptrIxEEEESE_SE_xNS9_4plusIvEENS9_8equal_toIvEExEE10hipError_tPvRmT2_T3_T4_T5_mT6_T7_P12ihipStream_tbENKUlT_T0_E_clISt17integral_constantIbLb0EESZ_EEDaSU_SV_EUlSU_E_NS1_11comp_targetILNS1_3genE10ELNS1_11target_archE1201ELNS1_3gpuE5ELNS1_3repE0EEENS1_30default_config_static_selectorELNS0_4arch9wavefront6targetE1EEEvT1_, .Lfunc_end354-_ZN7rocprim17ROCPRIM_400000_NS6detail17trampoline_kernelINS0_14default_configENS1_27scan_by_key_config_selectorIxxEEZZNS1_16scan_by_key_implILNS1_25lookback_scan_determinismE0ELb1ES3_N6thrust23THRUST_200600_302600_NS6detail15normal_iteratorINS9_10device_ptrIxEEEESE_SE_xNS9_4plusIvEENS9_8equal_toIvEExEE10hipError_tPvRmT2_T3_T4_T5_mT6_T7_P12ihipStream_tbENKUlT_T0_E_clISt17integral_constantIbLb0EESZ_EEDaSU_SV_EUlSU_E_NS1_11comp_targetILNS1_3genE10ELNS1_11target_archE1201ELNS1_3gpuE5ELNS1_3repE0EEENS1_30default_config_static_selectorELNS0_4arch9wavefront6targetE1EEEvT1_
                                        ; -- End function
	.section	.AMDGPU.csdata,"",@progbits
; Kernel info:
; codeLenInByte = 0
; NumSgprs: 6
; NumVgprs: 0
; NumAgprs: 0
; TotalNumVgprs: 0
; ScratchSize: 0
; MemoryBound: 0
; FloatMode: 240
; IeeeMode: 1
; LDSByteSize: 0 bytes/workgroup (compile time only)
; SGPRBlocks: 0
; VGPRBlocks: 0
; NumSGPRsForWavesPerEU: 6
; NumVGPRsForWavesPerEU: 1
; AccumOffset: 4
; Occupancy: 8
; WaveLimiterHint : 0
; COMPUTE_PGM_RSRC2:SCRATCH_EN: 0
; COMPUTE_PGM_RSRC2:USER_SGPR: 2
; COMPUTE_PGM_RSRC2:TRAP_HANDLER: 0
; COMPUTE_PGM_RSRC2:TGID_X_EN: 1
; COMPUTE_PGM_RSRC2:TGID_Y_EN: 0
; COMPUTE_PGM_RSRC2:TGID_Z_EN: 0
; COMPUTE_PGM_RSRC2:TIDIG_COMP_CNT: 0
; COMPUTE_PGM_RSRC3_GFX90A:ACCUM_OFFSET: 0
; COMPUTE_PGM_RSRC3_GFX90A:TG_SPLIT: 0
	.section	.text._ZN7rocprim17ROCPRIM_400000_NS6detail17trampoline_kernelINS0_14default_configENS1_27scan_by_key_config_selectorIxxEEZZNS1_16scan_by_key_implILNS1_25lookback_scan_determinismE0ELb1ES3_N6thrust23THRUST_200600_302600_NS6detail15normal_iteratorINS9_10device_ptrIxEEEESE_SE_xNS9_4plusIvEENS9_8equal_toIvEExEE10hipError_tPvRmT2_T3_T4_T5_mT6_T7_P12ihipStream_tbENKUlT_T0_E_clISt17integral_constantIbLb0EESZ_EEDaSU_SV_EUlSU_E_NS1_11comp_targetILNS1_3genE5ELNS1_11target_archE942ELNS1_3gpuE9ELNS1_3repE0EEENS1_30default_config_static_selectorELNS0_4arch9wavefront6targetE1EEEvT1_,"axG",@progbits,_ZN7rocprim17ROCPRIM_400000_NS6detail17trampoline_kernelINS0_14default_configENS1_27scan_by_key_config_selectorIxxEEZZNS1_16scan_by_key_implILNS1_25lookback_scan_determinismE0ELb1ES3_N6thrust23THRUST_200600_302600_NS6detail15normal_iteratorINS9_10device_ptrIxEEEESE_SE_xNS9_4plusIvEENS9_8equal_toIvEExEE10hipError_tPvRmT2_T3_T4_T5_mT6_T7_P12ihipStream_tbENKUlT_T0_E_clISt17integral_constantIbLb0EESZ_EEDaSU_SV_EUlSU_E_NS1_11comp_targetILNS1_3genE5ELNS1_11target_archE942ELNS1_3gpuE9ELNS1_3repE0EEENS1_30default_config_static_selectorELNS0_4arch9wavefront6targetE1EEEvT1_,comdat
	.protected	_ZN7rocprim17ROCPRIM_400000_NS6detail17trampoline_kernelINS0_14default_configENS1_27scan_by_key_config_selectorIxxEEZZNS1_16scan_by_key_implILNS1_25lookback_scan_determinismE0ELb1ES3_N6thrust23THRUST_200600_302600_NS6detail15normal_iteratorINS9_10device_ptrIxEEEESE_SE_xNS9_4plusIvEENS9_8equal_toIvEExEE10hipError_tPvRmT2_T3_T4_T5_mT6_T7_P12ihipStream_tbENKUlT_T0_E_clISt17integral_constantIbLb0EESZ_EEDaSU_SV_EUlSU_E_NS1_11comp_targetILNS1_3genE5ELNS1_11target_archE942ELNS1_3gpuE9ELNS1_3repE0EEENS1_30default_config_static_selectorELNS0_4arch9wavefront6targetE1EEEvT1_ ; -- Begin function _ZN7rocprim17ROCPRIM_400000_NS6detail17trampoline_kernelINS0_14default_configENS1_27scan_by_key_config_selectorIxxEEZZNS1_16scan_by_key_implILNS1_25lookback_scan_determinismE0ELb1ES3_N6thrust23THRUST_200600_302600_NS6detail15normal_iteratorINS9_10device_ptrIxEEEESE_SE_xNS9_4plusIvEENS9_8equal_toIvEExEE10hipError_tPvRmT2_T3_T4_T5_mT6_T7_P12ihipStream_tbENKUlT_T0_E_clISt17integral_constantIbLb0EESZ_EEDaSU_SV_EUlSU_E_NS1_11comp_targetILNS1_3genE5ELNS1_11target_archE942ELNS1_3gpuE9ELNS1_3repE0EEENS1_30default_config_static_selectorELNS0_4arch9wavefront6targetE1EEEvT1_
	.globl	_ZN7rocprim17ROCPRIM_400000_NS6detail17trampoline_kernelINS0_14default_configENS1_27scan_by_key_config_selectorIxxEEZZNS1_16scan_by_key_implILNS1_25lookback_scan_determinismE0ELb1ES3_N6thrust23THRUST_200600_302600_NS6detail15normal_iteratorINS9_10device_ptrIxEEEESE_SE_xNS9_4plusIvEENS9_8equal_toIvEExEE10hipError_tPvRmT2_T3_T4_T5_mT6_T7_P12ihipStream_tbENKUlT_T0_E_clISt17integral_constantIbLb0EESZ_EEDaSU_SV_EUlSU_E_NS1_11comp_targetILNS1_3genE5ELNS1_11target_archE942ELNS1_3gpuE9ELNS1_3repE0EEENS1_30default_config_static_selectorELNS0_4arch9wavefront6targetE1EEEvT1_
	.p2align	8
	.type	_ZN7rocprim17ROCPRIM_400000_NS6detail17trampoline_kernelINS0_14default_configENS1_27scan_by_key_config_selectorIxxEEZZNS1_16scan_by_key_implILNS1_25lookback_scan_determinismE0ELb1ES3_N6thrust23THRUST_200600_302600_NS6detail15normal_iteratorINS9_10device_ptrIxEEEESE_SE_xNS9_4plusIvEENS9_8equal_toIvEExEE10hipError_tPvRmT2_T3_T4_T5_mT6_T7_P12ihipStream_tbENKUlT_T0_E_clISt17integral_constantIbLb0EESZ_EEDaSU_SV_EUlSU_E_NS1_11comp_targetILNS1_3genE5ELNS1_11target_archE942ELNS1_3gpuE9ELNS1_3repE0EEENS1_30default_config_static_selectorELNS0_4arch9wavefront6targetE1EEEvT1_,@function
_ZN7rocprim17ROCPRIM_400000_NS6detail17trampoline_kernelINS0_14default_configENS1_27scan_by_key_config_selectorIxxEEZZNS1_16scan_by_key_implILNS1_25lookback_scan_determinismE0ELb1ES3_N6thrust23THRUST_200600_302600_NS6detail15normal_iteratorINS9_10device_ptrIxEEEESE_SE_xNS9_4plusIvEENS9_8equal_toIvEExEE10hipError_tPvRmT2_T3_T4_T5_mT6_T7_P12ihipStream_tbENKUlT_T0_E_clISt17integral_constantIbLb0EESZ_EEDaSU_SV_EUlSU_E_NS1_11comp_targetILNS1_3genE5ELNS1_11target_archE942ELNS1_3gpuE9ELNS1_3repE0EEENS1_30default_config_static_selectorELNS0_4arch9wavefront6targetE1EEEvT1_: ; @_ZN7rocprim17ROCPRIM_400000_NS6detail17trampoline_kernelINS0_14default_configENS1_27scan_by_key_config_selectorIxxEEZZNS1_16scan_by_key_implILNS1_25lookback_scan_determinismE0ELb1ES3_N6thrust23THRUST_200600_302600_NS6detail15normal_iteratorINS9_10device_ptrIxEEEESE_SE_xNS9_4plusIvEENS9_8equal_toIvEExEE10hipError_tPvRmT2_T3_T4_T5_mT6_T7_P12ihipStream_tbENKUlT_T0_E_clISt17integral_constantIbLb0EESZ_EEDaSU_SV_EUlSU_E_NS1_11comp_targetILNS1_3genE5ELNS1_11target_archE942ELNS1_3gpuE9ELNS1_3repE0EEENS1_30default_config_static_selectorELNS0_4arch9wavefront6targetE1EEEvT1_
; %bb.0:
	s_load_dwordx8 s[44:51], s[0:1], 0x0
	s_load_dwordx2 s[56:57], s[0:1], 0x20
	s_load_dwordx8 s[36:43], s[0:1], 0x30
	s_load_dwordx2 s[58:59], s[0:1], 0x50
	s_load_dword s3, s[0:1], 0x58
	s_load_dwordx4 s[52:55], s[0:1], 0x60
	s_waitcnt lgkmcnt(0)
	s_lshl_b64 s[34:35], s[46:47], 3
	s_add_u32 s4, s44, s34
	s_addc_u32 s5, s45, s35
	s_add_u32 s6, s48, s34
	s_mul_i32 s0, s59, s3
	s_mul_hi_u32 s1, s58, s3
	s_addc_u32 s7, s49, s35
	s_add_i32 s8, s1, s0
	s_mul_i32 s0, s2, 0xe00
	s_mov_b32 s1, 0
	s_lshl_b64 s[44:45], s[0:1], 3
	s_add_u32 s48, s4, s44
	s_addc_u32 s49, s5, s45
	s_add_u32 s46, s6, s44
	s_mul_i32 s3, s58, s3
	s_addc_u32 s47, s7, s45
	s_add_u32 s0, s3, s2
	s_addc_u32 s1, s8, 0
	s_add_u32 s6, s52, -1
	s_addc_u32 s7, s53, -1
	v_mov_b64_e32 v[2:3], s[6:7]
	v_cmp_ge_u64_e64 s[0:1], s[0:1], v[2:3]
	s_mov_b64 s[4:5], -1
	s_and_b64 vcc, exec, s[0:1]
	s_mul_i32 s33, s6, 0xfffff200
	s_barrier
	s_cbranch_vccz .LBB355_76
; %bb.1:
	v_mov_b64_e32 v[2:3], s[48:49]
	flat_load_dwordx2 v[2:3], v[2:3]
	s_add_i32 s43, s33, s42
	v_cmp_gt_u32_e32 vcc, s43, v0
	s_waitcnt vmcnt(0) lgkmcnt(0)
	v_mov_b64_e32 v[4:5], v[2:3]
	s_and_saveexec_b64 s[4:5], vcc
	s_cbranch_execz .LBB355_3
; %bb.2:
	v_lshlrev_b32_e32 v4, 3, v0
	v_mov_b32_e32 v5, 0
	v_lshl_add_u64 v[4:5], s[48:49], 0, v[4:5]
	flat_load_dwordx2 v[4:5], v[4:5]
.LBB355_3:
	s_or_b64 exec, exec, s[4:5]
	v_or_b32_e32 v1, 0x100, v0
	v_cmp_gt_u32_e64 s[28:29], s43, v1
	v_mov_b64_e32 v[6:7], v[2:3]
	s_and_saveexec_b64 s[4:5], s[28:29]
	s_cbranch_execz .LBB355_5
; %bb.4:
	v_lshlrev_b32_e32 v6, 3, v0
	v_mov_b32_e32 v7, 0
	v_lshl_add_u64 v[6:7], s[48:49], 0, v[6:7]
	flat_load_dwordx2 v[6:7], v[6:7] offset:2048
.LBB355_5:
	s_or_b64 exec, exec, s[4:5]
	v_or_b32_e32 v1, 0x200, v0
	v_cmp_gt_u32_e64 s[4:5], s43, v1
	v_lshlrev_b32_e32 v30, 3, v1
	v_mov_b64_e32 v[8:9], v[2:3]
	s_and_saveexec_b64 s[6:7], s[4:5]
	s_cbranch_execz .LBB355_7
; %bb.6:
	v_mov_b32_e32 v31, 0
	v_lshl_add_u64 v[8:9], s[48:49], 0, v[30:31]
	flat_load_dwordx2 v[8:9], v[8:9]
.LBB355_7:
	s_or_b64 exec, exec, s[6:7]
	v_or_b32_e32 v1, 0x300, v0
	v_cmp_gt_u32_e64 s[6:7], s43, v1
	v_lshlrev_b32_e32 v32, 3, v1
	v_mov_b64_e32 v[10:11], v[2:3]
	s_and_saveexec_b64 s[8:9], s[6:7]
	s_cbranch_execz .LBB355_9
; %bb.8:
	v_mov_b32_e32 v33, 0
	v_lshl_add_u64 v[10:11], s[48:49], 0, v[32:33]
	flat_load_dwordx2 v[10:11], v[10:11]
.LBB355_9:
	;; [unrolled: 12-line block ×11, first 2 shown]
	s_or_b64 exec, exec, s[26:27]
	v_or_b32_e32 v1, 0xd00, v0
	v_cmp_gt_u32_e64 s[26:27], s43, v1
	v_lshlrev_b32_e32 v52, 3, v1
	s_and_saveexec_b64 s[30:31], s[26:27]
	s_cbranch_execz .LBB355_29
; %bb.28:
	v_mov_b32_e32 v53, 0
	v_lshl_add_u64 v[2:3], s[48:49], 0, v[52:53]
	flat_load_dwordx2 v[2:3], v[2:3]
.LBB355_29:
	s_or_b64 exec, exec, s[30:31]
	v_lshlrev_b32_e32 v54, 3, v0
	s_waitcnt vmcnt(0) lgkmcnt(0)
	ds_write2st64_b64 v54, v[4:5], v[6:7] offset1:4
	ds_write2st64_b64 v54, v[8:9], v[10:11] offset0:8 offset1:12
	ds_write2st64_b64 v54, v[12:13], v[14:15] offset0:16 offset1:20
	ds_write2st64_b64 v54, v[16:17], v[18:19] offset0:24 offset1:28
	ds_write2st64_b64 v54, v[20:21], v[22:23] offset0:32 offset1:36
	ds_write2st64_b64 v54, v[24:25], v[26:27] offset0:40 offset1:44
	ds_write2st64_b64 v54, v[28:29], v[2:3] offset0:48 offset1:52
	v_mov_b64_e32 v[2:3], s[48:49]
	s_waitcnt lgkmcnt(0)
	s_barrier
	flat_load_dwordx2 v[58:59], v[2:3]
	s_movk_i32 s3, 0x68
	v_mad_u32_u24 v76, v0, s3, v54
	s_movk_i32 s3, 0xff98
	v_mad_i32_i24 v1, v0, s3, v76
	s_movk_i32 s3, 0xff
	v_cmp_ne_u32_e64 s[30:31], s3, v0
	ds_read_b128 v[26:29], v76
	ds_read_b128 v[22:25], v76 offset:16
	ds_read_b128 v[18:21], v76 offset:32
	ds_read_b128 v[14:17], v76 offset:48
	ds_read_b128 v[10:13], v76 offset:64
	ds_read_b128 v[6:9], v76 offset:80
	ds_read_b128 v[2:5], v76 offset:96
	s_waitcnt lgkmcnt(0)
	ds_write_b64 v1, v[26:27] offset:30720
	s_waitcnt lgkmcnt(0)
	s_barrier
	s_and_saveexec_b64 s[52:53], s[30:31]
	s_cbranch_execz .LBB355_31
; %bb.30:
	s_waitcnt vmcnt(0)
	ds_read_b64 v[58:59], v54 offset:30728
.LBB355_31:
	s_or_b64 exec, exec, s[52:53]
	v_mov_b32_e32 v55, 0
	s_waitcnt lgkmcnt(0)
	s_barrier
	s_waitcnt lgkmcnt(0)
                                        ; implicit-def: $vgpr56_vgpr57
	s_and_saveexec_b64 s[30:31], vcc
	s_cbranch_execz .LBB355_151
; %bb.32:
	v_lshl_add_u64 v[56:57], s[46:47], 0, v[54:55]
	flat_load_dwordx2 v[56:57], v[56:57]
	s_or_b64 exec, exec, s[30:31]
                                        ; implicit-def: $vgpr60_vgpr61
	s_and_saveexec_b64 s[30:31], s[28:29]
	s_cbranch_execnz .LBB355_152
.LBB355_33:
	s_or_b64 exec, exec, s[30:31]
                                        ; implicit-def: $vgpr62_vgpr63
	s_and_saveexec_b64 s[28:29], s[4:5]
	s_cbranch_execz .LBB355_153
.LBB355_34:
	v_mov_b32_e32 v31, 0
	v_lshl_add_u64 v[30:31], s[46:47], 0, v[30:31]
	flat_load_dwordx2 v[62:63], v[30:31]
	s_or_b64 exec, exec, s[28:29]
                                        ; implicit-def: $vgpr30_vgpr31
	s_and_saveexec_b64 s[4:5], s[6:7]
	s_cbranch_execnz .LBB355_154
.LBB355_35:
	s_or_b64 exec, exec, s[4:5]
                                        ; implicit-def: $vgpr32_vgpr33
	s_and_saveexec_b64 s[4:5], s[8:9]
	s_cbranch_execz .LBB355_155
.LBB355_36:
	v_mov_b32_e32 v35, 0
	v_lshl_add_u64 v[32:33], s[46:47], 0, v[34:35]
	flat_load_dwordx2 v[32:33], v[32:33]
	s_or_b64 exec, exec, s[4:5]
                                        ; implicit-def: $vgpr34_vgpr35
	s_and_saveexec_b64 s[4:5], s[10:11]
	s_cbranch_execnz .LBB355_156
.LBB355_37:
	s_or_b64 exec, exec, s[4:5]
                                        ; implicit-def: $vgpr36_vgpr37
	s_and_saveexec_b64 s[4:5], s[12:13]
	s_cbranch_execz .LBB355_157
.LBB355_38:
	v_mov_b32_e32 v39, 0
	v_lshl_add_u64 v[36:37], s[46:47], 0, v[38:39]
	flat_load_dwordx2 v[36:37], v[36:37]
	s_or_b64 exec, exec, s[4:5]
                                        ; implicit-def: $vgpr38_vgpr39
	s_and_saveexec_b64 s[4:5], s[14:15]
	s_cbranch_execnz .LBB355_158
.LBB355_39:
	s_or_b64 exec, exec, s[4:5]
                                        ; implicit-def: $vgpr40_vgpr41
	s_and_saveexec_b64 s[4:5], s[16:17]
	s_cbranch_execz .LBB355_159
.LBB355_40:
	v_mov_b32_e32 v43, 0
	v_lshl_add_u64 v[40:41], s[46:47], 0, v[42:43]
	flat_load_dwordx2 v[40:41], v[40:41]
	s_or_b64 exec, exec, s[4:5]
                                        ; implicit-def: $vgpr42_vgpr43
	s_and_saveexec_b64 s[4:5], s[18:19]
	s_cbranch_execnz .LBB355_160
.LBB355_41:
	s_or_b64 exec, exec, s[4:5]
                                        ; implicit-def: $vgpr44_vgpr45
	s_and_saveexec_b64 s[4:5], s[20:21]
	s_cbranch_execz .LBB355_161
.LBB355_42:
	v_mov_b32_e32 v47, 0
	v_lshl_add_u64 v[44:45], s[46:47], 0, v[46:47]
	flat_load_dwordx2 v[44:45], v[44:45]
	s_or_b64 exec, exec, s[4:5]
                                        ; implicit-def: $vgpr46_vgpr47
	s_and_saveexec_b64 s[4:5], s[22:23]
	s_cbranch_execnz .LBB355_162
.LBB355_43:
	s_or_b64 exec, exec, s[4:5]
                                        ; implicit-def: $vgpr48_vgpr49
	s_and_saveexec_b64 s[4:5], s[24:25]
	s_cbranch_execz .LBB355_45
.LBB355_44:
	v_mov_b32_e32 v51, 0
	v_lshl_add_u64 v[48:49], s[46:47], 0, v[50:51]
	flat_load_dwordx2 v[48:49], v[48:49]
.LBB355_45:
	s_or_b64 exec, exec, s[4:5]
	v_mul_u32_u24_e32 v77, 14, v0
                                        ; implicit-def: $vgpr50_vgpr51
	s_and_saveexec_b64 s[4:5], s[26:27]
	s_cbranch_execz .LBB355_47
; %bb.46:
	v_mov_b32_e32 v53, 0
	v_lshl_add_u64 v[50:51], s[46:47], 0, v[52:53]
	flat_load_dwordx2 v[50:51], v[50:51]
.LBB355_47:
	s_or_b64 exec, exec, s[4:5]
	s_waitcnt vmcnt(0) lgkmcnt(0)
	ds_write2st64_b64 v54, v[56:57], v[60:61] offset1:4
	ds_write2st64_b64 v54, v[62:63], v[30:31] offset0:8 offset1:12
	ds_write2st64_b64 v54, v[32:33], v[34:35] offset0:16 offset1:20
	;; [unrolled: 1-line block ×6, first 2 shown]
	v_mov_b64_e32 v[54:55], 0
	v_cmp_gt_u32_e32 vcc, s43, v77
	s_mov_b64 s[10:11], 0
	s_mov_b32 s3, 0
	s_mov_b64 s[4:5], 0
	v_mov_b32_e32 v67, 0
	v_mov_b64_e32 v[34:35], v[54:55]
	v_mov_b32_e32 v75, 0
	v_mov_b64_e32 v[56:57], v[54:55]
	;; [unrolled: 2-line block ×12, first 2 shown]
	v_mov_b32_e32 v1, 0
	s_waitcnt lgkmcnt(0)
	s_barrier
	s_waitcnt lgkmcnt(0)
                                        ; implicit-def: $sgpr8_sgpr9
                                        ; implicit-def: $vgpr60_vgpr61
	s_and_saveexec_b64 s[6:7], vcc
	s_cbranch_execz .LBB355_75
; %bb.48:
	ds_read_b64 v[30:31], v76
	v_cmp_ne_u64_e32 vcc, v[26:27], v[28:29]
	v_mov_b32_e32 v26, s57
	v_or_b32_e32 v32, 1, v77
	v_mov_b64_e32 v[34:35], 0
	s_waitcnt lgkmcnt(0)
	v_cndmask_b32_e32 v55, v31, v26, vcc
	v_mov_b32_e32 v26, s56
	v_cndmask_b32_e64 v1, 0, 1, vcc
	v_cndmask_b32_e32 v54, v30, v26, vcc
	v_cmp_gt_u32_e32 vcc, s43, v32
	s_mov_b64 s[12:13], 0
	v_mov_b32_e32 v67, 0
	v_mov_b32_e32 v75, 0
	v_mov_b64_e32 v[56:57], v[34:35]
	v_mov_b32_e32 v74, 0
	v_mov_b64_e32 v[36:37], v[34:35]
	v_mov_b32_e32 v73, 0
	v_mov_b64_e32 v[52:53], v[34:35]
	v_mov_b32_e32 v72, 0
	v_mov_b64_e32 v[40:41], v[34:35]
	v_mov_b32_e32 v71, 0
	v_mov_b64_e32 v[38:39], v[34:35]
	v_mov_b32_e32 v70, 0
	v_mov_b64_e32 v[44:45], v[34:35]
	v_mov_b32_e32 v69, 0
	v_mov_b64_e32 v[42:43], v[34:35]
	v_mov_b32_e32 v68, 0
	v_mov_b64_e32 v[48:49], v[34:35]
	v_mov_b32_e32 v66, 0
	v_mov_b64_e32 v[46:47], v[34:35]
	v_mov_b32_e32 v65, 0
	v_mov_b64_e32 v[50:51], v[34:35]
	v_mov_b32_e32 v64, 0
	v_mov_b64_e32 v[30:31], v[34:35]
                                        ; implicit-def: $sgpr14_sgpr15
                                        ; implicit-def: $vgpr60_vgpr61
	s_and_saveexec_b64 s[8:9], vcc
	s_cbranch_execz .LBB355_74
; %bb.49:
	ds_read2_b64 v[30:33], v76 offset0:1 offset1:2
	v_cmp_ne_u64_e32 vcc, v[28:29], v[22:23]
	v_mov_b32_e32 v27, s57
	v_add_u32_e32 v26, 2, v77
	v_mov_b64_e32 v[34:35], 0
	s_waitcnt lgkmcnt(0)
	v_cndmask_b32_e32 v31, v31, v27, vcc
	v_mov_b32_e32 v27, s56
	v_cndmask_b32_e64 v64, 0, 1, vcc
	v_cndmask_b32_e32 v30, v30, v27, vcc
	v_cmp_gt_u32_e32 vcc, s43, v26
	s_mov_b64 s[14:15], 0
	v_mov_b32_e32 v67, 0
	v_mov_b32_e32 v75, 0
	v_mov_b64_e32 v[56:57], v[34:35]
	v_mov_b32_e32 v74, 0
	v_mov_b64_e32 v[36:37], v[34:35]
	;; [unrolled: 2-line block ×10, first 2 shown]
                                        ; implicit-def: $sgpr16_sgpr17
                                        ; implicit-def: $vgpr60_vgpr61
	s_and_saveexec_b64 s[10:11], vcc
	s_cbranch_execz .LBB355_73
; %bb.50:
	v_cmp_ne_u64_e32 vcc, v[22:23], v[24:25]
	v_mov_b32_e32 v22, s57
	v_add_u32_e32 v26, 3, v77
	v_cndmask_b32_e32 v51, v33, v22, vcc
	v_mov_b32_e32 v22, s56
	v_mov_b64_e32 v[34:35], 0
	v_cndmask_b32_e64 v65, 0, 1, vcc
	v_cndmask_b32_e32 v50, v32, v22, vcc
	v_cmp_gt_u32_e32 vcc, s43, v26
	s_mov_b64 s[16:17], 0
	v_mov_b32_e32 v67, 0
	v_mov_b32_e32 v75, 0
	v_mov_b64_e32 v[56:57], v[34:35]
	v_mov_b32_e32 v74, 0
	v_mov_b64_e32 v[36:37], v[34:35]
	;; [unrolled: 2-line block ×9, first 2 shown]
                                        ; implicit-def: $sgpr18_sgpr19
                                        ; implicit-def: $vgpr60_vgpr61
	s_and_saveexec_b64 s[12:13], vcc
	s_cbranch_execz .LBB355_72
; %bb.51:
	ds_read2_b64 v[26:29], v76 offset0:3 offset1:4
	v_cmp_ne_u64_e32 vcc, v[24:25], v[18:19]
	v_mov_b32_e32 v23, s57
	v_add_u32_e32 v22, 4, v77
	v_mov_b64_e32 v[34:35], 0
	s_waitcnt lgkmcnt(0)
	v_cndmask_b32_e32 v47, v27, v23, vcc
	v_mov_b32_e32 v23, s56
	v_cndmask_b32_e64 v66, 0, 1, vcc
	v_cndmask_b32_e32 v46, v26, v23, vcc
	v_cmp_gt_u32_e32 vcc, s43, v22
	s_mov_b64 s[18:19], 0
	v_mov_b32_e32 v67, 0
	v_mov_b32_e32 v75, 0
	v_mov_b64_e32 v[56:57], v[34:35]
	v_mov_b32_e32 v74, 0
	v_mov_b64_e32 v[36:37], v[34:35]
	;; [unrolled: 2-line block ×8, first 2 shown]
                                        ; implicit-def: $sgpr20_sgpr21
                                        ; implicit-def: $vgpr60_vgpr61
	s_and_saveexec_b64 s[14:15], vcc
	s_cbranch_execz .LBB355_71
; %bb.52:
	v_cmp_ne_u64_e32 vcc, v[18:19], v[20:21]
	v_mov_b32_e32 v18, s57
	v_add_u32_e32 v22, 5, v77
	v_cndmask_b32_e32 v49, v29, v18, vcc
	v_mov_b32_e32 v18, s56
	v_mov_b64_e32 v[34:35], 0
	v_cndmask_b32_e64 v68, 0, 1, vcc
	v_cndmask_b32_e32 v48, v28, v18, vcc
	v_cmp_gt_u32_e32 vcc, s43, v22
	s_mov_b64 s[20:21], 0
	v_mov_b32_e32 v67, 0
	v_mov_b32_e32 v75, 0
	v_mov_b64_e32 v[56:57], v[34:35]
	v_mov_b32_e32 v74, 0
	v_mov_b64_e32 v[36:37], v[34:35]
	;; [unrolled: 2-line block ×7, first 2 shown]
                                        ; implicit-def: $sgpr22_sgpr23
                                        ; implicit-def: $vgpr60_vgpr61
	s_and_saveexec_b64 s[16:17], vcc
	s_cbranch_execz .LBB355_70
; %bb.53:
	ds_read2_b64 v[22:25], v76 offset0:5 offset1:6
	v_cmp_ne_u64_e32 vcc, v[20:21], v[14:15]
	v_mov_b32_e32 v19, s57
	v_add_u32_e32 v18, 6, v77
	v_mov_b64_e32 v[34:35], 0
	s_waitcnt lgkmcnt(0)
	v_cndmask_b32_e32 v43, v23, v19, vcc
	v_mov_b32_e32 v19, s56
	v_cndmask_b32_e64 v69, 0, 1, vcc
	v_cndmask_b32_e32 v42, v22, v19, vcc
	v_cmp_gt_u32_e32 vcc, s43, v18
	s_mov_b64 s[22:23], 0
	v_mov_b32_e32 v67, 0
	v_mov_b32_e32 v75, 0
	v_mov_b64_e32 v[56:57], v[34:35]
	v_mov_b32_e32 v74, 0
	v_mov_b64_e32 v[36:37], v[34:35]
	;; [unrolled: 2-line block ×6, first 2 shown]
                                        ; implicit-def: $sgpr24_sgpr25
                                        ; implicit-def: $vgpr60_vgpr61
	s_and_saveexec_b64 s[18:19], vcc
	s_cbranch_execz .LBB355_69
; %bb.54:
	v_cmp_ne_u64_e32 vcc, v[14:15], v[16:17]
	v_mov_b32_e32 v14, s57
	v_add_u32_e32 v18, 7, v77
	v_cndmask_b32_e32 v45, v25, v14, vcc
	v_mov_b32_e32 v14, s56
	v_mov_b64_e32 v[34:35], 0
	v_cndmask_b32_e64 v70, 0, 1, vcc
	v_cndmask_b32_e32 v44, v24, v14, vcc
	v_cmp_gt_u32_e32 vcc, s43, v18
	s_mov_b64 s[24:25], 0
	v_mov_b32_e32 v67, 0
	v_mov_b32_e32 v75, 0
	v_mov_b64_e32 v[56:57], v[34:35]
	v_mov_b32_e32 v74, 0
	v_mov_b64_e32 v[36:37], v[34:35]
	;; [unrolled: 2-line block ×5, first 2 shown]
                                        ; implicit-def: $sgpr26_sgpr27
                                        ; implicit-def: $vgpr60_vgpr61
	s_and_saveexec_b64 s[20:21], vcc
	s_cbranch_execz .LBB355_68
; %bb.55:
	ds_read2_b64 v[18:21], v76 offset0:7 offset1:8
	v_cmp_ne_u64_e32 vcc, v[16:17], v[10:11]
	v_mov_b32_e32 v15, s57
	v_add_u32_e32 v14, 8, v77
	v_mov_b64_e32 v[34:35], 0
	s_waitcnt lgkmcnt(0)
	v_cndmask_b32_e32 v39, v19, v15, vcc
	v_mov_b32_e32 v15, s56
	v_cndmask_b32_e64 v71, 0, 1, vcc
	v_cndmask_b32_e32 v38, v18, v15, vcc
	v_cmp_gt_u32_e32 vcc, s43, v14
	s_mov_b64 s[26:27], 0
	v_mov_b32_e32 v67, 0
	v_mov_b32_e32 v75, 0
	v_mov_b64_e32 v[56:57], v[34:35]
	v_mov_b32_e32 v74, 0
	v_mov_b64_e32 v[36:37], v[34:35]
	;; [unrolled: 2-line block ×4, first 2 shown]
                                        ; implicit-def: $sgpr28_sgpr29
                                        ; implicit-def: $vgpr60_vgpr61
	s_and_saveexec_b64 s[22:23], vcc
	s_cbranch_execz .LBB355_67
; %bb.56:
	v_cmp_ne_u64_e32 vcc, v[10:11], v[12:13]
	v_mov_b32_e32 v10, s57
	v_add_u32_e32 v14, 9, v77
	v_cndmask_b32_e32 v41, v21, v10, vcc
	v_mov_b32_e32 v10, s56
	v_mov_b64_e32 v[34:35], 0
	v_cndmask_b32_e64 v72, 0, 1, vcc
	v_cndmask_b32_e32 v40, v20, v10, vcc
	v_cmp_gt_u32_e32 vcc, s43, v14
	s_mov_b64 s[28:29], 0
	v_mov_b32_e32 v67, 0
	v_mov_b32_e32 v75, 0
	v_mov_b64_e32 v[56:57], v[34:35]
	v_mov_b32_e32 v74, 0
	v_mov_b64_e32 v[36:37], v[34:35]
	;; [unrolled: 2-line block ×3, first 2 shown]
                                        ; implicit-def: $sgpr30_sgpr31
                                        ; implicit-def: $vgpr60_vgpr61
	s_and_saveexec_b64 s[24:25], vcc
	s_cbranch_execz .LBB355_66
; %bb.57:
	ds_read2_b64 v[14:17], v76 offset0:9 offset1:10
	v_cmp_ne_u64_e32 vcc, v[12:13], v[6:7]
	v_mov_b32_e32 v11, s57
	v_add_u32_e32 v10, 10, v77
	v_mov_b64_e32 v[34:35], 0
	s_waitcnt lgkmcnt(0)
	v_cndmask_b32_e32 v53, v15, v11, vcc
	v_mov_b32_e32 v11, s56
	v_cndmask_b32_e64 v73, 0, 1, vcc
	v_cndmask_b32_e32 v52, v14, v11, vcc
	v_cmp_gt_u32_e32 vcc, s43, v10
	s_mov_b64 s[30:31], 0
	v_mov_b32_e32 v67, 0
	v_mov_b32_e32 v75, 0
	v_mov_b64_e32 v[56:57], v[34:35]
	v_mov_b32_e32 v74, 0
	v_mov_b64_e32 v[36:37], v[34:35]
                                        ; implicit-def: $sgpr52_sgpr53
                                        ; implicit-def: $vgpr60_vgpr61
	s_and_saveexec_b64 s[26:27], vcc
	s_cbranch_execz .LBB355_65
; %bb.58:
	v_cmp_ne_u64_e32 vcc, v[6:7], v[8:9]
	v_mov_b32_e32 v6, s57
	v_add_u32_e32 v10, 11, v77
	v_cndmask_b32_e32 v37, v17, v6, vcc
	v_mov_b32_e32 v6, s56
	v_mov_b64_e32 v[34:35], 0
	v_cndmask_b32_e64 v74, 0, 1, vcc
	v_cndmask_b32_e32 v36, v16, v6, vcc
	v_cmp_gt_u32_e32 vcc, s43, v10
	s_mov_b64 s[52:53], 0
	v_mov_b32_e32 v67, 0
	v_mov_b32_e32 v75, 0
	v_mov_b64_e32 v[56:57], v[34:35]
                                        ; implicit-def: $sgpr60_sgpr61
                                        ; implicit-def: $vgpr60_vgpr61
	s_and_saveexec_b64 s[28:29], vcc
	s_cbranch_execz .LBB355_64
; %bb.59:
	ds_read2_b64 v[10:13], v76 offset0:11 offset1:12
	v_cmp_ne_u64_e32 vcc, v[8:9], v[2:3]
	v_mov_b32_e32 v7, s57
	v_add_u32_e32 v6, 12, v77
	v_cndmask_b32_e64 v75, 0, 1, vcc
	s_waitcnt lgkmcnt(0)
	v_cndmask_b32_e32 v57, v11, v7, vcc
	v_mov_b32_e32 v7, s56
	v_cndmask_b32_e32 v56, v10, v7, vcc
	v_cmp_gt_u32_e32 vcc, s43, v6
	v_mov_b32_e32 v67, 0
	v_mov_b64_e32 v[34:35], 0
                                        ; implicit-def: $sgpr60_sgpr61
                                        ; implicit-def: $vgpr60_vgpr61
	s_and_saveexec_b64 s[30:31], vcc
	s_cbranch_execz .LBB355_63
; %bb.60:
	v_cmp_ne_u64_e32 vcc, v[2:3], v[4:5]
	v_mov_b32_e32 v2, s57
	v_add_u32_e32 v6, 13, v77
	v_cndmask_b32_e32 v35, v13, v2, vcc
	v_mov_b32_e32 v2, s56
	v_cndmask_b32_e64 v67, 0, 1, vcc
	v_cndmask_b32_e32 v34, v12, v2, vcc
	v_cmp_gt_u32_e32 vcc, s43, v6
                                        ; implicit-def: $sgpr60_sgpr61
                                        ; implicit-def: $vgpr60_vgpr61
	s_and_saveexec_b64 s[62:63], vcc
	s_xor_b64 s[62:63], exec, s[62:63]
	s_cbranch_execz .LBB355_62
; %bb.61:
	ds_read_b64 v[2:3], v76 offset:104
	v_mov_b32_e32 v6, s57
	v_mov_b32_e32 v7, s56
	v_cmp_ne_u64_e32 vcc, v[4:5], v[58:59]
	s_mov_b64 s[52:53], exec
	s_and_b64 s[60:61], vcc, exec
	s_waitcnt lgkmcnt(0)
	v_cndmask_b32_e32 v61, v3, v6, vcc
	v_cndmask_b32_e32 v60, v2, v7, vcc
.LBB355_62:
	s_or_b64 exec, exec, s[62:63]
	s_and_b64 s[60:61], s[60:61], exec
	s_and_b64 s[52:53], s[52:53], exec
.LBB355_63:
	s_or_b64 exec, exec, s[30:31]
	s_and_b64 s[60:61], s[60:61], exec
	s_and_b64 s[30:31], s[52:53], exec
.LBB355_64:
	s_or_b64 exec, exec, s[28:29]
	s_and_b64 s[52:53], s[60:61], exec
	s_and_b64 s[28:29], s[30:31], exec
.LBB355_65:
	s_or_b64 exec, exec, s[26:27]
	s_and_b64 s[30:31], s[52:53], exec
	s_and_b64 s[26:27], s[28:29], exec
.LBB355_66:
	s_or_b64 exec, exec, s[24:25]
	s_and_b64 s[28:29], s[30:31], exec
	s_and_b64 s[24:25], s[26:27], exec
.LBB355_67:
	s_or_b64 exec, exec, s[22:23]
	s_and_b64 s[26:27], s[28:29], exec
	s_and_b64 s[22:23], s[24:25], exec
.LBB355_68:
	s_or_b64 exec, exec, s[20:21]
	s_and_b64 s[24:25], s[26:27], exec
	s_and_b64 s[20:21], s[22:23], exec
.LBB355_69:
	s_or_b64 exec, exec, s[18:19]
	s_and_b64 s[22:23], s[24:25], exec
	s_and_b64 s[18:19], s[20:21], exec
.LBB355_70:
	s_or_b64 exec, exec, s[16:17]
	s_and_b64 s[20:21], s[22:23], exec
	s_and_b64 s[16:17], s[18:19], exec
.LBB355_71:
	s_or_b64 exec, exec, s[14:15]
	s_and_b64 s[18:19], s[20:21], exec
	s_and_b64 s[14:15], s[16:17], exec
.LBB355_72:
	s_or_b64 exec, exec, s[12:13]
	s_and_b64 s[16:17], s[18:19], exec
	s_and_b64 s[12:13], s[14:15], exec
.LBB355_73:
	s_or_b64 exec, exec, s[10:11]
	s_and_b64 s[14:15], s[16:17], exec
	s_and_b64 s[10:11], s[12:13], exec
.LBB355_74:
	s_or_b64 exec, exec, s[8:9]
	s_and_b64 s[8:9], s[14:15], exec
	s_and_b64 s[10:11], s[10:11], exec
.LBB355_75:
	s_or_b64 exec, exec, s[6:7]
	s_mov_b64 s[6:7], 0
	s_and_b64 vcc, exec, s[4:5]
	v_lshlrev_b32_e32 v58, 3, v0
	s_cbranch_vccnz .LBB355_77
	s_branch .LBB355_82
.LBB355_76:
	s_mov_b64 s[10:11], 0
                                        ; implicit-def: $sgpr8_sgpr9
                                        ; implicit-def: $vgpr60_vgpr61
                                        ; implicit-def: $vgpr54_vgpr55
                                        ; implicit-def: $vgpr67
                                        ; implicit-def: $vgpr34_vgpr35
                                        ; implicit-def: $vgpr75
                                        ; implicit-def: $vgpr56_vgpr57
                                        ; implicit-def: $vgpr74
                                        ; implicit-def: $vgpr36_vgpr37
                                        ; implicit-def: $vgpr73
                                        ; implicit-def: $vgpr52_vgpr53
                                        ; implicit-def: $vgpr72
                                        ; implicit-def: $vgpr40_vgpr41
                                        ; implicit-def: $vgpr71
                                        ; implicit-def: $vgpr38_vgpr39
                                        ; implicit-def: $vgpr70
                                        ; implicit-def: $vgpr44_vgpr45
                                        ; implicit-def: $vgpr69
                                        ; implicit-def: $vgpr42_vgpr43
                                        ; implicit-def: $vgpr68
                                        ; implicit-def: $vgpr48_vgpr49
                                        ; implicit-def: $vgpr66
                                        ; implicit-def: $vgpr46_vgpr47
                                        ; implicit-def: $vgpr65
                                        ; implicit-def: $vgpr50_vgpr51
                                        ; implicit-def: $vgpr64
                                        ; implicit-def: $vgpr30_vgpr31
                                        ; implicit-def: $vgpr1
                                        ; implicit-def: $sgpr3
                                        ; implicit-def: $sgpr6_sgpr7
	s_and_b64 vcc, exec, s[4:5]
	v_lshlrev_b32_e32 v58, 3, v0
	s_cbranch_vccz .LBB355_82
.LBB355_77:
	v_mov_b32_e32 v59, 0
	v_lshl_add_u64 v[2:3], s[48:49], 0, v[58:59]
	v_add_co_u32_e32 v4, vcc, 0x1000, v2
	s_movk_i32 s3, 0x7000
	s_nop 0
	v_addc_co_u32_e32 v5, vcc, 0, v3, vcc
	flat_load_dwordx2 v[6:7], v[2:3]
	flat_load_dwordx2 v[8:9], v[2:3] offset:2048
	flat_load_dwordx2 v[10:11], v[4:5]
	flat_load_dwordx2 v[12:13], v[4:5] offset:2048
	v_add_co_u32_e32 v4, vcc, 0x2000, v2
	v_mov_b32_e32 v1, s48
	s_nop 0
	v_addc_co_u32_e32 v5, vcc, 0, v3, vcc
	v_add_co_u32_e32 v14, vcc, 0x3000, v2
	s_movk_i32 s4, 0x68
	s_nop 0
	v_addc_co_u32_e32 v15, vcc, 0, v3, vcc
	flat_load_dwordx2 v[16:17], v[4:5]
	flat_load_dwordx2 v[18:19], v[4:5] offset:2048
	flat_load_dwordx2 v[20:21], v[14:15]
	flat_load_dwordx2 v[22:23], v[14:15] offset:2048
	v_add_co_u32_e32 v4, vcc, 0x4000, v2
	s_movk_i32 s10, 0x1000
	s_nop 0
	v_addc_co_u32_e32 v5, vcc, 0, v3, vcc
	v_add_co_u32_e32 v14, vcc, 0x5000, v2
	s_movk_i32 s9, 0x2000
	s_nop 0
	v_addc_co_u32_e32 v15, vcc, 0, v3, vcc
	v_add_co_u32_e32 v2, vcc, 0x6000, v2
	flat_load_dwordx2 v[24:25], v[4:5]
	flat_load_dwordx2 v[26:27], v[4:5] offset:2048
	flat_load_dwordx2 v[28:29], v[14:15]
	flat_load_dwordx2 v[30:31], v[14:15] offset:2048
	v_addc_co_u32_e32 v3, vcc, 0, v3, vcc
	flat_load_dwordx2 v[4:5], v[2:3]
	flat_load_dwordx2 v[14:15], v[2:3] offset:2048
	v_mov_b32_e32 v3, s49
	v_add_co_u32_e32 v2, vcc, s3, v1
	v_mad_u32_u24 v1, v0, s4, v58
	s_nop 0
	v_addc_co_u32_e32 v3, vcc, 0, v3, vcc
	s_movk_i32 s4, 0xff98
	s_movk_i32 s8, 0x3000
	;; [unrolled: 1-line block ×5, first 2 shown]
	s_waitcnt vmcnt(0) lgkmcnt(0)
	ds_write2st64_b64 v58, v[6:7], v[8:9] offset1:4
	ds_write2st64_b64 v58, v[10:11], v[12:13] offset0:8 offset1:12
	ds_write2st64_b64 v58, v[16:17], v[18:19] offset0:16 offset1:20
	ds_write2st64_b64 v58, v[20:21], v[22:23] offset0:24 offset1:28
	ds_write2st64_b64 v58, v[24:25], v[26:27] offset0:32 offset1:36
	ds_write2st64_b64 v58, v[28:29], v[30:31] offset0:40 offset1:44
	ds_write2st64_b64 v58, v[4:5], v[14:15] offset0:48 offset1:52
	s_waitcnt lgkmcnt(0)
	s_barrier
	flat_load_dwordx2 v[60:61], v[2:3]
	v_mad_i32_i24 v26, v0, s4, v1
	s_movk_i32 s4, 0xff
	v_cmp_ne_u32_e32 vcc, s4, v0
	ds_read_b128 v[30:33], v1
	ds_read_b128 v[22:25], v1 offset:16
	ds_read_b128 v[18:21], v1 offset:32
	;; [unrolled: 1-line block ×6, first 2 shown]
	s_waitcnt lgkmcnt(0)
	ds_write_b64 v26, v[30:31] offset:30720
	s_waitcnt lgkmcnt(0)
	s_barrier
	s_and_saveexec_b64 s[4:5], vcc
	s_cbranch_execz .LBB355_79
; %bb.78:
	s_waitcnt vmcnt(0)
	ds_read_b64 v[60:61], v58 offset:30728
.LBB355_79:
	s_or_b64 exec, exec, s[4:5]
	v_lshl_add_u64 v[26:27], s[46:47], 0, v[58:59]
	v_add_co_u32_e32 v28, vcc, s10, v26
	s_waitcnt lgkmcnt(0)
	s_nop 0
	v_addc_co_u32_e32 v29, vcc, 0, v27, vcc
	s_barrier
	flat_load_dwordx2 v[34:35], v[26:27]
	flat_load_dwordx2 v[36:37], v[26:27] offset:2048
	flat_load_dwordx2 v[38:39], v[28:29]
	flat_load_dwordx2 v[40:41], v[28:29] offset:2048
	v_add_co_u32_e32 v28, vcc, s9, v26
	v_cmp_eq_u64_e64 s[4:5], v[30:31], v[32:33]
	s_nop 0
	v_addc_co_u32_e32 v29, vcc, 0, v27, vcc
	v_add_co_u32_e32 v42, vcc, s8, v26
	s_nop 1
	v_addc_co_u32_e32 v43, vcc, 0, v27, vcc
	flat_load_dwordx2 v[44:45], v[28:29]
	flat_load_dwordx2 v[46:47], v[28:29] offset:2048
	flat_load_dwordx2 v[48:49], v[42:43]
	flat_load_dwordx2 v[50:51], v[42:43] offset:2048
	v_add_co_u32_e32 v28, vcc, s7, v26
	s_nop 1
	v_addc_co_u32_e32 v29, vcc, 0, v27, vcc
	v_add_co_u32_e32 v42, vcc, s6, v26
	s_nop 1
	v_addc_co_u32_e32 v43, vcc, 0, v27, vcc
	v_add_co_u32_e32 v26, vcc, s3, v26
	flat_load_dwordx2 v[52:53], v[28:29]
	flat_load_dwordx2 v[54:55], v[28:29] offset:2048
	flat_load_dwordx2 v[56:57], v[42:43]
	flat_load_dwordx2 v[62:63], v[42:43] offset:2048
	v_addc_co_u32_e32 v27, vcc, 0, v27, vcc
	flat_load_dwordx2 v[28:29], v[26:27]
	flat_load_dwordx2 v[42:43], v[26:27] offset:2048
	v_cmp_ne_u64_e32 vcc, v[30:31], v[32:33]
	s_waitcnt vmcnt(0) lgkmcnt(0)
	ds_write2st64_b64 v58, v[34:35], v[36:37] offset1:4
	ds_write2st64_b64 v58, v[38:39], v[40:41] offset0:8 offset1:12
	ds_write2st64_b64 v58, v[44:45], v[46:47] offset0:16 offset1:20
	;; [unrolled: 1-line block ×6, first 2 shown]
	s_waitcnt lgkmcnt(0)
	s_barrier
	ds_read2_b64 v[50:53], v1 offset0:1 offset1:2
	ds_read2_b64 v[46:49], v1 offset0:3 offset1:4
	;; [unrolled: 1-line block ×6, first 2 shown]
	ds_read_b64 v[62:63], v1 offset:104
	v_mov_b64_e32 v[54:55], s[56:57]
	s_and_saveexec_b64 s[6:7], s[4:5]
	s_cbranch_execz .LBB355_81
; %bb.80:
	ds_read_b64 v[54:55], v1
.LBB355_81:
	s_or_b64 exec, exec, s[6:7]
	v_cmp_ne_u64_e64 s[8:9], v[18:19], v[20:21]
	v_cmp_ne_u64_e64 s[22:23], v[8:9], v[2:3]
	;; [unrolled: 1-line block ×3, first 2 shown]
	v_mov_b32_e32 v2, s57
	v_mov_b32_e32 v3, s56
	v_cndmask_b32_e64 v1, 0, 1, vcc
	v_cmp_ne_u64_e32 vcc, v[32:33], v[22:23]
	v_cmp_ne_u64_e64 s[4:5], v[22:23], v[24:25]
	v_cmp_ne_u64_e64 s[6:7], v[24:25], v[18:19]
	v_cndmask_b32_e64 v68, 0, 1, s[8:9]
	v_cmp_ne_u64_e64 s[10:11], v[20:21], v[14:15]
	v_cmp_ne_u64_e64 s[12:13], v[14:15], v[16:17]
	;; [unrolled: 1-line block ×6, first 2 shown]
	s_waitcnt lgkmcnt(5)
	v_cndmask_b32_e64 v49, v49, v2, s[8:9]
	v_cndmask_b32_e64 v48, v48, v3, s[8:9]
	v_cmp_ne_u64_e64 s[8:9], v[4:5], v[60:61]
	v_cndmask_b32_e64 v64, 0, 1, vcc
	v_cndmask_b32_e64 v65, 0, 1, s[4:5]
	v_cndmask_b32_e64 v66, 0, 1, s[6:7]
	;; [unrolled: 1-line block ×10, first 2 shown]
	v_cndmask_b32_e32 v31, v51, v2, vcc
	v_cndmask_b32_e32 v30, v50, v3, vcc
	v_cndmask_b32_e64 v51, v53, v2, s[4:5]
	v_cndmask_b32_e64 v50, v52, v3, s[4:5]
	v_cndmask_b32_e64 v47, v47, v2, s[6:7]
	v_cndmask_b32_e64 v46, v46, v3, s[6:7]
	s_waitcnt lgkmcnt(4)
	v_cndmask_b32_e64 v43, v43, v2, s[10:11]
	v_cndmask_b32_e64 v42, v42, v3, s[10:11]
	v_cndmask_b32_e64 v45, v45, v2, s[12:13]
	v_cndmask_b32_e64 v44, v44, v3, s[12:13]
	s_waitcnt lgkmcnt(3)
	;; [unrolled: 5-line block ×5, first 2 shown]
	v_cndmask_b32_e64 v61, v63, v2, s[8:9]
	v_cndmask_b32_e64 v60, v62, v3, s[8:9]
	s_mov_b64 s[10:11], -1
                                        ; implicit-def: $sgpr3
                                        ; implicit-def: $sgpr6_sgpr7
.LBB355_82:
	v_mov_b64_e32 v[28:29], s[6:7]
	v_mov_b32_e32 v59, s3
	s_and_saveexec_b64 s[4:5], s[10:11]
; %bb.83:
	v_cndmask_b32_e64 v59, 0, 1, s[8:9]
	v_mov_b64_e32 v[28:29], v[60:61]
; %bb.84:
	s_or_b64 exec, exec, s[4:5]
	v_or_b32_e32 v2, v59, v67
	s_cmp_lg_u32 s2, 0
	v_or_b32_e32 v63, v2, v75
	v_mbcnt_lo_u32_b32 v62, -1, 0
	s_barrier
	s_cbranch_scc0 .LBB355_163
; %bb.85:
	v_mov_b32_e32 v4, 0
	v_cmp_eq_u16_sdwa s[28:29], v64, v4 src0_sel:BYTE_0 src1_sel:DWORD
	v_cmp_eq_u16_sdwa s[4:5], v65, v4 src0_sel:BYTE_0 src1_sel:DWORD
	;; [unrolled: 1-line block ×3, first 2 shown]
	v_cndmask_b32_e64 v3, 0, v55, s[28:29]
	v_cndmask_b32_e64 v2, 0, v54, s[28:29]
	v_lshl_add_u64 v[2:3], v[2:3], 0, v[30:31]
	v_cndmask_b32_e64 v3, 0, v3, s[4:5]
	v_cndmask_b32_e64 v2, 0, v2, s[4:5]
	v_lshl_add_u64 v[2:3], v[2:3], 0, v[50:51]
	;; [unrolled: 3-line block ×3, first 2 shown]
	v_cmp_eq_u16_sdwa s[8:9], v68, v4 src0_sel:BYTE_0 src1_sel:DWORD
	v_cmp_eq_u16_sdwa s[10:11], v69, v4 src0_sel:BYTE_0 src1_sel:DWORD
	;; [unrolled: 1-line block ×3, first 2 shown]
	v_cndmask_b32_e64 v3, 0, v3, s[8:9]
	v_cndmask_b32_e64 v2, 0, v2, s[8:9]
	v_lshl_add_u64 v[2:3], v[2:3], 0, v[48:49]
	v_cndmask_b32_e64 v3, 0, v3, s[10:11]
	v_cndmask_b32_e64 v2, 0, v2, s[10:11]
	v_lshl_add_u64 v[2:3], v[2:3], 0, v[42:43]
	;; [unrolled: 3-line block ×3, first 2 shown]
	v_cmp_eq_u16_sdwa s[14:15], v71, v4 src0_sel:BYTE_0 src1_sel:DWORD
	v_cmp_eq_u16_sdwa s[16:17], v72, v4 src0_sel:BYTE_0 src1_sel:DWORD
	;; [unrolled: 1-line block ×3, first 2 shown]
	v_cndmask_b32_e64 v3, 0, v3, s[14:15]
	v_cndmask_b32_e64 v2, 0, v2, s[14:15]
	v_lshl_add_u64 v[2:3], v[2:3], 0, v[38:39]
	v_cndmask_b32_e64 v3, 0, v3, s[16:17]
	v_cndmask_b32_e64 v2, 0, v2, s[16:17]
	v_cmp_eq_u16_sdwa s[20:21], v74, v4 src0_sel:BYTE_0 src1_sel:DWORD
	v_cmp_eq_u16_sdwa s[22:23], v75, v4 src0_sel:BYTE_0 src1_sel:DWORD
	;; [unrolled: 1-line block ×3, first 2 shown]
	v_cmp_eq_u16_sdwa vcc, v59, v4 src0_sel:BYTE_0 src1_sel:DWORD
	v_or_b32_e32 v4, v63, v74
	v_lshl_add_u64 v[2:3], v[2:3], 0, v[40:41]
	v_or_b32_e32 v4, v4, v73
	v_cndmask_b32_e64 v3, 0, v3, s[18:19]
	v_cndmask_b32_e64 v2, 0, v2, s[18:19]
	v_or_b32_e32 v4, v4, v72
	v_lshl_add_u64 v[2:3], v[2:3], 0, v[52:53]
	v_or_b32_e32 v4, v4, v71
	v_cndmask_b32_e64 v3, 0, v3, s[20:21]
	v_cndmask_b32_e64 v2, 0, v2, s[20:21]
	;; [unrolled: 5-line block ×4, first 2 shown]
	v_or_b32_e32 v4, v4, v65
	v_lshl_add_u64 v[2:3], v[2:3], 0, v[34:35]
	v_or_b32_e32 v4, v4, v64
	v_cndmask_b32_e32 v3, 0, v3, vcc
	v_cndmask_b32_e32 v2, 0, v2, vcc
	v_or_b32_e32 v4, v4, v1
	v_mbcnt_hi_u32_b32 v9, -1, v62
	v_lshl_add_u64 v[2:3], v[2:3], 0, v[28:29]
	v_and_b32_e32 v8, 1, v4
	v_and_b32_e32 v5, 15, v9
	v_cmp_eq_u32_e32 vcc, 1, v8
	v_mov_b32_dpp v7, v2 row_shr:1 row_mask:0xf bank_mask:0xf
	v_mov_b32_dpp v10, v3 row_shr:1 row_mask:0xf bank_mask:0xf
	;; [unrolled: 1-line block ×3, first 2 shown]
	v_cmp_ne_u32_e64 s[26:27], 0, v5
	v_mov_b32_e32 v4, v8
	s_and_saveexec_b64 s[30:31], s[26:27]
; %bb.86:
	v_and_b32_e32 v4, 1, v6
	v_cndmask_b32_e64 v11, v10, 0, vcc
	v_cndmask_b32_e64 v10, v7, 0, vcc
	v_or_b32_e32 v8, v4, v8
	v_lshl_add_u64 v[2:3], v[10:11], 0, v[2:3]
	v_and_b32_e32 v4, 0xffff, v8
; %bb.87:
	s_or_b64 exec, exec, s[30:31]
	v_mov_b32_dpp v7, v2 row_shr:2 row_mask:0xf bank_mask:0xf
	v_mov_b32_dpp v10, v3 row_shr:2 row_mask:0xf bank_mask:0xf
	;; [unrolled: 1-line block ×3, first 2 shown]
	v_cmp_lt_u32_e32 vcc, 1, v5
	s_and_saveexec_b64 s[30:31], vcc
; %bb.88:
	v_cmp_eq_u16_e32 vcc, 0, v8
	v_and_b32_e32 v4, 1, v8
	s_nop 0
	v_cndmask_b32_e32 v11, 0, v10, vcc
	v_cndmask_b32_e32 v10, 0, v7, vcc
	v_cmp_eq_u32_e32 vcc, 1, v4
	v_and_b32_e32 v4, 1, v6
	v_cmp_eq_u32_e64 s[26:27], 1, v4
	s_or_b64 s[26:27], vcc, s[26:27]
	v_lshl_add_u64 v[2:3], v[10:11], 0, v[2:3]
	v_cndmask_b32_e64 v8, 0, 1, s[26:27]
	v_cndmask_b32_e64 v4, 0, 1, s[26:27]
; %bb.89:
	s_or_b64 exec, exec, s[30:31]
	v_mov_b32_dpp v7, v2 row_shr:4 row_mask:0xf bank_mask:0xf
	v_mov_b32_dpp v10, v3 row_shr:4 row_mask:0xf bank_mask:0xf
	;; [unrolled: 1-line block ×3, first 2 shown]
	v_cmp_lt_u32_e32 vcc, 3, v5
	s_and_saveexec_b64 s[30:31], vcc
; %bb.90:
	v_cmp_eq_u16_e32 vcc, 0, v8
	v_and_b32_e32 v4, 1, v8
	s_nop 0
	v_cndmask_b32_e32 v11, 0, v10, vcc
	v_cndmask_b32_e32 v10, 0, v7, vcc
	v_cmp_eq_u32_e32 vcc, 1, v4
	v_and_b32_e32 v4, 1, v6
	v_cmp_eq_u32_e64 s[26:27], 1, v4
	s_or_b64 s[26:27], vcc, s[26:27]
	v_lshl_add_u64 v[2:3], v[10:11], 0, v[2:3]
	v_cndmask_b32_e64 v8, 0, 1, s[26:27]
	v_cndmask_b32_e64 v4, 0, 1, s[26:27]
; %bb.91:
	s_or_b64 exec, exec, s[30:31]
	v_mov_b32_dpp v7, v2 row_shr:8 row_mask:0xf bank_mask:0xf
	v_mov_b32_dpp v10, v3 row_shr:8 row_mask:0xf bank_mask:0xf
	;; [unrolled: 1-line block ×3, first 2 shown]
	v_cmp_lt_u32_e32 vcc, 7, v5
	s_and_saveexec_b64 s[30:31], vcc
; %bb.92:
	v_cmp_eq_u16_e32 vcc, 0, v8
	s_nop 1
	v_cndmask_b32_e32 v5, 0, v10, vcc
	v_cndmask_b32_e32 v4, 0, v7, vcc
	v_lshl_add_u64 v[2:3], v[4:5], 0, v[2:3]
	v_and_b32_e32 v4, 1, v8
	v_cmp_eq_u32_e32 vcc, 1, v4
	v_and_b32_e32 v4, 1, v6
	v_cmp_eq_u32_e64 s[26:27], 1, v4
	s_or_b64 s[26:27], vcc, s[26:27]
	s_nop 0
	v_cndmask_b32_e64 v8, 0, 1, s[26:27]
	v_cndmask_b32_e64 v4, 0, 1, s[26:27]
; %bb.93:
	s_or_b64 exec, exec, s[30:31]
	v_and_b32_e32 v10, 16, v9
	v_mov_b32_dpp v6, v2 row_bcast:15 row_mask:0xf bank_mask:0xf
	v_mov_b32_dpp v7, v3 row_bcast:15 row_mask:0xf bank_mask:0xf
	;; [unrolled: 1-line block ×3, first 2 shown]
	v_cmp_ne_u32_e32 vcc, 0, v10
	s_and_saveexec_b64 s[30:31], vcc
; %bb.94:
	v_cmp_eq_u16_e32 vcc, 0, v8
	v_and_b32_e32 v4, 1, v8
	s_nop 0
	v_cndmask_b32_e32 v7, 0, v7, vcc
	v_cndmask_b32_e32 v6, 0, v6, vcc
	v_cmp_eq_u32_e32 vcc, 1, v4
	v_and_b32_e32 v4, 1, v5
	v_cmp_eq_u32_e64 s[26:27], 1, v4
	s_or_b64 s[26:27], vcc, s[26:27]
	v_lshl_add_u64 v[2:3], v[6:7], 0, v[2:3]
	v_cndmask_b32_e64 v8, 0, 1, s[26:27]
	v_cndmask_b32_e64 v4, 0, 1, s[26:27]
; %bb.95:
	s_or_b64 exec, exec, s[30:31]
	v_mov_b32_dpp v5, v2 row_bcast:31 row_mask:0xf bank_mask:0xf
	v_mov_b32_dpp v6, v3 row_bcast:31 row_mask:0xf bank_mask:0xf
	;; [unrolled: 1-line block ×3, first 2 shown]
	v_cmp_lt_u32_e32 vcc, 31, v9
	s_and_saveexec_b64 s[30:31], vcc
; %bb.96:
	v_cmp_eq_u16_e32 vcc, 0, v8
	v_and_b32_e32 v4, 1, v4
	v_cmp_eq_u32_e64 s[26:27], 1, v4
	v_cndmask_b32_e32 v7, 0, v6, vcc
	v_cndmask_b32_e32 v6, 0, v5, vcc
	v_and_b32_e32 v5, 1, v8
	v_cmp_eq_u32_e32 vcc, 1, v5
	s_or_b64 s[26:27], vcc, s[26:27]
	v_lshl_add_u64 v[2:3], v[6:7], 0, v[2:3]
	v_cndmask_b32_e64 v8, 0, 1, s[26:27]
; %bb.97:
	s_or_b64 exec, exec, s[30:31]
	v_or_b32_e32 v4, 63, v0
	v_lshrrev_b32_e32 v10, 6, v0
	v_cmp_eq_u32_e32 vcc, v4, v0
	s_and_saveexec_b64 s[26:27], vcc
	s_cbranch_execz .LBB355_99
; %bb.98:
	v_lshlrev_b32_e32 v4, 4, v10
	ds_write_b64 v4, v[2:3]
	ds_write_b8 v4, v8 offset:8
.LBB355_99:
	s_or_b64 exec, exec, s[26:27]
	v_cmp_gt_u32_e32 vcc, 4, v0
	s_waitcnt lgkmcnt(0)
	s_barrier
	s_and_saveexec_b64 s[30:31], vcc
	s_cbranch_execz .LBB355_105
; %bb.100:
	v_lshlrev_b32_e32 v6, 4, v0
	ds_read_b64 v[4:5], v6
	ds_read_b32 v7, v6 offset:8
	v_and_b32_e32 v11, 3, v9
	v_cmp_ne_u32_e32 vcc, 0, v11
	s_waitcnt lgkmcnt(1)
	v_mov_b32_dpp v15, v4 row_shr:1 row_mask:0xf bank_mask:0xf
	v_mov_b32_dpp v16, v5 row_shr:1 row_mask:0xf bank_mask:0xf
	s_waitcnt lgkmcnt(0)
	v_mov_b32_dpp v14, v7 row_shr:1 row_mask:0xf bank_mask:0xf
	v_mov_b32_e32 v12, v7
	v_mov_b32_e32 v13, v7
	s_and_saveexec_b64 s[26:27], vcc
; %bb.101:
	v_mov_b32_e32 v12, 0
	v_cmp_eq_u16_sdwa vcc, v7, v12 src0_sel:BYTE_0 src1_sel:DWORD
	s_movk_i32 s3, 0xff00
	s_nop 0
	v_cndmask_b32_e32 v13, 0, v16, vcc
	v_cndmask_b32_e32 v12, 0, v15, vcc
	v_lshl_add_u64 v[4:5], v[12:13], 0, v[4:5]
	v_or_b32_e32 v13, v14, v7
	v_and_b32_e32 v12, 1, v13
	v_and_b32_e32 v13, 1, v13
	v_and_or_b32 v7, v7, s3, v13
; %bb.102:
	s_or_b64 exec, exec, s[26:27]
	v_mov_b32_dpp v14, v4 row_shr:2 row_mask:0xf bank_mask:0xf
	v_mov_b32_dpp v15, v5 row_shr:2 row_mask:0xf bank_mask:0xf
	v_mov_b32_dpp v7, v7 row_shr:2 row_mask:0xf bank_mask:0xf
	v_cmp_lt_u32_e32 vcc, 1, v11
	s_and_saveexec_b64 s[46:47], vcc
; %bb.103:
	v_mov_b32_e32 v11, 0
	v_cmp_eq_u16_sdwa vcc, v13, v11 src0_sel:BYTE_0 src1_sel:DWORD
	v_and_b32_e32 v11, 1, v13
	v_and_b32_e32 v7, 1, v7
	v_cndmask_b32_e32 v15, 0, v15, vcc
	v_cndmask_b32_e32 v14, 0, v14, vcc
	v_cmp_eq_u32_e32 vcc, 1, v11
	v_cmp_eq_u32_e64 s[26:27], 1, v7
	s_or_b64 s[26:27], vcc, s[26:27]
	v_lshl_add_u64 v[4:5], v[14:15], 0, v[4:5]
	v_cndmask_b32_e64 v12, 0, 1, s[26:27]
; %bb.104:
	s_or_b64 exec, exec, s[46:47]
	ds_write_b64 v6, v[4:5]
	ds_write_b8 v6, v12 offset:8
.LBB355_105:
	s_or_b64 exec, exec, s[30:31]
	v_cmp_gt_u32_e32 vcc, 64, v0
	v_cmp_lt_u32_e64 s[26:27], 63, v0
	v_mov_b32_e32 v16, 0
	v_mov_b64_e32 v[6:7], 0
	s_waitcnt lgkmcnt(0)
	s_barrier
	s_and_saveexec_b64 s[30:31], s[26:27]
	s_cbranch_execz .LBB355_107
; %bb.106:
	v_lshl_add_u32 v4, v10, 4, -16
	ds_read_b64 v[6:7], v4
	ds_read_u8 v16, v4 offset:8
	v_cmp_eq_u16_e64 s[26:27], 0, v8
	s_waitcnt lgkmcnt(0)
	v_or_b32_e32 v8, v8, v16
	v_cndmask_b32_e64 v5, 0, v7, s[26:27]
	v_cndmask_b32_e64 v4, 0, v6, s[26:27]
	v_lshl_add_u64 v[2:3], v[2:3], 0, v[4:5]
	v_and_b32_e32 v8, 1, v8
.LBB355_107:
	s_or_b64 exec, exec, s[30:31]
	v_add_u32_e32 v4, -1, v9
	v_and_b32_e32 v5, 64, v9
	v_cmp_lt_i32_e64 s[26:27], v4, v5
	s_nop 1
	v_cndmask_b32_e64 v4, v4, v9, s[26:27]
	v_lshlrev_b32_e32 v4, 2, v4
	ds_bpermute_b32 v17, v4, v2
	v_and_b32_e32 v2, 0xffff, v8
	ds_bpermute_b32 v18, v4, v3
	ds_bpermute_b32 v19, v4, v2
	v_cmp_eq_u32_e64 s[26:27], 0, v9
	s_and_saveexec_b64 s[46:47], vcc
	s_cbranch_execz .LBB355_150
; %bb.108:
	v_mov_b32_e32 v11, 0
	ds_read2_b64 v[2:5], v11 offset0:6 offset1:7
	s_and_saveexec_b64 s[30:31], s[26:27]
	s_cbranch_execz .LBB355_110
; %bb.109:
	s_add_i32 s48, s2, 64
	s_mov_b32 s49, 0
	s_lshl_b64 s[52:53], s[48:49], 4
	s_add_u32 s52, s36, s52
	s_addc_u32 s53, s37, s53
	s_waitcnt lgkmcnt(0)
	global_store_dword v11, v2, s[52:53] sc1
	global_store_dword v11, v3, s[52:53] offset:4 sc1
	global_store_dword v11, v4, s[52:53] offset:8 sc1
	;; [unrolled: 1-line block ×3, first 2 shown]
	v_mov_b32_e32 v5, s48
	v_mov_b32_e32 v8, 1
	s_waitcnt vmcnt(0)
	global_store_byte v5, v8, s[40:41] sc1
.LBB355_110:
	s_or_b64 exec, exec, s[30:31]
	v_xad_u32 v8, v9, -1, s2
	v_add_u32_e32 v10, 64, v8
	s_waitcnt lgkmcnt(0)
	global_load_ubyte v5, v10, s[40:41] sc1
	s_waitcnt vmcnt(0)
	v_cmp_eq_u16_e32 vcc, 0, v5
	s_and_saveexec_b64 s[30:31], vcc
	s_cbranch_execz .LBB355_114
; %bb.111:
	v_lshl_add_u64 v[12:13], s[40:41], 0, v[10:11]
	s_mov_b64 s[48:49], 0
.LBB355_112:                            ; =>This Inner Loop Header: Depth=1
	global_load_ubyte v5, v[12:13], off sc1
	s_waitcnt vmcnt(0)
	v_cmp_ne_u16_e32 vcc, 0, v5
	s_or_b64 s[48:49], vcc, s[48:49]
	s_andn2_b64 exec, exec, s[48:49]
	s_cbranch_execnz .LBB355_112
; %bb.113:
	s_or_b64 exec, exec, s[48:49]
.LBB355_114:
	s_or_b64 exec, exec, s[30:31]
	v_mov_b32_e32 v12, s39
	v_mov_b32_e32 v13, s37
	v_cmp_eq_u16_e32 vcc, 1, v5
	v_mov_b32_e32 v14, s36
	s_waitcnt vmcnt(0)
	v_cndmask_b32_e32 v13, v12, v13, vcc
	v_mov_b32_e32 v12, s38
	v_cndmask_b32_e32 v12, v12, v14, vcc
	v_lshl_add_u64 v[10:11], v[10:11], 4, v[12:13]
	global_load_dword v14, v[10:11], off sc1
	global_load_dword v15, v[10:11], off offset:4 sc1
	global_load_dword v78, v[10:11], off offset:8 sc1
	s_nop 0
	global_load_dword v10, v[10:11], off offset:12 sc1
	v_cmp_eq_u16_e32 vcc, 2, v5
	s_waitcnt vmcnt(0)
	v_lshlrev_b64 v[10:11], v9, -1
	v_and_b32_e32 v20, 63, v9
	v_and_b32_e32 v12, vcc_hi, v11
	v_and_b32_e32 v25, vcc_lo, v10
	v_cmp_ne_u32_e32 vcc, 63, v20
	v_or_b32_e32 v12, 0x80000000, v12
	v_ffbl_b32_e32 v12, v12
	v_addc_co_u32_e32 v13, vcc, 0, v9, vcc
	v_lshlrev_b32_e32 v21, 2, v13
	v_add_u32_e32 v12, 32, v12
	v_ffbl_b32_e32 v25, v25
	v_min_u32_e32 v12, v25, v12
	v_cmp_lt_u32_e32 vcc, v20, v12
	ds_bpermute_b32 v23, v21, v14
	ds_bpermute_b32 v24, v21, v15
	v_and_b32_e32 v13, 0xff, v78
	ds_bpermute_b32 v22, v21, v13
	s_and_saveexec_b64 s[30:31], vcc
	s_cbranch_execz .LBB355_116
; %bb.115:
	v_mov_b32_e32 v13, 0
	v_cmp_eq_u16_sdwa vcc, v78, v13 src0_sel:BYTE_0 src1_sel:DWORD
	s_waitcnt lgkmcnt(0)
	v_or_b32_e32 v13, v22, v78
	v_and_b32_e32 v78, 1, v13
	v_cndmask_b32_e32 v25, 0, v24, vcc
	v_cndmask_b32_e32 v24, 0, v23, vcc
	v_lshl_add_u64 v[14:15], v[24:25], 0, v[14:15]
	v_and_b32_e32 v13, 1, v13
.LBB355_116:
	s_or_b64 exec, exec, s[30:31]
	v_cmp_gt_u32_e32 vcc, 62, v20
	s_waitcnt lgkmcnt(2)
	v_add_u32_e32 v23, 2, v20
	s_waitcnt lgkmcnt(0)
	v_cndmask_b32_e64 v22, 0, 1, vcc
	v_lshlrev_b32_e32 v22, 1, v22
	v_add_lshl_u32 v22, v22, v9, 2
	ds_bpermute_b32 v25, v22, v14
	ds_bpermute_b32 v26, v22, v15
	ds_bpermute_b32 v24, v22, v13
	v_cmp_le_u32_e32 vcc, v23, v12
	s_and_saveexec_b64 s[48:49], vcc
	s_cbranch_execz .LBB355_118
; %bb.117:
	v_mov_b32_e32 v13, 0
	v_cmp_eq_u16_sdwa vcc, v78, v13 src0_sel:BYTE_0 src1_sel:DWORD
	v_and_b32_e32 v13, 1, v78
	s_waitcnt lgkmcnt(1)
	v_cndmask_b32_e32 v27, 0, v26, vcc
	v_cndmask_b32_e32 v26, 0, v25, vcc
	v_cmp_eq_u32_e32 vcc, 1, v13
	s_waitcnt lgkmcnt(0)
	v_and_b32_e32 v13, 1, v24
	v_cmp_eq_u32_e64 s[30:31], 1, v13
	s_or_b64 s[30:31], vcc, s[30:31]
	v_lshl_add_u64 v[14:15], v[26:27], 0, v[14:15]
	v_cndmask_b32_e64 v78, 0, 1, s[30:31]
	v_cndmask_b32_e64 v13, 0, 1, s[30:31]
.LBB355_118:
	s_or_b64 exec, exec, s[48:49]
	v_cmp_gt_u32_e32 vcc, 60, v20
	s_waitcnt lgkmcnt(2)
	v_add_u32_e32 v25, 4, v20
	s_waitcnt lgkmcnt(0)
	v_cndmask_b32_e64 v24, 0, 1, vcc
	v_lshlrev_b32_e32 v24, 2, v24
	v_add_lshl_u32 v24, v24, v9, 2
	ds_bpermute_b32 v27, v24, v14
	ds_bpermute_b32 v32, v24, v15
	ds_bpermute_b32 v26, v24, v13
	v_cmp_le_u32_e32 vcc, v25, v12
	s_and_saveexec_b64 s[48:49], vcc
	s_cbranch_execz .LBB355_120
; %bb.119:
	v_mov_b32_e32 v13, 0
	v_cmp_eq_u16_sdwa vcc, v78, v13 src0_sel:BYTE_0 src1_sel:DWORD
	v_and_b32_e32 v13, 1, v78
	s_waitcnt lgkmcnt(1)
	v_cndmask_b32_e32 v33, 0, v32, vcc
	v_cndmask_b32_e32 v32, 0, v27, vcc
	v_cmp_eq_u32_e32 vcc, 1, v13
	s_waitcnt lgkmcnt(0)
	v_and_b32_e32 v13, 1, v26
	v_cmp_eq_u32_e64 s[30:31], 1, v13
	s_or_b64 s[30:31], vcc, s[30:31]
	v_lshl_add_u64 v[14:15], v[32:33], 0, v[14:15]
	v_cndmask_b32_e64 v78, 0, 1, s[30:31]
	v_cndmask_b32_e64 v13, 0, 1, s[30:31]
.LBB355_120:
	;; [unrolled: 30-line block ×4, first 2 shown]
	s_or_b64 exec, exec, s[48:49]
	v_cmp_gt_u32_e32 vcc, 32, v20
	s_waitcnt lgkmcnt(1)
	v_add_u32_e32 v76, 32, v20
	s_waitcnt lgkmcnt(0)
	v_cndmask_b32_e64 v60, 0, 1, vcc
	v_lshlrev_b32_e32 v60, 5, v60
	v_add_lshl_u32 v61, v60, v9, 2
	ds_bpermute_b32 v60, v61, v14
	ds_bpermute_b32 v77, v61, v15
	;; [unrolled: 1-line block ×3, first 2 shown]
	v_cmp_le_u32_e32 vcc, v76, v12
	s_and_saveexec_b64 s[48:49], vcc
	s_cbranch_execz .LBB355_126
; %bb.125:
	v_mov_b32_e32 v12, 0
	v_cmp_eq_u16_sdwa vcc, v78, v12 src0_sel:BYTE_0 src1_sel:DWORD
	s_waitcnt lgkmcnt(0)
	v_and_b32_e32 v9, 1, v9
	v_cmp_eq_u32_e64 s[30:31], 1, v9
	v_cndmask_b32_e32 v13, 0, v77, vcc
	v_cndmask_b32_e32 v12, 0, v60, vcc
	v_lshl_add_u64 v[14:15], v[12:13], 0, v[14:15]
	v_and_b32_e32 v12, 1, v78
	v_cmp_eq_u32_e32 vcc, 1, v12
	s_or_b64 s[30:31], vcc, s[30:31]
	v_cndmask_b32_e64 v78, 0, 1, s[30:31]
.LBB355_126:
	s_or_b64 exec, exec, s[48:49]
	s_waitcnt lgkmcnt(0)
	v_mov_b32_e32 v9, 0
	v_mov_b32_e32 v77, 2
	s_branch .LBB355_128
.LBB355_127:                            ;   in Loop: Header=BB355_128 Depth=1
	s_or_b64 exec, exec, s[52:53]
	v_cmp_eq_u16_sdwa vcc, v60, v9 src0_sel:BYTE_0 src1_sel:DWORD
	v_and_b32_e32 v78, 1, v60
	v_subrev_u32_e32 v8, 64, v8
	v_cndmask_b32_e32 v15, 0, v15, vcc
	v_cndmask_b32_e32 v14, 0, v14, vcc
	v_cmp_eq_u32_e32 vcc, 1, v78
	s_or_b64 s[30:31], vcc, s[48:49]
	v_lshl_add_u64 v[14:15], v[14:15], 0, v[12:13]
	v_cndmask_b32_e64 v78, 0, 1, s[30:31]
.LBB355_128:                            ; =>This Loop Header: Depth=1
                                        ;     Child Loop BB355_131 Depth 2
	v_cmp_ne_u16_sdwa s[30:31], v5, v77 src0_sel:BYTE_0 src1_sel:DWORD
	v_mov_b32_e32 v60, v78
	v_mov_b64_e32 v[12:13], v[14:15]
	v_cndmask_b32_e64 v5, 0, 1, s[30:31]
	;;#ASMSTART
	;;#ASMEND
	s_nop 0
	v_cmp_ne_u32_e32 vcc, 0, v5
	s_cmp_lg_u64 vcc, exec
	s_cbranch_scc1 .LBB355_145
; %bb.129:                              ;   in Loop: Header=BB355_128 Depth=1
	global_load_ubyte v5, v8, s[40:41] sc1
	s_waitcnt vmcnt(0)
	v_cmp_eq_u16_e32 vcc, 0, v5
	s_and_saveexec_b64 s[30:31], vcc
	s_cbranch_execz .LBB355_133
; %bb.130:                              ;   in Loop: Header=BB355_128 Depth=1
	v_lshl_add_u64 v[14:15], s[40:41], 0, v[8:9]
	s_mov_b64 s[48:49], 0
.LBB355_131:                            ;   Parent Loop BB355_128 Depth=1
                                        ; =>  This Inner Loop Header: Depth=2
	global_load_ubyte v5, v[14:15], off sc1
	s_waitcnt vmcnt(0)
	v_cmp_ne_u16_e32 vcc, 0, v5
	s_or_b64 s[48:49], vcc, s[48:49]
	s_andn2_b64 exec, exec, s[48:49]
	s_cbranch_execnz .LBB355_131
; %bb.132:                              ;   in Loop: Header=BB355_128 Depth=1
	s_or_b64 exec, exec, s[48:49]
.LBB355_133:                            ;   in Loop: Header=BB355_128 Depth=1
	s_or_b64 exec, exec, s[30:31]
	v_mov_b32_e32 v14, s39
	v_mov_b32_e32 v15, s37
	v_cmp_eq_u16_e32 vcc, 1, v5
	v_mov_b32_e32 v78, s36
	s_waitcnt vmcnt(0)
	v_cndmask_b32_e32 v15, v14, v15, vcc
	v_mov_b32_e32 v14, s38
	v_cndmask_b32_e32 v14, v14, v78, vcc
	s_waitcnt lgkmcnt(0)
	v_lshl_add_u64 v[80:81], v[8:9], 4, v[14:15]
	global_load_dword v14, v[80:81], off sc1
	global_load_dword v15, v[80:81], off offset:4 sc1
	global_load_dword v78, v[80:81], off offset:8 sc1
	;; [unrolled: 1-line block ×3, first 2 shown]
	v_cmp_eq_u16_e32 vcc, 2, v5
	s_waitcnt vmcnt(3)
	ds_bpermute_b32 v82, v21, v14
	s_waitcnt vmcnt(0)
	v_and_b32_e32 v79, vcc_hi, v11
	v_and_b32_e32 v80, 0xff, v78
	v_or_b32_e32 v79, 0x80000000, v79
	ds_bpermute_b32 v83, v21, v15
	ds_bpermute_b32 v81, v21, v80
	v_and_b32_e32 v84, vcc_lo, v10
	v_ffbl_b32_e32 v79, v79
	v_add_u32_e32 v79, 32, v79
	v_ffbl_b32_e32 v84, v84
	v_min_u32_e32 v79, v84, v79
	v_cmp_lt_u32_e32 vcc, v20, v79
	s_and_saveexec_b64 s[30:31], vcc
	s_cbranch_execz .LBB355_135
; %bb.134:                              ;   in Loop: Header=BB355_128 Depth=1
	v_cmp_eq_u16_sdwa vcc, v78, v9 src0_sel:BYTE_0 src1_sel:DWORD
	s_waitcnt lgkmcnt(0)
	v_or_b32_e32 v80, v81, v78
	v_and_b32_e32 v78, 1, v80
	v_cndmask_b32_e32 v83, 0, v83, vcc
	v_cndmask_b32_e32 v82, 0, v82, vcc
	v_lshl_add_u64 v[14:15], v[82:83], 0, v[14:15]
	v_and_b32_e32 v80, 1, v80
.LBB355_135:                            ;   in Loop: Header=BB355_128 Depth=1
	s_or_b64 exec, exec, s[30:31]
	s_waitcnt lgkmcnt(2)
	ds_bpermute_b32 v82, v22, v14
	s_waitcnt lgkmcnt(2)
	ds_bpermute_b32 v83, v22, v15
	;; [unrolled: 2-line block ×3, first 2 shown]
	v_and_b32_e32 v84, 1, v78
	v_cmp_le_u32_e32 vcc, v23, v79
	v_cmp_eq_u32_e64 s[48:49], 1, v84
	s_and_saveexec_b64 s[30:31], vcc
	s_cbranch_execz .LBB355_137
; %bb.136:                              ;   in Loop: Header=BB355_128 Depth=1
	v_cmp_eq_u16_sdwa vcc, v78, v9 src0_sel:BYTE_0 src1_sel:DWORD
	s_waitcnt lgkmcnt(0)
	v_and_b32_e32 v78, 1, v81
	v_cndmask_b32_e32 v83, 0, v83, vcc
	v_cndmask_b32_e32 v82, 0, v82, vcc
	v_cmp_eq_u32_e32 vcc, 1, v78
	s_or_b64 s[52:53], s[48:49], vcc
	v_cndmask_b32_e64 v78, 0, 1, s[52:53]
	v_cndmask_b32_e64 v80, 0, 1, s[52:53]
	s_andn2_b64 s[48:49], s[48:49], exec
	s_and_b64 s[52:53], s[52:53], exec
	v_lshl_add_u64 v[14:15], v[82:83], 0, v[14:15]
	s_or_b64 s[48:49], s[48:49], s[52:53]
.LBB355_137:                            ;   in Loop: Header=BB355_128 Depth=1
	s_or_b64 exec, exec, s[30:31]
	s_waitcnt lgkmcnt(2)
	ds_bpermute_b32 v82, v24, v14
	s_waitcnt lgkmcnt(2)
	ds_bpermute_b32 v83, v24, v15
	s_waitcnt lgkmcnt(2)
	ds_bpermute_b32 v81, v24, v80
	v_cmp_le_u32_e32 vcc, v25, v79
	s_and_saveexec_b64 s[52:53], vcc
	s_cbranch_execz .LBB355_139
; %bb.138:                              ;   in Loop: Header=BB355_128 Depth=1
	v_cmp_eq_u16_sdwa vcc, v78, v9 src0_sel:BYTE_0 src1_sel:DWORD
	v_and_b32_e32 v78, 1, v78
	s_andn2_b64 s[48:49], s[48:49], exec
	s_waitcnt lgkmcnt(1)
	v_cndmask_b32_e32 v83, 0, v83, vcc
	v_cndmask_b32_e32 v82, 0, v82, vcc
	v_cmp_eq_u32_e32 vcc, 1, v78
	s_waitcnt lgkmcnt(0)
	v_and_b32_e32 v78, 1, v81
	v_cmp_eq_u32_e64 s[30:31], 1, v78
	s_or_b64 s[30:31], vcc, s[30:31]
	v_lshl_add_u64 v[14:15], v[82:83], 0, v[14:15]
	v_cndmask_b32_e64 v78, 0, 1, s[30:31]
	v_cndmask_b32_e64 v80, 0, 1, s[30:31]
	s_and_b64 s[30:31], s[30:31], exec
	s_or_b64 s[48:49], s[48:49], s[30:31]
.LBB355_139:                            ;   in Loop: Header=BB355_128 Depth=1
	s_or_b64 exec, exec, s[52:53]
	s_waitcnt lgkmcnt(2)
	ds_bpermute_b32 v82, v26, v14
	s_waitcnt lgkmcnt(2)
	ds_bpermute_b32 v83, v26, v15
	s_waitcnt lgkmcnt(2)
	ds_bpermute_b32 v81, v26, v80
	v_cmp_le_u32_e32 vcc, v27, v79
	s_and_saveexec_b64 s[52:53], vcc
	s_cbranch_execz .LBB355_141
; %bb.140:                              ;   in Loop: Header=BB355_128 Depth=1
	v_cmp_eq_u16_sdwa vcc, v78, v9 src0_sel:BYTE_0 src1_sel:DWORD
	v_and_b32_e32 v78, 1, v78
	s_andn2_b64 s[48:49], s[48:49], exec
	s_waitcnt lgkmcnt(1)
	v_cndmask_b32_e32 v83, 0, v83, vcc
	v_cndmask_b32_e32 v82, 0, v82, vcc
	v_cmp_eq_u32_e32 vcc, 1, v78
	s_waitcnt lgkmcnt(0)
	v_and_b32_e32 v78, 1, v81
	v_cmp_eq_u32_e64 s[30:31], 1, v78
	s_or_b64 s[30:31], vcc, s[30:31]
	v_lshl_add_u64 v[14:15], v[82:83], 0, v[14:15]
	v_cndmask_b32_e64 v78, 0, 1, s[30:31]
	v_cndmask_b32_e64 v80, 0, 1, s[30:31]
	s_and_b64 s[30:31], s[30:31], exec
	s_or_b64 s[48:49], s[48:49], s[30:31]
.LBB355_141:                            ;   in Loop: Header=BB355_128 Depth=1
	;; [unrolled: 28-line block ×3, first 2 shown]
	s_or_b64 exec, exec, s[52:53]
	s_waitcnt lgkmcnt(0)
	ds_bpermute_b32 v81, v61, v14
	ds_bpermute_b32 v82, v61, v15
	;; [unrolled: 1-line block ×3, first 2 shown]
	v_cmp_le_u32_e32 vcc, v76, v79
	s_and_saveexec_b64 s[52:53], vcc
	s_cbranch_execz .LBB355_127
; %bb.144:                              ;   in Loop: Header=BB355_128 Depth=1
	v_cmp_eq_u16_sdwa vcc, v78, v9 src0_sel:BYTE_0 src1_sel:DWORD
	v_and_b32_e32 v78, 1, v78
	s_andn2_b64 s[48:49], s[48:49], exec
	s_waitcnt lgkmcnt(1)
	v_cndmask_b32_e32 v83, 0, v82, vcc
	v_cndmask_b32_e32 v82, 0, v81, vcc
	v_cmp_eq_u32_e32 vcc, 1, v78
	s_waitcnt lgkmcnt(0)
	v_and_b32_e32 v78, 1, v80
	v_cmp_eq_u32_e64 s[30:31], 1, v78
	s_or_b64 s[30:31], vcc, s[30:31]
	s_and_b64 s[30:31], s[30:31], exec
	v_lshl_add_u64 v[14:15], v[82:83], 0, v[14:15]
	s_or_b64 s[48:49], s[48:49], s[30:31]
	s_branch .LBB355_127
.LBB355_145:                            ;   in Loop: Header=BB355_128 Depth=1
                                        ; implicit-def: $vgpr78
                                        ; implicit-def: $vgpr14_vgpr15
                                        ; implicit-def: $vgpr5
	s_cbranch_execz .LBB355_128
; %bb.146:
	s_and_saveexec_b64 s[30:31], s[26:27]
	s_cbranch_execz .LBB355_148
; %bb.147:
	s_mov_b32 s3, 0
	v_mov_b32_e32 v5, 0
	s_add_i32 s2, s2, 64
	v_cmp_eq_u32_sdwa vcc, v4, v5 src0_sel:BYTE_0 src1_sel:DWORD
	s_lshl_b64 s[36:37], s[2:3], 4
	v_and_b32_e32 v4, 1, v4
	v_cndmask_b32_e32 v9, 0, v13, vcc
	v_cndmask_b32_e32 v8, 0, v12, vcc
	s_add_u32 s36, s38, s36
	v_lshl_add_u64 v[2:3], v[8:9], 0, v[2:3]
	v_and_b32_e32 v8, 1, v60
	v_cmp_eq_u32_e32 vcc, 1, v4
	s_addc_u32 s37, s39, s37
	s_nop 0
	v_cndmask_b32_e64 v4, v8, 1, vcc
	global_store_dword v5, v2, s[36:37] sc1
	global_store_dword v5, v3, s[36:37] offset:4 sc1
	global_store_dword v5, v4, s[36:37] offset:8 sc1
	global_store_dword v5, v5, s[36:37] offset:12 sc1
	v_mov_b32_e32 v2, s2
	v_mov_b32_e32 v3, 2
	s_waitcnt vmcnt(0) lgkmcnt(0)
	global_store_byte v2, v3, s[40:41] sc1
.LBB355_148:
	s_or_b64 exec, exec, s[30:31]
	v_cmp_eq_u32_e32 vcc, 0, v0
	s_and_b64 exec, exec, vcc
	s_cbranch_execz .LBB355_150
; %bb.149:
	v_mov_b32_e32 v2, 0
	ds_write_b64 v2, v[12:13] offset:48
	ds_write_b8 v2, v60 offset:56
.LBB355_150:
	s_or_b64 exec, exec, s[46:47]
	v_mov_b32_e32 v8, 0
	s_waitcnt lgkmcnt(0)
	s_barrier
	ds_read_b64 v[2:3], v8 offset:48
	v_cndmask_b32_e64 v9, v19, v16, s[26:27]
	v_cmp_eq_u16_sdwa vcc, v9, v8 src0_sel:BYTE_0 src1_sel:DWORD
	v_cndmask_b32_e64 v4, v17, v6, s[26:27]
	v_cndmask_b32_e64 v5, v18, v7, s[26:27]
	s_waitcnt lgkmcnt(0)
	v_cndmask_b32_e32 v7, 0, v3, vcc
	v_cndmask_b32_e32 v6, 0, v2, vcc
	v_lshl_add_u64 v[4:5], v[4:5], 0, v[6:7]
	v_cmp_eq_u32_e32 vcc, 0, v0
	s_nop 1
	v_cndmask_b32_e32 v3, v5, v3, vcc
	v_cndmask_b32_e32 v2, v4, v2, vcc
	v_cmp_eq_u16_sdwa vcc, v1, v8 src0_sel:BYTE_0 src1_sel:DWORD
	s_nop 1
	v_cndmask_b32_e32 v5, 0, v3, vcc
	v_cndmask_b32_e32 v4, 0, v2, vcc
	v_lshl_add_u64 v[4:5], v[4:5], 0, v[54:55]
	v_cndmask_b32_e64 v7, 0, v5, s[28:29]
	v_cndmask_b32_e64 v6, 0, v4, s[28:29]
	v_lshl_add_u64 v[6:7], v[6:7], 0, v[30:31]
	v_cndmask_b32_e64 v9, 0, v7, s[4:5]
	v_cndmask_b32_e64 v8, 0, v6, s[4:5]
	;; [unrolled: 3-line block ×12, first 2 shown]
	s_branch .LBB355_191
.LBB355_151:
	s_or_b64 exec, exec, s[30:31]
                                        ; implicit-def: $vgpr60_vgpr61
	s_and_saveexec_b64 s[30:31], s[28:29]
	s_cbranch_execz .LBB355_33
.LBB355_152:
	v_mov_b32_e32 v55, 0
	v_lshl_add_u64 v[60:61], s[46:47], 0, v[54:55]
	flat_load_dwordx2 v[60:61], v[60:61] offset:2048
	s_or_b64 exec, exec, s[30:31]
                                        ; implicit-def: $vgpr62_vgpr63
	s_and_saveexec_b64 s[28:29], s[4:5]
	s_cbranch_execnz .LBB355_34
.LBB355_153:
	s_or_b64 exec, exec, s[28:29]
                                        ; implicit-def: $vgpr30_vgpr31
	s_and_saveexec_b64 s[4:5], s[6:7]
	s_cbranch_execz .LBB355_35
.LBB355_154:
	v_mov_b32_e32 v33, 0
	v_lshl_add_u64 v[30:31], s[46:47], 0, v[32:33]
	flat_load_dwordx2 v[30:31], v[30:31]
	s_or_b64 exec, exec, s[4:5]
                                        ; implicit-def: $vgpr32_vgpr33
	s_and_saveexec_b64 s[4:5], s[8:9]
	s_cbranch_execnz .LBB355_36
.LBB355_155:
	s_or_b64 exec, exec, s[4:5]
                                        ; implicit-def: $vgpr34_vgpr35
	s_and_saveexec_b64 s[4:5], s[10:11]
	s_cbranch_execz .LBB355_37
.LBB355_156:
	v_mov_b32_e32 v37, 0
	v_lshl_add_u64 v[34:35], s[46:47], 0, v[36:37]
	flat_load_dwordx2 v[34:35], v[34:35]
	s_or_b64 exec, exec, s[4:5]
                                        ; implicit-def: $vgpr36_vgpr37
	s_and_saveexec_b64 s[4:5], s[12:13]
	s_cbranch_execnz .LBB355_38
.LBB355_157:
	s_or_b64 exec, exec, s[4:5]
                                        ; implicit-def: $vgpr38_vgpr39
	s_and_saveexec_b64 s[4:5], s[14:15]
	s_cbranch_execz .LBB355_39
.LBB355_158:
	v_mov_b32_e32 v41, 0
	v_lshl_add_u64 v[38:39], s[46:47], 0, v[40:41]
	flat_load_dwordx2 v[38:39], v[38:39]
	s_or_b64 exec, exec, s[4:5]
                                        ; implicit-def: $vgpr40_vgpr41
	s_and_saveexec_b64 s[4:5], s[16:17]
	s_cbranch_execnz .LBB355_40
.LBB355_159:
	s_or_b64 exec, exec, s[4:5]
                                        ; implicit-def: $vgpr42_vgpr43
	s_and_saveexec_b64 s[4:5], s[18:19]
	s_cbranch_execz .LBB355_41
.LBB355_160:
	v_mov_b32_e32 v45, 0
	v_lshl_add_u64 v[42:43], s[46:47], 0, v[44:45]
	flat_load_dwordx2 v[42:43], v[42:43]
	s_or_b64 exec, exec, s[4:5]
                                        ; implicit-def: $vgpr44_vgpr45
	s_and_saveexec_b64 s[4:5], s[20:21]
	s_cbranch_execnz .LBB355_42
.LBB355_161:
	s_or_b64 exec, exec, s[4:5]
                                        ; implicit-def: $vgpr46_vgpr47
	s_and_saveexec_b64 s[4:5], s[22:23]
	s_cbranch_execz .LBB355_43
.LBB355_162:
	v_mov_b32_e32 v49, 0
	v_lshl_add_u64 v[46:47], s[46:47], 0, v[48:49]
	flat_load_dwordx2 v[46:47], v[46:47]
	s_or_b64 exec, exec, s[4:5]
                                        ; implicit-def: $vgpr48_vgpr49
	s_and_saveexec_b64 s[4:5], s[24:25]
	s_cbranch_execz .LBB355_45
	s_branch .LBB355_44
.LBB355_163:
                                        ; implicit-def: $vgpr2_vgpr3
                                        ; implicit-def: $vgpr60_vgpr61
                                        ; implicit-def: $vgpr26_vgpr27
                                        ; implicit-def: $vgpr24_vgpr25
                                        ; implicit-def: $vgpr20_vgpr21
                                        ; implicit-def: $vgpr16_vgpr17
                                        ; implicit-def: $vgpr12_vgpr13
                                        ; implicit-def: $vgpr8_vgpr9
	s_cbranch_execz .LBB355_191
; %bb.164:
	s_cmp_lg_u64 s[58:59], 0
	s_cselect_b32 s3, s55, 0
	s_cselect_b32 s2, s54, 0
	s_cmp_eq_u64 s[2:3], 0
	v_mov_b64_e32 v[32:33], s[56:57]
	s_cbranch_scc1 .LBB355_166
; %bb.165:
	v_mov_b32_e32 v2, 0
	global_load_dwordx2 v[32:33], v2, s[2:3]
.LBB355_166:
	v_mov_b32_e32 v4, 0
	v_cmp_eq_u16_sdwa vcc, v64, v4 src0_sel:BYTE_0 src1_sel:DWORD
	v_cmp_eq_u16_sdwa s[2:3], v65, v4 src0_sel:BYTE_0 src1_sel:DWORD
	v_cmp_eq_u16_sdwa s[4:5], v66, v4 src0_sel:BYTE_0 src1_sel:DWORD
	v_cndmask_b32_e32 v3, 0, v55, vcc
	v_cndmask_b32_e32 v2, 0, v54, vcc
	v_lshl_add_u64 v[2:3], v[2:3], 0, v[30:31]
	v_cndmask_b32_e64 v3, 0, v3, s[2:3]
	v_cndmask_b32_e64 v2, 0, v2, s[2:3]
	v_lshl_add_u64 v[2:3], v[2:3], 0, v[50:51]
	v_cndmask_b32_e64 v3, 0, v3, s[4:5]
	v_cndmask_b32_e64 v2, 0, v2, s[4:5]
	v_lshl_add_u64 v[2:3], v[2:3], 0, v[46:47]
	v_cmp_eq_u16_sdwa s[6:7], v68, v4 src0_sel:BYTE_0 src1_sel:DWORD
	v_cmp_eq_u16_sdwa s[8:9], v69, v4 src0_sel:BYTE_0 src1_sel:DWORD
	;; [unrolled: 1-line block ×3, first 2 shown]
	v_cndmask_b32_e64 v3, 0, v3, s[6:7]
	v_cndmask_b32_e64 v2, 0, v2, s[6:7]
	v_lshl_add_u64 v[2:3], v[2:3], 0, v[48:49]
	v_cndmask_b32_e64 v3, 0, v3, s[8:9]
	v_cndmask_b32_e64 v2, 0, v2, s[8:9]
	v_lshl_add_u64 v[2:3], v[2:3], 0, v[42:43]
	;; [unrolled: 3-line block ×3, first 2 shown]
	v_cmp_eq_u16_sdwa s[12:13], v71, v4 src0_sel:BYTE_0 src1_sel:DWORD
	v_cmp_eq_u16_sdwa s[14:15], v72, v4 src0_sel:BYTE_0 src1_sel:DWORD
	;; [unrolled: 1-line block ×3, first 2 shown]
	v_cndmask_b32_e64 v3, 0, v3, s[12:13]
	v_cndmask_b32_e64 v2, 0, v2, s[12:13]
	v_lshl_add_u64 v[2:3], v[2:3], 0, v[38:39]
	v_cndmask_b32_e64 v3, 0, v3, s[14:15]
	v_cndmask_b32_e64 v2, 0, v2, s[14:15]
	v_cmp_eq_u16_sdwa s[18:19], v74, v4 src0_sel:BYTE_0 src1_sel:DWORD
	v_cmp_eq_u16_sdwa s[20:21], v75, v4 src0_sel:BYTE_0 src1_sel:DWORD
	v_cmp_eq_u16_sdwa s[22:23], v67, v4 src0_sel:BYTE_0 src1_sel:DWORD
	v_cmp_eq_u16_sdwa s[24:25], v59, v4 src0_sel:BYTE_0 src1_sel:DWORD
	v_or_b32_e32 v4, v63, v74
	v_lshl_add_u64 v[2:3], v[2:3], 0, v[40:41]
	v_or_b32_e32 v4, v4, v73
	v_cndmask_b32_e64 v3, 0, v3, s[16:17]
	v_cndmask_b32_e64 v2, 0, v2, s[16:17]
	v_or_b32_e32 v4, v4, v72
	v_lshl_add_u64 v[2:3], v[2:3], 0, v[52:53]
	v_or_b32_e32 v4, v4, v71
	v_cndmask_b32_e64 v3, 0, v3, s[18:19]
	v_cndmask_b32_e64 v2, 0, v2, s[18:19]
	;; [unrolled: 5-line block ×5, first 2 shown]
	v_or_b32_e32 v4, v4, v1
	v_mbcnt_hi_u32_b32 v6, -1, v62
	v_lshl_add_u64 v[2:3], v[2:3], 0, v[28:29]
	v_and_b32_e32 v7, 1, v4
	v_and_b32_e32 v5, 15, v6
	v_cmp_eq_u32_e64 s[24:25], 1, v7
	v_mov_b32_dpp v9, v2 row_shr:1 row_mask:0xf bank_mask:0xf
	v_mov_b32_dpp v10, v3 row_shr:1 row_mask:0xf bank_mask:0xf
	v_mov_b32_dpp v8, v7 row_shr:1 row_mask:0xf bank_mask:0xf
	v_cmp_ne_u32_e64 s[26:27], 0, v5
	v_mov_b32_e32 v4, v7
	s_and_saveexec_b64 s[28:29], s[26:27]
; %bb.167:
	v_and_b32_e32 v4, 1, v8
	v_cndmask_b32_e64 v11, v10, 0, s[24:25]
	v_cndmask_b32_e64 v10, v9, 0, s[24:25]
	v_or_b32_e32 v7, v4, v7
	v_lshl_add_u64 v[2:3], v[10:11], 0, v[2:3]
	v_and_b32_e32 v4, 0xffff, v7
; %bb.168:
	s_or_b64 exec, exec, s[28:29]
	v_mov_b32_dpp v9, v2 row_shr:2 row_mask:0xf bank_mask:0xf
	v_mov_b32_dpp v10, v3 row_shr:2 row_mask:0xf bank_mask:0xf
	;; [unrolled: 1-line block ×3, first 2 shown]
	v_cmp_lt_u32_e64 s[24:25], 1, v5
	s_and_saveexec_b64 s[28:29], s[24:25]
; %bb.169:
	v_cmp_eq_u16_e64 s[24:25], 0, v7
	v_and_b32_e32 v4, 1, v7
	s_nop 0
	v_cndmask_b32_e64 v11, 0, v10, s[24:25]
	v_cndmask_b32_e64 v10, 0, v9, s[24:25]
	v_cmp_eq_u32_e64 s[24:25], 1, v4
	v_and_b32_e32 v4, 1, v8
	v_cmp_eq_u32_e64 s[26:27], 1, v4
	s_or_b64 s[24:25], s[24:25], s[26:27]
	v_lshl_add_u64 v[2:3], v[10:11], 0, v[2:3]
	v_cndmask_b32_e64 v7, 0, 1, s[24:25]
	v_cndmask_b32_e64 v4, 0, 1, s[24:25]
; %bb.170:
	s_or_b64 exec, exec, s[28:29]
	v_mov_b32_dpp v9, v2 row_shr:4 row_mask:0xf bank_mask:0xf
	v_mov_b32_dpp v10, v3 row_shr:4 row_mask:0xf bank_mask:0xf
	;; [unrolled: 1-line block ×3, first 2 shown]
	v_cmp_lt_u32_e64 s[24:25], 3, v5
	s_and_saveexec_b64 s[28:29], s[24:25]
; %bb.171:
	v_cmp_eq_u16_e64 s[24:25], 0, v7
	v_and_b32_e32 v4, 1, v7
	s_nop 0
	v_cndmask_b32_e64 v11, 0, v10, s[24:25]
	v_cndmask_b32_e64 v10, 0, v9, s[24:25]
	v_cmp_eq_u32_e64 s[24:25], 1, v4
	v_and_b32_e32 v4, 1, v8
	v_cmp_eq_u32_e64 s[26:27], 1, v4
	s_or_b64 s[24:25], s[24:25], s[26:27]
	v_lshl_add_u64 v[2:3], v[10:11], 0, v[2:3]
	v_cndmask_b32_e64 v7, 0, 1, s[24:25]
	v_cndmask_b32_e64 v4, 0, 1, s[24:25]
; %bb.172:
	s_or_b64 exec, exec, s[28:29]
	v_mov_b32_dpp v9, v2 row_shr:8 row_mask:0xf bank_mask:0xf
	v_mov_b32_dpp v10, v3 row_shr:8 row_mask:0xf bank_mask:0xf
	;; [unrolled: 1-line block ×3, first 2 shown]
	v_cmp_lt_u32_e64 s[24:25], 7, v5
	s_and_saveexec_b64 s[28:29], s[24:25]
; %bb.173:
	v_cmp_eq_u16_e64 s[24:25], 0, v7
	s_nop 1
	v_cndmask_b32_e64 v5, 0, v10, s[24:25]
	v_cndmask_b32_e64 v4, 0, v9, s[24:25]
	v_lshl_add_u64 v[2:3], v[4:5], 0, v[2:3]
	v_and_b32_e32 v4, 1, v7
	v_cmp_eq_u32_e64 s[24:25], 1, v4
	v_and_b32_e32 v4, 1, v8
	v_cmp_eq_u32_e64 s[26:27], 1, v4
	s_or_b64 s[24:25], s[24:25], s[26:27]
	v_cndmask_b32_e64 v7, 0, 1, s[24:25]
	v_cndmask_b32_e64 v4, 0, 1, s[24:25]
; %bb.174:
	s_or_b64 exec, exec, s[28:29]
	v_and_b32_e32 v10, 16, v6
	v_mov_b32_dpp v8, v2 row_bcast:15 row_mask:0xf bank_mask:0xf
	v_mov_b32_dpp v9, v3 row_bcast:15 row_mask:0xf bank_mask:0xf
	;; [unrolled: 1-line block ×3, first 2 shown]
	v_cmp_ne_u32_e64 s[24:25], 0, v10
	s_and_saveexec_b64 s[28:29], s[24:25]
; %bb.175:
	v_cmp_eq_u16_e64 s[24:25], 0, v7
	v_and_b32_e32 v4, 1, v7
	s_nop 0
	v_cndmask_b32_e64 v9, 0, v9, s[24:25]
	v_cndmask_b32_e64 v8, 0, v8, s[24:25]
	v_cmp_eq_u32_e64 s[24:25], 1, v4
	v_and_b32_e32 v4, 1, v5
	v_cmp_eq_u32_e64 s[26:27], 1, v4
	s_or_b64 s[24:25], s[24:25], s[26:27]
	v_lshl_add_u64 v[2:3], v[8:9], 0, v[2:3]
	v_cndmask_b32_e64 v7, 0, 1, s[24:25]
	v_cndmask_b32_e64 v4, 0, 1, s[24:25]
; %bb.176:
	s_or_b64 exec, exec, s[28:29]
	v_mov_b32_dpp v5, v2 row_bcast:31 row_mask:0xf bank_mask:0xf
	v_mov_b32_dpp v8, v3 row_bcast:31 row_mask:0xf bank_mask:0xf
	;; [unrolled: 1-line block ×3, first 2 shown]
	v_cmp_lt_u32_e64 s[24:25], 31, v6
	s_and_saveexec_b64 s[28:29], s[24:25]
; %bb.177:
	v_cmp_eq_u16_e64 s[24:25], 0, v7
	v_and_b32_e32 v4, 1, v4
	v_cmp_eq_u32_e64 s[26:27], 1, v4
	v_cndmask_b32_e64 v9, 0, v8, s[24:25]
	v_cndmask_b32_e64 v8, 0, v5, s[24:25]
	v_and_b32_e32 v5, 1, v7
	v_cmp_eq_u32_e64 s[24:25], 1, v5
	s_or_b64 s[24:25], s[24:25], s[26:27]
	v_lshl_add_u64 v[2:3], v[8:9], 0, v[2:3]
	v_cndmask_b32_e64 v7, 0, 1, s[24:25]
; %bb.178:
	s_or_b64 exec, exec, s[28:29]
	v_or_b32_e32 v4, 63, v0
	v_lshrrev_b32_e32 v8, 6, v0
	v_cmp_eq_u32_e64 s[24:25], v4, v0
	s_and_saveexec_b64 s[26:27], s[24:25]
	s_cbranch_execz .LBB355_180
; %bb.179:
	v_lshlrev_b32_e32 v4, 4, v8
	ds_write_b64 v4, v[2:3]
	ds_write_b8 v4, v7 offset:8
.LBB355_180:
	s_or_b64 exec, exec, s[26:27]
	v_cmp_gt_u32_e64 s[24:25], 4, v0
	s_waitcnt lgkmcnt(0)
	s_barrier
	s_and_saveexec_b64 s[28:29], s[24:25]
	s_cbranch_execz .LBB355_186
; %bb.181:
	v_lshlrev_b32_e32 v9, 4, v0
	ds_read_b64 v[4:5], v9
	ds_read_b32 v10, v9 offset:8
	v_and_b32_e32 v11, 3, v6
	v_cmp_ne_u32_e64 s[24:25], 0, v11
	s_waitcnt lgkmcnt(1)
	v_mov_b32_dpp v15, v4 row_shr:1 row_mask:0xf bank_mask:0xf
	v_mov_b32_dpp v16, v5 row_shr:1 row_mask:0xf bank_mask:0xf
	s_waitcnt lgkmcnt(0)
	v_mov_b32_dpp v14, v10 row_shr:1 row_mask:0xf bank_mask:0xf
	v_mov_b32_e32 v12, v10
	v_mov_b32_e32 v13, v10
	s_and_saveexec_b64 s[26:27], s[24:25]
; %bb.182:
	v_mov_b32_e32 v12, 0
	v_cmp_eq_u16_sdwa s[24:25], v10, v12 src0_sel:BYTE_0 src1_sel:DWORD
	s_nop 1
	v_cndmask_b32_e64 v13, 0, v16, s[24:25]
	v_cndmask_b32_e64 v12, 0, v15, s[24:25]
	v_lshl_add_u64 v[4:5], v[12:13], 0, v[4:5]
	v_or_b32_e32 v13, v14, v10
	v_and_b32_e32 v12, 1, v13
	v_and_b32_e32 v13, 1, v13
	s_movk_i32 s24, 0xff00
	v_and_or_b32 v10, v10, s24, v13
; %bb.183:
	s_or_b64 exec, exec, s[26:27]
	v_mov_b32_dpp v14, v4 row_shr:2 row_mask:0xf bank_mask:0xf
	v_mov_b32_dpp v15, v5 row_shr:2 row_mask:0xf bank_mask:0xf
	;; [unrolled: 1-line block ×3, first 2 shown]
	v_cmp_lt_u32_e64 s[24:25], 1, v11
	s_and_saveexec_b64 s[30:31], s[24:25]
; %bb.184:
	v_mov_b32_e32 v11, 0
	v_cmp_eq_u16_sdwa s[24:25], v13, v11 src0_sel:BYTE_0 src1_sel:DWORD
	v_and_b32_e32 v11, 1, v13
	v_and_b32_e32 v10, 1, v10
	v_cndmask_b32_e64 v15, 0, v15, s[24:25]
	v_cndmask_b32_e64 v14, 0, v14, s[24:25]
	v_cmp_eq_u32_e64 s[24:25], 1, v11
	v_cmp_eq_u32_e64 s[26:27], 1, v10
	s_or_b64 s[24:25], s[24:25], s[26:27]
	v_lshl_add_u64 v[4:5], v[14:15], 0, v[4:5]
	v_cndmask_b32_e64 v12, 0, 1, s[24:25]
; %bb.185:
	s_or_b64 exec, exec, s[30:31]
	ds_write_b64 v9, v[4:5]
	ds_write_b8 v9, v12 offset:8
.LBB355_186:
	s_or_b64 exec, exec, s[28:29]
	v_cmp_lt_u32_e64 s[24:25], 63, v0
	s_waitcnt vmcnt(0)
	v_mov_b64_e32 v[4:5], v[32:33]
	s_waitcnt lgkmcnt(0)
	s_barrier
	s_and_saveexec_b64 s[26:27], s[24:25]
	s_cbranch_execz .LBB355_188
; %bb.187:
	v_lshl_add_u32 v4, v8, 4, -16
	ds_read_u8 v8, v4 offset:8
	ds_read_b64 v[4:5], v4
	s_waitcnt lgkmcnt(1)
	v_cmp_eq_u16_e64 s[24:25], 0, v8
	s_nop 1
	v_cndmask_b32_e64 v9, 0, v33, s[24:25]
	v_cndmask_b32_e64 v8, 0, v32, s[24:25]
	s_waitcnt lgkmcnt(0)
	v_lshl_add_u64 v[4:5], v[8:9], 0, v[4:5]
.LBB355_188:
	s_or_b64 exec, exec, s[26:27]
	v_cmp_eq_u16_e64 s[24:25], 0, v7
	v_add_u32_e32 v7, -1, v6
	v_mov_b32_e32 v28, 0
	v_cndmask_b32_e64 v9, 0, v5, s[24:25]
	v_cndmask_b32_e64 v8, 0, v4, s[24:25]
	v_lshl_add_u64 v[2:3], v[8:9], 0, v[2:3]
	v_and_b32_e32 v8, 64, v6
	v_cmp_lt_i32_e64 s[24:25], v7, v8
	v_cmp_eq_u16_sdwa s[26:27], v1, v28 src0_sel:BYTE_0 src1_sel:DWORD
	s_nop 0
	v_cndmask_b32_e64 v7, v7, v6, s[24:25]
	v_lshlrev_b32_e32 v7, 2, v7
	ds_bpermute_b32 v3, v7, v3
	ds_bpermute_b32 v2, v7, v2
	v_cmp_eq_u32_e64 s[24:25], 0, v6
	s_waitcnt lgkmcnt(1)
	s_nop 0
	v_cndmask_b32_e64 v3, v3, v5, s[24:25]
	s_waitcnt lgkmcnt(0)
	v_cndmask_b32_e64 v2, v2, v4, s[24:25]
	v_cmp_eq_u32_e64 s[24:25], 0, v0
	s_nop 1
	v_cndmask_b32_e64 v4, v2, v32, s[24:25]
	v_cndmask_b32_e64 v5, v3, v33, s[24:25]
	;; [unrolled: 1-line block ×4, first 2 shown]
	v_lshl_add_u64 v[4:5], v[4:5], 0, v[54:55]
	v_cndmask_b32_e32 v7, 0, v5, vcc
	v_cndmask_b32_e32 v6, 0, v4, vcc
	v_lshl_add_u64 v[6:7], v[6:7], 0, v[30:31]
	v_cndmask_b32_e64 v9, 0, v7, s[2:3]
	v_cndmask_b32_e64 v8, 0, v6, s[2:3]
	v_lshl_add_u64 v[8:9], v[8:9], 0, v[50:51]
	v_cndmask_b32_e64 v11, 0, v9, s[4:5]
	v_cndmask_b32_e64 v10, 0, v8, s[4:5]
	;; [unrolled: 3-line block ×11, first 2 shown]
	s_and_saveexec_b64 s[2:3], s[24:25]
	s_cbranch_execz .LBB355_190
; %bb.189:
	ds_read_u8 v1, v28 offset:56
	ds_read_b64 v[2:3], v28 offset:48
	s_waitcnt lgkmcnt(1)
	v_cmp_eq_u32_e32 vcc, 0, v1
	s_nop 1
	v_cndmask_b32_e32 v31, 0, v33, vcc
	v_cndmask_b32_e32 v30, 0, v32, vcc
	s_waitcnt lgkmcnt(0)
	v_lshl_add_u64 v[2:3], v[30:31], 0, v[2:3]
	global_store_dword v28, v2, s[38:39] offset:1024 sc1
	global_store_dword v28, v3, s[38:39] offset:1028 sc1
	;; [unrolled: 1-line block ×4, first 2 shown]
	v_mov_b32_e32 v1, 2
	v_mov_b64_e32 v[2:3], v[32:33]
	s_waitcnt vmcnt(0)
	global_store_byte v28, v1, s[40:41] offset:64 sc1
.LBB355_190:
	s_or_b64 exec, exec, s[2:3]
.LBB355_191:
	s_add_u32 s2, s50, s34
	s_addc_u32 s3, s51, s35
	s_add_u32 s2, s2, s44
	v_mul_u32_u24_e32 v1, 14, v0
	v_lshl_add_u64 v[28:29], v[60:61], 0, v[34:35]
	s_addc_u32 s3, s3, s45
	s_and_b64 vcc, exec, s[0:1]
	v_lshlrev_b32_e32 v60, 3, v1
	s_cbranch_vccz .LBB355_219
; %bb.192:
	s_movk_i32 s0, 0xff98
	v_mad_i32_i24 v1, v0, s0, v60
	s_barrier
	ds_write_b128 v60, v[2:5]
	ds_write_b128 v60, v[6:9] offset:16
	ds_write_b128 v60, v[10:13] offset:32
	;; [unrolled: 1-line block ×6, first 2 shown]
	s_waitcnt lgkmcnt(0)
	s_barrier
	ds_read2st64_b64 v[52:55], v1 offset0:4 offset1:8
	ds_read2st64_b64 v[48:51], v1 offset0:12 offset1:16
	;; [unrolled: 1-line block ×6, first 2 shown]
	ds_read_b64 v[30:31], v1 offset:26624
	s_add_i32 s33, s33, s42
	v_mov_b32_e32 v59, 0
	v_lshl_add_u64 v[56:57], s[2:3], 0, v[58:59]
	v_cmp_gt_u32_e32 vcc, s33, v0
	s_and_saveexec_b64 s[0:1], vcc
	s_cbranch_execz .LBB355_194
; %bb.193:
	v_mul_i32_i24_e32 v1, 0xffffff98, v0
	v_add_u32_e32 v1, v60, v1
	ds_read_b64 v[62:63], v1
	s_waitcnt lgkmcnt(0)
	flat_store_dwordx2 v[56:57], v[62:63]
.LBB355_194:
	s_or_b64 exec, exec, s[0:1]
	v_or_b32_e32 v1, 0x100, v0
	v_cmp_gt_u32_e32 vcc, s33, v1
	s_and_saveexec_b64 s[0:1], vcc
	s_cbranch_execz .LBB355_196
; %bb.195:
	s_waitcnt lgkmcnt(0)
	flat_store_dwordx2 v[56:57], v[52:53] offset:2048
.LBB355_196:
	s_or_b64 exec, exec, s[0:1]
	v_or_b32_e32 v1, 0x200, v0
	v_cmp_gt_u32_e32 vcc, s33, v1
	s_and_saveexec_b64 s[0:1], vcc
	s_cbranch_execz .LBB355_198
; %bb.197:
	s_waitcnt lgkmcnt(0)
	v_add_co_u32_e32 v52, vcc, 0x1000, v56
	s_nop 1
	v_addc_co_u32_e32 v53, vcc, 0, v57, vcc
	flat_store_dwordx2 v[52:53], v[54:55]
.LBB355_198:
	s_or_b64 exec, exec, s[0:1]
	v_or_b32_e32 v1, 0x300, v0
	v_cmp_gt_u32_e32 vcc, s33, v1
	s_and_saveexec_b64 s[0:1], vcc
	s_cbranch_execz .LBB355_200
; %bb.199:
	s_waitcnt lgkmcnt(0)
	v_add_co_u32_e32 v52, vcc, 0x1000, v56
	s_nop 1
	v_addc_co_u32_e32 v53, vcc, 0, v57, vcc
	flat_store_dwordx2 v[52:53], v[48:49] offset:2048
.LBB355_200:
	s_or_b64 exec, exec, s[0:1]
	v_or_b32_e32 v1, 0x400, v0
	v_cmp_gt_u32_e32 vcc, s33, v1
	s_and_saveexec_b64 s[0:1], vcc
	s_cbranch_execz .LBB355_202
; %bb.201:
	s_waitcnt lgkmcnt(0)
	v_add_co_u32_e32 v48, vcc, 0x2000, v56
	s_nop 1
	v_addc_co_u32_e32 v49, vcc, 0, v57, vcc
	flat_store_dwordx2 v[48:49], v[50:51]
.LBB355_202:
	s_or_b64 exec, exec, s[0:1]
	v_or_b32_e32 v1, 0x500, v0
	v_cmp_gt_u32_e32 vcc, s33, v1
	s_and_saveexec_b64 s[0:1], vcc
	s_cbranch_execz .LBB355_204
; %bb.203:
	s_waitcnt lgkmcnt(0)
	v_add_co_u32_e32 v48, vcc, 0x2000, v56
	s_nop 1
	v_addc_co_u32_e32 v49, vcc, 0, v57, vcc
	flat_store_dwordx2 v[48:49], v[44:45] offset:2048
.LBB355_204:
	;; [unrolled: 24-line block ×5, first 2 shown]
	s_or_b64 exec, exec, s[0:1]
	v_or_b32_e32 v1, 0xc00, v0
	v_cmp_gt_u32_e32 vcc, s33, v1
	s_and_saveexec_b64 s[0:1], vcc
	s_cbranch_execz .LBB355_218
; %bb.217:
	s_waitcnt lgkmcnt(0)
	v_add_co_u32_e32 v32, vcc, 0x6000, v56
	s_nop 1
	v_addc_co_u32_e32 v33, vcc, 0, v57, vcc
	flat_store_dwordx2 v[32:33], v[34:35]
.LBB355_218:
	s_or_b64 exec, exec, s[0:1]
	s_waitcnt lgkmcnt(0)
	v_or_b32_e32 v32, 0xd00, v0
	v_mov_b32_e32 v1, v59
	v_cmp_gt_u32_e64 s[0:1], s33, v32
	s_branch .LBB355_221
.LBB355_219:
	s_mov_b64 s[0:1], 0
                                        ; implicit-def: $vgpr30_vgpr31
	s_cbranch_execz .LBB355_221
; %bb.220:
	v_mov_b32_e32 v1, 0
	s_movk_i32 s4, 0xff98
	s_barrier
	ds_write_b128 v60, v[2:5]
	ds_write_b128 v60, v[6:9] offset:16
	ds_write_b128 v60, v[10:13] offset:32
	ds_write_b128 v60, v[14:17] offset:48
	ds_write_b128 v60, v[18:21] offset:64
	ds_write_b128 v60, v[22:25] offset:80
	ds_write_b128 v60, v[26:29] offset:96
	v_mad_i32_i24 v26, v0, s4, v60
	v_mov_b32_e32 v59, v1
	s_waitcnt lgkmcnt(0)
	s_barrier
	ds_read2st64_b64 v[2:5], v26 offset1:4
	ds_read2st64_b64 v[6:9], v26 offset0:8 offset1:12
	ds_read2st64_b64 v[10:13], v26 offset0:16 offset1:20
	;; [unrolled: 1-line block ×6, first 2 shown]
	v_lshl_add_u64 v[26:27], s[2:3], 0, v[58:59]
	s_movk_i32 s4, 0x1000
	s_waitcnt lgkmcnt(0)
	flat_store_dwordx2 v[26:27], v[2:3]
	flat_store_dwordx2 v[26:27], v[4:5] offset:2048
	v_add_co_u32_e32 v2, vcc, s4, v26
	s_movk_i32 s4, 0x2000
	s_nop 0
	v_addc_co_u32_e32 v3, vcc, 0, v27, vcc
	flat_store_dwordx2 v[2:3], v[6:7]
	flat_store_dwordx2 v[2:3], v[8:9] offset:2048
	v_add_co_u32_e32 v2, vcc, s4, v26
	s_movk_i32 s4, 0x3000
	s_nop 0
	v_addc_co_u32_e32 v3, vcc, 0, v27, vcc
	;; [unrolled: 6-line block ×3, first 2 shown]
	flat_store_dwordx2 v[2:3], v[14:15]
	flat_store_dwordx2 v[2:3], v[16:17] offset:2048
	v_add_co_u32_e32 v2, vcc, s4, v26
	s_or_b64 s[0:1], s[0:1], exec
	s_nop 0
	v_addc_co_u32_e32 v3, vcc, 0, v27, vcc
	flat_store_dwordx2 v[2:3], v[18:19]
	flat_store_dwordx2 v[2:3], v[20:21] offset:2048
	v_add_co_u32_e32 v2, vcc, 0x5000, v26
	s_nop 1
	v_addc_co_u32_e32 v3, vcc, 0, v27, vcc
	flat_store_dwordx2 v[2:3], v[22:23]
	flat_store_dwordx2 v[2:3], v[24:25] offset:2048
	v_add_co_u32_e32 v2, vcc, 0x6000, v26
	s_nop 1
	v_addc_co_u32_e32 v3, vcc, 0, v27, vcc
	flat_store_dwordx2 v[2:3], v[28:29]
.LBB355_221:
	s_and_saveexec_b64 s[4:5], s[0:1]
	s_cbranch_execz .LBB355_223
; %bb.222:
	v_lshl_add_u64 v[0:1], v[0:1], 3, s[2:3]
	v_add_co_u32_e32 v0, vcc, 0x6000, v0
	s_nop 1
	v_addc_co_u32_e32 v1, vcc, 0, v1, vcc
	flat_store_dwordx2 v[0:1], v[30:31] offset:2048
	s_endpgm
.LBB355_223:
	s_endpgm
	.section	.rodata,"a",@progbits
	.p2align	6, 0x0
	.amdhsa_kernel _ZN7rocprim17ROCPRIM_400000_NS6detail17trampoline_kernelINS0_14default_configENS1_27scan_by_key_config_selectorIxxEEZZNS1_16scan_by_key_implILNS1_25lookback_scan_determinismE0ELb1ES3_N6thrust23THRUST_200600_302600_NS6detail15normal_iteratorINS9_10device_ptrIxEEEESE_SE_xNS9_4plusIvEENS9_8equal_toIvEExEE10hipError_tPvRmT2_T3_T4_T5_mT6_T7_P12ihipStream_tbENKUlT_T0_E_clISt17integral_constantIbLb0EESZ_EEDaSU_SV_EUlSU_E_NS1_11comp_targetILNS1_3genE5ELNS1_11target_archE942ELNS1_3gpuE9ELNS1_3repE0EEENS1_30default_config_static_selectorELNS0_4arch9wavefront6targetE1EEEvT1_
		.amdhsa_group_segment_fixed_size 32768
		.amdhsa_private_segment_fixed_size 0
		.amdhsa_kernarg_size 136
		.amdhsa_user_sgpr_count 2
		.amdhsa_user_sgpr_dispatch_ptr 0
		.amdhsa_user_sgpr_queue_ptr 0
		.amdhsa_user_sgpr_kernarg_segment_ptr 1
		.amdhsa_user_sgpr_dispatch_id 0
		.amdhsa_user_sgpr_kernarg_preload_length 0
		.amdhsa_user_sgpr_kernarg_preload_offset 0
		.amdhsa_user_sgpr_private_segment_size 0
		.amdhsa_uses_dynamic_stack 0
		.amdhsa_enable_private_segment 0
		.amdhsa_system_sgpr_workgroup_id_x 1
		.amdhsa_system_sgpr_workgroup_id_y 0
		.amdhsa_system_sgpr_workgroup_id_z 0
		.amdhsa_system_sgpr_workgroup_info 0
		.amdhsa_system_vgpr_workitem_id 0
		.amdhsa_next_free_vgpr 85
		.amdhsa_next_free_sgpr 64
		.amdhsa_accum_offset 88
		.amdhsa_reserve_vcc 1
		.amdhsa_float_round_mode_32 0
		.amdhsa_float_round_mode_16_64 0
		.amdhsa_float_denorm_mode_32 3
		.amdhsa_float_denorm_mode_16_64 3
		.amdhsa_dx10_clamp 1
		.amdhsa_ieee_mode 1
		.amdhsa_fp16_overflow 0
		.amdhsa_tg_split 0
		.amdhsa_exception_fp_ieee_invalid_op 0
		.amdhsa_exception_fp_denorm_src 0
		.amdhsa_exception_fp_ieee_div_zero 0
		.amdhsa_exception_fp_ieee_overflow 0
		.amdhsa_exception_fp_ieee_underflow 0
		.amdhsa_exception_fp_ieee_inexact 0
		.amdhsa_exception_int_div_zero 0
	.end_amdhsa_kernel
	.section	.text._ZN7rocprim17ROCPRIM_400000_NS6detail17trampoline_kernelINS0_14default_configENS1_27scan_by_key_config_selectorIxxEEZZNS1_16scan_by_key_implILNS1_25lookback_scan_determinismE0ELb1ES3_N6thrust23THRUST_200600_302600_NS6detail15normal_iteratorINS9_10device_ptrIxEEEESE_SE_xNS9_4plusIvEENS9_8equal_toIvEExEE10hipError_tPvRmT2_T3_T4_T5_mT6_T7_P12ihipStream_tbENKUlT_T0_E_clISt17integral_constantIbLb0EESZ_EEDaSU_SV_EUlSU_E_NS1_11comp_targetILNS1_3genE5ELNS1_11target_archE942ELNS1_3gpuE9ELNS1_3repE0EEENS1_30default_config_static_selectorELNS0_4arch9wavefront6targetE1EEEvT1_,"axG",@progbits,_ZN7rocprim17ROCPRIM_400000_NS6detail17trampoline_kernelINS0_14default_configENS1_27scan_by_key_config_selectorIxxEEZZNS1_16scan_by_key_implILNS1_25lookback_scan_determinismE0ELb1ES3_N6thrust23THRUST_200600_302600_NS6detail15normal_iteratorINS9_10device_ptrIxEEEESE_SE_xNS9_4plusIvEENS9_8equal_toIvEExEE10hipError_tPvRmT2_T3_T4_T5_mT6_T7_P12ihipStream_tbENKUlT_T0_E_clISt17integral_constantIbLb0EESZ_EEDaSU_SV_EUlSU_E_NS1_11comp_targetILNS1_3genE5ELNS1_11target_archE942ELNS1_3gpuE9ELNS1_3repE0EEENS1_30default_config_static_selectorELNS0_4arch9wavefront6targetE1EEEvT1_,comdat
.Lfunc_end355:
	.size	_ZN7rocprim17ROCPRIM_400000_NS6detail17trampoline_kernelINS0_14default_configENS1_27scan_by_key_config_selectorIxxEEZZNS1_16scan_by_key_implILNS1_25lookback_scan_determinismE0ELb1ES3_N6thrust23THRUST_200600_302600_NS6detail15normal_iteratorINS9_10device_ptrIxEEEESE_SE_xNS9_4plusIvEENS9_8equal_toIvEExEE10hipError_tPvRmT2_T3_T4_T5_mT6_T7_P12ihipStream_tbENKUlT_T0_E_clISt17integral_constantIbLb0EESZ_EEDaSU_SV_EUlSU_E_NS1_11comp_targetILNS1_3genE5ELNS1_11target_archE942ELNS1_3gpuE9ELNS1_3repE0EEENS1_30default_config_static_selectorELNS0_4arch9wavefront6targetE1EEEvT1_, .Lfunc_end355-_ZN7rocprim17ROCPRIM_400000_NS6detail17trampoline_kernelINS0_14default_configENS1_27scan_by_key_config_selectorIxxEEZZNS1_16scan_by_key_implILNS1_25lookback_scan_determinismE0ELb1ES3_N6thrust23THRUST_200600_302600_NS6detail15normal_iteratorINS9_10device_ptrIxEEEESE_SE_xNS9_4plusIvEENS9_8equal_toIvEExEE10hipError_tPvRmT2_T3_T4_T5_mT6_T7_P12ihipStream_tbENKUlT_T0_E_clISt17integral_constantIbLb0EESZ_EEDaSU_SV_EUlSU_E_NS1_11comp_targetILNS1_3genE5ELNS1_11target_archE942ELNS1_3gpuE9ELNS1_3repE0EEENS1_30default_config_static_selectorELNS0_4arch9wavefront6targetE1EEEvT1_
                                        ; -- End function
	.section	.AMDGPU.csdata,"",@progbits
; Kernel info:
; codeLenInByte = 12724
; NumSgprs: 70
; NumVgprs: 85
; NumAgprs: 0
; TotalNumVgprs: 85
; ScratchSize: 0
; MemoryBound: 0
; FloatMode: 240
; IeeeMode: 1
; LDSByteSize: 32768 bytes/workgroup (compile time only)
; SGPRBlocks: 8
; VGPRBlocks: 10
; NumSGPRsForWavesPerEU: 70
; NumVGPRsForWavesPerEU: 85
; AccumOffset: 88
; Occupancy: 2
; WaveLimiterHint : 1
; COMPUTE_PGM_RSRC2:SCRATCH_EN: 0
; COMPUTE_PGM_RSRC2:USER_SGPR: 2
; COMPUTE_PGM_RSRC2:TRAP_HANDLER: 0
; COMPUTE_PGM_RSRC2:TGID_X_EN: 1
; COMPUTE_PGM_RSRC2:TGID_Y_EN: 0
; COMPUTE_PGM_RSRC2:TGID_Z_EN: 0
; COMPUTE_PGM_RSRC2:TIDIG_COMP_CNT: 0
; COMPUTE_PGM_RSRC3_GFX90A:ACCUM_OFFSET: 21
; COMPUTE_PGM_RSRC3_GFX90A:TG_SPLIT: 0
	.section	.text._ZN7rocprim17ROCPRIM_400000_NS6detail17trampoline_kernelINS0_14default_configENS1_27scan_by_key_config_selectorIxxEEZZNS1_16scan_by_key_implILNS1_25lookback_scan_determinismE0ELb1ES3_N6thrust23THRUST_200600_302600_NS6detail15normal_iteratorINS9_10device_ptrIxEEEESE_SE_xNS9_4plusIvEENS9_8equal_toIvEExEE10hipError_tPvRmT2_T3_T4_T5_mT6_T7_P12ihipStream_tbENKUlT_T0_E_clISt17integral_constantIbLb0EESZ_EEDaSU_SV_EUlSU_E_NS1_11comp_targetILNS1_3genE4ELNS1_11target_archE910ELNS1_3gpuE8ELNS1_3repE0EEENS1_30default_config_static_selectorELNS0_4arch9wavefront6targetE1EEEvT1_,"axG",@progbits,_ZN7rocprim17ROCPRIM_400000_NS6detail17trampoline_kernelINS0_14default_configENS1_27scan_by_key_config_selectorIxxEEZZNS1_16scan_by_key_implILNS1_25lookback_scan_determinismE0ELb1ES3_N6thrust23THRUST_200600_302600_NS6detail15normal_iteratorINS9_10device_ptrIxEEEESE_SE_xNS9_4plusIvEENS9_8equal_toIvEExEE10hipError_tPvRmT2_T3_T4_T5_mT6_T7_P12ihipStream_tbENKUlT_T0_E_clISt17integral_constantIbLb0EESZ_EEDaSU_SV_EUlSU_E_NS1_11comp_targetILNS1_3genE4ELNS1_11target_archE910ELNS1_3gpuE8ELNS1_3repE0EEENS1_30default_config_static_selectorELNS0_4arch9wavefront6targetE1EEEvT1_,comdat
	.protected	_ZN7rocprim17ROCPRIM_400000_NS6detail17trampoline_kernelINS0_14default_configENS1_27scan_by_key_config_selectorIxxEEZZNS1_16scan_by_key_implILNS1_25lookback_scan_determinismE0ELb1ES3_N6thrust23THRUST_200600_302600_NS6detail15normal_iteratorINS9_10device_ptrIxEEEESE_SE_xNS9_4plusIvEENS9_8equal_toIvEExEE10hipError_tPvRmT2_T3_T4_T5_mT6_T7_P12ihipStream_tbENKUlT_T0_E_clISt17integral_constantIbLb0EESZ_EEDaSU_SV_EUlSU_E_NS1_11comp_targetILNS1_3genE4ELNS1_11target_archE910ELNS1_3gpuE8ELNS1_3repE0EEENS1_30default_config_static_selectorELNS0_4arch9wavefront6targetE1EEEvT1_ ; -- Begin function _ZN7rocprim17ROCPRIM_400000_NS6detail17trampoline_kernelINS0_14default_configENS1_27scan_by_key_config_selectorIxxEEZZNS1_16scan_by_key_implILNS1_25lookback_scan_determinismE0ELb1ES3_N6thrust23THRUST_200600_302600_NS6detail15normal_iteratorINS9_10device_ptrIxEEEESE_SE_xNS9_4plusIvEENS9_8equal_toIvEExEE10hipError_tPvRmT2_T3_T4_T5_mT6_T7_P12ihipStream_tbENKUlT_T0_E_clISt17integral_constantIbLb0EESZ_EEDaSU_SV_EUlSU_E_NS1_11comp_targetILNS1_3genE4ELNS1_11target_archE910ELNS1_3gpuE8ELNS1_3repE0EEENS1_30default_config_static_selectorELNS0_4arch9wavefront6targetE1EEEvT1_
	.globl	_ZN7rocprim17ROCPRIM_400000_NS6detail17trampoline_kernelINS0_14default_configENS1_27scan_by_key_config_selectorIxxEEZZNS1_16scan_by_key_implILNS1_25lookback_scan_determinismE0ELb1ES3_N6thrust23THRUST_200600_302600_NS6detail15normal_iteratorINS9_10device_ptrIxEEEESE_SE_xNS9_4plusIvEENS9_8equal_toIvEExEE10hipError_tPvRmT2_T3_T4_T5_mT6_T7_P12ihipStream_tbENKUlT_T0_E_clISt17integral_constantIbLb0EESZ_EEDaSU_SV_EUlSU_E_NS1_11comp_targetILNS1_3genE4ELNS1_11target_archE910ELNS1_3gpuE8ELNS1_3repE0EEENS1_30default_config_static_selectorELNS0_4arch9wavefront6targetE1EEEvT1_
	.p2align	8
	.type	_ZN7rocprim17ROCPRIM_400000_NS6detail17trampoline_kernelINS0_14default_configENS1_27scan_by_key_config_selectorIxxEEZZNS1_16scan_by_key_implILNS1_25lookback_scan_determinismE0ELb1ES3_N6thrust23THRUST_200600_302600_NS6detail15normal_iteratorINS9_10device_ptrIxEEEESE_SE_xNS9_4plusIvEENS9_8equal_toIvEExEE10hipError_tPvRmT2_T3_T4_T5_mT6_T7_P12ihipStream_tbENKUlT_T0_E_clISt17integral_constantIbLb0EESZ_EEDaSU_SV_EUlSU_E_NS1_11comp_targetILNS1_3genE4ELNS1_11target_archE910ELNS1_3gpuE8ELNS1_3repE0EEENS1_30default_config_static_selectorELNS0_4arch9wavefront6targetE1EEEvT1_,@function
_ZN7rocprim17ROCPRIM_400000_NS6detail17trampoline_kernelINS0_14default_configENS1_27scan_by_key_config_selectorIxxEEZZNS1_16scan_by_key_implILNS1_25lookback_scan_determinismE0ELb1ES3_N6thrust23THRUST_200600_302600_NS6detail15normal_iteratorINS9_10device_ptrIxEEEESE_SE_xNS9_4plusIvEENS9_8equal_toIvEExEE10hipError_tPvRmT2_T3_T4_T5_mT6_T7_P12ihipStream_tbENKUlT_T0_E_clISt17integral_constantIbLb0EESZ_EEDaSU_SV_EUlSU_E_NS1_11comp_targetILNS1_3genE4ELNS1_11target_archE910ELNS1_3gpuE8ELNS1_3repE0EEENS1_30default_config_static_selectorELNS0_4arch9wavefront6targetE1EEEvT1_: ; @_ZN7rocprim17ROCPRIM_400000_NS6detail17trampoline_kernelINS0_14default_configENS1_27scan_by_key_config_selectorIxxEEZZNS1_16scan_by_key_implILNS1_25lookback_scan_determinismE0ELb1ES3_N6thrust23THRUST_200600_302600_NS6detail15normal_iteratorINS9_10device_ptrIxEEEESE_SE_xNS9_4plusIvEENS9_8equal_toIvEExEE10hipError_tPvRmT2_T3_T4_T5_mT6_T7_P12ihipStream_tbENKUlT_T0_E_clISt17integral_constantIbLb0EESZ_EEDaSU_SV_EUlSU_E_NS1_11comp_targetILNS1_3genE4ELNS1_11target_archE910ELNS1_3gpuE8ELNS1_3repE0EEENS1_30default_config_static_selectorELNS0_4arch9wavefront6targetE1EEEvT1_
; %bb.0:
	.section	.rodata,"a",@progbits
	.p2align	6, 0x0
	.amdhsa_kernel _ZN7rocprim17ROCPRIM_400000_NS6detail17trampoline_kernelINS0_14default_configENS1_27scan_by_key_config_selectorIxxEEZZNS1_16scan_by_key_implILNS1_25lookback_scan_determinismE0ELb1ES3_N6thrust23THRUST_200600_302600_NS6detail15normal_iteratorINS9_10device_ptrIxEEEESE_SE_xNS9_4plusIvEENS9_8equal_toIvEExEE10hipError_tPvRmT2_T3_T4_T5_mT6_T7_P12ihipStream_tbENKUlT_T0_E_clISt17integral_constantIbLb0EESZ_EEDaSU_SV_EUlSU_E_NS1_11comp_targetILNS1_3genE4ELNS1_11target_archE910ELNS1_3gpuE8ELNS1_3repE0EEENS1_30default_config_static_selectorELNS0_4arch9wavefront6targetE1EEEvT1_
		.amdhsa_group_segment_fixed_size 0
		.amdhsa_private_segment_fixed_size 0
		.amdhsa_kernarg_size 136
		.amdhsa_user_sgpr_count 2
		.amdhsa_user_sgpr_dispatch_ptr 0
		.amdhsa_user_sgpr_queue_ptr 0
		.amdhsa_user_sgpr_kernarg_segment_ptr 1
		.amdhsa_user_sgpr_dispatch_id 0
		.amdhsa_user_sgpr_kernarg_preload_length 0
		.amdhsa_user_sgpr_kernarg_preload_offset 0
		.amdhsa_user_sgpr_private_segment_size 0
		.amdhsa_uses_dynamic_stack 0
		.amdhsa_enable_private_segment 0
		.amdhsa_system_sgpr_workgroup_id_x 1
		.amdhsa_system_sgpr_workgroup_id_y 0
		.amdhsa_system_sgpr_workgroup_id_z 0
		.amdhsa_system_sgpr_workgroup_info 0
		.amdhsa_system_vgpr_workitem_id 0
		.amdhsa_next_free_vgpr 1
		.amdhsa_next_free_sgpr 0
		.amdhsa_accum_offset 4
		.amdhsa_reserve_vcc 0
		.amdhsa_float_round_mode_32 0
		.amdhsa_float_round_mode_16_64 0
		.amdhsa_float_denorm_mode_32 3
		.amdhsa_float_denorm_mode_16_64 3
		.amdhsa_dx10_clamp 1
		.amdhsa_ieee_mode 1
		.amdhsa_fp16_overflow 0
		.amdhsa_tg_split 0
		.amdhsa_exception_fp_ieee_invalid_op 0
		.amdhsa_exception_fp_denorm_src 0
		.amdhsa_exception_fp_ieee_div_zero 0
		.amdhsa_exception_fp_ieee_overflow 0
		.amdhsa_exception_fp_ieee_underflow 0
		.amdhsa_exception_fp_ieee_inexact 0
		.amdhsa_exception_int_div_zero 0
	.end_amdhsa_kernel
	.section	.text._ZN7rocprim17ROCPRIM_400000_NS6detail17trampoline_kernelINS0_14default_configENS1_27scan_by_key_config_selectorIxxEEZZNS1_16scan_by_key_implILNS1_25lookback_scan_determinismE0ELb1ES3_N6thrust23THRUST_200600_302600_NS6detail15normal_iteratorINS9_10device_ptrIxEEEESE_SE_xNS9_4plusIvEENS9_8equal_toIvEExEE10hipError_tPvRmT2_T3_T4_T5_mT6_T7_P12ihipStream_tbENKUlT_T0_E_clISt17integral_constantIbLb0EESZ_EEDaSU_SV_EUlSU_E_NS1_11comp_targetILNS1_3genE4ELNS1_11target_archE910ELNS1_3gpuE8ELNS1_3repE0EEENS1_30default_config_static_selectorELNS0_4arch9wavefront6targetE1EEEvT1_,"axG",@progbits,_ZN7rocprim17ROCPRIM_400000_NS6detail17trampoline_kernelINS0_14default_configENS1_27scan_by_key_config_selectorIxxEEZZNS1_16scan_by_key_implILNS1_25lookback_scan_determinismE0ELb1ES3_N6thrust23THRUST_200600_302600_NS6detail15normal_iteratorINS9_10device_ptrIxEEEESE_SE_xNS9_4plusIvEENS9_8equal_toIvEExEE10hipError_tPvRmT2_T3_T4_T5_mT6_T7_P12ihipStream_tbENKUlT_T0_E_clISt17integral_constantIbLb0EESZ_EEDaSU_SV_EUlSU_E_NS1_11comp_targetILNS1_3genE4ELNS1_11target_archE910ELNS1_3gpuE8ELNS1_3repE0EEENS1_30default_config_static_selectorELNS0_4arch9wavefront6targetE1EEEvT1_,comdat
.Lfunc_end356:
	.size	_ZN7rocprim17ROCPRIM_400000_NS6detail17trampoline_kernelINS0_14default_configENS1_27scan_by_key_config_selectorIxxEEZZNS1_16scan_by_key_implILNS1_25lookback_scan_determinismE0ELb1ES3_N6thrust23THRUST_200600_302600_NS6detail15normal_iteratorINS9_10device_ptrIxEEEESE_SE_xNS9_4plusIvEENS9_8equal_toIvEExEE10hipError_tPvRmT2_T3_T4_T5_mT6_T7_P12ihipStream_tbENKUlT_T0_E_clISt17integral_constantIbLb0EESZ_EEDaSU_SV_EUlSU_E_NS1_11comp_targetILNS1_3genE4ELNS1_11target_archE910ELNS1_3gpuE8ELNS1_3repE0EEENS1_30default_config_static_selectorELNS0_4arch9wavefront6targetE1EEEvT1_, .Lfunc_end356-_ZN7rocprim17ROCPRIM_400000_NS6detail17trampoline_kernelINS0_14default_configENS1_27scan_by_key_config_selectorIxxEEZZNS1_16scan_by_key_implILNS1_25lookback_scan_determinismE0ELb1ES3_N6thrust23THRUST_200600_302600_NS6detail15normal_iteratorINS9_10device_ptrIxEEEESE_SE_xNS9_4plusIvEENS9_8equal_toIvEExEE10hipError_tPvRmT2_T3_T4_T5_mT6_T7_P12ihipStream_tbENKUlT_T0_E_clISt17integral_constantIbLb0EESZ_EEDaSU_SV_EUlSU_E_NS1_11comp_targetILNS1_3genE4ELNS1_11target_archE910ELNS1_3gpuE8ELNS1_3repE0EEENS1_30default_config_static_selectorELNS0_4arch9wavefront6targetE1EEEvT1_
                                        ; -- End function
	.section	.AMDGPU.csdata,"",@progbits
; Kernel info:
; codeLenInByte = 0
; NumSgprs: 6
; NumVgprs: 0
; NumAgprs: 0
; TotalNumVgprs: 0
; ScratchSize: 0
; MemoryBound: 0
; FloatMode: 240
; IeeeMode: 1
; LDSByteSize: 0 bytes/workgroup (compile time only)
; SGPRBlocks: 0
; VGPRBlocks: 0
; NumSGPRsForWavesPerEU: 6
; NumVGPRsForWavesPerEU: 1
; AccumOffset: 4
; Occupancy: 8
; WaveLimiterHint : 0
; COMPUTE_PGM_RSRC2:SCRATCH_EN: 0
; COMPUTE_PGM_RSRC2:USER_SGPR: 2
; COMPUTE_PGM_RSRC2:TRAP_HANDLER: 0
; COMPUTE_PGM_RSRC2:TGID_X_EN: 1
; COMPUTE_PGM_RSRC2:TGID_Y_EN: 0
; COMPUTE_PGM_RSRC2:TGID_Z_EN: 0
; COMPUTE_PGM_RSRC2:TIDIG_COMP_CNT: 0
; COMPUTE_PGM_RSRC3_GFX90A:ACCUM_OFFSET: 0
; COMPUTE_PGM_RSRC3_GFX90A:TG_SPLIT: 0
	.section	.text._ZN7rocprim17ROCPRIM_400000_NS6detail17trampoline_kernelINS0_14default_configENS1_27scan_by_key_config_selectorIxxEEZZNS1_16scan_by_key_implILNS1_25lookback_scan_determinismE0ELb1ES3_N6thrust23THRUST_200600_302600_NS6detail15normal_iteratorINS9_10device_ptrIxEEEESE_SE_xNS9_4plusIvEENS9_8equal_toIvEExEE10hipError_tPvRmT2_T3_T4_T5_mT6_T7_P12ihipStream_tbENKUlT_T0_E_clISt17integral_constantIbLb0EESZ_EEDaSU_SV_EUlSU_E_NS1_11comp_targetILNS1_3genE3ELNS1_11target_archE908ELNS1_3gpuE7ELNS1_3repE0EEENS1_30default_config_static_selectorELNS0_4arch9wavefront6targetE1EEEvT1_,"axG",@progbits,_ZN7rocprim17ROCPRIM_400000_NS6detail17trampoline_kernelINS0_14default_configENS1_27scan_by_key_config_selectorIxxEEZZNS1_16scan_by_key_implILNS1_25lookback_scan_determinismE0ELb1ES3_N6thrust23THRUST_200600_302600_NS6detail15normal_iteratorINS9_10device_ptrIxEEEESE_SE_xNS9_4plusIvEENS9_8equal_toIvEExEE10hipError_tPvRmT2_T3_T4_T5_mT6_T7_P12ihipStream_tbENKUlT_T0_E_clISt17integral_constantIbLb0EESZ_EEDaSU_SV_EUlSU_E_NS1_11comp_targetILNS1_3genE3ELNS1_11target_archE908ELNS1_3gpuE7ELNS1_3repE0EEENS1_30default_config_static_selectorELNS0_4arch9wavefront6targetE1EEEvT1_,comdat
	.protected	_ZN7rocprim17ROCPRIM_400000_NS6detail17trampoline_kernelINS0_14default_configENS1_27scan_by_key_config_selectorIxxEEZZNS1_16scan_by_key_implILNS1_25lookback_scan_determinismE0ELb1ES3_N6thrust23THRUST_200600_302600_NS6detail15normal_iteratorINS9_10device_ptrIxEEEESE_SE_xNS9_4plusIvEENS9_8equal_toIvEExEE10hipError_tPvRmT2_T3_T4_T5_mT6_T7_P12ihipStream_tbENKUlT_T0_E_clISt17integral_constantIbLb0EESZ_EEDaSU_SV_EUlSU_E_NS1_11comp_targetILNS1_3genE3ELNS1_11target_archE908ELNS1_3gpuE7ELNS1_3repE0EEENS1_30default_config_static_selectorELNS0_4arch9wavefront6targetE1EEEvT1_ ; -- Begin function _ZN7rocprim17ROCPRIM_400000_NS6detail17trampoline_kernelINS0_14default_configENS1_27scan_by_key_config_selectorIxxEEZZNS1_16scan_by_key_implILNS1_25lookback_scan_determinismE0ELb1ES3_N6thrust23THRUST_200600_302600_NS6detail15normal_iteratorINS9_10device_ptrIxEEEESE_SE_xNS9_4plusIvEENS9_8equal_toIvEExEE10hipError_tPvRmT2_T3_T4_T5_mT6_T7_P12ihipStream_tbENKUlT_T0_E_clISt17integral_constantIbLb0EESZ_EEDaSU_SV_EUlSU_E_NS1_11comp_targetILNS1_3genE3ELNS1_11target_archE908ELNS1_3gpuE7ELNS1_3repE0EEENS1_30default_config_static_selectorELNS0_4arch9wavefront6targetE1EEEvT1_
	.globl	_ZN7rocprim17ROCPRIM_400000_NS6detail17trampoline_kernelINS0_14default_configENS1_27scan_by_key_config_selectorIxxEEZZNS1_16scan_by_key_implILNS1_25lookback_scan_determinismE0ELb1ES3_N6thrust23THRUST_200600_302600_NS6detail15normal_iteratorINS9_10device_ptrIxEEEESE_SE_xNS9_4plusIvEENS9_8equal_toIvEExEE10hipError_tPvRmT2_T3_T4_T5_mT6_T7_P12ihipStream_tbENKUlT_T0_E_clISt17integral_constantIbLb0EESZ_EEDaSU_SV_EUlSU_E_NS1_11comp_targetILNS1_3genE3ELNS1_11target_archE908ELNS1_3gpuE7ELNS1_3repE0EEENS1_30default_config_static_selectorELNS0_4arch9wavefront6targetE1EEEvT1_
	.p2align	8
	.type	_ZN7rocprim17ROCPRIM_400000_NS6detail17trampoline_kernelINS0_14default_configENS1_27scan_by_key_config_selectorIxxEEZZNS1_16scan_by_key_implILNS1_25lookback_scan_determinismE0ELb1ES3_N6thrust23THRUST_200600_302600_NS6detail15normal_iteratorINS9_10device_ptrIxEEEESE_SE_xNS9_4plusIvEENS9_8equal_toIvEExEE10hipError_tPvRmT2_T3_T4_T5_mT6_T7_P12ihipStream_tbENKUlT_T0_E_clISt17integral_constantIbLb0EESZ_EEDaSU_SV_EUlSU_E_NS1_11comp_targetILNS1_3genE3ELNS1_11target_archE908ELNS1_3gpuE7ELNS1_3repE0EEENS1_30default_config_static_selectorELNS0_4arch9wavefront6targetE1EEEvT1_,@function
_ZN7rocprim17ROCPRIM_400000_NS6detail17trampoline_kernelINS0_14default_configENS1_27scan_by_key_config_selectorIxxEEZZNS1_16scan_by_key_implILNS1_25lookback_scan_determinismE0ELb1ES3_N6thrust23THRUST_200600_302600_NS6detail15normal_iteratorINS9_10device_ptrIxEEEESE_SE_xNS9_4plusIvEENS9_8equal_toIvEExEE10hipError_tPvRmT2_T3_T4_T5_mT6_T7_P12ihipStream_tbENKUlT_T0_E_clISt17integral_constantIbLb0EESZ_EEDaSU_SV_EUlSU_E_NS1_11comp_targetILNS1_3genE3ELNS1_11target_archE908ELNS1_3gpuE7ELNS1_3repE0EEENS1_30default_config_static_selectorELNS0_4arch9wavefront6targetE1EEEvT1_: ; @_ZN7rocprim17ROCPRIM_400000_NS6detail17trampoline_kernelINS0_14default_configENS1_27scan_by_key_config_selectorIxxEEZZNS1_16scan_by_key_implILNS1_25lookback_scan_determinismE0ELb1ES3_N6thrust23THRUST_200600_302600_NS6detail15normal_iteratorINS9_10device_ptrIxEEEESE_SE_xNS9_4plusIvEENS9_8equal_toIvEExEE10hipError_tPvRmT2_T3_T4_T5_mT6_T7_P12ihipStream_tbENKUlT_T0_E_clISt17integral_constantIbLb0EESZ_EEDaSU_SV_EUlSU_E_NS1_11comp_targetILNS1_3genE3ELNS1_11target_archE908ELNS1_3gpuE7ELNS1_3repE0EEENS1_30default_config_static_selectorELNS0_4arch9wavefront6targetE1EEEvT1_
; %bb.0:
	.section	.rodata,"a",@progbits
	.p2align	6, 0x0
	.amdhsa_kernel _ZN7rocprim17ROCPRIM_400000_NS6detail17trampoline_kernelINS0_14default_configENS1_27scan_by_key_config_selectorIxxEEZZNS1_16scan_by_key_implILNS1_25lookback_scan_determinismE0ELb1ES3_N6thrust23THRUST_200600_302600_NS6detail15normal_iteratorINS9_10device_ptrIxEEEESE_SE_xNS9_4plusIvEENS9_8equal_toIvEExEE10hipError_tPvRmT2_T3_T4_T5_mT6_T7_P12ihipStream_tbENKUlT_T0_E_clISt17integral_constantIbLb0EESZ_EEDaSU_SV_EUlSU_E_NS1_11comp_targetILNS1_3genE3ELNS1_11target_archE908ELNS1_3gpuE7ELNS1_3repE0EEENS1_30default_config_static_selectorELNS0_4arch9wavefront6targetE1EEEvT1_
		.amdhsa_group_segment_fixed_size 0
		.amdhsa_private_segment_fixed_size 0
		.amdhsa_kernarg_size 136
		.amdhsa_user_sgpr_count 2
		.amdhsa_user_sgpr_dispatch_ptr 0
		.amdhsa_user_sgpr_queue_ptr 0
		.amdhsa_user_sgpr_kernarg_segment_ptr 1
		.amdhsa_user_sgpr_dispatch_id 0
		.amdhsa_user_sgpr_kernarg_preload_length 0
		.amdhsa_user_sgpr_kernarg_preload_offset 0
		.amdhsa_user_sgpr_private_segment_size 0
		.amdhsa_uses_dynamic_stack 0
		.amdhsa_enable_private_segment 0
		.amdhsa_system_sgpr_workgroup_id_x 1
		.amdhsa_system_sgpr_workgroup_id_y 0
		.amdhsa_system_sgpr_workgroup_id_z 0
		.amdhsa_system_sgpr_workgroup_info 0
		.amdhsa_system_vgpr_workitem_id 0
		.amdhsa_next_free_vgpr 1
		.amdhsa_next_free_sgpr 0
		.amdhsa_accum_offset 4
		.amdhsa_reserve_vcc 0
		.amdhsa_float_round_mode_32 0
		.amdhsa_float_round_mode_16_64 0
		.amdhsa_float_denorm_mode_32 3
		.amdhsa_float_denorm_mode_16_64 3
		.amdhsa_dx10_clamp 1
		.amdhsa_ieee_mode 1
		.amdhsa_fp16_overflow 0
		.amdhsa_tg_split 0
		.amdhsa_exception_fp_ieee_invalid_op 0
		.amdhsa_exception_fp_denorm_src 0
		.amdhsa_exception_fp_ieee_div_zero 0
		.amdhsa_exception_fp_ieee_overflow 0
		.amdhsa_exception_fp_ieee_underflow 0
		.amdhsa_exception_fp_ieee_inexact 0
		.amdhsa_exception_int_div_zero 0
	.end_amdhsa_kernel
	.section	.text._ZN7rocprim17ROCPRIM_400000_NS6detail17trampoline_kernelINS0_14default_configENS1_27scan_by_key_config_selectorIxxEEZZNS1_16scan_by_key_implILNS1_25lookback_scan_determinismE0ELb1ES3_N6thrust23THRUST_200600_302600_NS6detail15normal_iteratorINS9_10device_ptrIxEEEESE_SE_xNS9_4plusIvEENS9_8equal_toIvEExEE10hipError_tPvRmT2_T3_T4_T5_mT6_T7_P12ihipStream_tbENKUlT_T0_E_clISt17integral_constantIbLb0EESZ_EEDaSU_SV_EUlSU_E_NS1_11comp_targetILNS1_3genE3ELNS1_11target_archE908ELNS1_3gpuE7ELNS1_3repE0EEENS1_30default_config_static_selectorELNS0_4arch9wavefront6targetE1EEEvT1_,"axG",@progbits,_ZN7rocprim17ROCPRIM_400000_NS6detail17trampoline_kernelINS0_14default_configENS1_27scan_by_key_config_selectorIxxEEZZNS1_16scan_by_key_implILNS1_25lookback_scan_determinismE0ELb1ES3_N6thrust23THRUST_200600_302600_NS6detail15normal_iteratorINS9_10device_ptrIxEEEESE_SE_xNS9_4plusIvEENS9_8equal_toIvEExEE10hipError_tPvRmT2_T3_T4_T5_mT6_T7_P12ihipStream_tbENKUlT_T0_E_clISt17integral_constantIbLb0EESZ_EEDaSU_SV_EUlSU_E_NS1_11comp_targetILNS1_3genE3ELNS1_11target_archE908ELNS1_3gpuE7ELNS1_3repE0EEENS1_30default_config_static_selectorELNS0_4arch9wavefront6targetE1EEEvT1_,comdat
.Lfunc_end357:
	.size	_ZN7rocprim17ROCPRIM_400000_NS6detail17trampoline_kernelINS0_14default_configENS1_27scan_by_key_config_selectorIxxEEZZNS1_16scan_by_key_implILNS1_25lookback_scan_determinismE0ELb1ES3_N6thrust23THRUST_200600_302600_NS6detail15normal_iteratorINS9_10device_ptrIxEEEESE_SE_xNS9_4plusIvEENS9_8equal_toIvEExEE10hipError_tPvRmT2_T3_T4_T5_mT6_T7_P12ihipStream_tbENKUlT_T0_E_clISt17integral_constantIbLb0EESZ_EEDaSU_SV_EUlSU_E_NS1_11comp_targetILNS1_3genE3ELNS1_11target_archE908ELNS1_3gpuE7ELNS1_3repE0EEENS1_30default_config_static_selectorELNS0_4arch9wavefront6targetE1EEEvT1_, .Lfunc_end357-_ZN7rocprim17ROCPRIM_400000_NS6detail17trampoline_kernelINS0_14default_configENS1_27scan_by_key_config_selectorIxxEEZZNS1_16scan_by_key_implILNS1_25lookback_scan_determinismE0ELb1ES3_N6thrust23THRUST_200600_302600_NS6detail15normal_iteratorINS9_10device_ptrIxEEEESE_SE_xNS9_4plusIvEENS9_8equal_toIvEExEE10hipError_tPvRmT2_T3_T4_T5_mT6_T7_P12ihipStream_tbENKUlT_T0_E_clISt17integral_constantIbLb0EESZ_EEDaSU_SV_EUlSU_E_NS1_11comp_targetILNS1_3genE3ELNS1_11target_archE908ELNS1_3gpuE7ELNS1_3repE0EEENS1_30default_config_static_selectorELNS0_4arch9wavefront6targetE1EEEvT1_
                                        ; -- End function
	.section	.AMDGPU.csdata,"",@progbits
; Kernel info:
; codeLenInByte = 0
; NumSgprs: 6
; NumVgprs: 0
; NumAgprs: 0
; TotalNumVgprs: 0
; ScratchSize: 0
; MemoryBound: 0
; FloatMode: 240
; IeeeMode: 1
; LDSByteSize: 0 bytes/workgroup (compile time only)
; SGPRBlocks: 0
; VGPRBlocks: 0
; NumSGPRsForWavesPerEU: 6
; NumVGPRsForWavesPerEU: 1
; AccumOffset: 4
; Occupancy: 8
; WaveLimiterHint : 0
; COMPUTE_PGM_RSRC2:SCRATCH_EN: 0
; COMPUTE_PGM_RSRC2:USER_SGPR: 2
; COMPUTE_PGM_RSRC2:TRAP_HANDLER: 0
; COMPUTE_PGM_RSRC2:TGID_X_EN: 1
; COMPUTE_PGM_RSRC2:TGID_Y_EN: 0
; COMPUTE_PGM_RSRC2:TGID_Z_EN: 0
; COMPUTE_PGM_RSRC2:TIDIG_COMP_CNT: 0
; COMPUTE_PGM_RSRC3_GFX90A:ACCUM_OFFSET: 0
; COMPUTE_PGM_RSRC3_GFX90A:TG_SPLIT: 0
	.section	.text._ZN7rocprim17ROCPRIM_400000_NS6detail17trampoline_kernelINS0_14default_configENS1_27scan_by_key_config_selectorIxxEEZZNS1_16scan_by_key_implILNS1_25lookback_scan_determinismE0ELb1ES3_N6thrust23THRUST_200600_302600_NS6detail15normal_iteratorINS9_10device_ptrIxEEEESE_SE_xNS9_4plusIvEENS9_8equal_toIvEExEE10hipError_tPvRmT2_T3_T4_T5_mT6_T7_P12ihipStream_tbENKUlT_T0_E_clISt17integral_constantIbLb0EESZ_EEDaSU_SV_EUlSU_E_NS1_11comp_targetILNS1_3genE2ELNS1_11target_archE906ELNS1_3gpuE6ELNS1_3repE0EEENS1_30default_config_static_selectorELNS0_4arch9wavefront6targetE1EEEvT1_,"axG",@progbits,_ZN7rocprim17ROCPRIM_400000_NS6detail17trampoline_kernelINS0_14default_configENS1_27scan_by_key_config_selectorIxxEEZZNS1_16scan_by_key_implILNS1_25lookback_scan_determinismE0ELb1ES3_N6thrust23THRUST_200600_302600_NS6detail15normal_iteratorINS9_10device_ptrIxEEEESE_SE_xNS9_4plusIvEENS9_8equal_toIvEExEE10hipError_tPvRmT2_T3_T4_T5_mT6_T7_P12ihipStream_tbENKUlT_T0_E_clISt17integral_constantIbLb0EESZ_EEDaSU_SV_EUlSU_E_NS1_11comp_targetILNS1_3genE2ELNS1_11target_archE906ELNS1_3gpuE6ELNS1_3repE0EEENS1_30default_config_static_selectorELNS0_4arch9wavefront6targetE1EEEvT1_,comdat
	.protected	_ZN7rocprim17ROCPRIM_400000_NS6detail17trampoline_kernelINS0_14default_configENS1_27scan_by_key_config_selectorIxxEEZZNS1_16scan_by_key_implILNS1_25lookback_scan_determinismE0ELb1ES3_N6thrust23THRUST_200600_302600_NS6detail15normal_iteratorINS9_10device_ptrIxEEEESE_SE_xNS9_4plusIvEENS9_8equal_toIvEExEE10hipError_tPvRmT2_T3_T4_T5_mT6_T7_P12ihipStream_tbENKUlT_T0_E_clISt17integral_constantIbLb0EESZ_EEDaSU_SV_EUlSU_E_NS1_11comp_targetILNS1_3genE2ELNS1_11target_archE906ELNS1_3gpuE6ELNS1_3repE0EEENS1_30default_config_static_selectorELNS0_4arch9wavefront6targetE1EEEvT1_ ; -- Begin function _ZN7rocprim17ROCPRIM_400000_NS6detail17trampoline_kernelINS0_14default_configENS1_27scan_by_key_config_selectorIxxEEZZNS1_16scan_by_key_implILNS1_25lookback_scan_determinismE0ELb1ES3_N6thrust23THRUST_200600_302600_NS6detail15normal_iteratorINS9_10device_ptrIxEEEESE_SE_xNS9_4plusIvEENS9_8equal_toIvEExEE10hipError_tPvRmT2_T3_T4_T5_mT6_T7_P12ihipStream_tbENKUlT_T0_E_clISt17integral_constantIbLb0EESZ_EEDaSU_SV_EUlSU_E_NS1_11comp_targetILNS1_3genE2ELNS1_11target_archE906ELNS1_3gpuE6ELNS1_3repE0EEENS1_30default_config_static_selectorELNS0_4arch9wavefront6targetE1EEEvT1_
	.globl	_ZN7rocprim17ROCPRIM_400000_NS6detail17trampoline_kernelINS0_14default_configENS1_27scan_by_key_config_selectorIxxEEZZNS1_16scan_by_key_implILNS1_25lookback_scan_determinismE0ELb1ES3_N6thrust23THRUST_200600_302600_NS6detail15normal_iteratorINS9_10device_ptrIxEEEESE_SE_xNS9_4plusIvEENS9_8equal_toIvEExEE10hipError_tPvRmT2_T3_T4_T5_mT6_T7_P12ihipStream_tbENKUlT_T0_E_clISt17integral_constantIbLb0EESZ_EEDaSU_SV_EUlSU_E_NS1_11comp_targetILNS1_3genE2ELNS1_11target_archE906ELNS1_3gpuE6ELNS1_3repE0EEENS1_30default_config_static_selectorELNS0_4arch9wavefront6targetE1EEEvT1_
	.p2align	8
	.type	_ZN7rocprim17ROCPRIM_400000_NS6detail17trampoline_kernelINS0_14default_configENS1_27scan_by_key_config_selectorIxxEEZZNS1_16scan_by_key_implILNS1_25lookback_scan_determinismE0ELb1ES3_N6thrust23THRUST_200600_302600_NS6detail15normal_iteratorINS9_10device_ptrIxEEEESE_SE_xNS9_4plusIvEENS9_8equal_toIvEExEE10hipError_tPvRmT2_T3_T4_T5_mT6_T7_P12ihipStream_tbENKUlT_T0_E_clISt17integral_constantIbLb0EESZ_EEDaSU_SV_EUlSU_E_NS1_11comp_targetILNS1_3genE2ELNS1_11target_archE906ELNS1_3gpuE6ELNS1_3repE0EEENS1_30default_config_static_selectorELNS0_4arch9wavefront6targetE1EEEvT1_,@function
_ZN7rocprim17ROCPRIM_400000_NS6detail17trampoline_kernelINS0_14default_configENS1_27scan_by_key_config_selectorIxxEEZZNS1_16scan_by_key_implILNS1_25lookback_scan_determinismE0ELb1ES3_N6thrust23THRUST_200600_302600_NS6detail15normal_iteratorINS9_10device_ptrIxEEEESE_SE_xNS9_4plusIvEENS9_8equal_toIvEExEE10hipError_tPvRmT2_T3_T4_T5_mT6_T7_P12ihipStream_tbENKUlT_T0_E_clISt17integral_constantIbLb0EESZ_EEDaSU_SV_EUlSU_E_NS1_11comp_targetILNS1_3genE2ELNS1_11target_archE906ELNS1_3gpuE6ELNS1_3repE0EEENS1_30default_config_static_selectorELNS0_4arch9wavefront6targetE1EEEvT1_: ; @_ZN7rocprim17ROCPRIM_400000_NS6detail17trampoline_kernelINS0_14default_configENS1_27scan_by_key_config_selectorIxxEEZZNS1_16scan_by_key_implILNS1_25lookback_scan_determinismE0ELb1ES3_N6thrust23THRUST_200600_302600_NS6detail15normal_iteratorINS9_10device_ptrIxEEEESE_SE_xNS9_4plusIvEENS9_8equal_toIvEExEE10hipError_tPvRmT2_T3_T4_T5_mT6_T7_P12ihipStream_tbENKUlT_T0_E_clISt17integral_constantIbLb0EESZ_EEDaSU_SV_EUlSU_E_NS1_11comp_targetILNS1_3genE2ELNS1_11target_archE906ELNS1_3gpuE6ELNS1_3repE0EEENS1_30default_config_static_selectorELNS0_4arch9wavefront6targetE1EEEvT1_
; %bb.0:
	.section	.rodata,"a",@progbits
	.p2align	6, 0x0
	.amdhsa_kernel _ZN7rocprim17ROCPRIM_400000_NS6detail17trampoline_kernelINS0_14default_configENS1_27scan_by_key_config_selectorIxxEEZZNS1_16scan_by_key_implILNS1_25lookback_scan_determinismE0ELb1ES3_N6thrust23THRUST_200600_302600_NS6detail15normal_iteratorINS9_10device_ptrIxEEEESE_SE_xNS9_4plusIvEENS9_8equal_toIvEExEE10hipError_tPvRmT2_T3_T4_T5_mT6_T7_P12ihipStream_tbENKUlT_T0_E_clISt17integral_constantIbLb0EESZ_EEDaSU_SV_EUlSU_E_NS1_11comp_targetILNS1_3genE2ELNS1_11target_archE906ELNS1_3gpuE6ELNS1_3repE0EEENS1_30default_config_static_selectorELNS0_4arch9wavefront6targetE1EEEvT1_
		.amdhsa_group_segment_fixed_size 0
		.amdhsa_private_segment_fixed_size 0
		.amdhsa_kernarg_size 136
		.amdhsa_user_sgpr_count 2
		.amdhsa_user_sgpr_dispatch_ptr 0
		.amdhsa_user_sgpr_queue_ptr 0
		.amdhsa_user_sgpr_kernarg_segment_ptr 1
		.amdhsa_user_sgpr_dispatch_id 0
		.amdhsa_user_sgpr_kernarg_preload_length 0
		.amdhsa_user_sgpr_kernarg_preload_offset 0
		.amdhsa_user_sgpr_private_segment_size 0
		.amdhsa_uses_dynamic_stack 0
		.amdhsa_enable_private_segment 0
		.amdhsa_system_sgpr_workgroup_id_x 1
		.amdhsa_system_sgpr_workgroup_id_y 0
		.amdhsa_system_sgpr_workgroup_id_z 0
		.amdhsa_system_sgpr_workgroup_info 0
		.amdhsa_system_vgpr_workitem_id 0
		.amdhsa_next_free_vgpr 1
		.amdhsa_next_free_sgpr 0
		.amdhsa_accum_offset 4
		.amdhsa_reserve_vcc 0
		.amdhsa_float_round_mode_32 0
		.amdhsa_float_round_mode_16_64 0
		.amdhsa_float_denorm_mode_32 3
		.amdhsa_float_denorm_mode_16_64 3
		.amdhsa_dx10_clamp 1
		.amdhsa_ieee_mode 1
		.amdhsa_fp16_overflow 0
		.amdhsa_tg_split 0
		.amdhsa_exception_fp_ieee_invalid_op 0
		.amdhsa_exception_fp_denorm_src 0
		.amdhsa_exception_fp_ieee_div_zero 0
		.amdhsa_exception_fp_ieee_overflow 0
		.amdhsa_exception_fp_ieee_underflow 0
		.amdhsa_exception_fp_ieee_inexact 0
		.amdhsa_exception_int_div_zero 0
	.end_amdhsa_kernel
	.section	.text._ZN7rocprim17ROCPRIM_400000_NS6detail17trampoline_kernelINS0_14default_configENS1_27scan_by_key_config_selectorIxxEEZZNS1_16scan_by_key_implILNS1_25lookback_scan_determinismE0ELb1ES3_N6thrust23THRUST_200600_302600_NS6detail15normal_iteratorINS9_10device_ptrIxEEEESE_SE_xNS9_4plusIvEENS9_8equal_toIvEExEE10hipError_tPvRmT2_T3_T4_T5_mT6_T7_P12ihipStream_tbENKUlT_T0_E_clISt17integral_constantIbLb0EESZ_EEDaSU_SV_EUlSU_E_NS1_11comp_targetILNS1_3genE2ELNS1_11target_archE906ELNS1_3gpuE6ELNS1_3repE0EEENS1_30default_config_static_selectorELNS0_4arch9wavefront6targetE1EEEvT1_,"axG",@progbits,_ZN7rocprim17ROCPRIM_400000_NS6detail17trampoline_kernelINS0_14default_configENS1_27scan_by_key_config_selectorIxxEEZZNS1_16scan_by_key_implILNS1_25lookback_scan_determinismE0ELb1ES3_N6thrust23THRUST_200600_302600_NS6detail15normal_iteratorINS9_10device_ptrIxEEEESE_SE_xNS9_4plusIvEENS9_8equal_toIvEExEE10hipError_tPvRmT2_T3_T4_T5_mT6_T7_P12ihipStream_tbENKUlT_T0_E_clISt17integral_constantIbLb0EESZ_EEDaSU_SV_EUlSU_E_NS1_11comp_targetILNS1_3genE2ELNS1_11target_archE906ELNS1_3gpuE6ELNS1_3repE0EEENS1_30default_config_static_selectorELNS0_4arch9wavefront6targetE1EEEvT1_,comdat
.Lfunc_end358:
	.size	_ZN7rocprim17ROCPRIM_400000_NS6detail17trampoline_kernelINS0_14default_configENS1_27scan_by_key_config_selectorIxxEEZZNS1_16scan_by_key_implILNS1_25lookback_scan_determinismE0ELb1ES3_N6thrust23THRUST_200600_302600_NS6detail15normal_iteratorINS9_10device_ptrIxEEEESE_SE_xNS9_4plusIvEENS9_8equal_toIvEExEE10hipError_tPvRmT2_T3_T4_T5_mT6_T7_P12ihipStream_tbENKUlT_T0_E_clISt17integral_constantIbLb0EESZ_EEDaSU_SV_EUlSU_E_NS1_11comp_targetILNS1_3genE2ELNS1_11target_archE906ELNS1_3gpuE6ELNS1_3repE0EEENS1_30default_config_static_selectorELNS0_4arch9wavefront6targetE1EEEvT1_, .Lfunc_end358-_ZN7rocprim17ROCPRIM_400000_NS6detail17trampoline_kernelINS0_14default_configENS1_27scan_by_key_config_selectorIxxEEZZNS1_16scan_by_key_implILNS1_25lookback_scan_determinismE0ELb1ES3_N6thrust23THRUST_200600_302600_NS6detail15normal_iteratorINS9_10device_ptrIxEEEESE_SE_xNS9_4plusIvEENS9_8equal_toIvEExEE10hipError_tPvRmT2_T3_T4_T5_mT6_T7_P12ihipStream_tbENKUlT_T0_E_clISt17integral_constantIbLb0EESZ_EEDaSU_SV_EUlSU_E_NS1_11comp_targetILNS1_3genE2ELNS1_11target_archE906ELNS1_3gpuE6ELNS1_3repE0EEENS1_30default_config_static_selectorELNS0_4arch9wavefront6targetE1EEEvT1_
                                        ; -- End function
	.section	.AMDGPU.csdata,"",@progbits
; Kernel info:
; codeLenInByte = 0
; NumSgprs: 6
; NumVgprs: 0
; NumAgprs: 0
; TotalNumVgprs: 0
; ScratchSize: 0
; MemoryBound: 0
; FloatMode: 240
; IeeeMode: 1
; LDSByteSize: 0 bytes/workgroup (compile time only)
; SGPRBlocks: 0
; VGPRBlocks: 0
; NumSGPRsForWavesPerEU: 6
; NumVGPRsForWavesPerEU: 1
; AccumOffset: 4
; Occupancy: 8
; WaveLimiterHint : 0
; COMPUTE_PGM_RSRC2:SCRATCH_EN: 0
; COMPUTE_PGM_RSRC2:USER_SGPR: 2
; COMPUTE_PGM_RSRC2:TRAP_HANDLER: 0
; COMPUTE_PGM_RSRC2:TGID_X_EN: 1
; COMPUTE_PGM_RSRC2:TGID_Y_EN: 0
; COMPUTE_PGM_RSRC2:TGID_Z_EN: 0
; COMPUTE_PGM_RSRC2:TIDIG_COMP_CNT: 0
; COMPUTE_PGM_RSRC3_GFX90A:ACCUM_OFFSET: 0
; COMPUTE_PGM_RSRC3_GFX90A:TG_SPLIT: 0
	.section	.text._ZN7rocprim17ROCPRIM_400000_NS6detail17trampoline_kernelINS0_14default_configENS1_27scan_by_key_config_selectorIxxEEZZNS1_16scan_by_key_implILNS1_25lookback_scan_determinismE0ELb1ES3_N6thrust23THRUST_200600_302600_NS6detail15normal_iteratorINS9_10device_ptrIxEEEESE_SE_xNS9_4plusIvEENS9_8equal_toIvEExEE10hipError_tPvRmT2_T3_T4_T5_mT6_T7_P12ihipStream_tbENKUlT_T0_E_clISt17integral_constantIbLb0EESZ_EEDaSU_SV_EUlSU_E_NS1_11comp_targetILNS1_3genE10ELNS1_11target_archE1200ELNS1_3gpuE4ELNS1_3repE0EEENS1_30default_config_static_selectorELNS0_4arch9wavefront6targetE1EEEvT1_,"axG",@progbits,_ZN7rocprim17ROCPRIM_400000_NS6detail17trampoline_kernelINS0_14default_configENS1_27scan_by_key_config_selectorIxxEEZZNS1_16scan_by_key_implILNS1_25lookback_scan_determinismE0ELb1ES3_N6thrust23THRUST_200600_302600_NS6detail15normal_iteratorINS9_10device_ptrIxEEEESE_SE_xNS9_4plusIvEENS9_8equal_toIvEExEE10hipError_tPvRmT2_T3_T4_T5_mT6_T7_P12ihipStream_tbENKUlT_T0_E_clISt17integral_constantIbLb0EESZ_EEDaSU_SV_EUlSU_E_NS1_11comp_targetILNS1_3genE10ELNS1_11target_archE1200ELNS1_3gpuE4ELNS1_3repE0EEENS1_30default_config_static_selectorELNS0_4arch9wavefront6targetE1EEEvT1_,comdat
	.protected	_ZN7rocprim17ROCPRIM_400000_NS6detail17trampoline_kernelINS0_14default_configENS1_27scan_by_key_config_selectorIxxEEZZNS1_16scan_by_key_implILNS1_25lookback_scan_determinismE0ELb1ES3_N6thrust23THRUST_200600_302600_NS6detail15normal_iteratorINS9_10device_ptrIxEEEESE_SE_xNS9_4plusIvEENS9_8equal_toIvEExEE10hipError_tPvRmT2_T3_T4_T5_mT6_T7_P12ihipStream_tbENKUlT_T0_E_clISt17integral_constantIbLb0EESZ_EEDaSU_SV_EUlSU_E_NS1_11comp_targetILNS1_3genE10ELNS1_11target_archE1200ELNS1_3gpuE4ELNS1_3repE0EEENS1_30default_config_static_selectorELNS0_4arch9wavefront6targetE1EEEvT1_ ; -- Begin function _ZN7rocprim17ROCPRIM_400000_NS6detail17trampoline_kernelINS0_14default_configENS1_27scan_by_key_config_selectorIxxEEZZNS1_16scan_by_key_implILNS1_25lookback_scan_determinismE0ELb1ES3_N6thrust23THRUST_200600_302600_NS6detail15normal_iteratorINS9_10device_ptrIxEEEESE_SE_xNS9_4plusIvEENS9_8equal_toIvEExEE10hipError_tPvRmT2_T3_T4_T5_mT6_T7_P12ihipStream_tbENKUlT_T0_E_clISt17integral_constantIbLb0EESZ_EEDaSU_SV_EUlSU_E_NS1_11comp_targetILNS1_3genE10ELNS1_11target_archE1200ELNS1_3gpuE4ELNS1_3repE0EEENS1_30default_config_static_selectorELNS0_4arch9wavefront6targetE1EEEvT1_
	.globl	_ZN7rocprim17ROCPRIM_400000_NS6detail17trampoline_kernelINS0_14default_configENS1_27scan_by_key_config_selectorIxxEEZZNS1_16scan_by_key_implILNS1_25lookback_scan_determinismE0ELb1ES3_N6thrust23THRUST_200600_302600_NS6detail15normal_iteratorINS9_10device_ptrIxEEEESE_SE_xNS9_4plusIvEENS9_8equal_toIvEExEE10hipError_tPvRmT2_T3_T4_T5_mT6_T7_P12ihipStream_tbENKUlT_T0_E_clISt17integral_constantIbLb0EESZ_EEDaSU_SV_EUlSU_E_NS1_11comp_targetILNS1_3genE10ELNS1_11target_archE1200ELNS1_3gpuE4ELNS1_3repE0EEENS1_30default_config_static_selectorELNS0_4arch9wavefront6targetE1EEEvT1_
	.p2align	8
	.type	_ZN7rocprim17ROCPRIM_400000_NS6detail17trampoline_kernelINS0_14default_configENS1_27scan_by_key_config_selectorIxxEEZZNS1_16scan_by_key_implILNS1_25lookback_scan_determinismE0ELb1ES3_N6thrust23THRUST_200600_302600_NS6detail15normal_iteratorINS9_10device_ptrIxEEEESE_SE_xNS9_4plusIvEENS9_8equal_toIvEExEE10hipError_tPvRmT2_T3_T4_T5_mT6_T7_P12ihipStream_tbENKUlT_T0_E_clISt17integral_constantIbLb0EESZ_EEDaSU_SV_EUlSU_E_NS1_11comp_targetILNS1_3genE10ELNS1_11target_archE1200ELNS1_3gpuE4ELNS1_3repE0EEENS1_30default_config_static_selectorELNS0_4arch9wavefront6targetE1EEEvT1_,@function
_ZN7rocprim17ROCPRIM_400000_NS6detail17trampoline_kernelINS0_14default_configENS1_27scan_by_key_config_selectorIxxEEZZNS1_16scan_by_key_implILNS1_25lookback_scan_determinismE0ELb1ES3_N6thrust23THRUST_200600_302600_NS6detail15normal_iteratorINS9_10device_ptrIxEEEESE_SE_xNS9_4plusIvEENS9_8equal_toIvEExEE10hipError_tPvRmT2_T3_T4_T5_mT6_T7_P12ihipStream_tbENKUlT_T0_E_clISt17integral_constantIbLb0EESZ_EEDaSU_SV_EUlSU_E_NS1_11comp_targetILNS1_3genE10ELNS1_11target_archE1200ELNS1_3gpuE4ELNS1_3repE0EEENS1_30default_config_static_selectorELNS0_4arch9wavefront6targetE1EEEvT1_: ; @_ZN7rocprim17ROCPRIM_400000_NS6detail17trampoline_kernelINS0_14default_configENS1_27scan_by_key_config_selectorIxxEEZZNS1_16scan_by_key_implILNS1_25lookback_scan_determinismE0ELb1ES3_N6thrust23THRUST_200600_302600_NS6detail15normal_iteratorINS9_10device_ptrIxEEEESE_SE_xNS9_4plusIvEENS9_8equal_toIvEExEE10hipError_tPvRmT2_T3_T4_T5_mT6_T7_P12ihipStream_tbENKUlT_T0_E_clISt17integral_constantIbLb0EESZ_EEDaSU_SV_EUlSU_E_NS1_11comp_targetILNS1_3genE10ELNS1_11target_archE1200ELNS1_3gpuE4ELNS1_3repE0EEENS1_30default_config_static_selectorELNS0_4arch9wavefront6targetE1EEEvT1_
; %bb.0:
	.section	.rodata,"a",@progbits
	.p2align	6, 0x0
	.amdhsa_kernel _ZN7rocprim17ROCPRIM_400000_NS6detail17trampoline_kernelINS0_14default_configENS1_27scan_by_key_config_selectorIxxEEZZNS1_16scan_by_key_implILNS1_25lookback_scan_determinismE0ELb1ES3_N6thrust23THRUST_200600_302600_NS6detail15normal_iteratorINS9_10device_ptrIxEEEESE_SE_xNS9_4plusIvEENS9_8equal_toIvEExEE10hipError_tPvRmT2_T3_T4_T5_mT6_T7_P12ihipStream_tbENKUlT_T0_E_clISt17integral_constantIbLb0EESZ_EEDaSU_SV_EUlSU_E_NS1_11comp_targetILNS1_3genE10ELNS1_11target_archE1200ELNS1_3gpuE4ELNS1_3repE0EEENS1_30default_config_static_selectorELNS0_4arch9wavefront6targetE1EEEvT1_
		.amdhsa_group_segment_fixed_size 0
		.amdhsa_private_segment_fixed_size 0
		.amdhsa_kernarg_size 136
		.amdhsa_user_sgpr_count 2
		.amdhsa_user_sgpr_dispatch_ptr 0
		.amdhsa_user_sgpr_queue_ptr 0
		.amdhsa_user_sgpr_kernarg_segment_ptr 1
		.amdhsa_user_sgpr_dispatch_id 0
		.amdhsa_user_sgpr_kernarg_preload_length 0
		.amdhsa_user_sgpr_kernarg_preload_offset 0
		.amdhsa_user_sgpr_private_segment_size 0
		.amdhsa_uses_dynamic_stack 0
		.amdhsa_enable_private_segment 0
		.amdhsa_system_sgpr_workgroup_id_x 1
		.amdhsa_system_sgpr_workgroup_id_y 0
		.amdhsa_system_sgpr_workgroup_id_z 0
		.amdhsa_system_sgpr_workgroup_info 0
		.amdhsa_system_vgpr_workitem_id 0
		.amdhsa_next_free_vgpr 1
		.amdhsa_next_free_sgpr 0
		.amdhsa_accum_offset 4
		.amdhsa_reserve_vcc 0
		.amdhsa_float_round_mode_32 0
		.amdhsa_float_round_mode_16_64 0
		.amdhsa_float_denorm_mode_32 3
		.amdhsa_float_denorm_mode_16_64 3
		.amdhsa_dx10_clamp 1
		.amdhsa_ieee_mode 1
		.amdhsa_fp16_overflow 0
		.amdhsa_tg_split 0
		.amdhsa_exception_fp_ieee_invalid_op 0
		.amdhsa_exception_fp_denorm_src 0
		.amdhsa_exception_fp_ieee_div_zero 0
		.amdhsa_exception_fp_ieee_overflow 0
		.amdhsa_exception_fp_ieee_underflow 0
		.amdhsa_exception_fp_ieee_inexact 0
		.amdhsa_exception_int_div_zero 0
	.end_amdhsa_kernel
	.section	.text._ZN7rocprim17ROCPRIM_400000_NS6detail17trampoline_kernelINS0_14default_configENS1_27scan_by_key_config_selectorIxxEEZZNS1_16scan_by_key_implILNS1_25lookback_scan_determinismE0ELb1ES3_N6thrust23THRUST_200600_302600_NS6detail15normal_iteratorINS9_10device_ptrIxEEEESE_SE_xNS9_4plusIvEENS9_8equal_toIvEExEE10hipError_tPvRmT2_T3_T4_T5_mT6_T7_P12ihipStream_tbENKUlT_T0_E_clISt17integral_constantIbLb0EESZ_EEDaSU_SV_EUlSU_E_NS1_11comp_targetILNS1_3genE10ELNS1_11target_archE1200ELNS1_3gpuE4ELNS1_3repE0EEENS1_30default_config_static_selectorELNS0_4arch9wavefront6targetE1EEEvT1_,"axG",@progbits,_ZN7rocprim17ROCPRIM_400000_NS6detail17trampoline_kernelINS0_14default_configENS1_27scan_by_key_config_selectorIxxEEZZNS1_16scan_by_key_implILNS1_25lookback_scan_determinismE0ELb1ES3_N6thrust23THRUST_200600_302600_NS6detail15normal_iteratorINS9_10device_ptrIxEEEESE_SE_xNS9_4plusIvEENS9_8equal_toIvEExEE10hipError_tPvRmT2_T3_T4_T5_mT6_T7_P12ihipStream_tbENKUlT_T0_E_clISt17integral_constantIbLb0EESZ_EEDaSU_SV_EUlSU_E_NS1_11comp_targetILNS1_3genE10ELNS1_11target_archE1200ELNS1_3gpuE4ELNS1_3repE0EEENS1_30default_config_static_selectorELNS0_4arch9wavefront6targetE1EEEvT1_,comdat
.Lfunc_end359:
	.size	_ZN7rocprim17ROCPRIM_400000_NS6detail17trampoline_kernelINS0_14default_configENS1_27scan_by_key_config_selectorIxxEEZZNS1_16scan_by_key_implILNS1_25lookback_scan_determinismE0ELb1ES3_N6thrust23THRUST_200600_302600_NS6detail15normal_iteratorINS9_10device_ptrIxEEEESE_SE_xNS9_4plusIvEENS9_8equal_toIvEExEE10hipError_tPvRmT2_T3_T4_T5_mT6_T7_P12ihipStream_tbENKUlT_T0_E_clISt17integral_constantIbLb0EESZ_EEDaSU_SV_EUlSU_E_NS1_11comp_targetILNS1_3genE10ELNS1_11target_archE1200ELNS1_3gpuE4ELNS1_3repE0EEENS1_30default_config_static_selectorELNS0_4arch9wavefront6targetE1EEEvT1_, .Lfunc_end359-_ZN7rocprim17ROCPRIM_400000_NS6detail17trampoline_kernelINS0_14default_configENS1_27scan_by_key_config_selectorIxxEEZZNS1_16scan_by_key_implILNS1_25lookback_scan_determinismE0ELb1ES3_N6thrust23THRUST_200600_302600_NS6detail15normal_iteratorINS9_10device_ptrIxEEEESE_SE_xNS9_4plusIvEENS9_8equal_toIvEExEE10hipError_tPvRmT2_T3_T4_T5_mT6_T7_P12ihipStream_tbENKUlT_T0_E_clISt17integral_constantIbLb0EESZ_EEDaSU_SV_EUlSU_E_NS1_11comp_targetILNS1_3genE10ELNS1_11target_archE1200ELNS1_3gpuE4ELNS1_3repE0EEENS1_30default_config_static_selectorELNS0_4arch9wavefront6targetE1EEEvT1_
                                        ; -- End function
	.section	.AMDGPU.csdata,"",@progbits
; Kernel info:
; codeLenInByte = 0
; NumSgprs: 6
; NumVgprs: 0
; NumAgprs: 0
; TotalNumVgprs: 0
; ScratchSize: 0
; MemoryBound: 0
; FloatMode: 240
; IeeeMode: 1
; LDSByteSize: 0 bytes/workgroup (compile time only)
; SGPRBlocks: 0
; VGPRBlocks: 0
; NumSGPRsForWavesPerEU: 6
; NumVGPRsForWavesPerEU: 1
; AccumOffset: 4
; Occupancy: 8
; WaveLimiterHint : 0
; COMPUTE_PGM_RSRC2:SCRATCH_EN: 0
; COMPUTE_PGM_RSRC2:USER_SGPR: 2
; COMPUTE_PGM_RSRC2:TRAP_HANDLER: 0
; COMPUTE_PGM_RSRC2:TGID_X_EN: 1
; COMPUTE_PGM_RSRC2:TGID_Y_EN: 0
; COMPUTE_PGM_RSRC2:TGID_Z_EN: 0
; COMPUTE_PGM_RSRC2:TIDIG_COMP_CNT: 0
; COMPUTE_PGM_RSRC3_GFX90A:ACCUM_OFFSET: 0
; COMPUTE_PGM_RSRC3_GFX90A:TG_SPLIT: 0
	.section	.text._ZN7rocprim17ROCPRIM_400000_NS6detail17trampoline_kernelINS0_14default_configENS1_27scan_by_key_config_selectorIxxEEZZNS1_16scan_by_key_implILNS1_25lookback_scan_determinismE0ELb1ES3_N6thrust23THRUST_200600_302600_NS6detail15normal_iteratorINS9_10device_ptrIxEEEESE_SE_xNS9_4plusIvEENS9_8equal_toIvEExEE10hipError_tPvRmT2_T3_T4_T5_mT6_T7_P12ihipStream_tbENKUlT_T0_E_clISt17integral_constantIbLb0EESZ_EEDaSU_SV_EUlSU_E_NS1_11comp_targetILNS1_3genE9ELNS1_11target_archE1100ELNS1_3gpuE3ELNS1_3repE0EEENS1_30default_config_static_selectorELNS0_4arch9wavefront6targetE1EEEvT1_,"axG",@progbits,_ZN7rocprim17ROCPRIM_400000_NS6detail17trampoline_kernelINS0_14default_configENS1_27scan_by_key_config_selectorIxxEEZZNS1_16scan_by_key_implILNS1_25lookback_scan_determinismE0ELb1ES3_N6thrust23THRUST_200600_302600_NS6detail15normal_iteratorINS9_10device_ptrIxEEEESE_SE_xNS9_4plusIvEENS9_8equal_toIvEExEE10hipError_tPvRmT2_T3_T4_T5_mT6_T7_P12ihipStream_tbENKUlT_T0_E_clISt17integral_constantIbLb0EESZ_EEDaSU_SV_EUlSU_E_NS1_11comp_targetILNS1_3genE9ELNS1_11target_archE1100ELNS1_3gpuE3ELNS1_3repE0EEENS1_30default_config_static_selectorELNS0_4arch9wavefront6targetE1EEEvT1_,comdat
	.protected	_ZN7rocprim17ROCPRIM_400000_NS6detail17trampoline_kernelINS0_14default_configENS1_27scan_by_key_config_selectorIxxEEZZNS1_16scan_by_key_implILNS1_25lookback_scan_determinismE0ELb1ES3_N6thrust23THRUST_200600_302600_NS6detail15normal_iteratorINS9_10device_ptrIxEEEESE_SE_xNS9_4plusIvEENS9_8equal_toIvEExEE10hipError_tPvRmT2_T3_T4_T5_mT6_T7_P12ihipStream_tbENKUlT_T0_E_clISt17integral_constantIbLb0EESZ_EEDaSU_SV_EUlSU_E_NS1_11comp_targetILNS1_3genE9ELNS1_11target_archE1100ELNS1_3gpuE3ELNS1_3repE0EEENS1_30default_config_static_selectorELNS0_4arch9wavefront6targetE1EEEvT1_ ; -- Begin function _ZN7rocprim17ROCPRIM_400000_NS6detail17trampoline_kernelINS0_14default_configENS1_27scan_by_key_config_selectorIxxEEZZNS1_16scan_by_key_implILNS1_25lookback_scan_determinismE0ELb1ES3_N6thrust23THRUST_200600_302600_NS6detail15normal_iteratorINS9_10device_ptrIxEEEESE_SE_xNS9_4plusIvEENS9_8equal_toIvEExEE10hipError_tPvRmT2_T3_T4_T5_mT6_T7_P12ihipStream_tbENKUlT_T0_E_clISt17integral_constantIbLb0EESZ_EEDaSU_SV_EUlSU_E_NS1_11comp_targetILNS1_3genE9ELNS1_11target_archE1100ELNS1_3gpuE3ELNS1_3repE0EEENS1_30default_config_static_selectorELNS0_4arch9wavefront6targetE1EEEvT1_
	.globl	_ZN7rocprim17ROCPRIM_400000_NS6detail17trampoline_kernelINS0_14default_configENS1_27scan_by_key_config_selectorIxxEEZZNS1_16scan_by_key_implILNS1_25lookback_scan_determinismE0ELb1ES3_N6thrust23THRUST_200600_302600_NS6detail15normal_iteratorINS9_10device_ptrIxEEEESE_SE_xNS9_4plusIvEENS9_8equal_toIvEExEE10hipError_tPvRmT2_T3_T4_T5_mT6_T7_P12ihipStream_tbENKUlT_T0_E_clISt17integral_constantIbLb0EESZ_EEDaSU_SV_EUlSU_E_NS1_11comp_targetILNS1_3genE9ELNS1_11target_archE1100ELNS1_3gpuE3ELNS1_3repE0EEENS1_30default_config_static_selectorELNS0_4arch9wavefront6targetE1EEEvT1_
	.p2align	8
	.type	_ZN7rocprim17ROCPRIM_400000_NS6detail17trampoline_kernelINS0_14default_configENS1_27scan_by_key_config_selectorIxxEEZZNS1_16scan_by_key_implILNS1_25lookback_scan_determinismE0ELb1ES3_N6thrust23THRUST_200600_302600_NS6detail15normal_iteratorINS9_10device_ptrIxEEEESE_SE_xNS9_4plusIvEENS9_8equal_toIvEExEE10hipError_tPvRmT2_T3_T4_T5_mT6_T7_P12ihipStream_tbENKUlT_T0_E_clISt17integral_constantIbLb0EESZ_EEDaSU_SV_EUlSU_E_NS1_11comp_targetILNS1_3genE9ELNS1_11target_archE1100ELNS1_3gpuE3ELNS1_3repE0EEENS1_30default_config_static_selectorELNS0_4arch9wavefront6targetE1EEEvT1_,@function
_ZN7rocprim17ROCPRIM_400000_NS6detail17trampoline_kernelINS0_14default_configENS1_27scan_by_key_config_selectorIxxEEZZNS1_16scan_by_key_implILNS1_25lookback_scan_determinismE0ELb1ES3_N6thrust23THRUST_200600_302600_NS6detail15normal_iteratorINS9_10device_ptrIxEEEESE_SE_xNS9_4plusIvEENS9_8equal_toIvEExEE10hipError_tPvRmT2_T3_T4_T5_mT6_T7_P12ihipStream_tbENKUlT_T0_E_clISt17integral_constantIbLb0EESZ_EEDaSU_SV_EUlSU_E_NS1_11comp_targetILNS1_3genE9ELNS1_11target_archE1100ELNS1_3gpuE3ELNS1_3repE0EEENS1_30default_config_static_selectorELNS0_4arch9wavefront6targetE1EEEvT1_: ; @_ZN7rocprim17ROCPRIM_400000_NS6detail17trampoline_kernelINS0_14default_configENS1_27scan_by_key_config_selectorIxxEEZZNS1_16scan_by_key_implILNS1_25lookback_scan_determinismE0ELb1ES3_N6thrust23THRUST_200600_302600_NS6detail15normal_iteratorINS9_10device_ptrIxEEEESE_SE_xNS9_4plusIvEENS9_8equal_toIvEExEE10hipError_tPvRmT2_T3_T4_T5_mT6_T7_P12ihipStream_tbENKUlT_T0_E_clISt17integral_constantIbLb0EESZ_EEDaSU_SV_EUlSU_E_NS1_11comp_targetILNS1_3genE9ELNS1_11target_archE1100ELNS1_3gpuE3ELNS1_3repE0EEENS1_30default_config_static_selectorELNS0_4arch9wavefront6targetE1EEEvT1_
; %bb.0:
	.section	.rodata,"a",@progbits
	.p2align	6, 0x0
	.amdhsa_kernel _ZN7rocprim17ROCPRIM_400000_NS6detail17trampoline_kernelINS0_14default_configENS1_27scan_by_key_config_selectorIxxEEZZNS1_16scan_by_key_implILNS1_25lookback_scan_determinismE0ELb1ES3_N6thrust23THRUST_200600_302600_NS6detail15normal_iteratorINS9_10device_ptrIxEEEESE_SE_xNS9_4plusIvEENS9_8equal_toIvEExEE10hipError_tPvRmT2_T3_T4_T5_mT6_T7_P12ihipStream_tbENKUlT_T0_E_clISt17integral_constantIbLb0EESZ_EEDaSU_SV_EUlSU_E_NS1_11comp_targetILNS1_3genE9ELNS1_11target_archE1100ELNS1_3gpuE3ELNS1_3repE0EEENS1_30default_config_static_selectorELNS0_4arch9wavefront6targetE1EEEvT1_
		.amdhsa_group_segment_fixed_size 0
		.amdhsa_private_segment_fixed_size 0
		.amdhsa_kernarg_size 136
		.amdhsa_user_sgpr_count 2
		.amdhsa_user_sgpr_dispatch_ptr 0
		.amdhsa_user_sgpr_queue_ptr 0
		.amdhsa_user_sgpr_kernarg_segment_ptr 1
		.amdhsa_user_sgpr_dispatch_id 0
		.amdhsa_user_sgpr_kernarg_preload_length 0
		.amdhsa_user_sgpr_kernarg_preload_offset 0
		.amdhsa_user_sgpr_private_segment_size 0
		.amdhsa_uses_dynamic_stack 0
		.amdhsa_enable_private_segment 0
		.amdhsa_system_sgpr_workgroup_id_x 1
		.amdhsa_system_sgpr_workgroup_id_y 0
		.amdhsa_system_sgpr_workgroup_id_z 0
		.amdhsa_system_sgpr_workgroup_info 0
		.amdhsa_system_vgpr_workitem_id 0
		.amdhsa_next_free_vgpr 1
		.amdhsa_next_free_sgpr 0
		.amdhsa_accum_offset 4
		.amdhsa_reserve_vcc 0
		.amdhsa_float_round_mode_32 0
		.amdhsa_float_round_mode_16_64 0
		.amdhsa_float_denorm_mode_32 3
		.amdhsa_float_denorm_mode_16_64 3
		.amdhsa_dx10_clamp 1
		.amdhsa_ieee_mode 1
		.amdhsa_fp16_overflow 0
		.amdhsa_tg_split 0
		.amdhsa_exception_fp_ieee_invalid_op 0
		.amdhsa_exception_fp_denorm_src 0
		.amdhsa_exception_fp_ieee_div_zero 0
		.amdhsa_exception_fp_ieee_overflow 0
		.amdhsa_exception_fp_ieee_underflow 0
		.amdhsa_exception_fp_ieee_inexact 0
		.amdhsa_exception_int_div_zero 0
	.end_amdhsa_kernel
	.section	.text._ZN7rocprim17ROCPRIM_400000_NS6detail17trampoline_kernelINS0_14default_configENS1_27scan_by_key_config_selectorIxxEEZZNS1_16scan_by_key_implILNS1_25lookback_scan_determinismE0ELb1ES3_N6thrust23THRUST_200600_302600_NS6detail15normal_iteratorINS9_10device_ptrIxEEEESE_SE_xNS9_4plusIvEENS9_8equal_toIvEExEE10hipError_tPvRmT2_T3_T4_T5_mT6_T7_P12ihipStream_tbENKUlT_T0_E_clISt17integral_constantIbLb0EESZ_EEDaSU_SV_EUlSU_E_NS1_11comp_targetILNS1_3genE9ELNS1_11target_archE1100ELNS1_3gpuE3ELNS1_3repE0EEENS1_30default_config_static_selectorELNS0_4arch9wavefront6targetE1EEEvT1_,"axG",@progbits,_ZN7rocprim17ROCPRIM_400000_NS6detail17trampoline_kernelINS0_14default_configENS1_27scan_by_key_config_selectorIxxEEZZNS1_16scan_by_key_implILNS1_25lookback_scan_determinismE0ELb1ES3_N6thrust23THRUST_200600_302600_NS6detail15normal_iteratorINS9_10device_ptrIxEEEESE_SE_xNS9_4plusIvEENS9_8equal_toIvEExEE10hipError_tPvRmT2_T3_T4_T5_mT6_T7_P12ihipStream_tbENKUlT_T0_E_clISt17integral_constantIbLb0EESZ_EEDaSU_SV_EUlSU_E_NS1_11comp_targetILNS1_3genE9ELNS1_11target_archE1100ELNS1_3gpuE3ELNS1_3repE0EEENS1_30default_config_static_selectorELNS0_4arch9wavefront6targetE1EEEvT1_,comdat
.Lfunc_end360:
	.size	_ZN7rocprim17ROCPRIM_400000_NS6detail17trampoline_kernelINS0_14default_configENS1_27scan_by_key_config_selectorIxxEEZZNS1_16scan_by_key_implILNS1_25lookback_scan_determinismE0ELb1ES3_N6thrust23THRUST_200600_302600_NS6detail15normal_iteratorINS9_10device_ptrIxEEEESE_SE_xNS9_4plusIvEENS9_8equal_toIvEExEE10hipError_tPvRmT2_T3_T4_T5_mT6_T7_P12ihipStream_tbENKUlT_T0_E_clISt17integral_constantIbLb0EESZ_EEDaSU_SV_EUlSU_E_NS1_11comp_targetILNS1_3genE9ELNS1_11target_archE1100ELNS1_3gpuE3ELNS1_3repE0EEENS1_30default_config_static_selectorELNS0_4arch9wavefront6targetE1EEEvT1_, .Lfunc_end360-_ZN7rocprim17ROCPRIM_400000_NS6detail17trampoline_kernelINS0_14default_configENS1_27scan_by_key_config_selectorIxxEEZZNS1_16scan_by_key_implILNS1_25lookback_scan_determinismE0ELb1ES3_N6thrust23THRUST_200600_302600_NS6detail15normal_iteratorINS9_10device_ptrIxEEEESE_SE_xNS9_4plusIvEENS9_8equal_toIvEExEE10hipError_tPvRmT2_T3_T4_T5_mT6_T7_P12ihipStream_tbENKUlT_T0_E_clISt17integral_constantIbLb0EESZ_EEDaSU_SV_EUlSU_E_NS1_11comp_targetILNS1_3genE9ELNS1_11target_archE1100ELNS1_3gpuE3ELNS1_3repE0EEENS1_30default_config_static_selectorELNS0_4arch9wavefront6targetE1EEEvT1_
                                        ; -- End function
	.section	.AMDGPU.csdata,"",@progbits
; Kernel info:
; codeLenInByte = 0
; NumSgprs: 6
; NumVgprs: 0
; NumAgprs: 0
; TotalNumVgprs: 0
; ScratchSize: 0
; MemoryBound: 0
; FloatMode: 240
; IeeeMode: 1
; LDSByteSize: 0 bytes/workgroup (compile time only)
; SGPRBlocks: 0
; VGPRBlocks: 0
; NumSGPRsForWavesPerEU: 6
; NumVGPRsForWavesPerEU: 1
; AccumOffset: 4
; Occupancy: 8
; WaveLimiterHint : 0
; COMPUTE_PGM_RSRC2:SCRATCH_EN: 0
; COMPUTE_PGM_RSRC2:USER_SGPR: 2
; COMPUTE_PGM_RSRC2:TRAP_HANDLER: 0
; COMPUTE_PGM_RSRC2:TGID_X_EN: 1
; COMPUTE_PGM_RSRC2:TGID_Y_EN: 0
; COMPUTE_PGM_RSRC2:TGID_Z_EN: 0
; COMPUTE_PGM_RSRC2:TIDIG_COMP_CNT: 0
; COMPUTE_PGM_RSRC3_GFX90A:ACCUM_OFFSET: 0
; COMPUTE_PGM_RSRC3_GFX90A:TG_SPLIT: 0
	.section	.text._ZN7rocprim17ROCPRIM_400000_NS6detail17trampoline_kernelINS0_14default_configENS1_27scan_by_key_config_selectorIxxEEZZNS1_16scan_by_key_implILNS1_25lookback_scan_determinismE0ELb1ES3_N6thrust23THRUST_200600_302600_NS6detail15normal_iteratorINS9_10device_ptrIxEEEESE_SE_xNS9_4plusIvEENS9_8equal_toIvEExEE10hipError_tPvRmT2_T3_T4_T5_mT6_T7_P12ihipStream_tbENKUlT_T0_E_clISt17integral_constantIbLb0EESZ_EEDaSU_SV_EUlSU_E_NS1_11comp_targetILNS1_3genE8ELNS1_11target_archE1030ELNS1_3gpuE2ELNS1_3repE0EEENS1_30default_config_static_selectorELNS0_4arch9wavefront6targetE1EEEvT1_,"axG",@progbits,_ZN7rocprim17ROCPRIM_400000_NS6detail17trampoline_kernelINS0_14default_configENS1_27scan_by_key_config_selectorIxxEEZZNS1_16scan_by_key_implILNS1_25lookback_scan_determinismE0ELb1ES3_N6thrust23THRUST_200600_302600_NS6detail15normal_iteratorINS9_10device_ptrIxEEEESE_SE_xNS9_4plusIvEENS9_8equal_toIvEExEE10hipError_tPvRmT2_T3_T4_T5_mT6_T7_P12ihipStream_tbENKUlT_T0_E_clISt17integral_constantIbLb0EESZ_EEDaSU_SV_EUlSU_E_NS1_11comp_targetILNS1_3genE8ELNS1_11target_archE1030ELNS1_3gpuE2ELNS1_3repE0EEENS1_30default_config_static_selectorELNS0_4arch9wavefront6targetE1EEEvT1_,comdat
	.protected	_ZN7rocprim17ROCPRIM_400000_NS6detail17trampoline_kernelINS0_14default_configENS1_27scan_by_key_config_selectorIxxEEZZNS1_16scan_by_key_implILNS1_25lookback_scan_determinismE0ELb1ES3_N6thrust23THRUST_200600_302600_NS6detail15normal_iteratorINS9_10device_ptrIxEEEESE_SE_xNS9_4plusIvEENS9_8equal_toIvEExEE10hipError_tPvRmT2_T3_T4_T5_mT6_T7_P12ihipStream_tbENKUlT_T0_E_clISt17integral_constantIbLb0EESZ_EEDaSU_SV_EUlSU_E_NS1_11comp_targetILNS1_3genE8ELNS1_11target_archE1030ELNS1_3gpuE2ELNS1_3repE0EEENS1_30default_config_static_selectorELNS0_4arch9wavefront6targetE1EEEvT1_ ; -- Begin function _ZN7rocprim17ROCPRIM_400000_NS6detail17trampoline_kernelINS0_14default_configENS1_27scan_by_key_config_selectorIxxEEZZNS1_16scan_by_key_implILNS1_25lookback_scan_determinismE0ELb1ES3_N6thrust23THRUST_200600_302600_NS6detail15normal_iteratorINS9_10device_ptrIxEEEESE_SE_xNS9_4plusIvEENS9_8equal_toIvEExEE10hipError_tPvRmT2_T3_T4_T5_mT6_T7_P12ihipStream_tbENKUlT_T0_E_clISt17integral_constantIbLb0EESZ_EEDaSU_SV_EUlSU_E_NS1_11comp_targetILNS1_3genE8ELNS1_11target_archE1030ELNS1_3gpuE2ELNS1_3repE0EEENS1_30default_config_static_selectorELNS0_4arch9wavefront6targetE1EEEvT1_
	.globl	_ZN7rocprim17ROCPRIM_400000_NS6detail17trampoline_kernelINS0_14default_configENS1_27scan_by_key_config_selectorIxxEEZZNS1_16scan_by_key_implILNS1_25lookback_scan_determinismE0ELb1ES3_N6thrust23THRUST_200600_302600_NS6detail15normal_iteratorINS9_10device_ptrIxEEEESE_SE_xNS9_4plusIvEENS9_8equal_toIvEExEE10hipError_tPvRmT2_T3_T4_T5_mT6_T7_P12ihipStream_tbENKUlT_T0_E_clISt17integral_constantIbLb0EESZ_EEDaSU_SV_EUlSU_E_NS1_11comp_targetILNS1_3genE8ELNS1_11target_archE1030ELNS1_3gpuE2ELNS1_3repE0EEENS1_30default_config_static_selectorELNS0_4arch9wavefront6targetE1EEEvT1_
	.p2align	8
	.type	_ZN7rocprim17ROCPRIM_400000_NS6detail17trampoline_kernelINS0_14default_configENS1_27scan_by_key_config_selectorIxxEEZZNS1_16scan_by_key_implILNS1_25lookback_scan_determinismE0ELb1ES3_N6thrust23THRUST_200600_302600_NS6detail15normal_iteratorINS9_10device_ptrIxEEEESE_SE_xNS9_4plusIvEENS9_8equal_toIvEExEE10hipError_tPvRmT2_T3_T4_T5_mT6_T7_P12ihipStream_tbENKUlT_T0_E_clISt17integral_constantIbLb0EESZ_EEDaSU_SV_EUlSU_E_NS1_11comp_targetILNS1_3genE8ELNS1_11target_archE1030ELNS1_3gpuE2ELNS1_3repE0EEENS1_30default_config_static_selectorELNS0_4arch9wavefront6targetE1EEEvT1_,@function
_ZN7rocprim17ROCPRIM_400000_NS6detail17trampoline_kernelINS0_14default_configENS1_27scan_by_key_config_selectorIxxEEZZNS1_16scan_by_key_implILNS1_25lookback_scan_determinismE0ELb1ES3_N6thrust23THRUST_200600_302600_NS6detail15normal_iteratorINS9_10device_ptrIxEEEESE_SE_xNS9_4plusIvEENS9_8equal_toIvEExEE10hipError_tPvRmT2_T3_T4_T5_mT6_T7_P12ihipStream_tbENKUlT_T0_E_clISt17integral_constantIbLb0EESZ_EEDaSU_SV_EUlSU_E_NS1_11comp_targetILNS1_3genE8ELNS1_11target_archE1030ELNS1_3gpuE2ELNS1_3repE0EEENS1_30default_config_static_selectorELNS0_4arch9wavefront6targetE1EEEvT1_: ; @_ZN7rocprim17ROCPRIM_400000_NS6detail17trampoline_kernelINS0_14default_configENS1_27scan_by_key_config_selectorIxxEEZZNS1_16scan_by_key_implILNS1_25lookback_scan_determinismE0ELb1ES3_N6thrust23THRUST_200600_302600_NS6detail15normal_iteratorINS9_10device_ptrIxEEEESE_SE_xNS9_4plusIvEENS9_8equal_toIvEExEE10hipError_tPvRmT2_T3_T4_T5_mT6_T7_P12ihipStream_tbENKUlT_T0_E_clISt17integral_constantIbLb0EESZ_EEDaSU_SV_EUlSU_E_NS1_11comp_targetILNS1_3genE8ELNS1_11target_archE1030ELNS1_3gpuE2ELNS1_3repE0EEENS1_30default_config_static_selectorELNS0_4arch9wavefront6targetE1EEEvT1_
; %bb.0:
	.section	.rodata,"a",@progbits
	.p2align	6, 0x0
	.amdhsa_kernel _ZN7rocprim17ROCPRIM_400000_NS6detail17trampoline_kernelINS0_14default_configENS1_27scan_by_key_config_selectorIxxEEZZNS1_16scan_by_key_implILNS1_25lookback_scan_determinismE0ELb1ES3_N6thrust23THRUST_200600_302600_NS6detail15normal_iteratorINS9_10device_ptrIxEEEESE_SE_xNS9_4plusIvEENS9_8equal_toIvEExEE10hipError_tPvRmT2_T3_T4_T5_mT6_T7_P12ihipStream_tbENKUlT_T0_E_clISt17integral_constantIbLb0EESZ_EEDaSU_SV_EUlSU_E_NS1_11comp_targetILNS1_3genE8ELNS1_11target_archE1030ELNS1_3gpuE2ELNS1_3repE0EEENS1_30default_config_static_selectorELNS0_4arch9wavefront6targetE1EEEvT1_
		.amdhsa_group_segment_fixed_size 0
		.amdhsa_private_segment_fixed_size 0
		.amdhsa_kernarg_size 136
		.amdhsa_user_sgpr_count 2
		.amdhsa_user_sgpr_dispatch_ptr 0
		.amdhsa_user_sgpr_queue_ptr 0
		.amdhsa_user_sgpr_kernarg_segment_ptr 1
		.amdhsa_user_sgpr_dispatch_id 0
		.amdhsa_user_sgpr_kernarg_preload_length 0
		.amdhsa_user_sgpr_kernarg_preload_offset 0
		.amdhsa_user_sgpr_private_segment_size 0
		.amdhsa_uses_dynamic_stack 0
		.amdhsa_enable_private_segment 0
		.amdhsa_system_sgpr_workgroup_id_x 1
		.amdhsa_system_sgpr_workgroup_id_y 0
		.amdhsa_system_sgpr_workgroup_id_z 0
		.amdhsa_system_sgpr_workgroup_info 0
		.amdhsa_system_vgpr_workitem_id 0
		.amdhsa_next_free_vgpr 1
		.amdhsa_next_free_sgpr 0
		.amdhsa_accum_offset 4
		.amdhsa_reserve_vcc 0
		.amdhsa_float_round_mode_32 0
		.amdhsa_float_round_mode_16_64 0
		.amdhsa_float_denorm_mode_32 3
		.amdhsa_float_denorm_mode_16_64 3
		.amdhsa_dx10_clamp 1
		.amdhsa_ieee_mode 1
		.amdhsa_fp16_overflow 0
		.amdhsa_tg_split 0
		.amdhsa_exception_fp_ieee_invalid_op 0
		.amdhsa_exception_fp_denorm_src 0
		.amdhsa_exception_fp_ieee_div_zero 0
		.amdhsa_exception_fp_ieee_overflow 0
		.amdhsa_exception_fp_ieee_underflow 0
		.amdhsa_exception_fp_ieee_inexact 0
		.amdhsa_exception_int_div_zero 0
	.end_amdhsa_kernel
	.section	.text._ZN7rocprim17ROCPRIM_400000_NS6detail17trampoline_kernelINS0_14default_configENS1_27scan_by_key_config_selectorIxxEEZZNS1_16scan_by_key_implILNS1_25lookback_scan_determinismE0ELb1ES3_N6thrust23THRUST_200600_302600_NS6detail15normal_iteratorINS9_10device_ptrIxEEEESE_SE_xNS9_4plusIvEENS9_8equal_toIvEExEE10hipError_tPvRmT2_T3_T4_T5_mT6_T7_P12ihipStream_tbENKUlT_T0_E_clISt17integral_constantIbLb0EESZ_EEDaSU_SV_EUlSU_E_NS1_11comp_targetILNS1_3genE8ELNS1_11target_archE1030ELNS1_3gpuE2ELNS1_3repE0EEENS1_30default_config_static_selectorELNS0_4arch9wavefront6targetE1EEEvT1_,"axG",@progbits,_ZN7rocprim17ROCPRIM_400000_NS6detail17trampoline_kernelINS0_14default_configENS1_27scan_by_key_config_selectorIxxEEZZNS1_16scan_by_key_implILNS1_25lookback_scan_determinismE0ELb1ES3_N6thrust23THRUST_200600_302600_NS6detail15normal_iteratorINS9_10device_ptrIxEEEESE_SE_xNS9_4plusIvEENS9_8equal_toIvEExEE10hipError_tPvRmT2_T3_T4_T5_mT6_T7_P12ihipStream_tbENKUlT_T0_E_clISt17integral_constantIbLb0EESZ_EEDaSU_SV_EUlSU_E_NS1_11comp_targetILNS1_3genE8ELNS1_11target_archE1030ELNS1_3gpuE2ELNS1_3repE0EEENS1_30default_config_static_selectorELNS0_4arch9wavefront6targetE1EEEvT1_,comdat
.Lfunc_end361:
	.size	_ZN7rocprim17ROCPRIM_400000_NS6detail17trampoline_kernelINS0_14default_configENS1_27scan_by_key_config_selectorIxxEEZZNS1_16scan_by_key_implILNS1_25lookback_scan_determinismE0ELb1ES3_N6thrust23THRUST_200600_302600_NS6detail15normal_iteratorINS9_10device_ptrIxEEEESE_SE_xNS9_4plusIvEENS9_8equal_toIvEExEE10hipError_tPvRmT2_T3_T4_T5_mT6_T7_P12ihipStream_tbENKUlT_T0_E_clISt17integral_constantIbLb0EESZ_EEDaSU_SV_EUlSU_E_NS1_11comp_targetILNS1_3genE8ELNS1_11target_archE1030ELNS1_3gpuE2ELNS1_3repE0EEENS1_30default_config_static_selectorELNS0_4arch9wavefront6targetE1EEEvT1_, .Lfunc_end361-_ZN7rocprim17ROCPRIM_400000_NS6detail17trampoline_kernelINS0_14default_configENS1_27scan_by_key_config_selectorIxxEEZZNS1_16scan_by_key_implILNS1_25lookback_scan_determinismE0ELb1ES3_N6thrust23THRUST_200600_302600_NS6detail15normal_iteratorINS9_10device_ptrIxEEEESE_SE_xNS9_4plusIvEENS9_8equal_toIvEExEE10hipError_tPvRmT2_T3_T4_T5_mT6_T7_P12ihipStream_tbENKUlT_T0_E_clISt17integral_constantIbLb0EESZ_EEDaSU_SV_EUlSU_E_NS1_11comp_targetILNS1_3genE8ELNS1_11target_archE1030ELNS1_3gpuE2ELNS1_3repE0EEENS1_30default_config_static_selectorELNS0_4arch9wavefront6targetE1EEEvT1_
                                        ; -- End function
	.section	.AMDGPU.csdata,"",@progbits
; Kernel info:
; codeLenInByte = 0
; NumSgprs: 6
; NumVgprs: 0
; NumAgprs: 0
; TotalNumVgprs: 0
; ScratchSize: 0
; MemoryBound: 0
; FloatMode: 240
; IeeeMode: 1
; LDSByteSize: 0 bytes/workgroup (compile time only)
; SGPRBlocks: 0
; VGPRBlocks: 0
; NumSGPRsForWavesPerEU: 6
; NumVGPRsForWavesPerEU: 1
; AccumOffset: 4
; Occupancy: 8
; WaveLimiterHint : 0
; COMPUTE_PGM_RSRC2:SCRATCH_EN: 0
; COMPUTE_PGM_RSRC2:USER_SGPR: 2
; COMPUTE_PGM_RSRC2:TRAP_HANDLER: 0
; COMPUTE_PGM_RSRC2:TGID_X_EN: 1
; COMPUTE_PGM_RSRC2:TGID_Y_EN: 0
; COMPUTE_PGM_RSRC2:TGID_Z_EN: 0
; COMPUTE_PGM_RSRC2:TIDIG_COMP_CNT: 0
; COMPUTE_PGM_RSRC3_GFX90A:ACCUM_OFFSET: 0
; COMPUTE_PGM_RSRC3_GFX90A:TG_SPLIT: 0
	.section	.text._ZN7rocprim17ROCPRIM_400000_NS6detail17trampoline_kernelINS0_14default_configENS1_27scan_by_key_config_selectorIxxEEZZNS1_16scan_by_key_implILNS1_25lookback_scan_determinismE0ELb1ES3_N6thrust23THRUST_200600_302600_NS6detail15normal_iteratorINS9_10device_ptrIxEEEESE_SE_xNS9_4plusIvEENS9_8equal_toIvEExEE10hipError_tPvRmT2_T3_T4_T5_mT6_T7_P12ihipStream_tbENKUlT_T0_E_clISt17integral_constantIbLb1EESZ_EEDaSU_SV_EUlSU_E_NS1_11comp_targetILNS1_3genE0ELNS1_11target_archE4294967295ELNS1_3gpuE0ELNS1_3repE0EEENS1_30default_config_static_selectorELNS0_4arch9wavefront6targetE1EEEvT1_,"axG",@progbits,_ZN7rocprim17ROCPRIM_400000_NS6detail17trampoline_kernelINS0_14default_configENS1_27scan_by_key_config_selectorIxxEEZZNS1_16scan_by_key_implILNS1_25lookback_scan_determinismE0ELb1ES3_N6thrust23THRUST_200600_302600_NS6detail15normal_iteratorINS9_10device_ptrIxEEEESE_SE_xNS9_4plusIvEENS9_8equal_toIvEExEE10hipError_tPvRmT2_T3_T4_T5_mT6_T7_P12ihipStream_tbENKUlT_T0_E_clISt17integral_constantIbLb1EESZ_EEDaSU_SV_EUlSU_E_NS1_11comp_targetILNS1_3genE0ELNS1_11target_archE4294967295ELNS1_3gpuE0ELNS1_3repE0EEENS1_30default_config_static_selectorELNS0_4arch9wavefront6targetE1EEEvT1_,comdat
	.protected	_ZN7rocprim17ROCPRIM_400000_NS6detail17trampoline_kernelINS0_14default_configENS1_27scan_by_key_config_selectorIxxEEZZNS1_16scan_by_key_implILNS1_25lookback_scan_determinismE0ELb1ES3_N6thrust23THRUST_200600_302600_NS6detail15normal_iteratorINS9_10device_ptrIxEEEESE_SE_xNS9_4plusIvEENS9_8equal_toIvEExEE10hipError_tPvRmT2_T3_T4_T5_mT6_T7_P12ihipStream_tbENKUlT_T0_E_clISt17integral_constantIbLb1EESZ_EEDaSU_SV_EUlSU_E_NS1_11comp_targetILNS1_3genE0ELNS1_11target_archE4294967295ELNS1_3gpuE0ELNS1_3repE0EEENS1_30default_config_static_selectorELNS0_4arch9wavefront6targetE1EEEvT1_ ; -- Begin function _ZN7rocprim17ROCPRIM_400000_NS6detail17trampoline_kernelINS0_14default_configENS1_27scan_by_key_config_selectorIxxEEZZNS1_16scan_by_key_implILNS1_25lookback_scan_determinismE0ELb1ES3_N6thrust23THRUST_200600_302600_NS6detail15normal_iteratorINS9_10device_ptrIxEEEESE_SE_xNS9_4plusIvEENS9_8equal_toIvEExEE10hipError_tPvRmT2_T3_T4_T5_mT6_T7_P12ihipStream_tbENKUlT_T0_E_clISt17integral_constantIbLb1EESZ_EEDaSU_SV_EUlSU_E_NS1_11comp_targetILNS1_3genE0ELNS1_11target_archE4294967295ELNS1_3gpuE0ELNS1_3repE0EEENS1_30default_config_static_selectorELNS0_4arch9wavefront6targetE1EEEvT1_
	.globl	_ZN7rocprim17ROCPRIM_400000_NS6detail17trampoline_kernelINS0_14default_configENS1_27scan_by_key_config_selectorIxxEEZZNS1_16scan_by_key_implILNS1_25lookback_scan_determinismE0ELb1ES3_N6thrust23THRUST_200600_302600_NS6detail15normal_iteratorINS9_10device_ptrIxEEEESE_SE_xNS9_4plusIvEENS9_8equal_toIvEExEE10hipError_tPvRmT2_T3_T4_T5_mT6_T7_P12ihipStream_tbENKUlT_T0_E_clISt17integral_constantIbLb1EESZ_EEDaSU_SV_EUlSU_E_NS1_11comp_targetILNS1_3genE0ELNS1_11target_archE4294967295ELNS1_3gpuE0ELNS1_3repE0EEENS1_30default_config_static_selectorELNS0_4arch9wavefront6targetE1EEEvT1_
	.p2align	8
	.type	_ZN7rocprim17ROCPRIM_400000_NS6detail17trampoline_kernelINS0_14default_configENS1_27scan_by_key_config_selectorIxxEEZZNS1_16scan_by_key_implILNS1_25lookback_scan_determinismE0ELb1ES3_N6thrust23THRUST_200600_302600_NS6detail15normal_iteratorINS9_10device_ptrIxEEEESE_SE_xNS9_4plusIvEENS9_8equal_toIvEExEE10hipError_tPvRmT2_T3_T4_T5_mT6_T7_P12ihipStream_tbENKUlT_T0_E_clISt17integral_constantIbLb1EESZ_EEDaSU_SV_EUlSU_E_NS1_11comp_targetILNS1_3genE0ELNS1_11target_archE4294967295ELNS1_3gpuE0ELNS1_3repE0EEENS1_30default_config_static_selectorELNS0_4arch9wavefront6targetE1EEEvT1_,@function
_ZN7rocprim17ROCPRIM_400000_NS6detail17trampoline_kernelINS0_14default_configENS1_27scan_by_key_config_selectorIxxEEZZNS1_16scan_by_key_implILNS1_25lookback_scan_determinismE0ELb1ES3_N6thrust23THRUST_200600_302600_NS6detail15normal_iteratorINS9_10device_ptrIxEEEESE_SE_xNS9_4plusIvEENS9_8equal_toIvEExEE10hipError_tPvRmT2_T3_T4_T5_mT6_T7_P12ihipStream_tbENKUlT_T0_E_clISt17integral_constantIbLb1EESZ_EEDaSU_SV_EUlSU_E_NS1_11comp_targetILNS1_3genE0ELNS1_11target_archE4294967295ELNS1_3gpuE0ELNS1_3repE0EEENS1_30default_config_static_selectorELNS0_4arch9wavefront6targetE1EEEvT1_: ; @_ZN7rocprim17ROCPRIM_400000_NS6detail17trampoline_kernelINS0_14default_configENS1_27scan_by_key_config_selectorIxxEEZZNS1_16scan_by_key_implILNS1_25lookback_scan_determinismE0ELb1ES3_N6thrust23THRUST_200600_302600_NS6detail15normal_iteratorINS9_10device_ptrIxEEEESE_SE_xNS9_4plusIvEENS9_8equal_toIvEExEE10hipError_tPvRmT2_T3_T4_T5_mT6_T7_P12ihipStream_tbENKUlT_T0_E_clISt17integral_constantIbLb1EESZ_EEDaSU_SV_EUlSU_E_NS1_11comp_targetILNS1_3genE0ELNS1_11target_archE4294967295ELNS1_3gpuE0ELNS1_3repE0EEENS1_30default_config_static_selectorELNS0_4arch9wavefront6targetE1EEEvT1_
; %bb.0:
	.section	.rodata,"a",@progbits
	.p2align	6, 0x0
	.amdhsa_kernel _ZN7rocprim17ROCPRIM_400000_NS6detail17trampoline_kernelINS0_14default_configENS1_27scan_by_key_config_selectorIxxEEZZNS1_16scan_by_key_implILNS1_25lookback_scan_determinismE0ELb1ES3_N6thrust23THRUST_200600_302600_NS6detail15normal_iteratorINS9_10device_ptrIxEEEESE_SE_xNS9_4plusIvEENS9_8equal_toIvEExEE10hipError_tPvRmT2_T3_T4_T5_mT6_T7_P12ihipStream_tbENKUlT_T0_E_clISt17integral_constantIbLb1EESZ_EEDaSU_SV_EUlSU_E_NS1_11comp_targetILNS1_3genE0ELNS1_11target_archE4294967295ELNS1_3gpuE0ELNS1_3repE0EEENS1_30default_config_static_selectorELNS0_4arch9wavefront6targetE1EEEvT1_
		.amdhsa_group_segment_fixed_size 0
		.amdhsa_private_segment_fixed_size 0
		.amdhsa_kernarg_size 136
		.amdhsa_user_sgpr_count 2
		.amdhsa_user_sgpr_dispatch_ptr 0
		.amdhsa_user_sgpr_queue_ptr 0
		.amdhsa_user_sgpr_kernarg_segment_ptr 1
		.amdhsa_user_sgpr_dispatch_id 0
		.amdhsa_user_sgpr_kernarg_preload_length 0
		.amdhsa_user_sgpr_kernarg_preload_offset 0
		.amdhsa_user_sgpr_private_segment_size 0
		.amdhsa_uses_dynamic_stack 0
		.amdhsa_enable_private_segment 0
		.amdhsa_system_sgpr_workgroup_id_x 1
		.amdhsa_system_sgpr_workgroup_id_y 0
		.amdhsa_system_sgpr_workgroup_id_z 0
		.amdhsa_system_sgpr_workgroup_info 0
		.amdhsa_system_vgpr_workitem_id 0
		.amdhsa_next_free_vgpr 1
		.amdhsa_next_free_sgpr 0
		.amdhsa_accum_offset 4
		.amdhsa_reserve_vcc 0
		.amdhsa_float_round_mode_32 0
		.amdhsa_float_round_mode_16_64 0
		.amdhsa_float_denorm_mode_32 3
		.amdhsa_float_denorm_mode_16_64 3
		.amdhsa_dx10_clamp 1
		.amdhsa_ieee_mode 1
		.amdhsa_fp16_overflow 0
		.amdhsa_tg_split 0
		.amdhsa_exception_fp_ieee_invalid_op 0
		.amdhsa_exception_fp_denorm_src 0
		.amdhsa_exception_fp_ieee_div_zero 0
		.amdhsa_exception_fp_ieee_overflow 0
		.amdhsa_exception_fp_ieee_underflow 0
		.amdhsa_exception_fp_ieee_inexact 0
		.amdhsa_exception_int_div_zero 0
	.end_amdhsa_kernel
	.section	.text._ZN7rocprim17ROCPRIM_400000_NS6detail17trampoline_kernelINS0_14default_configENS1_27scan_by_key_config_selectorIxxEEZZNS1_16scan_by_key_implILNS1_25lookback_scan_determinismE0ELb1ES3_N6thrust23THRUST_200600_302600_NS6detail15normal_iteratorINS9_10device_ptrIxEEEESE_SE_xNS9_4plusIvEENS9_8equal_toIvEExEE10hipError_tPvRmT2_T3_T4_T5_mT6_T7_P12ihipStream_tbENKUlT_T0_E_clISt17integral_constantIbLb1EESZ_EEDaSU_SV_EUlSU_E_NS1_11comp_targetILNS1_3genE0ELNS1_11target_archE4294967295ELNS1_3gpuE0ELNS1_3repE0EEENS1_30default_config_static_selectorELNS0_4arch9wavefront6targetE1EEEvT1_,"axG",@progbits,_ZN7rocprim17ROCPRIM_400000_NS6detail17trampoline_kernelINS0_14default_configENS1_27scan_by_key_config_selectorIxxEEZZNS1_16scan_by_key_implILNS1_25lookback_scan_determinismE0ELb1ES3_N6thrust23THRUST_200600_302600_NS6detail15normal_iteratorINS9_10device_ptrIxEEEESE_SE_xNS9_4plusIvEENS9_8equal_toIvEExEE10hipError_tPvRmT2_T3_T4_T5_mT6_T7_P12ihipStream_tbENKUlT_T0_E_clISt17integral_constantIbLb1EESZ_EEDaSU_SV_EUlSU_E_NS1_11comp_targetILNS1_3genE0ELNS1_11target_archE4294967295ELNS1_3gpuE0ELNS1_3repE0EEENS1_30default_config_static_selectorELNS0_4arch9wavefront6targetE1EEEvT1_,comdat
.Lfunc_end362:
	.size	_ZN7rocprim17ROCPRIM_400000_NS6detail17trampoline_kernelINS0_14default_configENS1_27scan_by_key_config_selectorIxxEEZZNS1_16scan_by_key_implILNS1_25lookback_scan_determinismE0ELb1ES3_N6thrust23THRUST_200600_302600_NS6detail15normal_iteratorINS9_10device_ptrIxEEEESE_SE_xNS9_4plusIvEENS9_8equal_toIvEExEE10hipError_tPvRmT2_T3_T4_T5_mT6_T7_P12ihipStream_tbENKUlT_T0_E_clISt17integral_constantIbLb1EESZ_EEDaSU_SV_EUlSU_E_NS1_11comp_targetILNS1_3genE0ELNS1_11target_archE4294967295ELNS1_3gpuE0ELNS1_3repE0EEENS1_30default_config_static_selectorELNS0_4arch9wavefront6targetE1EEEvT1_, .Lfunc_end362-_ZN7rocprim17ROCPRIM_400000_NS6detail17trampoline_kernelINS0_14default_configENS1_27scan_by_key_config_selectorIxxEEZZNS1_16scan_by_key_implILNS1_25lookback_scan_determinismE0ELb1ES3_N6thrust23THRUST_200600_302600_NS6detail15normal_iteratorINS9_10device_ptrIxEEEESE_SE_xNS9_4plusIvEENS9_8equal_toIvEExEE10hipError_tPvRmT2_T3_T4_T5_mT6_T7_P12ihipStream_tbENKUlT_T0_E_clISt17integral_constantIbLb1EESZ_EEDaSU_SV_EUlSU_E_NS1_11comp_targetILNS1_3genE0ELNS1_11target_archE4294967295ELNS1_3gpuE0ELNS1_3repE0EEENS1_30default_config_static_selectorELNS0_4arch9wavefront6targetE1EEEvT1_
                                        ; -- End function
	.section	.AMDGPU.csdata,"",@progbits
; Kernel info:
; codeLenInByte = 0
; NumSgprs: 6
; NumVgprs: 0
; NumAgprs: 0
; TotalNumVgprs: 0
; ScratchSize: 0
; MemoryBound: 0
; FloatMode: 240
; IeeeMode: 1
; LDSByteSize: 0 bytes/workgroup (compile time only)
; SGPRBlocks: 0
; VGPRBlocks: 0
; NumSGPRsForWavesPerEU: 6
; NumVGPRsForWavesPerEU: 1
; AccumOffset: 4
; Occupancy: 8
; WaveLimiterHint : 0
; COMPUTE_PGM_RSRC2:SCRATCH_EN: 0
; COMPUTE_PGM_RSRC2:USER_SGPR: 2
; COMPUTE_PGM_RSRC2:TRAP_HANDLER: 0
; COMPUTE_PGM_RSRC2:TGID_X_EN: 1
; COMPUTE_PGM_RSRC2:TGID_Y_EN: 0
; COMPUTE_PGM_RSRC2:TGID_Z_EN: 0
; COMPUTE_PGM_RSRC2:TIDIG_COMP_CNT: 0
; COMPUTE_PGM_RSRC3_GFX90A:ACCUM_OFFSET: 0
; COMPUTE_PGM_RSRC3_GFX90A:TG_SPLIT: 0
	.section	.text._ZN7rocprim17ROCPRIM_400000_NS6detail17trampoline_kernelINS0_14default_configENS1_27scan_by_key_config_selectorIxxEEZZNS1_16scan_by_key_implILNS1_25lookback_scan_determinismE0ELb1ES3_N6thrust23THRUST_200600_302600_NS6detail15normal_iteratorINS9_10device_ptrIxEEEESE_SE_xNS9_4plusIvEENS9_8equal_toIvEExEE10hipError_tPvRmT2_T3_T4_T5_mT6_T7_P12ihipStream_tbENKUlT_T0_E_clISt17integral_constantIbLb1EESZ_EEDaSU_SV_EUlSU_E_NS1_11comp_targetILNS1_3genE10ELNS1_11target_archE1201ELNS1_3gpuE5ELNS1_3repE0EEENS1_30default_config_static_selectorELNS0_4arch9wavefront6targetE1EEEvT1_,"axG",@progbits,_ZN7rocprim17ROCPRIM_400000_NS6detail17trampoline_kernelINS0_14default_configENS1_27scan_by_key_config_selectorIxxEEZZNS1_16scan_by_key_implILNS1_25lookback_scan_determinismE0ELb1ES3_N6thrust23THRUST_200600_302600_NS6detail15normal_iteratorINS9_10device_ptrIxEEEESE_SE_xNS9_4plusIvEENS9_8equal_toIvEExEE10hipError_tPvRmT2_T3_T4_T5_mT6_T7_P12ihipStream_tbENKUlT_T0_E_clISt17integral_constantIbLb1EESZ_EEDaSU_SV_EUlSU_E_NS1_11comp_targetILNS1_3genE10ELNS1_11target_archE1201ELNS1_3gpuE5ELNS1_3repE0EEENS1_30default_config_static_selectorELNS0_4arch9wavefront6targetE1EEEvT1_,comdat
	.protected	_ZN7rocprim17ROCPRIM_400000_NS6detail17trampoline_kernelINS0_14default_configENS1_27scan_by_key_config_selectorIxxEEZZNS1_16scan_by_key_implILNS1_25lookback_scan_determinismE0ELb1ES3_N6thrust23THRUST_200600_302600_NS6detail15normal_iteratorINS9_10device_ptrIxEEEESE_SE_xNS9_4plusIvEENS9_8equal_toIvEExEE10hipError_tPvRmT2_T3_T4_T5_mT6_T7_P12ihipStream_tbENKUlT_T0_E_clISt17integral_constantIbLb1EESZ_EEDaSU_SV_EUlSU_E_NS1_11comp_targetILNS1_3genE10ELNS1_11target_archE1201ELNS1_3gpuE5ELNS1_3repE0EEENS1_30default_config_static_selectorELNS0_4arch9wavefront6targetE1EEEvT1_ ; -- Begin function _ZN7rocprim17ROCPRIM_400000_NS6detail17trampoline_kernelINS0_14default_configENS1_27scan_by_key_config_selectorIxxEEZZNS1_16scan_by_key_implILNS1_25lookback_scan_determinismE0ELb1ES3_N6thrust23THRUST_200600_302600_NS6detail15normal_iteratorINS9_10device_ptrIxEEEESE_SE_xNS9_4plusIvEENS9_8equal_toIvEExEE10hipError_tPvRmT2_T3_T4_T5_mT6_T7_P12ihipStream_tbENKUlT_T0_E_clISt17integral_constantIbLb1EESZ_EEDaSU_SV_EUlSU_E_NS1_11comp_targetILNS1_3genE10ELNS1_11target_archE1201ELNS1_3gpuE5ELNS1_3repE0EEENS1_30default_config_static_selectorELNS0_4arch9wavefront6targetE1EEEvT1_
	.globl	_ZN7rocprim17ROCPRIM_400000_NS6detail17trampoline_kernelINS0_14default_configENS1_27scan_by_key_config_selectorIxxEEZZNS1_16scan_by_key_implILNS1_25lookback_scan_determinismE0ELb1ES3_N6thrust23THRUST_200600_302600_NS6detail15normal_iteratorINS9_10device_ptrIxEEEESE_SE_xNS9_4plusIvEENS9_8equal_toIvEExEE10hipError_tPvRmT2_T3_T4_T5_mT6_T7_P12ihipStream_tbENKUlT_T0_E_clISt17integral_constantIbLb1EESZ_EEDaSU_SV_EUlSU_E_NS1_11comp_targetILNS1_3genE10ELNS1_11target_archE1201ELNS1_3gpuE5ELNS1_3repE0EEENS1_30default_config_static_selectorELNS0_4arch9wavefront6targetE1EEEvT1_
	.p2align	8
	.type	_ZN7rocprim17ROCPRIM_400000_NS6detail17trampoline_kernelINS0_14default_configENS1_27scan_by_key_config_selectorIxxEEZZNS1_16scan_by_key_implILNS1_25lookback_scan_determinismE0ELb1ES3_N6thrust23THRUST_200600_302600_NS6detail15normal_iteratorINS9_10device_ptrIxEEEESE_SE_xNS9_4plusIvEENS9_8equal_toIvEExEE10hipError_tPvRmT2_T3_T4_T5_mT6_T7_P12ihipStream_tbENKUlT_T0_E_clISt17integral_constantIbLb1EESZ_EEDaSU_SV_EUlSU_E_NS1_11comp_targetILNS1_3genE10ELNS1_11target_archE1201ELNS1_3gpuE5ELNS1_3repE0EEENS1_30default_config_static_selectorELNS0_4arch9wavefront6targetE1EEEvT1_,@function
_ZN7rocprim17ROCPRIM_400000_NS6detail17trampoline_kernelINS0_14default_configENS1_27scan_by_key_config_selectorIxxEEZZNS1_16scan_by_key_implILNS1_25lookback_scan_determinismE0ELb1ES3_N6thrust23THRUST_200600_302600_NS6detail15normal_iteratorINS9_10device_ptrIxEEEESE_SE_xNS9_4plusIvEENS9_8equal_toIvEExEE10hipError_tPvRmT2_T3_T4_T5_mT6_T7_P12ihipStream_tbENKUlT_T0_E_clISt17integral_constantIbLb1EESZ_EEDaSU_SV_EUlSU_E_NS1_11comp_targetILNS1_3genE10ELNS1_11target_archE1201ELNS1_3gpuE5ELNS1_3repE0EEENS1_30default_config_static_selectorELNS0_4arch9wavefront6targetE1EEEvT1_: ; @_ZN7rocprim17ROCPRIM_400000_NS6detail17trampoline_kernelINS0_14default_configENS1_27scan_by_key_config_selectorIxxEEZZNS1_16scan_by_key_implILNS1_25lookback_scan_determinismE0ELb1ES3_N6thrust23THRUST_200600_302600_NS6detail15normal_iteratorINS9_10device_ptrIxEEEESE_SE_xNS9_4plusIvEENS9_8equal_toIvEExEE10hipError_tPvRmT2_T3_T4_T5_mT6_T7_P12ihipStream_tbENKUlT_T0_E_clISt17integral_constantIbLb1EESZ_EEDaSU_SV_EUlSU_E_NS1_11comp_targetILNS1_3genE10ELNS1_11target_archE1201ELNS1_3gpuE5ELNS1_3repE0EEENS1_30default_config_static_selectorELNS0_4arch9wavefront6targetE1EEEvT1_
; %bb.0:
	.section	.rodata,"a",@progbits
	.p2align	6, 0x0
	.amdhsa_kernel _ZN7rocprim17ROCPRIM_400000_NS6detail17trampoline_kernelINS0_14default_configENS1_27scan_by_key_config_selectorIxxEEZZNS1_16scan_by_key_implILNS1_25lookback_scan_determinismE0ELb1ES3_N6thrust23THRUST_200600_302600_NS6detail15normal_iteratorINS9_10device_ptrIxEEEESE_SE_xNS9_4plusIvEENS9_8equal_toIvEExEE10hipError_tPvRmT2_T3_T4_T5_mT6_T7_P12ihipStream_tbENKUlT_T0_E_clISt17integral_constantIbLb1EESZ_EEDaSU_SV_EUlSU_E_NS1_11comp_targetILNS1_3genE10ELNS1_11target_archE1201ELNS1_3gpuE5ELNS1_3repE0EEENS1_30default_config_static_selectorELNS0_4arch9wavefront6targetE1EEEvT1_
		.amdhsa_group_segment_fixed_size 0
		.amdhsa_private_segment_fixed_size 0
		.amdhsa_kernarg_size 136
		.amdhsa_user_sgpr_count 2
		.amdhsa_user_sgpr_dispatch_ptr 0
		.amdhsa_user_sgpr_queue_ptr 0
		.amdhsa_user_sgpr_kernarg_segment_ptr 1
		.amdhsa_user_sgpr_dispatch_id 0
		.amdhsa_user_sgpr_kernarg_preload_length 0
		.amdhsa_user_sgpr_kernarg_preload_offset 0
		.amdhsa_user_sgpr_private_segment_size 0
		.amdhsa_uses_dynamic_stack 0
		.amdhsa_enable_private_segment 0
		.amdhsa_system_sgpr_workgroup_id_x 1
		.amdhsa_system_sgpr_workgroup_id_y 0
		.amdhsa_system_sgpr_workgroup_id_z 0
		.amdhsa_system_sgpr_workgroup_info 0
		.amdhsa_system_vgpr_workitem_id 0
		.amdhsa_next_free_vgpr 1
		.amdhsa_next_free_sgpr 0
		.amdhsa_accum_offset 4
		.amdhsa_reserve_vcc 0
		.amdhsa_float_round_mode_32 0
		.amdhsa_float_round_mode_16_64 0
		.amdhsa_float_denorm_mode_32 3
		.amdhsa_float_denorm_mode_16_64 3
		.amdhsa_dx10_clamp 1
		.amdhsa_ieee_mode 1
		.amdhsa_fp16_overflow 0
		.amdhsa_tg_split 0
		.amdhsa_exception_fp_ieee_invalid_op 0
		.amdhsa_exception_fp_denorm_src 0
		.amdhsa_exception_fp_ieee_div_zero 0
		.amdhsa_exception_fp_ieee_overflow 0
		.amdhsa_exception_fp_ieee_underflow 0
		.amdhsa_exception_fp_ieee_inexact 0
		.amdhsa_exception_int_div_zero 0
	.end_amdhsa_kernel
	.section	.text._ZN7rocprim17ROCPRIM_400000_NS6detail17trampoline_kernelINS0_14default_configENS1_27scan_by_key_config_selectorIxxEEZZNS1_16scan_by_key_implILNS1_25lookback_scan_determinismE0ELb1ES3_N6thrust23THRUST_200600_302600_NS6detail15normal_iteratorINS9_10device_ptrIxEEEESE_SE_xNS9_4plusIvEENS9_8equal_toIvEExEE10hipError_tPvRmT2_T3_T4_T5_mT6_T7_P12ihipStream_tbENKUlT_T0_E_clISt17integral_constantIbLb1EESZ_EEDaSU_SV_EUlSU_E_NS1_11comp_targetILNS1_3genE10ELNS1_11target_archE1201ELNS1_3gpuE5ELNS1_3repE0EEENS1_30default_config_static_selectorELNS0_4arch9wavefront6targetE1EEEvT1_,"axG",@progbits,_ZN7rocprim17ROCPRIM_400000_NS6detail17trampoline_kernelINS0_14default_configENS1_27scan_by_key_config_selectorIxxEEZZNS1_16scan_by_key_implILNS1_25lookback_scan_determinismE0ELb1ES3_N6thrust23THRUST_200600_302600_NS6detail15normal_iteratorINS9_10device_ptrIxEEEESE_SE_xNS9_4plusIvEENS9_8equal_toIvEExEE10hipError_tPvRmT2_T3_T4_T5_mT6_T7_P12ihipStream_tbENKUlT_T0_E_clISt17integral_constantIbLb1EESZ_EEDaSU_SV_EUlSU_E_NS1_11comp_targetILNS1_3genE10ELNS1_11target_archE1201ELNS1_3gpuE5ELNS1_3repE0EEENS1_30default_config_static_selectorELNS0_4arch9wavefront6targetE1EEEvT1_,comdat
.Lfunc_end363:
	.size	_ZN7rocprim17ROCPRIM_400000_NS6detail17trampoline_kernelINS0_14default_configENS1_27scan_by_key_config_selectorIxxEEZZNS1_16scan_by_key_implILNS1_25lookback_scan_determinismE0ELb1ES3_N6thrust23THRUST_200600_302600_NS6detail15normal_iteratorINS9_10device_ptrIxEEEESE_SE_xNS9_4plusIvEENS9_8equal_toIvEExEE10hipError_tPvRmT2_T3_T4_T5_mT6_T7_P12ihipStream_tbENKUlT_T0_E_clISt17integral_constantIbLb1EESZ_EEDaSU_SV_EUlSU_E_NS1_11comp_targetILNS1_3genE10ELNS1_11target_archE1201ELNS1_3gpuE5ELNS1_3repE0EEENS1_30default_config_static_selectorELNS0_4arch9wavefront6targetE1EEEvT1_, .Lfunc_end363-_ZN7rocprim17ROCPRIM_400000_NS6detail17trampoline_kernelINS0_14default_configENS1_27scan_by_key_config_selectorIxxEEZZNS1_16scan_by_key_implILNS1_25lookback_scan_determinismE0ELb1ES3_N6thrust23THRUST_200600_302600_NS6detail15normal_iteratorINS9_10device_ptrIxEEEESE_SE_xNS9_4plusIvEENS9_8equal_toIvEExEE10hipError_tPvRmT2_T3_T4_T5_mT6_T7_P12ihipStream_tbENKUlT_T0_E_clISt17integral_constantIbLb1EESZ_EEDaSU_SV_EUlSU_E_NS1_11comp_targetILNS1_3genE10ELNS1_11target_archE1201ELNS1_3gpuE5ELNS1_3repE0EEENS1_30default_config_static_selectorELNS0_4arch9wavefront6targetE1EEEvT1_
                                        ; -- End function
	.section	.AMDGPU.csdata,"",@progbits
; Kernel info:
; codeLenInByte = 0
; NumSgprs: 6
; NumVgprs: 0
; NumAgprs: 0
; TotalNumVgprs: 0
; ScratchSize: 0
; MemoryBound: 0
; FloatMode: 240
; IeeeMode: 1
; LDSByteSize: 0 bytes/workgroup (compile time only)
; SGPRBlocks: 0
; VGPRBlocks: 0
; NumSGPRsForWavesPerEU: 6
; NumVGPRsForWavesPerEU: 1
; AccumOffset: 4
; Occupancy: 8
; WaveLimiterHint : 0
; COMPUTE_PGM_RSRC2:SCRATCH_EN: 0
; COMPUTE_PGM_RSRC2:USER_SGPR: 2
; COMPUTE_PGM_RSRC2:TRAP_HANDLER: 0
; COMPUTE_PGM_RSRC2:TGID_X_EN: 1
; COMPUTE_PGM_RSRC2:TGID_Y_EN: 0
; COMPUTE_PGM_RSRC2:TGID_Z_EN: 0
; COMPUTE_PGM_RSRC2:TIDIG_COMP_CNT: 0
; COMPUTE_PGM_RSRC3_GFX90A:ACCUM_OFFSET: 0
; COMPUTE_PGM_RSRC3_GFX90A:TG_SPLIT: 0
	.section	.text._ZN7rocprim17ROCPRIM_400000_NS6detail17trampoline_kernelINS0_14default_configENS1_27scan_by_key_config_selectorIxxEEZZNS1_16scan_by_key_implILNS1_25lookback_scan_determinismE0ELb1ES3_N6thrust23THRUST_200600_302600_NS6detail15normal_iteratorINS9_10device_ptrIxEEEESE_SE_xNS9_4plusIvEENS9_8equal_toIvEExEE10hipError_tPvRmT2_T3_T4_T5_mT6_T7_P12ihipStream_tbENKUlT_T0_E_clISt17integral_constantIbLb1EESZ_EEDaSU_SV_EUlSU_E_NS1_11comp_targetILNS1_3genE5ELNS1_11target_archE942ELNS1_3gpuE9ELNS1_3repE0EEENS1_30default_config_static_selectorELNS0_4arch9wavefront6targetE1EEEvT1_,"axG",@progbits,_ZN7rocprim17ROCPRIM_400000_NS6detail17trampoline_kernelINS0_14default_configENS1_27scan_by_key_config_selectorIxxEEZZNS1_16scan_by_key_implILNS1_25lookback_scan_determinismE0ELb1ES3_N6thrust23THRUST_200600_302600_NS6detail15normal_iteratorINS9_10device_ptrIxEEEESE_SE_xNS9_4plusIvEENS9_8equal_toIvEExEE10hipError_tPvRmT2_T3_T4_T5_mT6_T7_P12ihipStream_tbENKUlT_T0_E_clISt17integral_constantIbLb1EESZ_EEDaSU_SV_EUlSU_E_NS1_11comp_targetILNS1_3genE5ELNS1_11target_archE942ELNS1_3gpuE9ELNS1_3repE0EEENS1_30default_config_static_selectorELNS0_4arch9wavefront6targetE1EEEvT1_,comdat
	.protected	_ZN7rocprim17ROCPRIM_400000_NS6detail17trampoline_kernelINS0_14default_configENS1_27scan_by_key_config_selectorIxxEEZZNS1_16scan_by_key_implILNS1_25lookback_scan_determinismE0ELb1ES3_N6thrust23THRUST_200600_302600_NS6detail15normal_iteratorINS9_10device_ptrIxEEEESE_SE_xNS9_4plusIvEENS9_8equal_toIvEExEE10hipError_tPvRmT2_T3_T4_T5_mT6_T7_P12ihipStream_tbENKUlT_T0_E_clISt17integral_constantIbLb1EESZ_EEDaSU_SV_EUlSU_E_NS1_11comp_targetILNS1_3genE5ELNS1_11target_archE942ELNS1_3gpuE9ELNS1_3repE0EEENS1_30default_config_static_selectorELNS0_4arch9wavefront6targetE1EEEvT1_ ; -- Begin function _ZN7rocprim17ROCPRIM_400000_NS6detail17trampoline_kernelINS0_14default_configENS1_27scan_by_key_config_selectorIxxEEZZNS1_16scan_by_key_implILNS1_25lookback_scan_determinismE0ELb1ES3_N6thrust23THRUST_200600_302600_NS6detail15normal_iteratorINS9_10device_ptrIxEEEESE_SE_xNS9_4plusIvEENS9_8equal_toIvEExEE10hipError_tPvRmT2_T3_T4_T5_mT6_T7_P12ihipStream_tbENKUlT_T0_E_clISt17integral_constantIbLb1EESZ_EEDaSU_SV_EUlSU_E_NS1_11comp_targetILNS1_3genE5ELNS1_11target_archE942ELNS1_3gpuE9ELNS1_3repE0EEENS1_30default_config_static_selectorELNS0_4arch9wavefront6targetE1EEEvT1_
	.globl	_ZN7rocprim17ROCPRIM_400000_NS6detail17trampoline_kernelINS0_14default_configENS1_27scan_by_key_config_selectorIxxEEZZNS1_16scan_by_key_implILNS1_25lookback_scan_determinismE0ELb1ES3_N6thrust23THRUST_200600_302600_NS6detail15normal_iteratorINS9_10device_ptrIxEEEESE_SE_xNS9_4plusIvEENS9_8equal_toIvEExEE10hipError_tPvRmT2_T3_T4_T5_mT6_T7_P12ihipStream_tbENKUlT_T0_E_clISt17integral_constantIbLb1EESZ_EEDaSU_SV_EUlSU_E_NS1_11comp_targetILNS1_3genE5ELNS1_11target_archE942ELNS1_3gpuE9ELNS1_3repE0EEENS1_30default_config_static_selectorELNS0_4arch9wavefront6targetE1EEEvT1_
	.p2align	8
	.type	_ZN7rocprim17ROCPRIM_400000_NS6detail17trampoline_kernelINS0_14default_configENS1_27scan_by_key_config_selectorIxxEEZZNS1_16scan_by_key_implILNS1_25lookback_scan_determinismE0ELb1ES3_N6thrust23THRUST_200600_302600_NS6detail15normal_iteratorINS9_10device_ptrIxEEEESE_SE_xNS9_4plusIvEENS9_8equal_toIvEExEE10hipError_tPvRmT2_T3_T4_T5_mT6_T7_P12ihipStream_tbENKUlT_T0_E_clISt17integral_constantIbLb1EESZ_EEDaSU_SV_EUlSU_E_NS1_11comp_targetILNS1_3genE5ELNS1_11target_archE942ELNS1_3gpuE9ELNS1_3repE0EEENS1_30default_config_static_selectorELNS0_4arch9wavefront6targetE1EEEvT1_,@function
_ZN7rocprim17ROCPRIM_400000_NS6detail17trampoline_kernelINS0_14default_configENS1_27scan_by_key_config_selectorIxxEEZZNS1_16scan_by_key_implILNS1_25lookback_scan_determinismE0ELb1ES3_N6thrust23THRUST_200600_302600_NS6detail15normal_iteratorINS9_10device_ptrIxEEEESE_SE_xNS9_4plusIvEENS9_8equal_toIvEExEE10hipError_tPvRmT2_T3_T4_T5_mT6_T7_P12ihipStream_tbENKUlT_T0_E_clISt17integral_constantIbLb1EESZ_EEDaSU_SV_EUlSU_E_NS1_11comp_targetILNS1_3genE5ELNS1_11target_archE942ELNS1_3gpuE9ELNS1_3repE0EEENS1_30default_config_static_selectorELNS0_4arch9wavefront6targetE1EEEvT1_: ; @_ZN7rocprim17ROCPRIM_400000_NS6detail17trampoline_kernelINS0_14default_configENS1_27scan_by_key_config_selectorIxxEEZZNS1_16scan_by_key_implILNS1_25lookback_scan_determinismE0ELb1ES3_N6thrust23THRUST_200600_302600_NS6detail15normal_iteratorINS9_10device_ptrIxEEEESE_SE_xNS9_4plusIvEENS9_8equal_toIvEExEE10hipError_tPvRmT2_T3_T4_T5_mT6_T7_P12ihipStream_tbENKUlT_T0_E_clISt17integral_constantIbLb1EESZ_EEDaSU_SV_EUlSU_E_NS1_11comp_targetILNS1_3genE5ELNS1_11target_archE942ELNS1_3gpuE9ELNS1_3repE0EEENS1_30default_config_static_selectorELNS0_4arch9wavefront6targetE1EEEvT1_
; %bb.0:
	s_load_dwordx8 s[44:51], s[0:1], 0x0
	s_load_dwordx2 s[56:57], s[0:1], 0x20
	s_load_dwordx8 s[36:43], s[0:1], 0x30
	s_load_dwordx2 s[58:59], s[0:1], 0x50
	v_cmp_eq_u32_e64 s[30:31], 0, v0
	s_and_saveexec_b64 s[2:3], s[30:31]
	s_cbranch_execz .LBB364_4
; %bb.1:
	s_mov_b64 s[6:7], exec
	v_mbcnt_lo_u32_b32 v1, s6, 0
	v_mbcnt_hi_u32_b32 v1, s7, v1
	v_cmp_eq_u32_e32 vcc, 0, v1
                                        ; implicit-def: $vgpr2
	s_and_saveexec_b64 s[4:5], vcc
	s_cbranch_execz .LBB364_3
; %bb.2:
	s_load_dwordx2 s[8:9], s[0:1], 0x80
	s_bcnt1_i32_b64 s6, s[6:7]
	v_mov_b32_e32 v2, 0
	v_mov_b32_e32 v3, s6
	s_waitcnt lgkmcnt(0)
	global_atomic_add v2, v2, v3, s[8:9] sc0
.LBB364_3:
	s_or_b64 exec, exec, s[4:5]
	s_waitcnt vmcnt(0)
	v_readfirstlane_b32 s4, v2
	v_mov_b32_e32 v2, 0
	s_nop 0
	v_add_u32_e32 v1, s4, v1
	ds_write_b32 v2, v1
.LBB364_4:
	s_or_b64 exec, exec, s[2:3]
	s_load_dword s2, s[0:1], 0x58
	s_load_dwordx4 s[52:55], s[0:1], 0x60
	v_mov_b32_e32 v3, 0
	s_waitcnt lgkmcnt(0)
	s_lshl_b64 s[34:35], s[46:47], 3
	s_barrier
	ds_read_b32 v2, v3
	s_add_u32 s0, s44, s34
	s_addc_u32 s1, s45, s35
	s_add_u32 s4, s48, s34
	s_mul_i32 s3, s59, s2
	s_mul_hi_u32 s6, s58, s2
	s_addc_u32 s5, s49, s35
	s_add_i32 s3, s6, s3
	s_movk_i32 s6, 0xe00
	s_waitcnt lgkmcnt(0)
	v_mul_lo_u32 v4, v2, s6
	v_mov_b32_e32 v5, v3
	v_lshlrev_b64 v[54:55], 3, v[4:5]
	s_mul_i32 s2, s58, s2
	v_lshl_add_u64 v[62:63], s[4:5], 0, v[54:55]
	s_add_u32 s4, s52, -1
	v_readfirstlane_b32 s43, v2
	v_lshl_add_u64 v[2:3], s[2:3], 0, v[2:3]
	s_addc_u32 s5, s53, -1
	v_cmp_le_u64_e64 s[2:3], s[4:5], v[2:3]
	v_lshl_add_u64 v[64:65], s[0:1], 0, v[54:55]
	s_mov_b64 s[0:1], -1
	s_and_b64 vcc, exec, s[2:3]
	s_mul_i32 s33, s4, 0xfffff200
	s_barrier
	s_barrier
	s_cbranch_vccz .LBB364_80
; %bb.5:
	flat_load_dwordx2 v[2:3], v[64:65]
	s_add_i32 s48, s33, s42
	v_cmp_gt_u32_e32 vcc, s48, v0
	s_waitcnt vmcnt(0) lgkmcnt(0)
	v_mov_b64_e32 v[4:5], v[2:3]
	s_and_saveexec_b64 s[0:1], vcc
	s_cbranch_execz .LBB364_7
; %bb.6:
	v_lshlrev_b32_e32 v4, 3, v0
	v_mov_b32_e32 v5, 0
	v_lshl_add_u64 v[4:5], v[64:65], 0, v[4:5]
	flat_load_dwordx2 v[4:5], v[4:5]
.LBB364_7:
	s_or_b64 exec, exec, s[0:1]
	v_or_b32_e32 v1, 0x100, v0
	v_cmp_gt_u32_e64 s[4:5], s48, v1
	v_mov_b64_e32 v[6:7], v[2:3]
	s_and_saveexec_b64 s[0:1], s[4:5]
	s_cbranch_execz .LBB364_9
; %bb.8:
	v_lshlrev_b32_e32 v6, 3, v0
	v_mov_b32_e32 v7, 0
	v_lshl_add_u64 v[6:7], v[64:65], 0, v[6:7]
	flat_load_dwordx2 v[6:7], v[6:7] offset:2048
.LBB364_9:
	s_or_b64 exec, exec, s[0:1]
	v_or_b32_e32 v1, 0x200, v0
	v_cmp_gt_u32_e64 s[6:7], s48, v1
	v_mov_b64_e32 v[8:9], v[2:3]
	s_and_saveexec_b64 s[0:1], s[6:7]
	s_cbranch_execz .LBB364_11
; %bb.10:
	v_lshlrev_b32_e32 v8, 3, v1
	v_mov_b32_e32 v9, 0
	v_lshl_add_u64 v[8:9], v[64:65], 0, v[8:9]
	flat_load_dwordx2 v[8:9], v[8:9]
.LBB364_11:
	s_or_b64 exec, exec, s[0:1]
	v_or_b32_e32 v40, 0x300, v0
	v_cmp_gt_u32_e64 s[8:9], s48, v40
	v_mov_b64_e32 v[10:11], v[2:3]
	s_and_saveexec_b64 s[0:1], s[8:9]
	s_cbranch_execz .LBB364_13
; %bb.12:
	v_lshlrev_b32_e32 v10, 3, v40
	v_mov_b32_e32 v11, 0
	v_lshl_add_u64 v[10:11], v[64:65], 0, v[10:11]
	flat_load_dwordx2 v[10:11], v[10:11]
.LBB364_13:
	;; [unrolled: 12-line block ×11, first 2 shown]
	s_or_b64 exec, exec, s[0:1]
	v_or_b32_e32 v68, 0xd00, v0
	v_cmp_gt_u32_e64 s[28:29], s48, v68
	s_and_saveexec_b64 s[0:1], s[28:29]
	s_cbranch_execz .LBB364_33
; %bb.32:
	v_lshlrev_b32_e32 v2, 3, v68
	v_mov_b32_e32 v3, 0
	v_lshl_add_u64 v[2:3], v[64:65], 0, v[2:3]
	flat_load_dwordx2 v[2:3], v[2:3]
.LBB364_33:
	s_or_b64 exec, exec, s[0:1]
	v_lshlrev_b32_e32 v30, 3, v0
	s_waitcnt vmcnt(0) lgkmcnt(0)
	ds_write2st64_b64 v30, v[4:5], v[6:7] offset1:4
	ds_write2st64_b64 v30, v[8:9], v[10:11] offset0:8 offset1:12
	ds_write2st64_b64 v30, v[12:13], v[14:15] offset0:16 offset1:20
	;; [unrolled: 1-line block ×6, first 2 shown]
	s_waitcnt lgkmcnt(0)
	s_barrier
	flat_load_dwordx2 v[60:61], v[64:65]
	s_movk_i32 s0, 0x68
	v_mad_u32_u24 v80, v0, s0, v30
	s_movk_i32 s0, 0xff98
	v_mad_i32_i24 v31, v0, s0, v80
	s_movk_i32 s0, 0xff
	v_cmp_ne_u32_e64 s[0:1], s0, v0
	ds_read_b128 v[26:29], v80
	ds_read_b128 v[22:25], v80 offset:16
	ds_read_b128 v[18:21], v80 offset:32
	;; [unrolled: 1-line block ×6, first 2 shown]
	s_waitcnt lgkmcnt(0)
	ds_write_b64 v31, v[26:27] offset:30720
	s_waitcnt lgkmcnt(0)
	s_barrier
	s_and_saveexec_b64 s[44:45], s[0:1]
	s_cbranch_execz .LBB364_35
; %bb.34:
	s_waitcnt vmcnt(0)
	ds_read_b64 v[60:61], v30 offset:30728
.LBB364_35:
	s_or_b64 exec, exec, s[44:45]
	v_mov_b32_e32 v31, 0
	s_waitcnt lgkmcnt(0)
	s_barrier
	s_waitcnt lgkmcnt(0)
                                        ; implicit-def: $vgpr32_vgpr33
	s_and_saveexec_b64 s[0:1], vcc
	s_cbranch_execz .LBB364_159
; %bb.36:
	v_lshl_add_u64 v[32:33], v[62:63], 0, v[30:31]
	flat_load_dwordx2 v[32:33], v[32:33]
	s_or_b64 exec, exec, s[0:1]
                                        ; implicit-def: $vgpr34_vgpr35
	s_and_saveexec_b64 s[0:1], s[4:5]
	s_cbranch_execnz .LBB364_160
.LBB364_37:
	s_or_b64 exec, exec, s[0:1]
                                        ; implicit-def: $vgpr36_vgpr37
	s_and_saveexec_b64 s[0:1], s[6:7]
	s_cbranch_execz .LBB364_161
.LBB364_38:
	v_lshlrev_b32_e32 v36, 3, v1
	v_mov_b32_e32 v37, 0
	v_lshl_add_u64 v[36:37], v[62:63], 0, v[36:37]
	flat_load_dwordx2 v[36:37], v[36:37]
	s_or_b64 exec, exec, s[0:1]
                                        ; implicit-def: $vgpr38_vgpr39
	s_and_saveexec_b64 s[0:1], s[8:9]
	s_cbranch_execnz .LBB364_162
.LBB364_39:
	s_or_b64 exec, exec, s[0:1]
                                        ; implicit-def: $vgpr40_vgpr41
	s_and_saveexec_b64 s[0:1], s[10:11]
	s_cbranch_execz .LBB364_163
.LBB364_40:
	v_lshlrev_b32_e32 v40, 3, v42
	v_mov_b32_e32 v41, 0
	v_lshl_add_u64 v[40:41], v[62:63], 0, v[40:41]
	flat_load_dwordx2 v[40:41], v[40:41]
	s_or_b64 exec, exec, s[0:1]
                                        ; implicit-def: $vgpr42_vgpr43
	s_and_saveexec_b64 s[0:1], s[12:13]
	s_cbranch_execnz .LBB364_164
.LBB364_41:
	s_or_b64 exec, exec, s[0:1]
                                        ; implicit-def: $vgpr44_vgpr45
	s_and_saveexec_b64 s[0:1], s[14:15]
	s_cbranch_execz .LBB364_165
.LBB364_42:
	v_lshlrev_b32_e32 v44, 3, v46
	v_mov_b32_e32 v45, 0
	v_lshl_add_u64 v[44:45], v[62:63], 0, v[44:45]
	flat_load_dwordx2 v[44:45], v[44:45]
	s_or_b64 exec, exec, s[0:1]
                                        ; implicit-def: $vgpr46_vgpr47
	s_and_saveexec_b64 s[0:1], s[16:17]
	s_cbranch_execnz .LBB364_166
.LBB364_43:
	s_or_b64 exec, exec, s[0:1]
                                        ; implicit-def: $vgpr48_vgpr49
	s_and_saveexec_b64 s[0:1], s[18:19]
	s_cbranch_execz .LBB364_167
.LBB364_44:
	v_lshlrev_b32_e32 v48, 3, v50
	v_mov_b32_e32 v49, 0
	v_lshl_add_u64 v[48:49], v[62:63], 0, v[48:49]
	flat_load_dwordx2 v[48:49], v[48:49]
	s_or_b64 exec, exec, s[0:1]
                                        ; implicit-def: $vgpr50_vgpr51
	s_and_saveexec_b64 s[0:1], s[20:21]
	s_cbranch_execnz .LBB364_168
.LBB364_45:
	s_or_b64 exec, exec, s[0:1]
                                        ; implicit-def: $vgpr52_vgpr53
	s_and_saveexec_b64 s[0:1], s[22:23]
	s_cbranch_execz .LBB364_169
.LBB364_46:
	v_lshlrev_b32_e32 v52, 3, v56
	v_mov_b32_e32 v53, 0
	v_lshl_add_u64 v[52:53], v[62:63], 0, v[52:53]
	flat_load_dwordx2 v[52:53], v[52:53]
	s_or_b64 exec, exec, s[0:1]
                                        ; implicit-def: $vgpr56_vgpr57
	s_and_saveexec_b64 s[0:1], s[24:25]
	s_cbranch_execnz .LBB364_170
.LBB364_47:
	s_or_b64 exec, exec, s[0:1]
                                        ; implicit-def: $vgpr58_vgpr59
	s_and_saveexec_b64 s[0:1], s[26:27]
	s_cbranch_execz .LBB364_49
.LBB364_48:
	v_lshlrev_b32_e32 v58, 3, v66
	v_mov_b32_e32 v59, 0
	v_lshl_add_u64 v[58:59], v[62:63], 0, v[58:59]
	flat_load_dwordx2 v[58:59], v[58:59]
.LBB364_49:
	s_or_b64 exec, exec, s[0:1]
	v_mul_u32_u24_e32 v81, 14, v0
                                        ; implicit-def: $vgpr66_vgpr67
	s_and_saveexec_b64 s[0:1], s[28:29]
	s_cbranch_execz .LBB364_51
; %bb.50:
	v_lshlrev_b32_e32 v66, 3, v68
	v_mov_b32_e32 v67, 0
	v_lshl_add_u64 v[66:67], v[62:63], 0, v[66:67]
	flat_load_dwordx2 v[66:67], v[66:67]
.LBB364_51:
	s_or_b64 exec, exec, s[0:1]
	s_waitcnt vmcnt(0) lgkmcnt(0)
	ds_write2st64_b64 v30, v[32:33], v[34:35] offset1:4
	ds_write2st64_b64 v30, v[36:37], v[38:39] offset0:8 offset1:12
	ds_write2st64_b64 v30, v[40:41], v[42:43] offset0:16 offset1:20
	;; [unrolled: 1-line block ×6, first 2 shown]
	v_mov_b64_e32 v[56:57], 0
	v_cmp_gt_u32_e32 vcc, s48, v81
	s_mov_b64 s[8:9], 0
	s_mov_b32 s52, 0
	s_mov_b64 s[0:1], 0
	v_mov_b32_e32 v71, 0
	v_mov_b64_e32 v[34:35], v[56:57]
	v_mov_b32_e32 v79, 0
	v_mov_b64_e32 v[58:59], v[56:57]
	;; [unrolled: 2-line block ×12, first 2 shown]
	v_mov_b32_e32 v1, 0
	s_waitcnt lgkmcnt(0)
	s_barrier
	s_waitcnt lgkmcnt(0)
                                        ; implicit-def: $sgpr6_sgpr7
                                        ; implicit-def: $vgpr66_vgpr67
	s_and_saveexec_b64 s[4:5], vcc
	s_cbranch_execz .LBB364_79
; %bb.52:
	ds_read_b64 v[30:31], v80
	v_cmp_ne_u64_e32 vcc, v[26:27], v[28:29]
	v_mov_b32_e32 v26, s57
	v_or_b32_e32 v32, 1, v81
	v_mov_b64_e32 v[34:35], 0
	s_waitcnt lgkmcnt(0)
	v_cndmask_b32_e32 v57, v31, v26, vcc
	v_mov_b32_e32 v26, s56
	v_cndmask_b32_e64 v1, 0, 1, vcc
	v_cndmask_b32_e32 v56, v30, v26, vcc
	v_cmp_gt_u32_e32 vcc, s48, v32
	s_mov_b64 s[10:11], 0
	v_mov_b32_e32 v71, 0
	v_mov_b32_e32 v79, 0
	v_mov_b64_e32 v[58:59], v[34:35]
	v_mov_b32_e32 v78, 0
	v_mov_b64_e32 v[36:37], v[34:35]
	;; [unrolled: 2-line block ×11, first 2 shown]
                                        ; implicit-def: $sgpr12_sgpr13
                                        ; implicit-def: $vgpr66_vgpr67
	s_and_saveexec_b64 s[6:7], vcc
	s_cbranch_execz .LBB364_78
; %bb.53:
	ds_read2_b64 v[30:33], v80 offset0:1 offset1:2
	v_cmp_ne_u64_e32 vcc, v[28:29], v[22:23]
	v_mov_b32_e32 v27, s57
	v_add_u32_e32 v26, 2, v81
	v_mov_b64_e32 v[34:35], 0
	s_waitcnt lgkmcnt(0)
	v_cndmask_b32_e32 v31, v31, v27, vcc
	v_mov_b32_e32 v27, s56
	v_cndmask_b32_e64 v68, 0, 1, vcc
	v_cndmask_b32_e32 v30, v30, v27, vcc
	v_cmp_gt_u32_e32 vcc, s48, v26
	s_mov_b64 s[12:13], 0
	v_mov_b32_e32 v71, 0
	v_mov_b32_e32 v79, 0
	v_mov_b64_e32 v[58:59], v[34:35]
	v_mov_b32_e32 v78, 0
	v_mov_b64_e32 v[36:37], v[34:35]
	;; [unrolled: 2-line block ×10, first 2 shown]
                                        ; implicit-def: $sgpr14_sgpr15
                                        ; implicit-def: $vgpr66_vgpr67
	s_and_saveexec_b64 s[8:9], vcc
	s_cbranch_execz .LBB364_77
; %bb.54:
	v_cmp_ne_u64_e32 vcc, v[22:23], v[24:25]
	v_mov_b32_e32 v22, s57
	v_add_u32_e32 v26, 3, v81
	v_cndmask_b32_e32 v51, v33, v22, vcc
	v_mov_b32_e32 v22, s56
	v_mov_b64_e32 v[34:35], 0
	v_cndmask_b32_e64 v69, 0, 1, vcc
	v_cndmask_b32_e32 v50, v32, v22, vcc
	v_cmp_gt_u32_e32 vcc, s48, v26
	s_mov_b64 s[14:15], 0
	v_mov_b32_e32 v71, 0
	v_mov_b32_e32 v79, 0
	v_mov_b64_e32 v[58:59], v[34:35]
	v_mov_b32_e32 v78, 0
	v_mov_b64_e32 v[36:37], v[34:35]
	v_mov_b32_e32 v77, 0
	v_mov_b64_e32 v[52:53], v[34:35]
	v_mov_b32_e32 v76, 0
	v_mov_b64_e32 v[40:41], v[34:35]
	v_mov_b32_e32 v75, 0
	v_mov_b64_e32 v[38:39], v[34:35]
	v_mov_b32_e32 v74, 0
	v_mov_b64_e32 v[44:45], v[34:35]
	v_mov_b32_e32 v73, 0
	v_mov_b64_e32 v[42:43], v[34:35]
	v_mov_b32_e32 v72, 0
	v_mov_b64_e32 v[48:49], v[34:35]
	v_mov_b32_e32 v70, 0
	v_mov_b64_e32 v[46:47], v[34:35]
                                        ; implicit-def: $sgpr16_sgpr17
                                        ; implicit-def: $vgpr66_vgpr67
	s_and_saveexec_b64 s[10:11], vcc
	s_cbranch_execz .LBB364_76
; %bb.55:
	ds_read2_b64 v[26:29], v80 offset0:3 offset1:4
	v_cmp_ne_u64_e32 vcc, v[24:25], v[18:19]
	v_mov_b32_e32 v23, s57
	v_add_u32_e32 v22, 4, v81
	v_mov_b64_e32 v[34:35], 0
	s_waitcnt lgkmcnt(0)
	v_cndmask_b32_e32 v47, v27, v23, vcc
	v_mov_b32_e32 v23, s56
	v_cndmask_b32_e64 v70, 0, 1, vcc
	v_cndmask_b32_e32 v46, v26, v23, vcc
	v_cmp_gt_u32_e32 vcc, s48, v22
	s_mov_b64 s[16:17], 0
	v_mov_b32_e32 v71, 0
	v_mov_b32_e32 v79, 0
	v_mov_b64_e32 v[58:59], v[34:35]
	v_mov_b32_e32 v78, 0
	v_mov_b64_e32 v[36:37], v[34:35]
	;; [unrolled: 2-line block ×8, first 2 shown]
                                        ; implicit-def: $sgpr18_sgpr19
                                        ; implicit-def: $vgpr66_vgpr67
	s_and_saveexec_b64 s[12:13], vcc
	s_cbranch_execz .LBB364_75
; %bb.56:
	v_cmp_ne_u64_e32 vcc, v[18:19], v[20:21]
	v_mov_b32_e32 v18, s57
	v_add_u32_e32 v22, 5, v81
	v_cndmask_b32_e32 v49, v29, v18, vcc
	v_mov_b32_e32 v18, s56
	v_mov_b64_e32 v[34:35], 0
	v_cndmask_b32_e64 v72, 0, 1, vcc
	v_cndmask_b32_e32 v48, v28, v18, vcc
	v_cmp_gt_u32_e32 vcc, s48, v22
	s_mov_b64 s[18:19], 0
	v_mov_b32_e32 v71, 0
	v_mov_b32_e32 v79, 0
	v_mov_b64_e32 v[58:59], v[34:35]
	v_mov_b32_e32 v78, 0
	v_mov_b64_e32 v[36:37], v[34:35]
	;; [unrolled: 2-line block ×7, first 2 shown]
                                        ; implicit-def: $sgpr20_sgpr21
                                        ; implicit-def: $vgpr66_vgpr67
	s_and_saveexec_b64 s[14:15], vcc
	s_cbranch_execz .LBB364_74
; %bb.57:
	ds_read2_b64 v[22:25], v80 offset0:5 offset1:6
	v_cmp_ne_u64_e32 vcc, v[20:21], v[14:15]
	v_mov_b32_e32 v19, s57
	v_add_u32_e32 v18, 6, v81
	v_mov_b64_e32 v[34:35], 0
	s_waitcnt lgkmcnt(0)
	v_cndmask_b32_e32 v43, v23, v19, vcc
	v_mov_b32_e32 v19, s56
	v_cndmask_b32_e64 v73, 0, 1, vcc
	v_cndmask_b32_e32 v42, v22, v19, vcc
	v_cmp_gt_u32_e32 vcc, s48, v18
	s_mov_b64 s[20:21], 0
	v_mov_b32_e32 v71, 0
	v_mov_b32_e32 v79, 0
	v_mov_b64_e32 v[58:59], v[34:35]
	v_mov_b32_e32 v78, 0
	v_mov_b64_e32 v[36:37], v[34:35]
	;; [unrolled: 2-line block ×6, first 2 shown]
                                        ; implicit-def: $sgpr22_sgpr23
                                        ; implicit-def: $vgpr66_vgpr67
	s_and_saveexec_b64 s[16:17], vcc
	s_cbranch_execz .LBB364_73
; %bb.58:
	v_cmp_ne_u64_e32 vcc, v[14:15], v[16:17]
	v_mov_b32_e32 v14, s57
	v_add_u32_e32 v18, 7, v81
	v_cndmask_b32_e32 v45, v25, v14, vcc
	v_mov_b32_e32 v14, s56
	v_mov_b64_e32 v[34:35], 0
	v_cndmask_b32_e64 v74, 0, 1, vcc
	v_cndmask_b32_e32 v44, v24, v14, vcc
	v_cmp_gt_u32_e32 vcc, s48, v18
	s_mov_b64 s[22:23], 0
	v_mov_b32_e32 v71, 0
	v_mov_b32_e32 v79, 0
	v_mov_b64_e32 v[58:59], v[34:35]
	v_mov_b32_e32 v78, 0
	v_mov_b64_e32 v[36:37], v[34:35]
	;; [unrolled: 2-line block ×5, first 2 shown]
                                        ; implicit-def: $sgpr24_sgpr25
                                        ; implicit-def: $vgpr66_vgpr67
	s_and_saveexec_b64 s[18:19], vcc
	s_cbranch_execz .LBB364_72
; %bb.59:
	ds_read2_b64 v[18:21], v80 offset0:7 offset1:8
	v_cmp_ne_u64_e32 vcc, v[16:17], v[10:11]
	v_mov_b32_e32 v15, s57
	v_add_u32_e32 v14, 8, v81
	v_mov_b64_e32 v[34:35], 0
	s_waitcnt lgkmcnt(0)
	v_cndmask_b32_e32 v39, v19, v15, vcc
	v_mov_b32_e32 v15, s56
	v_cndmask_b32_e64 v75, 0, 1, vcc
	v_cndmask_b32_e32 v38, v18, v15, vcc
	v_cmp_gt_u32_e32 vcc, s48, v14
	s_mov_b64 s[24:25], 0
	v_mov_b32_e32 v71, 0
	v_mov_b32_e32 v79, 0
	v_mov_b64_e32 v[58:59], v[34:35]
	v_mov_b32_e32 v78, 0
	v_mov_b64_e32 v[36:37], v[34:35]
	;; [unrolled: 2-line block ×4, first 2 shown]
                                        ; implicit-def: $sgpr26_sgpr27
                                        ; implicit-def: $vgpr66_vgpr67
	s_and_saveexec_b64 s[20:21], vcc
	s_cbranch_execz .LBB364_71
; %bb.60:
	v_cmp_ne_u64_e32 vcc, v[10:11], v[12:13]
	v_mov_b32_e32 v10, s57
	v_add_u32_e32 v14, 9, v81
	v_cndmask_b32_e32 v41, v21, v10, vcc
	v_mov_b32_e32 v10, s56
	v_mov_b64_e32 v[34:35], 0
	v_cndmask_b32_e64 v76, 0, 1, vcc
	v_cndmask_b32_e32 v40, v20, v10, vcc
	v_cmp_gt_u32_e32 vcc, s48, v14
	s_mov_b64 s[26:27], 0
	v_mov_b32_e32 v71, 0
	v_mov_b32_e32 v79, 0
	v_mov_b64_e32 v[58:59], v[34:35]
	v_mov_b32_e32 v78, 0
	v_mov_b64_e32 v[36:37], v[34:35]
	;; [unrolled: 2-line block ×3, first 2 shown]
                                        ; implicit-def: $sgpr28_sgpr29
                                        ; implicit-def: $vgpr66_vgpr67
	s_and_saveexec_b64 s[22:23], vcc
	s_cbranch_execz .LBB364_70
; %bb.61:
	ds_read2_b64 v[14:17], v80 offset0:9 offset1:10
	v_cmp_ne_u64_e32 vcc, v[12:13], v[6:7]
	v_mov_b32_e32 v11, s57
	v_add_u32_e32 v10, 10, v81
	v_mov_b64_e32 v[34:35], 0
	s_waitcnt lgkmcnt(0)
	v_cndmask_b32_e32 v53, v15, v11, vcc
	v_mov_b32_e32 v11, s56
	v_cndmask_b32_e64 v77, 0, 1, vcc
	v_cndmask_b32_e32 v52, v14, v11, vcc
	v_cmp_gt_u32_e32 vcc, s48, v10
	s_mov_b64 s[28:29], 0
	v_mov_b32_e32 v71, 0
	v_mov_b32_e32 v79, 0
	v_mov_b64_e32 v[58:59], v[34:35]
	v_mov_b32_e32 v78, 0
	v_mov_b64_e32 v[36:37], v[34:35]
                                        ; implicit-def: $sgpr44_sgpr45
                                        ; implicit-def: $vgpr66_vgpr67
	s_and_saveexec_b64 s[24:25], vcc
	s_cbranch_execz .LBB364_69
; %bb.62:
	v_cmp_ne_u64_e32 vcc, v[6:7], v[8:9]
	v_mov_b32_e32 v6, s57
	v_add_u32_e32 v10, 11, v81
	v_cndmask_b32_e32 v37, v17, v6, vcc
	v_mov_b32_e32 v6, s56
	v_mov_b64_e32 v[34:35], 0
	v_cndmask_b32_e64 v78, 0, 1, vcc
	v_cndmask_b32_e32 v36, v16, v6, vcc
	v_cmp_gt_u32_e32 vcc, s48, v10
	s_mov_b64 s[44:45], 0
	v_mov_b32_e32 v71, 0
	v_mov_b32_e32 v79, 0
	v_mov_b64_e32 v[58:59], v[34:35]
                                        ; implicit-def: $sgpr46_sgpr47
                                        ; implicit-def: $vgpr66_vgpr67
	s_and_saveexec_b64 s[26:27], vcc
	s_cbranch_execz .LBB364_68
; %bb.63:
	ds_read2_b64 v[10:13], v80 offset0:11 offset1:12
	v_cmp_ne_u64_e32 vcc, v[8:9], v[2:3]
	v_mov_b32_e32 v7, s57
	v_add_u32_e32 v6, 12, v81
	v_cndmask_b32_e64 v79, 0, 1, vcc
	s_waitcnt lgkmcnt(0)
	v_cndmask_b32_e32 v59, v11, v7, vcc
	v_mov_b32_e32 v7, s56
	v_cndmask_b32_e32 v58, v10, v7, vcc
	v_cmp_gt_u32_e32 vcc, s48, v6
	v_mov_b32_e32 v71, 0
	v_mov_b64_e32 v[34:35], 0
                                        ; implicit-def: $sgpr46_sgpr47
                                        ; implicit-def: $vgpr66_vgpr67
	s_and_saveexec_b64 s[28:29], vcc
	s_cbranch_execz .LBB364_67
; %bb.64:
	v_cmp_ne_u64_e32 vcc, v[2:3], v[4:5]
	v_mov_b32_e32 v2, s57
	v_add_u32_e32 v6, 13, v81
	v_cndmask_b32_e32 v35, v13, v2, vcc
	v_mov_b32_e32 v2, s56
	v_cndmask_b32_e64 v71, 0, 1, vcc
	v_cndmask_b32_e32 v34, v12, v2, vcc
	v_cmp_gt_u32_e32 vcc, s48, v6
                                        ; implicit-def: $sgpr46_sgpr47
                                        ; implicit-def: $vgpr66_vgpr67
	s_and_saveexec_b64 s[48:49], vcc
	s_xor_b64 s[48:49], exec, s[48:49]
	s_cbranch_execz .LBB364_66
; %bb.65:
	ds_read_b64 v[2:3], v80 offset:104
	v_mov_b32_e32 v6, s57
	v_mov_b32_e32 v7, s56
	v_cmp_ne_u64_e32 vcc, v[4:5], v[60:61]
	s_mov_b64 s[44:45], exec
	s_and_b64 s[46:47], vcc, exec
	s_waitcnt lgkmcnt(0)
	v_cndmask_b32_e32 v67, v3, v6, vcc
	v_cndmask_b32_e32 v66, v2, v7, vcc
.LBB364_66:
	s_or_b64 exec, exec, s[48:49]
	s_and_b64 s[46:47], s[46:47], exec
	s_and_b64 s[44:45], s[44:45], exec
.LBB364_67:
	s_or_b64 exec, exec, s[28:29]
	s_and_b64 s[46:47], s[46:47], exec
	s_and_b64 s[28:29], s[44:45], exec
.LBB364_68:
	s_or_b64 exec, exec, s[26:27]
	s_and_b64 s[44:45], s[46:47], exec
	s_and_b64 s[26:27], s[28:29], exec
.LBB364_69:
	s_or_b64 exec, exec, s[24:25]
	s_and_b64 s[28:29], s[44:45], exec
	s_and_b64 s[24:25], s[26:27], exec
.LBB364_70:
	s_or_b64 exec, exec, s[22:23]
	s_and_b64 s[26:27], s[28:29], exec
	s_and_b64 s[22:23], s[24:25], exec
.LBB364_71:
	s_or_b64 exec, exec, s[20:21]
	s_and_b64 s[24:25], s[26:27], exec
	s_and_b64 s[20:21], s[22:23], exec
.LBB364_72:
	s_or_b64 exec, exec, s[18:19]
	s_and_b64 s[22:23], s[24:25], exec
	s_and_b64 s[18:19], s[20:21], exec
.LBB364_73:
	s_or_b64 exec, exec, s[16:17]
	s_and_b64 s[20:21], s[22:23], exec
	s_and_b64 s[16:17], s[18:19], exec
.LBB364_74:
	s_or_b64 exec, exec, s[14:15]
	s_and_b64 s[18:19], s[20:21], exec
	s_and_b64 s[14:15], s[16:17], exec
.LBB364_75:
	s_or_b64 exec, exec, s[12:13]
	s_and_b64 s[16:17], s[18:19], exec
	s_and_b64 s[12:13], s[14:15], exec
.LBB364_76:
	s_or_b64 exec, exec, s[10:11]
	s_and_b64 s[14:15], s[16:17], exec
	s_and_b64 s[10:11], s[12:13], exec
.LBB364_77:
	s_or_b64 exec, exec, s[8:9]
	s_and_b64 s[12:13], s[14:15], exec
	s_and_b64 s[8:9], s[10:11], exec
.LBB364_78:
	s_or_b64 exec, exec, s[6:7]
	s_and_b64 s[6:7], s[12:13], exec
	s_and_b64 s[8:9], s[8:9], exec
.LBB364_79:
	s_or_b64 exec, exec, s[4:5]
	s_mov_b64 s[4:5], 0
	s_and_b64 vcc, exec, s[0:1]
	v_lshlrev_b32_e32 v60, 3, v0
	s_cbranch_vccnz .LBB364_81
	s_branch .LBB364_86
.LBB364_80:
	s_mov_b64 s[8:9], 0
                                        ; implicit-def: $sgpr6_sgpr7
                                        ; implicit-def: $vgpr66_vgpr67
                                        ; implicit-def: $vgpr56_vgpr57
                                        ; implicit-def: $vgpr71
                                        ; implicit-def: $vgpr34_vgpr35
                                        ; implicit-def: $vgpr79
                                        ; implicit-def: $vgpr58_vgpr59
                                        ; implicit-def: $vgpr78
                                        ; implicit-def: $vgpr36_vgpr37
                                        ; implicit-def: $vgpr77
                                        ; implicit-def: $vgpr52_vgpr53
                                        ; implicit-def: $vgpr76
                                        ; implicit-def: $vgpr40_vgpr41
                                        ; implicit-def: $vgpr75
                                        ; implicit-def: $vgpr38_vgpr39
                                        ; implicit-def: $vgpr74
                                        ; implicit-def: $vgpr44_vgpr45
                                        ; implicit-def: $vgpr73
                                        ; implicit-def: $vgpr42_vgpr43
                                        ; implicit-def: $vgpr72
                                        ; implicit-def: $vgpr48_vgpr49
                                        ; implicit-def: $vgpr70
                                        ; implicit-def: $vgpr46_vgpr47
                                        ; implicit-def: $vgpr69
                                        ; implicit-def: $vgpr50_vgpr51
                                        ; implicit-def: $vgpr68
                                        ; implicit-def: $vgpr30_vgpr31
                                        ; implicit-def: $vgpr1
                                        ; implicit-def: $sgpr52
                                        ; implicit-def: $sgpr4_sgpr5
	s_and_b64 vcc, exec, s[0:1]
	v_lshlrev_b32_e32 v60, 3, v0
	s_cbranch_vccz .LBB364_86
.LBB364_81:
	v_mov_b32_e32 v61, 0
	v_lshl_add_u64 v[2:3], v[64:65], 0, v[60:61]
	v_add_co_u32_e32 v4, vcc, 0x1000, v2
	s_movk_i32 s0, 0x7000
	s_nop 0
	v_addc_co_u32_e32 v5, vcc, 0, v3, vcc
	flat_load_dwordx2 v[6:7], v[2:3]
	flat_load_dwordx2 v[8:9], v[2:3] offset:2048
	flat_load_dwordx2 v[10:11], v[4:5]
	flat_load_dwordx2 v[12:13], v[4:5] offset:2048
	v_add_co_u32_e32 v4, vcc, 0x2000, v2
	s_movk_i32 s9, 0x1000
	s_nop 0
	v_addc_co_u32_e32 v5, vcc, 0, v3, vcc
	v_add_co_u32_e32 v14, vcc, 0x3000, v2
	s_movk_i32 s8, 0x2000
	s_nop 0
	v_addc_co_u32_e32 v15, vcc, 0, v3, vcc
	flat_load_dwordx2 v[16:17], v[4:5]
	flat_load_dwordx2 v[18:19], v[4:5] offset:2048
	flat_load_dwordx2 v[20:21], v[14:15]
	flat_load_dwordx2 v[22:23], v[14:15] offset:2048
	v_add_co_u32_e32 v4, vcc, 0x4000, v2
	s_movk_i32 s7, 0x3000
	s_nop 0
	v_addc_co_u32_e32 v5, vcc, 0, v3, vcc
	v_add_co_u32_e32 v14, vcc, 0x5000, v2
	s_movk_i32 s6, 0x4000
	s_nop 0
	v_addc_co_u32_e32 v15, vcc, 0, v3, vcc
	v_add_co_u32_e32 v2, vcc, 0x6000, v2
	flat_load_dwordx2 v[24:25], v[4:5]
	flat_load_dwordx2 v[26:27], v[4:5] offset:2048
	flat_load_dwordx2 v[28:29], v[14:15]
	flat_load_dwordx2 v[30:31], v[14:15] offset:2048
	v_addc_co_u32_e32 v3, vcc, 0, v3, vcc
	flat_load_dwordx2 v[4:5], v[2:3]
	flat_load_dwordx2 v[14:15], v[2:3] offset:2048
	v_add_co_u32_e32 v2, vcc, s0, v64
	s_movk_i32 s0, 0x68
	s_nop 0
	v_addc_co_u32_e32 v3, vcc, 0, v65, vcc
	v_mad_u32_u24 v1, v0, s0, v60
	s_movk_i32 s0, 0xff98
	s_movk_i32 s5, 0x5000
	;; [unrolled: 1-line block ×3, first 2 shown]
	s_waitcnt vmcnt(0) lgkmcnt(0)
	ds_write2st64_b64 v60, v[6:7], v[8:9] offset1:4
	ds_write2st64_b64 v60, v[10:11], v[12:13] offset0:8 offset1:12
	ds_write2st64_b64 v60, v[16:17], v[18:19] offset0:16 offset1:20
	;; [unrolled: 1-line block ×6, first 2 shown]
	s_waitcnt lgkmcnt(0)
	s_barrier
	flat_load_dwordx2 v[64:65], v[2:3]
	v_mad_i32_i24 v26, v0, s0, v1
	s_movk_i32 s0, 0xff
	v_cmp_ne_u32_e32 vcc, s0, v0
	ds_read_b128 v[30:33], v1
	ds_read_b128 v[22:25], v1 offset:16
	ds_read_b128 v[18:21], v1 offset:32
	;; [unrolled: 1-line block ×6, first 2 shown]
	s_waitcnt lgkmcnt(0)
	ds_write_b64 v26, v[30:31] offset:30720
	s_waitcnt lgkmcnt(0)
	s_barrier
	s_and_saveexec_b64 s[0:1], vcc
	s_cbranch_execz .LBB364_83
; %bb.82:
	s_waitcnt vmcnt(0)
	ds_read_b64 v[64:65], v60 offset:30728
.LBB364_83:
	s_or_b64 exec, exec, s[0:1]
	v_lshl_add_u64 v[26:27], v[62:63], 0, v[60:61]
	v_add_co_u32_e32 v28, vcc, s9, v26
	s_waitcnt lgkmcnt(0)
	s_nop 0
	v_addc_co_u32_e32 v29, vcc, 0, v27, vcc
	s_barrier
	flat_load_dwordx2 v[34:35], v[26:27]
	flat_load_dwordx2 v[36:37], v[26:27] offset:2048
	flat_load_dwordx2 v[38:39], v[28:29]
	flat_load_dwordx2 v[40:41], v[28:29] offset:2048
	v_add_co_u32_e32 v28, vcc, s8, v26
	v_cmp_eq_u64_e64 s[0:1], v[30:31], v[32:33]
	s_nop 0
	v_addc_co_u32_e32 v29, vcc, 0, v27, vcc
	v_add_co_u32_e32 v42, vcc, s7, v26
	s_nop 1
	v_addc_co_u32_e32 v43, vcc, 0, v27, vcc
	flat_load_dwordx2 v[44:45], v[28:29]
	flat_load_dwordx2 v[46:47], v[28:29] offset:2048
	flat_load_dwordx2 v[48:49], v[42:43]
	flat_load_dwordx2 v[50:51], v[42:43] offset:2048
	v_add_co_u32_e32 v28, vcc, s6, v26
	s_nop 1
	v_addc_co_u32_e32 v29, vcc, 0, v27, vcc
	v_add_co_u32_e32 v42, vcc, s5, v26
	s_nop 1
	v_addc_co_u32_e32 v43, vcc, 0, v27, vcc
	v_add_co_u32_e32 v26, vcc, s4, v26
	flat_load_dwordx2 v[52:53], v[28:29]
	flat_load_dwordx2 v[56:57], v[28:29] offset:2048
	flat_load_dwordx2 v[58:59], v[42:43]
	flat_load_dwordx2 v[62:63], v[42:43] offset:2048
	v_addc_co_u32_e32 v27, vcc, 0, v27, vcc
	flat_load_dwordx2 v[28:29], v[26:27]
	flat_load_dwordx2 v[42:43], v[26:27] offset:2048
	v_cmp_ne_u64_e32 vcc, v[30:31], v[32:33]
	s_waitcnt vmcnt(0) lgkmcnt(0)
	ds_write2st64_b64 v60, v[34:35], v[36:37] offset1:4
	ds_write2st64_b64 v60, v[38:39], v[40:41] offset0:8 offset1:12
	ds_write2st64_b64 v60, v[44:45], v[46:47] offset0:16 offset1:20
	;; [unrolled: 1-line block ×6, first 2 shown]
	s_waitcnt lgkmcnt(0)
	s_barrier
	ds_read2_b64 v[50:53], v1 offset0:1 offset1:2
	ds_read2_b64 v[46:49], v1 offset0:3 offset1:4
	;; [unrolled: 1-line block ×6, first 2 shown]
	ds_read_b64 v[62:63], v1 offset:104
	v_mov_b64_e32 v[56:57], s[56:57]
	s_and_saveexec_b64 s[4:5], s[0:1]
	s_cbranch_execz .LBB364_85
; %bb.84:
	ds_read_b64 v[56:57], v1
.LBB364_85:
	s_or_b64 exec, exec, s[4:5]
	v_cmp_ne_u64_e64 s[6:7], v[18:19], v[20:21]
	v_cmp_ne_u64_e64 s[20:21], v[8:9], v[2:3]
	;; [unrolled: 1-line block ×3, first 2 shown]
	v_mov_b32_e32 v2, s57
	v_mov_b32_e32 v3, s56
	v_cndmask_b32_e64 v1, 0, 1, vcc
	v_cmp_ne_u64_e32 vcc, v[32:33], v[22:23]
	v_cmp_ne_u64_e64 s[0:1], v[22:23], v[24:25]
	v_cmp_ne_u64_e64 s[4:5], v[24:25], v[18:19]
	v_cndmask_b32_e64 v72, 0, 1, s[6:7]
	v_cmp_ne_u64_e64 s[8:9], v[20:21], v[14:15]
	v_cmp_ne_u64_e64 s[10:11], v[14:15], v[16:17]
	;; [unrolled: 1-line block ×6, first 2 shown]
	s_waitcnt lgkmcnt(5)
	v_cndmask_b32_e64 v49, v49, v2, s[6:7]
	v_cndmask_b32_e64 v48, v48, v3, s[6:7]
	v_cmp_ne_u64_e64 s[6:7], v[4:5], v[64:65]
	v_cndmask_b32_e64 v68, 0, 1, vcc
	v_cndmask_b32_e64 v69, 0, 1, s[0:1]
	v_cndmask_b32_e64 v70, 0, 1, s[4:5]
	;; [unrolled: 1-line block ×10, first 2 shown]
	v_cndmask_b32_e32 v31, v51, v2, vcc
	v_cndmask_b32_e32 v30, v50, v3, vcc
	v_cndmask_b32_e64 v51, v53, v2, s[0:1]
	v_cndmask_b32_e64 v50, v52, v3, s[0:1]
	v_cndmask_b32_e64 v47, v47, v2, s[4:5]
	v_cndmask_b32_e64 v46, v46, v3, s[4:5]
	s_waitcnt lgkmcnt(4)
	v_cndmask_b32_e64 v43, v43, v2, s[8:9]
	v_cndmask_b32_e64 v42, v42, v3, s[8:9]
	v_cndmask_b32_e64 v45, v45, v2, s[10:11]
	v_cndmask_b32_e64 v44, v44, v3, s[10:11]
	s_waitcnt lgkmcnt(3)
	;; [unrolled: 5-line block ×5, first 2 shown]
	v_cndmask_b32_e64 v67, v63, v2, s[6:7]
	v_cndmask_b32_e64 v66, v62, v3, s[6:7]
	s_mov_b64 s[8:9], -1
                                        ; implicit-def: $sgpr52
                                        ; implicit-def: $sgpr4_sgpr5
.LBB364_86:
	v_mov_b64_e32 v[28:29], s[4:5]
	v_mov_b32_e32 v61, s52
	s_and_saveexec_b64 s[0:1], s[8:9]
; %bb.87:
	v_cndmask_b32_e64 v61, 0, 1, s[6:7]
	v_mov_b64_e32 v[28:29], v[66:67]
; %bb.88:
	s_or_b64 exec, exec, s[0:1]
	v_or_b32_e32 v2, v61, v71
	s_cmp_lg_u32 s43, 0
	v_or_b32_e32 v65, v2, v79
	v_mbcnt_lo_u32_b32 v64, -1, 0
	s_barrier
	s_cbranch_scc0 .LBB364_171
; %bb.89:
	v_mov_b32_e32 v4, 0
	v_cmp_eq_u16_sdwa s[4:5], v68, v4 src0_sel:BYTE_0 src1_sel:DWORD
	v_cmp_eq_u16_sdwa s[6:7], v69, v4 src0_sel:BYTE_0 src1_sel:DWORD
	;; [unrolled: 1-line block ×3, first 2 shown]
	v_cndmask_b32_e64 v3, 0, v57, s[4:5]
	v_cndmask_b32_e64 v2, 0, v56, s[4:5]
	v_lshl_add_u64 v[2:3], v[2:3], 0, v[30:31]
	v_cndmask_b32_e64 v3, 0, v3, s[6:7]
	v_cndmask_b32_e64 v2, 0, v2, s[6:7]
	v_lshl_add_u64 v[2:3], v[2:3], 0, v[50:51]
	;; [unrolled: 3-line block ×3, first 2 shown]
	v_cmp_eq_u16_sdwa s[10:11], v72, v4 src0_sel:BYTE_0 src1_sel:DWORD
	v_cmp_eq_u16_sdwa s[12:13], v73, v4 src0_sel:BYTE_0 src1_sel:DWORD
	;; [unrolled: 1-line block ×3, first 2 shown]
	v_cndmask_b32_e64 v3, 0, v3, s[10:11]
	v_cndmask_b32_e64 v2, 0, v2, s[10:11]
	v_lshl_add_u64 v[2:3], v[2:3], 0, v[48:49]
	v_cndmask_b32_e64 v3, 0, v3, s[12:13]
	v_cndmask_b32_e64 v2, 0, v2, s[12:13]
	v_lshl_add_u64 v[2:3], v[2:3], 0, v[42:43]
	v_cndmask_b32_e64 v3, 0, v3, s[14:15]
	v_cndmask_b32_e64 v2, 0, v2, s[14:15]
	v_lshl_add_u64 v[2:3], v[2:3], 0, v[44:45]
	v_cmp_eq_u16_sdwa s[16:17], v75, v4 src0_sel:BYTE_0 src1_sel:DWORD
	v_cmp_eq_u16_sdwa s[18:19], v76, v4 src0_sel:BYTE_0 src1_sel:DWORD
	;; [unrolled: 1-line block ×3, first 2 shown]
	v_cndmask_b32_e64 v3, 0, v3, s[16:17]
	v_cndmask_b32_e64 v2, 0, v2, s[16:17]
	v_lshl_add_u64 v[2:3], v[2:3], 0, v[38:39]
	v_cndmask_b32_e64 v3, 0, v3, s[18:19]
	v_cndmask_b32_e64 v2, 0, v2, s[18:19]
	v_cmp_eq_u16_sdwa s[22:23], v78, v4 src0_sel:BYTE_0 src1_sel:DWORD
	v_cmp_eq_u16_sdwa s[24:25], v79, v4 src0_sel:BYTE_0 src1_sel:DWORD
	;; [unrolled: 1-line block ×3, first 2 shown]
	v_cmp_eq_u16_sdwa vcc, v61, v4 src0_sel:BYTE_0 src1_sel:DWORD
	v_or_b32_e32 v4, v65, v78
	v_lshl_add_u64 v[2:3], v[2:3], 0, v[40:41]
	v_or_b32_e32 v4, v4, v77
	v_cndmask_b32_e64 v3, 0, v3, s[20:21]
	v_cndmask_b32_e64 v2, 0, v2, s[20:21]
	v_or_b32_e32 v4, v4, v76
	v_lshl_add_u64 v[2:3], v[2:3], 0, v[52:53]
	v_or_b32_e32 v4, v4, v75
	v_cndmask_b32_e64 v3, 0, v3, s[22:23]
	v_cndmask_b32_e64 v2, 0, v2, s[22:23]
	;; [unrolled: 5-line block ×4, first 2 shown]
	v_or_b32_e32 v4, v4, v69
	v_lshl_add_u64 v[2:3], v[2:3], 0, v[34:35]
	v_or_b32_e32 v4, v4, v68
	v_cndmask_b32_e32 v3, 0, v3, vcc
	v_cndmask_b32_e32 v2, 0, v2, vcc
	v_or_b32_e32 v4, v4, v1
	v_mbcnt_hi_u32_b32 v9, -1, v64
	v_lshl_add_u64 v[2:3], v[2:3], 0, v[28:29]
	v_and_b32_e32 v8, 1, v4
	v_and_b32_e32 v5, 15, v9
	v_cmp_eq_u32_e32 vcc, 1, v8
	v_mov_b32_dpp v7, v2 row_shr:1 row_mask:0xf bank_mask:0xf
	v_mov_b32_dpp v10, v3 row_shr:1 row_mask:0xf bank_mask:0xf
	;; [unrolled: 1-line block ×3, first 2 shown]
	v_cmp_ne_u32_e64 s[0:1], 0, v5
	v_mov_b32_e32 v4, v8
	s_and_saveexec_b64 s[28:29], s[0:1]
; %bb.90:
	v_and_b32_e32 v4, 1, v6
	v_cndmask_b32_e64 v11, v10, 0, vcc
	v_cndmask_b32_e64 v10, v7, 0, vcc
	v_or_b32_e32 v8, v4, v8
	v_lshl_add_u64 v[2:3], v[10:11], 0, v[2:3]
	v_and_b32_e32 v4, 0xffff, v8
; %bb.91:
	s_or_b64 exec, exec, s[28:29]
	v_mov_b32_dpp v7, v2 row_shr:2 row_mask:0xf bank_mask:0xf
	v_mov_b32_dpp v10, v3 row_shr:2 row_mask:0xf bank_mask:0xf
	;; [unrolled: 1-line block ×3, first 2 shown]
	v_cmp_lt_u32_e32 vcc, 1, v5
	s_and_saveexec_b64 s[28:29], vcc
; %bb.92:
	v_cmp_eq_u16_e32 vcc, 0, v8
	v_and_b32_e32 v4, 1, v8
	s_nop 0
	v_cndmask_b32_e32 v11, 0, v10, vcc
	v_cndmask_b32_e32 v10, 0, v7, vcc
	v_cmp_eq_u32_e32 vcc, 1, v4
	v_and_b32_e32 v4, 1, v6
	v_cmp_eq_u32_e64 s[0:1], 1, v4
	s_or_b64 s[0:1], vcc, s[0:1]
	v_lshl_add_u64 v[2:3], v[10:11], 0, v[2:3]
	v_cndmask_b32_e64 v8, 0, 1, s[0:1]
	v_cndmask_b32_e64 v4, 0, 1, s[0:1]
; %bb.93:
	s_or_b64 exec, exec, s[28:29]
	v_mov_b32_dpp v7, v2 row_shr:4 row_mask:0xf bank_mask:0xf
	v_mov_b32_dpp v10, v3 row_shr:4 row_mask:0xf bank_mask:0xf
	;; [unrolled: 1-line block ×3, first 2 shown]
	v_cmp_lt_u32_e32 vcc, 3, v5
	s_and_saveexec_b64 s[28:29], vcc
; %bb.94:
	v_cmp_eq_u16_e32 vcc, 0, v8
	v_and_b32_e32 v4, 1, v8
	s_nop 0
	v_cndmask_b32_e32 v11, 0, v10, vcc
	v_cndmask_b32_e32 v10, 0, v7, vcc
	v_cmp_eq_u32_e32 vcc, 1, v4
	v_and_b32_e32 v4, 1, v6
	v_cmp_eq_u32_e64 s[0:1], 1, v4
	s_or_b64 s[0:1], vcc, s[0:1]
	v_lshl_add_u64 v[2:3], v[10:11], 0, v[2:3]
	v_cndmask_b32_e64 v8, 0, 1, s[0:1]
	v_cndmask_b32_e64 v4, 0, 1, s[0:1]
; %bb.95:
	s_or_b64 exec, exec, s[28:29]
	v_mov_b32_dpp v7, v2 row_shr:8 row_mask:0xf bank_mask:0xf
	v_mov_b32_dpp v10, v3 row_shr:8 row_mask:0xf bank_mask:0xf
	;; [unrolled: 1-line block ×3, first 2 shown]
	v_cmp_lt_u32_e32 vcc, 7, v5
	s_and_saveexec_b64 s[28:29], vcc
; %bb.96:
	v_cmp_eq_u16_e32 vcc, 0, v8
	s_nop 1
	v_cndmask_b32_e32 v5, 0, v10, vcc
	v_cndmask_b32_e32 v4, 0, v7, vcc
	v_lshl_add_u64 v[2:3], v[4:5], 0, v[2:3]
	v_and_b32_e32 v4, 1, v8
	v_cmp_eq_u32_e32 vcc, 1, v4
	v_and_b32_e32 v4, 1, v6
	v_cmp_eq_u32_e64 s[0:1], 1, v4
	s_or_b64 s[0:1], vcc, s[0:1]
	s_nop 0
	v_cndmask_b32_e64 v8, 0, 1, s[0:1]
	v_cndmask_b32_e64 v4, 0, 1, s[0:1]
; %bb.97:
	s_or_b64 exec, exec, s[28:29]
	v_and_b32_e32 v10, 16, v9
	v_mov_b32_dpp v6, v2 row_bcast:15 row_mask:0xf bank_mask:0xf
	v_mov_b32_dpp v7, v3 row_bcast:15 row_mask:0xf bank_mask:0xf
	;; [unrolled: 1-line block ×3, first 2 shown]
	v_cmp_ne_u32_e32 vcc, 0, v10
	s_and_saveexec_b64 s[28:29], vcc
; %bb.98:
	v_cmp_eq_u16_e32 vcc, 0, v8
	v_and_b32_e32 v4, 1, v8
	s_nop 0
	v_cndmask_b32_e32 v7, 0, v7, vcc
	v_cndmask_b32_e32 v6, 0, v6, vcc
	v_cmp_eq_u32_e32 vcc, 1, v4
	v_and_b32_e32 v4, 1, v5
	v_cmp_eq_u32_e64 s[0:1], 1, v4
	s_or_b64 s[0:1], vcc, s[0:1]
	v_lshl_add_u64 v[2:3], v[6:7], 0, v[2:3]
	v_cndmask_b32_e64 v8, 0, 1, s[0:1]
	v_cndmask_b32_e64 v4, 0, 1, s[0:1]
; %bb.99:
	s_or_b64 exec, exec, s[28:29]
	v_mov_b32_dpp v5, v2 row_bcast:31 row_mask:0xf bank_mask:0xf
	v_mov_b32_dpp v6, v3 row_bcast:31 row_mask:0xf bank_mask:0xf
	;; [unrolled: 1-line block ×3, first 2 shown]
	v_cmp_lt_u32_e32 vcc, 31, v9
	s_and_saveexec_b64 s[28:29], vcc
; %bb.100:
	v_cmp_eq_u16_e32 vcc, 0, v8
	v_and_b32_e32 v4, 1, v4
	v_cmp_eq_u32_e64 s[0:1], 1, v4
	v_cndmask_b32_e32 v7, 0, v6, vcc
	v_cndmask_b32_e32 v6, 0, v5, vcc
	v_and_b32_e32 v5, 1, v8
	v_cmp_eq_u32_e32 vcc, 1, v5
	s_or_b64 s[0:1], vcc, s[0:1]
	v_lshl_add_u64 v[2:3], v[6:7], 0, v[2:3]
	v_cndmask_b32_e64 v8, 0, 1, s[0:1]
; %bb.101:
	s_or_b64 exec, exec, s[28:29]
	v_or_b32_e32 v4, 63, v0
	v_lshrrev_b32_e32 v10, 6, v0
	v_cmp_eq_u32_e32 vcc, v4, v0
	s_and_saveexec_b64 s[0:1], vcc
	s_cbranch_execz .LBB364_103
; %bb.102:
	v_lshlrev_b32_e32 v4, 4, v10
	ds_write_b64 v4, v[2:3]
	ds_write_b8 v4, v8 offset:8
.LBB364_103:
	s_or_b64 exec, exec, s[0:1]
	v_cmp_gt_u32_e32 vcc, 4, v0
	s_waitcnt lgkmcnt(0)
	s_barrier
	s_and_saveexec_b64 s[28:29], vcc
	s_cbranch_execz .LBB364_109
; %bb.104:
	v_lshlrev_b32_e32 v6, 4, v0
	ds_read_b64 v[4:5], v6
	ds_read_b32 v7, v6 offset:8
	v_and_b32_e32 v11, 3, v9
	v_cmp_ne_u32_e32 vcc, 0, v11
	s_waitcnt lgkmcnt(1)
	v_mov_b32_dpp v15, v4 row_shr:1 row_mask:0xf bank_mask:0xf
	v_mov_b32_dpp v16, v5 row_shr:1 row_mask:0xf bank_mask:0xf
	s_waitcnt lgkmcnt(0)
	v_mov_b32_dpp v14, v7 row_shr:1 row_mask:0xf bank_mask:0xf
	v_mov_b32_e32 v12, v7
	v_mov_b32_e32 v13, v7
	s_and_saveexec_b64 s[0:1], vcc
; %bb.105:
	v_mov_b32_e32 v12, 0
	v_cmp_eq_u16_sdwa vcc, v7, v12 src0_sel:BYTE_0 src1_sel:DWORD
	s_movk_i32 s44, 0xff00
	s_nop 0
	v_cndmask_b32_e32 v13, 0, v16, vcc
	v_cndmask_b32_e32 v12, 0, v15, vcc
	v_lshl_add_u64 v[4:5], v[12:13], 0, v[4:5]
	v_or_b32_e32 v13, v14, v7
	v_and_b32_e32 v12, 1, v13
	v_and_b32_e32 v13, 1, v13
	v_and_or_b32 v7, v7, s44, v13
; %bb.106:
	s_or_b64 exec, exec, s[0:1]
	v_mov_b32_dpp v14, v4 row_shr:2 row_mask:0xf bank_mask:0xf
	v_mov_b32_dpp v15, v5 row_shr:2 row_mask:0xf bank_mask:0xf
	;; [unrolled: 1-line block ×3, first 2 shown]
	v_cmp_lt_u32_e32 vcc, 1, v11
	s_and_saveexec_b64 s[44:45], vcc
; %bb.107:
	v_mov_b32_e32 v11, 0
	v_cmp_eq_u16_sdwa vcc, v13, v11 src0_sel:BYTE_0 src1_sel:DWORD
	v_and_b32_e32 v11, 1, v13
	v_and_b32_e32 v7, 1, v7
	v_cndmask_b32_e32 v15, 0, v15, vcc
	v_cndmask_b32_e32 v14, 0, v14, vcc
	v_cmp_eq_u32_e32 vcc, 1, v11
	v_cmp_eq_u32_e64 s[0:1], 1, v7
	s_or_b64 s[0:1], vcc, s[0:1]
	v_lshl_add_u64 v[4:5], v[14:15], 0, v[4:5]
	v_cndmask_b32_e64 v12, 0, 1, s[0:1]
; %bb.108:
	s_or_b64 exec, exec, s[44:45]
	ds_write_b64 v6, v[4:5]
	ds_write_b8 v6, v12 offset:8
.LBB364_109:
	s_or_b64 exec, exec, s[28:29]
	v_cmp_gt_u32_e32 vcc, 64, v0
	v_cmp_lt_u32_e64 s[0:1], 63, v0
	v_mov_b32_e32 v16, 0
	v_mov_b64_e32 v[6:7], 0
	s_waitcnt lgkmcnt(0)
	s_barrier
	s_and_saveexec_b64 s[28:29], s[0:1]
	s_cbranch_execz .LBB364_111
; %bb.110:
	v_lshl_add_u32 v4, v10, 4, -16
	ds_read_b64 v[6:7], v4
	ds_read_u8 v16, v4 offset:8
	v_cmp_eq_u16_e64 s[0:1], 0, v8
	s_waitcnt lgkmcnt(0)
	v_or_b32_e32 v8, v8, v16
	v_cndmask_b32_e64 v5, 0, v7, s[0:1]
	v_cndmask_b32_e64 v4, 0, v6, s[0:1]
	v_lshl_add_u64 v[2:3], v[2:3], 0, v[4:5]
	v_and_b32_e32 v8, 1, v8
.LBB364_111:
	s_or_b64 exec, exec, s[28:29]
	v_add_u32_e32 v4, -1, v9
	v_and_b32_e32 v5, 64, v9
	v_cmp_lt_i32_e64 s[0:1], v4, v5
	v_cmp_eq_u32_e64 s[28:29], 0, v9
	s_nop 0
	v_cndmask_b32_e64 v4, v4, v9, s[0:1]
	v_lshlrev_b32_e32 v4, 2, v4
	ds_bpermute_b32 v17, v4, v2
	v_and_b32_e32 v2, 0xffff, v8
	ds_bpermute_b32 v18, v4, v3
	ds_bpermute_b32 v19, v4, v2
	s_and_saveexec_b64 s[44:45], vcc
	s_cbranch_execz .LBB364_158
; %bb.112:
	v_mov_b32_e32 v11, 0
	ds_read2_b64 v[2:5], v11 offset0:6 offset1:7
	s_and_saveexec_b64 s[0:1], s[28:29]
	s_cbranch_execz .LBB364_114
; %bb.113:
	s_add_i32 s46, s43, 64
	s_mov_b32 s47, 0
	s_lshl_b64 s[48:49], s[46:47], 4
	s_add_u32 s48, s36, s48
	s_addc_u32 s49, s37, s49
	s_waitcnt lgkmcnt(0)
	global_store_dword v11, v2, s[48:49] sc1
	global_store_dword v11, v3, s[48:49] offset:4 sc1
	global_store_dword v11, v4, s[48:49] offset:8 sc1
	;; [unrolled: 1-line block ×3, first 2 shown]
	v_mov_b32_e32 v5, s46
	v_mov_b32_e32 v8, 1
	s_waitcnt vmcnt(0)
	global_store_byte v5, v8, s[40:41] sc1
.LBB364_114:
	s_or_b64 exec, exec, s[0:1]
	v_xad_u32 v8, v9, -1, s43
	v_add_u32_e32 v10, 64, v8
	s_waitcnt lgkmcnt(0)
	global_load_ubyte v5, v10, s[40:41] sc1
	s_waitcnt vmcnt(0)
	v_cmp_eq_u16_e32 vcc, 0, v5
	s_and_saveexec_b64 s[0:1], vcc
	s_cbranch_execz .LBB364_120
; %bb.115:
	v_lshl_add_u64 v[12:13], s[40:41], 0, v[10:11]
	s_mov_b32 s48, 1
	s_mov_b64 s[46:47], 0
.LBB364_116:                            ; =>This Loop Header: Depth=1
                                        ;     Child Loop BB364_117 Depth 2
	s_max_u32 s49, s48, 1
.LBB364_117:                            ;   Parent Loop BB364_116 Depth=1
                                        ; =>  This Inner Loop Header: Depth=2
	s_add_i32 s49, s49, -1
	s_cmp_eq_u32 s49, 0
	s_sleep 1
	s_cbranch_scc0 .LBB364_117
; %bb.118:                              ;   in Loop: Header=BB364_116 Depth=1
	global_load_ubyte v5, v[12:13], off sc1
	s_cmp_lt_u32 s48, 32
	s_cselect_b64 s[52:53], -1, 0
	s_cmp_lg_u64 s[52:53], 0
	s_addc_u32 s48, s48, 0
	s_waitcnt vmcnt(0)
	v_cmp_ne_u16_e32 vcc, 0, v5
	s_or_b64 s[46:47], vcc, s[46:47]
	s_andn2_b64 exec, exec, s[46:47]
	s_cbranch_execnz .LBB364_116
; %bb.119:
	s_or_b64 exec, exec, s[46:47]
.LBB364_120:
	s_or_b64 exec, exec, s[0:1]
	v_mov_b32_e32 v12, s39
	v_mov_b32_e32 v13, s37
	v_cmp_eq_u16_e32 vcc, 1, v5
	v_mov_b32_e32 v14, s36
	s_waitcnt vmcnt(0)
	v_cndmask_b32_e32 v13, v12, v13, vcc
	v_mov_b32_e32 v12, s38
	v_cndmask_b32_e32 v12, v12, v14, vcc
	v_lshl_add_u64 v[10:11], v[10:11], 4, v[12:13]
	global_load_dword v14, v[10:11], off sc1
	global_load_dword v15, v[10:11], off offset:4 sc1
	global_load_dword v80, v[10:11], off offset:8 sc1
	s_nop 0
	global_load_dword v10, v[10:11], off offset:12 sc1
	v_cmp_eq_u16_e32 vcc, 2, v5
	s_waitcnt vmcnt(0)
	v_lshlrev_b64 v[10:11], v9, -1
	v_and_b32_e32 v20, 63, v9
	v_and_b32_e32 v12, vcc_hi, v11
	v_and_b32_e32 v25, vcc_lo, v10
	v_cmp_ne_u32_e32 vcc, 63, v20
	v_or_b32_e32 v12, 0x80000000, v12
	v_ffbl_b32_e32 v12, v12
	v_addc_co_u32_e32 v13, vcc, 0, v9, vcc
	v_lshlrev_b32_e32 v21, 2, v13
	v_add_u32_e32 v12, 32, v12
	v_ffbl_b32_e32 v25, v25
	v_min_u32_e32 v12, v25, v12
	v_cmp_lt_u32_e32 vcc, v20, v12
	ds_bpermute_b32 v23, v21, v14
	ds_bpermute_b32 v24, v21, v15
	v_and_b32_e32 v13, 0xff, v80
	ds_bpermute_b32 v22, v21, v13
	s_and_saveexec_b64 s[0:1], vcc
	s_cbranch_execz .LBB364_122
; %bb.121:
	v_mov_b32_e32 v13, 0
	v_cmp_eq_u16_sdwa vcc, v80, v13 src0_sel:BYTE_0 src1_sel:DWORD
	s_waitcnt lgkmcnt(0)
	v_or_b32_e32 v13, v22, v80
	v_and_b32_e32 v80, 1, v13
	v_cndmask_b32_e32 v25, 0, v24, vcc
	v_cndmask_b32_e32 v24, 0, v23, vcc
	v_lshl_add_u64 v[14:15], v[24:25], 0, v[14:15]
	v_and_b32_e32 v13, 1, v13
.LBB364_122:
	s_or_b64 exec, exec, s[0:1]
	v_cmp_gt_u32_e32 vcc, 62, v20
	s_waitcnt lgkmcnt(2)
	v_add_u32_e32 v23, 2, v20
	s_waitcnt lgkmcnt(0)
	v_cndmask_b32_e64 v22, 0, 1, vcc
	v_lshlrev_b32_e32 v22, 1, v22
	v_add_lshl_u32 v22, v22, v9, 2
	ds_bpermute_b32 v25, v22, v14
	ds_bpermute_b32 v26, v22, v15
	ds_bpermute_b32 v24, v22, v13
	v_cmp_le_u32_e32 vcc, v23, v12
	s_and_saveexec_b64 s[46:47], vcc
	s_cbranch_execz .LBB364_124
; %bb.123:
	v_mov_b32_e32 v13, 0
	v_cmp_eq_u16_sdwa vcc, v80, v13 src0_sel:BYTE_0 src1_sel:DWORD
	v_and_b32_e32 v13, 1, v80
	s_waitcnt lgkmcnt(1)
	v_cndmask_b32_e32 v27, 0, v26, vcc
	v_cndmask_b32_e32 v26, 0, v25, vcc
	v_cmp_eq_u32_e32 vcc, 1, v13
	s_waitcnt lgkmcnt(0)
	v_and_b32_e32 v13, 1, v24
	v_cmp_eq_u32_e64 s[0:1], 1, v13
	s_or_b64 s[0:1], vcc, s[0:1]
	v_lshl_add_u64 v[14:15], v[26:27], 0, v[14:15]
	v_cndmask_b32_e64 v80, 0, 1, s[0:1]
	v_cndmask_b32_e64 v13, 0, 1, s[0:1]
.LBB364_124:
	s_or_b64 exec, exec, s[46:47]
	v_cmp_gt_u32_e32 vcc, 60, v20
	s_waitcnt lgkmcnt(2)
	v_add_u32_e32 v25, 4, v20
	s_waitcnt lgkmcnt(0)
	v_cndmask_b32_e64 v24, 0, 1, vcc
	v_lshlrev_b32_e32 v24, 2, v24
	v_add_lshl_u32 v24, v24, v9, 2
	ds_bpermute_b32 v27, v24, v14
	ds_bpermute_b32 v32, v24, v15
	ds_bpermute_b32 v26, v24, v13
	v_cmp_le_u32_e32 vcc, v25, v12
	s_and_saveexec_b64 s[46:47], vcc
	s_cbranch_execz .LBB364_126
; %bb.125:
	v_mov_b32_e32 v13, 0
	v_cmp_eq_u16_sdwa vcc, v80, v13 src0_sel:BYTE_0 src1_sel:DWORD
	v_and_b32_e32 v13, 1, v80
	s_waitcnt lgkmcnt(1)
	v_cndmask_b32_e32 v33, 0, v32, vcc
	v_cndmask_b32_e32 v32, 0, v27, vcc
	v_cmp_eq_u32_e32 vcc, 1, v13
	s_waitcnt lgkmcnt(0)
	v_and_b32_e32 v13, 1, v26
	v_cmp_eq_u32_e64 s[0:1], 1, v13
	s_or_b64 s[0:1], vcc, s[0:1]
	v_lshl_add_u64 v[14:15], v[32:33], 0, v[14:15]
	v_cndmask_b32_e64 v80, 0, 1, s[0:1]
	v_cndmask_b32_e64 v13, 0, 1, s[0:1]
.LBB364_126:
	;; [unrolled: 30-line block ×4, first 2 shown]
	s_or_b64 exec, exec, s[46:47]
	v_cmp_gt_u32_e32 vcc, 32, v20
	s_waitcnt lgkmcnt(1)
	v_add_u32_e32 v66, 32, v20
	s_waitcnt lgkmcnt(0)
	v_cndmask_b32_e64 v62, 0, 1, vcc
	v_lshlrev_b32_e32 v62, 5, v62
	v_add_lshl_u32 v63, v62, v9, 2
	ds_bpermute_b32 v62, v63, v14
	ds_bpermute_b32 v67, v63, v15
	;; [unrolled: 1-line block ×3, first 2 shown]
	v_cmp_le_u32_e32 vcc, v66, v12
	s_and_saveexec_b64 s[46:47], vcc
	s_cbranch_execz .LBB364_132
; %bb.131:
	v_mov_b32_e32 v12, 0
	v_cmp_eq_u16_sdwa vcc, v80, v12 src0_sel:BYTE_0 src1_sel:DWORD
	s_waitcnt lgkmcnt(0)
	v_and_b32_e32 v9, 1, v9
	v_cmp_eq_u32_e64 s[0:1], 1, v9
	v_cndmask_b32_e32 v13, 0, v67, vcc
	v_cndmask_b32_e32 v12, 0, v62, vcc
	v_lshl_add_u64 v[14:15], v[12:13], 0, v[14:15]
	v_and_b32_e32 v12, 1, v80
	v_cmp_eq_u32_e32 vcc, 1, v12
	s_or_b64 s[0:1], vcc, s[0:1]
	v_cndmask_b32_e64 v80, 0, 1, s[0:1]
.LBB364_132:
	s_or_b64 exec, exec, s[46:47]
	s_waitcnt lgkmcnt(0)
	v_mov_b32_e32 v9, 0
	v_mov_b32_e32 v67, 2
	s_branch .LBB364_134
.LBB364_133:                            ;   in Loop: Header=BB364_134 Depth=1
	s_or_b64 exec, exec, s[48:49]
	v_cmp_eq_u16_sdwa vcc, v62, v9 src0_sel:BYTE_0 src1_sel:DWORD
	v_and_b32_e32 v80, 1, v62
	v_subrev_u32_e32 v8, 64, v8
	v_cndmask_b32_e32 v15, 0, v15, vcc
	v_cndmask_b32_e32 v14, 0, v14, vcc
	v_cmp_eq_u32_e32 vcc, 1, v80
	s_or_b64 s[0:1], vcc, s[46:47]
	v_lshl_add_u64 v[14:15], v[14:15], 0, v[12:13]
	v_cndmask_b32_e64 v80, 0, 1, s[0:1]
.LBB364_134:                            ; =>This Loop Header: Depth=1
                                        ;     Child Loop BB364_137 Depth 2
                                        ;       Child Loop BB364_138 Depth 3
	v_cmp_ne_u16_sdwa s[0:1], v5, v67 src0_sel:BYTE_0 src1_sel:DWORD
	v_mov_b32_e32 v62, v80
	v_mov_b64_e32 v[12:13], v[14:15]
	v_cndmask_b32_e64 v5, 0, 1, s[0:1]
	;;#ASMSTART
	;;#ASMEND
	s_nop 0
	v_cmp_ne_u32_e32 vcc, 0, v5
	s_cmp_lg_u64 vcc, exec
	s_cbranch_scc1 .LBB364_153
; %bb.135:                              ;   in Loop: Header=BB364_134 Depth=1
	global_load_ubyte v5, v8, s[40:41] sc1
	s_waitcnt vmcnt(0)
	v_cmp_eq_u16_e32 vcc, 0, v5
	s_and_saveexec_b64 s[0:1], vcc
	s_cbranch_execz .LBB364_141
; %bb.136:                              ;   in Loop: Header=BB364_134 Depth=1
	v_lshl_add_u64 v[14:15], s[40:41], 0, v[8:9]
	s_mov_b32 s48, 1
	s_mov_b64 s[46:47], 0
.LBB364_137:                            ;   Parent Loop BB364_134 Depth=1
                                        ; =>  This Loop Header: Depth=2
                                        ;       Child Loop BB364_138 Depth 3
	s_max_u32 s49, s48, 1
.LBB364_138:                            ;   Parent Loop BB364_134 Depth=1
                                        ;     Parent Loop BB364_137 Depth=2
                                        ; =>    This Inner Loop Header: Depth=3
	s_add_i32 s49, s49, -1
	s_cmp_eq_u32 s49, 0
	s_sleep 1
	s_cbranch_scc0 .LBB364_138
; %bb.139:                              ;   in Loop: Header=BB364_137 Depth=2
	global_load_ubyte v5, v[14:15], off sc1
	s_cmp_lt_u32 s48, 32
	s_cselect_b64 s[52:53], -1, 0
	s_cmp_lg_u64 s[52:53], 0
	s_addc_u32 s48, s48, 0
	s_waitcnt vmcnt(0)
	v_cmp_ne_u16_e32 vcc, 0, v5
	s_or_b64 s[46:47], vcc, s[46:47]
	s_andn2_b64 exec, exec, s[46:47]
	s_cbranch_execnz .LBB364_137
; %bb.140:                              ;   in Loop: Header=BB364_134 Depth=1
	s_or_b64 exec, exec, s[46:47]
.LBB364_141:                            ;   in Loop: Header=BB364_134 Depth=1
	s_or_b64 exec, exec, s[0:1]
	v_mov_b32_e32 v14, s39
	v_mov_b32_e32 v15, s37
	v_cmp_eq_u16_e32 vcc, 1, v5
	v_mov_b32_e32 v80, s36
	s_waitcnt vmcnt(0)
	v_cndmask_b32_e32 v15, v14, v15, vcc
	v_mov_b32_e32 v14, s38
	v_cndmask_b32_e32 v14, v14, v80, vcc
	s_waitcnt lgkmcnt(0)
	v_lshl_add_u64 v[82:83], v[8:9], 4, v[14:15]
	global_load_dword v14, v[82:83], off sc1
	global_load_dword v15, v[82:83], off offset:4 sc1
	global_load_dword v80, v[82:83], off offset:8 sc1
	;; [unrolled: 1-line block ×3, first 2 shown]
	v_cmp_eq_u16_e32 vcc, 2, v5
	s_waitcnt vmcnt(3)
	ds_bpermute_b32 v84, v21, v14
	s_waitcnt vmcnt(0)
	v_and_b32_e32 v81, vcc_hi, v11
	v_and_b32_e32 v82, 0xff, v80
	v_or_b32_e32 v81, 0x80000000, v81
	ds_bpermute_b32 v85, v21, v15
	ds_bpermute_b32 v83, v21, v82
	v_and_b32_e32 v86, vcc_lo, v10
	v_ffbl_b32_e32 v81, v81
	v_add_u32_e32 v81, 32, v81
	v_ffbl_b32_e32 v86, v86
	v_min_u32_e32 v81, v86, v81
	v_cmp_lt_u32_e32 vcc, v20, v81
	s_and_saveexec_b64 s[0:1], vcc
	s_cbranch_execz .LBB364_143
; %bb.142:                              ;   in Loop: Header=BB364_134 Depth=1
	v_cmp_eq_u16_sdwa vcc, v80, v9 src0_sel:BYTE_0 src1_sel:DWORD
	s_waitcnt lgkmcnt(0)
	v_or_b32_e32 v82, v83, v80
	v_and_b32_e32 v80, 1, v82
	v_cndmask_b32_e32 v85, 0, v85, vcc
	v_cndmask_b32_e32 v84, 0, v84, vcc
	v_lshl_add_u64 v[14:15], v[84:85], 0, v[14:15]
	v_and_b32_e32 v82, 1, v82
.LBB364_143:                            ;   in Loop: Header=BB364_134 Depth=1
	s_or_b64 exec, exec, s[0:1]
	s_waitcnt lgkmcnt(2)
	ds_bpermute_b32 v84, v22, v14
	s_waitcnt lgkmcnt(2)
	ds_bpermute_b32 v85, v22, v15
	;; [unrolled: 2-line block ×3, first 2 shown]
	v_and_b32_e32 v86, 1, v80
	v_cmp_le_u32_e32 vcc, v23, v81
	v_cmp_eq_u32_e64 s[46:47], 1, v86
	s_and_saveexec_b64 s[0:1], vcc
	s_cbranch_execz .LBB364_145
; %bb.144:                              ;   in Loop: Header=BB364_134 Depth=1
	v_cmp_eq_u16_sdwa vcc, v80, v9 src0_sel:BYTE_0 src1_sel:DWORD
	s_waitcnt lgkmcnt(0)
	v_and_b32_e32 v80, 1, v83
	v_cndmask_b32_e32 v85, 0, v85, vcc
	v_cndmask_b32_e32 v84, 0, v84, vcc
	v_cmp_eq_u32_e32 vcc, 1, v80
	s_or_b64 s[48:49], s[46:47], vcc
	v_cndmask_b32_e64 v80, 0, 1, s[48:49]
	v_cndmask_b32_e64 v82, 0, 1, s[48:49]
	s_andn2_b64 s[46:47], s[46:47], exec
	s_and_b64 s[48:49], s[48:49], exec
	v_lshl_add_u64 v[14:15], v[84:85], 0, v[14:15]
	s_or_b64 s[46:47], s[46:47], s[48:49]
.LBB364_145:                            ;   in Loop: Header=BB364_134 Depth=1
	s_or_b64 exec, exec, s[0:1]
	s_waitcnt lgkmcnt(2)
	ds_bpermute_b32 v84, v24, v14
	s_waitcnt lgkmcnt(2)
	ds_bpermute_b32 v85, v24, v15
	s_waitcnt lgkmcnt(2)
	ds_bpermute_b32 v83, v24, v82
	v_cmp_le_u32_e32 vcc, v25, v81
	s_and_saveexec_b64 s[48:49], vcc
	s_cbranch_execz .LBB364_147
; %bb.146:                              ;   in Loop: Header=BB364_134 Depth=1
	v_cmp_eq_u16_sdwa vcc, v80, v9 src0_sel:BYTE_0 src1_sel:DWORD
	v_and_b32_e32 v80, 1, v80
	s_andn2_b64 s[46:47], s[46:47], exec
	s_waitcnt lgkmcnt(1)
	v_cndmask_b32_e32 v85, 0, v85, vcc
	v_cndmask_b32_e32 v84, 0, v84, vcc
	v_cmp_eq_u32_e32 vcc, 1, v80
	s_waitcnt lgkmcnt(0)
	v_and_b32_e32 v80, 1, v83
	v_cmp_eq_u32_e64 s[0:1], 1, v80
	s_or_b64 s[0:1], vcc, s[0:1]
	v_lshl_add_u64 v[14:15], v[84:85], 0, v[14:15]
	v_cndmask_b32_e64 v80, 0, 1, s[0:1]
	v_cndmask_b32_e64 v82, 0, 1, s[0:1]
	s_and_b64 s[0:1], s[0:1], exec
	s_or_b64 s[46:47], s[46:47], s[0:1]
.LBB364_147:                            ;   in Loop: Header=BB364_134 Depth=1
	s_or_b64 exec, exec, s[48:49]
	s_waitcnt lgkmcnt(2)
	ds_bpermute_b32 v84, v26, v14
	s_waitcnt lgkmcnt(2)
	ds_bpermute_b32 v85, v26, v15
	s_waitcnt lgkmcnt(2)
	ds_bpermute_b32 v83, v26, v82
	v_cmp_le_u32_e32 vcc, v27, v81
	s_and_saveexec_b64 s[48:49], vcc
	s_cbranch_execz .LBB364_149
; %bb.148:                              ;   in Loop: Header=BB364_134 Depth=1
	v_cmp_eq_u16_sdwa vcc, v80, v9 src0_sel:BYTE_0 src1_sel:DWORD
	v_and_b32_e32 v80, 1, v80
	s_andn2_b64 s[46:47], s[46:47], exec
	s_waitcnt lgkmcnt(1)
	v_cndmask_b32_e32 v85, 0, v85, vcc
	v_cndmask_b32_e32 v84, 0, v84, vcc
	v_cmp_eq_u32_e32 vcc, 1, v80
	s_waitcnt lgkmcnt(0)
	v_and_b32_e32 v80, 1, v83
	v_cmp_eq_u32_e64 s[0:1], 1, v80
	s_or_b64 s[0:1], vcc, s[0:1]
	v_lshl_add_u64 v[14:15], v[84:85], 0, v[14:15]
	v_cndmask_b32_e64 v80, 0, 1, s[0:1]
	v_cndmask_b32_e64 v82, 0, 1, s[0:1]
	s_and_b64 s[0:1], s[0:1], exec
	s_or_b64 s[46:47], s[46:47], s[0:1]
.LBB364_149:                            ;   in Loop: Header=BB364_134 Depth=1
	s_or_b64 exec, exec, s[48:49]
	s_waitcnt lgkmcnt(2)
	ds_bpermute_b32 v84, v32, v14
	s_waitcnt lgkmcnt(2)
	ds_bpermute_b32 v85, v32, v15
	s_waitcnt lgkmcnt(2)
	ds_bpermute_b32 v83, v32, v82
	v_cmp_le_u32_e32 vcc, v33, v81
	s_and_saveexec_b64 s[48:49], vcc
	s_cbranch_execz .LBB364_151
; %bb.150:                              ;   in Loop: Header=BB364_134 Depth=1
	v_cmp_eq_u16_sdwa vcc, v80, v9 src0_sel:BYTE_0 src1_sel:DWORD
	v_and_b32_e32 v80, 1, v80
	s_andn2_b64 s[46:47], s[46:47], exec
	s_waitcnt lgkmcnt(1)
	v_cndmask_b32_e32 v85, 0, v85, vcc
	v_cndmask_b32_e32 v84, 0, v84, vcc
	v_cmp_eq_u32_e32 vcc, 1, v80
	s_waitcnt lgkmcnt(0)
	v_and_b32_e32 v80, 1, v83
	v_cmp_eq_u32_e64 s[0:1], 1, v80
	s_or_b64 s[0:1], vcc, s[0:1]
	v_lshl_add_u64 v[14:15], v[84:85], 0, v[14:15]
	v_cndmask_b32_e64 v80, 0, 1, s[0:1]
	v_cndmask_b32_e64 v82, 0, 1, s[0:1]
	s_and_b64 s[0:1], s[0:1], exec
	s_or_b64 s[46:47], s[46:47], s[0:1]
.LBB364_151:                            ;   in Loop: Header=BB364_134 Depth=1
	s_or_b64 exec, exec, s[48:49]
	s_waitcnt lgkmcnt(0)
	ds_bpermute_b32 v83, v63, v14
	ds_bpermute_b32 v84, v63, v15
	;; [unrolled: 1-line block ×3, first 2 shown]
	v_cmp_le_u32_e32 vcc, v66, v81
	s_and_saveexec_b64 s[48:49], vcc
	s_cbranch_execz .LBB364_133
; %bb.152:                              ;   in Loop: Header=BB364_134 Depth=1
	v_cmp_eq_u16_sdwa vcc, v80, v9 src0_sel:BYTE_0 src1_sel:DWORD
	v_and_b32_e32 v80, 1, v80
	s_andn2_b64 s[46:47], s[46:47], exec
	s_waitcnt lgkmcnt(1)
	v_cndmask_b32_e32 v85, 0, v84, vcc
	v_cndmask_b32_e32 v84, 0, v83, vcc
	v_cmp_eq_u32_e32 vcc, 1, v80
	s_waitcnt lgkmcnt(0)
	v_and_b32_e32 v80, 1, v82
	v_cmp_eq_u32_e64 s[0:1], 1, v80
	s_or_b64 s[0:1], vcc, s[0:1]
	s_and_b64 s[0:1], s[0:1], exec
	v_lshl_add_u64 v[14:15], v[84:85], 0, v[14:15]
	s_or_b64 s[46:47], s[46:47], s[0:1]
	s_branch .LBB364_133
.LBB364_153:                            ;   in Loop: Header=BB364_134 Depth=1
                                        ; implicit-def: $vgpr80
                                        ; implicit-def: $vgpr14_vgpr15
                                        ; implicit-def: $vgpr5
	s_cbranch_execz .LBB364_134
; %bb.154:
	s_and_saveexec_b64 s[0:1], s[28:29]
	s_cbranch_execz .LBB364_156
; %bb.155:
	s_mov_b32 s37, 0
	v_mov_b32_e32 v5, 0
	s_add_i32 s36, s43, 64
	v_cmp_eq_u32_sdwa vcc, v4, v5 src0_sel:BYTE_0 src1_sel:DWORD
	s_lshl_b64 s[46:47], s[36:37], 4
	v_and_b32_e32 v4, 1, v4
	v_cndmask_b32_e32 v9, 0, v13, vcc
	v_cndmask_b32_e32 v8, 0, v12, vcc
	s_add_u32 s46, s38, s46
	v_lshl_add_u64 v[2:3], v[8:9], 0, v[2:3]
	v_and_b32_e32 v8, 1, v62
	v_cmp_eq_u32_e32 vcc, 1, v4
	s_addc_u32 s47, s39, s47
	s_nop 0
	v_cndmask_b32_e64 v4, v8, 1, vcc
	global_store_dword v5, v2, s[46:47] sc1
	global_store_dword v5, v3, s[46:47] offset:4 sc1
	global_store_dword v5, v4, s[46:47] offset:8 sc1
	;; [unrolled: 1-line block ×3, first 2 shown]
	v_mov_b32_e32 v2, s36
	v_mov_b32_e32 v3, 2
	s_waitcnt vmcnt(0) lgkmcnt(0)
	global_store_byte v2, v3, s[40:41] sc1
.LBB364_156:
	s_or_b64 exec, exec, s[0:1]
	s_and_b64 exec, exec, s[30:31]
	s_cbranch_execz .LBB364_158
; %bb.157:
	v_mov_b32_e32 v2, 0
	ds_write_b64 v2, v[12:13] offset:48
	ds_write_b8 v2, v62 offset:56
.LBB364_158:
	s_or_b64 exec, exec, s[44:45]
	v_mov_b32_e32 v8, 0
	s_waitcnt lgkmcnt(0)
	s_barrier
	ds_read_b64 v[2:3], v8 offset:48
	v_cndmask_b32_e64 v9, v19, v16, s[28:29]
	v_cmp_eq_u16_sdwa vcc, v9, v8 src0_sel:BYTE_0 src1_sel:DWORD
	v_cndmask_b32_e64 v4, v17, v6, s[28:29]
	v_cndmask_b32_e64 v5, v18, v7, s[28:29]
	s_waitcnt lgkmcnt(0)
	v_cndmask_b32_e32 v7, 0, v3, vcc
	v_cndmask_b32_e32 v6, 0, v2, vcc
	v_lshl_add_u64 v[4:5], v[4:5], 0, v[6:7]
	v_cndmask_b32_e64 v3, v5, v3, s[30:31]
	v_cndmask_b32_e64 v2, v4, v2, s[30:31]
	v_cmp_eq_u16_sdwa vcc, v1, v8 src0_sel:BYTE_0 src1_sel:DWORD
	s_nop 1
	v_cndmask_b32_e32 v5, 0, v3, vcc
	v_cndmask_b32_e32 v4, 0, v2, vcc
	v_lshl_add_u64 v[4:5], v[4:5], 0, v[56:57]
	v_cndmask_b32_e64 v7, 0, v5, s[4:5]
	v_cndmask_b32_e64 v6, 0, v4, s[4:5]
	v_lshl_add_u64 v[6:7], v[6:7], 0, v[30:31]
	v_cndmask_b32_e64 v9, 0, v7, s[6:7]
	v_cndmask_b32_e64 v8, 0, v6, s[6:7]
	;; [unrolled: 3-line block ×12, first 2 shown]
	s_branch .LBB364_199
.LBB364_159:
	s_or_b64 exec, exec, s[0:1]
                                        ; implicit-def: $vgpr34_vgpr35
	s_and_saveexec_b64 s[0:1], s[4:5]
	s_cbranch_execz .LBB364_37
.LBB364_160:
	v_mov_b32_e32 v31, 0
	v_lshl_add_u64 v[34:35], v[62:63], 0, v[30:31]
	flat_load_dwordx2 v[34:35], v[34:35] offset:2048
	s_or_b64 exec, exec, s[0:1]
                                        ; implicit-def: $vgpr36_vgpr37
	s_and_saveexec_b64 s[0:1], s[6:7]
	s_cbranch_execnz .LBB364_38
.LBB364_161:
	s_or_b64 exec, exec, s[0:1]
                                        ; implicit-def: $vgpr38_vgpr39
	s_and_saveexec_b64 s[0:1], s[8:9]
	s_cbranch_execz .LBB364_39
.LBB364_162:
	v_lshlrev_b32_e32 v38, 3, v40
	v_mov_b32_e32 v39, 0
	v_lshl_add_u64 v[38:39], v[62:63], 0, v[38:39]
	flat_load_dwordx2 v[38:39], v[38:39]
	s_or_b64 exec, exec, s[0:1]
                                        ; implicit-def: $vgpr40_vgpr41
	s_and_saveexec_b64 s[0:1], s[10:11]
	s_cbranch_execnz .LBB364_40
.LBB364_163:
	s_or_b64 exec, exec, s[0:1]
                                        ; implicit-def: $vgpr42_vgpr43
	s_and_saveexec_b64 s[0:1], s[12:13]
	s_cbranch_execz .LBB364_41
.LBB364_164:
	v_lshlrev_b32_e32 v42, 3, v44
	v_mov_b32_e32 v43, 0
	v_lshl_add_u64 v[42:43], v[62:63], 0, v[42:43]
	flat_load_dwordx2 v[42:43], v[42:43]
	s_or_b64 exec, exec, s[0:1]
                                        ; implicit-def: $vgpr44_vgpr45
	s_and_saveexec_b64 s[0:1], s[14:15]
	s_cbranch_execnz .LBB364_42
.LBB364_165:
	s_or_b64 exec, exec, s[0:1]
                                        ; implicit-def: $vgpr46_vgpr47
	s_and_saveexec_b64 s[0:1], s[16:17]
	s_cbranch_execz .LBB364_43
.LBB364_166:
	v_lshlrev_b32_e32 v46, 3, v48
	v_mov_b32_e32 v47, 0
	v_lshl_add_u64 v[46:47], v[62:63], 0, v[46:47]
	flat_load_dwordx2 v[46:47], v[46:47]
	s_or_b64 exec, exec, s[0:1]
                                        ; implicit-def: $vgpr48_vgpr49
	s_and_saveexec_b64 s[0:1], s[18:19]
	s_cbranch_execnz .LBB364_44
.LBB364_167:
	s_or_b64 exec, exec, s[0:1]
                                        ; implicit-def: $vgpr50_vgpr51
	s_and_saveexec_b64 s[0:1], s[20:21]
	s_cbranch_execz .LBB364_45
.LBB364_168:
	v_lshlrev_b32_e32 v50, 3, v52
	v_mov_b32_e32 v51, 0
	v_lshl_add_u64 v[50:51], v[62:63], 0, v[50:51]
	flat_load_dwordx2 v[50:51], v[50:51]
	s_or_b64 exec, exec, s[0:1]
                                        ; implicit-def: $vgpr52_vgpr53
	s_and_saveexec_b64 s[0:1], s[22:23]
	s_cbranch_execnz .LBB364_46
.LBB364_169:
	s_or_b64 exec, exec, s[0:1]
                                        ; implicit-def: $vgpr56_vgpr57
	s_and_saveexec_b64 s[0:1], s[24:25]
	s_cbranch_execz .LBB364_47
.LBB364_170:
	v_lshlrev_b32_e32 v56, 3, v58
	v_mov_b32_e32 v57, 0
	v_lshl_add_u64 v[56:57], v[62:63], 0, v[56:57]
	flat_load_dwordx2 v[56:57], v[56:57]
	s_or_b64 exec, exec, s[0:1]
                                        ; implicit-def: $vgpr58_vgpr59
	s_and_saveexec_b64 s[0:1], s[26:27]
	s_cbranch_execz .LBB364_49
	s_branch .LBB364_48
.LBB364_171:
                                        ; implicit-def: $vgpr2_vgpr3
                                        ; implicit-def: $vgpr62_vgpr63
                                        ; implicit-def: $vgpr26_vgpr27
                                        ; implicit-def: $vgpr24_vgpr25
                                        ; implicit-def: $vgpr20_vgpr21
                                        ; implicit-def: $vgpr16_vgpr17
                                        ; implicit-def: $vgpr12_vgpr13
                                        ; implicit-def: $vgpr8_vgpr9
	s_cbranch_execz .LBB364_199
; %bb.172:
	s_cmp_lg_u64 s[58:59], 0
	s_cselect_b32 s1, s55, 0
	s_cselect_b32 s0, s54, 0
	s_cmp_eq_u64 s[0:1], 0
	v_mov_b64_e32 v[32:33], s[56:57]
	s_cbranch_scc1 .LBB364_174
; %bb.173:
	v_mov_b32_e32 v2, 0
	global_load_dwordx2 v[32:33], v2, s[0:1]
.LBB364_174:
	v_mov_b32_e32 v4, 0
	v_cmp_eq_u16_sdwa vcc, v68, v4 src0_sel:BYTE_0 src1_sel:DWORD
	v_cmp_eq_u16_sdwa s[4:5], v69, v4 src0_sel:BYTE_0 src1_sel:DWORD
	v_cmp_eq_u16_sdwa s[6:7], v70, v4 src0_sel:BYTE_0 src1_sel:DWORD
	v_cndmask_b32_e32 v3, 0, v57, vcc
	v_cndmask_b32_e32 v2, 0, v56, vcc
	v_lshl_add_u64 v[2:3], v[2:3], 0, v[30:31]
	v_cndmask_b32_e64 v3, 0, v3, s[4:5]
	v_cndmask_b32_e64 v2, 0, v2, s[4:5]
	v_lshl_add_u64 v[2:3], v[2:3], 0, v[50:51]
	v_cndmask_b32_e64 v3, 0, v3, s[6:7]
	v_cndmask_b32_e64 v2, 0, v2, s[6:7]
	v_lshl_add_u64 v[2:3], v[2:3], 0, v[46:47]
	v_cmp_eq_u16_sdwa s[8:9], v72, v4 src0_sel:BYTE_0 src1_sel:DWORD
	v_cmp_eq_u16_sdwa s[10:11], v73, v4 src0_sel:BYTE_0 src1_sel:DWORD
	;; [unrolled: 1-line block ×3, first 2 shown]
	v_cndmask_b32_e64 v3, 0, v3, s[8:9]
	v_cndmask_b32_e64 v2, 0, v2, s[8:9]
	v_lshl_add_u64 v[2:3], v[2:3], 0, v[48:49]
	v_cndmask_b32_e64 v3, 0, v3, s[10:11]
	v_cndmask_b32_e64 v2, 0, v2, s[10:11]
	v_lshl_add_u64 v[2:3], v[2:3], 0, v[42:43]
	;; [unrolled: 3-line block ×3, first 2 shown]
	v_cmp_eq_u16_sdwa s[14:15], v75, v4 src0_sel:BYTE_0 src1_sel:DWORD
	v_cmp_eq_u16_sdwa s[16:17], v76, v4 src0_sel:BYTE_0 src1_sel:DWORD
	;; [unrolled: 1-line block ×3, first 2 shown]
	v_cndmask_b32_e64 v3, 0, v3, s[14:15]
	v_cndmask_b32_e64 v2, 0, v2, s[14:15]
	v_lshl_add_u64 v[2:3], v[2:3], 0, v[38:39]
	v_cndmask_b32_e64 v3, 0, v3, s[16:17]
	v_cndmask_b32_e64 v2, 0, v2, s[16:17]
	v_cmp_eq_u16_sdwa s[20:21], v78, v4 src0_sel:BYTE_0 src1_sel:DWORD
	v_cmp_eq_u16_sdwa s[22:23], v79, v4 src0_sel:BYTE_0 src1_sel:DWORD
	;; [unrolled: 1-line block ×4, first 2 shown]
	v_or_b32_e32 v4, v65, v78
	v_lshl_add_u64 v[2:3], v[2:3], 0, v[40:41]
	v_or_b32_e32 v4, v4, v77
	v_cndmask_b32_e64 v3, 0, v3, s[18:19]
	v_cndmask_b32_e64 v2, 0, v2, s[18:19]
	v_or_b32_e32 v4, v4, v76
	v_lshl_add_u64 v[2:3], v[2:3], 0, v[52:53]
	v_or_b32_e32 v4, v4, v75
	v_cndmask_b32_e64 v3, 0, v3, s[20:21]
	v_cndmask_b32_e64 v2, 0, v2, s[20:21]
	;; [unrolled: 5-line block ×5, first 2 shown]
	v_or_b32_e32 v4, v4, v1
	v_mbcnt_hi_u32_b32 v6, -1, v64
	v_lshl_add_u64 v[2:3], v[2:3], 0, v[28:29]
	v_and_b32_e32 v7, 1, v4
	v_and_b32_e32 v5, 15, v6
	v_cmp_eq_u32_e64 s[0:1], 1, v7
	v_mov_b32_dpp v9, v2 row_shr:1 row_mask:0xf bank_mask:0xf
	v_mov_b32_dpp v10, v3 row_shr:1 row_mask:0xf bank_mask:0xf
	;; [unrolled: 1-line block ×3, first 2 shown]
	v_cmp_ne_u32_e64 s[26:27], 0, v5
	v_mov_b32_e32 v4, v7
	s_and_saveexec_b64 s[28:29], s[26:27]
; %bb.175:
	v_and_b32_e32 v4, 1, v8
	v_cndmask_b32_e64 v11, v10, 0, s[0:1]
	v_cndmask_b32_e64 v10, v9, 0, s[0:1]
	v_or_b32_e32 v7, v4, v7
	v_lshl_add_u64 v[2:3], v[10:11], 0, v[2:3]
	v_and_b32_e32 v4, 0xffff, v7
; %bb.176:
	s_or_b64 exec, exec, s[28:29]
	v_mov_b32_dpp v9, v2 row_shr:2 row_mask:0xf bank_mask:0xf
	v_mov_b32_dpp v10, v3 row_shr:2 row_mask:0xf bank_mask:0xf
	;; [unrolled: 1-line block ×3, first 2 shown]
	v_cmp_lt_u32_e64 s[0:1], 1, v5
	s_and_saveexec_b64 s[28:29], s[0:1]
; %bb.177:
	v_cmp_eq_u16_e64 s[0:1], 0, v7
	v_and_b32_e32 v4, 1, v7
	s_nop 0
	v_cndmask_b32_e64 v11, 0, v10, s[0:1]
	v_cndmask_b32_e64 v10, 0, v9, s[0:1]
	v_cmp_eq_u32_e64 s[0:1], 1, v4
	v_and_b32_e32 v4, 1, v8
	v_cmp_eq_u32_e64 s[26:27], 1, v4
	s_or_b64 s[0:1], s[0:1], s[26:27]
	v_lshl_add_u64 v[2:3], v[10:11], 0, v[2:3]
	v_cndmask_b32_e64 v7, 0, 1, s[0:1]
	v_cndmask_b32_e64 v4, 0, 1, s[0:1]
; %bb.178:
	s_or_b64 exec, exec, s[28:29]
	v_mov_b32_dpp v9, v2 row_shr:4 row_mask:0xf bank_mask:0xf
	v_mov_b32_dpp v10, v3 row_shr:4 row_mask:0xf bank_mask:0xf
	;; [unrolled: 1-line block ×3, first 2 shown]
	v_cmp_lt_u32_e64 s[0:1], 3, v5
	s_and_saveexec_b64 s[28:29], s[0:1]
; %bb.179:
	v_cmp_eq_u16_e64 s[0:1], 0, v7
	v_and_b32_e32 v4, 1, v7
	s_nop 0
	v_cndmask_b32_e64 v11, 0, v10, s[0:1]
	v_cndmask_b32_e64 v10, 0, v9, s[0:1]
	v_cmp_eq_u32_e64 s[0:1], 1, v4
	v_and_b32_e32 v4, 1, v8
	v_cmp_eq_u32_e64 s[26:27], 1, v4
	s_or_b64 s[0:1], s[0:1], s[26:27]
	v_lshl_add_u64 v[2:3], v[10:11], 0, v[2:3]
	v_cndmask_b32_e64 v7, 0, 1, s[0:1]
	v_cndmask_b32_e64 v4, 0, 1, s[0:1]
; %bb.180:
	s_or_b64 exec, exec, s[28:29]
	v_mov_b32_dpp v9, v2 row_shr:8 row_mask:0xf bank_mask:0xf
	v_mov_b32_dpp v10, v3 row_shr:8 row_mask:0xf bank_mask:0xf
	;; [unrolled: 1-line block ×3, first 2 shown]
	v_cmp_lt_u32_e64 s[0:1], 7, v5
	s_and_saveexec_b64 s[28:29], s[0:1]
; %bb.181:
	v_cmp_eq_u16_e64 s[0:1], 0, v7
	s_nop 1
	v_cndmask_b32_e64 v5, 0, v10, s[0:1]
	v_cndmask_b32_e64 v4, 0, v9, s[0:1]
	v_lshl_add_u64 v[2:3], v[4:5], 0, v[2:3]
	v_and_b32_e32 v4, 1, v7
	v_cmp_eq_u32_e64 s[0:1], 1, v4
	v_and_b32_e32 v4, 1, v8
	v_cmp_eq_u32_e64 s[26:27], 1, v4
	s_or_b64 s[0:1], s[0:1], s[26:27]
	v_cndmask_b32_e64 v7, 0, 1, s[0:1]
	v_cndmask_b32_e64 v4, 0, 1, s[0:1]
; %bb.182:
	s_or_b64 exec, exec, s[28:29]
	v_and_b32_e32 v10, 16, v6
	v_mov_b32_dpp v8, v2 row_bcast:15 row_mask:0xf bank_mask:0xf
	v_mov_b32_dpp v9, v3 row_bcast:15 row_mask:0xf bank_mask:0xf
	;; [unrolled: 1-line block ×3, first 2 shown]
	v_cmp_ne_u32_e64 s[0:1], 0, v10
	s_and_saveexec_b64 s[28:29], s[0:1]
; %bb.183:
	v_cmp_eq_u16_e64 s[0:1], 0, v7
	v_and_b32_e32 v4, 1, v7
	s_nop 0
	v_cndmask_b32_e64 v9, 0, v9, s[0:1]
	v_cndmask_b32_e64 v8, 0, v8, s[0:1]
	v_cmp_eq_u32_e64 s[0:1], 1, v4
	v_and_b32_e32 v4, 1, v5
	v_cmp_eq_u32_e64 s[26:27], 1, v4
	s_or_b64 s[0:1], s[0:1], s[26:27]
	v_lshl_add_u64 v[2:3], v[8:9], 0, v[2:3]
	v_cndmask_b32_e64 v7, 0, 1, s[0:1]
	v_cndmask_b32_e64 v4, 0, 1, s[0:1]
; %bb.184:
	s_or_b64 exec, exec, s[28:29]
	v_mov_b32_dpp v5, v2 row_bcast:31 row_mask:0xf bank_mask:0xf
	v_mov_b32_dpp v8, v3 row_bcast:31 row_mask:0xf bank_mask:0xf
	;; [unrolled: 1-line block ×3, first 2 shown]
	v_cmp_lt_u32_e64 s[0:1], 31, v6
	s_and_saveexec_b64 s[28:29], s[0:1]
; %bb.185:
	v_cmp_eq_u16_e64 s[0:1], 0, v7
	v_and_b32_e32 v4, 1, v4
	v_cmp_eq_u32_e64 s[26:27], 1, v4
	v_cndmask_b32_e64 v9, 0, v8, s[0:1]
	v_cndmask_b32_e64 v8, 0, v5, s[0:1]
	v_and_b32_e32 v5, 1, v7
	v_cmp_eq_u32_e64 s[0:1], 1, v5
	s_or_b64 s[0:1], s[0:1], s[26:27]
	v_lshl_add_u64 v[2:3], v[8:9], 0, v[2:3]
	v_cndmask_b32_e64 v7, 0, 1, s[0:1]
; %bb.186:
	s_or_b64 exec, exec, s[28:29]
	v_or_b32_e32 v4, 63, v0
	v_lshrrev_b32_e32 v8, 6, v0
	v_cmp_eq_u32_e64 s[0:1], v4, v0
	s_and_saveexec_b64 s[26:27], s[0:1]
	s_cbranch_execz .LBB364_188
; %bb.187:
	v_lshlrev_b32_e32 v4, 4, v8
	ds_write_b64 v4, v[2:3]
	ds_write_b8 v4, v7 offset:8
.LBB364_188:
	s_or_b64 exec, exec, s[26:27]
	v_cmp_gt_u32_e64 s[0:1], 4, v0
	s_waitcnt lgkmcnt(0)
	s_barrier
	s_and_saveexec_b64 s[28:29], s[0:1]
	s_cbranch_execz .LBB364_194
; %bb.189:
	v_lshlrev_b32_e32 v9, 4, v0
	ds_read_b64 v[4:5], v9
	ds_read_b32 v10, v9 offset:8
	v_and_b32_e32 v11, 3, v6
	v_cmp_ne_u32_e64 s[0:1], 0, v11
	s_waitcnt lgkmcnt(1)
	v_mov_b32_dpp v15, v4 row_shr:1 row_mask:0xf bank_mask:0xf
	v_mov_b32_dpp v16, v5 row_shr:1 row_mask:0xf bank_mask:0xf
	s_waitcnt lgkmcnt(0)
	v_mov_b32_dpp v14, v10 row_shr:1 row_mask:0xf bank_mask:0xf
	v_mov_b32_e32 v12, v10
	v_mov_b32_e32 v13, v10
	s_and_saveexec_b64 s[26:27], s[0:1]
; %bb.190:
	v_mov_b32_e32 v12, 0
	v_cmp_eq_u16_sdwa s[0:1], v10, v12 src0_sel:BYTE_0 src1_sel:DWORD
	s_nop 1
	v_cndmask_b32_e64 v13, 0, v16, s[0:1]
	v_cndmask_b32_e64 v12, 0, v15, s[0:1]
	v_lshl_add_u64 v[4:5], v[12:13], 0, v[4:5]
	v_or_b32_e32 v13, v14, v10
	v_and_b32_e32 v12, 1, v13
	v_and_b32_e32 v13, 1, v13
	s_movk_i32 s0, 0xff00
	v_and_or_b32 v10, v10, s0, v13
; %bb.191:
	s_or_b64 exec, exec, s[26:27]
	v_mov_b32_dpp v14, v4 row_shr:2 row_mask:0xf bank_mask:0xf
	v_mov_b32_dpp v15, v5 row_shr:2 row_mask:0xf bank_mask:0xf
	;; [unrolled: 1-line block ×3, first 2 shown]
	v_cmp_lt_u32_e64 s[0:1], 1, v11
	s_and_saveexec_b64 s[36:37], s[0:1]
; %bb.192:
	v_mov_b32_e32 v11, 0
	v_cmp_eq_u16_sdwa s[0:1], v13, v11 src0_sel:BYTE_0 src1_sel:DWORD
	v_and_b32_e32 v11, 1, v13
	v_and_b32_e32 v10, 1, v10
	v_cndmask_b32_e64 v15, 0, v15, s[0:1]
	v_cndmask_b32_e64 v14, 0, v14, s[0:1]
	v_cmp_eq_u32_e64 s[0:1], 1, v11
	v_cmp_eq_u32_e64 s[26:27], 1, v10
	s_or_b64 s[0:1], s[0:1], s[26:27]
	v_lshl_add_u64 v[4:5], v[14:15], 0, v[4:5]
	v_cndmask_b32_e64 v12, 0, 1, s[0:1]
; %bb.193:
	s_or_b64 exec, exec, s[36:37]
	ds_write_b64 v9, v[4:5]
	ds_write_b8 v9, v12 offset:8
.LBB364_194:
	s_or_b64 exec, exec, s[28:29]
	v_cmp_lt_u32_e64 s[0:1], 63, v0
	s_waitcnt vmcnt(0)
	v_mov_b64_e32 v[4:5], v[32:33]
	s_waitcnt lgkmcnt(0)
	s_barrier
	s_and_saveexec_b64 s[26:27], s[0:1]
	s_cbranch_execz .LBB364_196
; %bb.195:
	v_lshl_add_u32 v4, v8, 4, -16
	ds_read_u8 v8, v4 offset:8
	ds_read_b64 v[4:5], v4
	s_waitcnt lgkmcnt(1)
	v_cmp_eq_u16_e64 s[0:1], 0, v8
	s_nop 1
	v_cndmask_b32_e64 v9, 0, v33, s[0:1]
	v_cndmask_b32_e64 v8, 0, v32, s[0:1]
	s_waitcnt lgkmcnt(0)
	v_lshl_add_u64 v[4:5], v[8:9], 0, v[4:5]
.LBB364_196:
	s_or_b64 exec, exec, s[26:27]
	v_cmp_eq_u16_e64 s[0:1], 0, v7
	v_add_u32_e32 v7, -1, v6
	v_mov_b32_e32 v28, 0
	v_cndmask_b32_e64 v9, 0, v5, s[0:1]
	v_cndmask_b32_e64 v8, 0, v4, s[0:1]
	v_lshl_add_u64 v[2:3], v[8:9], 0, v[2:3]
	v_and_b32_e32 v8, 64, v6
	v_cmp_lt_i32_e64 s[0:1], v7, v8
	s_nop 1
	v_cndmask_b32_e64 v7, v7, v6, s[0:1]
	v_lshlrev_b32_e32 v7, 2, v7
	ds_bpermute_b32 v3, v7, v3
	ds_bpermute_b32 v2, v7, v2
	v_cmp_eq_u32_e64 s[0:1], 0, v6
	s_waitcnt lgkmcnt(1)
	s_nop 0
	v_cndmask_b32_e64 v3, v3, v5, s[0:1]
	s_waitcnt lgkmcnt(0)
	v_cndmask_b32_e64 v2, v2, v4, s[0:1]
	v_cndmask_b32_e64 v4, v2, v32, s[30:31]
	;; [unrolled: 1-line block ×3, first 2 shown]
	v_cmp_eq_u16_sdwa s[0:1], v1, v28 src0_sel:BYTE_0 src1_sel:DWORD
	s_nop 1
	v_cndmask_b32_e64 v5, 0, v5, s[0:1]
	v_cndmask_b32_e64 v4, 0, v4, s[0:1]
	v_lshl_add_u64 v[4:5], v[4:5], 0, v[56:57]
	v_cndmask_b32_e32 v7, 0, v5, vcc
	v_cndmask_b32_e32 v6, 0, v4, vcc
	v_lshl_add_u64 v[6:7], v[6:7], 0, v[30:31]
	v_cndmask_b32_e64 v9, 0, v7, s[4:5]
	v_cndmask_b32_e64 v8, 0, v6, s[4:5]
	v_lshl_add_u64 v[8:9], v[8:9], 0, v[50:51]
	v_cndmask_b32_e64 v11, 0, v9, s[6:7]
	v_cndmask_b32_e64 v10, 0, v8, s[6:7]
	;; [unrolled: 3-line block ×11, first 2 shown]
	s_and_saveexec_b64 s[0:1], s[30:31]
	s_cbranch_execz .LBB364_198
; %bb.197:
	ds_read_u8 v1, v28 offset:56
	ds_read_b64 v[2:3], v28 offset:48
	s_waitcnt lgkmcnt(1)
	v_cmp_eq_u32_e32 vcc, 0, v1
	s_nop 1
	v_cndmask_b32_e32 v31, 0, v33, vcc
	v_cndmask_b32_e32 v30, 0, v32, vcc
	s_waitcnt lgkmcnt(0)
	v_lshl_add_u64 v[2:3], v[30:31], 0, v[2:3]
	global_store_dword v28, v2, s[38:39] offset:1024 sc1
	global_store_dword v28, v3, s[38:39] offset:1028 sc1
	;; [unrolled: 1-line block ×4, first 2 shown]
	v_mov_b32_e32 v1, 2
	v_mov_b64_e32 v[2:3], v[32:33]
	s_waitcnt vmcnt(0)
	global_store_byte v28, v1, s[40:41] offset:64 sc1
.LBB364_198:
	s_or_b64 exec, exec, s[0:1]
.LBB364_199:
	s_add_u32 s0, s50, s34
	s_addc_u32 s1, s51, s35
	v_mul_u32_u24_e32 v1, 14, v0
	v_lshl_add_u64 v[28:29], v[62:63], 0, v[34:35]
	v_lshl_add_u64 v[56:57], s[0:1], 0, v[54:55]
	s_and_b64 vcc, exec, s[2:3]
	v_lshlrev_b32_e32 v62, 3, v1
	s_cbranch_vccz .LBB364_227
; %bb.200:
	s_movk_i32 s0, 0xff98
	v_mad_i32_i24 v1, v0, s0, v62
	s_barrier
	ds_write_b128 v62, v[2:5]
	ds_write_b128 v62, v[6:9] offset:16
	ds_write_b128 v62, v[10:13] offset:32
	;; [unrolled: 1-line block ×6, first 2 shown]
	s_waitcnt lgkmcnt(0)
	s_barrier
	ds_read2st64_b64 v[52:55], v1 offset0:4 offset1:8
	ds_read2st64_b64 v[48:51], v1 offset0:12 offset1:16
	;; [unrolled: 1-line block ×6, first 2 shown]
	ds_read_b64 v[30:31], v1 offset:26624
	s_add_i32 s33, s33, s42
	v_mov_b32_e32 v61, 0
	v_lshl_add_u64 v[58:59], v[56:57], 0, v[60:61]
	v_cmp_gt_u32_e32 vcc, s33, v0
	s_and_saveexec_b64 s[0:1], vcc
	s_cbranch_execz .LBB364_202
; %bb.201:
	v_mul_i32_i24_e32 v1, 0xffffff98, v0
	v_add_u32_e32 v1, v62, v1
	ds_read_b64 v[64:65], v1
	s_waitcnt lgkmcnt(0)
	flat_store_dwordx2 v[58:59], v[64:65]
.LBB364_202:
	s_or_b64 exec, exec, s[0:1]
	v_or_b32_e32 v1, 0x100, v0
	v_cmp_gt_u32_e32 vcc, s33, v1
	s_and_saveexec_b64 s[0:1], vcc
	s_cbranch_execz .LBB364_204
; %bb.203:
	s_waitcnt lgkmcnt(0)
	flat_store_dwordx2 v[58:59], v[52:53] offset:2048
.LBB364_204:
	s_or_b64 exec, exec, s[0:1]
	v_or_b32_e32 v1, 0x200, v0
	v_cmp_gt_u32_e32 vcc, s33, v1
	s_and_saveexec_b64 s[0:1], vcc
	s_cbranch_execz .LBB364_206
; %bb.205:
	s_waitcnt lgkmcnt(0)
	v_add_co_u32_e32 v52, vcc, 0x1000, v58
	s_nop 1
	v_addc_co_u32_e32 v53, vcc, 0, v59, vcc
	flat_store_dwordx2 v[52:53], v[54:55]
.LBB364_206:
	s_or_b64 exec, exec, s[0:1]
	v_or_b32_e32 v1, 0x300, v0
	v_cmp_gt_u32_e32 vcc, s33, v1
	s_and_saveexec_b64 s[0:1], vcc
	s_cbranch_execz .LBB364_208
; %bb.207:
	s_waitcnt lgkmcnt(0)
	v_add_co_u32_e32 v52, vcc, 0x1000, v58
	s_nop 1
	v_addc_co_u32_e32 v53, vcc, 0, v59, vcc
	flat_store_dwordx2 v[52:53], v[48:49] offset:2048
.LBB364_208:
	s_or_b64 exec, exec, s[0:1]
	v_or_b32_e32 v1, 0x400, v0
	v_cmp_gt_u32_e32 vcc, s33, v1
	s_and_saveexec_b64 s[0:1], vcc
	s_cbranch_execz .LBB364_210
; %bb.209:
	s_waitcnt lgkmcnt(0)
	v_add_co_u32_e32 v48, vcc, 0x2000, v58
	s_nop 1
	v_addc_co_u32_e32 v49, vcc, 0, v59, vcc
	flat_store_dwordx2 v[48:49], v[50:51]
.LBB364_210:
	s_or_b64 exec, exec, s[0:1]
	v_or_b32_e32 v1, 0x500, v0
	v_cmp_gt_u32_e32 vcc, s33, v1
	s_and_saveexec_b64 s[0:1], vcc
	s_cbranch_execz .LBB364_212
; %bb.211:
	s_waitcnt lgkmcnt(0)
	v_add_co_u32_e32 v48, vcc, 0x2000, v58
	s_nop 1
	v_addc_co_u32_e32 v49, vcc, 0, v59, vcc
	flat_store_dwordx2 v[48:49], v[44:45] offset:2048
.LBB364_212:
	;; [unrolled: 24-line block ×5, first 2 shown]
	s_or_b64 exec, exec, s[0:1]
	v_or_b32_e32 v1, 0xc00, v0
	v_cmp_gt_u32_e32 vcc, s33, v1
	s_and_saveexec_b64 s[0:1], vcc
	s_cbranch_execz .LBB364_226
; %bb.225:
	s_waitcnt lgkmcnt(0)
	v_add_co_u32_e32 v32, vcc, 0x6000, v58
	s_nop 1
	v_addc_co_u32_e32 v33, vcc, 0, v59, vcc
	flat_store_dwordx2 v[32:33], v[34:35]
.LBB364_226:
	s_or_b64 exec, exec, s[0:1]
	s_waitcnt lgkmcnt(0)
	v_or_b32_e32 v32, 0xd00, v0
	v_mov_b32_e32 v1, v61
	v_cmp_gt_u32_e64 s[0:1], s33, v32
	s_branch .LBB364_229
.LBB364_227:
	s_mov_b64 s[0:1], 0
                                        ; implicit-def: $vgpr30_vgpr31
	s_cbranch_execz .LBB364_229
; %bb.228:
	v_mov_b32_e32 v1, 0
	s_movk_i32 s2, 0xff98
	s_barrier
	ds_write_b128 v62, v[2:5]
	ds_write_b128 v62, v[6:9] offset:16
	ds_write_b128 v62, v[10:13] offset:32
	;; [unrolled: 1-line block ×6, first 2 shown]
	v_mad_i32_i24 v26, v0, s2, v62
	v_mov_b32_e32 v61, v1
	s_waitcnt lgkmcnt(0)
	s_barrier
	ds_read2st64_b64 v[2:5], v26 offset1:4
	ds_read2st64_b64 v[6:9], v26 offset0:8 offset1:12
	ds_read2st64_b64 v[10:13], v26 offset0:16 offset1:20
	;; [unrolled: 1-line block ×6, first 2 shown]
	v_lshl_add_u64 v[26:27], v[56:57], 0, v[60:61]
	s_movk_i32 s2, 0x1000
	s_waitcnt lgkmcnt(0)
	flat_store_dwordx2 v[26:27], v[2:3]
	flat_store_dwordx2 v[26:27], v[4:5] offset:2048
	v_add_co_u32_e32 v2, vcc, s2, v26
	s_movk_i32 s2, 0x2000
	s_nop 0
	v_addc_co_u32_e32 v3, vcc, 0, v27, vcc
	flat_store_dwordx2 v[2:3], v[6:7]
	flat_store_dwordx2 v[2:3], v[8:9] offset:2048
	v_add_co_u32_e32 v2, vcc, s2, v26
	s_movk_i32 s2, 0x3000
	s_nop 0
	v_addc_co_u32_e32 v3, vcc, 0, v27, vcc
	;; [unrolled: 6-line block ×3, first 2 shown]
	flat_store_dwordx2 v[2:3], v[14:15]
	flat_store_dwordx2 v[2:3], v[16:17] offset:2048
	v_add_co_u32_e32 v2, vcc, s2, v26
	s_or_b64 s[0:1], s[0:1], exec
	s_nop 0
	v_addc_co_u32_e32 v3, vcc, 0, v27, vcc
	flat_store_dwordx2 v[2:3], v[18:19]
	flat_store_dwordx2 v[2:3], v[20:21] offset:2048
	v_add_co_u32_e32 v2, vcc, 0x5000, v26
	s_nop 1
	v_addc_co_u32_e32 v3, vcc, 0, v27, vcc
	flat_store_dwordx2 v[2:3], v[22:23]
	flat_store_dwordx2 v[2:3], v[24:25] offset:2048
	v_add_co_u32_e32 v2, vcc, 0x6000, v26
	s_nop 1
	v_addc_co_u32_e32 v3, vcc, 0, v27, vcc
	flat_store_dwordx2 v[2:3], v[28:29]
.LBB364_229:
	s_and_saveexec_b64 s[2:3], s[0:1]
	s_cbranch_execz .LBB364_231
; %bb.230:
	v_lshl_add_u64 v[0:1], v[0:1], 3, v[56:57]
	v_add_co_u32_e32 v0, vcc, 0x6000, v0
	s_nop 1
	v_addc_co_u32_e32 v1, vcc, 0, v1, vcc
	flat_store_dwordx2 v[0:1], v[30:31] offset:2048
	s_endpgm
.LBB364_231:
	s_endpgm
	.section	.rodata,"a",@progbits
	.p2align	6, 0x0
	.amdhsa_kernel _ZN7rocprim17ROCPRIM_400000_NS6detail17trampoline_kernelINS0_14default_configENS1_27scan_by_key_config_selectorIxxEEZZNS1_16scan_by_key_implILNS1_25lookback_scan_determinismE0ELb1ES3_N6thrust23THRUST_200600_302600_NS6detail15normal_iteratorINS9_10device_ptrIxEEEESE_SE_xNS9_4plusIvEENS9_8equal_toIvEExEE10hipError_tPvRmT2_T3_T4_T5_mT6_T7_P12ihipStream_tbENKUlT_T0_E_clISt17integral_constantIbLb1EESZ_EEDaSU_SV_EUlSU_E_NS1_11comp_targetILNS1_3genE5ELNS1_11target_archE942ELNS1_3gpuE9ELNS1_3repE0EEENS1_30default_config_static_selectorELNS0_4arch9wavefront6targetE1EEEvT1_
		.amdhsa_group_segment_fixed_size 32768
		.amdhsa_private_segment_fixed_size 0
		.amdhsa_kernarg_size 136
		.amdhsa_user_sgpr_count 2
		.amdhsa_user_sgpr_dispatch_ptr 0
		.amdhsa_user_sgpr_queue_ptr 0
		.amdhsa_user_sgpr_kernarg_segment_ptr 1
		.amdhsa_user_sgpr_dispatch_id 0
		.amdhsa_user_sgpr_kernarg_preload_length 0
		.amdhsa_user_sgpr_kernarg_preload_offset 0
		.amdhsa_user_sgpr_private_segment_size 0
		.amdhsa_uses_dynamic_stack 0
		.amdhsa_enable_private_segment 0
		.amdhsa_system_sgpr_workgroup_id_x 1
		.amdhsa_system_sgpr_workgroup_id_y 0
		.amdhsa_system_sgpr_workgroup_id_z 0
		.amdhsa_system_sgpr_workgroup_info 0
		.amdhsa_system_vgpr_workitem_id 0
		.amdhsa_next_free_vgpr 87
		.amdhsa_next_free_sgpr 60
		.amdhsa_accum_offset 88
		.amdhsa_reserve_vcc 1
		.amdhsa_float_round_mode_32 0
		.amdhsa_float_round_mode_16_64 0
		.amdhsa_float_denorm_mode_32 3
		.amdhsa_float_denorm_mode_16_64 3
		.amdhsa_dx10_clamp 1
		.amdhsa_ieee_mode 1
		.amdhsa_fp16_overflow 0
		.amdhsa_tg_split 0
		.amdhsa_exception_fp_ieee_invalid_op 0
		.amdhsa_exception_fp_denorm_src 0
		.amdhsa_exception_fp_ieee_div_zero 0
		.amdhsa_exception_fp_ieee_overflow 0
		.amdhsa_exception_fp_ieee_underflow 0
		.amdhsa_exception_fp_ieee_inexact 0
		.amdhsa_exception_int_div_zero 0
	.end_amdhsa_kernel
	.section	.text._ZN7rocprim17ROCPRIM_400000_NS6detail17trampoline_kernelINS0_14default_configENS1_27scan_by_key_config_selectorIxxEEZZNS1_16scan_by_key_implILNS1_25lookback_scan_determinismE0ELb1ES3_N6thrust23THRUST_200600_302600_NS6detail15normal_iteratorINS9_10device_ptrIxEEEESE_SE_xNS9_4plusIvEENS9_8equal_toIvEExEE10hipError_tPvRmT2_T3_T4_T5_mT6_T7_P12ihipStream_tbENKUlT_T0_E_clISt17integral_constantIbLb1EESZ_EEDaSU_SV_EUlSU_E_NS1_11comp_targetILNS1_3genE5ELNS1_11target_archE942ELNS1_3gpuE9ELNS1_3repE0EEENS1_30default_config_static_selectorELNS0_4arch9wavefront6targetE1EEEvT1_,"axG",@progbits,_ZN7rocprim17ROCPRIM_400000_NS6detail17trampoline_kernelINS0_14default_configENS1_27scan_by_key_config_selectorIxxEEZZNS1_16scan_by_key_implILNS1_25lookback_scan_determinismE0ELb1ES3_N6thrust23THRUST_200600_302600_NS6detail15normal_iteratorINS9_10device_ptrIxEEEESE_SE_xNS9_4plusIvEENS9_8equal_toIvEExEE10hipError_tPvRmT2_T3_T4_T5_mT6_T7_P12ihipStream_tbENKUlT_T0_E_clISt17integral_constantIbLb1EESZ_EEDaSU_SV_EUlSU_E_NS1_11comp_targetILNS1_3genE5ELNS1_11target_archE942ELNS1_3gpuE9ELNS1_3repE0EEENS1_30default_config_static_selectorELNS0_4arch9wavefront6targetE1EEEvT1_,comdat
.Lfunc_end364:
	.size	_ZN7rocprim17ROCPRIM_400000_NS6detail17trampoline_kernelINS0_14default_configENS1_27scan_by_key_config_selectorIxxEEZZNS1_16scan_by_key_implILNS1_25lookback_scan_determinismE0ELb1ES3_N6thrust23THRUST_200600_302600_NS6detail15normal_iteratorINS9_10device_ptrIxEEEESE_SE_xNS9_4plusIvEENS9_8equal_toIvEExEE10hipError_tPvRmT2_T3_T4_T5_mT6_T7_P12ihipStream_tbENKUlT_T0_E_clISt17integral_constantIbLb1EESZ_EEDaSU_SV_EUlSU_E_NS1_11comp_targetILNS1_3genE5ELNS1_11target_archE942ELNS1_3gpuE9ELNS1_3repE0EEENS1_30default_config_static_selectorELNS0_4arch9wavefront6targetE1EEEvT1_, .Lfunc_end364-_ZN7rocprim17ROCPRIM_400000_NS6detail17trampoline_kernelINS0_14default_configENS1_27scan_by_key_config_selectorIxxEEZZNS1_16scan_by_key_implILNS1_25lookback_scan_determinismE0ELb1ES3_N6thrust23THRUST_200600_302600_NS6detail15normal_iteratorINS9_10device_ptrIxEEEESE_SE_xNS9_4plusIvEENS9_8equal_toIvEExEE10hipError_tPvRmT2_T3_T4_T5_mT6_T7_P12ihipStream_tbENKUlT_T0_E_clISt17integral_constantIbLb1EESZ_EEDaSU_SV_EUlSU_E_NS1_11comp_targetILNS1_3genE5ELNS1_11target_archE942ELNS1_3gpuE9ELNS1_3repE0EEENS1_30default_config_static_selectorELNS0_4arch9wavefront6targetE1EEEvT1_
                                        ; -- End function
	.section	.AMDGPU.csdata,"",@progbits
; Kernel info:
; codeLenInByte = 12972
; NumSgprs: 66
; NumVgprs: 87
; NumAgprs: 0
; TotalNumVgprs: 87
; ScratchSize: 0
; MemoryBound: 0
; FloatMode: 240
; IeeeMode: 1
; LDSByteSize: 32768 bytes/workgroup (compile time only)
; SGPRBlocks: 8
; VGPRBlocks: 10
; NumSGPRsForWavesPerEU: 66
; NumVGPRsForWavesPerEU: 87
; AccumOffset: 88
; Occupancy: 2
; WaveLimiterHint : 1
; COMPUTE_PGM_RSRC2:SCRATCH_EN: 0
; COMPUTE_PGM_RSRC2:USER_SGPR: 2
; COMPUTE_PGM_RSRC2:TRAP_HANDLER: 0
; COMPUTE_PGM_RSRC2:TGID_X_EN: 1
; COMPUTE_PGM_RSRC2:TGID_Y_EN: 0
; COMPUTE_PGM_RSRC2:TGID_Z_EN: 0
; COMPUTE_PGM_RSRC2:TIDIG_COMP_CNT: 0
; COMPUTE_PGM_RSRC3_GFX90A:ACCUM_OFFSET: 21
; COMPUTE_PGM_RSRC3_GFX90A:TG_SPLIT: 0
	.section	.text._ZN7rocprim17ROCPRIM_400000_NS6detail17trampoline_kernelINS0_14default_configENS1_27scan_by_key_config_selectorIxxEEZZNS1_16scan_by_key_implILNS1_25lookback_scan_determinismE0ELb1ES3_N6thrust23THRUST_200600_302600_NS6detail15normal_iteratorINS9_10device_ptrIxEEEESE_SE_xNS9_4plusIvEENS9_8equal_toIvEExEE10hipError_tPvRmT2_T3_T4_T5_mT6_T7_P12ihipStream_tbENKUlT_T0_E_clISt17integral_constantIbLb1EESZ_EEDaSU_SV_EUlSU_E_NS1_11comp_targetILNS1_3genE4ELNS1_11target_archE910ELNS1_3gpuE8ELNS1_3repE0EEENS1_30default_config_static_selectorELNS0_4arch9wavefront6targetE1EEEvT1_,"axG",@progbits,_ZN7rocprim17ROCPRIM_400000_NS6detail17trampoline_kernelINS0_14default_configENS1_27scan_by_key_config_selectorIxxEEZZNS1_16scan_by_key_implILNS1_25lookback_scan_determinismE0ELb1ES3_N6thrust23THRUST_200600_302600_NS6detail15normal_iteratorINS9_10device_ptrIxEEEESE_SE_xNS9_4plusIvEENS9_8equal_toIvEExEE10hipError_tPvRmT2_T3_T4_T5_mT6_T7_P12ihipStream_tbENKUlT_T0_E_clISt17integral_constantIbLb1EESZ_EEDaSU_SV_EUlSU_E_NS1_11comp_targetILNS1_3genE4ELNS1_11target_archE910ELNS1_3gpuE8ELNS1_3repE0EEENS1_30default_config_static_selectorELNS0_4arch9wavefront6targetE1EEEvT1_,comdat
	.protected	_ZN7rocprim17ROCPRIM_400000_NS6detail17trampoline_kernelINS0_14default_configENS1_27scan_by_key_config_selectorIxxEEZZNS1_16scan_by_key_implILNS1_25lookback_scan_determinismE0ELb1ES3_N6thrust23THRUST_200600_302600_NS6detail15normal_iteratorINS9_10device_ptrIxEEEESE_SE_xNS9_4plusIvEENS9_8equal_toIvEExEE10hipError_tPvRmT2_T3_T4_T5_mT6_T7_P12ihipStream_tbENKUlT_T0_E_clISt17integral_constantIbLb1EESZ_EEDaSU_SV_EUlSU_E_NS1_11comp_targetILNS1_3genE4ELNS1_11target_archE910ELNS1_3gpuE8ELNS1_3repE0EEENS1_30default_config_static_selectorELNS0_4arch9wavefront6targetE1EEEvT1_ ; -- Begin function _ZN7rocprim17ROCPRIM_400000_NS6detail17trampoline_kernelINS0_14default_configENS1_27scan_by_key_config_selectorIxxEEZZNS1_16scan_by_key_implILNS1_25lookback_scan_determinismE0ELb1ES3_N6thrust23THRUST_200600_302600_NS6detail15normal_iteratorINS9_10device_ptrIxEEEESE_SE_xNS9_4plusIvEENS9_8equal_toIvEExEE10hipError_tPvRmT2_T3_T4_T5_mT6_T7_P12ihipStream_tbENKUlT_T0_E_clISt17integral_constantIbLb1EESZ_EEDaSU_SV_EUlSU_E_NS1_11comp_targetILNS1_3genE4ELNS1_11target_archE910ELNS1_3gpuE8ELNS1_3repE0EEENS1_30default_config_static_selectorELNS0_4arch9wavefront6targetE1EEEvT1_
	.globl	_ZN7rocprim17ROCPRIM_400000_NS6detail17trampoline_kernelINS0_14default_configENS1_27scan_by_key_config_selectorIxxEEZZNS1_16scan_by_key_implILNS1_25lookback_scan_determinismE0ELb1ES3_N6thrust23THRUST_200600_302600_NS6detail15normal_iteratorINS9_10device_ptrIxEEEESE_SE_xNS9_4plusIvEENS9_8equal_toIvEExEE10hipError_tPvRmT2_T3_T4_T5_mT6_T7_P12ihipStream_tbENKUlT_T0_E_clISt17integral_constantIbLb1EESZ_EEDaSU_SV_EUlSU_E_NS1_11comp_targetILNS1_3genE4ELNS1_11target_archE910ELNS1_3gpuE8ELNS1_3repE0EEENS1_30default_config_static_selectorELNS0_4arch9wavefront6targetE1EEEvT1_
	.p2align	8
	.type	_ZN7rocprim17ROCPRIM_400000_NS6detail17trampoline_kernelINS0_14default_configENS1_27scan_by_key_config_selectorIxxEEZZNS1_16scan_by_key_implILNS1_25lookback_scan_determinismE0ELb1ES3_N6thrust23THRUST_200600_302600_NS6detail15normal_iteratorINS9_10device_ptrIxEEEESE_SE_xNS9_4plusIvEENS9_8equal_toIvEExEE10hipError_tPvRmT2_T3_T4_T5_mT6_T7_P12ihipStream_tbENKUlT_T0_E_clISt17integral_constantIbLb1EESZ_EEDaSU_SV_EUlSU_E_NS1_11comp_targetILNS1_3genE4ELNS1_11target_archE910ELNS1_3gpuE8ELNS1_3repE0EEENS1_30default_config_static_selectorELNS0_4arch9wavefront6targetE1EEEvT1_,@function
_ZN7rocprim17ROCPRIM_400000_NS6detail17trampoline_kernelINS0_14default_configENS1_27scan_by_key_config_selectorIxxEEZZNS1_16scan_by_key_implILNS1_25lookback_scan_determinismE0ELb1ES3_N6thrust23THRUST_200600_302600_NS6detail15normal_iteratorINS9_10device_ptrIxEEEESE_SE_xNS9_4plusIvEENS9_8equal_toIvEExEE10hipError_tPvRmT2_T3_T4_T5_mT6_T7_P12ihipStream_tbENKUlT_T0_E_clISt17integral_constantIbLb1EESZ_EEDaSU_SV_EUlSU_E_NS1_11comp_targetILNS1_3genE4ELNS1_11target_archE910ELNS1_3gpuE8ELNS1_3repE0EEENS1_30default_config_static_selectorELNS0_4arch9wavefront6targetE1EEEvT1_: ; @_ZN7rocprim17ROCPRIM_400000_NS6detail17trampoline_kernelINS0_14default_configENS1_27scan_by_key_config_selectorIxxEEZZNS1_16scan_by_key_implILNS1_25lookback_scan_determinismE0ELb1ES3_N6thrust23THRUST_200600_302600_NS6detail15normal_iteratorINS9_10device_ptrIxEEEESE_SE_xNS9_4plusIvEENS9_8equal_toIvEExEE10hipError_tPvRmT2_T3_T4_T5_mT6_T7_P12ihipStream_tbENKUlT_T0_E_clISt17integral_constantIbLb1EESZ_EEDaSU_SV_EUlSU_E_NS1_11comp_targetILNS1_3genE4ELNS1_11target_archE910ELNS1_3gpuE8ELNS1_3repE0EEENS1_30default_config_static_selectorELNS0_4arch9wavefront6targetE1EEEvT1_
; %bb.0:
	.section	.rodata,"a",@progbits
	.p2align	6, 0x0
	.amdhsa_kernel _ZN7rocprim17ROCPRIM_400000_NS6detail17trampoline_kernelINS0_14default_configENS1_27scan_by_key_config_selectorIxxEEZZNS1_16scan_by_key_implILNS1_25lookback_scan_determinismE0ELb1ES3_N6thrust23THRUST_200600_302600_NS6detail15normal_iteratorINS9_10device_ptrIxEEEESE_SE_xNS9_4plusIvEENS9_8equal_toIvEExEE10hipError_tPvRmT2_T3_T4_T5_mT6_T7_P12ihipStream_tbENKUlT_T0_E_clISt17integral_constantIbLb1EESZ_EEDaSU_SV_EUlSU_E_NS1_11comp_targetILNS1_3genE4ELNS1_11target_archE910ELNS1_3gpuE8ELNS1_3repE0EEENS1_30default_config_static_selectorELNS0_4arch9wavefront6targetE1EEEvT1_
		.amdhsa_group_segment_fixed_size 0
		.amdhsa_private_segment_fixed_size 0
		.amdhsa_kernarg_size 136
		.amdhsa_user_sgpr_count 2
		.amdhsa_user_sgpr_dispatch_ptr 0
		.amdhsa_user_sgpr_queue_ptr 0
		.amdhsa_user_sgpr_kernarg_segment_ptr 1
		.amdhsa_user_sgpr_dispatch_id 0
		.amdhsa_user_sgpr_kernarg_preload_length 0
		.amdhsa_user_sgpr_kernarg_preload_offset 0
		.amdhsa_user_sgpr_private_segment_size 0
		.amdhsa_uses_dynamic_stack 0
		.amdhsa_enable_private_segment 0
		.amdhsa_system_sgpr_workgroup_id_x 1
		.amdhsa_system_sgpr_workgroup_id_y 0
		.amdhsa_system_sgpr_workgroup_id_z 0
		.amdhsa_system_sgpr_workgroup_info 0
		.amdhsa_system_vgpr_workitem_id 0
		.amdhsa_next_free_vgpr 1
		.amdhsa_next_free_sgpr 0
		.amdhsa_accum_offset 4
		.amdhsa_reserve_vcc 0
		.amdhsa_float_round_mode_32 0
		.amdhsa_float_round_mode_16_64 0
		.amdhsa_float_denorm_mode_32 3
		.amdhsa_float_denorm_mode_16_64 3
		.amdhsa_dx10_clamp 1
		.amdhsa_ieee_mode 1
		.amdhsa_fp16_overflow 0
		.amdhsa_tg_split 0
		.amdhsa_exception_fp_ieee_invalid_op 0
		.amdhsa_exception_fp_denorm_src 0
		.amdhsa_exception_fp_ieee_div_zero 0
		.amdhsa_exception_fp_ieee_overflow 0
		.amdhsa_exception_fp_ieee_underflow 0
		.amdhsa_exception_fp_ieee_inexact 0
		.amdhsa_exception_int_div_zero 0
	.end_amdhsa_kernel
	.section	.text._ZN7rocprim17ROCPRIM_400000_NS6detail17trampoline_kernelINS0_14default_configENS1_27scan_by_key_config_selectorIxxEEZZNS1_16scan_by_key_implILNS1_25lookback_scan_determinismE0ELb1ES3_N6thrust23THRUST_200600_302600_NS6detail15normal_iteratorINS9_10device_ptrIxEEEESE_SE_xNS9_4plusIvEENS9_8equal_toIvEExEE10hipError_tPvRmT2_T3_T4_T5_mT6_T7_P12ihipStream_tbENKUlT_T0_E_clISt17integral_constantIbLb1EESZ_EEDaSU_SV_EUlSU_E_NS1_11comp_targetILNS1_3genE4ELNS1_11target_archE910ELNS1_3gpuE8ELNS1_3repE0EEENS1_30default_config_static_selectorELNS0_4arch9wavefront6targetE1EEEvT1_,"axG",@progbits,_ZN7rocprim17ROCPRIM_400000_NS6detail17trampoline_kernelINS0_14default_configENS1_27scan_by_key_config_selectorIxxEEZZNS1_16scan_by_key_implILNS1_25lookback_scan_determinismE0ELb1ES3_N6thrust23THRUST_200600_302600_NS6detail15normal_iteratorINS9_10device_ptrIxEEEESE_SE_xNS9_4plusIvEENS9_8equal_toIvEExEE10hipError_tPvRmT2_T3_T4_T5_mT6_T7_P12ihipStream_tbENKUlT_T0_E_clISt17integral_constantIbLb1EESZ_EEDaSU_SV_EUlSU_E_NS1_11comp_targetILNS1_3genE4ELNS1_11target_archE910ELNS1_3gpuE8ELNS1_3repE0EEENS1_30default_config_static_selectorELNS0_4arch9wavefront6targetE1EEEvT1_,comdat
.Lfunc_end365:
	.size	_ZN7rocprim17ROCPRIM_400000_NS6detail17trampoline_kernelINS0_14default_configENS1_27scan_by_key_config_selectorIxxEEZZNS1_16scan_by_key_implILNS1_25lookback_scan_determinismE0ELb1ES3_N6thrust23THRUST_200600_302600_NS6detail15normal_iteratorINS9_10device_ptrIxEEEESE_SE_xNS9_4plusIvEENS9_8equal_toIvEExEE10hipError_tPvRmT2_T3_T4_T5_mT6_T7_P12ihipStream_tbENKUlT_T0_E_clISt17integral_constantIbLb1EESZ_EEDaSU_SV_EUlSU_E_NS1_11comp_targetILNS1_3genE4ELNS1_11target_archE910ELNS1_3gpuE8ELNS1_3repE0EEENS1_30default_config_static_selectorELNS0_4arch9wavefront6targetE1EEEvT1_, .Lfunc_end365-_ZN7rocprim17ROCPRIM_400000_NS6detail17trampoline_kernelINS0_14default_configENS1_27scan_by_key_config_selectorIxxEEZZNS1_16scan_by_key_implILNS1_25lookback_scan_determinismE0ELb1ES3_N6thrust23THRUST_200600_302600_NS6detail15normal_iteratorINS9_10device_ptrIxEEEESE_SE_xNS9_4plusIvEENS9_8equal_toIvEExEE10hipError_tPvRmT2_T3_T4_T5_mT6_T7_P12ihipStream_tbENKUlT_T0_E_clISt17integral_constantIbLb1EESZ_EEDaSU_SV_EUlSU_E_NS1_11comp_targetILNS1_3genE4ELNS1_11target_archE910ELNS1_3gpuE8ELNS1_3repE0EEENS1_30default_config_static_selectorELNS0_4arch9wavefront6targetE1EEEvT1_
                                        ; -- End function
	.section	.AMDGPU.csdata,"",@progbits
; Kernel info:
; codeLenInByte = 0
; NumSgprs: 6
; NumVgprs: 0
; NumAgprs: 0
; TotalNumVgprs: 0
; ScratchSize: 0
; MemoryBound: 0
; FloatMode: 240
; IeeeMode: 1
; LDSByteSize: 0 bytes/workgroup (compile time only)
; SGPRBlocks: 0
; VGPRBlocks: 0
; NumSGPRsForWavesPerEU: 6
; NumVGPRsForWavesPerEU: 1
; AccumOffset: 4
; Occupancy: 8
; WaveLimiterHint : 0
; COMPUTE_PGM_RSRC2:SCRATCH_EN: 0
; COMPUTE_PGM_RSRC2:USER_SGPR: 2
; COMPUTE_PGM_RSRC2:TRAP_HANDLER: 0
; COMPUTE_PGM_RSRC2:TGID_X_EN: 1
; COMPUTE_PGM_RSRC2:TGID_Y_EN: 0
; COMPUTE_PGM_RSRC2:TGID_Z_EN: 0
; COMPUTE_PGM_RSRC2:TIDIG_COMP_CNT: 0
; COMPUTE_PGM_RSRC3_GFX90A:ACCUM_OFFSET: 0
; COMPUTE_PGM_RSRC3_GFX90A:TG_SPLIT: 0
	.section	.text._ZN7rocprim17ROCPRIM_400000_NS6detail17trampoline_kernelINS0_14default_configENS1_27scan_by_key_config_selectorIxxEEZZNS1_16scan_by_key_implILNS1_25lookback_scan_determinismE0ELb1ES3_N6thrust23THRUST_200600_302600_NS6detail15normal_iteratorINS9_10device_ptrIxEEEESE_SE_xNS9_4plusIvEENS9_8equal_toIvEExEE10hipError_tPvRmT2_T3_T4_T5_mT6_T7_P12ihipStream_tbENKUlT_T0_E_clISt17integral_constantIbLb1EESZ_EEDaSU_SV_EUlSU_E_NS1_11comp_targetILNS1_3genE3ELNS1_11target_archE908ELNS1_3gpuE7ELNS1_3repE0EEENS1_30default_config_static_selectorELNS0_4arch9wavefront6targetE1EEEvT1_,"axG",@progbits,_ZN7rocprim17ROCPRIM_400000_NS6detail17trampoline_kernelINS0_14default_configENS1_27scan_by_key_config_selectorIxxEEZZNS1_16scan_by_key_implILNS1_25lookback_scan_determinismE0ELb1ES3_N6thrust23THRUST_200600_302600_NS6detail15normal_iteratorINS9_10device_ptrIxEEEESE_SE_xNS9_4plusIvEENS9_8equal_toIvEExEE10hipError_tPvRmT2_T3_T4_T5_mT6_T7_P12ihipStream_tbENKUlT_T0_E_clISt17integral_constantIbLb1EESZ_EEDaSU_SV_EUlSU_E_NS1_11comp_targetILNS1_3genE3ELNS1_11target_archE908ELNS1_3gpuE7ELNS1_3repE0EEENS1_30default_config_static_selectorELNS0_4arch9wavefront6targetE1EEEvT1_,comdat
	.protected	_ZN7rocprim17ROCPRIM_400000_NS6detail17trampoline_kernelINS0_14default_configENS1_27scan_by_key_config_selectorIxxEEZZNS1_16scan_by_key_implILNS1_25lookback_scan_determinismE0ELb1ES3_N6thrust23THRUST_200600_302600_NS6detail15normal_iteratorINS9_10device_ptrIxEEEESE_SE_xNS9_4plusIvEENS9_8equal_toIvEExEE10hipError_tPvRmT2_T3_T4_T5_mT6_T7_P12ihipStream_tbENKUlT_T0_E_clISt17integral_constantIbLb1EESZ_EEDaSU_SV_EUlSU_E_NS1_11comp_targetILNS1_3genE3ELNS1_11target_archE908ELNS1_3gpuE7ELNS1_3repE0EEENS1_30default_config_static_selectorELNS0_4arch9wavefront6targetE1EEEvT1_ ; -- Begin function _ZN7rocprim17ROCPRIM_400000_NS6detail17trampoline_kernelINS0_14default_configENS1_27scan_by_key_config_selectorIxxEEZZNS1_16scan_by_key_implILNS1_25lookback_scan_determinismE0ELb1ES3_N6thrust23THRUST_200600_302600_NS6detail15normal_iteratorINS9_10device_ptrIxEEEESE_SE_xNS9_4plusIvEENS9_8equal_toIvEExEE10hipError_tPvRmT2_T3_T4_T5_mT6_T7_P12ihipStream_tbENKUlT_T0_E_clISt17integral_constantIbLb1EESZ_EEDaSU_SV_EUlSU_E_NS1_11comp_targetILNS1_3genE3ELNS1_11target_archE908ELNS1_3gpuE7ELNS1_3repE0EEENS1_30default_config_static_selectorELNS0_4arch9wavefront6targetE1EEEvT1_
	.globl	_ZN7rocprim17ROCPRIM_400000_NS6detail17trampoline_kernelINS0_14default_configENS1_27scan_by_key_config_selectorIxxEEZZNS1_16scan_by_key_implILNS1_25lookback_scan_determinismE0ELb1ES3_N6thrust23THRUST_200600_302600_NS6detail15normal_iteratorINS9_10device_ptrIxEEEESE_SE_xNS9_4plusIvEENS9_8equal_toIvEExEE10hipError_tPvRmT2_T3_T4_T5_mT6_T7_P12ihipStream_tbENKUlT_T0_E_clISt17integral_constantIbLb1EESZ_EEDaSU_SV_EUlSU_E_NS1_11comp_targetILNS1_3genE3ELNS1_11target_archE908ELNS1_3gpuE7ELNS1_3repE0EEENS1_30default_config_static_selectorELNS0_4arch9wavefront6targetE1EEEvT1_
	.p2align	8
	.type	_ZN7rocprim17ROCPRIM_400000_NS6detail17trampoline_kernelINS0_14default_configENS1_27scan_by_key_config_selectorIxxEEZZNS1_16scan_by_key_implILNS1_25lookback_scan_determinismE0ELb1ES3_N6thrust23THRUST_200600_302600_NS6detail15normal_iteratorINS9_10device_ptrIxEEEESE_SE_xNS9_4plusIvEENS9_8equal_toIvEExEE10hipError_tPvRmT2_T3_T4_T5_mT6_T7_P12ihipStream_tbENKUlT_T0_E_clISt17integral_constantIbLb1EESZ_EEDaSU_SV_EUlSU_E_NS1_11comp_targetILNS1_3genE3ELNS1_11target_archE908ELNS1_3gpuE7ELNS1_3repE0EEENS1_30default_config_static_selectorELNS0_4arch9wavefront6targetE1EEEvT1_,@function
_ZN7rocprim17ROCPRIM_400000_NS6detail17trampoline_kernelINS0_14default_configENS1_27scan_by_key_config_selectorIxxEEZZNS1_16scan_by_key_implILNS1_25lookback_scan_determinismE0ELb1ES3_N6thrust23THRUST_200600_302600_NS6detail15normal_iteratorINS9_10device_ptrIxEEEESE_SE_xNS9_4plusIvEENS9_8equal_toIvEExEE10hipError_tPvRmT2_T3_T4_T5_mT6_T7_P12ihipStream_tbENKUlT_T0_E_clISt17integral_constantIbLb1EESZ_EEDaSU_SV_EUlSU_E_NS1_11comp_targetILNS1_3genE3ELNS1_11target_archE908ELNS1_3gpuE7ELNS1_3repE0EEENS1_30default_config_static_selectorELNS0_4arch9wavefront6targetE1EEEvT1_: ; @_ZN7rocprim17ROCPRIM_400000_NS6detail17trampoline_kernelINS0_14default_configENS1_27scan_by_key_config_selectorIxxEEZZNS1_16scan_by_key_implILNS1_25lookback_scan_determinismE0ELb1ES3_N6thrust23THRUST_200600_302600_NS6detail15normal_iteratorINS9_10device_ptrIxEEEESE_SE_xNS9_4plusIvEENS9_8equal_toIvEExEE10hipError_tPvRmT2_T3_T4_T5_mT6_T7_P12ihipStream_tbENKUlT_T0_E_clISt17integral_constantIbLb1EESZ_EEDaSU_SV_EUlSU_E_NS1_11comp_targetILNS1_3genE3ELNS1_11target_archE908ELNS1_3gpuE7ELNS1_3repE0EEENS1_30default_config_static_selectorELNS0_4arch9wavefront6targetE1EEEvT1_
; %bb.0:
	.section	.rodata,"a",@progbits
	.p2align	6, 0x0
	.amdhsa_kernel _ZN7rocprim17ROCPRIM_400000_NS6detail17trampoline_kernelINS0_14default_configENS1_27scan_by_key_config_selectorIxxEEZZNS1_16scan_by_key_implILNS1_25lookback_scan_determinismE0ELb1ES3_N6thrust23THRUST_200600_302600_NS6detail15normal_iteratorINS9_10device_ptrIxEEEESE_SE_xNS9_4plusIvEENS9_8equal_toIvEExEE10hipError_tPvRmT2_T3_T4_T5_mT6_T7_P12ihipStream_tbENKUlT_T0_E_clISt17integral_constantIbLb1EESZ_EEDaSU_SV_EUlSU_E_NS1_11comp_targetILNS1_3genE3ELNS1_11target_archE908ELNS1_3gpuE7ELNS1_3repE0EEENS1_30default_config_static_selectorELNS0_4arch9wavefront6targetE1EEEvT1_
		.amdhsa_group_segment_fixed_size 0
		.amdhsa_private_segment_fixed_size 0
		.amdhsa_kernarg_size 136
		.amdhsa_user_sgpr_count 2
		.amdhsa_user_sgpr_dispatch_ptr 0
		.amdhsa_user_sgpr_queue_ptr 0
		.amdhsa_user_sgpr_kernarg_segment_ptr 1
		.amdhsa_user_sgpr_dispatch_id 0
		.amdhsa_user_sgpr_kernarg_preload_length 0
		.amdhsa_user_sgpr_kernarg_preload_offset 0
		.amdhsa_user_sgpr_private_segment_size 0
		.amdhsa_uses_dynamic_stack 0
		.amdhsa_enable_private_segment 0
		.amdhsa_system_sgpr_workgroup_id_x 1
		.amdhsa_system_sgpr_workgroup_id_y 0
		.amdhsa_system_sgpr_workgroup_id_z 0
		.amdhsa_system_sgpr_workgroup_info 0
		.amdhsa_system_vgpr_workitem_id 0
		.amdhsa_next_free_vgpr 1
		.amdhsa_next_free_sgpr 0
		.amdhsa_accum_offset 4
		.amdhsa_reserve_vcc 0
		.amdhsa_float_round_mode_32 0
		.amdhsa_float_round_mode_16_64 0
		.amdhsa_float_denorm_mode_32 3
		.amdhsa_float_denorm_mode_16_64 3
		.amdhsa_dx10_clamp 1
		.amdhsa_ieee_mode 1
		.amdhsa_fp16_overflow 0
		.amdhsa_tg_split 0
		.amdhsa_exception_fp_ieee_invalid_op 0
		.amdhsa_exception_fp_denorm_src 0
		.amdhsa_exception_fp_ieee_div_zero 0
		.amdhsa_exception_fp_ieee_overflow 0
		.amdhsa_exception_fp_ieee_underflow 0
		.amdhsa_exception_fp_ieee_inexact 0
		.amdhsa_exception_int_div_zero 0
	.end_amdhsa_kernel
	.section	.text._ZN7rocprim17ROCPRIM_400000_NS6detail17trampoline_kernelINS0_14default_configENS1_27scan_by_key_config_selectorIxxEEZZNS1_16scan_by_key_implILNS1_25lookback_scan_determinismE0ELb1ES3_N6thrust23THRUST_200600_302600_NS6detail15normal_iteratorINS9_10device_ptrIxEEEESE_SE_xNS9_4plusIvEENS9_8equal_toIvEExEE10hipError_tPvRmT2_T3_T4_T5_mT6_T7_P12ihipStream_tbENKUlT_T0_E_clISt17integral_constantIbLb1EESZ_EEDaSU_SV_EUlSU_E_NS1_11comp_targetILNS1_3genE3ELNS1_11target_archE908ELNS1_3gpuE7ELNS1_3repE0EEENS1_30default_config_static_selectorELNS0_4arch9wavefront6targetE1EEEvT1_,"axG",@progbits,_ZN7rocprim17ROCPRIM_400000_NS6detail17trampoline_kernelINS0_14default_configENS1_27scan_by_key_config_selectorIxxEEZZNS1_16scan_by_key_implILNS1_25lookback_scan_determinismE0ELb1ES3_N6thrust23THRUST_200600_302600_NS6detail15normal_iteratorINS9_10device_ptrIxEEEESE_SE_xNS9_4plusIvEENS9_8equal_toIvEExEE10hipError_tPvRmT2_T3_T4_T5_mT6_T7_P12ihipStream_tbENKUlT_T0_E_clISt17integral_constantIbLb1EESZ_EEDaSU_SV_EUlSU_E_NS1_11comp_targetILNS1_3genE3ELNS1_11target_archE908ELNS1_3gpuE7ELNS1_3repE0EEENS1_30default_config_static_selectorELNS0_4arch9wavefront6targetE1EEEvT1_,comdat
.Lfunc_end366:
	.size	_ZN7rocprim17ROCPRIM_400000_NS6detail17trampoline_kernelINS0_14default_configENS1_27scan_by_key_config_selectorIxxEEZZNS1_16scan_by_key_implILNS1_25lookback_scan_determinismE0ELb1ES3_N6thrust23THRUST_200600_302600_NS6detail15normal_iteratorINS9_10device_ptrIxEEEESE_SE_xNS9_4plusIvEENS9_8equal_toIvEExEE10hipError_tPvRmT2_T3_T4_T5_mT6_T7_P12ihipStream_tbENKUlT_T0_E_clISt17integral_constantIbLb1EESZ_EEDaSU_SV_EUlSU_E_NS1_11comp_targetILNS1_3genE3ELNS1_11target_archE908ELNS1_3gpuE7ELNS1_3repE0EEENS1_30default_config_static_selectorELNS0_4arch9wavefront6targetE1EEEvT1_, .Lfunc_end366-_ZN7rocprim17ROCPRIM_400000_NS6detail17trampoline_kernelINS0_14default_configENS1_27scan_by_key_config_selectorIxxEEZZNS1_16scan_by_key_implILNS1_25lookback_scan_determinismE0ELb1ES3_N6thrust23THRUST_200600_302600_NS6detail15normal_iteratorINS9_10device_ptrIxEEEESE_SE_xNS9_4plusIvEENS9_8equal_toIvEExEE10hipError_tPvRmT2_T3_T4_T5_mT6_T7_P12ihipStream_tbENKUlT_T0_E_clISt17integral_constantIbLb1EESZ_EEDaSU_SV_EUlSU_E_NS1_11comp_targetILNS1_3genE3ELNS1_11target_archE908ELNS1_3gpuE7ELNS1_3repE0EEENS1_30default_config_static_selectorELNS0_4arch9wavefront6targetE1EEEvT1_
                                        ; -- End function
	.section	.AMDGPU.csdata,"",@progbits
; Kernel info:
; codeLenInByte = 0
; NumSgprs: 6
; NumVgprs: 0
; NumAgprs: 0
; TotalNumVgprs: 0
; ScratchSize: 0
; MemoryBound: 0
; FloatMode: 240
; IeeeMode: 1
; LDSByteSize: 0 bytes/workgroup (compile time only)
; SGPRBlocks: 0
; VGPRBlocks: 0
; NumSGPRsForWavesPerEU: 6
; NumVGPRsForWavesPerEU: 1
; AccumOffset: 4
; Occupancy: 8
; WaveLimiterHint : 0
; COMPUTE_PGM_RSRC2:SCRATCH_EN: 0
; COMPUTE_PGM_RSRC2:USER_SGPR: 2
; COMPUTE_PGM_RSRC2:TRAP_HANDLER: 0
; COMPUTE_PGM_RSRC2:TGID_X_EN: 1
; COMPUTE_PGM_RSRC2:TGID_Y_EN: 0
; COMPUTE_PGM_RSRC2:TGID_Z_EN: 0
; COMPUTE_PGM_RSRC2:TIDIG_COMP_CNT: 0
; COMPUTE_PGM_RSRC3_GFX90A:ACCUM_OFFSET: 0
; COMPUTE_PGM_RSRC3_GFX90A:TG_SPLIT: 0
	.section	.text._ZN7rocprim17ROCPRIM_400000_NS6detail17trampoline_kernelINS0_14default_configENS1_27scan_by_key_config_selectorIxxEEZZNS1_16scan_by_key_implILNS1_25lookback_scan_determinismE0ELb1ES3_N6thrust23THRUST_200600_302600_NS6detail15normal_iteratorINS9_10device_ptrIxEEEESE_SE_xNS9_4plusIvEENS9_8equal_toIvEExEE10hipError_tPvRmT2_T3_T4_T5_mT6_T7_P12ihipStream_tbENKUlT_T0_E_clISt17integral_constantIbLb1EESZ_EEDaSU_SV_EUlSU_E_NS1_11comp_targetILNS1_3genE2ELNS1_11target_archE906ELNS1_3gpuE6ELNS1_3repE0EEENS1_30default_config_static_selectorELNS0_4arch9wavefront6targetE1EEEvT1_,"axG",@progbits,_ZN7rocprim17ROCPRIM_400000_NS6detail17trampoline_kernelINS0_14default_configENS1_27scan_by_key_config_selectorIxxEEZZNS1_16scan_by_key_implILNS1_25lookback_scan_determinismE0ELb1ES3_N6thrust23THRUST_200600_302600_NS6detail15normal_iteratorINS9_10device_ptrIxEEEESE_SE_xNS9_4plusIvEENS9_8equal_toIvEExEE10hipError_tPvRmT2_T3_T4_T5_mT6_T7_P12ihipStream_tbENKUlT_T0_E_clISt17integral_constantIbLb1EESZ_EEDaSU_SV_EUlSU_E_NS1_11comp_targetILNS1_3genE2ELNS1_11target_archE906ELNS1_3gpuE6ELNS1_3repE0EEENS1_30default_config_static_selectorELNS0_4arch9wavefront6targetE1EEEvT1_,comdat
	.protected	_ZN7rocprim17ROCPRIM_400000_NS6detail17trampoline_kernelINS0_14default_configENS1_27scan_by_key_config_selectorIxxEEZZNS1_16scan_by_key_implILNS1_25lookback_scan_determinismE0ELb1ES3_N6thrust23THRUST_200600_302600_NS6detail15normal_iteratorINS9_10device_ptrIxEEEESE_SE_xNS9_4plusIvEENS9_8equal_toIvEExEE10hipError_tPvRmT2_T3_T4_T5_mT6_T7_P12ihipStream_tbENKUlT_T0_E_clISt17integral_constantIbLb1EESZ_EEDaSU_SV_EUlSU_E_NS1_11comp_targetILNS1_3genE2ELNS1_11target_archE906ELNS1_3gpuE6ELNS1_3repE0EEENS1_30default_config_static_selectorELNS0_4arch9wavefront6targetE1EEEvT1_ ; -- Begin function _ZN7rocprim17ROCPRIM_400000_NS6detail17trampoline_kernelINS0_14default_configENS1_27scan_by_key_config_selectorIxxEEZZNS1_16scan_by_key_implILNS1_25lookback_scan_determinismE0ELb1ES3_N6thrust23THRUST_200600_302600_NS6detail15normal_iteratorINS9_10device_ptrIxEEEESE_SE_xNS9_4plusIvEENS9_8equal_toIvEExEE10hipError_tPvRmT2_T3_T4_T5_mT6_T7_P12ihipStream_tbENKUlT_T0_E_clISt17integral_constantIbLb1EESZ_EEDaSU_SV_EUlSU_E_NS1_11comp_targetILNS1_3genE2ELNS1_11target_archE906ELNS1_3gpuE6ELNS1_3repE0EEENS1_30default_config_static_selectorELNS0_4arch9wavefront6targetE1EEEvT1_
	.globl	_ZN7rocprim17ROCPRIM_400000_NS6detail17trampoline_kernelINS0_14default_configENS1_27scan_by_key_config_selectorIxxEEZZNS1_16scan_by_key_implILNS1_25lookback_scan_determinismE0ELb1ES3_N6thrust23THRUST_200600_302600_NS6detail15normal_iteratorINS9_10device_ptrIxEEEESE_SE_xNS9_4plusIvEENS9_8equal_toIvEExEE10hipError_tPvRmT2_T3_T4_T5_mT6_T7_P12ihipStream_tbENKUlT_T0_E_clISt17integral_constantIbLb1EESZ_EEDaSU_SV_EUlSU_E_NS1_11comp_targetILNS1_3genE2ELNS1_11target_archE906ELNS1_3gpuE6ELNS1_3repE0EEENS1_30default_config_static_selectorELNS0_4arch9wavefront6targetE1EEEvT1_
	.p2align	8
	.type	_ZN7rocprim17ROCPRIM_400000_NS6detail17trampoline_kernelINS0_14default_configENS1_27scan_by_key_config_selectorIxxEEZZNS1_16scan_by_key_implILNS1_25lookback_scan_determinismE0ELb1ES3_N6thrust23THRUST_200600_302600_NS6detail15normal_iteratorINS9_10device_ptrIxEEEESE_SE_xNS9_4plusIvEENS9_8equal_toIvEExEE10hipError_tPvRmT2_T3_T4_T5_mT6_T7_P12ihipStream_tbENKUlT_T0_E_clISt17integral_constantIbLb1EESZ_EEDaSU_SV_EUlSU_E_NS1_11comp_targetILNS1_3genE2ELNS1_11target_archE906ELNS1_3gpuE6ELNS1_3repE0EEENS1_30default_config_static_selectorELNS0_4arch9wavefront6targetE1EEEvT1_,@function
_ZN7rocprim17ROCPRIM_400000_NS6detail17trampoline_kernelINS0_14default_configENS1_27scan_by_key_config_selectorIxxEEZZNS1_16scan_by_key_implILNS1_25lookback_scan_determinismE0ELb1ES3_N6thrust23THRUST_200600_302600_NS6detail15normal_iteratorINS9_10device_ptrIxEEEESE_SE_xNS9_4plusIvEENS9_8equal_toIvEExEE10hipError_tPvRmT2_T3_T4_T5_mT6_T7_P12ihipStream_tbENKUlT_T0_E_clISt17integral_constantIbLb1EESZ_EEDaSU_SV_EUlSU_E_NS1_11comp_targetILNS1_3genE2ELNS1_11target_archE906ELNS1_3gpuE6ELNS1_3repE0EEENS1_30default_config_static_selectorELNS0_4arch9wavefront6targetE1EEEvT1_: ; @_ZN7rocprim17ROCPRIM_400000_NS6detail17trampoline_kernelINS0_14default_configENS1_27scan_by_key_config_selectorIxxEEZZNS1_16scan_by_key_implILNS1_25lookback_scan_determinismE0ELb1ES3_N6thrust23THRUST_200600_302600_NS6detail15normal_iteratorINS9_10device_ptrIxEEEESE_SE_xNS9_4plusIvEENS9_8equal_toIvEExEE10hipError_tPvRmT2_T3_T4_T5_mT6_T7_P12ihipStream_tbENKUlT_T0_E_clISt17integral_constantIbLb1EESZ_EEDaSU_SV_EUlSU_E_NS1_11comp_targetILNS1_3genE2ELNS1_11target_archE906ELNS1_3gpuE6ELNS1_3repE0EEENS1_30default_config_static_selectorELNS0_4arch9wavefront6targetE1EEEvT1_
; %bb.0:
	.section	.rodata,"a",@progbits
	.p2align	6, 0x0
	.amdhsa_kernel _ZN7rocprim17ROCPRIM_400000_NS6detail17trampoline_kernelINS0_14default_configENS1_27scan_by_key_config_selectorIxxEEZZNS1_16scan_by_key_implILNS1_25lookback_scan_determinismE0ELb1ES3_N6thrust23THRUST_200600_302600_NS6detail15normal_iteratorINS9_10device_ptrIxEEEESE_SE_xNS9_4plusIvEENS9_8equal_toIvEExEE10hipError_tPvRmT2_T3_T4_T5_mT6_T7_P12ihipStream_tbENKUlT_T0_E_clISt17integral_constantIbLb1EESZ_EEDaSU_SV_EUlSU_E_NS1_11comp_targetILNS1_3genE2ELNS1_11target_archE906ELNS1_3gpuE6ELNS1_3repE0EEENS1_30default_config_static_selectorELNS0_4arch9wavefront6targetE1EEEvT1_
		.amdhsa_group_segment_fixed_size 0
		.amdhsa_private_segment_fixed_size 0
		.amdhsa_kernarg_size 136
		.amdhsa_user_sgpr_count 2
		.amdhsa_user_sgpr_dispatch_ptr 0
		.amdhsa_user_sgpr_queue_ptr 0
		.amdhsa_user_sgpr_kernarg_segment_ptr 1
		.amdhsa_user_sgpr_dispatch_id 0
		.amdhsa_user_sgpr_kernarg_preload_length 0
		.amdhsa_user_sgpr_kernarg_preload_offset 0
		.amdhsa_user_sgpr_private_segment_size 0
		.amdhsa_uses_dynamic_stack 0
		.amdhsa_enable_private_segment 0
		.amdhsa_system_sgpr_workgroup_id_x 1
		.amdhsa_system_sgpr_workgroup_id_y 0
		.amdhsa_system_sgpr_workgroup_id_z 0
		.amdhsa_system_sgpr_workgroup_info 0
		.amdhsa_system_vgpr_workitem_id 0
		.amdhsa_next_free_vgpr 1
		.amdhsa_next_free_sgpr 0
		.amdhsa_accum_offset 4
		.amdhsa_reserve_vcc 0
		.amdhsa_float_round_mode_32 0
		.amdhsa_float_round_mode_16_64 0
		.amdhsa_float_denorm_mode_32 3
		.amdhsa_float_denorm_mode_16_64 3
		.amdhsa_dx10_clamp 1
		.amdhsa_ieee_mode 1
		.amdhsa_fp16_overflow 0
		.amdhsa_tg_split 0
		.amdhsa_exception_fp_ieee_invalid_op 0
		.amdhsa_exception_fp_denorm_src 0
		.amdhsa_exception_fp_ieee_div_zero 0
		.amdhsa_exception_fp_ieee_overflow 0
		.amdhsa_exception_fp_ieee_underflow 0
		.amdhsa_exception_fp_ieee_inexact 0
		.amdhsa_exception_int_div_zero 0
	.end_amdhsa_kernel
	.section	.text._ZN7rocprim17ROCPRIM_400000_NS6detail17trampoline_kernelINS0_14default_configENS1_27scan_by_key_config_selectorIxxEEZZNS1_16scan_by_key_implILNS1_25lookback_scan_determinismE0ELb1ES3_N6thrust23THRUST_200600_302600_NS6detail15normal_iteratorINS9_10device_ptrIxEEEESE_SE_xNS9_4plusIvEENS9_8equal_toIvEExEE10hipError_tPvRmT2_T3_T4_T5_mT6_T7_P12ihipStream_tbENKUlT_T0_E_clISt17integral_constantIbLb1EESZ_EEDaSU_SV_EUlSU_E_NS1_11comp_targetILNS1_3genE2ELNS1_11target_archE906ELNS1_3gpuE6ELNS1_3repE0EEENS1_30default_config_static_selectorELNS0_4arch9wavefront6targetE1EEEvT1_,"axG",@progbits,_ZN7rocprim17ROCPRIM_400000_NS6detail17trampoline_kernelINS0_14default_configENS1_27scan_by_key_config_selectorIxxEEZZNS1_16scan_by_key_implILNS1_25lookback_scan_determinismE0ELb1ES3_N6thrust23THRUST_200600_302600_NS6detail15normal_iteratorINS9_10device_ptrIxEEEESE_SE_xNS9_4plusIvEENS9_8equal_toIvEExEE10hipError_tPvRmT2_T3_T4_T5_mT6_T7_P12ihipStream_tbENKUlT_T0_E_clISt17integral_constantIbLb1EESZ_EEDaSU_SV_EUlSU_E_NS1_11comp_targetILNS1_3genE2ELNS1_11target_archE906ELNS1_3gpuE6ELNS1_3repE0EEENS1_30default_config_static_selectorELNS0_4arch9wavefront6targetE1EEEvT1_,comdat
.Lfunc_end367:
	.size	_ZN7rocprim17ROCPRIM_400000_NS6detail17trampoline_kernelINS0_14default_configENS1_27scan_by_key_config_selectorIxxEEZZNS1_16scan_by_key_implILNS1_25lookback_scan_determinismE0ELb1ES3_N6thrust23THRUST_200600_302600_NS6detail15normal_iteratorINS9_10device_ptrIxEEEESE_SE_xNS9_4plusIvEENS9_8equal_toIvEExEE10hipError_tPvRmT2_T3_T4_T5_mT6_T7_P12ihipStream_tbENKUlT_T0_E_clISt17integral_constantIbLb1EESZ_EEDaSU_SV_EUlSU_E_NS1_11comp_targetILNS1_3genE2ELNS1_11target_archE906ELNS1_3gpuE6ELNS1_3repE0EEENS1_30default_config_static_selectorELNS0_4arch9wavefront6targetE1EEEvT1_, .Lfunc_end367-_ZN7rocprim17ROCPRIM_400000_NS6detail17trampoline_kernelINS0_14default_configENS1_27scan_by_key_config_selectorIxxEEZZNS1_16scan_by_key_implILNS1_25lookback_scan_determinismE0ELb1ES3_N6thrust23THRUST_200600_302600_NS6detail15normal_iteratorINS9_10device_ptrIxEEEESE_SE_xNS9_4plusIvEENS9_8equal_toIvEExEE10hipError_tPvRmT2_T3_T4_T5_mT6_T7_P12ihipStream_tbENKUlT_T0_E_clISt17integral_constantIbLb1EESZ_EEDaSU_SV_EUlSU_E_NS1_11comp_targetILNS1_3genE2ELNS1_11target_archE906ELNS1_3gpuE6ELNS1_3repE0EEENS1_30default_config_static_selectorELNS0_4arch9wavefront6targetE1EEEvT1_
                                        ; -- End function
	.section	.AMDGPU.csdata,"",@progbits
; Kernel info:
; codeLenInByte = 0
; NumSgprs: 6
; NumVgprs: 0
; NumAgprs: 0
; TotalNumVgprs: 0
; ScratchSize: 0
; MemoryBound: 0
; FloatMode: 240
; IeeeMode: 1
; LDSByteSize: 0 bytes/workgroup (compile time only)
; SGPRBlocks: 0
; VGPRBlocks: 0
; NumSGPRsForWavesPerEU: 6
; NumVGPRsForWavesPerEU: 1
; AccumOffset: 4
; Occupancy: 8
; WaveLimiterHint : 0
; COMPUTE_PGM_RSRC2:SCRATCH_EN: 0
; COMPUTE_PGM_RSRC2:USER_SGPR: 2
; COMPUTE_PGM_RSRC2:TRAP_HANDLER: 0
; COMPUTE_PGM_RSRC2:TGID_X_EN: 1
; COMPUTE_PGM_RSRC2:TGID_Y_EN: 0
; COMPUTE_PGM_RSRC2:TGID_Z_EN: 0
; COMPUTE_PGM_RSRC2:TIDIG_COMP_CNT: 0
; COMPUTE_PGM_RSRC3_GFX90A:ACCUM_OFFSET: 0
; COMPUTE_PGM_RSRC3_GFX90A:TG_SPLIT: 0
	.section	.text._ZN7rocprim17ROCPRIM_400000_NS6detail17trampoline_kernelINS0_14default_configENS1_27scan_by_key_config_selectorIxxEEZZNS1_16scan_by_key_implILNS1_25lookback_scan_determinismE0ELb1ES3_N6thrust23THRUST_200600_302600_NS6detail15normal_iteratorINS9_10device_ptrIxEEEESE_SE_xNS9_4plusIvEENS9_8equal_toIvEExEE10hipError_tPvRmT2_T3_T4_T5_mT6_T7_P12ihipStream_tbENKUlT_T0_E_clISt17integral_constantIbLb1EESZ_EEDaSU_SV_EUlSU_E_NS1_11comp_targetILNS1_3genE10ELNS1_11target_archE1200ELNS1_3gpuE4ELNS1_3repE0EEENS1_30default_config_static_selectorELNS0_4arch9wavefront6targetE1EEEvT1_,"axG",@progbits,_ZN7rocprim17ROCPRIM_400000_NS6detail17trampoline_kernelINS0_14default_configENS1_27scan_by_key_config_selectorIxxEEZZNS1_16scan_by_key_implILNS1_25lookback_scan_determinismE0ELb1ES3_N6thrust23THRUST_200600_302600_NS6detail15normal_iteratorINS9_10device_ptrIxEEEESE_SE_xNS9_4plusIvEENS9_8equal_toIvEExEE10hipError_tPvRmT2_T3_T4_T5_mT6_T7_P12ihipStream_tbENKUlT_T0_E_clISt17integral_constantIbLb1EESZ_EEDaSU_SV_EUlSU_E_NS1_11comp_targetILNS1_3genE10ELNS1_11target_archE1200ELNS1_3gpuE4ELNS1_3repE0EEENS1_30default_config_static_selectorELNS0_4arch9wavefront6targetE1EEEvT1_,comdat
	.protected	_ZN7rocprim17ROCPRIM_400000_NS6detail17trampoline_kernelINS0_14default_configENS1_27scan_by_key_config_selectorIxxEEZZNS1_16scan_by_key_implILNS1_25lookback_scan_determinismE0ELb1ES3_N6thrust23THRUST_200600_302600_NS6detail15normal_iteratorINS9_10device_ptrIxEEEESE_SE_xNS9_4plusIvEENS9_8equal_toIvEExEE10hipError_tPvRmT2_T3_T4_T5_mT6_T7_P12ihipStream_tbENKUlT_T0_E_clISt17integral_constantIbLb1EESZ_EEDaSU_SV_EUlSU_E_NS1_11comp_targetILNS1_3genE10ELNS1_11target_archE1200ELNS1_3gpuE4ELNS1_3repE0EEENS1_30default_config_static_selectorELNS0_4arch9wavefront6targetE1EEEvT1_ ; -- Begin function _ZN7rocprim17ROCPRIM_400000_NS6detail17trampoline_kernelINS0_14default_configENS1_27scan_by_key_config_selectorIxxEEZZNS1_16scan_by_key_implILNS1_25lookback_scan_determinismE0ELb1ES3_N6thrust23THRUST_200600_302600_NS6detail15normal_iteratorINS9_10device_ptrIxEEEESE_SE_xNS9_4plusIvEENS9_8equal_toIvEExEE10hipError_tPvRmT2_T3_T4_T5_mT6_T7_P12ihipStream_tbENKUlT_T0_E_clISt17integral_constantIbLb1EESZ_EEDaSU_SV_EUlSU_E_NS1_11comp_targetILNS1_3genE10ELNS1_11target_archE1200ELNS1_3gpuE4ELNS1_3repE0EEENS1_30default_config_static_selectorELNS0_4arch9wavefront6targetE1EEEvT1_
	.globl	_ZN7rocprim17ROCPRIM_400000_NS6detail17trampoline_kernelINS0_14default_configENS1_27scan_by_key_config_selectorIxxEEZZNS1_16scan_by_key_implILNS1_25lookback_scan_determinismE0ELb1ES3_N6thrust23THRUST_200600_302600_NS6detail15normal_iteratorINS9_10device_ptrIxEEEESE_SE_xNS9_4plusIvEENS9_8equal_toIvEExEE10hipError_tPvRmT2_T3_T4_T5_mT6_T7_P12ihipStream_tbENKUlT_T0_E_clISt17integral_constantIbLb1EESZ_EEDaSU_SV_EUlSU_E_NS1_11comp_targetILNS1_3genE10ELNS1_11target_archE1200ELNS1_3gpuE4ELNS1_3repE0EEENS1_30default_config_static_selectorELNS0_4arch9wavefront6targetE1EEEvT1_
	.p2align	8
	.type	_ZN7rocprim17ROCPRIM_400000_NS6detail17trampoline_kernelINS0_14default_configENS1_27scan_by_key_config_selectorIxxEEZZNS1_16scan_by_key_implILNS1_25lookback_scan_determinismE0ELb1ES3_N6thrust23THRUST_200600_302600_NS6detail15normal_iteratorINS9_10device_ptrIxEEEESE_SE_xNS9_4plusIvEENS9_8equal_toIvEExEE10hipError_tPvRmT2_T3_T4_T5_mT6_T7_P12ihipStream_tbENKUlT_T0_E_clISt17integral_constantIbLb1EESZ_EEDaSU_SV_EUlSU_E_NS1_11comp_targetILNS1_3genE10ELNS1_11target_archE1200ELNS1_3gpuE4ELNS1_3repE0EEENS1_30default_config_static_selectorELNS0_4arch9wavefront6targetE1EEEvT1_,@function
_ZN7rocprim17ROCPRIM_400000_NS6detail17trampoline_kernelINS0_14default_configENS1_27scan_by_key_config_selectorIxxEEZZNS1_16scan_by_key_implILNS1_25lookback_scan_determinismE0ELb1ES3_N6thrust23THRUST_200600_302600_NS6detail15normal_iteratorINS9_10device_ptrIxEEEESE_SE_xNS9_4plusIvEENS9_8equal_toIvEExEE10hipError_tPvRmT2_T3_T4_T5_mT6_T7_P12ihipStream_tbENKUlT_T0_E_clISt17integral_constantIbLb1EESZ_EEDaSU_SV_EUlSU_E_NS1_11comp_targetILNS1_3genE10ELNS1_11target_archE1200ELNS1_3gpuE4ELNS1_3repE0EEENS1_30default_config_static_selectorELNS0_4arch9wavefront6targetE1EEEvT1_: ; @_ZN7rocprim17ROCPRIM_400000_NS6detail17trampoline_kernelINS0_14default_configENS1_27scan_by_key_config_selectorIxxEEZZNS1_16scan_by_key_implILNS1_25lookback_scan_determinismE0ELb1ES3_N6thrust23THRUST_200600_302600_NS6detail15normal_iteratorINS9_10device_ptrIxEEEESE_SE_xNS9_4plusIvEENS9_8equal_toIvEExEE10hipError_tPvRmT2_T3_T4_T5_mT6_T7_P12ihipStream_tbENKUlT_T0_E_clISt17integral_constantIbLb1EESZ_EEDaSU_SV_EUlSU_E_NS1_11comp_targetILNS1_3genE10ELNS1_11target_archE1200ELNS1_3gpuE4ELNS1_3repE0EEENS1_30default_config_static_selectorELNS0_4arch9wavefront6targetE1EEEvT1_
; %bb.0:
	.section	.rodata,"a",@progbits
	.p2align	6, 0x0
	.amdhsa_kernel _ZN7rocprim17ROCPRIM_400000_NS6detail17trampoline_kernelINS0_14default_configENS1_27scan_by_key_config_selectorIxxEEZZNS1_16scan_by_key_implILNS1_25lookback_scan_determinismE0ELb1ES3_N6thrust23THRUST_200600_302600_NS6detail15normal_iteratorINS9_10device_ptrIxEEEESE_SE_xNS9_4plusIvEENS9_8equal_toIvEExEE10hipError_tPvRmT2_T3_T4_T5_mT6_T7_P12ihipStream_tbENKUlT_T0_E_clISt17integral_constantIbLb1EESZ_EEDaSU_SV_EUlSU_E_NS1_11comp_targetILNS1_3genE10ELNS1_11target_archE1200ELNS1_3gpuE4ELNS1_3repE0EEENS1_30default_config_static_selectorELNS0_4arch9wavefront6targetE1EEEvT1_
		.amdhsa_group_segment_fixed_size 0
		.amdhsa_private_segment_fixed_size 0
		.amdhsa_kernarg_size 136
		.amdhsa_user_sgpr_count 2
		.amdhsa_user_sgpr_dispatch_ptr 0
		.amdhsa_user_sgpr_queue_ptr 0
		.amdhsa_user_sgpr_kernarg_segment_ptr 1
		.amdhsa_user_sgpr_dispatch_id 0
		.amdhsa_user_sgpr_kernarg_preload_length 0
		.amdhsa_user_sgpr_kernarg_preload_offset 0
		.amdhsa_user_sgpr_private_segment_size 0
		.amdhsa_uses_dynamic_stack 0
		.amdhsa_enable_private_segment 0
		.amdhsa_system_sgpr_workgroup_id_x 1
		.amdhsa_system_sgpr_workgroup_id_y 0
		.amdhsa_system_sgpr_workgroup_id_z 0
		.amdhsa_system_sgpr_workgroup_info 0
		.amdhsa_system_vgpr_workitem_id 0
		.amdhsa_next_free_vgpr 1
		.amdhsa_next_free_sgpr 0
		.amdhsa_accum_offset 4
		.amdhsa_reserve_vcc 0
		.amdhsa_float_round_mode_32 0
		.amdhsa_float_round_mode_16_64 0
		.amdhsa_float_denorm_mode_32 3
		.amdhsa_float_denorm_mode_16_64 3
		.amdhsa_dx10_clamp 1
		.amdhsa_ieee_mode 1
		.amdhsa_fp16_overflow 0
		.amdhsa_tg_split 0
		.amdhsa_exception_fp_ieee_invalid_op 0
		.amdhsa_exception_fp_denorm_src 0
		.amdhsa_exception_fp_ieee_div_zero 0
		.amdhsa_exception_fp_ieee_overflow 0
		.amdhsa_exception_fp_ieee_underflow 0
		.amdhsa_exception_fp_ieee_inexact 0
		.amdhsa_exception_int_div_zero 0
	.end_amdhsa_kernel
	.section	.text._ZN7rocprim17ROCPRIM_400000_NS6detail17trampoline_kernelINS0_14default_configENS1_27scan_by_key_config_selectorIxxEEZZNS1_16scan_by_key_implILNS1_25lookback_scan_determinismE0ELb1ES3_N6thrust23THRUST_200600_302600_NS6detail15normal_iteratorINS9_10device_ptrIxEEEESE_SE_xNS9_4plusIvEENS9_8equal_toIvEExEE10hipError_tPvRmT2_T3_T4_T5_mT6_T7_P12ihipStream_tbENKUlT_T0_E_clISt17integral_constantIbLb1EESZ_EEDaSU_SV_EUlSU_E_NS1_11comp_targetILNS1_3genE10ELNS1_11target_archE1200ELNS1_3gpuE4ELNS1_3repE0EEENS1_30default_config_static_selectorELNS0_4arch9wavefront6targetE1EEEvT1_,"axG",@progbits,_ZN7rocprim17ROCPRIM_400000_NS6detail17trampoline_kernelINS0_14default_configENS1_27scan_by_key_config_selectorIxxEEZZNS1_16scan_by_key_implILNS1_25lookback_scan_determinismE0ELb1ES3_N6thrust23THRUST_200600_302600_NS6detail15normal_iteratorINS9_10device_ptrIxEEEESE_SE_xNS9_4plusIvEENS9_8equal_toIvEExEE10hipError_tPvRmT2_T3_T4_T5_mT6_T7_P12ihipStream_tbENKUlT_T0_E_clISt17integral_constantIbLb1EESZ_EEDaSU_SV_EUlSU_E_NS1_11comp_targetILNS1_3genE10ELNS1_11target_archE1200ELNS1_3gpuE4ELNS1_3repE0EEENS1_30default_config_static_selectorELNS0_4arch9wavefront6targetE1EEEvT1_,comdat
.Lfunc_end368:
	.size	_ZN7rocprim17ROCPRIM_400000_NS6detail17trampoline_kernelINS0_14default_configENS1_27scan_by_key_config_selectorIxxEEZZNS1_16scan_by_key_implILNS1_25lookback_scan_determinismE0ELb1ES3_N6thrust23THRUST_200600_302600_NS6detail15normal_iteratorINS9_10device_ptrIxEEEESE_SE_xNS9_4plusIvEENS9_8equal_toIvEExEE10hipError_tPvRmT2_T3_T4_T5_mT6_T7_P12ihipStream_tbENKUlT_T0_E_clISt17integral_constantIbLb1EESZ_EEDaSU_SV_EUlSU_E_NS1_11comp_targetILNS1_3genE10ELNS1_11target_archE1200ELNS1_3gpuE4ELNS1_3repE0EEENS1_30default_config_static_selectorELNS0_4arch9wavefront6targetE1EEEvT1_, .Lfunc_end368-_ZN7rocprim17ROCPRIM_400000_NS6detail17trampoline_kernelINS0_14default_configENS1_27scan_by_key_config_selectorIxxEEZZNS1_16scan_by_key_implILNS1_25lookback_scan_determinismE0ELb1ES3_N6thrust23THRUST_200600_302600_NS6detail15normal_iteratorINS9_10device_ptrIxEEEESE_SE_xNS9_4plusIvEENS9_8equal_toIvEExEE10hipError_tPvRmT2_T3_T4_T5_mT6_T7_P12ihipStream_tbENKUlT_T0_E_clISt17integral_constantIbLb1EESZ_EEDaSU_SV_EUlSU_E_NS1_11comp_targetILNS1_3genE10ELNS1_11target_archE1200ELNS1_3gpuE4ELNS1_3repE0EEENS1_30default_config_static_selectorELNS0_4arch9wavefront6targetE1EEEvT1_
                                        ; -- End function
	.section	.AMDGPU.csdata,"",@progbits
; Kernel info:
; codeLenInByte = 0
; NumSgprs: 6
; NumVgprs: 0
; NumAgprs: 0
; TotalNumVgprs: 0
; ScratchSize: 0
; MemoryBound: 0
; FloatMode: 240
; IeeeMode: 1
; LDSByteSize: 0 bytes/workgroup (compile time only)
; SGPRBlocks: 0
; VGPRBlocks: 0
; NumSGPRsForWavesPerEU: 6
; NumVGPRsForWavesPerEU: 1
; AccumOffset: 4
; Occupancy: 8
; WaveLimiterHint : 0
; COMPUTE_PGM_RSRC2:SCRATCH_EN: 0
; COMPUTE_PGM_RSRC2:USER_SGPR: 2
; COMPUTE_PGM_RSRC2:TRAP_HANDLER: 0
; COMPUTE_PGM_RSRC2:TGID_X_EN: 1
; COMPUTE_PGM_RSRC2:TGID_Y_EN: 0
; COMPUTE_PGM_RSRC2:TGID_Z_EN: 0
; COMPUTE_PGM_RSRC2:TIDIG_COMP_CNT: 0
; COMPUTE_PGM_RSRC3_GFX90A:ACCUM_OFFSET: 0
; COMPUTE_PGM_RSRC3_GFX90A:TG_SPLIT: 0
	.section	.text._ZN7rocprim17ROCPRIM_400000_NS6detail17trampoline_kernelINS0_14default_configENS1_27scan_by_key_config_selectorIxxEEZZNS1_16scan_by_key_implILNS1_25lookback_scan_determinismE0ELb1ES3_N6thrust23THRUST_200600_302600_NS6detail15normal_iteratorINS9_10device_ptrIxEEEESE_SE_xNS9_4plusIvEENS9_8equal_toIvEExEE10hipError_tPvRmT2_T3_T4_T5_mT6_T7_P12ihipStream_tbENKUlT_T0_E_clISt17integral_constantIbLb1EESZ_EEDaSU_SV_EUlSU_E_NS1_11comp_targetILNS1_3genE9ELNS1_11target_archE1100ELNS1_3gpuE3ELNS1_3repE0EEENS1_30default_config_static_selectorELNS0_4arch9wavefront6targetE1EEEvT1_,"axG",@progbits,_ZN7rocprim17ROCPRIM_400000_NS6detail17trampoline_kernelINS0_14default_configENS1_27scan_by_key_config_selectorIxxEEZZNS1_16scan_by_key_implILNS1_25lookback_scan_determinismE0ELb1ES3_N6thrust23THRUST_200600_302600_NS6detail15normal_iteratorINS9_10device_ptrIxEEEESE_SE_xNS9_4plusIvEENS9_8equal_toIvEExEE10hipError_tPvRmT2_T3_T4_T5_mT6_T7_P12ihipStream_tbENKUlT_T0_E_clISt17integral_constantIbLb1EESZ_EEDaSU_SV_EUlSU_E_NS1_11comp_targetILNS1_3genE9ELNS1_11target_archE1100ELNS1_3gpuE3ELNS1_3repE0EEENS1_30default_config_static_selectorELNS0_4arch9wavefront6targetE1EEEvT1_,comdat
	.protected	_ZN7rocprim17ROCPRIM_400000_NS6detail17trampoline_kernelINS0_14default_configENS1_27scan_by_key_config_selectorIxxEEZZNS1_16scan_by_key_implILNS1_25lookback_scan_determinismE0ELb1ES3_N6thrust23THRUST_200600_302600_NS6detail15normal_iteratorINS9_10device_ptrIxEEEESE_SE_xNS9_4plusIvEENS9_8equal_toIvEExEE10hipError_tPvRmT2_T3_T4_T5_mT6_T7_P12ihipStream_tbENKUlT_T0_E_clISt17integral_constantIbLb1EESZ_EEDaSU_SV_EUlSU_E_NS1_11comp_targetILNS1_3genE9ELNS1_11target_archE1100ELNS1_3gpuE3ELNS1_3repE0EEENS1_30default_config_static_selectorELNS0_4arch9wavefront6targetE1EEEvT1_ ; -- Begin function _ZN7rocprim17ROCPRIM_400000_NS6detail17trampoline_kernelINS0_14default_configENS1_27scan_by_key_config_selectorIxxEEZZNS1_16scan_by_key_implILNS1_25lookback_scan_determinismE0ELb1ES3_N6thrust23THRUST_200600_302600_NS6detail15normal_iteratorINS9_10device_ptrIxEEEESE_SE_xNS9_4plusIvEENS9_8equal_toIvEExEE10hipError_tPvRmT2_T3_T4_T5_mT6_T7_P12ihipStream_tbENKUlT_T0_E_clISt17integral_constantIbLb1EESZ_EEDaSU_SV_EUlSU_E_NS1_11comp_targetILNS1_3genE9ELNS1_11target_archE1100ELNS1_3gpuE3ELNS1_3repE0EEENS1_30default_config_static_selectorELNS0_4arch9wavefront6targetE1EEEvT1_
	.globl	_ZN7rocprim17ROCPRIM_400000_NS6detail17trampoline_kernelINS0_14default_configENS1_27scan_by_key_config_selectorIxxEEZZNS1_16scan_by_key_implILNS1_25lookback_scan_determinismE0ELb1ES3_N6thrust23THRUST_200600_302600_NS6detail15normal_iteratorINS9_10device_ptrIxEEEESE_SE_xNS9_4plusIvEENS9_8equal_toIvEExEE10hipError_tPvRmT2_T3_T4_T5_mT6_T7_P12ihipStream_tbENKUlT_T0_E_clISt17integral_constantIbLb1EESZ_EEDaSU_SV_EUlSU_E_NS1_11comp_targetILNS1_3genE9ELNS1_11target_archE1100ELNS1_3gpuE3ELNS1_3repE0EEENS1_30default_config_static_selectorELNS0_4arch9wavefront6targetE1EEEvT1_
	.p2align	8
	.type	_ZN7rocprim17ROCPRIM_400000_NS6detail17trampoline_kernelINS0_14default_configENS1_27scan_by_key_config_selectorIxxEEZZNS1_16scan_by_key_implILNS1_25lookback_scan_determinismE0ELb1ES3_N6thrust23THRUST_200600_302600_NS6detail15normal_iteratorINS9_10device_ptrIxEEEESE_SE_xNS9_4plusIvEENS9_8equal_toIvEExEE10hipError_tPvRmT2_T3_T4_T5_mT6_T7_P12ihipStream_tbENKUlT_T0_E_clISt17integral_constantIbLb1EESZ_EEDaSU_SV_EUlSU_E_NS1_11comp_targetILNS1_3genE9ELNS1_11target_archE1100ELNS1_3gpuE3ELNS1_3repE0EEENS1_30default_config_static_selectorELNS0_4arch9wavefront6targetE1EEEvT1_,@function
_ZN7rocprim17ROCPRIM_400000_NS6detail17trampoline_kernelINS0_14default_configENS1_27scan_by_key_config_selectorIxxEEZZNS1_16scan_by_key_implILNS1_25lookback_scan_determinismE0ELb1ES3_N6thrust23THRUST_200600_302600_NS6detail15normal_iteratorINS9_10device_ptrIxEEEESE_SE_xNS9_4plusIvEENS9_8equal_toIvEExEE10hipError_tPvRmT2_T3_T4_T5_mT6_T7_P12ihipStream_tbENKUlT_T0_E_clISt17integral_constantIbLb1EESZ_EEDaSU_SV_EUlSU_E_NS1_11comp_targetILNS1_3genE9ELNS1_11target_archE1100ELNS1_3gpuE3ELNS1_3repE0EEENS1_30default_config_static_selectorELNS0_4arch9wavefront6targetE1EEEvT1_: ; @_ZN7rocprim17ROCPRIM_400000_NS6detail17trampoline_kernelINS0_14default_configENS1_27scan_by_key_config_selectorIxxEEZZNS1_16scan_by_key_implILNS1_25lookback_scan_determinismE0ELb1ES3_N6thrust23THRUST_200600_302600_NS6detail15normal_iteratorINS9_10device_ptrIxEEEESE_SE_xNS9_4plusIvEENS9_8equal_toIvEExEE10hipError_tPvRmT2_T3_T4_T5_mT6_T7_P12ihipStream_tbENKUlT_T0_E_clISt17integral_constantIbLb1EESZ_EEDaSU_SV_EUlSU_E_NS1_11comp_targetILNS1_3genE9ELNS1_11target_archE1100ELNS1_3gpuE3ELNS1_3repE0EEENS1_30default_config_static_selectorELNS0_4arch9wavefront6targetE1EEEvT1_
; %bb.0:
	.section	.rodata,"a",@progbits
	.p2align	6, 0x0
	.amdhsa_kernel _ZN7rocprim17ROCPRIM_400000_NS6detail17trampoline_kernelINS0_14default_configENS1_27scan_by_key_config_selectorIxxEEZZNS1_16scan_by_key_implILNS1_25lookback_scan_determinismE0ELb1ES3_N6thrust23THRUST_200600_302600_NS6detail15normal_iteratorINS9_10device_ptrIxEEEESE_SE_xNS9_4plusIvEENS9_8equal_toIvEExEE10hipError_tPvRmT2_T3_T4_T5_mT6_T7_P12ihipStream_tbENKUlT_T0_E_clISt17integral_constantIbLb1EESZ_EEDaSU_SV_EUlSU_E_NS1_11comp_targetILNS1_3genE9ELNS1_11target_archE1100ELNS1_3gpuE3ELNS1_3repE0EEENS1_30default_config_static_selectorELNS0_4arch9wavefront6targetE1EEEvT1_
		.amdhsa_group_segment_fixed_size 0
		.amdhsa_private_segment_fixed_size 0
		.amdhsa_kernarg_size 136
		.amdhsa_user_sgpr_count 2
		.amdhsa_user_sgpr_dispatch_ptr 0
		.amdhsa_user_sgpr_queue_ptr 0
		.amdhsa_user_sgpr_kernarg_segment_ptr 1
		.amdhsa_user_sgpr_dispatch_id 0
		.amdhsa_user_sgpr_kernarg_preload_length 0
		.amdhsa_user_sgpr_kernarg_preload_offset 0
		.amdhsa_user_sgpr_private_segment_size 0
		.amdhsa_uses_dynamic_stack 0
		.amdhsa_enable_private_segment 0
		.amdhsa_system_sgpr_workgroup_id_x 1
		.amdhsa_system_sgpr_workgroup_id_y 0
		.amdhsa_system_sgpr_workgroup_id_z 0
		.amdhsa_system_sgpr_workgroup_info 0
		.amdhsa_system_vgpr_workitem_id 0
		.amdhsa_next_free_vgpr 1
		.amdhsa_next_free_sgpr 0
		.amdhsa_accum_offset 4
		.amdhsa_reserve_vcc 0
		.amdhsa_float_round_mode_32 0
		.amdhsa_float_round_mode_16_64 0
		.amdhsa_float_denorm_mode_32 3
		.amdhsa_float_denorm_mode_16_64 3
		.amdhsa_dx10_clamp 1
		.amdhsa_ieee_mode 1
		.amdhsa_fp16_overflow 0
		.amdhsa_tg_split 0
		.amdhsa_exception_fp_ieee_invalid_op 0
		.amdhsa_exception_fp_denorm_src 0
		.amdhsa_exception_fp_ieee_div_zero 0
		.amdhsa_exception_fp_ieee_overflow 0
		.amdhsa_exception_fp_ieee_underflow 0
		.amdhsa_exception_fp_ieee_inexact 0
		.amdhsa_exception_int_div_zero 0
	.end_amdhsa_kernel
	.section	.text._ZN7rocprim17ROCPRIM_400000_NS6detail17trampoline_kernelINS0_14default_configENS1_27scan_by_key_config_selectorIxxEEZZNS1_16scan_by_key_implILNS1_25lookback_scan_determinismE0ELb1ES3_N6thrust23THRUST_200600_302600_NS6detail15normal_iteratorINS9_10device_ptrIxEEEESE_SE_xNS9_4plusIvEENS9_8equal_toIvEExEE10hipError_tPvRmT2_T3_T4_T5_mT6_T7_P12ihipStream_tbENKUlT_T0_E_clISt17integral_constantIbLb1EESZ_EEDaSU_SV_EUlSU_E_NS1_11comp_targetILNS1_3genE9ELNS1_11target_archE1100ELNS1_3gpuE3ELNS1_3repE0EEENS1_30default_config_static_selectorELNS0_4arch9wavefront6targetE1EEEvT1_,"axG",@progbits,_ZN7rocprim17ROCPRIM_400000_NS6detail17trampoline_kernelINS0_14default_configENS1_27scan_by_key_config_selectorIxxEEZZNS1_16scan_by_key_implILNS1_25lookback_scan_determinismE0ELb1ES3_N6thrust23THRUST_200600_302600_NS6detail15normal_iteratorINS9_10device_ptrIxEEEESE_SE_xNS9_4plusIvEENS9_8equal_toIvEExEE10hipError_tPvRmT2_T3_T4_T5_mT6_T7_P12ihipStream_tbENKUlT_T0_E_clISt17integral_constantIbLb1EESZ_EEDaSU_SV_EUlSU_E_NS1_11comp_targetILNS1_3genE9ELNS1_11target_archE1100ELNS1_3gpuE3ELNS1_3repE0EEENS1_30default_config_static_selectorELNS0_4arch9wavefront6targetE1EEEvT1_,comdat
.Lfunc_end369:
	.size	_ZN7rocprim17ROCPRIM_400000_NS6detail17trampoline_kernelINS0_14default_configENS1_27scan_by_key_config_selectorIxxEEZZNS1_16scan_by_key_implILNS1_25lookback_scan_determinismE0ELb1ES3_N6thrust23THRUST_200600_302600_NS6detail15normal_iteratorINS9_10device_ptrIxEEEESE_SE_xNS9_4plusIvEENS9_8equal_toIvEExEE10hipError_tPvRmT2_T3_T4_T5_mT6_T7_P12ihipStream_tbENKUlT_T0_E_clISt17integral_constantIbLb1EESZ_EEDaSU_SV_EUlSU_E_NS1_11comp_targetILNS1_3genE9ELNS1_11target_archE1100ELNS1_3gpuE3ELNS1_3repE0EEENS1_30default_config_static_selectorELNS0_4arch9wavefront6targetE1EEEvT1_, .Lfunc_end369-_ZN7rocprim17ROCPRIM_400000_NS6detail17trampoline_kernelINS0_14default_configENS1_27scan_by_key_config_selectorIxxEEZZNS1_16scan_by_key_implILNS1_25lookback_scan_determinismE0ELb1ES3_N6thrust23THRUST_200600_302600_NS6detail15normal_iteratorINS9_10device_ptrIxEEEESE_SE_xNS9_4plusIvEENS9_8equal_toIvEExEE10hipError_tPvRmT2_T3_T4_T5_mT6_T7_P12ihipStream_tbENKUlT_T0_E_clISt17integral_constantIbLb1EESZ_EEDaSU_SV_EUlSU_E_NS1_11comp_targetILNS1_3genE9ELNS1_11target_archE1100ELNS1_3gpuE3ELNS1_3repE0EEENS1_30default_config_static_selectorELNS0_4arch9wavefront6targetE1EEEvT1_
                                        ; -- End function
	.section	.AMDGPU.csdata,"",@progbits
; Kernel info:
; codeLenInByte = 0
; NumSgprs: 6
; NumVgprs: 0
; NumAgprs: 0
; TotalNumVgprs: 0
; ScratchSize: 0
; MemoryBound: 0
; FloatMode: 240
; IeeeMode: 1
; LDSByteSize: 0 bytes/workgroup (compile time only)
; SGPRBlocks: 0
; VGPRBlocks: 0
; NumSGPRsForWavesPerEU: 6
; NumVGPRsForWavesPerEU: 1
; AccumOffset: 4
; Occupancy: 8
; WaveLimiterHint : 0
; COMPUTE_PGM_RSRC2:SCRATCH_EN: 0
; COMPUTE_PGM_RSRC2:USER_SGPR: 2
; COMPUTE_PGM_RSRC2:TRAP_HANDLER: 0
; COMPUTE_PGM_RSRC2:TGID_X_EN: 1
; COMPUTE_PGM_RSRC2:TGID_Y_EN: 0
; COMPUTE_PGM_RSRC2:TGID_Z_EN: 0
; COMPUTE_PGM_RSRC2:TIDIG_COMP_CNT: 0
; COMPUTE_PGM_RSRC3_GFX90A:ACCUM_OFFSET: 0
; COMPUTE_PGM_RSRC3_GFX90A:TG_SPLIT: 0
	.section	.text._ZN7rocprim17ROCPRIM_400000_NS6detail17trampoline_kernelINS0_14default_configENS1_27scan_by_key_config_selectorIxxEEZZNS1_16scan_by_key_implILNS1_25lookback_scan_determinismE0ELb1ES3_N6thrust23THRUST_200600_302600_NS6detail15normal_iteratorINS9_10device_ptrIxEEEESE_SE_xNS9_4plusIvEENS9_8equal_toIvEExEE10hipError_tPvRmT2_T3_T4_T5_mT6_T7_P12ihipStream_tbENKUlT_T0_E_clISt17integral_constantIbLb1EESZ_EEDaSU_SV_EUlSU_E_NS1_11comp_targetILNS1_3genE8ELNS1_11target_archE1030ELNS1_3gpuE2ELNS1_3repE0EEENS1_30default_config_static_selectorELNS0_4arch9wavefront6targetE1EEEvT1_,"axG",@progbits,_ZN7rocprim17ROCPRIM_400000_NS6detail17trampoline_kernelINS0_14default_configENS1_27scan_by_key_config_selectorIxxEEZZNS1_16scan_by_key_implILNS1_25lookback_scan_determinismE0ELb1ES3_N6thrust23THRUST_200600_302600_NS6detail15normal_iteratorINS9_10device_ptrIxEEEESE_SE_xNS9_4plusIvEENS9_8equal_toIvEExEE10hipError_tPvRmT2_T3_T4_T5_mT6_T7_P12ihipStream_tbENKUlT_T0_E_clISt17integral_constantIbLb1EESZ_EEDaSU_SV_EUlSU_E_NS1_11comp_targetILNS1_3genE8ELNS1_11target_archE1030ELNS1_3gpuE2ELNS1_3repE0EEENS1_30default_config_static_selectorELNS0_4arch9wavefront6targetE1EEEvT1_,comdat
	.protected	_ZN7rocprim17ROCPRIM_400000_NS6detail17trampoline_kernelINS0_14default_configENS1_27scan_by_key_config_selectorIxxEEZZNS1_16scan_by_key_implILNS1_25lookback_scan_determinismE0ELb1ES3_N6thrust23THRUST_200600_302600_NS6detail15normal_iteratorINS9_10device_ptrIxEEEESE_SE_xNS9_4plusIvEENS9_8equal_toIvEExEE10hipError_tPvRmT2_T3_T4_T5_mT6_T7_P12ihipStream_tbENKUlT_T0_E_clISt17integral_constantIbLb1EESZ_EEDaSU_SV_EUlSU_E_NS1_11comp_targetILNS1_3genE8ELNS1_11target_archE1030ELNS1_3gpuE2ELNS1_3repE0EEENS1_30default_config_static_selectorELNS0_4arch9wavefront6targetE1EEEvT1_ ; -- Begin function _ZN7rocprim17ROCPRIM_400000_NS6detail17trampoline_kernelINS0_14default_configENS1_27scan_by_key_config_selectorIxxEEZZNS1_16scan_by_key_implILNS1_25lookback_scan_determinismE0ELb1ES3_N6thrust23THRUST_200600_302600_NS6detail15normal_iteratorINS9_10device_ptrIxEEEESE_SE_xNS9_4plusIvEENS9_8equal_toIvEExEE10hipError_tPvRmT2_T3_T4_T5_mT6_T7_P12ihipStream_tbENKUlT_T0_E_clISt17integral_constantIbLb1EESZ_EEDaSU_SV_EUlSU_E_NS1_11comp_targetILNS1_3genE8ELNS1_11target_archE1030ELNS1_3gpuE2ELNS1_3repE0EEENS1_30default_config_static_selectorELNS0_4arch9wavefront6targetE1EEEvT1_
	.globl	_ZN7rocprim17ROCPRIM_400000_NS6detail17trampoline_kernelINS0_14default_configENS1_27scan_by_key_config_selectorIxxEEZZNS1_16scan_by_key_implILNS1_25lookback_scan_determinismE0ELb1ES3_N6thrust23THRUST_200600_302600_NS6detail15normal_iteratorINS9_10device_ptrIxEEEESE_SE_xNS9_4plusIvEENS9_8equal_toIvEExEE10hipError_tPvRmT2_T3_T4_T5_mT6_T7_P12ihipStream_tbENKUlT_T0_E_clISt17integral_constantIbLb1EESZ_EEDaSU_SV_EUlSU_E_NS1_11comp_targetILNS1_3genE8ELNS1_11target_archE1030ELNS1_3gpuE2ELNS1_3repE0EEENS1_30default_config_static_selectorELNS0_4arch9wavefront6targetE1EEEvT1_
	.p2align	8
	.type	_ZN7rocprim17ROCPRIM_400000_NS6detail17trampoline_kernelINS0_14default_configENS1_27scan_by_key_config_selectorIxxEEZZNS1_16scan_by_key_implILNS1_25lookback_scan_determinismE0ELb1ES3_N6thrust23THRUST_200600_302600_NS6detail15normal_iteratorINS9_10device_ptrIxEEEESE_SE_xNS9_4plusIvEENS9_8equal_toIvEExEE10hipError_tPvRmT2_T3_T4_T5_mT6_T7_P12ihipStream_tbENKUlT_T0_E_clISt17integral_constantIbLb1EESZ_EEDaSU_SV_EUlSU_E_NS1_11comp_targetILNS1_3genE8ELNS1_11target_archE1030ELNS1_3gpuE2ELNS1_3repE0EEENS1_30default_config_static_selectorELNS0_4arch9wavefront6targetE1EEEvT1_,@function
_ZN7rocprim17ROCPRIM_400000_NS6detail17trampoline_kernelINS0_14default_configENS1_27scan_by_key_config_selectorIxxEEZZNS1_16scan_by_key_implILNS1_25lookback_scan_determinismE0ELb1ES3_N6thrust23THRUST_200600_302600_NS6detail15normal_iteratorINS9_10device_ptrIxEEEESE_SE_xNS9_4plusIvEENS9_8equal_toIvEExEE10hipError_tPvRmT2_T3_T4_T5_mT6_T7_P12ihipStream_tbENKUlT_T0_E_clISt17integral_constantIbLb1EESZ_EEDaSU_SV_EUlSU_E_NS1_11comp_targetILNS1_3genE8ELNS1_11target_archE1030ELNS1_3gpuE2ELNS1_3repE0EEENS1_30default_config_static_selectorELNS0_4arch9wavefront6targetE1EEEvT1_: ; @_ZN7rocprim17ROCPRIM_400000_NS6detail17trampoline_kernelINS0_14default_configENS1_27scan_by_key_config_selectorIxxEEZZNS1_16scan_by_key_implILNS1_25lookback_scan_determinismE0ELb1ES3_N6thrust23THRUST_200600_302600_NS6detail15normal_iteratorINS9_10device_ptrIxEEEESE_SE_xNS9_4plusIvEENS9_8equal_toIvEExEE10hipError_tPvRmT2_T3_T4_T5_mT6_T7_P12ihipStream_tbENKUlT_T0_E_clISt17integral_constantIbLb1EESZ_EEDaSU_SV_EUlSU_E_NS1_11comp_targetILNS1_3genE8ELNS1_11target_archE1030ELNS1_3gpuE2ELNS1_3repE0EEENS1_30default_config_static_selectorELNS0_4arch9wavefront6targetE1EEEvT1_
; %bb.0:
	.section	.rodata,"a",@progbits
	.p2align	6, 0x0
	.amdhsa_kernel _ZN7rocprim17ROCPRIM_400000_NS6detail17trampoline_kernelINS0_14default_configENS1_27scan_by_key_config_selectorIxxEEZZNS1_16scan_by_key_implILNS1_25lookback_scan_determinismE0ELb1ES3_N6thrust23THRUST_200600_302600_NS6detail15normal_iteratorINS9_10device_ptrIxEEEESE_SE_xNS9_4plusIvEENS9_8equal_toIvEExEE10hipError_tPvRmT2_T3_T4_T5_mT6_T7_P12ihipStream_tbENKUlT_T0_E_clISt17integral_constantIbLb1EESZ_EEDaSU_SV_EUlSU_E_NS1_11comp_targetILNS1_3genE8ELNS1_11target_archE1030ELNS1_3gpuE2ELNS1_3repE0EEENS1_30default_config_static_selectorELNS0_4arch9wavefront6targetE1EEEvT1_
		.amdhsa_group_segment_fixed_size 0
		.amdhsa_private_segment_fixed_size 0
		.amdhsa_kernarg_size 136
		.amdhsa_user_sgpr_count 2
		.amdhsa_user_sgpr_dispatch_ptr 0
		.amdhsa_user_sgpr_queue_ptr 0
		.amdhsa_user_sgpr_kernarg_segment_ptr 1
		.amdhsa_user_sgpr_dispatch_id 0
		.amdhsa_user_sgpr_kernarg_preload_length 0
		.amdhsa_user_sgpr_kernarg_preload_offset 0
		.amdhsa_user_sgpr_private_segment_size 0
		.amdhsa_uses_dynamic_stack 0
		.amdhsa_enable_private_segment 0
		.amdhsa_system_sgpr_workgroup_id_x 1
		.amdhsa_system_sgpr_workgroup_id_y 0
		.amdhsa_system_sgpr_workgroup_id_z 0
		.amdhsa_system_sgpr_workgroup_info 0
		.amdhsa_system_vgpr_workitem_id 0
		.amdhsa_next_free_vgpr 1
		.amdhsa_next_free_sgpr 0
		.amdhsa_accum_offset 4
		.amdhsa_reserve_vcc 0
		.amdhsa_float_round_mode_32 0
		.amdhsa_float_round_mode_16_64 0
		.amdhsa_float_denorm_mode_32 3
		.amdhsa_float_denorm_mode_16_64 3
		.amdhsa_dx10_clamp 1
		.amdhsa_ieee_mode 1
		.amdhsa_fp16_overflow 0
		.amdhsa_tg_split 0
		.amdhsa_exception_fp_ieee_invalid_op 0
		.amdhsa_exception_fp_denorm_src 0
		.amdhsa_exception_fp_ieee_div_zero 0
		.amdhsa_exception_fp_ieee_overflow 0
		.amdhsa_exception_fp_ieee_underflow 0
		.amdhsa_exception_fp_ieee_inexact 0
		.amdhsa_exception_int_div_zero 0
	.end_amdhsa_kernel
	.section	.text._ZN7rocprim17ROCPRIM_400000_NS6detail17trampoline_kernelINS0_14default_configENS1_27scan_by_key_config_selectorIxxEEZZNS1_16scan_by_key_implILNS1_25lookback_scan_determinismE0ELb1ES3_N6thrust23THRUST_200600_302600_NS6detail15normal_iteratorINS9_10device_ptrIxEEEESE_SE_xNS9_4plusIvEENS9_8equal_toIvEExEE10hipError_tPvRmT2_T3_T4_T5_mT6_T7_P12ihipStream_tbENKUlT_T0_E_clISt17integral_constantIbLb1EESZ_EEDaSU_SV_EUlSU_E_NS1_11comp_targetILNS1_3genE8ELNS1_11target_archE1030ELNS1_3gpuE2ELNS1_3repE0EEENS1_30default_config_static_selectorELNS0_4arch9wavefront6targetE1EEEvT1_,"axG",@progbits,_ZN7rocprim17ROCPRIM_400000_NS6detail17trampoline_kernelINS0_14default_configENS1_27scan_by_key_config_selectorIxxEEZZNS1_16scan_by_key_implILNS1_25lookback_scan_determinismE0ELb1ES3_N6thrust23THRUST_200600_302600_NS6detail15normal_iteratorINS9_10device_ptrIxEEEESE_SE_xNS9_4plusIvEENS9_8equal_toIvEExEE10hipError_tPvRmT2_T3_T4_T5_mT6_T7_P12ihipStream_tbENKUlT_T0_E_clISt17integral_constantIbLb1EESZ_EEDaSU_SV_EUlSU_E_NS1_11comp_targetILNS1_3genE8ELNS1_11target_archE1030ELNS1_3gpuE2ELNS1_3repE0EEENS1_30default_config_static_selectorELNS0_4arch9wavefront6targetE1EEEvT1_,comdat
.Lfunc_end370:
	.size	_ZN7rocprim17ROCPRIM_400000_NS6detail17trampoline_kernelINS0_14default_configENS1_27scan_by_key_config_selectorIxxEEZZNS1_16scan_by_key_implILNS1_25lookback_scan_determinismE0ELb1ES3_N6thrust23THRUST_200600_302600_NS6detail15normal_iteratorINS9_10device_ptrIxEEEESE_SE_xNS9_4plusIvEENS9_8equal_toIvEExEE10hipError_tPvRmT2_T3_T4_T5_mT6_T7_P12ihipStream_tbENKUlT_T0_E_clISt17integral_constantIbLb1EESZ_EEDaSU_SV_EUlSU_E_NS1_11comp_targetILNS1_3genE8ELNS1_11target_archE1030ELNS1_3gpuE2ELNS1_3repE0EEENS1_30default_config_static_selectorELNS0_4arch9wavefront6targetE1EEEvT1_, .Lfunc_end370-_ZN7rocprim17ROCPRIM_400000_NS6detail17trampoline_kernelINS0_14default_configENS1_27scan_by_key_config_selectorIxxEEZZNS1_16scan_by_key_implILNS1_25lookback_scan_determinismE0ELb1ES3_N6thrust23THRUST_200600_302600_NS6detail15normal_iteratorINS9_10device_ptrIxEEEESE_SE_xNS9_4plusIvEENS9_8equal_toIvEExEE10hipError_tPvRmT2_T3_T4_T5_mT6_T7_P12ihipStream_tbENKUlT_T0_E_clISt17integral_constantIbLb1EESZ_EEDaSU_SV_EUlSU_E_NS1_11comp_targetILNS1_3genE8ELNS1_11target_archE1030ELNS1_3gpuE2ELNS1_3repE0EEENS1_30default_config_static_selectorELNS0_4arch9wavefront6targetE1EEEvT1_
                                        ; -- End function
	.section	.AMDGPU.csdata,"",@progbits
; Kernel info:
; codeLenInByte = 0
; NumSgprs: 6
; NumVgprs: 0
; NumAgprs: 0
; TotalNumVgprs: 0
; ScratchSize: 0
; MemoryBound: 0
; FloatMode: 240
; IeeeMode: 1
; LDSByteSize: 0 bytes/workgroup (compile time only)
; SGPRBlocks: 0
; VGPRBlocks: 0
; NumSGPRsForWavesPerEU: 6
; NumVGPRsForWavesPerEU: 1
; AccumOffset: 4
; Occupancy: 8
; WaveLimiterHint : 0
; COMPUTE_PGM_RSRC2:SCRATCH_EN: 0
; COMPUTE_PGM_RSRC2:USER_SGPR: 2
; COMPUTE_PGM_RSRC2:TRAP_HANDLER: 0
; COMPUTE_PGM_RSRC2:TGID_X_EN: 1
; COMPUTE_PGM_RSRC2:TGID_Y_EN: 0
; COMPUTE_PGM_RSRC2:TGID_Z_EN: 0
; COMPUTE_PGM_RSRC2:TIDIG_COMP_CNT: 0
; COMPUTE_PGM_RSRC3_GFX90A:ACCUM_OFFSET: 0
; COMPUTE_PGM_RSRC3_GFX90A:TG_SPLIT: 0
	.section	.text._ZN7rocprim17ROCPRIM_400000_NS6detail17trampoline_kernelINS0_14default_configENS1_27scan_by_key_config_selectorIxxEEZZNS1_16scan_by_key_implILNS1_25lookback_scan_determinismE0ELb1ES3_N6thrust23THRUST_200600_302600_NS6detail15normal_iteratorINS9_10device_ptrIxEEEESE_SE_xNS9_4plusIvEENS9_8equal_toIvEExEE10hipError_tPvRmT2_T3_T4_T5_mT6_T7_P12ihipStream_tbENKUlT_T0_E_clISt17integral_constantIbLb1EESY_IbLb0EEEEDaSU_SV_EUlSU_E_NS1_11comp_targetILNS1_3genE0ELNS1_11target_archE4294967295ELNS1_3gpuE0ELNS1_3repE0EEENS1_30default_config_static_selectorELNS0_4arch9wavefront6targetE1EEEvT1_,"axG",@progbits,_ZN7rocprim17ROCPRIM_400000_NS6detail17trampoline_kernelINS0_14default_configENS1_27scan_by_key_config_selectorIxxEEZZNS1_16scan_by_key_implILNS1_25lookback_scan_determinismE0ELb1ES3_N6thrust23THRUST_200600_302600_NS6detail15normal_iteratorINS9_10device_ptrIxEEEESE_SE_xNS9_4plusIvEENS9_8equal_toIvEExEE10hipError_tPvRmT2_T3_T4_T5_mT6_T7_P12ihipStream_tbENKUlT_T0_E_clISt17integral_constantIbLb1EESY_IbLb0EEEEDaSU_SV_EUlSU_E_NS1_11comp_targetILNS1_3genE0ELNS1_11target_archE4294967295ELNS1_3gpuE0ELNS1_3repE0EEENS1_30default_config_static_selectorELNS0_4arch9wavefront6targetE1EEEvT1_,comdat
	.protected	_ZN7rocprim17ROCPRIM_400000_NS6detail17trampoline_kernelINS0_14default_configENS1_27scan_by_key_config_selectorIxxEEZZNS1_16scan_by_key_implILNS1_25lookback_scan_determinismE0ELb1ES3_N6thrust23THRUST_200600_302600_NS6detail15normal_iteratorINS9_10device_ptrIxEEEESE_SE_xNS9_4plusIvEENS9_8equal_toIvEExEE10hipError_tPvRmT2_T3_T4_T5_mT6_T7_P12ihipStream_tbENKUlT_T0_E_clISt17integral_constantIbLb1EESY_IbLb0EEEEDaSU_SV_EUlSU_E_NS1_11comp_targetILNS1_3genE0ELNS1_11target_archE4294967295ELNS1_3gpuE0ELNS1_3repE0EEENS1_30default_config_static_selectorELNS0_4arch9wavefront6targetE1EEEvT1_ ; -- Begin function _ZN7rocprim17ROCPRIM_400000_NS6detail17trampoline_kernelINS0_14default_configENS1_27scan_by_key_config_selectorIxxEEZZNS1_16scan_by_key_implILNS1_25lookback_scan_determinismE0ELb1ES3_N6thrust23THRUST_200600_302600_NS6detail15normal_iteratorINS9_10device_ptrIxEEEESE_SE_xNS9_4plusIvEENS9_8equal_toIvEExEE10hipError_tPvRmT2_T3_T4_T5_mT6_T7_P12ihipStream_tbENKUlT_T0_E_clISt17integral_constantIbLb1EESY_IbLb0EEEEDaSU_SV_EUlSU_E_NS1_11comp_targetILNS1_3genE0ELNS1_11target_archE4294967295ELNS1_3gpuE0ELNS1_3repE0EEENS1_30default_config_static_selectorELNS0_4arch9wavefront6targetE1EEEvT1_
	.globl	_ZN7rocprim17ROCPRIM_400000_NS6detail17trampoline_kernelINS0_14default_configENS1_27scan_by_key_config_selectorIxxEEZZNS1_16scan_by_key_implILNS1_25lookback_scan_determinismE0ELb1ES3_N6thrust23THRUST_200600_302600_NS6detail15normal_iteratorINS9_10device_ptrIxEEEESE_SE_xNS9_4plusIvEENS9_8equal_toIvEExEE10hipError_tPvRmT2_T3_T4_T5_mT6_T7_P12ihipStream_tbENKUlT_T0_E_clISt17integral_constantIbLb1EESY_IbLb0EEEEDaSU_SV_EUlSU_E_NS1_11comp_targetILNS1_3genE0ELNS1_11target_archE4294967295ELNS1_3gpuE0ELNS1_3repE0EEENS1_30default_config_static_selectorELNS0_4arch9wavefront6targetE1EEEvT1_
	.p2align	8
	.type	_ZN7rocprim17ROCPRIM_400000_NS6detail17trampoline_kernelINS0_14default_configENS1_27scan_by_key_config_selectorIxxEEZZNS1_16scan_by_key_implILNS1_25lookback_scan_determinismE0ELb1ES3_N6thrust23THRUST_200600_302600_NS6detail15normal_iteratorINS9_10device_ptrIxEEEESE_SE_xNS9_4plusIvEENS9_8equal_toIvEExEE10hipError_tPvRmT2_T3_T4_T5_mT6_T7_P12ihipStream_tbENKUlT_T0_E_clISt17integral_constantIbLb1EESY_IbLb0EEEEDaSU_SV_EUlSU_E_NS1_11comp_targetILNS1_3genE0ELNS1_11target_archE4294967295ELNS1_3gpuE0ELNS1_3repE0EEENS1_30default_config_static_selectorELNS0_4arch9wavefront6targetE1EEEvT1_,@function
_ZN7rocprim17ROCPRIM_400000_NS6detail17trampoline_kernelINS0_14default_configENS1_27scan_by_key_config_selectorIxxEEZZNS1_16scan_by_key_implILNS1_25lookback_scan_determinismE0ELb1ES3_N6thrust23THRUST_200600_302600_NS6detail15normal_iteratorINS9_10device_ptrIxEEEESE_SE_xNS9_4plusIvEENS9_8equal_toIvEExEE10hipError_tPvRmT2_T3_T4_T5_mT6_T7_P12ihipStream_tbENKUlT_T0_E_clISt17integral_constantIbLb1EESY_IbLb0EEEEDaSU_SV_EUlSU_E_NS1_11comp_targetILNS1_3genE0ELNS1_11target_archE4294967295ELNS1_3gpuE0ELNS1_3repE0EEENS1_30default_config_static_selectorELNS0_4arch9wavefront6targetE1EEEvT1_: ; @_ZN7rocprim17ROCPRIM_400000_NS6detail17trampoline_kernelINS0_14default_configENS1_27scan_by_key_config_selectorIxxEEZZNS1_16scan_by_key_implILNS1_25lookback_scan_determinismE0ELb1ES3_N6thrust23THRUST_200600_302600_NS6detail15normal_iteratorINS9_10device_ptrIxEEEESE_SE_xNS9_4plusIvEENS9_8equal_toIvEExEE10hipError_tPvRmT2_T3_T4_T5_mT6_T7_P12ihipStream_tbENKUlT_T0_E_clISt17integral_constantIbLb1EESY_IbLb0EEEEDaSU_SV_EUlSU_E_NS1_11comp_targetILNS1_3genE0ELNS1_11target_archE4294967295ELNS1_3gpuE0ELNS1_3repE0EEENS1_30default_config_static_selectorELNS0_4arch9wavefront6targetE1EEEvT1_
; %bb.0:
	.section	.rodata,"a",@progbits
	.p2align	6, 0x0
	.amdhsa_kernel _ZN7rocprim17ROCPRIM_400000_NS6detail17trampoline_kernelINS0_14default_configENS1_27scan_by_key_config_selectorIxxEEZZNS1_16scan_by_key_implILNS1_25lookback_scan_determinismE0ELb1ES3_N6thrust23THRUST_200600_302600_NS6detail15normal_iteratorINS9_10device_ptrIxEEEESE_SE_xNS9_4plusIvEENS9_8equal_toIvEExEE10hipError_tPvRmT2_T3_T4_T5_mT6_T7_P12ihipStream_tbENKUlT_T0_E_clISt17integral_constantIbLb1EESY_IbLb0EEEEDaSU_SV_EUlSU_E_NS1_11comp_targetILNS1_3genE0ELNS1_11target_archE4294967295ELNS1_3gpuE0ELNS1_3repE0EEENS1_30default_config_static_selectorELNS0_4arch9wavefront6targetE1EEEvT1_
		.amdhsa_group_segment_fixed_size 0
		.amdhsa_private_segment_fixed_size 0
		.amdhsa_kernarg_size 136
		.amdhsa_user_sgpr_count 2
		.amdhsa_user_sgpr_dispatch_ptr 0
		.amdhsa_user_sgpr_queue_ptr 0
		.amdhsa_user_sgpr_kernarg_segment_ptr 1
		.amdhsa_user_sgpr_dispatch_id 0
		.amdhsa_user_sgpr_kernarg_preload_length 0
		.amdhsa_user_sgpr_kernarg_preload_offset 0
		.amdhsa_user_sgpr_private_segment_size 0
		.amdhsa_uses_dynamic_stack 0
		.amdhsa_enable_private_segment 0
		.amdhsa_system_sgpr_workgroup_id_x 1
		.amdhsa_system_sgpr_workgroup_id_y 0
		.amdhsa_system_sgpr_workgroup_id_z 0
		.amdhsa_system_sgpr_workgroup_info 0
		.amdhsa_system_vgpr_workitem_id 0
		.amdhsa_next_free_vgpr 1
		.amdhsa_next_free_sgpr 0
		.amdhsa_accum_offset 4
		.amdhsa_reserve_vcc 0
		.amdhsa_float_round_mode_32 0
		.amdhsa_float_round_mode_16_64 0
		.amdhsa_float_denorm_mode_32 3
		.amdhsa_float_denorm_mode_16_64 3
		.amdhsa_dx10_clamp 1
		.amdhsa_ieee_mode 1
		.amdhsa_fp16_overflow 0
		.amdhsa_tg_split 0
		.amdhsa_exception_fp_ieee_invalid_op 0
		.amdhsa_exception_fp_denorm_src 0
		.amdhsa_exception_fp_ieee_div_zero 0
		.amdhsa_exception_fp_ieee_overflow 0
		.amdhsa_exception_fp_ieee_underflow 0
		.amdhsa_exception_fp_ieee_inexact 0
		.amdhsa_exception_int_div_zero 0
	.end_amdhsa_kernel
	.section	.text._ZN7rocprim17ROCPRIM_400000_NS6detail17trampoline_kernelINS0_14default_configENS1_27scan_by_key_config_selectorIxxEEZZNS1_16scan_by_key_implILNS1_25lookback_scan_determinismE0ELb1ES3_N6thrust23THRUST_200600_302600_NS6detail15normal_iteratorINS9_10device_ptrIxEEEESE_SE_xNS9_4plusIvEENS9_8equal_toIvEExEE10hipError_tPvRmT2_T3_T4_T5_mT6_T7_P12ihipStream_tbENKUlT_T0_E_clISt17integral_constantIbLb1EESY_IbLb0EEEEDaSU_SV_EUlSU_E_NS1_11comp_targetILNS1_3genE0ELNS1_11target_archE4294967295ELNS1_3gpuE0ELNS1_3repE0EEENS1_30default_config_static_selectorELNS0_4arch9wavefront6targetE1EEEvT1_,"axG",@progbits,_ZN7rocprim17ROCPRIM_400000_NS6detail17trampoline_kernelINS0_14default_configENS1_27scan_by_key_config_selectorIxxEEZZNS1_16scan_by_key_implILNS1_25lookback_scan_determinismE0ELb1ES3_N6thrust23THRUST_200600_302600_NS6detail15normal_iteratorINS9_10device_ptrIxEEEESE_SE_xNS9_4plusIvEENS9_8equal_toIvEExEE10hipError_tPvRmT2_T3_T4_T5_mT6_T7_P12ihipStream_tbENKUlT_T0_E_clISt17integral_constantIbLb1EESY_IbLb0EEEEDaSU_SV_EUlSU_E_NS1_11comp_targetILNS1_3genE0ELNS1_11target_archE4294967295ELNS1_3gpuE0ELNS1_3repE0EEENS1_30default_config_static_selectorELNS0_4arch9wavefront6targetE1EEEvT1_,comdat
.Lfunc_end371:
	.size	_ZN7rocprim17ROCPRIM_400000_NS6detail17trampoline_kernelINS0_14default_configENS1_27scan_by_key_config_selectorIxxEEZZNS1_16scan_by_key_implILNS1_25lookback_scan_determinismE0ELb1ES3_N6thrust23THRUST_200600_302600_NS6detail15normal_iteratorINS9_10device_ptrIxEEEESE_SE_xNS9_4plusIvEENS9_8equal_toIvEExEE10hipError_tPvRmT2_T3_T4_T5_mT6_T7_P12ihipStream_tbENKUlT_T0_E_clISt17integral_constantIbLb1EESY_IbLb0EEEEDaSU_SV_EUlSU_E_NS1_11comp_targetILNS1_3genE0ELNS1_11target_archE4294967295ELNS1_3gpuE0ELNS1_3repE0EEENS1_30default_config_static_selectorELNS0_4arch9wavefront6targetE1EEEvT1_, .Lfunc_end371-_ZN7rocprim17ROCPRIM_400000_NS6detail17trampoline_kernelINS0_14default_configENS1_27scan_by_key_config_selectorIxxEEZZNS1_16scan_by_key_implILNS1_25lookback_scan_determinismE0ELb1ES3_N6thrust23THRUST_200600_302600_NS6detail15normal_iteratorINS9_10device_ptrIxEEEESE_SE_xNS9_4plusIvEENS9_8equal_toIvEExEE10hipError_tPvRmT2_T3_T4_T5_mT6_T7_P12ihipStream_tbENKUlT_T0_E_clISt17integral_constantIbLb1EESY_IbLb0EEEEDaSU_SV_EUlSU_E_NS1_11comp_targetILNS1_3genE0ELNS1_11target_archE4294967295ELNS1_3gpuE0ELNS1_3repE0EEENS1_30default_config_static_selectorELNS0_4arch9wavefront6targetE1EEEvT1_
                                        ; -- End function
	.section	.AMDGPU.csdata,"",@progbits
; Kernel info:
; codeLenInByte = 0
; NumSgprs: 6
; NumVgprs: 0
; NumAgprs: 0
; TotalNumVgprs: 0
; ScratchSize: 0
; MemoryBound: 0
; FloatMode: 240
; IeeeMode: 1
; LDSByteSize: 0 bytes/workgroup (compile time only)
; SGPRBlocks: 0
; VGPRBlocks: 0
; NumSGPRsForWavesPerEU: 6
; NumVGPRsForWavesPerEU: 1
; AccumOffset: 4
; Occupancy: 8
; WaveLimiterHint : 0
; COMPUTE_PGM_RSRC2:SCRATCH_EN: 0
; COMPUTE_PGM_RSRC2:USER_SGPR: 2
; COMPUTE_PGM_RSRC2:TRAP_HANDLER: 0
; COMPUTE_PGM_RSRC2:TGID_X_EN: 1
; COMPUTE_PGM_RSRC2:TGID_Y_EN: 0
; COMPUTE_PGM_RSRC2:TGID_Z_EN: 0
; COMPUTE_PGM_RSRC2:TIDIG_COMP_CNT: 0
; COMPUTE_PGM_RSRC3_GFX90A:ACCUM_OFFSET: 0
; COMPUTE_PGM_RSRC3_GFX90A:TG_SPLIT: 0
	.section	.text._ZN7rocprim17ROCPRIM_400000_NS6detail17trampoline_kernelINS0_14default_configENS1_27scan_by_key_config_selectorIxxEEZZNS1_16scan_by_key_implILNS1_25lookback_scan_determinismE0ELb1ES3_N6thrust23THRUST_200600_302600_NS6detail15normal_iteratorINS9_10device_ptrIxEEEESE_SE_xNS9_4plusIvEENS9_8equal_toIvEExEE10hipError_tPvRmT2_T3_T4_T5_mT6_T7_P12ihipStream_tbENKUlT_T0_E_clISt17integral_constantIbLb1EESY_IbLb0EEEEDaSU_SV_EUlSU_E_NS1_11comp_targetILNS1_3genE10ELNS1_11target_archE1201ELNS1_3gpuE5ELNS1_3repE0EEENS1_30default_config_static_selectorELNS0_4arch9wavefront6targetE1EEEvT1_,"axG",@progbits,_ZN7rocprim17ROCPRIM_400000_NS6detail17trampoline_kernelINS0_14default_configENS1_27scan_by_key_config_selectorIxxEEZZNS1_16scan_by_key_implILNS1_25lookback_scan_determinismE0ELb1ES3_N6thrust23THRUST_200600_302600_NS6detail15normal_iteratorINS9_10device_ptrIxEEEESE_SE_xNS9_4plusIvEENS9_8equal_toIvEExEE10hipError_tPvRmT2_T3_T4_T5_mT6_T7_P12ihipStream_tbENKUlT_T0_E_clISt17integral_constantIbLb1EESY_IbLb0EEEEDaSU_SV_EUlSU_E_NS1_11comp_targetILNS1_3genE10ELNS1_11target_archE1201ELNS1_3gpuE5ELNS1_3repE0EEENS1_30default_config_static_selectorELNS0_4arch9wavefront6targetE1EEEvT1_,comdat
	.protected	_ZN7rocprim17ROCPRIM_400000_NS6detail17trampoline_kernelINS0_14default_configENS1_27scan_by_key_config_selectorIxxEEZZNS1_16scan_by_key_implILNS1_25lookback_scan_determinismE0ELb1ES3_N6thrust23THRUST_200600_302600_NS6detail15normal_iteratorINS9_10device_ptrIxEEEESE_SE_xNS9_4plusIvEENS9_8equal_toIvEExEE10hipError_tPvRmT2_T3_T4_T5_mT6_T7_P12ihipStream_tbENKUlT_T0_E_clISt17integral_constantIbLb1EESY_IbLb0EEEEDaSU_SV_EUlSU_E_NS1_11comp_targetILNS1_3genE10ELNS1_11target_archE1201ELNS1_3gpuE5ELNS1_3repE0EEENS1_30default_config_static_selectorELNS0_4arch9wavefront6targetE1EEEvT1_ ; -- Begin function _ZN7rocprim17ROCPRIM_400000_NS6detail17trampoline_kernelINS0_14default_configENS1_27scan_by_key_config_selectorIxxEEZZNS1_16scan_by_key_implILNS1_25lookback_scan_determinismE0ELb1ES3_N6thrust23THRUST_200600_302600_NS6detail15normal_iteratorINS9_10device_ptrIxEEEESE_SE_xNS9_4plusIvEENS9_8equal_toIvEExEE10hipError_tPvRmT2_T3_T4_T5_mT6_T7_P12ihipStream_tbENKUlT_T0_E_clISt17integral_constantIbLb1EESY_IbLb0EEEEDaSU_SV_EUlSU_E_NS1_11comp_targetILNS1_3genE10ELNS1_11target_archE1201ELNS1_3gpuE5ELNS1_3repE0EEENS1_30default_config_static_selectorELNS0_4arch9wavefront6targetE1EEEvT1_
	.globl	_ZN7rocprim17ROCPRIM_400000_NS6detail17trampoline_kernelINS0_14default_configENS1_27scan_by_key_config_selectorIxxEEZZNS1_16scan_by_key_implILNS1_25lookback_scan_determinismE0ELb1ES3_N6thrust23THRUST_200600_302600_NS6detail15normal_iteratorINS9_10device_ptrIxEEEESE_SE_xNS9_4plusIvEENS9_8equal_toIvEExEE10hipError_tPvRmT2_T3_T4_T5_mT6_T7_P12ihipStream_tbENKUlT_T0_E_clISt17integral_constantIbLb1EESY_IbLb0EEEEDaSU_SV_EUlSU_E_NS1_11comp_targetILNS1_3genE10ELNS1_11target_archE1201ELNS1_3gpuE5ELNS1_3repE0EEENS1_30default_config_static_selectorELNS0_4arch9wavefront6targetE1EEEvT1_
	.p2align	8
	.type	_ZN7rocprim17ROCPRIM_400000_NS6detail17trampoline_kernelINS0_14default_configENS1_27scan_by_key_config_selectorIxxEEZZNS1_16scan_by_key_implILNS1_25lookback_scan_determinismE0ELb1ES3_N6thrust23THRUST_200600_302600_NS6detail15normal_iteratorINS9_10device_ptrIxEEEESE_SE_xNS9_4plusIvEENS9_8equal_toIvEExEE10hipError_tPvRmT2_T3_T4_T5_mT6_T7_P12ihipStream_tbENKUlT_T0_E_clISt17integral_constantIbLb1EESY_IbLb0EEEEDaSU_SV_EUlSU_E_NS1_11comp_targetILNS1_3genE10ELNS1_11target_archE1201ELNS1_3gpuE5ELNS1_3repE0EEENS1_30default_config_static_selectorELNS0_4arch9wavefront6targetE1EEEvT1_,@function
_ZN7rocprim17ROCPRIM_400000_NS6detail17trampoline_kernelINS0_14default_configENS1_27scan_by_key_config_selectorIxxEEZZNS1_16scan_by_key_implILNS1_25lookback_scan_determinismE0ELb1ES3_N6thrust23THRUST_200600_302600_NS6detail15normal_iteratorINS9_10device_ptrIxEEEESE_SE_xNS9_4plusIvEENS9_8equal_toIvEExEE10hipError_tPvRmT2_T3_T4_T5_mT6_T7_P12ihipStream_tbENKUlT_T0_E_clISt17integral_constantIbLb1EESY_IbLb0EEEEDaSU_SV_EUlSU_E_NS1_11comp_targetILNS1_3genE10ELNS1_11target_archE1201ELNS1_3gpuE5ELNS1_3repE0EEENS1_30default_config_static_selectorELNS0_4arch9wavefront6targetE1EEEvT1_: ; @_ZN7rocprim17ROCPRIM_400000_NS6detail17trampoline_kernelINS0_14default_configENS1_27scan_by_key_config_selectorIxxEEZZNS1_16scan_by_key_implILNS1_25lookback_scan_determinismE0ELb1ES3_N6thrust23THRUST_200600_302600_NS6detail15normal_iteratorINS9_10device_ptrIxEEEESE_SE_xNS9_4plusIvEENS9_8equal_toIvEExEE10hipError_tPvRmT2_T3_T4_T5_mT6_T7_P12ihipStream_tbENKUlT_T0_E_clISt17integral_constantIbLb1EESY_IbLb0EEEEDaSU_SV_EUlSU_E_NS1_11comp_targetILNS1_3genE10ELNS1_11target_archE1201ELNS1_3gpuE5ELNS1_3repE0EEENS1_30default_config_static_selectorELNS0_4arch9wavefront6targetE1EEEvT1_
; %bb.0:
	.section	.rodata,"a",@progbits
	.p2align	6, 0x0
	.amdhsa_kernel _ZN7rocprim17ROCPRIM_400000_NS6detail17trampoline_kernelINS0_14default_configENS1_27scan_by_key_config_selectorIxxEEZZNS1_16scan_by_key_implILNS1_25lookback_scan_determinismE0ELb1ES3_N6thrust23THRUST_200600_302600_NS6detail15normal_iteratorINS9_10device_ptrIxEEEESE_SE_xNS9_4plusIvEENS9_8equal_toIvEExEE10hipError_tPvRmT2_T3_T4_T5_mT6_T7_P12ihipStream_tbENKUlT_T0_E_clISt17integral_constantIbLb1EESY_IbLb0EEEEDaSU_SV_EUlSU_E_NS1_11comp_targetILNS1_3genE10ELNS1_11target_archE1201ELNS1_3gpuE5ELNS1_3repE0EEENS1_30default_config_static_selectorELNS0_4arch9wavefront6targetE1EEEvT1_
		.amdhsa_group_segment_fixed_size 0
		.amdhsa_private_segment_fixed_size 0
		.amdhsa_kernarg_size 136
		.amdhsa_user_sgpr_count 2
		.amdhsa_user_sgpr_dispatch_ptr 0
		.amdhsa_user_sgpr_queue_ptr 0
		.amdhsa_user_sgpr_kernarg_segment_ptr 1
		.amdhsa_user_sgpr_dispatch_id 0
		.amdhsa_user_sgpr_kernarg_preload_length 0
		.amdhsa_user_sgpr_kernarg_preload_offset 0
		.amdhsa_user_sgpr_private_segment_size 0
		.amdhsa_uses_dynamic_stack 0
		.amdhsa_enable_private_segment 0
		.amdhsa_system_sgpr_workgroup_id_x 1
		.amdhsa_system_sgpr_workgroup_id_y 0
		.amdhsa_system_sgpr_workgroup_id_z 0
		.amdhsa_system_sgpr_workgroup_info 0
		.amdhsa_system_vgpr_workitem_id 0
		.amdhsa_next_free_vgpr 1
		.amdhsa_next_free_sgpr 0
		.amdhsa_accum_offset 4
		.amdhsa_reserve_vcc 0
		.amdhsa_float_round_mode_32 0
		.amdhsa_float_round_mode_16_64 0
		.amdhsa_float_denorm_mode_32 3
		.amdhsa_float_denorm_mode_16_64 3
		.amdhsa_dx10_clamp 1
		.amdhsa_ieee_mode 1
		.amdhsa_fp16_overflow 0
		.amdhsa_tg_split 0
		.amdhsa_exception_fp_ieee_invalid_op 0
		.amdhsa_exception_fp_denorm_src 0
		.amdhsa_exception_fp_ieee_div_zero 0
		.amdhsa_exception_fp_ieee_overflow 0
		.amdhsa_exception_fp_ieee_underflow 0
		.amdhsa_exception_fp_ieee_inexact 0
		.amdhsa_exception_int_div_zero 0
	.end_amdhsa_kernel
	.section	.text._ZN7rocprim17ROCPRIM_400000_NS6detail17trampoline_kernelINS0_14default_configENS1_27scan_by_key_config_selectorIxxEEZZNS1_16scan_by_key_implILNS1_25lookback_scan_determinismE0ELb1ES3_N6thrust23THRUST_200600_302600_NS6detail15normal_iteratorINS9_10device_ptrIxEEEESE_SE_xNS9_4plusIvEENS9_8equal_toIvEExEE10hipError_tPvRmT2_T3_T4_T5_mT6_T7_P12ihipStream_tbENKUlT_T0_E_clISt17integral_constantIbLb1EESY_IbLb0EEEEDaSU_SV_EUlSU_E_NS1_11comp_targetILNS1_3genE10ELNS1_11target_archE1201ELNS1_3gpuE5ELNS1_3repE0EEENS1_30default_config_static_selectorELNS0_4arch9wavefront6targetE1EEEvT1_,"axG",@progbits,_ZN7rocprim17ROCPRIM_400000_NS6detail17trampoline_kernelINS0_14default_configENS1_27scan_by_key_config_selectorIxxEEZZNS1_16scan_by_key_implILNS1_25lookback_scan_determinismE0ELb1ES3_N6thrust23THRUST_200600_302600_NS6detail15normal_iteratorINS9_10device_ptrIxEEEESE_SE_xNS9_4plusIvEENS9_8equal_toIvEExEE10hipError_tPvRmT2_T3_T4_T5_mT6_T7_P12ihipStream_tbENKUlT_T0_E_clISt17integral_constantIbLb1EESY_IbLb0EEEEDaSU_SV_EUlSU_E_NS1_11comp_targetILNS1_3genE10ELNS1_11target_archE1201ELNS1_3gpuE5ELNS1_3repE0EEENS1_30default_config_static_selectorELNS0_4arch9wavefront6targetE1EEEvT1_,comdat
.Lfunc_end372:
	.size	_ZN7rocprim17ROCPRIM_400000_NS6detail17trampoline_kernelINS0_14default_configENS1_27scan_by_key_config_selectorIxxEEZZNS1_16scan_by_key_implILNS1_25lookback_scan_determinismE0ELb1ES3_N6thrust23THRUST_200600_302600_NS6detail15normal_iteratorINS9_10device_ptrIxEEEESE_SE_xNS9_4plusIvEENS9_8equal_toIvEExEE10hipError_tPvRmT2_T3_T4_T5_mT6_T7_P12ihipStream_tbENKUlT_T0_E_clISt17integral_constantIbLb1EESY_IbLb0EEEEDaSU_SV_EUlSU_E_NS1_11comp_targetILNS1_3genE10ELNS1_11target_archE1201ELNS1_3gpuE5ELNS1_3repE0EEENS1_30default_config_static_selectorELNS0_4arch9wavefront6targetE1EEEvT1_, .Lfunc_end372-_ZN7rocprim17ROCPRIM_400000_NS6detail17trampoline_kernelINS0_14default_configENS1_27scan_by_key_config_selectorIxxEEZZNS1_16scan_by_key_implILNS1_25lookback_scan_determinismE0ELb1ES3_N6thrust23THRUST_200600_302600_NS6detail15normal_iteratorINS9_10device_ptrIxEEEESE_SE_xNS9_4plusIvEENS9_8equal_toIvEExEE10hipError_tPvRmT2_T3_T4_T5_mT6_T7_P12ihipStream_tbENKUlT_T0_E_clISt17integral_constantIbLb1EESY_IbLb0EEEEDaSU_SV_EUlSU_E_NS1_11comp_targetILNS1_3genE10ELNS1_11target_archE1201ELNS1_3gpuE5ELNS1_3repE0EEENS1_30default_config_static_selectorELNS0_4arch9wavefront6targetE1EEEvT1_
                                        ; -- End function
	.section	.AMDGPU.csdata,"",@progbits
; Kernel info:
; codeLenInByte = 0
; NumSgprs: 6
; NumVgprs: 0
; NumAgprs: 0
; TotalNumVgprs: 0
; ScratchSize: 0
; MemoryBound: 0
; FloatMode: 240
; IeeeMode: 1
; LDSByteSize: 0 bytes/workgroup (compile time only)
; SGPRBlocks: 0
; VGPRBlocks: 0
; NumSGPRsForWavesPerEU: 6
; NumVGPRsForWavesPerEU: 1
; AccumOffset: 4
; Occupancy: 8
; WaveLimiterHint : 0
; COMPUTE_PGM_RSRC2:SCRATCH_EN: 0
; COMPUTE_PGM_RSRC2:USER_SGPR: 2
; COMPUTE_PGM_RSRC2:TRAP_HANDLER: 0
; COMPUTE_PGM_RSRC2:TGID_X_EN: 1
; COMPUTE_PGM_RSRC2:TGID_Y_EN: 0
; COMPUTE_PGM_RSRC2:TGID_Z_EN: 0
; COMPUTE_PGM_RSRC2:TIDIG_COMP_CNT: 0
; COMPUTE_PGM_RSRC3_GFX90A:ACCUM_OFFSET: 0
; COMPUTE_PGM_RSRC3_GFX90A:TG_SPLIT: 0
	.section	.text._ZN7rocprim17ROCPRIM_400000_NS6detail17trampoline_kernelINS0_14default_configENS1_27scan_by_key_config_selectorIxxEEZZNS1_16scan_by_key_implILNS1_25lookback_scan_determinismE0ELb1ES3_N6thrust23THRUST_200600_302600_NS6detail15normal_iteratorINS9_10device_ptrIxEEEESE_SE_xNS9_4plusIvEENS9_8equal_toIvEExEE10hipError_tPvRmT2_T3_T4_T5_mT6_T7_P12ihipStream_tbENKUlT_T0_E_clISt17integral_constantIbLb1EESY_IbLb0EEEEDaSU_SV_EUlSU_E_NS1_11comp_targetILNS1_3genE5ELNS1_11target_archE942ELNS1_3gpuE9ELNS1_3repE0EEENS1_30default_config_static_selectorELNS0_4arch9wavefront6targetE1EEEvT1_,"axG",@progbits,_ZN7rocprim17ROCPRIM_400000_NS6detail17trampoline_kernelINS0_14default_configENS1_27scan_by_key_config_selectorIxxEEZZNS1_16scan_by_key_implILNS1_25lookback_scan_determinismE0ELb1ES3_N6thrust23THRUST_200600_302600_NS6detail15normal_iteratorINS9_10device_ptrIxEEEESE_SE_xNS9_4plusIvEENS9_8equal_toIvEExEE10hipError_tPvRmT2_T3_T4_T5_mT6_T7_P12ihipStream_tbENKUlT_T0_E_clISt17integral_constantIbLb1EESY_IbLb0EEEEDaSU_SV_EUlSU_E_NS1_11comp_targetILNS1_3genE5ELNS1_11target_archE942ELNS1_3gpuE9ELNS1_3repE0EEENS1_30default_config_static_selectorELNS0_4arch9wavefront6targetE1EEEvT1_,comdat
	.protected	_ZN7rocprim17ROCPRIM_400000_NS6detail17trampoline_kernelINS0_14default_configENS1_27scan_by_key_config_selectorIxxEEZZNS1_16scan_by_key_implILNS1_25lookback_scan_determinismE0ELb1ES3_N6thrust23THRUST_200600_302600_NS6detail15normal_iteratorINS9_10device_ptrIxEEEESE_SE_xNS9_4plusIvEENS9_8equal_toIvEExEE10hipError_tPvRmT2_T3_T4_T5_mT6_T7_P12ihipStream_tbENKUlT_T0_E_clISt17integral_constantIbLb1EESY_IbLb0EEEEDaSU_SV_EUlSU_E_NS1_11comp_targetILNS1_3genE5ELNS1_11target_archE942ELNS1_3gpuE9ELNS1_3repE0EEENS1_30default_config_static_selectorELNS0_4arch9wavefront6targetE1EEEvT1_ ; -- Begin function _ZN7rocprim17ROCPRIM_400000_NS6detail17trampoline_kernelINS0_14default_configENS1_27scan_by_key_config_selectorIxxEEZZNS1_16scan_by_key_implILNS1_25lookback_scan_determinismE0ELb1ES3_N6thrust23THRUST_200600_302600_NS6detail15normal_iteratorINS9_10device_ptrIxEEEESE_SE_xNS9_4plusIvEENS9_8equal_toIvEExEE10hipError_tPvRmT2_T3_T4_T5_mT6_T7_P12ihipStream_tbENKUlT_T0_E_clISt17integral_constantIbLb1EESY_IbLb0EEEEDaSU_SV_EUlSU_E_NS1_11comp_targetILNS1_3genE5ELNS1_11target_archE942ELNS1_3gpuE9ELNS1_3repE0EEENS1_30default_config_static_selectorELNS0_4arch9wavefront6targetE1EEEvT1_
	.globl	_ZN7rocprim17ROCPRIM_400000_NS6detail17trampoline_kernelINS0_14default_configENS1_27scan_by_key_config_selectorIxxEEZZNS1_16scan_by_key_implILNS1_25lookback_scan_determinismE0ELb1ES3_N6thrust23THRUST_200600_302600_NS6detail15normal_iteratorINS9_10device_ptrIxEEEESE_SE_xNS9_4plusIvEENS9_8equal_toIvEExEE10hipError_tPvRmT2_T3_T4_T5_mT6_T7_P12ihipStream_tbENKUlT_T0_E_clISt17integral_constantIbLb1EESY_IbLb0EEEEDaSU_SV_EUlSU_E_NS1_11comp_targetILNS1_3genE5ELNS1_11target_archE942ELNS1_3gpuE9ELNS1_3repE0EEENS1_30default_config_static_selectorELNS0_4arch9wavefront6targetE1EEEvT1_
	.p2align	8
	.type	_ZN7rocprim17ROCPRIM_400000_NS6detail17trampoline_kernelINS0_14default_configENS1_27scan_by_key_config_selectorIxxEEZZNS1_16scan_by_key_implILNS1_25lookback_scan_determinismE0ELb1ES3_N6thrust23THRUST_200600_302600_NS6detail15normal_iteratorINS9_10device_ptrIxEEEESE_SE_xNS9_4plusIvEENS9_8equal_toIvEExEE10hipError_tPvRmT2_T3_T4_T5_mT6_T7_P12ihipStream_tbENKUlT_T0_E_clISt17integral_constantIbLb1EESY_IbLb0EEEEDaSU_SV_EUlSU_E_NS1_11comp_targetILNS1_3genE5ELNS1_11target_archE942ELNS1_3gpuE9ELNS1_3repE0EEENS1_30default_config_static_selectorELNS0_4arch9wavefront6targetE1EEEvT1_,@function
_ZN7rocprim17ROCPRIM_400000_NS6detail17trampoline_kernelINS0_14default_configENS1_27scan_by_key_config_selectorIxxEEZZNS1_16scan_by_key_implILNS1_25lookback_scan_determinismE0ELb1ES3_N6thrust23THRUST_200600_302600_NS6detail15normal_iteratorINS9_10device_ptrIxEEEESE_SE_xNS9_4plusIvEENS9_8equal_toIvEExEE10hipError_tPvRmT2_T3_T4_T5_mT6_T7_P12ihipStream_tbENKUlT_T0_E_clISt17integral_constantIbLb1EESY_IbLb0EEEEDaSU_SV_EUlSU_E_NS1_11comp_targetILNS1_3genE5ELNS1_11target_archE942ELNS1_3gpuE9ELNS1_3repE0EEENS1_30default_config_static_selectorELNS0_4arch9wavefront6targetE1EEEvT1_: ; @_ZN7rocprim17ROCPRIM_400000_NS6detail17trampoline_kernelINS0_14default_configENS1_27scan_by_key_config_selectorIxxEEZZNS1_16scan_by_key_implILNS1_25lookback_scan_determinismE0ELb1ES3_N6thrust23THRUST_200600_302600_NS6detail15normal_iteratorINS9_10device_ptrIxEEEESE_SE_xNS9_4plusIvEENS9_8equal_toIvEExEE10hipError_tPvRmT2_T3_T4_T5_mT6_T7_P12ihipStream_tbENKUlT_T0_E_clISt17integral_constantIbLb1EESY_IbLb0EEEEDaSU_SV_EUlSU_E_NS1_11comp_targetILNS1_3genE5ELNS1_11target_archE942ELNS1_3gpuE9ELNS1_3repE0EEENS1_30default_config_static_selectorELNS0_4arch9wavefront6targetE1EEEvT1_
; %bb.0:
	s_load_dwordx8 s[44:51], s[0:1], 0x0
	s_load_dwordx2 s[56:57], s[0:1], 0x20
	s_load_dwordx8 s[36:43], s[0:1], 0x30
	s_load_dwordx2 s[58:59], s[0:1], 0x50
	s_load_dword s3, s[0:1], 0x58
	s_load_dwordx4 s[52:55], s[0:1], 0x60
	s_waitcnt lgkmcnt(0)
	s_lshl_b64 s[34:35], s[46:47], 3
	s_add_u32 s4, s44, s34
	s_addc_u32 s5, s45, s35
	s_add_u32 s6, s48, s34
	s_mul_i32 s0, s59, s3
	s_mul_hi_u32 s1, s58, s3
	s_addc_u32 s7, s49, s35
	s_add_i32 s8, s1, s0
	s_mul_i32 s0, s2, 0xe00
	s_mov_b32 s1, 0
	s_lshl_b64 s[44:45], s[0:1], 3
	s_add_u32 s48, s4, s44
	s_addc_u32 s49, s5, s45
	s_add_u32 s46, s6, s44
	s_mul_i32 s3, s58, s3
	s_addc_u32 s47, s7, s45
	s_add_u32 s0, s3, s2
	s_addc_u32 s1, s8, 0
	s_add_u32 s6, s52, -1
	s_addc_u32 s7, s53, -1
	v_mov_b64_e32 v[2:3], s[6:7]
	v_cmp_ge_u64_e64 s[0:1], s[0:1], v[2:3]
	s_mov_b64 s[4:5], -1
	s_and_b64 vcc, exec, s[0:1]
	s_mul_i32 s33, s6, 0xfffff200
	s_barrier
	s_cbranch_vccz .LBB373_76
; %bb.1:
	v_mov_b64_e32 v[2:3], s[48:49]
	flat_load_dwordx2 v[2:3], v[2:3]
	s_add_i32 s43, s33, s42
	v_cmp_gt_u32_e32 vcc, s43, v0
	s_waitcnt vmcnt(0) lgkmcnt(0)
	v_mov_b64_e32 v[4:5], v[2:3]
	s_and_saveexec_b64 s[4:5], vcc
	s_cbranch_execz .LBB373_3
; %bb.2:
	v_lshlrev_b32_e32 v4, 3, v0
	v_mov_b32_e32 v5, 0
	v_lshl_add_u64 v[4:5], s[48:49], 0, v[4:5]
	flat_load_dwordx2 v[4:5], v[4:5]
.LBB373_3:
	s_or_b64 exec, exec, s[4:5]
	v_or_b32_e32 v1, 0x100, v0
	v_cmp_gt_u32_e64 s[28:29], s43, v1
	v_mov_b64_e32 v[6:7], v[2:3]
	s_and_saveexec_b64 s[4:5], s[28:29]
	s_cbranch_execz .LBB373_5
; %bb.4:
	v_lshlrev_b32_e32 v6, 3, v0
	v_mov_b32_e32 v7, 0
	v_lshl_add_u64 v[6:7], s[48:49], 0, v[6:7]
	flat_load_dwordx2 v[6:7], v[6:7] offset:2048
.LBB373_5:
	s_or_b64 exec, exec, s[4:5]
	v_or_b32_e32 v1, 0x200, v0
	v_cmp_gt_u32_e64 s[4:5], s43, v1
	v_mov_b64_e32 v[8:9], v[2:3]
	s_and_saveexec_b64 s[6:7], s[4:5]
	s_cbranch_execz .LBB373_7
; %bb.6:
	v_lshlrev_b32_e32 v8, 3, v1
	v_mov_b32_e32 v9, 0
	v_lshl_add_u64 v[8:9], s[48:49], 0, v[8:9]
	flat_load_dwordx2 v[8:9], v[8:9]
.LBB373_7:
	s_or_b64 exec, exec, s[6:7]
	v_or_b32_e32 v40, 0x300, v0
	v_cmp_gt_u32_e64 s[6:7], s43, v40
	v_mov_b64_e32 v[10:11], v[2:3]
	s_and_saveexec_b64 s[8:9], s[6:7]
	s_cbranch_execz .LBB373_9
; %bb.8:
	v_lshlrev_b32_e32 v10, 3, v40
	v_mov_b32_e32 v11, 0
	v_lshl_add_u64 v[10:11], s[48:49], 0, v[10:11]
	flat_load_dwordx2 v[10:11], v[10:11]
.LBB373_9:
	;; [unrolled: 12-line block ×11, first 2 shown]
	s_or_b64 exec, exec, s[26:27]
	v_or_b32_e32 v64, 0xd00, v0
	v_cmp_gt_u32_e64 s[26:27], s43, v64
	s_and_saveexec_b64 s[30:31], s[26:27]
	s_cbranch_execz .LBB373_29
; %bb.28:
	v_lshlrev_b32_e32 v2, 3, v64
	v_mov_b32_e32 v3, 0
	v_lshl_add_u64 v[2:3], s[48:49], 0, v[2:3]
	flat_load_dwordx2 v[2:3], v[2:3]
.LBB373_29:
	s_or_b64 exec, exec, s[30:31]
	v_lshlrev_b32_e32 v30, 3, v0
	s_waitcnt vmcnt(0) lgkmcnt(0)
	ds_write2st64_b64 v30, v[4:5], v[6:7] offset1:4
	ds_write2st64_b64 v30, v[8:9], v[10:11] offset0:8 offset1:12
	ds_write2st64_b64 v30, v[12:13], v[14:15] offset0:16 offset1:20
	;; [unrolled: 1-line block ×6, first 2 shown]
	v_mov_b64_e32 v[2:3], s[48:49]
	s_waitcnt lgkmcnt(0)
	s_barrier
	flat_load_dwordx2 v[58:59], v[2:3]
	s_movk_i32 s3, 0x68
	v_mad_u32_u24 v62, v0, s3, v30
	s_movk_i32 s3, 0xff98
	v_mad_i32_i24 v31, v0, s3, v62
	s_movk_i32 s3, 0xff
	v_cmp_ne_u32_e64 s[30:31], s3, v0
	ds_read_b128 v[26:29], v62
	ds_read_b128 v[22:25], v62 offset:16
	ds_read_b128 v[18:21], v62 offset:32
	;; [unrolled: 1-line block ×6, first 2 shown]
	s_waitcnt lgkmcnt(0)
	ds_write_b64 v31, v[26:27] offset:30720
	s_waitcnt lgkmcnt(0)
	s_barrier
	s_and_saveexec_b64 s[52:53], s[30:31]
	s_cbranch_execz .LBB373_31
; %bb.30:
	s_waitcnt vmcnt(0)
	ds_read_b64 v[58:59], v30 offset:30728
.LBB373_31:
	s_or_b64 exec, exec, s[52:53]
	v_mov_b32_e32 v31, 0
	s_waitcnt lgkmcnt(0)
	s_barrier
	s_waitcnt lgkmcnt(0)
                                        ; implicit-def: $vgpr32_vgpr33
	s_and_saveexec_b64 s[30:31], vcc
	s_cbranch_execz .LBB373_155
; %bb.32:
	v_lshl_add_u64 v[32:33], s[46:47], 0, v[30:31]
	flat_load_dwordx2 v[32:33], v[32:33]
	s_or_b64 exec, exec, s[30:31]
                                        ; implicit-def: $vgpr34_vgpr35
	s_and_saveexec_b64 s[30:31], s[28:29]
	s_cbranch_execnz .LBB373_156
.LBB373_33:
	s_or_b64 exec, exec, s[30:31]
                                        ; implicit-def: $vgpr36_vgpr37
	s_and_saveexec_b64 s[28:29], s[4:5]
	s_cbranch_execz .LBB373_157
.LBB373_34:
	v_lshlrev_b32_e32 v36, 3, v1
	v_mov_b32_e32 v37, 0
	v_lshl_add_u64 v[36:37], s[46:47], 0, v[36:37]
	flat_load_dwordx2 v[36:37], v[36:37]
	s_or_b64 exec, exec, s[28:29]
                                        ; implicit-def: $vgpr38_vgpr39
	s_and_saveexec_b64 s[4:5], s[6:7]
	s_cbranch_execnz .LBB373_158
.LBB373_35:
	s_or_b64 exec, exec, s[4:5]
                                        ; implicit-def: $vgpr40_vgpr41
	s_and_saveexec_b64 s[4:5], s[8:9]
	s_cbranch_execz .LBB373_159
.LBB373_36:
	v_lshlrev_b32_e32 v40, 3, v42
	v_mov_b32_e32 v41, 0
	v_lshl_add_u64 v[40:41], s[46:47], 0, v[40:41]
	flat_load_dwordx2 v[40:41], v[40:41]
	s_or_b64 exec, exec, s[4:5]
                                        ; implicit-def: $vgpr42_vgpr43
	s_and_saveexec_b64 s[4:5], s[10:11]
	s_cbranch_execnz .LBB373_160
.LBB373_37:
	s_or_b64 exec, exec, s[4:5]
                                        ; implicit-def: $vgpr44_vgpr45
	s_and_saveexec_b64 s[4:5], s[12:13]
	s_cbranch_execz .LBB373_161
.LBB373_38:
	v_lshlrev_b32_e32 v44, 3, v46
	v_mov_b32_e32 v45, 0
	v_lshl_add_u64 v[44:45], s[46:47], 0, v[44:45]
	flat_load_dwordx2 v[44:45], v[44:45]
	s_or_b64 exec, exec, s[4:5]
                                        ; implicit-def: $vgpr46_vgpr47
	s_and_saveexec_b64 s[4:5], s[14:15]
	s_cbranch_execnz .LBB373_162
.LBB373_39:
	s_or_b64 exec, exec, s[4:5]
                                        ; implicit-def: $vgpr48_vgpr49
	s_and_saveexec_b64 s[4:5], s[16:17]
	s_cbranch_execz .LBB373_163
.LBB373_40:
	v_lshlrev_b32_e32 v48, 3, v50
	v_mov_b32_e32 v49, 0
	v_lshl_add_u64 v[48:49], s[46:47], 0, v[48:49]
	flat_load_dwordx2 v[48:49], v[48:49]
	s_or_b64 exec, exec, s[4:5]
                                        ; implicit-def: $vgpr50_vgpr51
	s_and_saveexec_b64 s[4:5], s[18:19]
	s_cbranch_execnz .LBB373_164
.LBB373_41:
	s_or_b64 exec, exec, s[4:5]
                                        ; implicit-def: $vgpr52_vgpr53
	s_and_saveexec_b64 s[4:5], s[20:21]
	s_cbranch_execz .LBB373_165
.LBB373_42:
	v_lshlrev_b32_e32 v52, 3, v54
	v_mov_b32_e32 v53, 0
	v_lshl_add_u64 v[52:53], s[46:47], 0, v[52:53]
	flat_load_dwordx2 v[52:53], v[52:53]
	s_or_b64 exec, exec, s[4:5]
                                        ; implicit-def: $vgpr54_vgpr55
	s_and_saveexec_b64 s[4:5], s[22:23]
	s_cbranch_execnz .LBB373_166
.LBB373_43:
	s_or_b64 exec, exec, s[4:5]
                                        ; implicit-def: $vgpr56_vgpr57
	s_and_saveexec_b64 s[4:5], s[24:25]
	s_cbranch_execz .LBB373_45
.LBB373_44:
	v_lshlrev_b32_e32 v56, 3, v60
	v_mov_b32_e32 v57, 0
	v_lshl_add_u64 v[56:57], s[46:47], 0, v[56:57]
	flat_load_dwordx2 v[56:57], v[56:57]
.LBB373_45:
	s_or_b64 exec, exec, s[4:5]
	v_mul_u32_u24_e32 v63, 14, v0
                                        ; implicit-def: $vgpr60_vgpr61
	s_and_saveexec_b64 s[4:5], s[26:27]
	s_cbranch_execz .LBB373_47
; %bb.46:
	v_lshlrev_b32_e32 v60, 3, v64
	v_mov_b32_e32 v61, 0
	v_lshl_add_u64 v[60:61], s[46:47], 0, v[60:61]
	flat_load_dwordx2 v[60:61], v[60:61]
.LBB373_47:
	s_or_b64 exec, exec, s[4:5]
	s_waitcnt vmcnt(0) lgkmcnt(0)
	ds_write2st64_b64 v30, v[32:33], v[34:35] offset1:4
	ds_write2st64_b64 v30, v[36:37], v[38:39] offset0:8 offset1:12
	ds_write2st64_b64 v30, v[40:41], v[42:43] offset0:16 offset1:20
	;; [unrolled: 1-line block ×6, first 2 shown]
	v_mov_b64_e32 v[54:55], 0
	v_cmp_gt_u32_e32 vcc, s43, v63
	s_mov_b64 s[10:11], 0
	s_mov_b32 s3, 0
	s_mov_b64 s[4:5], 0
	v_mov_b32_e32 v67, 0
	v_mov_b64_e32 v[34:35], v[54:55]
	v_mov_b32_e32 v75, 0
	v_mov_b64_e32 v[56:57], v[54:55]
	;; [unrolled: 2-line block ×12, first 2 shown]
	v_mov_b32_e32 v1, 0
	s_waitcnt lgkmcnt(0)
	s_barrier
	s_waitcnt lgkmcnt(0)
                                        ; implicit-def: $sgpr8_sgpr9
                                        ; implicit-def: $vgpr60_vgpr61
	s_and_saveexec_b64 s[6:7], vcc
	s_cbranch_execz .LBB373_75
; %bb.48:
	ds_read_b64 v[30:31], v62
	v_cmp_ne_u64_e32 vcc, v[26:27], v[28:29]
	v_mov_b32_e32 v26, s57
	v_or_b32_e32 v32, 1, v63
	v_mov_b64_e32 v[34:35], 0
	s_waitcnt lgkmcnt(0)
	v_cndmask_b32_e32 v55, v31, v26, vcc
	v_mov_b32_e32 v26, s56
	v_cndmask_b32_e64 v1, 0, 1, vcc
	v_cndmask_b32_e32 v54, v30, v26, vcc
	v_cmp_gt_u32_e32 vcc, s43, v32
	s_mov_b64 s[12:13], 0
	v_mov_b32_e32 v67, 0
	v_mov_b32_e32 v75, 0
	v_mov_b64_e32 v[56:57], v[34:35]
	v_mov_b32_e32 v74, 0
	v_mov_b64_e32 v[36:37], v[34:35]
	;; [unrolled: 2-line block ×11, first 2 shown]
                                        ; implicit-def: $sgpr14_sgpr15
                                        ; implicit-def: $vgpr60_vgpr61
	s_and_saveexec_b64 s[8:9], vcc
	s_cbranch_execz .LBB373_74
; %bb.49:
	ds_read2_b64 v[30:33], v62 offset0:1 offset1:2
	v_cmp_ne_u64_e32 vcc, v[28:29], v[22:23]
	v_mov_b32_e32 v27, s57
	v_add_u32_e32 v26, 2, v63
	v_mov_b64_e32 v[34:35], 0
	s_waitcnt lgkmcnt(0)
	v_cndmask_b32_e32 v31, v31, v27, vcc
	v_mov_b32_e32 v27, s56
	v_cndmask_b32_e64 v64, 0, 1, vcc
	v_cndmask_b32_e32 v30, v30, v27, vcc
	v_cmp_gt_u32_e32 vcc, s43, v26
	s_mov_b64 s[14:15], 0
	v_mov_b32_e32 v67, 0
	v_mov_b32_e32 v75, 0
	v_mov_b64_e32 v[56:57], v[34:35]
	v_mov_b32_e32 v74, 0
	v_mov_b64_e32 v[36:37], v[34:35]
	v_mov_b32_e32 v73, 0
	v_mov_b64_e32 v[52:53], v[34:35]
	v_mov_b32_e32 v72, 0
	v_mov_b64_e32 v[40:41], v[34:35]
	v_mov_b32_e32 v71, 0
	v_mov_b64_e32 v[38:39], v[34:35]
	v_mov_b32_e32 v70, 0
	v_mov_b64_e32 v[44:45], v[34:35]
	v_mov_b32_e32 v69, 0
	v_mov_b64_e32 v[42:43], v[34:35]
	v_mov_b32_e32 v68, 0
	v_mov_b64_e32 v[48:49], v[34:35]
	v_mov_b32_e32 v66, 0
	v_mov_b64_e32 v[46:47], v[34:35]
	v_mov_b32_e32 v65, 0
	v_mov_b64_e32 v[50:51], v[34:35]
                                        ; implicit-def: $sgpr16_sgpr17
                                        ; implicit-def: $vgpr60_vgpr61
	s_and_saveexec_b64 s[10:11], vcc
	s_cbranch_execz .LBB373_73
; %bb.50:
	v_cmp_ne_u64_e32 vcc, v[22:23], v[24:25]
	v_mov_b32_e32 v22, s57
	v_add_u32_e32 v26, 3, v63
	v_cndmask_b32_e32 v51, v33, v22, vcc
	v_mov_b32_e32 v22, s56
	v_mov_b64_e32 v[34:35], 0
	v_cndmask_b32_e64 v65, 0, 1, vcc
	v_cndmask_b32_e32 v50, v32, v22, vcc
	v_cmp_gt_u32_e32 vcc, s43, v26
	s_mov_b64 s[16:17], 0
	v_mov_b32_e32 v67, 0
	v_mov_b32_e32 v75, 0
	v_mov_b64_e32 v[56:57], v[34:35]
	v_mov_b32_e32 v74, 0
	v_mov_b64_e32 v[36:37], v[34:35]
	;; [unrolled: 2-line block ×9, first 2 shown]
                                        ; implicit-def: $sgpr18_sgpr19
                                        ; implicit-def: $vgpr60_vgpr61
	s_and_saveexec_b64 s[12:13], vcc
	s_cbranch_execz .LBB373_72
; %bb.51:
	ds_read2_b64 v[26:29], v62 offset0:3 offset1:4
	v_cmp_ne_u64_e32 vcc, v[24:25], v[18:19]
	v_mov_b32_e32 v23, s57
	v_add_u32_e32 v22, 4, v63
	v_mov_b64_e32 v[34:35], 0
	s_waitcnt lgkmcnt(0)
	v_cndmask_b32_e32 v47, v27, v23, vcc
	v_mov_b32_e32 v23, s56
	v_cndmask_b32_e64 v66, 0, 1, vcc
	v_cndmask_b32_e32 v46, v26, v23, vcc
	v_cmp_gt_u32_e32 vcc, s43, v22
	s_mov_b64 s[18:19], 0
	v_mov_b32_e32 v67, 0
	v_mov_b32_e32 v75, 0
	v_mov_b64_e32 v[56:57], v[34:35]
	v_mov_b32_e32 v74, 0
	v_mov_b64_e32 v[36:37], v[34:35]
	;; [unrolled: 2-line block ×8, first 2 shown]
                                        ; implicit-def: $sgpr20_sgpr21
                                        ; implicit-def: $vgpr60_vgpr61
	s_and_saveexec_b64 s[14:15], vcc
	s_cbranch_execz .LBB373_71
; %bb.52:
	v_cmp_ne_u64_e32 vcc, v[18:19], v[20:21]
	v_mov_b32_e32 v18, s57
	v_add_u32_e32 v22, 5, v63
	v_cndmask_b32_e32 v49, v29, v18, vcc
	v_mov_b32_e32 v18, s56
	v_mov_b64_e32 v[34:35], 0
	v_cndmask_b32_e64 v68, 0, 1, vcc
	v_cndmask_b32_e32 v48, v28, v18, vcc
	v_cmp_gt_u32_e32 vcc, s43, v22
	s_mov_b64 s[20:21], 0
	v_mov_b32_e32 v67, 0
	v_mov_b32_e32 v75, 0
	v_mov_b64_e32 v[56:57], v[34:35]
	v_mov_b32_e32 v74, 0
	v_mov_b64_e32 v[36:37], v[34:35]
	;; [unrolled: 2-line block ×7, first 2 shown]
                                        ; implicit-def: $sgpr22_sgpr23
                                        ; implicit-def: $vgpr60_vgpr61
	s_and_saveexec_b64 s[16:17], vcc
	s_cbranch_execz .LBB373_70
; %bb.53:
	ds_read2_b64 v[22:25], v62 offset0:5 offset1:6
	v_cmp_ne_u64_e32 vcc, v[20:21], v[14:15]
	v_mov_b32_e32 v19, s57
	v_add_u32_e32 v18, 6, v63
	v_mov_b64_e32 v[34:35], 0
	s_waitcnt lgkmcnt(0)
	v_cndmask_b32_e32 v43, v23, v19, vcc
	v_mov_b32_e32 v19, s56
	v_cndmask_b32_e64 v69, 0, 1, vcc
	v_cndmask_b32_e32 v42, v22, v19, vcc
	v_cmp_gt_u32_e32 vcc, s43, v18
	s_mov_b64 s[22:23], 0
	v_mov_b32_e32 v67, 0
	v_mov_b32_e32 v75, 0
	v_mov_b64_e32 v[56:57], v[34:35]
	v_mov_b32_e32 v74, 0
	v_mov_b64_e32 v[36:37], v[34:35]
	;; [unrolled: 2-line block ×6, first 2 shown]
                                        ; implicit-def: $sgpr24_sgpr25
                                        ; implicit-def: $vgpr60_vgpr61
	s_and_saveexec_b64 s[18:19], vcc
	s_cbranch_execz .LBB373_69
; %bb.54:
	v_cmp_ne_u64_e32 vcc, v[14:15], v[16:17]
	v_mov_b32_e32 v14, s57
	v_add_u32_e32 v18, 7, v63
	v_cndmask_b32_e32 v45, v25, v14, vcc
	v_mov_b32_e32 v14, s56
	v_mov_b64_e32 v[34:35], 0
	v_cndmask_b32_e64 v70, 0, 1, vcc
	v_cndmask_b32_e32 v44, v24, v14, vcc
	v_cmp_gt_u32_e32 vcc, s43, v18
	s_mov_b64 s[24:25], 0
	v_mov_b32_e32 v67, 0
	v_mov_b32_e32 v75, 0
	v_mov_b64_e32 v[56:57], v[34:35]
	v_mov_b32_e32 v74, 0
	v_mov_b64_e32 v[36:37], v[34:35]
	;; [unrolled: 2-line block ×5, first 2 shown]
                                        ; implicit-def: $sgpr26_sgpr27
                                        ; implicit-def: $vgpr60_vgpr61
	s_and_saveexec_b64 s[20:21], vcc
	s_cbranch_execz .LBB373_68
; %bb.55:
	ds_read2_b64 v[18:21], v62 offset0:7 offset1:8
	v_cmp_ne_u64_e32 vcc, v[16:17], v[10:11]
	v_mov_b32_e32 v15, s57
	v_add_u32_e32 v14, 8, v63
	v_mov_b64_e32 v[34:35], 0
	s_waitcnt lgkmcnt(0)
	v_cndmask_b32_e32 v39, v19, v15, vcc
	v_mov_b32_e32 v15, s56
	v_cndmask_b32_e64 v71, 0, 1, vcc
	v_cndmask_b32_e32 v38, v18, v15, vcc
	v_cmp_gt_u32_e32 vcc, s43, v14
	s_mov_b64 s[26:27], 0
	v_mov_b32_e32 v67, 0
	v_mov_b32_e32 v75, 0
	v_mov_b64_e32 v[56:57], v[34:35]
	v_mov_b32_e32 v74, 0
	v_mov_b64_e32 v[36:37], v[34:35]
	;; [unrolled: 2-line block ×4, first 2 shown]
                                        ; implicit-def: $sgpr28_sgpr29
                                        ; implicit-def: $vgpr60_vgpr61
	s_and_saveexec_b64 s[22:23], vcc
	s_cbranch_execz .LBB373_67
; %bb.56:
	v_cmp_ne_u64_e32 vcc, v[10:11], v[12:13]
	v_mov_b32_e32 v10, s57
	v_add_u32_e32 v14, 9, v63
	v_cndmask_b32_e32 v41, v21, v10, vcc
	v_mov_b32_e32 v10, s56
	v_mov_b64_e32 v[34:35], 0
	v_cndmask_b32_e64 v72, 0, 1, vcc
	v_cndmask_b32_e32 v40, v20, v10, vcc
	v_cmp_gt_u32_e32 vcc, s43, v14
	s_mov_b64 s[28:29], 0
	v_mov_b32_e32 v67, 0
	v_mov_b32_e32 v75, 0
	v_mov_b64_e32 v[56:57], v[34:35]
	v_mov_b32_e32 v74, 0
	v_mov_b64_e32 v[36:37], v[34:35]
	;; [unrolled: 2-line block ×3, first 2 shown]
                                        ; implicit-def: $sgpr30_sgpr31
                                        ; implicit-def: $vgpr60_vgpr61
	s_and_saveexec_b64 s[24:25], vcc
	s_cbranch_execz .LBB373_66
; %bb.57:
	ds_read2_b64 v[14:17], v62 offset0:9 offset1:10
	v_cmp_ne_u64_e32 vcc, v[12:13], v[6:7]
	v_mov_b32_e32 v11, s57
	v_add_u32_e32 v10, 10, v63
	v_mov_b64_e32 v[34:35], 0
	s_waitcnt lgkmcnt(0)
	v_cndmask_b32_e32 v53, v15, v11, vcc
	v_mov_b32_e32 v11, s56
	v_cndmask_b32_e64 v73, 0, 1, vcc
	v_cndmask_b32_e32 v52, v14, v11, vcc
	v_cmp_gt_u32_e32 vcc, s43, v10
	s_mov_b64 s[30:31], 0
	v_mov_b32_e32 v67, 0
	v_mov_b32_e32 v75, 0
	v_mov_b64_e32 v[56:57], v[34:35]
	v_mov_b32_e32 v74, 0
	v_mov_b64_e32 v[36:37], v[34:35]
                                        ; implicit-def: $sgpr52_sgpr53
                                        ; implicit-def: $vgpr60_vgpr61
	s_and_saveexec_b64 s[26:27], vcc
	s_cbranch_execz .LBB373_65
; %bb.58:
	v_cmp_ne_u64_e32 vcc, v[6:7], v[8:9]
	v_mov_b32_e32 v6, s57
	v_add_u32_e32 v10, 11, v63
	v_cndmask_b32_e32 v37, v17, v6, vcc
	v_mov_b32_e32 v6, s56
	v_mov_b64_e32 v[34:35], 0
	v_cndmask_b32_e64 v74, 0, 1, vcc
	v_cndmask_b32_e32 v36, v16, v6, vcc
	v_cmp_gt_u32_e32 vcc, s43, v10
	s_mov_b64 s[52:53], 0
	v_mov_b32_e32 v67, 0
	v_mov_b32_e32 v75, 0
	v_mov_b64_e32 v[56:57], v[34:35]
                                        ; implicit-def: $sgpr60_sgpr61
                                        ; implicit-def: $vgpr60_vgpr61
	s_and_saveexec_b64 s[28:29], vcc
	s_cbranch_execz .LBB373_64
; %bb.59:
	ds_read2_b64 v[10:13], v62 offset0:11 offset1:12
	v_cmp_ne_u64_e32 vcc, v[8:9], v[2:3]
	v_mov_b32_e32 v7, s57
	v_add_u32_e32 v6, 12, v63
	v_cndmask_b32_e64 v75, 0, 1, vcc
	s_waitcnt lgkmcnt(0)
	v_cndmask_b32_e32 v57, v11, v7, vcc
	v_mov_b32_e32 v7, s56
	v_cndmask_b32_e32 v56, v10, v7, vcc
	v_cmp_gt_u32_e32 vcc, s43, v6
	v_mov_b32_e32 v67, 0
	v_mov_b64_e32 v[34:35], 0
                                        ; implicit-def: $sgpr60_sgpr61
                                        ; implicit-def: $vgpr60_vgpr61
	s_and_saveexec_b64 s[30:31], vcc
	s_cbranch_execz .LBB373_63
; %bb.60:
	v_cmp_ne_u64_e32 vcc, v[2:3], v[4:5]
	v_mov_b32_e32 v2, s57
	v_add_u32_e32 v6, 13, v63
	v_cndmask_b32_e32 v35, v13, v2, vcc
	v_mov_b32_e32 v2, s56
	v_cndmask_b32_e64 v67, 0, 1, vcc
	v_cndmask_b32_e32 v34, v12, v2, vcc
	v_cmp_gt_u32_e32 vcc, s43, v6
                                        ; implicit-def: $sgpr60_sgpr61
                                        ; implicit-def: $vgpr60_vgpr61
	s_and_saveexec_b64 s[62:63], vcc
	s_xor_b64 s[62:63], exec, s[62:63]
	s_cbranch_execz .LBB373_62
; %bb.61:
	ds_read_b64 v[2:3], v62 offset:104
	v_mov_b32_e32 v6, s57
	v_mov_b32_e32 v7, s56
	v_cmp_ne_u64_e32 vcc, v[4:5], v[58:59]
	s_mov_b64 s[52:53], exec
	s_and_b64 s[60:61], vcc, exec
	s_waitcnt lgkmcnt(0)
	v_cndmask_b32_e32 v61, v3, v6, vcc
	v_cndmask_b32_e32 v60, v2, v7, vcc
.LBB373_62:
	s_or_b64 exec, exec, s[62:63]
	s_and_b64 s[60:61], s[60:61], exec
	s_and_b64 s[52:53], s[52:53], exec
.LBB373_63:
	s_or_b64 exec, exec, s[30:31]
	s_and_b64 s[60:61], s[60:61], exec
	s_and_b64 s[30:31], s[52:53], exec
.LBB373_64:
	s_or_b64 exec, exec, s[28:29]
	s_and_b64 s[52:53], s[60:61], exec
	s_and_b64 s[28:29], s[30:31], exec
.LBB373_65:
	s_or_b64 exec, exec, s[26:27]
	s_and_b64 s[30:31], s[52:53], exec
	s_and_b64 s[26:27], s[28:29], exec
.LBB373_66:
	s_or_b64 exec, exec, s[24:25]
	s_and_b64 s[28:29], s[30:31], exec
	s_and_b64 s[24:25], s[26:27], exec
.LBB373_67:
	s_or_b64 exec, exec, s[22:23]
	s_and_b64 s[26:27], s[28:29], exec
	s_and_b64 s[22:23], s[24:25], exec
.LBB373_68:
	s_or_b64 exec, exec, s[20:21]
	s_and_b64 s[24:25], s[26:27], exec
	s_and_b64 s[20:21], s[22:23], exec
.LBB373_69:
	s_or_b64 exec, exec, s[18:19]
	s_and_b64 s[22:23], s[24:25], exec
	s_and_b64 s[18:19], s[20:21], exec
.LBB373_70:
	s_or_b64 exec, exec, s[16:17]
	s_and_b64 s[20:21], s[22:23], exec
	s_and_b64 s[16:17], s[18:19], exec
.LBB373_71:
	s_or_b64 exec, exec, s[14:15]
	s_and_b64 s[18:19], s[20:21], exec
	s_and_b64 s[14:15], s[16:17], exec
.LBB373_72:
	s_or_b64 exec, exec, s[12:13]
	s_and_b64 s[16:17], s[18:19], exec
	s_and_b64 s[12:13], s[14:15], exec
.LBB373_73:
	s_or_b64 exec, exec, s[10:11]
	s_and_b64 s[14:15], s[16:17], exec
	s_and_b64 s[10:11], s[12:13], exec
.LBB373_74:
	s_or_b64 exec, exec, s[8:9]
	s_and_b64 s[8:9], s[14:15], exec
	s_and_b64 s[10:11], s[10:11], exec
.LBB373_75:
	s_or_b64 exec, exec, s[6:7]
	s_mov_b64 s[6:7], 0
	s_and_b64 vcc, exec, s[4:5]
	v_lshlrev_b32_e32 v58, 3, v0
	s_cbranch_vccnz .LBB373_77
	s_branch .LBB373_82
.LBB373_76:
	s_mov_b64 s[10:11], 0
                                        ; implicit-def: $sgpr8_sgpr9
                                        ; implicit-def: $vgpr60_vgpr61
                                        ; implicit-def: $vgpr54_vgpr55
                                        ; implicit-def: $vgpr67
                                        ; implicit-def: $vgpr34_vgpr35
                                        ; implicit-def: $vgpr75
                                        ; implicit-def: $vgpr56_vgpr57
                                        ; implicit-def: $vgpr74
                                        ; implicit-def: $vgpr36_vgpr37
                                        ; implicit-def: $vgpr73
                                        ; implicit-def: $vgpr52_vgpr53
                                        ; implicit-def: $vgpr72
                                        ; implicit-def: $vgpr40_vgpr41
                                        ; implicit-def: $vgpr71
                                        ; implicit-def: $vgpr38_vgpr39
                                        ; implicit-def: $vgpr70
                                        ; implicit-def: $vgpr44_vgpr45
                                        ; implicit-def: $vgpr69
                                        ; implicit-def: $vgpr42_vgpr43
                                        ; implicit-def: $vgpr68
                                        ; implicit-def: $vgpr48_vgpr49
                                        ; implicit-def: $vgpr66
                                        ; implicit-def: $vgpr46_vgpr47
                                        ; implicit-def: $vgpr65
                                        ; implicit-def: $vgpr50_vgpr51
                                        ; implicit-def: $vgpr64
                                        ; implicit-def: $vgpr30_vgpr31
                                        ; implicit-def: $vgpr1
                                        ; implicit-def: $sgpr3
                                        ; implicit-def: $sgpr6_sgpr7
	s_and_b64 vcc, exec, s[4:5]
	v_lshlrev_b32_e32 v58, 3, v0
	s_cbranch_vccz .LBB373_82
.LBB373_77:
	v_mov_b32_e32 v59, 0
	v_lshl_add_u64 v[2:3], s[48:49], 0, v[58:59]
	v_add_co_u32_e32 v4, vcc, 0x1000, v2
	s_movk_i32 s3, 0x7000
	s_nop 0
	v_addc_co_u32_e32 v5, vcc, 0, v3, vcc
	flat_load_dwordx2 v[6:7], v[2:3]
	flat_load_dwordx2 v[8:9], v[2:3] offset:2048
	flat_load_dwordx2 v[10:11], v[4:5]
	flat_load_dwordx2 v[12:13], v[4:5] offset:2048
	v_add_co_u32_e32 v4, vcc, 0x2000, v2
	v_mov_b32_e32 v1, s48
	s_nop 0
	v_addc_co_u32_e32 v5, vcc, 0, v3, vcc
	v_add_co_u32_e32 v14, vcc, 0x3000, v2
	s_movk_i32 s4, 0x68
	s_nop 0
	v_addc_co_u32_e32 v15, vcc, 0, v3, vcc
	flat_load_dwordx2 v[16:17], v[4:5]
	flat_load_dwordx2 v[18:19], v[4:5] offset:2048
	flat_load_dwordx2 v[20:21], v[14:15]
	flat_load_dwordx2 v[22:23], v[14:15] offset:2048
	v_add_co_u32_e32 v4, vcc, 0x4000, v2
	s_movk_i32 s10, 0x1000
	s_nop 0
	v_addc_co_u32_e32 v5, vcc, 0, v3, vcc
	v_add_co_u32_e32 v14, vcc, 0x5000, v2
	s_movk_i32 s9, 0x2000
	s_nop 0
	v_addc_co_u32_e32 v15, vcc, 0, v3, vcc
	v_add_co_u32_e32 v2, vcc, 0x6000, v2
	flat_load_dwordx2 v[24:25], v[4:5]
	flat_load_dwordx2 v[26:27], v[4:5] offset:2048
	flat_load_dwordx2 v[28:29], v[14:15]
	flat_load_dwordx2 v[30:31], v[14:15] offset:2048
	v_addc_co_u32_e32 v3, vcc, 0, v3, vcc
	flat_load_dwordx2 v[4:5], v[2:3]
	flat_load_dwordx2 v[14:15], v[2:3] offset:2048
	v_mov_b32_e32 v3, s49
	v_add_co_u32_e32 v2, vcc, s3, v1
	v_mad_u32_u24 v1, v0, s4, v58
	s_nop 0
	v_addc_co_u32_e32 v3, vcc, 0, v3, vcc
	s_movk_i32 s4, 0xff98
	s_movk_i32 s8, 0x3000
	;; [unrolled: 1-line block ×5, first 2 shown]
	s_waitcnt vmcnt(0) lgkmcnt(0)
	ds_write2st64_b64 v58, v[6:7], v[8:9] offset1:4
	ds_write2st64_b64 v58, v[10:11], v[12:13] offset0:8 offset1:12
	ds_write2st64_b64 v58, v[16:17], v[18:19] offset0:16 offset1:20
	;; [unrolled: 1-line block ×6, first 2 shown]
	s_waitcnt lgkmcnt(0)
	s_barrier
	flat_load_dwordx2 v[60:61], v[2:3]
	v_mad_i32_i24 v26, v0, s4, v1
	s_movk_i32 s4, 0xff
	v_cmp_ne_u32_e32 vcc, s4, v0
	ds_read_b128 v[30:33], v1
	ds_read_b128 v[22:25], v1 offset:16
	ds_read_b128 v[18:21], v1 offset:32
	;; [unrolled: 1-line block ×6, first 2 shown]
	s_waitcnt lgkmcnt(0)
	ds_write_b64 v26, v[30:31] offset:30720
	s_waitcnt lgkmcnt(0)
	s_barrier
	s_and_saveexec_b64 s[4:5], vcc
	s_cbranch_execz .LBB373_79
; %bb.78:
	s_waitcnt vmcnt(0)
	ds_read_b64 v[60:61], v58 offset:30728
.LBB373_79:
	s_or_b64 exec, exec, s[4:5]
	v_lshl_add_u64 v[26:27], s[46:47], 0, v[58:59]
	v_add_co_u32_e32 v28, vcc, s10, v26
	s_waitcnt lgkmcnt(0)
	s_nop 0
	v_addc_co_u32_e32 v29, vcc, 0, v27, vcc
	s_barrier
	flat_load_dwordx2 v[34:35], v[26:27]
	flat_load_dwordx2 v[36:37], v[26:27] offset:2048
	flat_load_dwordx2 v[38:39], v[28:29]
	flat_load_dwordx2 v[40:41], v[28:29] offset:2048
	v_add_co_u32_e32 v28, vcc, s9, v26
	v_cmp_eq_u64_e64 s[4:5], v[30:31], v[32:33]
	s_nop 0
	v_addc_co_u32_e32 v29, vcc, 0, v27, vcc
	v_add_co_u32_e32 v42, vcc, s8, v26
	s_nop 1
	v_addc_co_u32_e32 v43, vcc, 0, v27, vcc
	flat_load_dwordx2 v[44:45], v[28:29]
	flat_load_dwordx2 v[46:47], v[28:29] offset:2048
	flat_load_dwordx2 v[48:49], v[42:43]
	flat_load_dwordx2 v[50:51], v[42:43] offset:2048
	v_add_co_u32_e32 v28, vcc, s7, v26
	s_nop 1
	v_addc_co_u32_e32 v29, vcc, 0, v27, vcc
	v_add_co_u32_e32 v42, vcc, s6, v26
	s_nop 1
	v_addc_co_u32_e32 v43, vcc, 0, v27, vcc
	v_add_co_u32_e32 v26, vcc, s3, v26
	flat_load_dwordx2 v[52:53], v[28:29]
	flat_load_dwordx2 v[54:55], v[28:29] offset:2048
	flat_load_dwordx2 v[56:57], v[42:43]
	flat_load_dwordx2 v[62:63], v[42:43] offset:2048
	v_addc_co_u32_e32 v27, vcc, 0, v27, vcc
	flat_load_dwordx2 v[28:29], v[26:27]
	flat_load_dwordx2 v[42:43], v[26:27] offset:2048
	v_cmp_ne_u64_e32 vcc, v[30:31], v[32:33]
	s_waitcnt vmcnt(0) lgkmcnt(0)
	ds_write2st64_b64 v58, v[34:35], v[36:37] offset1:4
	ds_write2st64_b64 v58, v[38:39], v[40:41] offset0:8 offset1:12
	ds_write2st64_b64 v58, v[44:45], v[46:47] offset0:16 offset1:20
	;; [unrolled: 1-line block ×6, first 2 shown]
	s_waitcnt lgkmcnt(0)
	s_barrier
	ds_read2_b64 v[50:53], v1 offset0:1 offset1:2
	ds_read2_b64 v[46:49], v1 offset0:3 offset1:4
	ds_read2_b64 v[42:45], v1 offset0:5 offset1:6
	ds_read2_b64 v[38:41], v1 offset0:7 offset1:8
	ds_read2_b64 v[34:37], v1 offset0:9 offset1:10
	ds_read2_b64 v[26:29], v1 offset0:11 offset1:12
	ds_read_b64 v[62:63], v1 offset:104
	v_mov_b64_e32 v[54:55], s[56:57]
	s_and_saveexec_b64 s[6:7], s[4:5]
	s_cbranch_execz .LBB373_81
; %bb.80:
	ds_read_b64 v[54:55], v1
.LBB373_81:
	s_or_b64 exec, exec, s[6:7]
	v_cmp_ne_u64_e64 s[8:9], v[18:19], v[20:21]
	v_cmp_ne_u64_e64 s[22:23], v[8:9], v[2:3]
	v_cmp_ne_u64_e64 s[24:25], v[2:3], v[4:5]
	v_mov_b32_e32 v2, s57
	v_mov_b32_e32 v3, s56
	v_cndmask_b32_e64 v1, 0, 1, vcc
	v_cmp_ne_u64_e32 vcc, v[32:33], v[22:23]
	v_cmp_ne_u64_e64 s[4:5], v[22:23], v[24:25]
	v_cmp_ne_u64_e64 s[6:7], v[24:25], v[18:19]
	v_cndmask_b32_e64 v68, 0, 1, s[8:9]
	v_cmp_ne_u64_e64 s[10:11], v[20:21], v[14:15]
	v_cmp_ne_u64_e64 s[12:13], v[14:15], v[16:17]
	;; [unrolled: 1-line block ×6, first 2 shown]
	s_waitcnt lgkmcnt(5)
	v_cndmask_b32_e64 v49, v49, v2, s[8:9]
	v_cndmask_b32_e64 v48, v48, v3, s[8:9]
	v_cmp_ne_u64_e64 s[8:9], v[4:5], v[60:61]
	v_cndmask_b32_e64 v64, 0, 1, vcc
	v_cndmask_b32_e64 v65, 0, 1, s[4:5]
	v_cndmask_b32_e64 v66, 0, 1, s[6:7]
	;; [unrolled: 1-line block ×10, first 2 shown]
	v_cndmask_b32_e32 v31, v51, v2, vcc
	v_cndmask_b32_e32 v30, v50, v3, vcc
	v_cndmask_b32_e64 v51, v53, v2, s[4:5]
	v_cndmask_b32_e64 v50, v52, v3, s[4:5]
	v_cndmask_b32_e64 v47, v47, v2, s[6:7]
	v_cndmask_b32_e64 v46, v46, v3, s[6:7]
	s_waitcnt lgkmcnt(4)
	v_cndmask_b32_e64 v43, v43, v2, s[10:11]
	v_cndmask_b32_e64 v42, v42, v3, s[10:11]
	v_cndmask_b32_e64 v45, v45, v2, s[12:13]
	v_cndmask_b32_e64 v44, v44, v3, s[12:13]
	s_waitcnt lgkmcnt(3)
	;; [unrolled: 5-line block ×5, first 2 shown]
	v_cndmask_b32_e64 v61, v63, v2, s[8:9]
	v_cndmask_b32_e64 v60, v62, v3, s[8:9]
	s_mov_b64 s[10:11], -1
                                        ; implicit-def: $sgpr3
                                        ; implicit-def: $sgpr6_sgpr7
.LBB373_82:
	v_mov_b64_e32 v[28:29], s[6:7]
	v_mov_b32_e32 v59, s3
	s_and_saveexec_b64 s[4:5], s[10:11]
; %bb.83:
	v_cndmask_b32_e64 v59, 0, 1, s[8:9]
	v_mov_b64_e32 v[28:29], v[60:61]
; %bb.84:
	s_or_b64 exec, exec, s[4:5]
	v_or_b32_e32 v2, v59, v67
	s_cmp_lg_u32 s2, 0
	v_or_b32_e32 v63, v2, v75
	v_mbcnt_lo_u32_b32 v62, -1, 0
	s_barrier
	s_cbranch_scc0 .LBB373_167
; %bb.85:
	v_mov_b32_e32 v4, 0
	v_cmp_eq_u16_sdwa s[28:29], v64, v4 src0_sel:BYTE_0 src1_sel:DWORD
	v_cmp_eq_u16_sdwa s[4:5], v65, v4 src0_sel:BYTE_0 src1_sel:DWORD
	;; [unrolled: 1-line block ×3, first 2 shown]
	v_cndmask_b32_e64 v3, 0, v55, s[28:29]
	v_cndmask_b32_e64 v2, 0, v54, s[28:29]
	v_lshl_add_u64 v[2:3], v[2:3], 0, v[30:31]
	v_cndmask_b32_e64 v3, 0, v3, s[4:5]
	v_cndmask_b32_e64 v2, 0, v2, s[4:5]
	v_lshl_add_u64 v[2:3], v[2:3], 0, v[50:51]
	v_cndmask_b32_e64 v3, 0, v3, s[6:7]
	v_cndmask_b32_e64 v2, 0, v2, s[6:7]
	v_lshl_add_u64 v[2:3], v[2:3], 0, v[46:47]
	v_cmp_eq_u16_sdwa s[8:9], v68, v4 src0_sel:BYTE_0 src1_sel:DWORD
	v_cmp_eq_u16_sdwa s[10:11], v69, v4 src0_sel:BYTE_0 src1_sel:DWORD
	;; [unrolled: 1-line block ×3, first 2 shown]
	v_cndmask_b32_e64 v3, 0, v3, s[8:9]
	v_cndmask_b32_e64 v2, 0, v2, s[8:9]
	v_lshl_add_u64 v[2:3], v[2:3], 0, v[48:49]
	v_cndmask_b32_e64 v3, 0, v3, s[10:11]
	v_cndmask_b32_e64 v2, 0, v2, s[10:11]
	v_lshl_add_u64 v[2:3], v[2:3], 0, v[42:43]
	;; [unrolled: 3-line block ×3, first 2 shown]
	v_cmp_eq_u16_sdwa s[14:15], v71, v4 src0_sel:BYTE_0 src1_sel:DWORD
	v_cmp_eq_u16_sdwa s[16:17], v72, v4 src0_sel:BYTE_0 src1_sel:DWORD
	;; [unrolled: 1-line block ×3, first 2 shown]
	v_cndmask_b32_e64 v3, 0, v3, s[14:15]
	v_cndmask_b32_e64 v2, 0, v2, s[14:15]
	v_lshl_add_u64 v[2:3], v[2:3], 0, v[38:39]
	v_cndmask_b32_e64 v3, 0, v3, s[16:17]
	v_cndmask_b32_e64 v2, 0, v2, s[16:17]
	v_cmp_eq_u16_sdwa s[20:21], v74, v4 src0_sel:BYTE_0 src1_sel:DWORD
	v_cmp_eq_u16_sdwa s[22:23], v75, v4 src0_sel:BYTE_0 src1_sel:DWORD
	;; [unrolled: 1-line block ×3, first 2 shown]
	v_cmp_eq_u16_sdwa vcc, v59, v4 src0_sel:BYTE_0 src1_sel:DWORD
	v_or_b32_e32 v4, v63, v74
	v_lshl_add_u64 v[2:3], v[2:3], 0, v[40:41]
	v_or_b32_e32 v4, v4, v73
	v_cndmask_b32_e64 v3, 0, v3, s[18:19]
	v_cndmask_b32_e64 v2, 0, v2, s[18:19]
	v_or_b32_e32 v4, v4, v72
	v_lshl_add_u64 v[2:3], v[2:3], 0, v[52:53]
	v_or_b32_e32 v4, v4, v71
	v_cndmask_b32_e64 v3, 0, v3, s[20:21]
	v_cndmask_b32_e64 v2, 0, v2, s[20:21]
	;; [unrolled: 5-line block ×4, first 2 shown]
	v_or_b32_e32 v4, v4, v65
	v_lshl_add_u64 v[2:3], v[2:3], 0, v[34:35]
	v_or_b32_e32 v4, v4, v64
	v_cndmask_b32_e32 v3, 0, v3, vcc
	v_cndmask_b32_e32 v2, 0, v2, vcc
	v_or_b32_e32 v4, v4, v1
	v_mbcnt_hi_u32_b32 v9, -1, v62
	v_lshl_add_u64 v[2:3], v[2:3], 0, v[28:29]
	v_and_b32_e32 v8, 1, v4
	v_and_b32_e32 v5, 15, v9
	v_cmp_eq_u32_e32 vcc, 1, v8
	v_mov_b32_dpp v7, v2 row_shr:1 row_mask:0xf bank_mask:0xf
	v_mov_b32_dpp v10, v3 row_shr:1 row_mask:0xf bank_mask:0xf
	;; [unrolled: 1-line block ×3, first 2 shown]
	v_cmp_ne_u32_e64 s[26:27], 0, v5
	v_mov_b32_e32 v4, v8
	s_and_saveexec_b64 s[30:31], s[26:27]
; %bb.86:
	v_and_b32_e32 v4, 1, v6
	v_cndmask_b32_e64 v11, v10, 0, vcc
	v_cndmask_b32_e64 v10, v7, 0, vcc
	v_or_b32_e32 v8, v4, v8
	v_lshl_add_u64 v[2:3], v[10:11], 0, v[2:3]
	v_and_b32_e32 v4, 0xffff, v8
; %bb.87:
	s_or_b64 exec, exec, s[30:31]
	v_mov_b32_dpp v7, v2 row_shr:2 row_mask:0xf bank_mask:0xf
	v_mov_b32_dpp v10, v3 row_shr:2 row_mask:0xf bank_mask:0xf
	;; [unrolled: 1-line block ×3, first 2 shown]
	v_cmp_lt_u32_e32 vcc, 1, v5
	s_and_saveexec_b64 s[30:31], vcc
; %bb.88:
	v_cmp_eq_u16_e32 vcc, 0, v8
	v_and_b32_e32 v4, 1, v8
	s_nop 0
	v_cndmask_b32_e32 v11, 0, v10, vcc
	v_cndmask_b32_e32 v10, 0, v7, vcc
	v_cmp_eq_u32_e32 vcc, 1, v4
	v_and_b32_e32 v4, 1, v6
	v_cmp_eq_u32_e64 s[26:27], 1, v4
	s_or_b64 s[26:27], vcc, s[26:27]
	v_lshl_add_u64 v[2:3], v[10:11], 0, v[2:3]
	v_cndmask_b32_e64 v8, 0, 1, s[26:27]
	v_cndmask_b32_e64 v4, 0, 1, s[26:27]
; %bb.89:
	s_or_b64 exec, exec, s[30:31]
	v_mov_b32_dpp v7, v2 row_shr:4 row_mask:0xf bank_mask:0xf
	v_mov_b32_dpp v10, v3 row_shr:4 row_mask:0xf bank_mask:0xf
	;; [unrolled: 1-line block ×3, first 2 shown]
	v_cmp_lt_u32_e32 vcc, 3, v5
	s_and_saveexec_b64 s[30:31], vcc
; %bb.90:
	v_cmp_eq_u16_e32 vcc, 0, v8
	v_and_b32_e32 v4, 1, v8
	s_nop 0
	v_cndmask_b32_e32 v11, 0, v10, vcc
	v_cndmask_b32_e32 v10, 0, v7, vcc
	v_cmp_eq_u32_e32 vcc, 1, v4
	v_and_b32_e32 v4, 1, v6
	v_cmp_eq_u32_e64 s[26:27], 1, v4
	s_or_b64 s[26:27], vcc, s[26:27]
	v_lshl_add_u64 v[2:3], v[10:11], 0, v[2:3]
	v_cndmask_b32_e64 v8, 0, 1, s[26:27]
	v_cndmask_b32_e64 v4, 0, 1, s[26:27]
; %bb.91:
	s_or_b64 exec, exec, s[30:31]
	v_mov_b32_dpp v7, v2 row_shr:8 row_mask:0xf bank_mask:0xf
	v_mov_b32_dpp v10, v3 row_shr:8 row_mask:0xf bank_mask:0xf
	;; [unrolled: 1-line block ×3, first 2 shown]
	v_cmp_lt_u32_e32 vcc, 7, v5
	s_and_saveexec_b64 s[30:31], vcc
; %bb.92:
	v_cmp_eq_u16_e32 vcc, 0, v8
	s_nop 1
	v_cndmask_b32_e32 v5, 0, v10, vcc
	v_cndmask_b32_e32 v4, 0, v7, vcc
	v_lshl_add_u64 v[2:3], v[4:5], 0, v[2:3]
	v_and_b32_e32 v4, 1, v8
	v_cmp_eq_u32_e32 vcc, 1, v4
	v_and_b32_e32 v4, 1, v6
	v_cmp_eq_u32_e64 s[26:27], 1, v4
	s_or_b64 s[26:27], vcc, s[26:27]
	s_nop 0
	v_cndmask_b32_e64 v8, 0, 1, s[26:27]
	v_cndmask_b32_e64 v4, 0, 1, s[26:27]
; %bb.93:
	s_or_b64 exec, exec, s[30:31]
	v_and_b32_e32 v10, 16, v9
	v_mov_b32_dpp v6, v2 row_bcast:15 row_mask:0xf bank_mask:0xf
	v_mov_b32_dpp v7, v3 row_bcast:15 row_mask:0xf bank_mask:0xf
	;; [unrolled: 1-line block ×3, first 2 shown]
	v_cmp_ne_u32_e32 vcc, 0, v10
	s_and_saveexec_b64 s[30:31], vcc
; %bb.94:
	v_cmp_eq_u16_e32 vcc, 0, v8
	v_and_b32_e32 v4, 1, v8
	s_nop 0
	v_cndmask_b32_e32 v7, 0, v7, vcc
	v_cndmask_b32_e32 v6, 0, v6, vcc
	v_cmp_eq_u32_e32 vcc, 1, v4
	v_and_b32_e32 v4, 1, v5
	v_cmp_eq_u32_e64 s[26:27], 1, v4
	s_or_b64 s[26:27], vcc, s[26:27]
	v_lshl_add_u64 v[2:3], v[6:7], 0, v[2:3]
	v_cndmask_b32_e64 v8, 0, 1, s[26:27]
	v_cndmask_b32_e64 v4, 0, 1, s[26:27]
; %bb.95:
	s_or_b64 exec, exec, s[30:31]
	v_mov_b32_dpp v5, v2 row_bcast:31 row_mask:0xf bank_mask:0xf
	v_mov_b32_dpp v6, v3 row_bcast:31 row_mask:0xf bank_mask:0xf
	;; [unrolled: 1-line block ×3, first 2 shown]
	v_cmp_lt_u32_e32 vcc, 31, v9
	s_and_saveexec_b64 s[30:31], vcc
; %bb.96:
	v_cmp_eq_u16_e32 vcc, 0, v8
	v_and_b32_e32 v4, 1, v4
	v_cmp_eq_u32_e64 s[26:27], 1, v4
	v_cndmask_b32_e32 v7, 0, v6, vcc
	v_cndmask_b32_e32 v6, 0, v5, vcc
	v_and_b32_e32 v5, 1, v8
	v_cmp_eq_u32_e32 vcc, 1, v5
	s_or_b64 s[26:27], vcc, s[26:27]
	v_lshl_add_u64 v[2:3], v[6:7], 0, v[2:3]
	v_cndmask_b32_e64 v8, 0, 1, s[26:27]
; %bb.97:
	s_or_b64 exec, exec, s[30:31]
	v_or_b32_e32 v4, 63, v0
	v_lshrrev_b32_e32 v10, 6, v0
	v_cmp_eq_u32_e32 vcc, v4, v0
	s_and_saveexec_b64 s[26:27], vcc
	s_cbranch_execz .LBB373_99
; %bb.98:
	v_lshlrev_b32_e32 v4, 4, v10
	ds_write_b64 v4, v[2:3]
	ds_write_b8 v4, v8 offset:8
.LBB373_99:
	s_or_b64 exec, exec, s[26:27]
	v_cmp_gt_u32_e32 vcc, 4, v0
	s_waitcnt lgkmcnt(0)
	s_barrier
	s_and_saveexec_b64 s[30:31], vcc
	s_cbranch_execz .LBB373_105
; %bb.100:
	v_lshlrev_b32_e32 v6, 4, v0
	ds_read_b64 v[4:5], v6
	ds_read_b32 v7, v6 offset:8
	v_and_b32_e32 v11, 3, v9
	v_cmp_ne_u32_e32 vcc, 0, v11
	s_waitcnt lgkmcnt(1)
	v_mov_b32_dpp v15, v4 row_shr:1 row_mask:0xf bank_mask:0xf
	v_mov_b32_dpp v16, v5 row_shr:1 row_mask:0xf bank_mask:0xf
	s_waitcnt lgkmcnt(0)
	v_mov_b32_dpp v14, v7 row_shr:1 row_mask:0xf bank_mask:0xf
	v_mov_b32_e32 v12, v7
	v_mov_b32_e32 v13, v7
	s_and_saveexec_b64 s[26:27], vcc
; %bb.101:
	v_mov_b32_e32 v12, 0
	v_cmp_eq_u16_sdwa vcc, v7, v12 src0_sel:BYTE_0 src1_sel:DWORD
	s_movk_i32 s3, 0xff00
	s_nop 0
	v_cndmask_b32_e32 v13, 0, v16, vcc
	v_cndmask_b32_e32 v12, 0, v15, vcc
	v_lshl_add_u64 v[4:5], v[12:13], 0, v[4:5]
	v_or_b32_e32 v13, v14, v7
	v_and_b32_e32 v12, 1, v13
	v_and_b32_e32 v13, 1, v13
	v_and_or_b32 v7, v7, s3, v13
; %bb.102:
	s_or_b64 exec, exec, s[26:27]
	v_mov_b32_dpp v14, v4 row_shr:2 row_mask:0xf bank_mask:0xf
	v_mov_b32_dpp v15, v5 row_shr:2 row_mask:0xf bank_mask:0xf
	;; [unrolled: 1-line block ×3, first 2 shown]
	v_cmp_lt_u32_e32 vcc, 1, v11
	s_and_saveexec_b64 s[46:47], vcc
; %bb.103:
	v_mov_b32_e32 v11, 0
	v_cmp_eq_u16_sdwa vcc, v13, v11 src0_sel:BYTE_0 src1_sel:DWORD
	v_and_b32_e32 v11, 1, v13
	v_and_b32_e32 v7, 1, v7
	v_cndmask_b32_e32 v15, 0, v15, vcc
	v_cndmask_b32_e32 v14, 0, v14, vcc
	v_cmp_eq_u32_e32 vcc, 1, v11
	v_cmp_eq_u32_e64 s[26:27], 1, v7
	s_or_b64 s[26:27], vcc, s[26:27]
	v_lshl_add_u64 v[4:5], v[14:15], 0, v[4:5]
	v_cndmask_b32_e64 v12, 0, 1, s[26:27]
; %bb.104:
	s_or_b64 exec, exec, s[46:47]
	ds_write_b64 v6, v[4:5]
	ds_write_b8 v6, v12 offset:8
.LBB373_105:
	s_or_b64 exec, exec, s[30:31]
	v_cmp_gt_u32_e32 vcc, 64, v0
	v_cmp_lt_u32_e64 s[26:27], 63, v0
	v_mov_b32_e32 v16, 0
	v_mov_b64_e32 v[6:7], 0
	s_waitcnt lgkmcnt(0)
	s_barrier
	s_and_saveexec_b64 s[30:31], s[26:27]
	s_cbranch_execz .LBB373_107
; %bb.106:
	v_lshl_add_u32 v4, v10, 4, -16
	ds_read_b64 v[6:7], v4
	ds_read_u8 v16, v4 offset:8
	v_cmp_eq_u16_e64 s[26:27], 0, v8
	s_waitcnt lgkmcnt(0)
	v_or_b32_e32 v8, v8, v16
	v_cndmask_b32_e64 v5, 0, v7, s[26:27]
	v_cndmask_b32_e64 v4, 0, v6, s[26:27]
	v_lshl_add_u64 v[2:3], v[2:3], 0, v[4:5]
	v_and_b32_e32 v8, 1, v8
.LBB373_107:
	s_or_b64 exec, exec, s[30:31]
	v_add_u32_e32 v4, -1, v9
	v_and_b32_e32 v5, 64, v9
	v_cmp_lt_i32_e64 s[26:27], v4, v5
	s_nop 1
	v_cndmask_b32_e64 v4, v4, v9, s[26:27]
	v_lshlrev_b32_e32 v4, 2, v4
	ds_bpermute_b32 v17, v4, v2
	v_and_b32_e32 v2, 0xffff, v8
	ds_bpermute_b32 v18, v4, v3
	ds_bpermute_b32 v19, v4, v2
	v_cmp_eq_u32_e64 s[26:27], 0, v9
	s_and_saveexec_b64 s[46:47], vcc
	s_cbranch_execz .LBB373_154
; %bb.108:
	v_mov_b32_e32 v11, 0
	ds_read2_b64 v[2:5], v11 offset0:6 offset1:7
	s_and_saveexec_b64 s[30:31], s[26:27]
	s_cbranch_execz .LBB373_110
; %bb.109:
	s_add_i32 s48, s2, 64
	s_mov_b32 s49, 0
	s_lshl_b64 s[52:53], s[48:49], 4
	s_add_u32 s52, s36, s52
	s_addc_u32 s53, s37, s53
	s_waitcnt lgkmcnt(0)
	global_store_dword v11, v2, s[52:53] sc1
	global_store_dword v11, v3, s[52:53] offset:4 sc1
	global_store_dword v11, v4, s[52:53] offset:8 sc1
	;; [unrolled: 1-line block ×3, first 2 shown]
	v_mov_b32_e32 v5, s48
	v_mov_b32_e32 v8, 1
	s_waitcnt vmcnt(0)
	global_store_byte v5, v8, s[40:41] sc1
.LBB373_110:
	s_or_b64 exec, exec, s[30:31]
	v_xad_u32 v8, v9, -1, s2
	v_add_u32_e32 v10, 64, v8
	s_waitcnt lgkmcnt(0)
	global_load_ubyte v5, v10, s[40:41] sc1
	s_waitcnt vmcnt(0)
	v_cmp_eq_u16_e32 vcc, 0, v5
	s_and_saveexec_b64 s[30:31], vcc
	s_cbranch_execz .LBB373_116
; %bb.111:
	v_lshl_add_u64 v[12:13], s[40:41], 0, v[10:11]
	s_mov_b32 s3, 1
	s_mov_b64 s[48:49], 0
.LBB373_112:                            ; =>This Loop Header: Depth=1
                                        ;     Child Loop BB373_113 Depth 2
	s_max_u32 s43, s3, 1
.LBB373_113:                            ;   Parent Loop BB373_112 Depth=1
                                        ; =>  This Inner Loop Header: Depth=2
	s_add_i32 s43, s43, -1
	s_cmp_eq_u32 s43, 0
	s_sleep 1
	s_cbranch_scc0 .LBB373_113
; %bb.114:                              ;   in Loop: Header=BB373_112 Depth=1
	global_load_ubyte v5, v[12:13], off sc1
	s_cmp_lt_u32 s3, 32
	s_cselect_b64 s[52:53], -1, 0
	s_cmp_lg_u64 s[52:53], 0
	s_addc_u32 s3, s3, 0
	s_waitcnt vmcnt(0)
	v_cmp_ne_u16_e32 vcc, 0, v5
	s_or_b64 s[48:49], vcc, s[48:49]
	s_andn2_b64 exec, exec, s[48:49]
	s_cbranch_execnz .LBB373_112
; %bb.115:
	s_or_b64 exec, exec, s[48:49]
.LBB373_116:
	s_or_b64 exec, exec, s[30:31]
	v_mov_b32_e32 v12, s39
	v_mov_b32_e32 v13, s37
	v_cmp_eq_u16_e32 vcc, 1, v5
	v_mov_b32_e32 v14, s36
	s_waitcnt vmcnt(0)
	v_cndmask_b32_e32 v13, v12, v13, vcc
	v_mov_b32_e32 v12, s38
	v_cndmask_b32_e32 v12, v12, v14, vcc
	v_lshl_add_u64 v[10:11], v[10:11], 4, v[12:13]
	global_load_dword v14, v[10:11], off sc1
	global_load_dword v15, v[10:11], off offset:4 sc1
	global_load_dword v78, v[10:11], off offset:8 sc1
	s_nop 0
	global_load_dword v10, v[10:11], off offset:12 sc1
	v_cmp_eq_u16_e32 vcc, 2, v5
	s_waitcnt vmcnt(0)
	v_lshlrev_b64 v[10:11], v9, -1
	v_and_b32_e32 v20, 63, v9
	v_and_b32_e32 v12, vcc_hi, v11
	v_and_b32_e32 v25, vcc_lo, v10
	v_cmp_ne_u32_e32 vcc, 63, v20
	v_or_b32_e32 v12, 0x80000000, v12
	v_ffbl_b32_e32 v12, v12
	v_addc_co_u32_e32 v13, vcc, 0, v9, vcc
	v_lshlrev_b32_e32 v21, 2, v13
	v_add_u32_e32 v12, 32, v12
	v_ffbl_b32_e32 v25, v25
	v_min_u32_e32 v12, v25, v12
	v_cmp_lt_u32_e32 vcc, v20, v12
	ds_bpermute_b32 v23, v21, v14
	ds_bpermute_b32 v24, v21, v15
	v_and_b32_e32 v13, 0xff, v78
	ds_bpermute_b32 v22, v21, v13
	s_and_saveexec_b64 s[30:31], vcc
	s_cbranch_execz .LBB373_118
; %bb.117:
	v_mov_b32_e32 v13, 0
	v_cmp_eq_u16_sdwa vcc, v78, v13 src0_sel:BYTE_0 src1_sel:DWORD
	s_waitcnt lgkmcnt(0)
	v_or_b32_e32 v13, v22, v78
	v_and_b32_e32 v78, 1, v13
	v_cndmask_b32_e32 v25, 0, v24, vcc
	v_cndmask_b32_e32 v24, 0, v23, vcc
	v_lshl_add_u64 v[14:15], v[24:25], 0, v[14:15]
	v_and_b32_e32 v13, 1, v13
.LBB373_118:
	s_or_b64 exec, exec, s[30:31]
	v_cmp_gt_u32_e32 vcc, 62, v20
	s_waitcnt lgkmcnt(2)
	v_add_u32_e32 v23, 2, v20
	s_waitcnt lgkmcnt(0)
	v_cndmask_b32_e64 v22, 0, 1, vcc
	v_lshlrev_b32_e32 v22, 1, v22
	v_add_lshl_u32 v22, v22, v9, 2
	ds_bpermute_b32 v25, v22, v14
	ds_bpermute_b32 v26, v22, v15
	ds_bpermute_b32 v24, v22, v13
	v_cmp_le_u32_e32 vcc, v23, v12
	s_and_saveexec_b64 s[48:49], vcc
	s_cbranch_execz .LBB373_120
; %bb.119:
	v_mov_b32_e32 v13, 0
	v_cmp_eq_u16_sdwa vcc, v78, v13 src0_sel:BYTE_0 src1_sel:DWORD
	v_and_b32_e32 v13, 1, v78
	s_waitcnt lgkmcnt(1)
	v_cndmask_b32_e32 v27, 0, v26, vcc
	v_cndmask_b32_e32 v26, 0, v25, vcc
	v_cmp_eq_u32_e32 vcc, 1, v13
	s_waitcnt lgkmcnt(0)
	v_and_b32_e32 v13, 1, v24
	v_cmp_eq_u32_e64 s[30:31], 1, v13
	s_or_b64 s[30:31], vcc, s[30:31]
	v_lshl_add_u64 v[14:15], v[26:27], 0, v[14:15]
	v_cndmask_b32_e64 v78, 0, 1, s[30:31]
	v_cndmask_b32_e64 v13, 0, 1, s[30:31]
.LBB373_120:
	s_or_b64 exec, exec, s[48:49]
	v_cmp_gt_u32_e32 vcc, 60, v20
	s_waitcnt lgkmcnt(2)
	v_add_u32_e32 v25, 4, v20
	s_waitcnt lgkmcnt(0)
	v_cndmask_b32_e64 v24, 0, 1, vcc
	v_lshlrev_b32_e32 v24, 2, v24
	v_add_lshl_u32 v24, v24, v9, 2
	ds_bpermute_b32 v27, v24, v14
	ds_bpermute_b32 v32, v24, v15
	ds_bpermute_b32 v26, v24, v13
	v_cmp_le_u32_e32 vcc, v25, v12
	s_and_saveexec_b64 s[48:49], vcc
	s_cbranch_execz .LBB373_122
; %bb.121:
	v_mov_b32_e32 v13, 0
	v_cmp_eq_u16_sdwa vcc, v78, v13 src0_sel:BYTE_0 src1_sel:DWORD
	v_and_b32_e32 v13, 1, v78
	s_waitcnt lgkmcnt(1)
	v_cndmask_b32_e32 v33, 0, v32, vcc
	v_cndmask_b32_e32 v32, 0, v27, vcc
	v_cmp_eq_u32_e32 vcc, 1, v13
	s_waitcnt lgkmcnt(0)
	v_and_b32_e32 v13, 1, v26
	v_cmp_eq_u32_e64 s[30:31], 1, v13
	s_or_b64 s[30:31], vcc, s[30:31]
	v_lshl_add_u64 v[14:15], v[32:33], 0, v[14:15]
	v_cndmask_b32_e64 v78, 0, 1, s[30:31]
	v_cndmask_b32_e64 v13, 0, 1, s[30:31]
.LBB373_122:
	s_or_b64 exec, exec, s[48:49]
	v_cmp_gt_u32_e32 vcc, 56, v20
	s_waitcnt lgkmcnt(2)
	v_add_u32_e32 v27, 8, v20
	s_waitcnt lgkmcnt(0)
	v_cndmask_b32_e64 v26, 0, 1, vcc
	v_lshlrev_b32_e32 v26, 3, v26
	v_add_lshl_u32 v26, v26, v9, 2
	ds_bpermute_b32 v33, v26, v14
	ds_bpermute_b32 v60, v26, v15
	ds_bpermute_b32 v32, v26, v13
	v_cmp_le_u32_e32 vcc, v27, v12
	s_and_saveexec_b64 s[48:49], vcc
	s_cbranch_execz .LBB373_124
; %bb.123:
	v_mov_b32_e32 v13, 0
	v_cmp_eq_u16_sdwa vcc, v78, v13 src0_sel:BYTE_0 src1_sel:DWORD
	v_and_b32_e32 v13, 1, v78
	s_waitcnt lgkmcnt(1)
	v_cndmask_b32_e32 v61, 0, v60, vcc
	v_cndmask_b32_e32 v60, 0, v33, vcc
	v_cmp_eq_u32_e32 vcc, 1, v13
	s_waitcnt lgkmcnt(0)
	v_and_b32_e32 v13, 1, v32
	v_cmp_eq_u32_e64 s[30:31], 1, v13
	s_or_b64 s[30:31], vcc, s[30:31]
	v_lshl_add_u64 v[14:15], v[60:61], 0, v[14:15]
	v_cndmask_b32_e64 v78, 0, 1, s[30:31]
	v_cndmask_b32_e64 v13, 0, 1, s[30:31]
.LBB373_124:
	s_or_b64 exec, exec, s[48:49]
	v_cmp_gt_u32_e32 vcc, 48, v20
	s_waitcnt lgkmcnt(2)
	v_add_u32_e32 v33, 16, v20
	s_waitcnt lgkmcnt(0)
	v_cndmask_b32_e64 v32, 0, 1, vcc
	v_lshlrev_b32_e32 v32, 4, v32
	v_add_lshl_u32 v32, v32, v9, 2
	ds_bpermute_b32 v61, v32, v14
	ds_bpermute_b32 v76, v32, v15
	ds_bpermute_b32 v60, v32, v13
	v_cmp_le_u32_e32 vcc, v33, v12
	s_and_saveexec_b64 s[48:49], vcc
	s_cbranch_execz .LBB373_126
; %bb.125:
	v_mov_b32_e32 v13, 0
	v_cmp_eq_u16_sdwa vcc, v78, v13 src0_sel:BYTE_0 src1_sel:DWORD
	v_and_b32_e32 v13, 1, v78
	s_waitcnt lgkmcnt(1)
	v_cndmask_b32_e32 v77, 0, v76, vcc
	v_cndmask_b32_e32 v76, 0, v61, vcc
	v_cmp_eq_u32_e32 vcc, 1, v13
	s_waitcnt lgkmcnt(0)
	v_and_b32_e32 v13, 1, v60
	v_cmp_eq_u32_e64 s[30:31], 1, v13
	s_or_b64 s[30:31], vcc, s[30:31]
	v_lshl_add_u64 v[14:15], v[76:77], 0, v[14:15]
	v_cndmask_b32_e64 v78, 0, 1, s[30:31]
	v_cndmask_b32_e64 v13, 0, 1, s[30:31]
.LBB373_126:
	s_or_b64 exec, exec, s[48:49]
	v_cmp_gt_u32_e32 vcc, 32, v20
	s_waitcnt lgkmcnt(1)
	v_add_u32_e32 v76, 32, v20
	s_waitcnt lgkmcnt(0)
	v_cndmask_b32_e64 v60, 0, 1, vcc
	v_lshlrev_b32_e32 v60, 5, v60
	v_add_lshl_u32 v61, v60, v9, 2
	ds_bpermute_b32 v60, v61, v14
	ds_bpermute_b32 v77, v61, v15
	;; [unrolled: 1-line block ×3, first 2 shown]
	v_cmp_le_u32_e32 vcc, v76, v12
	s_and_saveexec_b64 s[48:49], vcc
	s_cbranch_execz .LBB373_128
; %bb.127:
	v_mov_b32_e32 v12, 0
	v_cmp_eq_u16_sdwa vcc, v78, v12 src0_sel:BYTE_0 src1_sel:DWORD
	s_waitcnt lgkmcnt(0)
	v_and_b32_e32 v9, 1, v9
	v_cmp_eq_u32_e64 s[30:31], 1, v9
	v_cndmask_b32_e32 v13, 0, v77, vcc
	v_cndmask_b32_e32 v12, 0, v60, vcc
	v_lshl_add_u64 v[14:15], v[12:13], 0, v[14:15]
	v_and_b32_e32 v12, 1, v78
	v_cmp_eq_u32_e32 vcc, 1, v12
	s_or_b64 s[30:31], vcc, s[30:31]
	v_cndmask_b32_e64 v78, 0, 1, s[30:31]
.LBB373_128:
	s_or_b64 exec, exec, s[48:49]
	s_waitcnt lgkmcnt(0)
	v_mov_b32_e32 v9, 0
	v_mov_b32_e32 v77, 2
	s_branch .LBB373_130
.LBB373_129:                            ;   in Loop: Header=BB373_130 Depth=1
	s_or_b64 exec, exec, s[52:53]
	v_cmp_eq_u16_sdwa vcc, v60, v9 src0_sel:BYTE_0 src1_sel:DWORD
	v_and_b32_e32 v78, 1, v60
	v_subrev_u32_e32 v8, 64, v8
	v_cndmask_b32_e32 v15, 0, v15, vcc
	v_cndmask_b32_e32 v14, 0, v14, vcc
	v_cmp_eq_u32_e32 vcc, 1, v78
	s_or_b64 s[30:31], vcc, s[48:49]
	v_lshl_add_u64 v[14:15], v[14:15], 0, v[12:13]
	v_cndmask_b32_e64 v78, 0, 1, s[30:31]
.LBB373_130:                            ; =>This Loop Header: Depth=1
                                        ;     Child Loop BB373_133 Depth 2
                                        ;       Child Loop BB373_134 Depth 3
	v_cmp_ne_u16_sdwa s[30:31], v5, v77 src0_sel:BYTE_0 src1_sel:DWORD
	v_mov_b32_e32 v60, v78
	v_mov_b64_e32 v[12:13], v[14:15]
	v_cndmask_b32_e64 v5, 0, 1, s[30:31]
	;;#ASMSTART
	;;#ASMEND
	s_nop 0
	v_cmp_ne_u32_e32 vcc, 0, v5
	s_cmp_lg_u64 vcc, exec
	s_cbranch_scc1 .LBB373_149
; %bb.131:                              ;   in Loop: Header=BB373_130 Depth=1
	global_load_ubyte v5, v8, s[40:41] sc1
	s_waitcnt vmcnt(0)
	v_cmp_eq_u16_e32 vcc, 0, v5
	s_and_saveexec_b64 s[30:31], vcc
	s_cbranch_execz .LBB373_137
; %bb.132:                              ;   in Loop: Header=BB373_130 Depth=1
	v_lshl_add_u64 v[14:15], s[40:41], 0, v[8:9]
	s_mov_b32 s3, 1
	s_mov_b64 s[48:49], 0
.LBB373_133:                            ;   Parent Loop BB373_130 Depth=1
                                        ; =>  This Loop Header: Depth=2
                                        ;       Child Loop BB373_134 Depth 3
	s_max_u32 s43, s3, 1
.LBB373_134:                            ;   Parent Loop BB373_130 Depth=1
                                        ;     Parent Loop BB373_133 Depth=2
                                        ; =>    This Inner Loop Header: Depth=3
	s_add_i32 s43, s43, -1
	s_cmp_eq_u32 s43, 0
	s_sleep 1
	s_cbranch_scc0 .LBB373_134
; %bb.135:                              ;   in Loop: Header=BB373_133 Depth=2
	global_load_ubyte v5, v[14:15], off sc1
	s_cmp_lt_u32 s3, 32
	s_cselect_b64 s[52:53], -1, 0
	s_cmp_lg_u64 s[52:53], 0
	s_addc_u32 s3, s3, 0
	s_waitcnt vmcnt(0)
	v_cmp_ne_u16_e32 vcc, 0, v5
	s_or_b64 s[48:49], vcc, s[48:49]
	s_andn2_b64 exec, exec, s[48:49]
	s_cbranch_execnz .LBB373_133
; %bb.136:                              ;   in Loop: Header=BB373_130 Depth=1
	s_or_b64 exec, exec, s[48:49]
.LBB373_137:                            ;   in Loop: Header=BB373_130 Depth=1
	s_or_b64 exec, exec, s[30:31]
	v_mov_b32_e32 v14, s39
	v_mov_b32_e32 v15, s37
	v_cmp_eq_u16_e32 vcc, 1, v5
	v_mov_b32_e32 v78, s36
	s_waitcnt vmcnt(0)
	v_cndmask_b32_e32 v15, v14, v15, vcc
	v_mov_b32_e32 v14, s38
	v_cndmask_b32_e32 v14, v14, v78, vcc
	s_waitcnt lgkmcnt(0)
	v_lshl_add_u64 v[80:81], v[8:9], 4, v[14:15]
	global_load_dword v14, v[80:81], off sc1
	global_load_dword v15, v[80:81], off offset:4 sc1
	global_load_dword v78, v[80:81], off offset:8 sc1
	global_load_dword v79, v[80:81], off offset:12 sc1
	v_cmp_eq_u16_e32 vcc, 2, v5
	s_waitcnt vmcnt(3)
	ds_bpermute_b32 v82, v21, v14
	s_waitcnt vmcnt(0)
	v_and_b32_e32 v79, vcc_hi, v11
	v_and_b32_e32 v80, 0xff, v78
	v_or_b32_e32 v79, 0x80000000, v79
	ds_bpermute_b32 v83, v21, v15
	ds_bpermute_b32 v81, v21, v80
	v_and_b32_e32 v84, vcc_lo, v10
	v_ffbl_b32_e32 v79, v79
	v_add_u32_e32 v79, 32, v79
	v_ffbl_b32_e32 v84, v84
	v_min_u32_e32 v79, v84, v79
	v_cmp_lt_u32_e32 vcc, v20, v79
	s_and_saveexec_b64 s[30:31], vcc
	s_cbranch_execz .LBB373_139
; %bb.138:                              ;   in Loop: Header=BB373_130 Depth=1
	v_cmp_eq_u16_sdwa vcc, v78, v9 src0_sel:BYTE_0 src1_sel:DWORD
	s_waitcnt lgkmcnt(0)
	v_or_b32_e32 v80, v81, v78
	v_and_b32_e32 v78, 1, v80
	v_cndmask_b32_e32 v83, 0, v83, vcc
	v_cndmask_b32_e32 v82, 0, v82, vcc
	v_lshl_add_u64 v[14:15], v[82:83], 0, v[14:15]
	v_and_b32_e32 v80, 1, v80
.LBB373_139:                            ;   in Loop: Header=BB373_130 Depth=1
	s_or_b64 exec, exec, s[30:31]
	s_waitcnt lgkmcnt(2)
	ds_bpermute_b32 v82, v22, v14
	s_waitcnt lgkmcnt(2)
	ds_bpermute_b32 v83, v22, v15
	;; [unrolled: 2-line block ×3, first 2 shown]
	v_and_b32_e32 v84, 1, v78
	v_cmp_le_u32_e32 vcc, v23, v79
	v_cmp_eq_u32_e64 s[48:49], 1, v84
	s_and_saveexec_b64 s[30:31], vcc
	s_cbranch_execz .LBB373_141
; %bb.140:                              ;   in Loop: Header=BB373_130 Depth=1
	v_cmp_eq_u16_sdwa vcc, v78, v9 src0_sel:BYTE_0 src1_sel:DWORD
	s_waitcnt lgkmcnt(0)
	v_and_b32_e32 v78, 1, v81
	v_cndmask_b32_e32 v83, 0, v83, vcc
	v_cndmask_b32_e32 v82, 0, v82, vcc
	v_cmp_eq_u32_e32 vcc, 1, v78
	s_or_b64 s[52:53], s[48:49], vcc
	v_cndmask_b32_e64 v78, 0, 1, s[52:53]
	v_cndmask_b32_e64 v80, 0, 1, s[52:53]
	s_andn2_b64 s[48:49], s[48:49], exec
	s_and_b64 s[52:53], s[52:53], exec
	v_lshl_add_u64 v[14:15], v[82:83], 0, v[14:15]
	s_or_b64 s[48:49], s[48:49], s[52:53]
.LBB373_141:                            ;   in Loop: Header=BB373_130 Depth=1
	s_or_b64 exec, exec, s[30:31]
	s_waitcnt lgkmcnt(2)
	ds_bpermute_b32 v82, v24, v14
	s_waitcnt lgkmcnt(2)
	ds_bpermute_b32 v83, v24, v15
	s_waitcnt lgkmcnt(2)
	ds_bpermute_b32 v81, v24, v80
	v_cmp_le_u32_e32 vcc, v25, v79
	s_and_saveexec_b64 s[52:53], vcc
	s_cbranch_execz .LBB373_143
; %bb.142:                              ;   in Loop: Header=BB373_130 Depth=1
	v_cmp_eq_u16_sdwa vcc, v78, v9 src0_sel:BYTE_0 src1_sel:DWORD
	v_and_b32_e32 v78, 1, v78
	s_andn2_b64 s[48:49], s[48:49], exec
	s_waitcnt lgkmcnt(1)
	v_cndmask_b32_e32 v83, 0, v83, vcc
	v_cndmask_b32_e32 v82, 0, v82, vcc
	v_cmp_eq_u32_e32 vcc, 1, v78
	s_waitcnt lgkmcnt(0)
	v_and_b32_e32 v78, 1, v81
	v_cmp_eq_u32_e64 s[30:31], 1, v78
	s_or_b64 s[30:31], vcc, s[30:31]
	v_lshl_add_u64 v[14:15], v[82:83], 0, v[14:15]
	v_cndmask_b32_e64 v78, 0, 1, s[30:31]
	v_cndmask_b32_e64 v80, 0, 1, s[30:31]
	s_and_b64 s[30:31], s[30:31], exec
	s_or_b64 s[48:49], s[48:49], s[30:31]
.LBB373_143:                            ;   in Loop: Header=BB373_130 Depth=1
	s_or_b64 exec, exec, s[52:53]
	s_waitcnt lgkmcnt(2)
	ds_bpermute_b32 v82, v26, v14
	s_waitcnt lgkmcnt(2)
	ds_bpermute_b32 v83, v26, v15
	s_waitcnt lgkmcnt(2)
	ds_bpermute_b32 v81, v26, v80
	v_cmp_le_u32_e32 vcc, v27, v79
	s_and_saveexec_b64 s[52:53], vcc
	s_cbranch_execz .LBB373_145
; %bb.144:                              ;   in Loop: Header=BB373_130 Depth=1
	v_cmp_eq_u16_sdwa vcc, v78, v9 src0_sel:BYTE_0 src1_sel:DWORD
	v_and_b32_e32 v78, 1, v78
	s_andn2_b64 s[48:49], s[48:49], exec
	s_waitcnt lgkmcnt(1)
	v_cndmask_b32_e32 v83, 0, v83, vcc
	v_cndmask_b32_e32 v82, 0, v82, vcc
	v_cmp_eq_u32_e32 vcc, 1, v78
	s_waitcnt lgkmcnt(0)
	v_and_b32_e32 v78, 1, v81
	v_cmp_eq_u32_e64 s[30:31], 1, v78
	s_or_b64 s[30:31], vcc, s[30:31]
	v_lshl_add_u64 v[14:15], v[82:83], 0, v[14:15]
	v_cndmask_b32_e64 v78, 0, 1, s[30:31]
	v_cndmask_b32_e64 v80, 0, 1, s[30:31]
	s_and_b64 s[30:31], s[30:31], exec
	s_or_b64 s[48:49], s[48:49], s[30:31]
.LBB373_145:                            ;   in Loop: Header=BB373_130 Depth=1
	;; [unrolled: 28-line block ×3, first 2 shown]
	s_or_b64 exec, exec, s[52:53]
	s_waitcnt lgkmcnt(0)
	ds_bpermute_b32 v81, v61, v14
	ds_bpermute_b32 v82, v61, v15
	;; [unrolled: 1-line block ×3, first 2 shown]
	v_cmp_le_u32_e32 vcc, v76, v79
	s_and_saveexec_b64 s[52:53], vcc
	s_cbranch_execz .LBB373_129
; %bb.148:                              ;   in Loop: Header=BB373_130 Depth=1
	v_cmp_eq_u16_sdwa vcc, v78, v9 src0_sel:BYTE_0 src1_sel:DWORD
	v_and_b32_e32 v78, 1, v78
	s_andn2_b64 s[48:49], s[48:49], exec
	s_waitcnt lgkmcnt(1)
	v_cndmask_b32_e32 v83, 0, v82, vcc
	v_cndmask_b32_e32 v82, 0, v81, vcc
	v_cmp_eq_u32_e32 vcc, 1, v78
	s_waitcnt lgkmcnt(0)
	v_and_b32_e32 v78, 1, v80
	v_cmp_eq_u32_e64 s[30:31], 1, v78
	s_or_b64 s[30:31], vcc, s[30:31]
	s_and_b64 s[30:31], s[30:31], exec
	v_lshl_add_u64 v[14:15], v[82:83], 0, v[14:15]
	s_or_b64 s[48:49], s[48:49], s[30:31]
	s_branch .LBB373_129
.LBB373_149:                            ;   in Loop: Header=BB373_130 Depth=1
                                        ; implicit-def: $vgpr78
                                        ; implicit-def: $vgpr14_vgpr15
                                        ; implicit-def: $vgpr5
	s_cbranch_execz .LBB373_130
; %bb.150:
	s_and_saveexec_b64 s[30:31], s[26:27]
	s_cbranch_execz .LBB373_152
; %bb.151:
	s_mov_b32 s3, 0
	v_mov_b32_e32 v5, 0
	s_add_i32 s2, s2, 64
	v_cmp_eq_u32_sdwa vcc, v4, v5 src0_sel:BYTE_0 src1_sel:DWORD
	s_lshl_b64 s[36:37], s[2:3], 4
	v_and_b32_e32 v4, 1, v4
	v_cndmask_b32_e32 v9, 0, v13, vcc
	v_cndmask_b32_e32 v8, 0, v12, vcc
	s_add_u32 s36, s38, s36
	v_lshl_add_u64 v[2:3], v[8:9], 0, v[2:3]
	v_and_b32_e32 v8, 1, v60
	v_cmp_eq_u32_e32 vcc, 1, v4
	s_addc_u32 s37, s39, s37
	s_nop 0
	v_cndmask_b32_e64 v4, v8, 1, vcc
	global_store_dword v5, v2, s[36:37] sc1
	global_store_dword v5, v3, s[36:37] offset:4 sc1
	global_store_dword v5, v4, s[36:37] offset:8 sc1
	;; [unrolled: 1-line block ×3, first 2 shown]
	v_mov_b32_e32 v2, s2
	v_mov_b32_e32 v3, 2
	s_waitcnt vmcnt(0) lgkmcnt(0)
	global_store_byte v2, v3, s[40:41] sc1
.LBB373_152:
	s_or_b64 exec, exec, s[30:31]
	v_cmp_eq_u32_e32 vcc, 0, v0
	s_and_b64 exec, exec, vcc
	s_cbranch_execz .LBB373_154
; %bb.153:
	v_mov_b32_e32 v2, 0
	ds_write_b64 v2, v[12:13] offset:48
	ds_write_b8 v2, v60 offset:56
.LBB373_154:
	s_or_b64 exec, exec, s[46:47]
	v_mov_b32_e32 v8, 0
	s_waitcnt lgkmcnt(0)
	s_barrier
	ds_read_b64 v[2:3], v8 offset:48
	v_cndmask_b32_e64 v9, v19, v16, s[26:27]
	v_cmp_eq_u16_sdwa vcc, v9, v8 src0_sel:BYTE_0 src1_sel:DWORD
	v_cndmask_b32_e64 v4, v17, v6, s[26:27]
	v_cndmask_b32_e64 v5, v18, v7, s[26:27]
	s_waitcnt lgkmcnt(0)
	v_cndmask_b32_e32 v7, 0, v3, vcc
	v_cndmask_b32_e32 v6, 0, v2, vcc
	v_lshl_add_u64 v[4:5], v[4:5], 0, v[6:7]
	v_cmp_eq_u32_e32 vcc, 0, v0
	s_nop 1
	v_cndmask_b32_e32 v3, v5, v3, vcc
	v_cndmask_b32_e32 v2, v4, v2, vcc
	v_cmp_eq_u16_sdwa vcc, v1, v8 src0_sel:BYTE_0 src1_sel:DWORD
	s_nop 1
	v_cndmask_b32_e32 v5, 0, v3, vcc
	v_cndmask_b32_e32 v4, 0, v2, vcc
	v_lshl_add_u64 v[4:5], v[4:5], 0, v[54:55]
	v_cndmask_b32_e64 v7, 0, v5, s[28:29]
	v_cndmask_b32_e64 v6, 0, v4, s[28:29]
	v_lshl_add_u64 v[6:7], v[6:7], 0, v[30:31]
	v_cndmask_b32_e64 v9, 0, v7, s[4:5]
	v_cndmask_b32_e64 v8, 0, v6, s[4:5]
	;; [unrolled: 3-line block ×12, first 2 shown]
	s_branch .LBB373_195
.LBB373_155:
	s_or_b64 exec, exec, s[30:31]
                                        ; implicit-def: $vgpr34_vgpr35
	s_and_saveexec_b64 s[30:31], s[28:29]
	s_cbranch_execz .LBB373_33
.LBB373_156:
	v_mov_b32_e32 v31, 0
	v_lshl_add_u64 v[34:35], s[46:47], 0, v[30:31]
	flat_load_dwordx2 v[34:35], v[34:35] offset:2048
	s_or_b64 exec, exec, s[30:31]
                                        ; implicit-def: $vgpr36_vgpr37
	s_and_saveexec_b64 s[28:29], s[4:5]
	s_cbranch_execnz .LBB373_34
.LBB373_157:
	s_or_b64 exec, exec, s[28:29]
                                        ; implicit-def: $vgpr38_vgpr39
	s_and_saveexec_b64 s[4:5], s[6:7]
	s_cbranch_execz .LBB373_35
.LBB373_158:
	v_lshlrev_b32_e32 v38, 3, v40
	v_mov_b32_e32 v39, 0
	v_lshl_add_u64 v[38:39], s[46:47], 0, v[38:39]
	flat_load_dwordx2 v[38:39], v[38:39]
	s_or_b64 exec, exec, s[4:5]
                                        ; implicit-def: $vgpr40_vgpr41
	s_and_saveexec_b64 s[4:5], s[8:9]
	s_cbranch_execnz .LBB373_36
.LBB373_159:
	s_or_b64 exec, exec, s[4:5]
                                        ; implicit-def: $vgpr42_vgpr43
	s_and_saveexec_b64 s[4:5], s[10:11]
	s_cbranch_execz .LBB373_37
.LBB373_160:
	v_lshlrev_b32_e32 v42, 3, v44
	v_mov_b32_e32 v43, 0
	v_lshl_add_u64 v[42:43], s[46:47], 0, v[42:43]
	flat_load_dwordx2 v[42:43], v[42:43]
	s_or_b64 exec, exec, s[4:5]
                                        ; implicit-def: $vgpr44_vgpr45
	s_and_saveexec_b64 s[4:5], s[12:13]
	s_cbranch_execnz .LBB373_38
.LBB373_161:
	s_or_b64 exec, exec, s[4:5]
                                        ; implicit-def: $vgpr46_vgpr47
	s_and_saveexec_b64 s[4:5], s[14:15]
	s_cbranch_execz .LBB373_39
.LBB373_162:
	v_lshlrev_b32_e32 v46, 3, v48
	v_mov_b32_e32 v47, 0
	v_lshl_add_u64 v[46:47], s[46:47], 0, v[46:47]
	flat_load_dwordx2 v[46:47], v[46:47]
	s_or_b64 exec, exec, s[4:5]
                                        ; implicit-def: $vgpr48_vgpr49
	s_and_saveexec_b64 s[4:5], s[16:17]
	s_cbranch_execnz .LBB373_40
.LBB373_163:
	s_or_b64 exec, exec, s[4:5]
                                        ; implicit-def: $vgpr50_vgpr51
	s_and_saveexec_b64 s[4:5], s[18:19]
	s_cbranch_execz .LBB373_41
.LBB373_164:
	v_lshlrev_b32_e32 v50, 3, v52
	v_mov_b32_e32 v51, 0
	v_lshl_add_u64 v[50:51], s[46:47], 0, v[50:51]
	flat_load_dwordx2 v[50:51], v[50:51]
	s_or_b64 exec, exec, s[4:5]
                                        ; implicit-def: $vgpr52_vgpr53
	s_and_saveexec_b64 s[4:5], s[20:21]
	s_cbranch_execnz .LBB373_42
.LBB373_165:
	s_or_b64 exec, exec, s[4:5]
                                        ; implicit-def: $vgpr54_vgpr55
	s_and_saveexec_b64 s[4:5], s[22:23]
	s_cbranch_execz .LBB373_43
.LBB373_166:
	v_lshlrev_b32_e32 v54, 3, v56
	v_mov_b32_e32 v55, 0
	v_lshl_add_u64 v[54:55], s[46:47], 0, v[54:55]
	flat_load_dwordx2 v[54:55], v[54:55]
	s_or_b64 exec, exec, s[4:5]
                                        ; implicit-def: $vgpr56_vgpr57
	s_and_saveexec_b64 s[4:5], s[24:25]
	s_cbranch_execz .LBB373_45
	s_branch .LBB373_44
.LBB373_167:
                                        ; implicit-def: $vgpr2_vgpr3
                                        ; implicit-def: $vgpr60_vgpr61
                                        ; implicit-def: $vgpr26_vgpr27
                                        ; implicit-def: $vgpr24_vgpr25
                                        ; implicit-def: $vgpr20_vgpr21
                                        ; implicit-def: $vgpr16_vgpr17
                                        ; implicit-def: $vgpr12_vgpr13
                                        ; implicit-def: $vgpr8_vgpr9
	s_cbranch_execz .LBB373_195
; %bb.168:
	s_cmp_lg_u64 s[58:59], 0
	s_cselect_b32 s3, s55, 0
	s_cselect_b32 s2, s54, 0
	s_cmp_eq_u64 s[2:3], 0
	v_mov_b64_e32 v[32:33], s[56:57]
	s_cbranch_scc1 .LBB373_170
; %bb.169:
	v_mov_b32_e32 v2, 0
	global_load_dwordx2 v[32:33], v2, s[2:3]
.LBB373_170:
	v_mov_b32_e32 v4, 0
	v_cmp_eq_u16_sdwa vcc, v64, v4 src0_sel:BYTE_0 src1_sel:DWORD
	v_cmp_eq_u16_sdwa s[2:3], v65, v4 src0_sel:BYTE_0 src1_sel:DWORD
	v_cmp_eq_u16_sdwa s[4:5], v66, v4 src0_sel:BYTE_0 src1_sel:DWORD
	v_cndmask_b32_e32 v3, 0, v55, vcc
	v_cndmask_b32_e32 v2, 0, v54, vcc
	v_lshl_add_u64 v[2:3], v[2:3], 0, v[30:31]
	v_cndmask_b32_e64 v3, 0, v3, s[2:3]
	v_cndmask_b32_e64 v2, 0, v2, s[2:3]
	v_lshl_add_u64 v[2:3], v[2:3], 0, v[50:51]
	v_cndmask_b32_e64 v3, 0, v3, s[4:5]
	v_cndmask_b32_e64 v2, 0, v2, s[4:5]
	v_lshl_add_u64 v[2:3], v[2:3], 0, v[46:47]
	v_cmp_eq_u16_sdwa s[6:7], v68, v4 src0_sel:BYTE_0 src1_sel:DWORD
	v_cmp_eq_u16_sdwa s[8:9], v69, v4 src0_sel:BYTE_0 src1_sel:DWORD
	;; [unrolled: 1-line block ×3, first 2 shown]
	v_cndmask_b32_e64 v3, 0, v3, s[6:7]
	v_cndmask_b32_e64 v2, 0, v2, s[6:7]
	v_lshl_add_u64 v[2:3], v[2:3], 0, v[48:49]
	v_cndmask_b32_e64 v3, 0, v3, s[8:9]
	v_cndmask_b32_e64 v2, 0, v2, s[8:9]
	v_lshl_add_u64 v[2:3], v[2:3], 0, v[42:43]
	;; [unrolled: 3-line block ×3, first 2 shown]
	v_cmp_eq_u16_sdwa s[12:13], v71, v4 src0_sel:BYTE_0 src1_sel:DWORD
	v_cmp_eq_u16_sdwa s[14:15], v72, v4 src0_sel:BYTE_0 src1_sel:DWORD
	;; [unrolled: 1-line block ×3, first 2 shown]
	v_cndmask_b32_e64 v3, 0, v3, s[12:13]
	v_cndmask_b32_e64 v2, 0, v2, s[12:13]
	v_lshl_add_u64 v[2:3], v[2:3], 0, v[38:39]
	v_cndmask_b32_e64 v3, 0, v3, s[14:15]
	v_cndmask_b32_e64 v2, 0, v2, s[14:15]
	v_cmp_eq_u16_sdwa s[18:19], v74, v4 src0_sel:BYTE_0 src1_sel:DWORD
	v_cmp_eq_u16_sdwa s[20:21], v75, v4 src0_sel:BYTE_0 src1_sel:DWORD
	;; [unrolled: 1-line block ×4, first 2 shown]
	v_or_b32_e32 v4, v63, v74
	v_lshl_add_u64 v[2:3], v[2:3], 0, v[40:41]
	v_or_b32_e32 v4, v4, v73
	v_cndmask_b32_e64 v3, 0, v3, s[16:17]
	v_cndmask_b32_e64 v2, 0, v2, s[16:17]
	v_or_b32_e32 v4, v4, v72
	v_lshl_add_u64 v[2:3], v[2:3], 0, v[52:53]
	v_or_b32_e32 v4, v4, v71
	v_cndmask_b32_e64 v3, 0, v3, s[18:19]
	v_cndmask_b32_e64 v2, 0, v2, s[18:19]
	;; [unrolled: 5-line block ×5, first 2 shown]
	v_or_b32_e32 v4, v4, v1
	v_mbcnt_hi_u32_b32 v6, -1, v62
	v_lshl_add_u64 v[2:3], v[2:3], 0, v[28:29]
	v_and_b32_e32 v7, 1, v4
	v_and_b32_e32 v5, 15, v6
	v_cmp_eq_u32_e64 s[24:25], 1, v7
	v_mov_b32_dpp v9, v2 row_shr:1 row_mask:0xf bank_mask:0xf
	v_mov_b32_dpp v10, v3 row_shr:1 row_mask:0xf bank_mask:0xf
	;; [unrolled: 1-line block ×3, first 2 shown]
	v_cmp_ne_u32_e64 s[26:27], 0, v5
	v_mov_b32_e32 v4, v7
	s_and_saveexec_b64 s[28:29], s[26:27]
; %bb.171:
	v_and_b32_e32 v4, 1, v8
	v_cndmask_b32_e64 v11, v10, 0, s[24:25]
	v_cndmask_b32_e64 v10, v9, 0, s[24:25]
	v_or_b32_e32 v7, v4, v7
	v_lshl_add_u64 v[2:3], v[10:11], 0, v[2:3]
	v_and_b32_e32 v4, 0xffff, v7
; %bb.172:
	s_or_b64 exec, exec, s[28:29]
	v_mov_b32_dpp v9, v2 row_shr:2 row_mask:0xf bank_mask:0xf
	v_mov_b32_dpp v10, v3 row_shr:2 row_mask:0xf bank_mask:0xf
	;; [unrolled: 1-line block ×3, first 2 shown]
	v_cmp_lt_u32_e64 s[24:25], 1, v5
	s_and_saveexec_b64 s[28:29], s[24:25]
; %bb.173:
	v_cmp_eq_u16_e64 s[24:25], 0, v7
	v_and_b32_e32 v4, 1, v7
	s_nop 0
	v_cndmask_b32_e64 v11, 0, v10, s[24:25]
	v_cndmask_b32_e64 v10, 0, v9, s[24:25]
	v_cmp_eq_u32_e64 s[24:25], 1, v4
	v_and_b32_e32 v4, 1, v8
	v_cmp_eq_u32_e64 s[26:27], 1, v4
	s_or_b64 s[24:25], s[24:25], s[26:27]
	v_lshl_add_u64 v[2:3], v[10:11], 0, v[2:3]
	v_cndmask_b32_e64 v7, 0, 1, s[24:25]
	v_cndmask_b32_e64 v4, 0, 1, s[24:25]
; %bb.174:
	s_or_b64 exec, exec, s[28:29]
	v_mov_b32_dpp v9, v2 row_shr:4 row_mask:0xf bank_mask:0xf
	v_mov_b32_dpp v10, v3 row_shr:4 row_mask:0xf bank_mask:0xf
	;; [unrolled: 1-line block ×3, first 2 shown]
	v_cmp_lt_u32_e64 s[24:25], 3, v5
	s_and_saveexec_b64 s[28:29], s[24:25]
; %bb.175:
	v_cmp_eq_u16_e64 s[24:25], 0, v7
	v_and_b32_e32 v4, 1, v7
	s_nop 0
	v_cndmask_b32_e64 v11, 0, v10, s[24:25]
	v_cndmask_b32_e64 v10, 0, v9, s[24:25]
	v_cmp_eq_u32_e64 s[24:25], 1, v4
	v_and_b32_e32 v4, 1, v8
	v_cmp_eq_u32_e64 s[26:27], 1, v4
	s_or_b64 s[24:25], s[24:25], s[26:27]
	v_lshl_add_u64 v[2:3], v[10:11], 0, v[2:3]
	v_cndmask_b32_e64 v7, 0, 1, s[24:25]
	v_cndmask_b32_e64 v4, 0, 1, s[24:25]
; %bb.176:
	s_or_b64 exec, exec, s[28:29]
	v_mov_b32_dpp v9, v2 row_shr:8 row_mask:0xf bank_mask:0xf
	v_mov_b32_dpp v10, v3 row_shr:8 row_mask:0xf bank_mask:0xf
	;; [unrolled: 1-line block ×3, first 2 shown]
	v_cmp_lt_u32_e64 s[24:25], 7, v5
	s_and_saveexec_b64 s[28:29], s[24:25]
; %bb.177:
	v_cmp_eq_u16_e64 s[24:25], 0, v7
	s_nop 1
	v_cndmask_b32_e64 v5, 0, v10, s[24:25]
	v_cndmask_b32_e64 v4, 0, v9, s[24:25]
	v_lshl_add_u64 v[2:3], v[4:5], 0, v[2:3]
	v_and_b32_e32 v4, 1, v7
	v_cmp_eq_u32_e64 s[24:25], 1, v4
	v_and_b32_e32 v4, 1, v8
	v_cmp_eq_u32_e64 s[26:27], 1, v4
	s_or_b64 s[24:25], s[24:25], s[26:27]
	v_cndmask_b32_e64 v7, 0, 1, s[24:25]
	v_cndmask_b32_e64 v4, 0, 1, s[24:25]
; %bb.178:
	s_or_b64 exec, exec, s[28:29]
	v_and_b32_e32 v10, 16, v6
	v_mov_b32_dpp v8, v2 row_bcast:15 row_mask:0xf bank_mask:0xf
	v_mov_b32_dpp v9, v3 row_bcast:15 row_mask:0xf bank_mask:0xf
	;; [unrolled: 1-line block ×3, first 2 shown]
	v_cmp_ne_u32_e64 s[24:25], 0, v10
	s_and_saveexec_b64 s[28:29], s[24:25]
; %bb.179:
	v_cmp_eq_u16_e64 s[24:25], 0, v7
	v_and_b32_e32 v4, 1, v7
	s_nop 0
	v_cndmask_b32_e64 v9, 0, v9, s[24:25]
	v_cndmask_b32_e64 v8, 0, v8, s[24:25]
	v_cmp_eq_u32_e64 s[24:25], 1, v4
	v_and_b32_e32 v4, 1, v5
	v_cmp_eq_u32_e64 s[26:27], 1, v4
	s_or_b64 s[24:25], s[24:25], s[26:27]
	v_lshl_add_u64 v[2:3], v[8:9], 0, v[2:3]
	v_cndmask_b32_e64 v7, 0, 1, s[24:25]
	v_cndmask_b32_e64 v4, 0, 1, s[24:25]
; %bb.180:
	s_or_b64 exec, exec, s[28:29]
	v_mov_b32_dpp v5, v2 row_bcast:31 row_mask:0xf bank_mask:0xf
	v_mov_b32_dpp v8, v3 row_bcast:31 row_mask:0xf bank_mask:0xf
	;; [unrolled: 1-line block ×3, first 2 shown]
	v_cmp_lt_u32_e64 s[24:25], 31, v6
	s_and_saveexec_b64 s[28:29], s[24:25]
; %bb.181:
	v_cmp_eq_u16_e64 s[24:25], 0, v7
	v_and_b32_e32 v4, 1, v4
	v_cmp_eq_u32_e64 s[26:27], 1, v4
	v_cndmask_b32_e64 v9, 0, v8, s[24:25]
	v_cndmask_b32_e64 v8, 0, v5, s[24:25]
	v_and_b32_e32 v5, 1, v7
	v_cmp_eq_u32_e64 s[24:25], 1, v5
	s_or_b64 s[24:25], s[24:25], s[26:27]
	v_lshl_add_u64 v[2:3], v[8:9], 0, v[2:3]
	v_cndmask_b32_e64 v7, 0, 1, s[24:25]
; %bb.182:
	s_or_b64 exec, exec, s[28:29]
	v_or_b32_e32 v4, 63, v0
	v_lshrrev_b32_e32 v8, 6, v0
	v_cmp_eq_u32_e64 s[24:25], v4, v0
	s_and_saveexec_b64 s[26:27], s[24:25]
	s_cbranch_execz .LBB373_184
; %bb.183:
	v_lshlrev_b32_e32 v4, 4, v8
	ds_write_b64 v4, v[2:3]
	ds_write_b8 v4, v7 offset:8
.LBB373_184:
	s_or_b64 exec, exec, s[26:27]
	v_cmp_gt_u32_e64 s[24:25], 4, v0
	s_waitcnt lgkmcnt(0)
	s_barrier
	s_and_saveexec_b64 s[28:29], s[24:25]
	s_cbranch_execz .LBB373_190
; %bb.185:
	v_lshlrev_b32_e32 v9, 4, v0
	ds_read_b64 v[4:5], v9
	ds_read_b32 v10, v9 offset:8
	v_and_b32_e32 v11, 3, v6
	v_cmp_ne_u32_e64 s[24:25], 0, v11
	s_waitcnt lgkmcnt(1)
	v_mov_b32_dpp v15, v4 row_shr:1 row_mask:0xf bank_mask:0xf
	v_mov_b32_dpp v16, v5 row_shr:1 row_mask:0xf bank_mask:0xf
	s_waitcnt lgkmcnt(0)
	v_mov_b32_dpp v14, v10 row_shr:1 row_mask:0xf bank_mask:0xf
	v_mov_b32_e32 v12, v10
	v_mov_b32_e32 v13, v10
	s_and_saveexec_b64 s[26:27], s[24:25]
; %bb.186:
	v_mov_b32_e32 v12, 0
	v_cmp_eq_u16_sdwa s[24:25], v10, v12 src0_sel:BYTE_0 src1_sel:DWORD
	s_nop 1
	v_cndmask_b32_e64 v13, 0, v16, s[24:25]
	v_cndmask_b32_e64 v12, 0, v15, s[24:25]
	v_lshl_add_u64 v[4:5], v[12:13], 0, v[4:5]
	v_or_b32_e32 v13, v14, v10
	v_and_b32_e32 v12, 1, v13
	v_and_b32_e32 v13, 1, v13
	s_movk_i32 s24, 0xff00
	v_and_or_b32 v10, v10, s24, v13
; %bb.187:
	s_or_b64 exec, exec, s[26:27]
	v_mov_b32_dpp v14, v4 row_shr:2 row_mask:0xf bank_mask:0xf
	v_mov_b32_dpp v15, v5 row_shr:2 row_mask:0xf bank_mask:0xf
	;; [unrolled: 1-line block ×3, first 2 shown]
	v_cmp_lt_u32_e64 s[24:25], 1, v11
	s_and_saveexec_b64 s[30:31], s[24:25]
; %bb.188:
	v_mov_b32_e32 v11, 0
	v_cmp_eq_u16_sdwa s[24:25], v13, v11 src0_sel:BYTE_0 src1_sel:DWORD
	v_and_b32_e32 v11, 1, v13
	v_and_b32_e32 v10, 1, v10
	v_cndmask_b32_e64 v15, 0, v15, s[24:25]
	v_cndmask_b32_e64 v14, 0, v14, s[24:25]
	v_cmp_eq_u32_e64 s[24:25], 1, v11
	v_cmp_eq_u32_e64 s[26:27], 1, v10
	s_or_b64 s[24:25], s[24:25], s[26:27]
	v_lshl_add_u64 v[4:5], v[14:15], 0, v[4:5]
	v_cndmask_b32_e64 v12, 0, 1, s[24:25]
; %bb.189:
	s_or_b64 exec, exec, s[30:31]
	ds_write_b64 v9, v[4:5]
	ds_write_b8 v9, v12 offset:8
.LBB373_190:
	s_or_b64 exec, exec, s[28:29]
	v_cmp_lt_u32_e64 s[24:25], 63, v0
	s_waitcnt vmcnt(0)
	v_mov_b64_e32 v[4:5], v[32:33]
	s_waitcnt lgkmcnt(0)
	s_barrier
	s_and_saveexec_b64 s[26:27], s[24:25]
	s_cbranch_execz .LBB373_192
; %bb.191:
	v_lshl_add_u32 v4, v8, 4, -16
	ds_read_u8 v8, v4 offset:8
	ds_read_b64 v[4:5], v4
	s_waitcnt lgkmcnt(1)
	v_cmp_eq_u16_e64 s[24:25], 0, v8
	s_nop 1
	v_cndmask_b32_e64 v9, 0, v33, s[24:25]
	v_cndmask_b32_e64 v8, 0, v32, s[24:25]
	s_waitcnt lgkmcnt(0)
	v_lshl_add_u64 v[4:5], v[8:9], 0, v[4:5]
.LBB373_192:
	s_or_b64 exec, exec, s[26:27]
	v_cmp_eq_u16_e64 s[24:25], 0, v7
	v_add_u32_e32 v7, -1, v6
	v_mov_b32_e32 v28, 0
	v_cndmask_b32_e64 v9, 0, v5, s[24:25]
	v_cndmask_b32_e64 v8, 0, v4, s[24:25]
	v_lshl_add_u64 v[2:3], v[8:9], 0, v[2:3]
	v_and_b32_e32 v8, 64, v6
	v_cmp_lt_i32_e64 s[24:25], v7, v8
	v_cmp_eq_u16_sdwa s[26:27], v1, v28 src0_sel:BYTE_0 src1_sel:DWORD
	s_nop 0
	v_cndmask_b32_e64 v7, v7, v6, s[24:25]
	v_lshlrev_b32_e32 v7, 2, v7
	ds_bpermute_b32 v3, v7, v3
	ds_bpermute_b32 v2, v7, v2
	v_cmp_eq_u32_e64 s[24:25], 0, v6
	s_waitcnt lgkmcnt(1)
	s_nop 0
	v_cndmask_b32_e64 v3, v3, v5, s[24:25]
	s_waitcnt lgkmcnt(0)
	v_cndmask_b32_e64 v2, v2, v4, s[24:25]
	v_cmp_eq_u32_e64 s[24:25], 0, v0
	s_nop 1
	v_cndmask_b32_e64 v4, v2, v32, s[24:25]
	v_cndmask_b32_e64 v5, v3, v33, s[24:25]
	;; [unrolled: 1-line block ×4, first 2 shown]
	v_lshl_add_u64 v[4:5], v[4:5], 0, v[54:55]
	v_cndmask_b32_e32 v7, 0, v5, vcc
	v_cndmask_b32_e32 v6, 0, v4, vcc
	v_lshl_add_u64 v[6:7], v[6:7], 0, v[30:31]
	v_cndmask_b32_e64 v9, 0, v7, s[2:3]
	v_cndmask_b32_e64 v8, 0, v6, s[2:3]
	v_lshl_add_u64 v[8:9], v[8:9], 0, v[50:51]
	v_cndmask_b32_e64 v11, 0, v9, s[4:5]
	v_cndmask_b32_e64 v10, 0, v8, s[4:5]
	;; [unrolled: 3-line block ×11, first 2 shown]
	s_and_saveexec_b64 s[2:3], s[24:25]
	s_cbranch_execz .LBB373_194
; %bb.193:
	ds_read_u8 v1, v28 offset:56
	ds_read_b64 v[2:3], v28 offset:48
	s_waitcnt lgkmcnt(1)
	v_cmp_eq_u32_e32 vcc, 0, v1
	s_nop 1
	v_cndmask_b32_e32 v31, 0, v33, vcc
	v_cndmask_b32_e32 v30, 0, v32, vcc
	s_waitcnt lgkmcnt(0)
	v_lshl_add_u64 v[2:3], v[30:31], 0, v[2:3]
	global_store_dword v28, v2, s[38:39] offset:1024 sc1
	global_store_dword v28, v3, s[38:39] offset:1028 sc1
	;; [unrolled: 1-line block ×4, first 2 shown]
	v_mov_b32_e32 v1, 2
	v_mov_b64_e32 v[2:3], v[32:33]
	s_waitcnt vmcnt(0)
	global_store_byte v28, v1, s[40:41] offset:64 sc1
.LBB373_194:
	s_or_b64 exec, exec, s[2:3]
.LBB373_195:
	s_add_u32 s2, s50, s34
	s_addc_u32 s3, s51, s35
	s_add_u32 s2, s2, s44
	v_mul_u32_u24_e32 v1, 14, v0
	v_lshl_add_u64 v[28:29], v[60:61], 0, v[34:35]
	s_addc_u32 s3, s3, s45
	s_and_b64 vcc, exec, s[0:1]
	v_lshlrev_b32_e32 v60, 3, v1
	s_cbranch_vccz .LBB373_223
; %bb.196:
	s_movk_i32 s0, 0xff98
	v_mad_i32_i24 v1, v0, s0, v60
	s_barrier
	ds_write_b128 v60, v[2:5]
	ds_write_b128 v60, v[6:9] offset:16
	ds_write_b128 v60, v[10:13] offset:32
	;; [unrolled: 1-line block ×6, first 2 shown]
	s_waitcnt lgkmcnt(0)
	s_barrier
	ds_read2st64_b64 v[52:55], v1 offset0:4 offset1:8
	ds_read2st64_b64 v[48:51], v1 offset0:12 offset1:16
	;; [unrolled: 1-line block ×6, first 2 shown]
	ds_read_b64 v[30:31], v1 offset:26624
	s_add_i32 s33, s33, s42
	v_mov_b32_e32 v59, 0
	v_lshl_add_u64 v[56:57], s[2:3], 0, v[58:59]
	v_cmp_gt_u32_e32 vcc, s33, v0
	s_and_saveexec_b64 s[0:1], vcc
	s_cbranch_execz .LBB373_198
; %bb.197:
	v_mul_i32_i24_e32 v1, 0xffffff98, v0
	v_add_u32_e32 v1, v60, v1
	ds_read_b64 v[62:63], v1
	s_waitcnt lgkmcnt(0)
	flat_store_dwordx2 v[56:57], v[62:63]
.LBB373_198:
	s_or_b64 exec, exec, s[0:1]
	v_or_b32_e32 v1, 0x100, v0
	v_cmp_gt_u32_e32 vcc, s33, v1
	s_and_saveexec_b64 s[0:1], vcc
	s_cbranch_execz .LBB373_200
; %bb.199:
	s_waitcnt lgkmcnt(0)
	flat_store_dwordx2 v[56:57], v[52:53] offset:2048
.LBB373_200:
	s_or_b64 exec, exec, s[0:1]
	v_or_b32_e32 v1, 0x200, v0
	v_cmp_gt_u32_e32 vcc, s33, v1
	s_and_saveexec_b64 s[0:1], vcc
	s_cbranch_execz .LBB373_202
; %bb.201:
	s_waitcnt lgkmcnt(0)
	v_add_co_u32_e32 v52, vcc, 0x1000, v56
	s_nop 1
	v_addc_co_u32_e32 v53, vcc, 0, v57, vcc
	flat_store_dwordx2 v[52:53], v[54:55]
.LBB373_202:
	s_or_b64 exec, exec, s[0:1]
	v_or_b32_e32 v1, 0x300, v0
	v_cmp_gt_u32_e32 vcc, s33, v1
	s_and_saveexec_b64 s[0:1], vcc
	s_cbranch_execz .LBB373_204
; %bb.203:
	s_waitcnt lgkmcnt(0)
	v_add_co_u32_e32 v52, vcc, 0x1000, v56
	s_nop 1
	v_addc_co_u32_e32 v53, vcc, 0, v57, vcc
	flat_store_dwordx2 v[52:53], v[48:49] offset:2048
.LBB373_204:
	s_or_b64 exec, exec, s[0:1]
	v_or_b32_e32 v1, 0x400, v0
	v_cmp_gt_u32_e32 vcc, s33, v1
	s_and_saveexec_b64 s[0:1], vcc
	s_cbranch_execz .LBB373_206
; %bb.205:
	s_waitcnt lgkmcnt(0)
	v_add_co_u32_e32 v48, vcc, 0x2000, v56
	s_nop 1
	v_addc_co_u32_e32 v49, vcc, 0, v57, vcc
	flat_store_dwordx2 v[48:49], v[50:51]
.LBB373_206:
	s_or_b64 exec, exec, s[0:1]
	v_or_b32_e32 v1, 0x500, v0
	v_cmp_gt_u32_e32 vcc, s33, v1
	s_and_saveexec_b64 s[0:1], vcc
	s_cbranch_execz .LBB373_208
; %bb.207:
	s_waitcnt lgkmcnt(0)
	v_add_co_u32_e32 v48, vcc, 0x2000, v56
	s_nop 1
	v_addc_co_u32_e32 v49, vcc, 0, v57, vcc
	flat_store_dwordx2 v[48:49], v[44:45] offset:2048
.LBB373_208:
	;; [unrolled: 24-line block ×5, first 2 shown]
	s_or_b64 exec, exec, s[0:1]
	v_or_b32_e32 v1, 0xc00, v0
	v_cmp_gt_u32_e32 vcc, s33, v1
	s_and_saveexec_b64 s[0:1], vcc
	s_cbranch_execz .LBB373_222
; %bb.221:
	s_waitcnt lgkmcnt(0)
	v_add_co_u32_e32 v32, vcc, 0x6000, v56
	s_nop 1
	v_addc_co_u32_e32 v33, vcc, 0, v57, vcc
	flat_store_dwordx2 v[32:33], v[34:35]
.LBB373_222:
	s_or_b64 exec, exec, s[0:1]
	s_waitcnt lgkmcnt(0)
	v_or_b32_e32 v32, 0xd00, v0
	v_mov_b32_e32 v1, v59
	v_cmp_gt_u32_e64 s[0:1], s33, v32
	s_branch .LBB373_225
.LBB373_223:
	s_mov_b64 s[0:1], 0
                                        ; implicit-def: $vgpr30_vgpr31
	s_cbranch_execz .LBB373_225
; %bb.224:
	v_mov_b32_e32 v1, 0
	s_movk_i32 s4, 0xff98
	s_barrier
	ds_write_b128 v60, v[2:5]
	ds_write_b128 v60, v[6:9] offset:16
	ds_write_b128 v60, v[10:13] offset:32
	ds_write_b128 v60, v[14:17] offset:48
	ds_write_b128 v60, v[18:21] offset:64
	ds_write_b128 v60, v[22:25] offset:80
	ds_write_b128 v60, v[26:29] offset:96
	v_mad_i32_i24 v26, v0, s4, v60
	v_mov_b32_e32 v59, v1
	s_waitcnt lgkmcnt(0)
	s_barrier
	ds_read2st64_b64 v[2:5], v26 offset1:4
	ds_read2st64_b64 v[6:9], v26 offset0:8 offset1:12
	ds_read2st64_b64 v[10:13], v26 offset0:16 offset1:20
	ds_read2st64_b64 v[14:17], v26 offset0:24 offset1:28
	ds_read2st64_b64 v[18:21], v26 offset0:32 offset1:36
	ds_read2st64_b64 v[22:25], v26 offset0:40 offset1:44
	ds_read2st64_b64 v[28:31], v26 offset0:48 offset1:52
	v_lshl_add_u64 v[26:27], s[2:3], 0, v[58:59]
	s_movk_i32 s4, 0x1000
	s_waitcnt lgkmcnt(0)
	flat_store_dwordx2 v[26:27], v[2:3]
	flat_store_dwordx2 v[26:27], v[4:5] offset:2048
	v_add_co_u32_e32 v2, vcc, s4, v26
	s_movk_i32 s4, 0x2000
	s_nop 0
	v_addc_co_u32_e32 v3, vcc, 0, v27, vcc
	flat_store_dwordx2 v[2:3], v[6:7]
	flat_store_dwordx2 v[2:3], v[8:9] offset:2048
	v_add_co_u32_e32 v2, vcc, s4, v26
	s_movk_i32 s4, 0x3000
	s_nop 0
	v_addc_co_u32_e32 v3, vcc, 0, v27, vcc
	;; [unrolled: 6-line block ×3, first 2 shown]
	flat_store_dwordx2 v[2:3], v[14:15]
	flat_store_dwordx2 v[2:3], v[16:17] offset:2048
	v_add_co_u32_e32 v2, vcc, s4, v26
	s_or_b64 s[0:1], s[0:1], exec
	s_nop 0
	v_addc_co_u32_e32 v3, vcc, 0, v27, vcc
	flat_store_dwordx2 v[2:3], v[18:19]
	flat_store_dwordx2 v[2:3], v[20:21] offset:2048
	v_add_co_u32_e32 v2, vcc, 0x5000, v26
	s_nop 1
	v_addc_co_u32_e32 v3, vcc, 0, v27, vcc
	flat_store_dwordx2 v[2:3], v[22:23]
	flat_store_dwordx2 v[2:3], v[24:25] offset:2048
	v_add_co_u32_e32 v2, vcc, 0x6000, v26
	s_nop 1
	v_addc_co_u32_e32 v3, vcc, 0, v27, vcc
	flat_store_dwordx2 v[2:3], v[28:29]
.LBB373_225:
	s_and_saveexec_b64 s[4:5], s[0:1]
	s_cbranch_execz .LBB373_227
; %bb.226:
	v_lshl_add_u64 v[0:1], v[0:1], 3, s[2:3]
	v_add_co_u32_e32 v0, vcc, 0x6000, v0
	s_nop 1
	v_addc_co_u32_e32 v1, vcc, 0, v1, vcc
	flat_store_dwordx2 v[0:1], v[30:31] offset:2048
	s_endpgm
.LBB373_227:
	s_endpgm
	.section	.rodata,"a",@progbits
	.p2align	6, 0x0
	.amdhsa_kernel _ZN7rocprim17ROCPRIM_400000_NS6detail17trampoline_kernelINS0_14default_configENS1_27scan_by_key_config_selectorIxxEEZZNS1_16scan_by_key_implILNS1_25lookback_scan_determinismE0ELb1ES3_N6thrust23THRUST_200600_302600_NS6detail15normal_iteratorINS9_10device_ptrIxEEEESE_SE_xNS9_4plusIvEENS9_8equal_toIvEExEE10hipError_tPvRmT2_T3_T4_T5_mT6_T7_P12ihipStream_tbENKUlT_T0_E_clISt17integral_constantIbLb1EESY_IbLb0EEEEDaSU_SV_EUlSU_E_NS1_11comp_targetILNS1_3genE5ELNS1_11target_archE942ELNS1_3gpuE9ELNS1_3repE0EEENS1_30default_config_static_selectorELNS0_4arch9wavefront6targetE1EEEvT1_
		.amdhsa_group_segment_fixed_size 32768
		.amdhsa_private_segment_fixed_size 0
		.amdhsa_kernarg_size 136
		.amdhsa_user_sgpr_count 2
		.amdhsa_user_sgpr_dispatch_ptr 0
		.amdhsa_user_sgpr_queue_ptr 0
		.amdhsa_user_sgpr_kernarg_segment_ptr 1
		.amdhsa_user_sgpr_dispatch_id 0
		.amdhsa_user_sgpr_kernarg_preload_length 0
		.amdhsa_user_sgpr_kernarg_preload_offset 0
		.amdhsa_user_sgpr_private_segment_size 0
		.amdhsa_uses_dynamic_stack 0
		.amdhsa_enable_private_segment 0
		.amdhsa_system_sgpr_workgroup_id_x 1
		.amdhsa_system_sgpr_workgroup_id_y 0
		.amdhsa_system_sgpr_workgroup_id_z 0
		.amdhsa_system_sgpr_workgroup_info 0
		.amdhsa_system_vgpr_workitem_id 0
		.amdhsa_next_free_vgpr 85
		.amdhsa_next_free_sgpr 64
		.amdhsa_accum_offset 88
		.amdhsa_reserve_vcc 1
		.amdhsa_float_round_mode_32 0
		.amdhsa_float_round_mode_16_64 0
		.amdhsa_float_denorm_mode_32 3
		.amdhsa_float_denorm_mode_16_64 3
		.amdhsa_dx10_clamp 1
		.amdhsa_ieee_mode 1
		.amdhsa_fp16_overflow 0
		.amdhsa_tg_split 0
		.amdhsa_exception_fp_ieee_invalid_op 0
		.amdhsa_exception_fp_denorm_src 0
		.amdhsa_exception_fp_ieee_div_zero 0
		.amdhsa_exception_fp_ieee_overflow 0
		.amdhsa_exception_fp_ieee_underflow 0
		.amdhsa_exception_fp_ieee_inexact 0
		.amdhsa_exception_int_div_zero 0
	.end_amdhsa_kernel
	.section	.text._ZN7rocprim17ROCPRIM_400000_NS6detail17trampoline_kernelINS0_14default_configENS1_27scan_by_key_config_selectorIxxEEZZNS1_16scan_by_key_implILNS1_25lookback_scan_determinismE0ELb1ES3_N6thrust23THRUST_200600_302600_NS6detail15normal_iteratorINS9_10device_ptrIxEEEESE_SE_xNS9_4plusIvEENS9_8equal_toIvEExEE10hipError_tPvRmT2_T3_T4_T5_mT6_T7_P12ihipStream_tbENKUlT_T0_E_clISt17integral_constantIbLb1EESY_IbLb0EEEEDaSU_SV_EUlSU_E_NS1_11comp_targetILNS1_3genE5ELNS1_11target_archE942ELNS1_3gpuE9ELNS1_3repE0EEENS1_30default_config_static_selectorELNS0_4arch9wavefront6targetE1EEEvT1_,"axG",@progbits,_ZN7rocprim17ROCPRIM_400000_NS6detail17trampoline_kernelINS0_14default_configENS1_27scan_by_key_config_selectorIxxEEZZNS1_16scan_by_key_implILNS1_25lookback_scan_determinismE0ELb1ES3_N6thrust23THRUST_200600_302600_NS6detail15normal_iteratorINS9_10device_ptrIxEEEESE_SE_xNS9_4plusIvEENS9_8equal_toIvEExEE10hipError_tPvRmT2_T3_T4_T5_mT6_T7_P12ihipStream_tbENKUlT_T0_E_clISt17integral_constantIbLb1EESY_IbLb0EEEEDaSU_SV_EUlSU_E_NS1_11comp_targetILNS1_3genE5ELNS1_11target_archE942ELNS1_3gpuE9ELNS1_3repE0EEENS1_30default_config_static_selectorELNS0_4arch9wavefront6targetE1EEEvT1_,comdat
.Lfunc_end373:
	.size	_ZN7rocprim17ROCPRIM_400000_NS6detail17trampoline_kernelINS0_14default_configENS1_27scan_by_key_config_selectorIxxEEZZNS1_16scan_by_key_implILNS1_25lookback_scan_determinismE0ELb1ES3_N6thrust23THRUST_200600_302600_NS6detail15normal_iteratorINS9_10device_ptrIxEEEESE_SE_xNS9_4plusIvEENS9_8equal_toIvEExEE10hipError_tPvRmT2_T3_T4_T5_mT6_T7_P12ihipStream_tbENKUlT_T0_E_clISt17integral_constantIbLb1EESY_IbLb0EEEEDaSU_SV_EUlSU_E_NS1_11comp_targetILNS1_3genE5ELNS1_11target_archE942ELNS1_3gpuE9ELNS1_3repE0EEENS1_30default_config_static_selectorELNS0_4arch9wavefront6targetE1EEEvT1_, .Lfunc_end373-_ZN7rocprim17ROCPRIM_400000_NS6detail17trampoline_kernelINS0_14default_configENS1_27scan_by_key_config_selectorIxxEEZZNS1_16scan_by_key_implILNS1_25lookback_scan_determinismE0ELb1ES3_N6thrust23THRUST_200600_302600_NS6detail15normal_iteratorINS9_10device_ptrIxEEEESE_SE_xNS9_4plusIvEENS9_8equal_toIvEExEE10hipError_tPvRmT2_T3_T4_T5_mT6_T7_P12ihipStream_tbENKUlT_T0_E_clISt17integral_constantIbLb1EESY_IbLb0EEEEDaSU_SV_EUlSU_E_NS1_11comp_targetILNS1_3genE5ELNS1_11target_archE942ELNS1_3gpuE9ELNS1_3repE0EEENS1_30default_config_static_selectorELNS0_4arch9wavefront6targetE1EEEvT1_
                                        ; -- End function
	.section	.AMDGPU.csdata,"",@progbits
; Kernel info:
; codeLenInByte = 12852
; NumSgprs: 70
; NumVgprs: 85
; NumAgprs: 0
; TotalNumVgprs: 85
; ScratchSize: 0
; MemoryBound: 0
; FloatMode: 240
; IeeeMode: 1
; LDSByteSize: 32768 bytes/workgroup (compile time only)
; SGPRBlocks: 8
; VGPRBlocks: 10
; NumSGPRsForWavesPerEU: 70
; NumVGPRsForWavesPerEU: 85
; AccumOffset: 88
; Occupancy: 2
; WaveLimiterHint : 1
; COMPUTE_PGM_RSRC2:SCRATCH_EN: 0
; COMPUTE_PGM_RSRC2:USER_SGPR: 2
; COMPUTE_PGM_RSRC2:TRAP_HANDLER: 0
; COMPUTE_PGM_RSRC2:TGID_X_EN: 1
; COMPUTE_PGM_RSRC2:TGID_Y_EN: 0
; COMPUTE_PGM_RSRC2:TGID_Z_EN: 0
; COMPUTE_PGM_RSRC2:TIDIG_COMP_CNT: 0
; COMPUTE_PGM_RSRC3_GFX90A:ACCUM_OFFSET: 21
; COMPUTE_PGM_RSRC3_GFX90A:TG_SPLIT: 0
	.section	.text._ZN7rocprim17ROCPRIM_400000_NS6detail17trampoline_kernelINS0_14default_configENS1_27scan_by_key_config_selectorIxxEEZZNS1_16scan_by_key_implILNS1_25lookback_scan_determinismE0ELb1ES3_N6thrust23THRUST_200600_302600_NS6detail15normal_iteratorINS9_10device_ptrIxEEEESE_SE_xNS9_4plusIvEENS9_8equal_toIvEExEE10hipError_tPvRmT2_T3_T4_T5_mT6_T7_P12ihipStream_tbENKUlT_T0_E_clISt17integral_constantIbLb1EESY_IbLb0EEEEDaSU_SV_EUlSU_E_NS1_11comp_targetILNS1_3genE4ELNS1_11target_archE910ELNS1_3gpuE8ELNS1_3repE0EEENS1_30default_config_static_selectorELNS0_4arch9wavefront6targetE1EEEvT1_,"axG",@progbits,_ZN7rocprim17ROCPRIM_400000_NS6detail17trampoline_kernelINS0_14default_configENS1_27scan_by_key_config_selectorIxxEEZZNS1_16scan_by_key_implILNS1_25lookback_scan_determinismE0ELb1ES3_N6thrust23THRUST_200600_302600_NS6detail15normal_iteratorINS9_10device_ptrIxEEEESE_SE_xNS9_4plusIvEENS9_8equal_toIvEExEE10hipError_tPvRmT2_T3_T4_T5_mT6_T7_P12ihipStream_tbENKUlT_T0_E_clISt17integral_constantIbLb1EESY_IbLb0EEEEDaSU_SV_EUlSU_E_NS1_11comp_targetILNS1_3genE4ELNS1_11target_archE910ELNS1_3gpuE8ELNS1_3repE0EEENS1_30default_config_static_selectorELNS0_4arch9wavefront6targetE1EEEvT1_,comdat
	.protected	_ZN7rocprim17ROCPRIM_400000_NS6detail17trampoline_kernelINS0_14default_configENS1_27scan_by_key_config_selectorIxxEEZZNS1_16scan_by_key_implILNS1_25lookback_scan_determinismE0ELb1ES3_N6thrust23THRUST_200600_302600_NS6detail15normal_iteratorINS9_10device_ptrIxEEEESE_SE_xNS9_4plusIvEENS9_8equal_toIvEExEE10hipError_tPvRmT2_T3_T4_T5_mT6_T7_P12ihipStream_tbENKUlT_T0_E_clISt17integral_constantIbLb1EESY_IbLb0EEEEDaSU_SV_EUlSU_E_NS1_11comp_targetILNS1_3genE4ELNS1_11target_archE910ELNS1_3gpuE8ELNS1_3repE0EEENS1_30default_config_static_selectorELNS0_4arch9wavefront6targetE1EEEvT1_ ; -- Begin function _ZN7rocprim17ROCPRIM_400000_NS6detail17trampoline_kernelINS0_14default_configENS1_27scan_by_key_config_selectorIxxEEZZNS1_16scan_by_key_implILNS1_25lookback_scan_determinismE0ELb1ES3_N6thrust23THRUST_200600_302600_NS6detail15normal_iteratorINS9_10device_ptrIxEEEESE_SE_xNS9_4plusIvEENS9_8equal_toIvEExEE10hipError_tPvRmT2_T3_T4_T5_mT6_T7_P12ihipStream_tbENKUlT_T0_E_clISt17integral_constantIbLb1EESY_IbLb0EEEEDaSU_SV_EUlSU_E_NS1_11comp_targetILNS1_3genE4ELNS1_11target_archE910ELNS1_3gpuE8ELNS1_3repE0EEENS1_30default_config_static_selectorELNS0_4arch9wavefront6targetE1EEEvT1_
	.globl	_ZN7rocprim17ROCPRIM_400000_NS6detail17trampoline_kernelINS0_14default_configENS1_27scan_by_key_config_selectorIxxEEZZNS1_16scan_by_key_implILNS1_25lookback_scan_determinismE0ELb1ES3_N6thrust23THRUST_200600_302600_NS6detail15normal_iteratorINS9_10device_ptrIxEEEESE_SE_xNS9_4plusIvEENS9_8equal_toIvEExEE10hipError_tPvRmT2_T3_T4_T5_mT6_T7_P12ihipStream_tbENKUlT_T0_E_clISt17integral_constantIbLb1EESY_IbLb0EEEEDaSU_SV_EUlSU_E_NS1_11comp_targetILNS1_3genE4ELNS1_11target_archE910ELNS1_3gpuE8ELNS1_3repE0EEENS1_30default_config_static_selectorELNS0_4arch9wavefront6targetE1EEEvT1_
	.p2align	8
	.type	_ZN7rocprim17ROCPRIM_400000_NS6detail17trampoline_kernelINS0_14default_configENS1_27scan_by_key_config_selectorIxxEEZZNS1_16scan_by_key_implILNS1_25lookback_scan_determinismE0ELb1ES3_N6thrust23THRUST_200600_302600_NS6detail15normal_iteratorINS9_10device_ptrIxEEEESE_SE_xNS9_4plusIvEENS9_8equal_toIvEExEE10hipError_tPvRmT2_T3_T4_T5_mT6_T7_P12ihipStream_tbENKUlT_T0_E_clISt17integral_constantIbLb1EESY_IbLb0EEEEDaSU_SV_EUlSU_E_NS1_11comp_targetILNS1_3genE4ELNS1_11target_archE910ELNS1_3gpuE8ELNS1_3repE0EEENS1_30default_config_static_selectorELNS0_4arch9wavefront6targetE1EEEvT1_,@function
_ZN7rocprim17ROCPRIM_400000_NS6detail17trampoline_kernelINS0_14default_configENS1_27scan_by_key_config_selectorIxxEEZZNS1_16scan_by_key_implILNS1_25lookback_scan_determinismE0ELb1ES3_N6thrust23THRUST_200600_302600_NS6detail15normal_iteratorINS9_10device_ptrIxEEEESE_SE_xNS9_4plusIvEENS9_8equal_toIvEExEE10hipError_tPvRmT2_T3_T4_T5_mT6_T7_P12ihipStream_tbENKUlT_T0_E_clISt17integral_constantIbLb1EESY_IbLb0EEEEDaSU_SV_EUlSU_E_NS1_11comp_targetILNS1_3genE4ELNS1_11target_archE910ELNS1_3gpuE8ELNS1_3repE0EEENS1_30default_config_static_selectorELNS0_4arch9wavefront6targetE1EEEvT1_: ; @_ZN7rocprim17ROCPRIM_400000_NS6detail17trampoline_kernelINS0_14default_configENS1_27scan_by_key_config_selectorIxxEEZZNS1_16scan_by_key_implILNS1_25lookback_scan_determinismE0ELb1ES3_N6thrust23THRUST_200600_302600_NS6detail15normal_iteratorINS9_10device_ptrIxEEEESE_SE_xNS9_4plusIvEENS9_8equal_toIvEExEE10hipError_tPvRmT2_T3_T4_T5_mT6_T7_P12ihipStream_tbENKUlT_T0_E_clISt17integral_constantIbLb1EESY_IbLb0EEEEDaSU_SV_EUlSU_E_NS1_11comp_targetILNS1_3genE4ELNS1_11target_archE910ELNS1_3gpuE8ELNS1_3repE0EEENS1_30default_config_static_selectorELNS0_4arch9wavefront6targetE1EEEvT1_
; %bb.0:
	.section	.rodata,"a",@progbits
	.p2align	6, 0x0
	.amdhsa_kernel _ZN7rocprim17ROCPRIM_400000_NS6detail17trampoline_kernelINS0_14default_configENS1_27scan_by_key_config_selectorIxxEEZZNS1_16scan_by_key_implILNS1_25lookback_scan_determinismE0ELb1ES3_N6thrust23THRUST_200600_302600_NS6detail15normal_iteratorINS9_10device_ptrIxEEEESE_SE_xNS9_4plusIvEENS9_8equal_toIvEExEE10hipError_tPvRmT2_T3_T4_T5_mT6_T7_P12ihipStream_tbENKUlT_T0_E_clISt17integral_constantIbLb1EESY_IbLb0EEEEDaSU_SV_EUlSU_E_NS1_11comp_targetILNS1_3genE4ELNS1_11target_archE910ELNS1_3gpuE8ELNS1_3repE0EEENS1_30default_config_static_selectorELNS0_4arch9wavefront6targetE1EEEvT1_
		.amdhsa_group_segment_fixed_size 0
		.amdhsa_private_segment_fixed_size 0
		.amdhsa_kernarg_size 136
		.amdhsa_user_sgpr_count 2
		.amdhsa_user_sgpr_dispatch_ptr 0
		.amdhsa_user_sgpr_queue_ptr 0
		.amdhsa_user_sgpr_kernarg_segment_ptr 1
		.amdhsa_user_sgpr_dispatch_id 0
		.amdhsa_user_sgpr_kernarg_preload_length 0
		.amdhsa_user_sgpr_kernarg_preload_offset 0
		.amdhsa_user_sgpr_private_segment_size 0
		.amdhsa_uses_dynamic_stack 0
		.amdhsa_enable_private_segment 0
		.amdhsa_system_sgpr_workgroup_id_x 1
		.amdhsa_system_sgpr_workgroup_id_y 0
		.amdhsa_system_sgpr_workgroup_id_z 0
		.amdhsa_system_sgpr_workgroup_info 0
		.amdhsa_system_vgpr_workitem_id 0
		.amdhsa_next_free_vgpr 1
		.amdhsa_next_free_sgpr 0
		.amdhsa_accum_offset 4
		.amdhsa_reserve_vcc 0
		.amdhsa_float_round_mode_32 0
		.amdhsa_float_round_mode_16_64 0
		.amdhsa_float_denorm_mode_32 3
		.amdhsa_float_denorm_mode_16_64 3
		.amdhsa_dx10_clamp 1
		.amdhsa_ieee_mode 1
		.amdhsa_fp16_overflow 0
		.amdhsa_tg_split 0
		.amdhsa_exception_fp_ieee_invalid_op 0
		.amdhsa_exception_fp_denorm_src 0
		.amdhsa_exception_fp_ieee_div_zero 0
		.amdhsa_exception_fp_ieee_overflow 0
		.amdhsa_exception_fp_ieee_underflow 0
		.amdhsa_exception_fp_ieee_inexact 0
		.amdhsa_exception_int_div_zero 0
	.end_amdhsa_kernel
	.section	.text._ZN7rocprim17ROCPRIM_400000_NS6detail17trampoline_kernelINS0_14default_configENS1_27scan_by_key_config_selectorIxxEEZZNS1_16scan_by_key_implILNS1_25lookback_scan_determinismE0ELb1ES3_N6thrust23THRUST_200600_302600_NS6detail15normal_iteratorINS9_10device_ptrIxEEEESE_SE_xNS9_4plusIvEENS9_8equal_toIvEExEE10hipError_tPvRmT2_T3_T4_T5_mT6_T7_P12ihipStream_tbENKUlT_T0_E_clISt17integral_constantIbLb1EESY_IbLb0EEEEDaSU_SV_EUlSU_E_NS1_11comp_targetILNS1_3genE4ELNS1_11target_archE910ELNS1_3gpuE8ELNS1_3repE0EEENS1_30default_config_static_selectorELNS0_4arch9wavefront6targetE1EEEvT1_,"axG",@progbits,_ZN7rocprim17ROCPRIM_400000_NS6detail17trampoline_kernelINS0_14default_configENS1_27scan_by_key_config_selectorIxxEEZZNS1_16scan_by_key_implILNS1_25lookback_scan_determinismE0ELb1ES3_N6thrust23THRUST_200600_302600_NS6detail15normal_iteratorINS9_10device_ptrIxEEEESE_SE_xNS9_4plusIvEENS9_8equal_toIvEExEE10hipError_tPvRmT2_T3_T4_T5_mT6_T7_P12ihipStream_tbENKUlT_T0_E_clISt17integral_constantIbLb1EESY_IbLb0EEEEDaSU_SV_EUlSU_E_NS1_11comp_targetILNS1_3genE4ELNS1_11target_archE910ELNS1_3gpuE8ELNS1_3repE0EEENS1_30default_config_static_selectorELNS0_4arch9wavefront6targetE1EEEvT1_,comdat
.Lfunc_end374:
	.size	_ZN7rocprim17ROCPRIM_400000_NS6detail17trampoline_kernelINS0_14default_configENS1_27scan_by_key_config_selectorIxxEEZZNS1_16scan_by_key_implILNS1_25lookback_scan_determinismE0ELb1ES3_N6thrust23THRUST_200600_302600_NS6detail15normal_iteratorINS9_10device_ptrIxEEEESE_SE_xNS9_4plusIvEENS9_8equal_toIvEExEE10hipError_tPvRmT2_T3_T4_T5_mT6_T7_P12ihipStream_tbENKUlT_T0_E_clISt17integral_constantIbLb1EESY_IbLb0EEEEDaSU_SV_EUlSU_E_NS1_11comp_targetILNS1_3genE4ELNS1_11target_archE910ELNS1_3gpuE8ELNS1_3repE0EEENS1_30default_config_static_selectorELNS0_4arch9wavefront6targetE1EEEvT1_, .Lfunc_end374-_ZN7rocprim17ROCPRIM_400000_NS6detail17trampoline_kernelINS0_14default_configENS1_27scan_by_key_config_selectorIxxEEZZNS1_16scan_by_key_implILNS1_25lookback_scan_determinismE0ELb1ES3_N6thrust23THRUST_200600_302600_NS6detail15normal_iteratorINS9_10device_ptrIxEEEESE_SE_xNS9_4plusIvEENS9_8equal_toIvEExEE10hipError_tPvRmT2_T3_T4_T5_mT6_T7_P12ihipStream_tbENKUlT_T0_E_clISt17integral_constantIbLb1EESY_IbLb0EEEEDaSU_SV_EUlSU_E_NS1_11comp_targetILNS1_3genE4ELNS1_11target_archE910ELNS1_3gpuE8ELNS1_3repE0EEENS1_30default_config_static_selectorELNS0_4arch9wavefront6targetE1EEEvT1_
                                        ; -- End function
	.section	.AMDGPU.csdata,"",@progbits
; Kernel info:
; codeLenInByte = 0
; NumSgprs: 6
; NumVgprs: 0
; NumAgprs: 0
; TotalNumVgprs: 0
; ScratchSize: 0
; MemoryBound: 0
; FloatMode: 240
; IeeeMode: 1
; LDSByteSize: 0 bytes/workgroup (compile time only)
; SGPRBlocks: 0
; VGPRBlocks: 0
; NumSGPRsForWavesPerEU: 6
; NumVGPRsForWavesPerEU: 1
; AccumOffset: 4
; Occupancy: 8
; WaveLimiterHint : 0
; COMPUTE_PGM_RSRC2:SCRATCH_EN: 0
; COMPUTE_PGM_RSRC2:USER_SGPR: 2
; COMPUTE_PGM_RSRC2:TRAP_HANDLER: 0
; COMPUTE_PGM_RSRC2:TGID_X_EN: 1
; COMPUTE_PGM_RSRC2:TGID_Y_EN: 0
; COMPUTE_PGM_RSRC2:TGID_Z_EN: 0
; COMPUTE_PGM_RSRC2:TIDIG_COMP_CNT: 0
; COMPUTE_PGM_RSRC3_GFX90A:ACCUM_OFFSET: 0
; COMPUTE_PGM_RSRC3_GFX90A:TG_SPLIT: 0
	.section	.text._ZN7rocprim17ROCPRIM_400000_NS6detail17trampoline_kernelINS0_14default_configENS1_27scan_by_key_config_selectorIxxEEZZNS1_16scan_by_key_implILNS1_25lookback_scan_determinismE0ELb1ES3_N6thrust23THRUST_200600_302600_NS6detail15normal_iteratorINS9_10device_ptrIxEEEESE_SE_xNS9_4plusIvEENS9_8equal_toIvEExEE10hipError_tPvRmT2_T3_T4_T5_mT6_T7_P12ihipStream_tbENKUlT_T0_E_clISt17integral_constantIbLb1EESY_IbLb0EEEEDaSU_SV_EUlSU_E_NS1_11comp_targetILNS1_3genE3ELNS1_11target_archE908ELNS1_3gpuE7ELNS1_3repE0EEENS1_30default_config_static_selectorELNS0_4arch9wavefront6targetE1EEEvT1_,"axG",@progbits,_ZN7rocprim17ROCPRIM_400000_NS6detail17trampoline_kernelINS0_14default_configENS1_27scan_by_key_config_selectorIxxEEZZNS1_16scan_by_key_implILNS1_25lookback_scan_determinismE0ELb1ES3_N6thrust23THRUST_200600_302600_NS6detail15normal_iteratorINS9_10device_ptrIxEEEESE_SE_xNS9_4plusIvEENS9_8equal_toIvEExEE10hipError_tPvRmT2_T3_T4_T5_mT6_T7_P12ihipStream_tbENKUlT_T0_E_clISt17integral_constantIbLb1EESY_IbLb0EEEEDaSU_SV_EUlSU_E_NS1_11comp_targetILNS1_3genE3ELNS1_11target_archE908ELNS1_3gpuE7ELNS1_3repE0EEENS1_30default_config_static_selectorELNS0_4arch9wavefront6targetE1EEEvT1_,comdat
	.protected	_ZN7rocprim17ROCPRIM_400000_NS6detail17trampoline_kernelINS0_14default_configENS1_27scan_by_key_config_selectorIxxEEZZNS1_16scan_by_key_implILNS1_25lookback_scan_determinismE0ELb1ES3_N6thrust23THRUST_200600_302600_NS6detail15normal_iteratorINS9_10device_ptrIxEEEESE_SE_xNS9_4plusIvEENS9_8equal_toIvEExEE10hipError_tPvRmT2_T3_T4_T5_mT6_T7_P12ihipStream_tbENKUlT_T0_E_clISt17integral_constantIbLb1EESY_IbLb0EEEEDaSU_SV_EUlSU_E_NS1_11comp_targetILNS1_3genE3ELNS1_11target_archE908ELNS1_3gpuE7ELNS1_3repE0EEENS1_30default_config_static_selectorELNS0_4arch9wavefront6targetE1EEEvT1_ ; -- Begin function _ZN7rocprim17ROCPRIM_400000_NS6detail17trampoline_kernelINS0_14default_configENS1_27scan_by_key_config_selectorIxxEEZZNS1_16scan_by_key_implILNS1_25lookback_scan_determinismE0ELb1ES3_N6thrust23THRUST_200600_302600_NS6detail15normal_iteratorINS9_10device_ptrIxEEEESE_SE_xNS9_4plusIvEENS9_8equal_toIvEExEE10hipError_tPvRmT2_T3_T4_T5_mT6_T7_P12ihipStream_tbENKUlT_T0_E_clISt17integral_constantIbLb1EESY_IbLb0EEEEDaSU_SV_EUlSU_E_NS1_11comp_targetILNS1_3genE3ELNS1_11target_archE908ELNS1_3gpuE7ELNS1_3repE0EEENS1_30default_config_static_selectorELNS0_4arch9wavefront6targetE1EEEvT1_
	.globl	_ZN7rocprim17ROCPRIM_400000_NS6detail17trampoline_kernelINS0_14default_configENS1_27scan_by_key_config_selectorIxxEEZZNS1_16scan_by_key_implILNS1_25lookback_scan_determinismE0ELb1ES3_N6thrust23THRUST_200600_302600_NS6detail15normal_iteratorINS9_10device_ptrIxEEEESE_SE_xNS9_4plusIvEENS9_8equal_toIvEExEE10hipError_tPvRmT2_T3_T4_T5_mT6_T7_P12ihipStream_tbENKUlT_T0_E_clISt17integral_constantIbLb1EESY_IbLb0EEEEDaSU_SV_EUlSU_E_NS1_11comp_targetILNS1_3genE3ELNS1_11target_archE908ELNS1_3gpuE7ELNS1_3repE0EEENS1_30default_config_static_selectorELNS0_4arch9wavefront6targetE1EEEvT1_
	.p2align	8
	.type	_ZN7rocprim17ROCPRIM_400000_NS6detail17trampoline_kernelINS0_14default_configENS1_27scan_by_key_config_selectorIxxEEZZNS1_16scan_by_key_implILNS1_25lookback_scan_determinismE0ELb1ES3_N6thrust23THRUST_200600_302600_NS6detail15normal_iteratorINS9_10device_ptrIxEEEESE_SE_xNS9_4plusIvEENS9_8equal_toIvEExEE10hipError_tPvRmT2_T3_T4_T5_mT6_T7_P12ihipStream_tbENKUlT_T0_E_clISt17integral_constantIbLb1EESY_IbLb0EEEEDaSU_SV_EUlSU_E_NS1_11comp_targetILNS1_3genE3ELNS1_11target_archE908ELNS1_3gpuE7ELNS1_3repE0EEENS1_30default_config_static_selectorELNS0_4arch9wavefront6targetE1EEEvT1_,@function
_ZN7rocprim17ROCPRIM_400000_NS6detail17trampoline_kernelINS0_14default_configENS1_27scan_by_key_config_selectorIxxEEZZNS1_16scan_by_key_implILNS1_25lookback_scan_determinismE0ELb1ES3_N6thrust23THRUST_200600_302600_NS6detail15normal_iteratorINS9_10device_ptrIxEEEESE_SE_xNS9_4plusIvEENS9_8equal_toIvEExEE10hipError_tPvRmT2_T3_T4_T5_mT6_T7_P12ihipStream_tbENKUlT_T0_E_clISt17integral_constantIbLb1EESY_IbLb0EEEEDaSU_SV_EUlSU_E_NS1_11comp_targetILNS1_3genE3ELNS1_11target_archE908ELNS1_3gpuE7ELNS1_3repE0EEENS1_30default_config_static_selectorELNS0_4arch9wavefront6targetE1EEEvT1_: ; @_ZN7rocprim17ROCPRIM_400000_NS6detail17trampoline_kernelINS0_14default_configENS1_27scan_by_key_config_selectorIxxEEZZNS1_16scan_by_key_implILNS1_25lookback_scan_determinismE0ELb1ES3_N6thrust23THRUST_200600_302600_NS6detail15normal_iteratorINS9_10device_ptrIxEEEESE_SE_xNS9_4plusIvEENS9_8equal_toIvEExEE10hipError_tPvRmT2_T3_T4_T5_mT6_T7_P12ihipStream_tbENKUlT_T0_E_clISt17integral_constantIbLb1EESY_IbLb0EEEEDaSU_SV_EUlSU_E_NS1_11comp_targetILNS1_3genE3ELNS1_11target_archE908ELNS1_3gpuE7ELNS1_3repE0EEENS1_30default_config_static_selectorELNS0_4arch9wavefront6targetE1EEEvT1_
; %bb.0:
	.section	.rodata,"a",@progbits
	.p2align	6, 0x0
	.amdhsa_kernel _ZN7rocprim17ROCPRIM_400000_NS6detail17trampoline_kernelINS0_14default_configENS1_27scan_by_key_config_selectorIxxEEZZNS1_16scan_by_key_implILNS1_25lookback_scan_determinismE0ELb1ES3_N6thrust23THRUST_200600_302600_NS6detail15normal_iteratorINS9_10device_ptrIxEEEESE_SE_xNS9_4plusIvEENS9_8equal_toIvEExEE10hipError_tPvRmT2_T3_T4_T5_mT6_T7_P12ihipStream_tbENKUlT_T0_E_clISt17integral_constantIbLb1EESY_IbLb0EEEEDaSU_SV_EUlSU_E_NS1_11comp_targetILNS1_3genE3ELNS1_11target_archE908ELNS1_3gpuE7ELNS1_3repE0EEENS1_30default_config_static_selectorELNS0_4arch9wavefront6targetE1EEEvT1_
		.amdhsa_group_segment_fixed_size 0
		.amdhsa_private_segment_fixed_size 0
		.amdhsa_kernarg_size 136
		.amdhsa_user_sgpr_count 2
		.amdhsa_user_sgpr_dispatch_ptr 0
		.amdhsa_user_sgpr_queue_ptr 0
		.amdhsa_user_sgpr_kernarg_segment_ptr 1
		.amdhsa_user_sgpr_dispatch_id 0
		.amdhsa_user_sgpr_kernarg_preload_length 0
		.amdhsa_user_sgpr_kernarg_preload_offset 0
		.amdhsa_user_sgpr_private_segment_size 0
		.amdhsa_uses_dynamic_stack 0
		.amdhsa_enable_private_segment 0
		.amdhsa_system_sgpr_workgroup_id_x 1
		.amdhsa_system_sgpr_workgroup_id_y 0
		.amdhsa_system_sgpr_workgroup_id_z 0
		.amdhsa_system_sgpr_workgroup_info 0
		.amdhsa_system_vgpr_workitem_id 0
		.amdhsa_next_free_vgpr 1
		.amdhsa_next_free_sgpr 0
		.amdhsa_accum_offset 4
		.amdhsa_reserve_vcc 0
		.amdhsa_float_round_mode_32 0
		.amdhsa_float_round_mode_16_64 0
		.amdhsa_float_denorm_mode_32 3
		.amdhsa_float_denorm_mode_16_64 3
		.amdhsa_dx10_clamp 1
		.amdhsa_ieee_mode 1
		.amdhsa_fp16_overflow 0
		.amdhsa_tg_split 0
		.amdhsa_exception_fp_ieee_invalid_op 0
		.amdhsa_exception_fp_denorm_src 0
		.amdhsa_exception_fp_ieee_div_zero 0
		.amdhsa_exception_fp_ieee_overflow 0
		.amdhsa_exception_fp_ieee_underflow 0
		.amdhsa_exception_fp_ieee_inexact 0
		.amdhsa_exception_int_div_zero 0
	.end_amdhsa_kernel
	.section	.text._ZN7rocprim17ROCPRIM_400000_NS6detail17trampoline_kernelINS0_14default_configENS1_27scan_by_key_config_selectorIxxEEZZNS1_16scan_by_key_implILNS1_25lookback_scan_determinismE0ELb1ES3_N6thrust23THRUST_200600_302600_NS6detail15normal_iteratorINS9_10device_ptrIxEEEESE_SE_xNS9_4plusIvEENS9_8equal_toIvEExEE10hipError_tPvRmT2_T3_T4_T5_mT6_T7_P12ihipStream_tbENKUlT_T0_E_clISt17integral_constantIbLb1EESY_IbLb0EEEEDaSU_SV_EUlSU_E_NS1_11comp_targetILNS1_3genE3ELNS1_11target_archE908ELNS1_3gpuE7ELNS1_3repE0EEENS1_30default_config_static_selectorELNS0_4arch9wavefront6targetE1EEEvT1_,"axG",@progbits,_ZN7rocprim17ROCPRIM_400000_NS6detail17trampoline_kernelINS0_14default_configENS1_27scan_by_key_config_selectorIxxEEZZNS1_16scan_by_key_implILNS1_25lookback_scan_determinismE0ELb1ES3_N6thrust23THRUST_200600_302600_NS6detail15normal_iteratorINS9_10device_ptrIxEEEESE_SE_xNS9_4plusIvEENS9_8equal_toIvEExEE10hipError_tPvRmT2_T3_T4_T5_mT6_T7_P12ihipStream_tbENKUlT_T0_E_clISt17integral_constantIbLb1EESY_IbLb0EEEEDaSU_SV_EUlSU_E_NS1_11comp_targetILNS1_3genE3ELNS1_11target_archE908ELNS1_3gpuE7ELNS1_3repE0EEENS1_30default_config_static_selectorELNS0_4arch9wavefront6targetE1EEEvT1_,comdat
.Lfunc_end375:
	.size	_ZN7rocprim17ROCPRIM_400000_NS6detail17trampoline_kernelINS0_14default_configENS1_27scan_by_key_config_selectorIxxEEZZNS1_16scan_by_key_implILNS1_25lookback_scan_determinismE0ELb1ES3_N6thrust23THRUST_200600_302600_NS6detail15normal_iteratorINS9_10device_ptrIxEEEESE_SE_xNS9_4plusIvEENS9_8equal_toIvEExEE10hipError_tPvRmT2_T3_T4_T5_mT6_T7_P12ihipStream_tbENKUlT_T0_E_clISt17integral_constantIbLb1EESY_IbLb0EEEEDaSU_SV_EUlSU_E_NS1_11comp_targetILNS1_3genE3ELNS1_11target_archE908ELNS1_3gpuE7ELNS1_3repE0EEENS1_30default_config_static_selectorELNS0_4arch9wavefront6targetE1EEEvT1_, .Lfunc_end375-_ZN7rocprim17ROCPRIM_400000_NS6detail17trampoline_kernelINS0_14default_configENS1_27scan_by_key_config_selectorIxxEEZZNS1_16scan_by_key_implILNS1_25lookback_scan_determinismE0ELb1ES3_N6thrust23THRUST_200600_302600_NS6detail15normal_iteratorINS9_10device_ptrIxEEEESE_SE_xNS9_4plusIvEENS9_8equal_toIvEExEE10hipError_tPvRmT2_T3_T4_T5_mT6_T7_P12ihipStream_tbENKUlT_T0_E_clISt17integral_constantIbLb1EESY_IbLb0EEEEDaSU_SV_EUlSU_E_NS1_11comp_targetILNS1_3genE3ELNS1_11target_archE908ELNS1_3gpuE7ELNS1_3repE0EEENS1_30default_config_static_selectorELNS0_4arch9wavefront6targetE1EEEvT1_
                                        ; -- End function
	.section	.AMDGPU.csdata,"",@progbits
; Kernel info:
; codeLenInByte = 0
; NumSgprs: 6
; NumVgprs: 0
; NumAgprs: 0
; TotalNumVgprs: 0
; ScratchSize: 0
; MemoryBound: 0
; FloatMode: 240
; IeeeMode: 1
; LDSByteSize: 0 bytes/workgroup (compile time only)
; SGPRBlocks: 0
; VGPRBlocks: 0
; NumSGPRsForWavesPerEU: 6
; NumVGPRsForWavesPerEU: 1
; AccumOffset: 4
; Occupancy: 8
; WaveLimiterHint : 0
; COMPUTE_PGM_RSRC2:SCRATCH_EN: 0
; COMPUTE_PGM_RSRC2:USER_SGPR: 2
; COMPUTE_PGM_RSRC2:TRAP_HANDLER: 0
; COMPUTE_PGM_RSRC2:TGID_X_EN: 1
; COMPUTE_PGM_RSRC2:TGID_Y_EN: 0
; COMPUTE_PGM_RSRC2:TGID_Z_EN: 0
; COMPUTE_PGM_RSRC2:TIDIG_COMP_CNT: 0
; COMPUTE_PGM_RSRC3_GFX90A:ACCUM_OFFSET: 0
; COMPUTE_PGM_RSRC3_GFX90A:TG_SPLIT: 0
	.section	.text._ZN7rocprim17ROCPRIM_400000_NS6detail17trampoline_kernelINS0_14default_configENS1_27scan_by_key_config_selectorIxxEEZZNS1_16scan_by_key_implILNS1_25lookback_scan_determinismE0ELb1ES3_N6thrust23THRUST_200600_302600_NS6detail15normal_iteratorINS9_10device_ptrIxEEEESE_SE_xNS9_4plusIvEENS9_8equal_toIvEExEE10hipError_tPvRmT2_T3_T4_T5_mT6_T7_P12ihipStream_tbENKUlT_T0_E_clISt17integral_constantIbLb1EESY_IbLb0EEEEDaSU_SV_EUlSU_E_NS1_11comp_targetILNS1_3genE2ELNS1_11target_archE906ELNS1_3gpuE6ELNS1_3repE0EEENS1_30default_config_static_selectorELNS0_4arch9wavefront6targetE1EEEvT1_,"axG",@progbits,_ZN7rocprim17ROCPRIM_400000_NS6detail17trampoline_kernelINS0_14default_configENS1_27scan_by_key_config_selectorIxxEEZZNS1_16scan_by_key_implILNS1_25lookback_scan_determinismE0ELb1ES3_N6thrust23THRUST_200600_302600_NS6detail15normal_iteratorINS9_10device_ptrIxEEEESE_SE_xNS9_4plusIvEENS9_8equal_toIvEExEE10hipError_tPvRmT2_T3_T4_T5_mT6_T7_P12ihipStream_tbENKUlT_T0_E_clISt17integral_constantIbLb1EESY_IbLb0EEEEDaSU_SV_EUlSU_E_NS1_11comp_targetILNS1_3genE2ELNS1_11target_archE906ELNS1_3gpuE6ELNS1_3repE0EEENS1_30default_config_static_selectorELNS0_4arch9wavefront6targetE1EEEvT1_,comdat
	.protected	_ZN7rocprim17ROCPRIM_400000_NS6detail17trampoline_kernelINS0_14default_configENS1_27scan_by_key_config_selectorIxxEEZZNS1_16scan_by_key_implILNS1_25lookback_scan_determinismE0ELb1ES3_N6thrust23THRUST_200600_302600_NS6detail15normal_iteratorINS9_10device_ptrIxEEEESE_SE_xNS9_4plusIvEENS9_8equal_toIvEExEE10hipError_tPvRmT2_T3_T4_T5_mT6_T7_P12ihipStream_tbENKUlT_T0_E_clISt17integral_constantIbLb1EESY_IbLb0EEEEDaSU_SV_EUlSU_E_NS1_11comp_targetILNS1_3genE2ELNS1_11target_archE906ELNS1_3gpuE6ELNS1_3repE0EEENS1_30default_config_static_selectorELNS0_4arch9wavefront6targetE1EEEvT1_ ; -- Begin function _ZN7rocprim17ROCPRIM_400000_NS6detail17trampoline_kernelINS0_14default_configENS1_27scan_by_key_config_selectorIxxEEZZNS1_16scan_by_key_implILNS1_25lookback_scan_determinismE0ELb1ES3_N6thrust23THRUST_200600_302600_NS6detail15normal_iteratorINS9_10device_ptrIxEEEESE_SE_xNS9_4plusIvEENS9_8equal_toIvEExEE10hipError_tPvRmT2_T3_T4_T5_mT6_T7_P12ihipStream_tbENKUlT_T0_E_clISt17integral_constantIbLb1EESY_IbLb0EEEEDaSU_SV_EUlSU_E_NS1_11comp_targetILNS1_3genE2ELNS1_11target_archE906ELNS1_3gpuE6ELNS1_3repE0EEENS1_30default_config_static_selectorELNS0_4arch9wavefront6targetE1EEEvT1_
	.globl	_ZN7rocprim17ROCPRIM_400000_NS6detail17trampoline_kernelINS0_14default_configENS1_27scan_by_key_config_selectorIxxEEZZNS1_16scan_by_key_implILNS1_25lookback_scan_determinismE0ELb1ES3_N6thrust23THRUST_200600_302600_NS6detail15normal_iteratorINS9_10device_ptrIxEEEESE_SE_xNS9_4plusIvEENS9_8equal_toIvEExEE10hipError_tPvRmT2_T3_T4_T5_mT6_T7_P12ihipStream_tbENKUlT_T0_E_clISt17integral_constantIbLb1EESY_IbLb0EEEEDaSU_SV_EUlSU_E_NS1_11comp_targetILNS1_3genE2ELNS1_11target_archE906ELNS1_3gpuE6ELNS1_3repE0EEENS1_30default_config_static_selectorELNS0_4arch9wavefront6targetE1EEEvT1_
	.p2align	8
	.type	_ZN7rocprim17ROCPRIM_400000_NS6detail17trampoline_kernelINS0_14default_configENS1_27scan_by_key_config_selectorIxxEEZZNS1_16scan_by_key_implILNS1_25lookback_scan_determinismE0ELb1ES3_N6thrust23THRUST_200600_302600_NS6detail15normal_iteratorINS9_10device_ptrIxEEEESE_SE_xNS9_4plusIvEENS9_8equal_toIvEExEE10hipError_tPvRmT2_T3_T4_T5_mT6_T7_P12ihipStream_tbENKUlT_T0_E_clISt17integral_constantIbLb1EESY_IbLb0EEEEDaSU_SV_EUlSU_E_NS1_11comp_targetILNS1_3genE2ELNS1_11target_archE906ELNS1_3gpuE6ELNS1_3repE0EEENS1_30default_config_static_selectorELNS0_4arch9wavefront6targetE1EEEvT1_,@function
_ZN7rocprim17ROCPRIM_400000_NS6detail17trampoline_kernelINS0_14default_configENS1_27scan_by_key_config_selectorIxxEEZZNS1_16scan_by_key_implILNS1_25lookback_scan_determinismE0ELb1ES3_N6thrust23THRUST_200600_302600_NS6detail15normal_iteratorINS9_10device_ptrIxEEEESE_SE_xNS9_4plusIvEENS9_8equal_toIvEExEE10hipError_tPvRmT2_T3_T4_T5_mT6_T7_P12ihipStream_tbENKUlT_T0_E_clISt17integral_constantIbLb1EESY_IbLb0EEEEDaSU_SV_EUlSU_E_NS1_11comp_targetILNS1_3genE2ELNS1_11target_archE906ELNS1_3gpuE6ELNS1_3repE0EEENS1_30default_config_static_selectorELNS0_4arch9wavefront6targetE1EEEvT1_: ; @_ZN7rocprim17ROCPRIM_400000_NS6detail17trampoline_kernelINS0_14default_configENS1_27scan_by_key_config_selectorIxxEEZZNS1_16scan_by_key_implILNS1_25lookback_scan_determinismE0ELb1ES3_N6thrust23THRUST_200600_302600_NS6detail15normal_iteratorINS9_10device_ptrIxEEEESE_SE_xNS9_4plusIvEENS9_8equal_toIvEExEE10hipError_tPvRmT2_T3_T4_T5_mT6_T7_P12ihipStream_tbENKUlT_T0_E_clISt17integral_constantIbLb1EESY_IbLb0EEEEDaSU_SV_EUlSU_E_NS1_11comp_targetILNS1_3genE2ELNS1_11target_archE906ELNS1_3gpuE6ELNS1_3repE0EEENS1_30default_config_static_selectorELNS0_4arch9wavefront6targetE1EEEvT1_
; %bb.0:
	.section	.rodata,"a",@progbits
	.p2align	6, 0x0
	.amdhsa_kernel _ZN7rocprim17ROCPRIM_400000_NS6detail17trampoline_kernelINS0_14default_configENS1_27scan_by_key_config_selectorIxxEEZZNS1_16scan_by_key_implILNS1_25lookback_scan_determinismE0ELb1ES3_N6thrust23THRUST_200600_302600_NS6detail15normal_iteratorINS9_10device_ptrIxEEEESE_SE_xNS9_4plusIvEENS9_8equal_toIvEExEE10hipError_tPvRmT2_T3_T4_T5_mT6_T7_P12ihipStream_tbENKUlT_T0_E_clISt17integral_constantIbLb1EESY_IbLb0EEEEDaSU_SV_EUlSU_E_NS1_11comp_targetILNS1_3genE2ELNS1_11target_archE906ELNS1_3gpuE6ELNS1_3repE0EEENS1_30default_config_static_selectorELNS0_4arch9wavefront6targetE1EEEvT1_
		.amdhsa_group_segment_fixed_size 0
		.amdhsa_private_segment_fixed_size 0
		.amdhsa_kernarg_size 136
		.amdhsa_user_sgpr_count 2
		.amdhsa_user_sgpr_dispatch_ptr 0
		.amdhsa_user_sgpr_queue_ptr 0
		.amdhsa_user_sgpr_kernarg_segment_ptr 1
		.amdhsa_user_sgpr_dispatch_id 0
		.amdhsa_user_sgpr_kernarg_preload_length 0
		.amdhsa_user_sgpr_kernarg_preload_offset 0
		.amdhsa_user_sgpr_private_segment_size 0
		.amdhsa_uses_dynamic_stack 0
		.amdhsa_enable_private_segment 0
		.amdhsa_system_sgpr_workgroup_id_x 1
		.amdhsa_system_sgpr_workgroup_id_y 0
		.amdhsa_system_sgpr_workgroup_id_z 0
		.amdhsa_system_sgpr_workgroup_info 0
		.amdhsa_system_vgpr_workitem_id 0
		.amdhsa_next_free_vgpr 1
		.amdhsa_next_free_sgpr 0
		.amdhsa_accum_offset 4
		.amdhsa_reserve_vcc 0
		.amdhsa_float_round_mode_32 0
		.amdhsa_float_round_mode_16_64 0
		.amdhsa_float_denorm_mode_32 3
		.amdhsa_float_denorm_mode_16_64 3
		.amdhsa_dx10_clamp 1
		.amdhsa_ieee_mode 1
		.amdhsa_fp16_overflow 0
		.amdhsa_tg_split 0
		.amdhsa_exception_fp_ieee_invalid_op 0
		.amdhsa_exception_fp_denorm_src 0
		.amdhsa_exception_fp_ieee_div_zero 0
		.amdhsa_exception_fp_ieee_overflow 0
		.amdhsa_exception_fp_ieee_underflow 0
		.amdhsa_exception_fp_ieee_inexact 0
		.amdhsa_exception_int_div_zero 0
	.end_amdhsa_kernel
	.section	.text._ZN7rocprim17ROCPRIM_400000_NS6detail17trampoline_kernelINS0_14default_configENS1_27scan_by_key_config_selectorIxxEEZZNS1_16scan_by_key_implILNS1_25lookback_scan_determinismE0ELb1ES3_N6thrust23THRUST_200600_302600_NS6detail15normal_iteratorINS9_10device_ptrIxEEEESE_SE_xNS9_4plusIvEENS9_8equal_toIvEExEE10hipError_tPvRmT2_T3_T4_T5_mT6_T7_P12ihipStream_tbENKUlT_T0_E_clISt17integral_constantIbLb1EESY_IbLb0EEEEDaSU_SV_EUlSU_E_NS1_11comp_targetILNS1_3genE2ELNS1_11target_archE906ELNS1_3gpuE6ELNS1_3repE0EEENS1_30default_config_static_selectorELNS0_4arch9wavefront6targetE1EEEvT1_,"axG",@progbits,_ZN7rocprim17ROCPRIM_400000_NS6detail17trampoline_kernelINS0_14default_configENS1_27scan_by_key_config_selectorIxxEEZZNS1_16scan_by_key_implILNS1_25lookback_scan_determinismE0ELb1ES3_N6thrust23THRUST_200600_302600_NS6detail15normal_iteratorINS9_10device_ptrIxEEEESE_SE_xNS9_4plusIvEENS9_8equal_toIvEExEE10hipError_tPvRmT2_T3_T4_T5_mT6_T7_P12ihipStream_tbENKUlT_T0_E_clISt17integral_constantIbLb1EESY_IbLb0EEEEDaSU_SV_EUlSU_E_NS1_11comp_targetILNS1_3genE2ELNS1_11target_archE906ELNS1_3gpuE6ELNS1_3repE0EEENS1_30default_config_static_selectorELNS0_4arch9wavefront6targetE1EEEvT1_,comdat
.Lfunc_end376:
	.size	_ZN7rocprim17ROCPRIM_400000_NS6detail17trampoline_kernelINS0_14default_configENS1_27scan_by_key_config_selectorIxxEEZZNS1_16scan_by_key_implILNS1_25lookback_scan_determinismE0ELb1ES3_N6thrust23THRUST_200600_302600_NS6detail15normal_iteratorINS9_10device_ptrIxEEEESE_SE_xNS9_4plusIvEENS9_8equal_toIvEExEE10hipError_tPvRmT2_T3_T4_T5_mT6_T7_P12ihipStream_tbENKUlT_T0_E_clISt17integral_constantIbLb1EESY_IbLb0EEEEDaSU_SV_EUlSU_E_NS1_11comp_targetILNS1_3genE2ELNS1_11target_archE906ELNS1_3gpuE6ELNS1_3repE0EEENS1_30default_config_static_selectorELNS0_4arch9wavefront6targetE1EEEvT1_, .Lfunc_end376-_ZN7rocprim17ROCPRIM_400000_NS6detail17trampoline_kernelINS0_14default_configENS1_27scan_by_key_config_selectorIxxEEZZNS1_16scan_by_key_implILNS1_25lookback_scan_determinismE0ELb1ES3_N6thrust23THRUST_200600_302600_NS6detail15normal_iteratorINS9_10device_ptrIxEEEESE_SE_xNS9_4plusIvEENS9_8equal_toIvEExEE10hipError_tPvRmT2_T3_T4_T5_mT6_T7_P12ihipStream_tbENKUlT_T0_E_clISt17integral_constantIbLb1EESY_IbLb0EEEEDaSU_SV_EUlSU_E_NS1_11comp_targetILNS1_3genE2ELNS1_11target_archE906ELNS1_3gpuE6ELNS1_3repE0EEENS1_30default_config_static_selectorELNS0_4arch9wavefront6targetE1EEEvT1_
                                        ; -- End function
	.section	.AMDGPU.csdata,"",@progbits
; Kernel info:
; codeLenInByte = 0
; NumSgprs: 6
; NumVgprs: 0
; NumAgprs: 0
; TotalNumVgprs: 0
; ScratchSize: 0
; MemoryBound: 0
; FloatMode: 240
; IeeeMode: 1
; LDSByteSize: 0 bytes/workgroup (compile time only)
; SGPRBlocks: 0
; VGPRBlocks: 0
; NumSGPRsForWavesPerEU: 6
; NumVGPRsForWavesPerEU: 1
; AccumOffset: 4
; Occupancy: 8
; WaveLimiterHint : 0
; COMPUTE_PGM_RSRC2:SCRATCH_EN: 0
; COMPUTE_PGM_RSRC2:USER_SGPR: 2
; COMPUTE_PGM_RSRC2:TRAP_HANDLER: 0
; COMPUTE_PGM_RSRC2:TGID_X_EN: 1
; COMPUTE_PGM_RSRC2:TGID_Y_EN: 0
; COMPUTE_PGM_RSRC2:TGID_Z_EN: 0
; COMPUTE_PGM_RSRC2:TIDIG_COMP_CNT: 0
; COMPUTE_PGM_RSRC3_GFX90A:ACCUM_OFFSET: 0
; COMPUTE_PGM_RSRC3_GFX90A:TG_SPLIT: 0
	.section	.text._ZN7rocprim17ROCPRIM_400000_NS6detail17trampoline_kernelINS0_14default_configENS1_27scan_by_key_config_selectorIxxEEZZNS1_16scan_by_key_implILNS1_25lookback_scan_determinismE0ELb1ES3_N6thrust23THRUST_200600_302600_NS6detail15normal_iteratorINS9_10device_ptrIxEEEESE_SE_xNS9_4plusIvEENS9_8equal_toIvEExEE10hipError_tPvRmT2_T3_T4_T5_mT6_T7_P12ihipStream_tbENKUlT_T0_E_clISt17integral_constantIbLb1EESY_IbLb0EEEEDaSU_SV_EUlSU_E_NS1_11comp_targetILNS1_3genE10ELNS1_11target_archE1200ELNS1_3gpuE4ELNS1_3repE0EEENS1_30default_config_static_selectorELNS0_4arch9wavefront6targetE1EEEvT1_,"axG",@progbits,_ZN7rocprim17ROCPRIM_400000_NS6detail17trampoline_kernelINS0_14default_configENS1_27scan_by_key_config_selectorIxxEEZZNS1_16scan_by_key_implILNS1_25lookback_scan_determinismE0ELb1ES3_N6thrust23THRUST_200600_302600_NS6detail15normal_iteratorINS9_10device_ptrIxEEEESE_SE_xNS9_4plusIvEENS9_8equal_toIvEExEE10hipError_tPvRmT2_T3_T4_T5_mT6_T7_P12ihipStream_tbENKUlT_T0_E_clISt17integral_constantIbLb1EESY_IbLb0EEEEDaSU_SV_EUlSU_E_NS1_11comp_targetILNS1_3genE10ELNS1_11target_archE1200ELNS1_3gpuE4ELNS1_3repE0EEENS1_30default_config_static_selectorELNS0_4arch9wavefront6targetE1EEEvT1_,comdat
	.protected	_ZN7rocprim17ROCPRIM_400000_NS6detail17trampoline_kernelINS0_14default_configENS1_27scan_by_key_config_selectorIxxEEZZNS1_16scan_by_key_implILNS1_25lookback_scan_determinismE0ELb1ES3_N6thrust23THRUST_200600_302600_NS6detail15normal_iteratorINS9_10device_ptrIxEEEESE_SE_xNS9_4plusIvEENS9_8equal_toIvEExEE10hipError_tPvRmT2_T3_T4_T5_mT6_T7_P12ihipStream_tbENKUlT_T0_E_clISt17integral_constantIbLb1EESY_IbLb0EEEEDaSU_SV_EUlSU_E_NS1_11comp_targetILNS1_3genE10ELNS1_11target_archE1200ELNS1_3gpuE4ELNS1_3repE0EEENS1_30default_config_static_selectorELNS0_4arch9wavefront6targetE1EEEvT1_ ; -- Begin function _ZN7rocprim17ROCPRIM_400000_NS6detail17trampoline_kernelINS0_14default_configENS1_27scan_by_key_config_selectorIxxEEZZNS1_16scan_by_key_implILNS1_25lookback_scan_determinismE0ELb1ES3_N6thrust23THRUST_200600_302600_NS6detail15normal_iteratorINS9_10device_ptrIxEEEESE_SE_xNS9_4plusIvEENS9_8equal_toIvEExEE10hipError_tPvRmT2_T3_T4_T5_mT6_T7_P12ihipStream_tbENKUlT_T0_E_clISt17integral_constantIbLb1EESY_IbLb0EEEEDaSU_SV_EUlSU_E_NS1_11comp_targetILNS1_3genE10ELNS1_11target_archE1200ELNS1_3gpuE4ELNS1_3repE0EEENS1_30default_config_static_selectorELNS0_4arch9wavefront6targetE1EEEvT1_
	.globl	_ZN7rocprim17ROCPRIM_400000_NS6detail17trampoline_kernelINS0_14default_configENS1_27scan_by_key_config_selectorIxxEEZZNS1_16scan_by_key_implILNS1_25lookback_scan_determinismE0ELb1ES3_N6thrust23THRUST_200600_302600_NS6detail15normal_iteratorINS9_10device_ptrIxEEEESE_SE_xNS9_4plusIvEENS9_8equal_toIvEExEE10hipError_tPvRmT2_T3_T4_T5_mT6_T7_P12ihipStream_tbENKUlT_T0_E_clISt17integral_constantIbLb1EESY_IbLb0EEEEDaSU_SV_EUlSU_E_NS1_11comp_targetILNS1_3genE10ELNS1_11target_archE1200ELNS1_3gpuE4ELNS1_3repE0EEENS1_30default_config_static_selectorELNS0_4arch9wavefront6targetE1EEEvT1_
	.p2align	8
	.type	_ZN7rocprim17ROCPRIM_400000_NS6detail17trampoline_kernelINS0_14default_configENS1_27scan_by_key_config_selectorIxxEEZZNS1_16scan_by_key_implILNS1_25lookback_scan_determinismE0ELb1ES3_N6thrust23THRUST_200600_302600_NS6detail15normal_iteratorINS9_10device_ptrIxEEEESE_SE_xNS9_4plusIvEENS9_8equal_toIvEExEE10hipError_tPvRmT2_T3_T4_T5_mT6_T7_P12ihipStream_tbENKUlT_T0_E_clISt17integral_constantIbLb1EESY_IbLb0EEEEDaSU_SV_EUlSU_E_NS1_11comp_targetILNS1_3genE10ELNS1_11target_archE1200ELNS1_3gpuE4ELNS1_3repE0EEENS1_30default_config_static_selectorELNS0_4arch9wavefront6targetE1EEEvT1_,@function
_ZN7rocprim17ROCPRIM_400000_NS6detail17trampoline_kernelINS0_14default_configENS1_27scan_by_key_config_selectorIxxEEZZNS1_16scan_by_key_implILNS1_25lookback_scan_determinismE0ELb1ES3_N6thrust23THRUST_200600_302600_NS6detail15normal_iteratorINS9_10device_ptrIxEEEESE_SE_xNS9_4plusIvEENS9_8equal_toIvEExEE10hipError_tPvRmT2_T3_T4_T5_mT6_T7_P12ihipStream_tbENKUlT_T0_E_clISt17integral_constantIbLb1EESY_IbLb0EEEEDaSU_SV_EUlSU_E_NS1_11comp_targetILNS1_3genE10ELNS1_11target_archE1200ELNS1_3gpuE4ELNS1_3repE0EEENS1_30default_config_static_selectorELNS0_4arch9wavefront6targetE1EEEvT1_: ; @_ZN7rocprim17ROCPRIM_400000_NS6detail17trampoline_kernelINS0_14default_configENS1_27scan_by_key_config_selectorIxxEEZZNS1_16scan_by_key_implILNS1_25lookback_scan_determinismE0ELb1ES3_N6thrust23THRUST_200600_302600_NS6detail15normal_iteratorINS9_10device_ptrIxEEEESE_SE_xNS9_4plusIvEENS9_8equal_toIvEExEE10hipError_tPvRmT2_T3_T4_T5_mT6_T7_P12ihipStream_tbENKUlT_T0_E_clISt17integral_constantIbLb1EESY_IbLb0EEEEDaSU_SV_EUlSU_E_NS1_11comp_targetILNS1_3genE10ELNS1_11target_archE1200ELNS1_3gpuE4ELNS1_3repE0EEENS1_30default_config_static_selectorELNS0_4arch9wavefront6targetE1EEEvT1_
; %bb.0:
	.section	.rodata,"a",@progbits
	.p2align	6, 0x0
	.amdhsa_kernel _ZN7rocprim17ROCPRIM_400000_NS6detail17trampoline_kernelINS0_14default_configENS1_27scan_by_key_config_selectorIxxEEZZNS1_16scan_by_key_implILNS1_25lookback_scan_determinismE0ELb1ES3_N6thrust23THRUST_200600_302600_NS6detail15normal_iteratorINS9_10device_ptrIxEEEESE_SE_xNS9_4plusIvEENS9_8equal_toIvEExEE10hipError_tPvRmT2_T3_T4_T5_mT6_T7_P12ihipStream_tbENKUlT_T0_E_clISt17integral_constantIbLb1EESY_IbLb0EEEEDaSU_SV_EUlSU_E_NS1_11comp_targetILNS1_3genE10ELNS1_11target_archE1200ELNS1_3gpuE4ELNS1_3repE0EEENS1_30default_config_static_selectorELNS0_4arch9wavefront6targetE1EEEvT1_
		.amdhsa_group_segment_fixed_size 0
		.amdhsa_private_segment_fixed_size 0
		.amdhsa_kernarg_size 136
		.amdhsa_user_sgpr_count 2
		.amdhsa_user_sgpr_dispatch_ptr 0
		.amdhsa_user_sgpr_queue_ptr 0
		.amdhsa_user_sgpr_kernarg_segment_ptr 1
		.amdhsa_user_sgpr_dispatch_id 0
		.amdhsa_user_sgpr_kernarg_preload_length 0
		.amdhsa_user_sgpr_kernarg_preload_offset 0
		.amdhsa_user_sgpr_private_segment_size 0
		.amdhsa_uses_dynamic_stack 0
		.amdhsa_enable_private_segment 0
		.amdhsa_system_sgpr_workgroup_id_x 1
		.amdhsa_system_sgpr_workgroup_id_y 0
		.amdhsa_system_sgpr_workgroup_id_z 0
		.amdhsa_system_sgpr_workgroup_info 0
		.amdhsa_system_vgpr_workitem_id 0
		.amdhsa_next_free_vgpr 1
		.amdhsa_next_free_sgpr 0
		.amdhsa_accum_offset 4
		.amdhsa_reserve_vcc 0
		.amdhsa_float_round_mode_32 0
		.amdhsa_float_round_mode_16_64 0
		.amdhsa_float_denorm_mode_32 3
		.amdhsa_float_denorm_mode_16_64 3
		.amdhsa_dx10_clamp 1
		.amdhsa_ieee_mode 1
		.amdhsa_fp16_overflow 0
		.amdhsa_tg_split 0
		.amdhsa_exception_fp_ieee_invalid_op 0
		.amdhsa_exception_fp_denorm_src 0
		.amdhsa_exception_fp_ieee_div_zero 0
		.amdhsa_exception_fp_ieee_overflow 0
		.amdhsa_exception_fp_ieee_underflow 0
		.amdhsa_exception_fp_ieee_inexact 0
		.amdhsa_exception_int_div_zero 0
	.end_amdhsa_kernel
	.section	.text._ZN7rocprim17ROCPRIM_400000_NS6detail17trampoline_kernelINS0_14default_configENS1_27scan_by_key_config_selectorIxxEEZZNS1_16scan_by_key_implILNS1_25lookback_scan_determinismE0ELb1ES3_N6thrust23THRUST_200600_302600_NS6detail15normal_iteratorINS9_10device_ptrIxEEEESE_SE_xNS9_4plusIvEENS9_8equal_toIvEExEE10hipError_tPvRmT2_T3_T4_T5_mT6_T7_P12ihipStream_tbENKUlT_T0_E_clISt17integral_constantIbLb1EESY_IbLb0EEEEDaSU_SV_EUlSU_E_NS1_11comp_targetILNS1_3genE10ELNS1_11target_archE1200ELNS1_3gpuE4ELNS1_3repE0EEENS1_30default_config_static_selectorELNS0_4arch9wavefront6targetE1EEEvT1_,"axG",@progbits,_ZN7rocprim17ROCPRIM_400000_NS6detail17trampoline_kernelINS0_14default_configENS1_27scan_by_key_config_selectorIxxEEZZNS1_16scan_by_key_implILNS1_25lookback_scan_determinismE0ELb1ES3_N6thrust23THRUST_200600_302600_NS6detail15normal_iteratorINS9_10device_ptrIxEEEESE_SE_xNS9_4plusIvEENS9_8equal_toIvEExEE10hipError_tPvRmT2_T3_T4_T5_mT6_T7_P12ihipStream_tbENKUlT_T0_E_clISt17integral_constantIbLb1EESY_IbLb0EEEEDaSU_SV_EUlSU_E_NS1_11comp_targetILNS1_3genE10ELNS1_11target_archE1200ELNS1_3gpuE4ELNS1_3repE0EEENS1_30default_config_static_selectorELNS0_4arch9wavefront6targetE1EEEvT1_,comdat
.Lfunc_end377:
	.size	_ZN7rocprim17ROCPRIM_400000_NS6detail17trampoline_kernelINS0_14default_configENS1_27scan_by_key_config_selectorIxxEEZZNS1_16scan_by_key_implILNS1_25lookback_scan_determinismE0ELb1ES3_N6thrust23THRUST_200600_302600_NS6detail15normal_iteratorINS9_10device_ptrIxEEEESE_SE_xNS9_4plusIvEENS9_8equal_toIvEExEE10hipError_tPvRmT2_T3_T4_T5_mT6_T7_P12ihipStream_tbENKUlT_T0_E_clISt17integral_constantIbLb1EESY_IbLb0EEEEDaSU_SV_EUlSU_E_NS1_11comp_targetILNS1_3genE10ELNS1_11target_archE1200ELNS1_3gpuE4ELNS1_3repE0EEENS1_30default_config_static_selectorELNS0_4arch9wavefront6targetE1EEEvT1_, .Lfunc_end377-_ZN7rocprim17ROCPRIM_400000_NS6detail17trampoline_kernelINS0_14default_configENS1_27scan_by_key_config_selectorIxxEEZZNS1_16scan_by_key_implILNS1_25lookback_scan_determinismE0ELb1ES3_N6thrust23THRUST_200600_302600_NS6detail15normal_iteratorINS9_10device_ptrIxEEEESE_SE_xNS9_4plusIvEENS9_8equal_toIvEExEE10hipError_tPvRmT2_T3_T4_T5_mT6_T7_P12ihipStream_tbENKUlT_T0_E_clISt17integral_constantIbLb1EESY_IbLb0EEEEDaSU_SV_EUlSU_E_NS1_11comp_targetILNS1_3genE10ELNS1_11target_archE1200ELNS1_3gpuE4ELNS1_3repE0EEENS1_30default_config_static_selectorELNS0_4arch9wavefront6targetE1EEEvT1_
                                        ; -- End function
	.section	.AMDGPU.csdata,"",@progbits
; Kernel info:
; codeLenInByte = 0
; NumSgprs: 6
; NumVgprs: 0
; NumAgprs: 0
; TotalNumVgprs: 0
; ScratchSize: 0
; MemoryBound: 0
; FloatMode: 240
; IeeeMode: 1
; LDSByteSize: 0 bytes/workgroup (compile time only)
; SGPRBlocks: 0
; VGPRBlocks: 0
; NumSGPRsForWavesPerEU: 6
; NumVGPRsForWavesPerEU: 1
; AccumOffset: 4
; Occupancy: 8
; WaveLimiterHint : 0
; COMPUTE_PGM_RSRC2:SCRATCH_EN: 0
; COMPUTE_PGM_RSRC2:USER_SGPR: 2
; COMPUTE_PGM_RSRC2:TRAP_HANDLER: 0
; COMPUTE_PGM_RSRC2:TGID_X_EN: 1
; COMPUTE_PGM_RSRC2:TGID_Y_EN: 0
; COMPUTE_PGM_RSRC2:TGID_Z_EN: 0
; COMPUTE_PGM_RSRC2:TIDIG_COMP_CNT: 0
; COMPUTE_PGM_RSRC3_GFX90A:ACCUM_OFFSET: 0
; COMPUTE_PGM_RSRC3_GFX90A:TG_SPLIT: 0
	.section	.text._ZN7rocprim17ROCPRIM_400000_NS6detail17trampoline_kernelINS0_14default_configENS1_27scan_by_key_config_selectorIxxEEZZNS1_16scan_by_key_implILNS1_25lookback_scan_determinismE0ELb1ES3_N6thrust23THRUST_200600_302600_NS6detail15normal_iteratorINS9_10device_ptrIxEEEESE_SE_xNS9_4plusIvEENS9_8equal_toIvEExEE10hipError_tPvRmT2_T3_T4_T5_mT6_T7_P12ihipStream_tbENKUlT_T0_E_clISt17integral_constantIbLb1EESY_IbLb0EEEEDaSU_SV_EUlSU_E_NS1_11comp_targetILNS1_3genE9ELNS1_11target_archE1100ELNS1_3gpuE3ELNS1_3repE0EEENS1_30default_config_static_selectorELNS0_4arch9wavefront6targetE1EEEvT1_,"axG",@progbits,_ZN7rocprim17ROCPRIM_400000_NS6detail17trampoline_kernelINS0_14default_configENS1_27scan_by_key_config_selectorIxxEEZZNS1_16scan_by_key_implILNS1_25lookback_scan_determinismE0ELb1ES3_N6thrust23THRUST_200600_302600_NS6detail15normal_iteratorINS9_10device_ptrIxEEEESE_SE_xNS9_4plusIvEENS9_8equal_toIvEExEE10hipError_tPvRmT2_T3_T4_T5_mT6_T7_P12ihipStream_tbENKUlT_T0_E_clISt17integral_constantIbLb1EESY_IbLb0EEEEDaSU_SV_EUlSU_E_NS1_11comp_targetILNS1_3genE9ELNS1_11target_archE1100ELNS1_3gpuE3ELNS1_3repE0EEENS1_30default_config_static_selectorELNS0_4arch9wavefront6targetE1EEEvT1_,comdat
	.protected	_ZN7rocprim17ROCPRIM_400000_NS6detail17trampoline_kernelINS0_14default_configENS1_27scan_by_key_config_selectorIxxEEZZNS1_16scan_by_key_implILNS1_25lookback_scan_determinismE0ELb1ES3_N6thrust23THRUST_200600_302600_NS6detail15normal_iteratorINS9_10device_ptrIxEEEESE_SE_xNS9_4plusIvEENS9_8equal_toIvEExEE10hipError_tPvRmT2_T3_T4_T5_mT6_T7_P12ihipStream_tbENKUlT_T0_E_clISt17integral_constantIbLb1EESY_IbLb0EEEEDaSU_SV_EUlSU_E_NS1_11comp_targetILNS1_3genE9ELNS1_11target_archE1100ELNS1_3gpuE3ELNS1_3repE0EEENS1_30default_config_static_selectorELNS0_4arch9wavefront6targetE1EEEvT1_ ; -- Begin function _ZN7rocprim17ROCPRIM_400000_NS6detail17trampoline_kernelINS0_14default_configENS1_27scan_by_key_config_selectorIxxEEZZNS1_16scan_by_key_implILNS1_25lookback_scan_determinismE0ELb1ES3_N6thrust23THRUST_200600_302600_NS6detail15normal_iteratorINS9_10device_ptrIxEEEESE_SE_xNS9_4plusIvEENS9_8equal_toIvEExEE10hipError_tPvRmT2_T3_T4_T5_mT6_T7_P12ihipStream_tbENKUlT_T0_E_clISt17integral_constantIbLb1EESY_IbLb0EEEEDaSU_SV_EUlSU_E_NS1_11comp_targetILNS1_3genE9ELNS1_11target_archE1100ELNS1_3gpuE3ELNS1_3repE0EEENS1_30default_config_static_selectorELNS0_4arch9wavefront6targetE1EEEvT1_
	.globl	_ZN7rocprim17ROCPRIM_400000_NS6detail17trampoline_kernelINS0_14default_configENS1_27scan_by_key_config_selectorIxxEEZZNS1_16scan_by_key_implILNS1_25lookback_scan_determinismE0ELb1ES3_N6thrust23THRUST_200600_302600_NS6detail15normal_iteratorINS9_10device_ptrIxEEEESE_SE_xNS9_4plusIvEENS9_8equal_toIvEExEE10hipError_tPvRmT2_T3_T4_T5_mT6_T7_P12ihipStream_tbENKUlT_T0_E_clISt17integral_constantIbLb1EESY_IbLb0EEEEDaSU_SV_EUlSU_E_NS1_11comp_targetILNS1_3genE9ELNS1_11target_archE1100ELNS1_3gpuE3ELNS1_3repE0EEENS1_30default_config_static_selectorELNS0_4arch9wavefront6targetE1EEEvT1_
	.p2align	8
	.type	_ZN7rocprim17ROCPRIM_400000_NS6detail17trampoline_kernelINS0_14default_configENS1_27scan_by_key_config_selectorIxxEEZZNS1_16scan_by_key_implILNS1_25lookback_scan_determinismE0ELb1ES3_N6thrust23THRUST_200600_302600_NS6detail15normal_iteratorINS9_10device_ptrIxEEEESE_SE_xNS9_4plusIvEENS9_8equal_toIvEExEE10hipError_tPvRmT2_T3_T4_T5_mT6_T7_P12ihipStream_tbENKUlT_T0_E_clISt17integral_constantIbLb1EESY_IbLb0EEEEDaSU_SV_EUlSU_E_NS1_11comp_targetILNS1_3genE9ELNS1_11target_archE1100ELNS1_3gpuE3ELNS1_3repE0EEENS1_30default_config_static_selectorELNS0_4arch9wavefront6targetE1EEEvT1_,@function
_ZN7rocprim17ROCPRIM_400000_NS6detail17trampoline_kernelINS0_14default_configENS1_27scan_by_key_config_selectorIxxEEZZNS1_16scan_by_key_implILNS1_25lookback_scan_determinismE0ELb1ES3_N6thrust23THRUST_200600_302600_NS6detail15normal_iteratorINS9_10device_ptrIxEEEESE_SE_xNS9_4plusIvEENS9_8equal_toIvEExEE10hipError_tPvRmT2_T3_T4_T5_mT6_T7_P12ihipStream_tbENKUlT_T0_E_clISt17integral_constantIbLb1EESY_IbLb0EEEEDaSU_SV_EUlSU_E_NS1_11comp_targetILNS1_3genE9ELNS1_11target_archE1100ELNS1_3gpuE3ELNS1_3repE0EEENS1_30default_config_static_selectorELNS0_4arch9wavefront6targetE1EEEvT1_: ; @_ZN7rocprim17ROCPRIM_400000_NS6detail17trampoline_kernelINS0_14default_configENS1_27scan_by_key_config_selectorIxxEEZZNS1_16scan_by_key_implILNS1_25lookback_scan_determinismE0ELb1ES3_N6thrust23THRUST_200600_302600_NS6detail15normal_iteratorINS9_10device_ptrIxEEEESE_SE_xNS9_4plusIvEENS9_8equal_toIvEExEE10hipError_tPvRmT2_T3_T4_T5_mT6_T7_P12ihipStream_tbENKUlT_T0_E_clISt17integral_constantIbLb1EESY_IbLb0EEEEDaSU_SV_EUlSU_E_NS1_11comp_targetILNS1_3genE9ELNS1_11target_archE1100ELNS1_3gpuE3ELNS1_3repE0EEENS1_30default_config_static_selectorELNS0_4arch9wavefront6targetE1EEEvT1_
; %bb.0:
	.section	.rodata,"a",@progbits
	.p2align	6, 0x0
	.amdhsa_kernel _ZN7rocprim17ROCPRIM_400000_NS6detail17trampoline_kernelINS0_14default_configENS1_27scan_by_key_config_selectorIxxEEZZNS1_16scan_by_key_implILNS1_25lookback_scan_determinismE0ELb1ES3_N6thrust23THRUST_200600_302600_NS6detail15normal_iteratorINS9_10device_ptrIxEEEESE_SE_xNS9_4plusIvEENS9_8equal_toIvEExEE10hipError_tPvRmT2_T3_T4_T5_mT6_T7_P12ihipStream_tbENKUlT_T0_E_clISt17integral_constantIbLb1EESY_IbLb0EEEEDaSU_SV_EUlSU_E_NS1_11comp_targetILNS1_3genE9ELNS1_11target_archE1100ELNS1_3gpuE3ELNS1_3repE0EEENS1_30default_config_static_selectorELNS0_4arch9wavefront6targetE1EEEvT1_
		.amdhsa_group_segment_fixed_size 0
		.amdhsa_private_segment_fixed_size 0
		.amdhsa_kernarg_size 136
		.amdhsa_user_sgpr_count 2
		.amdhsa_user_sgpr_dispatch_ptr 0
		.amdhsa_user_sgpr_queue_ptr 0
		.amdhsa_user_sgpr_kernarg_segment_ptr 1
		.amdhsa_user_sgpr_dispatch_id 0
		.amdhsa_user_sgpr_kernarg_preload_length 0
		.amdhsa_user_sgpr_kernarg_preload_offset 0
		.amdhsa_user_sgpr_private_segment_size 0
		.amdhsa_uses_dynamic_stack 0
		.amdhsa_enable_private_segment 0
		.amdhsa_system_sgpr_workgroup_id_x 1
		.amdhsa_system_sgpr_workgroup_id_y 0
		.amdhsa_system_sgpr_workgroup_id_z 0
		.amdhsa_system_sgpr_workgroup_info 0
		.amdhsa_system_vgpr_workitem_id 0
		.amdhsa_next_free_vgpr 1
		.amdhsa_next_free_sgpr 0
		.amdhsa_accum_offset 4
		.amdhsa_reserve_vcc 0
		.amdhsa_float_round_mode_32 0
		.amdhsa_float_round_mode_16_64 0
		.amdhsa_float_denorm_mode_32 3
		.amdhsa_float_denorm_mode_16_64 3
		.amdhsa_dx10_clamp 1
		.amdhsa_ieee_mode 1
		.amdhsa_fp16_overflow 0
		.amdhsa_tg_split 0
		.amdhsa_exception_fp_ieee_invalid_op 0
		.amdhsa_exception_fp_denorm_src 0
		.amdhsa_exception_fp_ieee_div_zero 0
		.amdhsa_exception_fp_ieee_overflow 0
		.amdhsa_exception_fp_ieee_underflow 0
		.amdhsa_exception_fp_ieee_inexact 0
		.amdhsa_exception_int_div_zero 0
	.end_amdhsa_kernel
	.section	.text._ZN7rocprim17ROCPRIM_400000_NS6detail17trampoline_kernelINS0_14default_configENS1_27scan_by_key_config_selectorIxxEEZZNS1_16scan_by_key_implILNS1_25lookback_scan_determinismE0ELb1ES3_N6thrust23THRUST_200600_302600_NS6detail15normal_iteratorINS9_10device_ptrIxEEEESE_SE_xNS9_4plusIvEENS9_8equal_toIvEExEE10hipError_tPvRmT2_T3_T4_T5_mT6_T7_P12ihipStream_tbENKUlT_T0_E_clISt17integral_constantIbLb1EESY_IbLb0EEEEDaSU_SV_EUlSU_E_NS1_11comp_targetILNS1_3genE9ELNS1_11target_archE1100ELNS1_3gpuE3ELNS1_3repE0EEENS1_30default_config_static_selectorELNS0_4arch9wavefront6targetE1EEEvT1_,"axG",@progbits,_ZN7rocprim17ROCPRIM_400000_NS6detail17trampoline_kernelINS0_14default_configENS1_27scan_by_key_config_selectorIxxEEZZNS1_16scan_by_key_implILNS1_25lookback_scan_determinismE0ELb1ES3_N6thrust23THRUST_200600_302600_NS6detail15normal_iteratorINS9_10device_ptrIxEEEESE_SE_xNS9_4plusIvEENS9_8equal_toIvEExEE10hipError_tPvRmT2_T3_T4_T5_mT6_T7_P12ihipStream_tbENKUlT_T0_E_clISt17integral_constantIbLb1EESY_IbLb0EEEEDaSU_SV_EUlSU_E_NS1_11comp_targetILNS1_3genE9ELNS1_11target_archE1100ELNS1_3gpuE3ELNS1_3repE0EEENS1_30default_config_static_selectorELNS0_4arch9wavefront6targetE1EEEvT1_,comdat
.Lfunc_end378:
	.size	_ZN7rocprim17ROCPRIM_400000_NS6detail17trampoline_kernelINS0_14default_configENS1_27scan_by_key_config_selectorIxxEEZZNS1_16scan_by_key_implILNS1_25lookback_scan_determinismE0ELb1ES3_N6thrust23THRUST_200600_302600_NS6detail15normal_iteratorINS9_10device_ptrIxEEEESE_SE_xNS9_4plusIvEENS9_8equal_toIvEExEE10hipError_tPvRmT2_T3_T4_T5_mT6_T7_P12ihipStream_tbENKUlT_T0_E_clISt17integral_constantIbLb1EESY_IbLb0EEEEDaSU_SV_EUlSU_E_NS1_11comp_targetILNS1_3genE9ELNS1_11target_archE1100ELNS1_3gpuE3ELNS1_3repE0EEENS1_30default_config_static_selectorELNS0_4arch9wavefront6targetE1EEEvT1_, .Lfunc_end378-_ZN7rocprim17ROCPRIM_400000_NS6detail17trampoline_kernelINS0_14default_configENS1_27scan_by_key_config_selectorIxxEEZZNS1_16scan_by_key_implILNS1_25lookback_scan_determinismE0ELb1ES3_N6thrust23THRUST_200600_302600_NS6detail15normal_iteratorINS9_10device_ptrIxEEEESE_SE_xNS9_4plusIvEENS9_8equal_toIvEExEE10hipError_tPvRmT2_T3_T4_T5_mT6_T7_P12ihipStream_tbENKUlT_T0_E_clISt17integral_constantIbLb1EESY_IbLb0EEEEDaSU_SV_EUlSU_E_NS1_11comp_targetILNS1_3genE9ELNS1_11target_archE1100ELNS1_3gpuE3ELNS1_3repE0EEENS1_30default_config_static_selectorELNS0_4arch9wavefront6targetE1EEEvT1_
                                        ; -- End function
	.section	.AMDGPU.csdata,"",@progbits
; Kernel info:
; codeLenInByte = 0
; NumSgprs: 6
; NumVgprs: 0
; NumAgprs: 0
; TotalNumVgprs: 0
; ScratchSize: 0
; MemoryBound: 0
; FloatMode: 240
; IeeeMode: 1
; LDSByteSize: 0 bytes/workgroup (compile time only)
; SGPRBlocks: 0
; VGPRBlocks: 0
; NumSGPRsForWavesPerEU: 6
; NumVGPRsForWavesPerEU: 1
; AccumOffset: 4
; Occupancy: 8
; WaveLimiterHint : 0
; COMPUTE_PGM_RSRC2:SCRATCH_EN: 0
; COMPUTE_PGM_RSRC2:USER_SGPR: 2
; COMPUTE_PGM_RSRC2:TRAP_HANDLER: 0
; COMPUTE_PGM_RSRC2:TGID_X_EN: 1
; COMPUTE_PGM_RSRC2:TGID_Y_EN: 0
; COMPUTE_PGM_RSRC2:TGID_Z_EN: 0
; COMPUTE_PGM_RSRC2:TIDIG_COMP_CNT: 0
; COMPUTE_PGM_RSRC3_GFX90A:ACCUM_OFFSET: 0
; COMPUTE_PGM_RSRC3_GFX90A:TG_SPLIT: 0
	.section	.text._ZN7rocprim17ROCPRIM_400000_NS6detail17trampoline_kernelINS0_14default_configENS1_27scan_by_key_config_selectorIxxEEZZNS1_16scan_by_key_implILNS1_25lookback_scan_determinismE0ELb1ES3_N6thrust23THRUST_200600_302600_NS6detail15normal_iteratorINS9_10device_ptrIxEEEESE_SE_xNS9_4plusIvEENS9_8equal_toIvEExEE10hipError_tPvRmT2_T3_T4_T5_mT6_T7_P12ihipStream_tbENKUlT_T0_E_clISt17integral_constantIbLb1EESY_IbLb0EEEEDaSU_SV_EUlSU_E_NS1_11comp_targetILNS1_3genE8ELNS1_11target_archE1030ELNS1_3gpuE2ELNS1_3repE0EEENS1_30default_config_static_selectorELNS0_4arch9wavefront6targetE1EEEvT1_,"axG",@progbits,_ZN7rocprim17ROCPRIM_400000_NS6detail17trampoline_kernelINS0_14default_configENS1_27scan_by_key_config_selectorIxxEEZZNS1_16scan_by_key_implILNS1_25lookback_scan_determinismE0ELb1ES3_N6thrust23THRUST_200600_302600_NS6detail15normal_iteratorINS9_10device_ptrIxEEEESE_SE_xNS9_4plusIvEENS9_8equal_toIvEExEE10hipError_tPvRmT2_T3_T4_T5_mT6_T7_P12ihipStream_tbENKUlT_T0_E_clISt17integral_constantIbLb1EESY_IbLb0EEEEDaSU_SV_EUlSU_E_NS1_11comp_targetILNS1_3genE8ELNS1_11target_archE1030ELNS1_3gpuE2ELNS1_3repE0EEENS1_30default_config_static_selectorELNS0_4arch9wavefront6targetE1EEEvT1_,comdat
	.protected	_ZN7rocprim17ROCPRIM_400000_NS6detail17trampoline_kernelINS0_14default_configENS1_27scan_by_key_config_selectorIxxEEZZNS1_16scan_by_key_implILNS1_25lookback_scan_determinismE0ELb1ES3_N6thrust23THRUST_200600_302600_NS6detail15normal_iteratorINS9_10device_ptrIxEEEESE_SE_xNS9_4plusIvEENS9_8equal_toIvEExEE10hipError_tPvRmT2_T3_T4_T5_mT6_T7_P12ihipStream_tbENKUlT_T0_E_clISt17integral_constantIbLb1EESY_IbLb0EEEEDaSU_SV_EUlSU_E_NS1_11comp_targetILNS1_3genE8ELNS1_11target_archE1030ELNS1_3gpuE2ELNS1_3repE0EEENS1_30default_config_static_selectorELNS0_4arch9wavefront6targetE1EEEvT1_ ; -- Begin function _ZN7rocprim17ROCPRIM_400000_NS6detail17trampoline_kernelINS0_14default_configENS1_27scan_by_key_config_selectorIxxEEZZNS1_16scan_by_key_implILNS1_25lookback_scan_determinismE0ELb1ES3_N6thrust23THRUST_200600_302600_NS6detail15normal_iteratorINS9_10device_ptrIxEEEESE_SE_xNS9_4plusIvEENS9_8equal_toIvEExEE10hipError_tPvRmT2_T3_T4_T5_mT6_T7_P12ihipStream_tbENKUlT_T0_E_clISt17integral_constantIbLb1EESY_IbLb0EEEEDaSU_SV_EUlSU_E_NS1_11comp_targetILNS1_3genE8ELNS1_11target_archE1030ELNS1_3gpuE2ELNS1_3repE0EEENS1_30default_config_static_selectorELNS0_4arch9wavefront6targetE1EEEvT1_
	.globl	_ZN7rocprim17ROCPRIM_400000_NS6detail17trampoline_kernelINS0_14default_configENS1_27scan_by_key_config_selectorIxxEEZZNS1_16scan_by_key_implILNS1_25lookback_scan_determinismE0ELb1ES3_N6thrust23THRUST_200600_302600_NS6detail15normal_iteratorINS9_10device_ptrIxEEEESE_SE_xNS9_4plusIvEENS9_8equal_toIvEExEE10hipError_tPvRmT2_T3_T4_T5_mT6_T7_P12ihipStream_tbENKUlT_T0_E_clISt17integral_constantIbLb1EESY_IbLb0EEEEDaSU_SV_EUlSU_E_NS1_11comp_targetILNS1_3genE8ELNS1_11target_archE1030ELNS1_3gpuE2ELNS1_3repE0EEENS1_30default_config_static_selectorELNS0_4arch9wavefront6targetE1EEEvT1_
	.p2align	8
	.type	_ZN7rocprim17ROCPRIM_400000_NS6detail17trampoline_kernelINS0_14default_configENS1_27scan_by_key_config_selectorIxxEEZZNS1_16scan_by_key_implILNS1_25lookback_scan_determinismE0ELb1ES3_N6thrust23THRUST_200600_302600_NS6detail15normal_iteratorINS9_10device_ptrIxEEEESE_SE_xNS9_4plusIvEENS9_8equal_toIvEExEE10hipError_tPvRmT2_T3_T4_T5_mT6_T7_P12ihipStream_tbENKUlT_T0_E_clISt17integral_constantIbLb1EESY_IbLb0EEEEDaSU_SV_EUlSU_E_NS1_11comp_targetILNS1_3genE8ELNS1_11target_archE1030ELNS1_3gpuE2ELNS1_3repE0EEENS1_30default_config_static_selectorELNS0_4arch9wavefront6targetE1EEEvT1_,@function
_ZN7rocprim17ROCPRIM_400000_NS6detail17trampoline_kernelINS0_14default_configENS1_27scan_by_key_config_selectorIxxEEZZNS1_16scan_by_key_implILNS1_25lookback_scan_determinismE0ELb1ES3_N6thrust23THRUST_200600_302600_NS6detail15normal_iteratorINS9_10device_ptrIxEEEESE_SE_xNS9_4plusIvEENS9_8equal_toIvEExEE10hipError_tPvRmT2_T3_T4_T5_mT6_T7_P12ihipStream_tbENKUlT_T0_E_clISt17integral_constantIbLb1EESY_IbLb0EEEEDaSU_SV_EUlSU_E_NS1_11comp_targetILNS1_3genE8ELNS1_11target_archE1030ELNS1_3gpuE2ELNS1_3repE0EEENS1_30default_config_static_selectorELNS0_4arch9wavefront6targetE1EEEvT1_: ; @_ZN7rocprim17ROCPRIM_400000_NS6detail17trampoline_kernelINS0_14default_configENS1_27scan_by_key_config_selectorIxxEEZZNS1_16scan_by_key_implILNS1_25lookback_scan_determinismE0ELb1ES3_N6thrust23THRUST_200600_302600_NS6detail15normal_iteratorINS9_10device_ptrIxEEEESE_SE_xNS9_4plusIvEENS9_8equal_toIvEExEE10hipError_tPvRmT2_T3_T4_T5_mT6_T7_P12ihipStream_tbENKUlT_T0_E_clISt17integral_constantIbLb1EESY_IbLb0EEEEDaSU_SV_EUlSU_E_NS1_11comp_targetILNS1_3genE8ELNS1_11target_archE1030ELNS1_3gpuE2ELNS1_3repE0EEENS1_30default_config_static_selectorELNS0_4arch9wavefront6targetE1EEEvT1_
; %bb.0:
	.section	.rodata,"a",@progbits
	.p2align	6, 0x0
	.amdhsa_kernel _ZN7rocprim17ROCPRIM_400000_NS6detail17trampoline_kernelINS0_14default_configENS1_27scan_by_key_config_selectorIxxEEZZNS1_16scan_by_key_implILNS1_25lookback_scan_determinismE0ELb1ES3_N6thrust23THRUST_200600_302600_NS6detail15normal_iteratorINS9_10device_ptrIxEEEESE_SE_xNS9_4plusIvEENS9_8equal_toIvEExEE10hipError_tPvRmT2_T3_T4_T5_mT6_T7_P12ihipStream_tbENKUlT_T0_E_clISt17integral_constantIbLb1EESY_IbLb0EEEEDaSU_SV_EUlSU_E_NS1_11comp_targetILNS1_3genE8ELNS1_11target_archE1030ELNS1_3gpuE2ELNS1_3repE0EEENS1_30default_config_static_selectorELNS0_4arch9wavefront6targetE1EEEvT1_
		.amdhsa_group_segment_fixed_size 0
		.amdhsa_private_segment_fixed_size 0
		.amdhsa_kernarg_size 136
		.amdhsa_user_sgpr_count 2
		.amdhsa_user_sgpr_dispatch_ptr 0
		.amdhsa_user_sgpr_queue_ptr 0
		.amdhsa_user_sgpr_kernarg_segment_ptr 1
		.amdhsa_user_sgpr_dispatch_id 0
		.amdhsa_user_sgpr_kernarg_preload_length 0
		.amdhsa_user_sgpr_kernarg_preload_offset 0
		.amdhsa_user_sgpr_private_segment_size 0
		.amdhsa_uses_dynamic_stack 0
		.amdhsa_enable_private_segment 0
		.amdhsa_system_sgpr_workgroup_id_x 1
		.amdhsa_system_sgpr_workgroup_id_y 0
		.amdhsa_system_sgpr_workgroup_id_z 0
		.amdhsa_system_sgpr_workgroup_info 0
		.amdhsa_system_vgpr_workitem_id 0
		.amdhsa_next_free_vgpr 1
		.amdhsa_next_free_sgpr 0
		.amdhsa_accum_offset 4
		.amdhsa_reserve_vcc 0
		.amdhsa_float_round_mode_32 0
		.amdhsa_float_round_mode_16_64 0
		.amdhsa_float_denorm_mode_32 3
		.amdhsa_float_denorm_mode_16_64 3
		.amdhsa_dx10_clamp 1
		.amdhsa_ieee_mode 1
		.amdhsa_fp16_overflow 0
		.amdhsa_tg_split 0
		.amdhsa_exception_fp_ieee_invalid_op 0
		.amdhsa_exception_fp_denorm_src 0
		.amdhsa_exception_fp_ieee_div_zero 0
		.amdhsa_exception_fp_ieee_overflow 0
		.amdhsa_exception_fp_ieee_underflow 0
		.amdhsa_exception_fp_ieee_inexact 0
		.amdhsa_exception_int_div_zero 0
	.end_amdhsa_kernel
	.section	.text._ZN7rocprim17ROCPRIM_400000_NS6detail17trampoline_kernelINS0_14default_configENS1_27scan_by_key_config_selectorIxxEEZZNS1_16scan_by_key_implILNS1_25lookback_scan_determinismE0ELb1ES3_N6thrust23THRUST_200600_302600_NS6detail15normal_iteratorINS9_10device_ptrIxEEEESE_SE_xNS9_4plusIvEENS9_8equal_toIvEExEE10hipError_tPvRmT2_T3_T4_T5_mT6_T7_P12ihipStream_tbENKUlT_T0_E_clISt17integral_constantIbLb1EESY_IbLb0EEEEDaSU_SV_EUlSU_E_NS1_11comp_targetILNS1_3genE8ELNS1_11target_archE1030ELNS1_3gpuE2ELNS1_3repE0EEENS1_30default_config_static_selectorELNS0_4arch9wavefront6targetE1EEEvT1_,"axG",@progbits,_ZN7rocprim17ROCPRIM_400000_NS6detail17trampoline_kernelINS0_14default_configENS1_27scan_by_key_config_selectorIxxEEZZNS1_16scan_by_key_implILNS1_25lookback_scan_determinismE0ELb1ES3_N6thrust23THRUST_200600_302600_NS6detail15normal_iteratorINS9_10device_ptrIxEEEESE_SE_xNS9_4plusIvEENS9_8equal_toIvEExEE10hipError_tPvRmT2_T3_T4_T5_mT6_T7_P12ihipStream_tbENKUlT_T0_E_clISt17integral_constantIbLb1EESY_IbLb0EEEEDaSU_SV_EUlSU_E_NS1_11comp_targetILNS1_3genE8ELNS1_11target_archE1030ELNS1_3gpuE2ELNS1_3repE0EEENS1_30default_config_static_selectorELNS0_4arch9wavefront6targetE1EEEvT1_,comdat
.Lfunc_end379:
	.size	_ZN7rocprim17ROCPRIM_400000_NS6detail17trampoline_kernelINS0_14default_configENS1_27scan_by_key_config_selectorIxxEEZZNS1_16scan_by_key_implILNS1_25lookback_scan_determinismE0ELb1ES3_N6thrust23THRUST_200600_302600_NS6detail15normal_iteratorINS9_10device_ptrIxEEEESE_SE_xNS9_4plusIvEENS9_8equal_toIvEExEE10hipError_tPvRmT2_T3_T4_T5_mT6_T7_P12ihipStream_tbENKUlT_T0_E_clISt17integral_constantIbLb1EESY_IbLb0EEEEDaSU_SV_EUlSU_E_NS1_11comp_targetILNS1_3genE8ELNS1_11target_archE1030ELNS1_3gpuE2ELNS1_3repE0EEENS1_30default_config_static_selectorELNS0_4arch9wavefront6targetE1EEEvT1_, .Lfunc_end379-_ZN7rocprim17ROCPRIM_400000_NS6detail17trampoline_kernelINS0_14default_configENS1_27scan_by_key_config_selectorIxxEEZZNS1_16scan_by_key_implILNS1_25lookback_scan_determinismE0ELb1ES3_N6thrust23THRUST_200600_302600_NS6detail15normal_iteratorINS9_10device_ptrIxEEEESE_SE_xNS9_4plusIvEENS9_8equal_toIvEExEE10hipError_tPvRmT2_T3_T4_T5_mT6_T7_P12ihipStream_tbENKUlT_T0_E_clISt17integral_constantIbLb1EESY_IbLb0EEEEDaSU_SV_EUlSU_E_NS1_11comp_targetILNS1_3genE8ELNS1_11target_archE1030ELNS1_3gpuE2ELNS1_3repE0EEENS1_30default_config_static_selectorELNS0_4arch9wavefront6targetE1EEEvT1_
                                        ; -- End function
	.section	.AMDGPU.csdata,"",@progbits
; Kernel info:
; codeLenInByte = 0
; NumSgprs: 6
; NumVgprs: 0
; NumAgprs: 0
; TotalNumVgprs: 0
; ScratchSize: 0
; MemoryBound: 0
; FloatMode: 240
; IeeeMode: 1
; LDSByteSize: 0 bytes/workgroup (compile time only)
; SGPRBlocks: 0
; VGPRBlocks: 0
; NumSGPRsForWavesPerEU: 6
; NumVGPRsForWavesPerEU: 1
; AccumOffset: 4
; Occupancy: 8
; WaveLimiterHint : 0
; COMPUTE_PGM_RSRC2:SCRATCH_EN: 0
; COMPUTE_PGM_RSRC2:USER_SGPR: 2
; COMPUTE_PGM_RSRC2:TRAP_HANDLER: 0
; COMPUTE_PGM_RSRC2:TGID_X_EN: 1
; COMPUTE_PGM_RSRC2:TGID_Y_EN: 0
; COMPUTE_PGM_RSRC2:TGID_Z_EN: 0
; COMPUTE_PGM_RSRC2:TIDIG_COMP_CNT: 0
; COMPUTE_PGM_RSRC3_GFX90A:ACCUM_OFFSET: 0
; COMPUTE_PGM_RSRC3_GFX90A:TG_SPLIT: 0
	.section	.text._ZN7rocprim17ROCPRIM_400000_NS6detail17trampoline_kernelINS0_14default_configENS1_27scan_by_key_config_selectorIxxEEZZNS1_16scan_by_key_implILNS1_25lookback_scan_determinismE0ELb1ES3_N6thrust23THRUST_200600_302600_NS6detail15normal_iteratorINS9_10device_ptrIxEEEESE_SE_xNS9_4plusIvEENS9_8equal_toIvEExEE10hipError_tPvRmT2_T3_T4_T5_mT6_T7_P12ihipStream_tbENKUlT_T0_E_clISt17integral_constantIbLb0EESY_IbLb1EEEEDaSU_SV_EUlSU_E_NS1_11comp_targetILNS1_3genE0ELNS1_11target_archE4294967295ELNS1_3gpuE0ELNS1_3repE0EEENS1_30default_config_static_selectorELNS0_4arch9wavefront6targetE1EEEvT1_,"axG",@progbits,_ZN7rocprim17ROCPRIM_400000_NS6detail17trampoline_kernelINS0_14default_configENS1_27scan_by_key_config_selectorIxxEEZZNS1_16scan_by_key_implILNS1_25lookback_scan_determinismE0ELb1ES3_N6thrust23THRUST_200600_302600_NS6detail15normal_iteratorINS9_10device_ptrIxEEEESE_SE_xNS9_4plusIvEENS9_8equal_toIvEExEE10hipError_tPvRmT2_T3_T4_T5_mT6_T7_P12ihipStream_tbENKUlT_T0_E_clISt17integral_constantIbLb0EESY_IbLb1EEEEDaSU_SV_EUlSU_E_NS1_11comp_targetILNS1_3genE0ELNS1_11target_archE4294967295ELNS1_3gpuE0ELNS1_3repE0EEENS1_30default_config_static_selectorELNS0_4arch9wavefront6targetE1EEEvT1_,comdat
	.protected	_ZN7rocprim17ROCPRIM_400000_NS6detail17trampoline_kernelINS0_14default_configENS1_27scan_by_key_config_selectorIxxEEZZNS1_16scan_by_key_implILNS1_25lookback_scan_determinismE0ELb1ES3_N6thrust23THRUST_200600_302600_NS6detail15normal_iteratorINS9_10device_ptrIxEEEESE_SE_xNS9_4plusIvEENS9_8equal_toIvEExEE10hipError_tPvRmT2_T3_T4_T5_mT6_T7_P12ihipStream_tbENKUlT_T0_E_clISt17integral_constantIbLb0EESY_IbLb1EEEEDaSU_SV_EUlSU_E_NS1_11comp_targetILNS1_3genE0ELNS1_11target_archE4294967295ELNS1_3gpuE0ELNS1_3repE0EEENS1_30default_config_static_selectorELNS0_4arch9wavefront6targetE1EEEvT1_ ; -- Begin function _ZN7rocprim17ROCPRIM_400000_NS6detail17trampoline_kernelINS0_14default_configENS1_27scan_by_key_config_selectorIxxEEZZNS1_16scan_by_key_implILNS1_25lookback_scan_determinismE0ELb1ES3_N6thrust23THRUST_200600_302600_NS6detail15normal_iteratorINS9_10device_ptrIxEEEESE_SE_xNS9_4plusIvEENS9_8equal_toIvEExEE10hipError_tPvRmT2_T3_T4_T5_mT6_T7_P12ihipStream_tbENKUlT_T0_E_clISt17integral_constantIbLb0EESY_IbLb1EEEEDaSU_SV_EUlSU_E_NS1_11comp_targetILNS1_3genE0ELNS1_11target_archE4294967295ELNS1_3gpuE0ELNS1_3repE0EEENS1_30default_config_static_selectorELNS0_4arch9wavefront6targetE1EEEvT1_
	.globl	_ZN7rocprim17ROCPRIM_400000_NS6detail17trampoline_kernelINS0_14default_configENS1_27scan_by_key_config_selectorIxxEEZZNS1_16scan_by_key_implILNS1_25lookback_scan_determinismE0ELb1ES3_N6thrust23THRUST_200600_302600_NS6detail15normal_iteratorINS9_10device_ptrIxEEEESE_SE_xNS9_4plusIvEENS9_8equal_toIvEExEE10hipError_tPvRmT2_T3_T4_T5_mT6_T7_P12ihipStream_tbENKUlT_T0_E_clISt17integral_constantIbLb0EESY_IbLb1EEEEDaSU_SV_EUlSU_E_NS1_11comp_targetILNS1_3genE0ELNS1_11target_archE4294967295ELNS1_3gpuE0ELNS1_3repE0EEENS1_30default_config_static_selectorELNS0_4arch9wavefront6targetE1EEEvT1_
	.p2align	8
	.type	_ZN7rocprim17ROCPRIM_400000_NS6detail17trampoline_kernelINS0_14default_configENS1_27scan_by_key_config_selectorIxxEEZZNS1_16scan_by_key_implILNS1_25lookback_scan_determinismE0ELb1ES3_N6thrust23THRUST_200600_302600_NS6detail15normal_iteratorINS9_10device_ptrIxEEEESE_SE_xNS9_4plusIvEENS9_8equal_toIvEExEE10hipError_tPvRmT2_T3_T4_T5_mT6_T7_P12ihipStream_tbENKUlT_T0_E_clISt17integral_constantIbLb0EESY_IbLb1EEEEDaSU_SV_EUlSU_E_NS1_11comp_targetILNS1_3genE0ELNS1_11target_archE4294967295ELNS1_3gpuE0ELNS1_3repE0EEENS1_30default_config_static_selectorELNS0_4arch9wavefront6targetE1EEEvT1_,@function
_ZN7rocprim17ROCPRIM_400000_NS6detail17trampoline_kernelINS0_14default_configENS1_27scan_by_key_config_selectorIxxEEZZNS1_16scan_by_key_implILNS1_25lookback_scan_determinismE0ELb1ES3_N6thrust23THRUST_200600_302600_NS6detail15normal_iteratorINS9_10device_ptrIxEEEESE_SE_xNS9_4plusIvEENS9_8equal_toIvEExEE10hipError_tPvRmT2_T3_T4_T5_mT6_T7_P12ihipStream_tbENKUlT_T0_E_clISt17integral_constantIbLb0EESY_IbLb1EEEEDaSU_SV_EUlSU_E_NS1_11comp_targetILNS1_3genE0ELNS1_11target_archE4294967295ELNS1_3gpuE0ELNS1_3repE0EEENS1_30default_config_static_selectorELNS0_4arch9wavefront6targetE1EEEvT1_: ; @_ZN7rocprim17ROCPRIM_400000_NS6detail17trampoline_kernelINS0_14default_configENS1_27scan_by_key_config_selectorIxxEEZZNS1_16scan_by_key_implILNS1_25lookback_scan_determinismE0ELb1ES3_N6thrust23THRUST_200600_302600_NS6detail15normal_iteratorINS9_10device_ptrIxEEEESE_SE_xNS9_4plusIvEENS9_8equal_toIvEExEE10hipError_tPvRmT2_T3_T4_T5_mT6_T7_P12ihipStream_tbENKUlT_T0_E_clISt17integral_constantIbLb0EESY_IbLb1EEEEDaSU_SV_EUlSU_E_NS1_11comp_targetILNS1_3genE0ELNS1_11target_archE4294967295ELNS1_3gpuE0ELNS1_3repE0EEENS1_30default_config_static_selectorELNS0_4arch9wavefront6targetE1EEEvT1_
; %bb.0:
	.section	.rodata,"a",@progbits
	.p2align	6, 0x0
	.amdhsa_kernel _ZN7rocprim17ROCPRIM_400000_NS6detail17trampoline_kernelINS0_14default_configENS1_27scan_by_key_config_selectorIxxEEZZNS1_16scan_by_key_implILNS1_25lookback_scan_determinismE0ELb1ES3_N6thrust23THRUST_200600_302600_NS6detail15normal_iteratorINS9_10device_ptrIxEEEESE_SE_xNS9_4plusIvEENS9_8equal_toIvEExEE10hipError_tPvRmT2_T3_T4_T5_mT6_T7_P12ihipStream_tbENKUlT_T0_E_clISt17integral_constantIbLb0EESY_IbLb1EEEEDaSU_SV_EUlSU_E_NS1_11comp_targetILNS1_3genE0ELNS1_11target_archE4294967295ELNS1_3gpuE0ELNS1_3repE0EEENS1_30default_config_static_selectorELNS0_4arch9wavefront6targetE1EEEvT1_
		.amdhsa_group_segment_fixed_size 0
		.amdhsa_private_segment_fixed_size 0
		.amdhsa_kernarg_size 136
		.amdhsa_user_sgpr_count 2
		.amdhsa_user_sgpr_dispatch_ptr 0
		.amdhsa_user_sgpr_queue_ptr 0
		.amdhsa_user_sgpr_kernarg_segment_ptr 1
		.amdhsa_user_sgpr_dispatch_id 0
		.amdhsa_user_sgpr_kernarg_preload_length 0
		.amdhsa_user_sgpr_kernarg_preload_offset 0
		.amdhsa_user_sgpr_private_segment_size 0
		.amdhsa_uses_dynamic_stack 0
		.amdhsa_enable_private_segment 0
		.amdhsa_system_sgpr_workgroup_id_x 1
		.amdhsa_system_sgpr_workgroup_id_y 0
		.amdhsa_system_sgpr_workgroup_id_z 0
		.amdhsa_system_sgpr_workgroup_info 0
		.amdhsa_system_vgpr_workitem_id 0
		.amdhsa_next_free_vgpr 1
		.amdhsa_next_free_sgpr 0
		.amdhsa_accum_offset 4
		.amdhsa_reserve_vcc 0
		.amdhsa_float_round_mode_32 0
		.amdhsa_float_round_mode_16_64 0
		.amdhsa_float_denorm_mode_32 3
		.amdhsa_float_denorm_mode_16_64 3
		.amdhsa_dx10_clamp 1
		.amdhsa_ieee_mode 1
		.amdhsa_fp16_overflow 0
		.amdhsa_tg_split 0
		.amdhsa_exception_fp_ieee_invalid_op 0
		.amdhsa_exception_fp_denorm_src 0
		.amdhsa_exception_fp_ieee_div_zero 0
		.amdhsa_exception_fp_ieee_overflow 0
		.amdhsa_exception_fp_ieee_underflow 0
		.amdhsa_exception_fp_ieee_inexact 0
		.amdhsa_exception_int_div_zero 0
	.end_amdhsa_kernel
	.section	.text._ZN7rocprim17ROCPRIM_400000_NS6detail17trampoline_kernelINS0_14default_configENS1_27scan_by_key_config_selectorIxxEEZZNS1_16scan_by_key_implILNS1_25lookback_scan_determinismE0ELb1ES3_N6thrust23THRUST_200600_302600_NS6detail15normal_iteratorINS9_10device_ptrIxEEEESE_SE_xNS9_4plusIvEENS9_8equal_toIvEExEE10hipError_tPvRmT2_T3_T4_T5_mT6_T7_P12ihipStream_tbENKUlT_T0_E_clISt17integral_constantIbLb0EESY_IbLb1EEEEDaSU_SV_EUlSU_E_NS1_11comp_targetILNS1_3genE0ELNS1_11target_archE4294967295ELNS1_3gpuE0ELNS1_3repE0EEENS1_30default_config_static_selectorELNS0_4arch9wavefront6targetE1EEEvT1_,"axG",@progbits,_ZN7rocprim17ROCPRIM_400000_NS6detail17trampoline_kernelINS0_14default_configENS1_27scan_by_key_config_selectorIxxEEZZNS1_16scan_by_key_implILNS1_25lookback_scan_determinismE0ELb1ES3_N6thrust23THRUST_200600_302600_NS6detail15normal_iteratorINS9_10device_ptrIxEEEESE_SE_xNS9_4plusIvEENS9_8equal_toIvEExEE10hipError_tPvRmT2_T3_T4_T5_mT6_T7_P12ihipStream_tbENKUlT_T0_E_clISt17integral_constantIbLb0EESY_IbLb1EEEEDaSU_SV_EUlSU_E_NS1_11comp_targetILNS1_3genE0ELNS1_11target_archE4294967295ELNS1_3gpuE0ELNS1_3repE0EEENS1_30default_config_static_selectorELNS0_4arch9wavefront6targetE1EEEvT1_,comdat
.Lfunc_end380:
	.size	_ZN7rocprim17ROCPRIM_400000_NS6detail17trampoline_kernelINS0_14default_configENS1_27scan_by_key_config_selectorIxxEEZZNS1_16scan_by_key_implILNS1_25lookback_scan_determinismE0ELb1ES3_N6thrust23THRUST_200600_302600_NS6detail15normal_iteratorINS9_10device_ptrIxEEEESE_SE_xNS9_4plusIvEENS9_8equal_toIvEExEE10hipError_tPvRmT2_T3_T4_T5_mT6_T7_P12ihipStream_tbENKUlT_T0_E_clISt17integral_constantIbLb0EESY_IbLb1EEEEDaSU_SV_EUlSU_E_NS1_11comp_targetILNS1_3genE0ELNS1_11target_archE4294967295ELNS1_3gpuE0ELNS1_3repE0EEENS1_30default_config_static_selectorELNS0_4arch9wavefront6targetE1EEEvT1_, .Lfunc_end380-_ZN7rocprim17ROCPRIM_400000_NS6detail17trampoline_kernelINS0_14default_configENS1_27scan_by_key_config_selectorIxxEEZZNS1_16scan_by_key_implILNS1_25lookback_scan_determinismE0ELb1ES3_N6thrust23THRUST_200600_302600_NS6detail15normal_iteratorINS9_10device_ptrIxEEEESE_SE_xNS9_4plusIvEENS9_8equal_toIvEExEE10hipError_tPvRmT2_T3_T4_T5_mT6_T7_P12ihipStream_tbENKUlT_T0_E_clISt17integral_constantIbLb0EESY_IbLb1EEEEDaSU_SV_EUlSU_E_NS1_11comp_targetILNS1_3genE0ELNS1_11target_archE4294967295ELNS1_3gpuE0ELNS1_3repE0EEENS1_30default_config_static_selectorELNS0_4arch9wavefront6targetE1EEEvT1_
                                        ; -- End function
	.section	.AMDGPU.csdata,"",@progbits
; Kernel info:
; codeLenInByte = 0
; NumSgprs: 6
; NumVgprs: 0
; NumAgprs: 0
; TotalNumVgprs: 0
; ScratchSize: 0
; MemoryBound: 0
; FloatMode: 240
; IeeeMode: 1
; LDSByteSize: 0 bytes/workgroup (compile time only)
; SGPRBlocks: 0
; VGPRBlocks: 0
; NumSGPRsForWavesPerEU: 6
; NumVGPRsForWavesPerEU: 1
; AccumOffset: 4
; Occupancy: 8
; WaveLimiterHint : 0
; COMPUTE_PGM_RSRC2:SCRATCH_EN: 0
; COMPUTE_PGM_RSRC2:USER_SGPR: 2
; COMPUTE_PGM_RSRC2:TRAP_HANDLER: 0
; COMPUTE_PGM_RSRC2:TGID_X_EN: 1
; COMPUTE_PGM_RSRC2:TGID_Y_EN: 0
; COMPUTE_PGM_RSRC2:TGID_Z_EN: 0
; COMPUTE_PGM_RSRC2:TIDIG_COMP_CNT: 0
; COMPUTE_PGM_RSRC3_GFX90A:ACCUM_OFFSET: 0
; COMPUTE_PGM_RSRC3_GFX90A:TG_SPLIT: 0
	.section	.text._ZN7rocprim17ROCPRIM_400000_NS6detail17trampoline_kernelINS0_14default_configENS1_27scan_by_key_config_selectorIxxEEZZNS1_16scan_by_key_implILNS1_25lookback_scan_determinismE0ELb1ES3_N6thrust23THRUST_200600_302600_NS6detail15normal_iteratorINS9_10device_ptrIxEEEESE_SE_xNS9_4plusIvEENS9_8equal_toIvEExEE10hipError_tPvRmT2_T3_T4_T5_mT6_T7_P12ihipStream_tbENKUlT_T0_E_clISt17integral_constantIbLb0EESY_IbLb1EEEEDaSU_SV_EUlSU_E_NS1_11comp_targetILNS1_3genE10ELNS1_11target_archE1201ELNS1_3gpuE5ELNS1_3repE0EEENS1_30default_config_static_selectorELNS0_4arch9wavefront6targetE1EEEvT1_,"axG",@progbits,_ZN7rocprim17ROCPRIM_400000_NS6detail17trampoline_kernelINS0_14default_configENS1_27scan_by_key_config_selectorIxxEEZZNS1_16scan_by_key_implILNS1_25lookback_scan_determinismE0ELb1ES3_N6thrust23THRUST_200600_302600_NS6detail15normal_iteratorINS9_10device_ptrIxEEEESE_SE_xNS9_4plusIvEENS9_8equal_toIvEExEE10hipError_tPvRmT2_T3_T4_T5_mT6_T7_P12ihipStream_tbENKUlT_T0_E_clISt17integral_constantIbLb0EESY_IbLb1EEEEDaSU_SV_EUlSU_E_NS1_11comp_targetILNS1_3genE10ELNS1_11target_archE1201ELNS1_3gpuE5ELNS1_3repE0EEENS1_30default_config_static_selectorELNS0_4arch9wavefront6targetE1EEEvT1_,comdat
	.protected	_ZN7rocprim17ROCPRIM_400000_NS6detail17trampoline_kernelINS0_14default_configENS1_27scan_by_key_config_selectorIxxEEZZNS1_16scan_by_key_implILNS1_25lookback_scan_determinismE0ELb1ES3_N6thrust23THRUST_200600_302600_NS6detail15normal_iteratorINS9_10device_ptrIxEEEESE_SE_xNS9_4plusIvEENS9_8equal_toIvEExEE10hipError_tPvRmT2_T3_T4_T5_mT6_T7_P12ihipStream_tbENKUlT_T0_E_clISt17integral_constantIbLb0EESY_IbLb1EEEEDaSU_SV_EUlSU_E_NS1_11comp_targetILNS1_3genE10ELNS1_11target_archE1201ELNS1_3gpuE5ELNS1_3repE0EEENS1_30default_config_static_selectorELNS0_4arch9wavefront6targetE1EEEvT1_ ; -- Begin function _ZN7rocprim17ROCPRIM_400000_NS6detail17trampoline_kernelINS0_14default_configENS1_27scan_by_key_config_selectorIxxEEZZNS1_16scan_by_key_implILNS1_25lookback_scan_determinismE0ELb1ES3_N6thrust23THRUST_200600_302600_NS6detail15normal_iteratorINS9_10device_ptrIxEEEESE_SE_xNS9_4plusIvEENS9_8equal_toIvEExEE10hipError_tPvRmT2_T3_T4_T5_mT6_T7_P12ihipStream_tbENKUlT_T0_E_clISt17integral_constantIbLb0EESY_IbLb1EEEEDaSU_SV_EUlSU_E_NS1_11comp_targetILNS1_3genE10ELNS1_11target_archE1201ELNS1_3gpuE5ELNS1_3repE0EEENS1_30default_config_static_selectorELNS0_4arch9wavefront6targetE1EEEvT1_
	.globl	_ZN7rocprim17ROCPRIM_400000_NS6detail17trampoline_kernelINS0_14default_configENS1_27scan_by_key_config_selectorIxxEEZZNS1_16scan_by_key_implILNS1_25lookback_scan_determinismE0ELb1ES3_N6thrust23THRUST_200600_302600_NS6detail15normal_iteratorINS9_10device_ptrIxEEEESE_SE_xNS9_4plusIvEENS9_8equal_toIvEExEE10hipError_tPvRmT2_T3_T4_T5_mT6_T7_P12ihipStream_tbENKUlT_T0_E_clISt17integral_constantIbLb0EESY_IbLb1EEEEDaSU_SV_EUlSU_E_NS1_11comp_targetILNS1_3genE10ELNS1_11target_archE1201ELNS1_3gpuE5ELNS1_3repE0EEENS1_30default_config_static_selectorELNS0_4arch9wavefront6targetE1EEEvT1_
	.p2align	8
	.type	_ZN7rocprim17ROCPRIM_400000_NS6detail17trampoline_kernelINS0_14default_configENS1_27scan_by_key_config_selectorIxxEEZZNS1_16scan_by_key_implILNS1_25lookback_scan_determinismE0ELb1ES3_N6thrust23THRUST_200600_302600_NS6detail15normal_iteratorINS9_10device_ptrIxEEEESE_SE_xNS9_4plusIvEENS9_8equal_toIvEExEE10hipError_tPvRmT2_T3_T4_T5_mT6_T7_P12ihipStream_tbENKUlT_T0_E_clISt17integral_constantIbLb0EESY_IbLb1EEEEDaSU_SV_EUlSU_E_NS1_11comp_targetILNS1_3genE10ELNS1_11target_archE1201ELNS1_3gpuE5ELNS1_3repE0EEENS1_30default_config_static_selectorELNS0_4arch9wavefront6targetE1EEEvT1_,@function
_ZN7rocprim17ROCPRIM_400000_NS6detail17trampoline_kernelINS0_14default_configENS1_27scan_by_key_config_selectorIxxEEZZNS1_16scan_by_key_implILNS1_25lookback_scan_determinismE0ELb1ES3_N6thrust23THRUST_200600_302600_NS6detail15normal_iteratorINS9_10device_ptrIxEEEESE_SE_xNS9_4plusIvEENS9_8equal_toIvEExEE10hipError_tPvRmT2_T3_T4_T5_mT6_T7_P12ihipStream_tbENKUlT_T0_E_clISt17integral_constantIbLb0EESY_IbLb1EEEEDaSU_SV_EUlSU_E_NS1_11comp_targetILNS1_3genE10ELNS1_11target_archE1201ELNS1_3gpuE5ELNS1_3repE0EEENS1_30default_config_static_selectorELNS0_4arch9wavefront6targetE1EEEvT1_: ; @_ZN7rocprim17ROCPRIM_400000_NS6detail17trampoline_kernelINS0_14default_configENS1_27scan_by_key_config_selectorIxxEEZZNS1_16scan_by_key_implILNS1_25lookback_scan_determinismE0ELb1ES3_N6thrust23THRUST_200600_302600_NS6detail15normal_iteratorINS9_10device_ptrIxEEEESE_SE_xNS9_4plusIvEENS9_8equal_toIvEExEE10hipError_tPvRmT2_T3_T4_T5_mT6_T7_P12ihipStream_tbENKUlT_T0_E_clISt17integral_constantIbLb0EESY_IbLb1EEEEDaSU_SV_EUlSU_E_NS1_11comp_targetILNS1_3genE10ELNS1_11target_archE1201ELNS1_3gpuE5ELNS1_3repE0EEENS1_30default_config_static_selectorELNS0_4arch9wavefront6targetE1EEEvT1_
; %bb.0:
	.section	.rodata,"a",@progbits
	.p2align	6, 0x0
	.amdhsa_kernel _ZN7rocprim17ROCPRIM_400000_NS6detail17trampoline_kernelINS0_14default_configENS1_27scan_by_key_config_selectorIxxEEZZNS1_16scan_by_key_implILNS1_25lookback_scan_determinismE0ELb1ES3_N6thrust23THRUST_200600_302600_NS6detail15normal_iteratorINS9_10device_ptrIxEEEESE_SE_xNS9_4plusIvEENS9_8equal_toIvEExEE10hipError_tPvRmT2_T3_T4_T5_mT6_T7_P12ihipStream_tbENKUlT_T0_E_clISt17integral_constantIbLb0EESY_IbLb1EEEEDaSU_SV_EUlSU_E_NS1_11comp_targetILNS1_3genE10ELNS1_11target_archE1201ELNS1_3gpuE5ELNS1_3repE0EEENS1_30default_config_static_selectorELNS0_4arch9wavefront6targetE1EEEvT1_
		.amdhsa_group_segment_fixed_size 0
		.amdhsa_private_segment_fixed_size 0
		.amdhsa_kernarg_size 136
		.amdhsa_user_sgpr_count 2
		.amdhsa_user_sgpr_dispatch_ptr 0
		.amdhsa_user_sgpr_queue_ptr 0
		.amdhsa_user_sgpr_kernarg_segment_ptr 1
		.amdhsa_user_sgpr_dispatch_id 0
		.amdhsa_user_sgpr_kernarg_preload_length 0
		.amdhsa_user_sgpr_kernarg_preload_offset 0
		.amdhsa_user_sgpr_private_segment_size 0
		.amdhsa_uses_dynamic_stack 0
		.amdhsa_enable_private_segment 0
		.amdhsa_system_sgpr_workgroup_id_x 1
		.amdhsa_system_sgpr_workgroup_id_y 0
		.amdhsa_system_sgpr_workgroup_id_z 0
		.amdhsa_system_sgpr_workgroup_info 0
		.amdhsa_system_vgpr_workitem_id 0
		.amdhsa_next_free_vgpr 1
		.amdhsa_next_free_sgpr 0
		.amdhsa_accum_offset 4
		.amdhsa_reserve_vcc 0
		.amdhsa_float_round_mode_32 0
		.amdhsa_float_round_mode_16_64 0
		.amdhsa_float_denorm_mode_32 3
		.amdhsa_float_denorm_mode_16_64 3
		.amdhsa_dx10_clamp 1
		.amdhsa_ieee_mode 1
		.amdhsa_fp16_overflow 0
		.amdhsa_tg_split 0
		.amdhsa_exception_fp_ieee_invalid_op 0
		.amdhsa_exception_fp_denorm_src 0
		.amdhsa_exception_fp_ieee_div_zero 0
		.amdhsa_exception_fp_ieee_overflow 0
		.amdhsa_exception_fp_ieee_underflow 0
		.amdhsa_exception_fp_ieee_inexact 0
		.amdhsa_exception_int_div_zero 0
	.end_amdhsa_kernel
	.section	.text._ZN7rocprim17ROCPRIM_400000_NS6detail17trampoline_kernelINS0_14default_configENS1_27scan_by_key_config_selectorIxxEEZZNS1_16scan_by_key_implILNS1_25lookback_scan_determinismE0ELb1ES3_N6thrust23THRUST_200600_302600_NS6detail15normal_iteratorINS9_10device_ptrIxEEEESE_SE_xNS9_4plusIvEENS9_8equal_toIvEExEE10hipError_tPvRmT2_T3_T4_T5_mT6_T7_P12ihipStream_tbENKUlT_T0_E_clISt17integral_constantIbLb0EESY_IbLb1EEEEDaSU_SV_EUlSU_E_NS1_11comp_targetILNS1_3genE10ELNS1_11target_archE1201ELNS1_3gpuE5ELNS1_3repE0EEENS1_30default_config_static_selectorELNS0_4arch9wavefront6targetE1EEEvT1_,"axG",@progbits,_ZN7rocprim17ROCPRIM_400000_NS6detail17trampoline_kernelINS0_14default_configENS1_27scan_by_key_config_selectorIxxEEZZNS1_16scan_by_key_implILNS1_25lookback_scan_determinismE0ELb1ES3_N6thrust23THRUST_200600_302600_NS6detail15normal_iteratorINS9_10device_ptrIxEEEESE_SE_xNS9_4plusIvEENS9_8equal_toIvEExEE10hipError_tPvRmT2_T3_T4_T5_mT6_T7_P12ihipStream_tbENKUlT_T0_E_clISt17integral_constantIbLb0EESY_IbLb1EEEEDaSU_SV_EUlSU_E_NS1_11comp_targetILNS1_3genE10ELNS1_11target_archE1201ELNS1_3gpuE5ELNS1_3repE0EEENS1_30default_config_static_selectorELNS0_4arch9wavefront6targetE1EEEvT1_,comdat
.Lfunc_end381:
	.size	_ZN7rocprim17ROCPRIM_400000_NS6detail17trampoline_kernelINS0_14default_configENS1_27scan_by_key_config_selectorIxxEEZZNS1_16scan_by_key_implILNS1_25lookback_scan_determinismE0ELb1ES3_N6thrust23THRUST_200600_302600_NS6detail15normal_iteratorINS9_10device_ptrIxEEEESE_SE_xNS9_4plusIvEENS9_8equal_toIvEExEE10hipError_tPvRmT2_T3_T4_T5_mT6_T7_P12ihipStream_tbENKUlT_T0_E_clISt17integral_constantIbLb0EESY_IbLb1EEEEDaSU_SV_EUlSU_E_NS1_11comp_targetILNS1_3genE10ELNS1_11target_archE1201ELNS1_3gpuE5ELNS1_3repE0EEENS1_30default_config_static_selectorELNS0_4arch9wavefront6targetE1EEEvT1_, .Lfunc_end381-_ZN7rocprim17ROCPRIM_400000_NS6detail17trampoline_kernelINS0_14default_configENS1_27scan_by_key_config_selectorIxxEEZZNS1_16scan_by_key_implILNS1_25lookback_scan_determinismE0ELb1ES3_N6thrust23THRUST_200600_302600_NS6detail15normal_iteratorINS9_10device_ptrIxEEEESE_SE_xNS9_4plusIvEENS9_8equal_toIvEExEE10hipError_tPvRmT2_T3_T4_T5_mT6_T7_P12ihipStream_tbENKUlT_T0_E_clISt17integral_constantIbLb0EESY_IbLb1EEEEDaSU_SV_EUlSU_E_NS1_11comp_targetILNS1_3genE10ELNS1_11target_archE1201ELNS1_3gpuE5ELNS1_3repE0EEENS1_30default_config_static_selectorELNS0_4arch9wavefront6targetE1EEEvT1_
                                        ; -- End function
	.section	.AMDGPU.csdata,"",@progbits
; Kernel info:
; codeLenInByte = 0
; NumSgprs: 6
; NumVgprs: 0
; NumAgprs: 0
; TotalNumVgprs: 0
; ScratchSize: 0
; MemoryBound: 0
; FloatMode: 240
; IeeeMode: 1
; LDSByteSize: 0 bytes/workgroup (compile time only)
; SGPRBlocks: 0
; VGPRBlocks: 0
; NumSGPRsForWavesPerEU: 6
; NumVGPRsForWavesPerEU: 1
; AccumOffset: 4
; Occupancy: 8
; WaveLimiterHint : 0
; COMPUTE_PGM_RSRC2:SCRATCH_EN: 0
; COMPUTE_PGM_RSRC2:USER_SGPR: 2
; COMPUTE_PGM_RSRC2:TRAP_HANDLER: 0
; COMPUTE_PGM_RSRC2:TGID_X_EN: 1
; COMPUTE_PGM_RSRC2:TGID_Y_EN: 0
; COMPUTE_PGM_RSRC2:TGID_Z_EN: 0
; COMPUTE_PGM_RSRC2:TIDIG_COMP_CNT: 0
; COMPUTE_PGM_RSRC3_GFX90A:ACCUM_OFFSET: 0
; COMPUTE_PGM_RSRC3_GFX90A:TG_SPLIT: 0
	.section	.text._ZN7rocprim17ROCPRIM_400000_NS6detail17trampoline_kernelINS0_14default_configENS1_27scan_by_key_config_selectorIxxEEZZNS1_16scan_by_key_implILNS1_25lookback_scan_determinismE0ELb1ES3_N6thrust23THRUST_200600_302600_NS6detail15normal_iteratorINS9_10device_ptrIxEEEESE_SE_xNS9_4plusIvEENS9_8equal_toIvEExEE10hipError_tPvRmT2_T3_T4_T5_mT6_T7_P12ihipStream_tbENKUlT_T0_E_clISt17integral_constantIbLb0EESY_IbLb1EEEEDaSU_SV_EUlSU_E_NS1_11comp_targetILNS1_3genE5ELNS1_11target_archE942ELNS1_3gpuE9ELNS1_3repE0EEENS1_30default_config_static_selectorELNS0_4arch9wavefront6targetE1EEEvT1_,"axG",@progbits,_ZN7rocprim17ROCPRIM_400000_NS6detail17trampoline_kernelINS0_14default_configENS1_27scan_by_key_config_selectorIxxEEZZNS1_16scan_by_key_implILNS1_25lookback_scan_determinismE0ELb1ES3_N6thrust23THRUST_200600_302600_NS6detail15normal_iteratorINS9_10device_ptrIxEEEESE_SE_xNS9_4plusIvEENS9_8equal_toIvEExEE10hipError_tPvRmT2_T3_T4_T5_mT6_T7_P12ihipStream_tbENKUlT_T0_E_clISt17integral_constantIbLb0EESY_IbLb1EEEEDaSU_SV_EUlSU_E_NS1_11comp_targetILNS1_3genE5ELNS1_11target_archE942ELNS1_3gpuE9ELNS1_3repE0EEENS1_30default_config_static_selectorELNS0_4arch9wavefront6targetE1EEEvT1_,comdat
	.protected	_ZN7rocprim17ROCPRIM_400000_NS6detail17trampoline_kernelINS0_14default_configENS1_27scan_by_key_config_selectorIxxEEZZNS1_16scan_by_key_implILNS1_25lookback_scan_determinismE0ELb1ES3_N6thrust23THRUST_200600_302600_NS6detail15normal_iteratorINS9_10device_ptrIxEEEESE_SE_xNS9_4plusIvEENS9_8equal_toIvEExEE10hipError_tPvRmT2_T3_T4_T5_mT6_T7_P12ihipStream_tbENKUlT_T0_E_clISt17integral_constantIbLb0EESY_IbLb1EEEEDaSU_SV_EUlSU_E_NS1_11comp_targetILNS1_3genE5ELNS1_11target_archE942ELNS1_3gpuE9ELNS1_3repE0EEENS1_30default_config_static_selectorELNS0_4arch9wavefront6targetE1EEEvT1_ ; -- Begin function _ZN7rocprim17ROCPRIM_400000_NS6detail17trampoline_kernelINS0_14default_configENS1_27scan_by_key_config_selectorIxxEEZZNS1_16scan_by_key_implILNS1_25lookback_scan_determinismE0ELb1ES3_N6thrust23THRUST_200600_302600_NS6detail15normal_iteratorINS9_10device_ptrIxEEEESE_SE_xNS9_4plusIvEENS9_8equal_toIvEExEE10hipError_tPvRmT2_T3_T4_T5_mT6_T7_P12ihipStream_tbENKUlT_T0_E_clISt17integral_constantIbLb0EESY_IbLb1EEEEDaSU_SV_EUlSU_E_NS1_11comp_targetILNS1_3genE5ELNS1_11target_archE942ELNS1_3gpuE9ELNS1_3repE0EEENS1_30default_config_static_selectorELNS0_4arch9wavefront6targetE1EEEvT1_
	.globl	_ZN7rocprim17ROCPRIM_400000_NS6detail17trampoline_kernelINS0_14default_configENS1_27scan_by_key_config_selectorIxxEEZZNS1_16scan_by_key_implILNS1_25lookback_scan_determinismE0ELb1ES3_N6thrust23THRUST_200600_302600_NS6detail15normal_iteratorINS9_10device_ptrIxEEEESE_SE_xNS9_4plusIvEENS9_8equal_toIvEExEE10hipError_tPvRmT2_T3_T4_T5_mT6_T7_P12ihipStream_tbENKUlT_T0_E_clISt17integral_constantIbLb0EESY_IbLb1EEEEDaSU_SV_EUlSU_E_NS1_11comp_targetILNS1_3genE5ELNS1_11target_archE942ELNS1_3gpuE9ELNS1_3repE0EEENS1_30default_config_static_selectorELNS0_4arch9wavefront6targetE1EEEvT1_
	.p2align	8
	.type	_ZN7rocprim17ROCPRIM_400000_NS6detail17trampoline_kernelINS0_14default_configENS1_27scan_by_key_config_selectorIxxEEZZNS1_16scan_by_key_implILNS1_25lookback_scan_determinismE0ELb1ES3_N6thrust23THRUST_200600_302600_NS6detail15normal_iteratorINS9_10device_ptrIxEEEESE_SE_xNS9_4plusIvEENS9_8equal_toIvEExEE10hipError_tPvRmT2_T3_T4_T5_mT6_T7_P12ihipStream_tbENKUlT_T0_E_clISt17integral_constantIbLb0EESY_IbLb1EEEEDaSU_SV_EUlSU_E_NS1_11comp_targetILNS1_3genE5ELNS1_11target_archE942ELNS1_3gpuE9ELNS1_3repE0EEENS1_30default_config_static_selectorELNS0_4arch9wavefront6targetE1EEEvT1_,@function
_ZN7rocprim17ROCPRIM_400000_NS6detail17trampoline_kernelINS0_14default_configENS1_27scan_by_key_config_selectorIxxEEZZNS1_16scan_by_key_implILNS1_25lookback_scan_determinismE0ELb1ES3_N6thrust23THRUST_200600_302600_NS6detail15normal_iteratorINS9_10device_ptrIxEEEESE_SE_xNS9_4plusIvEENS9_8equal_toIvEExEE10hipError_tPvRmT2_T3_T4_T5_mT6_T7_P12ihipStream_tbENKUlT_T0_E_clISt17integral_constantIbLb0EESY_IbLb1EEEEDaSU_SV_EUlSU_E_NS1_11comp_targetILNS1_3genE5ELNS1_11target_archE942ELNS1_3gpuE9ELNS1_3repE0EEENS1_30default_config_static_selectorELNS0_4arch9wavefront6targetE1EEEvT1_: ; @_ZN7rocprim17ROCPRIM_400000_NS6detail17trampoline_kernelINS0_14default_configENS1_27scan_by_key_config_selectorIxxEEZZNS1_16scan_by_key_implILNS1_25lookback_scan_determinismE0ELb1ES3_N6thrust23THRUST_200600_302600_NS6detail15normal_iteratorINS9_10device_ptrIxEEEESE_SE_xNS9_4plusIvEENS9_8equal_toIvEExEE10hipError_tPvRmT2_T3_T4_T5_mT6_T7_P12ihipStream_tbENKUlT_T0_E_clISt17integral_constantIbLb0EESY_IbLb1EEEEDaSU_SV_EUlSU_E_NS1_11comp_targetILNS1_3genE5ELNS1_11target_archE942ELNS1_3gpuE9ELNS1_3repE0EEENS1_30default_config_static_selectorELNS0_4arch9wavefront6targetE1EEEvT1_
; %bb.0:
	s_load_dwordx8 s[44:51], s[0:1], 0x0
	s_load_dwordx2 s[56:57], s[0:1], 0x20
	s_load_dwordx8 s[36:43], s[0:1], 0x30
	s_load_dwordx2 s[58:59], s[0:1], 0x50
	v_cmp_eq_u32_e64 s[30:31], 0, v0
	s_and_saveexec_b64 s[2:3], s[30:31]
	s_cbranch_execz .LBB382_4
; %bb.1:
	s_mov_b64 s[6:7], exec
	v_mbcnt_lo_u32_b32 v1, s6, 0
	v_mbcnt_hi_u32_b32 v1, s7, v1
	v_cmp_eq_u32_e32 vcc, 0, v1
                                        ; implicit-def: $vgpr2
	s_and_saveexec_b64 s[4:5], vcc
	s_cbranch_execz .LBB382_3
; %bb.2:
	s_load_dwordx2 s[8:9], s[0:1], 0x80
	s_bcnt1_i32_b64 s6, s[6:7]
	v_mov_b32_e32 v2, 0
	v_mov_b32_e32 v3, s6
	s_waitcnt lgkmcnt(0)
	global_atomic_add v2, v2, v3, s[8:9] sc0
.LBB382_3:
	s_or_b64 exec, exec, s[4:5]
	s_waitcnt vmcnt(0)
	v_readfirstlane_b32 s4, v2
	v_mov_b32_e32 v2, 0
	s_nop 0
	v_add_u32_e32 v1, s4, v1
	ds_write_b32 v2, v1
.LBB382_4:
	s_or_b64 exec, exec, s[2:3]
	s_load_dword s2, s[0:1], 0x58
	s_load_dwordx4 s[52:55], s[0:1], 0x60
	v_mov_b32_e32 v3, 0
	s_waitcnt lgkmcnt(0)
	s_lshl_b64 s[34:35], s[46:47], 3
	s_barrier
	ds_read_b32 v2, v3
	s_add_u32 s0, s44, s34
	s_addc_u32 s1, s45, s35
	s_add_u32 s4, s48, s34
	s_mul_i32 s3, s59, s2
	s_mul_hi_u32 s6, s58, s2
	s_addc_u32 s5, s49, s35
	s_add_i32 s3, s6, s3
	s_movk_i32 s6, 0xe00
	s_waitcnt lgkmcnt(0)
	v_mul_lo_u32 v4, v2, s6
	v_mov_b32_e32 v5, v3
	v_lshlrev_b64 v[54:55], 3, v[4:5]
	s_mul_i32 s2, s58, s2
	v_lshl_add_u64 v[62:63], s[4:5], 0, v[54:55]
	s_add_u32 s4, s52, -1
	v_readfirstlane_b32 s43, v2
	v_lshl_add_u64 v[2:3], s[2:3], 0, v[2:3]
	s_addc_u32 s5, s53, -1
	v_cmp_le_u64_e64 s[2:3], s[4:5], v[2:3]
	v_lshl_add_u64 v[64:65], s[0:1], 0, v[54:55]
	s_mov_b64 s[0:1], -1
	s_and_b64 vcc, exec, s[2:3]
	s_mul_i32 s33, s4, 0xfffff200
	s_barrier
	s_barrier
	s_cbranch_vccz .LBB382_80
; %bb.5:
	flat_load_dwordx2 v[2:3], v[64:65]
	s_add_i32 s48, s33, s42
	v_cmp_gt_u32_e32 vcc, s48, v0
	s_waitcnt vmcnt(0) lgkmcnt(0)
	v_mov_b64_e32 v[4:5], v[2:3]
	s_and_saveexec_b64 s[0:1], vcc
	s_cbranch_execz .LBB382_7
; %bb.6:
	v_lshlrev_b32_e32 v4, 3, v0
	v_mov_b32_e32 v5, 0
	v_lshl_add_u64 v[4:5], v[64:65], 0, v[4:5]
	flat_load_dwordx2 v[4:5], v[4:5]
.LBB382_7:
	s_or_b64 exec, exec, s[0:1]
	v_or_b32_e32 v1, 0x100, v0
	v_cmp_gt_u32_e64 s[4:5], s48, v1
	v_mov_b64_e32 v[6:7], v[2:3]
	s_and_saveexec_b64 s[0:1], s[4:5]
	s_cbranch_execz .LBB382_9
; %bb.8:
	v_lshlrev_b32_e32 v6, 3, v0
	v_mov_b32_e32 v7, 0
	v_lshl_add_u64 v[6:7], v[64:65], 0, v[6:7]
	flat_load_dwordx2 v[6:7], v[6:7] offset:2048
.LBB382_9:
	s_or_b64 exec, exec, s[0:1]
	v_or_b32_e32 v1, 0x200, v0
	v_cmp_gt_u32_e64 s[6:7], s48, v1
	v_lshlrev_b32_e32 v30, 3, v1
	v_mov_b64_e32 v[8:9], v[2:3]
	s_and_saveexec_b64 s[0:1], s[6:7]
	s_cbranch_execz .LBB382_11
; %bb.10:
	v_mov_b32_e32 v31, 0
	v_lshl_add_u64 v[8:9], v[64:65], 0, v[30:31]
	flat_load_dwordx2 v[8:9], v[8:9]
.LBB382_11:
	s_or_b64 exec, exec, s[0:1]
	v_or_b32_e32 v1, 0x300, v0
	v_cmp_gt_u32_e64 s[8:9], s48, v1
	v_lshlrev_b32_e32 v32, 3, v1
	v_mov_b64_e32 v[10:11], v[2:3]
	s_and_saveexec_b64 s[0:1], s[8:9]
	s_cbranch_execz .LBB382_13
; %bb.12:
	v_mov_b32_e32 v33, 0
	v_lshl_add_u64 v[10:11], v[64:65], 0, v[32:33]
	flat_load_dwordx2 v[10:11], v[10:11]
.LBB382_13:
	s_or_b64 exec, exec, s[0:1]
	v_or_b32_e32 v1, 0x400, v0
	v_cmp_gt_u32_e64 s[10:11], s48, v1
	v_lshlrev_b32_e32 v34, 3, v1
	v_mov_b64_e32 v[12:13], v[2:3]
	s_and_saveexec_b64 s[0:1], s[10:11]
	s_cbranch_execz .LBB382_15
; %bb.14:
	v_mov_b32_e32 v35, 0
	v_lshl_add_u64 v[12:13], v[64:65], 0, v[34:35]
	flat_load_dwordx2 v[12:13], v[12:13]
.LBB382_15:
	s_or_b64 exec, exec, s[0:1]
	v_or_b32_e32 v1, 0x500, v0
	v_cmp_gt_u32_e64 s[12:13], s48, v1
	v_lshlrev_b32_e32 v36, 3, v1
	v_mov_b64_e32 v[14:15], v[2:3]
	s_and_saveexec_b64 s[0:1], s[12:13]
	s_cbranch_execz .LBB382_17
; %bb.16:
	v_mov_b32_e32 v37, 0
	v_lshl_add_u64 v[14:15], v[64:65], 0, v[36:37]
	flat_load_dwordx2 v[14:15], v[14:15]
.LBB382_17:
	s_or_b64 exec, exec, s[0:1]
	v_or_b32_e32 v1, 0x600, v0
	v_cmp_gt_u32_e64 s[14:15], s48, v1
	v_lshlrev_b32_e32 v38, 3, v1
	v_mov_b64_e32 v[16:17], v[2:3]
	s_and_saveexec_b64 s[0:1], s[14:15]
	s_cbranch_execz .LBB382_19
; %bb.18:
	v_mov_b32_e32 v39, 0
	v_lshl_add_u64 v[16:17], v[64:65], 0, v[38:39]
	flat_load_dwordx2 v[16:17], v[16:17]
.LBB382_19:
	s_or_b64 exec, exec, s[0:1]
	v_or_b32_e32 v1, 0x700, v0
	v_cmp_gt_u32_e64 s[16:17], s48, v1
	v_lshlrev_b32_e32 v40, 3, v1
	v_mov_b64_e32 v[18:19], v[2:3]
	s_and_saveexec_b64 s[0:1], s[16:17]
	s_cbranch_execz .LBB382_21
; %bb.20:
	v_mov_b32_e32 v41, 0
	v_lshl_add_u64 v[18:19], v[64:65], 0, v[40:41]
	flat_load_dwordx2 v[18:19], v[18:19]
.LBB382_21:
	s_or_b64 exec, exec, s[0:1]
	v_or_b32_e32 v1, 0x800, v0
	v_cmp_gt_u32_e64 s[18:19], s48, v1
	v_lshlrev_b32_e32 v42, 3, v1
	v_mov_b64_e32 v[20:21], v[2:3]
	s_and_saveexec_b64 s[0:1], s[18:19]
	s_cbranch_execz .LBB382_23
; %bb.22:
	v_mov_b32_e32 v43, 0
	v_lshl_add_u64 v[20:21], v[64:65], 0, v[42:43]
	flat_load_dwordx2 v[20:21], v[20:21]
.LBB382_23:
	s_or_b64 exec, exec, s[0:1]
	v_or_b32_e32 v1, 0x900, v0
	v_cmp_gt_u32_e64 s[20:21], s48, v1
	v_lshlrev_b32_e32 v44, 3, v1
	v_mov_b64_e32 v[22:23], v[2:3]
	s_and_saveexec_b64 s[0:1], s[20:21]
	s_cbranch_execz .LBB382_25
; %bb.24:
	v_mov_b32_e32 v45, 0
	v_lshl_add_u64 v[22:23], v[64:65], 0, v[44:45]
	flat_load_dwordx2 v[22:23], v[22:23]
.LBB382_25:
	s_or_b64 exec, exec, s[0:1]
	v_or_b32_e32 v1, 0xa00, v0
	v_cmp_gt_u32_e64 s[22:23], s48, v1
	v_lshlrev_b32_e32 v46, 3, v1
	v_mov_b64_e32 v[24:25], v[2:3]
	s_and_saveexec_b64 s[0:1], s[22:23]
	s_cbranch_execz .LBB382_27
; %bb.26:
	v_mov_b32_e32 v47, 0
	v_lshl_add_u64 v[24:25], v[64:65], 0, v[46:47]
	flat_load_dwordx2 v[24:25], v[24:25]
.LBB382_27:
	s_or_b64 exec, exec, s[0:1]
	v_or_b32_e32 v1, 0xb00, v0
	v_cmp_gt_u32_e64 s[24:25], s48, v1
	v_lshlrev_b32_e32 v48, 3, v1
	v_mov_b64_e32 v[26:27], v[2:3]
	s_and_saveexec_b64 s[0:1], s[24:25]
	s_cbranch_execz .LBB382_29
; %bb.28:
	v_mov_b32_e32 v49, 0
	v_lshl_add_u64 v[26:27], v[64:65], 0, v[48:49]
	flat_load_dwordx2 v[26:27], v[26:27]
.LBB382_29:
	s_or_b64 exec, exec, s[0:1]
	v_or_b32_e32 v1, 0xc00, v0
	v_cmp_gt_u32_e64 s[26:27], s48, v1
	v_lshlrev_b32_e32 v50, 3, v1
	v_mov_b64_e32 v[28:29], v[2:3]
	s_and_saveexec_b64 s[0:1], s[26:27]
	s_cbranch_execz .LBB382_31
; %bb.30:
	v_mov_b32_e32 v51, 0
	v_lshl_add_u64 v[28:29], v[64:65], 0, v[50:51]
	flat_load_dwordx2 v[28:29], v[28:29]
.LBB382_31:
	s_or_b64 exec, exec, s[0:1]
	v_or_b32_e32 v1, 0xd00, v0
	v_cmp_gt_u32_e64 s[28:29], s48, v1
	v_lshlrev_b32_e32 v52, 3, v1
	s_and_saveexec_b64 s[0:1], s[28:29]
	s_cbranch_execz .LBB382_33
; %bb.32:
	v_mov_b32_e32 v53, 0
	v_lshl_add_u64 v[2:3], v[64:65], 0, v[52:53]
	flat_load_dwordx2 v[2:3], v[2:3]
.LBB382_33:
	s_or_b64 exec, exec, s[0:1]
	v_lshlrev_b32_e32 v56, 3, v0
	s_waitcnt vmcnt(0) lgkmcnt(0)
	ds_write2st64_b64 v56, v[4:5], v[6:7] offset1:4
	ds_write2st64_b64 v56, v[8:9], v[10:11] offset0:8 offset1:12
	ds_write2st64_b64 v56, v[12:13], v[14:15] offset0:16 offset1:20
	;; [unrolled: 1-line block ×6, first 2 shown]
	s_waitcnt lgkmcnt(0)
	s_barrier
	flat_load_dwordx2 v[60:61], v[64:65]
	s_movk_i32 s0, 0x68
	v_mad_u32_u24 v80, v0, s0, v56
	s_movk_i32 s0, 0xff98
	v_mad_i32_i24 v1, v0, s0, v80
	s_movk_i32 s0, 0xff
	v_cmp_ne_u32_e64 s[0:1], s0, v0
	ds_read_b128 v[26:29], v80
	ds_read_b128 v[22:25], v80 offset:16
	ds_read_b128 v[18:21], v80 offset:32
	;; [unrolled: 1-line block ×6, first 2 shown]
	s_waitcnt lgkmcnt(0)
	ds_write_b64 v1, v[26:27] offset:30720
	s_waitcnt lgkmcnt(0)
	s_barrier
	s_and_saveexec_b64 s[44:45], s[0:1]
	s_cbranch_execz .LBB382_35
; %bb.34:
	s_waitcnt vmcnt(0)
	ds_read_b64 v[60:61], v56 offset:30728
.LBB382_35:
	s_or_b64 exec, exec, s[44:45]
	v_mov_b32_e32 v57, 0
	s_waitcnt lgkmcnt(0)
	s_barrier
	s_waitcnt lgkmcnt(0)
                                        ; implicit-def: $vgpr58_vgpr59
	s_and_saveexec_b64 s[0:1], vcc
	s_cbranch_execz .LBB382_155
; %bb.36:
	v_lshl_add_u64 v[58:59], v[62:63], 0, v[56:57]
	flat_load_dwordx2 v[58:59], v[58:59]
	s_or_b64 exec, exec, s[0:1]
                                        ; implicit-def: $vgpr66_vgpr67
	s_and_saveexec_b64 s[0:1], s[4:5]
	s_cbranch_execnz .LBB382_156
.LBB382_37:
	s_or_b64 exec, exec, s[0:1]
                                        ; implicit-def: $vgpr68_vgpr69
	s_and_saveexec_b64 s[0:1], s[6:7]
	s_cbranch_execz .LBB382_157
.LBB382_38:
	v_mov_b32_e32 v31, 0
	v_lshl_add_u64 v[30:31], v[62:63], 0, v[30:31]
	flat_load_dwordx2 v[68:69], v[30:31]
	s_or_b64 exec, exec, s[0:1]
                                        ; implicit-def: $vgpr30_vgpr31
	s_and_saveexec_b64 s[0:1], s[8:9]
	s_cbranch_execnz .LBB382_158
.LBB382_39:
	s_or_b64 exec, exec, s[0:1]
                                        ; implicit-def: $vgpr32_vgpr33
	s_and_saveexec_b64 s[0:1], s[10:11]
	s_cbranch_execz .LBB382_159
.LBB382_40:
	v_mov_b32_e32 v35, 0
	v_lshl_add_u64 v[32:33], v[62:63], 0, v[34:35]
	flat_load_dwordx2 v[32:33], v[32:33]
	s_or_b64 exec, exec, s[0:1]
                                        ; implicit-def: $vgpr34_vgpr35
	s_and_saveexec_b64 s[0:1], s[12:13]
	s_cbranch_execnz .LBB382_160
.LBB382_41:
	s_or_b64 exec, exec, s[0:1]
                                        ; implicit-def: $vgpr36_vgpr37
	s_and_saveexec_b64 s[0:1], s[14:15]
	s_cbranch_execz .LBB382_161
.LBB382_42:
	v_mov_b32_e32 v39, 0
	v_lshl_add_u64 v[36:37], v[62:63], 0, v[38:39]
	flat_load_dwordx2 v[36:37], v[36:37]
	s_or_b64 exec, exec, s[0:1]
                                        ; implicit-def: $vgpr38_vgpr39
	s_and_saveexec_b64 s[0:1], s[16:17]
	s_cbranch_execnz .LBB382_162
.LBB382_43:
	s_or_b64 exec, exec, s[0:1]
                                        ; implicit-def: $vgpr40_vgpr41
	s_and_saveexec_b64 s[0:1], s[18:19]
	s_cbranch_execz .LBB382_163
.LBB382_44:
	v_mov_b32_e32 v43, 0
	v_lshl_add_u64 v[40:41], v[62:63], 0, v[42:43]
	flat_load_dwordx2 v[40:41], v[40:41]
	s_or_b64 exec, exec, s[0:1]
                                        ; implicit-def: $vgpr42_vgpr43
	s_and_saveexec_b64 s[0:1], s[20:21]
	s_cbranch_execnz .LBB382_164
.LBB382_45:
	s_or_b64 exec, exec, s[0:1]
                                        ; implicit-def: $vgpr44_vgpr45
	s_and_saveexec_b64 s[0:1], s[22:23]
	s_cbranch_execz .LBB382_165
.LBB382_46:
	v_mov_b32_e32 v47, 0
	v_lshl_add_u64 v[44:45], v[62:63], 0, v[46:47]
	flat_load_dwordx2 v[44:45], v[44:45]
	s_or_b64 exec, exec, s[0:1]
                                        ; implicit-def: $vgpr46_vgpr47
	s_and_saveexec_b64 s[0:1], s[24:25]
	s_cbranch_execnz .LBB382_166
.LBB382_47:
	s_or_b64 exec, exec, s[0:1]
                                        ; implicit-def: $vgpr48_vgpr49
	s_and_saveexec_b64 s[0:1], s[26:27]
	s_cbranch_execz .LBB382_49
.LBB382_48:
	v_mov_b32_e32 v51, 0
	v_lshl_add_u64 v[48:49], v[62:63], 0, v[50:51]
	flat_load_dwordx2 v[48:49], v[48:49]
.LBB382_49:
	s_or_b64 exec, exec, s[0:1]
	v_mul_u32_u24_e32 v81, 14, v0
                                        ; implicit-def: $vgpr50_vgpr51
	s_and_saveexec_b64 s[0:1], s[28:29]
	s_cbranch_execz .LBB382_51
; %bb.50:
	v_mov_b32_e32 v53, 0
	v_lshl_add_u64 v[50:51], v[62:63], 0, v[52:53]
	flat_load_dwordx2 v[50:51], v[50:51]
.LBB382_51:
	s_or_b64 exec, exec, s[0:1]
	s_waitcnt vmcnt(0) lgkmcnt(0)
	ds_write2st64_b64 v56, v[58:59], v[66:67] offset1:4
	ds_write2st64_b64 v56, v[68:69], v[30:31] offset0:8 offset1:12
	ds_write2st64_b64 v56, v[32:33], v[34:35] offset0:16 offset1:20
	;; [unrolled: 1-line block ×6, first 2 shown]
	v_mov_b64_e32 v[56:57], 0
	v_cmp_gt_u32_e32 vcc, s48, v81
	s_mov_b64 s[8:9], 0
	s_mov_b32 s52, 0
	s_mov_b64 s[0:1], 0
	v_mov_b32_e32 v71, 0
	v_mov_b64_e32 v[34:35], v[56:57]
	v_mov_b32_e32 v79, 0
	v_mov_b64_e32 v[58:59], v[56:57]
	;; [unrolled: 2-line block ×12, first 2 shown]
	v_mov_b32_e32 v1, 0
	s_waitcnt lgkmcnt(0)
	s_barrier
	s_waitcnt lgkmcnt(0)
                                        ; implicit-def: $sgpr6_sgpr7
                                        ; implicit-def: $vgpr66_vgpr67
	s_and_saveexec_b64 s[4:5], vcc
	s_cbranch_execz .LBB382_79
; %bb.52:
	ds_read_b64 v[30:31], v80
	v_cmp_ne_u64_e32 vcc, v[26:27], v[28:29]
	v_mov_b32_e32 v26, s57
	v_or_b32_e32 v32, 1, v81
	v_mov_b64_e32 v[34:35], 0
	s_waitcnt lgkmcnt(0)
	v_cndmask_b32_e32 v57, v31, v26, vcc
	v_mov_b32_e32 v26, s56
	v_cndmask_b32_e64 v1, 0, 1, vcc
	v_cndmask_b32_e32 v56, v30, v26, vcc
	v_cmp_gt_u32_e32 vcc, s48, v32
	s_mov_b64 s[10:11], 0
	v_mov_b32_e32 v71, 0
	v_mov_b32_e32 v79, 0
	v_mov_b64_e32 v[58:59], v[34:35]
	v_mov_b32_e32 v78, 0
	v_mov_b64_e32 v[36:37], v[34:35]
	;; [unrolled: 2-line block ×11, first 2 shown]
                                        ; implicit-def: $sgpr12_sgpr13
                                        ; implicit-def: $vgpr66_vgpr67
	s_and_saveexec_b64 s[6:7], vcc
	s_cbranch_execz .LBB382_78
; %bb.53:
	ds_read2_b64 v[30:33], v80 offset0:1 offset1:2
	v_cmp_ne_u64_e32 vcc, v[28:29], v[22:23]
	v_mov_b32_e32 v27, s57
	v_add_u32_e32 v26, 2, v81
	v_mov_b64_e32 v[34:35], 0
	s_waitcnt lgkmcnt(0)
	v_cndmask_b32_e32 v31, v31, v27, vcc
	v_mov_b32_e32 v27, s56
	v_cndmask_b32_e64 v68, 0, 1, vcc
	v_cndmask_b32_e32 v30, v30, v27, vcc
	v_cmp_gt_u32_e32 vcc, s48, v26
	s_mov_b64 s[12:13], 0
	v_mov_b32_e32 v71, 0
	v_mov_b32_e32 v79, 0
	v_mov_b64_e32 v[58:59], v[34:35]
	v_mov_b32_e32 v78, 0
	v_mov_b64_e32 v[36:37], v[34:35]
	;; [unrolled: 2-line block ×10, first 2 shown]
                                        ; implicit-def: $sgpr14_sgpr15
                                        ; implicit-def: $vgpr66_vgpr67
	s_and_saveexec_b64 s[8:9], vcc
	s_cbranch_execz .LBB382_77
; %bb.54:
	v_cmp_ne_u64_e32 vcc, v[22:23], v[24:25]
	v_mov_b32_e32 v22, s57
	v_add_u32_e32 v26, 3, v81
	v_cndmask_b32_e32 v51, v33, v22, vcc
	v_mov_b32_e32 v22, s56
	v_mov_b64_e32 v[34:35], 0
	v_cndmask_b32_e64 v69, 0, 1, vcc
	v_cndmask_b32_e32 v50, v32, v22, vcc
	v_cmp_gt_u32_e32 vcc, s48, v26
	s_mov_b64 s[14:15], 0
	v_mov_b32_e32 v71, 0
	v_mov_b32_e32 v79, 0
	v_mov_b64_e32 v[58:59], v[34:35]
	v_mov_b32_e32 v78, 0
	v_mov_b64_e32 v[36:37], v[34:35]
	;; [unrolled: 2-line block ×9, first 2 shown]
                                        ; implicit-def: $sgpr16_sgpr17
                                        ; implicit-def: $vgpr66_vgpr67
	s_and_saveexec_b64 s[10:11], vcc
	s_cbranch_execz .LBB382_76
; %bb.55:
	ds_read2_b64 v[26:29], v80 offset0:3 offset1:4
	v_cmp_ne_u64_e32 vcc, v[24:25], v[18:19]
	v_mov_b32_e32 v23, s57
	v_add_u32_e32 v22, 4, v81
	v_mov_b64_e32 v[34:35], 0
	s_waitcnt lgkmcnt(0)
	v_cndmask_b32_e32 v47, v27, v23, vcc
	v_mov_b32_e32 v23, s56
	v_cndmask_b32_e64 v70, 0, 1, vcc
	v_cndmask_b32_e32 v46, v26, v23, vcc
	v_cmp_gt_u32_e32 vcc, s48, v22
	s_mov_b64 s[16:17], 0
	v_mov_b32_e32 v71, 0
	v_mov_b32_e32 v79, 0
	v_mov_b64_e32 v[58:59], v[34:35]
	v_mov_b32_e32 v78, 0
	v_mov_b64_e32 v[36:37], v[34:35]
	;; [unrolled: 2-line block ×8, first 2 shown]
                                        ; implicit-def: $sgpr18_sgpr19
                                        ; implicit-def: $vgpr66_vgpr67
	s_and_saveexec_b64 s[12:13], vcc
	s_cbranch_execz .LBB382_75
; %bb.56:
	v_cmp_ne_u64_e32 vcc, v[18:19], v[20:21]
	v_mov_b32_e32 v18, s57
	v_add_u32_e32 v22, 5, v81
	v_cndmask_b32_e32 v49, v29, v18, vcc
	v_mov_b32_e32 v18, s56
	v_mov_b64_e32 v[34:35], 0
	v_cndmask_b32_e64 v72, 0, 1, vcc
	v_cndmask_b32_e32 v48, v28, v18, vcc
	v_cmp_gt_u32_e32 vcc, s48, v22
	s_mov_b64 s[18:19], 0
	v_mov_b32_e32 v71, 0
	v_mov_b32_e32 v79, 0
	v_mov_b64_e32 v[58:59], v[34:35]
	v_mov_b32_e32 v78, 0
	v_mov_b64_e32 v[36:37], v[34:35]
	;; [unrolled: 2-line block ×7, first 2 shown]
                                        ; implicit-def: $sgpr20_sgpr21
                                        ; implicit-def: $vgpr66_vgpr67
	s_and_saveexec_b64 s[14:15], vcc
	s_cbranch_execz .LBB382_74
; %bb.57:
	ds_read2_b64 v[22:25], v80 offset0:5 offset1:6
	v_cmp_ne_u64_e32 vcc, v[20:21], v[14:15]
	v_mov_b32_e32 v19, s57
	v_add_u32_e32 v18, 6, v81
	v_mov_b64_e32 v[34:35], 0
	s_waitcnt lgkmcnt(0)
	v_cndmask_b32_e32 v43, v23, v19, vcc
	v_mov_b32_e32 v19, s56
	v_cndmask_b32_e64 v73, 0, 1, vcc
	v_cndmask_b32_e32 v42, v22, v19, vcc
	v_cmp_gt_u32_e32 vcc, s48, v18
	s_mov_b64 s[20:21], 0
	v_mov_b32_e32 v71, 0
	v_mov_b32_e32 v79, 0
	v_mov_b64_e32 v[58:59], v[34:35]
	v_mov_b32_e32 v78, 0
	v_mov_b64_e32 v[36:37], v[34:35]
	;; [unrolled: 2-line block ×6, first 2 shown]
                                        ; implicit-def: $sgpr22_sgpr23
                                        ; implicit-def: $vgpr66_vgpr67
	s_and_saveexec_b64 s[16:17], vcc
	s_cbranch_execz .LBB382_73
; %bb.58:
	v_cmp_ne_u64_e32 vcc, v[14:15], v[16:17]
	v_mov_b32_e32 v14, s57
	v_add_u32_e32 v18, 7, v81
	v_cndmask_b32_e32 v45, v25, v14, vcc
	v_mov_b32_e32 v14, s56
	v_mov_b64_e32 v[34:35], 0
	v_cndmask_b32_e64 v74, 0, 1, vcc
	v_cndmask_b32_e32 v44, v24, v14, vcc
	v_cmp_gt_u32_e32 vcc, s48, v18
	s_mov_b64 s[22:23], 0
	v_mov_b32_e32 v71, 0
	v_mov_b32_e32 v79, 0
	v_mov_b64_e32 v[58:59], v[34:35]
	v_mov_b32_e32 v78, 0
	v_mov_b64_e32 v[36:37], v[34:35]
	;; [unrolled: 2-line block ×5, first 2 shown]
                                        ; implicit-def: $sgpr24_sgpr25
                                        ; implicit-def: $vgpr66_vgpr67
	s_and_saveexec_b64 s[18:19], vcc
	s_cbranch_execz .LBB382_72
; %bb.59:
	ds_read2_b64 v[18:21], v80 offset0:7 offset1:8
	v_cmp_ne_u64_e32 vcc, v[16:17], v[10:11]
	v_mov_b32_e32 v15, s57
	v_add_u32_e32 v14, 8, v81
	v_mov_b64_e32 v[34:35], 0
	s_waitcnt lgkmcnt(0)
	v_cndmask_b32_e32 v39, v19, v15, vcc
	v_mov_b32_e32 v15, s56
	v_cndmask_b32_e64 v75, 0, 1, vcc
	v_cndmask_b32_e32 v38, v18, v15, vcc
	v_cmp_gt_u32_e32 vcc, s48, v14
	s_mov_b64 s[24:25], 0
	v_mov_b32_e32 v71, 0
	v_mov_b32_e32 v79, 0
	v_mov_b64_e32 v[58:59], v[34:35]
	v_mov_b32_e32 v78, 0
	v_mov_b64_e32 v[36:37], v[34:35]
	;; [unrolled: 2-line block ×4, first 2 shown]
                                        ; implicit-def: $sgpr26_sgpr27
                                        ; implicit-def: $vgpr66_vgpr67
	s_and_saveexec_b64 s[20:21], vcc
	s_cbranch_execz .LBB382_71
; %bb.60:
	v_cmp_ne_u64_e32 vcc, v[10:11], v[12:13]
	v_mov_b32_e32 v10, s57
	v_add_u32_e32 v14, 9, v81
	v_cndmask_b32_e32 v41, v21, v10, vcc
	v_mov_b32_e32 v10, s56
	v_mov_b64_e32 v[34:35], 0
	v_cndmask_b32_e64 v76, 0, 1, vcc
	v_cndmask_b32_e32 v40, v20, v10, vcc
	v_cmp_gt_u32_e32 vcc, s48, v14
	s_mov_b64 s[26:27], 0
	v_mov_b32_e32 v71, 0
	v_mov_b32_e32 v79, 0
	v_mov_b64_e32 v[58:59], v[34:35]
	v_mov_b32_e32 v78, 0
	v_mov_b64_e32 v[36:37], v[34:35]
	;; [unrolled: 2-line block ×3, first 2 shown]
                                        ; implicit-def: $sgpr28_sgpr29
                                        ; implicit-def: $vgpr66_vgpr67
	s_and_saveexec_b64 s[22:23], vcc
	s_cbranch_execz .LBB382_70
; %bb.61:
	ds_read2_b64 v[14:17], v80 offset0:9 offset1:10
	v_cmp_ne_u64_e32 vcc, v[12:13], v[6:7]
	v_mov_b32_e32 v11, s57
	v_add_u32_e32 v10, 10, v81
	v_mov_b64_e32 v[34:35], 0
	s_waitcnt lgkmcnt(0)
	v_cndmask_b32_e32 v53, v15, v11, vcc
	v_mov_b32_e32 v11, s56
	v_cndmask_b32_e64 v77, 0, 1, vcc
	v_cndmask_b32_e32 v52, v14, v11, vcc
	v_cmp_gt_u32_e32 vcc, s48, v10
	s_mov_b64 s[28:29], 0
	v_mov_b32_e32 v71, 0
	v_mov_b32_e32 v79, 0
	v_mov_b64_e32 v[58:59], v[34:35]
	v_mov_b32_e32 v78, 0
	v_mov_b64_e32 v[36:37], v[34:35]
                                        ; implicit-def: $sgpr44_sgpr45
                                        ; implicit-def: $vgpr66_vgpr67
	s_and_saveexec_b64 s[24:25], vcc
	s_cbranch_execz .LBB382_69
; %bb.62:
	v_cmp_ne_u64_e32 vcc, v[6:7], v[8:9]
	v_mov_b32_e32 v6, s57
	v_add_u32_e32 v10, 11, v81
	v_cndmask_b32_e32 v37, v17, v6, vcc
	v_mov_b32_e32 v6, s56
	v_mov_b64_e32 v[34:35], 0
	v_cndmask_b32_e64 v78, 0, 1, vcc
	v_cndmask_b32_e32 v36, v16, v6, vcc
	v_cmp_gt_u32_e32 vcc, s48, v10
	s_mov_b64 s[44:45], 0
	v_mov_b32_e32 v71, 0
	v_mov_b32_e32 v79, 0
	v_mov_b64_e32 v[58:59], v[34:35]
                                        ; implicit-def: $sgpr46_sgpr47
                                        ; implicit-def: $vgpr66_vgpr67
	s_and_saveexec_b64 s[26:27], vcc
	s_cbranch_execz .LBB382_68
; %bb.63:
	ds_read2_b64 v[10:13], v80 offset0:11 offset1:12
	v_cmp_ne_u64_e32 vcc, v[8:9], v[2:3]
	v_mov_b32_e32 v7, s57
	v_add_u32_e32 v6, 12, v81
	v_cndmask_b32_e64 v79, 0, 1, vcc
	s_waitcnt lgkmcnt(0)
	v_cndmask_b32_e32 v59, v11, v7, vcc
	v_mov_b32_e32 v7, s56
	v_cndmask_b32_e32 v58, v10, v7, vcc
	v_cmp_gt_u32_e32 vcc, s48, v6
	v_mov_b32_e32 v71, 0
	v_mov_b64_e32 v[34:35], 0
                                        ; implicit-def: $sgpr46_sgpr47
                                        ; implicit-def: $vgpr66_vgpr67
	s_and_saveexec_b64 s[28:29], vcc
	s_cbranch_execz .LBB382_67
; %bb.64:
	v_cmp_ne_u64_e32 vcc, v[2:3], v[4:5]
	v_mov_b32_e32 v2, s57
	v_add_u32_e32 v6, 13, v81
	v_cndmask_b32_e32 v35, v13, v2, vcc
	v_mov_b32_e32 v2, s56
	v_cndmask_b32_e64 v71, 0, 1, vcc
	v_cndmask_b32_e32 v34, v12, v2, vcc
	v_cmp_gt_u32_e32 vcc, s48, v6
                                        ; implicit-def: $sgpr46_sgpr47
                                        ; implicit-def: $vgpr66_vgpr67
	s_and_saveexec_b64 s[48:49], vcc
	s_xor_b64 s[48:49], exec, s[48:49]
	s_cbranch_execz .LBB382_66
; %bb.65:
	ds_read_b64 v[2:3], v80 offset:104
	v_mov_b32_e32 v6, s57
	v_mov_b32_e32 v7, s56
	v_cmp_ne_u64_e32 vcc, v[4:5], v[60:61]
	s_mov_b64 s[44:45], exec
	s_and_b64 s[46:47], vcc, exec
	s_waitcnt lgkmcnt(0)
	v_cndmask_b32_e32 v67, v3, v6, vcc
	v_cndmask_b32_e32 v66, v2, v7, vcc
.LBB382_66:
	s_or_b64 exec, exec, s[48:49]
	s_and_b64 s[46:47], s[46:47], exec
	s_and_b64 s[44:45], s[44:45], exec
.LBB382_67:
	s_or_b64 exec, exec, s[28:29]
	s_and_b64 s[46:47], s[46:47], exec
	s_and_b64 s[28:29], s[44:45], exec
.LBB382_68:
	s_or_b64 exec, exec, s[26:27]
	s_and_b64 s[44:45], s[46:47], exec
	s_and_b64 s[26:27], s[28:29], exec
.LBB382_69:
	s_or_b64 exec, exec, s[24:25]
	s_and_b64 s[28:29], s[44:45], exec
	s_and_b64 s[24:25], s[26:27], exec
.LBB382_70:
	s_or_b64 exec, exec, s[22:23]
	s_and_b64 s[26:27], s[28:29], exec
	s_and_b64 s[22:23], s[24:25], exec
.LBB382_71:
	s_or_b64 exec, exec, s[20:21]
	s_and_b64 s[24:25], s[26:27], exec
	s_and_b64 s[20:21], s[22:23], exec
.LBB382_72:
	s_or_b64 exec, exec, s[18:19]
	s_and_b64 s[22:23], s[24:25], exec
	s_and_b64 s[18:19], s[20:21], exec
.LBB382_73:
	s_or_b64 exec, exec, s[16:17]
	s_and_b64 s[20:21], s[22:23], exec
	s_and_b64 s[16:17], s[18:19], exec
.LBB382_74:
	s_or_b64 exec, exec, s[14:15]
	s_and_b64 s[18:19], s[20:21], exec
	s_and_b64 s[14:15], s[16:17], exec
.LBB382_75:
	s_or_b64 exec, exec, s[12:13]
	s_and_b64 s[16:17], s[18:19], exec
	s_and_b64 s[12:13], s[14:15], exec
.LBB382_76:
	s_or_b64 exec, exec, s[10:11]
	s_and_b64 s[14:15], s[16:17], exec
	s_and_b64 s[10:11], s[12:13], exec
.LBB382_77:
	s_or_b64 exec, exec, s[8:9]
	s_and_b64 s[12:13], s[14:15], exec
	s_and_b64 s[8:9], s[10:11], exec
.LBB382_78:
	s_or_b64 exec, exec, s[6:7]
	s_and_b64 s[6:7], s[12:13], exec
	s_and_b64 s[8:9], s[8:9], exec
.LBB382_79:
	s_or_b64 exec, exec, s[4:5]
	s_mov_b64 s[4:5], 0
	s_and_b64 vcc, exec, s[0:1]
	v_lshlrev_b32_e32 v60, 3, v0
	s_cbranch_vccnz .LBB382_81
	s_branch .LBB382_86
.LBB382_80:
	s_mov_b64 s[8:9], 0
                                        ; implicit-def: $sgpr6_sgpr7
                                        ; implicit-def: $vgpr66_vgpr67
                                        ; implicit-def: $vgpr56_vgpr57
                                        ; implicit-def: $vgpr71
                                        ; implicit-def: $vgpr34_vgpr35
                                        ; implicit-def: $vgpr79
                                        ; implicit-def: $vgpr58_vgpr59
                                        ; implicit-def: $vgpr78
                                        ; implicit-def: $vgpr36_vgpr37
                                        ; implicit-def: $vgpr77
                                        ; implicit-def: $vgpr52_vgpr53
                                        ; implicit-def: $vgpr76
                                        ; implicit-def: $vgpr40_vgpr41
                                        ; implicit-def: $vgpr75
                                        ; implicit-def: $vgpr38_vgpr39
                                        ; implicit-def: $vgpr74
                                        ; implicit-def: $vgpr44_vgpr45
                                        ; implicit-def: $vgpr73
                                        ; implicit-def: $vgpr42_vgpr43
                                        ; implicit-def: $vgpr72
                                        ; implicit-def: $vgpr48_vgpr49
                                        ; implicit-def: $vgpr70
                                        ; implicit-def: $vgpr46_vgpr47
                                        ; implicit-def: $vgpr69
                                        ; implicit-def: $vgpr50_vgpr51
                                        ; implicit-def: $vgpr68
                                        ; implicit-def: $vgpr30_vgpr31
                                        ; implicit-def: $vgpr1
                                        ; implicit-def: $sgpr52
                                        ; implicit-def: $sgpr4_sgpr5
	s_and_b64 vcc, exec, s[0:1]
	v_lshlrev_b32_e32 v60, 3, v0
	s_cbranch_vccz .LBB382_86
.LBB382_81:
	v_mov_b32_e32 v61, 0
	v_lshl_add_u64 v[2:3], v[64:65], 0, v[60:61]
	v_add_co_u32_e32 v4, vcc, 0x1000, v2
	s_movk_i32 s0, 0x7000
	s_nop 0
	v_addc_co_u32_e32 v5, vcc, 0, v3, vcc
	flat_load_dwordx2 v[6:7], v[2:3]
	flat_load_dwordx2 v[8:9], v[2:3] offset:2048
	flat_load_dwordx2 v[10:11], v[4:5]
	flat_load_dwordx2 v[12:13], v[4:5] offset:2048
	v_add_co_u32_e32 v4, vcc, 0x2000, v2
	s_movk_i32 s9, 0x1000
	s_nop 0
	v_addc_co_u32_e32 v5, vcc, 0, v3, vcc
	v_add_co_u32_e32 v14, vcc, 0x3000, v2
	s_movk_i32 s8, 0x2000
	s_nop 0
	v_addc_co_u32_e32 v15, vcc, 0, v3, vcc
	flat_load_dwordx2 v[16:17], v[4:5]
	flat_load_dwordx2 v[18:19], v[4:5] offset:2048
	flat_load_dwordx2 v[20:21], v[14:15]
	flat_load_dwordx2 v[22:23], v[14:15] offset:2048
	v_add_co_u32_e32 v4, vcc, 0x4000, v2
	s_movk_i32 s7, 0x3000
	s_nop 0
	v_addc_co_u32_e32 v5, vcc, 0, v3, vcc
	v_add_co_u32_e32 v14, vcc, 0x5000, v2
	s_movk_i32 s6, 0x4000
	s_nop 0
	v_addc_co_u32_e32 v15, vcc, 0, v3, vcc
	v_add_co_u32_e32 v2, vcc, 0x6000, v2
	flat_load_dwordx2 v[24:25], v[4:5]
	flat_load_dwordx2 v[26:27], v[4:5] offset:2048
	flat_load_dwordx2 v[28:29], v[14:15]
	flat_load_dwordx2 v[30:31], v[14:15] offset:2048
	v_addc_co_u32_e32 v3, vcc, 0, v3, vcc
	flat_load_dwordx2 v[4:5], v[2:3]
	flat_load_dwordx2 v[14:15], v[2:3] offset:2048
	v_add_co_u32_e32 v2, vcc, s0, v64
	s_movk_i32 s0, 0x68
	s_nop 0
	v_addc_co_u32_e32 v3, vcc, 0, v65, vcc
	v_mad_u32_u24 v1, v0, s0, v60
	s_movk_i32 s0, 0xff98
	s_movk_i32 s5, 0x5000
	;; [unrolled: 1-line block ×3, first 2 shown]
	s_waitcnt vmcnt(0) lgkmcnt(0)
	ds_write2st64_b64 v60, v[6:7], v[8:9] offset1:4
	ds_write2st64_b64 v60, v[10:11], v[12:13] offset0:8 offset1:12
	ds_write2st64_b64 v60, v[16:17], v[18:19] offset0:16 offset1:20
	;; [unrolled: 1-line block ×6, first 2 shown]
	s_waitcnt lgkmcnt(0)
	s_barrier
	flat_load_dwordx2 v[64:65], v[2:3]
	v_mad_i32_i24 v26, v0, s0, v1
	s_movk_i32 s0, 0xff
	v_cmp_ne_u32_e32 vcc, s0, v0
	ds_read_b128 v[30:33], v1
	ds_read_b128 v[22:25], v1 offset:16
	ds_read_b128 v[18:21], v1 offset:32
	;; [unrolled: 1-line block ×6, first 2 shown]
	s_waitcnt lgkmcnt(0)
	ds_write_b64 v26, v[30:31] offset:30720
	s_waitcnt lgkmcnt(0)
	s_barrier
	s_and_saveexec_b64 s[0:1], vcc
	s_cbranch_execz .LBB382_83
; %bb.82:
	s_waitcnt vmcnt(0)
	ds_read_b64 v[64:65], v60 offset:30728
.LBB382_83:
	s_or_b64 exec, exec, s[0:1]
	v_lshl_add_u64 v[26:27], v[62:63], 0, v[60:61]
	v_add_co_u32_e32 v28, vcc, s9, v26
	s_waitcnt lgkmcnt(0)
	s_nop 0
	v_addc_co_u32_e32 v29, vcc, 0, v27, vcc
	s_barrier
	flat_load_dwordx2 v[34:35], v[26:27]
	flat_load_dwordx2 v[36:37], v[26:27] offset:2048
	flat_load_dwordx2 v[38:39], v[28:29]
	flat_load_dwordx2 v[40:41], v[28:29] offset:2048
	v_add_co_u32_e32 v28, vcc, s8, v26
	v_cmp_eq_u64_e64 s[0:1], v[30:31], v[32:33]
	s_nop 0
	v_addc_co_u32_e32 v29, vcc, 0, v27, vcc
	v_add_co_u32_e32 v42, vcc, s7, v26
	s_nop 1
	v_addc_co_u32_e32 v43, vcc, 0, v27, vcc
	flat_load_dwordx2 v[44:45], v[28:29]
	flat_load_dwordx2 v[46:47], v[28:29] offset:2048
	flat_load_dwordx2 v[48:49], v[42:43]
	flat_load_dwordx2 v[50:51], v[42:43] offset:2048
	v_add_co_u32_e32 v28, vcc, s6, v26
	s_nop 1
	v_addc_co_u32_e32 v29, vcc, 0, v27, vcc
	v_add_co_u32_e32 v42, vcc, s5, v26
	s_nop 1
	v_addc_co_u32_e32 v43, vcc, 0, v27, vcc
	v_add_co_u32_e32 v26, vcc, s4, v26
	flat_load_dwordx2 v[52:53], v[28:29]
	flat_load_dwordx2 v[56:57], v[28:29] offset:2048
	flat_load_dwordx2 v[58:59], v[42:43]
	flat_load_dwordx2 v[62:63], v[42:43] offset:2048
	v_addc_co_u32_e32 v27, vcc, 0, v27, vcc
	flat_load_dwordx2 v[28:29], v[26:27]
	flat_load_dwordx2 v[42:43], v[26:27] offset:2048
	v_cmp_ne_u64_e32 vcc, v[30:31], v[32:33]
	s_waitcnt vmcnt(0) lgkmcnt(0)
	ds_write2st64_b64 v60, v[34:35], v[36:37] offset1:4
	ds_write2st64_b64 v60, v[38:39], v[40:41] offset0:8 offset1:12
	ds_write2st64_b64 v60, v[44:45], v[46:47] offset0:16 offset1:20
	;; [unrolled: 1-line block ×6, first 2 shown]
	s_waitcnt lgkmcnt(0)
	s_barrier
	ds_read2_b64 v[50:53], v1 offset0:1 offset1:2
	ds_read2_b64 v[46:49], v1 offset0:3 offset1:4
	;; [unrolled: 1-line block ×6, first 2 shown]
	ds_read_b64 v[62:63], v1 offset:104
	v_mov_b64_e32 v[56:57], s[56:57]
	s_and_saveexec_b64 s[4:5], s[0:1]
	s_cbranch_execz .LBB382_85
; %bb.84:
	ds_read_b64 v[56:57], v1
.LBB382_85:
	s_or_b64 exec, exec, s[4:5]
	v_cmp_ne_u64_e64 s[6:7], v[18:19], v[20:21]
	v_cmp_ne_u64_e64 s[20:21], v[8:9], v[2:3]
	;; [unrolled: 1-line block ×3, first 2 shown]
	v_mov_b32_e32 v2, s57
	v_mov_b32_e32 v3, s56
	v_cndmask_b32_e64 v1, 0, 1, vcc
	v_cmp_ne_u64_e32 vcc, v[32:33], v[22:23]
	v_cmp_ne_u64_e64 s[0:1], v[22:23], v[24:25]
	v_cmp_ne_u64_e64 s[4:5], v[24:25], v[18:19]
	v_cndmask_b32_e64 v72, 0, 1, s[6:7]
	v_cmp_ne_u64_e64 s[8:9], v[20:21], v[14:15]
	v_cmp_ne_u64_e64 s[10:11], v[14:15], v[16:17]
	;; [unrolled: 1-line block ×6, first 2 shown]
	s_waitcnt lgkmcnt(5)
	v_cndmask_b32_e64 v49, v49, v2, s[6:7]
	v_cndmask_b32_e64 v48, v48, v3, s[6:7]
	v_cmp_ne_u64_e64 s[6:7], v[4:5], v[64:65]
	v_cndmask_b32_e64 v68, 0, 1, vcc
	v_cndmask_b32_e64 v69, 0, 1, s[0:1]
	v_cndmask_b32_e64 v70, 0, 1, s[4:5]
	;; [unrolled: 1-line block ×10, first 2 shown]
	v_cndmask_b32_e32 v31, v51, v2, vcc
	v_cndmask_b32_e32 v30, v50, v3, vcc
	v_cndmask_b32_e64 v51, v53, v2, s[0:1]
	v_cndmask_b32_e64 v50, v52, v3, s[0:1]
	v_cndmask_b32_e64 v47, v47, v2, s[4:5]
	v_cndmask_b32_e64 v46, v46, v3, s[4:5]
	s_waitcnt lgkmcnt(4)
	v_cndmask_b32_e64 v43, v43, v2, s[8:9]
	v_cndmask_b32_e64 v42, v42, v3, s[8:9]
	v_cndmask_b32_e64 v45, v45, v2, s[10:11]
	v_cndmask_b32_e64 v44, v44, v3, s[10:11]
	s_waitcnt lgkmcnt(3)
	;; [unrolled: 5-line block ×5, first 2 shown]
	v_cndmask_b32_e64 v67, v63, v2, s[6:7]
	v_cndmask_b32_e64 v66, v62, v3, s[6:7]
	s_mov_b64 s[8:9], -1
                                        ; implicit-def: $sgpr52
                                        ; implicit-def: $sgpr4_sgpr5
.LBB382_86:
	v_mov_b64_e32 v[28:29], s[4:5]
	v_mov_b32_e32 v61, s52
	s_and_saveexec_b64 s[0:1], s[8:9]
; %bb.87:
	v_cndmask_b32_e64 v61, 0, 1, s[6:7]
	v_mov_b64_e32 v[28:29], v[66:67]
; %bb.88:
	s_or_b64 exec, exec, s[0:1]
	v_or_b32_e32 v2, v61, v71
	s_cmp_lg_u32 s43, 0
	v_or_b32_e32 v65, v2, v79
	v_mbcnt_lo_u32_b32 v64, -1, 0
	s_barrier
	s_cbranch_scc0 .LBB382_167
; %bb.89:
	v_mov_b32_e32 v4, 0
	v_cmp_eq_u16_sdwa s[4:5], v68, v4 src0_sel:BYTE_0 src1_sel:DWORD
	v_cmp_eq_u16_sdwa s[6:7], v69, v4 src0_sel:BYTE_0 src1_sel:DWORD
	;; [unrolled: 1-line block ×3, first 2 shown]
	v_cndmask_b32_e64 v3, 0, v57, s[4:5]
	v_cndmask_b32_e64 v2, 0, v56, s[4:5]
	v_lshl_add_u64 v[2:3], v[2:3], 0, v[30:31]
	v_cndmask_b32_e64 v3, 0, v3, s[6:7]
	v_cndmask_b32_e64 v2, 0, v2, s[6:7]
	v_lshl_add_u64 v[2:3], v[2:3], 0, v[50:51]
	;; [unrolled: 3-line block ×3, first 2 shown]
	v_cmp_eq_u16_sdwa s[10:11], v72, v4 src0_sel:BYTE_0 src1_sel:DWORD
	v_cmp_eq_u16_sdwa s[12:13], v73, v4 src0_sel:BYTE_0 src1_sel:DWORD
	;; [unrolled: 1-line block ×3, first 2 shown]
	v_cndmask_b32_e64 v3, 0, v3, s[10:11]
	v_cndmask_b32_e64 v2, 0, v2, s[10:11]
	v_lshl_add_u64 v[2:3], v[2:3], 0, v[48:49]
	v_cndmask_b32_e64 v3, 0, v3, s[12:13]
	v_cndmask_b32_e64 v2, 0, v2, s[12:13]
	v_lshl_add_u64 v[2:3], v[2:3], 0, v[42:43]
	;; [unrolled: 3-line block ×3, first 2 shown]
	v_cmp_eq_u16_sdwa s[16:17], v75, v4 src0_sel:BYTE_0 src1_sel:DWORD
	v_cmp_eq_u16_sdwa s[18:19], v76, v4 src0_sel:BYTE_0 src1_sel:DWORD
	;; [unrolled: 1-line block ×3, first 2 shown]
	v_cndmask_b32_e64 v3, 0, v3, s[16:17]
	v_cndmask_b32_e64 v2, 0, v2, s[16:17]
	v_lshl_add_u64 v[2:3], v[2:3], 0, v[38:39]
	v_cndmask_b32_e64 v3, 0, v3, s[18:19]
	v_cndmask_b32_e64 v2, 0, v2, s[18:19]
	v_cmp_eq_u16_sdwa s[22:23], v78, v4 src0_sel:BYTE_0 src1_sel:DWORD
	v_cmp_eq_u16_sdwa s[24:25], v79, v4 src0_sel:BYTE_0 src1_sel:DWORD
	;; [unrolled: 1-line block ×3, first 2 shown]
	v_cmp_eq_u16_sdwa vcc, v61, v4 src0_sel:BYTE_0 src1_sel:DWORD
	v_or_b32_e32 v4, v65, v78
	v_lshl_add_u64 v[2:3], v[2:3], 0, v[40:41]
	v_or_b32_e32 v4, v4, v77
	v_cndmask_b32_e64 v3, 0, v3, s[20:21]
	v_cndmask_b32_e64 v2, 0, v2, s[20:21]
	v_or_b32_e32 v4, v4, v76
	v_lshl_add_u64 v[2:3], v[2:3], 0, v[52:53]
	v_or_b32_e32 v4, v4, v75
	v_cndmask_b32_e64 v3, 0, v3, s[22:23]
	v_cndmask_b32_e64 v2, 0, v2, s[22:23]
	;; [unrolled: 5-line block ×4, first 2 shown]
	v_or_b32_e32 v4, v4, v69
	v_lshl_add_u64 v[2:3], v[2:3], 0, v[34:35]
	v_or_b32_e32 v4, v4, v68
	v_cndmask_b32_e32 v3, 0, v3, vcc
	v_cndmask_b32_e32 v2, 0, v2, vcc
	v_or_b32_e32 v4, v4, v1
	v_mbcnt_hi_u32_b32 v9, -1, v64
	v_lshl_add_u64 v[2:3], v[2:3], 0, v[28:29]
	v_and_b32_e32 v8, 1, v4
	v_and_b32_e32 v5, 15, v9
	v_cmp_eq_u32_e32 vcc, 1, v8
	v_mov_b32_dpp v7, v2 row_shr:1 row_mask:0xf bank_mask:0xf
	v_mov_b32_dpp v10, v3 row_shr:1 row_mask:0xf bank_mask:0xf
	v_mov_b32_dpp v6, v8 row_shr:1 row_mask:0xf bank_mask:0xf
	v_cmp_ne_u32_e64 s[0:1], 0, v5
	v_mov_b32_e32 v4, v8
	s_and_saveexec_b64 s[28:29], s[0:1]
; %bb.90:
	v_and_b32_e32 v4, 1, v6
	v_cndmask_b32_e64 v11, v10, 0, vcc
	v_cndmask_b32_e64 v10, v7, 0, vcc
	v_or_b32_e32 v8, v4, v8
	v_lshl_add_u64 v[2:3], v[10:11], 0, v[2:3]
	v_and_b32_e32 v4, 0xffff, v8
; %bb.91:
	s_or_b64 exec, exec, s[28:29]
	v_mov_b32_dpp v7, v2 row_shr:2 row_mask:0xf bank_mask:0xf
	v_mov_b32_dpp v10, v3 row_shr:2 row_mask:0xf bank_mask:0xf
	;; [unrolled: 1-line block ×3, first 2 shown]
	v_cmp_lt_u32_e32 vcc, 1, v5
	s_and_saveexec_b64 s[28:29], vcc
; %bb.92:
	v_cmp_eq_u16_e32 vcc, 0, v8
	v_and_b32_e32 v4, 1, v8
	s_nop 0
	v_cndmask_b32_e32 v11, 0, v10, vcc
	v_cndmask_b32_e32 v10, 0, v7, vcc
	v_cmp_eq_u32_e32 vcc, 1, v4
	v_and_b32_e32 v4, 1, v6
	v_cmp_eq_u32_e64 s[0:1], 1, v4
	s_or_b64 s[0:1], vcc, s[0:1]
	v_lshl_add_u64 v[2:3], v[10:11], 0, v[2:3]
	v_cndmask_b32_e64 v8, 0, 1, s[0:1]
	v_cndmask_b32_e64 v4, 0, 1, s[0:1]
; %bb.93:
	s_or_b64 exec, exec, s[28:29]
	v_mov_b32_dpp v7, v2 row_shr:4 row_mask:0xf bank_mask:0xf
	v_mov_b32_dpp v10, v3 row_shr:4 row_mask:0xf bank_mask:0xf
	;; [unrolled: 1-line block ×3, first 2 shown]
	v_cmp_lt_u32_e32 vcc, 3, v5
	s_and_saveexec_b64 s[28:29], vcc
; %bb.94:
	v_cmp_eq_u16_e32 vcc, 0, v8
	v_and_b32_e32 v4, 1, v8
	s_nop 0
	v_cndmask_b32_e32 v11, 0, v10, vcc
	v_cndmask_b32_e32 v10, 0, v7, vcc
	v_cmp_eq_u32_e32 vcc, 1, v4
	v_and_b32_e32 v4, 1, v6
	v_cmp_eq_u32_e64 s[0:1], 1, v4
	s_or_b64 s[0:1], vcc, s[0:1]
	v_lshl_add_u64 v[2:3], v[10:11], 0, v[2:3]
	v_cndmask_b32_e64 v8, 0, 1, s[0:1]
	v_cndmask_b32_e64 v4, 0, 1, s[0:1]
; %bb.95:
	s_or_b64 exec, exec, s[28:29]
	v_mov_b32_dpp v7, v2 row_shr:8 row_mask:0xf bank_mask:0xf
	v_mov_b32_dpp v10, v3 row_shr:8 row_mask:0xf bank_mask:0xf
	;; [unrolled: 1-line block ×3, first 2 shown]
	v_cmp_lt_u32_e32 vcc, 7, v5
	s_and_saveexec_b64 s[28:29], vcc
; %bb.96:
	v_cmp_eq_u16_e32 vcc, 0, v8
	s_nop 1
	v_cndmask_b32_e32 v5, 0, v10, vcc
	v_cndmask_b32_e32 v4, 0, v7, vcc
	v_lshl_add_u64 v[2:3], v[4:5], 0, v[2:3]
	v_and_b32_e32 v4, 1, v8
	v_cmp_eq_u32_e32 vcc, 1, v4
	v_and_b32_e32 v4, 1, v6
	v_cmp_eq_u32_e64 s[0:1], 1, v4
	s_or_b64 s[0:1], vcc, s[0:1]
	s_nop 0
	v_cndmask_b32_e64 v8, 0, 1, s[0:1]
	v_cndmask_b32_e64 v4, 0, 1, s[0:1]
; %bb.97:
	s_or_b64 exec, exec, s[28:29]
	v_and_b32_e32 v10, 16, v9
	v_mov_b32_dpp v6, v2 row_bcast:15 row_mask:0xf bank_mask:0xf
	v_mov_b32_dpp v7, v3 row_bcast:15 row_mask:0xf bank_mask:0xf
	;; [unrolled: 1-line block ×3, first 2 shown]
	v_cmp_ne_u32_e32 vcc, 0, v10
	s_and_saveexec_b64 s[28:29], vcc
; %bb.98:
	v_cmp_eq_u16_e32 vcc, 0, v8
	v_and_b32_e32 v4, 1, v8
	s_nop 0
	v_cndmask_b32_e32 v7, 0, v7, vcc
	v_cndmask_b32_e32 v6, 0, v6, vcc
	v_cmp_eq_u32_e32 vcc, 1, v4
	v_and_b32_e32 v4, 1, v5
	v_cmp_eq_u32_e64 s[0:1], 1, v4
	s_or_b64 s[0:1], vcc, s[0:1]
	v_lshl_add_u64 v[2:3], v[6:7], 0, v[2:3]
	v_cndmask_b32_e64 v8, 0, 1, s[0:1]
	v_cndmask_b32_e64 v4, 0, 1, s[0:1]
; %bb.99:
	s_or_b64 exec, exec, s[28:29]
	v_mov_b32_dpp v5, v2 row_bcast:31 row_mask:0xf bank_mask:0xf
	v_mov_b32_dpp v6, v3 row_bcast:31 row_mask:0xf bank_mask:0xf
	;; [unrolled: 1-line block ×3, first 2 shown]
	v_cmp_lt_u32_e32 vcc, 31, v9
	s_and_saveexec_b64 s[28:29], vcc
; %bb.100:
	v_cmp_eq_u16_e32 vcc, 0, v8
	v_and_b32_e32 v4, 1, v4
	v_cmp_eq_u32_e64 s[0:1], 1, v4
	v_cndmask_b32_e32 v7, 0, v6, vcc
	v_cndmask_b32_e32 v6, 0, v5, vcc
	v_and_b32_e32 v5, 1, v8
	v_cmp_eq_u32_e32 vcc, 1, v5
	s_or_b64 s[0:1], vcc, s[0:1]
	v_lshl_add_u64 v[2:3], v[6:7], 0, v[2:3]
	v_cndmask_b32_e64 v8, 0, 1, s[0:1]
; %bb.101:
	s_or_b64 exec, exec, s[28:29]
	v_or_b32_e32 v4, 63, v0
	v_lshrrev_b32_e32 v10, 6, v0
	v_cmp_eq_u32_e32 vcc, v4, v0
	s_and_saveexec_b64 s[0:1], vcc
	s_cbranch_execz .LBB382_103
; %bb.102:
	v_lshlrev_b32_e32 v4, 4, v10
	ds_write_b64 v4, v[2:3]
	ds_write_b8 v4, v8 offset:8
.LBB382_103:
	s_or_b64 exec, exec, s[0:1]
	v_cmp_gt_u32_e32 vcc, 4, v0
	s_waitcnt lgkmcnt(0)
	s_barrier
	s_and_saveexec_b64 s[28:29], vcc
	s_cbranch_execz .LBB382_109
; %bb.104:
	v_lshlrev_b32_e32 v6, 4, v0
	ds_read_b64 v[4:5], v6
	ds_read_b32 v7, v6 offset:8
	v_and_b32_e32 v11, 3, v9
	v_cmp_ne_u32_e32 vcc, 0, v11
	s_waitcnt lgkmcnt(1)
	v_mov_b32_dpp v15, v4 row_shr:1 row_mask:0xf bank_mask:0xf
	v_mov_b32_dpp v16, v5 row_shr:1 row_mask:0xf bank_mask:0xf
	s_waitcnt lgkmcnt(0)
	v_mov_b32_dpp v14, v7 row_shr:1 row_mask:0xf bank_mask:0xf
	v_mov_b32_e32 v12, v7
	v_mov_b32_e32 v13, v7
	s_and_saveexec_b64 s[0:1], vcc
; %bb.105:
	v_mov_b32_e32 v12, 0
	v_cmp_eq_u16_sdwa vcc, v7, v12 src0_sel:BYTE_0 src1_sel:DWORD
	s_movk_i32 s44, 0xff00
	s_nop 0
	v_cndmask_b32_e32 v13, 0, v16, vcc
	v_cndmask_b32_e32 v12, 0, v15, vcc
	v_lshl_add_u64 v[4:5], v[12:13], 0, v[4:5]
	v_or_b32_e32 v13, v14, v7
	v_and_b32_e32 v12, 1, v13
	v_and_b32_e32 v13, 1, v13
	v_and_or_b32 v7, v7, s44, v13
; %bb.106:
	s_or_b64 exec, exec, s[0:1]
	v_mov_b32_dpp v14, v4 row_shr:2 row_mask:0xf bank_mask:0xf
	v_mov_b32_dpp v15, v5 row_shr:2 row_mask:0xf bank_mask:0xf
	;; [unrolled: 1-line block ×3, first 2 shown]
	v_cmp_lt_u32_e32 vcc, 1, v11
	s_and_saveexec_b64 s[44:45], vcc
; %bb.107:
	v_mov_b32_e32 v11, 0
	v_cmp_eq_u16_sdwa vcc, v13, v11 src0_sel:BYTE_0 src1_sel:DWORD
	v_and_b32_e32 v11, 1, v13
	v_and_b32_e32 v7, 1, v7
	v_cndmask_b32_e32 v15, 0, v15, vcc
	v_cndmask_b32_e32 v14, 0, v14, vcc
	v_cmp_eq_u32_e32 vcc, 1, v11
	v_cmp_eq_u32_e64 s[0:1], 1, v7
	s_or_b64 s[0:1], vcc, s[0:1]
	v_lshl_add_u64 v[4:5], v[14:15], 0, v[4:5]
	v_cndmask_b32_e64 v12, 0, 1, s[0:1]
; %bb.108:
	s_or_b64 exec, exec, s[44:45]
	ds_write_b64 v6, v[4:5]
	ds_write_b8 v6, v12 offset:8
.LBB382_109:
	s_or_b64 exec, exec, s[28:29]
	v_cmp_gt_u32_e32 vcc, 64, v0
	v_cmp_lt_u32_e64 s[0:1], 63, v0
	v_mov_b32_e32 v16, 0
	v_mov_b64_e32 v[6:7], 0
	s_waitcnt lgkmcnt(0)
	s_barrier
	s_and_saveexec_b64 s[28:29], s[0:1]
	s_cbranch_execz .LBB382_111
; %bb.110:
	v_lshl_add_u32 v4, v10, 4, -16
	ds_read_b64 v[6:7], v4
	ds_read_u8 v16, v4 offset:8
	v_cmp_eq_u16_e64 s[0:1], 0, v8
	s_waitcnt lgkmcnt(0)
	v_or_b32_e32 v8, v8, v16
	v_cndmask_b32_e64 v5, 0, v7, s[0:1]
	v_cndmask_b32_e64 v4, 0, v6, s[0:1]
	v_lshl_add_u64 v[2:3], v[2:3], 0, v[4:5]
	v_and_b32_e32 v8, 1, v8
.LBB382_111:
	s_or_b64 exec, exec, s[28:29]
	v_add_u32_e32 v4, -1, v9
	v_and_b32_e32 v5, 64, v9
	v_cmp_lt_i32_e64 s[0:1], v4, v5
	v_cmp_eq_u32_e64 s[28:29], 0, v9
	s_nop 0
	v_cndmask_b32_e64 v4, v4, v9, s[0:1]
	v_lshlrev_b32_e32 v4, 2, v4
	ds_bpermute_b32 v17, v4, v2
	v_and_b32_e32 v2, 0xffff, v8
	ds_bpermute_b32 v18, v4, v3
	ds_bpermute_b32 v19, v4, v2
	s_and_saveexec_b64 s[44:45], vcc
	s_cbranch_execz .LBB382_154
; %bb.112:
	v_mov_b32_e32 v11, 0
	ds_read2_b64 v[2:5], v11 offset0:6 offset1:7
	s_and_saveexec_b64 s[0:1], s[28:29]
	s_cbranch_execz .LBB382_114
; %bb.113:
	s_add_i32 s46, s43, 64
	s_mov_b32 s47, 0
	s_lshl_b64 s[48:49], s[46:47], 4
	s_add_u32 s48, s36, s48
	s_addc_u32 s49, s37, s49
	s_waitcnt lgkmcnt(0)
	global_store_dword v11, v2, s[48:49] sc1
	global_store_dword v11, v3, s[48:49] offset:4 sc1
	global_store_dword v11, v4, s[48:49] offset:8 sc1
	global_store_dword v11, v5, s[48:49] offset:12 sc1
	v_mov_b32_e32 v5, s46
	v_mov_b32_e32 v8, 1
	s_waitcnt vmcnt(0)
	global_store_byte v5, v8, s[40:41] sc1
.LBB382_114:
	s_or_b64 exec, exec, s[0:1]
	v_xad_u32 v8, v9, -1, s43
	v_add_u32_e32 v10, 64, v8
	s_waitcnt lgkmcnt(0)
	global_load_ubyte v5, v10, s[40:41] sc1
	s_waitcnt vmcnt(0)
	v_cmp_eq_u16_e32 vcc, 0, v5
	s_and_saveexec_b64 s[0:1], vcc
	s_cbranch_execz .LBB382_118
; %bb.115:
	v_lshl_add_u64 v[12:13], s[40:41], 0, v[10:11]
	s_mov_b64 s[46:47], 0
.LBB382_116:                            ; =>This Inner Loop Header: Depth=1
	global_load_ubyte v5, v[12:13], off sc1
	s_waitcnt vmcnt(0)
	v_cmp_ne_u16_e32 vcc, 0, v5
	s_or_b64 s[46:47], vcc, s[46:47]
	s_andn2_b64 exec, exec, s[46:47]
	s_cbranch_execnz .LBB382_116
; %bb.117:
	s_or_b64 exec, exec, s[46:47]
.LBB382_118:
	s_or_b64 exec, exec, s[0:1]
	v_mov_b32_e32 v12, s39
	v_mov_b32_e32 v13, s37
	v_cmp_eq_u16_e32 vcc, 1, v5
	v_mov_b32_e32 v14, s36
	s_waitcnt vmcnt(0)
	v_cndmask_b32_e32 v13, v12, v13, vcc
	v_mov_b32_e32 v12, s38
	v_cndmask_b32_e32 v12, v12, v14, vcc
	v_lshl_add_u64 v[10:11], v[10:11], 4, v[12:13]
	global_load_dword v14, v[10:11], off sc1
	global_load_dword v15, v[10:11], off offset:4 sc1
	global_load_dword v80, v[10:11], off offset:8 sc1
	s_nop 0
	global_load_dword v10, v[10:11], off offset:12 sc1
	v_cmp_eq_u16_e32 vcc, 2, v5
	s_waitcnt vmcnt(0)
	v_lshlrev_b64 v[10:11], v9, -1
	v_and_b32_e32 v20, 63, v9
	v_and_b32_e32 v12, vcc_hi, v11
	v_and_b32_e32 v25, vcc_lo, v10
	v_cmp_ne_u32_e32 vcc, 63, v20
	v_or_b32_e32 v12, 0x80000000, v12
	v_ffbl_b32_e32 v12, v12
	v_addc_co_u32_e32 v13, vcc, 0, v9, vcc
	v_lshlrev_b32_e32 v21, 2, v13
	v_add_u32_e32 v12, 32, v12
	v_ffbl_b32_e32 v25, v25
	v_min_u32_e32 v12, v25, v12
	v_cmp_lt_u32_e32 vcc, v20, v12
	ds_bpermute_b32 v23, v21, v14
	ds_bpermute_b32 v24, v21, v15
	v_and_b32_e32 v13, 0xff, v80
	ds_bpermute_b32 v22, v21, v13
	s_and_saveexec_b64 s[0:1], vcc
	s_cbranch_execz .LBB382_120
; %bb.119:
	v_mov_b32_e32 v13, 0
	v_cmp_eq_u16_sdwa vcc, v80, v13 src0_sel:BYTE_0 src1_sel:DWORD
	s_waitcnt lgkmcnt(0)
	v_or_b32_e32 v13, v22, v80
	v_and_b32_e32 v80, 1, v13
	v_cndmask_b32_e32 v25, 0, v24, vcc
	v_cndmask_b32_e32 v24, 0, v23, vcc
	v_lshl_add_u64 v[14:15], v[24:25], 0, v[14:15]
	v_and_b32_e32 v13, 1, v13
.LBB382_120:
	s_or_b64 exec, exec, s[0:1]
	v_cmp_gt_u32_e32 vcc, 62, v20
	s_waitcnt lgkmcnt(2)
	v_add_u32_e32 v23, 2, v20
	s_waitcnt lgkmcnt(0)
	v_cndmask_b32_e64 v22, 0, 1, vcc
	v_lshlrev_b32_e32 v22, 1, v22
	v_add_lshl_u32 v22, v22, v9, 2
	ds_bpermute_b32 v25, v22, v14
	ds_bpermute_b32 v26, v22, v15
	ds_bpermute_b32 v24, v22, v13
	v_cmp_le_u32_e32 vcc, v23, v12
	s_and_saveexec_b64 s[46:47], vcc
	s_cbranch_execz .LBB382_122
; %bb.121:
	v_mov_b32_e32 v13, 0
	v_cmp_eq_u16_sdwa vcc, v80, v13 src0_sel:BYTE_0 src1_sel:DWORD
	v_and_b32_e32 v13, 1, v80
	s_waitcnt lgkmcnt(1)
	v_cndmask_b32_e32 v27, 0, v26, vcc
	v_cndmask_b32_e32 v26, 0, v25, vcc
	v_cmp_eq_u32_e32 vcc, 1, v13
	s_waitcnt lgkmcnt(0)
	v_and_b32_e32 v13, 1, v24
	v_cmp_eq_u32_e64 s[0:1], 1, v13
	s_or_b64 s[0:1], vcc, s[0:1]
	v_lshl_add_u64 v[14:15], v[26:27], 0, v[14:15]
	v_cndmask_b32_e64 v80, 0, 1, s[0:1]
	v_cndmask_b32_e64 v13, 0, 1, s[0:1]
.LBB382_122:
	s_or_b64 exec, exec, s[46:47]
	v_cmp_gt_u32_e32 vcc, 60, v20
	s_waitcnt lgkmcnt(2)
	v_add_u32_e32 v25, 4, v20
	s_waitcnt lgkmcnt(0)
	v_cndmask_b32_e64 v24, 0, 1, vcc
	v_lshlrev_b32_e32 v24, 2, v24
	v_add_lshl_u32 v24, v24, v9, 2
	ds_bpermute_b32 v27, v24, v14
	ds_bpermute_b32 v32, v24, v15
	ds_bpermute_b32 v26, v24, v13
	v_cmp_le_u32_e32 vcc, v25, v12
	s_and_saveexec_b64 s[46:47], vcc
	s_cbranch_execz .LBB382_124
; %bb.123:
	v_mov_b32_e32 v13, 0
	v_cmp_eq_u16_sdwa vcc, v80, v13 src0_sel:BYTE_0 src1_sel:DWORD
	v_and_b32_e32 v13, 1, v80
	s_waitcnt lgkmcnt(1)
	v_cndmask_b32_e32 v33, 0, v32, vcc
	v_cndmask_b32_e32 v32, 0, v27, vcc
	v_cmp_eq_u32_e32 vcc, 1, v13
	s_waitcnt lgkmcnt(0)
	v_and_b32_e32 v13, 1, v26
	v_cmp_eq_u32_e64 s[0:1], 1, v13
	s_or_b64 s[0:1], vcc, s[0:1]
	v_lshl_add_u64 v[14:15], v[32:33], 0, v[14:15]
	v_cndmask_b32_e64 v80, 0, 1, s[0:1]
	v_cndmask_b32_e64 v13, 0, 1, s[0:1]
.LBB382_124:
	;; [unrolled: 30-line block ×4, first 2 shown]
	s_or_b64 exec, exec, s[46:47]
	v_cmp_gt_u32_e32 vcc, 32, v20
	s_waitcnt lgkmcnt(1)
	v_add_u32_e32 v66, 32, v20
	s_waitcnt lgkmcnt(0)
	v_cndmask_b32_e64 v62, 0, 1, vcc
	v_lshlrev_b32_e32 v62, 5, v62
	v_add_lshl_u32 v63, v62, v9, 2
	ds_bpermute_b32 v62, v63, v14
	ds_bpermute_b32 v67, v63, v15
	;; [unrolled: 1-line block ×3, first 2 shown]
	v_cmp_le_u32_e32 vcc, v66, v12
	s_and_saveexec_b64 s[46:47], vcc
	s_cbranch_execz .LBB382_130
; %bb.129:
	v_mov_b32_e32 v12, 0
	v_cmp_eq_u16_sdwa vcc, v80, v12 src0_sel:BYTE_0 src1_sel:DWORD
	s_waitcnt lgkmcnt(0)
	v_and_b32_e32 v9, 1, v9
	v_cmp_eq_u32_e64 s[0:1], 1, v9
	v_cndmask_b32_e32 v13, 0, v67, vcc
	v_cndmask_b32_e32 v12, 0, v62, vcc
	v_lshl_add_u64 v[14:15], v[12:13], 0, v[14:15]
	v_and_b32_e32 v12, 1, v80
	v_cmp_eq_u32_e32 vcc, 1, v12
	s_or_b64 s[0:1], vcc, s[0:1]
	v_cndmask_b32_e64 v80, 0, 1, s[0:1]
.LBB382_130:
	s_or_b64 exec, exec, s[46:47]
	s_waitcnt lgkmcnt(0)
	v_mov_b32_e32 v9, 0
	v_mov_b32_e32 v67, 2
	s_branch .LBB382_132
.LBB382_131:                            ;   in Loop: Header=BB382_132 Depth=1
	s_or_b64 exec, exec, s[48:49]
	v_cmp_eq_u16_sdwa vcc, v62, v9 src0_sel:BYTE_0 src1_sel:DWORD
	v_and_b32_e32 v80, 1, v62
	v_subrev_u32_e32 v8, 64, v8
	v_cndmask_b32_e32 v15, 0, v15, vcc
	v_cndmask_b32_e32 v14, 0, v14, vcc
	v_cmp_eq_u32_e32 vcc, 1, v80
	s_or_b64 s[0:1], vcc, s[46:47]
	v_lshl_add_u64 v[14:15], v[14:15], 0, v[12:13]
	v_cndmask_b32_e64 v80, 0, 1, s[0:1]
.LBB382_132:                            ; =>This Loop Header: Depth=1
                                        ;     Child Loop BB382_135 Depth 2
	v_cmp_ne_u16_sdwa s[0:1], v5, v67 src0_sel:BYTE_0 src1_sel:DWORD
	v_mov_b32_e32 v62, v80
	v_mov_b64_e32 v[12:13], v[14:15]
	v_cndmask_b32_e64 v5, 0, 1, s[0:1]
	;;#ASMSTART
	;;#ASMEND
	s_nop 0
	v_cmp_ne_u32_e32 vcc, 0, v5
	s_cmp_lg_u64 vcc, exec
	s_cbranch_scc1 .LBB382_149
; %bb.133:                              ;   in Loop: Header=BB382_132 Depth=1
	global_load_ubyte v5, v8, s[40:41] sc1
	s_waitcnt vmcnt(0)
	v_cmp_eq_u16_e32 vcc, 0, v5
	s_and_saveexec_b64 s[0:1], vcc
	s_cbranch_execz .LBB382_137
; %bb.134:                              ;   in Loop: Header=BB382_132 Depth=1
	v_lshl_add_u64 v[14:15], s[40:41], 0, v[8:9]
	s_mov_b64 s[46:47], 0
.LBB382_135:                            ;   Parent Loop BB382_132 Depth=1
                                        ; =>  This Inner Loop Header: Depth=2
	global_load_ubyte v5, v[14:15], off sc1
	s_waitcnt vmcnt(0)
	v_cmp_ne_u16_e32 vcc, 0, v5
	s_or_b64 s[46:47], vcc, s[46:47]
	s_andn2_b64 exec, exec, s[46:47]
	s_cbranch_execnz .LBB382_135
; %bb.136:                              ;   in Loop: Header=BB382_132 Depth=1
	s_or_b64 exec, exec, s[46:47]
.LBB382_137:                            ;   in Loop: Header=BB382_132 Depth=1
	s_or_b64 exec, exec, s[0:1]
	v_mov_b32_e32 v14, s39
	v_mov_b32_e32 v15, s37
	v_cmp_eq_u16_e32 vcc, 1, v5
	v_mov_b32_e32 v80, s36
	s_waitcnt vmcnt(0)
	v_cndmask_b32_e32 v15, v14, v15, vcc
	v_mov_b32_e32 v14, s38
	v_cndmask_b32_e32 v14, v14, v80, vcc
	s_waitcnt lgkmcnt(0)
	v_lshl_add_u64 v[82:83], v[8:9], 4, v[14:15]
	global_load_dword v14, v[82:83], off sc1
	global_load_dword v15, v[82:83], off offset:4 sc1
	global_load_dword v80, v[82:83], off offset:8 sc1
	;; [unrolled: 1-line block ×3, first 2 shown]
	v_cmp_eq_u16_e32 vcc, 2, v5
	s_waitcnt vmcnt(3)
	ds_bpermute_b32 v84, v21, v14
	s_waitcnt vmcnt(0)
	v_and_b32_e32 v81, vcc_hi, v11
	v_and_b32_e32 v82, 0xff, v80
	v_or_b32_e32 v81, 0x80000000, v81
	ds_bpermute_b32 v85, v21, v15
	ds_bpermute_b32 v83, v21, v82
	v_and_b32_e32 v86, vcc_lo, v10
	v_ffbl_b32_e32 v81, v81
	v_add_u32_e32 v81, 32, v81
	v_ffbl_b32_e32 v86, v86
	v_min_u32_e32 v81, v86, v81
	v_cmp_lt_u32_e32 vcc, v20, v81
	s_and_saveexec_b64 s[0:1], vcc
	s_cbranch_execz .LBB382_139
; %bb.138:                              ;   in Loop: Header=BB382_132 Depth=1
	v_cmp_eq_u16_sdwa vcc, v80, v9 src0_sel:BYTE_0 src1_sel:DWORD
	s_waitcnt lgkmcnt(0)
	v_or_b32_e32 v82, v83, v80
	v_and_b32_e32 v80, 1, v82
	v_cndmask_b32_e32 v85, 0, v85, vcc
	v_cndmask_b32_e32 v84, 0, v84, vcc
	v_lshl_add_u64 v[14:15], v[84:85], 0, v[14:15]
	v_and_b32_e32 v82, 1, v82
.LBB382_139:                            ;   in Loop: Header=BB382_132 Depth=1
	s_or_b64 exec, exec, s[0:1]
	s_waitcnt lgkmcnt(2)
	ds_bpermute_b32 v84, v22, v14
	s_waitcnt lgkmcnt(2)
	ds_bpermute_b32 v85, v22, v15
	;; [unrolled: 2-line block ×3, first 2 shown]
	v_and_b32_e32 v86, 1, v80
	v_cmp_le_u32_e32 vcc, v23, v81
	v_cmp_eq_u32_e64 s[46:47], 1, v86
	s_and_saveexec_b64 s[0:1], vcc
	s_cbranch_execz .LBB382_141
; %bb.140:                              ;   in Loop: Header=BB382_132 Depth=1
	v_cmp_eq_u16_sdwa vcc, v80, v9 src0_sel:BYTE_0 src1_sel:DWORD
	s_waitcnt lgkmcnt(0)
	v_and_b32_e32 v80, 1, v83
	v_cndmask_b32_e32 v85, 0, v85, vcc
	v_cndmask_b32_e32 v84, 0, v84, vcc
	v_cmp_eq_u32_e32 vcc, 1, v80
	s_or_b64 s[48:49], s[46:47], vcc
	v_cndmask_b32_e64 v80, 0, 1, s[48:49]
	v_cndmask_b32_e64 v82, 0, 1, s[48:49]
	s_andn2_b64 s[46:47], s[46:47], exec
	s_and_b64 s[48:49], s[48:49], exec
	v_lshl_add_u64 v[14:15], v[84:85], 0, v[14:15]
	s_or_b64 s[46:47], s[46:47], s[48:49]
.LBB382_141:                            ;   in Loop: Header=BB382_132 Depth=1
	s_or_b64 exec, exec, s[0:1]
	s_waitcnt lgkmcnt(2)
	ds_bpermute_b32 v84, v24, v14
	s_waitcnt lgkmcnt(2)
	ds_bpermute_b32 v85, v24, v15
	s_waitcnt lgkmcnt(2)
	ds_bpermute_b32 v83, v24, v82
	v_cmp_le_u32_e32 vcc, v25, v81
	s_and_saveexec_b64 s[48:49], vcc
	s_cbranch_execz .LBB382_143
; %bb.142:                              ;   in Loop: Header=BB382_132 Depth=1
	v_cmp_eq_u16_sdwa vcc, v80, v9 src0_sel:BYTE_0 src1_sel:DWORD
	v_and_b32_e32 v80, 1, v80
	s_andn2_b64 s[46:47], s[46:47], exec
	s_waitcnt lgkmcnt(1)
	v_cndmask_b32_e32 v85, 0, v85, vcc
	v_cndmask_b32_e32 v84, 0, v84, vcc
	v_cmp_eq_u32_e32 vcc, 1, v80
	s_waitcnt lgkmcnt(0)
	v_and_b32_e32 v80, 1, v83
	v_cmp_eq_u32_e64 s[0:1], 1, v80
	s_or_b64 s[0:1], vcc, s[0:1]
	v_lshl_add_u64 v[14:15], v[84:85], 0, v[14:15]
	v_cndmask_b32_e64 v80, 0, 1, s[0:1]
	v_cndmask_b32_e64 v82, 0, 1, s[0:1]
	s_and_b64 s[0:1], s[0:1], exec
	s_or_b64 s[46:47], s[46:47], s[0:1]
.LBB382_143:                            ;   in Loop: Header=BB382_132 Depth=1
	s_or_b64 exec, exec, s[48:49]
	s_waitcnt lgkmcnt(2)
	ds_bpermute_b32 v84, v26, v14
	s_waitcnt lgkmcnt(2)
	ds_bpermute_b32 v85, v26, v15
	s_waitcnt lgkmcnt(2)
	ds_bpermute_b32 v83, v26, v82
	v_cmp_le_u32_e32 vcc, v27, v81
	s_and_saveexec_b64 s[48:49], vcc
	s_cbranch_execz .LBB382_145
; %bb.144:                              ;   in Loop: Header=BB382_132 Depth=1
	v_cmp_eq_u16_sdwa vcc, v80, v9 src0_sel:BYTE_0 src1_sel:DWORD
	v_and_b32_e32 v80, 1, v80
	s_andn2_b64 s[46:47], s[46:47], exec
	s_waitcnt lgkmcnt(1)
	v_cndmask_b32_e32 v85, 0, v85, vcc
	v_cndmask_b32_e32 v84, 0, v84, vcc
	v_cmp_eq_u32_e32 vcc, 1, v80
	s_waitcnt lgkmcnt(0)
	v_and_b32_e32 v80, 1, v83
	v_cmp_eq_u32_e64 s[0:1], 1, v80
	s_or_b64 s[0:1], vcc, s[0:1]
	v_lshl_add_u64 v[14:15], v[84:85], 0, v[14:15]
	v_cndmask_b32_e64 v80, 0, 1, s[0:1]
	v_cndmask_b32_e64 v82, 0, 1, s[0:1]
	s_and_b64 s[0:1], s[0:1], exec
	s_or_b64 s[46:47], s[46:47], s[0:1]
.LBB382_145:                            ;   in Loop: Header=BB382_132 Depth=1
	;; [unrolled: 28-line block ×3, first 2 shown]
	s_or_b64 exec, exec, s[48:49]
	s_waitcnt lgkmcnt(0)
	ds_bpermute_b32 v83, v63, v14
	ds_bpermute_b32 v84, v63, v15
	;; [unrolled: 1-line block ×3, first 2 shown]
	v_cmp_le_u32_e32 vcc, v66, v81
	s_and_saveexec_b64 s[48:49], vcc
	s_cbranch_execz .LBB382_131
; %bb.148:                              ;   in Loop: Header=BB382_132 Depth=1
	v_cmp_eq_u16_sdwa vcc, v80, v9 src0_sel:BYTE_0 src1_sel:DWORD
	v_and_b32_e32 v80, 1, v80
	s_andn2_b64 s[46:47], s[46:47], exec
	s_waitcnt lgkmcnt(1)
	v_cndmask_b32_e32 v85, 0, v84, vcc
	v_cndmask_b32_e32 v84, 0, v83, vcc
	v_cmp_eq_u32_e32 vcc, 1, v80
	s_waitcnt lgkmcnt(0)
	v_and_b32_e32 v80, 1, v82
	v_cmp_eq_u32_e64 s[0:1], 1, v80
	s_or_b64 s[0:1], vcc, s[0:1]
	s_and_b64 s[0:1], s[0:1], exec
	v_lshl_add_u64 v[14:15], v[84:85], 0, v[14:15]
	s_or_b64 s[46:47], s[46:47], s[0:1]
	s_branch .LBB382_131
.LBB382_149:                            ;   in Loop: Header=BB382_132 Depth=1
                                        ; implicit-def: $vgpr80
                                        ; implicit-def: $vgpr14_vgpr15
                                        ; implicit-def: $vgpr5
	s_cbranch_execz .LBB382_132
; %bb.150:
	s_and_saveexec_b64 s[0:1], s[28:29]
	s_cbranch_execz .LBB382_152
; %bb.151:
	s_mov_b32 s37, 0
	v_mov_b32_e32 v5, 0
	s_add_i32 s36, s43, 64
	v_cmp_eq_u32_sdwa vcc, v4, v5 src0_sel:BYTE_0 src1_sel:DWORD
	s_lshl_b64 s[46:47], s[36:37], 4
	v_and_b32_e32 v4, 1, v4
	v_cndmask_b32_e32 v9, 0, v13, vcc
	v_cndmask_b32_e32 v8, 0, v12, vcc
	s_add_u32 s46, s38, s46
	v_lshl_add_u64 v[2:3], v[8:9], 0, v[2:3]
	v_and_b32_e32 v8, 1, v62
	v_cmp_eq_u32_e32 vcc, 1, v4
	s_addc_u32 s47, s39, s47
	s_nop 0
	v_cndmask_b32_e64 v4, v8, 1, vcc
	global_store_dword v5, v2, s[46:47] sc1
	global_store_dword v5, v3, s[46:47] offset:4 sc1
	global_store_dword v5, v4, s[46:47] offset:8 sc1
	;; [unrolled: 1-line block ×3, first 2 shown]
	v_mov_b32_e32 v2, s36
	v_mov_b32_e32 v3, 2
	s_waitcnt vmcnt(0) lgkmcnt(0)
	global_store_byte v2, v3, s[40:41] sc1
.LBB382_152:
	s_or_b64 exec, exec, s[0:1]
	s_and_b64 exec, exec, s[30:31]
	s_cbranch_execz .LBB382_154
; %bb.153:
	v_mov_b32_e32 v2, 0
	ds_write_b64 v2, v[12:13] offset:48
	ds_write_b8 v2, v62 offset:56
.LBB382_154:
	s_or_b64 exec, exec, s[44:45]
	v_mov_b32_e32 v8, 0
	s_waitcnt lgkmcnt(0)
	s_barrier
	ds_read_b64 v[2:3], v8 offset:48
	v_cndmask_b32_e64 v9, v19, v16, s[28:29]
	v_cmp_eq_u16_sdwa vcc, v9, v8 src0_sel:BYTE_0 src1_sel:DWORD
	v_cndmask_b32_e64 v4, v17, v6, s[28:29]
	v_cndmask_b32_e64 v5, v18, v7, s[28:29]
	s_waitcnt lgkmcnt(0)
	v_cndmask_b32_e32 v7, 0, v3, vcc
	v_cndmask_b32_e32 v6, 0, v2, vcc
	v_lshl_add_u64 v[4:5], v[4:5], 0, v[6:7]
	v_cndmask_b32_e64 v3, v5, v3, s[30:31]
	v_cndmask_b32_e64 v2, v4, v2, s[30:31]
	v_cmp_eq_u16_sdwa vcc, v1, v8 src0_sel:BYTE_0 src1_sel:DWORD
	s_nop 1
	v_cndmask_b32_e32 v5, 0, v3, vcc
	v_cndmask_b32_e32 v4, 0, v2, vcc
	v_lshl_add_u64 v[4:5], v[4:5], 0, v[56:57]
	v_cndmask_b32_e64 v7, 0, v5, s[4:5]
	v_cndmask_b32_e64 v6, 0, v4, s[4:5]
	v_lshl_add_u64 v[6:7], v[6:7], 0, v[30:31]
	v_cndmask_b32_e64 v9, 0, v7, s[6:7]
	v_cndmask_b32_e64 v8, 0, v6, s[6:7]
	;; [unrolled: 3-line block ×12, first 2 shown]
	s_branch .LBB382_195
.LBB382_155:
	s_or_b64 exec, exec, s[0:1]
                                        ; implicit-def: $vgpr66_vgpr67
	s_and_saveexec_b64 s[0:1], s[4:5]
	s_cbranch_execz .LBB382_37
.LBB382_156:
	v_mov_b32_e32 v57, 0
	v_lshl_add_u64 v[66:67], v[62:63], 0, v[56:57]
	flat_load_dwordx2 v[66:67], v[66:67] offset:2048
	s_or_b64 exec, exec, s[0:1]
                                        ; implicit-def: $vgpr68_vgpr69
	s_and_saveexec_b64 s[0:1], s[6:7]
	s_cbranch_execnz .LBB382_38
.LBB382_157:
	s_or_b64 exec, exec, s[0:1]
                                        ; implicit-def: $vgpr30_vgpr31
	s_and_saveexec_b64 s[0:1], s[8:9]
	s_cbranch_execz .LBB382_39
.LBB382_158:
	v_mov_b32_e32 v33, 0
	v_lshl_add_u64 v[30:31], v[62:63], 0, v[32:33]
	flat_load_dwordx2 v[30:31], v[30:31]
	s_or_b64 exec, exec, s[0:1]
                                        ; implicit-def: $vgpr32_vgpr33
	s_and_saveexec_b64 s[0:1], s[10:11]
	s_cbranch_execnz .LBB382_40
.LBB382_159:
	s_or_b64 exec, exec, s[0:1]
                                        ; implicit-def: $vgpr34_vgpr35
	s_and_saveexec_b64 s[0:1], s[12:13]
	s_cbranch_execz .LBB382_41
.LBB382_160:
	v_mov_b32_e32 v37, 0
	v_lshl_add_u64 v[34:35], v[62:63], 0, v[36:37]
	flat_load_dwordx2 v[34:35], v[34:35]
	s_or_b64 exec, exec, s[0:1]
                                        ; implicit-def: $vgpr36_vgpr37
	s_and_saveexec_b64 s[0:1], s[14:15]
	s_cbranch_execnz .LBB382_42
.LBB382_161:
	s_or_b64 exec, exec, s[0:1]
                                        ; implicit-def: $vgpr38_vgpr39
	s_and_saveexec_b64 s[0:1], s[16:17]
	s_cbranch_execz .LBB382_43
.LBB382_162:
	v_mov_b32_e32 v41, 0
	v_lshl_add_u64 v[38:39], v[62:63], 0, v[40:41]
	flat_load_dwordx2 v[38:39], v[38:39]
	s_or_b64 exec, exec, s[0:1]
                                        ; implicit-def: $vgpr40_vgpr41
	s_and_saveexec_b64 s[0:1], s[18:19]
	s_cbranch_execnz .LBB382_44
.LBB382_163:
	s_or_b64 exec, exec, s[0:1]
                                        ; implicit-def: $vgpr42_vgpr43
	s_and_saveexec_b64 s[0:1], s[20:21]
	s_cbranch_execz .LBB382_45
.LBB382_164:
	v_mov_b32_e32 v45, 0
	v_lshl_add_u64 v[42:43], v[62:63], 0, v[44:45]
	flat_load_dwordx2 v[42:43], v[42:43]
	s_or_b64 exec, exec, s[0:1]
                                        ; implicit-def: $vgpr44_vgpr45
	s_and_saveexec_b64 s[0:1], s[22:23]
	s_cbranch_execnz .LBB382_46
.LBB382_165:
	s_or_b64 exec, exec, s[0:1]
                                        ; implicit-def: $vgpr46_vgpr47
	s_and_saveexec_b64 s[0:1], s[24:25]
	s_cbranch_execz .LBB382_47
.LBB382_166:
	v_mov_b32_e32 v49, 0
	v_lshl_add_u64 v[46:47], v[62:63], 0, v[48:49]
	flat_load_dwordx2 v[46:47], v[46:47]
	s_or_b64 exec, exec, s[0:1]
                                        ; implicit-def: $vgpr48_vgpr49
	s_and_saveexec_b64 s[0:1], s[26:27]
	s_cbranch_execz .LBB382_49
	s_branch .LBB382_48
.LBB382_167:
                                        ; implicit-def: $vgpr2_vgpr3
                                        ; implicit-def: $vgpr62_vgpr63
                                        ; implicit-def: $vgpr26_vgpr27
                                        ; implicit-def: $vgpr24_vgpr25
                                        ; implicit-def: $vgpr20_vgpr21
                                        ; implicit-def: $vgpr16_vgpr17
                                        ; implicit-def: $vgpr12_vgpr13
                                        ; implicit-def: $vgpr8_vgpr9
	s_cbranch_execz .LBB382_195
; %bb.168:
	s_cmp_lg_u64 s[58:59], 0
	s_cselect_b32 s1, s55, 0
	s_cselect_b32 s0, s54, 0
	s_cmp_eq_u64 s[0:1], 0
	v_mov_b64_e32 v[32:33], s[56:57]
	s_cbranch_scc1 .LBB382_170
; %bb.169:
	v_mov_b32_e32 v2, 0
	global_load_dwordx2 v[32:33], v2, s[0:1]
.LBB382_170:
	v_mov_b32_e32 v4, 0
	v_cmp_eq_u16_sdwa vcc, v68, v4 src0_sel:BYTE_0 src1_sel:DWORD
	v_cmp_eq_u16_sdwa s[4:5], v69, v4 src0_sel:BYTE_0 src1_sel:DWORD
	v_cmp_eq_u16_sdwa s[6:7], v70, v4 src0_sel:BYTE_0 src1_sel:DWORD
	v_cndmask_b32_e32 v3, 0, v57, vcc
	v_cndmask_b32_e32 v2, 0, v56, vcc
	v_lshl_add_u64 v[2:3], v[2:3], 0, v[30:31]
	v_cndmask_b32_e64 v3, 0, v3, s[4:5]
	v_cndmask_b32_e64 v2, 0, v2, s[4:5]
	v_lshl_add_u64 v[2:3], v[2:3], 0, v[50:51]
	v_cndmask_b32_e64 v3, 0, v3, s[6:7]
	v_cndmask_b32_e64 v2, 0, v2, s[6:7]
	v_lshl_add_u64 v[2:3], v[2:3], 0, v[46:47]
	v_cmp_eq_u16_sdwa s[8:9], v72, v4 src0_sel:BYTE_0 src1_sel:DWORD
	v_cmp_eq_u16_sdwa s[10:11], v73, v4 src0_sel:BYTE_0 src1_sel:DWORD
	;; [unrolled: 1-line block ×3, first 2 shown]
	v_cndmask_b32_e64 v3, 0, v3, s[8:9]
	v_cndmask_b32_e64 v2, 0, v2, s[8:9]
	v_lshl_add_u64 v[2:3], v[2:3], 0, v[48:49]
	v_cndmask_b32_e64 v3, 0, v3, s[10:11]
	v_cndmask_b32_e64 v2, 0, v2, s[10:11]
	v_lshl_add_u64 v[2:3], v[2:3], 0, v[42:43]
	;; [unrolled: 3-line block ×3, first 2 shown]
	v_cmp_eq_u16_sdwa s[14:15], v75, v4 src0_sel:BYTE_0 src1_sel:DWORD
	v_cmp_eq_u16_sdwa s[16:17], v76, v4 src0_sel:BYTE_0 src1_sel:DWORD
	;; [unrolled: 1-line block ×3, first 2 shown]
	v_cndmask_b32_e64 v3, 0, v3, s[14:15]
	v_cndmask_b32_e64 v2, 0, v2, s[14:15]
	v_lshl_add_u64 v[2:3], v[2:3], 0, v[38:39]
	v_cndmask_b32_e64 v3, 0, v3, s[16:17]
	v_cndmask_b32_e64 v2, 0, v2, s[16:17]
	v_cmp_eq_u16_sdwa s[20:21], v78, v4 src0_sel:BYTE_0 src1_sel:DWORD
	v_cmp_eq_u16_sdwa s[22:23], v79, v4 src0_sel:BYTE_0 src1_sel:DWORD
	;; [unrolled: 1-line block ×4, first 2 shown]
	v_or_b32_e32 v4, v65, v78
	v_lshl_add_u64 v[2:3], v[2:3], 0, v[40:41]
	v_or_b32_e32 v4, v4, v77
	v_cndmask_b32_e64 v3, 0, v3, s[18:19]
	v_cndmask_b32_e64 v2, 0, v2, s[18:19]
	v_or_b32_e32 v4, v4, v76
	v_lshl_add_u64 v[2:3], v[2:3], 0, v[52:53]
	v_or_b32_e32 v4, v4, v75
	v_cndmask_b32_e64 v3, 0, v3, s[20:21]
	v_cndmask_b32_e64 v2, 0, v2, s[20:21]
	v_or_b32_e32 v4, v4, v74
	v_lshl_add_u64 v[2:3], v[2:3], 0, v[36:37]
	v_or_b32_e32 v4, v4, v73
	v_cndmask_b32_e64 v3, 0, v3, s[22:23]
	v_cndmask_b32_e64 v2, 0, v2, s[22:23]
	v_or_b32_e32 v4, v4, v72
	v_lshl_add_u64 v[2:3], v[2:3], 0, v[58:59]
	v_or_b32_e32 v4, v4, v70
	v_cndmask_b32_e64 v3, 0, v3, s[24:25]
	v_cndmask_b32_e64 v2, 0, v2, s[24:25]
	v_or_b32_e32 v4, v4, v69
	v_lshl_add_u64 v[2:3], v[2:3], 0, v[34:35]
	v_or_b32_e32 v4, v4, v68
	v_cndmask_b32_e64 v3, 0, v3, s[0:1]
	v_cndmask_b32_e64 v2, 0, v2, s[0:1]
	v_or_b32_e32 v4, v4, v1
	v_mbcnt_hi_u32_b32 v6, -1, v64
	v_lshl_add_u64 v[2:3], v[2:3], 0, v[28:29]
	v_and_b32_e32 v7, 1, v4
	v_and_b32_e32 v5, 15, v6
	v_cmp_eq_u32_e64 s[0:1], 1, v7
	v_mov_b32_dpp v9, v2 row_shr:1 row_mask:0xf bank_mask:0xf
	v_mov_b32_dpp v10, v3 row_shr:1 row_mask:0xf bank_mask:0xf
	;; [unrolled: 1-line block ×3, first 2 shown]
	v_cmp_ne_u32_e64 s[26:27], 0, v5
	v_mov_b32_e32 v4, v7
	s_and_saveexec_b64 s[28:29], s[26:27]
; %bb.171:
	v_and_b32_e32 v4, 1, v8
	v_cndmask_b32_e64 v11, v10, 0, s[0:1]
	v_cndmask_b32_e64 v10, v9, 0, s[0:1]
	v_or_b32_e32 v7, v4, v7
	v_lshl_add_u64 v[2:3], v[10:11], 0, v[2:3]
	v_and_b32_e32 v4, 0xffff, v7
; %bb.172:
	s_or_b64 exec, exec, s[28:29]
	v_mov_b32_dpp v9, v2 row_shr:2 row_mask:0xf bank_mask:0xf
	v_mov_b32_dpp v10, v3 row_shr:2 row_mask:0xf bank_mask:0xf
	;; [unrolled: 1-line block ×3, first 2 shown]
	v_cmp_lt_u32_e64 s[0:1], 1, v5
	s_and_saveexec_b64 s[28:29], s[0:1]
; %bb.173:
	v_cmp_eq_u16_e64 s[0:1], 0, v7
	v_and_b32_e32 v4, 1, v7
	s_nop 0
	v_cndmask_b32_e64 v11, 0, v10, s[0:1]
	v_cndmask_b32_e64 v10, 0, v9, s[0:1]
	v_cmp_eq_u32_e64 s[0:1], 1, v4
	v_and_b32_e32 v4, 1, v8
	v_cmp_eq_u32_e64 s[26:27], 1, v4
	s_or_b64 s[0:1], s[0:1], s[26:27]
	v_lshl_add_u64 v[2:3], v[10:11], 0, v[2:3]
	v_cndmask_b32_e64 v7, 0, 1, s[0:1]
	v_cndmask_b32_e64 v4, 0, 1, s[0:1]
; %bb.174:
	s_or_b64 exec, exec, s[28:29]
	v_mov_b32_dpp v9, v2 row_shr:4 row_mask:0xf bank_mask:0xf
	v_mov_b32_dpp v10, v3 row_shr:4 row_mask:0xf bank_mask:0xf
	;; [unrolled: 1-line block ×3, first 2 shown]
	v_cmp_lt_u32_e64 s[0:1], 3, v5
	s_and_saveexec_b64 s[28:29], s[0:1]
; %bb.175:
	v_cmp_eq_u16_e64 s[0:1], 0, v7
	v_and_b32_e32 v4, 1, v7
	s_nop 0
	v_cndmask_b32_e64 v11, 0, v10, s[0:1]
	v_cndmask_b32_e64 v10, 0, v9, s[0:1]
	v_cmp_eq_u32_e64 s[0:1], 1, v4
	v_and_b32_e32 v4, 1, v8
	v_cmp_eq_u32_e64 s[26:27], 1, v4
	s_or_b64 s[0:1], s[0:1], s[26:27]
	v_lshl_add_u64 v[2:3], v[10:11], 0, v[2:3]
	v_cndmask_b32_e64 v7, 0, 1, s[0:1]
	v_cndmask_b32_e64 v4, 0, 1, s[0:1]
; %bb.176:
	s_or_b64 exec, exec, s[28:29]
	v_mov_b32_dpp v9, v2 row_shr:8 row_mask:0xf bank_mask:0xf
	v_mov_b32_dpp v10, v3 row_shr:8 row_mask:0xf bank_mask:0xf
	;; [unrolled: 1-line block ×3, first 2 shown]
	v_cmp_lt_u32_e64 s[0:1], 7, v5
	s_and_saveexec_b64 s[28:29], s[0:1]
; %bb.177:
	v_cmp_eq_u16_e64 s[0:1], 0, v7
	s_nop 1
	v_cndmask_b32_e64 v5, 0, v10, s[0:1]
	v_cndmask_b32_e64 v4, 0, v9, s[0:1]
	v_lshl_add_u64 v[2:3], v[4:5], 0, v[2:3]
	v_and_b32_e32 v4, 1, v7
	v_cmp_eq_u32_e64 s[0:1], 1, v4
	v_and_b32_e32 v4, 1, v8
	v_cmp_eq_u32_e64 s[26:27], 1, v4
	s_or_b64 s[0:1], s[0:1], s[26:27]
	v_cndmask_b32_e64 v7, 0, 1, s[0:1]
	v_cndmask_b32_e64 v4, 0, 1, s[0:1]
; %bb.178:
	s_or_b64 exec, exec, s[28:29]
	v_and_b32_e32 v10, 16, v6
	v_mov_b32_dpp v8, v2 row_bcast:15 row_mask:0xf bank_mask:0xf
	v_mov_b32_dpp v9, v3 row_bcast:15 row_mask:0xf bank_mask:0xf
	v_mov_b32_dpp v5, v4 row_bcast:15 row_mask:0xf bank_mask:0xf
	v_cmp_ne_u32_e64 s[0:1], 0, v10
	s_and_saveexec_b64 s[28:29], s[0:1]
; %bb.179:
	v_cmp_eq_u16_e64 s[0:1], 0, v7
	v_and_b32_e32 v4, 1, v7
	s_nop 0
	v_cndmask_b32_e64 v9, 0, v9, s[0:1]
	v_cndmask_b32_e64 v8, 0, v8, s[0:1]
	v_cmp_eq_u32_e64 s[0:1], 1, v4
	v_and_b32_e32 v4, 1, v5
	v_cmp_eq_u32_e64 s[26:27], 1, v4
	s_or_b64 s[0:1], s[0:1], s[26:27]
	v_lshl_add_u64 v[2:3], v[8:9], 0, v[2:3]
	v_cndmask_b32_e64 v7, 0, 1, s[0:1]
	v_cndmask_b32_e64 v4, 0, 1, s[0:1]
; %bb.180:
	s_or_b64 exec, exec, s[28:29]
	v_mov_b32_dpp v5, v2 row_bcast:31 row_mask:0xf bank_mask:0xf
	v_mov_b32_dpp v8, v3 row_bcast:31 row_mask:0xf bank_mask:0xf
	;; [unrolled: 1-line block ×3, first 2 shown]
	v_cmp_lt_u32_e64 s[0:1], 31, v6
	s_and_saveexec_b64 s[28:29], s[0:1]
; %bb.181:
	v_cmp_eq_u16_e64 s[0:1], 0, v7
	v_and_b32_e32 v4, 1, v4
	v_cmp_eq_u32_e64 s[26:27], 1, v4
	v_cndmask_b32_e64 v9, 0, v8, s[0:1]
	v_cndmask_b32_e64 v8, 0, v5, s[0:1]
	v_and_b32_e32 v5, 1, v7
	v_cmp_eq_u32_e64 s[0:1], 1, v5
	s_or_b64 s[0:1], s[0:1], s[26:27]
	v_lshl_add_u64 v[2:3], v[8:9], 0, v[2:3]
	v_cndmask_b32_e64 v7, 0, 1, s[0:1]
; %bb.182:
	s_or_b64 exec, exec, s[28:29]
	v_or_b32_e32 v4, 63, v0
	v_lshrrev_b32_e32 v8, 6, v0
	v_cmp_eq_u32_e64 s[0:1], v4, v0
	s_and_saveexec_b64 s[26:27], s[0:1]
	s_cbranch_execz .LBB382_184
; %bb.183:
	v_lshlrev_b32_e32 v4, 4, v8
	ds_write_b64 v4, v[2:3]
	ds_write_b8 v4, v7 offset:8
.LBB382_184:
	s_or_b64 exec, exec, s[26:27]
	v_cmp_gt_u32_e64 s[0:1], 4, v0
	s_waitcnt lgkmcnt(0)
	s_barrier
	s_and_saveexec_b64 s[28:29], s[0:1]
	s_cbranch_execz .LBB382_190
; %bb.185:
	v_lshlrev_b32_e32 v9, 4, v0
	ds_read_b64 v[4:5], v9
	ds_read_b32 v10, v9 offset:8
	v_and_b32_e32 v11, 3, v6
	v_cmp_ne_u32_e64 s[0:1], 0, v11
	s_waitcnt lgkmcnt(1)
	v_mov_b32_dpp v15, v4 row_shr:1 row_mask:0xf bank_mask:0xf
	v_mov_b32_dpp v16, v5 row_shr:1 row_mask:0xf bank_mask:0xf
	s_waitcnt lgkmcnt(0)
	v_mov_b32_dpp v14, v10 row_shr:1 row_mask:0xf bank_mask:0xf
	v_mov_b32_e32 v12, v10
	v_mov_b32_e32 v13, v10
	s_and_saveexec_b64 s[26:27], s[0:1]
; %bb.186:
	v_mov_b32_e32 v12, 0
	v_cmp_eq_u16_sdwa s[0:1], v10, v12 src0_sel:BYTE_0 src1_sel:DWORD
	s_nop 1
	v_cndmask_b32_e64 v13, 0, v16, s[0:1]
	v_cndmask_b32_e64 v12, 0, v15, s[0:1]
	v_lshl_add_u64 v[4:5], v[12:13], 0, v[4:5]
	v_or_b32_e32 v13, v14, v10
	v_and_b32_e32 v12, 1, v13
	v_and_b32_e32 v13, 1, v13
	s_movk_i32 s0, 0xff00
	v_and_or_b32 v10, v10, s0, v13
; %bb.187:
	s_or_b64 exec, exec, s[26:27]
	v_mov_b32_dpp v14, v4 row_shr:2 row_mask:0xf bank_mask:0xf
	v_mov_b32_dpp v15, v5 row_shr:2 row_mask:0xf bank_mask:0xf
	;; [unrolled: 1-line block ×3, first 2 shown]
	v_cmp_lt_u32_e64 s[0:1], 1, v11
	s_and_saveexec_b64 s[36:37], s[0:1]
; %bb.188:
	v_mov_b32_e32 v11, 0
	v_cmp_eq_u16_sdwa s[0:1], v13, v11 src0_sel:BYTE_0 src1_sel:DWORD
	v_and_b32_e32 v11, 1, v13
	v_and_b32_e32 v10, 1, v10
	v_cndmask_b32_e64 v15, 0, v15, s[0:1]
	v_cndmask_b32_e64 v14, 0, v14, s[0:1]
	v_cmp_eq_u32_e64 s[0:1], 1, v11
	v_cmp_eq_u32_e64 s[26:27], 1, v10
	s_or_b64 s[0:1], s[0:1], s[26:27]
	v_lshl_add_u64 v[4:5], v[14:15], 0, v[4:5]
	v_cndmask_b32_e64 v12, 0, 1, s[0:1]
; %bb.189:
	s_or_b64 exec, exec, s[36:37]
	ds_write_b64 v9, v[4:5]
	ds_write_b8 v9, v12 offset:8
.LBB382_190:
	s_or_b64 exec, exec, s[28:29]
	v_cmp_lt_u32_e64 s[0:1], 63, v0
	s_waitcnt vmcnt(0)
	v_mov_b64_e32 v[4:5], v[32:33]
	s_waitcnt lgkmcnt(0)
	s_barrier
	s_and_saveexec_b64 s[26:27], s[0:1]
	s_cbranch_execz .LBB382_192
; %bb.191:
	v_lshl_add_u32 v4, v8, 4, -16
	ds_read_u8 v8, v4 offset:8
	ds_read_b64 v[4:5], v4
	s_waitcnt lgkmcnt(1)
	v_cmp_eq_u16_e64 s[0:1], 0, v8
	s_nop 1
	v_cndmask_b32_e64 v9, 0, v33, s[0:1]
	v_cndmask_b32_e64 v8, 0, v32, s[0:1]
	s_waitcnt lgkmcnt(0)
	v_lshl_add_u64 v[4:5], v[8:9], 0, v[4:5]
.LBB382_192:
	s_or_b64 exec, exec, s[26:27]
	v_cmp_eq_u16_e64 s[0:1], 0, v7
	v_add_u32_e32 v7, -1, v6
	v_mov_b32_e32 v28, 0
	v_cndmask_b32_e64 v9, 0, v5, s[0:1]
	v_cndmask_b32_e64 v8, 0, v4, s[0:1]
	v_lshl_add_u64 v[2:3], v[8:9], 0, v[2:3]
	v_and_b32_e32 v8, 64, v6
	v_cmp_lt_i32_e64 s[0:1], v7, v8
	s_nop 1
	v_cndmask_b32_e64 v7, v7, v6, s[0:1]
	v_lshlrev_b32_e32 v7, 2, v7
	ds_bpermute_b32 v3, v7, v3
	ds_bpermute_b32 v2, v7, v2
	v_cmp_eq_u32_e64 s[0:1], 0, v6
	s_waitcnt lgkmcnt(1)
	s_nop 0
	v_cndmask_b32_e64 v3, v3, v5, s[0:1]
	s_waitcnt lgkmcnt(0)
	v_cndmask_b32_e64 v2, v2, v4, s[0:1]
	v_cndmask_b32_e64 v4, v2, v32, s[30:31]
	;; [unrolled: 1-line block ×3, first 2 shown]
	v_cmp_eq_u16_sdwa s[0:1], v1, v28 src0_sel:BYTE_0 src1_sel:DWORD
	s_nop 1
	v_cndmask_b32_e64 v5, 0, v5, s[0:1]
	v_cndmask_b32_e64 v4, 0, v4, s[0:1]
	v_lshl_add_u64 v[4:5], v[4:5], 0, v[56:57]
	v_cndmask_b32_e32 v7, 0, v5, vcc
	v_cndmask_b32_e32 v6, 0, v4, vcc
	v_lshl_add_u64 v[6:7], v[6:7], 0, v[30:31]
	v_cndmask_b32_e64 v9, 0, v7, s[4:5]
	v_cndmask_b32_e64 v8, 0, v6, s[4:5]
	v_lshl_add_u64 v[8:9], v[8:9], 0, v[50:51]
	v_cndmask_b32_e64 v11, 0, v9, s[6:7]
	v_cndmask_b32_e64 v10, 0, v8, s[6:7]
	;; [unrolled: 3-line block ×11, first 2 shown]
	s_and_saveexec_b64 s[0:1], s[30:31]
	s_cbranch_execz .LBB382_194
; %bb.193:
	ds_read_u8 v1, v28 offset:56
	ds_read_b64 v[2:3], v28 offset:48
	s_waitcnt lgkmcnt(1)
	v_cmp_eq_u32_e32 vcc, 0, v1
	s_nop 1
	v_cndmask_b32_e32 v31, 0, v33, vcc
	v_cndmask_b32_e32 v30, 0, v32, vcc
	s_waitcnt lgkmcnt(0)
	v_lshl_add_u64 v[2:3], v[30:31], 0, v[2:3]
	global_store_dword v28, v2, s[38:39] offset:1024 sc1
	global_store_dword v28, v3, s[38:39] offset:1028 sc1
	;; [unrolled: 1-line block ×4, first 2 shown]
	v_mov_b32_e32 v1, 2
	v_mov_b64_e32 v[2:3], v[32:33]
	s_waitcnt vmcnt(0)
	global_store_byte v28, v1, s[40:41] offset:64 sc1
.LBB382_194:
	s_or_b64 exec, exec, s[0:1]
.LBB382_195:
	s_add_u32 s0, s50, s34
	s_addc_u32 s1, s51, s35
	v_mul_u32_u24_e32 v1, 14, v0
	v_lshl_add_u64 v[28:29], v[62:63], 0, v[34:35]
	v_lshl_add_u64 v[56:57], s[0:1], 0, v[54:55]
	s_and_b64 vcc, exec, s[2:3]
	v_lshlrev_b32_e32 v62, 3, v1
	s_cbranch_vccz .LBB382_223
; %bb.196:
	s_movk_i32 s0, 0xff98
	v_mad_i32_i24 v1, v0, s0, v62
	s_barrier
	ds_write_b128 v62, v[2:5]
	ds_write_b128 v62, v[6:9] offset:16
	ds_write_b128 v62, v[10:13] offset:32
	;; [unrolled: 1-line block ×6, first 2 shown]
	s_waitcnt lgkmcnt(0)
	s_barrier
	ds_read2st64_b64 v[52:55], v1 offset0:4 offset1:8
	ds_read2st64_b64 v[48:51], v1 offset0:12 offset1:16
	ds_read2st64_b64 v[44:47], v1 offset0:20 offset1:24
	ds_read2st64_b64 v[40:43], v1 offset0:28 offset1:32
	ds_read2st64_b64 v[36:39], v1 offset0:36 offset1:40
	ds_read2st64_b64 v[32:35], v1 offset0:44 offset1:48
	ds_read_b64 v[30:31], v1 offset:26624
	s_add_i32 s33, s33, s42
	v_mov_b32_e32 v61, 0
	v_lshl_add_u64 v[58:59], v[56:57], 0, v[60:61]
	v_cmp_gt_u32_e32 vcc, s33, v0
	s_and_saveexec_b64 s[0:1], vcc
	s_cbranch_execz .LBB382_198
; %bb.197:
	v_mul_i32_i24_e32 v1, 0xffffff98, v0
	v_add_u32_e32 v1, v62, v1
	ds_read_b64 v[64:65], v1
	s_waitcnt lgkmcnt(0)
	flat_store_dwordx2 v[58:59], v[64:65]
.LBB382_198:
	s_or_b64 exec, exec, s[0:1]
	v_or_b32_e32 v1, 0x100, v0
	v_cmp_gt_u32_e32 vcc, s33, v1
	s_and_saveexec_b64 s[0:1], vcc
	s_cbranch_execz .LBB382_200
; %bb.199:
	s_waitcnt lgkmcnt(0)
	flat_store_dwordx2 v[58:59], v[52:53] offset:2048
.LBB382_200:
	s_or_b64 exec, exec, s[0:1]
	v_or_b32_e32 v1, 0x200, v0
	v_cmp_gt_u32_e32 vcc, s33, v1
	s_and_saveexec_b64 s[0:1], vcc
	s_cbranch_execz .LBB382_202
; %bb.201:
	s_waitcnt lgkmcnt(0)
	v_add_co_u32_e32 v52, vcc, 0x1000, v58
	s_nop 1
	v_addc_co_u32_e32 v53, vcc, 0, v59, vcc
	flat_store_dwordx2 v[52:53], v[54:55]
.LBB382_202:
	s_or_b64 exec, exec, s[0:1]
	v_or_b32_e32 v1, 0x300, v0
	v_cmp_gt_u32_e32 vcc, s33, v1
	s_and_saveexec_b64 s[0:1], vcc
	s_cbranch_execz .LBB382_204
; %bb.203:
	s_waitcnt lgkmcnt(0)
	v_add_co_u32_e32 v52, vcc, 0x1000, v58
	s_nop 1
	v_addc_co_u32_e32 v53, vcc, 0, v59, vcc
	flat_store_dwordx2 v[52:53], v[48:49] offset:2048
.LBB382_204:
	s_or_b64 exec, exec, s[0:1]
	v_or_b32_e32 v1, 0x400, v0
	v_cmp_gt_u32_e32 vcc, s33, v1
	s_and_saveexec_b64 s[0:1], vcc
	s_cbranch_execz .LBB382_206
; %bb.205:
	s_waitcnt lgkmcnt(0)
	v_add_co_u32_e32 v48, vcc, 0x2000, v58
	s_nop 1
	v_addc_co_u32_e32 v49, vcc, 0, v59, vcc
	flat_store_dwordx2 v[48:49], v[50:51]
.LBB382_206:
	s_or_b64 exec, exec, s[0:1]
	v_or_b32_e32 v1, 0x500, v0
	v_cmp_gt_u32_e32 vcc, s33, v1
	s_and_saveexec_b64 s[0:1], vcc
	s_cbranch_execz .LBB382_208
; %bb.207:
	s_waitcnt lgkmcnt(0)
	v_add_co_u32_e32 v48, vcc, 0x2000, v58
	s_nop 1
	v_addc_co_u32_e32 v49, vcc, 0, v59, vcc
	flat_store_dwordx2 v[48:49], v[44:45] offset:2048
.LBB382_208:
	;; [unrolled: 24-line block ×5, first 2 shown]
	s_or_b64 exec, exec, s[0:1]
	v_or_b32_e32 v1, 0xc00, v0
	v_cmp_gt_u32_e32 vcc, s33, v1
	s_and_saveexec_b64 s[0:1], vcc
	s_cbranch_execz .LBB382_222
; %bb.221:
	s_waitcnt lgkmcnt(0)
	v_add_co_u32_e32 v32, vcc, 0x6000, v58
	s_nop 1
	v_addc_co_u32_e32 v33, vcc, 0, v59, vcc
	flat_store_dwordx2 v[32:33], v[34:35]
.LBB382_222:
	s_or_b64 exec, exec, s[0:1]
	s_waitcnt lgkmcnt(0)
	v_or_b32_e32 v32, 0xd00, v0
	v_mov_b32_e32 v1, v61
	v_cmp_gt_u32_e64 s[0:1], s33, v32
	s_branch .LBB382_225
.LBB382_223:
	s_mov_b64 s[0:1], 0
                                        ; implicit-def: $vgpr30_vgpr31
	s_cbranch_execz .LBB382_225
; %bb.224:
	v_mov_b32_e32 v1, 0
	s_movk_i32 s2, 0xff98
	s_barrier
	ds_write_b128 v62, v[2:5]
	ds_write_b128 v62, v[6:9] offset:16
	ds_write_b128 v62, v[10:13] offset:32
	;; [unrolled: 1-line block ×6, first 2 shown]
	v_mad_i32_i24 v26, v0, s2, v62
	v_mov_b32_e32 v61, v1
	s_waitcnt lgkmcnt(0)
	s_barrier
	ds_read2st64_b64 v[2:5], v26 offset1:4
	ds_read2st64_b64 v[6:9], v26 offset0:8 offset1:12
	ds_read2st64_b64 v[10:13], v26 offset0:16 offset1:20
	;; [unrolled: 1-line block ×6, first 2 shown]
	v_lshl_add_u64 v[26:27], v[56:57], 0, v[60:61]
	s_movk_i32 s2, 0x1000
	s_waitcnt lgkmcnt(0)
	flat_store_dwordx2 v[26:27], v[2:3]
	flat_store_dwordx2 v[26:27], v[4:5] offset:2048
	v_add_co_u32_e32 v2, vcc, s2, v26
	s_movk_i32 s2, 0x2000
	s_nop 0
	v_addc_co_u32_e32 v3, vcc, 0, v27, vcc
	flat_store_dwordx2 v[2:3], v[6:7]
	flat_store_dwordx2 v[2:3], v[8:9] offset:2048
	v_add_co_u32_e32 v2, vcc, s2, v26
	s_movk_i32 s2, 0x3000
	s_nop 0
	v_addc_co_u32_e32 v3, vcc, 0, v27, vcc
	;; [unrolled: 6-line block ×3, first 2 shown]
	flat_store_dwordx2 v[2:3], v[14:15]
	flat_store_dwordx2 v[2:3], v[16:17] offset:2048
	v_add_co_u32_e32 v2, vcc, s2, v26
	s_or_b64 s[0:1], s[0:1], exec
	s_nop 0
	v_addc_co_u32_e32 v3, vcc, 0, v27, vcc
	flat_store_dwordx2 v[2:3], v[18:19]
	flat_store_dwordx2 v[2:3], v[20:21] offset:2048
	v_add_co_u32_e32 v2, vcc, 0x5000, v26
	s_nop 1
	v_addc_co_u32_e32 v3, vcc, 0, v27, vcc
	flat_store_dwordx2 v[2:3], v[22:23]
	flat_store_dwordx2 v[2:3], v[24:25] offset:2048
	v_add_co_u32_e32 v2, vcc, 0x6000, v26
	s_nop 1
	v_addc_co_u32_e32 v3, vcc, 0, v27, vcc
	flat_store_dwordx2 v[2:3], v[28:29]
.LBB382_225:
	s_and_saveexec_b64 s[2:3], s[0:1]
	s_cbranch_execz .LBB382_227
; %bb.226:
	v_lshl_add_u64 v[0:1], v[0:1], 3, v[56:57]
	v_add_co_u32_e32 v0, vcc, 0x6000, v0
	s_nop 1
	v_addc_co_u32_e32 v1, vcc, 0, v1, vcc
	flat_store_dwordx2 v[0:1], v[30:31] offset:2048
	s_endpgm
.LBB382_227:
	s_endpgm
	.section	.rodata,"a",@progbits
	.p2align	6, 0x0
	.amdhsa_kernel _ZN7rocprim17ROCPRIM_400000_NS6detail17trampoline_kernelINS0_14default_configENS1_27scan_by_key_config_selectorIxxEEZZNS1_16scan_by_key_implILNS1_25lookback_scan_determinismE0ELb1ES3_N6thrust23THRUST_200600_302600_NS6detail15normal_iteratorINS9_10device_ptrIxEEEESE_SE_xNS9_4plusIvEENS9_8equal_toIvEExEE10hipError_tPvRmT2_T3_T4_T5_mT6_T7_P12ihipStream_tbENKUlT_T0_E_clISt17integral_constantIbLb0EESY_IbLb1EEEEDaSU_SV_EUlSU_E_NS1_11comp_targetILNS1_3genE5ELNS1_11target_archE942ELNS1_3gpuE9ELNS1_3repE0EEENS1_30default_config_static_selectorELNS0_4arch9wavefront6targetE1EEEvT1_
		.amdhsa_group_segment_fixed_size 32768
		.amdhsa_private_segment_fixed_size 0
		.amdhsa_kernarg_size 136
		.amdhsa_user_sgpr_count 2
		.amdhsa_user_sgpr_dispatch_ptr 0
		.amdhsa_user_sgpr_queue_ptr 0
		.amdhsa_user_sgpr_kernarg_segment_ptr 1
		.amdhsa_user_sgpr_dispatch_id 0
		.amdhsa_user_sgpr_kernarg_preload_length 0
		.amdhsa_user_sgpr_kernarg_preload_offset 0
		.amdhsa_user_sgpr_private_segment_size 0
		.amdhsa_uses_dynamic_stack 0
		.amdhsa_enable_private_segment 0
		.amdhsa_system_sgpr_workgroup_id_x 1
		.amdhsa_system_sgpr_workgroup_id_y 0
		.amdhsa_system_sgpr_workgroup_id_z 0
		.amdhsa_system_sgpr_workgroup_info 0
		.amdhsa_system_vgpr_workitem_id 0
		.amdhsa_next_free_vgpr 87
		.amdhsa_next_free_sgpr 60
		.amdhsa_accum_offset 88
		.amdhsa_reserve_vcc 1
		.amdhsa_float_round_mode_32 0
		.amdhsa_float_round_mode_16_64 0
		.amdhsa_float_denorm_mode_32 3
		.amdhsa_float_denorm_mode_16_64 3
		.amdhsa_dx10_clamp 1
		.amdhsa_ieee_mode 1
		.amdhsa_fp16_overflow 0
		.amdhsa_tg_split 0
		.amdhsa_exception_fp_ieee_invalid_op 0
		.amdhsa_exception_fp_denorm_src 0
		.amdhsa_exception_fp_ieee_div_zero 0
		.amdhsa_exception_fp_ieee_overflow 0
		.amdhsa_exception_fp_ieee_underflow 0
		.amdhsa_exception_fp_ieee_inexact 0
		.amdhsa_exception_int_div_zero 0
	.end_amdhsa_kernel
	.section	.text._ZN7rocprim17ROCPRIM_400000_NS6detail17trampoline_kernelINS0_14default_configENS1_27scan_by_key_config_selectorIxxEEZZNS1_16scan_by_key_implILNS1_25lookback_scan_determinismE0ELb1ES3_N6thrust23THRUST_200600_302600_NS6detail15normal_iteratorINS9_10device_ptrIxEEEESE_SE_xNS9_4plusIvEENS9_8equal_toIvEExEE10hipError_tPvRmT2_T3_T4_T5_mT6_T7_P12ihipStream_tbENKUlT_T0_E_clISt17integral_constantIbLb0EESY_IbLb1EEEEDaSU_SV_EUlSU_E_NS1_11comp_targetILNS1_3genE5ELNS1_11target_archE942ELNS1_3gpuE9ELNS1_3repE0EEENS1_30default_config_static_selectorELNS0_4arch9wavefront6targetE1EEEvT1_,"axG",@progbits,_ZN7rocprim17ROCPRIM_400000_NS6detail17trampoline_kernelINS0_14default_configENS1_27scan_by_key_config_selectorIxxEEZZNS1_16scan_by_key_implILNS1_25lookback_scan_determinismE0ELb1ES3_N6thrust23THRUST_200600_302600_NS6detail15normal_iteratorINS9_10device_ptrIxEEEESE_SE_xNS9_4plusIvEENS9_8equal_toIvEExEE10hipError_tPvRmT2_T3_T4_T5_mT6_T7_P12ihipStream_tbENKUlT_T0_E_clISt17integral_constantIbLb0EESY_IbLb1EEEEDaSU_SV_EUlSU_E_NS1_11comp_targetILNS1_3genE5ELNS1_11target_archE942ELNS1_3gpuE9ELNS1_3repE0EEENS1_30default_config_static_selectorELNS0_4arch9wavefront6targetE1EEEvT1_,comdat
.Lfunc_end382:
	.size	_ZN7rocprim17ROCPRIM_400000_NS6detail17trampoline_kernelINS0_14default_configENS1_27scan_by_key_config_selectorIxxEEZZNS1_16scan_by_key_implILNS1_25lookback_scan_determinismE0ELb1ES3_N6thrust23THRUST_200600_302600_NS6detail15normal_iteratorINS9_10device_ptrIxEEEESE_SE_xNS9_4plusIvEENS9_8equal_toIvEExEE10hipError_tPvRmT2_T3_T4_T5_mT6_T7_P12ihipStream_tbENKUlT_T0_E_clISt17integral_constantIbLb0EESY_IbLb1EEEEDaSU_SV_EUlSU_E_NS1_11comp_targetILNS1_3genE5ELNS1_11target_archE942ELNS1_3gpuE9ELNS1_3repE0EEENS1_30default_config_static_selectorELNS0_4arch9wavefront6targetE1EEEvT1_, .Lfunc_end382-_ZN7rocprim17ROCPRIM_400000_NS6detail17trampoline_kernelINS0_14default_configENS1_27scan_by_key_config_selectorIxxEEZZNS1_16scan_by_key_implILNS1_25lookback_scan_determinismE0ELb1ES3_N6thrust23THRUST_200600_302600_NS6detail15normal_iteratorINS9_10device_ptrIxEEEESE_SE_xNS9_4plusIvEENS9_8equal_toIvEExEE10hipError_tPvRmT2_T3_T4_T5_mT6_T7_P12ihipStream_tbENKUlT_T0_E_clISt17integral_constantIbLb0EESY_IbLb1EEEEDaSU_SV_EUlSU_E_NS1_11comp_targetILNS1_3genE5ELNS1_11target_archE942ELNS1_3gpuE9ELNS1_3repE0EEENS1_30default_config_static_selectorELNS0_4arch9wavefront6targetE1EEEvT1_
                                        ; -- End function
	.section	.AMDGPU.csdata,"",@progbits
; Kernel info:
; codeLenInByte = 12844
; NumSgprs: 66
; NumVgprs: 87
; NumAgprs: 0
; TotalNumVgprs: 87
; ScratchSize: 0
; MemoryBound: 0
; FloatMode: 240
; IeeeMode: 1
; LDSByteSize: 32768 bytes/workgroup (compile time only)
; SGPRBlocks: 8
; VGPRBlocks: 10
; NumSGPRsForWavesPerEU: 66
; NumVGPRsForWavesPerEU: 87
; AccumOffset: 88
; Occupancy: 2
; WaveLimiterHint : 1
; COMPUTE_PGM_RSRC2:SCRATCH_EN: 0
; COMPUTE_PGM_RSRC2:USER_SGPR: 2
; COMPUTE_PGM_RSRC2:TRAP_HANDLER: 0
; COMPUTE_PGM_RSRC2:TGID_X_EN: 1
; COMPUTE_PGM_RSRC2:TGID_Y_EN: 0
; COMPUTE_PGM_RSRC2:TGID_Z_EN: 0
; COMPUTE_PGM_RSRC2:TIDIG_COMP_CNT: 0
; COMPUTE_PGM_RSRC3_GFX90A:ACCUM_OFFSET: 21
; COMPUTE_PGM_RSRC3_GFX90A:TG_SPLIT: 0
	.section	.text._ZN7rocprim17ROCPRIM_400000_NS6detail17trampoline_kernelINS0_14default_configENS1_27scan_by_key_config_selectorIxxEEZZNS1_16scan_by_key_implILNS1_25lookback_scan_determinismE0ELb1ES3_N6thrust23THRUST_200600_302600_NS6detail15normal_iteratorINS9_10device_ptrIxEEEESE_SE_xNS9_4plusIvEENS9_8equal_toIvEExEE10hipError_tPvRmT2_T3_T4_T5_mT6_T7_P12ihipStream_tbENKUlT_T0_E_clISt17integral_constantIbLb0EESY_IbLb1EEEEDaSU_SV_EUlSU_E_NS1_11comp_targetILNS1_3genE4ELNS1_11target_archE910ELNS1_3gpuE8ELNS1_3repE0EEENS1_30default_config_static_selectorELNS0_4arch9wavefront6targetE1EEEvT1_,"axG",@progbits,_ZN7rocprim17ROCPRIM_400000_NS6detail17trampoline_kernelINS0_14default_configENS1_27scan_by_key_config_selectorIxxEEZZNS1_16scan_by_key_implILNS1_25lookback_scan_determinismE0ELb1ES3_N6thrust23THRUST_200600_302600_NS6detail15normal_iteratorINS9_10device_ptrIxEEEESE_SE_xNS9_4plusIvEENS9_8equal_toIvEExEE10hipError_tPvRmT2_T3_T4_T5_mT6_T7_P12ihipStream_tbENKUlT_T0_E_clISt17integral_constantIbLb0EESY_IbLb1EEEEDaSU_SV_EUlSU_E_NS1_11comp_targetILNS1_3genE4ELNS1_11target_archE910ELNS1_3gpuE8ELNS1_3repE0EEENS1_30default_config_static_selectorELNS0_4arch9wavefront6targetE1EEEvT1_,comdat
	.protected	_ZN7rocprim17ROCPRIM_400000_NS6detail17trampoline_kernelINS0_14default_configENS1_27scan_by_key_config_selectorIxxEEZZNS1_16scan_by_key_implILNS1_25lookback_scan_determinismE0ELb1ES3_N6thrust23THRUST_200600_302600_NS6detail15normal_iteratorINS9_10device_ptrIxEEEESE_SE_xNS9_4plusIvEENS9_8equal_toIvEExEE10hipError_tPvRmT2_T3_T4_T5_mT6_T7_P12ihipStream_tbENKUlT_T0_E_clISt17integral_constantIbLb0EESY_IbLb1EEEEDaSU_SV_EUlSU_E_NS1_11comp_targetILNS1_3genE4ELNS1_11target_archE910ELNS1_3gpuE8ELNS1_3repE0EEENS1_30default_config_static_selectorELNS0_4arch9wavefront6targetE1EEEvT1_ ; -- Begin function _ZN7rocprim17ROCPRIM_400000_NS6detail17trampoline_kernelINS0_14default_configENS1_27scan_by_key_config_selectorIxxEEZZNS1_16scan_by_key_implILNS1_25lookback_scan_determinismE0ELb1ES3_N6thrust23THRUST_200600_302600_NS6detail15normal_iteratorINS9_10device_ptrIxEEEESE_SE_xNS9_4plusIvEENS9_8equal_toIvEExEE10hipError_tPvRmT2_T3_T4_T5_mT6_T7_P12ihipStream_tbENKUlT_T0_E_clISt17integral_constantIbLb0EESY_IbLb1EEEEDaSU_SV_EUlSU_E_NS1_11comp_targetILNS1_3genE4ELNS1_11target_archE910ELNS1_3gpuE8ELNS1_3repE0EEENS1_30default_config_static_selectorELNS0_4arch9wavefront6targetE1EEEvT1_
	.globl	_ZN7rocprim17ROCPRIM_400000_NS6detail17trampoline_kernelINS0_14default_configENS1_27scan_by_key_config_selectorIxxEEZZNS1_16scan_by_key_implILNS1_25lookback_scan_determinismE0ELb1ES3_N6thrust23THRUST_200600_302600_NS6detail15normal_iteratorINS9_10device_ptrIxEEEESE_SE_xNS9_4plusIvEENS9_8equal_toIvEExEE10hipError_tPvRmT2_T3_T4_T5_mT6_T7_P12ihipStream_tbENKUlT_T0_E_clISt17integral_constantIbLb0EESY_IbLb1EEEEDaSU_SV_EUlSU_E_NS1_11comp_targetILNS1_3genE4ELNS1_11target_archE910ELNS1_3gpuE8ELNS1_3repE0EEENS1_30default_config_static_selectorELNS0_4arch9wavefront6targetE1EEEvT1_
	.p2align	8
	.type	_ZN7rocprim17ROCPRIM_400000_NS6detail17trampoline_kernelINS0_14default_configENS1_27scan_by_key_config_selectorIxxEEZZNS1_16scan_by_key_implILNS1_25lookback_scan_determinismE0ELb1ES3_N6thrust23THRUST_200600_302600_NS6detail15normal_iteratorINS9_10device_ptrIxEEEESE_SE_xNS9_4plusIvEENS9_8equal_toIvEExEE10hipError_tPvRmT2_T3_T4_T5_mT6_T7_P12ihipStream_tbENKUlT_T0_E_clISt17integral_constantIbLb0EESY_IbLb1EEEEDaSU_SV_EUlSU_E_NS1_11comp_targetILNS1_3genE4ELNS1_11target_archE910ELNS1_3gpuE8ELNS1_3repE0EEENS1_30default_config_static_selectorELNS0_4arch9wavefront6targetE1EEEvT1_,@function
_ZN7rocprim17ROCPRIM_400000_NS6detail17trampoline_kernelINS0_14default_configENS1_27scan_by_key_config_selectorIxxEEZZNS1_16scan_by_key_implILNS1_25lookback_scan_determinismE0ELb1ES3_N6thrust23THRUST_200600_302600_NS6detail15normal_iteratorINS9_10device_ptrIxEEEESE_SE_xNS9_4plusIvEENS9_8equal_toIvEExEE10hipError_tPvRmT2_T3_T4_T5_mT6_T7_P12ihipStream_tbENKUlT_T0_E_clISt17integral_constantIbLb0EESY_IbLb1EEEEDaSU_SV_EUlSU_E_NS1_11comp_targetILNS1_3genE4ELNS1_11target_archE910ELNS1_3gpuE8ELNS1_3repE0EEENS1_30default_config_static_selectorELNS0_4arch9wavefront6targetE1EEEvT1_: ; @_ZN7rocprim17ROCPRIM_400000_NS6detail17trampoline_kernelINS0_14default_configENS1_27scan_by_key_config_selectorIxxEEZZNS1_16scan_by_key_implILNS1_25lookback_scan_determinismE0ELb1ES3_N6thrust23THRUST_200600_302600_NS6detail15normal_iteratorINS9_10device_ptrIxEEEESE_SE_xNS9_4plusIvEENS9_8equal_toIvEExEE10hipError_tPvRmT2_T3_T4_T5_mT6_T7_P12ihipStream_tbENKUlT_T0_E_clISt17integral_constantIbLb0EESY_IbLb1EEEEDaSU_SV_EUlSU_E_NS1_11comp_targetILNS1_3genE4ELNS1_11target_archE910ELNS1_3gpuE8ELNS1_3repE0EEENS1_30default_config_static_selectorELNS0_4arch9wavefront6targetE1EEEvT1_
; %bb.0:
	.section	.rodata,"a",@progbits
	.p2align	6, 0x0
	.amdhsa_kernel _ZN7rocprim17ROCPRIM_400000_NS6detail17trampoline_kernelINS0_14default_configENS1_27scan_by_key_config_selectorIxxEEZZNS1_16scan_by_key_implILNS1_25lookback_scan_determinismE0ELb1ES3_N6thrust23THRUST_200600_302600_NS6detail15normal_iteratorINS9_10device_ptrIxEEEESE_SE_xNS9_4plusIvEENS9_8equal_toIvEExEE10hipError_tPvRmT2_T3_T4_T5_mT6_T7_P12ihipStream_tbENKUlT_T0_E_clISt17integral_constantIbLb0EESY_IbLb1EEEEDaSU_SV_EUlSU_E_NS1_11comp_targetILNS1_3genE4ELNS1_11target_archE910ELNS1_3gpuE8ELNS1_3repE0EEENS1_30default_config_static_selectorELNS0_4arch9wavefront6targetE1EEEvT1_
		.amdhsa_group_segment_fixed_size 0
		.amdhsa_private_segment_fixed_size 0
		.amdhsa_kernarg_size 136
		.amdhsa_user_sgpr_count 2
		.amdhsa_user_sgpr_dispatch_ptr 0
		.amdhsa_user_sgpr_queue_ptr 0
		.amdhsa_user_sgpr_kernarg_segment_ptr 1
		.amdhsa_user_sgpr_dispatch_id 0
		.amdhsa_user_sgpr_kernarg_preload_length 0
		.amdhsa_user_sgpr_kernarg_preload_offset 0
		.amdhsa_user_sgpr_private_segment_size 0
		.amdhsa_uses_dynamic_stack 0
		.amdhsa_enable_private_segment 0
		.amdhsa_system_sgpr_workgroup_id_x 1
		.amdhsa_system_sgpr_workgroup_id_y 0
		.amdhsa_system_sgpr_workgroup_id_z 0
		.amdhsa_system_sgpr_workgroup_info 0
		.amdhsa_system_vgpr_workitem_id 0
		.amdhsa_next_free_vgpr 1
		.amdhsa_next_free_sgpr 0
		.amdhsa_accum_offset 4
		.amdhsa_reserve_vcc 0
		.amdhsa_float_round_mode_32 0
		.amdhsa_float_round_mode_16_64 0
		.amdhsa_float_denorm_mode_32 3
		.amdhsa_float_denorm_mode_16_64 3
		.amdhsa_dx10_clamp 1
		.amdhsa_ieee_mode 1
		.amdhsa_fp16_overflow 0
		.amdhsa_tg_split 0
		.amdhsa_exception_fp_ieee_invalid_op 0
		.amdhsa_exception_fp_denorm_src 0
		.amdhsa_exception_fp_ieee_div_zero 0
		.amdhsa_exception_fp_ieee_overflow 0
		.amdhsa_exception_fp_ieee_underflow 0
		.amdhsa_exception_fp_ieee_inexact 0
		.amdhsa_exception_int_div_zero 0
	.end_amdhsa_kernel
	.section	.text._ZN7rocprim17ROCPRIM_400000_NS6detail17trampoline_kernelINS0_14default_configENS1_27scan_by_key_config_selectorIxxEEZZNS1_16scan_by_key_implILNS1_25lookback_scan_determinismE0ELb1ES3_N6thrust23THRUST_200600_302600_NS6detail15normal_iteratorINS9_10device_ptrIxEEEESE_SE_xNS9_4plusIvEENS9_8equal_toIvEExEE10hipError_tPvRmT2_T3_T4_T5_mT6_T7_P12ihipStream_tbENKUlT_T0_E_clISt17integral_constantIbLb0EESY_IbLb1EEEEDaSU_SV_EUlSU_E_NS1_11comp_targetILNS1_3genE4ELNS1_11target_archE910ELNS1_3gpuE8ELNS1_3repE0EEENS1_30default_config_static_selectorELNS0_4arch9wavefront6targetE1EEEvT1_,"axG",@progbits,_ZN7rocprim17ROCPRIM_400000_NS6detail17trampoline_kernelINS0_14default_configENS1_27scan_by_key_config_selectorIxxEEZZNS1_16scan_by_key_implILNS1_25lookback_scan_determinismE0ELb1ES3_N6thrust23THRUST_200600_302600_NS6detail15normal_iteratorINS9_10device_ptrIxEEEESE_SE_xNS9_4plusIvEENS9_8equal_toIvEExEE10hipError_tPvRmT2_T3_T4_T5_mT6_T7_P12ihipStream_tbENKUlT_T0_E_clISt17integral_constantIbLb0EESY_IbLb1EEEEDaSU_SV_EUlSU_E_NS1_11comp_targetILNS1_3genE4ELNS1_11target_archE910ELNS1_3gpuE8ELNS1_3repE0EEENS1_30default_config_static_selectorELNS0_4arch9wavefront6targetE1EEEvT1_,comdat
.Lfunc_end383:
	.size	_ZN7rocprim17ROCPRIM_400000_NS6detail17trampoline_kernelINS0_14default_configENS1_27scan_by_key_config_selectorIxxEEZZNS1_16scan_by_key_implILNS1_25lookback_scan_determinismE0ELb1ES3_N6thrust23THRUST_200600_302600_NS6detail15normal_iteratorINS9_10device_ptrIxEEEESE_SE_xNS9_4plusIvEENS9_8equal_toIvEExEE10hipError_tPvRmT2_T3_T4_T5_mT6_T7_P12ihipStream_tbENKUlT_T0_E_clISt17integral_constantIbLb0EESY_IbLb1EEEEDaSU_SV_EUlSU_E_NS1_11comp_targetILNS1_3genE4ELNS1_11target_archE910ELNS1_3gpuE8ELNS1_3repE0EEENS1_30default_config_static_selectorELNS0_4arch9wavefront6targetE1EEEvT1_, .Lfunc_end383-_ZN7rocprim17ROCPRIM_400000_NS6detail17trampoline_kernelINS0_14default_configENS1_27scan_by_key_config_selectorIxxEEZZNS1_16scan_by_key_implILNS1_25lookback_scan_determinismE0ELb1ES3_N6thrust23THRUST_200600_302600_NS6detail15normal_iteratorINS9_10device_ptrIxEEEESE_SE_xNS9_4plusIvEENS9_8equal_toIvEExEE10hipError_tPvRmT2_T3_T4_T5_mT6_T7_P12ihipStream_tbENKUlT_T0_E_clISt17integral_constantIbLb0EESY_IbLb1EEEEDaSU_SV_EUlSU_E_NS1_11comp_targetILNS1_3genE4ELNS1_11target_archE910ELNS1_3gpuE8ELNS1_3repE0EEENS1_30default_config_static_selectorELNS0_4arch9wavefront6targetE1EEEvT1_
                                        ; -- End function
	.section	.AMDGPU.csdata,"",@progbits
; Kernel info:
; codeLenInByte = 0
; NumSgprs: 6
; NumVgprs: 0
; NumAgprs: 0
; TotalNumVgprs: 0
; ScratchSize: 0
; MemoryBound: 0
; FloatMode: 240
; IeeeMode: 1
; LDSByteSize: 0 bytes/workgroup (compile time only)
; SGPRBlocks: 0
; VGPRBlocks: 0
; NumSGPRsForWavesPerEU: 6
; NumVGPRsForWavesPerEU: 1
; AccumOffset: 4
; Occupancy: 8
; WaveLimiterHint : 0
; COMPUTE_PGM_RSRC2:SCRATCH_EN: 0
; COMPUTE_PGM_RSRC2:USER_SGPR: 2
; COMPUTE_PGM_RSRC2:TRAP_HANDLER: 0
; COMPUTE_PGM_RSRC2:TGID_X_EN: 1
; COMPUTE_PGM_RSRC2:TGID_Y_EN: 0
; COMPUTE_PGM_RSRC2:TGID_Z_EN: 0
; COMPUTE_PGM_RSRC2:TIDIG_COMP_CNT: 0
; COMPUTE_PGM_RSRC3_GFX90A:ACCUM_OFFSET: 0
; COMPUTE_PGM_RSRC3_GFX90A:TG_SPLIT: 0
	.section	.text._ZN7rocprim17ROCPRIM_400000_NS6detail17trampoline_kernelINS0_14default_configENS1_27scan_by_key_config_selectorIxxEEZZNS1_16scan_by_key_implILNS1_25lookback_scan_determinismE0ELb1ES3_N6thrust23THRUST_200600_302600_NS6detail15normal_iteratorINS9_10device_ptrIxEEEESE_SE_xNS9_4plusIvEENS9_8equal_toIvEExEE10hipError_tPvRmT2_T3_T4_T5_mT6_T7_P12ihipStream_tbENKUlT_T0_E_clISt17integral_constantIbLb0EESY_IbLb1EEEEDaSU_SV_EUlSU_E_NS1_11comp_targetILNS1_3genE3ELNS1_11target_archE908ELNS1_3gpuE7ELNS1_3repE0EEENS1_30default_config_static_selectorELNS0_4arch9wavefront6targetE1EEEvT1_,"axG",@progbits,_ZN7rocprim17ROCPRIM_400000_NS6detail17trampoline_kernelINS0_14default_configENS1_27scan_by_key_config_selectorIxxEEZZNS1_16scan_by_key_implILNS1_25lookback_scan_determinismE0ELb1ES3_N6thrust23THRUST_200600_302600_NS6detail15normal_iteratorINS9_10device_ptrIxEEEESE_SE_xNS9_4plusIvEENS9_8equal_toIvEExEE10hipError_tPvRmT2_T3_T4_T5_mT6_T7_P12ihipStream_tbENKUlT_T0_E_clISt17integral_constantIbLb0EESY_IbLb1EEEEDaSU_SV_EUlSU_E_NS1_11comp_targetILNS1_3genE3ELNS1_11target_archE908ELNS1_3gpuE7ELNS1_3repE0EEENS1_30default_config_static_selectorELNS0_4arch9wavefront6targetE1EEEvT1_,comdat
	.protected	_ZN7rocprim17ROCPRIM_400000_NS6detail17trampoline_kernelINS0_14default_configENS1_27scan_by_key_config_selectorIxxEEZZNS1_16scan_by_key_implILNS1_25lookback_scan_determinismE0ELb1ES3_N6thrust23THRUST_200600_302600_NS6detail15normal_iteratorINS9_10device_ptrIxEEEESE_SE_xNS9_4plusIvEENS9_8equal_toIvEExEE10hipError_tPvRmT2_T3_T4_T5_mT6_T7_P12ihipStream_tbENKUlT_T0_E_clISt17integral_constantIbLb0EESY_IbLb1EEEEDaSU_SV_EUlSU_E_NS1_11comp_targetILNS1_3genE3ELNS1_11target_archE908ELNS1_3gpuE7ELNS1_3repE0EEENS1_30default_config_static_selectorELNS0_4arch9wavefront6targetE1EEEvT1_ ; -- Begin function _ZN7rocprim17ROCPRIM_400000_NS6detail17trampoline_kernelINS0_14default_configENS1_27scan_by_key_config_selectorIxxEEZZNS1_16scan_by_key_implILNS1_25lookback_scan_determinismE0ELb1ES3_N6thrust23THRUST_200600_302600_NS6detail15normal_iteratorINS9_10device_ptrIxEEEESE_SE_xNS9_4plusIvEENS9_8equal_toIvEExEE10hipError_tPvRmT2_T3_T4_T5_mT6_T7_P12ihipStream_tbENKUlT_T0_E_clISt17integral_constantIbLb0EESY_IbLb1EEEEDaSU_SV_EUlSU_E_NS1_11comp_targetILNS1_3genE3ELNS1_11target_archE908ELNS1_3gpuE7ELNS1_3repE0EEENS1_30default_config_static_selectorELNS0_4arch9wavefront6targetE1EEEvT1_
	.globl	_ZN7rocprim17ROCPRIM_400000_NS6detail17trampoline_kernelINS0_14default_configENS1_27scan_by_key_config_selectorIxxEEZZNS1_16scan_by_key_implILNS1_25lookback_scan_determinismE0ELb1ES3_N6thrust23THRUST_200600_302600_NS6detail15normal_iteratorINS9_10device_ptrIxEEEESE_SE_xNS9_4plusIvEENS9_8equal_toIvEExEE10hipError_tPvRmT2_T3_T4_T5_mT6_T7_P12ihipStream_tbENKUlT_T0_E_clISt17integral_constantIbLb0EESY_IbLb1EEEEDaSU_SV_EUlSU_E_NS1_11comp_targetILNS1_3genE3ELNS1_11target_archE908ELNS1_3gpuE7ELNS1_3repE0EEENS1_30default_config_static_selectorELNS0_4arch9wavefront6targetE1EEEvT1_
	.p2align	8
	.type	_ZN7rocprim17ROCPRIM_400000_NS6detail17trampoline_kernelINS0_14default_configENS1_27scan_by_key_config_selectorIxxEEZZNS1_16scan_by_key_implILNS1_25lookback_scan_determinismE0ELb1ES3_N6thrust23THRUST_200600_302600_NS6detail15normal_iteratorINS9_10device_ptrIxEEEESE_SE_xNS9_4plusIvEENS9_8equal_toIvEExEE10hipError_tPvRmT2_T3_T4_T5_mT6_T7_P12ihipStream_tbENKUlT_T0_E_clISt17integral_constantIbLb0EESY_IbLb1EEEEDaSU_SV_EUlSU_E_NS1_11comp_targetILNS1_3genE3ELNS1_11target_archE908ELNS1_3gpuE7ELNS1_3repE0EEENS1_30default_config_static_selectorELNS0_4arch9wavefront6targetE1EEEvT1_,@function
_ZN7rocprim17ROCPRIM_400000_NS6detail17trampoline_kernelINS0_14default_configENS1_27scan_by_key_config_selectorIxxEEZZNS1_16scan_by_key_implILNS1_25lookback_scan_determinismE0ELb1ES3_N6thrust23THRUST_200600_302600_NS6detail15normal_iteratorINS9_10device_ptrIxEEEESE_SE_xNS9_4plusIvEENS9_8equal_toIvEExEE10hipError_tPvRmT2_T3_T4_T5_mT6_T7_P12ihipStream_tbENKUlT_T0_E_clISt17integral_constantIbLb0EESY_IbLb1EEEEDaSU_SV_EUlSU_E_NS1_11comp_targetILNS1_3genE3ELNS1_11target_archE908ELNS1_3gpuE7ELNS1_3repE0EEENS1_30default_config_static_selectorELNS0_4arch9wavefront6targetE1EEEvT1_: ; @_ZN7rocprim17ROCPRIM_400000_NS6detail17trampoline_kernelINS0_14default_configENS1_27scan_by_key_config_selectorIxxEEZZNS1_16scan_by_key_implILNS1_25lookback_scan_determinismE0ELb1ES3_N6thrust23THRUST_200600_302600_NS6detail15normal_iteratorINS9_10device_ptrIxEEEESE_SE_xNS9_4plusIvEENS9_8equal_toIvEExEE10hipError_tPvRmT2_T3_T4_T5_mT6_T7_P12ihipStream_tbENKUlT_T0_E_clISt17integral_constantIbLb0EESY_IbLb1EEEEDaSU_SV_EUlSU_E_NS1_11comp_targetILNS1_3genE3ELNS1_11target_archE908ELNS1_3gpuE7ELNS1_3repE0EEENS1_30default_config_static_selectorELNS0_4arch9wavefront6targetE1EEEvT1_
; %bb.0:
	.section	.rodata,"a",@progbits
	.p2align	6, 0x0
	.amdhsa_kernel _ZN7rocprim17ROCPRIM_400000_NS6detail17trampoline_kernelINS0_14default_configENS1_27scan_by_key_config_selectorIxxEEZZNS1_16scan_by_key_implILNS1_25lookback_scan_determinismE0ELb1ES3_N6thrust23THRUST_200600_302600_NS6detail15normal_iteratorINS9_10device_ptrIxEEEESE_SE_xNS9_4plusIvEENS9_8equal_toIvEExEE10hipError_tPvRmT2_T3_T4_T5_mT6_T7_P12ihipStream_tbENKUlT_T0_E_clISt17integral_constantIbLb0EESY_IbLb1EEEEDaSU_SV_EUlSU_E_NS1_11comp_targetILNS1_3genE3ELNS1_11target_archE908ELNS1_3gpuE7ELNS1_3repE0EEENS1_30default_config_static_selectorELNS0_4arch9wavefront6targetE1EEEvT1_
		.amdhsa_group_segment_fixed_size 0
		.amdhsa_private_segment_fixed_size 0
		.amdhsa_kernarg_size 136
		.amdhsa_user_sgpr_count 2
		.amdhsa_user_sgpr_dispatch_ptr 0
		.amdhsa_user_sgpr_queue_ptr 0
		.amdhsa_user_sgpr_kernarg_segment_ptr 1
		.amdhsa_user_sgpr_dispatch_id 0
		.amdhsa_user_sgpr_kernarg_preload_length 0
		.amdhsa_user_sgpr_kernarg_preload_offset 0
		.amdhsa_user_sgpr_private_segment_size 0
		.amdhsa_uses_dynamic_stack 0
		.amdhsa_enable_private_segment 0
		.amdhsa_system_sgpr_workgroup_id_x 1
		.amdhsa_system_sgpr_workgroup_id_y 0
		.amdhsa_system_sgpr_workgroup_id_z 0
		.amdhsa_system_sgpr_workgroup_info 0
		.amdhsa_system_vgpr_workitem_id 0
		.amdhsa_next_free_vgpr 1
		.amdhsa_next_free_sgpr 0
		.amdhsa_accum_offset 4
		.amdhsa_reserve_vcc 0
		.amdhsa_float_round_mode_32 0
		.amdhsa_float_round_mode_16_64 0
		.amdhsa_float_denorm_mode_32 3
		.amdhsa_float_denorm_mode_16_64 3
		.amdhsa_dx10_clamp 1
		.amdhsa_ieee_mode 1
		.amdhsa_fp16_overflow 0
		.amdhsa_tg_split 0
		.amdhsa_exception_fp_ieee_invalid_op 0
		.amdhsa_exception_fp_denorm_src 0
		.amdhsa_exception_fp_ieee_div_zero 0
		.amdhsa_exception_fp_ieee_overflow 0
		.amdhsa_exception_fp_ieee_underflow 0
		.amdhsa_exception_fp_ieee_inexact 0
		.amdhsa_exception_int_div_zero 0
	.end_amdhsa_kernel
	.section	.text._ZN7rocprim17ROCPRIM_400000_NS6detail17trampoline_kernelINS0_14default_configENS1_27scan_by_key_config_selectorIxxEEZZNS1_16scan_by_key_implILNS1_25lookback_scan_determinismE0ELb1ES3_N6thrust23THRUST_200600_302600_NS6detail15normal_iteratorINS9_10device_ptrIxEEEESE_SE_xNS9_4plusIvEENS9_8equal_toIvEExEE10hipError_tPvRmT2_T3_T4_T5_mT6_T7_P12ihipStream_tbENKUlT_T0_E_clISt17integral_constantIbLb0EESY_IbLb1EEEEDaSU_SV_EUlSU_E_NS1_11comp_targetILNS1_3genE3ELNS1_11target_archE908ELNS1_3gpuE7ELNS1_3repE0EEENS1_30default_config_static_selectorELNS0_4arch9wavefront6targetE1EEEvT1_,"axG",@progbits,_ZN7rocprim17ROCPRIM_400000_NS6detail17trampoline_kernelINS0_14default_configENS1_27scan_by_key_config_selectorIxxEEZZNS1_16scan_by_key_implILNS1_25lookback_scan_determinismE0ELb1ES3_N6thrust23THRUST_200600_302600_NS6detail15normal_iteratorINS9_10device_ptrIxEEEESE_SE_xNS9_4plusIvEENS9_8equal_toIvEExEE10hipError_tPvRmT2_T3_T4_T5_mT6_T7_P12ihipStream_tbENKUlT_T0_E_clISt17integral_constantIbLb0EESY_IbLb1EEEEDaSU_SV_EUlSU_E_NS1_11comp_targetILNS1_3genE3ELNS1_11target_archE908ELNS1_3gpuE7ELNS1_3repE0EEENS1_30default_config_static_selectorELNS0_4arch9wavefront6targetE1EEEvT1_,comdat
.Lfunc_end384:
	.size	_ZN7rocprim17ROCPRIM_400000_NS6detail17trampoline_kernelINS0_14default_configENS1_27scan_by_key_config_selectorIxxEEZZNS1_16scan_by_key_implILNS1_25lookback_scan_determinismE0ELb1ES3_N6thrust23THRUST_200600_302600_NS6detail15normal_iteratorINS9_10device_ptrIxEEEESE_SE_xNS9_4plusIvEENS9_8equal_toIvEExEE10hipError_tPvRmT2_T3_T4_T5_mT6_T7_P12ihipStream_tbENKUlT_T0_E_clISt17integral_constantIbLb0EESY_IbLb1EEEEDaSU_SV_EUlSU_E_NS1_11comp_targetILNS1_3genE3ELNS1_11target_archE908ELNS1_3gpuE7ELNS1_3repE0EEENS1_30default_config_static_selectorELNS0_4arch9wavefront6targetE1EEEvT1_, .Lfunc_end384-_ZN7rocprim17ROCPRIM_400000_NS6detail17trampoline_kernelINS0_14default_configENS1_27scan_by_key_config_selectorIxxEEZZNS1_16scan_by_key_implILNS1_25lookback_scan_determinismE0ELb1ES3_N6thrust23THRUST_200600_302600_NS6detail15normal_iteratorINS9_10device_ptrIxEEEESE_SE_xNS9_4plusIvEENS9_8equal_toIvEExEE10hipError_tPvRmT2_T3_T4_T5_mT6_T7_P12ihipStream_tbENKUlT_T0_E_clISt17integral_constantIbLb0EESY_IbLb1EEEEDaSU_SV_EUlSU_E_NS1_11comp_targetILNS1_3genE3ELNS1_11target_archE908ELNS1_3gpuE7ELNS1_3repE0EEENS1_30default_config_static_selectorELNS0_4arch9wavefront6targetE1EEEvT1_
                                        ; -- End function
	.section	.AMDGPU.csdata,"",@progbits
; Kernel info:
; codeLenInByte = 0
; NumSgprs: 6
; NumVgprs: 0
; NumAgprs: 0
; TotalNumVgprs: 0
; ScratchSize: 0
; MemoryBound: 0
; FloatMode: 240
; IeeeMode: 1
; LDSByteSize: 0 bytes/workgroup (compile time only)
; SGPRBlocks: 0
; VGPRBlocks: 0
; NumSGPRsForWavesPerEU: 6
; NumVGPRsForWavesPerEU: 1
; AccumOffset: 4
; Occupancy: 8
; WaveLimiterHint : 0
; COMPUTE_PGM_RSRC2:SCRATCH_EN: 0
; COMPUTE_PGM_RSRC2:USER_SGPR: 2
; COMPUTE_PGM_RSRC2:TRAP_HANDLER: 0
; COMPUTE_PGM_RSRC2:TGID_X_EN: 1
; COMPUTE_PGM_RSRC2:TGID_Y_EN: 0
; COMPUTE_PGM_RSRC2:TGID_Z_EN: 0
; COMPUTE_PGM_RSRC2:TIDIG_COMP_CNT: 0
; COMPUTE_PGM_RSRC3_GFX90A:ACCUM_OFFSET: 0
; COMPUTE_PGM_RSRC3_GFX90A:TG_SPLIT: 0
	.section	.text._ZN7rocprim17ROCPRIM_400000_NS6detail17trampoline_kernelINS0_14default_configENS1_27scan_by_key_config_selectorIxxEEZZNS1_16scan_by_key_implILNS1_25lookback_scan_determinismE0ELb1ES3_N6thrust23THRUST_200600_302600_NS6detail15normal_iteratorINS9_10device_ptrIxEEEESE_SE_xNS9_4plusIvEENS9_8equal_toIvEExEE10hipError_tPvRmT2_T3_T4_T5_mT6_T7_P12ihipStream_tbENKUlT_T0_E_clISt17integral_constantIbLb0EESY_IbLb1EEEEDaSU_SV_EUlSU_E_NS1_11comp_targetILNS1_3genE2ELNS1_11target_archE906ELNS1_3gpuE6ELNS1_3repE0EEENS1_30default_config_static_selectorELNS0_4arch9wavefront6targetE1EEEvT1_,"axG",@progbits,_ZN7rocprim17ROCPRIM_400000_NS6detail17trampoline_kernelINS0_14default_configENS1_27scan_by_key_config_selectorIxxEEZZNS1_16scan_by_key_implILNS1_25lookback_scan_determinismE0ELb1ES3_N6thrust23THRUST_200600_302600_NS6detail15normal_iteratorINS9_10device_ptrIxEEEESE_SE_xNS9_4plusIvEENS9_8equal_toIvEExEE10hipError_tPvRmT2_T3_T4_T5_mT6_T7_P12ihipStream_tbENKUlT_T0_E_clISt17integral_constantIbLb0EESY_IbLb1EEEEDaSU_SV_EUlSU_E_NS1_11comp_targetILNS1_3genE2ELNS1_11target_archE906ELNS1_3gpuE6ELNS1_3repE0EEENS1_30default_config_static_selectorELNS0_4arch9wavefront6targetE1EEEvT1_,comdat
	.protected	_ZN7rocprim17ROCPRIM_400000_NS6detail17trampoline_kernelINS0_14default_configENS1_27scan_by_key_config_selectorIxxEEZZNS1_16scan_by_key_implILNS1_25lookback_scan_determinismE0ELb1ES3_N6thrust23THRUST_200600_302600_NS6detail15normal_iteratorINS9_10device_ptrIxEEEESE_SE_xNS9_4plusIvEENS9_8equal_toIvEExEE10hipError_tPvRmT2_T3_T4_T5_mT6_T7_P12ihipStream_tbENKUlT_T0_E_clISt17integral_constantIbLb0EESY_IbLb1EEEEDaSU_SV_EUlSU_E_NS1_11comp_targetILNS1_3genE2ELNS1_11target_archE906ELNS1_3gpuE6ELNS1_3repE0EEENS1_30default_config_static_selectorELNS0_4arch9wavefront6targetE1EEEvT1_ ; -- Begin function _ZN7rocprim17ROCPRIM_400000_NS6detail17trampoline_kernelINS0_14default_configENS1_27scan_by_key_config_selectorIxxEEZZNS1_16scan_by_key_implILNS1_25lookback_scan_determinismE0ELb1ES3_N6thrust23THRUST_200600_302600_NS6detail15normal_iteratorINS9_10device_ptrIxEEEESE_SE_xNS9_4plusIvEENS9_8equal_toIvEExEE10hipError_tPvRmT2_T3_T4_T5_mT6_T7_P12ihipStream_tbENKUlT_T0_E_clISt17integral_constantIbLb0EESY_IbLb1EEEEDaSU_SV_EUlSU_E_NS1_11comp_targetILNS1_3genE2ELNS1_11target_archE906ELNS1_3gpuE6ELNS1_3repE0EEENS1_30default_config_static_selectorELNS0_4arch9wavefront6targetE1EEEvT1_
	.globl	_ZN7rocprim17ROCPRIM_400000_NS6detail17trampoline_kernelINS0_14default_configENS1_27scan_by_key_config_selectorIxxEEZZNS1_16scan_by_key_implILNS1_25lookback_scan_determinismE0ELb1ES3_N6thrust23THRUST_200600_302600_NS6detail15normal_iteratorINS9_10device_ptrIxEEEESE_SE_xNS9_4plusIvEENS9_8equal_toIvEExEE10hipError_tPvRmT2_T3_T4_T5_mT6_T7_P12ihipStream_tbENKUlT_T0_E_clISt17integral_constantIbLb0EESY_IbLb1EEEEDaSU_SV_EUlSU_E_NS1_11comp_targetILNS1_3genE2ELNS1_11target_archE906ELNS1_3gpuE6ELNS1_3repE0EEENS1_30default_config_static_selectorELNS0_4arch9wavefront6targetE1EEEvT1_
	.p2align	8
	.type	_ZN7rocprim17ROCPRIM_400000_NS6detail17trampoline_kernelINS0_14default_configENS1_27scan_by_key_config_selectorIxxEEZZNS1_16scan_by_key_implILNS1_25lookback_scan_determinismE0ELb1ES3_N6thrust23THRUST_200600_302600_NS6detail15normal_iteratorINS9_10device_ptrIxEEEESE_SE_xNS9_4plusIvEENS9_8equal_toIvEExEE10hipError_tPvRmT2_T3_T4_T5_mT6_T7_P12ihipStream_tbENKUlT_T0_E_clISt17integral_constantIbLb0EESY_IbLb1EEEEDaSU_SV_EUlSU_E_NS1_11comp_targetILNS1_3genE2ELNS1_11target_archE906ELNS1_3gpuE6ELNS1_3repE0EEENS1_30default_config_static_selectorELNS0_4arch9wavefront6targetE1EEEvT1_,@function
_ZN7rocprim17ROCPRIM_400000_NS6detail17trampoline_kernelINS0_14default_configENS1_27scan_by_key_config_selectorIxxEEZZNS1_16scan_by_key_implILNS1_25lookback_scan_determinismE0ELb1ES3_N6thrust23THRUST_200600_302600_NS6detail15normal_iteratorINS9_10device_ptrIxEEEESE_SE_xNS9_4plusIvEENS9_8equal_toIvEExEE10hipError_tPvRmT2_T3_T4_T5_mT6_T7_P12ihipStream_tbENKUlT_T0_E_clISt17integral_constantIbLb0EESY_IbLb1EEEEDaSU_SV_EUlSU_E_NS1_11comp_targetILNS1_3genE2ELNS1_11target_archE906ELNS1_3gpuE6ELNS1_3repE0EEENS1_30default_config_static_selectorELNS0_4arch9wavefront6targetE1EEEvT1_: ; @_ZN7rocprim17ROCPRIM_400000_NS6detail17trampoline_kernelINS0_14default_configENS1_27scan_by_key_config_selectorIxxEEZZNS1_16scan_by_key_implILNS1_25lookback_scan_determinismE0ELb1ES3_N6thrust23THRUST_200600_302600_NS6detail15normal_iteratorINS9_10device_ptrIxEEEESE_SE_xNS9_4plusIvEENS9_8equal_toIvEExEE10hipError_tPvRmT2_T3_T4_T5_mT6_T7_P12ihipStream_tbENKUlT_T0_E_clISt17integral_constantIbLb0EESY_IbLb1EEEEDaSU_SV_EUlSU_E_NS1_11comp_targetILNS1_3genE2ELNS1_11target_archE906ELNS1_3gpuE6ELNS1_3repE0EEENS1_30default_config_static_selectorELNS0_4arch9wavefront6targetE1EEEvT1_
; %bb.0:
	.section	.rodata,"a",@progbits
	.p2align	6, 0x0
	.amdhsa_kernel _ZN7rocprim17ROCPRIM_400000_NS6detail17trampoline_kernelINS0_14default_configENS1_27scan_by_key_config_selectorIxxEEZZNS1_16scan_by_key_implILNS1_25lookback_scan_determinismE0ELb1ES3_N6thrust23THRUST_200600_302600_NS6detail15normal_iteratorINS9_10device_ptrIxEEEESE_SE_xNS9_4plusIvEENS9_8equal_toIvEExEE10hipError_tPvRmT2_T3_T4_T5_mT6_T7_P12ihipStream_tbENKUlT_T0_E_clISt17integral_constantIbLb0EESY_IbLb1EEEEDaSU_SV_EUlSU_E_NS1_11comp_targetILNS1_3genE2ELNS1_11target_archE906ELNS1_3gpuE6ELNS1_3repE0EEENS1_30default_config_static_selectorELNS0_4arch9wavefront6targetE1EEEvT1_
		.amdhsa_group_segment_fixed_size 0
		.amdhsa_private_segment_fixed_size 0
		.amdhsa_kernarg_size 136
		.amdhsa_user_sgpr_count 2
		.amdhsa_user_sgpr_dispatch_ptr 0
		.amdhsa_user_sgpr_queue_ptr 0
		.amdhsa_user_sgpr_kernarg_segment_ptr 1
		.amdhsa_user_sgpr_dispatch_id 0
		.amdhsa_user_sgpr_kernarg_preload_length 0
		.amdhsa_user_sgpr_kernarg_preload_offset 0
		.amdhsa_user_sgpr_private_segment_size 0
		.amdhsa_uses_dynamic_stack 0
		.amdhsa_enable_private_segment 0
		.amdhsa_system_sgpr_workgroup_id_x 1
		.amdhsa_system_sgpr_workgroup_id_y 0
		.amdhsa_system_sgpr_workgroup_id_z 0
		.amdhsa_system_sgpr_workgroup_info 0
		.amdhsa_system_vgpr_workitem_id 0
		.amdhsa_next_free_vgpr 1
		.amdhsa_next_free_sgpr 0
		.amdhsa_accum_offset 4
		.amdhsa_reserve_vcc 0
		.amdhsa_float_round_mode_32 0
		.amdhsa_float_round_mode_16_64 0
		.amdhsa_float_denorm_mode_32 3
		.amdhsa_float_denorm_mode_16_64 3
		.amdhsa_dx10_clamp 1
		.amdhsa_ieee_mode 1
		.amdhsa_fp16_overflow 0
		.amdhsa_tg_split 0
		.amdhsa_exception_fp_ieee_invalid_op 0
		.amdhsa_exception_fp_denorm_src 0
		.amdhsa_exception_fp_ieee_div_zero 0
		.amdhsa_exception_fp_ieee_overflow 0
		.amdhsa_exception_fp_ieee_underflow 0
		.amdhsa_exception_fp_ieee_inexact 0
		.amdhsa_exception_int_div_zero 0
	.end_amdhsa_kernel
	.section	.text._ZN7rocprim17ROCPRIM_400000_NS6detail17trampoline_kernelINS0_14default_configENS1_27scan_by_key_config_selectorIxxEEZZNS1_16scan_by_key_implILNS1_25lookback_scan_determinismE0ELb1ES3_N6thrust23THRUST_200600_302600_NS6detail15normal_iteratorINS9_10device_ptrIxEEEESE_SE_xNS9_4plusIvEENS9_8equal_toIvEExEE10hipError_tPvRmT2_T3_T4_T5_mT6_T7_P12ihipStream_tbENKUlT_T0_E_clISt17integral_constantIbLb0EESY_IbLb1EEEEDaSU_SV_EUlSU_E_NS1_11comp_targetILNS1_3genE2ELNS1_11target_archE906ELNS1_3gpuE6ELNS1_3repE0EEENS1_30default_config_static_selectorELNS0_4arch9wavefront6targetE1EEEvT1_,"axG",@progbits,_ZN7rocprim17ROCPRIM_400000_NS6detail17trampoline_kernelINS0_14default_configENS1_27scan_by_key_config_selectorIxxEEZZNS1_16scan_by_key_implILNS1_25lookback_scan_determinismE0ELb1ES3_N6thrust23THRUST_200600_302600_NS6detail15normal_iteratorINS9_10device_ptrIxEEEESE_SE_xNS9_4plusIvEENS9_8equal_toIvEExEE10hipError_tPvRmT2_T3_T4_T5_mT6_T7_P12ihipStream_tbENKUlT_T0_E_clISt17integral_constantIbLb0EESY_IbLb1EEEEDaSU_SV_EUlSU_E_NS1_11comp_targetILNS1_3genE2ELNS1_11target_archE906ELNS1_3gpuE6ELNS1_3repE0EEENS1_30default_config_static_selectorELNS0_4arch9wavefront6targetE1EEEvT1_,comdat
.Lfunc_end385:
	.size	_ZN7rocprim17ROCPRIM_400000_NS6detail17trampoline_kernelINS0_14default_configENS1_27scan_by_key_config_selectorIxxEEZZNS1_16scan_by_key_implILNS1_25lookback_scan_determinismE0ELb1ES3_N6thrust23THRUST_200600_302600_NS6detail15normal_iteratorINS9_10device_ptrIxEEEESE_SE_xNS9_4plusIvEENS9_8equal_toIvEExEE10hipError_tPvRmT2_T3_T4_T5_mT6_T7_P12ihipStream_tbENKUlT_T0_E_clISt17integral_constantIbLb0EESY_IbLb1EEEEDaSU_SV_EUlSU_E_NS1_11comp_targetILNS1_3genE2ELNS1_11target_archE906ELNS1_3gpuE6ELNS1_3repE0EEENS1_30default_config_static_selectorELNS0_4arch9wavefront6targetE1EEEvT1_, .Lfunc_end385-_ZN7rocprim17ROCPRIM_400000_NS6detail17trampoline_kernelINS0_14default_configENS1_27scan_by_key_config_selectorIxxEEZZNS1_16scan_by_key_implILNS1_25lookback_scan_determinismE0ELb1ES3_N6thrust23THRUST_200600_302600_NS6detail15normal_iteratorINS9_10device_ptrIxEEEESE_SE_xNS9_4plusIvEENS9_8equal_toIvEExEE10hipError_tPvRmT2_T3_T4_T5_mT6_T7_P12ihipStream_tbENKUlT_T0_E_clISt17integral_constantIbLb0EESY_IbLb1EEEEDaSU_SV_EUlSU_E_NS1_11comp_targetILNS1_3genE2ELNS1_11target_archE906ELNS1_3gpuE6ELNS1_3repE0EEENS1_30default_config_static_selectorELNS0_4arch9wavefront6targetE1EEEvT1_
                                        ; -- End function
	.section	.AMDGPU.csdata,"",@progbits
; Kernel info:
; codeLenInByte = 0
; NumSgprs: 6
; NumVgprs: 0
; NumAgprs: 0
; TotalNumVgprs: 0
; ScratchSize: 0
; MemoryBound: 0
; FloatMode: 240
; IeeeMode: 1
; LDSByteSize: 0 bytes/workgroup (compile time only)
; SGPRBlocks: 0
; VGPRBlocks: 0
; NumSGPRsForWavesPerEU: 6
; NumVGPRsForWavesPerEU: 1
; AccumOffset: 4
; Occupancy: 8
; WaveLimiterHint : 0
; COMPUTE_PGM_RSRC2:SCRATCH_EN: 0
; COMPUTE_PGM_RSRC2:USER_SGPR: 2
; COMPUTE_PGM_RSRC2:TRAP_HANDLER: 0
; COMPUTE_PGM_RSRC2:TGID_X_EN: 1
; COMPUTE_PGM_RSRC2:TGID_Y_EN: 0
; COMPUTE_PGM_RSRC2:TGID_Z_EN: 0
; COMPUTE_PGM_RSRC2:TIDIG_COMP_CNT: 0
; COMPUTE_PGM_RSRC3_GFX90A:ACCUM_OFFSET: 0
; COMPUTE_PGM_RSRC3_GFX90A:TG_SPLIT: 0
	.section	.text._ZN7rocprim17ROCPRIM_400000_NS6detail17trampoline_kernelINS0_14default_configENS1_27scan_by_key_config_selectorIxxEEZZNS1_16scan_by_key_implILNS1_25lookback_scan_determinismE0ELb1ES3_N6thrust23THRUST_200600_302600_NS6detail15normal_iteratorINS9_10device_ptrIxEEEESE_SE_xNS9_4plusIvEENS9_8equal_toIvEExEE10hipError_tPvRmT2_T3_T4_T5_mT6_T7_P12ihipStream_tbENKUlT_T0_E_clISt17integral_constantIbLb0EESY_IbLb1EEEEDaSU_SV_EUlSU_E_NS1_11comp_targetILNS1_3genE10ELNS1_11target_archE1200ELNS1_3gpuE4ELNS1_3repE0EEENS1_30default_config_static_selectorELNS0_4arch9wavefront6targetE1EEEvT1_,"axG",@progbits,_ZN7rocprim17ROCPRIM_400000_NS6detail17trampoline_kernelINS0_14default_configENS1_27scan_by_key_config_selectorIxxEEZZNS1_16scan_by_key_implILNS1_25lookback_scan_determinismE0ELb1ES3_N6thrust23THRUST_200600_302600_NS6detail15normal_iteratorINS9_10device_ptrIxEEEESE_SE_xNS9_4plusIvEENS9_8equal_toIvEExEE10hipError_tPvRmT2_T3_T4_T5_mT6_T7_P12ihipStream_tbENKUlT_T0_E_clISt17integral_constantIbLb0EESY_IbLb1EEEEDaSU_SV_EUlSU_E_NS1_11comp_targetILNS1_3genE10ELNS1_11target_archE1200ELNS1_3gpuE4ELNS1_3repE0EEENS1_30default_config_static_selectorELNS0_4arch9wavefront6targetE1EEEvT1_,comdat
	.protected	_ZN7rocprim17ROCPRIM_400000_NS6detail17trampoline_kernelINS0_14default_configENS1_27scan_by_key_config_selectorIxxEEZZNS1_16scan_by_key_implILNS1_25lookback_scan_determinismE0ELb1ES3_N6thrust23THRUST_200600_302600_NS6detail15normal_iteratorINS9_10device_ptrIxEEEESE_SE_xNS9_4plusIvEENS9_8equal_toIvEExEE10hipError_tPvRmT2_T3_T4_T5_mT6_T7_P12ihipStream_tbENKUlT_T0_E_clISt17integral_constantIbLb0EESY_IbLb1EEEEDaSU_SV_EUlSU_E_NS1_11comp_targetILNS1_3genE10ELNS1_11target_archE1200ELNS1_3gpuE4ELNS1_3repE0EEENS1_30default_config_static_selectorELNS0_4arch9wavefront6targetE1EEEvT1_ ; -- Begin function _ZN7rocprim17ROCPRIM_400000_NS6detail17trampoline_kernelINS0_14default_configENS1_27scan_by_key_config_selectorIxxEEZZNS1_16scan_by_key_implILNS1_25lookback_scan_determinismE0ELb1ES3_N6thrust23THRUST_200600_302600_NS6detail15normal_iteratorINS9_10device_ptrIxEEEESE_SE_xNS9_4plusIvEENS9_8equal_toIvEExEE10hipError_tPvRmT2_T3_T4_T5_mT6_T7_P12ihipStream_tbENKUlT_T0_E_clISt17integral_constantIbLb0EESY_IbLb1EEEEDaSU_SV_EUlSU_E_NS1_11comp_targetILNS1_3genE10ELNS1_11target_archE1200ELNS1_3gpuE4ELNS1_3repE0EEENS1_30default_config_static_selectorELNS0_4arch9wavefront6targetE1EEEvT1_
	.globl	_ZN7rocprim17ROCPRIM_400000_NS6detail17trampoline_kernelINS0_14default_configENS1_27scan_by_key_config_selectorIxxEEZZNS1_16scan_by_key_implILNS1_25lookback_scan_determinismE0ELb1ES3_N6thrust23THRUST_200600_302600_NS6detail15normal_iteratorINS9_10device_ptrIxEEEESE_SE_xNS9_4plusIvEENS9_8equal_toIvEExEE10hipError_tPvRmT2_T3_T4_T5_mT6_T7_P12ihipStream_tbENKUlT_T0_E_clISt17integral_constantIbLb0EESY_IbLb1EEEEDaSU_SV_EUlSU_E_NS1_11comp_targetILNS1_3genE10ELNS1_11target_archE1200ELNS1_3gpuE4ELNS1_3repE0EEENS1_30default_config_static_selectorELNS0_4arch9wavefront6targetE1EEEvT1_
	.p2align	8
	.type	_ZN7rocprim17ROCPRIM_400000_NS6detail17trampoline_kernelINS0_14default_configENS1_27scan_by_key_config_selectorIxxEEZZNS1_16scan_by_key_implILNS1_25lookback_scan_determinismE0ELb1ES3_N6thrust23THRUST_200600_302600_NS6detail15normal_iteratorINS9_10device_ptrIxEEEESE_SE_xNS9_4plusIvEENS9_8equal_toIvEExEE10hipError_tPvRmT2_T3_T4_T5_mT6_T7_P12ihipStream_tbENKUlT_T0_E_clISt17integral_constantIbLb0EESY_IbLb1EEEEDaSU_SV_EUlSU_E_NS1_11comp_targetILNS1_3genE10ELNS1_11target_archE1200ELNS1_3gpuE4ELNS1_3repE0EEENS1_30default_config_static_selectorELNS0_4arch9wavefront6targetE1EEEvT1_,@function
_ZN7rocprim17ROCPRIM_400000_NS6detail17trampoline_kernelINS0_14default_configENS1_27scan_by_key_config_selectorIxxEEZZNS1_16scan_by_key_implILNS1_25lookback_scan_determinismE0ELb1ES3_N6thrust23THRUST_200600_302600_NS6detail15normal_iteratorINS9_10device_ptrIxEEEESE_SE_xNS9_4plusIvEENS9_8equal_toIvEExEE10hipError_tPvRmT2_T3_T4_T5_mT6_T7_P12ihipStream_tbENKUlT_T0_E_clISt17integral_constantIbLb0EESY_IbLb1EEEEDaSU_SV_EUlSU_E_NS1_11comp_targetILNS1_3genE10ELNS1_11target_archE1200ELNS1_3gpuE4ELNS1_3repE0EEENS1_30default_config_static_selectorELNS0_4arch9wavefront6targetE1EEEvT1_: ; @_ZN7rocprim17ROCPRIM_400000_NS6detail17trampoline_kernelINS0_14default_configENS1_27scan_by_key_config_selectorIxxEEZZNS1_16scan_by_key_implILNS1_25lookback_scan_determinismE0ELb1ES3_N6thrust23THRUST_200600_302600_NS6detail15normal_iteratorINS9_10device_ptrIxEEEESE_SE_xNS9_4plusIvEENS9_8equal_toIvEExEE10hipError_tPvRmT2_T3_T4_T5_mT6_T7_P12ihipStream_tbENKUlT_T0_E_clISt17integral_constantIbLb0EESY_IbLb1EEEEDaSU_SV_EUlSU_E_NS1_11comp_targetILNS1_3genE10ELNS1_11target_archE1200ELNS1_3gpuE4ELNS1_3repE0EEENS1_30default_config_static_selectorELNS0_4arch9wavefront6targetE1EEEvT1_
; %bb.0:
	.section	.rodata,"a",@progbits
	.p2align	6, 0x0
	.amdhsa_kernel _ZN7rocprim17ROCPRIM_400000_NS6detail17trampoline_kernelINS0_14default_configENS1_27scan_by_key_config_selectorIxxEEZZNS1_16scan_by_key_implILNS1_25lookback_scan_determinismE0ELb1ES3_N6thrust23THRUST_200600_302600_NS6detail15normal_iteratorINS9_10device_ptrIxEEEESE_SE_xNS9_4plusIvEENS9_8equal_toIvEExEE10hipError_tPvRmT2_T3_T4_T5_mT6_T7_P12ihipStream_tbENKUlT_T0_E_clISt17integral_constantIbLb0EESY_IbLb1EEEEDaSU_SV_EUlSU_E_NS1_11comp_targetILNS1_3genE10ELNS1_11target_archE1200ELNS1_3gpuE4ELNS1_3repE0EEENS1_30default_config_static_selectorELNS0_4arch9wavefront6targetE1EEEvT1_
		.amdhsa_group_segment_fixed_size 0
		.amdhsa_private_segment_fixed_size 0
		.amdhsa_kernarg_size 136
		.amdhsa_user_sgpr_count 2
		.amdhsa_user_sgpr_dispatch_ptr 0
		.amdhsa_user_sgpr_queue_ptr 0
		.amdhsa_user_sgpr_kernarg_segment_ptr 1
		.amdhsa_user_sgpr_dispatch_id 0
		.amdhsa_user_sgpr_kernarg_preload_length 0
		.amdhsa_user_sgpr_kernarg_preload_offset 0
		.amdhsa_user_sgpr_private_segment_size 0
		.amdhsa_uses_dynamic_stack 0
		.amdhsa_enable_private_segment 0
		.amdhsa_system_sgpr_workgroup_id_x 1
		.amdhsa_system_sgpr_workgroup_id_y 0
		.amdhsa_system_sgpr_workgroup_id_z 0
		.amdhsa_system_sgpr_workgroup_info 0
		.amdhsa_system_vgpr_workitem_id 0
		.amdhsa_next_free_vgpr 1
		.amdhsa_next_free_sgpr 0
		.amdhsa_accum_offset 4
		.amdhsa_reserve_vcc 0
		.amdhsa_float_round_mode_32 0
		.amdhsa_float_round_mode_16_64 0
		.amdhsa_float_denorm_mode_32 3
		.amdhsa_float_denorm_mode_16_64 3
		.amdhsa_dx10_clamp 1
		.amdhsa_ieee_mode 1
		.amdhsa_fp16_overflow 0
		.amdhsa_tg_split 0
		.amdhsa_exception_fp_ieee_invalid_op 0
		.amdhsa_exception_fp_denorm_src 0
		.amdhsa_exception_fp_ieee_div_zero 0
		.amdhsa_exception_fp_ieee_overflow 0
		.amdhsa_exception_fp_ieee_underflow 0
		.amdhsa_exception_fp_ieee_inexact 0
		.amdhsa_exception_int_div_zero 0
	.end_amdhsa_kernel
	.section	.text._ZN7rocprim17ROCPRIM_400000_NS6detail17trampoline_kernelINS0_14default_configENS1_27scan_by_key_config_selectorIxxEEZZNS1_16scan_by_key_implILNS1_25lookback_scan_determinismE0ELb1ES3_N6thrust23THRUST_200600_302600_NS6detail15normal_iteratorINS9_10device_ptrIxEEEESE_SE_xNS9_4plusIvEENS9_8equal_toIvEExEE10hipError_tPvRmT2_T3_T4_T5_mT6_T7_P12ihipStream_tbENKUlT_T0_E_clISt17integral_constantIbLb0EESY_IbLb1EEEEDaSU_SV_EUlSU_E_NS1_11comp_targetILNS1_3genE10ELNS1_11target_archE1200ELNS1_3gpuE4ELNS1_3repE0EEENS1_30default_config_static_selectorELNS0_4arch9wavefront6targetE1EEEvT1_,"axG",@progbits,_ZN7rocprim17ROCPRIM_400000_NS6detail17trampoline_kernelINS0_14default_configENS1_27scan_by_key_config_selectorIxxEEZZNS1_16scan_by_key_implILNS1_25lookback_scan_determinismE0ELb1ES3_N6thrust23THRUST_200600_302600_NS6detail15normal_iteratorINS9_10device_ptrIxEEEESE_SE_xNS9_4plusIvEENS9_8equal_toIvEExEE10hipError_tPvRmT2_T3_T4_T5_mT6_T7_P12ihipStream_tbENKUlT_T0_E_clISt17integral_constantIbLb0EESY_IbLb1EEEEDaSU_SV_EUlSU_E_NS1_11comp_targetILNS1_3genE10ELNS1_11target_archE1200ELNS1_3gpuE4ELNS1_3repE0EEENS1_30default_config_static_selectorELNS0_4arch9wavefront6targetE1EEEvT1_,comdat
.Lfunc_end386:
	.size	_ZN7rocprim17ROCPRIM_400000_NS6detail17trampoline_kernelINS0_14default_configENS1_27scan_by_key_config_selectorIxxEEZZNS1_16scan_by_key_implILNS1_25lookback_scan_determinismE0ELb1ES3_N6thrust23THRUST_200600_302600_NS6detail15normal_iteratorINS9_10device_ptrIxEEEESE_SE_xNS9_4plusIvEENS9_8equal_toIvEExEE10hipError_tPvRmT2_T3_T4_T5_mT6_T7_P12ihipStream_tbENKUlT_T0_E_clISt17integral_constantIbLb0EESY_IbLb1EEEEDaSU_SV_EUlSU_E_NS1_11comp_targetILNS1_3genE10ELNS1_11target_archE1200ELNS1_3gpuE4ELNS1_3repE0EEENS1_30default_config_static_selectorELNS0_4arch9wavefront6targetE1EEEvT1_, .Lfunc_end386-_ZN7rocprim17ROCPRIM_400000_NS6detail17trampoline_kernelINS0_14default_configENS1_27scan_by_key_config_selectorIxxEEZZNS1_16scan_by_key_implILNS1_25lookback_scan_determinismE0ELb1ES3_N6thrust23THRUST_200600_302600_NS6detail15normal_iteratorINS9_10device_ptrIxEEEESE_SE_xNS9_4plusIvEENS9_8equal_toIvEExEE10hipError_tPvRmT2_T3_T4_T5_mT6_T7_P12ihipStream_tbENKUlT_T0_E_clISt17integral_constantIbLb0EESY_IbLb1EEEEDaSU_SV_EUlSU_E_NS1_11comp_targetILNS1_3genE10ELNS1_11target_archE1200ELNS1_3gpuE4ELNS1_3repE0EEENS1_30default_config_static_selectorELNS0_4arch9wavefront6targetE1EEEvT1_
                                        ; -- End function
	.section	.AMDGPU.csdata,"",@progbits
; Kernel info:
; codeLenInByte = 0
; NumSgprs: 6
; NumVgprs: 0
; NumAgprs: 0
; TotalNumVgprs: 0
; ScratchSize: 0
; MemoryBound: 0
; FloatMode: 240
; IeeeMode: 1
; LDSByteSize: 0 bytes/workgroup (compile time only)
; SGPRBlocks: 0
; VGPRBlocks: 0
; NumSGPRsForWavesPerEU: 6
; NumVGPRsForWavesPerEU: 1
; AccumOffset: 4
; Occupancy: 8
; WaveLimiterHint : 0
; COMPUTE_PGM_RSRC2:SCRATCH_EN: 0
; COMPUTE_PGM_RSRC2:USER_SGPR: 2
; COMPUTE_PGM_RSRC2:TRAP_HANDLER: 0
; COMPUTE_PGM_RSRC2:TGID_X_EN: 1
; COMPUTE_PGM_RSRC2:TGID_Y_EN: 0
; COMPUTE_PGM_RSRC2:TGID_Z_EN: 0
; COMPUTE_PGM_RSRC2:TIDIG_COMP_CNT: 0
; COMPUTE_PGM_RSRC3_GFX90A:ACCUM_OFFSET: 0
; COMPUTE_PGM_RSRC3_GFX90A:TG_SPLIT: 0
	.section	.text._ZN7rocprim17ROCPRIM_400000_NS6detail17trampoline_kernelINS0_14default_configENS1_27scan_by_key_config_selectorIxxEEZZNS1_16scan_by_key_implILNS1_25lookback_scan_determinismE0ELb1ES3_N6thrust23THRUST_200600_302600_NS6detail15normal_iteratorINS9_10device_ptrIxEEEESE_SE_xNS9_4plusIvEENS9_8equal_toIvEExEE10hipError_tPvRmT2_T3_T4_T5_mT6_T7_P12ihipStream_tbENKUlT_T0_E_clISt17integral_constantIbLb0EESY_IbLb1EEEEDaSU_SV_EUlSU_E_NS1_11comp_targetILNS1_3genE9ELNS1_11target_archE1100ELNS1_3gpuE3ELNS1_3repE0EEENS1_30default_config_static_selectorELNS0_4arch9wavefront6targetE1EEEvT1_,"axG",@progbits,_ZN7rocprim17ROCPRIM_400000_NS6detail17trampoline_kernelINS0_14default_configENS1_27scan_by_key_config_selectorIxxEEZZNS1_16scan_by_key_implILNS1_25lookback_scan_determinismE0ELb1ES3_N6thrust23THRUST_200600_302600_NS6detail15normal_iteratorINS9_10device_ptrIxEEEESE_SE_xNS9_4plusIvEENS9_8equal_toIvEExEE10hipError_tPvRmT2_T3_T4_T5_mT6_T7_P12ihipStream_tbENKUlT_T0_E_clISt17integral_constantIbLb0EESY_IbLb1EEEEDaSU_SV_EUlSU_E_NS1_11comp_targetILNS1_3genE9ELNS1_11target_archE1100ELNS1_3gpuE3ELNS1_3repE0EEENS1_30default_config_static_selectorELNS0_4arch9wavefront6targetE1EEEvT1_,comdat
	.protected	_ZN7rocprim17ROCPRIM_400000_NS6detail17trampoline_kernelINS0_14default_configENS1_27scan_by_key_config_selectorIxxEEZZNS1_16scan_by_key_implILNS1_25lookback_scan_determinismE0ELb1ES3_N6thrust23THRUST_200600_302600_NS6detail15normal_iteratorINS9_10device_ptrIxEEEESE_SE_xNS9_4plusIvEENS9_8equal_toIvEExEE10hipError_tPvRmT2_T3_T4_T5_mT6_T7_P12ihipStream_tbENKUlT_T0_E_clISt17integral_constantIbLb0EESY_IbLb1EEEEDaSU_SV_EUlSU_E_NS1_11comp_targetILNS1_3genE9ELNS1_11target_archE1100ELNS1_3gpuE3ELNS1_3repE0EEENS1_30default_config_static_selectorELNS0_4arch9wavefront6targetE1EEEvT1_ ; -- Begin function _ZN7rocprim17ROCPRIM_400000_NS6detail17trampoline_kernelINS0_14default_configENS1_27scan_by_key_config_selectorIxxEEZZNS1_16scan_by_key_implILNS1_25lookback_scan_determinismE0ELb1ES3_N6thrust23THRUST_200600_302600_NS6detail15normal_iteratorINS9_10device_ptrIxEEEESE_SE_xNS9_4plusIvEENS9_8equal_toIvEExEE10hipError_tPvRmT2_T3_T4_T5_mT6_T7_P12ihipStream_tbENKUlT_T0_E_clISt17integral_constantIbLb0EESY_IbLb1EEEEDaSU_SV_EUlSU_E_NS1_11comp_targetILNS1_3genE9ELNS1_11target_archE1100ELNS1_3gpuE3ELNS1_3repE0EEENS1_30default_config_static_selectorELNS0_4arch9wavefront6targetE1EEEvT1_
	.globl	_ZN7rocprim17ROCPRIM_400000_NS6detail17trampoline_kernelINS0_14default_configENS1_27scan_by_key_config_selectorIxxEEZZNS1_16scan_by_key_implILNS1_25lookback_scan_determinismE0ELb1ES3_N6thrust23THRUST_200600_302600_NS6detail15normal_iteratorINS9_10device_ptrIxEEEESE_SE_xNS9_4plusIvEENS9_8equal_toIvEExEE10hipError_tPvRmT2_T3_T4_T5_mT6_T7_P12ihipStream_tbENKUlT_T0_E_clISt17integral_constantIbLb0EESY_IbLb1EEEEDaSU_SV_EUlSU_E_NS1_11comp_targetILNS1_3genE9ELNS1_11target_archE1100ELNS1_3gpuE3ELNS1_3repE0EEENS1_30default_config_static_selectorELNS0_4arch9wavefront6targetE1EEEvT1_
	.p2align	8
	.type	_ZN7rocprim17ROCPRIM_400000_NS6detail17trampoline_kernelINS0_14default_configENS1_27scan_by_key_config_selectorIxxEEZZNS1_16scan_by_key_implILNS1_25lookback_scan_determinismE0ELb1ES3_N6thrust23THRUST_200600_302600_NS6detail15normal_iteratorINS9_10device_ptrIxEEEESE_SE_xNS9_4plusIvEENS9_8equal_toIvEExEE10hipError_tPvRmT2_T3_T4_T5_mT6_T7_P12ihipStream_tbENKUlT_T0_E_clISt17integral_constantIbLb0EESY_IbLb1EEEEDaSU_SV_EUlSU_E_NS1_11comp_targetILNS1_3genE9ELNS1_11target_archE1100ELNS1_3gpuE3ELNS1_3repE0EEENS1_30default_config_static_selectorELNS0_4arch9wavefront6targetE1EEEvT1_,@function
_ZN7rocprim17ROCPRIM_400000_NS6detail17trampoline_kernelINS0_14default_configENS1_27scan_by_key_config_selectorIxxEEZZNS1_16scan_by_key_implILNS1_25lookback_scan_determinismE0ELb1ES3_N6thrust23THRUST_200600_302600_NS6detail15normal_iteratorINS9_10device_ptrIxEEEESE_SE_xNS9_4plusIvEENS9_8equal_toIvEExEE10hipError_tPvRmT2_T3_T4_T5_mT6_T7_P12ihipStream_tbENKUlT_T0_E_clISt17integral_constantIbLb0EESY_IbLb1EEEEDaSU_SV_EUlSU_E_NS1_11comp_targetILNS1_3genE9ELNS1_11target_archE1100ELNS1_3gpuE3ELNS1_3repE0EEENS1_30default_config_static_selectorELNS0_4arch9wavefront6targetE1EEEvT1_: ; @_ZN7rocprim17ROCPRIM_400000_NS6detail17trampoline_kernelINS0_14default_configENS1_27scan_by_key_config_selectorIxxEEZZNS1_16scan_by_key_implILNS1_25lookback_scan_determinismE0ELb1ES3_N6thrust23THRUST_200600_302600_NS6detail15normal_iteratorINS9_10device_ptrIxEEEESE_SE_xNS9_4plusIvEENS9_8equal_toIvEExEE10hipError_tPvRmT2_T3_T4_T5_mT6_T7_P12ihipStream_tbENKUlT_T0_E_clISt17integral_constantIbLb0EESY_IbLb1EEEEDaSU_SV_EUlSU_E_NS1_11comp_targetILNS1_3genE9ELNS1_11target_archE1100ELNS1_3gpuE3ELNS1_3repE0EEENS1_30default_config_static_selectorELNS0_4arch9wavefront6targetE1EEEvT1_
; %bb.0:
	.section	.rodata,"a",@progbits
	.p2align	6, 0x0
	.amdhsa_kernel _ZN7rocprim17ROCPRIM_400000_NS6detail17trampoline_kernelINS0_14default_configENS1_27scan_by_key_config_selectorIxxEEZZNS1_16scan_by_key_implILNS1_25lookback_scan_determinismE0ELb1ES3_N6thrust23THRUST_200600_302600_NS6detail15normal_iteratorINS9_10device_ptrIxEEEESE_SE_xNS9_4plusIvEENS9_8equal_toIvEExEE10hipError_tPvRmT2_T3_T4_T5_mT6_T7_P12ihipStream_tbENKUlT_T0_E_clISt17integral_constantIbLb0EESY_IbLb1EEEEDaSU_SV_EUlSU_E_NS1_11comp_targetILNS1_3genE9ELNS1_11target_archE1100ELNS1_3gpuE3ELNS1_3repE0EEENS1_30default_config_static_selectorELNS0_4arch9wavefront6targetE1EEEvT1_
		.amdhsa_group_segment_fixed_size 0
		.amdhsa_private_segment_fixed_size 0
		.amdhsa_kernarg_size 136
		.amdhsa_user_sgpr_count 2
		.amdhsa_user_sgpr_dispatch_ptr 0
		.amdhsa_user_sgpr_queue_ptr 0
		.amdhsa_user_sgpr_kernarg_segment_ptr 1
		.amdhsa_user_sgpr_dispatch_id 0
		.amdhsa_user_sgpr_kernarg_preload_length 0
		.amdhsa_user_sgpr_kernarg_preload_offset 0
		.amdhsa_user_sgpr_private_segment_size 0
		.amdhsa_uses_dynamic_stack 0
		.amdhsa_enable_private_segment 0
		.amdhsa_system_sgpr_workgroup_id_x 1
		.amdhsa_system_sgpr_workgroup_id_y 0
		.amdhsa_system_sgpr_workgroup_id_z 0
		.amdhsa_system_sgpr_workgroup_info 0
		.amdhsa_system_vgpr_workitem_id 0
		.amdhsa_next_free_vgpr 1
		.amdhsa_next_free_sgpr 0
		.amdhsa_accum_offset 4
		.amdhsa_reserve_vcc 0
		.amdhsa_float_round_mode_32 0
		.amdhsa_float_round_mode_16_64 0
		.amdhsa_float_denorm_mode_32 3
		.amdhsa_float_denorm_mode_16_64 3
		.amdhsa_dx10_clamp 1
		.amdhsa_ieee_mode 1
		.amdhsa_fp16_overflow 0
		.amdhsa_tg_split 0
		.amdhsa_exception_fp_ieee_invalid_op 0
		.amdhsa_exception_fp_denorm_src 0
		.amdhsa_exception_fp_ieee_div_zero 0
		.amdhsa_exception_fp_ieee_overflow 0
		.amdhsa_exception_fp_ieee_underflow 0
		.amdhsa_exception_fp_ieee_inexact 0
		.amdhsa_exception_int_div_zero 0
	.end_amdhsa_kernel
	.section	.text._ZN7rocprim17ROCPRIM_400000_NS6detail17trampoline_kernelINS0_14default_configENS1_27scan_by_key_config_selectorIxxEEZZNS1_16scan_by_key_implILNS1_25lookback_scan_determinismE0ELb1ES3_N6thrust23THRUST_200600_302600_NS6detail15normal_iteratorINS9_10device_ptrIxEEEESE_SE_xNS9_4plusIvEENS9_8equal_toIvEExEE10hipError_tPvRmT2_T3_T4_T5_mT6_T7_P12ihipStream_tbENKUlT_T0_E_clISt17integral_constantIbLb0EESY_IbLb1EEEEDaSU_SV_EUlSU_E_NS1_11comp_targetILNS1_3genE9ELNS1_11target_archE1100ELNS1_3gpuE3ELNS1_3repE0EEENS1_30default_config_static_selectorELNS0_4arch9wavefront6targetE1EEEvT1_,"axG",@progbits,_ZN7rocprim17ROCPRIM_400000_NS6detail17trampoline_kernelINS0_14default_configENS1_27scan_by_key_config_selectorIxxEEZZNS1_16scan_by_key_implILNS1_25lookback_scan_determinismE0ELb1ES3_N6thrust23THRUST_200600_302600_NS6detail15normal_iteratorINS9_10device_ptrIxEEEESE_SE_xNS9_4plusIvEENS9_8equal_toIvEExEE10hipError_tPvRmT2_T3_T4_T5_mT6_T7_P12ihipStream_tbENKUlT_T0_E_clISt17integral_constantIbLb0EESY_IbLb1EEEEDaSU_SV_EUlSU_E_NS1_11comp_targetILNS1_3genE9ELNS1_11target_archE1100ELNS1_3gpuE3ELNS1_3repE0EEENS1_30default_config_static_selectorELNS0_4arch9wavefront6targetE1EEEvT1_,comdat
.Lfunc_end387:
	.size	_ZN7rocprim17ROCPRIM_400000_NS6detail17trampoline_kernelINS0_14default_configENS1_27scan_by_key_config_selectorIxxEEZZNS1_16scan_by_key_implILNS1_25lookback_scan_determinismE0ELb1ES3_N6thrust23THRUST_200600_302600_NS6detail15normal_iteratorINS9_10device_ptrIxEEEESE_SE_xNS9_4plusIvEENS9_8equal_toIvEExEE10hipError_tPvRmT2_T3_T4_T5_mT6_T7_P12ihipStream_tbENKUlT_T0_E_clISt17integral_constantIbLb0EESY_IbLb1EEEEDaSU_SV_EUlSU_E_NS1_11comp_targetILNS1_3genE9ELNS1_11target_archE1100ELNS1_3gpuE3ELNS1_3repE0EEENS1_30default_config_static_selectorELNS0_4arch9wavefront6targetE1EEEvT1_, .Lfunc_end387-_ZN7rocprim17ROCPRIM_400000_NS6detail17trampoline_kernelINS0_14default_configENS1_27scan_by_key_config_selectorIxxEEZZNS1_16scan_by_key_implILNS1_25lookback_scan_determinismE0ELb1ES3_N6thrust23THRUST_200600_302600_NS6detail15normal_iteratorINS9_10device_ptrIxEEEESE_SE_xNS9_4plusIvEENS9_8equal_toIvEExEE10hipError_tPvRmT2_T3_T4_T5_mT6_T7_P12ihipStream_tbENKUlT_T0_E_clISt17integral_constantIbLb0EESY_IbLb1EEEEDaSU_SV_EUlSU_E_NS1_11comp_targetILNS1_3genE9ELNS1_11target_archE1100ELNS1_3gpuE3ELNS1_3repE0EEENS1_30default_config_static_selectorELNS0_4arch9wavefront6targetE1EEEvT1_
                                        ; -- End function
	.section	.AMDGPU.csdata,"",@progbits
; Kernel info:
; codeLenInByte = 0
; NumSgprs: 6
; NumVgprs: 0
; NumAgprs: 0
; TotalNumVgprs: 0
; ScratchSize: 0
; MemoryBound: 0
; FloatMode: 240
; IeeeMode: 1
; LDSByteSize: 0 bytes/workgroup (compile time only)
; SGPRBlocks: 0
; VGPRBlocks: 0
; NumSGPRsForWavesPerEU: 6
; NumVGPRsForWavesPerEU: 1
; AccumOffset: 4
; Occupancy: 8
; WaveLimiterHint : 0
; COMPUTE_PGM_RSRC2:SCRATCH_EN: 0
; COMPUTE_PGM_RSRC2:USER_SGPR: 2
; COMPUTE_PGM_RSRC2:TRAP_HANDLER: 0
; COMPUTE_PGM_RSRC2:TGID_X_EN: 1
; COMPUTE_PGM_RSRC2:TGID_Y_EN: 0
; COMPUTE_PGM_RSRC2:TGID_Z_EN: 0
; COMPUTE_PGM_RSRC2:TIDIG_COMP_CNT: 0
; COMPUTE_PGM_RSRC3_GFX90A:ACCUM_OFFSET: 0
; COMPUTE_PGM_RSRC3_GFX90A:TG_SPLIT: 0
	.section	.text._ZN7rocprim17ROCPRIM_400000_NS6detail17trampoline_kernelINS0_14default_configENS1_27scan_by_key_config_selectorIxxEEZZNS1_16scan_by_key_implILNS1_25lookback_scan_determinismE0ELb1ES3_N6thrust23THRUST_200600_302600_NS6detail15normal_iteratorINS9_10device_ptrIxEEEESE_SE_xNS9_4plusIvEENS9_8equal_toIvEExEE10hipError_tPvRmT2_T3_T4_T5_mT6_T7_P12ihipStream_tbENKUlT_T0_E_clISt17integral_constantIbLb0EESY_IbLb1EEEEDaSU_SV_EUlSU_E_NS1_11comp_targetILNS1_3genE8ELNS1_11target_archE1030ELNS1_3gpuE2ELNS1_3repE0EEENS1_30default_config_static_selectorELNS0_4arch9wavefront6targetE1EEEvT1_,"axG",@progbits,_ZN7rocprim17ROCPRIM_400000_NS6detail17trampoline_kernelINS0_14default_configENS1_27scan_by_key_config_selectorIxxEEZZNS1_16scan_by_key_implILNS1_25lookback_scan_determinismE0ELb1ES3_N6thrust23THRUST_200600_302600_NS6detail15normal_iteratorINS9_10device_ptrIxEEEESE_SE_xNS9_4plusIvEENS9_8equal_toIvEExEE10hipError_tPvRmT2_T3_T4_T5_mT6_T7_P12ihipStream_tbENKUlT_T0_E_clISt17integral_constantIbLb0EESY_IbLb1EEEEDaSU_SV_EUlSU_E_NS1_11comp_targetILNS1_3genE8ELNS1_11target_archE1030ELNS1_3gpuE2ELNS1_3repE0EEENS1_30default_config_static_selectorELNS0_4arch9wavefront6targetE1EEEvT1_,comdat
	.protected	_ZN7rocprim17ROCPRIM_400000_NS6detail17trampoline_kernelINS0_14default_configENS1_27scan_by_key_config_selectorIxxEEZZNS1_16scan_by_key_implILNS1_25lookback_scan_determinismE0ELb1ES3_N6thrust23THRUST_200600_302600_NS6detail15normal_iteratorINS9_10device_ptrIxEEEESE_SE_xNS9_4plusIvEENS9_8equal_toIvEExEE10hipError_tPvRmT2_T3_T4_T5_mT6_T7_P12ihipStream_tbENKUlT_T0_E_clISt17integral_constantIbLb0EESY_IbLb1EEEEDaSU_SV_EUlSU_E_NS1_11comp_targetILNS1_3genE8ELNS1_11target_archE1030ELNS1_3gpuE2ELNS1_3repE0EEENS1_30default_config_static_selectorELNS0_4arch9wavefront6targetE1EEEvT1_ ; -- Begin function _ZN7rocprim17ROCPRIM_400000_NS6detail17trampoline_kernelINS0_14default_configENS1_27scan_by_key_config_selectorIxxEEZZNS1_16scan_by_key_implILNS1_25lookback_scan_determinismE0ELb1ES3_N6thrust23THRUST_200600_302600_NS6detail15normal_iteratorINS9_10device_ptrIxEEEESE_SE_xNS9_4plusIvEENS9_8equal_toIvEExEE10hipError_tPvRmT2_T3_T4_T5_mT6_T7_P12ihipStream_tbENKUlT_T0_E_clISt17integral_constantIbLb0EESY_IbLb1EEEEDaSU_SV_EUlSU_E_NS1_11comp_targetILNS1_3genE8ELNS1_11target_archE1030ELNS1_3gpuE2ELNS1_3repE0EEENS1_30default_config_static_selectorELNS0_4arch9wavefront6targetE1EEEvT1_
	.globl	_ZN7rocprim17ROCPRIM_400000_NS6detail17trampoline_kernelINS0_14default_configENS1_27scan_by_key_config_selectorIxxEEZZNS1_16scan_by_key_implILNS1_25lookback_scan_determinismE0ELb1ES3_N6thrust23THRUST_200600_302600_NS6detail15normal_iteratorINS9_10device_ptrIxEEEESE_SE_xNS9_4plusIvEENS9_8equal_toIvEExEE10hipError_tPvRmT2_T3_T4_T5_mT6_T7_P12ihipStream_tbENKUlT_T0_E_clISt17integral_constantIbLb0EESY_IbLb1EEEEDaSU_SV_EUlSU_E_NS1_11comp_targetILNS1_3genE8ELNS1_11target_archE1030ELNS1_3gpuE2ELNS1_3repE0EEENS1_30default_config_static_selectorELNS0_4arch9wavefront6targetE1EEEvT1_
	.p2align	8
	.type	_ZN7rocprim17ROCPRIM_400000_NS6detail17trampoline_kernelINS0_14default_configENS1_27scan_by_key_config_selectorIxxEEZZNS1_16scan_by_key_implILNS1_25lookback_scan_determinismE0ELb1ES3_N6thrust23THRUST_200600_302600_NS6detail15normal_iteratorINS9_10device_ptrIxEEEESE_SE_xNS9_4plusIvEENS9_8equal_toIvEExEE10hipError_tPvRmT2_T3_T4_T5_mT6_T7_P12ihipStream_tbENKUlT_T0_E_clISt17integral_constantIbLb0EESY_IbLb1EEEEDaSU_SV_EUlSU_E_NS1_11comp_targetILNS1_3genE8ELNS1_11target_archE1030ELNS1_3gpuE2ELNS1_3repE0EEENS1_30default_config_static_selectorELNS0_4arch9wavefront6targetE1EEEvT1_,@function
_ZN7rocprim17ROCPRIM_400000_NS6detail17trampoline_kernelINS0_14default_configENS1_27scan_by_key_config_selectorIxxEEZZNS1_16scan_by_key_implILNS1_25lookback_scan_determinismE0ELb1ES3_N6thrust23THRUST_200600_302600_NS6detail15normal_iteratorINS9_10device_ptrIxEEEESE_SE_xNS9_4plusIvEENS9_8equal_toIvEExEE10hipError_tPvRmT2_T3_T4_T5_mT6_T7_P12ihipStream_tbENKUlT_T0_E_clISt17integral_constantIbLb0EESY_IbLb1EEEEDaSU_SV_EUlSU_E_NS1_11comp_targetILNS1_3genE8ELNS1_11target_archE1030ELNS1_3gpuE2ELNS1_3repE0EEENS1_30default_config_static_selectorELNS0_4arch9wavefront6targetE1EEEvT1_: ; @_ZN7rocprim17ROCPRIM_400000_NS6detail17trampoline_kernelINS0_14default_configENS1_27scan_by_key_config_selectorIxxEEZZNS1_16scan_by_key_implILNS1_25lookback_scan_determinismE0ELb1ES3_N6thrust23THRUST_200600_302600_NS6detail15normal_iteratorINS9_10device_ptrIxEEEESE_SE_xNS9_4plusIvEENS9_8equal_toIvEExEE10hipError_tPvRmT2_T3_T4_T5_mT6_T7_P12ihipStream_tbENKUlT_T0_E_clISt17integral_constantIbLb0EESY_IbLb1EEEEDaSU_SV_EUlSU_E_NS1_11comp_targetILNS1_3genE8ELNS1_11target_archE1030ELNS1_3gpuE2ELNS1_3repE0EEENS1_30default_config_static_selectorELNS0_4arch9wavefront6targetE1EEEvT1_
; %bb.0:
	.section	.rodata,"a",@progbits
	.p2align	6, 0x0
	.amdhsa_kernel _ZN7rocprim17ROCPRIM_400000_NS6detail17trampoline_kernelINS0_14default_configENS1_27scan_by_key_config_selectorIxxEEZZNS1_16scan_by_key_implILNS1_25lookback_scan_determinismE0ELb1ES3_N6thrust23THRUST_200600_302600_NS6detail15normal_iteratorINS9_10device_ptrIxEEEESE_SE_xNS9_4plusIvEENS9_8equal_toIvEExEE10hipError_tPvRmT2_T3_T4_T5_mT6_T7_P12ihipStream_tbENKUlT_T0_E_clISt17integral_constantIbLb0EESY_IbLb1EEEEDaSU_SV_EUlSU_E_NS1_11comp_targetILNS1_3genE8ELNS1_11target_archE1030ELNS1_3gpuE2ELNS1_3repE0EEENS1_30default_config_static_selectorELNS0_4arch9wavefront6targetE1EEEvT1_
		.amdhsa_group_segment_fixed_size 0
		.amdhsa_private_segment_fixed_size 0
		.amdhsa_kernarg_size 136
		.amdhsa_user_sgpr_count 2
		.amdhsa_user_sgpr_dispatch_ptr 0
		.amdhsa_user_sgpr_queue_ptr 0
		.amdhsa_user_sgpr_kernarg_segment_ptr 1
		.amdhsa_user_sgpr_dispatch_id 0
		.amdhsa_user_sgpr_kernarg_preload_length 0
		.amdhsa_user_sgpr_kernarg_preload_offset 0
		.amdhsa_user_sgpr_private_segment_size 0
		.amdhsa_uses_dynamic_stack 0
		.amdhsa_enable_private_segment 0
		.amdhsa_system_sgpr_workgroup_id_x 1
		.amdhsa_system_sgpr_workgroup_id_y 0
		.amdhsa_system_sgpr_workgroup_id_z 0
		.amdhsa_system_sgpr_workgroup_info 0
		.amdhsa_system_vgpr_workitem_id 0
		.amdhsa_next_free_vgpr 1
		.amdhsa_next_free_sgpr 0
		.amdhsa_accum_offset 4
		.amdhsa_reserve_vcc 0
		.amdhsa_float_round_mode_32 0
		.amdhsa_float_round_mode_16_64 0
		.amdhsa_float_denorm_mode_32 3
		.amdhsa_float_denorm_mode_16_64 3
		.amdhsa_dx10_clamp 1
		.amdhsa_ieee_mode 1
		.amdhsa_fp16_overflow 0
		.amdhsa_tg_split 0
		.amdhsa_exception_fp_ieee_invalid_op 0
		.amdhsa_exception_fp_denorm_src 0
		.amdhsa_exception_fp_ieee_div_zero 0
		.amdhsa_exception_fp_ieee_overflow 0
		.amdhsa_exception_fp_ieee_underflow 0
		.amdhsa_exception_fp_ieee_inexact 0
		.amdhsa_exception_int_div_zero 0
	.end_amdhsa_kernel
	.section	.text._ZN7rocprim17ROCPRIM_400000_NS6detail17trampoline_kernelINS0_14default_configENS1_27scan_by_key_config_selectorIxxEEZZNS1_16scan_by_key_implILNS1_25lookback_scan_determinismE0ELb1ES3_N6thrust23THRUST_200600_302600_NS6detail15normal_iteratorINS9_10device_ptrIxEEEESE_SE_xNS9_4plusIvEENS9_8equal_toIvEExEE10hipError_tPvRmT2_T3_T4_T5_mT6_T7_P12ihipStream_tbENKUlT_T0_E_clISt17integral_constantIbLb0EESY_IbLb1EEEEDaSU_SV_EUlSU_E_NS1_11comp_targetILNS1_3genE8ELNS1_11target_archE1030ELNS1_3gpuE2ELNS1_3repE0EEENS1_30default_config_static_selectorELNS0_4arch9wavefront6targetE1EEEvT1_,"axG",@progbits,_ZN7rocprim17ROCPRIM_400000_NS6detail17trampoline_kernelINS0_14default_configENS1_27scan_by_key_config_selectorIxxEEZZNS1_16scan_by_key_implILNS1_25lookback_scan_determinismE0ELb1ES3_N6thrust23THRUST_200600_302600_NS6detail15normal_iteratorINS9_10device_ptrIxEEEESE_SE_xNS9_4plusIvEENS9_8equal_toIvEExEE10hipError_tPvRmT2_T3_T4_T5_mT6_T7_P12ihipStream_tbENKUlT_T0_E_clISt17integral_constantIbLb0EESY_IbLb1EEEEDaSU_SV_EUlSU_E_NS1_11comp_targetILNS1_3genE8ELNS1_11target_archE1030ELNS1_3gpuE2ELNS1_3repE0EEENS1_30default_config_static_selectorELNS0_4arch9wavefront6targetE1EEEvT1_,comdat
.Lfunc_end388:
	.size	_ZN7rocprim17ROCPRIM_400000_NS6detail17trampoline_kernelINS0_14default_configENS1_27scan_by_key_config_selectorIxxEEZZNS1_16scan_by_key_implILNS1_25lookback_scan_determinismE0ELb1ES3_N6thrust23THRUST_200600_302600_NS6detail15normal_iteratorINS9_10device_ptrIxEEEESE_SE_xNS9_4plusIvEENS9_8equal_toIvEExEE10hipError_tPvRmT2_T3_T4_T5_mT6_T7_P12ihipStream_tbENKUlT_T0_E_clISt17integral_constantIbLb0EESY_IbLb1EEEEDaSU_SV_EUlSU_E_NS1_11comp_targetILNS1_3genE8ELNS1_11target_archE1030ELNS1_3gpuE2ELNS1_3repE0EEENS1_30default_config_static_selectorELNS0_4arch9wavefront6targetE1EEEvT1_, .Lfunc_end388-_ZN7rocprim17ROCPRIM_400000_NS6detail17trampoline_kernelINS0_14default_configENS1_27scan_by_key_config_selectorIxxEEZZNS1_16scan_by_key_implILNS1_25lookback_scan_determinismE0ELb1ES3_N6thrust23THRUST_200600_302600_NS6detail15normal_iteratorINS9_10device_ptrIxEEEESE_SE_xNS9_4plusIvEENS9_8equal_toIvEExEE10hipError_tPvRmT2_T3_T4_T5_mT6_T7_P12ihipStream_tbENKUlT_T0_E_clISt17integral_constantIbLb0EESY_IbLb1EEEEDaSU_SV_EUlSU_E_NS1_11comp_targetILNS1_3genE8ELNS1_11target_archE1030ELNS1_3gpuE2ELNS1_3repE0EEENS1_30default_config_static_selectorELNS0_4arch9wavefront6targetE1EEEvT1_
                                        ; -- End function
	.section	.AMDGPU.csdata,"",@progbits
; Kernel info:
; codeLenInByte = 0
; NumSgprs: 6
; NumVgprs: 0
; NumAgprs: 0
; TotalNumVgprs: 0
; ScratchSize: 0
; MemoryBound: 0
; FloatMode: 240
; IeeeMode: 1
; LDSByteSize: 0 bytes/workgroup (compile time only)
; SGPRBlocks: 0
; VGPRBlocks: 0
; NumSGPRsForWavesPerEU: 6
; NumVGPRsForWavesPerEU: 1
; AccumOffset: 4
; Occupancy: 8
; WaveLimiterHint : 0
; COMPUTE_PGM_RSRC2:SCRATCH_EN: 0
; COMPUTE_PGM_RSRC2:USER_SGPR: 2
; COMPUTE_PGM_RSRC2:TRAP_HANDLER: 0
; COMPUTE_PGM_RSRC2:TGID_X_EN: 1
; COMPUTE_PGM_RSRC2:TGID_Y_EN: 0
; COMPUTE_PGM_RSRC2:TGID_Z_EN: 0
; COMPUTE_PGM_RSRC2:TIDIG_COMP_CNT: 0
; COMPUTE_PGM_RSRC3_GFX90A:ACCUM_OFFSET: 0
; COMPUTE_PGM_RSRC3_GFX90A:TG_SPLIT: 0
	.section	.text._ZN7rocprim17ROCPRIM_400000_NS6detail17trampoline_kernelINS0_14default_configENS1_27scan_by_key_config_selectorIxxEEZZNS1_16scan_by_key_implILNS1_25lookback_scan_determinismE0ELb1ES3_N6thrust23THRUST_200600_302600_NS6detail15normal_iteratorINS9_10device_ptrIxEEEESE_SE_xNS9_10multipliesIxEENS9_8equal_toIxEExEE10hipError_tPvRmT2_T3_T4_T5_mT6_T7_P12ihipStream_tbENKUlT_T0_E_clISt17integral_constantIbLb0EESZ_EEDaSU_SV_EUlSU_E_NS1_11comp_targetILNS1_3genE0ELNS1_11target_archE4294967295ELNS1_3gpuE0ELNS1_3repE0EEENS1_30default_config_static_selectorELNS0_4arch9wavefront6targetE1EEEvT1_,"axG",@progbits,_ZN7rocprim17ROCPRIM_400000_NS6detail17trampoline_kernelINS0_14default_configENS1_27scan_by_key_config_selectorIxxEEZZNS1_16scan_by_key_implILNS1_25lookback_scan_determinismE0ELb1ES3_N6thrust23THRUST_200600_302600_NS6detail15normal_iteratorINS9_10device_ptrIxEEEESE_SE_xNS9_10multipliesIxEENS9_8equal_toIxEExEE10hipError_tPvRmT2_T3_T4_T5_mT6_T7_P12ihipStream_tbENKUlT_T0_E_clISt17integral_constantIbLb0EESZ_EEDaSU_SV_EUlSU_E_NS1_11comp_targetILNS1_3genE0ELNS1_11target_archE4294967295ELNS1_3gpuE0ELNS1_3repE0EEENS1_30default_config_static_selectorELNS0_4arch9wavefront6targetE1EEEvT1_,comdat
	.protected	_ZN7rocprim17ROCPRIM_400000_NS6detail17trampoline_kernelINS0_14default_configENS1_27scan_by_key_config_selectorIxxEEZZNS1_16scan_by_key_implILNS1_25lookback_scan_determinismE0ELb1ES3_N6thrust23THRUST_200600_302600_NS6detail15normal_iteratorINS9_10device_ptrIxEEEESE_SE_xNS9_10multipliesIxEENS9_8equal_toIxEExEE10hipError_tPvRmT2_T3_T4_T5_mT6_T7_P12ihipStream_tbENKUlT_T0_E_clISt17integral_constantIbLb0EESZ_EEDaSU_SV_EUlSU_E_NS1_11comp_targetILNS1_3genE0ELNS1_11target_archE4294967295ELNS1_3gpuE0ELNS1_3repE0EEENS1_30default_config_static_selectorELNS0_4arch9wavefront6targetE1EEEvT1_ ; -- Begin function _ZN7rocprim17ROCPRIM_400000_NS6detail17trampoline_kernelINS0_14default_configENS1_27scan_by_key_config_selectorIxxEEZZNS1_16scan_by_key_implILNS1_25lookback_scan_determinismE0ELb1ES3_N6thrust23THRUST_200600_302600_NS6detail15normal_iteratorINS9_10device_ptrIxEEEESE_SE_xNS9_10multipliesIxEENS9_8equal_toIxEExEE10hipError_tPvRmT2_T3_T4_T5_mT6_T7_P12ihipStream_tbENKUlT_T0_E_clISt17integral_constantIbLb0EESZ_EEDaSU_SV_EUlSU_E_NS1_11comp_targetILNS1_3genE0ELNS1_11target_archE4294967295ELNS1_3gpuE0ELNS1_3repE0EEENS1_30default_config_static_selectorELNS0_4arch9wavefront6targetE1EEEvT1_
	.globl	_ZN7rocprim17ROCPRIM_400000_NS6detail17trampoline_kernelINS0_14default_configENS1_27scan_by_key_config_selectorIxxEEZZNS1_16scan_by_key_implILNS1_25lookback_scan_determinismE0ELb1ES3_N6thrust23THRUST_200600_302600_NS6detail15normal_iteratorINS9_10device_ptrIxEEEESE_SE_xNS9_10multipliesIxEENS9_8equal_toIxEExEE10hipError_tPvRmT2_T3_T4_T5_mT6_T7_P12ihipStream_tbENKUlT_T0_E_clISt17integral_constantIbLb0EESZ_EEDaSU_SV_EUlSU_E_NS1_11comp_targetILNS1_3genE0ELNS1_11target_archE4294967295ELNS1_3gpuE0ELNS1_3repE0EEENS1_30default_config_static_selectorELNS0_4arch9wavefront6targetE1EEEvT1_
	.p2align	8
	.type	_ZN7rocprim17ROCPRIM_400000_NS6detail17trampoline_kernelINS0_14default_configENS1_27scan_by_key_config_selectorIxxEEZZNS1_16scan_by_key_implILNS1_25lookback_scan_determinismE0ELb1ES3_N6thrust23THRUST_200600_302600_NS6detail15normal_iteratorINS9_10device_ptrIxEEEESE_SE_xNS9_10multipliesIxEENS9_8equal_toIxEExEE10hipError_tPvRmT2_T3_T4_T5_mT6_T7_P12ihipStream_tbENKUlT_T0_E_clISt17integral_constantIbLb0EESZ_EEDaSU_SV_EUlSU_E_NS1_11comp_targetILNS1_3genE0ELNS1_11target_archE4294967295ELNS1_3gpuE0ELNS1_3repE0EEENS1_30default_config_static_selectorELNS0_4arch9wavefront6targetE1EEEvT1_,@function
_ZN7rocprim17ROCPRIM_400000_NS6detail17trampoline_kernelINS0_14default_configENS1_27scan_by_key_config_selectorIxxEEZZNS1_16scan_by_key_implILNS1_25lookback_scan_determinismE0ELb1ES3_N6thrust23THRUST_200600_302600_NS6detail15normal_iteratorINS9_10device_ptrIxEEEESE_SE_xNS9_10multipliesIxEENS9_8equal_toIxEExEE10hipError_tPvRmT2_T3_T4_T5_mT6_T7_P12ihipStream_tbENKUlT_T0_E_clISt17integral_constantIbLb0EESZ_EEDaSU_SV_EUlSU_E_NS1_11comp_targetILNS1_3genE0ELNS1_11target_archE4294967295ELNS1_3gpuE0ELNS1_3repE0EEENS1_30default_config_static_selectorELNS0_4arch9wavefront6targetE1EEEvT1_: ; @_ZN7rocprim17ROCPRIM_400000_NS6detail17trampoline_kernelINS0_14default_configENS1_27scan_by_key_config_selectorIxxEEZZNS1_16scan_by_key_implILNS1_25lookback_scan_determinismE0ELb1ES3_N6thrust23THRUST_200600_302600_NS6detail15normal_iteratorINS9_10device_ptrIxEEEESE_SE_xNS9_10multipliesIxEENS9_8equal_toIxEExEE10hipError_tPvRmT2_T3_T4_T5_mT6_T7_P12ihipStream_tbENKUlT_T0_E_clISt17integral_constantIbLb0EESZ_EEDaSU_SV_EUlSU_E_NS1_11comp_targetILNS1_3genE0ELNS1_11target_archE4294967295ELNS1_3gpuE0ELNS1_3repE0EEENS1_30default_config_static_selectorELNS0_4arch9wavefront6targetE1EEEvT1_
; %bb.0:
	.section	.rodata,"a",@progbits
	.p2align	6, 0x0
	.amdhsa_kernel _ZN7rocprim17ROCPRIM_400000_NS6detail17trampoline_kernelINS0_14default_configENS1_27scan_by_key_config_selectorIxxEEZZNS1_16scan_by_key_implILNS1_25lookback_scan_determinismE0ELb1ES3_N6thrust23THRUST_200600_302600_NS6detail15normal_iteratorINS9_10device_ptrIxEEEESE_SE_xNS9_10multipliesIxEENS9_8equal_toIxEExEE10hipError_tPvRmT2_T3_T4_T5_mT6_T7_P12ihipStream_tbENKUlT_T0_E_clISt17integral_constantIbLb0EESZ_EEDaSU_SV_EUlSU_E_NS1_11comp_targetILNS1_3genE0ELNS1_11target_archE4294967295ELNS1_3gpuE0ELNS1_3repE0EEENS1_30default_config_static_selectorELNS0_4arch9wavefront6targetE1EEEvT1_
		.amdhsa_group_segment_fixed_size 0
		.amdhsa_private_segment_fixed_size 0
		.amdhsa_kernarg_size 136
		.amdhsa_user_sgpr_count 2
		.amdhsa_user_sgpr_dispatch_ptr 0
		.amdhsa_user_sgpr_queue_ptr 0
		.amdhsa_user_sgpr_kernarg_segment_ptr 1
		.amdhsa_user_sgpr_dispatch_id 0
		.amdhsa_user_sgpr_kernarg_preload_length 0
		.amdhsa_user_sgpr_kernarg_preload_offset 0
		.amdhsa_user_sgpr_private_segment_size 0
		.amdhsa_uses_dynamic_stack 0
		.amdhsa_enable_private_segment 0
		.amdhsa_system_sgpr_workgroup_id_x 1
		.amdhsa_system_sgpr_workgroup_id_y 0
		.amdhsa_system_sgpr_workgroup_id_z 0
		.amdhsa_system_sgpr_workgroup_info 0
		.amdhsa_system_vgpr_workitem_id 0
		.amdhsa_next_free_vgpr 1
		.amdhsa_next_free_sgpr 0
		.amdhsa_accum_offset 4
		.amdhsa_reserve_vcc 0
		.amdhsa_float_round_mode_32 0
		.amdhsa_float_round_mode_16_64 0
		.amdhsa_float_denorm_mode_32 3
		.amdhsa_float_denorm_mode_16_64 3
		.amdhsa_dx10_clamp 1
		.amdhsa_ieee_mode 1
		.amdhsa_fp16_overflow 0
		.amdhsa_tg_split 0
		.amdhsa_exception_fp_ieee_invalid_op 0
		.amdhsa_exception_fp_denorm_src 0
		.amdhsa_exception_fp_ieee_div_zero 0
		.amdhsa_exception_fp_ieee_overflow 0
		.amdhsa_exception_fp_ieee_underflow 0
		.amdhsa_exception_fp_ieee_inexact 0
		.amdhsa_exception_int_div_zero 0
	.end_amdhsa_kernel
	.section	.text._ZN7rocprim17ROCPRIM_400000_NS6detail17trampoline_kernelINS0_14default_configENS1_27scan_by_key_config_selectorIxxEEZZNS1_16scan_by_key_implILNS1_25lookback_scan_determinismE0ELb1ES3_N6thrust23THRUST_200600_302600_NS6detail15normal_iteratorINS9_10device_ptrIxEEEESE_SE_xNS9_10multipliesIxEENS9_8equal_toIxEExEE10hipError_tPvRmT2_T3_T4_T5_mT6_T7_P12ihipStream_tbENKUlT_T0_E_clISt17integral_constantIbLb0EESZ_EEDaSU_SV_EUlSU_E_NS1_11comp_targetILNS1_3genE0ELNS1_11target_archE4294967295ELNS1_3gpuE0ELNS1_3repE0EEENS1_30default_config_static_selectorELNS0_4arch9wavefront6targetE1EEEvT1_,"axG",@progbits,_ZN7rocprim17ROCPRIM_400000_NS6detail17trampoline_kernelINS0_14default_configENS1_27scan_by_key_config_selectorIxxEEZZNS1_16scan_by_key_implILNS1_25lookback_scan_determinismE0ELb1ES3_N6thrust23THRUST_200600_302600_NS6detail15normal_iteratorINS9_10device_ptrIxEEEESE_SE_xNS9_10multipliesIxEENS9_8equal_toIxEExEE10hipError_tPvRmT2_T3_T4_T5_mT6_T7_P12ihipStream_tbENKUlT_T0_E_clISt17integral_constantIbLb0EESZ_EEDaSU_SV_EUlSU_E_NS1_11comp_targetILNS1_3genE0ELNS1_11target_archE4294967295ELNS1_3gpuE0ELNS1_3repE0EEENS1_30default_config_static_selectorELNS0_4arch9wavefront6targetE1EEEvT1_,comdat
.Lfunc_end389:
	.size	_ZN7rocprim17ROCPRIM_400000_NS6detail17trampoline_kernelINS0_14default_configENS1_27scan_by_key_config_selectorIxxEEZZNS1_16scan_by_key_implILNS1_25lookback_scan_determinismE0ELb1ES3_N6thrust23THRUST_200600_302600_NS6detail15normal_iteratorINS9_10device_ptrIxEEEESE_SE_xNS9_10multipliesIxEENS9_8equal_toIxEExEE10hipError_tPvRmT2_T3_T4_T5_mT6_T7_P12ihipStream_tbENKUlT_T0_E_clISt17integral_constantIbLb0EESZ_EEDaSU_SV_EUlSU_E_NS1_11comp_targetILNS1_3genE0ELNS1_11target_archE4294967295ELNS1_3gpuE0ELNS1_3repE0EEENS1_30default_config_static_selectorELNS0_4arch9wavefront6targetE1EEEvT1_, .Lfunc_end389-_ZN7rocprim17ROCPRIM_400000_NS6detail17trampoline_kernelINS0_14default_configENS1_27scan_by_key_config_selectorIxxEEZZNS1_16scan_by_key_implILNS1_25lookback_scan_determinismE0ELb1ES3_N6thrust23THRUST_200600_302600_NS6detail15normal_iteratorINS9_10device_ptrIxEEEESE_SE_xNS9_10multipliesIxEENS9_8equal_toIxEExEE10hipError_tPvRmT2_T3_T4_T5_mT6_T7_P12ihipStream_tbENKUlT_T0_E_clISt17integral_constantIbLb0EESZ_EEDaSU_SV_EUlSU_E_NS1_11comp_targetILNS1_3genE0ELNS1_11target_archE4294967295ELNS1_3gpuE0ELNS1_3repE0EEENS1_30default_config_static_selectorELNS0_4arch9wavefront6targetE1EEEvT1_
                                        ; -- End function
	.section	.AMDGPU.csdata,"",@progbits
; Kernel info:
; codeLenInByte = 0
; NumSgprs: 6
; NumVgprs: 0
; NumAgprs: 0
; TotalNumVgprs: 0
; ScratchSize: 0
; MemoryBound: 0
; FloatMode: 240
; IeeeMode: 1
; LDSByteSize: 0 bytes/workgroup (compile time only)
; SGPRBlocks: 0
; VGPRBlocks: 0
; NumSGPRsForWavesPerEU: 6
; NumVGPRsForWavesPerEU: 1
; AccumOffset: 4
; Occupancy: 8
; WaveLimiterHint : 0
; COMPUTE_PGM_RSRC2:SCRATCH_EN: 0
; COMPUTE_PGM_RSRC2:USER_SGPR: 2
; COMPUTE_PGM_RSRC2:TRAP_HANDLER: 0
; COMPUTE_PGM_RSRC2:TGID_X_EN: 1
; COMPUTE_PGM_RSRC2:TGID_Y_EN: 0
; COMPUTE_PGM_RSRC2:TGID_Z_EN: 0
; COMPUTE_PGM_RSRC2:TIDIG_COMP_CNT: 0
; COMPUTE_PGM_RSRC3_GFX90A:ACCUM_OFFSET: 0
; COMPUTE_PGM_RSRC3_GFX90A:TG_SPLIT: 0
	.section	.text._ZN7rocprim17ROCPRIM_400000_NS6detail17trampoline_kernelINS0_14default_configENS1_27scan_by_key_config_selectorIxxEEZZNS1_16scan_by_key_implILNS1_25lookback_scan_determinismE0ELb1ES3_N6thrust23THRUST_200600_302600_NS6detail15normal_iteratorINS9_10device_ptrIxEEEESE_SE_xNS9_10multipliesIxEENS9_8equal_toIxEExEE10hipError_tPvRmT2_T3_T4_T5_mT6_T7_P12ihipStream_tbENKUlT_T0_E_clISt17integral_constantIbLb0EESZ_EEDaSU_SV_EUlSU_E_NS1_11comp_targetILNS1_3genE10ELNS1_11target_archE1201ELNS1_3gpuE5ELNS1_3repE0EEENS1_30default_config_static_selectorELNS0_4arch9wavefront6targetE1EEEvT1_,"axG",@progbits,_ZN7rocprim17ROCPRIM_400000_NS6detail17trampoline_kernelINS0_14default_configENS1_27scan_by_key_config_selectorIxxEEZZNS1_16scan_by_key_implILNS1_25lookback_scan_determinismE0ELb1ES3_N6thrust23THRUST_200600_302600_NS6detail15normal_iteratorINS9_10device_ptrIxEEEESE_SE_xNS9_10multipliesIxEENS9_8equal_toIxEExEE10hipError_tPvRmT2_T3_T4_T5_mT6_T7_P12ihipStream_tbENKUlT_T0_E_clISt17integral_constantIbLb0EESZ_EEDaSU_SV_EUlSU_E_NS1_11comp_targetILNS1_3genE10ELNS1_11target_archE1201ELNS1_3gpuE5ELNS1_3repE0EEENS1_30default_config_static_selectorELNS0_4arch9wavefront6targetE1EEEvT1_,comdat
	.protected	_ZN7rocprim17ROCPRIM_400000_NS6detail17trampoline_kernelINS0_14default_configENS1_27scan_by_key_config_selectorIxxEEZZNS1_16scan_by_key_implILNS1_25lookback_scan_determinismE0ELb1ES3_N6thrust23THRUST_200600_302600_NS6detail15normal_iteratorINS9_10device_ptrIxEEEESE_SE_xNS9_10multipliesIxEENS9_8equal_toIxEExEE10hipError_tPvRmT2_T3_T4_T5_mT6_T7_P12ihipStream_tbENKUlT_T0_E_clISt17integral_constantIbLb0EESZ_EEDaSU_SV_EUlSU_E_NS1_11comp_targetILNS1_3genE10ELNS1_11target_archE1201ELNS1_3gpuE5ELNS1_3repE0EEENS1_30default_config_static_selectorELNS0_4arch9wavefront6targetE1EEEvT1_ ; -- Begin function _ZN7rocprim17ROCPRIM_400000_NS6detail17trampoline_kernelINS0_14default_configENS1_27scan_by_key_config_selectorIxxEEZZNS1_16scan_by_key_implILNS1_25lookback_scan_determinismE0ELb1ES3_N6thrust23THRUST_200600_302600_NS6detail15normal_iteratorINS9_10device_ptrIxEEEESE_SE_xNS9_10multipliesIxEENS9_8equal_toIxEExEE10hipError_tPvRmT2_T3_T4_T5_mT6_T7_P12ihipStream_tbENKUlT_T0_E_clISt17integral_constantIbLb0EESZ_EEDaSU_SV_EUlSU_E_NS1_11comp_targetILNS1_3genE10ELNS1_11target_archE1201ELNS1_3gpuE5ELNS1_3repE0EEENS1_30default_config_static_selectorELNS0_4arch9wavefront6targetE1EEEvT1_
	.globl	_ZN7rocprim17ROCPRIM_400000_NS6detail17trampoline_kernelINS0_14default_configENS1_27scan_by_key_config_selectorIxxEEZZNS1_16scan_by_key_implILNS1_25lookback_scan_determinismE0ELb1ES3_N6thrust23THRUST_200600_302600_NS6detail15normal_iteratorINS9_10device_ptrIxEEEESE_SE_xNS9_10multipliesIxEENS9_8equal_toIxEExEE10hipError_tPvRmT2_T3_T4_T5_mT6_T7_P12ihipStream_tbENKUlT_T0_E_clISt17integral_constantIbLb0EESZ_EEDaSU_SV_EUlSU_E_NS1_11comp_targetILNS1_3genE10ELNS1_11target_archE1201ELNS1_3gpuE5ELNS1_3repE0EEENS1_30default_config_static_selectorELNS0_4arch9wavefront6targetE1EEEvT1_
	.p2align	8
	.type	_ZN7rocprim17ROCPRIM_400000_NS6detail17trampoline_kernelINS0_14default_configENS1_27scan_by_key_config_selectorIxxEEZZNS1_16scan_by_key_implILNS1_25lookback_scan_determinismE0ELb1ES3_N6thrust23THRUST_200600_302600_NS6detail15normal_iteratorINS9_10device_ptrIxEEEESE_SE_xNS9_10multipliesIxEENS9_8equal_toIxEExEE10hipError_tPvRmT2_T3_T4_T5_mT6_T7_P12ihipStream_tbENKUlT_T0_E_clISt17integral_constantIbLb0EESZ_EEDaSU_SV_EUlSU_E_NS1_11comp_targetILNS1_3genE10ELNS1_11target_archE1201ELNS1_3gpuE5ELNS1_3repE0EEENS1_30default_config_static_selectorELNS0_4arch9wavefront6targetE1EEEvT1_,@function
_ZN7rocprim17ROCPRIM_400000_NS6detail17trampoline_kernelINS0_14default_configENS1_27scan_by_key_config_selectorIxxEEZZNS1_16scan_by_key_implILNS1_25lookback_scan_determinismE0ELb1ES3_N6thrust23THRUST_200600_302600_NS6detail15normal_iteratorINS9_10device_ptrIxEEEESE_SE_xNS9_10multipliesIxEENS9_8equal_toIxEExEE10hipError_tPvRmT2_T3_T4_T5_mT6_T7_P12ihipStream_tbENKUlT_T0_E_clISt17integral_constantIbLb0EESZ_EEDaSU_SV_EUlSU_E_NS1_11comp_targetILNS1_3genE10ELNS1_11target_archE1201ELNS1_3gpuE5ELNS1_3repE0EEENS1_30default_config_static_selectorELNS0_4arch9wavefront6targetE1EEEvT1_: ; @_ZN7rocprim17ROCPRIM_400000_NS6detail17trampoline_kernelINS0_14default_configENS1_27scan_by_key_config_selectorIxxEEZZNS1_16scan_by_key_implILNS1_25lookback_scan_determinismE0ELb1ES3_N6thrust23THRUST_200600_302600_NS6detail15normal_iteratorINS9_10device_ptrIxEEEESE_SE_xNS9_10multipliesIxEENS9_8equal_toIxEExEE10hipError_tPvRmT2_T3_T4_T5_mT6_T7_P12ihipStream_tbENKUlT_T0_E_clISt17integral_constantIbLb0EESZ_EEDaSU_SV_EUlSU_E_NS1_11comp_targetILNS1_3genE10ELNS1_11target_archE1201ELNS1_3gpuE5ELNS1_3repE0EEENS1_30default_config_static_selectorELNS0_4arch9wavefront6targetE1EEEvT1_
; %bb.0:
	.section	.rodata,"a",@progbits
	.p2align	6, 0x0
	.amdhsa_kernel _ZN7rocprim17ROCPRIM_400000_NS6detail17trampoline_kernelINS0_14default_configENS1_27scan_by_key_config_selectorIxxEEZZNS1_16scan_by_key_implILNS1_25lookback_scan_determinismE0ELb1ES3_N6thrust23THRUST_200600_302600_NS6detail15normal_iteratorINS9_10device_ptrIxEEEESE_SE_xNS9_10multipliesIxEENS9_8equal_toIxEExEE10hipError_tPvRmT2_T3_T4_T5_mT6_T7_P12ihipStream_tbENKUlT_T0_E_clISt17integral_constantIbLb0EESZ_EEDaSU_SV_EUlSU_E_NS1_11comp_targetILNS1_3genE10ELNS1_11target_archE1201ELNS1_3gpuE5ELNS1_3repE0EEENS1_30default_config_static_selectorELNS0_4arch9wavefront6targetE1EEEvT1_
		.amdhsa_group_segment_fixed_size 0
		.amdhsa_private_segment_fixed_size 0
		.amdhsa_kernarg_size 136
		.amdhsa_user_sgpr_count 2
		.amdhsa_user_sgpr_dispatch_ptr 0
		.amdhsa_user_sgpr_queue_ptr 0
		.amdhsa_user_sgpr_kernarg_segment_ptr 1
		.amdhsa_user_sgpr_dispatch_id 0
		.amdhsa_user_sgpr_kernarg_preload_length 0
		.amdhsa_user_sgpr_kernarg_preload_offset 0
		.amdhsa_user_sgpr_private_segment_size 0
		.amdhsa_uses_dynamic_stack 0
		.amdhsa_enable_private_segment 0
		.amdhsa_system_sgpr_workgroup_id_x 1
		.amdhsa_system_sgpr_workgroup_id_y 0
		.amdhsa_system_sgpr_workgroup_id_z 0
		.amdhsa_system_sgpr_workgroup_info 0
		.amdhsa_system_vgpr_workitem_id 0
		.amdhsa_next_free_vgpr 1
		.amdhsa_next_free_sgpr 0
		.amdhsa_accum_offset 4
		.amdhsa_reserve_vcc 0
		.amdhsa_float_round_mode_32 0
		.amdhsa_float_round_mode_16_64 0
		.amdhsa_float_denorm_mode_32 3
		.amdhsa_float_denorm_mode_16_64 3
		.amdhsa_dx10_clamp 1
		.amdhsa_ieee_mode 1
		.amdhsa_fp16_overflow 0
		.amdhsa_tg_split 0
		.amdhsa_exception_fp_ieee_invalid_op 0
		.amdhsa_exception_fp_denorm_src 0
		.amdhsa_exception_fp_ieee_div_zero 0
		.amdhsa_exception_fp_ieee_overflow 0
		.amdhsa_exception_fp_ieee_underflow 0
		.amdhsa_exception_fp_ieee_inexact 0
		.amdhsa_exception_int_div_zero 0
	.end_amdhsa_kernel
	.section	.text._ZN7rocprim17ROCPRIM_400000_NS6detail17trampoline_kernelINS0_14default_configENS1_27scan_by_key_config_selectorIxxEEZZNS1_16scan_by_key_implILNS1_25lookback_scan_determinismE0ELb1ES3_N6thrust23THRUST_200600_302600_NS6detail15normal_iteratorINS9_10device_ptrIxEEEESE_SE_xNS9_10multipliesIxEENS9_8equal_toIxEExEE10hipError_tPvRmT2_T3_T4_T5_mT6_T7_P12ihipStream_tbENKUlT_T0_E_clISt17integral_constantIbLb0EESZ_EEDaSU_SV_EUlSU_E_NS1_11comp_targetILNS1_3genE10ELNS1_11target_archE1201ELNS1_3gpuE5ELNS1_3repE0EEENS1_30default_config_static_selectorELNS0_4arch9wavefront6targetE1EEEvT1_,"axG",@progbits,_ZN7rocprim17ROCPRIM_400000_NS6detail17trampoline_kernelINS0_14default_configENS1_27scan_by_key_config_selectorIxxEEZZNS1_16scan_by_key_implILNS1_25lookback_scan_determinismE0ELb1ES3_N6thrust23THRUST_200600_302600_NS6detail15normal_iteratorINS9_10device_ptrIxEEEESE_SE_xNS9_10multipliesIxEENS9_8equal_toIxEExEE10hipError_tPvRmT2_T3_T4_T5_mT6_T7_P12ihipStream_tbENKUlT_T0_E_clISt17integral_constantIbLb0EESZ_EEDaSU_SV_EUlSU_E_NS1_11comp_targetILNS1_3genE10ELNS1_11target_archE1201ELNS1_3gpuE5ELNS1_3repE0EEENS1_30default_config_static_selectorELNS0_4arch9wavefront6targetE1EEEvT1_,comdat
.Lfunc_end390:
	.size	_ZN7rocprim17ROCPRIM_400000_NS6detail17trampoline_kernelINS0_14default_configENS1_27scan_by_key_config_selectorIxxEEZZNS1_16scan_by_key_implILNS1_25lookback_scan_determinismE0ELb1ES3_N6thrust23THRUST_200600_302600_NS6detail15normal_iteratorINS9_10device_ptrIxEEEESE_SE_xNS9_10multipliesIxEENS9_8equal_toIxEExEE10hipError_tPvRmT2_T3_T4_T5_mT6_T7_P12ihipStream_tbENKUlT_T0_E_clISt17integral_constantIbLb0EESZ_EEDaSU_SV_EUlSU_E_NS1_11comp_targetILNS1_3genE10ELNS1_11target_archE1201ELNS1_3gpuE5ELNS1_3repE0EEENS1_30default_config_static_selectorELNS0_4arch9wavefront6targetE1EEEvT1_, .Lfunc_end390-_ZN7rocprim17ROCPRIM_400000_NS6detail17trampoline_kernelINS0_14default_configENS1_27scan_by_key_config_selectorIxxEEZZNS1_16scan_by_key_implILNS1_25lookback_scan_determinismE0ELb1ES3_N6thrust23THRUST_200600_302600_NS6detail15normal_iteratorINS9_10device_ptrIxEEEESE_SE_xNS9_10multipliesIxEENS9_8equal_toIxEExEE10hipError_tPvRmT2_T3_T4_T5_mT6_T7_P12ihipStream_tbENKUlT_T0_E_clISt17integral_constantIbLb0EESZ_EEDaSU_SV_EUlSU_E_NS1_11comp_targetILNS1_3genE10ELNS1_11target_archE1201ELNS1_3gpuE5ELNS1_3repE0EEENS1_30default_config_static_selectorELNS0_4arch9wavefront6targetE1EEEvT1_
                                        ; -- End function
	.section	.AMDGPU.csdata,"",@progbits
; Kernel info:
; codeLenInByte = 0
; NumSgprs: 6
; NumVgprs: 0
; NumAgprs: 0
; TotalNumVgprs: 0
; ScratchSize: 0
; MemoryBound: 0
; FloatMode: 240
; IeeeMode: 1
; LDSByteSize: 0 bytes/workgroup (compile time only)
; SGPRBlocks: 0
; VGPRBlocks: 0
; NumSGPRsForWavesPerEU: 6
; NumVGPRsForWavesPerEU: 1
; AccumOffset: 4
; Occupancy: 8
; WaveLimiterHint : 0
; COMPUTE_PGM_RSRC2:SCRATCH_EN: 0
; COMPUTE_PGM_RSRC2:USER_SGPR: 2
; COMPUTE_PGM_RSRC2:TRAP_HANDLER: 0
; COMPUTE_PGM_RSRC2:TGID_X_EN: 1
; COMPUTE_PGM_RSRC2:TGID_Y_EN: 0
; COMPUTE_PGM_RSRC2:TGID_Z_EN: 0
; COMPUTE_PGM_RSRC2:TIDIG_COMP_CNT: 0
; COMPUTE_PGM_RSRC3_GFX90A:ACCUM_OFFSET: 0
; COMPUTE_PGM_RSRC3_GFX90A:TG_SPLIT: 0
	.section	.text._ZN7rocprim17ROCPRIM_400000_NS6detail17trampoline_kernelINS0_14default_configENS1_27scan_by_key_config_selectorIxxEEZZNS1_16scan_by_key_implILNS1_25lookback_scan_determinismE0ELb1ES3_N6thrust23THRUST_200600_302600_NS6detail15normal_iteratorINS9_10device_ptrIxEEEESE_SE_xNS9_10multipliesIxEENS9_8equal_toIxEExEE10hipError_tPvRmT2_T3_T4_T5_mT6_T7_P12ihipStream_tbENKUlT_T0_E_clISt17integral_constantIbLb0EESZ_EEDaSU_SV_EUlSU_E_NS1_11comp_targetILNS1_3genE5ELNS1_11target_archE942ELNS1_3gpuE9ELNS1_3repE0EEENS1_30default_config_static_selectorELNS0_4arch9wavefront6targetE1EEEvT1_,"axG",@progbits,_ZN7rocprim17ROCPRIM_400000_NS6detail17trampoline_kernelINS0_14default_configENS1_27scan_by_key_config_selectorIxxEEZZNS1_16scan_by_key_implILNS1_25lookback_scan_determinismE0ELb1ES3_N6thrust23THRUST_200600_302600_NS6detail15normal_iteratorINS9_10device_ptrIxEEEESE_SE_xNS9_10multipliesIxEENS9_8equal_toIxEExEE10hipError_tPvRmT2_T3_T4_T5_mT6_T7_P12ihipStream_tbENKUlT_T0_E_clISt17integral_constantIbLb0EESZ_EEDaSU_SV_EUlSU_E_NS1_11comp_targetILNS1_3genE5ELNS1_11target_archE942ELNS1_3gpuE9ELNS1_3repE0EEENS1_30default_config_static_selectorELNS0_4arch9wavefront6targetE1EEEvT1_,comdat
	.protected	_ZN7rocprim17ROCPRIM_400000_NS6detail17trampoline_kernelINS0_14default_configENS1_27scan_by_key_config_selectorIxxEEZZNS1_16scan_by_key_implILNS1_25lookback_scan_determinismE0ELb1ES3_N6thrust23THRUST_200600_302600_NS6detail15normal_iteratorINS9_10device_ptrIxEEEESE_SE_xNS9_10multipliesIxEENS9_8equal_toIxEExEE10hipError_tPvRmT2_T3_T4_T5_mT6_T7_P12ihipStream_tbENKUlT_T0_E_clISt17integral_constantIbLb0EESZ_EEDaSU_SV_EUlSU_E_NS1_11comp_targetILNS1_3genE5ELNS1_11target_archE942ELNS1_3gpuE9ELNS1_3repE0EEENS1_30default_config_static_selectorELNS0_4arch9wavefront6targetE1EEEvT1_ ; -- Begin function _ZN7rocprim17ROCPRIM_400000_NS6detail17trampoline_kernelINS0_14default_configENS1_27scan_by_key_config_selectorIxxEEZZNS1_16scan_by_key_implILNS1_25lookback_scan_determinismE0ELb1ES3_N6thrust23THRUST_200600_302600_NS6detail15normal_iteratorINS9_10device_ptrIxEEEESE_SE_xNS9_10multipliesIxEENS9_8equal_toIxEExEE10hipError_tPvRmT2_T3_T4_T5_mT6_T7_P12ihipStream_tbENKUlT_T0_E_clISt17integral_constantIbLb0EESZ_EEDaSU_SV_EUlSU_E_NS1_11comp_targetILNS1_3genE5ELNS1_11target_archE942ELNS1_3gpuE9ELNS1_3repE0EEENS1_30default_config_static_selectorELNS0_4arch9wavefront6targetE1EEEvT1_
	.globl	_ZN7rocprim17ROCPRIM_400000_NS6detail17trampoline_kernelINS0_14default_configENS1_27scan_by_key_config_selectorIxxEEZZNS1_16scan_by_key_implILNS1_25lookback_scan_determinismE0ELb1ES3_N6thrust23THRUST_200600_302600_NS6detail15normal_iteratorINS9_10device_ptrIxEEEESE_SE_xNS9_10multipliesIxEENS9_8equal_toIxEExEE10hipError_tPvRmT2_T3_T4_T5_mT6_T7_P12ihipStream_tbENKUlT_T0_E_clISt17integral_constantIbLb0EESZ_EEDaSU_SV_EUlSU_E_NS1_11comp_targetILNS1_3genE5ELNS1_11target_archE942ELNS1_3gpuE9ELNS1_3repE0EEENS1_30default_config_static_selectorELNS0_4arch9wavefront6targetE1EEEvT1_
	.p2align	8
	.type	_ZN7rocprim17ROCPRIM_400000_NS6detail17trampoline_kernelINS0_14default_configENS1_27scan_by_key_config_selectorIxxEEZZNS1_16scan_by_key_implILNS1_25lookback_scan_determinismE0ELb1ES3_N6thrust23THRUST_200600_302600_NS6detail15normal_iteratorINS9_10device_ptrIxEEEESE_SE_xNS9_10multipliesIxEENS9_8equal_toIxEExEE10hipError_tPvRmT2_T3_T4_T5_mT6_T7_P12ihipStream_tbENKUlT_T0_E_clISt17integral_constantIbLb0EESZ_EEDaSU_SV_EUlSU_E_NS1_11comp_targetILNS1_3genE5ELNS1_11target_archE942ELNS1_3gpuE9ELNS1_3repE0EEENS1_30default_config_static_selectorELNS0_4arch9wavefront6targetE1EEEvT1_,@function
_ZN7rocprim17ROCPRIM_400000_NS6detail17trampoline_kernelINS0_14default_configENS1_27scan_by_key_config_selectorIxxEEZZNS1_16scan_by_key_implILNS1_25lookback_scan_determinismE0ELb1ES3_N6thrust23THRUST_200600_302600_NS6detail15normal_iteratorINS9_10device_ptrIxEEEESE_SE_xNS9_10multipliesIxEENS9_8equal_toIxEExEE10hipError_tPvRmT2_T3_T4_T5_mT6_T7_P12ihipStream_tbENKUlT_T0_E_clISt17integral_constantIbLb0EESZ_EEDaSU_SV_EUlSU_E_NS1_11comp_targetILNS1_3genE5ELNS1_11target_archE942ELNS1_3gpuE9ELNS1_3repE0EEENS1_30default_config_static_selectorELNS0_4arch9wavefront6targetE1EEEvT1_: ; @_ZN7rocprim17ROCPRIM_400000_NS6detail17trampoline_kernelINS0_14default_configENS1_27scan_by_key_config_selectorIxxEEZZNS1_16scan_by_key_implILNS1_25lookback_scan_determinismE0ELb1ES3_N6thrust23THRUST_200600_302600_NS6detail15normal_iteratorINS9_10device_ptrIxEEEESE_SE_xNS9_10multipliesIxEENS9_8equal_toIxEExEE10hipError_tPvRmT2_T3_T4_T5_mT6_T7_P12ihipStream_tbENKUlT_T0_E_clISt17integral_constantIbLb0EESZ_EEDaSU_SV_EUlSU_E_NS1_11comp_targetILNS1_3genE5ELNS1_11target_archE942ELNS1_3gpuE9ELNS1_3repE0EEENS1_30default_config_static_selectorELNS0_4arch9wavefront6targetE1EEEvT1_
; %bb.0:
	s_load_dwordx8 s[44:51], s[0:1], 0x0
	s_load_dwordx2 s[56:57], s[0:1], 0x20
	s_load_dwordx8 s[36:43], s[0:1], 0x30
	s_load_dwordx2 s[58:59], s[0:1], 0x50
	s_load_dword s3, s[0:1], 0x58
	s_load_dwordx4 s[52:55], s[0:1], 0x60
	s_waitcnt lgkmcnt(0)
	s_lshl_b64 s[34:35], s[46:47], 3
	s_add_u32 s4, s44, s34
	s_addc_u32 s5, s45, s35
	s_add_u32 s6, s48, s34
	s_mul_i32 s0, s59, s3
	s_mul_hi_u32 s1, s58, s3
	s_addc_u32 s7, s49, s35
	s_add_i32 s8, s1, s0
	s_mul_i32 s0, s2, 0xe00
	s_mov_b32 s1, 0
	s_lshl_b64 s[44:45], s[0:1], 3
	s_add_u32 s48, s4, s44
	s_addc_u32 s49, s5, s45
	s_add_u32 s46, s6, s44
	s_mul_i32 s3, s58, s3
	s_addc_u32 s47, s7, s45
	s_add_u32 s0, s3, s2
	s_addc_u32 s1, s8, 0
	s_add_u32 s6, s52, -1
	s_addc_u32 s7, s53, -1
	v_mov_b64_e32 v[2:3], s[6:7]
	v_cmp_ge_u64_e64 s[0:1], s[0:1], v[2:3]
	s_mov_b64 s[4:5], -1
	s_and_b64 vcc, exec, s[0:1]
	s_mul_i32 s33, s6, 0xfffff200
	s_barrier
	s_cbranch_vccz .LBB391_76
; %bb.1:
	v_mov_b64_e32 v[2:3], s[48:49]
	flat_load_dwordx2 v[2:3], v[2:3]
	s_add_i32 s43, s33, s42
	v_cmp_gt_u32_e32 vcc, s43, v0
	s_waitcnt vmcnt(0) lgkmcnt(0)
	v_mov_b64_e32 v[4:5], v[2:3]
	s_and_saveexec_b64 s[4:5], vcc
	s_cbranch_execz .LBB391_3
; %bb.2:
	v_lshlrev_b32_e32 v4, 3, v0
	v_mov_b32_e32 v5, 0
	v_lshl_add_u64 v[4:5], s[48:49], 0, v[4:5]
	flat_load_dwordx2 v[4:5], v[4:5]
.LBB391_3:
	s_or_b64 exec, exec, s[4:5]
	v_or_b32_e32 v1, 0x100, v0
	v_cmp_gt_u32_e64 s[28:29], s43, v1
	v_mov_b64_e32 v[6:7], v[2:3]
	s_and_saveexec_b64 s[4:5], s[28:29]
	s_cbranch_execz .LBB391_5
; %bb.4:
	v_lshlrev_b32_e32 v6, 3, v0
	v_mov_b32_e32 v7, 0
	v_lshl_add_u64 v[6:7], s[48:49], 0, v[6:7]
	flat_load_dwordx2 v[6:7], v[6:7] offset:2048
.LBB391_5:
	s_or_b64 exec, exec, s[4:5]
	v_or_b32_e32 v1, 0x200, v0
	v_cmp_gt_u32_e64 s[4:5], s43, v1
	v_lshlrev_b32_e32 v30, 3, v1
	v_mov_b64_e32 v[8:9], v[2:3]
	s_and_saveexec_b64 s[6:7], s[4:5]
	s_cbranch_execz .LBB391_7
; %bb.6:
	v_mov_b32_e32 v31, 0
	v_lshl_add_u64 v[8:9], s[48:49], 0, v[30:31]
	flat_load_dwordx2 v[8:9], v[8:9]
.LBB391_7:
	s_or_b64 exec, exec, s[6:7]
	v_or_b32_e32 v1, 0x300, v0
	v_cmp_gt_u32_e64 s[6:7], s43, v1
	v_lshlrev_b32_e32 v32, 3, v1
	v_mov_b64_e32 v[10:11], v[2:3]
	s_and_saveexec_b64 s[8:9], s[6:7]
	s_cbranch_execz .LBB391_9
; %bb.8:
	v_mov_b32_e32 v33, 0
	v_lshl_add_u64 v[10:11], s[48:49], 0, v[32:33]
	flat_load_dwordx2 v[10:11], v[10:11]
.LBB391_9:
	;; [unrolled: 12-line block ×11, first 2 shown]
	s_or_b64 exec, exec, s[26:27]
	v_or_b32_e32 v1, 0xd00, v0
	v_cmp_gt_u32_e64 s[26:27], s43, v1
	v_lshlrev_b32_e32 v52, 3, v1
	s_and_saveexec_b64 s[30:31], s[26:27]
	s_cbranch_execz .LBB391_29
; %bb.28:
	v_mov_b32_e32 v53, 0
	v_lshl_add_u64 v[2:3], s[48:49], 0, v[52:53]
	flat_load_dwordx2 v[2:3], v[2:3]
.LBB391_29:
	s_or_b64 exec, exec, s[30:31]
	v_lshlrev_b32_e32 v54, 3, v0
	s_waitcnt vmcnt(0) lgkmcnt(0)
	ds_write2st64_b64 v54, v[4:5], v[6:7] offset1:4
	ds_write2st64_b64 v54, v[8:9], v[10:11] offset0:8 offset1:12
	ds_write2st64_b64 v54, v[12:13], v[14:15] offset0:16 offset1:20
	;; [unrolled: 1-line block ×6, first 2 shown]
	v_mov_b64_e32 v[2:3], s[48:49]
	s_waitcnt lgkmcnt(0)
	s_barrier
	flat_load_dwordx2 v[58:59], v[2:3]
	s_movk_i32 s3, 0x68
	v_mad_u32_u24 v76, v0, s3, v54
	s_movk_i32 s3, 0xff98
	v_mad_i32_i24 v1, v0, s3, v76
	s_movk_i32 s3, 0xff
	v_cmp_ne_u32_e64 s[30:31], s3, v0
	ds_read_b128 v[26:29], v76
	ds_read_b128 v[22:25], v76 offset:16
	ds_read_b128 v[18:21], v76 offset:32
	;; [unrolled: 1-line block ×6, first 2 shown]
	s_waitcnt lgkmcnt(0)
	ds_write_b64 v1, v[26:27] offset:30720
	s_waitcnt lgkmcnt(0)
	s_barrier
	s_and_saveexec_b64 s[52:53], s[30:31]
	s_cbranch_execz .LBB391_31
; %bb.30:
	s_waitcnt vmcnt(0)
	ds_read_b64 v[58:59], v54 offset:30728
.LBB391_31:
	s_or_b64 exec, exec, s[52:53]
	v_mov_b32_e32 v55, 0
	s_waitcnt lgkmcnt(0)
	s_barrier
	s_waitcnt lgkmcnt(0)
                                        ; implicit-def: $vgpr56_vgpr57
	s_and_saveexec_b64 s[30:31], vcc
	s_cbranch_execz .LBB391_153
; %bb.32:
	v_lshl_add_u64 v[56:57], s[46:47], 0, v[54:55]
	flat_load_dwordx2 v[56:57], v[56:57]
	s_or_b64 exec, exec, s[30:31]
                                        ; implicit-def: $vgpr60_vgpr61
	s_and_saveexec_b64 s[30:31], s[28:29]
	s_cbranch_execnz .LBB391_154
.LBB391_33:
	s_or_b64 exec, exec, s[30:31]
                                        ; implicit-def: $vgpr62_vgpr63
	s_and_saveexec_b64 s[28:29], s[4:5]
	s_cbranch_execz .LBB391_155
.LBB391_34:
	v_mov_b32_e32 v31, 0
	v_lshl_add_u64 v[30:31], s[46:47], 0, v[30:31]
	flat_load_dwordx2 v[62:63], v[30:31]
	s_or_b64 exec, exec, s[28:29]
                                        ; implicit-def: $vgpr30_vgpr31
	s_and_saveexec_b64 s[4:5], s[6:7]
	s_cbranch_execnz .LBB391_156
.LBB391_35:
	s_or_b64 exec, exec, s[4:5]
                                        ; implicit-def: $vgpr32_vgpr33
	s_and_saveexec_b64 s[4:5], s[8:9]
	s_cbranch_execz .LBB391_157
.LBB391_36:
	v_mov_b32_e32 v35, 0
	v_lshl_add_u64 v[32:33], s[46:47], 0, v[34:35]
	flat_load_dwordx2 v[32:33], v[32:33]
	s_or_b64 exec, exec, s[4:5]
                                        ; implicit-def: $vgpr34_vgpr35
	s_and_saveexec_b64 s[4:5], s[10:11]
	s_cbranch_execnz .LBB391_158
.LBB391_37:
	s_or_b64 exec, exec, s[4:5]
                                        ; implicit-def: $vgpr36_vgpr37
	s_and_saveexec_b64 s[4:5], s[12:13]
	s_cbranch_execz .LBB391_159
.LBB391_38:
	v_mov_b32_e32 v39, 0
	v_lshl_add_u64 v[36:37], s[46:47], 0, v[38:39]
	flat_load_dwordx2 v[36:37], v[36:37]
	s_or_b64 exec, exec, s[4:5]
                                        ; implicit-def: $vgpr38_vgpr39
	s_and_saveexec_b64 s[4:5], s[14:15]
	s_cbranch_execnz .LBB391_160
.LBB391_39:
	s_or_b64 exec, exec, s[4:5]
                                        ; implicit-def: $vgpr40_vgpr41
	s_and_saveexec_b64 s[4:5], s[16:17]
	s_cbranch_execz .LBB391_161
.LBB391_40:
	v_mov_b32_e32 v43, 0
	v_lshl_add_u64 v[40:41], s[46:47], 0, v[42:43]
	flat_load_dwordx2 v[40:41], v[40:41]
	s_or_b64 exec, exec, s[4:5]
                                        ; implicit-def: $vgpr42_vgpr43
	s_and_saveexec_b64 s[4:5], s[18:19]
	s_cbranch_execnz .LBB391_162
.LBB391_41:
	s_or_b64 exec, exec, s[4:5]
                                        ; implicit-def: $vgpr44_vgpr45
	s_and_saveexec_b64 s[4:5], s[20:21]
	s_cbranch_execz .LBB391_163
.LBB391_42:
	v_mov_b32_e32 v47, 0
	v_lshl_add_u64 v[44:45], s[46:47], 0, v[46:47]
	flat_load_dwordx2 v[44:45], v[44:45]
	s_or_b64 exec, exec, s[4:5]
                                        ; implicit-def: $vgpr46_vgpr47
	s_and_saveexec_b64 s[4:5], s[22:23]
	s_cbranch_execnz .LBB391_164
.LBB391_43:
	s_or_b64 exec, exec, s[4:5]
                                        ; implicit-def: $vgpr48_vgpr49
	s_and_saveexec_b64 s[4:5], s[24:25]
	s_cbranch_execz .LBB391_45
.LBB391_44:
	v_mov_b32_e32 v51, 0
	v_lshl_add_u64 v[48:49], s[46:47], 0, v[50:51]
	flat_load_dwordx2 v[48:49], v[48:49]
.LBB391_45:
	s_or_b64 exec, exec, s[4:5]
	v_mul_u32_u24_e32 v77, 14, v0
                                        ; implicit-def: $vgpr50_vgpr51
	s_and_saveexec_b64 s[4:5], s[26:27]
	s_cbranch_execz .LBB391_47
; %bb.46:
	v_mov_b32_e32 v53, 0
	v_lshl_add_u64 v[50:51], s[46:47], 0, v[52:53]
	flat_load_dwordx2 v[50:51], v[50:51]
.LBB391_47:
	s_or_b64 exec, exec, s[4:5]
	s_waitcnt vmcnt(0) lgkmcnt(0)
	ds_write2st64_b64 v54, v[56:57], v[60:61] offset1:4
	ds_write2st64_b64 v54, v[62:63], v[30:31] offset0:8 offset1:12
	ds_write2st64_b64 v54, v[32:33], v[34:35] offset0:16 offset1:20
	;; [unrolled: 1-line block ×6, first 2 shown]
	v_mov_b64_e32 v[54:55], 0
	v_cmp_gt_u32_e32 vcc, s43, v77
	s_mov_b64 s[10:11], 0
	s_mov_b32 s3, 0
	s_mov_b64 s[4:5], 0
	v_mov_b32_e32 v67, 0
	v_mov_b64_e32 v[30:31], v[54:55]
	v_mov_b32_e32 v75, 0
	v_mov_b64_e32 v[56:57], v[54:55]
	;; [unrolled: 2-line block ×12, first 2 shown]
	v_mov_b32_e32 v1, 0
	s_waitcnt lgkmcnt(0)
	s_barrier
	s_waitcnt lgkmcnt(0)
                                        ; implicit-def: $sgpr8_sgpr9
                                        ; implicit-def: $vgpr60_vgpr61
	s_and_saveexec_b64 s[6:7], vcc
	s_cbranch_execz .LBB391_75
; %bb.48:
	ds_read_b64 v[30:31], v76
	v_cmp_ne_u64_e32 vcc, v[26:27], v[28:29]
	v_mov_b32_e32 v26, s57
	v_or_b32_e32 v32, 1, v77
	v_cndmask_b32_e64 v1, 0, 1, vcc
	s_waitcnt lgkmcnt(0)
	v_cndmask_b32_e32 v55, v31, v26, vcc
	v_mov_b32_e32 v26, s56
	v_cndmask_b32_e32 v54, v30, v26, vcc
	v_mov_b64_e32 v[30:31], 0
	v_cmp_gt_u32_e32 vcc, s43, v32
	s_mov_b64 s[12:13], 0
	v_mov_b32_e32 v67, 0
	v_mov_b32_e32 v75, 0
	v_mov_b64_e32 v[56:57], v[30:31]
	v_mov_b32_e32 v74, 0
	v_mov_b64_e32 v[36:37], v[30:31]
	;; [unrolled: 2-line block ×11, first 2 shown]
                                        ; implicit-def: $sgpr14_sgpr15
                                        ; implicit-def: $vgpr60_vgpr61
	s_and_saveexec_b64 s[8:9], vcc
	s_cbranch_execz .LBB391_74
; %bb.49:
	ds_read2_b64 v[30:33], v76 offset0:1 offset1:2
	v_cmp_ne_u64_e32 vcc, v[28:29], v[22:23]
	v_mov_b32_e32 v27, s57
	v_add_u32_e32 v26, 2, v77
	v_cndmask_b32_e64 v64, 0, 1, vcc
	s_waitcnt lgkmcnt(0)
	v_cndmask_b32_e32 v51, v31, v27, vcc
	v_mov_b32_e32 v27, s56
	v_cndmask_b32_e32 v50, v30, v27, vcc
	v_mov_b64_e32 v[30:31], 0
	v_cmp_gt_u32_e32 vcc, s43, v26
	s_mov_b64 s[14:15], 0
	v_mov_b32_e32 v67, 0
	v_mov_b32_e32 v75, 0
	v_mov_b64_e32 v[56:57], v[30:31]
	v_mov_b32_e32 v74, 0
	v_mov_b64_e32 v[36:37], v[30:31]
	;; [unrolled: 2-line block ×10, first 2 shown]
                                        ; implicit-def: $sgpr16_sgpr17
                                        ; implicit-def: $vgpr60_vgpr61
	s_and_saveexec_b64 s[10:11], vcc
	s_cbranch_execz .LBB391_73
; %bb.50:
	v_cmp_ne_u64_e32 vcc, v[22:23], v[24:25]
	v_mov_b32_e32 v22, s57
	v_add_u32_e32 v26, 3, v77
	v_cndmask_b32_e32 v53, v33, v22, vcc
	v_mov_b32_e32 v22, s56
	v_mov_b64_e32 v[30:31], 0
	v_cndmask_b32_e64 v65, 0, 1, vcc
	v_cndmask_b32_e32 v52, v32, v22, vcc
	v_cmp_gt_u32_e32 vcc, s43, v26
	s_mov_b64 s[16:17], 0
	v_mov_b32_e32 v67, 0
	v_mov_b32_e32 v75, 0
	v_mov_b64_e32 v[56:57], v[30:31]
	v_mov_b32_e32 v74, 0
	v_mov_b64_e32 v[36:37], v[30:31]
	;; [unrolled: 2-line block ×9, first 2 shown]
                                        ; implicit-def: $sgpr18_sgpr19
                                        ; implicit-def: $vgpr60_vgpr61
	s_and_saveexec_b64 s[12:13], vcc
	s_cbranch_execz .LBB391_72
; %bb.51:
	ds_read2_b64 v[26:29], v76 offset0:3 offset1:4
	v_cmp_ne_u64_e32 vcc, v[24:25], v[18:19]
	v_mov_b32_e32 v23, s57
	v_add_u32_e32 v22, 4, v77
	v_mov_b64_e32 v[30:31], 0
	s_waitcnt lgkmcnt(0)
	v_cndmask_b32_e32 v47, v27, v23, vcc
	v_mov_b32_e32 v23, s56
	v_cndmask_b32_e64 v66, 0, 1, vcc
	v_cndmask_b32_e32 v46, v26, v23, vcc
	v_cmp_gt_u32_e32 vcc, s43, v22
	s_mov_b64 s[18:19], 0
	v_mov_b32_e32 v67, 0
	v_mov_b32_e32 v75, 0
	v_mov_b64_e32 v[56:57], v[30:31]
	v_mov_b32_e32 v74, 0
	v_mov_b64_e32 v[36:37], v[30:31]
	;; [unrolled: 2-line block ×8, first 2 shown]
                                        ; implicit-def: $sgpr20_sgpr21
                                        ; implicit-def: $vgpr60_vgpr61
	s_and_saveexec_b64 s[14:15], vcc
	s_cbranch_execz .LBB391_71
; %bb.52:
	v_cmp_ne_u64_e32 vcc, v[18:19], v[20:21]
	v_mov_b32_e32 v18, s57
	v_add_u32_e32 v22, 5, v77
	v_cndmask_b32_e32 v49, v29, v18, vcc
	v_mov_b32_e32 v18, s56
	v_mov_b64_e32 v[30:31], 0
	v_cndmask_b32_e64 v68, 0, 1, vcc
	v_cndmask_b32_e32 v48, v28, v18, vcc
	v_cmp_gt_u32_e32 vcc, s43, v22
	s_mov_b64 s[20:21], 0
	v_mov_b32_e32 v67, 0
	v_mov_b32_e32 v75, 0
	v_mov_b64_e32 v[56:57], v[30:31]
	v_mov_b32_e32 v74, 0
	v_mov_b64_e32 v[36:37], v[30:31]
	;; [unrolled: 2-line block ×7, first 2 shown]
                                        ; implicit-def: $sgpr22_sgpr23
                                        ; implicit-def: $vgpr60_vgpr61
	s_and_saveexec_b64 s[16:17], vcc
	s_cbranch_execz .LBB391_70
; %bb.53:
	ds_read2_b64 v[22:25], v76 offset0:5 offset1:6
	v_cmp_ne_u64_e32 vcc, v[20:21], v[14:15]
	v_mov_b32_e32 v19, s57
	v_add_u32_e32 v18, 6, v77
	v_mov_b64_e32 v[30:31], 0
	s_waitcnt lgkmcnt(0)
	v_cndmask_b32_e32 v43, v23, v19, vcc
	v_mov_b32_e32 v19, s56
	v_cndmask_b32_e64 v69, 0, 1, vcc
	v_cndmask_b32_e32 v42, v22, v19, vcc
	v_cmp_gt_u32_e32 vcc, s43, v18
	s_mov_b64 s[22:23], 0
	v_mov_b32_e32 v67, 0
	v_mov_b32_e32 v75, 0
	v_mov_b64_e32 v[56:57], v[30:31]
	v_mov_b32_e32 v74, 0
	v_mov_b64_e32 v[36:37], v[30:31]
	;; [unrolled: 2-line block ×6, first 2 shown]
                                        ; implicit-def: $sgpr24_sgpr25
                                        ; implicit-def: $vgpr60_vgpr61
	s_and_saveexec_b64 s[18:19], vcc
	s_cbranch_execz .LBB391_69
; %bb.54:
	v_cmp_ne_u64_e32 vcc, v[14:15], v[16:17]
	v_mov_b32_e32 v14, s57
	v_add_u32_e32 v18, 7, v77
	v_cndmask_b32_e32 v45, v25, v14, vcc
	v_mov_b32_e32 v14, s56
	v_mov_b64_e32 v[30:31], 0
	v_cndmask_b32_e64 v70, 0, 1, vcc
	v_cndmask_b32_e32 v44, v24, v14, vcc
	v_cmp_gt_u32_e32 vcc, s43, v18
	s_mov_b64 s[24:25], 0
	v_mov_b32_e32 v67, 0
	v_mov_b32_e32 v75, 0
	v_mov_b64_e32 v[56:57], v[30:31]
	v_mov_b32_e32 v74, 0
	v_mov_b64_e32 v[36:37], v[30:31]
	;; [unrolled: 2-line block ×5, first 2 shown]
                                        ; implicit-def: $sgpr26_sgpr27
                                        ; implicit-def: $vgpr60_vgpr61
	s_and_saveexec_b64 s[20:21], vcc
	s_cbranch_execz .LBB391_68
; %bb.55:
	ds_read2_b64 v[18:21], v76 offset0:7 offset1:8
	v_cmp_ne_u64_e32 vcc, v[16:17], v[10:11]
	v_mov_b32_e32 v15, s57
	v_add_u32_e32 v14, 8, v77
	v_mov_b64_e32 v[30:31], 0
	s_waitcnt lgkmcnt(0)
	v_cndmask_b32_e32 v39, v19, v15, vcc
	v_mov_b32_e32 v15, s56
	v_cndmask_b32_e64 v71, 0, 1, vcc
	v_cndmask_b32_e32 v38, v18, v15, vcc
	v_cmp_gt_u32_e32 vcc, s43, v14
	s_mov_b64 s[26:27], 0
	v_mov_b32_e32 v67, 0
	v_mov_b32_e32 v75, 0
	v_mov_b64_e32 v[56:57], v[30:31]
	v_mov_b32_e32 v74, 0
	v_mov_b64_e32 v[36:37], v[30:31]
	;; [unrolled: 2-line block ×4, first 2 shown]
                                        ; implicit-def: $sgpr28_sgpr29
                                        ; implicit-def: $vgpr60_vgpr61
	s_and_saveexec_b64 s[22:23], vcc
	s_cbranch_execz .LBB391_67
; %bb.56:
	v_cmp_ne_u64_e32 vcc, v[10:11], v[12:13]
	v_mov_b32_e32 v10, s57
	v_add_u32_e32 v14, 9, v77
	v_cndmask_b32_e32 v41, v21, v10, vcc
	v_mov_b32_e32 v10, s56
	v_mov_b64_e32 v[30:31], 0
	v_cndmask_b32_e64 v72, 0, 1, vcc
	v_cndmask_b32_e32 v40, v20, v10, vcc
	v_cmp_gt_u32_e32 vcc, s43, v14
	s_mov_b64 s[28:29], 0
	v_mov_b32_e32 v67, 0
	v_mov_b32_e32 v75, 0
	v_mov_b64_e32 v[56:57], v[30:31]
	v_mov_b32_e32 v74, 0
	v_mov_b64_e32 v[36:37], v[30:31]
	;; [unrolled: 2-line block ×3, first 2 shown]
                                        ; implicit-def: $sgpr30_sgpr31
                                        ; implicit-def: $vgpr60_vgpr61
	s_and_saveexec_b64 s[24:25], vcc
	s_cbranch_execz .LBB391_66
; %bb.57:
	ds_read2_b64 v[14:17], v76 offset0:9 offset1:10
	v_cmp_ne_u64_e32 vcc, v[12:13], v[6:7]
	v_mov_b32_e32 v11, s57
	v_add_u32_e32 v10, 10, v77
	v_mov_b64_e32 v[30:31], 0
	s_waitcnt lgkmcnt(0)
	v_cndmask_b32_e32 v35, v15, v11, vcc
	v_mov_b32_e32 v11, s56
	v_cndmask_b32_e64 v73, 0, 1, vcc
	v_cndmask_b32_e32 v34, v14, v11, vcc
	v_cmp_gt_u32_e32 vcc, s43, v10
	s_mov_b64 s[30:31], 0
	v_mov_b32_e32 v67, 0
	v_mov_b32_e32 v75, 0
	v_mov_b64_e32 v[56:57], v[30:31]
	v_mov_b32_e32 v74, 0
	v_mov_b64_e32 v[36:37], v[30:31]
                                        ; implicit-def: $sgpr52_sgpr53
                                        ; implicit-def: $vgpr60_vgpr61
	s_and_saveexec_b64 s[26:27], vcc
	s_cbranch_execz .LBB391_65
; %bb.58:
	v_cmp_ne_u64_e32 vcc, v[6:7], v[8:9]
	v_mov_b32_e32 v6, s57
	v_add_u32_e32 v10, 11, v77
	v_cndmask_b32_e32 v37, v17, v6, vcc
	v_mov_b32_e32 v6, s56
	v_mov_b64_e32 v[30:31], 0
	v_cndmask_b32_e64 v74, 0, 1, vcc
	v_cndmask_b32_e32 v36, v16, v6, vcc
	v_cmp_gt_u32_e32 vcc, s43, v10
	s_mov_b64 s[52:53], 0
	v_mov_b32_e32 v67, 0
	v_mov_b32_e32 v75, 0
	v_mov_b64_e32 v[56:57], v[30:31]
                                        ; implicit-def: $sgpr60_sgpr61
                                        ; implicit-def: $vgpr60_vgpr61
	s_and_saveexec_b64 s[28:29], vcc
	s_cbranch_execz .LBB391_64
; %bb.59:
	ds_read2_b64 v[10:13], v76 offset0:11 offset1:12
	v_cmp_ne_u64_e32 vcc, v[8:9], v[2:3]
	v_mov_b32_e32 v7, s57
	v_add_u32_e32 v6, 12, v77
	v_cndmask_b32_e64 v75, 0, 1, vcc
	s_waitcnt lgkmcnt(0)
	v_cndmask_b32_e32 v57, v11, v7, vcc
	v_mov_b32_e32 v7, s56
	v_cndmask_b32_e32 v56, v10, v7, vcc
	v_cmp_gt_u32_e32 vcc, s43, v6
	v_mov_b32_e32 v67, 0
	v_mov_b64_e32 v[30:31], 0
                                        ; implicit-def: $sgpr60_sgpr61
                                        ; implicit-def: $vgpr60_vgpr61
	s_and_saveexec_b64 s[30:31], vcc
	s_cbranch_execz .LBB391_63
; %bb.60:
	v_cmp_ne_u64_e32 vcc, v[2:3], v[4:5]
	v_mov_b32_e32 v2, s57
	v_add_u32_e32 v6, 13, v77
	v_cndmask_b32_e32 v31, v13, v2, vcc
	v_mov_b32_e32 v2, s56
	v_cndmask_b32_e64 v67, 0, 1, vcc
	v_cndmask_b32_e32 v30, v12, v2, vcc
	v_cmp_gt_u32_e32 vcc, s43, v6
                                        ; implicit-def: $sgpr60_sgpr61
                                        ; implicit-def: $vgpr60_vgpr61
	s_and_saveexec_b64 s[62:63], vcc
	s_xor_b64 s[62:63], exec, s[62:63]
	s_cbranch_execz .LBB391_62
; %bb.61:
	ds_read_b64 v[2:3], v76 offset:104
	v_mov_b32_e32 v6, s57
	v_mov_b32_e32 v7, s56
	v_cmp_ne_u64_e32 vcc, v[4:5], v[58:59]
	s_mov_b64 s[52:53], exec
	s_and_b64 s[60:61], vcc, exec
	s_waitcnt lgkmcnt(0)
	v_cndmask_b32_e32 v61, v3, v6, vcc
	v_cndmask_b32_e32 v60, v2, v7, vcc
.LBB391_62:
	s_or_b64 exec, exec, s[62:63]
	s_and_b64 s[60:61], s[60:61], exec
	s_and_b64 s[52:53], s[52:53], exec
.LBB391_63:
	s_or_b64 exec, exec, s[30:31]
	s_and_b64 s[60:61], s[60:61], exec
	s_and_b64 s[30:31], s[52:53], exec
.LBB391_64:
	s_or_b64 exec, exec, s[28:29]
	s_and_b64 s[52:53], s[60:61], exec
	s_and_b64 s[28:29], s[30:31], exec
.LBB391_65:
	s_or_b64 exec, exec, s[26:27]
	s_and_b64 s[30:31], s[52:53], exec
	s_and_b64 s[26:27], s[28:29], exec
.LBB391_66:
	s_or_b64 exec, exec, s[24:25]
	s_and_b64 s[28:29], s[30:31], exec
	s_and_b64 s[24:25], s[26:27], exec
.LBB391_67:
	s_or_b64 exec, exec, s[22:23]
	s_and_b64 s[26:27], s[28:29], exec
	s_and_b64 s[22:23], s[24:25], exec
.LBB391_68:
	s_or_b64 exec, exec, s[20:21]
	s_and_b64 s[24:25], s[26:27], exec
	s_and_b64 s[20:21], s[22:23], exec
.LBB391_69:
	s_or_b64 exec, exec, s[18:19]
	s_and_b64 s[22:23], s[24:25], exec
	s_and_b64 s[18:19], s[20:21], exec
.LBB391_70:
	s_or_b64 exec, exec, s[16:17]
	s_and_b64 s[20:21], s[22:23], exec
	s_and_b64 s[16:17], s[18:19], exec
.LBB391_71:
	s_or_b64 exec, exec, s[14:15]
	s_and_b64 s[18:19], s[20:21], exec
	s_and_b64 s[14:15], s[16:17], exec
.LBB391_72:
	s_or_b64 exec, exec, s[12:13]
	s_and_b64 s[16:17], s[18:19], exec
	s_and_b64 s[12:13], s[14:15], exec
.LBB391_73:
	s_or_b64 exec, exec, s[10:11]
	s_and_b64 s[14:15], s[16:17], exec
	s_and_b64 s[10:11], s[12:13], exec
.LBB391_74:
	s_or_b64 exec, exec, s[8:9]
	s_and_b64 s[8:9], s[14:15], exec
	s_and_b64 s[10:11], s[10:11], exec
.LBB391_75:
	s_or_b64 exec, exec, s[6:7]
	s_mov_b64 s[6:7], 0
	s_and_b64 vcc, exec, s[4:5]
	v_lshlrev_b32_e32 v58, 3, v0
	s_cbranch_vccnz .LBB391_77
	s_branch .LBB391_82
.LBB391_76:
	s_mov_b64 s[10:11], 0
                                        ; implicit-def: $sgpr8_sgpr9
                                        ; implicit-def: $vgpr60_vgpr61
                                        ; implicit-def: $vgpr54_vgpr55
                                        ; implicit-def: $vgpr67
                                        ; implicit-def: $vgpr30_vgpr31
                                        ; implicit-def: $vgpr75
                                        ; implicit-def: $vgpr56_vgpr57
                                        ; implicit-def: $vgpr74
                                        ; implicit-def: $vgpr36_vgpr37
                                        ; implicit-def: $vgpr73
                                        ; implicit-def: $vgpr34_vgpr35
                                        ; implicit-def: $vgpr72
                                        ; implicit-def: $vgpr40_vgpr41
                                        ; implicit-def: $vgpr71
                                        ; implicit-def: $vgpr38_vgpr39
                                        ; implicit-def: $vgpr70
                                        ; implicit-def: $vgpr44_vgpr45
                                        ; implicit-def: $vgpr69
                                        ; implicit-def: $vgpr42_vgpr43
                                        ; implicit-def: $vgpr68
                                        ; implicit-def: $vgpr48_vgpr49
                                        ; implicit-def: $vgpr66
                                        ; implicit-def: $vgpr46_vgpr47
                                        ; implicit-def: $vgpr65
                                        ; implicit-def: $vgpr52_vgpr53
                                        ; implicit-def: $vgpr64
                                        ; implicit-def: $vgpr50_vgpr51
                                        ; implicit-def: $vgpr1
                                        ; implicit-def: $sgpr3
                                        ; implicit-def: $sgpr6_sgpr7
	s_and_b64 vcc, exec, s[4:5]
	v_lshlrev_b32_e32 v58, 3, v0
	s_cbranch_vccz .LBB391_82
.LBB391_77:
	v_mov_b32_e32 v59, 0
	v_lshl_add_u64 v[2:3], s[48:49], 0, v[58:59]
	v_add_co_u32_e32 v4, vcc, 0x1000, v2
	s_movk_i32 s3, 0x7000
	s_nop 0
	v_addc_co_u32_e32 v5, vcc, 0, v3, vcc
	flat_load_dwordx2 v[6:7], v[2:3]
	flat_load_dwordx2 v[8:9], v[2:3] offset:2048
	flat_load_dwordx2 v[10:11], v[4:5]
	flat_load_dwordx2 v[12:13], v[4:5] offset:2048
	v_add_co_u32_e32 v4, vcc, 0x2000, v2
	v_mov_b32_e32 v1, s48
	s_nop 0
	v_addc_co_u32_e32 v5, vcc, 0, v3, vcc
	v_add_co_u32_e32 v14, vcc, 0x3000, v2
	s_movk_i32 s4, 0x68
	s_nop 0
	v_addc_co_u32_e32 v15, vcc, 0, v3, vcc
	flat_load_dwordx2 v[16:17], v[4:5]
	flat_load_dwordx2 v[18:19], v[4:5] offset:2048
	flat_load_dwordx2 v[20:21], v[14:15]
	flat_load_dwordx2 v[22:23], v[14:15] offset:2048
	v_add_co_u32_e32 v4, vcc, 0x4000, v2
	s_movk_i32 s10, 0x1000
	s_nop 0
	v_addc_co_u32_e32 v5, vcc, 0, v3, vcc
	v_add_co_u32_e32 v14, vcc, 0x5000, v2
	s_movk_i32 s9, 0x2000
	s_nop 0
	v_addc_co_u32_e32 v15, vcc, 0, v3, vcc
	v_add_co_u32_e32 v2, vcc, 0x6000, v2
	flat_load_dwordx2 v[24:25], v[4:5]
	flat_load_dwordx2 v[26:27], v[4:5] offset:2048
	flat_load_dwordx2 v[28:29], v[14:15]
	flat_load_dwordx2 v[30:31], v[14:15] offset:2048
	v_addc_co_u32_e32 v3, vcc, 0, v3, vcc
	flat_load_dwordx2 v[4:5], v[2:3]
	flat_load_dwordx2 v[14:15], v[2:3] offset:2048
	v_mov_b32_e32 v3, s49
	v_add_co_u32_e32 v2, vcc, s3, v1
	v_mad_u32_u24 v1, v0, s4, v58
	s_nop 0
	v_addc_co_u32_e32 v3, vcc, 0, v3, vcc
	s_movk_i32 s4, 0xff98
	s_movk_i32 s8, 0x3000
	;; [unrolled: 1-line block ×5, first 2 shown]
	s_waitcnt vmcnt(0) lgkmcnt(0)
	ds_write2st64_b64 v58, v[6:7], v[8:9] offset1:4
	ds_write2st64_b64 v58, v[10:11], v[12:13] offset0:8 offset1:12
	ds_write2st64_b64 v58, v[16:17], v[18:19] offset0:16 offset1:20
	;; [unrolled: 1-line block ×6, first 2 shown]
	s_waitcnt lgkmcnt(0)
	s_barrier
	flat_load_dwordx2 v[60:61], v[2:3]
	v_mad_i32_i24 v26, v0, s4, v1
	s_movk_i32 s4, 0xff
	v_cmp_ne_u32_e32 vcc, s4, v0
	ds_read_b128 v[30:33], v1
	ds_read_b128 v[22:25], v1 offset:16
	ds_read_b128 v[18:21], v1 offset:32
	ds_read_b128 v[14:17], v1 offset:48
	ds_read_b128 v[10:13], v1 offset:64
	ds_read_b128 v[6:9], v1 offset:80
	ds_read_b128 v[2:5], v1 offset:96
	s_waitcnt lgkmcnt(0)
	ds_write_b64 v26, v[30:31] offset:30720
	s_waitcnt lgkmcnt(0)
	s_barrier
	s_and_saveexec_b64 s[4:5], vcc
	s_cbranch_execz .LBB391_79
; %bb.78:
	s_waitcnt vmcnt(0)
	ds_read_b64 v[60:61], v58 offset:30728
.LBB391_79:
	s_or_b64 exec, exec, s[4:5]
	v_lshl_add_u64 v[26:27], s[46:47], 0, v[58:59]
	v_add_co_u32_e32 v28, vcc, s10, v26
	s_waitcnt lgkmcnt(0)
	s_nop 0
	v_addc_co_u32_e32 v29, vcc, 0, v27, vcc
	s_barrier
	flat_load_dwordx2 v[34:35], v[26:27]
	flat_load_dwordx2 v[36:37], v[26:27] offset:2048
	flat_load_dwordx2 v[38:39], v[28:29]
	flat_load_dwordx2 v[40:41], v[28:29] offset:2048
	v_add_co_u32_e32 v28, vcc, s9, v26
	v_cmp_eq_u64_e64 s[4:5], v[30:31], v[32:33]
	s_nop 0
	v_addc_co_u32_e32 v29, vcc, 0, v27, vcc
	v_add_co_u32_e32 v42, vcc, s8, v26
	s_nop 1
	v_addc_co_u32_e32 v43, vcc, 0, v27, vcc
	flat_load_dwordx2 v[44:45], v[28:29]
	flat_load_dwordx2 v[46:47], v[28:29] offset:2048
	flat_load_dwordx2 v[48:49], v[42:43]
	flat_load_dwordx2 v[50:51], v[42:43] offset:2048
	v_add_co_u32_e32 v28, vcc, s7, v26
	s_nop 1
	v_addc_co_u32_e32 v29, vcc, 0, v27, vcc
	v_add_co_u32_e32 v42, vcc, s6, v26
	s_nop 1
	v_addc_co_u32_e32 v43, vcc, 0, v27, vcc
	v_add_co_u32_e32 v26, vcc, s3, v26
	flat_load_dwordx2 v[52:53], v[28:29]
	flat_load_dwordx2 v[54:55], v[28:29] offset:2048
	flat_load_dwordx2 v[56:57], v[42:43]
	flat_load_dwordx2 v[62:63], v[42:43] offset:2048
	v_addc_co_u32_e32 v27, vcc, 0, v27, vcc
	flat_load_dwordx2 v[28:29], v[26:27]
	flat_load_dwordx2 v[42:43], v[26:27] offset:2048
	v_cmp_ne_u64_e32 vcc, v[30:31], v[32:33]
	s_waitcnt vmcnt(0) lgkmcnt(0)
	ds_write2st64_b64 v58, v[34:35], v[36:37] offset1:4
	ds_write2st64_b64 v58, v[38:39], v[40:41] offset0:8 offset1:12
	ds_write2st64_b64 v58, v[44:45], v[46:47] offset0:16 offset1:20
	;; [unrolled: 1-line block ×6, first 2 shown]
	s_waitcnt lgkmcnt(0)
	s_barrier
	ds_read2_b64 v[50:53], v1 offset0:1 offset1:2
	ds_read2_b64 v[46:49], v1 offset0:3 offset1:4
	;; [unrolled: 1-line block ×6, first 2 shown]
	ds_read_b64 v[62:63], v1 offset:104
	v_mov_b64_e32 v[54:55], s[56:57]
	s_and_saveexec_b64 s[6:7], s[4:5]
	s_cbranch_execz .LBB391_81
; %bb.80:
	ds_read_b64 v[54:55], v1
.LBB391_81:
	s_or_b64 exec, exec, s[6:7]
	v_cmp_ne_u64_e64 s[8:9], v[18:19], v[20:21]
	v_cmp_ne_u64_e64 s[22:23], v[8:9], v[2:3]
	;; [unrolled: 1-line block ×3, first 2 shown]
	v_mov_b32_e32 v2, s57
	v_mov_b32_e32 v3, s56
	v_cndmask_b32_e64 v1, 0, 1, vcc
	v_cmp_ne_u64_e32 vcc, v[32:33], v[22:23]
	v_cmp_ne_u64_e64 s[4:5], v[22:23], v[24:25]
	v_cmp_ne_u64_e64 s[6:7], v[24:25], v[18:19]
	v_cndmask_b32_e64 v68, 0, 1, s[8:9]
	v_cmp_ne_u64_e64 s[10:11], v[20:21], v[14:15]
	v_cmp_ne_u64_e64 s[12:13], v[14:15], v[16:17]
	;; [unrolled: 1-line block ×6, first 2 shown]
	s_waitcnt lgkmcnt(5)
	v_cndmask_b32_e64 v49, v49, v2, s[8:9]
	v_cndmask_b32_e64 v48, v48, v3, s[8:9]
	v_cmp_ne_u64_e64 s[8:9], v[4:5], v[60:61]
	v_cndmask_b32_e64 v64, 0, 1, vcc
	v_cndmask_b32_e64 v65, 0, 1, s[4:5]
	v_cndmask_b32_e64 v66, 0, 1, s[6:7]
	v_cndmask_b32_e64 v69, 0, 1, s[10:11]
	v_cndmask_b32_e64 v70, 0, 1, s[12:13]
	v_cndmask_b32_e64 v71, 0, 1, s[14:15]
	v_cndmask_b32_e64 v72, 0, 1, s[16:17]
	v_cndmask_b32_e64 v73, 0, 1, s[18:19]
	v_cndmask_b32_e64 v74, 0, 1, s[20:21]
	v_cndmask_b32_e64 v75, 0, 1, s[22:23]
	v_cndmask_b32_e64 v67, 0, 1, s[24:25]
	v_cndmask_b32_e32 v51, v51, v2, vcc
	v_cndmask_b32_e32 v50, v50, v3, vcc
	v_cndmask_b32_e64 v53, v53, v2, s[4:5]
	v_cndmask_b32_e64 v52, v52, v3, s[4:5]
	v_cndmask_b32_e64 v47, v47, v2, s[6:7]
	v_cndmask_b32_e64 v46, v46, v3, s[6:7]
	s_waitcnt lgkmcnt(4)
	v_cndmask_b32_e64 v43, v43, v2, s[10:11]
	v_cndmask_b32_e64 v42, v42, v3, s[10:11]
	v_cndmask_b32_e64 v45, v45, v2, s[12:13]
	v_cndmask_b32_e64 v44, v44, v3, s[12:13]
	s_waitcnt lgkmcnt(3)
	;; [unrolled: 5-line block ×5, first 2 shown]
	v_cndmask_b32_e64 v61, v63, v2, s[8:9]
	v_cndmask_b32_e64 v60, v62, v3, s[8:9]
	s_mov_b64 s[10:11], -1
                                        ; implicit-def: $sgpr3
                                        ; implicit-def: $sgpr6_sgpr7
.LBB391_82:
	v_mov_b64_e32 v[28:29], s[6:7]
	v_mov_b32_e32 v59, s3
	s_and_saveexec_b64 s[4:5], s[10:11]
; %bb.83:
	v_cndmask_b32_e64 v59, 0, 1, s[8:9]
	v_mov_b64_e32 v[28:29], v[60:61]
; %bb.84:
	s_or_b64 exec, exec, s[4:5]
	v_or_b32_e32 v2, v59, v67
	s_cmp_lg_u32 s2, 0
	v_or_b32_e32 v63, v2, v75
	v_mbcnt_lo_u32_b32 v62, -1, 0
	s_barrier
	s_cbranch_scc0 .LBB391_165
; %bb.85:
	v_mov_b32_e32 v4, 0
	v_cmp_eq_u16_sdwa s[24:25], v64, v4 src0_sel:BYTE_0 src1_sel:DWORD
	v_cmp_eq_u16_sdwa s[22:23], v65, v4 src0_sel:BYTE_0 src1_sel:DWORD
	v_cmp_eq_u16_sdwa s[20:21], v66, v4 src0_sel:BYTE_0 src1_sel:DWORD
	v_cndmask_b32_e64 v2, 1, v54, s[24:25]
	v_cndmask_b32_e64 v3, 0, v55, s[24:25]
	v_mul_lo_u32 v5, v3, v50
	v_mul_lo_u32 v6, v2, v51
	v_mad_u64_u32 v[2:3], s[4:5], v2, v50, 0
	v_add3_u32 v3, v3, v6, v5
	v_cndmask_b32_e64 v3, 0, v3, s[22:23]
	v_cndmask_b32_e64 v2, 1, v2, s[22:23]
	v_mul_lo_u32 v5, v3, v52
	v_mul_lo_u32 v6, v2, v53
	v_mad_u64_u32 v[2:3], s[4:5], v2, v52, 0
	v_add3_u32 v3, v3, v6, v5
	v_cndmask_b32_e64 v3, 0, v3, s[20:21]
	v_cndmask_b32_e64 v2, 1, v2, s[20:21]
	v_mul_lo_u32 v5, v3, v46
	v_mul_lo_u32 v6, v2, v47
	v_mad_u64_u32 v[2:3], s[4:5], v2, v46, 0
	v_add3_u32 v3, v3, v6, v5
	v_cmp_eq_u16_sdwa s[18:19], v68, v4 src0_sel:BYTE_0 src1_sel:DWORD
	v_cmp_eq_u16_sdwa s[16:17], v69, v4 src0_sel:BYTE_0 src1_sel:DWORD
	v_cmp_eq_u16_sdwa s[14:15], v70, v4 src0_sel:BYTE_0 src1_sel:DWORD
	v_cndmask_b32_e64 v3, 0, v3, s[18:19]
	v_cndmask_b32_e64 v2, 1, v2, s[18:19]
	v_mul_lo_u32 v5, v3, v48
	v_mul_lo_u32 v6, v2, v49
	v_mad_u64_u32 v[2:3], s[4:5], v2, v48, 0
	v_add3_u32 v3, v3, v6, v5
	v_cndmask_b32_e64 v3, 0, v3, s[16:17]
	v_cndmask_b32_e64 v2, 1, v2, s[16:17]
	v_mul_lo_u32 v5, v3, v42
	v_mul_lo_u32 v6, v2, v43
	v_mad_u64_u32 v[2:3], s[4:5], v2, v42, 0
	v_add3_u32 v3, v3, v6, v5
	v_cndmask_b32_e64 v3, 0, v3, s[14:15]
	v_cndmask_b32_e64 v2, 1, v2, s[14:15]
	v_mul_lo_u32 v5, v3, v44
	v_mul_lo_u32 v6, v2, v45
	v_mad_u64_u32 v[2:3], s[4:5], v2, v44, 0
	v_add3_u32 v3, v3, v6, v5
	;; [unrolled: 21-line block ×3, first 2 shown]
	v_cmp_eq_u16_sdwa s[6:7], v74, v4 src0_sel:BYTE_0 src1_sel:DWORD
	v_cmp_eq_u16_sdwa s[28:29], v67, v4 src0_sel:BYTE_0 src1_sel:DWORD
	v_cmp_eq_u16_sdwa vcc, v59, v4 src0_sel:BYTE_0 src1_sel:DWORD
	v_cndmask_b32_e64 v3, 0, v3, s[6:7]
	v_cndmask_b32_e64 v2, 1, v2, s[6:7]
	v_mul_lo_u32 v5, v3, v36
	v_mul_lo_u32 v6, v2, v37
	v_mad_u64_u32 v[2:3], s[4:5], v2, v36, 0
	v_add3_u32 v3, v3, v6, v5
	v_cmp_eq_u16_sdwa s[4:5], v75, v4 src0_sel:BYTE_0 src1_sel:DWORD
	v_mbcnt_hi_u32_b32 v9, -1, v62
	s_nop 0
	v_cndmask_b32_e64 v3, 0, v3, s[4:5]
	v_cndmask_b32_e64 v2, 1, v2, s[4:5]
	v_mul_lo_u32 v5, v3, v56
	v_mul_lo_u32 v6, v2, v57
	v_mad_u64_u32 v[2:3], s[26:27], v2, v56, 0
	v_add3_u32 v3, v3, v6, v5
	v_cndmask_b32_e64 v3, 0, v3, s[28:29]
	v_cndmask_b32_e64 v2, 1, v2, s[28:29]
	v_mul_lo_u32 v5, v3, v30
	v_mul_lo_u32 v6, v2, v31
	v_mad_u64_u32 v[2:3], s[26:27], v2, v30, 0
	v_add3_u32 v3, v3, v6, v5
	v_cndmask_b32_e32 v3, 0, v3, vcc
	v_cndmask_b32_e32 v2, 1, v2, vcc
	v_mul_lo_u32 v4, v3, v28
	v_mul_lo_u32 v5, v2, v29
	v_mad_u64_u32 v[2:3], s[26:27], v2, v28, 0
	v_add3_u32 v3, v3, v5, v4
	v_or_b32_e32 v4, v63, v74
	v_or_b32_e32 v4, v4, v73
	;; [unrolled: 1-line block ×11, first 2 shown]
	v_and_b32_e32 v8, 1, v4
	v_and_b32_e32 v6, 15, v9
	v_cmp_eq_u32_e32 vcc, 1, v8
	v_mov_b32_dpp v11, v2 row_shr:1 row_mask:0xf bank_mask:0xf
	v_mov_b32_dpp v12, v3 row_shr:1 row_mask:0xf bank_mask:0xf
	;; [unrolled: 1-line block ×3, first 2 shown]
	v_cmp_ne_u32_e64 s[26:27], 0, v6
	v_mov_b64_e32 v[4:5], v[2:3]
	v_mov_b32_e32 v7, v8
	s_and_saveexec_b64 s[30:31], s[26:27]
; %bb.86:
	v_cndmask_b32_e64 v4, v12, 0, vcc
	v_cndmask_b32_e64 v5, v11, 1, vcc
	v_mul_lo_u32 v4, v4, v2
	v_mul_lo_u32 v7, v5, v3
	v_mad_u64_u32 v[2:3], s[26:27], v5, v2, 0
	v_add3_u32 v3, v3, v7, v4
	v_and_b32_e32 v4, 1, v10
	v_or_b32_e32 v8, v4, v8
	v_and_b32_e32 v7, 0xffff, v8
	v_mov_b64_e32 v[4:5], v[2:3]
; %bb.87:
	s_or_b64 exec, exec, s[30:31]
	v_mov_b32_dpp v11, v2 row_shr:2 row_mask:0xf bank_mask:0xf
	v_mov_b32_dpp v12, v3 row_shr:2 row_mask:0xf bank_mask:0xf
	v_mov_b32_dpp v10, v7 row_shr:2 row_mask:0xf bank_mask:0xf
	v_cmp_lt_u32_e32 vcc, 1, v6
	s_and_saveexec_b64 s[30:31], vcc
	s_cbranch_execz .LBB391_89
; %bb.88:
	v_cmp_eq_u16_e32 vcc, 0, v8
	s_nop 1
	v_cndmask_b32_e32 v2, 1, v11, vcc
	v_cndmask_b32_e32 v7, 0, v12, vcc
	v_mul_lo_u32 v5, v2, v5
	v_mad_u64_u32 v[2:3], s[26:27], v2, v4, 0
	v_mul_lo_u32 v4, v7, v4
	v_add3_u32 v3, v3, v5, v4
	v_and_b32_e32 v4, 1, v8
	v_cmp_eq_u32_e32 vcc, 1, v4
	v_and_b32_e32 v4, 1, v10
	v_cmp_eq_u32_e64 s[26:27], 1, v4
	s_or_b64 s[26:27], vcc, s[26:27]
	v_mov_b64_e32 v[4:5], v[2:3]
	v_cndmask_b32_e64 v8, 0, 1, s[26:27]
	v_cndmask_b32_e64 v7, 0, 1, s[26:27]
.LBB391_89:
	s_or_b64 exec, exec, s[30:31]
	v_mov_b32_dpp v11, v2 row_shr:4 row_mask:0xf bank_mask:0xf
	v_mov_b32_dpp v12, v3 row_shr:4 row_mask:0xf bank_mask:0xf
	v_mov_b32_dpp v10, v7 row_shr:4 row_mask:0xf bank_mask:0xf
	v_cmp_lt_u32_e32 vcc, 3, v6
	s_and_saveexec_b64 s[30:31], vcc
	s_cbranch_execz .LBB391_91
; %bb.90:
	v_cmp_eq_u16_e32 vcc, 0, v8
	s_nop 1
	v_cndmask_b32_e32 v2, 1, v11, vcc
	v_cndmask_b32_e32 v7, 0, v12, vcc
	v_mul_lo_u32 v5, v2, v5
	v_mad_u64_u32 v[2:3], s[26:27], v2, v4, 0
	v_mul_lo_u32 v4, v7, v4
	v_add3_u32 v3, v3, v5, v4
	v_and_b32_e32 v4, 1, v8
	v_cmp_eq_u32_e32 vcc, 1, v4
	v_and_b32_e32 v4, 1, v10
	v_cmp_eq_u32_e64 s[26:27], 1, v4
	s_or_b64 s[26:27], vcc, s[26:27]
	v_mov_b64_e32 v[4:5], v[2:3]
	v_cndmask_b32_e64 v8, 0, 1, s[26:27]
	v_cndmask_b32_e64 v7, 0, 1, s[26:27]
.LBB391_91:
	;; [unrolled: 25-line block ×3, first 2 shown]
	s_or_b64 exec, exec, s[30:31]
	v_and_b32_e32 v12, 16, v9
	v_mov_b32_dpp v10, v2 row_bcast:15 row_mask:0xf bank_mask:0xf
	v_mov_b32_dpp v11, v3 row_bcast:15 row_mask:0xf bank_mask:0xf
	;; [unrolled: 1-line block ×3, first 2 shown]
	v_cmp_ne_u32_e32 vcc, 0, v12
	s_and_saveexec_b64 s[30:31], vcc
	s_cbranch_execz .LBB391_95
; %bb.94:
	v_cmp_eq_u16_e32 vcc, 0, v8
	s_nop 1
	v_cndmask_b32_e32 v2, 1, v10, vcc
	v_cndmask_b32_e32 v7, 0, v11, vcc
	v_mul_lo_u32 v5, v2, v5
	v_mad_u64_u32 v[2:3], s[26:27], v2, v4, 0
	v_mul_lo_u32 v4, v7, v4
	v_add3_u32 v3, v3, v5, v4
	v_and_b32_e32 v4, 1, v8
	v_cmp_eq_u32_e32 vcc, 1, v4
	v_and_b32_e32 v4, 1, v6
	v_cmp_eq_u32_e64 s[26:27], 1, v4
	s_or_b64 s[26:27], vcc, s[26:27]
	v_mov_b64_e32 v[4:5], v[2:3]
	v_cndmask_b32_e64 v8, 0, 1, s[26:27]
	v_cndmask_b32_e64 v7, 0, 1, s[26:27]
.LBB391_95:
	s_or_b64 exec, exec, s[30:31]
	v_mov_b32_dpp v10, v2 row_bcast:31 row_mask:0xf bank_mask:0xf
	v_mov_b32_dpp v11, v3 row_bcast:31 row_mask:0xf bank_mask:0xf
	;; [unrolled: 1-line block ×3, first 2 shown]
	v_cmp_lt_u32_e32 vcc, 31, v9
	s_and_saveexec_b64 s[30:31], vcc
	s_cbranch_execz .LBB391_97
; %bb.96:
	v_cmp_eq_u16_e32 vcc, 0, v8
	s_nop 1
	v_cndmask_b32_e32 v2, 1, v10, vcc
	v_cndmask_b32_e32 v7, 0, v11, vcc
	v_mul_lo_u32 v5, v2, v5
	v_mad_u64_u32 v[2:3], s[26:27], v2, v4, 0
	v_mul_lo_u32 v4, v7, v4
	v_add3_u32 v3, v3, v5, v4
	v_and_b32_e32 v4, 1, v8
	v_cmp_eq_u32_e32 vcc, 1, v4
	v_and_b32_e32 v4, 1, v6
	v_cmp_eq_u32_e64 s[26:27], 1, v4
	s_or_b64 s[26:27], vcc, s[26:27]
	v_mov_b64_e32 v[4:5], v[2:3]
	v_cndmask_b32_e64 v8, 0, 1, s[26:27]
.LBB391_97:
	s_or_b64 exec, exec, s[30:31]
	v_or_b32_e32 v6, 63, v0
	v_lshrrev_b32_e32 v10, 6, v0
	v_cmp_eq_u32_e32 vcc, v6, v0
	s_and_saveexec_b64 s[26:27], vcc
	s_cbranch_execz .LBB391_99
; %bb.98:
	v_lshlrev_b32_e32 v6, 4, v10
	ds_write_b64 v6, v[4:5]
	ds_write_b8 v6, v8 offset:8
.LBB391_99:
	s_or_b64 exec, exec, s[26:27]
	v_cmp_gt_u32_e32 vcc, 4, v0
	s_waitcnt lgkmcnt(0)
	s_barrier
	s_and_saveexec_b64 s[30:31], vcc
	s_cbranch_execz .LBB391_105
; %bb.100:
	v_lshlrev_b32_e32 v11, 4, v0
	ds_read_b64 v[4:5], v11
	ds_read_b32 v12, v11 offset:8
	v_and_b32_e32 v13, 3, v9
	v_cmp_ne_u32_e32 vcc, 0, v13
	s_waitcnt lgkmcnt(1)
	v_mov_b32_dpp v17, v4 row_shr:1 row_mask:0xf bank_mask:0xf
	v_mov_b32_dpp v18, v5 row_shr:1 row_mask:0xf bank_mask:0xf
	s_waitcnt lgkmcnt(0)
	v_mov_b32_dpp v16, v12 row_shr:1 row_mask:0xf bank_mask:0xf
	v_mov_b32_e32 v15, v12
	v_mov_b32_e32 v14, v12
	;; [unrolled: 1-line block ×4, first 2 shown]
	s_and_saveexec_b64 s[26:27], vcc
	s_cbranch_execz .LBB391_102
; %bb.101:
	v_mov_b32_e32 v6, 0
	v_cmp_eq_u16_sdwa vcc, v12, v6 src0_sel:BYTE_0 src1_sel:DWORD
	s_movk_i32 s3, 0xff00
	s_nop 0
	v_cndmask_b32_e32 v6, 1, v17, vcc
	v_cndmask_b32_e32 v14, 0, v18, vcc
	v_mul_lo_u32 v5, v6, v5
	v_mad_u64_u32 v[6:7], s[46:47], v6, v4, 0
	v_mul_lo_u32 v4, v14, v4
	v_add3_u32 v7, v7, v5, v4
	v_or_b32_e32 v4, v16, v12
	v_and_b32_e32 v14, 1, v4
	v_and_b32_e32 v15, 1, v4
	v_and_or_b32 v12, v12, s3, v14
	v_mov_b64_e32 v[4:5], v[6:7]
.LBB391_102:
	s_or_b64 exec, exec, s[26:27]
	v_mov_b32_dpp v16, v6 row_shr:2 row_mask:0xf bank_mask:0xf
	v_mov_b32_dpp v7, v7 row_shr:2 row_mask:0xf bank_mask:0xf
	;; [unrolled: 1-line block ×3, first 2 shown]
	v_cmp_lt_u32_e32 vcc, 1, v13
	s_and_saveexec_b64 s[46:47], vcc
	s_cbranch_execz .LBB391_104
; %bb.103:
	v_mov_b32_e32 v12, 0
	v_cmp_eq_u16_sdwa vcc, v14, v12 src0_sel:BYTE_0 src1_sel:DWORD
	s_nop 1
	v_cndmask_b32_e32 v12, 1, v16, vcc
	v_cndmask_b32_e32 v7, 0, v7, vcc
	v_mul_lo_u32 v5, v12, v5
	v_mad_u64_u32 v[12:13], s[26:27], v12, v4, 0
	v_mul_lo_u32 v4, v7, v4
	v_add3_u32 v13, v13, v5, v4
	v_and_b32_e32 v4, 1, v14
	v_cmp_eq_u32_e32 vcc, 1, v4
	v_and_b32_e32 v4, 1, v6
	v_cmp_eq_u32_e64 s[26:27], 1, v4
	s_or_b64 s[26:27], vcc, s[26:27]
	v_mov_b64_e32 v[4:5], v[12:13]
	v_cndmask_b32_e64 v15, 0, 1, s[26:27]
.LBB391_104:
	s_or_b64 exec, exec, s[46:47]
	ds_write_b64 v11, v[4:5]
	ds_write_b8 v11, v15 offset:8
.LBB391_105:
	s_or_b64 exec, exec, s[30:31]
	v_cmp_gt_u32_e32 vcc, 64, v0
	v_cmp_lt_u32_e64 s[26:27], 63, v0
	v_mov_b32_e32 v18, 0
	v_mov_b64_e32 v[6:7], 0
	s_waitcnt lgkmcnt(0)
	s_barrier
	s_and_saveexec_b64 s[30:31], s[26:27]
	s_cbranch_execz .LBB391_107
; %bb.106:
	v_lshl_add_u32 v4, v10, 4, -16
	ds_read_b64 v[6:7], v4
	ds_read_u8 v18, v4 offset:8
	v_cmp_eq_u16_e64 s[26:27], 0, v8
	s_waitcnt lgkmcnt(1)
	s_nop 0
	v_cndmask_b32_e64 v4, 1, v6, s[26:27]
	v_cndmask_b32_e64 v5, 0, v7, s[26:27]
	v_mul_lo_u32 v5, v5, v2
	v_mul_lo_u32 v10, v4, v3
	v_mad_u64_u32 v[2:3], s[26:27], v4, v2, 0
	s_waitcnt lgkmcnt(0)
	v_or_b32_e32 v4, v8, v18
	v_add3_u32 v3, v3, v10, v5
	v_and_b32_e32 v8, 1, v4
.LBB391_107:
	s_or_b64 exec, exec, s[30:31]
	v_add_u32_e32 v4, -1, v9
	v_and_b32_e32 v5, 64, v9
	v_cmp_lt_i32_e64 s[26:27], v4, v5
	s_nop 1
	v_cndmask_b32_e64 v4, v4, v9, s[26:27]
	v_lshlrev_b32_e32 v4, 2, v4
	ds_bpermute_b32 v19, v4, v2
	v_and_b32_e32 v2, 0xffff, v8
	ds_bpermute_b32 v20, v4, v3
	ds_bpermute_b32 v21, v4, v2
	v_cmp_eq_u32_e64 s[26:27], 0, v9
	s_and_saveexec_b64 s[46:47], vcc
	s_cbranch_execz .LBB391_150
; %bb.108:
	v_mov_b32_e32 v11, 0
	ds_read2_b64 v[2:5], v11 offset0:6 offset1:7
	s_and_saveexec_b64 s[30:31], s[26:27]
	s_cbranch_execz .LBB391_110
; %bb.109:
	s_add_i32 s48, s2, 64
	s_mov_b32 s49, 0
	s_lshl_b64 s[52:53], s[48:49], 4
	s_add_u32 s52, s36, s52
	s_addc_u32 s53, s37, s53
	s_waitcnt lgkmcnt(0)
	global_store_dword v11, v2, s[52:53] sc1
	global_store_dword v11, v3, s[52:53] offset:4 sc1
	global_store_dword v11, v4, s[52:53] offset:8 sc1
	;; [unrolled: 1-line block ×3, first 2 shown]
	v_mov_b32_e32 v5, s48
	v_mov_b32_e32 v8, 1
	s_waitcnt vmcnt(0)
	global_store_byte v5, v8, s[40:41] sc1
.LBB391_110:
	s_or_b64 exec, exec, s[30:31]
	v_xad_u32 v8, v9, -1, s2
	v_add_u32_e32 v10, 64, v8
	s_waitcnt lgkmcnt(0)
	global_load_ubyte v5, v10, s[40:41] sc1
	s_waitcnt vmcnt(0)
	v_cmp_eq_u16_e32 vcc, 0, v5
	s_and_saveexec_b64 s[30:31], vcc
	s_cbranch_execz .LBB391_114
; %bb.111:
	v_lshl_add_u64 v[12:13], s[40:41], 0, v[10:11]
	s_mov_b64 s[48:49], 0
.LBB391_112:                            ; =>This Inner Loop Header: Depth=1
	global_load_ubyte v5, v[12:13], off sc1
	s_waitcnt vmcnt(0)
	v_cmp_ne_u16_e32 vcc, 0, v5
	s_or_b64 s[48:49], vcc, s[48:49]
	s_andn2_b64 exec, exec, s[48:49]
	s_cbranch_execnz .LBB391_112
; %bb.113:
	s_or_b64 exec, exec, s[48:49]
.LBB391_114:
	s_or_b64 exec, exec, s[30:31]
	v_mov_b32_e32 v12, s39
	v_mov_b32_e32 v13, s37
	v_cmp_eq_u16_e32 vcc, 1, v5
	v_mov_b32_e32 v14, s36
	s_waitcnt vmcnt(0)
	v_cndmask_b32_e32 v13, v12, v13, vcc
	v_mov_b32_e32 v12, s38
	v_cndmask_b32_e32 v12, v12, v14, vcc
	v_lshl_add_u64 v[10:11], v[10:11], 4, v[12:13]
	global_load_dword v12, v[10:11], off sc1
	global_load_dword v13, v[10:11], off offset:4 sc1
	global_load_dword v16, v[10:11], off offset:8 sc1
	s_nop 0
	global_load_dword v10, v[10:11], off offset:12 sc1
	v_cmp_eq_u16_e32 vcc, 2, v5
	s_waitcnt vmcnt(0)
	v_lshlrev_b64 v[10:11], v9, -1
	v_and_b32_e32 v22, 63, v9
	v_and_b32_e32 v14, vcc_hi, v11
	v_and_b32_e32 v15, vcc_lo, v10
	v_cmp_ne_u32_e32 vcc, 63, v22
	v_or_b32_e32 v14, 0x80000000, v14
	v_ffbl_b32_e32 v14, v14
	v_addc_co_u32_e32 v17, vcc, 0, v9, vcc
	v_lshlrev_b32_e32 v23, 2, v17
	v_add_u32_e32 v14, 32, v14
	v_ffbl_b32_e32 v15, v15
	v_min_u32_e32 v17, v15, v14
	v_cmp_lt_u32_e32 vcc, v22, v17
	ds_bpermute_b32 v25, v23, v12
	ds_bpermute_b32 v26, v23, v13
	v_and_b32_e32 v76, 0xff, v16
	ds_bpermute_b32 v24, v23, v76
	v_mov_b64_e32 v[14:15], v[12:13]
	s_and_saveexec_b64 s[30:31], vcc
	s_cbranch_execz .LBB391_116
; %bb.115:
	v_mov_b32_e32 v14, 0
	v_cmp_eq_u16_sdwa vcc, v16, v14 src0_sel:BYTE_0 src1_sel:DWORD
	s_waitcnt lgkmcnt(2)
	s_nop 0
	v_cndmask_b32_e32 v14, 1, v25, vcc
	s_waitcnt lgkmcnt(1)
	v_cndmask_b32_e32 v25, 0, v26, vcc
	v_mul_lo_u32 v13, v14, v13
	v_mad_u64_u32 v[14:15], s[48:49], v14, v12, 0
	v_mul_lo_u32 v12, v25, v12
	v_add3_u32 v15, v15, v13, v12
	s_waitcnt lgkmcnt(0)
	v_or_b32_e32 v12, v24, v16
	v_and_b32_e32 v16, 1, v12
	v_and_b32_e32 v76, 1, v12
	v_mov_b32_e32 v13, v15
	v_mov_b32_e32 v12, v14
.LBB391_116:
	s_or_b64 exec, exec, s[30:31]
	v_cmp_gt_u32_e32 vcc, 62, v22
	s_waitcnt lgkmcnt(2)
	v_add_u32_e32 v25, 2, v22
	s_waitcnt lgkmcnt(0)
	v_cndmask_b32_e64 v24, 0, 1, vcc
	v_lshlrev_b32_e32 v24, 1, v24
	v_add_lshl_u32 v24, v24, v9, 2
	ds_bpermute_b32 v27, v24, v12
	ds_bpermute_b32 v32, v24, v13
	ds_bpermute_b32 v26, v24, v76
	v_cmp_le_u32_e32 vcc, v25, v17
	s_and_saveexec_b64 s[48:49], vcc
	s_cbranch_execz .LBB391_118
; %bb.117:
	v_mov_b32_e32 v12, 0
	v_cmp_eq_u16_sdwa vcc, v16, v12 src0_sel:BYTE_0 src1_sel:DWORD
	s_waitcnt lgkmcnt(2)
	s_nop 0
	v_cndmask_b32_e32 v12, 1, v27, vcc
	s_waitcnt lgkmcnt(1)
	v_cndmask_b32_e32 v27, 0, v32, vcc
	v_mul_lo_u32 v15, v12, v15
	v_mad_u64_u32 v[12:13], s[30:31], v12, v14, 0
	v_mul_lo_u32 v14, v27, v14
	v_add3_u32 v13, v13, v15, v14
	v_and_b32_e32 v14, 1, v16
	v_cmp_eq_u32_e32 vcc, 1, v14
	s_waitcnt lgkmcnt(0)
	v_and_b32_e32 v14, 1, v26
	v_cmp_eq_u32_e64 s[30:31], 1, v14
	s_or_b64 s[30:31], vcc, s[30:31]
	v_mov_b64_e32 v[14:15], v[12:13]
	v_cndmask_b32_e64 v16, 0, 1, s[30:31]
	v_cndmask_b32_e64 v76, 0, 1, s[30:31]
.LBB391_118:
	s_or_b64 exec, exec, s[48:49]
	v_cmp_gt_u32_e32 vcc, 60, v22
	s_waitcnt lgkmcnt(2)
	v_add_u32_e32 v27, 4, v22
	s_waitcnt lgkmcnt(0)
	v_cndmask_b32_e64 v26, 0, 1, vcc
	v_lshlrev_b32_e32 v26, 2, v26
	v_add_lshl_u32 v26, v26, v9, 2
	ds_bpermute_b32 v33, v26, v12
	ds_bpermute_b32 v60, v26, v13
	ds_bpermute_b32 v32, v26, v76
	v_cmp_le_u32_e32 vcc, v27, v17
	s_and_saveexec_b64 s[48:49], vcc
	s_cbranch_execz .LBB391_120
; %bb.119:
	v_mov_b32_e32 v12, 0
	v_cmp_eq_u16_sdwa vcc, v16, v12 src0_sel:BYTE_0 src1_sel:DWORD
	s_waitcnt lgkmcnt(2)
	s_nop 0
	v_cndmask_b32_e32 v12, 1, v33, vcc
	s_waitcnt lgkmcnt(1)
	v_cndmask_b32_e32 v33, 0, v60, vcc
	v_mul_lo_u32 v15, v12, v15
	v_mad_u64_u32 v[12:13], s[30:31], v12, v14, 0
	v_mul_lo_u32 v14, v33, v14
	v_add3_u32 v13, v13, v15, v14
	v_and_b32_e32 v14, 1, v16
	v_cmp_eq_u32_e32 vcc, 1, v14
	s_waitcnt lgkmcnt(0)
	v_and_b32_e32 v14, 1, v32
	v_cmp_eq_u32_e64 s[30:31], 1, v14
	s_or_b64 s[30:31], vcc, s[30:31]
	v_mov_b64_e32 v[14:15], v[12:13]
	v_cndmask_b32_e64 v16, 0, 1, s[30:31]
	v_cndmask_b32_e64 v76, 0, 1, s[30:31]
.LBB391_120:
	;; [unrolled: 36-line block ×4, first 2 shown]
	s_or_b64 exec, exec, s[48:49]
	v_cmp_gt_u32_e32 vcc, 32, v22
	s_waitcnt lgkmcnt(2)
	v_add_u32_e32 v78, 32, v22
	s_waitcnt lgkmcnt(0)
	v_cndmask_b32_e64 v77, 0, 1, vcc
	v_lshlrev_b32_e32 v77, 5, v77
	v_add_lshl_u32 v77, v77, v9, 2
	ds_bpermute_b32 v12, v77, v12
	ds_bpermute_b32 v13, v77, v13
	ds_bpermute_b32 v9, v77, v76
	v_cmp_le_u32_e32 vcc, v78, v17
	s_and_saveexec_b64 s[48:49], vcc
	s_cbranch_execz .LBB391_126
; %bb.125:
	v_mov_b32_e32 v17, 0
	v_cmp_eq_u16_sdwa vcc, v16, v17 src0_sel:BYTE_0 src1_sel:DWORD
	s_waitcnt lgkmcnt(0)
	v_and_b32_e32 v9, 1, v9
	v_cndmask_b32_e32 v12, 1, v12, vcc
	v_cndmask_b32_e32 v17, 0, v13, vcc
	v_mul_lo_u32 v15, v12, v15
	v_mad_u64_u32 v[12:13], s[30:31], v12, v14, 0
	v_mul_lo_u32 v14, v17, v14
	v_add3_u32 v13, v13, v15, v14
	v_and_b32_e32 v14, 1, v16
	v_cmp_eq_u32_e32 vcc, 1, v14
	v_cmp_eq_u32_e64 s[30:31], 1, v9
	s_or_b64 s[30:31], vcc, s[30:31]
	v_mov_b64_e32 v[14:15], v[12:13]
	v_cndmask_b32_e64 v16, 0, 1, s[30:31]
.LBB391_126:
	s_or_b64 exec, exec, s[48:49]
	s_waitcnt lgkmcnt(0)
	v_mov_b32_e32 v9, 0
	v_mov_b32_e32 v79, 2
	s_branch .LBB391_128
.LBB391_127:                            ;   in Loop: Header=BB391_128 Depth=1
	s_or_b64 exec, exec, s[52:53]
	v_cmp_eq_u16_sdwa vcc, v76, v9 src0_sel:BYTE_0 src1_sel:DWORD
	v_subrev_u32_e32 v8, 64, v8
	s_waitcnt lgkmcnt(0)
	v_cndmask_b32_e32 v14, 1, v16, vcc
	v_cndmask_b32_e32 v15, 0, v17, vcc
	v_mul_lo_u32 v16, v15, v12
	v_mul_lo_u32 v17, v14, v13
	v_mad_u64_u32 v[14:15], s[30:31], v14, v12, 0
	v_add3_u32 v15, v15, v17, v16
	v_and_b32_e32 v16, 1, v76
	v_cmp_eq_u32_e32 vcc, 1, v16
	s_or_b64 s[30:31], vcc, s[48:49]
	v_cndmask_b32_e64 v16, 0, 1, s[30:31]
.LBB391_128:                            ; =>This Loop Header: Depth=1
                                        ;     Child Loop BB391_131 Depth 2
	v_cmp_ne_u16_sdwa s[30:31], v5, v79 src0_sel:BYTE_0 src1_sel:DWORD
	v_mov_b32_e32 v76, v16
	v_mov_b64_e32 v[12:13], v[14:15]
	v_cndmask_b32_e64 v5, 0, 1, s[30:31]
	;;#ASMSTART
	;;#ASMEND
	s_nop 0
	v_cmp_ne_u32_e32 vcc, 0, v5
	s_cmp_lg_u64 vcc, exec
	s_cbranch_scc1 .LBB391_145
; %bb.129:                              ;   in Loop: Header=BB391_128 Depth=1
	global_load_ubyte v5, v8, s[40:41] sc1
	s_waitcnt vmcnt(0)
	v_cmp_eq_u16_e32 vcc, 0, v5
	s_and_saveexec_b64 s[30:31], vcc
	s_cbranch_execz .LBB391_133
; %bb.130:                              ;   in Loop: Header=BB391_128 Depth=1
	v_lshl_add_u64 v[14:15], s[40:41], 0, v[8:9]
	s_mov_b64 s[48:49], 0
.LBB391_131:                            ;   Parent Loop BB391_128 Depth=1
                                        ; =>  This Inner Loop Header: Depth=2
	global_load_ubyte v5, v[14:15], off sc1
	s_waitcnt vmcnt(0)
	v_cmp_ne_u16_e32 vcc, 0, v5
	s_or_b64 s[48:49], vcc, s[48:49]
	s_andn2_b64 exec, exec, s[48:49]
	s_cbranch_execnz .LBB391_131
; %bb.132:                              ;   in Loop: Header=BB391_128 Depth=1
	s_or_b64 exec, exec, s[48:49]
.LBB391_133:                            ;   in Loop: Header=BB391_128 Depth=1
	s_or_b64 exec, exec, s[30:31]
	v_mov_b32_e32 v14, s39
	v_mov_b32_e32 v15, s37
	v_cmp_eq_u16_e32 vcc, 1, v5
	v_mov_b32_e32 v16, s36
	s_waitcnt vmcnt(0)
	v_cndmask_b32_e32 v15, v14, v15, vcc
	v_mov_b32_e32 v14, s38
	v_cndmask_b32_e32 v14, v14, v16, vcc
	v_lshl_add_u64 v[16:17], v[8:9], 4, v[14:15]
	global_load_dword v14, v[16:17], off sc1
	global_load_dword v15, v[16:17], off offset:4 sc1
	global_load_dword v80, v[16:17], off offset:8 sc1
	s_nop 0
	global_load_dword v16, v[16:17], off offset:12 sc1
	v_cmp_eq_u16_e32 vcc, 2, v5
	s_waitcnt vmcnt(3)
	ds_bpermute_b32 v84, v23, v14
	s_waitcnt vmcnt(0)
	v_and_b32_e32 v16, vcc_hi, v11
	v_and_b32_e32 v82, 0xff, v80
	v_or_b32_e32 v16, 0x80000000, v16
	ds_bpermute_b32 v85, v23, v15
	ds_bpermute_b32 v83, v23, v82
	v_and_b32_e32 v17, vcc_lo, v10
	v_ffbl_b32_e32 v16, v16
	v_add_u32_e32 v16, 32, v16
	v_ffbl_b32_e32 v17, v17
	v_min_u32_e32 v81, v17, v16
	v_cmp_lt_u32_e32 vcc, v22, v81
	v_mov_b64_e32 v[16:17], v[14:15]
	s_and_saveexec_b64 s[30:31], vcc
	s_cbranch_execz .LBB391_135
; %bb.134:                              ;   in Loop: Header=BB391_128 Depth=1
	v_cmp_eq_u16_sdwa vcc, v80, v9 src0_sel:BYTE_0 src1_sel:DWORD
	s_waitcnt lgkmcnt(2)
	s_nop 0
	v_cndmask_b32_e32 v16, 1, v84, vcc
	s_waitcnt lgkmcnt(1)
	v_cndmask_b32_e32 v82, 0, v85, vcc
	v_mul_lo_u32 v15, v16, v15
	v_mad_u64_u32 v[16:17], s[48:49], v16, v14, 0
	v_mul_lo_u32 v14, v82, v14
	v_add3_u32 v17, v17, v15, v14
	s_waitcnt lgkmcnt(0)
	v_or_b32_e32 v14, v83, v80
	v_and_b32_e32 v80, 1, v14
	v_and_b32_e32 v82, 1, v14
	v_mov_b32_e32 v15, v17
	v_mov_b32_e32 v14, v16
.LBB391_135:                            ;   in Loop: Header=BB391_128 Depth=1
	s_or_b64 exec, exec, s[30:31]
	s_waitcnt lgkmcnt(2)
	ds_bpermute_b32 v84, v24, v14
	s_waitcnt lgkmcnt(2)
	ds_bpermute_b32 v85, v24, v15
	;; [unrolled: 2-line block ×3, first 2 shown]
	v_and_b32_e32 v86, 1, v80
	v_cmp_le_u32_e32 vcc, v25, v81
	v_cmp_eq_u32_e64 s[48:49], 1, v86
	s_and_saveexec_b64 s[30:31], vcc
	s_cbranch_execz .LBB391_137
; %bb.136:                              ;   in Loop: Header=BB391_128 Depth=1
	v_cmp_eq_u16_sdwa vcc, v80, v9 src0_sel:BYTE_0 src1_sel:DWORD
	s_waitcnt lgkmcnt(2)
	s_nop 0
	v_cndmask_b32_e32 v14, 1, v84, vcc
	s_waitcnt lgkmcnt(1)
	v_cndmask_b32_e32 v80, 0, v85, vcc
	v_mul_lo_u32 v17, v14, v17
	v_mad_u64_u32 v[14:15], s[52:53], v14, v16, 0
	v_mul_lo_u32 v16, v80, v16
	v_add3_u32 v15, v15, v17, v16
	s_waitcnt lgkmcnt(0)
	v_and_b32_e32 v16, 1, v83
	v_cmp_eq_u32_e32 vcc, 1, v16
	s_or_b64 s[52:53], s[48:49], vcc
	v_cndmask_b32_e64 v80, 0, 1, s[52:53]
	v_cndmask_b32_e64 v82, 0, 1, s[52:53]
	s_andn2_b64 s[48:49], s[48:49], exec
	s_and_b64 s[52:53], s[52:53], exec
	s_or_b64 s[48:49], s[48:49], s[52:53]
	v_mov_b64_e32 v[16:17], v[14:15]
.LBB391_137:                            ;   in Loop: Header=BB391_128 Depth=1
	s_or_b64 exec, exec, s[30:31]
	s_waitcnt lgkmcnt(2)
	ds_bpermute_b32 v84, v26, v14
	s_waitcnt lgkmcnt(2)
	ds_bpermute_b32 v85, v26, v15
	s_waitcnt lgkmcnt(2)
	ds_bpermute_b32 v83, v26, v82
	v_cmp_le_u32_e32 vcc, v27, v81
	s_and_saveexec_b64 s[52:53], vcc
	s_cbranch_execz .LBB391_139
; %bb.138:                              ;   in Loop: Header=BB391_128 Depth=1
	v_cmp_eq_u16_sdwa vcc, v80, v9 src0_sel:BYTE_0 src1_sel:DWORD
	s_andn2_b64 s[48:49], s[48:49], exec
	s_waitcnt lgkmcnt(2)
	v_cndmask_b32_e32 v14, 1, v84, vcc
	s_waitcnt lgkmcnt(1)
	v_cndmask_b32_e32 v82, 0, v85, vcc
	v_mul_lo_u32 v17, v14, v17
	v_mad_u64_u32 v[14:15], s[30:31], v14, v16, 0
	v_mul_lo_u32 v16, v82, v16
	v_add3_u32 v15, v15, v17, v16
	v_and_b32_e32 v16, 1, v80
	v_cmp_eq_u32_e32 vcc, 1, v16
	s_waitcnt lgkmcnt(0)
	v_and_b32_e32 v16, 1, v83
	v_cmp_eq_u32_e64 s[30:31], 1, v16
	s_or_b64 s[30:31], vcc, s[30:31]
	v_mov_b64_e32 v[16:17], v[14:15]
	v_cndmask_b32_e64 v80, 0, 1, s[30:31]
	v_cndmask_b32_e64 v82, 0, 1, s[30:31]
	s_and_b64 s[30:31], s[30:31], exec
	s_or_b64 s[48:49], s[48:49], s[30:31]
.LBB391_139:                            ;   in Loop: Header=BB391_128 Depth=1
	s_or_b64 exec, exec, s[52:53]
	s_waitcnt lgkmcnt(2)
	ds_bpermute_b32 v84, v32, v14
	s_waitcnt lgkmcnt(2)
	ds_bpermute_b32 v85, v32, v15
	s_waitcnt lgkmcnt(2)
	ds_bpermute_b32 v83, v32, v82
	v_cmp_le_u32_e32 vcc, v33, v81
	s_and_saveexec_b64 s[52:53], vcc
	s_cbranch_execz .LBB391_141
; %bb.140:                              ;   in Loop: Header=BB391_128 Depth=1
	v_cmp_eq_u16_sdwa vcc, v80, v9 src0_sel:BYTE_0 src1_sel:DWORD
	s_andn2_b64 s[48:49], s[48:49], exec
	s_waitcnt lgkmcnt(2)
	v_cndmask_b32_e32 v14, 1, v84, vcc
	s_waitcnt lgkmcnt(1)
	v_cndmask_b32_e32 v82, 0, v85, vcc
	v_mul_lo_u32 v17, v14, v17
	v_mad_u64_u32 v[14:15], s[30:31], v14, v16, 0
	v_mul_lo_u32 v16, v82, v16
	v_add3_u32 v15, v15, v17, v16
	v_and_b32_e32 v16, 1, v80
	v_cmp_eq_u32_e32 vcc, 1, v16
	s_waitcnt lgkmcnt(0)
	v_and_b32_e32 v16, 1, v83
	v_cmp_eq_u32_e64 s[30:31], 1, v16
	s_or_b64 s[30:31], vcc, s[30:31]
	v_mov_b64_e32 v[16:17], v[14:15]
	v_cndmask_b32_e64 v80, 0, 1, s[30:31]
	v_cndmask_b32_e64 v82, 0, 1, s[30:31]
	s_and_b64 s[30:31], s[30:31], exec
	s_or_b64 s[48:49], s[48:49], s[30:31]
.LBB391_141:                            ;   in Loop: Header=BB391_128 Depth=1
	s_or_b64 exec, exec, s[52:53]
	s_waitcnt lgkmcnt(2)
	ds_bpermute_b32 v84, v60, v14
	s_waitcnt lgkmcnt(2)
	ds_bpermute_b32 v85, v60, v15
	s_waitcnt lgkmcnt(2)
	ds_bpermute_b32 v83, v60, v82
	v_cmp_le_u32_e32 vcc, v61, v81
	s_and_saveexec_b64 s[52:53], vcc
	s_cbranch_execz .LBB391_143
; %bb.142:                              ;   in Loop: Header=BB391_128 Depth=1
	v_cmp_eq_u16_sdwa vcc, v80, v9 src0_sel:BYTE_0 src1_sel:DWORD
	s_andn2_b64 s[48:49], s[48:49], exec
	s_waitcnt lgkmcnt(2)
	v_cndmask_b32_e32 v14, 1, v84, vcc
	s_waitcnt lgkmcnt(1)
	v_cndmask_b32_e32 v82, 0, v85, vcc
	v_mul_lo_u32 v17, v14, v17
	v_mad_u64_u32 v[14:15], s[30:31], v14, v16, 0
	v_mul_lo_u32 v16, v82, v16
	v_add3_u32 v15, v15, v17, v16
	v_and_b32_e32 v16, 1, v80
	v_cmp_eq_u32_e32 vcc, 1, v16
	s_waitcnt lgkmcnt(0)
	v_and_b32_e32 v16, 1, v83
	v_cmp_eq_u32_e64 s[30:31], 1, v16
	s_or_b64 s[30:31], vcc, s[30:31]
	v_mov_b64_e32 v[16:17], v[14:15]
	v_cndmask_b32_e64 v80, 0, 1, s[30:31]
	v_cndmask_b32_e64 v82, 0, 1, s[30:31]
	s_and_b64 s[30:31], s[30:31], exec
	s_or_b64 s[48:49], s[48:49], s[30:31]
.LBB391_143:                            ;   in Loop: Header=BB391_128 Depth=1
	s_or_b64 exec, exec, s[52:53]
	s_waitcnt lgkmcnt(0)
	ds_bpermute_b32 v83, v77, v14
	ds_bpermute_b32 v15, v77, v15
	;; [unrolled: 1-line block ×3, first 2 shown]
	v_cmp_le_u32_e32 vcc, v78, v81
	s_and_saveexec_b64 s[52:53], vcc
	s_cbranch_execz .LBB391_127
; %bb.144:                              ;   in Loop: Header=BB391_128 Depth=1
	v_cmp_eq_u16_sdwa vcc, v80, v9 src0_sel:BYTE_0 src1_sel:DWORD
	s_waitcnt lgkmcnt(0)
	v_and_b32_e32 v14, 1, v14
	s_andn2_b64 s[48:49], s[48:49], exec
	v_cndmask_b32_e32 v81, 1, v83, vcc
	v_cndmask_b32_e32 v15, 0, v15, vcc
	v_mul_lo_u32 v17, v81, v17
	v_mad_u64_u32 v[82:83], s[30:31], v81, v16, 0
	v_mul_lo_u32 v15, v15, v16
	v_add3_u32 v83, v83, v17, v15
	v_and_b32_e32 v15, 1, v80
	v_cmp_eq_u32_e32 vcc, 1, v15
	v_cmp_eq_u32_e64 s[30:31], 1, v14
	s_or_b64 s[30:31], vcc, s[30:31]
	s_and_b64 s[30:31], s[30:31], exec
	s_or_b64 s[48:49], s[48:49], s[30:31]
	v_mov_b64_e32 v[16:17], v[82:83]
	s_branch .LBB391_127
.LBB391_145:                            ;   in Loop: Header=BB391_128 Depth=1
                                        ; implicit-def: $vgpr16
                                        ; implicit-def: $vgpr14_vgpr15
                                        ; implicit-def: $vgpr5
	s_cbranch_execz .LBB391_128
; %bb.146:
	s_and_saveexec_b64 s[30:31], s[26:27]
	s_cbranch_execz .LBB391_148
; %bb.147:
	v_mov_b32_e32 v5, 0
	v_cmp_eq_u32_sdwa vcc, v4, v5 src0_sel:BYTE_0 src1_sel:DWORD
	s_mov_b32 s3, 0
	s_add_i32 s2, s2, 64
	v_cndmask_b32_e32 v8, 1, v12, vcc
	v_cndmask_b32_e32 v9, 0, v13, vcc
	v_mul_lo_u32 v9, v9, v2
	v_mul_lo_u32 v10, v8, v3
	v_mad_u64_u32 v[2:3], s[36:37], v8, v2, 0
	s_lshl_b64 s[36:37], s[2:3], 4
	v_and_b32_e32 v4, 1, v4
	s_add_u32 s36, s38, s36
	v_add3_u32 v3, v3, v10, v9
	v_and_b32_e32 v8, 1, v76
	v_cmp_eq_u32_e32 vcc, 1, v4
	s_addc_u32 s37, s39, s37
	s_nop 0
	v_cndmask_b32_e64 v4, v8, 1, vcc
	global_store_dword v5, v2, s[36:37] sc1
	global_store_dword v5, v3, s[36:37] offset:4 sc1
	global_store_dword v5, v4, s[36:37] offset:8 sc1
	;; [unrolled: 1-line block ×3, first 2 shown]
	v_mov_b32_e32 v2, s2
	v_mov_b32_e32 v3, 2
	s_waitcnt vmcnt(0)
	global_store_byte v2, v3, s[40:41] sc1
.LBB391_148:
	s_or_b64 exec, exec, s[30:31]
	v_cmp_eq_u32_e32 vcc, 0, v0
	s_and_b64 exec, exec, vcc
	s_cbranch_execz .LBB391_150
; %bb.149:
	v_mov_b32_e32 v2, 0
	ds_write_b64 v2, v[12:13] offset:48
	ds_write_b8 v2, v76 offset:56
.LBB391_150:
	s_or_b64 exec, exec, s[46:47]
	v_mov_b32_e32 v4, 0
	s_waitcnt lgkmcnt(0)
	s_barrier
	ds_read_b64 v[2:3], v4 offset:48
	v_cmp_ne_u32_e32 vcc, 0, v0
	s_and_saveexec_b64 s[2:3], vcc
	s_cbranch_execz .LBB391_152
; %bb.151:
	v_cndmask_b32_e64 v5, v21, v18, s[26:27]
	v_cmp_eq_u16_sdwa vcc, v5, v4 src0_sel:BYTE_0 src1_sel:DWORD
	v_cndmask_b32_e64 v6, v19, v6, s[26:27]
	v_cndmask_b32_e64 v7, v20, v7, s[26:27]
	s_waitcnt lgkmcnt(0)
	v_cndmask_b32_e32 v2, 1, v2, vcc
	v_cndmask_b32_e32 v3, 0, v3, vcc
	v_mul_lo_u32 v5, v3, v6
	v_mul_lo_u32 v7, v2, v7
	v_mad_u64_u32 v[2:3], s[26:27], v2, v6, 0
	v_add3_u32 v3, v3, v7, v5
.LBB391_152:
	s_or_b64 exec, exec, s[2:3]
	v_cmp_eq_u16_sdwa vcc, v1, v4 src0_sel:BYTE_0 src1_sel:DWORD
	s_waitcnt lgkmcnt(0)
	s_nop 0
	v_cndmask_b32_e32 v4, 1, v2, vcc
	v_cndmask_b32_e32 v5, 0, v3, vcc
	v_mul_lo_u32 v6, v5, v54
	v_mul_lo_u32 v7, v4, v55
	v_mad_u64_u32 v[4:5], s[2:3], v4, v54, 0
	v_add3_u32 v5, v5, v7, v6
	v_cndmask_b32_e64 v6, 0, v5, s[24:25]
	v_cndmask_b32_e64 v7, 1, v4, s[24:25]
	v_mul_lo_u32 v8, v6, v50
	v_mul_lo_u32 v9, v7, v51
	v_mad_u64_u32 v[6:7], s[2:3], v7, v50, 0
	v_add3_u32 v7, v7, v9, v8
	v_cndmask_b32_e64 v8, 0, v7, s[22:23]
	v_cndmask_b32_e64 v9, 1, v6, s[22:23]
	;; [unrolled: 6-line block ×12, first 2 shown]
	s_branch .LBB391_193
.LBB391_153:
	s_or_b64 exec, exec, s[30:31]
                                        ; implicit-def: $vgpr60_vgpr61
	s_and_saveexec_b64 s[30:31], s[28:29]
	s_cbranch_execz .LBB391_33
.LBB391_154:
	v_mov_b32_e32 v55, 0
	v_lshl_add_u64 v[60:61], s[46:47], 0, v[54:55]
	flat_load_dwordx2 v[60:61], v[60:61] offset:2048
	s_or_b64 exec, exec, s[30:31]
                                        ; implicit-def: $vgpr62_vgpr63
	s_and_saveexec_b64 s[28:29], s[4:5]
	s_cbranch_execnz .LBB391_34
.LBB391_155:
	s_or_b64 exec, exec, s[28:29]
                                        ; implicit-def: $vgpr30_vgpr31
	s_and_saveexec_b64 s[4:5], s[6:7]
	s_cbranch_execz .LBB391_35
.LBB391_156:
	v_mov_b32_e32 v33, 0
	v_lshl_add_u64 v[30:31], s[46:47], 0, v[32:33]
	flat_load_dwordx2 v[30:31], v[30:31]
	s_or_b64 exec, exec, s[4:5]
                                        ; implicit-def: $vgpr32_vgpr33
	s_and_saveexec_b64 s[4:5], s[8:9]
	s_cbranch_execnz .LBB391_36
.LBB391_157:
	s_or_b64 exec, exec, s[4:5]
                                        ; implicit-def: $vgpr34_vgpr35
	s_and_saveexec_b64 s[4:5], s[10:11]
	s_cbranch_execz .LBB391_37
.LBB391_158:
	v_mov_b32_e32 v37, 0
	v_lshl_add_u64 v[34:35], s[46:47], 0, v[36:37]
	flat_load_dwordx2 v[34:35], v[34:35]
	s_or_b64 exec, exec, s[4:5]
                                        ; implicit-def: $vgpr36_vgpr37
	s_and_saveexec_b64 s[4:5], s[12:13]
	s_cbranch_execnz .LBB391_38
.LBB391_159:
	s_or_b64 exec, exec, s[4:5]
                                        ; implicit-def: $vgpr38_vgpr39
	s_and_saveexec_b64 s[4:5], s[14:15]
	s_cbranch_execz .LBB391_39
.LBB391_160:
	v_mov_b32_e32 v41, 0
	v_lshl_add_u64 v[38:39], s[46:47], 0, v[40:41]
	flat_load_dwordx2 v[38:39], v[38:39]
	s_or_b64 exec, exec, s[4:5]
                                        ; implicit-def: $vgpr40_vgpr41
	s_and_saveexec_b64 s[4:5], s[16:17]
	s_cbranch_execnz .LBB391_40
.LBB391_161:
	s_or_b64 exec, exec, s[4:5]
                                        ; implicit-def: $vgpr42_vgpr43
	s_and_saveexec_b64 s[4:5], s[18:19]
	s_cbranch_execz .LBB391_41
.LBB391_162:
	v_mov_b32_e32 v45, 0
	v_lshl_add_u64 v[42:43], s[46:47], 0, v[44:45]
	flat_load_dwordx2 v[42:43], v[42:43]
	s_or_b64 exec, exec, s[4:5]
                                        ; implicit-def: $vgpr44_vgpr45
	s_and_saveexec_b64 s[4:5], s[20:21]
	s_cbranch_execnz .LBB391_42
.LBB391_163:
	s_or_b64 exec, exec, s[4:5]
                                        ; implicit-def: $vgpr46_vgpr47
	s_and_saveexec_b64 s[4:5], s[22:23]
	s_cbranch_execz .LBB391_43
.LBB391_164:
	v_mov_b32_e32 v49, 0
	v_lshl_add_u64 v[46:47], s[46:47], 0, v[48:49]
	flat_load_dwordx2 v[46:47], v[46:47]
	s_or_b64 exec, exec, s[4:5]
                                        ; implicit-def: $vgpr48_vgpr49
	s_and_saveexec_b64 s[4:5], s[24:25]
	s_cbranch_execz .LBB391_45
	s_branch .LBB391_44
.LBB391_165:
                                        ; implicit-def: $vgpr2_vgpr3
                                        ; implicit-def: $vgpr60_vgpr61
                                        ; implicit-def: $vgpr26_vgpr27
                                        ; implicit-def: $vgpr24_vgpr25
                                        ; implicit-def: $vgpr20_vgpr21
                                        ; implicit-def: $vgpr16_vgpr17
                                        ; implicit-def: $vgpr12_vgpr13
                                        ; implicit-def: $vgpr8_vgpr9
	s_cbranch_execz .LBB391_193
; %bb.166:
	s_cmp_lg_u64 s[58:59], 0
	s_cselect_b32 s3, s55, 0
	s_cselect_b32 s2, s54, 0
	s_cmp_eq_u64 s[2:3], 0
	v_mov_b64_e32 v[32:33], s[56:57]
	s_cbranch_scc1 .LBB391_168
; %bb.167:
	v_mov_b32_e32 v2, 0
	global_load_dwordx2 v[32:33], v2, s[2:3]
.LBB391_168:
	v_mov_b32_e32 v4, 0
	v_cmp_eq_u16_sdwa vcc, v64, v4 src0_sel:BYTE_0 src1_sel:DWORD
	v_mbcnt_hi_u32_b32 v8, -1, v62
	s_nop 0
	v_cndmask_b32_e32 v2, 1, v54, vcc
	v_cndmask_b32_e32 v3, 0, v55, vcc
	v_mul_lo_u32 v5, v3, v50
	v_mul_lo_u32 v6, v2, v51
	v_mad_u64_u32 v[2:3], s[2:3], v2, v50, 0
	v_add3_u32 v3, v3, v6, v5
	v_cmp_eq_u16_sdwa s[2:3], v65, v4 src0_sel:BYTE_0 src1_sel:DWORD
	s_nop 1
	v_cndmask_b32_e64 v3, 0, v3, s[2:3]
	v_cndmask_b32_e64 v2, 1, v2, s[2:3]
	v_mul_lo_u32 v5, v3, v52
	v_mul_lo_u32 v6, v2, v53
	v_mad_u64_u32 v[2:3], s[4:5], v2, v52, 0
	v_add3_u32 v3, v3, v6, v5
	v_cmp_eq_u16_sdwa s[4:5], v66, v4 src0_sel:BYTE_0 src1_sel:DWORD
	s_nop 1
	v_cndmask_b32_e64 v3, 0, v3, s[4:5]
	v_cndmask_b32_e64 v2, 1, v2, s[4:5]
	;; [unrolled: 8-line block ×11, first 2 shown]
	v_mul_lo_u32 v5, v3, v30
	v_mul_lo_u32 v6, v2, v31
	v_mad_u64_u32 v[2:3], s[24:25], v2, v30, 0
	v_add3_u32 v3, v3, v6, v5
	v_cmp_eq_u16_sdwa s[24:25], v59, v4 src0_sel:BYTE_0 src1_sel:DWORD
	v_and_b32_e32 v6, 15, v8
	v_cmp_ne_u32_e64 s[26:27], 0, v6
	v_cndmask_b32_e64 v3, 0, v3, s[24:25]
	v_cndmask_b32_e64 v2, 1, v2, s[24:25]
	v_mul_lo_u32 v4, v3, v28
	v_mul_lo_u32 v5, v2, v29
	v_mad_u64_u32 v[2:3], s[24:25], v2, v28, 0
	v_add3_u32 v3, v3, v5, v4
	v_or_b32_e32 v4, v63, v74
	v_or_b32_e32 v4, v4, v73
	v_or_b32_e32 v4, v4, v72
	v_or_b32_e32 v4, v4, v71
	v_or_b32_e32 v4, v4, v70
	v_or_b32_e32 v4, v4, v69
	v_or_b32_e32 v4, v4, v68
	v_or_b32_e32 v4, v4, v66
	v_or_b32_e32 v4, v4, v65
	v_or_b32_e32 v4, v4, v64
	v_or_b32_e32 v4, v4, v1
	v_and_b32_e32 v9, 1, v4
	v_cmp_eq_u32_e64 s[24:25], 1, v9
	v_mov_b32_dpp v11, v2 row_shr:1 row_mask:0xf bank_mask:0xf
	v_mov_b32_dpp v12, v3 row_shr:1 row_mask:0xf bank_mask:0xf
	;; [unrolled: 1-line block ×3, first 2 shown]
	v_mov_b32_e32 v5, v3
	v_mov_b32_e32 v4, v2
	;; [unrolled: 1-line block ×3, first 2 shown]
	s_and_saveexec_b64 s[28:29], s[26:27]
; %bb.169:
	v_cndmask_b32_e64 v4, v12, 0, s[24:25]
	v_cndmask_b32_e64 v5, v11, 1, s[24:25]
	v_mul_lo_u32 v4, v4, v2
	v_mul_lo_u32 v7, v5, v3
	v_mad_u64_u32 v[2:3], s[24:25], v5, v2, 0
	v_add3_u32 v3, v3, v7, v4
	v_and_b32_e32 v4, 1, v10
	v_or_b32_e32 v9, v4, v9
	v_and_b32_e32 v7, 0xffff, v9
	v_mov_b32_e32 v5, v3
	v_mov_b32_e32 v4, v2
; %bb.170:
	s_or_b64 exec, exec, s[28:29]
	s_nop 0
	v_mov_b32_dpp v11, v4 row_shr:2 row_mask:0xf bank_mask:0xf
	v_mov_b32_dpp v12, v5 row_shr:2 row_mask:0xf bank_mask:0xf
	v_mov_b32_dpp v10, v7 row_shr:2 row_mask:0xf bank_mask:0xf
	v_cmp_lt_u32_e64 s[24:25], 1, v6
	s_and_saveexec_b64 s[28:29], s[24:25]
	s_cbranch_execz .LBB391_172
; %bb.171:
	v_cmp_eq_u16_e64 s[24:25], 0, v9
	s_nop 1
	v_cndmask_b32_e64 v4, 1, v11, s[24:25]
	v_cndmask_b32_e64 v7, 0, v12, s[24:25]
	v_mul_lo_u32 v3, v4, v3
	v_mad_u64_u32 v[4:5], s[24:25], v4, v2, 0
	v_mul_lo_u32 v2, v7, v2
	v_add3_u32 v5, v5, v3, v2
	v_and_b32_e32 v2, 1, v9
	v_cmp_eq_u32_e64 s[24:25], 1, v2
	v_and_b32_e32 v2, 1, v10
	v_cmp_eq_u32_e64 s[26:27], 1, v2
	s_or_b64 s[24:25], s[24:25], s[26:27]
	v_cndmask_b32_e64 v9, 0, 1, s[24:25]
	v_cndmask_b32_e64 v7, 0, 1, s[24:25]
	v_mov_b64_e32 v[2:3], v[4:5]
.LBB391_172:
	s_or_b64 exec, exec, s[28:29]
	v_mov_b32_dpp v11, v4 row_shr:4 row_mask:0xf bank_mask:0xf
	v_mov_b32_dpp v12, v5 row_shr:4 row_mask:0xf bank_mask:0xf
	v_mov_b32_dpp v10, v7 row_shr:4 row_mask:0xf bank_mask:0xf
	v_cmp_lt_u32_e64 s[24:25], 3, v6
	s_and_saveexec_b64 s[28:29], s[24:25]
	s_cbranch_execz .LBB391_174
; %bb.173:
	v_cmp_eq_u16_e64 s[24:25], 0, v9
	s_nop 1
	v_cndmask_b32_e64 v4, 1, v11, s[24:25]
	v_cndmask_b32_e64 v7, 0, v12, s[24:25]
	v_mul_lo_u32 v3, v4, v3
	v_mad_u64_u32 v[4:5], s[24:25], v4, v2, 0
	v_mul_lo_u32 v2, v7, v2
	v_add3_u32 v5, v5, v3, v2
	v_and_b32_e32 v2, 1, v9
	v_cmp_eq_u32_e64 s[24:25], 1, v2
	v_and_b32_e32 v2, 1, v10
	v_cmp_eq_u32_e64 s[26:27], 1, v2
	s_or_b64 s[24:25], s[24:25], s[26:27]
	v_cndmask_b32_e64 v9, 0, 1, s[24:25]
	v_cndmask_b32_e64 v7, 0, 1, s[24:25]
	v_mov_b64_e32 v[2:3], v[4:5]
.LBB391_174:
	s_or_b64 exec, exec, s[28:29]
	;; [unrolled: 25-line block ×3, first 2 shown]
	v_and_b32_e32 v12, 16, v8
	v_mov_b32_dpp v10, v4 row_bcast:15 row_mask:0xf bank_mask:0xf
	v_mov_b32_dpp v11, v5 row_bcast:15 row_mask:0xf bank_mask:0xf
	v_mov_b32_dpp v6, v7 row_bcast:15 row_mask:0xf bank_mask:0xf
	v_cmp_ne_u32_e64 s[24:25], 0, v12
	s_and_saveexec_b64 s[28:29], s[24:25]
	s_cbranch_execz .LBB391_178
; %bb.177:
	v_cmp_eq_u16_e64 s[24:25], 0, v9
	s_nop 1
	v_cndmask_b32_e64 v4, 1, v10, s[24:25]
	v_cndmask_b32_e64 v7, 0, v11, s[24:25]
	v_mul_lo_u32 v3, v4, v3
	v_mad_u64_u32 v[4:5], s[24:25], v4, v2, 0
	v_mul_lo_u32 v2, v7, v2
	v_add3_u32 v5, v5, v3, v2
	v_and_b32_e32 v2, 1, v9
	v_cmp_eq_u32_e64 s[24:25], 1, v2
	v_and_b32_e32 v2, 1, v6
	v_cmp_eq_u32_e64 s[26:27], 1, v2
	s_or_b64 s[24:25], s[24:25], s[26:27]
	v_cndmask_b32_e64 v9, 0, 1, s[24:25]
	v_cndmask_b32_e64 v7, 0, 1, s[24:25]
	v_mov_b64_e32 v[2:3], v[4:5]
.LBB391_178:
	s_or_b64 exec, exec, s[28:29]
	v_mov_b32_dpp v6, v4 row_bcast:31 row_mask:0xf bank_mask:0xf
	v_mov_b32_dpp v5, v5 row_bcast:31 row_mask:0xf bank_mask:0xf
	v_mov_b32_dpp v4, v7 row_bcast:31 row_mask:0xf bank_mask:0xf
	v_cmp_lt_u32_e64 s[24:25], 31, v8
	s_and_saveexec_b64 s[28:29], s[24:25]
	s_cbranch_execz .LBB391_180
; %bb.179:
	v_cmp_eq_u16_e64 s[24:25], 0, v9
	s_nop 1
	v_cndmask_b32_e64 v6, 1, v6, s[24:25]
	v_cndmask_b32_e64 v5, 0, v5, s[24:25]
	v_mul_lo_u32 v3, v6, v3
	v_mad_u64_u32 v[6:7], s[24:25], v6, v2, 0
	v_mul_lo_u32 v2, v5, v2
	v_add3_u32 v7, v7, v3, v2
	v_and_b32_e32 v2, 1, v9
	v_cmp_eq_u32_e64 s[24:25], 1, v2
	v_and_b32_e32 v2, 1, v4
	v_cmp_eq_u32_e64 s[26:27], 1, v2
	s_or_b64 s[24:25], s[24:25], s[26:27]
	v_cndmask_b32_e64 v9, 0, 1, s[24:25]
	v_mov_b64_e32 v[2:3], v[6:7]
.LBB391_180:
	s_or_b64 exec, exec, s[28:29]
	v_or_b32_e32 v4, 63, v0
	v_lshrrev_b32_e32 v10, 6, v0
	v_cmp_eq_u32_e64 s[24:25], v4, v0
	s_and_saveexec_b64 s[26:27], s[24:25]
	s_cbranch_execz .LBB391_182
; %bb.181:
	v_lshlrev_b32_e32 v4, 4, v10
	ds_write_b64 v4, v[2:3]
	ds_write_b8 v4, v9 offset:8
.LBB391_182:
	s_or_b64 exec, exec, s[26:27]
	v_cmp_gt_u32_e64 s[24:25], 4, v0
	s_waitcnt lgkmcnt(0)
	s_barrier
	s_and_saveexec_b64 s[28:29], s[24:25]
	s_cbranch_execz .LBB391_188
; %bb.183:
	v_lshlrev_b32_e32 v11, 4, v0
	ds_read_b64 v[4:5], v11
	ds_read_b32 v12, v11 offset:8
	v_and_b32_e32 v13, 3, v8
	v_cmp_ne_u32_e64 s[24:25], 0, v13
	s_waitcnt lgkmcnt(1)
	v_mov_b32_dpp v17, v4 row_shr:1 row_mask:0xf bank_mask:0xf
	v_mov_b32_dpp v18, v5 row_shr:1 row_mask:0xf bank_mask:0xf
	s_waitcnt lgkmcnt(0)
	v_mov_b32_dpp v16, v12 row_shr:1 row_mask:0xf bank_mask:0xf
	v_mov_b32_e32 v15, v12
	v_mov_b32_e32 v14, v12
	;; [unrolled: 1-line block ×4, first 2 shown]
	s_and_saveexec_b64 s[26:27], s[24:25]
	s_cbranch_execz .LBB391_185
; %bb.184:
	v_mov_b32_e32 v6, 0
	v_cmp_eq_u16_sdwa s[24:25], v12, v6 src0_sel:BYTE_0 src1_sel:DWORD
	s_nop 1
	v_cndmask_b32_e64 v6, 1, v17, s[24:25]
	v_cndmask_b32_e64 v14, 0, v18, s[24:25]
	v_mul_lo_u32 v5, v6, v5
	v_mad_u64_u32 v[6:7], s[24:25], v6, v4, 0
	v_mul_lo_u32 v4, v14, v4
	v_add3_u32 v7, v7, v5, v4
	v_or_b32_e32 v4, v16, v12
	v_and_b32_e32 v14, 1, v4
	s_movk_i32 s24, 0xff00
	v_and_b32_e32 v15, 1, v4
	v_and_or_b32 v12, v12, s24, v14
	v_mov_b64_e32 v[4:5], v[6:7]
.LBB391_185:
	s_or_b64 exec, exec, s[26:27]
	v_mov_b32_dpp v16, v6 row_shr:2 row_mask:0xf bank_mask:0xf
	v_mov_b32_dpp v7, v7 row_shr:2 row_mask:0xf bank_mask:0xf
	;; [unrolled: 1-line block ×3, first 2 shown]
	v_cmp_lt_u32_e64 s[24:25], 1, v13
	s_and_saveexec_b64 s[30:31], s[24:25]
	s_cbranch_execz .LBB391_187
; %bb.186:
	v_mov_b32_e32 v12, 0
	v_cmp_eq_u16_sdwa s[24:25], v14, v12 src0_sel:BYTE_0 src1_sel:DWORD
	s_nop 1
	v_cndmask_b32_e64 v12, 1, v16, s[24:25]
	v_cndmask_b32_e64 v7, 0, v7, s[24:25]
	v_mul_lo_u32 v5, v12, v5
	v_mad_u64_u32 v[12:13], s[24:25], v12, v4, 0
	v_mul_lo_u32 v4, v7, v4
	v_add3_u32 v13, v13, v5, v4
	v_and_b32_e32 v4, 1, v14
	v_cmp_eq_u32_e64 s[24:25], 1, v4
	v_and_b32_e32 v4, 1, v6
	v_cmp_eq_u32_e64 s[26:27], 1, v4
	s_or_b64 s[24:25], s[24:25], s[26:27]
	v_cndmask_b32_e64 v15, 0, 1, s[24:25]
	v_mov_b64_e32 v[4:5], v[12:13]
.LBB391_187:
	s_or_b64 exec, exec, s[30:31]
	ds_write_b64 v11, v[4:5]
	ds_write_b8 v11, v15 offset:8
.LBB391_188:
	s_or_b64 exec, exec, s[28:29]
	v_cmp_lt_u32_e64 s[24:25], 63, v0
	s_waitcnt vmcnt(0)
	v_mov_b64_e32 v[4:5], v[32:33]
	s_waitcnt lgkmcnt(0)
	s_barrier
	s_and_saveexec_b64 s[26:27], s[24:25]
	s_cbranch_execz .LBB391_190
; %bb.189:
	v_lshl_add_u32 v4, v10, 4, -16
	ds_read_u8 v6, v4 offset:8
	ds_read_b64 v[4:5], v4
	s_waitcnt lgkmcnt(1)
	v_cmp_eq_u16_e64 s[24:25], 0, v6
	s_nop 1
	v_cndmask_b32_e64 v6, 1, v32, s[24:25]
	v_cndmask_b32_e64 v7, 0, v33, s[24:25]
	s_waitcnt lgkmcnt(0)
	v_mul_lo_u32 v10, v6, v5
	v_mul_lo_u32 v7, v7, v4
	v_mad_u64_u32 v[4:5], s[24:25], v6, v4, 0
	v_add3_u32 v5, v5, v10, v7
.LBB391_190:
	s_or_b64 exec, exec, s[26:27]
	v_cmp_eq_u16_e64 s[24:25], 0, v9
	v_mov_b32_e32 v28, 0
	v_cmp_eq_u16_sdwa s[26:27], v1, v28 src0_sel:BYTE_0 src1_sel:DWORD
	v_cndmask_b32_e64 v6, 1, v4, s[24:25]
	v_cndmask_b32_e64 v7, 0, v5, s[24:25]
	v_mul_lo_u32 v7, v7, v2
	v_mul_lo_u32 v9, v6, v3
	v_mad_u64_u32 v[2:3], s[24:25], v6, v2, 0
	v_add3_u32 v3, v3, v9, v7
	v_add_u32_e32 v6, -1, v8
	v_and_b32_e32 v7, 64, v8
	v_cmp_lt_i32_e64 s[24:25], v6, v7
	s_nop 1
	v_cndmask_b32_e64 v6, v6, v8, s[24:25]
	v_lshlrev_b32_e32 v6, 2, v6
	ds_bpermute_b32 v3, v6, v3
	ds_bpermute_b32 v2, v6, v2
	v_cmp_eq_u32_e64 s[24:25], 0, v8
	s_waitcnt lgkmcnt(1)
	s_nop 0
	v_cndmask_b32_e64 v3, v3, v5, s[24:25]
	s_waitcnt lgkmcnt(0)
	v_cndmask_b32_e64 v2, v2, v4, s[24:25]
	v_cmp_eq_u32_e64 s[24:25], 0, v0
	s_nop 1
	v_cndmask_b32_e64 v4, v3, v33, s[24:25]
	v_cndmask_b32_e64 v5, v2, v32, s[24:25]
	;; [unrolled: 1-line block ×4, first 2 shown]
	v_mul_lo_u32 v1, v1, v54
	v_mul_lo_u32 v6, v4, v55
	v_mad_u64_u32 v[4:5], s[26:27], v4, v54, 0
	v_add3_u32 v5, v5, v6, v1
	v_cndmask_b32_e32 v1, 0, v5, vcc
	v_cndmask_b32_e32 v6, 1, v4, vcc
	v_mul_lo_u32 v1, v1, v50
	v_mul_lo_u32 v8, v6, v51
	v_mad_u64_u32 v[6:7], s[26:27], v6, v50, 0
	v_add3_u32 v7, v7, v8, v1
	v_cndmask_b32_e64 v1, 0, v7, s[2:3]
	v_cndmask_b32_e64 v8, 1, v6, s[2:3]
	v_mul_lo_u32 v1, v1, v52
	v_mul_lo_u32 v10, v8, v53
	v_mad_u64_u32 v[8:9], s[2:3], v8, v52, 0
	v_add3_u32 v9, v9, v10, v1
	v_cndmask_b32_e64 v1, 0, v9, s[4:5]
	v_cndmask_b32_e64 v10, 1, v8, s[4:5]
	;; [unrolled: 6-line block ×11, first 2 shown]
	s_and_saveexec_b64 s[2:3], s[24:25]
	s_cbranch_execz .LBB391_192
; %bb.191:
	ds_read_u8 v1, v28 offset:56
	ds_read_b64 v[2:3], v28 offset:48
	s_waitcnt lgkmcnt(1)
	v_cmp_eq_u32_e32 vcc, 0, v1
	s_nop 1
	v_cndmask_b32_e32 v34, 1, v32, vcc
	v_cndmask_b32_e32 v29, 0, v33, vcc
	s_waitcnt lgkmcnt(0)
	v_mul_lo_u32 v3, v34, v3
	v_mul_hi_u32 v35, v34, v2
	v_mul_lo_u32 v29, v29, v2
	v_add_u32_e32 v3, v35, v3
	v_add_u32_e32 v3, v3, v29
	v_mul_lo_u32 v2, v34, v2
	global_store_dword v28, v2, s[38:39] offset:1024 sc1
	global_store_dword v28, v3, s[38:39] offset:1028 sc1
	;; [unrolled: 1-line block ×4, first 2 shown]
	v_mov_b32_e32 v1, 2
	v_mov_b64_e32 v[2:3], v[32:33]
	s_waitcnt vmcnt(0)
	global_store_byte v28, v1, s[40:41] offset:64 sc1
.LBB391_192:
	s_or_b64 exec, exec, s[2:3]
.LBB391_193:
	s_add_u32 s4, s50, s34
	s_addc_u32 s5, s51, s35
	v_mul_lo_u32 v1, v61, v30
	v_mul_lo_u32 v31, v60, v31
	v_mad_u64_u32 v[28:29], s[2:3], v60, v30, 0
	v_add3_u32 v29, v29, v31, v1
	s_add_u32 s2, s4, s44
	v_mul_u32_u24_e32 v1, 14, v0
	s_addc_u32 s3, s5, s45
	s_and_b64 vcc, exec, s[0:1]
	v_lshlrev_b32_e32 v60, 3, v1
	s_cbranch_vccz .LBB391_221
; %bb.194:
	s_movk_i32 s0, 0xff98
	v_mad_i32_i24 v1, v0, s0, v60
	s_barrier
	ds_write_b128 v60, v[2:5]
	ds_write_b128 v60, v[6:9] offset:16
	ds_write_b128 v60, v[10:13] offset:32
	;; [unrolled: 1-line block ×6, first 2 shown]
	s_waitcnt lgkmcnt(0)
	s_barrier
	ds_read2st64_b64 v[52:55], v1 offset0:4 offset1:8
	ds_read2st64_b64 v[48:51], v1 offset0:12 offset1:16
	;; [unrolled: 1-line block ×6, first 2 shown]
	ds_read_b64 v[30:31], v1 offset:26624
	s_add_i32 s33, s33, s42
	v_mov_b32_e32 v59, 0
	v_lshl_add_u64 v[56:57], s[2:3], 0, v[58:59]
	v_cmp_gt_u32_e32 vcc, s33, v0
	s_and_saveexec_b64 s[0:1], vcc
	s_cbranch_execz .LBB391_196
; %bb.195:
	v_mul_i32_i24_e32 v1, 0xffffff98, v0
	v_add_u32_e32 v1, v60, v1
	ds_read_b64 v[62:63], v1
	s_waitcnt lgkmcnt(0)
	flat_store_dwordx2 v[56:57], v[62:63]
.LBB391_196:
	s_or_b64 exec, exec, s[0:1]
	v_or_b32_e32 v1, 0x100, v0
	v_cmp_gt_u32_e32 vcc, s33, v1
	s_and_saveexec_b64 s[0:1], vcc
	s_cbranch_execz .LBB391_198
; %bb.197:
	s_waitcnt lgkmcnt(0)
	flat_store_dwordx2 v[56:57], v[52:53] offset:2048
.LBB391_198:
	s_or_b64 exec, exec, s[0:1]
	v_or_b32_e32 v1, 0x200, v0
	v_cmp_gt_u32_e32 vcc, s33, v1
	s_and_saveexec_b64 s[0:1], vcc
	s_cbranch_execz .LBB391_200
; %bb.199:
	s_waitcnt lgkmcnt(0)
	v_add_co_u32_e32 v52, vcc, 0x1000, v56
	s_nop 1
	v_addc_co_u32_e32 v53, vcc, 0, v57, vcc
	flat_store_dwordx2 v[52:53], v[54:55]
.LBB391_200:
	s_or_b64 exec, exec, s[0:1]
	v_or_b32_e32 v1, 0x300, v0
	v_cmp_gt_u32_e32 vcc, s33, v1
	s_and_saveexec_b64 s[0:1], vcc
	s_cbranch_execz .LBB391_202
; %bb.201:
	s_waitcnt lgkmcnt(0)
	v_add_co_u32_e32 v52, vcc, 0x1000, v56
	s_nop 1
	v_addc_co_u32_e32 v53, vcc, 0, v57, vcc
	flat_store_dwordx2 v[52:53], v[48:49] offset:2048
.LBB391_202:
	s_or_b64 exec, exec, s[0:1]
	v_or_b32_e32 v1, 0x400, v0
	v_cmp_gt_u32_e32 vcc, s33, v1
	s_and_saveexec_b64 s[0:1], vcc
	s_cbranch_execz .LBB391_204
; %bb.203:
	s_waitcnt lgkmcnt(0)
	v_add_co_u32_e32 v48, vcc, 0x2000, v56
	s_nop 1
	v_addc_co_u32_e32 v49, vcc, 0, v57, vcc
	flat_store_dwordx2 v[48:49], v[50:51]
.LBB391_204:
	s_or_b64 exec, exec, s[0:1]
	v_or_b32_e32 v1, 0x500, v0
	v_cmp_gt_u32_e32 vcc, s33, v1
	s_and_saveexec_b64 s[0:1], vcc
	s_cbranch_execz .LBB391_206
; %bb.205:
	s_waitcnt lgkmcnt(0)
	v_add_co_u32_e32 v48, vcc, 0x2000, v56
	s_nop 1
	v_addc_co_u32_e32 v49, vcc, 0, v57, vcc
	flat_store_dwordx2 v[48:49], v[44:45] offset:2048
.LBB391_206:
	;; [unrolled: 24-line block ×5, first 2 shown]
	s_or_b64 exec, exec, s[0:1]
	v_or_b32_e32 v1, 0xc00, v0
	v_cmp_gt_u32_e32 vcc, s33, v1
	s_and_saveexec_b64 s[0:1], vcc
	s_cbranch_execz .LBB391_220
; %bb.219:
	s_waitcnt lgkmcnt(0)
	v_add_co_u32_e32 v32, vcc, 0x6000, v56
	s_nop 1
	v_addc_co_u32_e32 v33, vcc, 0, v57, vcc
	flat_store_dwordx2 v[32:33], v[34:35]
.LBB391_220:
	s_or_b64 exec, exec, s[0:1]
	s_waitcnt lgkmcnt(0)
	v_or_b32_e32 v32, 0xd00, v0
	v_mov_b32_e32 v1, v59
	v_cmp_gt_u32_e64 s[0:1], s33, v32
	s_branch .LBB391_223
.LBB391_221:
	s_mov_b64 s[0:1], 0
                                        ; implicit-def: $vgpr30_vgpr31
	s_cbranch_execz .LBB391_223
; %bb.222:
	v_mov_b32_e32 v1, 0
	s_movk_i32 s4, 0xff98
	s_barrier
	ds_write_b128 v60, v[2:5]
	ds_write_b128 v60, v[6:9] offset:16
	ds_write_b128 v60, v[10:13] offset:32
	;; [unrolled: 1-line block ×6, first 2 shown]
	v_mad_i32_i24 v26, v0, s4, v60
	v_mov_b32_e32 v59, v1
	s_waitcnt lgkmcnt(0)
	s_barrier
	ds_read2st64_b64 v[2:5], v26 offset1:4
	ds_read2st64_b64 v[6:9], v26 offset0:8 offset1:12
	ds_read2st64_b64 v[10:13], v26 offset0:16 offset1:20
	;; [unrolled: 1-line block ×6, first 2 shown]
	v_lshl_add_u64 v[26:27], s[2:3], 0, v[58:59]
	s_movk_i32 s4, 0x1000
	s_waitcnt lgkmcnt(0)
	flat_store_dwordx2 v[26:27], v[2:3]
	flat_store_dwordx2 v[26:27], v[4:5] offset:2048
	v_add_co_u32_e32 v2, vcc, s4, v26
	s_movk_i32 s4, 0x2000
	s_nop 0
	v_addc_co_u32_e32 v3, vcc, 0, v27, vcc
	flat_store_dwordx2 v[2:3], v[6:7]
	flat_store_dwordx2 v[2:3], v[8:9] offset:2048
	v_add_co_u32_e32 v2, vcc, s4, v26
	s_movk_i32 s4, 0x3000
	s_nop 0
	v_addc_co_u32_e32 v3, vcc, 0, v27, vcc
	;; [unrolled: 6-line block ×3, first 2 shown]
	flat_store_dwordx2 v[2:3], v[14:15]
	flat_store_dwordx2 v[2:3], v[16:17] offset:2048
	v_add_co_u32_e32 v2, vcc, s4, v26
	s_or_b64 s[0:1], s[0:1], exec
	s_nop 0
	v_addc_co_u32_e32 v3, vcc, 0, v27, vcc
	flat_store_dwordx2 v[2:3], v[18:19]
	flat_store_dwordx2 v[2:3], v[20:21] offset:2048
	v_add_co_u32_e32 v2, vcc, 0x5000, v26
	s_nop 1
	v_addc_co_u32_e32 v3, vcc, 0, v27, vcc
	flat_store_dwordx2 v[2:3], v[22:23]
	flat_store_dwordx2 v[2:3], v[24:25] offset:2048
	v_add_co_u32_e32 v2, vcc, 0x6000, v26
	s_nop 1
	v_addc_co_u32_e32 v3, vcc, 0, v27, vcc
	flat_store_dwordx2 v[2:3], v[28:29]
.LBB391_223:
	s_and_saveexec_b64 s[4:5], s[0:1]
	s_cbranch_execz .LBB391_225
; %bb.224:
	v_lshl_add_u64 v[0:1], v[0:1], 3, s[2:3]
	v_add_co_u32_e32 v0, vcc, 0x6000, v0
	s_nop 1
	v_addc_co_u32_e32 v1, vcc, 0, v1, vcc
	flat_store_dwordx2 v[0:1], v[30:31] offset:2048
	s_endpgm
.LBB391_225:
	s_endpgm
	.section	.rodata,"a",@progbits
	.p2align	6, 0x0
	.amdhsa_kernel _ZN7rocprim17ROCPRIM_400000_NS6detail17trampoline_kernelINS0_14default_configENS1_27scan_by_key_config_selectorIxxEEZZNS1_16scan_by_key_implILNS1_25lookback_scan_determinismE0ELb1ES3_N6thrust23THRUST_200600_302600_NS6detail15normal_iteratorINS9_10device_ptrIxEEEESE_SE_xNS9_10multipliesIxEENS9_8equal_toIxEExEE10hipError_tPvRmT2_T3_T4_T5_mT6_T7_P12ihipStream_tbENKUlT_T0_E_clISt17integral_constantIbLb0EESZ_EEDaSU_SV_EUlSU_E_NS1_11comp_targetILNS1_3genE5ELNS1_11target_archE942ELNS1_3gpuE9ELNS1_3repE0EEENS1_30default_config_static_selectorELNS0_4arch9wavefront6targetE1EEEvT1_
		.amdhsa_group_segment_fixed_size 32768
		.amdhsa_private_segment_fixed_size 0
		.amdhsa_kernarg_size 136
		.amdhsa_user_sgpr_count 2
		.amdhsa_user_sgpr_dispatch_ptr 0
		.amdhsa_user_sgpr_queue_ptr 0
		.amdhsa_user_sgpr_kernarg_segment_ptr 1
		.amdhsa_user_sgpr_dispatch_id 0
		.amdhsa_user_sgpr_kernarg_preload_length 0
		.amdhsa_user_sgpr_kernarg_preload_offset 0
		.amdhsa_user_sgpr_private_segment_size 0
		.amdhsa_uses_dynamic_stack 0
		.amdhsa_enable_private_segment 0
		.amdhsa_system_sgpr_workgroup_id_x 1
		.amdhsa_system_sgpr_workgroup_id_y 0
		.amdhsa_system_sgpr_workgroup_id_z 0
		.amdhsa_system_sgpr_workgroup_info 0
		.amdhsa_system_vgpr_workitem_id 0
		.amdhsa_next_free_vgpr 87
		.amdhsa_next_free_sgpr 64
		.amdhsa_accum_offset 88
		.amdhsa_reserve_vcc 1
		.amdhsa_float_round_mode_32 0
		.amdhsa_float_round_mode_16_64 0
		.amdhsa_float_denorm_mode_32 3
		.amdhsa_float_denorm_mode_16_64 3
		.amdhsa_dx10_clamp 1
		.amdhsa_ieee_mode 1
		.amdhsa_fp16_overflow 0
		.amdhsa_tg_split 0
		.amdhsa_exception_fp_ieee_invalid_op 0
		.amdhsa_exception_fp_denorm_src 0
		.amdhsa_exception_fp_ieee_div_zero 0
		.amdhsa_exception_fp_ieee_overflow 0
		.amdhsa_exception_fp_ieee_underflow 0
		.amdhsa_exception_fp_ieee_inexact 0
		.amdhsa_exception_int_div_zero 0
	.end_amdhsa_kernel
	.section	.text._ZN7rocprim17ROCPRIM_400000_NS6detail17trampoline_kernelINS0_14default_configENS1_27scan_by_key_config_selectorIxxEEZZNS1_16scan_by_key_implILNS1_25lookback_scan_determinismE0ELb1ES3_N6thrust23THRUST_200600_302600_NS6detail15normal_iteratorINS9_10device_ptrIxEEEESE_SE_xNS9_10multipliesIxEENS9_8equal_toIxEExEE10hipError_tPvRmT2_T3_T4_T5_mT6_T7_P12ihipStream_tbENKUlT_T0_E_clISt17integral_constantIbLb0EESZ_EEDaSU_SV_EUlSU_E_NS1_11comp_targetILNS1_3genE5ELNS1_11target_archE942ELNS1_3gpuE9ELNS1_3repE0EEENS1_30default_config_static_selectorELNS0_4arch9wavefront6targetE1EEEvT1_,"axG",@progbits,_ZN7rocprim17ROCPRIM_400000_NS6detail17trampoline_kernelINS0_14default_configENS1_27scan_by_key_config_selectorIxxEEZZNS1_16scan_by_key_implILNS1_25lookback_scan_determinismE0ELb1ES3_N6thrust23THRUST_200600_302600_NS6detail15normal_iteratorINS9_10device_ptrIxEEEESE_SE_xNS9_10multipliesIxEENS9_8equal_toIxEExEE10hipError_tPvRmT2_T3_T4_T5_mT6_T7_P12ihipStream_tbENKUlT_T0_E_clISt17integral_constantIbLb0EESZ_EEDaSU_SV_EUlSU_E_NS1_11comp_targetILNS1_3genE5ELNS1_11target_archE942ELNS1_3gpuE9ELNS1_3repE0EEENS1_30default_config_static_selectorELNS0_4arch9wavefront6targetE1EEEvT1_,comdat
.Lfunc_end391:
	.size	_ZN7rocprim17ROCPRIM_400000_NS6detail17trampoline_kernelINS0_14default_configENS1_27scan_by_key_config_selectorIxxEEZZNS1_16scan_by_key_implILNS1_25lookback_scan_determinismE0ELb1ES3_N6thrust23THRUST_200600_302600_NS6detail15normal_iteratorINS9_10device_ptrIxEEEESE_SE_xNS9_10multipliesIxEENS9_8equal_toIxEExEE10hipError_tPvRmT2_T3_T4_T5_mT6_T7_P12ihipStream_tbENKUlT_T0_E_clISt17integral_constantIbLb0EESZ_EEDaSU_SV_EUlSU_E_NS1_11comp_targetILNS1_3genE5ELNS1_11target_archE942ELNS1_3gpuE9ELNS1_3repE0EEENS1_30default_config_static_selectorELNS0_4arch9wavefront6targetE1EEEvT1_, .Lfunc_end391-_ZN7rocprim17ROCPRIM_400000_NS6detail17trampoline_kernelINS0_14default_configENS1_27scan_by_key_config_selectorIxxEEZZNS1_16scan_by_key_implILNS1_25lookback_scan_determinismE0ELb1ES3_N6thrust23THRUST_200600_302600_NS6detail15normal_iteratorINS9_10device_ptrIxEEEESE_SE_xNS9_10multipliesIxEENS9_8equal_toIxEExEE10hipError_tPvRmT2_T3_T4_T5_mT6_T7_P12ihipStream_tbENKUlT_T0_E_clISt17integral_constantIbLb0EESZ_EEDaSU_SV_EUlSU_E_NS1_11comp_targetILNS1_3genE5ELNS1_11target_archE942ELNS1_3gpuE9ELNS1_3repE0EEENS1_30default_config_static_selectorELNS0_4arch9wavefront6targetE1EEEvT1_
                                        ; -- End function
	.section	.AMDGPU.csdata,"",@progbits
; Kernel info:
; codeLenInByte = 15172
; NumSgprs: 70
; NumVgprs: 87
; NumAgprs: 0
; TotalNumVgprs: 87
; ScratchSize: 0
; MemoryBound: 0
; FloatMode: 240
; IeeeMode: 1
; LDSByteSize: 32768 bytes/workgroup (compile time only)
; SGPRBlocks: 8
; VGPRBlocks: 10
; NumSGPRsForWavesPerEU: 70
; NumVGPRsForWavesPerEU: 87
; AccumOffset: 88
; Occupancy: 2
; WaveLimiterHint : 1
; COMPUTE_PGM_RSRC2:SCRATCH_EN: 0
; COMPUTE_PGM_RSRC2:USER_SGPR: 2
; COMPUTE_PGM_RSRC2:TRAP_HANDLER: 0
; COMPUTE_PGM_RSRC2:TGID_X_EN: 1
; COMPUTE_PGM_RSRC2:TGID_Y_EN: 0
; COMPUTE_PGM_RSRC2:TGID_Z_EN: 0
; COMPUTE_PGM_RSRC2:TIDIG_COMP_CNT: 0
; COMPUTE_PGM_RSRC3_GFX90A:ACCUM_OFFSET: 21
; COMPUTE_PGM_RSRC3_GFX90A:TG_SPLIT: 0
	.section	.text._ZN7rocprim17ROCPRIM_400000_NS6detail17trampoline_kernelINS0_14default_configENS1_27scan_by_key_config_selectorIxxEEZZNS1_16scan_by_key_implILNS1_25lookback_scan_determinismE0ELb1ES3_N6thrust23THRUST_200600_302600_NS6detail15normal_iteratorINS9_10device_ptrIxEEEESE_SE_xNS9_10multipliesIxEENS9_8equal_toIxEExEE10hipError_tPvRmT2_T3_T4_T5_mT6_T7_P12ihipStream_tbENKUlT_T0_E_clISt17integral_constantIbLb0EESZ_EEDaSU_SV_EUlSU_E_NS1_11comp_targetILNS1_3genE4ELNS1_11target_archE910ELNS1_3gpuE8ELNS1_3repE0EEENS1_30default_config_static_selectorELNS0_4arch9wavefront6targetE1EEEvT1_,"axG",@progbits,_ZN7rocprim17ROCPRIM_400000_NS6detail17trampoline_kernelINS0_14default_configENS1_27scan_by_key_config_selectorIxxEEZZNS1_16scan_by_key_implILNS1_25lookback_scan_determinismE0ELb1ES3_N6thrust23THRUST_200600_302600_NS6detail15normal_iteratorINS9_10device_ptrIxEEEESE_SE_xNS9_10multipliesIxEENS9_8equal_toIxEExEE10hipError_tPvRmT2_T3_T4_T5_mT6_T7_P12ihipStream_tbENKUlT_T0_E_clISt17integral_constantIbLb0EESZ_EEDaSU_SV_EUlSU_E_NS1_11comp_targetILNS1_3genE4ELNS1_11target_archE910ELNS1_3gpuE8ELNS1_3repE0EEENS1_30default_config_static_selectorELNS0_4arch9wavefront6targetE1EEEvT1_,comdat
	.protected	_ZN7rocprim17ROCPRIM_400000_NS6detail17trampoline_kernelINS0_14default_configENS1_27scan_by_key_config_selectorIxxEEZZNS1_16scan_by_key_implILNS1_25lookback_scan_determinismE0ELb1ES3_N6thrust23THRUST_200600_302600_NS6detail15normal_iteratorINS9_10device_ptrIxEEEESE_SE_xNS9_10multipliesIxEENS9_8equal_toIxEExEE10hipError_tPvRmT2_T3_T4_T5_mT6_T7_P12ihipStream_tbENKUlT_T0_E_clISt17integral_constantIbLb0EESZ_EEDaSU_SV_EUlSU_E_NS1_11comp_targetILNS1_3genE4ELNS1_11target_archE910ELNS1_3gpuE8ELNS1_3repE0EEENS1_30default_config_static_selectorELNS0_4arch9wavefront6targetE1EEEvT1_ ; -- Begin function _ZN7rocprim17ROCPRIM_400000_NS6detail17trampoline_kernelINS0_14default_configENS1_27scan_by_key_config_selectorIxxEEZZNS1_16scan_by_key_implILNS1_25lookback_scan_determinismE0ELb1ES3_N6thrust23THRUST_200600_302600_NS6detail15normal_iteratorINS9_10device_ptrIxEEEESE_SE_xNS9_10multipliesIxEENS9_8equal_toIxEExEE10hipError_tPvRmT2_T3_T4_T5_mT6_T7_P12ihipStream_tbENKUlT_T0_E_clISt17integral_constantIbLb0EESZ_EEDaSU_SV_EUlSU_E_NS1_11comp_targetILNS1_3genE4ELNS1_11target_archE910ELNS1_3gpuE8ELNS1_3repE0EEENS1_30default_config_static_selectorELNS0_4arch9wavefront6targetE1EEEvT1_
	.globl	_ZN7rocprim17ROCPRIM_400000_NS6detail17trampoline_kernelINS0_14default_configENS1_27scan_by_key_config_selectorIxxEEZZNS1_16scan_by_key_implILNS1_25lookback_scan_determinismE0ELb1ES3_N6thrust23THRUST_200600_302600_NS6detail15normal_iteratorINS9_10device_ptrIxEEEESE_SE_xNS9_10multipliesIxEENS9_8equal_toIxEExEE10hipError_tPvRmT2_T3_T4_T5_mT6_T7_P12ihipStream_tbENKUlT_T0_E_clISt17integral_constantIbLb0EESZ_EEDaSU_SV_EUlSU_E_NS1_11comp_targetILNS1_3genE4ELNS1_11target_archE910ELNS1_3gpuE8ELNS1_3repE0EEENS1_30default_config_static_selectorELNS0_4arch9wavefront6targetE1EEEvT1_
	.p2align	8
	.type	_ZN7rocprim17ROCPRIM_400000_NS6detail17trampoline_kernelINS0_14default_configENS1_27scan_by_key_config_selectorIxxEEZZNS1_16scan_by_key_implILNS1_25lookback_scan_determinismE0ELb1ES3_N6thrust23THRUST_200600_302600_NS6detail15normal_iteratorINS9_10device_ptrIxEEEESE_SE_xNS9_10multipliesIxEENS9_8equal_toIxEExEE10hipError_tPvRmT2_T3_T4_T5_mT6_T7_P12ihipStream_tbENKUlT_T0_E_clISt17integral_constantIbLb0EESZ_EEDaSU_SV_EUlSU_E_NS1_11comp_targetILNS1_3genE4ELNS1_11target_archE910ELNS1_3gpuE8ELNS1_3repE0EEENS1_30default_config_static_selectorELNS0_4arch9wavefront6targetE1EEEvT1_,@function
_ZN7rocprim17ROCPRIM_400000_NS6detail17trampoline_kernelINS0_14default_configENS1_27scan_by_key_config_selectorIxxEEZZNS1_16scan_by_key_implILNS1_25lookback_scan_determinismE0ELb1ES3_N6thrust23THRUST_200600_302600_NS6detail15normal_iteratorINS9_10device_ptrIxEEEESE_SE_xNS9_10multipliesIxEENS9_8equal_toIxEExEE10hipError_tPvRmT2_T3_T4_T5_mT6_T7_P12ihipStream_tbENKUlT_T0_E_clISt17integral_constantIbLb0EESZ_EEDaSU_SV_EUlSU_E_NS1_11comp_targetILNS1_3genE4ELNS1_11target_archE910ELNS1_3gpuE8ELNS1_3repE0EEENS1_30default_config_static_selectorELNS0_4arch9wavefront6targetE1EEEvT1_: ; @_ZN7rocprim17ROCPRIM_400000_NS6detail17trampoline_kernelINS0_14default_configENS1_27scan_by_key_config_selectorIxxEEZZNS1_16scan_by_key_implILNS1_25lookback_scan_determinismE0ELb1ES3_N6thrust23THRUST_200600_302600_NS6detail15normal_iteratorINS9_10device_ptrIxEEEESE_SE_xNS9_10multipliesIxEENS9_8equal_toIxEExEE10hipError_tPvRmT2_T3_T4_T5_mT6_T7_P12ihipStream_tbENKUlT_T0_E_clISt17integral_constantIbLb0EESZ_EEDaSU_SV_EUlSU_E_NS1_11comp_targetILNS1_3genE4ELNS1_11target_archE910ELNS1_3gpuE8ELNS1_3repE0EEENS1_30default_config_static_selectorELNS0_4arch9wavefront6targetE1EEEvT1_
; %bb.0:
	.section	.rodata,"a",@progbits
	.p2align	6, 0x0
	.amdhsa_kernel _ZN7rocprim17ROCPRIM_400000_NS6detail17trampoline_kernelINS0_14default_configENS1_27scan_by_key_config_selectorIxxEEZZNS1_16scan_by_key_implILNS1_25lookback_scan_determinismE0ELb1ES3_N6thrust23THRUST_200600_302600_NS6detail15normal_iteratorINS9_10device_ptrIxEEEESE_SE_xNS9_10multipliesIxEENS9_8equal_toIxEExEE10hipError_tPvRmT2_T3_T4_T5_mT6_T7_P12ihipStream_tbENKUlT_T0_E_clISt17integral_constantIbLb0EESZ_EEDaSU_SV_EUlSU_E_NS1_11comp_targetILNS1_3genE4ELNS1_11target_archE910ELNS1_3gpuE8ELNS1_3repE0EEENS1_30default_config_static_selectorELNS0_4arch9wavefront6targetE1EEEvT1_
		.amdhsa_group_segment_fixed_size 0
		.amdhsa_private_segment_fixed_size 0
		.amdhsa_kernarg_size 136
		.amdhsa_user_sgpr_count 2
		.amdhsa_user_sgpr_dispatch_ptr 0
		.amdhsa_user_sgpr_queue_ptr 0
		.amdhsa_user_sgpr_kernarg_segment_ptr 1
		.amdhsa_user_sgpr_dispatch_id 0
		.amdhsa_user_sgpr_kernarg_preload_length 0
		.amdhsa_user_sgpr_kernarg_preload_offset 0
		.amdhsa_user_sgpr_private_segment_size 0
		.amdhsa_uses_dynamic_stack 0
		.amdhsa_enable_private_segment 0
		.amdhsa_system_sgpr_workgroup_id_x 1
		.amdhsa_system_sgpr_workgroup_id_y 0
		.amdhsa_system_sgpr_workgroup_id_z 0
		.amdhsa_system_sgpr_workgroup_info 0
		.amdhsa_system_vgpr_workitem_id 0
		.amdhsa_next_free_vgpr 1
		.amdhsa_next_free_sgpr 0
		.amdhsa_accum_offset 4
		.amdhsa_reserve_vcc 0
		.amdhsa_float_round_mode_32 0
		.amdhsa_float_round_mode_16_64 0
		.amdhsa_float_denorm_mode_32 3
		.amdhsa_float_denorm_mode_16_64 3
		.amdhsa_dx10_clamp 1
		.amdhsa_ieee_mode 1
		.amdhsa_fp16_overflow 0
		.amdhsa_tg_split 0
		.amdhsa_exception_fp_ieee_invalid_op 0
		.amdhsa_exception_fp_denorm_src 0
		.amdhsa_exception_fp_ieee_div_zero 0
		.amdhsa_exception_fp_ieee_overflow 0
		.amdhsa_exception_fp_ieee_underflow 0
		.amdhsa_exception_fp_ieee_inexact 0
		.amdhsa_exception_int_div_zero 0
	.end_amdhsa_kernel
	.section	.text._ZN7rocprim17ROCPRIM_400000_NS6detail17trampoline_kernelINS0_14default_configENS1_27scan_by_key_config_selectorIxxEEZZNS1_16scan_by_key_implILNS1_25lookback_scan_determinismE0ELb1ES3_N6thrust23THRUST_200600_302600_NS6detail15normal_iteratorINS9_10device_ptrIxEEEESE_SE_xNS9_10multipliesIxEENS9_8equal_toIxEExEE10hipError_tPvRmT2_T3_T4_T5_mT6_T7_P12ihipStream_tbENKUlT_T0_E_clISt17integral_constantIbLb0EESZ_EEDaSU_SV_EUlSU_E_NS1_11comp_targetILNS1_3genE4ELNS1_11target_archE910ELNS1_3gpuE8ELNS1_3repE0EEENS1_30default_config_static_selectorELNS0_4arch9wavefront6targetE1EEEvT1_,"axG",@progbits,_ZN7rocprim17ROCPRIM_400000_NS6detail17trampoline_kernelINS0_14default_configENS1_27scan_by_key_config_selectorIxxEEZZNS1_16scan_by_key_implILNS1_25lookback_scan_determinismE0ELb1ES3_N6thrust23THRUST_200600_302600_NS6detail15normal_iteratorINS9_10device_ptrIxEEEESE_SE_xNS9_10multipliesIxEENS9_8equal_toIxEExEE10hipError_tPvRmT2_T3_T4_T5_mT6_T7_P12ihipStream_tbENKUlT_T0_E_clISt17integral_constantIbLb0EESZ_EEDaSU_SV_EUlSU_E_NS1_11comp_targetILNS1_3genE4ELNS1_11target_archE910ELNS1_3gpuE8ELNS1_3repE0EEENS1_30default_config_static_selectorELNS0_4arch9wavefront6targetE1EEEvT1_,comdat
.Lfunc_end392:
	.size	_ZN7rocprim17ROCPRIM_400000_NS6detail17trampoline_kernelINS0_14default_configENS1_27scan_by_key_config_selectorIxxEEZZNS1_16scan_by_key_implILNS1_25lookback_scan_determinismE0ELb1ES3_N6thrust23THRUST_200600_302600_NS6detail15normal_iteratorINS9_10device_ptrIxEEEESE_SE_xNS9_10multipliesIxEENS9_8equal_toIxEExEE10hipError_tPvRmT2_T3_T4_T5_mT6_T7_P12ihipStream_tbENKUlT_T0_E_clISt17integral_constantIbLb0EESZ_EEDaSU_SV_EUlSU_E_NS1_11comp_targetILNS1_3genE4ELNS1_11target_archE910ELNS1_3gpuE8ELNS1_3repE0EEENS1_30default_config_static_selectorELNS0_4arch9wavefront6targetE1EEEvT1_, .Lfunc_end392-_ZN7rocprim17ROCPRIM_400000_NS6detail17trampoline_kernelINS0_14default_configENS1_27scan_by_key_config_selectorIxxEEZZNS1_16scan_by_key_implILNS1_25lookback_scan_determinismE0ELb1ES3_N6thrust23THRUST_200600_302600_NS6detail15normal_iteratorINS9_10device_ptrIxEEEESE_SE_xNS9_10multipliesIxEENS9_8equal_toIxEExEE10hipError_tPvRmT2_T3_T4_T5_mT6_T7_P12ihipStream_tbENKUlT_T0_E_clISt17integral_constantIbLb0EESZ_EEDaSU_SV_EUlSU_E_NS1_11comp_targetILNS1_3genE4ELNS1_11target_archE910ELNS1_3gpuE8ELNS1_3repE0EEENS1_30default_config_static_selectorELNS0_4arch9wavefront6targetE1EEEvT1_
                                        ; -- End function
	.section	.AMDGPU.csdata,"",@progbits
; Kernel info:
; codeLenInByte = 0
; NumSgprs: 6
; NumVgprs: 0
; NumAgprs: 0
; TotalNumVgprs: 0
; ScratchSize: 0
; MemoryBound: 0
; FloatMode: 240
; IeeeMode: 1
; LDSByteSize: 0 bytes/workgroup (compile time only)
; SGPRBlocks: 0
; VGPRBlocks: 0
; NumSGPRsForWavesPerEU: 6
; NumVGPRsForWavesPerEU: 1
; AccumOffset: 4
; Occupancy: 8
; WaveLimiterHint : 0
; COMPUTE_PGM_RSRC2:SCRATCH_EN: 0
; COMPUTE_PGM_RSRC2:USER_SGPR: 2
; COMPUTE_PGM_RSRC2:TRAP_HANDLER: 0
; COMPUTE_PGM_RSRC2:TGID_X_EN: 1
; COMPUTE_PGM_RSRC2:TGID_Y_EN: 0
; COMPUTE_PGM_RSRC2:TGID_Z_EN: 0
; COMPUTE_PGM_RSRC2:TIDIG_COMP_CNT: 0
; COMPUTE_PGM_RSRC3_GFX90A:ACCUM_OFFSET: 0
; COMPUTE_PGM_RSRC3_GFX90A:TG_SPLIT: 0
	.section	.text._ZN7rocprim17ROCPRIM_400000_NS6detail17trampoline_kernelINS0_14default_configENS1_27scan_by_key_config_selectorIxxEEZZNS1_16scan_by_key_implILNS1_25lookback_scan_determinismE0ELb1ES3_N6thrust23THRUST_200600_302600_NS6detail15normal_iteratorINS9_10device_ptrIxEEEESE_SE_xNS9_10multipliesIxEENS9_8equal_toIxEExEE10hipError_tPvRmT2_T3_T4_T5_mT6_T7_P12ihipStream_tbENKUlT_T0_E_clISt17integral_constantIbLb0EESZ_EEDaSU_SV_EUlSU_E_NS1_11comp_targetILNS1_3genE3ELNS1_11target_archE908ELNS1_3gpuE7ELNS1_3repE0EEENS1_30default_config_static_selectorELNS0_4arch9wavefront6targetE1EEEvT1_,"axG",@progbits,_ZN7rocprim17ROCPRIM_400000_NS6detail17trampoline_kernelINS0_14default_configENS1_27scan_by_key_config_selectorIxxEEZZNS1_16scan_by_key_implILNS1_25lookback_scan_determinismE0ELb1ES3_N6thrust23THRUST_200600_302600_NS6detail15normal_iteratorINS9_10device_ptrIxEEEESE_SE_xNS9_10multipliesIxEENS9_8equal_toIxEExEE10hipError_tPvRmT2_T3_T4_T5_mT6_T7_P12ihipStream_tbENKUlT_T0_E_clISt17integral_constantIbLb0EESZ_EEDaSU_SV_EUlSU_E_NS1_11comp_targetILNS1_3genE3ELNS1_11target_archE908ELNS1_3gpuE7ELNS1_3repE0EEENS1_30default_config_static_selectorELNS0_4arch9wavefront6targetE1EEEvT1_,comdat
	.protected	_ZN7rocprim17ROCPRIM_400000_NS6detail17trampoline_kernelINS0_14default_configENS1_27scan_by_key_config_selectorIxxEEZZNS1_16scan_by_key_implILNS1_25lookback_scan_determinismE0ELb1ES3_N6thrust23THRUST_200600_302600_NS6detail15normal_iteratorINS9_10device_ptrIxEEEESE_SE_xNS9_10multipliesIxEENS9_8equal_toIxEExEE10hipError_tPvRmT2_T3_T4_T5_mT6_T7_P12ihipStream_tbENKUlT_T0_E_clISt17integral_constantIbLb0EESZ_EEDaSU_SV_EUlSU_E_NS1_11comp_targetILNS1_3genE3ELNS1_11target_archE908ELNS1_3gpuE7ELNS1_3repE0EEENS1_30default_config_static_selectorELNS0_4arch9wavefront6targetE1EEEvT1_ ; -- Begin function _ZN7rocprim17ROCPRIM_400000_NS6detail17trampoline_kernelINS0_14default_configENS1_27scan_by_key_config_selectorIxxEEZZNS1_16scan_by_key_implILNS1_25lookback_scan_determinismE0ELb1ES3_N6thrust23THRUST_200600_302600_NS6detail15normal_iteratorINS9_10device_ptrIxEEEESE_SE_xNS9_10multipliesIxEENS9_8equal_toIxEExEE10hipError_tPvRmT2_T3_T4_T5_mT6_T7_P12ihipStream_tbENKUlT_T0_E_clISt17integral_constantIbLb0EESZ_EEDaSU_SV_EUlSU_E_NS1_11comp_targetILNS1_3genE3ELNS1_11target_archE908ELNS1_3gpuE7ELNS1_3repE0EEENS1_30default_config_static_selectorELNS0_4arch9wavefront6targetE1EEEvT1_
	.globl	_ZN7rocprim17ROCPRIM_400000_NS6detail17trampoline_kernelINS0_14default_configENS1_27scan_by_key_config_selectorIxxEEZZNS1_16scan_by_key_implILNS1_25lookback_scan_determinismE0ELb1ES3_N6thrust23THRUST_200600_302600_NS6detail15normal_iteratorINS9_10device_ptrIxEEEESE_SE_xNS9_10multipliesIxEENS9_8equal_toIxEExEE10hipError_tPvRmT2_T3_T4_T5_mT6_T7_P12ihipStream_tbENKUlT_T0_E_clISt17integral_constantIbLb0EESZ_EEDaSU_SV_EUlSU_E_NS1_11comp_targetILNS1_3genE3ELNS1_11target_archE908ELNS1_3gpuE7ELNS1_3repE0EEENS1_30default_config_static_selectorELNS0_4arch9wavefront6targetE1EEEvT1_
	.p2align	8
	.type	_ZN7rocprim17ROCPRIM_400000_NS6detail17trampoline_kernelINS0_14default_configENS1_27scan_by_key_config_selectorIxxEEZZNS1_16scan_by_key_implILNS1_25lookback_scan_determinismE0ELb1ES3_N6thrust23THRUST_200600_302600_NS6detail15normal_iteratorINS9_10device_ptrIxEEEESE_SE_xNS9_10multipliesIxEENS9_8equal_toIxEExEE10hipError_tPvRmT2_T3_T4_T5_mT6_T7_P12ihipStream_tbENKUlT_T0_E_clISt17integral_constantIbLb0EESZ_EEDaSU_SV_EUlSU_E_NS1_11comp_targetILNS1_3genE3ELNS1_11target_archE908ELNS1_3gpuE7ELNS1_3repE0EEENS1_30default_config_static_selectorELNS0_4arch9wavefront6targetE1EEEvT1_,@function
_ZN7rocprim17ROCPRIM_400000_NS6detail17trampoline_kernelINS0_14default_configENS1_27scan_by_key_config_selectorIxxEEZZNS1_16scan_by_key_implILNS1_25lookback_scan_determinismE0ELb1ES3_N6thrust23THRUST_200600_302600_NS6detail15normal_iteratorINS9_10device_ptrIxEEEESE_SE_xNS9_10multipliesIxEENS9_8equal_toIxEExEE10hipError_tPvRmT2_T3_T4_T5_mT6_T7_P12ihipStream_tbENKUlT_T0_E_clISt17integral_constantIbLb0EESZ_EEDaSU_SV_EUlSU_E_NS1_11comp_targetILNS1_3genE3ELNS1_11target_archE908ELNS1_3gpuE7ELNS1_3repE0EEENS1_30default_config_static_selectorELNS0_4arch9wavefront6targetE1EEEvT1_: ; @_ZN7rocprim17ROCPRIM_400000_NS6detail17trampoline_kernelINS0_14default_configENS1_27scan_by_key_config_selectorIxxEEZZNS1_16scan_by_key_implILNS1_25lookback_scan_determinismE0ELb1ES3_N6thrust23THRUST_200600_302600_NS6detail15normal_iteratorINS9_10device_ptrIxEEEESE_SE_xNS9_10multipliesIxEENS9_8equal_toIxEExEE10hipError_tPvRmT2_T3_T4_T5_mT6_T7_P12ihipStream_tbENKUlT_T0_E_clISt17integral_constantIbLb0EESZ_EEDaSU_SV_EUlSU_E_NS1_11comp_targetILNS1_3genE3ELNS1_11target_archE908ELNS1_3gpuE7ELNS1_3repE0EEENS1_30default_config_static_selectorELNS0_4arch9wavefront6targetE1EEEvT1_
; %bb.0:
	.section	.rodata,"a",@progbits
	.p2align	6, 0x0
	.amdhsa_kernel _ZN7rocprim17ROCPRIM_400000_NS6detail17trampoline_kernelINS0_14default_configENS1_27scan_by_key_config_selectorIxxEEZZNS1_16scan_by_key_implILNS1_25lookback_scan_determinismE0ELb1ES3_N6thrust23THRUST_200600_302600_NS6detail15normal_iteratorINS9_10device_ptrIxEEEESE_SE_xNS9_10multipliesIxEENS9_8equal_toIxEExEE10hipError_tPvRmT2_T3_T4_T5_mT6_T7_P12ihipStream_tbENKUlT_T0_E_clISt17integral_constantIbLb0EESZ_EEDaSU_SV_EUlSU_E_NS1_11comp_targetILNS1_3genE3ELNS1_11target_archE908ELNS1_3gpuE7ELNS1_3repE0EEENS1_30default_config_static_selectorELNS0_4arch9wavefront6targetE1EEEvT1_
		.amdhsa_group_segment_fixed_size 0
		.amdhsa_private_segment_fixed_size 0
		.amdhsa_kernarg_size 136
		.amdhsa_user_sgpr_count 2
		.amdhsa_user_sgpr_dispatch_ptr 0
		.amdhsa_user_sgpr_queue_ptr 0
		.amdhsa_user_sgpr_kernarg_segment_ptr 1
		.amdhsa_user_sgpr_dispatch_id 0
		.amdhsa_user_sgpr_kernarg_preload_length 0
		.amdhsa_user_sgpr_kernarg_preload_offset 0
		.amdhsa_user_sgpr_private_segment_size 0
		.amdhsa_uses_dynamic_stack 0
		.amdhsa_enable_private_segment 0
		.amdhsa_system_sgpr_workgroup_id_x 1
		.amdhsa_system_sgpr_workgroup_id_y 0
		.amdhsa_system_sgpr_workgroup_id_z 0
		.amdhsa_system_sgpr_workgroup_info 0
		.amdhsa_system_vgpr_workitem_id 0
		.amdhsa_next_free_vgpr 1
		.amdhsa_next_free_sgpr 0
		.amdhsa_accum_offset 4
		.amdhsa_reserve_vcc 0
		.amdhsa_float_round_mode_32 0
		.amdhsa_float_round_mode_16_64 0
		.amdhsa_float_denorm_mode_32 3
		.amdhsa_float_denorm_mode_16_64 3
		.amdhsa_dx10_clamp 1
		.amdhsa_ieee_mode 1
		.amdhsa_fp16_overflow 0
		.amdhsa_tg_split 0
		.amdhsa_exception_fp_ieee_invalid_op 0
		.amdhsa_exception_fp_denorm_src 0
		.amdhsa_exception_fp_ieee_div_zero 0
		.amdhsa_exception_fp_ieee_overflow 0
		.amdhsa_exception_fp_ieee_underflow 0
		.amdhsa_exception_fp_ieee_inexact 0
		.amdhsa_exception_int_div_zero 0
	.end_amdhsa_kernel
	.section	.text._ZN7rocprim17ROCPRIM_400000_NS6detail17trampoline_kernelINS0_14default_configENS1_27scan_by_key_config_selectorIxxEEZZNS1_16scan_by_key_implILNS1_25lookback_scan_determinismE0ELb1ES3_N6thrust23THRUST_200600_302600_NS6detail15normal_iteratorINS9_10device_ptrIxEEEESE_SE_xNS9_10multipliesIxEENS9_8equal_toIxEExEE10hipError_tPvRmT2_T3_T4_T5_mT6_T7_P12ihipStream_tbENKUlT_T0_E_clISt17integral_constantIbLb0EESZ_EEDaSU_SV_EUlSU_E_NS1_11comp_targetILNS1_3genE3ELNS1_11target_archE908ELNS1_3gpuE7ELNS1_3repE0EEENS1_30default_config_static_selectorELNS0_4arch9wavefront6targetE1EEEvT1_,"axG",@progbits,_ZN7rocprim17ROCPRIM_400000_NS6detail17trampoline_kernelINS0_14default_configENS1_27scan_by_key_config_selectorIxxEEZZNS1_16scan_by_key_implILNS1_25lookback_scan_determinismE0ELb1ES3_N6thrust23THRUST_200600_302600_NS6detail15normal_iteratorINS9_10device_ptrIxEEEESE_SE_xNS9_10multipliesIxEENS9_8equal_toIxEExEE10hipError_tPvRmT2_T3_T4_T5_mT6_T7_P12ihipStream_tbENKUlT_T0_E_clISt17integral_constantIbLb0EESZ_EEDaSU_SV_EUlSU_E_NS1_11comp_targetILNS1_3genE3ELNS1_11target_archE908ELNS1_3gpuE7ELNS1_3repE0EEENS1_30default_config_static_selectorELNS0_4arch9wavefront6targetE1EEEvT1_,comdat
.Lfunc_end393:
	.size	_ZN7rocprim17ROCPRIM_400000_NS6detail17trampoline_kernelINS0_14default_configENS1_27scan_by_key_config_selectorIxxEEZZNS1_16scan_by_key_implILNS1_25lookback_scan_determinismE0ELb1ES3_N6thrust23THRUST_200600_302600_NS6detail15normal_iteratorINS9_10device_ptrIxEEEESE_SE_xNS9_10multipliesIxEENS9_8equal_toIxEExEE10hipError_tPvRmT2_T3_T4_T5_mT6_T7_P12ihipStream_tbENKUlT_T0_E_clISt17integral_constantIbLb0EESZ_EEDaSU_SV_EUlSU_E_NS1_11comp_targetILNS1_3genE3ELNS1_11target_archE908ELNS1_3gpuE7ELNS1_3repE0EEENS1_30default_config_static_selectorELNS0_4arch9wavefront6targetE1EEEvT1_, .Lfunc_end393-_ZN7rocprim17ROCPRIM_400000_NS6detail17trampoline_kernelINS0_14default_configENS1_27scan_by_key_config_selectorIxxEEZZNS1_16scan_by_key_implILNS1_25lookback_scan_determinismE0ELb1ES3_N6thrust23THRUST_200600_302600_NS6detail15normal_iteratorINS9_10device_ptrIxEEEESE_SE_xNS9_10multipliesIxEENS9_8equal_toIxEExEE10hipError_tPvRmT2_T3_T4_T5_mT6_T7_P12ihipStream_tbENKUlT_T0_E_clISt17integral_constantIbLb0EESZ_EEDaSU_SV_EUlSU_E_NS1_11comp_targetILNS1_3genE3ELNS1_11target_archE908ELNS1_3gpuE7ELNS1_3repE0EEENS1_30default_config_static_selectorELNS0_4arch9wavefront6targetE1EEEvT1_
                                        ; -- End function
	.section	.AMDGPU.csdata,"",@progbits
; Kernel info:
; codeLenInByte = 0
; NumSgprs: 6
; NumVgprs: 0
; NumAgprs: 0
; TotalNumVgprs: 0
; ScratchSize: 0
; MemoryBound: 0
; FloatMode: 240
; IeeeMode: 1
; LDSByteSize: 0 bytes/workgroup (compile time only)
; SGPRBlocks: 0
; VGPRBlocks: 0
; NumSGPRsForWavesPerEU: 6
; NumVGPRsForWavesPerEU: 1
; AccumOffset: 4
; Occupancy: 8
; WaveLimiterHint : 0
; COMPUTE_PGM_RSRC2:SCRATCH_EN: 0
; COMPUTE_PGM_RSRC2:USER_SGPR: 2
; COMPUTE_PGM_RSRC2:TRAP_HANDLER: 0
; COMPUTE_PGM_RSRC2:TGID_X_EN: 1
; COMPUTE_PGM_RSRC2:TGID_Y_EN: 0
; COMPUTE_PGM_RSRC2:TGID_Z_EN: 0
; COMPUTE_PGM_RSRC2:TIDIG_COMP_CNT: 0
; COMPUTE_PGM_RSRC3_GFX90A:ACCUM_OFFSET: 0
; COMPUTE_PGM_RSRC3_GFX90A:TG_SPLIT: 0
	.section	.text._ZN7rocprim17ROCPRIM_400000_NS6detail17trampoline_kernelINS0_14default_configENS1_27scan_by_key_config_selectorIxxEEZZNS1_16scan_by_key_implILNS1_25lookback_scan_determinismE0ELb1ES3_N6thrust23THRUST_200600_302600_NS6detail15normal_iteratorINS9_10device_ptrIxEEEESE_SE_xNS9_10multipliesIxEENS9_8equal_toIxEExEE10hipError_tPvRmT2_T3_T4_T5_mT6_T7_P12ihipStream_tbENKUlT_T0_E_clISt17integral_constantIbLb0EESZ_EEDaSU_SV_EUlSU_E_NS1_11comp_targetILNS1_3genE2ELNS1_11target_archE906ELNS1_3gpuE6ELNS1_3repE0EEENS1_30default_config_static_selectorELNS0_4arch9wavefront6targetE1EEEvT1_,"axG",@progbits,_ZN7rocprim17ROCPRIM_400000_NS6detail17trampoline_kernelINS0_14default_configENS1_27scan_by_key_config_selectorIxxEEZZNS1_16scan_by_key_implILNS1_25lookback_scan_determinismE0ELb1ES3_N6thrust23THRUST_200600_302600_NS6detail15normal_iteratorINS9_10device_ptrIxEEEESE_SE_xNS9_10multipliesIxEENS9_8equal_toIxEExEE10hipError_tPvRmT2_T3_T4_T5_mT6_T7_P12ihipStream_tbENKUlT_T0_E_clISt17integral_constantIbLb0EESZ_EEDaSU_SV_EUlSU_E_NS1_11comp_targetILNS1_3genE2ELNS1_11target_archE906ELNS1_3gpuE6ELNS1_3repE0EEENS1_30default_config_static_selectorELNS0_4arch9wavefront6targetE1EEEvT1_,comdat
	.protected	_ZN7rocprim17ROCPRIM_400000_NS6detail17trampoline_kernelINS0_14default_configENS1_27scan_by_key_config_selectorIxxEEZZNS1_16scan_by_key_implILNS1_25lookback_scan_determinismE0ELb1ES3_N6thrust23THRUST_200600_302600_NS6detail15normal_iteratorINS9_10device_ptrIxEEEESE_SE_xNS9_10multipliesIxEENS9_8equal_toIxEExEE10hipError_tPvRmT2_T3_T4_T5_mT6_T7_P12ihipStream_tbENKUlT_T0_E_clISt17integral_constantIbLb0EESZ_EEDaSU_SV_EUlSU_E_NS1_11comp_targetILNS1_3genE2ELNS1_11target_archE906ELNS1_3gpuE6ELNS1_3repE0EEENS1_30default_config_static_selectorELNS0_4arch9wavefront6targetE1EEEvT1_ ; -- Begin function _ZN7rocprim17ROCPRIM_400000_NS6detail17trampoline_kernelINS0_14default_configENS1_27scan_by_key_config_selectorIxxEEZZNS1_16scan_by_key_implILNS1_25lookback_scan_determinismE0ELb1ES3_N6thrust23THRUST_200600_302600_NS6detail15normal_iteratorINS9_10device_ptrIxEEEESE_SE_xNS9_10multipliesIxEENS9_8equal_toIxEExEE10hipError_tPvRmT2_T3_T4_T5_mT6_T7_P12ihipStream_tbENKUlT_T0_E_clISt17integral_constantIbLb0EESZ_EEDaSU_SV_EUlSU_E_NS1_11comp_targetILNS1_3genE2ELNS1_11target_archE906ELNS1_3gpuE6ELNS1_3repE0EEENS1_30default_config_static_selectorELNS0_4arch9wavefront6targetE1EEEvT1_
	.globl	_ZN7rocprim17ROCPRIM_400000_NS6detail17trampoline_kernelINS0_14default_configENS1_27scan_by_key_config_selectorIxxEEZZNS1_16scan_by_key_implILNS1_25lookback_scan_determinismE0ELb1ES3_N6thrust23THRUST_200600_302600_NS6detail15normal_iteratorINS9_10device_ptrIxEEEESE_SE_xNS9_10multipliesIxEENS9_8equal_toIxEExEE10hipError_tPvRmT2_T3_T4_T5_mT6_T7_P12ihipStream_tbENKUlT_T0_E_clISt17integral_constantIbLb0EESZ_EEDaSU_SV_EUlSU_E_NS1_11comp_targetILNS1_3genE2ELNS1_11target_archE906ELNS1_3gpuE6ELNS1_3repE0EEENS1_30default_config_static_selectorELNS0_4arch9wavefront6targetE1EEEvT1_
	.p2align	8
	.type	_ZN7rocprim17ROCPRIM_400000_NS6detail17trampoline_kernelINS0_14default_configENS1_27scan_by_key_config_selectorIxxEEZZNS1_16scan_by_key_implILNS1_25lookback_scan_determinismE0ELb1ES3_N6thrust23THRUST_200600_302600_NS6detail15normal_iteratorINS9_10device_ptrIxEEEESE_SE_xNS9_10multipliesIxEENS9_8equal_toIxEExEE10hipError_tPvRmT2_T3_T4_T5_mT6_T7_P12ihipStream_tbENKUlT_T0_E_clISt17integral_constantIbLb0EESZ_EEDaSU_SV_EUlSU_E_NS1_11comp_targetILNS1_3genE2ELNS1_11target_archE906ELNS1_3gpuE6ELNS1_3repE0EEENS1_30default_config_static_selectorELNS0_4arch9wavefront6targetE1EEEvT1_,@function
_ZN7rocprim17ROCPRIM_400000_NS6detail17trampoline_kernelINS0_14default_configENS1_27scan_by_key_config_selectorIxxEEZZNS1_16scan_by_key_implILNS1_25lookback_scan_determinismE0ELb1ES3_N6thrust23THRUST_200600_302600_NS6detail15normal_iteratorINS9_10device_ptrIxEEEESE_SE_xNS9_10multipliesIxEENS9_8equal_toIxEExEE10hipError_tPvRmT2_T3_T4_T5_mT6_T7_P12ihipStream_tbENKUlT_T0_E_clISt17integral_constantIbLb0EESZ_EEDaSU_SV_EUlSU_E_NS1_11comp_targetILNS1_3genE2ELNS1_11target_archE906ELNS1_3gpuE6ELNS1_3repE0EEENS1_30default_config_static_selectorELNS0_4arch9wavefront6targetE1EEEvT1_: ; @_ZN7rocprim17ROCPRIM_400000_NS6detail17trampoline_kernelINS0_14default_configENS1_27scan_by_key_config_selectorIxxEEZZNS1_16scan_by_key_implILNS1_25lookback_scan_determinismE0ELb1ES3_N6thrust23THRUST_200600_302600_NS6detail15normal_iteratorINS9_10device_ptrIxEEEESE_SE_xNS9_10multipliesIxEENS9_8equal_toIxEExEE10hipError_tPvRmT2_T3_T4_T5_mT6_T7_P12ihipStream_tbENKUlT_T0_E_clISt17integral_constantIbLb0EESZ_EEDaSU_SV_EUlSU_E_NS1_11comp_targetILNS1_3genE2ELNS1_11target_archE906ELNS1_3gpuE6ELNS1_3repE0EEENS1_30default_config_static_selectorELNS0_4arch9wavefront6targetE1EEEvT1_
; %bb.0:
	.section	.rodata,"a",@progbits
	.p2align	6, 0x0
	.amdhsa_kernel _ZN7rocprim17ROCPRIM_400000_NS6detail17trampoline_kernelINS0_14default_configENS1_27scan_by_key_config_selectorIxxEEZZNS1_16scan_by_key_implILNS1_25lookback_scan_determinismE0ELb1ES3_N6thrust23THRUST_200600_302600_NS6detail15normal_iteratorINS9_10device_ptrIxEEEESE_SE_xNS9_10multipliesIxEENS9_8equal_toIxEExEE10hipError_tPvRmT2_T3_T4_T5_mT6_T7_P12ihipStream_tbENKUlT_T0_E_clISt17integral_constantIbLb0EESZ_EEDaSU_SV_EUlSU_E_NS1_11comp_targetILNS1_3genE2ELNS1_11target_archE906ELNS1_3gpuE6ELNS1_3repE0EEENS1_30default_config_static_selectorELNS0_4arch9wavefront6targetE1EEEvT1_
		.amdhsa_group_segment_fixed_size 0
		.amdhsa_private_segment_fixed_size 0
		.amdhsa_kernarg_size 136
		.amdhsa_user_sgpr_count 2
		.amdhsa_user_sgpr_dispatch_ptr 0
		.amdhsa_user_sgpr_queue_ptr 0
		.amdhsa_user_sgpr_kernarg_segment_ptr 1
		.amdhsa_user_sgpr_dispatch_id 0
		.amdhsa_user_sgpr_kernarg_preload_length 0
		.amdhsa_user_sgpr_kernarg_preload_offset 0
		.amdhsa_user_sgpr_private_segment_size 0
		.amdhsa_uses_dynamic_stack 0
		.amdhsa_enable_private_segment 0
		.amdhsa_system_sgpr_workgroup_id_x 1
		.amdhsa_system_sgpr_workgroup_id_y 0
		.amdhsa_system_sgpr_workgroup_id_z 0
		.amdhsa_system_sgpr_workgroup_info 0
		.amdhsa_system_vgpr_workitem_id 0
		.amdhsa_next_free_vgpr 1
		.amdhsa_next_free_sgpr 0
		.amdhsa_accum_offset 4
		.amdhsa_reserve_vcc 0
		.amdhsa_float_round_mode_32 0
		.amdhsa_float_round_mode_16_64 0
		.amdhsa_float_denorm_mode_32 3
		.amdhsa_float_denorm_mode_16_64 3
		.amdhsa_dx10_clamp 1
		.amdhsa_ieee_mode 1
		.amdhsa_fp16_overflow 0
		.amdhsa_tg_split 0
		.amdhsa_exception_fp_ieee_invalid_op 0
		.amdhsa_exception_fp_denorm_src 0
		.amdhsa_exception_fp_ieee_div_zero 0
		.amdhsa_exception_fp_ieee_overflow 0
		.amdhsa_exception_fp_ieee_underflow 0
		.amdhsa_exception_fp_ieee_inexact 0
		.amdhsa_exception_int_div_zero 0
	.end_amdhsa_kernel
	.section	.text._ZN7rocprim17ROCPRIM_400000_NS6detail17trampoline_kernelINS0_14default_configENS1_27scan_by_key_config_selectorIxxEEZZNS1_16scan_by_key_implILNS1_25lookback_scan_determinismE0ELb1ES3_N6thrust23THRUST_200600_302600_NS6detail15normal_iteratorINS9_10device_ptrIxEEEESE_SE_xNS9_10multipliesIxEENS9_8equal_toIxEExEE10hipError_tPvRmT2_T3_T4_T5_mT6_T7_P12ihipStream_tbENKUlT_T0_E_clISt17integral_constantIbLb0EESZ_EEDaSU_SV_EUlSU_E_NS1_11comp_targetILNS1_3genE2ELNS1_11target_archE906ELNS1_3gpuE6ELNS1_3repE0EEENS1_30default_config_static_selectorELNS0_4arch9wavefront6targetE1EEEvT1_,"axG",@progbits,_ZN7rocprim17ROCPRIM_400000_NS6detail17trampoline_kernelINS0_14default_configENS1_27scan_by_key_config_selectorIxxEEZZNS1_16scan_by_key_implILNS1_25lookback_scan_determinismE0ELb1ES3_N6thrust23THRUST_200600_302600_NS6detail15normal_iteratorINS9_10device_ptrIxEEEESE_SE_xNS9_10multipliesIxEENS9_8equal_toIxEExEE10hipError_tPvRmT2_T3_T4_T5_mT6_T7_P12ihipStream_tbENKUlT_T0_E_clISt17integral_constantIbLb0EESZ_EEDaSU_SV_EUlSU_E_NS1_11comp_targetILNS1_3genE2ELNS1_11target_archE906ELNS1_3gpuE6ELNS1_3repE0EEENS1_30default_config_static_selectorELNS0_4arch9wavefront6targetE1EEEvT1_,comdat
.Lfunc_end394:
	.size	_ZN7rocprim17ROCPRIM_400000_NS6detail17trampoline_kernelINS0_14default_configENS1_27scan_by_key_config_selectorIxxEEZZNS1_16scan_by_key_implILNS1_25lookback_scan_determinismE0ELb1ES3_N6thrust23THRUST_200600_302600_NS6detail15normal_iteratorINS9_10device_ptrIxEEEESE_SE_xNS9_10multipliesIxEENS9_8equal_toIxEExEE10hipError_tPvRmT2_T3_T4_T5_mT6_T7_P12ihipStream_tbENKUlT_T0_E_clISt17integral_constantIbLb0EESZ_EEDaSU_SV_EUlSU_E_NS1_11comp_targetILNS1_3genE2ELNS1_11target_archE906ELNS1_3gpuE6ELNS1_3repE0EEENS1_30default_config_static_selectorELNS0_4arch9wavefront6targetE1EEEvT1_, .Lfunc_end394-_ZN7rocprim17ROCPRIM_400000_NS6detail17trampoline_kernelINS0_14default_configENS1_27scan_by_key_config_selectorIxxEEZZNS1_16scan_by_key_implILNS1_25lookback_scan_determinismE0ELb1ES3_N6thrust23THRUST_200600_302600_NS6detail15normal_iteratorINS9_10device_ptrIxEEEESE_SE_xNS9_10multipliesIxEENS9_8equal_toIxEExEE10hipError_tPvRmT2_T3_T4_T5_mT6_T7_P12ihipStream_tbENKUlT_T0_E_clISt17integral_constantIbLb0EESZ_EEDaSU_SV_EUlSU_E_NS1_11comp_targetILNS1_3genE2ELNS1_11target_archE906ELNS1_3gpuE6ELNS1_3repE0EEENS1_30default_config_static_selectorELNS0_4arch9wavefront6targetE1EEEvT1_
                                        ; -- End function
	.section	.AMDGPU.csdata,"",@progbits
; Kernel info:
; codeLenInByte = 0
; NumSgprs: 6
; NumVgprs: 0
; NumAgprs: 0
; TotalNumVgprs: 0
; ScratchSize: 0
; MemoryBound: 0
; FloatMode: 240
; IeeeMode: 1
; LDSByteSize: 0 bytes/workgroup (compile time only)
; SGPRBlocks: 0
; VGPRBlocks: 0
; NumSGPRsForWavesPerEU: 6
; NumVGPRsForWavesPerEU: 1
; AccumOffset: 4
; Occupancy: 8
; WaveLimiterHint : 0
; COMPUTE_PGM_RSRC2:SCRATCH_EN: 0
; COMPUTE_PGM_RSRC2:USER_SGPR: 2
; COMPUTE_PGM_RSRC2:TRAP_HANDLER: 0
; COMPUTE_PGM_RSRC2:TGID_X_EN: 1
; COMPUTE_PGM_RSRC2:TGID_Y_EN: 0
; COMPUTE_PGM_RSRC2:TGID_Z_EN: 0
; COMPUTE_PGM_RSRC2:TIDIG_COMP_CNT: 0
; COMPUTE_PGM_RSRC3_GFX90A:ACCUM_OFFSET: 0
; COMPUTE_PGM_RSRC3_GFX90A:TG_SPLIT: 0
	.section	.text._ZN7rocprim17ROCPRIM_400000_NS6detail17trampoline_kernelINS0_14default_configENS1_27scan_by_key_config_selectorIxxEEZZNS1_16scan_by_key_implILNS1_25lookback_scan_determinismE0ELb1ES3_N6thrust23THRUST_200600_302600_NS6detail15normal_iteratorINS9_10device_ptrIxEEEESE_SE_xNS9_10multipliesIxEENS9_8equal_toIxEExEE10hipError_tPvRmT2_T3_T4_T5_mT6_T7_P12ihipStream_tbENKUlT_T0_E_clISt17integral_constantIbLb0EESZ_EEDaSU_SV_EUlSU_E_NS1_11comp_targetILNS1_3genE10ELNS1_11target_archE1200ELNS1_3gpuE4ELNS1_3repE0EEENS1_30default_config_static_selectorELNS0_4arch9wavefront6targetE1EEEvT1_,"axG",@progbits,_ZN7rocprim17ROCPRIM_400000_NS6detail17trampoline_kernelINS0_14default_configENS1_27scan_by_key_config_selectorIxxEEZZNS1_16scan_by_key_implILNS1_25lookback_scan_determinismE0ELb1ES3_N6thrust23THRUST_200600_302600_NS6detail15normal_iteratorINS9_10device_ptrIxEEEESE_SE_xNS9_10multipliesIxEENS9_8equal_toIxEExEE10hipError_tPvRmT2_T3_T4_T5_mT6_T7_P12ihipStream_tbENKUlT_T0_E_clISt17integral_constantIbLb0EESZ_EEDaSU_SV_EUlSU_E_NS1_11comp_targetILNS1_3genE10ELNS1_11target_archE1200ELNS1_3gpuE4ELNS1_3repE0EEENS1_30default_config_static_selectorELNS0_4arch9wavefront6targetE1EEEvT1_,comdat
	.protected	_ZN7rocprim17ROCPRIM_400000_NS6detail17trampoline_kernelINS0_14default_configENS1_27scan_by_key_config_selectorIxxEEZZNS1_16scan_by_key_implILNS1_25lookback_scan_determinismE0ELb1ES3_N6thrust23THRUST_200600_302600_NS6detail15normal_iteratorINS9_10device_ptrIxEEEESE_SE_xNS9_10multipliesIxEENS9_8equal_toIxEExEE10hipError_tPvRmT2_T3_T4_T5_mT6_T7_P12ihipStream_tbENKUlT_T0_E_clISt17integral_constantIbLb0EESZ_EEDaSU_SV_EUlSU_E_NS1_11comp_targetILNS1_3genE10ELNS1_11target_archE1200ELNS1_3gpuE4ELNS1_3repE0EEENS1_30default_config_static_selectorELNS0_4arch9wavefront6targetE1EEEvT1_ ; -- Begin function _ZN7rocprim17ROCPRIM_400000_NS6detail17trampoline_kernelINS0_14default_configENS1_27scan_by_key_config_selectorIxxEEZZNS1_16scan_by_key_implILNS1_25lookback_scan_determinismE0ELb1ES3_N6thrust23THRUST_200600_302600_NS6detail15normal_iteratorINS9_10device_ptrIxEEEESE_SE_xNS9_10multipliesIxEENS9_8equal_toIxEExEE10hipError_tPvRmT2_T3_T4_T5_mT6_T7_P12ihipStream_tbENKUlT_T0_E_clISt17integral_constantIbLb0EESZ_EEDaSU_SV_EUlSU_E_NS1_11comp_targetILNS1_3genE10ELNS1_11target_archE1200ELNS1_3gpuE4ELNS1_3repE0EEENS1_30default_config_static_selectorELNS0_4arch9wavefront6targetE1EEEvT1_
	.globl	_ZN7rocprim17ROCPRIM_400000_NS6detail17trampoline_kernelINS0_14default_configENS1_27scan_by_key_config_selectorIxxEEZZNS1_16scan_by_key_implILNS1_25lookback_scan_determinismE0ELb1ES3_N6thrust23THRUST_200600_302600_NS6detail15normal_iteratorINS9_10device_ptrIxEEEESE_SE_xNS9_10multipliesIxEENS9_8equal_toIxEExEE10hipError_tPvRmT2_T3_T4_T5_mT6_T7_P12ihipStream_tbENKUlT_T0_E_clISt17integral_constantIbLb0EESZ_EEDaSU_SV_EUlSU_E_NS1_11comp_targetILNS1_3genE10ELNS1_11target_archE1200ELNS1_3gpuE4ELNS1_3repE0EEENS1_30default_config_static_selectorELNS0_4arch9wavefront6targetE1EEEvT1_
	.p2align	8
	.type	_ZN7rocprim17ROCPRIM_400000_NS6detail17trampoline_kernelINS0_14default_configENS1_27scan_by_key_config_selectorIxxEEZZNS1_16scan_by_key_implILNS1_25lookback_scan_determinismE0ELb1ES3_N6thrust23THRUST_200600_302600_NS6detail15normal_iteratorINS9_10device_ptrIxEEEESE_SE_xNS9_10multipliesIxEENS9_8equal_toIxEExEE10hipError_tPvRmT2_T3_T4_T5_mT6_T7_P12ihipStream_tbENKUlT_T0_E_clISt17integral_constantIbLb0EESZ_EEDaSU_SV_EUlSU_E_NS1_11comp_targetILNS1_3genE10ELNS1_11target_archE1200ELNS1_3gpuE4ELNS1_3repE0EEENS1_30default_config_static_selectorELNS0_4arch9wavefront6targetE1EEEvT1_,@function
_ZN7rocprim17ROCPRIM_400000_NS6detail17trampoline_kernelINS0_14default_configENS1_27scan_by_key_config_selectorIxxEEZZNS1_16scan_by_key_implILNS1_25lookback_scan_determinismE0ELb1ES3_N6thrust23THRUST_200600_302600_NS6detail15normal_iteratorINS9_10device_ptrIxEEEESE_SE_xNS9_10multipliesIxEENS9_8equal_toIxEExEE10hipError_tPvRmT2_T3_T4_T5_mT6_T7_P12ihipStream_tbENKUlT_T0_E_clISt17integral_constantIbLb0EESZ_EEDaSU_SV_EUlSU_E_NS1_11comp_targetILNS1_3genE10ELNS1_11target_archE1200ELNS1_3gpuE4ELNS1_3repE0EEENS1_30default_config_static_selectorELNS0_4arch9wavefront6targetE1EEEvT1_: ; @_ZN7rocprim17ROCPRIM_400000_NS6detail17trampoline_kernelINS0_14default_configENS1_27scan_by_key_config_selectorIxxEEZZNS1_16scan_by_key_implILNS1_25lookback_scan_determinismE0ELb1ES3_N6thrust23THRUST_200600_302600_NS6detail15normal_iteratorINS9_10device_ptrIxEEEESE_SE_xNS9_10multipliesIxEENS9_8equal_toIxEExEE10hipError_tPvRmT2_T3_T4_T5_mT6_T7_P12ihipStream_tbENKUlT_T0_E_clISt17integral_constantIbLb0EESZ_EEDaSU_SV_EUlSU_E_NS1_11comp_targetILNS1_3genE10ELNS1_11target_archE1200ELNS1_3gpuE4ELNS1_3repE0EEENS1_30default_config_static_selectorELNS0_4arch9wavefront6targetE1EEEvT1_
; %bb.0:
	.section	.rodata,"a",@progbits
	.p2align	6, 0x0
	.amdhsa_kernel _ZN7rocprim17ROCPRIM_400000_NS6detail17trampoline_kernelINS0_14default_configENS1_27scan_by_key_config_selectorIxxEEZZNS1_16scan_by_key_implILNS1_25lookback_scan_determinismE0ELb1ES3_N6thrust23THRUST_200600_302600_NS6detail15normal_iteratorINS9_10device_ptrIxEEEESE_SE_xNS9_10multipliesIxEENS9_8equal_toIxEExEE10hipError_tPvRmT2_T3_T4_T5_mT6_T7_P12ihipStream_tbENKUlT_T0_E_clISt17integral_constantIbLb0EESZ_EEDaSU_SV_EUlSU_E_NS1_11comp_targetILNS1_3genE10ELNS1_11target_archE1200ELNS1_3gpuE4ELNS1_3repE0EEENS1_30default_config_static_selectorELNS0_4arch9wavefront6targetE1EEEvT1_
		.amdhsa_group_segment_fixed_size 0
		.amdhsa_private_segment_fixed_size 0
		.amdhsa_kernarg_size 136
		.amdhsa_user_sgpr_count 2
		.amdhsa_user_sgpr_dispatch_ptr 0
		.amdhsa_user_sgpr_queue_ptr 0
		.amdhsa_user_sgpr_kernarg_segment_ptr 1
		.amdhsa_user_sgpr_dispatch_id 0
		.amdhsa_user_sgpr_kernarg_preload_length 0
		.amdhsa_user_sgpr_kernarg_preload_offset 0
		.amdhsa_user_sgpr_private_segment_size 0
		.amdhsa_uses_dynamic_stack 0
		.amdhsa_enable_private_segment 0
		.amdhsa_system_sgpr_workgroup_id_x 1
		.amdhsa_system_sgpr_workgroup_id_y 0
		.amdhsa_system_sgpr_workgroup_id_z 0
		.amdhsa_system_sgpr_workgroup_info 0
		.amdhsa_system_vgpr_workitem_id 0
		.amdhsa_next_free_vgpr 1
		.amdhsa_next_free_sgpr 0
		.amdhsa_accum_offset 4
		.amdhsa_reserve_vcc 0
		.amdhsa_float_round_mode_32 0
		.amdhsa_float_round_mode_16_64 0
		.amdhsa_float_denorm_mode_32 3
		.amdhsa_float_denorm_mode_16_64 3
		.amdhsa_dx10_clamp 1
		.amdhsa_ieee_mode 1
		.amdhsa_fp16_overflow 0
		.amdhsa_tg_split 0
		.amdhsa_exception_fp_ieee_invalid_op 0
		.amdhsa_exception_fp_denorm_src 0
		.amdhsa_exception_fp_ieee_div_zero 0
		.amdhsa_exception_fp_ieee_overflow 0
		.amdhsa_exception_fp_ieee_underflow 0
		.amdhsa_exception_fp_ieee_inexact 0
		.amdhsa_exception_int_div_zero 0
	.end_amdhsa_kernel
	.section	.text._ZN7rocprim17ROCPRIM_400000_NS6detail17trampoline_kernelINS0_14default_configENS1_27scan_by_key_config_selectorIxxEEZZNS1_16scan_by_key_implILNS1_25lookback_scan_determinismE0ELb1ES3_N6thrust23THRUST_200600_302600_NS6detail15normal_iteratorINS9_10device_ptrIxEEEESE_SE_xNS9_10multipliesIxEENS9_8equal_toIxEExEE10hipError_tPvRmT2_T3_T4_T5_mT6_T7_P12ihipStream_tbENKUlT_T0_E_clISt17integral_constantIbLb0EESZ_EEDaSU_SV_EUlSU_E_NS1_11comp_targetILNS1_3genE10ELNS1_11target_archE1200ELNS1_3gpuE4ELNS1_3repE0EEENS1_30default_config_static_selectorELNS0_4arch9wavefront6targetE1EEEvT1_,"axG",@progbits,_ZN7rocprim17ROCPRIM_400000_NS6detail17trampoline_kernelINS0_14default_configENS1_27scan_by_key_config_selectorIxxEEZZNS1_16scan_by_key_implILNS1_25lookback_scan_determinismE0ELb1ES3_N6thrust23THRUST_200600_302600_NS6detail15normal_iteratorINS9_10device_ptrIxEEEESE_SE_xNS9_10multipliesIxEENS9_8equal_toIxEExEE10hipError_tPvRmT2_T3_T4_T5_mT6_T7_P12ihipStream_tbENKUlT_T0_E_clISt17integral_constantIbLb0EESZ_EEDaSU_SV_EUlSU_E_NS1_11comp_targetILNS1_3genE10ELNS1_11target_archE1200ELNS1_3gpuE4ELNS1_3repE0EEENS1_30default_config_static_selectorELNS0_4arch9wavefront6targetE1EEEvT1_,comdat
.Lfunc_end395:
	.size	_ZN7rocprim17ROCPRIM_400000_NS6detail17trampoline_kernelINS0_14default_configENS1_27scan_by_key_config_selectorIxxEEZZNS1_16scan_by_key_implILNS1_25lookback_scan_determinismE0ELb1ES3_N6thrust23THRUST_200600_302600_NS6detail15normal_iteratorINS9_10device_ptrIxEEEESE_SE_xNS9_10multipliesIxEENS9_8equal_toIxEExEE10hipError_tPvRmT2_T3_T4_T5_mT6_T7_P12ihipStream_tbENKUlT_T0_E_clISt17integral_constantIbLb0EESZ_EEDaSU_SV_EUlSU_E_NS1_11comp_targetILNS1_3genE10ELNS1_11target_archE1200ELNS1_3gpuE4ELNS1_3repE0EEENS1_30default_config_static_selectorELNS0_4arch9wavefront6targetE1EEEvT1_, .Lfunc_end395-_ZN7rocprim17ROCPRIM_400000_NS6detail17trampoline_kernelINS0_14default_configENS1_27scan_by_key_config_selectorIxxEEZZNS1_16scan_by_key_implILNS1_25lookback_scan_determinismE0ELb1ES3_N6thrust23THRUST_200600_302600_NS6detail15normal_iteratorINS9_10device_ptrIxEEEESE_SE_xNS9_10multipliesIxEENS9_8equal_toIxEExEE10hipError_tPvRmT2_T3_T4_T5_mT6_T7_P12ihipStream_tbENKUlT_T0_E_clISt17integral_constantIbLb0EESZ_EEDaSU_SV_EUlSU_E_NS1_11comp_targetILNS1_3genE10ELNS1_11target_archE1200ELNS1_3gpuE4ELNS1_3repE0EEENS1_30default_config_static_selectorELNS0_4arch9wavefront6targetE1EEEvT1_
                                        ; -- End function
	.section	.AMDGPU.csdata,"",@progbits
; Kernel info:
; codeLenInByte = 0
; NumSgprs: 6
; NumVgprs: 0
; NumAgprs: 0
; TotalNumVgprs: 0
; ScratchSize: 0
; MemoryBound: 0
; FloatMode: 240
; IeeeMode: 1
; LDSByteSize: 0 bytes/workgroup (compile time only)
; SGPRBlocks: 0
; VGPRBlocks: 0
; NumSGPRsForWavesPerEU: 6
; NumVGPRsForWavesPerEU: 1
; AccumOffset: 4
; Occupancy: 8
; WaveLimiterHint : 0
; COMPUTE_PGM_RSRC2:SCRATCH_EN: 0
; COMPUTE_PGM_RSRC2:USER_SGPR: 2
; COMPUTE_PGM_RSRC2:TRAP_HANDLER: 0
; COMPUTE_PGM_RSRC2:TGID_X_EN: 1
; COMPUTE_PGM_RSRC2:TGID_Y_EN: 0
; COMPUTE_PGM_RSRC2:TGID_Z_EN: 0
; COMPUTE_PGM_RSRC2:TIDIG_COMP_CNT: 0
; COMPUTE_PGM_RSRC3_GFX90A:ACCUM_OFFSET: 0
; COMPUTE_PGM_RSRC3_GFX90A:TG_SPLIT: 0
	.section	.text._ZN7rocprim17ROCPRIM_400000_NS6detail17trampoline_kernelINS0_14default_configENS1_27scan_by_key_config_selectorIxxEEZZNS1_16scan_by_key_implILNS1_25lookback_scan_determinismE0ELb1ES3_N6thrust23THRUST_200600_302600_NS6detail15normal_iteratorINS9_10device_ptrIxEEEESE_SE_xNS9_10multipliesIxEENS9_8equal_toIxEExEE10hipError_tPvRmT2_T3_T4_T5_mT6_T7_P12ihipStream_tbENKUlT_T0_E_clISt17integral_constantIbLb0EESZ_EEDaSU_SV_EUlSU_E_NS1_11comp_targetILNS1_3genE9ELNS1_11target_archE1100ELNS1_3gpuE3ELNS1_3repE0EEENS1_30default_config_static_selectorELNS0_4arch9wavefront6targetE1EEEvT1_,"axG",@progbits,_ZN7rocprim17ROCPRIM_400000_NS6detail17trampoline_kernelINS0_14default_configENS1_27scan_by_key_config_selectorIxxEEZZNS1_16scan_by_key_implILNS1_25lookback_scan_determinismE0ELb1ES3_N6thrust23THRUST_200600_302600_NS6detail15normal_iteratorINS9_10device_ptrIxEEEESE_SE_xNS9_10multipliesIxEENS9_8equal_toIxEExEE10hipError_tPvRmT2_T3_T4_T5_mT6_T7_P12ihipStream_tbENKUlT_T0_E_clISt17integral_constantIbLb0EESZ_EEDaSU_SV_EUlSU_E_NS1_11comp_targetILNS1_3genE9ELNS1_11target_archE1100ELNS1_3gpuE3ELNS1_3repE0EEENS1_30default_config_static_selectorELNS0_4arch9wavefront6targetE1EEEvT1_,comdat
	.protected	_ZN7rocprim17ROCPRIM_400000_NS6detail17trampoline_kernelINS0_14default_configENS1_27scan_by_key_config_selectorIxxEEZZNS1_16scan_by_key_implILNS1_25lookback_scan_determinismE0ELb1ES3_N6thrust23THRUST_200600_302600_NS6detail15normal_iteratorINS9_10device_ptrIxEEEESE_SE_xNS9_10multipliesIxEENS9_8equal_toIxEExEE10hipError_tPvRmT2_T3_T4_T5_mT6_T7_P12ihipStream_tbENKUlT_T0_E_clISt17integral_constantIbLb0EESZ_EEDaSU_SV_EUlSU_E_NS1_11comp_targetILNS1_3genE9ELNS1_11target_archE1100ELNS1_3gpuE3ELNS1_3repE0EEENS1_30default_config_static_selectorELNS0_4arch9wavefront6targetE1EEEvT1_ ; -- Begin function _ZN7rocprim17ROCPRIM_400000_NS6detail17trampoline_kernelINS0_14default_configENS1_27scan_by_key_config_selectorIxxEEZZNS1_16scan_by_key_implILNS1_25lookback_scan_determinismE0ELb1ES3_N6thrust23THRUST_200600_302600_NS6detail15normal_iteratorINS9_10device_ptrIxEEEESE_SE_xNS9_10multipliesIxEENS9_8equal_toIxEExEE10hipError_tPvRmT2_T3_T4_T5_mT6_T7_P12ihipStream_tbENKUlT_T0_E_clISt17integral_constantIbLb0EESZ_EEDaSU_SV_EUlSU_E_NS1_11comp_targetILNS1_3genE9ELNS1_11target_archE1100ELNS1_3gpuE3ELNS1_3repE0EEENS1_30default_config_static_selectorELNS0_4arch9wavefront6targetE1EEEvT1_
	.globl	_ZN7rocprim17ROCPRIM_400000_NS6detail17trampoline_kernelINS0_14default_configENS1_27scan_by_key_config_selectorIxxEEZZNS1_16scan_by_key_implILNS1_25lookback_scan_determinismE0ELb1ES3_N6thrust23THRUST_200600_302600_NS6detail15normal_iteratorINS9_10device_ptrIxEEEESE_SE_xNS9_10multipliesIxEENS9_8equal_toIxEExEE10hipError_tPvRmT2_T3_T4_T5_mT6_T7_P12ihipStream_tbENKUlT_T0_E_clISt17integral_constantIbLb0EESZ_EEDaSU_SV_EUlSU_E_NS1_11comp_targetILNS1_3genE9ELNS1_11target_archE1100ELNS1_3gpuE3ELNS1_3repE0EEENS1_30default_config_static_selectorELNS0_4arch9wavefront6targetE1EEEvT1_
	.p2align	8
	.type	_ZN7rocprim17ROCPRIM_400000_NS6detail17trampoline_kernelINS0_14default_configENS1_27scan_by_key_config_selectorIxxEEZZNS1_16scan_by_key_implILNS1_25lookback_scan_determinismE0ELb1ES3_N6thrust23THRUST_200600_302600_NS6detail15normal_iteratorINS9_10device_ptrIxEEEESE_SE_xNS9_10multipliesIxEENS9_8equal_toIxEExEE10hipError_tPvRmT2_T3_T4_T5_mT6_T7_P12ihipStream_tbENKUlT_T0_E_clISt17integral_constantIbLb0EESZ_EEDaSU_SV_EUlSU_E_NS1_11comp_targetILNS1_3genE9ELNS1_11target_archE1100ELNS1_3gpuE3ELNS1_3repE0EEENS1_30default_config_static_selectorELNS0_4arch9wavefront6targetE1EEEvT1_,@function
_ZN7rocprim17ROCPRIM_400000_NS6detail17trampoline_kernelINS0_14default_configENS1_27scan_by_key_config_selectorIxxEEZZNS1_16scan_by_key_implILNS1_25lookback_scan_determinismE0ELb1ES3_N6thrust23THRUST_200600_302600_NS6detail15normal_iteratorINS9_10device_ptrIxEEEESE_SE_xNS9_10multipliesIxEENS9_8equal_toIxEExEE10hipError_tPvRmT2_T3_T4_T5_mT6_T7_P12ihipStream_tbENKUlT_T0_E_clISt17integral_constantIbLb0EESZ_EEDaSU_SV_EUlSU_E_NS1_11comp_targetILNS1_3genE9ELNS1_11target_archE1100ELNS1_3gpuE3ELNS1_3repE0EEENS1_30default_config_static_selectorELNS0_4arch9wavefront6targetE1EEEvT1_: ; @_ZN7rocprim17ROCPRIM_400000_NS6detail17trampoline_kernelINS0_14default_configENS1_27scan_by_key_config_selectorIxxEEZZNS1_16scan_by_key_implILNS1_25lookback_scan_determinismE0ELb1ES3_N6thrust23THRUST_200600_302600_NS6detail15normal_iteratorINS9_10device_ptrIxEEEESE_SE_xNS9_10multipliesIxEENS9_8equal_toIxEExEE10hipError_tPvRmT2_T3_T4_T5_mT6_T7_P12ihipStream_tbENKUlT_T0_E_clISt17integral_constantIbLb0EESZ_EEDaSU_SV_EUlSU_E_NS1_11comp_targetILNS1_3genE9ELNS1_11target_archE1100ELNS1_3gpuE3ELNS1_3repE0EEENS1_30default_config_static_selectorELNS0_4arch9wavefront6targetE1EEEvT1_
; %bb.0:
	.section	.rodata,"a",@progbits
	.p2align	6, 0x0
	.amdhsa_kernel _ZN7rocprim17ROCPRIM_400000_NS6detail17trampoline_kernelINS0_14default_configENS1_27scan_by_key_config_selectorIxxEEZZNS1_16scan_by_key_implILNS1_25lookback_scan_determinismE0ELb1ES3_N6thrust23THRUST_200600_302600_NS6detail15normal_iteratorINS9_10device_ptrIxEEEESE_SE_xNS9_10multipliesIxEENS9_8equal_toIxEExEE10hipError_tPvRmT2_T3_T4_T5_mT6_T7_P12ihipStream_tbENKUlT_T0_E_clISt17integral_constantIbLb0EESZ_EEDaSU_SV_EUlSU_E_NS1_11comp_targetILNS1_3genE9ELNS1_11target_archE1100ELNS1_3gpuE3ELNS1_3repE0EEENS1_30default_config_static_selectorELNS0_4arch9wavefront6targetE1EEEvT1_
		.amdhsa_group_segment_fixed_size 0
		.amdhsa_private_segment_fixed_size 0
		.amdhsa_kernarg_size 136
		.amdhsa_user_sgpr_count 2
		.amdhsa_user_sgpr_dispatch_ptr 0
		.amdhsa_user_sgpr_queue_ptr 0
		.amdhsa_user_sgpr_kernarg_segment_ptr 1
		.amdhsa_user_sgpr_dispatch_id 0
		.amdhsa_user_sgpr_kernarg_preload_length 0
		.amdhsa_user_sgpr_kernarg_preload_offset 0
		.amdhsa_user_sgpr_private_segment_size 0
		.amdhsa_uses_dynamic_stack 0
		.amdhsa_enable_private_segment 0
		.amdhsa_system_sgpr_workgroup_id_x 1
		.amdhsa_system_sgpr_workgroup_id_y 0
		.amdhsa_system_sgpr_workgroup_id_z 0
		.amdhsa_system_sgpr_workgroup_info 0
		.amdhsa_system_vgpr_workitem_id 0
		.amdhsa_next_free_vgpr 1
		.amdhsa_next_free_sgpr 0
		.amdhsa_accum_offset 4
		.amdhsa_reserve_vcc 0
		.amdhsa_float_round_mode_32 0
		.amdhsa_float_round_mode_16_64 0
		.amdhsa_float_denorm_mode_32 3
		.amdhsa_float_denorm_mode_16_64 3
		.amdhsa_dx10_clamp 1
		.amdhsa_ieee_mode 1
		.amdhsa_fp16_overflow 0
		.amdhsa_tg_split 0
		.amdhsa_exception_fp_ieee_invalid_op 0
		.amdhsa_exception_fp_denorm_src 0
		.amdhsa_exception_fp_ieee_div_zero 0
		.amdhsa_exception_fp_ieee_overflow 0
		.amdhsa_exception_fp_ieee_underflow 0
		.amdhsa_exception_fp_ieee_inexact 0
		.amdhsa_exception_int_div_zero 0
	.end_amdhsa_kernel
	.section	.text._ZN7rocprim17ROCPRIM_400000_NS6detail17trampoline_kernelINS0_14default_configENS1_27scan_by_key_config_selectorIxxEEZZNS1_16scan_by_key_implILNS1_25lookback_scan_determinismE0ELb1ES3_N6thrust23THRUST_200600_302600_NS6detail15normal_iteratorINS9_10device_ptrIxEEEESE_SE_xNS9_10multipliesIxEENS9_8equal_toIxEExEE10hipError_tPvRmT2_T3_T4_T5_mT6_T7_P12ihipStream_tbENKUlT_T0_E_clISt17integral_constantIbLb0EESZ_EEDaSU_SV_EUlSU_E_NS1_11comp_targetILNS1_3genE9ELNS1_11target_archE1100ELNS1_3gpuE3ELNS1_3repE0EEENS1_30default_config_static_selectorELNS0_4arch9wavefront6targetE1EEEvT1_,"axG",@progbits,_ZN7rocprim17ROCPRIM_400000_NS6detail17trampoline_kernelINS0_14default_configENS1_27scan_by_key_config_selectorIxxEEZZNS1_16scan_by_key_implILNS1_25lookback_scan_determinismE0ELb1ES3_N6thrust23THRUST_200600_302600_NS6detail15normal_iteratorINS9_10device_ptrIxEEEESE_SE_xNS9_10multipliesIxEENS9_8equal_toIxEExEE10hipError_tPvRmT2_T3_T4_T5_mT6_T7_P12ihipStream_tbENKUlT_T0_E_clISt17integral_constantIbLb0EESZ_EEDaSU_SV_EUlSU_E_NS1_11comp_targetILNS1_3genE9ELNS1_11target_archE1100ELNS1_3gpuE3ELNS1_3repE0EEENS1_30default_config_static_selectorELNS0_4arch9wavefront6targetE1EEEvT1_,comdat
.Lfunc_end396:
	.size	_ZN7rocprim17ROCPRIM_400000_NS6detail17trampoline_kernelINS0_14default_configENS1_27scan_by_key_config_selectorIxxEEZZNS1_16scan_by_key_implILNS1_25lookback_scan_determinismE0ELb1ES3_N6thrust23THRUST_200600_302600_NS6detail15normal_iteratorINS9_10device_ptrIxEEEESE_SE_xNS9_10multipliesIxEENS9_8equal_toIxEExEE10hipError_tPvRmT2_T3_T4_T5_mT6_T7_P12ihipStream_tbENKUlT_T0_E_clISt17integral_constantIbLb0EESZ_EEDaSU_SV_EUlSU_E_NS1_11comp_targetILNS1_3genE9ELNS1_11target_archE1100ELNS1_3gpuE3ELNS1_3repE0EEENS1_30default_config_static_selectorELNS0_4arch9wavefront6targetE1EEEvT1_, .Lfunc_end396-_ZN7rocprim17ROCPRIM_400000_NS6detail17trampoline_kernelINS0_14default_configENS1_27scan_by_key_config_selectorIxxEEZZNS1_16scan_by_key_implILNS1_25lookback_scan_determinismE0ELb1ES3_N6thrust23THRUST_200600_302600_NS6detail15normal_iteratorINS9_10device_ptrIxEEEESE_SE_xNS9_10multipliesIxEENS9_8equal_toIxEExEE10hipError_tPvRmT2_T3_T4_T5_mT6_T7_P12ihipStream_tbENKUlT_T0_E_clISt17integral_constantIbLb0EESZ_EEDaSU_SV_EUlSU_E_NS1_11comp_targetILNS1_3genE9ELNS1_11target_archE1100ELNS1_3gpuE3ELNS1_3repE0EEENS1_30default_config_static_selectorELNS0_4arch9wavefront6targetE1EEEvT1_
                                        ; -- End function
	.section	.AMDGPU.csdata,"",@progbits
; Kernel info:
; codeLenInByte = 0
; NumSgprs: 6
; NumVgprs: 0
; NumAgprs: 0
; TotalNumVgprs: 0
; ScratchSize: 0
; MemoryBound: 0
; FloatMode: 240
; IeeeMode: 1
; LDSByteSize: 0 bytes/workgroup (compile time only)
; SGPRBlocks: 0
; VGPRBlocks: 0
; NumSGPRsForWavesPerEU: 6
; NumVGPRsForWavesPerEU: 1
; AccumOffset: 4
; Occupancy: 8
; WaveLimiterHint : 0
; COMPUTE_PGM_RSRC2:SCRATCH_EN: 0
; COMPUTE_PGM_RSRC2:USER_SGPR: 2
; COMPUTE_PGM_RSRC2:TRAP_HANDLER: 0
; COMPUTE_PGM_RSRC2:TGID_X_EN: 1
; COMPUTE_PGM_RSRC2:TGID_Y_EN: 0
; COMPUTE_PGM_RSRC2:TGID_Z_EN: 0
; COMPUTE_PGM_RSRC2:TIDIG_COMP_CNT: 0
; COMPUTE_PGM_RSRC3_GFX90A:ACCUM_OFFSET: 0
; COMPUTE_PGM_RSRC3_GFX90A:TG_SPLIT: 0
	.section	.text._ZN7rocprim17ROCPRIM_400000_NS6detail17trampoline_kernelINS0_14default_configENS1_27scan_by_key_config_selectorIxxEEZZNS1_16scan_by_key_implILNS1_25lookback_scan_determinismE0ELb1ES3_N6thrust23THRUST_200600_302600_NS6detail15normal_iteratorINS9_10device_ptrIxEEEESE_SE_xNS9_10multipliesIxEENS9_8equal_toIxEExEE10hipError_tPvRmT2_T3_T4_T5_mT6_T7_P12ihipStream_tbENKUlT_T0_E_clISt17integral_constantIbLb0EESZ_EEDaSU_SV_EUlSU_E_NS1_11comp_targetILNS1_3genE8ELNS1_11target_archE1030ELNS1_3gpuE2ELNS1_3repE0EEENS1_30default_config_static_selectorELNS0_4arch9wavefront6targetE1EEEvT1_,"axG",@progbits,_ZN7rocprim17ROCPRIM_400000_NS6detail17trampoline_kernelINS0_14default_configENS1_27scan_by_key_config_selectorIxxEEZZNS1_16scan_by_key_implILNS1_25lookback_scan_determinismE0ELb1ES3_N6thrust23THRUST_200600_302600_NS6detail15normal_iteratorINS9_10device_ptrIxEEEESE_SE_xNS9_10multipliesIxEENS9_8equal_toIxEExEE10hipError_tPvRmT2_T3_T4_T5_mT6_T7_P12ihipStream_tbENKUlT_T0_E_clISt17integral_constantIbLb0EESZ_EEDaSU_SV_EUlSU_E_NS1_11comp_targetILNS1_3genE8ELNS1_11target_archE1030ELNS1_3gpuE2ELNS1_3repE0EEENS1_30default_config_static_selectorELNS0_4arch9wavefront6targetE1EEEvT1_,comdat
	.protected	_ZN7rocprim17ROCPRIM_400000_NS6detail17trampoline_kernelINS0_14default_configENS1_27scan_by_key_config_selectorIxxEEZZNS1_16scan_by_key_implILNS1_25lookback_scan_determinismE0ELb1ES3_N6thrust23THRUST_200600_302600_NS6detail15normal_iteratorINS9_10device_ptrIxEEEESE_SE_xNS9_10multipliesIxEENS9_8equal_toIxEExEE10hipError_tPvRmT2_T3_T4_T5_mT6_T7_P12ihipStream_tbENKUlT_T0_E_clISt17integral_constantIbLb0EESZ_EEDaSU_SV_EUlSU_E_NS1_11comp_targetILNS1_3genE8ELNS1_11target_archE1030ELNS1_3gpuE2ELNS1_3repE0EEENS1_30default_config_static_selectorELNS0_4arch9wavefront6targetE1EEEvT1_ ; -- Begin function _ZN7rocprim17ROCPRIM_400000_NS6detail17trampoline_kernelINS0_14default_configENS1_27scan_by_key_config_selectorIxxEEZZNS1_16scan_by_key_implILNS1_25lookback_scan_determinismE0ELb1ES3_N6thrust23THRUST_200600_302600_NS6detail15normal_iteratorINS9_10device_ptrIxEEEESE_SE_xNS9_10multipliesIxEENS9_8equal_toIxEExEE10hipError_tPvRmT2_T3_T4_T5_mT6_T7_P12ihipStream_tbENKUlT_T0_E_clISt17integral_constantIbLb0EESZ_EEDaSU_SV_EUlSU_E_NS1_11comp_targetILNS1_3genE8ELNS1_11target_archE1030ELNS1_3gpuE2ELNS1_3repE0EEENS1_30default_config_static_selectorELNS0_4arch9wavefront6targetE1EEEvT1_
	.globl	_ZN7rocprim17ROCPRIM_400000_NS6detail17trampoline_kernelINS0_14default_configENS1_27scan_by_key_config_selectorIxxEEZZNS1_16scan_by_key_implILNS1_25lookback_scan_determinismE0ELb1ES3_N6thrust23THRUST_200600_302600_NS6detail15normal_iteratorINS9_10device_ptrIxEEEESE_SE_xNS9_10multipliesIxEENS9_8equal_toIxEExEE10hipError_tPvRmT2_T3_T4_T5_mT6_T7_P12ihipStream_tbENKUlT_T0_E_clISt17integral_constantIbLb0EESZ_EEDaSU_SV_EUlSU_E_NS1_11comp_targetILNS1_3genE8ELNS1_11target_archE1030ELNS1_3gpuE2ELNS1_3repE0EEENS1_30default_config_static_selectorELNS0_4arch9wavefront6targetE1EEEvT1_
	.p2align	8
	.type	_ZN7rocprim17ROCPRIM_400000_NS6detail17trampoline_kernelINS0_14default_configENS1_27scan_by_key_config_selectorIxxEEZZNS1_16scan_by_key_implILNS1_25lookback_scan_determinismE0ELb1ES3_N6thrust23THRUST_200600_302600_NS6detail15normal_iteratorINS9_10device_ptrIxEEEESE_SE_xNS9_10multipliesIxEENS9_8equal_toIxEExEE10hipError_tPvRmT2_T3_T4_T5_mT6_T7_P12ihipStream_tbENKUlT_T0_E_clISt17integral_constantIbLb0EESZ_EEDaSU_SV_EUlSU_E_NS1_11comp_targetILNS1_3genE8ELNS1_11target_archE1030ELNS1_3gpuE2ELNS1_3repE0EEENS1_30default_config_static_selectorELNS0_4arch9wavefront6targetE1EEEvT1_,@function
_ZN7rocprim17ROCPRIM_400000_NS6detail17trampoline_kernelINS0_14default_configENS1_27scan_by_key_config_selectorIxxEEZZNS1_16scan_by_key_implILNS1_25lookback_scan_determinismE0ELb1ES3_N6thrust23THRUST_200600_302600_NS6detail15normal_iteratorINS9_10device_ptrIxEEEESE_SE_xNS9_10multipliesIxEENS9_8equal_toIxEExEE10hipError_tPvRmT2_T3_T4_T5_mT6_T7_P12ihipStream_tbENKUlT_T0_E_clISt17integral_constantIbLb0EESZ_EEDaSU_SV_EUlSU_E_NS1_11comp_targetILNS1_3genE8ELNS1_11target_archE1030ELNS1_3gpuE2ELNS1_3repE0EEENS1_30default_config_static_selectorELNS0_4arch9wavefront6targetE1EEEvT1_: ; @_ZN7rocprim17ROCPRIM_400000_NS6detail17trampoline_kernelINS0_14default_configENS1_27scan_by_key_config_selectorIxxEEZZNS1_16scan_by_key_implILNS1_25lookback_scan_determinismE0ELb1ES3_N6thrust23THRUST_200600_302600_NS6detail15normal_iteratorINS9_10device_ptrIxEEEESE_SE_xNS9_10multipliesIxEENS9_8equal_toIxEExEE10hipError_tPvRmT2_T3_T4_T5_mT6_T7_P12ihipStream_tbENKUlT_T0_E_clISt17integral_constantIbLb0EESZ_EEDaSU_SV_EUlSU_E_NS1_11comp_targetILNS1_3genE8ELNS1_11target_archE1030ELNS1_3gpuE2ELNS1_3repE0EEENS1_30default_config_static_selectorELNS0_4arch9wavefront6targetE1EEEvT1_
; %bb.0:
	.section	.rodata,"a",@progbits
	.p2align	6, 0x0
	.amdhsa_kernel _ZN7rocprim17ROCPRIM_400000_NS6detail17trampoline_kernelINS0_14default_configENS1_27scan_by_key_config_selectorIxxEEZZNS1_16scan_by_key_implILNS1_25lookback_scan_determinismE0ELb1ES3_N6thrust23THRUST_200600_302600_NS6detail15normal_iteratorINS9_10device_ptrIxEEEESE_SE_xNS9_10multipliesIxEENS9_8equal_toIxEExEE10hipError_tPvRmT2_T3_T4_T5_mT6_T7_P12ihipStream_tbENKUlT_T0_E_clISt17integral_constantIbLb0EESZ_EEDaSU_SV_EUlSU_E_NS1_11comp_targetILNS1_3genE8ELNS1_11target_archE1030ELNS1_3gpuE2ELNS1_3repE0EEENS1_30default_config_static_selectorELNS0_4arch9wavefront6targetE1EEEvT1_
		.amdhsa_group_segment_fixed_size 0
		.amdhsa_private_segment_fixed_size 0
		.amdhsa_kernarg_size 136
		.amdhsa_user_sgpr_count 2
		.amdhsa_user_sgpr_dispatch_ptr 0
		.amdhsa_user_sgpr_queue_ptr 0
		.amdhsa_user_sgpr_kernarg_segment_ptr 1
		.amdhsa_user_sgpr_dispatch_id 0
		.amdhsa_user_sgpr_kernarg_preload_length 0
		.amdhsa_user_sgpr_kernarg_preload_offset 0
		.amdhsa_user_sgpr_private_segment_size 0
		.amdhsa_uses_dynamic_stack 0
		.amdhsa_enable_private_segment 0
		.amdhsa_system_sgpr_workgroup_id_x 1
		.amdhsa_system_sgpr_workgroup_id_y 0
		.amdhsa_system_sgpr_workgroup_id_z 0
		.amdhsa_system_sgpr_workgroup_info 0
		.amdhsa_system_vgpr_workitem_id 0
		.amdhsa_next_free_vgpr 1
		.amdhsa_next_free_sgpr 0
		.amdhsa_accum_offset 4
		.amdhsa_reserve_vcc 0
		.amdhsa_float_round_mode_32 0
		.amdhsa_float_round_mode_16_64 0
		.amdhsa_float_denorm_mode_32 3
		.amdhsa_float_denorm_mode_16_64 3
		.amdhsa_dx10_clamp 1
		.amdhsa_ieee_mode 1
		.amdhsa_fp16_overflow 0
		.amdhsa_tg_split 0
		.amdhsa_exception_fp_ieee_invalid_op 0
		.amdhsa_exception_fp_denorm_src 0
		.amdhsa_exception_fp_ieee_div_zero 0
		.amdhsa_exception_fp_ieee_overflow 0
		.amdhsa_exception_fp_ieee_underflow 0
		.amdhsa_exception_fp_ieee_inexact 0
		.amdhsa_exception_int_div_zero 0
	.end_amdhsa_kernel
	.section	.text._ZN7rocprim17ROCPRIM_400000_NS6detail17trampoline_kernelINS0_14default_configENS1_27scan_by_key_config_selectorIxxEEZZNS1_16scan_by_key_implILNS1_25lookback_scan_determinismE0ELb1ES3_N6thrust23THRUST_200600_302600_NS6detail15normal_iteratorINS9_10device_ptrIxEEEESE_SE_xNS9_10multipliesIxEENS9_8equal_toIxEExEE10hipError_tPvRmT2_T3_T4_T5_mT6_T7_P12ihipStream_tbENKUlT_T0_E_clISt17integral_constantIbLb0EESZ_EEDaSU_SV_EUlSU_E_NS1_11comp_targetILNS1_3genE8ELNS1_11target_archE1030ELNS1_3gpuE2ELNS1_3repE0EEENS1_30default_config_static_selectorELNS0_4arch9wavefront6targetE1EEEvT1_,"axG",@progbits,_ZN7rocprim17ROCPRIM_400000_NS6detail17trampoline_kernelINS0_14default_configENS1_27scan_by_key_config_selectorIxxEEZZNS1_16scan_by_key_implILNS1_25lookback_scan_determinismE0ELb1ES3_N6thrust23THRUST_200600_302600_NS6detail15normal_iteratorINS9_10device_ptrIxEEEESE_SE_xNS9_10multipliesIxEENS9_8equal_toIxEExEE10hipError_tPvRmT2_T3_T4_T5_mT6_T7_P12ihipStream_tbENKUlT_T0_E_clISt17integral_constantIbLb0EESZ_EEDaSU_SV_EUlSU_E_NS1_11comp_targetILNS1_3genE8ELNS1_11target_archE1030ELNS1_3gpuE2ELNS1_3repE0EEENS1_30default_config_static_selectorELNS0_4arch9wavefront6targetE1EEEvT1_,comdat
.Lfunc_end397:
	.size	_ZN7rocprim17ROCPRIM_400000_NS6detail17trampoline_kernelINS0_14default_configENS1_27scan_by_key_config_selectorIxxEEZZNS1_16scan_by_key_implILNS1_25lookback_scan_determinismE0ELb1ES3_N6thrust23THRUST_200600_302600_NS6detail15normal_iteratorINS9_10device_ptrIxEEEESE_SE_xNS9_10multipliesIxEENS9_8equal_toIxEExEE10hipError_tPvRmT2_T3_T4_T5_mT6_T7_P12ihipStream_tbENKUlT_T0_E_clISt17integral_constantIbLb0EESZ_EEDaSU_SV_EUlSU_E_NS1_11comp_targetILNS1_3genE8ELNS1_11target_archE1030ELNS1_3gpuE2ELNS1_3repE0EEENS1_30default_config_static_selectorELNS0_4arch9wavefront6targetE1EEEvT1_, .Lfunc_end397-_ZN7rocprim17ROCPRIM_400000_NS6detail17trampoline_kernelINS0_14default_configENS1_27scan_by_key_config_selectorIxxEEZZNS1_16scan_by_key_implILNS1_25lookback_scan_determinismE0ELb1ES3_N6thrust23THRUST_200600_302600_NS6detail15normal_iteratorINS9_10device_ptrIxEEEESE_SE_xNS9_10multipliesIxEENS9_8equal_toIxEExEE10hipError_tPvRmT2_T3_T4_T5_mT6_T7_P12ihipStream_tbENKUlT_T0_E_clISt17integral_constantIbLb0EESZ_EEDaSU_SV_EUlSU_E_NS1_11comp_targetILNS1_3genE8ELNS1_11target_archE1030ELNS1_3gpuE2ELNS1_3repE0EEENS1_30default_config_static_selectorELNS0_4arch9wavefront6targetE1EEEvT1_
                                        ; -- End function
	.section	.AMDGPU.csdata,"",@progbits
; Kernel info:
; codeLenInByte = 0
; NumSgprs: 6
; NumVgprs: 0
; NumAgprs: 0
; TotalNumVgprs: 0
; ScratchSize: 0
; MemoryBound: 0
; FloatMode: 240
; IeeeMode: 1
; LDSByteSize: 0 bytes/workgroup (compile time only)
; SGPRBlocks: 0
; VGPRBlocks: 0
; NumSGPRsForWavesPerEU: 6
; NumVGPRsForWavesPerEU: 1
; AccumOffset: 4
; Occupancy: 8
; WaveLimiterHint : 0
; COMPUTE_PGM_RSRC2:SCRATCH_EN: 0
; COMPUTE_PGM_RSRC2:USER_SGPR: 2
; COMPUTE_PGM_RSRC2:TRAP_HANDLER: 0
; COMPUTE_PGM_RSRC2:TGID_X_EN: 1
; COMPUTE_PGM_RSRC2:TGID_Y_EN: 0
; COMPUTE_PGM_RSRC2:TGID_Z_EN: 0
; COMPUTE_PGM_RSRC2:TIDIG_COMP_CNT: 0
; COMPUTE_PGM_RSRC3_GFX90A:ACCUM_OFFSET: 0
; COMPUTE_PGM_RSRC3_GFX90A:TG_SPLIT: 0
	.section	.text._ZN7rocprim17ROCPRIM_400000_NS6detail17trampoline_kernelINS0_14default_configENS1_27scan_by_key_config_selectorIxxEEZZNS1_16scan_by_key_implILNS1_25lookback_scan_determinismE0ELb1ES3_N6thrust23THRUST_200600_302600_NS6detail15normal_iteratorINS9_10device_ptrIxEEEESE_SE_xNS9_10multipliesIxEENS9_8equal_toIxEExEE10hipError_tPvRmT2_T3_T4_T5_mT6_T7_P12ihipStream_tbENKUlT_T0_E_clISt17integral_constantIbLb1EESZ_EEDaSU_SV_EUlSU_E_NS1_11comp_targetILNS1_3genE0ELNS1_11target_archE4294967295ELNS1_3gpuE0ELNS1_3repE0EEENS1_30default_config_static_selectorELNS0_4arch9wavefront6targetE1EEEvT1_,"axG",@progbits,_ZN7rocprim17ROCPRIM_400000_NS6detail17trampoline_kernelINS0_14default_configENS1_27scan_by_key_config_selectorIxxEEZZNS1_16scan_by_key_implILNS1_25lookback_scan_determinismE0ELb1ES3_N6thrust23THRUST_200600_302600_NS6detail15normal_iteratorINS9_10device_ptrIxEEEESE_SE_xNS9_10multipliesIxEENS9_8equal_toIxEExEE10hipError_tPvRmT2_T3_T4_T5_mT6_T7_P12ihipStream_tbENKUlT_T0_E_clISt17integral_constantIbLb1EESZ_EEDaSU_SV_EUlSU_E_NS1_11comp_targetILNS1_3genE0ELNS1_11target_archE4294967295ELNS1_3gpuE0ELNS1_3repE0EEENS1_30default_config_static_selectorELNS0_4arch9wavefront6targetE1EEEvT1_,comdat
	.protected	_ZN7rocprim17ROCPRIM_400000_NS6detail17trampoline_kernelINS0_14default_configENS1_27scan_by_key_config_selectorIxxEEZZNS1_16scan_by_key_implILNS1_25lookback_scan_determinismE0ELb1ES3_N6thrust23THRUST_200600_302600_NS6detail15normal_iteratorINS9_10device_ptrIxEEEESE_SE_xNS9_10multipliesIxEENS9_8equal_toIxEExEE10hipError_tPvRmT2_T3_T4_T5_mT6_T7_P12ihipStream_tbENKUlT_T0_E_clISt17integral_constantIbLb1EESZ_EEDaSU_SV_EUlSU_E_NS1_11comp_targetILNS1_3genE0ELNS1_11target_archE4294967295ELNS1_3gpuE0ELNS1_3repE0EEENS1_30default_config_static_selectorELNS0_4arch9wavefront6targetE1EEEvT1_ ; -- Begin function _ZN7rocprim17ROCPRIM_400000_NS6detail17trampoline_kernelINS0_14default_configENS1_27scan_by_key_config_selectorIxxEEZZNS1_16scan_by_key_implILNS1_25lookback_scan_determinismE0ELb1ES3_N6thrust23THRUST_200600_302600_NS6detail15normal_iteratorINS9_10device_ptrIxEEEESE_SE_xNS9_10multipliesIxEENS9_8equal_toIxEExEE10hipError_tPvRmT2_T3_T4_T5_mT6_T7_P12ihipStream_tbENKUlT_T0_E_clISt17integral_constantIbLb1EESZ_EEDaSU_SV_EUlSU_E_NS1_11comp_targetILNS1_3genE0ELNS1_11target_archE4294967295ELNS1_3gpuE0ELNS1_3repE0EEENS1_30default_config_static_selectorELNS0_4arch9wavefront6targetE1EEEvT1_
	.globl	_ZN7rocprim17ROCPRIM_400000_NS6detail17trampoline_kernelINS0_14default_configENS1_27scan_by_key_config_selectorIxxEEZZNS1_16scan_by_key_implILNS1_25lookback_scan_determinismE0ELb1ES3_N6thrust23THRUST_200600_302600_NS6detail15normal_iteratorINS9_10device_ptrIxEEEESE_SE_xNS9_10multipliesIxEENS9_8equal_toIxEExEE10hipError_tPvRmT2_T3_T4_T5_mT6_T7_P12ihipStream_tbENKUlT_T0_E_clISt17integral_constantIbLb1EESZ_EEDaSU_SV_EUlSU_E_NS1_11comp_targetILNS1_3genE0ELNS1_11target_archE4294967295ELNS1_3gpuE0ELNS1_3repE0EEENS1_30default_config_static_selectorELNS0_4arch9wavefront6targetE1EEEvT1_
	.p2align	8
	.type	_ZN7rocprim17ROCPRIM_400000_NS6detail17trampoline_kernelINS0_14default_configENS1_27scan_by_key_config_selectorIxxEEZZNS1_16scan_by_key_implILNS1_25lookback_scan_determinismE0ELb1ES3_N6thrust23THRUST_200600_302600_NS6detail15normal_iteratorINS9_10device_ptrIxEEEESE_SE_xNS9_10multipliesIxEENS9_8equal_toIxEExEE10hipError_tPvRmT2_T3_T4_T5_mT6_T7_P12ihipStream_tbENKUlT_T0_E_clISt17integral_constantIbLb1EESZ_EEDaSU_SV_EUlSU_E_NS1_11comp_targetILNS1_3genE0ELNS1_11target_archE4294967295ELNS1_3gpuE0ELNS1_3repE0EEENS1_30default_config_static_selectorELNS0_4arch9wavefront6targetE1EEEvT1_,@function
_ZN7rocprim17ROCPRIM_400000_NS6detail17trampoline_kernelINS0_14default_configENS1_27scan_by_key_config_selectorIxxEEZZNS1_16scan_by_key_implILNS1_25lookback_scan_determinismE0ELb1ES3_N6thrust23THRUST_200600_302600_NS6detail15normal_iteratorINS9_10device_ptrIxEEEESE_SE_xNS9_10multipliesIxEENS9_8equal_toIxEExEE10hipError_tPvRmT2_T3_T4_T5_mT6_T7_P12ihipStream_tbENKUlT_T0_E_clISt17integral_constantIbLb1EESZ_EEDaSU_SV_EUlSU_E_NS1_11comp_targetILNS1_3genE0ELNS1_11target_archE4294967295ELNS1_3gpuE0ELNS1_3repE0EEENS1_30default_config_static_selectorELNS0_4arch9wavefront6targetE1EEEvT1_: ; @_ZN7rocprim17ROCPRIM_400000_NS6detail17trampoline_kernelINS0_14default_configENS1_27scan_by_key_config_selectorIxxEEZZNS1_16scan_by_key_implILNS1_25lookback_scan_determinismE0ELb1ES3_N6thrust23THRUST_200600_302600_NS6detail15normal_iteratorINS9_10device_ptrIxEEEESE_SE_xNS9_10multipliesIxEENS9_8equal_toIxEExEE10hipError_tPvRmT2_T3_T4_T5_mT6_T7_P12ihipStream_tbENKUlT_T0_E_clISt17integral_constantIbLb1EESZ_EEDaSU_SV_EUlSU_E_NS1_11comp_targetILNS1_3genE0ELNS1_11target_archE4294967295ELNS1_3gpuE0ELNS1_3repE0EEENS1_30default_config_static_selectorELNS0_4arch9wavefront6targetE1EEEvT1_
; %bb.0:
	.section	.rodata,"a",@progbits
	.p2align	6, 0x0
	.amdhsa_kernel _ZN7rocprim17ROCPRIM_400000_NS6detail17trampoline_kernelINS0_14default_configENS1_27scan_by_key_config_selectorIxxEEZZNS1_16scan_by_key_implILNS1_25lookback_scan_determinismE0ELb1ES3_N6thrust23THRUST_200600_302600_NS6detail15normal_iteratorINS9_10device_ptrIxEEEESE_SE_xNS9_10multipliesIxEENS9_8equal_toIxEExEE10hipError_tPvRmT2_T3_T4_T5_mT6_T7_P12ihipStream_tbENKUlT_T0_E_clISt17integral_constantIbLb1EESZ_EEDaSU_SV_EUlSU_E_NS1_11comp_targetILNS1_3genE0ELNS1_11target_archE4294967295ELNS1_3gpuE0ELNS1_3repE0EEENS1_30default_config_static_selectorELNS0_4arch9wavefront6targetE1EEEvT1_
		.amdhsa_group_segment_fixed_size 0
		.amdhsa_private_segment_fixed_size 0
		.amdhsa_kernarg_size 136
		.amdhsa_user_sgpr_count 2
		.amdhsa_user_sgpr_dispatch_ptr 0
		.amdhsa_user_sgpr_queue_ptr 0
		.amdhsa_user_sgpr_kernarg_segment_ptr 1
		.amdhsa_user_sgpr_dispatch_id 0
		.amdhsa_user_sgpr_kernarg_preload_length 0
		.amdhsa_user_sgpr_kernarg_preload_offset 0
		.amdhsa_user_sgpr_private_segment_size 0
		.amdhsa_uses_dynamic_stack 0
		.amdhsa_enable_private_segment 0
		.amdhsa_system_sgpr_workgroup_id_x 1
		.amdhsa_system_sgpr_workgroup_id_y 0
		.amdhsa_system_sgpr_workgroup_id_z 0
		.amdhsa_system_sgpr_workgroup_info 0
		.amdhsa_system_vgpr_workitem_id 0
		.amdhsa_next_free_vgpr 1
		.amdhsa_next_free_sgpr 0
		.amdhsa_accum_offset 4
		.amdhsa_reserve_vcc 0
		.amdhsa_float_round_mode_32 0
		.amdhsa_float_round_mode_16_64 0
		.amdhsa_float_denorm_mode_32 3
		.amdhsa_float_denorm_mode_16_64 3
		.amdhsa_dx10_clamp 1
		.amdhsa_ieee_mode 1
		.amdhsa_fp16_overflow 0
		.amdhsa_tg_split 0
		.amdhsa_exception_fp_ieee_invalid_op 0
		.amdhsa_exception_fp_denorm_src 0
		.amdhsa_exception_fp_ieee_div_zero 0
		.amdhsa_exception_fp_ieee_overflow 0
		.amdhsa_exception_fp_ieee_underflow 0
		.amdhsa_exception_fp_ieee_inexact 0
		.amdhsa_exception_int_div_zero 0
	.end_amdhsa_kernel
	.section	.text._ZN7rocprim17ROCPRIM_400000_NS6detail17trampoline_kernelINS0_14default_configENS1_27scan_by_key_config_selectorIxxEEZZNS1_16scan_by_key_implILNS1_25lookback_scan_determinismE0ELb1ES3_N6thrust23THRUST_200600_302600_NS6detail15normal_iteratorINS9_10device_ptrIxEEEESE_SE_xNS9_10multipliesIxEENS9_8equal_toIxEExEE10hipError_tPvRmT2_T3_T4_T5_mT6_T7_P12ihipStream_tbENKUlT_T0_E_clISt17integral_constantIbLb1EESZ_EEDaSU_SV_EUlSU_E_NS1_11comp_targetILNS1_3genE0ELNS1_11target_archE4294967295ELNS1_3gpuE0ELNS1_3repE0EEENS1_30default_config_static_selectorELNS0_4arch9wavefront6targetE1EEEvT1_,"axG",@progbits,_ZN7rocprim17ROCPRIM_400000_NS6detail17trampoline_kernelINS0_14default_configENS1_27scan_by_key_config_selectorIxxEEZZNS1_16scan_by_key_implILNS1_25lookback_scan_determinismE0ELb1ES3_N6thrust23THRUST_200600_302600_NS6detail15normal_iteratorINS9_10device_ptrIxEEEESE_SE_xNS9_10multipliesIxEENS9_8equal_toIxEExEE10hipError_tPvRmT2_T3_T4_T5_mT6_T7_P12ihipStream_tbENKUlT_T0_E_clISt17integral_constantIbLb1EESZ_EEDaSU_SV_EUlSU_E_NS1_11comp_targetILNS1_3genE0ELNS1_11target_archE4294967295ELNS1_3gpuE0ELNS1_3repE0EEENS1_30default_config_static_selectorELNS0_4arch9wavefront6targetE1EEEvT1_,comdat
.Lfunc_end398:
	.size	_ZN7rocprim17ROCPRIM_400000_NS6detail17trampoline_kernelINS0_14default_configENS1_27scan_by_key_config_selectorIxxEEZZNS1_16scan_by_key_implILNS1_25lookback_scan_determinismE0ELb1ES3_N6thrust23THRUST_200600_302600_NS6detail15normal_iteratorINS9_10device_ptrIxEEEESE_SE_xNS9_10multipliesIxEENS9_8equal_toIxEExEE10hipError_tPvRmT2_T3_T4_T5_mT6_T7_P12ihipStream_tbENKUlT_T0_E_clISt17integral_constantIbLb1EESZ_EEDaSU_SV_EUlSU_E_NS1_11comp_targetILNS1_3genE0ELNS1_11target_archE4294967295ELNS1_3gpuE0ELNS1_3repE0EEENS1_30default_config_static_selectorELNS0_4arch9wavefront6targetE1EEEvT1_, .Lfunc_end398-_ZN7rocprim17ROCPRIM_400000_NS6detail17trampoline_kernelINS0_14default_configENS1_27scan_by_key_config_selectorIxxEEZZNS1_16scan_by_key_implILNS1_25lookback_scan_determinismE0ELb1ES3_N6thrust23THRUST_200600_302600_NS6detail15normal_iteratorINS9_10device_ptrIxEEEESE_SE_xNS9_10multipliesIxEENS9_8equal_toIxEExEE10hipError_tPvRmT2_T3_T4_T5_mT6_T7_P12ihipStream_tbENKUlT_T0_E_clISt17integral_constantIbLb1EESZ_EEDaSU_SV_EUlSU_E_NS1_11comp_targetILNS1_3genE0ELNS1_11target_archE4294967295ELNS1_3gpuE0ELNS1_3repE0EEENS1_30default_config_static_selectorELNS0_4arch9wavefront6targetE1EEEvT1_
                                        ; -- End function
	.section	.AMDGPU.csdata,"",@progbits
; Kernel info:
; codeLenInByte = 0
; NumSgprs: 6
; NumVgprs: 0
; NumAgprs: 0
; TotalNumVgprs: 0
; ScratchSize: 0
; MemoryBound: 0
; FloatMode: 240
; IeeeMode: 1
; LDSByteSize: 0 bytes/workgroup (compile time only)
; SGPRBlocks: 0
; VGPRBlocks: 0
; NumSGPRsForWavesPerEU: 6
; NumVGPRsForWavesPerEU: 1
; AccumOffset: 4
; Occupancy: 8
; WaveLimiterHint : 0
; COMPUTE_PGM_RSRC2:SCRATCH_EN: 0
; COMPUTE_PGM_RSRC2:USER_SGPR: 2
; COMPUTE_PGM_RSRC2:TRAP_HANDLER: 0
; COMPUTE_PGM_RSRC2:TGID_X_EN: 1
; COMPUTE_PGM_RSRC2:TGID_Y_EN: 0
; COMPUTE_PGM_RSRC2:TGID_Z_EN: 0
; COMPUTE_PGM_RSRC2:TIDIG_COMP_CNT: 0
; COMPUTE_PGM_RSRC3_GFX90A:ACCUM_OFFSET: 0
; COMPUTE_PGM_RSRC3_GFX90A:TG_SPLIT: 0
	.section	.text._ZN7rocprim17ROCPRIM_400000_NS6detail17trampoline_kernelINS0_14default_configENS1_27scan_by_key_config_selectorIxxEEZZNS1_16scan_by_key_implILNS1_25lookback_scan_determinismE0ELb1ES3_N6thrust23THRUST_200600_302600_NS6detail15normal_iteratorINS9_10device_ptrIxEEEESE_SE_xNS9_10multipliesIxEENS9_8equal_toIxEExEE10hipError_tPvRmT2_T3_T4_T5_mT6_T7_P12ihipStream_tbENKUlT_T0_E_clISt17integral_constantIbLb1EESZ_EEDaSU_SV_EUlSU_E_NS1_11comp_targetILNS1_3genE10ELNS1_11target_archE1201ELNS1_3gpuE5ELNS1_3repE0EEENS1_30default_config_static_selectorELNS0_4arch9wavefront6targetE1EEEvT1_,"axG",@progbits,_ZN7rocprim17ROCPRIM_400000_NS6detail17trampoline_kernelINS0_14default_configENS1_27scan_by_key_config_selectorIxxEEZZNS1_16scan_by_key_implILNS1_25lookback_scan_determinismE0ELb1ES3_N6thrust23THRUST_200600_302600_NS6detail15normal_iteratorINS9_10device_ptrIxEEEESE_SE_xNS9_10multipliesIxEENS9_8equal_toIxEExEE10hipError_tPvRmT2_T3_T4_T5_mT6_T7_P12ihipStream_tbENKUlT_T0_E_clISt17integral_constantIbLb1EESZ_EEDaSU_SV_EUlSU_E_NS1_11comp_targetILNS1_3genE10ELNS1_11target_archE1201ELNS1_3gpuE5ELNS1_3repE0EEENS1_30default_config_static_selectorELNS0_4arch9wavefront6targetE1EEEvT1_,comdat
	.protected	_ZN7rocprim17ROCPRIM_400000_NS6detail17trampoline_kernelINS0_14default_configENS1_27scan_by_key_config_selectorIxxEEZZNS1_16scan_by_key_implILNS1_25lookback_scan_determinismE0ELb1ES3_N6thrust23THRUST_200600_302600_NS6detail15normal_iteratorINS9_10device_ptrIxEEEESE_SE_xNS9_10multipliesIxEENS9_8equal_toIxEExEE10hipError_tPvRmT2_T3_T4_T5_mT6_T7_P12ihipStream_tbENKUlT_T0_E_clISt17integral_constantIbLb1EESZ_EEDaSU_SV_EUlSU_E_NS1_11comp_targetILNS1_3genE10ELNS1_11target_archE1201ELNS1_3gpuE5ELNS1_3repE0EEENS1_30default_config_static_selectorELNS0_4arch9wavefront6targetE1EEEvT1_ ; -- Begin function _ZN7rocprim17ROCPRIM_400000_NS6detail17trampoline_kernelINS0_14default_configENS1_27scan_by_key_config_selectorIxxEEZZNS1_16scan_by_key_implILNS1_25lookback_scan_determinismE0ELb1ES3_N6thrust23THRUST_200600_302600_NS6detail15normal_iteratorINS9_10device_ptrIxEEEESE_SE_xNS9_10multipliesIxEENS9_8equal_toIxEExEE10hipError_tPvRmT2_T3_T4_T5_mT6_T7_P12ihipStream_tbENKUlT_T0_E_clISt17integral_constantIbLb1EESZ_EEDaSU_SV_EUlSU_E_NS1_11comp_targetILNS1_3genE10ELNS1_11target_archE1201ELNS1_3gpuE5ELNS1_3repE0EEENS1_30default_config_static_selectorELNS0_4arch9wavefront6targetE1EEEvT1_
	.globl	_ZN7rocprim17ROCPRIM_400000_NS6detail17trampoline_kernelINS0_14default_configENS1_27scan_by_key_config_selectorIxxEEZZNS1_16scan_by_key_implILNS1_25lookback_scan_determinismE0ELb1ES3_N6thrust23THRUST_200600_302600_NS6detail15normal_iteratorINS9_10device_ptrIxEEEESE_SE_xNS9_10multipliesIxEENS9_8equal_toIxEExEE10hipError_tPvRmT2_T3_T4_T5_mT6_T7_P12ihipStream_tbENKUlT_T0_E_clISt17integral_constantIbLb1EESZ_EEDaSU_SV_EUlSU_E_NS1_11comp_targetILNS1_3genE10ELNS1_11target_archE1201ELNS1_3gpuE5ELNS1_3repE0EEENS1_30default_config_static_selectorELNS0_4arch9wavefront6targetE1EEEvT1_
	.p2align	8
	.type	_ZN7rocprim17ROCPRIM_400000_NS6detail17trampoline_kernelINS0_14default_configENS1_27scan_by_key_config_selectorIxxEEZZNS1_16scan_by_key_implILNS1_25lookback_scan_determinismE0ELb1ES3_N6thrust23THRUST_200600_302600_NS6detail15normal_iteratorINS9_10device_ptrIxEEEESE_SE_xNS9_10multipliesIxEENS9_8equal_toIxEExEE10hipError_tPvRmT2_T3_T4_T5_mT6_T7_P12ihipStream_tbENKUlT_T0_E_clISt17integral_constantIbLb1EESZ_EEDaSU_SV_EUlSU_E_NS1_11comp_targetILNS1_3genE10ELNS1_11target_archE1201ELNS1_3gpuE5ELNS1_3repE0EEENS1_30default_config_static_selectorELNS0_4arch9wavefront6targetE1EEEvT1_,@function
_ZN7rocprim17ROCPRIM_400000_NS6detail17trampoline_kernelINS0_14default_configENS1_27scan_by_key_config_selectorIxxEEZZNS1_16scan_by_key_implILNS1_25lookback_scan_determinismE0ELb1ES3_N6thrust23THRUST_200600_302600_NS6detail15normal_iteratorINS9_10device_ptrIxEEEESE_SE_xNS9_10multipliesIxEENS9_8equal_toIxEExEE10hipError_tPvRmT2_T3_T4_T5_mT6_T7_P12ihipStream_tbENKUlT_T0_E_clISt17integral_constantIbLb1EESZ_EEDaSU_SV_EUlSU_E_NS1_11comp_targetILNS1_3genE10ELNS1_11target_archE1201ELNS1_3gpuE5ELNS1_3repE0EEENS1_30default_config_static_selectorELNS0_4arch9wavefront6targetE1EEEvT1_: ; @_ZN7rocprim17ROCPRIM_400000_NS6detail17trampoline_kernelINS0_14default_configENS1_27scan_by_key_config_selectorIxxEEZZNS1_16scan_by_key_implILNS1_25lookback_scan_determinismE0ELb1ES3_N6thrust23THRUST_200600_302600_NS6detail15normal_iteratorINS9_10device_ptrIxEEEESE_SE_xNS9_10multipliesIxEENS9_8equal_toIxEExEE10hipError_tPvRmT2_T3_T4_T5_mT6_T7_P12ihipStream_tbENKUlT_T0_E_clISt17integral_constantIbLb1EESZ_EEDaSU_SV_EUlSU_E_NS1_11comp_targetILNS1_3genE10ELNS1_11target_archE1201ELNS1_3gpuE5ELNS1_3repE0EEENS1_30default_config_static_selectorELNS0_4arch9wavefront6targetE1EEEvT1_
; %bb.0:
	.section	.rodata,"a",@progbits
	.p2align	6, 0x0
	.amdhsa_kernel _ZN7rocprim17ROCPRIM_400000_NS6detail17trampoline_kernelINS0_14default_configENS1_27scan_by_key_config_selectorIxxEEZZNS1_16scan_by_key_implILNS1_25lookback_scan_determinismE0ELb1ES3_N6thrust23THRUST_200600_302600_NS6detail15normal_iteratorINS9_10device_ptrIxEEEESE_SE_xNS9_10multipliesIxEENS9_8equal_toIxEExEE10hipError_tPvRmT2_T3_T4_T5_mT6_T7_P12ihipStream_tbENKUlT_T0_E_clISt17integral_constantIbLb1EESZ_EEDaSU_SV_EUlSU_E_NS1_11comp_targetILNS1_3genE10ELNS1_11target_archE1201ELNS1_3gpuE5ELNS1_3repE0EEENS1_30default_config_static_selectorELNS0_4arch9wavefront6targetE1EEEvT1_
		.amdhsa_group_segment_fixed_size 0
		.amdhsa_private_segment_fixed_size 0
		.amdhsa_kernarg_size 136
		.amdhsa_user_sgpr_count 2
		.amdhsa_user_sgpr_dispatch_ptr 0
		.amdhsa_user_sgpr_queue_ptr 0
		.amdhsa_user_sgpr_kernarg_segment_ptr 1
		.amdhsa_user_sgpr_dispatch_id 0
		.amdhsa_user_sgpr_kernarg_preload_length 0
		.amdhsa_user_sgpr_kernarg_preload_offset 0
		.amdhsa_user_sgpr_private_segment_size 0
		.amdhsa_uses_dynamic_stack 0
		.amdhsa_enable_private_segment 0
		.amdhsa_system_sgpr_workgroup_id_x 1
		.amdhsa_system_sgpr_workgroup_id_y 0
		.amdhsa_system_sgpr_workgroup_id_z 0
		.amdhsa_system_sgpr_workgroup_info 0
		.amdhsa_system_vgpr_workitem_id 0
		.amdhsa_next_free_vgpr 1
		.amdhsa_next_free_sgpr 0
		.amdhsa_accum_offset 4
		.amdhsa_reserve_vcc 0
		.amdhsa_float_round_mode_32 0
		.amdhsa_float_round_mode_16_64 0
		.amdhsa_float_denorm_mode_32 3
		.amdhsa_float_denorm_mode_16_64 3
		.amdhsa_dx10_clamp 1
		.amdhsa_ieee_mode 1
		.amdhsa_fp16_overflow 0
		.amdhsa_tg_split 0
		.amdhsa_exception_fp_ieee_invalid_op 0
		.amdhsa_exception_fp_denorm_src 0
		.amdhsa_exception_fp_ieee_div_zero 0
		.amdhsa_exception_fp_ieee_overflow 0
		.amdhsa_exception_fp_ieee_underflow 0
		.amdhsa_exception_fp_ieee_inexact 0
		.amdhsa_exception_int_div_zero 0
	.end_amdhsa_kernel
	.section	.text._ZN7rocprim17ROCPRIM_400000_NS6detail17trampoline_kernelINS0_14default_configENS1_27scan_by_key_config_selectorIxxEEZZNS1_16scan_by_key_implILNS1_25lookback_scan_determinismE0ELb1ES3_N6thrust23THRUST_200600_302600_NS6detail15normal_iteratorINS9_10device_ptrIxEEEESE_SE_xNS9_10multipliesIxEENS9_8equal_toIxEExEE10hipError_tPvRmT2_T3_T4_T5_mT6_T7_P12ihipStream_tbENKUlT_T0_E_clISt17integral_constantIbLb1EESZ_EEDaSU_SV_EUlSU_E_NS1_11comp_targetILNS1_3genE10ELNS1_11target_archE1201ELNS1_3gpuE5ELNS1_3repE0EEENS1_30default_config_static_selectorELNS0_4arch9wavefront6targetE1EEEvT1_,"axG",@progbits,_ZN7rocprim17ROCPRIM_400000_NS6detail17trampoline_kernelINS0_14default_configENS1_27scan_by_key_config_selectorIxxEEZZNS1_16scan_by_key_implILNS1_25lookback_scan_determinismE0ELb1ES3_N6thrust23THRUST_200600_302600_NS6detail15normal_iteratorINS9_10device_ptrIxEEEESE_SE_xNS9_10multipliesIxEENS9_8equal_toIxEExEE10hipError_tPvRmT2_T3_T4_T5_mT6_T7_P12ihipStream_tbENKUlT_T0_E_clISt17integral_constantIbLb1EESZ_EEDaSU_SV_EUlSU_E_NS1_11comp_targetILNS1_3genE10ELNS1_11target_archE1201ELNS1_3gpuE5ELNS1_3repE0EEENS1_30default_config_static_selectorELNS0_4arch9wavefront6targetE1EEEvT1_,comdat
.Lfunc_end399:
	.size	_ZN7rocprim17ROCPRIM_400000_NS6detail17trampoline_kernelINS0_14default_configENS1_27scan_by_key_config_selectorIxxEEZZNS1_16scan_by_key_implILNS1_25lookback_scan_determinismE0ELb1ES3_N6thrust23THRUST_200600_302600_NS6detail15normal_iteratorINS9_10device_ptrIxEEEESE_SE_xNS9_10multipliesIxEENS9_8equal_toIxEExEE10hipError_tPvRmT2_T3_T4_T5_mT6_T7_P12ihipStream_tbENKUlT_T0_E_clISt17integral_constantIbLb1EESZ_EEDaSU_SV_EUlSU_E_NS1_11comp_targetILNS1_3genE10ELNS1_11target_archE1201ELNS1_3gpuE5ELNS1_3repE0EEENS1_30default_config_static_selectorELNS0_4arch9wavefront6targetE1EEEvT1_, .Lfunc_end399-_ZN7rocprim17ROCPRIM_400000_NS6detail17trampoline_kernelINS0_14default_configENS1_27scan_by_key_config_selectorIxxEEZZNS1_16scan_by_key_implILNS1_25lookback_scan_determinismE0ELb1ES3_N6thrust23THRUST_200600_302600_NS6detail15normal_iteratorINS9_10device_ptrIxEEEESE_SE_xNS9_10multipliesIxEENS9_8equal_toIxEExEE10hipError_tPvRmT2_T3_T4_T5_mT6_T7_P12ihipStream_tbENKUlT_T0_E_clISt17integral_constantIbLb1EESZ_EEDaSU_SV_EUlSU_E_NS1_11comp_targetILNS1_3genE10ELNS1_11target_archE1201ELNS1_3gpuE5ELNS1_3repE0EEENS1_30default_config_static_selectorELNS0_4arch9wavefront6targetE1EEEvT1_
                                        ; -- End function
	.section	.AMDGPU.csdata,"",@progbits
; Kernel info:
; codeLenInByte = 0
; NumSgprs: 6
; NumVgprs: 0
; NumAgprs: 0
; TotalNumVgprs: 0
; ScratchSize: 0
; MemoryBound: 0
; FloatMode: 240
; IeeeMode: 1
; LDSByteSize: 0 bytes/workgroup (compile time only)
; SGPRBlocks: 0
; VGPRBlocks: 0
; NumSGPRsForWavesPerEU: 6
; NumVGPRsForWavesPerEU: 1
; AccumOffset: 4
; Occupancy: 8
; WaveLimiterHint : 0
; COMPUTE_PGM_RSRC2:SCRATCH_EN: 0
; COMPUTE_PGM_RSRC2:USER_SGPR: 2
; COMPUTE_PGM_RSRC2:TRAP_HANDLER: 0
; COMPUTE_PGM_RSRC2:TGID_X_EN: 1
; COMPUTE_PGM_RSRC2:TGID_Y_EN: 0
; COMPUTE_PGM_RSRC2:TGID_Z_EN: 0
; COMPUTE_PGM_RSRC2:TIDIG_COMP_CNT: 0
; COMPUTE_PGM_RSRC3_GFX90A:ACCUM_OFFSET: 0
; COMPUTE_PGM_RSRC3_GFX90A:TG_SPLIT: 0
	.section	.text._ZN7rocprim17ROCPRIM_400000_NS6detail17trampoline_kernelINS0_14default_configENS1_27scan_by_key_config_selectorIxxEEZZNS1_16scan_by_key_implILNS1_25lookback_scan_determinismE0ELb1ES3_N6thrust23THRUST_200600_302600_NS6detail15normal_iteratorINS9_10device_ptrIxEEEESE_SE_xNS9_10multipliesIxEENS9_8equal_toIxEExEE10hipError_tPvRmT2_T3_T4_T5_mT6_T7_P12ihipStream_tbENKUlT_T0_E_clISt17integral_constantIbLb1EESZ_EEDaSU_SV_EUlSU_E_NS1_11comp_targetILNS1_3genE5ELNS1_11target_archE942ELNS1_3gpuE9ELNS1_3repE0EEENS1_30default_config_static_selectorELNS0_4arch9wavefront6targetE1EEEvT1_,"axG",@progbits,_ZN7rocprim17ROCPRIM_400000_NS6detail17trampoline_kernelINS0_14default_configENS1_27scan_by_key_config_selectorIxxEEZZNS1_16scan_by_key_implILNS1_25lookback_scan_determinismE0ELb1ES3_N6thrust23THRUST_200600_302600_NS6detail15normal_iteratorINS9_10device_ptrIxEEEESE_SE_xNS9_10multipliesIxEENS9_8equal_toIxEExEE10hipError_tPvRmT2_T3_T4_T5_mT6_T7_P12ihipStream_tbENKUlT_T0_E_clISt17integral_constantIbLb1EESZ_EEDaSU_SV_EUlSU_E_NS1_11comp_targetILNS1_3genE5ELNS1_11target_archE942ELNS1_3gpuE9ELNS1_3repE0EEENS1_30default_config_static_selectorELNS0_4arch9wavefront6targetE1EEEvT1_,comdat
	.protected	_ZN7rocprim17ROCPRIM_400000_NS6detail17trampoline_kernelINS0_14default_configENS1_27scan_by_key_config_selectorIxxEEZZNS1_16scan_by_key_implILNS1_25lookback_scan_determinismE0ELb1ES3_N6thrust23THRUST_200600_302600_NS6detail15normal_iteratorINS9_10device_ptrIxEEEESE_SE_xNS9_10multipliesIxEENS9_8equal_toIxEExEE10hipError_tPvRmT2_T3_T4_T5_mT6_T7_P12ihipStream_tbENKUlT_T0_E_clISt17integral_constantIbLb1EESZ_EEDaSU_SV_EUlSU_E_NS1_11comp_targetILNS1_3genE5ELNS1_11target_archE942ELNS1_3gpuE9ELNS1_3repE0EEENS1_30default_config_static_selectorELNS0_4arch9wavefront6targetE1EEEvT1_ ; -- Begin function _ZN7rocprim17ROCPRIM_400000_NS6detail17trampoline_kernelINS0_14default_configENS1_27scan_by_key_config_selectorIxxEEZZNS1_16scan_by_key_implILNS1_25lookback_scan_determinismE0ELb1ES3_N6thrust23THRUST_200600_302600_NS6detail15normal_iteratorINS9_10device_ptrIxEEEESE_SE_xNS9_10multipliesIxEENS9_8equal_toIxEExEE10hipError_tPvRmT2_T3_T4_T5_mT6_T7_P12ihipStream_tbENKUlT_T0_E_clISt17integral_constantIbLb1EESZ_EEDaSU_SV_EUlSU_E_NS1_11comp_targetILNS1_3genE5ELNS1_11target_archE942ELNS1_3gpuE9ELNS1_3repE0EEENS1_30default_config_static_selectorELNS0_4arch9wavefront6targetE1EEEvT1_
	.globl	_ZN7rocprim17ROCPRIM_400000_NS6detail17trampoline_kernelINS0_14default_configENS1_27scan_by_key_config_selectorIxxEEZZNS1_16scan_by_key_implILNS1_25lookback_scan_determinismE0ELb1ES3_N6thrust23THRUST_200600_302600_NS6detail15normal_iteratorINS9_10device_ptrIxEEEESE_SE_xNS9_10multipliesIxEENS9_8equal_toIxEExEE10hipError_tPvRmT2_T3_T4_T5_mT6_T7_P12ihipStream_tbENKUlT_T0_E_clISt17integral_constantIbLb1EESZ_EEDaSU_SV_EUlSU_E_NS1_11comp_targetILNS1_3genE5ELNS1_11target_archE942ELNS1_3gpuE9ELNS1_3repE0EEENS1_30default_config_static_selectorELNS0_4arch9wavefront6targetE1EEEvT1_
	.p2align	8
	.type	_ZN7rocprim17ROCPRIM_400000_NS6detail17trampoline_kernelINS0_14default_configENS1_27scan_by_key_config_selectorIxxEEZZNS1_16scan_by_key_implILNS1_25lookback_scan_determinismE0ELb1ES3_N6thrust23THRUST_200600_302600_NS6detail15normal_iteratorINS9_10device_ptrIxEEEESE_SE_xNS9_10multipliesIxEENS9_8equal_toIxEExEE10hipError_tPvRmT2_T3_T4_T5_mT6_T7_P12ihipStream_tbENKUlT_T0_E_clISt17integral_constantIbLb1EESZ_EEDaSU_SV_EUlSU_E_NS1_11comp_targetILNS1_3genE5ELNS1_11target_archE942ELNS1_3gpuE9ELNS1_3repE0EEENS1_30default_config_static_selectorELNS0_4arch9wavefront6targetE1EEEvT1_,@function
_ZN7rocprim17ROCPRIM_400000_NS6detail17trampoline_kernelINS0_14default_configENS1_27scan_by_key_config_selectorIxxEEZZNS1_16scan_by_key_implILNS1_25lookback_scan_determinismE0ELb1ES3_N6thrust23THRUST_200600_302600_NS6detail15normal_iteratorINS9_10device_ptrIxEEEESE_SE_xNS9_10multipliesIxEENS9_8equal_toIxEExEE10hipError_tPvRmT2_T3_T4_T5_mT6_T7_P12ihipStream_tbENKUlT_T0_E_clISt17integral_constantIbLb1EESZ_EEDaSU_SV_EUlSU_E_NS1_11comp_targetILNS1_3genE5ELNS1_11target_archE942ELNS1_3gpuE9ELNS1_3repE0EEENS1_30default_config_static_selectorELNS0_4arch9wavefront6targetE1EEEvT1_: ; @_ZN7rocprim17ROCPRIM_400000_NS6detail17trampoline_kernelINS0_14default_configENS1_27scan_by_key_config_selectorIxxEEZZNS1_16scan_by_key_implILNS1_25lookback_scan_determinismE0ELb1ES3_N6thrust23THRUST_200600_302600_NS6detail15normal_iteratorINS9_10device_ptrIxEEEESE_SE_xNS9_10multipliesIxEENS9_8equal_toIxEExEE10hipError_tPvRmT2_T3_T4_T5_mT6_T7_P12ihipStream_tbENKUlT_T0_E_clISt17integral_constantIbLb1EESZ_EEDaSU_SV_EUlSU_E_NS1_11comp_targetILNS1_3genE5ELNS1_11target_archE942ELNS1_3gpuE9ELNS1_3repE0EEENS1_30default_config_static_selectorELNS0_4arch9wavefront6targetE1EEEvT1_
; %bb.0:
	s_load_dwordx8 s[44:51], s[0:1], 0x0
	s_load_dwordx2 s[56:57], s[0:1], 0x20
	s_load_dwordx8 s[36:43], s[0:1], 0x30
	s_load_dwordx2 s[58:59], s[0:1], 0x50
	v_cmp_ne_u32_e64 s[4:5], 0, v0
	v_cmp_eq_u32_e64 s[2:3], 0, v0
	s_and_saveexec_b64 s[6:7], s[2:3]
	s_cbranch_execz .LBB400_4
; %bb.1:
	s_mov_b64 s[10:11], exec
	v_mbcnt_lo_u32_b32 v1, s10, 0
	v_mbcnt_hi_u32_b32 v1, s11, v1
	v_cmp_eq_u32_e32 vcc, 0, v1
                                        ; implicit-def: $vgpr2
	s_and_saveexec_b64 s[8:9], vcc
	s_cbranch_execz .LBB400_3
; %bb.2:
	s_load_dwordx2 s[12:13], s[0:1], 0x80
	s_bcnt1_i32_b64 s10, s[10:11]
	v_mov_b32_e32 v2, 0
	v_mov_b32_e32 v3, s10
	s_waitcnt lgkmcnt(0)
	global_atomic_add v2, v2, v3, s[12:13] sc0
.LBB400_3:
	s_or_b64 exec, exec, s[8:9]
	s_waitcnt vmcnt(0)
	v_readfirstlane_b32 s8, v2
	v_mov_b32_e32 v2, 0
	s_nop 0
	v_add_u32_e32 v1, s8, v1
	ds_write_b32 v2, v1
.LBB400_4:
	s_or_b64 exec, exec, s[6:7]
	s_load_dword s6, s[0:1], 0x58
	s_load_dwordx4 s[52:55], s[0:1], 0x60
	v_mov_b32_e32 v3, 0
	s_waitcnt lgkmcnt(0)
	s_lshl_b64 s[46:47], s[46:47], 3
	s_barrier
	ds_read_b32 v2, v3
	s_add_u32 s0, s44, s46
	s_addc_u32 s1, s45, s47
	s_add_u32 s8, s48, s46
	s_mul_i32 s7, s59, s6
	s_mul_hi_u32 s10, s58, s6
	s_addc_u32 s9, s49, s47
	s_add_i32 s7, s10, s7
	s_movk_i32 s10, 0xe00
	s_waitcnt lgkmcnt(0)
	v_mul_lo_u32 v4, v2, s10
	v_mov_b32_e32 v5, v3
	v_lshlrev_b64 v[54:55], 3, v[4:5]
	s_mul_i32 s6, s58, s6
	v_lshl_add_u64 v[62:63], s[8:9], 0, v[54:55]
	s_add_u32 s8, s52, -1
	v_readfirstlane_b32 s43, v2
	v_lshl_add_u64 v[2:3], s[6:7], 0, v[2:3]
	s_addc_u32 s9, s53, -1
	v_lshl_add_u64 v[64:65], s[0:1], 0, v[54:55]
	v_cmp_le_u64_e64 s[0:1], s[8:9], v[2:3]
	s_mov_b64 s[6:7], -1
	s_and_b64 vcc, exec, s[0:1]
	s_mul_i32 s33, s8, 0xfffff200
	s_barrier
	s_barrier
	s_cbranch_vccz .LBB400_80
; %bb.5:
	flat_load_dwordx2 v[2:3], v[64:65]
	s_add_i32 s52, s33, s42
	v_cmp_gt_u32_e32 vcc, s52, v0
	s_waitcnt vmcnt(0) lgkmcnt(0)
	v_mov_b64_e32 v[4:5], v[2:3]
	s_and_saveexec_b64 s[6:7], vcc
	s_cbranch_execz .LBB400_7
; %bb.6:
	v_lshlrev_b32_e32 v4, 3, v0
	v_mov_b32_e32 v5, 0
	v_lshl_add_u64 v[4:5], v[64:65], 0, v[4:5]
	flat_load_dwordx2 v[4:5], v[4:5]
.LBB400_7:
	s_or_b64 exec, exec, s[6:7]
	v_or_b32_e32 v1, 0x100, v0
	v_cmp_gt_u32_e64 s[6:7], s52, v1
	v_mov_b64_e32 v[6:7], v[2:3]
	s_and_saveexec_b64 s[8:9], s[6:7]
	s_cbranch_execz .LBB400_9
; %bb.8:
	v_lshlrev_b32_e32 v6, 3, v0
	v_mov_b32_e32 v7, 0
	v_lshl_add_u64 v[6:7], v[64:65], 0, v[6:7]
	flat_load_dwordx2 v[6:7], v[6:7] offset:2048
.LBB400_9:
	s_or_b64 exec, exec, s[8:9]
	v_or_b32_e32 v1, 0x200, v0
	v_cmp_gt_u32_e64 s[8:9], s52, v1
	v_mov_b64_e32 v[8:9], v[2:3]
	s_and_saveexec_b64 s[10:11], s[8:9]
	s_cbranch_execz .LBB400_11
; %bb.10:
	v_lshlrev_b32_e32 v8, 3, v1
	v_mov_b32_e32 v9, 0
	v_lshl_add_u64 v[8:9], v[64:65], 0, v[8:9]
	flat_load_dwordx2 v[8:9], v[8:9]
.LBB400_11:
	s_or_b64 exec, exec, s[10:11]
	v_or_b32_e32 v40, 0x300, v0
	v_cmp_gt_u32_e64 s[10:11], s52, v40
	v_mov_b64_e32 v[10:11], v[2:3]
	s_and_saveexec_b64 s[12:13], s[10:11]
	s_cbranch_execz .LBB400_13
; %bb.12:
	v_lshlrev_b32_e32 v10, 3, v40
	v_mov_b32_e32 v11, 0
	v_lshl_add_u64 v[10:11], v[64:65], 0, v[10:11]
	flat_load_dwordx2 v[10:11], v[10:11]
.LBB400_13:
	;; [unrolled: 12-line block ×11, first 2 shown]
	s_or_b64 exec, exec, s[30:31]
	v_or_b32_e32 v68, 0xd00, v0
	v_cmp_gt_u32_e64 s[30:31], s52, v68
	s_and_saveexec_b64 s[34:35], s[30:31]
	s_cbranch_execz .LBB400_33
; %bb.32:
	v_lshlrev_b32_e32 v2, 3, v68
	v_mov_b32_e32 v3, 0
	v_lshl_add_u64 v[2:3], v[64:65], 0, v[2:3]
	flat_load_dwordx2 v[2:3], v[2:3]
.LBB400_33:
	s_or_b64 exec, exec, s[34:35]
	v_lshlrev_b32_e32 v30, 3, v0
	s_waitcnt vmcnt(0) lgkmcnt(0)
	ds_write2st64_b64 v30, v[4:5], v[6:7] offset1:4
	ds_write2st64_b64 v30, v[8:9], v[10:11] offset0:8 offset1:12
	ds_write2st64_b64 v30, v[12:13], v[14:15] offset0:16 offset1:20
	;; [unrolled: 1-line block ×6, first 2 shown]
	s_waitcnt lgkmcnt(0)
	s_barrier
	flat_load_dwordx2 v[60:61], v[64:65]
	s_movk_i32 s34, 0x68
	v_mad_u32_u24 v80, v0, s34, v30
	s_movk_i32 s34, 0xff98
	v_mad_i32_i24 v31, v0, s34, v80
	s_movk_i32 s34, 0xff
	v_cmp_ne_u32_e64 s[34:35], s34, v0
	ds_read_b128 v[26:29], v80
	ds_read_b128 v[22:25], v80 offset:16
	ds_read_b128 v[18:21], v80 offset:32
	;; [unrolled: 1-line block ×6, first 2 shown]
	s_waitcnt lgkmcnt(0)
	ds_write_b64 v31, v[26:27] offset:30720
	s_waitcnt lgkmcnt(0)
	s_barrier
	s_and_saveexec_b64 s[44:45], s[34:35]
	s_cbranch_execz .LBB400_35
; %bb.34:
	s_waitcnt vmcnt(0)
	ds_read_b64 v[60:61], v30 offset:30728
.LBB400_35:
	s_or_b64 exec, exec, s[44:45]
	v_mov_b32_e32 v31, 0
	s_waitcnt lgkmcnt(0)
	s_barrier
	s_waitcnt lgkmcnt(0)
                                        ; implicit-def: $vgpr32_vgpr33
	s_and_saveexec_b64 s[34:35], vcc
	s_cbranch_execz .LBB400_161
; %bb.36:
	v_lshl_add_u64 v[32:33], v[62:63], 0, v[30:31]
	flat_load_dwordx2 v[32:33], v[32:33]
	s_or_b64 exec, exec, s[34:35]
                                        ; implicit-def: $vgpr34_vgpr35
	s_and_saveexec_b64 s[34:35], s[6:7]
	s_cbranch_execnz .LBB400_162
.LBB400_37:
	s_or_b64 exec, exec, s[34:35]
                                        ; implicit-def: $vgpr36_vgpr37
	s_and_saveexec_b64 s[6:7], s[8:9]
	s_cbranch_execz .LBB400_163
.LBB400_38:
	v_lshlrev_b32_e32 v36, 3, v1
	v_mov_b32_e32 v37, 0
	v_lshl_add_u64 v[36:37], v[62:63], 0, v[36:37]
	flat_load_dwordx2 v[36:37], v[36:37]
	s_or_b64 exec, exec, s[6:7]
                                        ; implicit-def: $vgpr38_vgpr39
	s_and_saveexec_b64 s[6:7], s[10:11]
	s_cbranch_execnz .LBB400_164
.LBB400_39:
	s_or_b64 exec, exec, s[6:7]
                                        ; implicit-def: $vgpr40_vgpr41
	s_and_saveexec_b64 s[6:7], s[12:13]
	s_cbranch_execz .LBB400_165
.LBB400_40:
	v_lshlrev_b32_e32 v40, 3, v42
	v_mov_b32_e32 v41, 0
	v_lshl_add_u64 v[40:41], v[62:63], 0, v[40:41]
	flat_load_dwordx2 v[40:41], v[40:41]
	s_or_b64 exec, exec, s[6:7]
                                        ; implicit-def: $vgpr42_vgpr43
	s_and_saveexec_b64 s[6:7], s[14:15]
	s_cbranch_execnz .LBB400_166
.LBB400_41:
	s_or_b64 exec, exec, s[6:7]
                                        ; implicit-def: $vgpr44_vgpr45
	s_and_saveexec_b64 s[6:7], s[16:17]
	s_cbranch_execz .LBB400_167
.LBB400_42:
	v_lshlrev_b32_e32 v44, 3, v46
	v_mov_b32_e32 v45, 0
	v_lshl_add_u64 v[44:45], v[62:63], 0, v[44:45]
	flat_load_dwordx2 v[44:45], v[44:45]
	s_or_b64 exec, exec, s[6:7]
                                        ; implicit-def: $vgpr46_vgpr47
	s_and_saveexec_b64 s[6:7], s[18:19]
	s_cbranch_execnz .LBB400_168
.LBB400_43:
	s_or_b64 exec, exec, s[6:7]
                                        ; implicit-def: $vgpr48_vgpr49
	s_and_saveexec_b64 s[6:7], s[20:21]
	s_cbranch_execz .LBB400_169
.LBB400_44:
	v_lshlrev_b32_e32 v48, 3, v50
	v_mov_b32_e32 v49, 0
	v_lshl_add_u64 v[48:49], v[62:63], 0, v[48:49]
	flat_load_dwordx2 v[48:49], v[48:49]
	s_or_b64 exec, exec, s[6:7]
                                        ; implicit-def: $vgpr50_vgpr51
	s_and_saveexec_b64 s[6:7], s[22:23]
	s_cbranch_execnz .LBB400_170
.LBB400_45:
	s_or_b64 exec, exec, s[6:7]
                                        ; implicit-def: $vgpr52_vgpr53
	s_and_saveexec_b64 s[6:7], s[24:25]
	s_cbranch_execz .LBB400_171
.LBB400_46:
	v_lshlrev_b32_e32 v52, 3, v56
	v_mov_b32_e32 v53, 0
	v_lshl_add_u64 v[52:53], v[62:63], 0, v[52:53]
	flat_load_dwordx2 v[52:53], v[52:53]
	s_or_b64 exec, exec, s[6:7]
                                        ; implicit-def: $vgpr56_vgpr57
	s_and_saveexec_b64 s[6:7], s[26:27]
	s_cbranch_execnz .LBB400_172
.LBB400_47:
	s_or_b64 exec, exec, s[6:7]
                                        ; implicit-def: $vgpr58_vgpr59
	s_and_saveexec_b64 s[6:7], s[28:29]
	s_cbranch_execz .LBB400_49
.LBB400_48:
	v_lshlrev_b32_e32 v58, 3, v66
	v_mov_b32_e32 v59, 0
	v_lshl_add_u64 v[58:59], v[62:63], 0, v[58:59]
	flat_load_dwordx2 v[58:59], v[58:59]
.LBB400_49:
	s_or_b64 exec, exec, s[6:7]
	v_mul_u32_u24_e32 v81, 14, v0
                                        ; implicit-def: $vgpr66_vgpr67
	s_and_saveexec_b64 s[6:7], s[30:31]
	s_cbranch_execz .LBB400_51
; %bb.50:
	v_lshlrev_b32_e32 v66, 3, v68
	v_mov_b32_e32 v67, 0
	v_lshl_add_u64 v[66:67], v[62:63], 0, v[66:67]
	flat_load_dwordx2 v[66:67], v[66:67]
.LBB400_51:
	s_or_b64 exec, exec, s[6:7]
	s_waitcnt vmcnt(0) lgkmcnt(0)
	ds_write2st64_b64 v30, v[32:33], v[34:35] offset1:4
	ds_write2st64_b64 v30, v[36:37], v[38:39] offset0:8 offset1:12
	ds_write2st64_b64 v30, v[40:41], v[42:43] offset0:16 offset1:20
	;; [unrolled: 1-line block ×6, first 2 shown]
	v_mov_b64_e32 v[56:57], 0
	v_cmp_gt_u32_e32 vcc, s52, v81
	s_mov_b64 s[12:13], 0
	s_mov_b32 s60, 0
	s_mov_b64 s[6:7], 0
	v_mov_b32_e32 v71, 0
	v_mov_b64_e32 v[30:31], v[56:57]
	v_mov_b32_e32 v79, 0
	v_mov_b64_e32 v[58:59], v[56:57]
	;; [unrolled: 2-line block ×12, first 2 shown]
	v_mov_b32_e32 v1, 0
	s_waitcnt lgkmcnt(0)
	s_barrier
	s_waitcnt lgkmcnt(0)
                                        ; implicit-def: $sgpr10_sgpr11
                                        ; implicit-def: $vgpr66_vgpr67
	s_and_saveexec_b64 s[8:9], vcc
	s_cbranch_execz .LBB400_79
; %bb.52:
	ds_read_b64 v[30:31], v80
	v_cmp_ne_u64_e32 vcc, v[26:27], v[28:29]
	v_mov_b32_e32 v26, s57
	v_or_b32_e32 v32, 1, v81
	v_cndmask_b32_e64 v1, 0, 1, vcc
	s_waitcnt lgkmcnt(0)
	v_cndmask_b32_e32 v57, v31, v26, vcc
	v_mov_b32_e32 v26, s56
	v_cndmask_b32_e32 v56, v30, v26, vcc
	v_mov_b64_e32 v[30:31], 0
	v_cmp_gt_u32_e32 vcc, s52, v32
	s_mov_b64 s[14:15], 0
	v_mov_b32_e32 v71, 0
	v_mov_b32_e32 v79, 0
	v_mov_b64_e32 v[58:59], v[30:31]
	v_mov_b32_e32 v78, 0
	v_mov_b64_e32 v[36:37], v[30:31]
	;; [unrolled: 2-line block ×11, first 2 shown]
                                        ; implicit-def: $sgpr16_sgpr17
                                        ; implicit-def: $vgpr66_vgpr67
	s_and_saveexec_b64 s[10:11], vcc
	s_cbranch_execz .LBB400_78
; %bb.53:
	ds_read2_b64 v[30:33], v80 offset0:1 offset1:2
	v_cmp_ne_u64_e32 vcc, v[28:29], v[22:23]
	v_mov_b32_e32 v27, s57
	v_add_u32_e32 v26, 2, v81
	v_cndmask_b32_e64 v68, 0, 1, vcc
	s_waitcnt lgkmcnt(0)
	v_cndmask_b32_e32 v51, v31, v27, vcc
	v_mov_b32_e32 v27, s56
	v_cndmask_b32_e32 v50, v30, v27, vcc
	v_mov_b64_e32 v[30:31], 0
	v_cmp_gt_u32_e32 vcc, s52, v26
	s_mov_b64 s[16:17], 0
	v_mov_b32_e32 v71, 0
	v_mov_b32_e32 v79, 0
	v_mov_b64_e32 v[58:59], v[30:31]
	v_mov_b32_e32 v78, 0
	v_mov_b64_e32 v[36:37], v[30:31]
	;; [unrolled: 2-line block ×10, first 2 shown]
                                        ; implicit-def: $sgpr18_sgpr19
                                        ; implicit-def: $vgpr66_vgpr67
	s_and_saveexec_b64 s[12:13], vcc
	s_cbranch_execz .LBB400_77
; %bb.54:
	v_cmp_ne_u64_e32 vcc, v[22:23], v[24:25]
	v_mov_b32_e32 v22, s57
	v_add_u32_e32 v26, 3, v81
	v_cndmask_b32_e32 v53, v33, v22, vcc
	v_mov_b32_e32 v22, s56
	v_mov_b64_e32 v[30:31], 0
	v_cndmask_b32_e64 v69, 0, 1, vcc
	v_cndmask_b32_e32 v52, v32, v22, vcc
	v_cmp_gt_u32_e32 vcc, s52, v26
	s_mov_b64 s[18:19], 0
	v_mov_b32_e32 v71, 0
	v_mov_b32_e32 v79, 0
	v_mov_b64_e32 v[58:59], v[30:31]
	v_mov_b32_e32 v78, 0
	v_mov_b64_e32 v[36:37], v[30:31]
	;; [unrolled: 2-line block ×9, first 2 shown]
                                        ; implicit-def: $sgpr20_sgpr21
                                        ; implicit-def: $vgpr66_vgpr67
	s_and_saveexec_b64 s[14:15], vcc
	s_cbranch_execz .LBB400_76
; %bb.55:
	ds_read2_b64 v[26:29], v80 offset0:3 offset1:4
	v_cmp_ne_u64_e32 vcc, v[24:25], v[18:19]
	v_mov_b32_e32 v23, s57
	v_add_u32_e32 v22, 4, v81
	v_mov_b64_e32 v[30:31], 0
	s_waitcnt lgkmcnt(0)
	v_cndmask_b32_e32 v47, v27, v23, vcc
	v_mov_b32_e32 v23, s56
	v_cndmask_b32_e64 v70, 0, 1, vcc
	v_cndmask_b32_e32 v46, v26, v23, vcc
	v_cmp_gt_u32_e32 vcc, s52, v22
	s_mov_b64 s[20:21], 0
	v_mov_b32_e32 v71, 0
	v_mov_b32_e32 v79, 0
	v_mov_b64_e32 v[58:59], v[30:31]
	v_mov_b32_e32 v78, 0
	v_mov_b64_e32 v[36:37], v[30:31]
	;; [unrolled: 2-line block ×8, first 2 shown]
                                        ; implicit-def: $sgpr22_sgpr23
                                        ; implicit-def: $vgpr66_vgpr67
	s_and_saveexec_b64 s[16:17], vcc
	s_cbranch_execz .LBB400_75
; %bb.56:
	v_cmp_ne_u64_e32 vcc, v[18:19], v[20:21]
	v_mov_b32_e32 v18, s57
	v_add_u32_e32 v22, 5, v81
	v_cndmask_b32_e32 v49, v29, v18, vcc
	v_mov_b32_e32 v18, s56
	v_mov_b64_e32 v[30:31], 0
	v_cndmask_b32_e64 v72, 0, 1, vcc
	v_cndmask_b32_e32 v48, v28, v18, vcc
	v_cmp_gt_u32_e32 vcc, s52, v22
	s_mov_b64 s[22:23], 0
	v_mov_b32_e32 v71, 0
	v_mov_b32_e32 v79, 0
	v_mov_b64_e32 v[58:59], v[30:31]
	v_mov_b32_e32 v78, 0
	v_mov_b64_e32 v[36:37], v[30:31]
	;; [unrolled: 2-line block ×7, first 2 shown]
                                        ; implicit-def: $sgpr24_sgpr25
                                        ; implicit-def: $vgpr66_vgpr67
	s_and_saveexec_b64 s[18:19], vcc
	s_cbranch_execz .LBB400_74
; %bb.57:
	ds_read2_b64 v[22:25], v80 offset0:5 offset1:6
	v_cmp_ne_u64_e32 vcc, v[20:21], v[14:15]
	v_mov_b32_e32 v19, s57
	v_add_u32_e32 v18, 6, v81
	v_mov_b64_e32 v[30:31], 0
	s_waitcnt lgkmcnt(0)
	v_cndmask_b32_e32 v43, v23, v19, vcc
	v_mov_b32_e32 v19, s56
	v_cndmask_b32_e64 v73, 0, 1, vcc
	v_cndmask_b32_e32 v42, v22, v19, vcc
	v_cmp_gt_u32_e32 vcc, s52, v18
	s_mov_b64 s[24:25], 0
	v_mov_b32_e32 v71, 0
	v_mov_b32_e32 v79, 0
	v_mov_b64_e32 v[58:59], v[30:31]
	v_mov_b32_e32 v78, 0
	v_mov_b64_e32 v[36:37], v[30:31]
	;; [unrolled: 2-line block ×6, first 2 shown]
                                        ; implicit-def: $sgpr26_sgpr27
                                        ; implicit-def: $vgpr66_vgpr67
	s_and_saveexec_b64 s[20:21], vcc
	s_cbranch_execz .LBB400_73
; %bb.58:
	v_cmp_ne_u64_e32 vcc, v[14:15], v[16:17]
	v_mov_b32_e32 v14, s57
	v_add_u32_e32 v18, 7, v81
	v_cndmask_b32_e32 v45, v25, v14, vcc
	v_mov_b32_e32 v14, s56
	v_mov_b64_e32 v[30:31], 0
	v_cndmask_b32_e64 v74, 0, 1, vcc
	v_cndmask_b32_e32 v44, v24, v14, vcc
	v_cmp_gt_u32_e32 vcc, s52, v18
	s_mov_b64 s[26:27], 0
	v_mov_b32_e32 v71, 0
	v_mov_b32_e32 v79, 0
	v_mov_b64_e32 v[58:59], v[30:31]
	v_mov_b32_e32 v78, 0
	v_mov_b64_e32 v[36:37], v[30:31]
	;; [unrolled: 2-line block ×5, first 2 shown]
                                        ; implicit-def: $sgpr28_sgpr29
                                        ; implicit-def: $vgpr66_vgpr67
	s_and_saveexec_b64 s[22:23], vcc
	s_cbranch_execz .LBB400_72
; %bb.59:
	ds_read2_b64 v[18:21], v80 offset0:7 offset1:8
	v_cmp_ne_u64_e32 vcc, v[16:17], v[10:11]
	v_mov_b32_e32 v15, s57
	v_add_u32_e32 v14, 8, v81
	v_mov_b64_e32 v[30:31], 0
	s_waitcnt lgkmcnt(0)
	v_cndmask_b32_e32 v39, v19, v15, vcc
	v_mov_b32_e32 v15, s56
	v_cndmask_b32_e64 v75, 0, 1, vcc
	v_cndmask_b32_e32 v38, v18, v15, vcc
	v_cmp_gt_u32_e32 vcc, s52, v14
	s_mov_b64 s[28:29], 0
	v_mov_b32_e32 v71, 0
	v_mov_b32_e32 v79, 0
	v_mov_b64_e32 v[58:59], v[30:31]
	v_mov_b32_e32 v78, 0
	v_mov_b64_e32 v[36:37], v[30:31]
	;; [unrolled: 2-line block ×4, first 2 shown]
                                        ; implicit-def: $sgpr30_sgpr31
                                        ; implicit-def: $vgpr66_vgpr67
	s_and_saveexec_b64 s[24:25], vcc
	s_cbranch_execz .LBB400_71
; %bb.60:
	v_cmp_ne_u64_e32 vcc, v[10:11], v[12:13]
	v_mov_b32_e32 v10, s57
	v_add_u32_e32 v14, 9, v81
	v_cndmask_b32_e32 v41, v21, v10, vcc
	v_mov_b32_e32 v10, s56
	v_mov_b64_e32 v[30:31], 0
	v_cndmask_b32_e64 v76, 0, 1, vcc
	v_cndmask_b32_e32 v40, v20, v10, vcc
	v_cmp_gt_u32_e32 vcc, s52, v14
	s_mov_b64 s[30:31], 0
	v_mov_b32_e32 v71, 0
	v_mov_b32_e32 v79, 0
	v_mov_b64_e32 v[58:59], v[30:31]
	v_mov_b32_e32 v78, 0
	v_mov_b64_e32 v[36:37], v[30:31]
	v_mov_b32_e32 v77, 0
	v_mov_b64_e32 v[34:35], v[30:31]
                                        ; implicit-def: $sgpr34_sgpr35
                                        ; implicit-def: $vgpr66_vgpr67
	s_and_saveexec_b64 s[26:27], vcc
	s_cbranch_execz .LBB400_70
; %bb.61:
	ds_read2_b64 v[14:17], v80 offset0:9 offset1:10
	v_cmp_ne_u64_e32 vcc, v[12:13], v[6:7]
	v_mov_b32_e32 v11, s57
	v_add_u32_e32 v10, 10, v81
	v_mov_b64_e32 v[30:31], 0
	s_waitcnt lgkmcnt(0)
	v_cndmask_b32_e32 v35, v15, v11, vcc
	v_mov_b32_e32 v11, s56
	v_cndmask_b32_e64 v77, 0, 1, vcc
	v_cndmask_b32_e32 v34, v14, v11, vcc
	v_cmp_gt_u32_e32 vcc, s52, v10
	s_mov_b64 s[34:35], 0
	v_mov_b32_e32 v71, 0
	v_mov_b32_e32 v79, 0
	v_mov_b64_e32 v[58:59], v[30:31]
	v_mov_b32_e32 v78, 0
	v_mov_b64_e32 v[36:37], v[30:31]
                                        ; implicit-def: $sgpr44_sgpr45
                                        ; implicit-def: $vgpr66_vgpr67
	s_and_saveexec_b64 s[28:29], vcc
	s_cbranch_execz .LBB400_69
; %bb.62:
	v_cmp_ne_u64_e32 vcc, v[6:7], v[8:9]
	v_mov_b32_e32 v6, s57
	v_add_u32_e32 v10, 11, v81
	v_cndmask_b32_e32 v37, v17, v6, vcc
	v_mov_b32_e32 v6, s56
	v_mov_b64_e32 v[30:31], 0
	v_cndmask_b32_e64 v78, 0, 1, vcc
	v_cndmask_b32_e32 v36, v16, v6, vcc
	v_cmp_gt_u32_e32 vcc, s52, v10
	s_mov_b64 s[44:45], 0
	v_mov_b32_e32 v71, 0
	v_mov_b32_e32 v79, 0
	v_mov_b64_e32 v[58:59], v[30:31]
                                        ; implicit-def: $sgpr48_sgpr49
                                        ; implicit-def: $vgpr66_vgpr67
	s_and_saveexec_b64 s[30:31], vcc
	s_cbranch_execz .LBB400_68
; %bb.63:
	ds_read2_b64 v[10:13], v80 offset0:11 offset1:12
	v_cmp_ne_u64_e32 vcc, v[8:9], v[2:3]
	v_mov_b32_e32 v7, s57
	v_add_u32_e32 v6, 12, v81
	v_cndmask_b32_e64 v79, 0, 1, vcc
	s_waitcnt lgkmcnt(0)
	v_cndmask_b32_e32 v59, v11, v7, vcc
	v_mov_b32_e32 v7, s56
	v_cndmask_b32_e32 v58, v10, v7, vcc
	v_cmp_gt_u32_e32 vcc, s52, v6
	v_mov_b32_e32 v71, 0
	v_mov_b64_e32 v[30:31], 0
                                        ; implicit-def: $sgpr48_sgpr49
                                        ; implicit-def: $vgpr66_vgpr67
	s_and_saveexec_b64 s[34:35], vcc
	s_cbranch_execz .LBB400_67
; %bb.64:
	v_cmp_ne_u64_e32 vcc, v[2:3], v[4:5]
	v_mov_b32_e32 v2, s57
	v_add_u32_e32 v6, 13, v81
	v_cndmask_b32_e32 v31, v13, v2, vcc
	v_mov_b32_e32 v2, s56
	v_cndmask_b32_e64 v71, 0, 1, vcc
	v_cndmask_b32_e32 v30, v12, v2, vcc
	v_cmp_gt_u32_e32 vcc, s52, v6
                                        ; implicit-def: $sgpr48_sgpr49
                                        ; implicit-def: $vgpr66_vgpr67
	s_and_saveexec_b64 s[52:53], vcc
	s_xor_b64 s[52:53], exec, s[52:53]
	s_cbranch_execz .LBB400_66
; %bb.65:
	ds_read_b64 v[2:3], v80 offset:104
	v_mov_b32_e32 v6, s57
	v_mov_b32_e32 v7, s56
	v_cmp_ne_u64_e32 vcc, v[4:5], v[60:61]
	s_mov_b64 s[44:45], exec
	s_and_b64 s[48:49], vcc, exec
	s_waitcnt lgkmcnt(0)
	v_cndmask_b32_e32 v67, v3, v6, vcc
	v_cndmask_b32_e32 v66, v2, v7, vcc
.LBB400_66:
	s_or_b64 exec, exec, s[52:53]
	s_and_b64 s[48:49], s[48:49], exec
	s_and_b64 s[44:45], s[44:45], exec
.LBB400_67:
	s_or_b64 exec, exec, s[34:35]
	s_and_b64 s[48:49], s[48:49], exec
	s_and_b64 s[34:35], s[44:45], exec
.LBB400_68:
	s_or_b64 exec, exec, s[30:31]
	s_and_b64 s[44:45], s[48:49], exec
	s_and_b64 s[30:31], s[34:35], exec
.LBB400_69:
	s_or_b64 exec, exec, s[28:29]
	s_and_b64 s[34:35], s[44:45], exec
	s_and_b64 s[28:29], s[30:31], exec
.LBB400_70:
	s_or_b64 exec, exec, s[26:27]
	s_and_b64 s[30:31], s[34:35], exec
	s_and_b64 s[26:27], s[28:29], exec
.LBB400_71:
	s_or_b64 exec, exec, s[24:25]
	s_and_b64 s[28:29], s[30:31], exec
	s_and_b64 s[24:25], s[26:27], exec
.LBB400_72:
	s_or_b64 exec, exec, s[22:23]
	s_and_b64 s[26:27], s[28:29], exec
	s_and_b64 s[22:23], s[24:25], exec
.LBB400_73:
	s_or_b64 exec, exec, s[20:21]
	s_and_b64 s[24:25], s[26:27], exec
	s_and_b64 s[20:21], s[22:23], exec
.LBB400_74:
	s_or_b64 exec, exec, s[18:19]
	s_and_b64 s[22:23], s[24:25], exec
	s_and_b64 s[18:19], s[20:21], exec
.LBB400_75:
	s_or_b64 exec, exec, s[16:17]
	s_and_b64 s[20:21], s[22:23], exec
	s_and_b64 s[16:17], s[18:19], exec
.LBB400_76:
	s_or_b64 exec, exec, s[14:15]
	s_and_b64 s[18:19], s[20:21], exec
	s_and_b64 s[14:15], s[16:17], exec
.LBB400_77:
	s_or_b64 exec, exec, s[12:13]
	s_and_b64 s[16:17], s[18:19], exec
	s_and_b64 s[12:13], s[14:15], exec
.LBB400_78:
	s_or_b64 exec, exec, s[10:11]
	s_and_b64 s[10:11], s[16:17], exec
	s_and_b64 s[12:13], s[12:13], exec
.LBB400_79:
	s_or_b64 exec, exec, s[8:9]
	s_mov_b64 s[8:9], 0
	s_and_b64 vcc, exec, s[6:7]
	v_lshlrev_b32_e32 v60, 3, v0
	s_cbranch_vccnz .LBB400_81
	s_branch .LBB400_86
.LBB400_80:
	s_mov_b64 s[12:13], 0
                                        ; implicit-def: $sgpr10_sgpr11
                                        ; implicit-def: $vgpr66_vgpr67
                                        ; implicit-def: $vgpr56_vgpr57
                                        ; implicit-def: $vgpr71
                                        ; implicit-def: $vgpr30_vgpr31
                                        ; implicit-def: $vgpr79
                                        ; implicit-def: $vgpr58_vgpr59
                                        ; implicit-def: $vgpr78
                                        ; implicit-def: $vgpr36_vgpr37
                                        ; implicit-def: $vgpr77
                                        ; implicit-def: $vgpr34_vgpr35
                                        ; implicit-def: $vgpr76
                                        ; implicit-def: $vgpr40_vgpr41
                                        ; implicit-def: $vgpr75
                                        ; implicit-def: $vgpr38_vgpr39
                                        ; implicit-def: $vgpr74
                                        ; implicit-def: $vgpr44_vgpr45
                                        ; implicit-def: $vgpr73
                                        ; implicit-def: $vgpr42_vgpr43
                                        ; implicit-def: $vgpr72
                                        ; implicit-def: $vgpr48_vgpr49
                                        ; implicit-def: $vgpr70
                                        ; implicit-def: $vgpr46_vgpr47
                                        ; implicit-def: $vgpr69
                                        ; implicit-def: $vgpr52_vgpr53
                                        ; implicit-def: $vgpr68
                                        ; implicit-def: $vgpr50_vgpr51
                                        ; implicit-def: $vgpr1
                                        ; implicit-def: $sgpr60
                                        ; implicit-def: $sgpr8_sgpr9
	s_and_b64 vcc, exec, s[6:7]
	v_lshlrev_b32_e32 v60, 3, v0
	s_cbranch_vccz .LBB400_86
.LBB400_81:
	v_mov_b32_e32 v61, 0
	v_lshl_add_u64 v[2:3], v[64:65], 0, v[60:61]
	v_add_co_u32_e32 v4, vcc, 0x1000, v2
	s_movk_i32 s6, 0x7000
	s_nop 0
	v_addc_co_u32_e32 v5, vcc, 0, v3, vcc
	flat_load_dwordx2 v[6:7], v[2:3]
	flat_load_dwordx2 v[8:9], v[2:3] offset:2048
	flat_load_dwordx2 v[10:11], v[4:5]
	flat_load_dwordx2 v[12:13], v[4:5] offset:2048
	v_add_co_u32_e32 v4, vcc, 0x2000, v2
	s_movk_i32 s13, 0x1000
	s_nop 0
	v_addc_co_u32_e32 v5, vcc, 0, v3, vcc
	v_add_co_u32_e32 v14, vcc, 0x3000, v2
	s_movk_i32 s12, 0x2000
	s_nop 0
	v_addc_co_u32_e32 v15, vcc, 0, v3, vcc
	flat_load_dwordx2 v[16:17], v[4:5]
	flat_load_dwordx2 v[18:19], v[4:5] offset:2048
	flat_load_dwordx2 v[20:21], v[14:15]
	flat_load_dwordx2 v[22:23], v[14:15] offset:2048
	v_add_co_u32_e32 v4, vcc, 0x4000, v2
	s_movk_i32 s11, 0x3000
	s_nop 0
	v_addc_co_u32_e32 v5, vcc, 0, v3, vcc
	v_add_co_u32_e32 v14, vcc, 0x5000, v2
	s_movk_i32 s10, 0x4000
	s_nop 0
	v_addc_co_u32_e32 v15, vcc, 0, v3, vcc
	v_add_co_u32_e32 v2, vcc, 0x6000, v2
	flat_load_dwordx2 v[24:25], v[4:5]
	flat_load_dwordx2 v[26:27], v[4:5] offset:2048
	flat_load_dwordx2 v[28:29], v[14:15]
	flat_load_dwordx2 v[30:31], v[14:15] offset:2048
	v_addc_co_u32_e32 v3, vcc, 0, v3, vcc
	flat_load_dwordx2 v[4:5], v[2:3]
	flat_load_dwordx2 v[14:15], v[2:3] offset:2048
	v_add_co_u32_e32 v2, vcc, s6, v64
	s_movk_i32 s6, 0x68
	s_nop 0
	v_addc_co_u32_e32 v3, vcc, 0, v65, vcc
	v_mad_u32_u24 v1, v0, s6, v60
	s_movk_i32 s6, 0xff98
	s_movk_i32 s9, 0x5000
	;; [unrolled: 1-line block ×3, first 2 shown]
	s_waitcnt vmcnt(0) lgkmcnt(0)
	ds_write2st64_b64 v60, v[6:7], v[8:9] offset1:4
	ds_write2st64_b64 v60, v[10:11], v[12:13] offset0:8 offset1:12
	ds_write2st64_b64 v60, v[16:17], v[18:19] offset0:16 offset1:20
	;; [unrolled: 1-line block ×6, first 2 shown]
	s_waitcnt lgkmcnt(0)
	s_barrier
	flat_load_dwordx2 v[64:65], v[2:3]
	v_mad_i32_i24 v26, v0, s6, v1
	s_movk_i32 s6, 0xff
	v_cmp_ne_u32_e32 vcc, s6, v0
	ds_read_b128 v[30:33], v1
	ds_read_b128 v[22:25], v1 offset:16
	ds_read_b128 v[18:21], v1 offset:32
	;; [unrolled: 1-line block ×6, first 2 shown]
	s_waitcnt lgkmcnt(0)
	ds_write_b64 v26, v[30:31] offset:30720
	s_waitcnt lgkmcnt(0)
	s_barrier
	s_and_saveexec_b64 s[6:7], vcc
	s_cbranch_execz .LBB400_83
; %bb.82:
	s_waitcnt vmcnt(0)
	ds_read_b64 v[64:65], v60 offset:30728
.LBB400_83:
	s_or_b64 exec, exec, s[6:7]
	v_lshl_add_u64 v[26:27], v[62:63], 0, v[60:61]
	v_add_co_u32_e32 v28, vcc, s13, v26
	s_waitcnt lgkmcnt(0)
	s_nop 0
	v_addc_co_u32_e32 v29, vcc, 0, v27, vcc
	s_barrier
	flat_load_dwordx2 v[34:35], v[26:27]
	flat_load_dwordx2 v[36:37], v[26:27] offset:2048
	flat_load_dwordx2 v[38:39], v[28:29]
	flat_load_dwordx2 v[40:41], v[28:29] offset:2048
	v_add_co_u32_e32 v28, vcc, s12, v26
	v_cmp_eq_u64_e64 s[6:7], v[30:31], v[32:33]
	s_nop 0
	v_addc_co_u32_e32 v29, vcc, 0, v27, vcc
	v_add_co_u32_e32 v42, vcc, s11, v26
	s_nop 1
	v_addc_co_u32_e32 v43, vcc, 0, v27, vcc
	flat_load_dwordx2 v[44:45], v[28:29]
	flat_load_dwordx2 v[46:47], v[28:29] offset:2048
	flat_load_dwordx2 v[48:49], v[42:43]
	flat_load_dwordx2 v[50:51], v[42:43] offset:2048
	v_add_co_u32_e32 v28, vcc, s10, v26
	s_nop 1
	v_addc_co_u32_e32 v29, vcc, 0, v27, vcc
	v_add_co_u32_e32 v42, vcc, s9, v26
	s_nop 1
	v_addc_co_u32_e32 v43, vcc, 0, v27, vcc
	v_add_co_u32_e32 v26, vcc, s8, v26
	flat_load_dwordx2 v[52:53], v[28:29]
	flat_load_dwordx2 v[56:57], v[28:29] offset:2048
	flat_load_dwordx2 v[58:59], v[42:43]
	flat_load_dwordx2 v[62:63], v[42:43] offset:2048
	v_addc_co_u32_e32 v27, vcc, 0, v27, vcc
	flat_load_dwordx2 v[28:29], v[26:27]
	flat_load_dwordx2 v[42:43], v[26:27] offset:2048
	v_cmp_ne_u64_e32 vcc, v[30:31], v[32:33]
	s_waitcnt vmcnt(0) lgkmcnt(0)
	ds_write2st64_b64 v60, v[34:35], v[36:37] offset1:4
	ds_write2st64_b64 v60, v[38:39], v[40:41] offset0:8 offset1:12
	ds_write2st64_b64 v60, v[44:45], v[46:47] offset0:16 offset1:20
	ds_write2st64_b64 v60, v[48:49], v[50:51] offset0:24 offset1:28
	ds_write2st64_b64 v60, v[52:53], v[56:57] offset0:32 offset1:36
	ds_write2st64_b64 v60, v[58:59], v[62:63] offset0:40 offset1:44
	ds_write2st64_b64 v60, v[28:29], v[42:43] offset0:48 offset1:52
	s_waitcnt lgkmcnt(0)
	s_barrier
	ds_read2_b64 v[50:53], v1 offset0:1 offset1:2
	ds_read2_b64 v[46:49], v1 offset0:3 offset1:4
	;; [unrolled: 1-line block ×6, first 2 shown]
	ds_read_b64 v[62:63], v1 offset:104
	v_mov_b64_e32 v[56:57], s[56:57]
	s_and_saveexec_b64 s[8:9], s[6:7]
	s_cbranch_execz .LBB400_85
; %bb.84:
	ds_read_b64 v[56:57], v1
.LBB400_85:
	s_or_b64 exec, exec, s[8:9]
	v_cmp_ne_u64_e64 s[10:11], v[18:19], v[20:21]
	v_cmp_ne_u64_e64 s[24:25], v[8:9], v[2:3]
	;; [unrolled: 1-line block ×3, first 2 shown]
	v_mov_b32_e32 v2, s57
	v_mov_b32_e32 v3, s56
	v_cndmask_b32_e64 v1, 0, 1, vcc
	v_cmp_ne_u64_e32 vcc, v[32:33], v[22:23]
	v_cmp_ne_u64_e64 s[6:7], v[22:23], v[24:25]
	v_cmp_ne_u64_e64 s[8:9], v[24:25], v[18:19]
	v_cndmask_b32_e64 v72, 0, 1, s[10:11]
	v_cmp_ne_u64_e64 s[12:13], v[20:21], v[14:15]
	v_cmp_ne_u64_e64 s[14:15], v[14:15], v[16:17]
	;; [unrolled: 1-line block ×6, first 2 shown]
	s_waitcnt lgkmcnt(5)
	v_cndmask_b32_e64 v49, v49, v2, s[10:11]
	v_cndmask_b32_e64 v48, v48, v3, s[10:11]
	v_cmp_ne_u64_e64 s[10:11], v[4:5], v[64:65]
	v_cndmask_b32_e64 v68, 0, 1, vcc
	v_cndmask_b32_e64 v69, 0, 1, s[6:7]
	v_cndmask_b32_e64 v70, 0, 1, s[8:9]
	;; [unrolled: 1-line block ×10, first 2 shown]
	v_cndmask_b32_e32 v51, v51, v2, vcc
	v_cndmask_b32_e32 v50, v50, v3, vcc
	v_cndmask_b32_e64 v53, v53, v2, s[6:7]
	v_cndmask_b32_e64 v52, v52, v3, s[6:7]
	v_cndmask_b32_e64 v47, v47, v2, s[8:9]
	v_cndmask_b32_e64 v46, v46, v3, s[8:9]
	s_waitcnt lgkmcnt(4)
	v_cndmask_b32_e64 v43, v43, v2, s[12:13]
	v_cndmask_b32_e64 v42, v42, v3, s[12:13]
	v_cndmask_b32_e64 v45, v45, v2, s[14:15]
	v_cndmask_b32_e64 v44, v44, v3, s[14:15]
	s_waitcnt lgkmcnt(3)
	;; [unrolled: 5-line block ×5, first 2 shown]
	v_cndmask_b32_e64 v67, v63, v2, s[10:11]
	v_cndmask_b32_e64 v66, v62, v3, s[10:11]
	s_mov_b64 s[12:13], -1
                                        ; implicit-def: $sgpr60
                                        ; implicit-def: $sgpr8_sgpr9
.LBB400_86:
	v_mov_b64_e32 v[28:29], s[8:9]
	v_mov_b32_e32 v61, s60
	s_and_saveexec_b64 s[6:7], s[12:13]
; %bb.87:
	v_cndmask_b32_e64 v61, 0, 1, s[10:11]
	v_mov_b64_e32 v[28:29], v[66:67]
; %bb.88:
	s_or_b64 exec, exec, s[6:7]
	v_or_b32_e32 v2, v61, v71
	s_cmp_lg_u32 s43, 0
	v_or_b32_e32 v65, v2, v79
	v_mbcnt_lo_u32_b32 v64, -1, 0
	s_barrier
	s_cbranch_scc0 .LBB400_173
; %bb.89:
	v_mov_b32_e32 v4, 0
	v_cmp_eq_u16_sdwa s[28:29], v68, v4 src0_sel:BYTE_0 src1_sel:DWORD
	v_cmp_eq_u16_sdwa s[26:27], v69, v4 src0_sel:BYTE_0 src1_sel:DWORD
	v_cmp_eq_u16_sdwa s[24:25], v70, v4 src0_sel:BYTE_0 src1_sel:DWORD
	v_cndmask_b32_e64 v2, 1, v56, s[28:29]
	v_cndmask_b32_e64 v3, 0, v57, s[28:29]
	v_mul_lo_u32 v5, v3, v50
	v_mul_lo_u32 v6, v2, v51
	v_mad_u64_u32 v[2:3], s[6:7], v2, v50, 0
	v_add3_u32 v3, v3, v6, v5
	v_cndmask_b32_e64 v3, 0, v3, s[26:27]
	v_cndmask_b32_e64 v2, 1, v2, s[26:27]
	v_mul_lo_u32 v5, v3, v52
	v_mul_lo_u32 v6, v2, v53
	v_mad_u64_u32 v[2:3], s[6:7], v2, v52, 0
	v_add3_u32 v3, v3, v6, v5
	v_cndmask_b32_e64 v3, 0, v3, s[24:25]
	v_cndmask_b32_e64 v2, 1, v2, s[24:25]
	v_mul_lo_u32 v5, v3, v46
	v_mul_lo_u32 v6, v2, v47
	v_mad_u64_u32 v[2:3], s[6:7], v2, v46, 0
	v_add3_u32 v3, v3, v6, v5
	v_cmp_eq_u16_sdwa s[22:23], v72, v4 src0_sel:BYTE_0 src1_sel:DWORD
	v_cmp_eq_u16_sdwa s[20:21], v73, v4 src0_sel:BYTE_0 src1_sel:DWORD
	v_cmp_eq_u16_sdwa s[18:19], v74, v4 src0_sel:BYTE_0 src1_sel:DWORD
	v_cndmask_b32_e64 v3, 0, v3, s[22:23]
	v_cndmask_b32_e64 v2, 1, v2, s[22:23]
	v_mul_lo_u32 v5, v3, v48
	v_mul_lo_u32 v6, v2, v49
	v_mad_u64_u32 v[2:3], s[6:7], v2, v48, 0
	v_add3_u32 v3, v3, v6, v5
	v_cndmask_b32_e64 v3, 0, v3, s[20:21]
	v_cndmask_b32_e64 v2, 1, v2, s[20:21]
	v_mul_lo_u32 v5, v3, v42
	v_mul_lo_u32 v6, v2, v43
	v_mad_u64_u32 v[2:3], s[6:7], v2, v42, 0
	v_add3_u32 v3, v3, v6, v5
	v_cndmask_b32_e64 v3, 0, v3, s[18:19]
	v_cndmask_b32_e64 v2, 1, v2, s[18:19]
	v_mul_lo_u32 v5, v3, v44
	v_mul_lo_u32 v6, v2, v45
	v_mad_u64_u32 v[2:3], s[6:7], v2, v44, 0
	v_add3_u32 v3, v3, v6, v5
	v_cmp_eq_u16_sdwa s[16:17], v75, v4 src0_sel:BYTE_0 src1_sel:DWORD
	v_cmp_eq_u16_sdwa s[14:15], v76, v4 src0_sel:BYTE_0 src1_sel:DWORD
	v_cmp_eq_u16_sdwa s[12:13], v77, v4 src0_sel:BYTE_0 src1_sel:DWORD
	v_cndmask_b32_e64 v3, 0, v3, s[16:17]
	v_cndmask_b32_e64 v2, 1, v2, s[16:17]
	v_mul_lo_u32 v5, v3, v38
	v_mul_lo_u32 v6, v2, v39
	v_mad_u64_u32 v[2:3], s[6:7], v2, v38, 0
	v_add3_u32 v3, v3, v6, v5
	v_cndmask_b32_e64 v3, 0, v3, s[14:15]
	v_cndmask_b32_e64 v2, 1, v2, s[14:15]
	v_mul_lo_u32 v5, v3, v40
	v_mul_lo_u32 v6, v2, v41
	v_mad_u64_u32 v[2:3], s[6:7], v2, v40, 0
	v_add3_u32 v3, v3, v6, v5
	v_cndmask_b32_e64 v3, 0, v3, s[12:13]
	v_cndmask_b32_e64 v2, 1, v2, s[12:13]
	v_mul_lo_u32 v5, v3, v34
	v_mul_lo_u32 v6, v2, v35
	v_mad_u64_u32 v[2:3], s[6:7], v2, v34, 0
	v_add3_u32 v3, v3, v6, v5
	v_cmp_eq_u16_sdwa s[10:11], v78, v4 src0_sel:BYTE_0 src1_sel:DWORD
	v_cmp_eq_u16_sdwa s[8:9], v79, v4 src0_sel:BYTE_0 src1_sel:DWORD
	v_cmp_eq_u16_sdwa vcc, v61, v4 src0_sel:BYTE_0 src1_sel:DWORD
	v_cndmask_b32_e64 v3, 0, v3, s[10:11]
	v_cndmask_b32_e64 v2, 1, v2, s[10:11]
	v_mul_lo_u32 v5, v3, v36
	v_mul_lo_u32 v6, v2, v37
	v_mad_u64_u32 v[2:3], s[6:7], v2, v36, 0
	v_add3_u32 v3, v3, v6, v5
	v_cndmask_b32_e64 v3, 0, v3, s[8:9]
	v_cndmask_b32_e64 v2, 1, v2, s[8:9]
	v_mul_lo_u32 v5, v3, v58
	v_mul_lo_u32 v6, v2, v59
	v_mad_u64_u32 v[2:3], s[6:7], v2, v58, 0
	v_add3_u32 v3, v3, v6, v5
	v_cmp_eq_u16_sdwa s[6:7], v71, v4 src0_sel:BYTE_0 src1_sel:DWORD
	v_mbcnt_hi_u32_b32 v9, -1, v64
	s_nop 0
	v_cndmask_b32_e64 v3, 0, v3, s[6:7]
	v_cndmask_b32_e64 v2, 1, v2, s[6:7]
	v_mul_lo_u32 v5, v3, v30
	v_mul_lo_u32 v6, v2, v31
	v_mad_u64_u32 v[2:3], s[30:31], v2, v30, 0
	v_add3_u32 v3, v3, v6, v5
	v_cndmask_b32_e32 v3, 0, v3, vcc
	v_cndmask_b32_e32 v2, 1, v2, vcc
	v_mul_lo_u32 v4, v3, v28
	v_mul_lo_u32 v5, v2, v29
	v_mad_u64_u32 v[2:3], s[30:31], v2, v28, 0
	v_add3_u32 v3, v3, v5, v4
	v_or_b32_e32 v4, v65, v78
	v_or_b32_e32 v4, v4, v77
	;; [unrolled: 1-line block ×11, first 2 shown]
	v_and_b32_e32 v8, 1, v4
	v_and_b32_e32 v6, 15, v9
	v_cmp_eq_u32_e32 vcc, 1, v8
	v_mov_b32_dpp v11, v2 row_shr:1 row_mask:0xf bank_mask:0xf
	v_mov_b32_dpp v12, v3 row_shr:1 row_mask:0xf bank_mask:0xf
	;; [unrolled: 1-line block ×3, first 2 shown]
	v_cmp_ne_u32_e64 s[30:31], 0, v6
	v_mov_b64_e32 v[4:5], v[2:3]
	v_mov_b32_e32 v7, v8
	s_and_saveexec_b64 s[34:35], s[30:31]
; %bb.90:
	v_cndmask_b32_e64 v4, v12, 0, vcc
	v_cndmask_b32_e64 v5, v11, 1, vcc
	v_mul_lo_u32 v4, v4, v2
	v_mul_lo_u32 v7, v5, v3
	v_mad_u64_u32 v[2:3], s[30:31], v5, v2, 0
	v_add3_u32 v3, v3, v7, v4
	v_and_b32_e32 v4, 1, v10
	v_or_b32_e32 v8, v4, v8
	v_and_b32_e32 v7, 0xffff, v8
	v_mov_b64_e32 v[4:5], v[2:3]
; %bb.91:
	s_or_b64 exec, exec, s[34:35]
	v_mov_b32_dpp v11, v2 row_shr:2 row_mask:0xf bank_mask:0xf
	v_mov_b32_dpp v12, v3 row_shr:2 row_mask:0xf bank_mask:0xf
	v_mov_b32_dpp v10, v7 row_shr:2 row_mask:0xf bank_mask:0xf
	v_cmp_lt_u32_e32 vcc, 1, v6
	s_and_saveexec_b64 s[34:35], vcc
	s_cbranch_execz .LBB400_93
; %bb.92:
	v_cmp_eq_u16_e32 vcc, 0, v8
	s_nop 1
	v_cndmask_b32_e32 v2, 1, v11, vcc
	v_cndmask_b32_e32 v7, 0, v12, vcc
	v_mul_lo_u32 v5, v2, v5
	v_mad_u64_u32 v[2:3], s[30:31], v2, v4, 0
	v_mul_lo_u32 v4, v7, v4
	v_add3_u32 v3, v3, v5, v4
	v_and_b32_e32 v4, 1, v8
	v_cmp_eq_u32_e32 vcc, 1, v4
	v_and_b32_e32 v4, 1, v10
	v_cmp_eq_u32_e64 s[30:31], 1, v4
	s_or_b64 s[30:31], vcc, s[30:31]
	v_mov_b64_e32 v[4:5], v[2:3]
	v_cndmask_b32_e64 v8, 0, 1, s[30:31]
	v_cndmask_b32_e64 v7, 0, 1, s[30:31]
.LBB400_93:
	s_or_b64 exec, exec, s[34:35]
	v_mov_b32_dpp v11, v2 row_shr:4 row_mask:0xf bank_mask:0xf
	v_mov_b32_dpp v12, v3 row_shr:4 row_mask:0xf bank_mask:0xf
	v_mov_b32_dpp v10, v7 row_shr:4 row_mask:0xf bank_mask:0xf
	v_cmp_lt_u32_e32 vcc, 3, v6
	s_and_saveexec_b64 s[34:35], vcc
	s_cbranch_execz .LBB400_95
; %bb.94:
	v_cmp_eq_u16_e32 vcc, 0, v8
	s_nop 1
	v_cndmask_b32_e32 v2, 1, v11, vcc
	v_cndmask_b32_e32 v7, 0, v12, vcc
	v_mul_lo_u32 v5, v2, v5
	v_mad_u64_u32 v[2:3], s[30:31], v2, v4, 0
	v_mul_lo_u32 v4, v7, v4
	v_add3_u32 v3, v3, v5, v4
	v_and_b32_e32 v4, 1, v8
	v_cmp_eq_u32_e32 vcc, 1, v4
	v_and_b32_e32 v4, 1, v10
	v_cmp_eq_u32_e64 s[30:31], 1, v4
	s_or_b64 s[30:31], vcc, s[30:31]
	v_mov_b64_e32 v[4:5], v[2:3]
	v_cndmask_b32_e64 v8, 0, 1, s[30:31]
	v_cndmask_b32_e64 v7, 0, 1, s[30:31]
.LBB400_95:
	;; [unrolled: 25-line block ×3, first 2 shown]
	s_or_b64 exec, exec, s[34:35]
	v_and_b32_e32 v12, 16, v9
	v_mov_b32_dpp v10, v2 row_bcast:15 row_mask:0xf bank_mask:0xf
	v_mov_b32_dpp v11, v3 row_bcast:15 row_mask:0xf bank_mask:0xf
	;; [unrolled: 1-line block ×3, first 2 shown]
	v_cmp_ne_u32_e32 vcc, 0, v12
	s_and_saveexec_b64 s[34:35], vcc
	s_cbranch_execz .LBB400_99
; %bb.98:
	v_cmp_eq_u16_e32 vcc, 0, v8
	s_nop 1
	v_cndmask_b32_e32 v2, 1, v10, vcc
	v_cndmask_b32_e32 v7, 0, v11, vcc
	v_mul_lo_u32 v5, v2, v5
	v_mad_u64_u32 v[2:3], s[30:31], v2, v4, 0
	v_mul_lo_u32 v4, v7, v4
	v_add3_u32 v3, v3, v5, v4
	v_and_b32_e32 v4, 1, v8
	v_cmp_eq_u32_e32 vcc, 1, v4
	v_and_b32_e32 v4, 1, v6
	v_cmp_eq_u32_e64 s[30:31], 1, v4
	s_or_b64 s[30:31], vcc, s[30:31]
	v_mov_b64_e32 v[4:5], v[2:3]
	v_cndmask_b32_e64 v8, 0, 1, s[30:31]
	v_cndmask_b32_e64 v7, 0, 1, s[30:31]
.LBB400_99:
	s_or_b64 exec, exec, s[34:35]
	v_mov_b32_dpp v10, v2 row_bcast:31 row_mask:0xf bank_mask:0xf
	v_mov_b32_dpp v11, v3 row_bcast:31 row_mask:0xf bank_mask:0xf
	;; [unrolled: 1-line block ×3, first 2 shown]
	v_cmp_lt_u32_e32 vcc, 31, v9
	s_and_saveexec_b64 s[34:35], vcc
	s_cbranch_execz .LBB400_101
; %bb.100:
	v_cmp_eq_u16_e32 vcc, 0, v8
	s_nop 1
	v_cndmask_b32_e32 v2, 1, v10, vcc
	v_cndmask_b32_e32 v7, 0, v11, vcc
	v_mul_lo_u32 v5, v2, v5
	v_mad_u64_u32 v[2:3], s[30:31], v2, v4, 0
	v_mul_lo_u32 v4, v7, v4
	v_add3_u32 v3, v3, v5, v4
	v_and_b32_e32 v4, 1, v8
	v_cmp_eq_u32_e32 vcc, 1, v4
	v_and_b32_e32 v4, 1, v6
	v_cmp_eq_u32_e64 s[30:31], 1, v4
	s_or_b64 s[30:31], vcc, s[30:31]
	v_mov_b64_e32 v[4:5], v[2:3]
	v_cndmask_b32_e64 v8, 0, 1, s[30:31]
.LBB400_101:
	s_or_b64 exec, exec, s[34:35]
	v_or_b32_e32 v6, 63, v0
	v_lshrrev_b32_e32 v10, 6, v0
	v_cmp_eq_u32_e32 vcc, v6, v0
	s_and_saveexec_b64 s[30:31], vcc
	s_cbranch_execz .LBB400_103
; %bb.102:
	v_lshlrev_b32_e32 v6, 4, v10
	ds_write_b64 v6, v[4:5]
	ds_write_b8 v6, v8 offset:8
.LBB400_103:
	s_or_b64 exec, exec, s[30:31]
	v_cmp_gt_u32_e32 vcc, 4, v0
	s_waitcnt lgkmcnt(0)
	s_barrier
	s_and_saveexec_b64 s[34:35], vcc
	s_cbranch_execz .LBB400_109
; %bb.104:
	v_lshlrev_b32_e32 v11, 4, v0
	ds_read_b64 v[4:5], v11
	ds_read_b32 v12, v11 offset:8
	v_and_b32_e32 v13, 3, v9
	v_cmp_ne_u32_e32 vcc, 0, v13
	s_waitcnt lgkmcnt(1)
	v_mov_b32_dpp v17, v4 row_shr:1 row_mask:0xf bank_mask:0xf
	v_mov_b32_dpp v18, v5 row_shr:1 row_mask:0xf bank_mask:0xf
	s_waitcnt lgkmcnt(0)
	v_mov_b32_dpp v16, v12 row_shr:1 row_mask:0xf bank_mask:0xf
	v_mov_b32_e32 v15, v12
	v_mov_b32_e32 v14, v12
	;; [unrolled: 1-line block ×4, first 2 shown]
	s_and_saveexec_b64 s[30:31], vcc
	s_cbranch_execz .LBB400_106
; %bb.105:
	v_mov_b32_e32 v6, 0
	v_cmp_eq_u16_sdwa vcc, v12, v6 src0_sel:BYTE_0 src1_sel:DWORD
	s_nop 1
	v_cndmask_b32_e32 v6, 1, v17, vcc
	v_cndmask_b32_e32 v14, 0, v18, vcc
	v_mul_lo_u32 v5, v6, v5
	v_mad_u64_u32 v[6:7], s[44:45], v6, v4, 0
	v_mul_lo_u32 v4, v14, v4
	v_add3_u32 v7, v7, v5, v4
	v_or_b32_e32 v4, v16, v12
	v_and_b32_e32 v14, 1, v4
	s_movk_i32 s44, 0xff00
	v_and_b32_e32 v15, 1, v4
	v_and_or_b32 v12, v12, s44, v14
	v_mov_b64_e32 v[4:5], v[6:7]
.LBB400_106:
	s_or_b64 exec, exec, s[30:31]
	v_mov_b32_dpp v16, v6 row_shr:2 row_mask:0xf bank_mask:0xf
	v_mov_b32_dpp v7, v7 row_shr:2 row_mask:0xf bank_mask:0xf
	;; [unrolled: 1-line block ×3, first 2 shown]
	v_cmp_lt_u32_e32 vcc, 1, v13
	s_and_saveexec_b64 s[44:45], vcc
	s_cbranch_execz .LBB400_108
; %bb.107:
	v_mov_b32_e32 v12, 0
	v_cmp_eq_u16_sdwa vcc, v14, v12 src0_sel:BYTE_0 src1_sel:DWORD
	s_nop 1
	v_cndmask_b32_e32 v12, 1, v16, vcc
	v_cndmask_b32_e32 v7, 0, v7, vcc
	v_mul_lo_u32 v5, v12, v5
	v_mad_u64_u32 v[12:13], s[30:31], v12, v4, 0
	v_mul_lo_u32 v4, v7, v4
	v_add3_u32 v13, v13, v5, v4
	v_and_b32_e32 v4, 1, v14
	v_cmp_eq_u32_e32 vcc, 1, v4
	v_and_b32_e32 v4, 1, v6
	v_cmp_eq_u32_e64 s[30:31], 1, v4
	s_or_b64 s[30:31], vcc, s[30:31]
	v_mov_b64_e32 v[4:5], v[12:13]
	v_cndmask_b32_e64 v15, 0, 1, s[30:31]
.LBB400_108:
	s_or_b64 exec, exec, s[44:45]
	ds_write_b64 v11, v[4:5]
	ds_write_b8 v11, v15 offset:8
.LBB400_109:
	s_or_b64 exec, exec, s[34:35]
	v_cmp_gt_u32_e32 vcc, 64, v0
	v_cmp_lt_u32_e64 s[30:31], 63, v0
	v_mov_b32_e32 v18, 0
	v_mov_b64_e32 v[6:7], 0
	s_waitcnt lgkmcnt(0)
	s_barrier
	s_and_saveexec_b64 s[34:35], s[30:31]
	s_cbranch_execz .LBB400_111
; %bb.110:
	v_lshl_add_u32 v4, v10, 4, -16
	ds_read_b64 v[6:7], v4
	ds_read_u8 v18, v4 offset:8
	v_cmp_eq_u16_e64 s[30:31], 0, v8
	s_waitcnt lgkmcnt(1)
	s_nop 0
	v_cndmask_b32_e64 v4, 1, v6, s[30:31]
	v_cndmask_b32_e64 v5, 0, v7, s[30:31]
	v_mul_lo_u32 v5, v5, v2
	v_mul_lo_u32 v10, v4, v3
	v_mad_u64_u32 v[2:3], s[30:31], v4, v2, 0
	s_waitcnt lgkmcnt(0)
	v_or_b32_e32 v4, v8, v18
	v_add3_u32 v3, v3, v10, v5
	v_and_b32_e32 v8, 1, v4
.LBB400_111:
	s_or_b64 exec, exec, s[34:35]
	v_add_u32_e32 v4, -1, v9
	v_and_b32_e32 v5, 64, v9
	v_cmp_lt_i32_e64 s[30:31], v4, v5
	s_nop 1
	v_cndmask_b32_e64 v4, v4, v9, s[30:31]
	v_lshlrev_b32_e32 v4, 2, v4
	ds_bpermute_b32 v19, v4, v2
	v_and_b32_e32 v2, 0xffff, v8
	ds_bpermute_b32 v20, v4, v3
	ds_bpermute_b32 v21, v4, v2
	v_cmp_eq_u32_e64 s[30:31], 0, v9
	s_and_saveexec_b64 s[44:45], vcc
	s_cbranch_execz .LBB400_158
; %bb.112:
	v_mov_b32_e32 v11, 0
	ds_read2_b64 v[2:5], v11 offset0:6 offset1:7
	s_and_saveexec_b64 s[34:35], s[30:31]
	s_cbranch_execz .LBB400_114
; %bb.113:
	s_add_i32 s48, s43, 64
	s_mov_b32 s49, 0
	s_lshl_b64 s[52:53], s[48:49], 4
	s_add_u32 s52, s36, s52
	s_addc_u32 s53, s37, s53
	s_waitcnt lgkmcnt(0)
	global_store_dword v11, v2, s[52:53] sc1
	global_store_dword v11, v3, s[52:53] offset:4 sc1
	global_store_dword v11, v4, s[52:53] offset:8 sc1
	;; [unrolled: 1-line block ×3, first 2 shown]
	v_mov_b32_e32 v5, s48
	v_mov_b32_e32 v8, 1
	s_waitcnt vmcnt(0)
	global_store_byte v5, v8, s[40:41] sc1
.LBB400_114:
	s_or_b64 exec, exec, s[34:35]
	v_xad_u32 v8, v9, -1, s43
	v_add_u32_e32 v10, 64, v8
	s_waitcnt lgkmcnt(0)
	global_load_ubyte v5, v10, s[40:41] sc1
	s_waitcnt vmcnt(0)
	v_cmp_eq_u16_e32 vcc, 0, v5
	s_and_saveexec_b64 s[34:35], vcc
	s_cbranch_execz .LBB400_120
; %bb.115:
	v_lshl_add_u64 v[12:13], s[40:41], 0, v[10:11]
	s_mov_b32 s52, 1
	s_mov_b64 s[48:49], 0
.LBB400_116:                            ; =>This Loop Header: Depth=1
                                        ;     Child Loop BB400_117 Depth 2
	s_max_u32 s53, s52, 1
.LBB400_117:                            ;   Parent Loop BB400_116 Depth=1
                                        ; =>  This Inner Loop Header: Depth=2
	s_add_i32 s53, s53, -1
	s_cmp_eq_u32 s53, 0
	s_sleep 1
	s_cbranch_scc0 .LBB400_117
; %bb.118:                              ;   in Loop: Header=BB400_116 Depth=1
	global_load_ubyte v5, v[12:13], off sc1
	s_cmp_lt_u32 s52, 32
	s_cselect_b64 s[60:61], -1, 0
	s_cmp_lg_u64 s[60:61], 0
	s_addc_u32 s52, s52, 0
	s_waitcnt vmcnt(0)
	v_cmp_ne_u16_e32 vcc, 0, v5
	s_or_b64 s[48:49], vcc, s[48:49]
	s_andn2_b64 exec, exec, s[48:49]
	s_cbranch_execnz .LBB400_116
; %bb.119:
	s_or_b64 exec, exec, s[48:49]
.LBB400_120:
	s_or_b64 exec, exec, s[34:35]
	v_mov_b32_e32 v12, s39
	v_mov_b32_e32 v13, s37
	v_cmp_eq_u16_e32 vcc, 1, v5
	v_mov_b32_e32 v14, s36
	s_waitcnt vmcnt(0)
	v_cndmask_b32_e32 v13, v12, v13, vcc
	v_mov_b32_e32 v12, s38
	v_cndmask_b32_e32 v12, v12, v14, vcc
	v_lshl_add_u64 v[10:11], v[10:11], 4, v[12:13]
	global_load_dword v12, v[10:11], off sc1
	global_load_dword v13, v[10:11], off offset:4 sc1
	global_load_dword v16, v[10:11], off offset:8 sc1
	s_nop 0
	global_load_dword v10, v[10:11], off offset:12 sc1
	v_cmp_eq_u16_e32 vcc, 2, v5
	s_waitcnt vmcnt(0)
	v_lshlrev_b64 v[10:11], v9, -1
	v_and_b32_e32 v22, 63, v9
	v_and_b32_e32 v14, vcc_hi, v11
	v_and_b32_e32 v15, vcc_lo, v10
	v_cmp_ne_u32_e32 vcc, 63, v22
	v_or_b32_e32 v14, 0x80000000, v14
	v_ffbl_b32_e32 v14, v14
	v_addc_co_u32_e32 v17, vcc, 0, v9, vcc
	v_lshlrev_b32_e32 v23, 2, v17
	v_add_u32_e32 v14, 32, v14
	v_ffbl_b32_e32 v15, v15
	v_min_u32_e32 v17, v15, v14
	v_cmp_lt_u32_e32 vcc, v22, v17
	ds_bpermute_b32 v25, v23, v12
	ds_bpermute_b32 v26, v23, v13
	v_and_b32_e32 v66, 0xff, v16
	ds_bpermute_b32 v24, v23, v66
	v_mov_b64_e32 v[14:15], v[12:13]
	s_and_saveexec_b64 s[34:35], vcc
	s_cbranch_execz .LBB400_122
; %bb.121:
	v_mov_b32_e32 v14, 0
	v_cmp_eq_u16_sdwa vcc, v16, v14 src0_sel:BYTE_0 src1_sel:DWORD
	s_waitcnt lgkmcnt(2)
	s_nop 0
	v_cndmask_b32_e32 v14, 1, v25, vcc
	s_waitcnt lgkmcnt(1)
	v_cndmask_b32_e32 v25, 0, v26, vcc
	v_mul_lo_u32 v13, v14, v13
	v_mad_u64_u32 v[14:15], s[48:49], v14, v12, 0
	v_mul_lo_u32 v12, v25, v12
	v_add3_u32 v15, v15, v13, v12
	s_waitcnt lgkmcnt(0)
	v_or_b32_e32 v12, v24, v16
	v_and_b32_e32 v16, 1, v12
	v_and_b32_e32 v66, 1, v12
	v_mov_b32_e32 v13, v15
	v_mov_b32_e32 v12, v14
.LBB400_122:
	s_or_b64 exec, exec, s[34:35]
	v_cmp_gt_u32_e32 vcc, 62, v22
	s_waitcnt lgkmcnt(2)
	v_add_u32_e32 v25, 2, v22
	s_waitcnt lgkmcnt(0)
	v_cndmask_b32_e64 v24, 0, 1, vcc
	v_lshlrev_b32_e32 v24, 1, v24
	v_add_lshl_u32 v24, v24, v9, 2
	ds_bpermute_b32 v27, v24, v12
	ds_bpermute_b32 v32, v24, v13
	ds_bpermute_b32 v26, v24, v66
	v_cmp_le_u32_e32 vcc, v25, v17
	s_and_saveexec_b64 s[48:49], vcc
	s_cbranch_execz .LBB400_124
; %bb.123:
	v_mov_b32_e32 v12, 0
	v_cmp_eq_u16_sdwa vcc, v16, v12 src0_sel:BYTE_0 src1_sel:DWORD
	s_waitcnt lgkmcnt(2)
	s_nop 0
	v_cndmask_b32_e32 v12, 1, v27, vcc
	s_waitcnt lgkmcnt(1)
	v_cndmask_b32_e32 v27, 0, v32, vcc
	v_mul_lo_u32 v15, v12, v15
	v_mad_u64_u32 v[12:13], s[34:35], v12, v14, 0
	v_mul_lo_u32 v14, v27, v14
	v_add3_u32 v13, v13, v15, v14
	v_and_b32_e32 v14, 1, v16
	v_cmp_eq_u32_e32 vcc, 1, v14
	s_waitcnt lgkmcnt(0)
	v_and_b32_e32 v14, 1, v26
	v_cmp_eq_u32_e64 s[34:35], 1, v14
	s_or_b64 s[34:35], vcc, s[34:35]
	v_mov_b64_e32 v[14:15], v[12:13]
	v_cndmask_b32_e64 v16, 0, 1, s[34:35]
	v_cndmask_b32_e64 v66, 0, 1, s[34:35]
.LBB400_124:
	s_or_b64 exec, exec, s[48:49]
	v_cmp_gt_u32_e32 vcc, 60, v22
	s_waitcnt lgkmcnt(2)
	v_add_u32_e32 v27, 4, v22
	s_waitcnt lgkmcnt(0)
	v_cndmask_b32_e64 v26, 0, 1, vcc
	v_lshlrev_b32_e32 v26, 2, v26
	v_add_lshl_u32 v26, v26, v9, 2
	ds_bpermute_b32 v33, v26, v12
	ds_bpermute_b32 v62, v26, v13
	ds_bpermute_b32 v32, v26, v66
	v_cmp_le_u32_e32 vcc, v27, v17
	s_and_saveexec_b64 s[48:49], vcc
	s_cbranch_execz .LBB400_126
; %bb.125:
	v_mov_b32_e32 v12, 0
	v_cmp_eq_u16_sdwa vcc, v16, v12 src0_sel:BYTE_0 src1_sel:DWORD
	s_waitcnt lgkmcnt(2)
	s_nop 0
	v_cndmask_b32_e32 v12, 1, v33, vcc
	s_waitcnt lgkmcnt(1)
	v_cndmask_b32_e32 v33, 0, v62, vcc
	v_mul_lo_u32 v15, v12, v15
	v_mad_u64_u32 v[12:13], s[34:35], v12, v14, 0
	v_mul_lo_u32 v14, v33, v14
	v_add3_u32 v13, v13, v15, v14
	v_and_b32_e32 v14, 1, v16
	v_cmp_eq_u32_e32 vcc, 1, v14
	s_waitcnt lgkmcnt(0)
	v_and_b32_e32 v14, 1, v32
	v_cmp_eq_u32_e64 s[34:35], 1, v14
	s_or_b64 s[34:35], vcc, s[34:35]
	v_mov_b64_e32 v[14:15], v[12:13]
	v_cndmask_b32_e64 v16, 0, 1, s[34:35]
	v_cndmask_b32_e64 v66, 0, 1, s[34:35]
.LBB400_126:
	;; [unrolled: 36-line block ×4, first 2 shown]
	s_or_b64 exec, exec, s[48:49]
	v_cmp_gt_u32_e32 vcc, 32, v22
	s_waitcnt lgkmcnt(2)
	v_add_u32_e32 v80, 32, v22
	s_waitcnt lgkmcnt(0)
	v_cndmask_b32_e64 v67, 0, 1, vcc
	v_lshlrev_b32_e32 v67, 5, v67
	v_add_lshl_u32 v67, v67, v9, 2
	ds_bpermute_b32 v12, v67, v12
	ds_bpermute_b32 v13, v67, v13
	;; [unrolled: 1-line block ×3, first 2 shown]
	v_cmp_le_u32_e32 vcc, v80, v17
	s_and_saveexec_b64 s[48:49], vcc
	s_cbranch_execz .LBB400_132
; %bb.131:
	v_mov_b32_e32 v17, 0
	v_cmp_eq_u16_sdwa vcc, v16, v17 src0_sel:BYTE_0 src1_sel:DWORD
	s_waitcnt lgkmcnt(0)
	v_and_b32_e32 v9, 1, v9
	v_cndmask_b32_e32 v12, 1, v12, vcc
	v_cndmask_b32_e32 v17, 0, v13, vcc
	v_mul_lo_u32 v15, v12, v15
	v_mad_u64_u32 v[12:13], s[34:35], v12, v14, 0
	v_mul_lo_u32 v14, v17, v14
	v_add3_u32 v13, v13, v15, v14
	v_and_b32_e32 v14, 1, v16
	v_cmp_eq_u32_e32 vcc, 1, v14
	v_cmp_eq_u32_e64 s[34:35], 1, v9
	s_or_b64 s[34:35], vcc, s[34:35]
	v_mov_b64_e32 v[14:15], v[12:13]
	v_cndmask_b32_e64 v16, 0, 1, s[34:35]
.LBB400_132:
	s_or_b64 exec, exec, s[48:49]
	s_waitcnt lgkmcnt(0)
	v_mov_b32_e32 v9, 0
	v_mov_b32_e32 v81, 2
	s_branch .LBB400_134
.LBB400_133:                            ;   in Loop: Header=BB400_134 Depth=1
	s_or_b64 exec, exec, s[52:53]
	v_cmp_eq_u16_sdwa vcc, v66, v9 src0_sel:BYTE_0 src1_sel:DWORD
	v_subrev_u32_e32 v8, 64, v8
	s_waitcnt lgkmcnt(0)
	v_cndmask_b32_e32 v14, 1, v16, vcc
	v_cndmask_b32_e32 v15, 0, v17, vcc
	v_mul_lo_u32 v16, v15, v12
	v_mul_lo_u32 v17, v14, v13
	v_mad_u64_u32 v[14:15], s[34:35], v14, v12, 0
	v_add3_u32 v15, v15, v17, v16
	v_and_b32_e32 v16, 1, v66
	v_cmp_eq_u32_e32 vcc, 1, v16
	s_or_b64 s[34:35], vcc, s[48:49]
	v_cndmask_b32_e64 v16, 0, 1, s[34:35]
.LBB400_134:                            ; =>This Loop Header: Depth=1
                                        ;     Child Loop BB400_137 Depth 2
                                        ;       Child Loop BB400_138 Depth 3
	v_cmp_ne_u16_sdwa s[34:35], v5, v81 src0_sel:BYTE_0 src1_sel:DWORD
	v_mov_b32_e32 v66, v16
	v_mov_b64_e32 v[12:13], v[14:15]
	v_cndmask_b32_e64 v5, 0, 1, s[34:35]
	;;#ASMSTART
	;;#ASMEND
	s_nop 0
	v_cmp_ne_u32_e32 vcc, 0, v5
	s_cmp_lg_u64 vcc, exec
	s_cbranch_scc1 .LBB400_153
; %bb.135:                              ;   in Loop: Header=BB400_134 Depth=1
	global_load_ubyte v5, v8, s[40:41] sc1
	s_waitcnt vmcnt(0)
	v_cmp_eq_u16_e32 vcc, 0, v5
	s_and_saveexec_b64 s[34:35], vcc
	s_cbranch_execz .LBB400_141
; %bb.136:                              ;   in Loop: Header=BB400_134 Depth=1
	v_lshl_add_u64 v[14:15], s[40:41], 0, v[8:9]
	s_mov_b32 s52, 1
	s_mov_b64 s[48:49], 0
.LBB400_137:                            ;   Parent Loop BB400_134 Depth=1
                                        ; =>  This Loop Header: Depth=2
                                        ;       Child Loop BB400_138 Depth 3
	s_max_u32 s53, s52, 1
.LBB400_138:                            ;   Parent Loop BB400_134 Depth=1
                                        ;     Parent Loop BB400_137 Depth=2
                                        ; =>    This Inner Loop Header: Depth=3
	s_add_i32 s53, s53, -1
	s_cmp_eq_u32 s53, 0
	s_sleep 1
	s_cbranch_scc0 .LBB400_138
; %bb.139:                              ;   in Loop: Header=BB400_137 Depth=2
	global_load_ubyte v5, v[14:15], off sc1
	s_cmp_lt_u32 s52, 32
	s_cselect_b64 s[60:61], -1, 0
	s_cmp_lg_u64 s[60:61], 0
	s_addc_u32 s52, s52, 0
	s_waitcnt vmcnt(0)
	v_cmp_ne_u16_e32 vcc, 0, v5
	s_or_b64 s[48:49], vcc, s[48:49]
	s_andn2_b64 exec, exec, s[48:49]
	s_cbranch_execnz .LBB400_137
; %bb.140:                              ;   in Loop: Header=BB400_134 Depth=1
	s_or_b64 exec, exec, s[48:49]
.LBB400_141:                            ;   in Loop: Header=BB400_134 Depth=1
	s_or_b64 exec, exec, s[34:35]
	v_mov_b32_e32 v14, s39
	v_mov_b32_e32 v15, s37
	v_cmp_eq_u16_e32 vcc, 1, v5
	v_mov_b32_e32 v16, s36
	s_waitcnt vmcnt(0)
	v_cndmask_b32_e32 v15, v14, v15, vcc
	v_mov_b32_e32 v14, s38
	v_cndmask_b32_e32 v14, v14, v16, vcc
	v_lshl_add_u64 v[16:17], v[8:9], 4, v[14:15]
	global_load_dword v14, v[16:17], off sc1
	global_load_dword v15, v[16:17], off offset:4 sc1
	global_load_dword v82, v[16:17], off offset:8 sc1
	s_nop 0
	global_load_dword v16, v[16:17], off offset:12 sc1
	v_cmp_eq_u16_e32 vcc, 2, v5
	s_waitcnt vmcnt(3)
	ds_bpermute_b32 v86, v23, v14
	s_waitcnt vmcnt(0)
	v_and_b32_e32 v16, vcc_hi, v11
	v_and_b32_e32 v84, 0xff, v82
	v_or_b32_e32 v16, 0x80000000, v16
	ds_bpermute_b32 v87, v23, v15
	ds_bpermute_b32 v85, v23, v84
	v_and_b32_e32 v17, vcc_lo, v10
	v_ffbl_b32_e32 v16, v16
	v_add_u32_e32 v16, 32, v16
	v_ffbl_b32_e32 v17, v17
	v_min_u32_e32 v83, v17, v16
	v_cmp_lt_u32_e32 vcc, v22, v83
	v_mov_b64_e32 v[16:17], v[14:15]
	s_and_saveexec_b64 s[34:35], vcc
	s_cbranch_execz .LBB400_143
; %bb.142:                              ;   in Loop: Header=BB400_134 Depth=1
	v_cmp_eq_u16_sdwa vcc, v82, v9 src0_sel:BYTE_0 src1_sel:DWORD
	s_waitcnt lgkmcnt(2)
	s_nop 0
	v_cndmask_b32_e32 v16, 1, v86, vcc
	s_waitcnt lgkmcnt(1)
	v_cndmask_b32_e32 v84, 0, v87, vcc
	v_mul_lo_u32 v15, v16, v15
	v_mad_u64_u32 v[16:17], s[48:49], v16, v14, 0
	v_mul_lo_u32 v14, v84, v14
	v_add3_u32 v17, v17, v15, v14
	s_waitcnt lgkmcnt(0)
	v_or_b32_e32 v14, v85, v82
	v_and_b32_e32 v82, 1, v14
	v_and_b32_e32 v84, 1, v14
	v_mov_b32_e32 v15, v17
	v_mov_b32_e32 v14, v16
.LBB400_143:                            ;   in Loop: Header=BB400_134 Depth=1
	s_or_b64 exec, exec, s[34:35]
	s_waitcnt lgkmcnt(2)
	ds_bpermute_b32 v86, v24, v14
	s_waitcnt lgkmcnt(2)
	ds_bpermute_b32 v87, v24, v15
	;; [unrolled: 2-line block ×3, first 2 shown]
	v_and_b32_e32 v88, 1, v82
	v_cmp_le_u32_e32 vcc, v25, v83
	v_cmp_eq_u32_e64 s[48:49], 1, v88
	s_and_saveexec_b64 s[34:35], vcc
	s_cbranch_execz .LBB400_145
; %bb.144:                              ;   in Loop: Header=BB400_134 Depth=1
	v_cmp_eq_u16_sdwa vcc, v82, v9 src0_sel:BYTE_0 src1_sel:DWORD
	s_waitcnt lgkmcnt(2)
	s_nop 0
	v_cndmask_b32_e32 v14, 1, v86, vcc
	s_waitcnt lgkmcnt(1)
	v_cndmask_b32_e32 v82, 0, v87, vcc
	v_mul_lo_u32 v17, v14, v17
	v_mad_u64_u32 v[14:15], s[52:53], v14, v16, 0
	v_mul_lo_u32 v16, v82, v16
	v_add3_u32 v15, v15, v17, v16
	s_waitcnt lgkmcnt(0)
	v_and_b32_e32 v16, 1, v85
	v_cmp_eq_u32_e32 vcc, 1, v16
	s_or_b64 s[52:53], s[48:49], vcc
	v_cndmask_b32_e64 v82, 0, 1, s[52:53]
	v_cndmask_b32_e64 v84, 0, 1, s[52:53]
	s_andn2_b64 s[48:49], s[48:49], exec
	s_and_b64 s[52:53], s[52:53], exec
	s_or_b64 s[48:49], s[48:49], s[52:53]
	v_mov_b64_e32 v[16:17], v[14:15]
.LBB400_145:                            ;   in Loop: Header=BB400_134 Depth=1
	s_or_b64 exec, exec, s[34:35]
	s_waitcnt lgkmcnt(2)
	ds_bpermute_b32 v86, v26, v14
	s_waitcnt lgkmcnt(2)
	ds_bpermute_b32 v87, v26, v15
	s_waitcnt lgkmcnt(2)
	ds_bpermute_b32 v85, v26, v84
	v_cmp_le_u32_e32 vcc, v27, v83
	s_and_saveexec_b64 s[52:53], vcc
	s_cbranch_execz .LBB400_147
; %bb.146:                              ;   in Loop: Header=BB400_134 Depth=1
	v_cmp_eq_u16_sdwa vcc, v82, v9 src0_sel:BYTE_0 src1_sel:DWORD
	s_andn2_b64 s[48:49], s[48:49], exec
	s_waitcnt lgkmcnt(2)
	v_cndmask_b32_e32 v14, 1, v86, vcc
	s_waitcnt lgkmcnt(1)
	v_cndmask_b32_e32 v84, 0, v87, vcc
	v_mul_lo_u32 v17, v14, v17
	v_mad_u64_u32 v[14:15], s[34:35], v14, v16, 0
	v_mul_lo_u32 v16, v84, v16
	v_add3_u32 v15, v15, v17, v16
	v_and_b32_e32 v16, 1, v82
	v_cmp_eq_u32_e32 vcc, 1, v16
	s_waitcnt lgkmcnt(0)
	v_and_b32_e32 v16, 1, v85
	v_cmp_eq_u32_e64 s[34:35], 1, v16
	s_or_b64 s[34:35], vcc, s[34:35]
	v_mov_b64_e32 v[16:17], v[14:15]
	v_cndmask_b32_e64 v82, 0, 1, s[34:35]
	v_cndmask_b32_e64 v84, 0, 1, s[34:35]
	s_and_b64 s[34:35], s[34:35], exec
	s_or_b64 s[48:49], s[48:49], s[34:35]
.LBB400_147:                            ;   in Loop: Header=BB400_134 Depth=1
	s_or_b64 exec, exec, s[52:53]
	s_waitcnt lgkmcnt(2)
	ds_bpermute_b32 v86, v32, v14
	s_waitcnt lgkmcnt(2)
	ds_bpermute_b32 v87, v32, v15
	s_waitcnt lgkmcnt(2)
	ds_bpermute_b32 v85, v32, v84
	v_cmp_le_u32_e32 vcc, v33, v83
	s_and_saveexec_b64 s[52:53], vcc
	s_cbranch_execz .LBB400_149
; %bb.148:                              ;   in Loop: Header=BB400_134 Depth=1
	v_cmp_eq_u16_sdwa vcc, v82, v9 src0_sel:BYTE_0 src1_sel:DWORD
	s_andn2_b64 s[48:49], s[48:49], exec
	s_waitcnt lgkmcnt(2)
	v_cndmask_b32_e32 v14, 1, v86, vcc
	s_waitcnt lgkmcnt(1)
	v_cndmask_b32_e32 v84, 0, v87, vcc
	v_mul_lo_u32 v17, v14, v17
	v_mad_u64_u32 v[14:15], s[34:35], v14, v16, 0
	v_mul_lo_u32 v16, v84, v16
	v_add3_u32 v15, v15, v17, v16
	v_and_b32_e32 v16, 1, v82
	v_cmp_eq_u32_e32 vcc, 1, v16
	s_waitcnt lgkmcnt(0)
	v_and_b32_e32 v16, 1, v85
	v_cmp_eq_u32_e64 s[34:35], 1, v16
	s_or_b64 s[34:35], vcc, s[34:35]
	v_mov_b64_e32 v[16:17], v[14:15]
	v_cndmask_b32_e64 v82, 0, 1, s[34:35]
	v_cndmask_b32_e64 v84, 0, 1, s[34:35]
	s_and_b64 s[34:35], s[34:35], exec
	s_or_b64 s[48:49], s[48:49], s[34:35]
.LBB400_149:                            ;   in Loop: Header=BB400_134 Depth=1
	;; [unrolled: 33-line block ×3, first 2 shown]
	s_or_b64 exec, exec, s[52:53]
	s_waitcnt lgkmcnt(0)
	ds_bpermute_b32 v85, v67, v14
	ds_bpermute_b32 v15, v67, v15
	;; [unrolled: 1-line block ×3, first 2 shown]
	v_cmp_le_u32_e32 vcc, v80, v83
	s_and_saveexec_b64 s[52:53], vcc
	s_cbranch_execz .LBB400_133
; %bb.152:                              ;   in Loop: Header=BB400_134 Depth=1
	v_cmp_eq_u16_sdwa vcc, v82, v9 src0_sel:BYTE_0 src1_sel:DWORD
	s_waitcnt lgkmcnt(0)
	v_and_b32_e32 v14, 1, v14
	s_andn2_b64 s[48:49], s[48:49], exec
	v_cndmask_b32_e32 v83, 1, v85, vcc
	v_cndmask_b32_e32 v15, 0, v15, vcc
	v_mul_lo_u32 v17, v83, v17
	v_mad_u64_u32 v[84:85], s[34:35], v83, v16, 0
	v_mul_lo_u32 v15, v15, v16
	v_add3_u32 v85, v85, v17, v15
	v_and_b32_e32 v15, 1, v82
	v_cmp_eq_u32_e32 vcc, 1, v15
	v_cmp_eq_u32_e64 s[34:35], 1, v14
	s_or_b64 s[34:35], vcc, s[34:35]
	s_and_b64 s[34:35], s[34:35], exec
	s_or_b64 s[48:49], s[48:49], s[34:35]
	v_mov_b64_e32 v[16:17], v[84:85]
	s_branch .LBB400_133
.LBB400_153:                            ;   in Loop: Header=BB400_134 Depth=1
                                        ; implicit-def: $vgpr16
                                        ; implicit-def: $vgpr14_vgpr15
                                        ; implicit-def: $vgpr5
	s_cbranch_execz .LBB400_134
; %bb.154:
	s_and_saveexec_b64 s[34:35], s[30:31]
	s_cbranch_execz .LBB400_156
; %bb.155:
	v_mov_b32_e32 v5, 0
	v_cmp_eq_u32_sdwa vcc, v4, v5 src0_sel:BYTE_0 src1_sel:DWORD
	s_mov_b32 s37, 0
	s_add_i32 s36, s43, 64
	v_cndmask_b32_e32 v8, 1, v12, vcc
	v_cndmask_b32_e32 v9, 0, v13, vcc
	v_mul_lo_u32 v9, v9, v2
	v_mul_lo_u32 v10, v8, v3
	v_mad_u64_u32 v[2:3], s[48:49], v8, v2, 0
	s_lshl_b64 s[48:49], s[36:37], 4
	v_and_b32_e32 v4, 1, v4
	s_add_u32 s48, s38, s48
	v_add3_u32 v3, v3, v10, v9
	v_and_b32_e32 v8, 1, v66
	v_cmp_eq_u32_e32 vcc, 1, v4
	s_addc_u32 s49, s39, s49
	s_nop 0
	v_cndmask_b32_e64 v4, v8, 1, vcc
	global_store_dword v5, v2, s[48:49] sc1
	global_store_dword v5, v3, s[48:49] offset:4 sc1
	global_store_dword v5, v4, s[48:49] offset:8 sc1
	;; [unrolled: 1-line block ×3, first 2 shown]
	v_mov_b32_e32 v2, s36
	v_mov_b32_e32 v3, 2
	s_waitcnt vmcnt(0)
	global_store_byte v2, v3, s[40:41] sc1
.LBB400_156:
	s_or_b64 exec, exec, s[34:35]
	s_and_b64 exec, exec, s[2:3]
	s_cbranch_execz .LBB400_158
; %bb.157:
	v_mov_b32_e32 v2, 0
	ds_write_b64 v2, v[12:13] offset:48
	ds_write_b8 v2, v66 offset:56
.LBB400_158:
	s_or_b64 exec, exec, s[44:45]
	v_mov_b32_e32 v4, 0
	s_waitcnt lgkmcnt(0)
	s_barrier
	ds_read_b64 v[2:3], v4 offset:48
	s_and_saveexec_b64 s[34:35], s[4:5]
	s_cbranch_execz .LBB400_160
; %bb.159:
	v_cndmask_b32_e64 v5, v21, v18, s[30:31]
	v_cmp_eq_u16_sdwa vcc, v5, v4 src0_sel:BYTE_0 src1_sel:DWORD
	v_cndmask_b32_e64 v6, v19, v6, s[30:31]
	v_cndmask_b32_e64 v7, v20, v7, s[30:31]
	s_waitcnt lgkmcnt(0)
	v_cndmask_b32_e32 v2, 1, v2, vcc
	v_cndmask_b32_e32 v3, 0, v3, vcc
	v_mul_lo_u32 v5, v3, v6
	v_mul_lo_u32 v7, v2, v7
	v_mad_u64_u32 v[2:3], s[4:5], v2, v6, 0
	v_add3_u32 v3, v3, v7, v5
.LBB400_160:
	s_or_b64 exec, exec, s[34:35]
	v_cmp_eq_u16_sdwa vcc, v1, v4 src0_sel:BYTE_0 src1_sel:DWORD
	s_waitcnt lgkmcnt(0)
	s_nop 0
	v_cndmask_b32_e32 v4, 1, v2, vcc
	v_cndmask_b32_e32 v5, 0, v3, vcc
	v_mul_lo_u32 v6, v5, v56
	v_mul_lo_u32 v7, v4, v57
	v_mad_u64_u32 v[4:5], s[4:5], v4, v56, 0
	v_add3_u32 v5, v5, v7, v6
	v_cndmask_b32_e64 v6, 0, v5, s[28:29]
	v_cndmask_b32_e64 v7, 1, v4, s[28:29]
	v_mul_lo_u32 v8, v6, v50
	v_mul_lo_u32 v9, v7, v51
	v_mad_u64_u32 v[6:7], s[4:5], v7, v50, 0
	v_add3_u32 v7, v7, v9, v8
	v_cndmask_b32_e64 v8, 0, v7, s[26:27]
	v_cndmask_b32_e64 v9, 1, v6, s[26:27]
	;; [unrolled: 6-line block ×12, first 2 shown]
	s_branch .LBB400_201
.LBB400_161:
	s_or_b64 exec, exec, s[34:35]
                                        ; implicit-def: $vgpr34_vgpr35
	s_and_saveexec_b64 s[34:35], s[6:7]
	s_cbranch_execz .LBB400_37
.LBB400_162:
	v_mov_b32_e32 v31, 0
	v_lshl_add_u64 v[34:35], v[62:63], 0, v[30:31]
	flat_load_dwordx2 v[34:35], v[34:35] offset:2048
	s_or_b64 exec, exec, s[34:35]
                                        ; implicit-def: $vgpr36_vgpr37
	s_and_saveexec_b64 s[6:7], s[8:9]
	s_cbranch_execnz .LBB400_38
.LBB400_163:
	s_or_b64 exec, exec, s[6:7]
                                        ; implicit-def: $vgpr38_vgpr39
	s_and_saveexec_b64 s[6:7], s[10:11]
	s_cbranch_execz .LBB400_39
.LBB400_164:
	v_lshlrev_b32_e32 v38, 3, v40
	v_mov_b32_e32 v39, 0
	v_lshl_add_u64 v[38:39], v[62:63], 0, v[38:39]
	flat_load_dwordx2 v[38:39], v[38:39]
	s_or_b64 exec, exec, s[6:7]
                                        ; implicit-def: $vgpr40_vgpr41
	s_and_saveexec_b64 s[6:7], s[12:13]
	s_cbranch_execnz .LBB400_40
.LBB400_165:
	s_or_b64 exec, exec, s[6:7]
                                        ; implicit-def: $vgpr42_vgpr43
	s_and_saveexec_b64 s[6:7], s[14:15]
	s_cbranch_execz .LBB400_41
.LBB400_166:
	v_lshlrev_b32_e32 v42, 3, v44
	v_mov_b32_e32 v43, 0
	v_lshl_add_u64 v[42:43], v[62:63], 0, v[42:43]
	flat_load_dwordx2 v[42:43], v[42:43]
	s_or_b64 exec, exec, s[6:7]
                                        ; implicit-def: $vgpr44_vgpr45
	s_and_saveexec_b64 s[6:7], s[16:17]
	s_cbranch_execnz .LBB400_42
.LBB400_167:
	s_or_b64 exec, exec, s[6:7]
                                        ; implicit-def: $vgpr46_vgpr47
	s_and_saveexec_b64 s[6:7], s[18:19]
	s_cbranch_execz .LBB400_43
.LBB400_168:
	v_lshlrev_b32_e32 v46, 3, v48
	v_mov_b32_e32 v47, 0
	v_lshl_add_u64 v[46:47], v[62:63], 0, v[46:47]
	flat_load_dwordx2 v[46:47], v[46:47]
	s_or_b64 exec, exec, s[6:7]
                                        ; implicit-def: $vgpr48_vgpr49
	s_and_saveexec_b64 s[6:7], s[20:21]
	s_cbranch_execnz .LBB400_44
.LBB400_169:
	s_or_b64 exec, exec, s[6:7]
                                        ; implicit-def: $vgpr50_vgpr51
	s_and_saveexec_b64 s[6:7], s[22:23]
	s_cbranch_execz .LBB400_45
.LBB400_170:
	v_lshlrev_b32_e32 v50, 3, v52
	v_mov_b32_e32 v51, 0
	v_lshl_add_u64 v[50:51], v[62:63], 0, v[50:51]
	flat_load_dwordx2 v[50:51], v[50:51]
	s_or_b64 exec, exec, s[6:7]
                                        ; implicit-def: $vgpr52_vgpr53
	s_and_saveexec_b64 s[6:7], s[24:25]
	s_cbranch_execnz .LBB400_46
.LBB400_171:
	s_or_b64 exec, exec, s[6:7]
                                        ; implicit-def: $vgpr56_vgpr57
	s_and_saveexec_b64 s[6:7], s[26:27]
	s_cbranch_execz .LBB400_47
.LBB400_172:
	v_lshlrev_b32_e32 v56, 3, v58
	v_mov_b32_e32 v57, 0
	v_lshl_add_u64 v[56:57], v[62:63], 0, v[56:57]
	flat_load_dwordx2 v[56:57], v[56:57]
	s_or_b64 exec, exec, s[6:7]
                                        ; implicit-def: $vgpr58_vgpr59
	s_and_saveexec_b64 s[6:7], s[28:29]
	s_cbranch_execz .LBB400_49
	s_branch .LBB400_48
.LBB400_173:
                                        ; implicit-def: $vgpr2_vgpr3
                                        ; implicit-def: $vgpr62_vgpr63
                                        ; implicit-def: $vgpr26_vgpr27
                                        ; implicit-def: $vgpr24_vgpr25
                                        ; implicit-def: $vgpr20_vgpr21
                                        ; implicit-def: $vgpr16_vgpr17
                                        ; implicit-def: $vgpr12_vgpr13
                                        ; implicit-def: $vgpr8_vgpr9
	s_cbranch_execz .LBB400_201
; %bb.174:
	s_cmp_lg_u64 s[58:59], 0
	s_cselect_b32 s5, s55, 0
	s_cselect_b32 s4, s54, 0
	s_cmp_eq_u64 s[4:5], 0
	v_mov_b64_e32 v[32:33], s[56:57]
	s_cbranch_scc1 .LBB400_176
; %bb.175:
	v_mov_b32_e32 v2, 0
	global_load_dwordx2 v[32:33], v2, s[4:5]
.LBB400_176:
	v_mov_b32_e32 v4, 0
	v_cmp_eq_u16_sdwa vcc, v68, v4 src0_sel:BYTE_0 src1_sel:DWORD
	v_mbcnt_hi_u32_b32 v8, -1, v64
	s_nop 0
	v_cndmask_b32_e32 v2, 1, v56, vcc
	v_cndmask_b32_e32 v3, 0, v57, vcc
	v_mul_lo_u32 v5, v3, v50
	v_mul_lo_u32 v6, v2, v51
	v_mad_u64_u32 v[2:3], s[4:5], v2, v50, 0
	v_add3_u32 v3, v3, v6, v5
	v_cmp_eq_u16_sdwa s[4:5], v69, v4 src0_sel:BYTE_0 src1_sel:DWORD
	s_nop 1
	v_cndmask_b32_e64 v3, 0, v3, s[4:5]
	v_cndmask_b32_e64 v2, 1, v2, s[4:5]
	v_mul_lo_u32 v5, v3, v52
	v_mul_lo_u32 v6, v2, v53
	v_mad_u64_u32 v[2:3], s[6:7], v2, v52, 0
	v_add3_u32 v3, v3, v6, v5
	v_cmp_eq_u16_sdwa s[6:7], v70, v4 src0_sel:BYTE_0 src1_sel:DWORD
	s_nop 1
	v_cndmask_b32_e64 v3, 0, v3, s[6:7]
	v_cndmask_b32_e64 v2, 1, v2, s[6:7]
	;; [unrolled: 8-line block ×11, first 2 shown]
	v_mul_lo_u32 v5, v3, v30
	v_mul_lo_u32 v6, v2, v31
	v_mad_u64_u32 v[2:3], s[26:27], v2, v30, 0
	v_add3_u32 v3, v3, v6, v5
	v_cmp_eq_u16_sdwa s[26:27], v61, v4 src0_sel:BYTE_0 src1_sel:DWORD
	v_and_b32_e32 v6, 15, v8
	v_cmp_ne_u32_e64 s[28:29], 0, v6
	v_cndmask_b32_e64 v3, 0, v3, s[26:27]
	v_cndmask_b32_e64 v2, 1, v2, s[26:27]
	v_mul_lo_u32 v4, v3, v28
	v_mul_lo_u32 v5, v2, v29
	v_mad_u64_u32 v[2:3], s[26:27], v2, v28, 0
	v_add3_u32 v3, v3, v5, v4
	v_or_b32_e32 v4, v65, v78
	v_or_b32_e32 v4, v4, v77
	;; [unrolled: 1-line block ×11, first 2 shown]
	v_and_b32_e32 v9, 1, v4
	v_cmp_eq_u32_e64 s[26:27], 1, v9
	v_mov_b32_dpp v11, v2 row_shr:1 row_mask:0xf bank_mask:0xf
	v_mov_b32_dpp v12, v3 row_shr:1 row_mask:0xf bank_mask:0xf
	;; [unrolled: 1-line block ×3, first 2 shown]
	v_mov_b32_e32 v5, v3
	v_mov_b32_e32 v4, v2
	;; [unrolled: 1-line block ×3, first 2 shown]
	s_and_saveexec_b64 s[30:31], s[28:29]
; %bb.177:
	v_cndmask_b32_e64 v4, v12, 0, s[26:27]
	v_cndmask_b32_e64 v5, v11, 1, s[26:27]
	v_mul_lo_u32 v4, v4, v2
	v_mul_lo_u32 v7, v5, v3
	v_mad_u64_u32 v[2:3], s[26:27], v5, v2, 0
	v_add3_u32 v3, v3, v7, v4
	v_and_b32_e32 v4, 1, v10
	v_or_b32_e32 v9, v4, v9
	v_and_b32_e32 v7, 0xffff, v9
	v_mov_b32_e32 v5, v3
	v_mov_b32_e32 v4, v2
; %bb.178:
	s_or_b64 exec, exec, s[30:31]
	s_nop 0
	v_mov_b32_dpp v11, v4 row_shr:2 row_mask:0xf bank_mask:0xf
	v_mov_b32_dpp v12, v5 row_shr:2 row_mask:0xf bank_mask:0xf
	v_mov_b32_dpp v10, v7 row_shr:2 row_mask:0xf bank_mask:0xf
	v_cmp_lt_u32_e64 s[26:27], 1, v6
	s_and_saveexec_b64 s[30:31], s[26:27]
	s_cbranch_execz .LBB400_180
; %bb.179:
	v_cmp_eq_u16_e64 s[26:27], 0, v9
	s_nop 1
	v_cndmask_b32_e64 v4, 1, v11, s[26:27]
	v_cndmask_b32_e64 v7, 0, v12, s[26:27]
	v_mul_lo_u32 v3, v4, v3
	v_mad_u64_u32 v[4:5], s[26:27], v4, v2, 0
	v_mul_lo_u32 v2, v7, v2
	v_add3_u32 v5, v5, v3, v2
	v_and_b32_e32 v2, 1, v9
	v_cmp_eq_u32_e64 s[26:27], 1, v2
	v_and_b32_e32 v2, 1, v10
	v_cmp_eq_u32_e64 s[28:29], 1, v2
	s_or_b64 s[26:27], s[26:27], s[28:29]
	v_cndmask_b32_e64 v9, 0, 1, s[26:27]
	v_cndmask_b32_e64 v7, 0, 1, s[26:27]
	v_mov_b64_e32 v[2:3], v[4:5]
.LBB400_180:
	s_or_b64 exec, exec, s[30:31]
	v_mov_b32_dpp v11, v4 row_shr:4 row_mask:0xf bank_mask:0xf
	v_mov_b32_dpp v12, v5 row_shr:4 row_mask:0xf bank_mask:0xf
	v_mov_b32_dpp v10, v7 row_shr:4 row_mask:0xf bank_mask:0xf
	v_cmp_lt_u32_e64 s[26:27], 3, v6
	s_and_saveexec_b64 s[30:31], s[26:27]
	s_cbranch_execz .LBB400_182
; %bb.181:
	v_cmp_eq_u16_e64 s[26:27], 0, v9
	s_nop 1
	v_cndmask_b32_e64 v4, 1, v11, s[26:27]
	v_cndmask_b32_e64 v7, 0, v12, s[26:27]
	v_mul_lo_u32 v3, v4, v3
	v_mad_u64_u32 v[4:5], s[26:27], v4, v2, 0
	v_mul_lo_u32 v2, v7, v2
	v_add3_u32 v5, v5, v3, v2
	v_and_b32_e32 v2, 1, v9
	v_cmp_eq_u32_e64 s[26:27], 1, v2
	v_and_b32_e32 v2, 1, v10
	v_cmp_eq_u32_e64 s[28:29], 1, v2
	s_or_b64 s[26:27], s[26:27], s[28:29]
	v_cndmask_b32_e64 v9, 0, 1, s[26:27]
	v_cndmask_b32_e64 v7, 0, 1, s[26:27]
	v_mov_b64_e32 v[2:3], v[4:5]
.LBB400_182:
	s_or_b64 exec, exec, s[30:31]
	;; [unrolled: 25-line block ×3, first 2 shown]
	v_and_b32_e32 v12, 16, v8
	v_mov_b32_dpp v10, v4 row_bcast:15 row_mask:0xf bank_mask:0xf
	v_mov_b32_dpp v11, v5 row_bcast:15 row_mask:0xf bank_mask:0xf
	;; [unrolled: 1-line block ×3, first 2 shown]
	v_cmp_ne_u32_e64 s[26:27], 0, v12
	s_and_saveexec_b64 s[30:31], s[26:27]
	s_cbranch_execz .LBB400_186
; %bb.185:
	v_cmp_eq_u16_e64 s[26:27], 0, v9
	s_nop 1
	v_cndmask_b32_e64 v4, 1, v10, s[26:27]
	v_cndmask_b32_e64 v7, 0, v11, s[26:27]
	v_mul_lo_u32 v3, v4, v3
	v_mad_u64_u32 v[4:5], s[26:27], v4, v2, 0
	v_mul_lo_u32 v2, v7, v2
	v_add3_u32 v5, v5, v3, v2
	v_and_b32_e32 v2, 1, v9
	v_cmp_eq_u32_e64 s[26:27], 1, v2
	v_and_b32_e32 v2, 1, v6
	v_cmp_eq_u32_e64 s[28:29], 1, v2
	s_or_b64 s[26:27], s[26:27], s[28:29]
	v_cndmask_b32_e64 v9, 0, 1, s[26:27]
	v_cndmask_b32_e64 v7, 0, 1, s[26:27]
	v_mov_b64_e32 v[2:3], v[4:5]
.LBB400_186:
	s_or_b64 exec, exec, s[30:31]
	v_mov_b32_dpp v6, v4 row_bcast:31 row_mask:0xf bank_mask:0xf
	v_mov_b32_dpp v5, v5 row_bcast:31 row_mask:0xf bank_mask:0xf
	;; [unrolled: 1-line block ×3, first 2 shown]
	v_cmp_lt_u32_e64 s[26:27], 31, v8
	s_and_saveexec_b64 s[30:31], s[26:27]
	s_cbranch_execz .LBB400_188
; %bb.187:
	v_cmp_eq_u16_e64 s[26:27], 0, v9
	s_nop 1
	v_cndmask_b32_e64 v6, 1, v6, s[26:27]
	v_cndmask_b32_e64 v5, 0, v5, s[26:27]
	v_mul_lo_u32 v3, v6, v3
	v_mad_u64_u32 v[6:7], s[26:27], v6, v2, 0
	v_mul_lo_u32 v2, v5, v2
	v_add3_u32 v7, v7, v3, v2
	v_and_b32_e32 v2, 1, v9
	v_cmp_eq_u32_e64 s[26:27], 1, v2
	v_and_b32_e32 v2, 1, v4
	v_cmp_eq_u32_e64 s[28:29], 1, v2
	s_or_b64 s[26:27], s[26:27], s[28:29]
	v_cndmask_b32_e64 v9, 0, 1, s[26:27]
	v_mov_b64_e32 v[2:3], v[6:7]
.LBB400_188:
	s_or_b64 exec, exec, s[30:31]
	v_or_b32_e32 v4, 63, v0
	v_lshrrev_b32_e32 v10, 6, v0
	v_cmp_eq_u32_e64 s[26:27], v4, v0
	s_and_saveexec_b64 s[28:29], s[26:27]
	s_cbranch_execz .LBB400_190
; %bb.189:
	v_lshlrev_b32_e32 v4, 4, v10
	ds_write_b64 v4, v[2:3]
	ds_write_b8 v4, v9 offset:8
.LBB400_190:
	s_or_b64 exec, exec, s[28:29]
	v_cmp_gt_u32_e64 s[26:27], 4, v0
	s_waitcnt lgkmcnt(0)
	s_barrier
	s_and_saveexec_b64 s[30:31], s[26:27]
	s_cbranch_execz .LBB400_196
; %bb.191:
	v_lshlrev_b32_e32 v11, 4, v0
	ds_read_b64 v[4:5], v11
	ds_read_b32 v12, v11 offset:8
	v_and_b32_e32 v13, 3, v8
	v_cmp_ne_u32_e64 s[26:27], 0, v13
	s_waitcnt lgkmcnt(1)
	v_mov_b32_dpp v17, v4 row_shr:1 row_mask:0xf bank_mask:0xf
	v_mov_b32_dpp v18, v5 row_shr:1 row_mask:0xf bank_mask:0xf
	s_waitcnt lgkmcnt(0)
	v_mov_b32_dpp v16, v12 row_shr:1 row_mask:0xf bank_mask:0xf
	v_mov_b32_e32 v15, v12
	v_mov_b32_e32 v14, v12
	;; [unrolled: 1-line block ×4, first 2 shown]
	s_and_saveexec_b64 s[28:29], s[26:27]
	s_cbranch_execz .LBB400_193
; %bb.192:
	v_mov_b32_e32 v6, 0
	v_cmp_eq_u16_sdwa s[26:27], v12, v6 src0_sel:BYTE_0 src1_sel:DWORD
	s_nop 1
	v_cndmask_b32_e64 v6, 1, v17, s[26:27]
	v_cndmask_b32_e64 v14, 0, v18, s[26:27]
	v_mul_lo_u32 v5, v6, v5
	v_mad_u64_u32 v[6:7], s[26:27], v6, v4, 0
	v_mul_lo_u32 v4, v14, v4
	v_add3_u32 v7, v7, v5, v4
	v_or_b32_e32 v4, v16, v12
	v_and_b32_e32 v14, 1, v4
	s_movk_i32 s26, 0xff00
	v_and_b32_e32 v15, 1, v4
	v_and_or_b32 v12, v12, s26, v14
	v_mov_b64_e32 v[4:5], v[6:7]
.LBB400_193:
	s_or_b64 exec, exec, s[28:29]
	v_mov_b32_dpp v16, v6 row_shr:2 row_mask:0xf bank_mask:0xf
	v_mov_b32_dpp v7, v7 row_shr:2 row_mask:0xf bank_mask:0xf
	;; [unrolled: 1-line block ×3, first 2 shown]
	v_cmp_lt_u32_e64 s[26:27], 1, v13
	s_and_saveexec_b64 s[34:35], s[26:27]
	s_cbranch_execz .LBB400_195
; %bb.194:
	v_mov_b32_e32 v12, 0
	v_cmp_eq_u16_sdwa s[26:27], v14, v12 src0_sel:BYTE_0 src1_sel:DWORD
	s_nop 1
	v_cndmask_b32_e64 v12, 1, v16, s[26:27]
	v_cndmask_b32_e64 v7, 0, v7, s[26:27]
	v_mul_lo_u32 v5, v12, v5
	v_mad_u64_u32 v[12:13], s[26:27], v12, v4, 0
	v_mul_lo_u32 v4, v7, v4
	v_add3_u32 v13, v13, v5, v4
	v_and_b32_e32 v4, 1, v14
	v_cmp_eq_u32_e64 s[26:27], 1, v4
	v_and_b32_e32 v4, 1, v6
	v_cmp_eq_u32_e64 s[28:29], 1, v4
	s_or_b64 s[26:27], s[26:27], s[28:29]
	v_cndmask_b32_e64 v15, 0, 1, s[26:27]
	v_mov_b64_e32 v[4:5], v[12:13]
.LBB400_195:
	s_or_b64 exec, exec, s[34:35]
	ds_write_b64 v11, v[4:5]
	ds_write_b8 v11, v15 offset:8
.LBB400_196:
	s_or_b64 exec, exec, s[30:31]
	v_cmp_lt_u32_e64 s[26:27], 63, v0
	s_waitcnt vmcnt(0)
	v_mov_b64_e32 v[4:5], v[32:33]
	s_waitcnt lgkmcnt(0)
	s_barrier
	s_and_saveexec_b64 s[28:29], s[26:27]
	s_cbranch_execz .LBB400_198
; %bb.197:
	v_lshl_add_u32 v4, v10, 4, -16
	ds_read_u8 v6, v4 offset:8
	ds_read_b64 v[4:5], v4
	s_waitcnt lgkmcnt(1)
	v_cmp_eq_u16_e64 s[26:27], 0, v6
	s_nop 1
	v_cndmask_b32_e64 v6, 1, v32, s[26:27]
	v_cndmask_b32_e64 v7, 0, v33, s[26:27]
	s_waitcnt lgkmcnt(0)
	v_mul_lo_u32 v10, v6, v5
	v_mul_lo_u32 v7, v7, v4
	v_mad_u64_u32 v[4:5], s[26:27], v6, v4, 0
	v_add3_u32 v5, v5, v10, v7
.LBB400_198:
	s_or_b64 exec, exec, s[28:29]
	v_cmp_eq_u16_e64 s[26:27], 0, v9
	v_mov_b32_e32 v28, 0
	s_nop 0
	v_cndmask_b32_e64 v6, 1, v4, s[26:27]
	v_cndmask_b32_e64 v7, 0, v5, s[26:27]
	v_mul_lo_u32 v7, v7, v2
	v_mul_lo_u32 v9, v6, v3
	v_mad_u64_u32 v[2:3], s[26:27], v6, v2, 0
	v_add3_u32 v3, v3, v9, v7
	v_add_u32_e32 v6, -1, v8
	v_and_b32_e32 v7, 64, v8
	v_cmp_lt_i32_e64 s[26:27], v6, v7
	s_nop 1
	v_cndmask_b32_e64 v6, v6, v8, s[26:27]
	v_lshlrev_b32_e32 v6, 2, v6
	ds_bpermute_b32 v3, v6, v3
	ds_bpermute_b32 v2, v6, v2
	v_cmp_eq_u32_e64 s[26:27], 0, v8
	s_waitcnt lgkmcnt(1)
	s_nop 0
	v_cndmask_b32_e64 v3, v3, v5, s[26:27]
	s_waitcnt lgkmcnt(0)
	v_cndmask_b32_e64 v2, v2, v4, s[26:27]
	v_cndmask_b32_e64 v4, v3, v33, s[2:3]
	;; [unrolled: 1-line block ×3, first 2 shown]
	v_cmp_eq_u16_sdwa s[26:27], v1, v28 src0_sel:BYTE_0 src1_sel:DWORD
	s_nop 1
	v_cndmask_b32_e64 v1, 0, v4, s[26:27]
	v_cndmask_b32_e64 v4, 1, v5, s[26:27]
	v_mul_lo_u32 v1, v1, v56
	v_mul_lo_u32 v6, v4, v57
	v_mad_u64_u32 v[4:5], s[26:27], v4, v56, 0
	v_add3_u32 v5, v5, v6, v1
	v_cndmask_b32_e32 v1, 0, v5, vcc
	v_cndmask_b32_e32 v6, 1, v4, vcc
	v_mul_lo_u32 v1, v1, v50
	v_mul_lo_u32 v8, v6, v51
	v_mad_u64_u32 v[6:7], s[26:27], v6, v50, 0
	v_add3_u32 v7, v7, v8, v1
	v_cndmask_b32_e64 v1, 0, v7, s[4:5]
	v_cndmask_b32_e64 v8, 1, v6, s[4:5]
	v_mul_lo_u32 v1, v1, v52
	v_mul_lo_u32 v10, v8, v53
	v_mad_u64_u32 v[8:9], s[4:5], v8, v52, 0
	v_add3_u32 v9, v9, v10, v1
	v_cndmask_b32_e64 v1, 0, v9, s[6:7]
	v_cndmask_b32_e64 v10, 1, v8, s[6:7]
	v_mul_lo_u32 v1, v1, v46
	v_mul_lo_u32 v12, v10, v47
	v_mad_u64_u32 v[10:11], s[4:5], v10, v46, 0
	v_add3_u32 v11, v11, v12, v1
	v_cndmask_b32_e64 v1, 0, v11, s[8:9]
	v_cndmask_b32_e64 v12, 1, v10, s[8:9]
	v_mul_lo_u32 v1, v1, v48
	v_mul_lo_u32 v14, v12, v49
	v_mad_u64_u32 v[12:13], s[4:5], v12, v48, 0
	v_add3_u32 v13, v13, v14, v1
	v_cndmask_b32_e64 v1, 0, v13, s[10:11]
	v_cndmask_b32_e64 v14, 1, v12, s[10:11]
	v_mul_lo_u32 v1, v1, v42
	v_mul_lo_u32 v16, v14, v43
	v_mad_u64_u32 v[14:15], s[4:5], v14, v42, 0
	v_add3_u32 v15, v15, v16, v1
	v_cndmask_b32_e64 v1, 0, v15, s[12:13]
	v_cndmask_b32_e64 v16, 1, v14, s[12:13]
	v_mul_lo_u32 v1, v1, v44
	v_mul_lo_u32 v18, v16, v45
	v_mad_u64_u32 v[16:17], s[4:5], v16, v44, 0
	v_add3_u32 v17, v17, v18, v1
	v_cndmask_b32_e64 v1, 0, v17, s[14:15]
	v_cndmask_b32_e64 v18, 1, v16, s[14:15]
	v_mul_lo_u32 v1, v1, v38
	v_mul_lo_u32 v20, v18, v39
	v_mad_u64_u32 v[18:19], s[4:5], v18, v38, 0
	v_add3_u32 v19, v19, v20, v1
	v_cndmask_b32_e64 v1, 0, v19, s[16:17]
	v_cndmask_b32_e64 v20, 1, v18, s[16:17]
	v_mul_lo_u32 v1, v1, v40
	v_mul_lo_u32 v22, v20, v41
	v_mad_u64_u32 v[20:21], s[4:5], v20, v40, 0
	v_add3_u32 v21, v21, v22, v1
	v_cndmask_b32_e64 v1, 0, v21, s[18:19]
	v_cndmask_b32_e64 v22, 1, v20, s[18:19]
	v_mul_lo_u32 v1, v1, v34
	v_mul_lo_u32 v24, v22, v35
	v_mad_u64_u32 v[22:23], s[4:5], v22, v34, 0
	v_add3_u32 v23, v23, v24, v1
	v_cndmask_b32_e64 v1, 0, v23, s[20:21]
	v_cndmask_b32_e64 v24, 1, v22, s[20:21]
	v_mul_lo_u32 v1, v1, v36
	v_mul_lo_u32 v26, v24, v37
	v_mad_u64_u32 v[24:25], s[4:5], v24, v36, 0
	v_add3_u32 v25, v25, v26, v1
	v_cndmask_b32_e64 v1, 0, v25, s[22:23]
	v_cndmask_b32_e64 v26, 1, v24, s[22:23]
	v_mul_lo_u32 v1, v1, v58
	v_mul_lo_u32 v29, v26, v59
	v_mad_u64_u32 v[26:27], s[4:5], v26, v58, 0
	v_add3_u32 v27, v27, v29, v1
	v_cndmask_b32_e64 v63, 0, v27, s[24:25]
	v_cndmask_b32_e64 v62, 1, v26, s[24:25]
	s_and_saveexec_b64 s[4:5], s[2:3]
	s_cbranch_execz .LBB400_200
; %bb.199:
	ds_read_u8 v1, v28 offset:56
	ds_read_b64 v[2:3], v28 offset:48
	s_waitcnt lgkmcnt(1)
	v_cmp_eq_u32_e32 vcc, 0, v1
	s_nop 1
	v_cndmask_b32_e32 v34, 1, v32, vcc
	v_cndmask_b32_e32 v29, 0, v33, vcc
	s_waitcnt lgkmcnt(0)
	v_mul_lo_u32 v3, v34, v3
	v_mul_hi_u32 v35, v34, v2
	v_mul_lo_u32 v29, v29, v2
	v_add_u32_e32 v3, v35, v3
	v_add_u32_e32 v3, v3, v29
	v_mul_lo_u32 v2, v34, v2
	global_store_dword v28, v2, s[38:39] offset:1024 sc1
	global_store_dword v28, v3, s[38:39] offset:1028 sc1
	global_store_dword v28, v1, s[38:39] offset:1032 sc1
	global_store_dword v28, v28, s[38:39] offset:1036 sc1
	v_mov_b32_e32 v1, 2
	v_mov_b64_e32 v[2:3], v[32:33]
	s_waitcnt vmcnt(0)
	global_store_byte v28, v1, s[40:41] offset:64 sc1
.LBB400_200:
	s_or_b64 exec, exec, s[4:5]
.LBB400_201:
	s_add_u32 s2, s50, s46
	v_mul_lo_u32 v1, v63, v30
	v_mul_lo_u32 v31, v62, v31
	v_mad_u64_u32 v[28:29], s[4:5], v62, v30, 0
	s_addc_u32 s3, s51, s47
	v_add3_u32 v29, v29, v31, v1
	v_mul_u32_u24_e32 v1, 14, v0
	v_lshl_add_u64 v[56:57], s[2:3], 0, v[54:55]
	s_and_b64 vcc, exec, s[0:1]
	v_lshlrev_b32_e32 v62, 3, v1
	s_cbranch_vccz .LBB400_229
; %bb.202:
	s_movk_i32 s0, 0xff98
	v_mad_i32_i24 v1, v0, s0, v62
	s_barrier
	ds_write_b128 v62, v[2:5]
	ds_write_b128 v62, v[6:9] offset:16
	ds_write_b128 v62, v[10:13] offset:32
	;; [unrolled: 1-line block ×6, first 2 shown]
	s_waitcnt lgkmcnt(0)
	s_barrier
	ds_read2st64_b64 v[52:55], v1 offset0:4 offset1:8
	ds_read2st64_b64 v[48:51], v1 offset0:12 offset1:16
	ds_read2st64_b64 v[44:47], v1 offset0:20 offset1:24
	ds_read2st64_b64 v[40:43], v1 offset0:28 offset1:32
	ds_read2st64_b64 v[36:39], v1 offset0:36 offset1:40
	ds_read2st64_b64 v[32:35], v1 offset0:44 offset1:48
	ds_read_b64 v[30:31], v1 offset:26624
	s_add_i32 s33, s33, s42
	v_mov_b32_e32 v61, 0
	v_lshl_add_u64 v[58:59], v[56:57], 0, v[60:61]
	v_cmp_gt_u32_e32 vcc, s33, v0
	s_and_saveexec_b64 s[0:1], vcc
	s_cbranch_execz .LBB400_204
; %bb.203:
	v_mul_i32_i24_e32 v1, 0xffffff98, v0
	v_add_u32_e32 v1, v62, v1
	ds_read_b64 v[64:65], v1
	s_waitcnt lgkmcnt(0)
	flat_store_dwordx2 v[58:59], v[64:65]
.LBB400_204:
	s_or_b64 exec, exec, s[0:1]
	v_or_b32_e32 v1, 0x100, v0
	v_cmp_gt_u32_e32 vcc, s33, v1
	s_and_saveexec_b64 s[0:1], vcc
	s_cbranch_execz .LBB400_206
; %bb.205:
	s_waitcnt lgkmcnt(0)
	flat_store_dwordx2 v[58:59], v[52:53] offset:2048
.LBB400_206:
	s_or_b64 exec, exec, s[0:1]
	v_or_b32_e32 v1, 0x200, v0
	v_cmp_gt_u32_e32 vcc, s33, v1
	s_and_saveexec_b64 s[0:1], vcc
	s_cbranch_execz .LBB400_208
; %bb.207:
	s_waitcnt lgkmcnt(0)
	v_add_co_u32_e32 v52, vcc, 0x1000, v58
	s_nop 1
	v_addc_co_u32_e32 v53, vcc, 0, v59, vcc
	flat_store_dwordx2 v[52:53], v[54:55]
.LBB400_208:
	s_or_b64 exec, exec, s[0:1]
	v_or_b32_e32 v1, 0x300, v0
	v_cmp_gt_u32_e32 vcc, s33, v1
	s_and_saveexec_b64 s[0:1], vcc
	s_cbranch_execz .LBB400_210
; %bb.209:
	s_waitcnt lgkmcnt(0)
	v_add_co_u32_e32 v52, vcc, 0x1000, v58
	s_nop 1
	v_addc_co_u32_e32 v53, vcc, 0, v59, vcc
	flat_store_dwordx2 v[52:53], v[48:49] offset:2048
.LBB400_210:
	s_or_b64 exec, exec, s[0:1]
	v_or_b32_e32 v1, 0x400, v0
	v_cmp_gt_u32_e32 vcc, s33, v1
	s_and_saveexec_b64 s[0:1], vcc
	s_cbranch_execz .LBB400_212
; %bb.211:
	s_waitcnt lgkmcnt(0)
	v_add_co_u32_e32 v48, vcc, 0x2000, v58
	s_nop 1
	v_addc_co_u32_e32 v49, vcc, 0, v59, vcc
	flat_store_dwordx2 v[48:49], v[50:51]
.LBB400_212:
	s_or_b64 exec, exec, s[0:1]
	v_or_b32_e32 v1, 0x500, v0
	v_cmp_gt_u32_e32 vcc, s33, v1
	s_and_saveexec_b64 s[0:1], vcc
	s_cbranch_execz .LBB400_214
; %bb.213:
	s_waitcnt lgkmcnt(0)
	v_add_co_u32_e32 v48, vcc, 0x2000, v58
	s_nop 1
	v_addc_co_u32_e32 v49, vcc, 0, v59, vcc
	flat_store_dwordx2 v[48:49], v[44:45] offset:2048
.LBB400_214:
	s_or_b64 exec, exec, s[0:1]
	v_or_b32_e32 v1, 0x600, v0
	v_cmp_gt_u32_e32 vcc, s33, v1
	s_and_saveexec_b64 s[0:1], vcc
	s_cbranch_execz .LBB400_216
; %bb.215:
	s_waitcnt lgkmcnt(0)
	v_add_co_u32_e32 v44, vcc, 0x3000, v58
	s_nop 1
	v_addc_co_u32_e32 v45, vcc, 0, v59, vcc
	flat_store_dwordx2 v[44:45], v[46:47]
.LBB400_216:
	s_or_b64 exec, exec, s[0:1]
	v_or_b32_e32 v1, 0x700, v0
	v_cmp_gt_u32_e32 vcc, s33, v1
	s_and_saveexec_b64 s[0:1], vcc
	s_cbranch_execz .LBB400_218
; %bb.217:
	s_waitcnt lgkmcnt(0)
	v_add_co_u32_e32 v44, vcc, 0x3000, v58
	s_nop 1
	v_addc_co_u32_e32 v45, vcc, 0, v59, vcc
	flat_store_dwordx2 v[44:45], v[40:41] offset:2048
.LBB400_218:
	s_or_b64 exec, exec, s[0:1]
	v_or_b32_e32 v1, 0x800, v0
	v_cmp_gt_u32_e32 vcc, s33, v1
	s_and_saveexec_b64 s[0:1], vcc
	s_cbranch_execz .LBB400_220
; %bb.219:
	s_waitcnt lgkmcnt(0)
	v_add_co_u32_e32 v40, vcc, 0x4000, v58
	s_nop 1
	v_addc_co_u32_e32 v41, vcc, 0, v59, vcc
	flat_store_dwordx2 v[40:41], v[42:43]
.LBB400_220:
	s_or_b64 exec, exec, s[0:1]
	v_or_b32_e32 v1, 0x900, v0
	v_cmp_gt_u32_e32 vcc, s33, v1
	s_and_saveexec_b64 s[0:1], vcc
	s_cbranch_execz .LBB400_222
; %bb.221:
	s_waitcnt lgkmcnt(0)
	v_add_co_u32_e32 v40, vcc, 0x4000, v58
	s_nop 1
	v_addc_co_u32_e32 v41, vcc, 0, v59, vcc
	flat_store_dwordx2 v[40:41], v[36:37] offset:2048
.LBB400_222:
	s_or_b64 exec, exec, s[0:1]
	v_or_b32_e32 v1, 0xa00, v0
	v_cmp_gt_u32_e32 vcc, s33, v1
	s_and_saveexec_b64 s[0:1], vcc
	s_cbranch_execz .LBB400_224
; %bb.223:
	s_waitcnt lgkmcnt(0)
	v_add_co_u32_e32 v36, vcc, 0x5000, v58
	s_nop 1
	v_addc_co_u32_e32 v37, vcc, 0, v59, vcc
	flat_store_dwordx2 v[36:37], v[38:39]
.LBB400_224:
	s_or_b64 exec, exec, s[0:1]
	v_or_b32_e32 v1, 0xb00, v0
	v_cmp_gt_u32_e32 vcc, s33, v1
	s_and_saveexec_b64 s[0:1], vcc
	s_cbranch_execz .LBB400_226
; %bb.225:
	s_waitcnt lgkmcnt(0)
	v_add_co_u32_e32 v36, vcc, 0x5000, v58
	s_nop 1
	v_addc_co_u32_e32 v37, vcc, 0, v59, vcc
	flat_store_dwordx2 v[36:37], v[32:33] offset:2048
.LBB400_226:
	s_or_b64 exec, exec, s[0:1]
	v_or_b32_e32 v1, 0xc00, v0
	v_cmp_gt_u32_e32 vcc, s33, v1
	s_and_saveexec_b64 s[0:1], vcc
	s_cbranch_execz .LBB400_228
; %bb.227:
	s_waitcnt lgkmcnt(0)
	v_add_co_u32_e32 v32, vcc, 0x6000, v58
	s_nop 1
	v_addc_co_u32_e32 v33, vcc, 0, v59, vcc
	flat_store_dwordx2 v[32:33], v[34:35]
.LBB400_228:
	s_or_b64 exec, exec, s[0:1]
	s_waitcnt lgkmcnt(0)
	v_or_b32_e32 v32, 0xd00, v0
	v_mov_b32_e32 v1, v61
	v_cmp_gt_u32_e64 s[0:1], s33, v32
	s_branch .LBB400_231
.LBB400_229:
	s_mov_b64 s[0:1], 0
                                        ; implicit-def: $vgpr30_vgpr31
	s_cbranch_execz .LBB400_231
; %bb.230:
	v_mov_b32_e32 v1, 0
	s_movk_i32 s2, 0xff98
	s_barrier
	ds_write_b128 v62, v[2:5]
	ds_write_b128 v62, v[6:9] offset:16
	ds_write_b128 v62, v[10:13] offset:32
	;; [unrolled: 1-line block ×6, first 2 shown]
	v_mad_i32_i24 v26, v0, s2, v62
	v_mov_b32_e32 v61, v1
	s_waitcnt lgkmcnt(0)
	s_barrier
	ds_read2st64_b64 v[2:5], v26 offset1:4
	ds_read2st64_b64 v[6:9], v26 offset0:8 offset1:12
	ds_read2st64_b64 v[10:13], v26 offset0:16 offset1:20
	;; [unrolled: 1-line block ×6, first 2 shown]
	v_lshl_add_u64 v[26:27], v[56:57], 0, v[60:61]
	s_movk_i32 s2, 0x1000
	s_waitcnt lgkmcnt(0)
	flat_store_dwordx2 v[26:27], v[2:3]
	flat_store_dwordx2 v[26:27], v[4:5] offset:2048
	v_add_co_u32_e32 v2, vcc, s2, v26
	s_movk_i32 s2, 0x2000
	s_nop 0
	v_addc_co_u32_e32 v3, vcc, 0, v27, vcc
	flat_store_dwordx2 v[2:3], v[6:7]
	flat_store_dwordx2 v[2:3], v[8:9] offset:2048
	v_add_co_u32_e32 v2, vcc, s2, v26
	s_movk_i32 s2, 0x3000
	s_nop 0
	v_addc_co_u32_e32 v3, vcc, 0, v27, vcc
	;; [unrolled: 6-line block ×3, first 2 shown]
	flat_store_dwordx2 v[2:3], v[14:15]
	flat_store_dwordx2 v[2:3], v[16:17] offset:2048
	v_add_co_u32_e32 v2, vcc, s2, v26
	s_or_b64 s[0:1], s[0:1], exec
	s_nop 0
	v_addc_co_u32_e32 v3, vcc, 0, v27, vcc
	flat_store_dwordx2 v[2:3], v[18:19]
	flat_store_dwordx2 v[2:3], v[20:21] offset:2048
	v_add_co_u32_e32 v2, vcc, 0x5000, v26
	s_nop 1
	v_addc_co_u32_e32 v3, vcc, 0, v27, vcc
	flat_store_dwordx2 v[2:3], v[22:23]
	flat_store_dwordx2 v[2:3], v[24:25] offset:2048
	v_add_co_u32_e32 v2, vcc, 0x6000, v26
	s_nop 1
	v_addc_co_u32_e32 v3, vcc, 0, v27, vcc
	flat_store_dwordx2 v[2:3], v[28:29]
.LBB400_231:
	s_and_saveexec_b64 s[2:3], s[0:1]
	s_cbranch_execz .LBB400_233
; %bb.232:
	v_lshl_add_u64 v[0:1], v[0:1], 3, v[56:57]
	v_add_co_u32_e32 v0, vcc, 0x6000, v0
	s_nop 1
	v_addc_co_u32_e32 v1, vcc, 0, v1, vcc
	flat_store_dwordx2 v[0:1], v[30:31] offset:2048
	s_endpgm
.LBB400_233:
	s_endpgm
	.section	.rodata,"a",@progbits
	.p2align	6, 0x0
	.amdhsa_kernel _ZN7rocprim17ROCPRIM_400000_NS6detail17trampoline_kernelINS0_14default_configENS1_27scan_by_key_config_selectorIxxEEZZNS1_16scan_by_key_implILNS1_25lookback_scan_determinismE0ELb1ES3_N6thrust23THRUST_200600_302600_NS6detail15normal_iteratorINS9_10device_ptrIxEEEESE_SE_xNS9_10multipliesIxEENS9_8equal_toIxEExEE10hipError_tPvRmT2_T3_T4_T5_mT6_T7_P12ihipStream_tbENKUlT_T0_E_clISt17integral_constantIbLb1EESZ_EEDaSU_SV_EUlSU_E_NS1_11comp_targetILNS1_3genE5ELNS1_11target_archE942ELNS1_3gpuE9ELNS1_3repE0EEENS1_30default_config_static_selectorELNS0_4arch9wavefront6targetE1EEEvT1_
		.amdhsa_group_segment_fixed_size 32768
		.amdhsa_private_segment_fixed_size 0
		.amdhsa_kernarg_size 136
		.amdhsa_user_sgpr_count 2
		.amdhsa_user_sgpr_dispatch_ptr 0
		.amdhsa_user_sgpr_queue_ptr 0
		.amdhsa_user_sgpr_kernarg_segment_ptr 1
		.amdhsa_user_sgpr_dispatch_id 0
		.amdhsa_user_sgpr_kernarg_preload_length 0
		.amdhsa_user_sgpr_kernarg_preload_offset 0
		.amdhsa_user_sgpr_private_segment_size 0
		.amdhsa_uses_dynamic_stack 0
		.amdhsa_enable_private_segment 0
		.amdhsa_system_sgpr_workgroup_id_x 1
		.amdhsa_system_sgpr_workgroup_id_y 0
		.amdhsa_system_sgpr_workgroup_id_z 0
		.amdhsa_system_sgpr_workgroup_info 0
		.amdhsa_system_vgpr_workitem_id 0
		.amdhsa_next_free_vgpr 89
		.amdhsa_next_free_sgpr 62
		.amdhsa_accum_offset 92
		.amdhsa_reserve_vcc 1
		.amdhsa_float_round_mode_32 0
		.amdhsa_float_round_mode_16_64 0
		.amdhsa_float_denorm_mode_32 3
		.amdhsa_float_denorm_mode_16_64 3
		.amdhsa_dx10_clamp 1
		.amdhsa_ieee_mode 1
		.amdhsa_fp16_overflow 0
		.amdhsa_tg_split 0
		.amdhsa_exception_fp_ieee_invalid_op 0
		.amdhsa_exception_fp_denorm_src 0
		.amdhsa_exception_fp_ieee_div_zero 0
		.amdhsa_exception_fp_ieee_overflow 0
		.amdhsa_exception_fp_ieee_underflow 0
		.amdhsa_exception_fp_ieee_inexact 0
		.amdhsa_exception_int_div_zero 0
	.end_amdhsa_kernel
	.section	.text._ZN7rocprim17ROCPRIM_400000_NS6detail17trampoline_kernelINS0_14default_configENS1_27scan_by_key_config_selectorIxxEEZZNS1_16scan_by_key_implILNS1_25lookback_scan_determinismE0ELb1ES3_N6thrust23THRUST_200600_302600_NS6detail15normal_iteratorINS9_10device_ptrIxEEEESE_SE_xNS9_10multipliesIxEENS9_8equal_toIxEExEE10hipError_tPvRmT2_T3_T4_T5_mT6_T7_P12ihipStream_tbENKUlT_T0_E_clISt17integral_constantIbLb1EESZ_EEDaSU_SV_EUlSU_E_NS1_11comp_targetILNS1_3genE5ELNS1_11target_archE942ELNS1_3gpuE9ELNS1_3repE0EEENS1_30default_config_static_selectorELNS0_4arch9wavefront6targetE1EEEvT1_,"axG",@progbits,_ZN7rocprim17ROCPRIM_400000_NS6detail17trampoline_kernelINS0_14default_configENS1_27scan_by_key_config_selectorIxxEEZZNS1_16scan_by_key_implILNS1_25lookback_scan_determinismE0ELb1ES3_N6thrust23THRUST_200600_302600_NS6detail15normal_iteratorINS9_10device_ptrIxEEEESE_SE_xNS9_10multipliesIxEENS9_8equal_toIxEExEE10hipError_tPvRmT2_T3_T4_T5_mT6_T7_P12ihipStream_tbENKUlT_T0_E_clISt17integral_constantIbLb1EESZ_EEDaSU_SV_EUlSU_E_NS1_11comp_targetILNS1_3genE5ELNS1_11target_archE942ELNS1_3gpuE9ELNS1_3repE0EEENS1_30default_config_static_selectorELNS0_4arch9wavefront6targetE1EEEvT1_,comdat
.Lfunc_end400:
	.size	_ZN7rocprim17ROCPRIM_400000_NS6detail17trampoline_kernelINS0_14default_configENS1_27scan_by_key_config_selectorIxxEEZZNS1_16scan_by_key_implILNS1_25lookback_scan_determinismE0ELb1ES3_N6thrust23THRUST_200600_302600_NS6detail15normal_iteratorINS9_10device_ptrIxEEEESE_SE_xNS9_10multipliesIxEENS9_8equal_toIxEExEE10hipError_tPvRmT2_T3_T4_T5_mT6_T7_P12ihipStream_tbENKUlT_T0_E_clISt17integral_constantIbLb1EESZ_EEDaSU_SV_EUlSU_E_NS1_11comp_targetILNS1_3genE5ELNS1_11target_archE942ELNS1_3gpuE9ELNS1_3repE0EEENS1_30default_config_static_selectorELNS0_4arch9wavefront6targetE1EEEvT1_, .Lfunc_end400-_ZN7rocprim17ROCPRIM_400000_NS6detail17trampoline_kernelINS0_14default_configENS1_27scan_by_key_config_selectorIxxEEZZNS1_16scan_by_key_implILNS1_25lookback_scan_determinismE0ELb1ES3_N6thrust23THRUST_200600_302600_NS6detail15normal_iteratorINS9_10device_ptrIxEEEESE_SE_xNS9_10multipliesIxEENS9_8equal_toIxEExEE10hipError_tPvRmT2_T3_T4_T5_mT6_T7_P12ihipStream_tbENKUlT_T0_E_clISt17integral_constantIbLb1EESZ_EEDaSU_SV_EUlSU_E_NS1_11comp_targetILNS1_3genE5ELNS1_11target_archE942ELNS1_3gpuE9ELNS1_3repE0EEENS1_30default_config_static_selectorELNS0_4arch9wavefront6targetE1EEEvT1_
                                        ; -- End function
	.section	.AMDGPU.csdata,"",@progbits
; Kernel info:
; codeLenInByte = 15428
; NumSgprs: 68
; NumVgprs: 89
; NumAgprs: 0
; TotalNumVgprs: 89
; ScratchSize: 0
; MemoryBound: 0
; FloatMode: 240
; IeeeMode: 1
; LDSByteSize: 32768 bytes/workgroup (compile time only)
; SGPRBlocks: 8
; VGPRBlocks: 11
; NumSGPRsForWavesPerEU: 68
; NumVGPRsForWavesPerEU: 89
; AccumOffset: 92
; Occupancy: 2
; WaveLimiterHint : 1
; COMPUTE_PGM_RSRC2:SCRATCH_EN: 0
; COMPUTE_PGM_RSRC2:USER_SGPR: 2
; COMPUTE_PGM_RSRC2:TRAP_HANDLER: 0
; COMPUTE_PGM_RSRC2:TGID_X_EN: 1
; COMPUTE_PGM_RSRC2:TGID_Y_EN: 0
; COMPUTE_PGM_RSRC2:TGID_Z_EN: 0
; COMPUTE_PGM_RSRC2:TIDIG_COMP_CNT: 0
; COMPUTE_PGM_RSRC3_GFX90A:ACCUM_OFFSET: 22
; COMPUTE_PGM_RSRC3_GFX90A:TG_SPLIT: 0
	.section	.text._ZN7rocprim17ROCPRIM_400000_NS6detail17trampoline_kernelINS0_14default_configENS1_27scan_by_key_config_selectorIxxEEZZNS1_16scan_by_key_implILNS1_25lookback_scan_determinismE0ELb1ES3_N6thrust23THRUST_200600_302600_NS6detail15normal_iteratorINS9_10device_ptrIxEEEESE_SE_xNS9_10multipliesIxEENS9_8equal_toIxEExEE10hipError_tPvRmT2_T3_T4_T5_mT6_T7_P12ihipStream_tbENKUlT_T0_E_clISt17integral_constantIbLb1EESZ_EEDaSU_SV_EUlSU_E_NS1_11comp_targetILNS1_3genE4ELNS1_11target_archE910ELNS1_3gpuE8ELNS1_3repE0EEENS1_30default_config_static_selectorELNS0_4arch9wavefront6targetE1EEEvT1_,"axG",@progbits,_ZN7rocprim17ROCPRIM_400000_NS6detail17trampoline_kernelINS0_14default_configENS1_27scan_by_key_config_selectorIxxEEZZNS1_16scan_by_key_implILNS1_25lookback_scan_determinismE0ELb1ES3_N6thrust23THRUST_200600_302600_NS6detail15normal_iteratorINS9_10device_ptrIxEEEESE_SE_xNS9_10multipliesIxEENS9_8equal_toIxEExEE10hipError_tPvRmT2_T3_T4_T5_mT6_T7_P12ihipStream_tbENKUlT_T0_E_clISt17integral_constantIbLb1EESZ_EEDaSU_SV_EUlSU_E_NS1_11comp_targetILNS1_3genE4ELNS1_11target_archE910ELNS1_3gpuE8ELNS1_3repE0EEENS1_30default_config_static_selectorELNS0_4arch9wavefront6targetE1EEEvT1_,comdat
	.protected	_ZN7rocprim17ROCPRIM_400000_NS6detail17trampoline_kernelINS0_14default_configENS1_27scan_by_key_config_selectorIxxEEZZNS1_16scan_by_key_implILNS1_25lookback_scan_determinismE0ELb1ES3_N6thrust23THRUST_200600_302600_NS6detail15normal_iteratorINS9_10device_ptrIxEEEESE_SE_xNS9_10multipliesIxEENS9_8equal_toIxEExEE10hipError_tPvRmT2_T3_T4_T5_mT6_T7_P12ihipStream_tbENKUlT_T0_E_clISt17integral_constantIbLb1EESZ_EEDaSU_SV_EUlSU_E_NS1_11comp_targetILNS1_3genE4ELNS1_11target_archE910ELNS1_3gpuE8ELNS1_3repE0EEENS1_30default_config_static_selectorELNS0_4arch9wavefront6targetE1EEEvT1_ ; -- Begin function _ZN7rocprim17ROCPRIM_400000_NS6detail17trampoline_kernelINS0_14default_configENS1_27scan_by_key_config_selectorIxxEEZZNS1_16scan_by_key_implILNS1_25lookback_scan_determinismE0ELb1ES3_N6thrust23THRUST_200600_302600_NS6detail15normal_iteratorINS9_10device_ptrIxEEEESE_SE_xNS9_10multipliesIxEENS9_8equal_toIxEExEE10hipError_tPvRmT2_T3_T4_T5_mT6_T7_P12ihipStream_tbENKUlT_T0_E_clISt17integral_constantIbLb1EESZ_EEDaSU_SV_EUlSU_E_NS1_11comp_targetILNS1_3genE4ELNS1_11target_archE910ELNS1_3gpuE8ELNS1_3repE0EEENS1_30default_config_static_selectorELNS0_4arch9wavefront6targetE1EEEvT1_
	.globl	_ZN7rocprim17ROCPRIM_400000_NS6detail17trampoline_kernelINS0_14default_configENS1_27scan_by_key_config_selectorIxxEEZZNS1_16scan_by_key_implILNS1_25lookback_scan_determinismE0ELb1ES3_N6thrust23THRUST_200600_302600_NS6detail15normal_iteratorINS9_10device_ptrIxEEEESE_SE_xNS9_10multipliesIxEENS9_8equal_toIxEExEE10hipError_tPvRmT2_T3_T4_T5_mT6_T7_P12ihipStream_tbENKUlT_T0_E_clISt17integral_constantIbLb1EESZ_EEDaSU_SV_EUlSU_E_NS1_11comp_targetILNS1_3genE4ELNS1_11target_archE910ELNS1_3gpuE8ELNS1_3repE0EEENS1_30default_config_static_selectorELNS0_4arch9wavefront6targetE1EEEvT1_
	.p2align	8
	.type	_ZN7rocprim17ROCPRIM_400000_NS6detail17trampoline_kernelINS0_14default_configENS1_27scan_by_key_config_selectorIxxEEZZNS1_16scan_by_key_implILNS1_25lookback_scan_determinismE0ELb1ES3_N6thrust23THRUST_200600_302600_NS6detail15normal_iteratorINS9_10device_ptrIxEEEESE_SE_xNS9_10multipliesIxEENS9_8equal_toIxEExEE10hipError_tPvRmT2_T3_T4_T5_mT6_T7_P12ihipStream_tbENKUlT_T0_E_clISt17integral_constantIbLb1EESZ_EEDaSU_SV_EUlSU_E_NS1_11comp_targetILNS1_3genE4ELNS1_11target_archE910ELNS1_3gpuE8ELNS1_3repE0EEENS1_30default_config_static_selectorELNS0_4arch9wavefront6targetE1EEEvT1_,@function
_ZN7rocprim17ROCPRIM_400000_NS6detail17trampoline_kernelINS0_14default_configENS1_27scan_by_key_config_selectorIxxEEZZNS1_16scan_by_key_implILNS1_25lookback_scan_determinismE0ELb1ES3_N6thrust23THRUST_200600_302600_NS6detail15normal_iteratorINS9_10device_ptrIxEEEESE_SE_xNS9_10multipliesIxEENS9_8equal_toIxEExEE10hipError_tPvRmT2_T3_T4_T5_mT6_T7_P12ihipStream_tbENKUlT_T0_E_clISt17integral_constantIbLb1EESZ_EEDaSU_SV_EUlSU_E_NS1_11comp_targetILNS1_3genE4ELNS1_11target_archE910ELNS1_3gpuE8ELNS1_3repE0EEENS1_30default_config_static_selectorELNS0_4arch9wavefront6targetE1EEEvT1_: ; @_ZN7rocprim17ROCPRIM_400000_NS6detail17trampoline_kernelINS0_14default_configENS1_27scan_by_key_config_selectorIxxEEZZNS1_16scan_by_key_implILNS1_25lookback_scan_determinismE0ELb1ES3_N6thrust23THRUST_200600_302600_NS6detail15normal_iteratorINS9_10device_ptrIxEEEESE_SE_xNS9_10multipliesIxEENS9_8equal_toIxEExEE10hipError_tPvRmT2_T3_T4_T5_mT6_T7_P12ihipStream_tbENKUlT_T0_E_clISt17integral_constantIbLb1EESZ_EEDaSU_SV_EUlSU_E_NS1_11comp_targetILNS1_3genE4ELNS1_11target_archE910ELNS1_3gpuE8ELNS1_3repE0EEENS1_30default_config_static_selectorELNS0_4arch9wavefront6targetE1EEEvT1_
; %bb.0:
	.section	.rodata,"a",@progbits
	.p2align	6, 0x0
	.amdhsa_kernel _ZN7rocprim17ROCPRIM_400000_NS6detail17trampoline_kernelINS0_14default_configENS1_27scan_by_key_config_selectorIxxEEZZNS1_16scan_by_key_implILNS1_25lookback_scan_determinismE0ELb1ES3_N6thrust23THRUST_200600_302600_NS6detail15normal_iteratorINS9_10device_ptrIxEEEESE_SE_xNS9_10multipliesIxEENS9_8equal_toIxEExEE10hipError_tPvRmT2_T3_T4_T5_mT6_T7_P12ihipStream_tbENKUlT_T0_E_clISt17integral_constantIbLb1EESZ_EEDaSU_SV_EUlSU_E_NS1_11comp_targetILNS1_3genE4ELNS1_11target_archE910ELNS1_3gpuE8ELNS1_3repE0EEENS1_30default_config_static_selectorELNS0_4arch9wavefront6targetE1EEEvT1_
		.amdhsa_group_segment_fixed_size 0
		.amdhsa_private_segment_fixed_size 0
		.amdhsa_kernarg_size 136
		.amdhsa_user_sgpr_count 2
		.amdhsa_user_sgpr_dispatch_ptr 0
		.amdhsa_user_sgpr_queue_ptr 0
		.amdhsa_user_sgpr_kernarg_segment_ptr 1
		.amdhsa_user_sgpr_dispatch_id 0
		.amdhsa_user_sgpr_kernarg_preload_length 0
		.amdhsa_user_sgpr_kernarg_preload_offset 0
		.amdhsa_user_sgpr_private_segment_size 0
		.amdhsa_uses_dynamic_stack 0
		.amdhsa_enable_private_segment 0
		.amdhsa_system_sgpr_workgroup_id_x 1
		.amdhsa_system_sgpr_workgroup_id_y 0
		.amdhsa_system_sgpr_workgroup_id_z 0
		.amdhsa_system_sgpr_workgroup_info 0
		.amdhsa_system_vgpr_workitem_id 0
		.amdhsa_next_free_vgpr 1
		.amdhsa_next_free_sgpr 0
		.amdhsa_accum_offset 4
		.amdhsa_reserve_vcc 0
		.amdhsa_float_round_mode_32 0
		.amdhsa_float_round_mode_16_64 0
		.amdhsa_float_denorm_mode_32 3
		.amdhsa_float_denorm_mode_16_64 3
		.amdhsa_dx10_clamp 1
		.amdhsa_ieee_mode 1
		.amdhsa_fp16_overflow 0
		.amdhsa_tg_split 0
		.amdhsa_exception_fp_ieee_invalid_op 0
		.amdhsa_exception_fp_denorm_src 0
		.amdhsa_exception_fp_ieee_div_zero 0
		.amdhsa_exception_fp_ieee_overflow 0
		.amdhsa_exception_fp_ieee_underflow 0
		.amdhsa_exception_fp_ieee_inexact 0
		.amdhsa_exception_int_div_zero 0
	.end_amdhsa_kernel
	.section	.text._ZN7rocprim17ROCPRIM_400000_NS6detail17trampoline_kernelINS0_14default_configENS1_27scan_by_key_config_selectorIxxEEZZNS1_16scan_by_key_implILNS1_25lookback_scan_determinismE0ELb1ES3_N6thrust23THRUST_200600_302600_NS6detail15normal_iteratorINS9_10device_ptrIxEEEESE_SE_xNS9_10multipliesIxEENS9_8equal_toIxEExEE10hipError_tPvRmT2_T3_T4_T5_mT6_T7_P12ihipStream_tbENKUlT_T0_E_clISt17integral_constantIbLb1EESZ_EEDaSU_SV_EUlSU_E_NS1_11comp_targetILNS1_3genE4ELNS1_11target_archE910ELNS1_3gpuE8ELNS1_3repE0EEENS1_30default_config_static_selectorELNS0_4arch9wavefront6targetE1EEEvT1_,"axG",@progbits,_ZN7rocprim17ROCPRIM_400000_NS6detail17trampoline_kernelINS0_14default_configENS1_27scan_by_key_config_selectorIxxEEZZNS1_16scan_by_key_implILNS1_25lookback_scan_determinismE0ELb1ES3_N6thrust23THRUST_200600_302600_NS6detail15normal_iteratorINS9_10device_ptrIxEEEESE_SE_xNS9_10multipliesIxEENS9_8equal_toIxEExEE10hipError_tPvRmT2_T3_T4_T5_mT6_T7_P12ihipStream_tbENKUlT_T0_E_clISt17integral_constantIbLb1EESZ_EEDaSU_SV_EUlSU_E_NS1_11comp_targetILNS1_3genE4ELNS1_11target_archE910ELNS1_3gpuE8ELNS1_3repE0EEENS1_30default_config_static_selectorELNS0_4arch9wavefront6targetE1EEEvT1_,comdat
.Lfunc_end401:
	.size	_ZN7rocprim17ROCPRIM_400000_NS6detail17trampoline_kernelINS0_14default_configENS1_27scan_by_key_config_selectorIxxEEZZNS1_16scan_by_key_implILNS1_25lookback_scan_determinismE0ELb1ES3_N6thrust23THRUST_200600_302600_NS6detail15normal_iteratorINS9_10device_ptrIxEEEESE_SE_xNS9_10multipliesIxEENS9_8equal_toIxEExEE10hipError_tPvRmT2_T3_T4_T5_mT6_T7_P12ihipStream_tbENKUlT_T0_E_clISt17integral_constantIbLb1EESZ_EEDaSU_SV_EUlSU_E_NS1_11comp_targetILNS1_3genE4ELNS1_11target_archE910ELNS1_3gpuE8ELNS1_3repE0EEENS1_30default_config_static_selectorELNS0_4arch9wavefront6targetE1EEEvT1_, .Lfunc_end401-_ZN7rocprim17ROCPRIM_400000_NS6detail17trampoline_kernelINS0_14default_configENS1_27scan_by_key_config_selectorIxxEEZZNS1_16scan_by_key_implILNS1_25lookback_scan_determinismE0ELb1ES3_N6thrust23THRUST_200600_302600_NS6detail15normal_iteratorINS9_10device_ptrIxEEEESE_SE_xNS9_10multipliesIxEENS9_8equal_toIxEExEE10hipError_tPvRmT2_T3_T4_T5_mT6_T7_P12ihipStream_tbENKUlT_T0_E_clISt17integral_constantIbLb1EESZ_EEDaSU_SV_EUlSU_E_NS1_11comp_targetILNS1_3genE4ELNS1_11target_archE910ELNS1_3gpuE8ELNS1_3repE0EEENS1_30default_config_static_selectorELNS0_4arch9wavefront6targetE1EEEvT1_
                                        ; -- End function
	.section	.AMDGPU.csdata,"",@progbits
; Kernel info:
; codeLenInByte = 0
; NumSgprs: 6
; NumVgprs: 0
; NumAgprs: 0
; TotalNumVgprs: 0
; ScratchSize: 0
; MemoryBound: 0
; FloatMode: 240
; IeeeMode: 1
; LDSByteSize: 0 bytes/workgroup (compile time only)
; SGPRBlocks: 0
; VGPRBlocks: 0
; NumSGPRsForWavesPerEU: 6
; NumVGPRsForWavesPerEU: 1
; AccumOffset: 4
; Occupancy: 8
; WaveLimiterHint : 0
; COMPUTE_PGM_RSRC2:SCRATCH_EN: 0
; COMPUTE_PGM_RSRC2:USER_SGPR: 2
; COMPUTE_PGM_RSRC2:TRAP_HANDLER: 0
; COMPUTE_PGM_RSRC2:TGID_X_EN: 1
; COMPUTE_PGM_RSRC2:TGID_Y_EN: 0
; COMPUTE_PGM_RSRC2:TGID_Z_EN: 0
; COMPUTE_PGM_RSRC2:TIDIG_COMP_CNT: 0
; COMPUTE_PGM_RSRC3_GFX90A:ACCUM_OFFSET: 0
; COMPUTE_PGM_RSRC3_GFX90A:TG_SPLIT: 0
	.section	.text._ZN7rocprim17ROCPRIM_400000_NS6detail17trampoline_kernelINS0_14default_configENS1_27scan_by_key_config_selectorIxxEEZZNS1_16scan_by_key_implILNS1_25lookback_scan_determinismE0ELb1ES3_N6thrust23THRUST_200600_302600_NS6detail15normal_iteratorINS9_10device_ptrIxEEEESE_SE_xNS9_10multipliesIxEENS9_8equal_toIxEExEE10hipError_tPvRmT2_T3_T4_T5_mT6_T7_P12ihipStream_tbENKUlT_T0_E_clISt17integral_constantIbLb1EESZ_EEDaSU_SV_EUlSU_E_NS1_11comp_targetILNS1_3genE3ELNS1_11target_archE908ELNS1_3gpuE7ELNS1_3repE0EEENS1_30default_config_static_selectorELNS0_4arch9wavefront6targetE1EEEvT1_,"axG",@progbits,_ZN7rocprim17ROCPRIM_400000_NS6detail17trampoline_kernelINS0_14default_configENS1_27scan_by_key_config_selectorIxxEEZZNS1_16scan_by_key_implILNS1_25lookback_scan_determinismE0ELb1ES3_N6thrust23THRUST_200600_302600_NS6detail15normal_iteratorINS9_10device_ptrIxEEEESE_SE_xNS9_10multipliesIxEENS9_8equal_toIxEExEE10hipError_tPvRmT2_T3_T4_T5_mT6_T7_P12ihipStream_tbENKUlT_T0_E_clISt17integral_constantIbLb1EESZ_EEDaSU_SV_EUlSU_E_NS1_11comp_targetILNS1_3genE3ELNS1_11target_archE908ELNS1_3gpuE7ELNS1_3repE0EEENS1_30default_config_static_selectorELNS0_4arch9wavefront6targetE1EEEvT1_,comdat
	.protected	_ZN7rocprim17ROCPRIM_400000_NS6detail17trampoline_kernelINS0_14default_configENS1_27scan_by_key_config_selectorIxxEEZZNS1_16scan_by_key_implILNS1_25lookback_scan_determinismE0ELb1ES3_N6thrust23THRUST_200600_302600_NS6detail15normal_iteratorINS9_10device_ptrIxEEEESE_SE_xNS9_10multipliesIxEENS9_8equal_toIxEExEE10hipError_tPvRmT2_T3_T4_T5_mT6_T7_P12ihipStream_tbENKUlT_T0_E_clISt17integral_constantIbLb1EESZ_EEDaSU_SV_EUlSU_E_NS1_11comp_targetILNS1_3genE3ELNS1_11target_archE908ELNS1_3gpuE7ELNS1_3repE0EEENS1_30default_config_static_selectorELNS0_4arch9wavefront6targetE1EEEvT1_ ; -- Begin function _ZN7rocprim17ROCPRIM_400000_NS6detail17trampoline_kernelINS0_14default_configENS1_27scan_by_key_config_selectorIxxEEZZNS1_16scan_by_key_implILNS1_25lookback_scan_determinismE0ELb1ES3_N6thrust23THRUST_200600_302600_NS6detail15normal_iteratorINS9_10device_ptrIxEEEESE_SE_xNS9_10multipliesIxEENS9_8equal_toIxEExEE10hipError_tPvRmT2_T3_T4_T5_mT6_T7_P12ihipStream_tbENKUlT_T0_E_clISt17integral_constantIbLb1EESZ_EEDaSU_SV_EUlSU_E_NS1_11comp_targetILNS1_3genE3ELNS1_11target_archE908ELNS1_3gpuE7ELNS1_3repE0EEENS1_30default_config_static_selectorELNS0_4arch9wavefront6targetE1EEEvT1_
	.globl	_ZN7rocprim17ROCPRIM_400000_NS6detail17trampoline_kernelINS0_14default_configENS1_27scan_by_key_config_selectorIxxEEZZNS1_16scan_by_key_implILNS1_25lookback_scan_determinismE0ELb1ES3_N6thrust23THRUST_200600_302600_NS6detail15normal_iteratorINS9_10device_ptrIxEEEESE_SE_xNS9_10multipliesIxEENS9_8equal_toIxEExEE10hipError_tPvRmT2_T3_T4_T5_mT6_T7_P12ihipStream_tbENKUlT_T0_E_clISt17integral_constantIbLb1EESZ_EEDaSU_SV_EUlSU_E_NS1_11comp_targetILNS1_3genE3ELNS1_11target_archE908ELNS1_3gpuE7ELNS1_3repE0EEENS1_30default_config_static_selectorELNS0_4arch9wavefront6targetE1EEEvT1_
	.p2align	8
	.type	_ZN7rocprim17ROCPRIM_400000_NS6detail17trampoline_kernelINS0_14default_configENS1_27scan_by_key_config_selectorIxxEEZZNS1_16scan_by_key_implILNS1_25lookback_scan_determinismE0ELb1ES3_N6thrust23THRUST_200600_302600_NS6detail15normal_iteratorINS9_10device_ptrIxEEEESE_SE_xNS9_10multipliesIxEENS9_8equal_toIxEExEE10hipError_tPvRmT2_T3_T4_T5_mT6_T7_P12ihipStream_tbENKUlT_T0_E_clISt17integral_constantIbLb1EESZ_EEDaSU_SV_EUlSU_E_NS1_11comp_targetILNS1_3genE3ELNS1_11target_archE908ELNS1_3gpuE7ELNS1_3repE0EEENS1_30default_config_static_selectorELNS0_4arch9wavefront6targetE1EEEvT1_,@function
_ZN7rocprim17ROCPRIM_400000_NS6detail17trampoline_kernelINS0_14default_configENS1_27scan_by_key_config_selectorIxxEEZZNS1_16scan_by_key_implILNS1_25lookback_scan_determinismE0ELb1ES3_N6thrust23THRUST_200600_302600_NS6detail15normal_iteratorINS9_10device_ptrIxEEEESE_SE_xNS9_10multipliesIxEENS9_8equal_toIxEExEE10hipError_tPvRmT2_T3_T4_T5_mT6_T7_P12ihipStream_tbENKUlT_T0_E_clISt17integral_constantIbLb1EESZ_EEDaSU_SV_EUlSU_E_NS1_11comp_targetILNS1_3genE3ELNS1_11target_archE908ELNS1_3gpuE7ELNS1_3repE0EEENS1_30default_config_static_selectorELNS0_4arch9wavefront6targetE1EEEvT1_: ; @_ZN7rocprim17ROCPRIM_400000_NS6detail17trampoline_kernelINS0_14default_configENS1_27scan_by_key_config_selectorIxxEEZZNS1_16scan_by_key_implILNS1_25lookback_scan_determinismE0ELb1ES3_N6thrust23THRUST_200600_302600_NS6detail15normal_iteratorINS9_10device_ptrIxEEEESE_SE_xNS9_10multipliesIxEENS9_8equal_toIxEExEE10hipError_tPvRmT2_T3_T4_T5_mT6_T7_P12ihipStream_tbENKUlT_T0_E_clISt17integral_constantIbLb1EESZ_EEDaSU_SV_EUlSU_E_NS1_11comp_targetILNS1_3genE3ELNS1_11target_archE908ELNS1_3gpuE7ELNS1_3repE0EEENS1_30default_config_static_selectorELNS0_4arch9wavefront6targetE1EEEvT1_
; %bb.0:
	.section	.rodata,"a",@progbits
	.p2align	6, 0x0
	.amdhsa_kernel _ZN7rocprim17ROCPRIM_400000_NS6detail17trampoline_kernelINS0_14default_configENS1_27scan_by_key_config_selectorIxxEEZZNS1_16scan_by_key_implILNS1_25lookback_scan_determinismE0ELb1ES3_N6thrust23THRUST_200600_302600_NS6detail15normal_iteratorINS9_10device_ptrIxEEEESE_SE_xNS9_10multipliesIxEENS9_8equal_toIxEExEE10hipError_tPvRmT2_T3_T4_T5_mT6_T7_P12ihipStream_tbENKUlT_T0_E_clISt17integral_constantIbLb1EESZ_EEDaSU_SV_EUlSU_E_NS1_11comp_targetILNS1_3genE3ELNS1_11target_archE908ELNS1_3gpuE7ELNS1_3repE0EEENS1_30default_config_static_selectorELNS0_4arch9wavefront6targetE1EEEvT1_
		.amdhsa_group_segment_fixed_size 0
		.amdhsa_private_segment_fixed_size 0
		.amdhsa_kernarg_size 136
		.amdhsa_user_sgpr_count 2
		.amdhsa_user_sgpr_dispatch_ptr 0
		.amdhsa_user_sgpr_queue_ptr 0
		.amdhsa_user_sgpr_kernarg_segment_ptr 1
		.amdhsa_user_sgpr_dispatch_id 0
		.amdhsa_user_sgpr_kernarg_preload_length 0
		.amdhsa_user_sgpr_kernarg_preload_offset 0
		.amdhsa_user_sgpr_private_segment_size 0
		.amdhsa_uses_dynamic_stack 0
		.amdhsa_enable_private_segment 0
		.amdhsa_system_sgpr_workgroup_id_x 1
		.amdhsa_system_sgpr_workgroup_id_y 0
		.amdhsa_system_sgpr_workgroup_id_z 0
		.amdhsa_system_sgpr_workgroup_info 0
		.amdhsa_system_vgpr_workitem_id 0
		.amdhsa_next_free_vgpr 1
		.amdhsa_next_free_sgpr 0
		.amdhsa_accum_offset 4
		.amdhsa_reserve_vcc 0
		.amdhsa_float_round_mode_32 0
		.amdhsa_float_round_mode_16_64 0
		.amdhsa_float_denorm_mode_32 3
		.amdhsa_float_denorm_mode_16_64 3
		.amdhsa_dx10_clamp 1
		.amdhsa_ieee_mode 1
		.amdhsa_fp16_overflow 0
		.amdhsa_tg_split 0
		.amdhsa_exception_fp_ieee_invalid_op 0
		.amdhsa_exception_fp_denorm_src 0
		.amdhsa_exception_fp_ieee_div_zero 0
		.amdhsa_exception_fp_ieee_overflow 0
		.amdhsa_exception_fp_ieee_underflow 0
		.amdhsa_exception_fp_ieee_inexact 0
		.amdhsa_exception_int_div_zero 0
	.end_amdhsa_kernel
	.section	.text._ZN7rocprim17ROCPRIM_400000_NS6detail17trampoline_kernelINS0_14default_configENS1_27scan_by_key_config_selectorIxxEEZZNS1_16scan_by_key_implILNS1_25lookback_scan_determinismE0ELb1ES3_N6thrust23THRUST_200600_302600_NS6detail15normal_iteratorINS9_10device_ptrIxEEEESE_SE_xNS9_10multipliesIxEENS9_8equal_toIxEExEE10hipError_tPvRmT2_T3_T4_T5_mT6_T7_P12ihipStream_tbENKUlT_T0_E_clISt17integral_constantIbLb1EESZ_EEDaSU_SV_EUlSU_E_NS1_11comp_targetILNS1_3genE3ELNS1_11target_archE908ELNS1_3gpuE7ELNS1_3repE0EEENS1_30default_config_static_selectorELNS0_4arch9wavefront6targetE1EEEvT1_,"axG",@progbits,_ZN7rocprim17ROCPRIM_400000_NS6detail17trampoline_kernelINS0_14default_configENS1_27scan_by_key_config_selectorIxxEEZZNS1_16scan_by_key_implILNS1_25lookback_scan_determinismE0ELb1ES3_N6thrust23THRUST_200600_302600_NS6detail15normal_iteratorINS9_10device_ptrIxEEEESE_SE_xNS9_10multipliesIxEENS9_8equal_toIxEExEE10hipError_tPvRmT2_T3_T4_T5_mT6_T7_P12ihipStream_tbENKUlT_T0_E_clISt17integral_constantIbLb1EESZ_EEDaSU_SV_EUlSU_E_NS1_11comp_targetILNS1_3genE3ELNS1_11target_archE908ELNS1_3gpuE7ELNS1_3repE0EEENS1_30default_config_static_selectorELNS0_4arch9wavefront6targetE1EEEvT1_,comdat
.Lfunc_end402:
	.size	_ZN7rocprim17ROCPRIM_400000_NS6detail17trampoline_kernelINS0_14default_configENS1_27scan_by_key_config_selectorIxxEEZZNS1_16scan_by_key_implILNS1_25lookback_scan_determinismE0ELb1ES3_N6thrust23THRUST_200600_302600_NS6detail15normal_iteratorINS9_10device_ptrIxEEEESE_SE_xNS9_10multipliesIxEENS9_8equal_toIxEExEE10hipError_tPvRmT2_T3_T4_T5_mT6_T7_P12ihipStream_tbENKUlT_T0_E_clISt17integral_constantIbLb1EESZ_EEDaSU_SV_EUlSU_E_NS1_11comp_targetILNS1_3genE3ELNS1_11target_archE908ELNS1_3gpuE7ELNS1_3repE0EEENS1_30default_config_static_selectorELNS0_4arch9wavefront6targetE1EEEvT1_, .Lfunc_end402-_ZN7rocprim17ROCPRIM_400000_NS6detail17trampoline_kernelINS0_14default_configENS1_27scan_by_key_config_selectorIxxEEZZNS1_16scan_by_key_implILNS1_25lookback_scan_determinismE0ELb1ES3_N6thrust23THRUST_200600_302600_NS6detail15normal_iteratorINS9_10device_ptrIxEEEESE_SE_xNS9_10multipliesIxEENS9_8equal_toIxEExEE10hipError_tPvRmT2_T3_T4_T5_mT6_T7_P12ihipStream_tbENKUlT_T0_E_clISt17integral_constantIbLb1EESZ_EEDaSU_SV_EUlSU_E_NS1_11comp_targetILNS1_3genE3ELNS1_11target_archE908ELNS1_3gpuE7ELNS1_3repE0EEENS1_30default_config_static_selectorELNS0_4arch9wavefront6targetE1EEEvT1_
                                        ; -- End function
	.section	.AMDGPU.csdata,"",@progbits
; Kernel info:
; codeLenInByte = 0
; NumSgprs: 6
; NumVgprs: 0
; NumAgprs: 0
; TotalNumVgprs: 0
; ScratchSize: 0
; MemoryBound: 0
; FloatMode: 240
; IeeeMode: 1
; LDSByteSize: 0 bytes/workgroup (compile time only)
; SGPRBlocks: 0
; VGPRBlocks: 0
; NumSGPRsForWavesPerEU: 6
; NumVGPRsForWavesPerEU: 1
; AccumOffset: 4
; Occupancy: 8
; WaveLimiterHint : 0
; COMPUTE_PGM_RSRC2:SCRATCH_EN: 0
; COMPUTE_PGM_RSRC2:USER_SGPR: 2
; COMPUTE_PGM_RSRC2:TRAP_HANDLER: 0
; COMPUTE_PGM_RSRC2:TGID_X_EN: 1
; COMPUTE_PGM_RSRC2:TGID_Y_EN: 0
; COMPUTE_PGM_RSRC2:TGID_Z_EN: 0
; COMPUTE_PGM_RSRC2:TIDIG_COMP_CNT: 0
; COMPUTE_PGM_RSRC3_GFX90A:ACCUM_OFFSET: 0
; COMPUTE_PGM_RSRC3_GFX90A:TG_SPLIT: 0
	.section	.text._ZN7rocprim17ROCPRIM_400000_NS6detail17trampoline_kernelINS0_14default_configENS1_27scan_by_key_config_selectorIxxEEZZNS1_16scan_by_key_implILNS1_25lookback_scan_determinismE0ELb1ES3_N6thrust23THRUST_200600_302600_NS6detail15normal_iteratorINS9_10device_ptrIxEEEESE_SE_xNS9_10multipliesIxEENS9_8equal_toIxEExEE10hipError_tPvRmT2_T3_T4_T5_mT6_T7_P12ihipStream_tbENKUlT_T0_E_clISt17integral_constantIbLb1EESZ_EEDaSU_SV_EUlSU_E_NS1_11comp_targetILNS1_3genE2ELNS1_11target_archE906ELNS1_3gpuE6ELNS1_3repE0EEENS1_30default_config_static_selectorELNS0_4arch9wavefront6targetE1EEEvT1_,"axG",@progbits,_ZN7rocprim17ROCPRIM_400000_NS6detail17trampoline_kernelINS0_14default_configENS1_27scan_by_key_config_selectorIxxEEZZNS1_16scan_by_key_implILNS1_25lookback_scan_determinismE0ELb1ES3_N6thrust23THRUST_200600_302600_NS6detail15normal_iteratorINS9_10device_ptrIxEEEESE_SE_xNS9_10multipliesIxEENS9_8equal_toIxEExEE10hipError_tPvRmT2_T3_T4_T5_mT6_T7_P12ihipStream_tbENKUlT_T0_E_clISt17integral_constantIbLb1EESZ_EEDaSU_SV_EUlSU_E_NS1_11comp_targetILNS1_3genE2ELNS1_11target_archE906ELNS1_3gpuE6ELNS1_3repE0EEENS1_30default_config_static_selectorELNS0_4arch9wavefront6targetE1EEEvT1_,comdat
	.protected	_ZN7rocprim17ROCPRIM_400000_NS6detail17trampoline_kernelINS0_14default_configENS1_27scan_by_key_config_selectorIxxEEZZNS1_16scan_by_key_implILNS1_25lookback_scan_determinismE0ELb1ES3_N6thrust23THRUST_200600_302600_NS6detail15normal_iteratorINS9_10device_ptrIxEEEESE_SE_xNS9_10multipliesIxEENS9_8equal_toIxEExEE10hipError_tPvRmT2_T3_T4_T5_mT6_T7_P12ihipStream_tbENKUlT_T0_E_clISt17integral_constantIbLb1EESZ_EEDaSU_SV_EUlSU_E_NS1_11comp_targetILNS1_3genE2ELNS1_11target_archE906ELNS1_3gpuE6ELNS1_3repE0EEENS1_30default_config_static_selectorELNS0_4arch9wavefront6targetE1EEEvT1_ ; -- Begin function _ZN7rocprim17ROCPRIM_400000_NS6detail17trampoline_kernelINS0_14default_configENS1_27scan_by_key_config_selectorIxxEEZZNS1_16scan_by_key_implILNS1_25lookback_scan_determinismE0ELb1ES3_N6thrust23THRUST_200600_302600_NS6detail15normal_iteratorINS9_10device_ptrIxEEEESE_SE_xNS9_10multipliesIxEENS9_8equal_toIxEExEE10hipError_tPvRmT2_T3_T4_T5_mT6_T7_P12ihipStream_tbENKUlT_T0_E_clISt17integral_constantIbLb1EESZ_EEDaSU_SV_EUlSU_E_NS1_11comp_targetILNS1_3genE2ELNS1_11target_archE906ELNS1_3gpuE6ELNS1_3repE0EEENS1_30default_config_static_selectorELNS0_4arch9wavefront6targetE1EEEvT1_
	.globl	_ZN7rocprim17ROCPRIM_400000_NS6detail17trampoline_kernelINS0_14default_configENS1_27scan_by_key_config_selectorIxxEEZZNS1_16scan_by_key_implILNS1_25lookback_scan_determinismE0ELb1ES3_N6thrust23THRUST_200600_302600_NS6detail15normal_iteratorINS9_10device_ptrIxEEEESE_SE_xNS9_10multipliesIxEENS9_8equal_toIxEExEE10hipError_tPvRmT2_T3_T4_T5_mT6_T7_P12ihipStream_tbENKUlT_T0_E_clISt17integral_constantIbLb1EESZ_EEDaSU_SV_EUlSU_E_NS1_11comp_targetILNS1_3genE2ELNS1_11target_archE906ELNS1_3gpuE6ELNS1_3repE0EEENS1_30default_config_static_selectorELNS0_4arch9wavefront6targetE1EEEvT1_
	.p2align	8
	.type	_ZN7rocprim17ROCPRIM_400000_NS6detail17trampoline_kernelINS0_14default_configENS1_27scan_by_key_config_selectorIxxEEZZNS1_16scan_by_key_implILNS1_25lookback_scan_determinismE0ELb1ES3_N6thrust23THRUST_200600_302600_NS6detail15normal_iteratorINS9_10device_ptrIxEEEESE_SE_xNS9_10multipliesIxEENS9_8equal_toIxEExEE10hipError_tPvRmT2_T3_T4_T5_mT6_T7_P12ihipStream_tbENKUlT_T0_E_clISt17integral_constantIbLb1EESZ_EEDaSU_SV_EUlSU_E_NS1_11comp_targetILNS1_3genE2ELNS1_11target_archE906ELNS1_3gpuE6ELNS1_3repE0EEENS1_30default_config_static_selectorELNS0_4arch9wavefront6targetE1EEEvT1_,@function
_ZN7rocprim17ROCPRIM_400000_NS6detail17trampoline_kernelINS0_14default_configENS1_27scan_by_key_config_selectorIxxEEZZNS1_16scan_by_key_implILNS1_25lookback_scan_determinismE0ELb1ES3_N6thrust23THRUST_200600_302600_NS6detail15normal_iteratorINS9_10device_ptrIxEEEESE_SE_xNS9_10multipliesIxEENS9_8equal_toIxEExEE10hipError_tPvRmT2_T3_T4_T5_mT6_T7_P12ihipStream_tbENKUlT_T0_E_clISt17integral_constantIbLb1EESZ_EEDaSU_SV_EUlSU_E_NS1_11comp_targetILNS1_3genE2ELNS1_11target_archE906ELNS1_3gpuE6ELNS1_3repE0EEENS1_30default_config_static_selectorELNS0_4arch9wavefront6targetE1EEEvT1_: ; @_ZN7rocprim17ROCPRIM_400000_NS6detail17trampoline_kernelINS0_14default_configENS1_27scan_by_key_config_selectorIxxEEZZNS1_16scan_by_key_implILNS1_25lookback_scan_determinismE0ELb1ES3_N6thrust23THRUST_200600_302600_NS6detail15normal_iteratorINS9_10device_ptrIxEEEESE_SE_xNS9_10multipliesIxEENS9_8equal_toIxEExEE10hipError_tPvRmT2_T3_T4_T5_mT6_T7_P12ihipStream_tbENKUlT_T0_E_clISt17integral_constantIbLb1EESZ_EEDaSU_SV_EUlSU_E_NS1_11comp_targetILNS1_3genE2ELNS1_11target_archE906ELNS1_3gpuE6ELNS1_3repE0EEENS1_30default_config_static_selectorELNS0_4arch9wavefront6targetE1EEEvT1_
; %bb.0:
	.section	.rodata,"a",@progbits
	.p2align	6, 0x0
	.amdhsa_kernel _ZN7rocprim17ROCPRIM_400000_NS6detail17trampoline_kernelINS0_14default_configENS1_27scan_by_key_config_selectorIxxEEZZNS1_16scan_by_key_implILNS1_25lookback_scan_determinismE0ELb1ES3_N6thrust23THRUST_200600_302600_NS6detail15normal_iteratorINS9_10device_ptrIxEEEESE_SE_xNS9_10multipliesIxEENS9_8equal_toIxEExEE10hipError_tPvRmT2_T3_T4_T5_mT6_T7_P12ihipStream_tbENKUlT_T0_E_clISt17integral_constantIbLb1EESZ_EEDaSU_SV_EUlSU_E_NS1_11comp_targetILNS1_3genE2ELNS1_11target_archE906ELNS1_3gpuE6ELNS1_3repE0EEENS1_30default_config_static_selectorELNS0_4arch9wavefront6targetE1EEEvT1_
		.amdhsa_group_segment_fixed_size 0
		.amdhsa_private_segment_fixed_size 0
		.amdhsa_kernarg_size 136
		.amdhsa_user_sgpr_count 2
		.amdhsa_user_sgpr_dispatch_ptr 0
		.amdhsa_user_sgpr_queue_ptr 0
		.amdhsa_user_sgpr_kernarg_segment_ptr 1
		.amdhsa_user_sgpr_dispatch_id 0
		.amdhsa_user_sgpr_kernarg_preload_length 0
		.amdhsa_user_sgpr_kernarg_preload_offset 0
		.amdhsa_user_sgpr_private_segment_size 0
		.amdhsa_uses_dynamic_stack 0
		.amdhsa_enable_private_segment 0
		.amdhsa_system_sgpr_workgroup_id_x 1
		.amdhsa_system_sgpr_workgroup_id_y 0
		.amdhsa_system_sgpr_workgroup_id_z 0
		.amdhsa_system_sgpr_workgroup_info 0
		.amdhsa_system_vgpr_workitem_id 0
		.amdhsa_next_free_vgpr 1
		.amdhsa_next_free_sgpr 0
		.amdhsa_accum_offset 4
		.amdhsa_reserve_vcc 0
		.amdhsa_float_round_mode_32 0
		.amdhsa_float_round_mode_16_64 0
		.amdhsa_float_denorm_mode_32 3
		.amdhsa_float_denorm_mode_16_64 3
		.amdhsa_dx10_clamp 1
		.amdhsa_ieee_mode 1
		.amdhsa_fp16_overflow 0
		.amdhsa_tg_split 0
		.amdhsa_exception_fp_ieee_invalid_op 0
		.amdhsa_exception_fp_denorm_src 0
		.amdhsa_exception_fp_ieee_div_zero 0
		.amdhsa_exception_fp_ieee_overflow 0
		.amdhsa_exception_fp_ieee_underflow 0
		.amdhsa_exception_fp_ieee_inexact 0
		.amdhsa_exception_int_div_zero 0
	.end_amdhsa_kernel
	.section	.text._ZN7rocprim17ROCPRIM_400000_NS6detail17trampoline_kernelINS0_14default_configENS1_27scan_by_key_config_selectorIxxEEZZNS1_16scan_by_key_implILNS1_25lookback_scan_determinismE0ELb1ES3_N6thrust23THRUST_200600_302600_NS6detail15normal_iteratorINS9_10device_ptrIxEEEESE_SE_xNS9_10multipliesIxEENS9_8equal_toIxEExEE10hipError_tPvRmT2_T3_T4_T5_mT6_T7_P12ihipStream_tbENKUlT_T0_E_clISt17integral_constantIbLb1EESZ_EEDaSU_SV_EUlSU_E_NS1_11comp_targetILNS1_3genE2ELNS1_11target_archE906ELNS1_3gpuE6ELNS1_3repE0EEENS1_30default_config_static_selectorELNS0_4arch9wavefront6targetE1EEEvT1_,"axG",@progbits,_ZN7rocprim17ROCPRIM_400000_NS6detail17trampoline_kernelINS0_14default_configENS1_27scan_by_key_config_selectorIxxEEZZNS1_16scan_by_key_implILNS1_25lookback_scan_determinismE0ELb1ES3_N6thrust23THRUST_200600_302600_NS6detail15normal_iteratorINS9_10device_ptrIxEEEESE_SE_xNS9_10multipliesIxEENS9_8equal_toIxEExEE10hipError_tPvRmT2_T3_T4_T5_mT6_T7_P12ihipStream_tbENKUlT_T0_E_clISt17integral_constantIbLb1EESZ_EEDaSU_SV_EUlSU_E_NS1_11comp_targetILNS1_3genE2ELNS1_11target_archE906ELNS1_3gpuE6ELNS1_3repE0EEENS1_30default_config_static_selectorELNS0_4arch9wavefront6targetE1EEEvT1_,comdat
.Lfunc_end403:
	.size	_ZN7rocprim17ROCPRIM_400000_NS6detail17trampoline_kernelINS0_14default_configENS1_27scan_by_key_config_selectorIxxEEZZNS1_16scan_by_key_implILNS1_25lookback_scan_determinismE0ELb1ES3_N6thrust23THRUST_200600_302600_NS6detail15normal_iteratorINS9_10device_ptrIxEEEESE_SE_xNS9_10multipliesIxEENS9_8equal_toIxEExEE10hipError_tPvRmT2_T3_T4_T5_mT6_T7_P12ihipStream_tbENKUlT_T0_E_clISt17integral_constantIbLb1EESZ_EEDaSU_SV_EUlSU_E_NS1_11comp_targetILNS1_3genE2ELNS1_11target_archE906ELNS1_3gpuE6ELNS1_3repE0EEENS1_30default_config_static_selectorELNS0_4arch9wavefront6targetE1EEEvT1_, .Lfunc_end403-_ZN7rocprim17ROCPRIM_400000_NS6detail17trampoline_kernelINS0_14default_configENS1_27scan_by_key_config_selectorIxxEEZZNS1_16scan_by_key_implILNS1_25lookback_scan_determinismE0ELb1ES3_N6thrust23THRUST_200600_302600_NS6detail15normal_iteratorINS9_10device_ptrIxEEEESE_SE_xNS9_10multipliesIxEENS9_8equal_toIxEExEE10hipError_tPvRmT2_T3_T4_T5_mT6_T7_P12ihipStream_tbENKUlT_T0_E_clISt17integral_constantIbLb1EESZ_EEDaSU_SV_EUlSU_E_NS1_11comp_targetILNS1_3genE2ELNS1_11target_archE906ELNS1_3gpuE6ELNS1_3repE0EEENS1_30default_config_static_selectorELNS0_4arch9wavefront6targetE1EEEvT1_
                                        ; -- End function
	.section	.AMDGPU.csdata,"",@progbits
; Kernel info:
; codeLenInByte = 0
; NumSgprs: 6
; NumVgprs: 0
; NumAgprs: 0
; TotalNumVgprs: 0
; ScratchSize: 0
; MemoryBound: 0
; FloatMode: 240
; IeeeMode: 1
; LDSByteSize: 0 bytes/workgroup (compile time only)
; SGPRBlocks: 0
; VGPRBlocks: 0
; NumSGPRsForWavesPerEU: 6
; NumVGPRsForWavesPerEU: 1
; AccumOffset: 4
; Occupancy: 8
; WaveLimiterHint : 0
; COMPUTE_PGM_RSRC2:SCRATCH_EN: 0
; COMPUTE_PGM_RSRC2:USER_SGPR: 2
; COMPUTE_PGM_RSRC2:TRAP_HANDLER: 0
; COMPUTE_PGM_RSRC2:TGID_X_EN: 1
; COMPUTE_PGM_RSRC2:TGID_Y_EN: 0
; COMPUTE_PGM_RSRC2:TGID_Z_EN: 0
; COMPUTE_PGM_RSRC2:TIDIG_COMP_CNT: 0
; COMPUTE_PGM_RSRC3_GFX90A:ACCUM_OFFSET: 0
; COMPUTE_PGM_RSRC3_GFX90A:TG_SPLIT: 0
	.section	.text._ZN7rocprim17ROCPRIM_400000_NS6detail17trampoline_kernelINS0_14default_configENS1_27scan_by_key_config_selectorIxxEEZZNS1_16scan_by_key_implILNS1_25lookback_scan_determinismE0ELb1ES3_N6thrust23THRUST_200600_302600_NS6detail15normal_iteratorINS9_10device_ptrIxEEEESE_SE_xNS9_10multipliesIxEENS9_8equal_toIxEExEE10hipError_tPvRmT2_T3_T4_T5_mT6_T7_P12ihipStream_tbENKUlT_T0_E_clISt17integral_constantIbLb1EESZ_EEDaSU_SV_EUlSU_E_NS1_11comp_targetILNS1_3genE10ELNS1_11target_archE1200ELNS1_3gpuE4ELNS1_3repE0EEENS1_30default_config_static_selectorELNS0_4arch9wavefront6targetE1EEEvT1_,"axG",@progbits,_ZN7rocprim17ROCPRIM_400000_NS6detail17trampoline_kernelINS0_14default_configENS1_27scan_by_key_config_selectorIxxEEZZNS1_16scan_by_key_implILNS1_25lookback_scan_determinismE0ELb1ES3_N6thrust23THRUST_200600_302600_NS6detail15normal_iteratorINS9_10device_ptrIxEEEESE_SE_xNS9_10multipliesIxEENS9_8equal_toIxEExEE10hipError_tPvRmT2_T3_T4_T5_mT6_T7_P12ihipStream_tbENKUlT_T0_E_clISt17integral_constantIbLb1EESZ_EEDaSU_SV_EUlSU_E_NS1_11comp_targetILNS1_3genE10ELNS1_11target_archE1200ELNS1_3gpuE4ELNS1_3repE0EEENS1_30default_config_static_selectorELNS0_4arch9wavefront6targetE1EEEvT1_,comdat
	.protected	_ZN7rocprim17ROCPRIM_400000_NS6detail17trampoline_kernelINS0_14default_configENS1_27scan_by_key_config_selectorIxxEEZZNS1_16scan_by_key_implILNS1_25lookback_scan_determinismE0ELb1ES3_N6thrust23THRUST_200600_302600_NS6detail15normal_iteratorINS9_10device_ptrIxEEEESE_SE_xNS9_10multipliesIxEENS9_8equal_toIxEExEE10hipError_tPvRmT2_T3_T4_T5_mT6_T7_P12ihipStream_tbENKUlT_T0_E_clISt17integral_constantIbLb1EESZ_EEDaSU_SV_EUlSU_E_NS1_11comp_targetILNS1_3genE10ELNS1_11target_archE1200ELNS1_3gpuE4ELNS1_3repE0EEENS1_30default_config_static_selectorELNS0_4arch9wavefront6targetE1EEEvT1_ ; -- Begin function _ZN7rocprim17ROCPRIM_400000_NS6detail17trampoline_kernelINS0_14default_configENS1_27scan_by_key_config_selectorIxxEEZZNS1_16scan_by_key_implILNS1_25lookback_scan_determinismE0ELb1ES3_N6thrust23THRUST_200600_302600_NS6detail15normal_iteratorINS9_10device_ptrIxEEEESE_SE_xNS9_10multipliesIxEENS9_8equal_toIxEExEE10hipError_tPvRmT2_T3_T4_T5_mT6_T7_P12ihipStream_tbENKUlT_T0_E_clISt17integral_constantIbLb1EESZ_EEDaSU_SV_EUlSU_E_NS1_11comp_targetILNS1_3genE10ELNS1_11target_archE1200ELNS1_3gpuE4ELNS1_3repE0EEENS1_30default_config_static_selectorELNS0_4arch9wavefront6targetE1EEEvT1_
	.globl	_ZN7rocprim17ROCPRIM_400000_NS6detail17trampoline_kernelINS0_14default_configENS1_27scan_by_key_config_selectorIxxEEZZNS1_16scan_by_key_implILNS1_25lookback_scan_determinismE0ELb1ES3_N6thrust23THRUST_200600_302600_NS6detail15normal_iteratorINS9_10device_ptrIxEEEESE_SE_xNS9_10multipliesIxEENS9_8equal_toIxEExEE10hipError_tPvRmT2_T3_T4_T5_mT6_T7_P12ihipStream_tbENKUlT_T0_E_clISt17integral_constantIbLb1EESZ_EEDaSU_SV_EUlSU_E_NS1_11comp_targetILNS1_3genE10ELNS1_11target_archE1200ELNS1_3gpuE4ELNS1_3repE0EEENS1_30default_config_static_selectorELNS0_4arch9wavefront6targetE1EEEvT1_
	.p2align	8
	.type	_ZN7rocprim17ROCPRIM_400000_NS6detail17trampoline_kernelINS0_14default_configENS1_27scan_by_key_config_selectorIxxEEZZNS1_16scan_by_key_implILNS1_25lookback_scan_determinismE0ELb1ES3_N6thrust23THRUST_200600_302600_NS6detail15normal_iteratorINS9_10device_ptrIxEEEESE_SE_xNS9_10multipliesIxEENS9_8equal_toIxEExEE10hipError_tPvRmT2_T3_T4_T5_mT6_T7_P12ihipStream_tbENKUlT_T0_E_clISt17integral_constantIbLb1EESZ_EEDaSU_SV_EUlSU_E_NS1_11comp_targetILNS1_3genE10ELNS1_11target_archE1200ELNS1_3gpuE4ELNS1_3repE0EEENS1_30default_config_static_selectorELNS0_4arch9wavefront6targetE1EEEvT1_,@function
_ZN7rocprim17ROCPRIM_400000_NS6detail17trampoline_kernelINS0_14default_configENS1_27scan_by_key_config_selectorIxxEEZZNS1_16scan_by_key_implILNS1_25lookback_scan_determinismE0ELb1ES3_N6thrust23THRUST_200600_302600_NS6detail15normal_iteratorINS9_10device_ptrIxEEEESE_SE_xNS9_10multipliesIxEENS9_8equal_toIxEExEE10hipError_tPvRmT2_T3_T4_T5_mT6_T7_P12ihipStream_tbENKUlT_T0_E_clISt17integral_constantIbLb1EESZ_EEDaSU_SV_EUlSU_E_NS1_11comp_targetILNS1_3genE10ELNS1_11target_archE1200ELNS1_3gpuE4ELNS1_3repE0EEENS1_30default_config_static_selectorELNS0_4arch9wavefront6targetE1EEEvT1_: ; @_ZN7rocprim17ROCPRIM_400000_NS6detail17trampoline_kernelINS0_14default_configENS1_27scan_by_key_config_selectorIxxEEZZNS1_16scan_by_key_implILNS1_25lookback_scan_determinismE0ELb1ES3_N6thrust23THRUST_200600_302600_NS6detail15normal_iteratorINS9_10device_ptrIxEEEESE_SE_xNS9_10multipliesIxEENS9_8equal_toIxEExEE10hipError_tPvRmT2_T3_T4_T5_mT6_T7_P12ihipStream_tbENKUlT_T0_E_clISt17integral_constantIbLb1EESZ_EEDaSU_SV_EUlSU_E_NS1_11comp_targetILNS1_3genE10ELNS1_11target_archE1200ELNS1_3gpuE4ELNS1_3repE0EEENS1_30default_config_static_selectorELNS0_4arch9wavefront6targetE1EEEvT1_
; %bb.0:
	.section	.rodata,"a",@progbits
	.p2align	6, 0x0
	.amdhsa_kernel _ZN7rocprim17ROCPRIM_400000_NS6detail17trampoline_kernelINS0_14default_configENS1_27scan_by_key_config_selectorIxxEEZZNS1_16scan_by_key_implILNS1_25lookback_scan_determinismE0ELb1ES3_N6thrust23THRUST_200600_302600_NS6detail15normal_iteratorINS9_10device_ptrIxEEEESE_SE_xNS9_10multipliesIxEENS9_8equal_toIxEExEE10hipError_tPvRmT2_T3_T4_T5_mT6_T7_P12ihipStream_tbENKUlT_T0_E_clISt17integral_constantIbLb1EESZ_EEDaSU_SV_EUlSU_E_NS1_11comp_targetILNS1_3genE10ELNS1_11target_archE1200ELNS1_3gpuE4ELNS1_3repE0EEENS1_30default_config_static_selectorELNS0_4arch9wavefront6targetE1EEEvT1_
		.amdhsa_group_segment_fixed_size 0
		.amdhsa_private_segment_fixed_size 0
		.amdhsa_kernarg_size 136
		.amdhsa_user_sgpr_count 2
		.amdhsa_user_sgpr_dispatch_ptr 0
		.amdhsa_user_sgpr_queue_ptr 0
		.amdhsa_user_sgpr_kernarg_segment_ptr 1
		.amdhsa_user_sgpr_dispatch_id 0
		.amdhsa_user_sgpr_kernarg_preload_length 0
		.amdhsa_user_sgpr_kernarg_preload_offset 0
		.amdhsa_user_sgpr_private_segment_size 0
		.amdhsa_uses_dynamic_stack 0
		.amdhsa_enable_private_segment 0
		.amdhsa_system_sgpr_workgroup_id_x 1
		.amdhsa_system_sgpr_workgroup_id_y 0
		.amdhsa_system_sgpr_workgroup_id_z 0
		.amdhsa_system_sgpr_workgroup_info 0
		.amdhsa_system_vgpr_workitem_id 0
		.amdhsa_next_free_vgpr 1
		.amdhsa_next_free_sgpr 0
		.amdhsa_accum_offset 4
		.amdhsa_reserve_vcc 0
		.amdhsa_float_round_mode_32 0
		.amdhsa_float_round_mode_16_64 0
		.amdhsa_float_denorm_mode_32 3
		.amdhsa_float_denorm_mode_16_64 3
		.amdhsa_dx10_clamp 1
		.amdhsa_ieee_mode 1
		.amdhsa_fp16_overflow 0
		.amdhsa_tg_split 0
		.amdhsa_exception_fp_ieee_invalid_op 0
		.amdhsa_exception_fp_denorm_src 0
		.amdhsa_exception_fp_ieee_div_zero 0
		.amdhsa_exception_fp_ieee_overflow 0
		.amdhsa_exception_fp_ieee_underflow 0
		.amdhsa_exception_fp_ieee_inexact 0
		.amdhsa_exception_int_div_zero 0
	.end_amdhsa_kernel
	.section	.text._ZN7rocprim17ROCPRIM_400000_NS6detail17trampoline_kernelINS0_14default_configENS1_27scan_by_key_config_selectorIxxEEZZNS1_16scan_by_key_implILNS1_25lookback_scan_determinismE0ELb1ES3_N6thrust23THRUST_200600_302600_NS6detail15normal_iteratorINS9_10device_ptrIxEEEESE_SE_xNS9_10multipliesIxEENS9_8equal_toIxEExEE10hipError_tPvRmT2_T3_T4_T5_mT6_T7_P12ihipStream_tbENKUlT_T0_E_clISt17integral_constantIbLb1EESZ_EEDaSU_SV_EUlSU_E_NS1_11comp_targetILNS1_3genE10ELNS1_11target_archE1200ELNS1_3gpuE4ELNS1_3repE0EEENS1_30default_config_static_selectorELNS0_4arch9wavefront6targetE1EEEvT1_,"axG",@progbits,_ZN7rocprim17ROCPRIM_400000_NS6detail17trampoline_kernelINS0_14default_configENS1_27scan_by_key_config_selectorIxxEEZZNS1_16scan_by_key_implILNS1_25lookback_scan_determinismE0ELb1ES3_N6thrust23THRUST_200600_302600_NS6detail15normal_iteratorINS9_10device_ptrIxEEEESE_SE_xNS9_10multipliesIxEENS9_8equal_toIxEExEE10hipError_tPvRmT2_T3_T4_T5_mT6_T7_P12ihipStream_tbENKUlT_T0_E_clISt17integral_constantIbLb1EESZ_EEDaSU_SV_EUlSU_E_NS1_11comp_targetILNS1_3genE10ELNS1_11target_archE1200ELNS1_3gpuE4ELNS1_3repE0EEENS1_30default_config_static_selectorELNS0_4arch9wavefront6targetE1EEEvT1_,comdat
.Lfunc_end404:
	.size	_ZN7rocprim17ROCPRIM_400000_NS6detail17trampoline_kernelINS0_14default_configENS1_27scan_by_key_config_selectorIxxEEZZNS1_16scan_by_key_implILNS1_25lookback_scan_determinismE0ELb1ES3_N6thrust23THRUST_200600_302600_NS6detail15normal_iteratorINS9_10device_ptrIxEEEESE_SE_xNS9_10multipliesIxEENS9_8equal_toIxEExEE10hipError_tPvRmT2_T3_T4_T5_mT6_T7_P12ihipStream_tbENKUlT_T0_E_clISt17integral_constantIbLb1EESZ_EEDaSU_SV_EUlSU_E_NS1_11comp_targetILNS1_3genE10ELNS1_11target_archE1200ELNS1_3gpuE4ELNS1_3repE0EEENS1_30default_config_static_selectorELNS0_4arch9wavefront6targetE1EEEvT1_, .Lfunc_end404-_ZN7rocprim17ROCPRIM_400000_NS6detail17trampoline_kernelINS0_14default_configENS1_27scan_by_key_config_selectorIxxEEZZNS1_16scan_by_key_implILNS1_25lookback_scan_determinismE0ELb1ES3_N6thrust23THRUST_200600_302600_NS6detail15normal_iteratorINS9_10device_ptrIxEEEESE_SE_xNS9_10multipliesIxEENS9_8equal_toIxEExEE10hipError_tPvRmT2_T3_T4_T5_mT6_T7_P12ihipStream_tbENKUlT_T0_E_clISt17integral_constantIbLb1EESZ_EEDaSU_SV_EUlSU_E_NS1_11comp_targetILNS1_3genE10ELNS1_11target_archE1200ELNS1_3gpuE4ELNS1_3repE0EEENS1_30default_config_static_selectorELNS0_4arch9wavefront6targetE1EEEvT1_
                                        ; -- End function
	.section	.AMDGPU.csdata,"",@progbits
; Kernel info:
; codeLenInByte = 0
; NumSgprs: 6
; NumVgprs: 0
; NumAgprs: 0
; TotalNumVgprs: 0
; ScratchSize: 0
; MemoryBound: 0
; FloatMode: 240
; IeeeMode: 1
; LDSByteSize: 0 bytes/workgroup (compile time only)
; SGPRBlocks: 0
; VGPRBlocks: 0
; NumSGPRsForWavesPerEU: 6
; NumVGPRsForWavesPerEU: 1
; AccumOffset: 4
; Occupancy: 8
; WaveLimiterHint : 0
; COMPUTE_PGM_RSRC2:SCRATCH_EN: 0
; COMPUTE_PGM_RSRC2:USER_SGPR: 2
; COMPUTE_PGM_RSRC2:TRAP_HANDLER: 0
; COMPUTE_PGM_RSRC2:TGID_X_EN: 1
; COMPUTE_PGM_RSRC2:TGID_Y_EN: 0
; COMPUTE_PGM_RSRC2:TGID_Z_EN: 0
; COMPUTE_PGM_RSRC2:TIDIG_COMP_CNT: 0
; COMPUTE_PGM_RSRC3_GFX90A:ACCUM_OFFSET: 0
; COMPUTE_PGM_RSRC3_GFX90A:TG_SPLIT: 0
	.section	.text._ZN7rocprim17ROCPRIM_400000_NS6detail17trampoline_kernelINS0_14default_configENS1_27scan_by_key_config_selectorIxxEEZZNS1_16scan_by_key_implILNS1_25lookback_scan_determinismE0ELb1ES3_N6thrust23THRUST_200600_302600_NS6detail15normal_iteratorINS9_10device_ptrIxEEEESE_SE_xNS9_10multipliesIxEENS9_8equal_toIxEExEE10hipError_tPvRmT2_T3_T4_T5_mT6_T7_P12ihipStream_tbENKUlT_T0_E_clISt17integral_constantIbLb1EESZ_EEDaSU_SV_EUlSU_E_NS1_11comp_targetILNS1_3genE9ELNS1_11target_archE1100ELNS1_3gpuE3ELNS1_3repE0EEENS1_30default_config_static_selectorELNS0_4arch9wavefront6targetE1EEEvT1_,"axG",@progbits,_ZN7rocprim17ROCPRIM_400000_NS6detail17trampoline_kernelINS0_14default_configENS1_27scan_by_key_config_selectorIxxEEZZNS1_16scan_by_key_implILNS1_25lookback_scan_determinismE0ELb1ES3_N6thrust23THRUST_200600_302600_NS6detail15normal_iteratorINS9_10device_ptrIxEEEESE_SE_xNS9_10multipliesIxEENS9_8equal_toIxEExEE10hipError_tPvRmT2_T3_T4_T5_mT6_T7_P12ihipStream_tbENKUlT_T0_E_clISt17integral_constantIbLb1EESZ_EEDaSU_SV_EUlSU_E_NS1_11comp_targetILNS1_3genE9ELNS1_11target_archE1100ELNS1_3gpuE3ELNS1_3repE0EEENS1_30default_config_static_selectorELNS0_4arch9wavefront6targetE1EEEvT1_,comdat
	.protected	_ZN7rocprim17ROCPRIM_400000_NS6detail17trampoline_kernelINS0_14default_configENS1_27scan_by_key_config_selectorIxxEEZZNS1_16scan_by_key_implILNS1_25lookback_scan_determinismE0ELb1ES3_N6thrust23THRUST_200600_302600_NS6detail15normal_iteratorINS9_10device_ptrIxEEEESE_SE_xNS9_10multipliesIxEENS9_8equal_toIxEExEE10hipError_tPvRmT2_T3_T4_T5_mT6_T7_P12ihipStream_tbENKUlT_T0_E_clISt17integral_constantIbLb1EESZ_EEDaSU_SV_EUlSU_E_NS1_11comp_targetILNS1_3genE9ELNS1_11target_archE1100ELNS1_3gpuE3ELNS1_3repE0EEENS1_30default_config_static_selectorELNS0_4arch9wavefront6targetE1EEEvT1_ ; -- Begin function _ZN7rocprim17ROCPRIM_400000_NS6detail17trampoline_kernelINS0_14default_configENS1_27scan_by_key_config_selectorIxxEEZZNS1_16scan_by_key_implILNS1_25lookback_scan_determinismE0ELb1ES3_N6thrust23THRUST_200600_302600_NS6detail15normal_iteratorINS9_10device_ptrIxEEEESE_SE_xNS9_10multipliesIxEENS9_8equal_toIxEExEE10hipError_tPvRmT2_T3_T4_T5_mT6_T7_P12ihipStream_tbENKUlT_T0_E_clISt17integral_constantIbLb1EESZ_EEDaSU_SV_EUlSU_E_NS1_11comp_targetILNS1_3genE9ELNS1_11target_archE1100ELNS1_3gpuE3ELNS1_3repE0EEENS1_30default_config_static_selectorELNS0_4arch9wavefront6targetE1EEEvT1_
	.globl	_ZN7rocprim17ROCPRIM_400000_NS6detail17trampoline_kernelINS0_14default_configENS1_27scan_by_key_config_selectorIxxEEZZNS1_16scan_by_key_implILNS1_25lookback_scan_determinismE0ELb1ES3_N6thrust23THRUST_200600_302600_NS6detail15normal_iteratorINS9_10device_ptrIxEEEESE_SE_xNS9_10multipliesIxEENS9_8equal_toIxEExEE10hipError_tPvRmT2_T3_T4_T5_mT6_T7_P12ihipStream_tbENKUlT_T0_E_clISt17integral_constantIbLb1EESZ_EEDaSU_SV_EUlSU_E_NS1_11comp_targetILNS1_3genE9ELNS1_11target_archE1100ELNS1_3gpuE3ELNS1_3repE0EEENS1_30default_config_static_selectorELNS0_4arch9wavefront6targetE1EEEvT1_
	.p2align	8
	.type	_ZN7rocprim17ROCPRIM_400000_NS6detail17trampoline_kernelINS0_14default_configENS1_27scan_by_key_config_selectorIxxEEZZNS1_16scan_by_key_implILNS1_25lookback_scan_determinismE0ELb1ES3_N6thrust23THRUST_200600_302600_NS6detail15normal_iteratorINS9_10device_ptrIxEEEESE_SE_xNS9_10multipliesIxEENS9_8equal_toIxEExEE10hipError_tPvRmT2_T3_T4_T5_mT6_T7_P12ihipStream_tbENKUlT_T0_E_clISt17integral_constantIbLb1EESZ_EEDaSU_SV_EUlSU_E_NS1_11comp_targetILNS1_3genE9ELNS1_11target_archE1100ELNS1_3gpuE3ELNS1_3repE0EEENS1_30default_config_static_selectorELNS0_4arch9wavefront6targetE1EEEvT1_,@function
_ZN7rocprim17ROCPRIM_400000_NS6detail17trampoline_kernelINS0_14default_configENS1_27scan_by_key_config_selectorIxxEEZZNS1_16scan_by_key_implILNS1_25lookback_scan_determinismE0ELb1ES3_N6thrust23THRUST_200600_302600_NS6detail15normal_iteratorINS9_10device_ptrIxEEEESE_SE_xNS9_10multipliesIxEENS9_8equal_toIxEExEE10hipError_tPvRmT2_T3_T4_T5_mT6_T7_P12ihipStream_tbENKUlT_T0_E_clISt17integral_constantIbLb1EESZ_EEDaSU_SV_EUlSU_E_NS1_11comp_targetILNS1_3genE9ELNS1_11target_archE1100ELNS1_3gpuE3ELNS1_3repE0EEENS1_30default_config_static_selectorELNS0_4arch9wavefront6targetE1EEEvT1_: ; @_ZN7rocprim17ROCPRIM_400000_NS6detail17trampoline_kernelINS0_14default_configENS1_27scan_by_key_config_selectorIxxEEZZNS1_16scan_by_key_implILNS1_25lookback_scan_determinismE0ELb1ES3_N6thrust23THRUST_200600_302600_NS6detail15normal_iteratorINS9_10device_ptrIxEEEESE_SE_xNS9_10multipliesIxEENS9_8equal_toIxEExEE10hipError_tPvRmT2_T3_T4_T5_mT6_T7_P12ihipStream_tbENKUlT_T0_E_clISt17integral_constantIbLb1EESZ_EEDaSU_SV_EUlSU_E_NS1_11comp_targetILNS1_3genE9ELNS1_11target_archE1100ELNS1_3gpuE3ELNS1_3repE0EEENS1_30default_config_static_selectorELNS0_4arch9wavefront6targetE1EEEvT1_
; %bb.0:
	.section	.rodata,"a",@progbits
	.p2align	6, 0x0
	.amdhsa_kernel _ZN7rocprim17ROCPRIM_400000_NS6detail17trampoline_kernelINS0_14default_configENS1_27scan_by_key_config_selectorIxxEEZZNS1_16scan_by_key_implILNS1_25lookback_scan_determinismE0ELb1ES3_N6thrust23THRUST_200600_302600_NS6detail15normal_iteratorINS9_10device_ptrIxEEEESE_SE_xNS9_10multipliesIxEENS9_8equal_toIxEExEE10hipError_tPvRmT2_T3_T4_T5_mT6_T7_P12ihipStream_tbENKUlT_T0_E_clISt17integral_constantIbLb1EESZ_EEDaSU_SV_EUlSU_E_NS1_11comp_targetILNS1_3genE9ELNS1_11target_archE1100ELNS1_3gpuE3ELNS1_3repE0EEENS1_30default_config_static_selectorELNS0_4arch9wavefront6targetE1EEEvT1_
		.amdhsa_group_segment_fixed_size 0
		.amdhsa_private_segment_fixed_size 0
		.amdhsa_kernarg_size 136
		.amdhsa_user_sgpr_count 2
		.amdhsa_user_sgpr_dispatch_ptr 0
		.amdhsa_user_sgpr_queue_ptr 0
		.amdhsa_user_sgpr_kernarg_segment_ptr 1
		.amdhsa_user_sgpr_dispatch_id 0
		.amdhsa_user_sgpr_kernarg_preload_length 0
		.amdhsa_user_sgpr_kernarg_preload_offset 0
		.amdhsa_user_sgpr_private_segment_size 0
		.amdhsa_uses_dynamic_stack 0
		.amdhsa_enable_private_segment 0
		.amdhsa_system_sgpr_workgroup_id_x 1
		.amdhsa_system_sgpr_workgroup_id_y 0
		.amdhsa_system_sgpr_workgroup_id_z 0
		.amdhsa_system_sgpr_workgroup_info 0
		.amdhsa_system_vgpr_workitem_id 0
		.amdhsa_next_free_vgpr 1
		.amdhsa_next_free_sgpr 0
		.amdhsa_accum_offset 4
		.amdhsa_reserve_vcc 0
		.amdhsa_float_round_mode_32 0
		.amdhsa_float_round_mode_16_64 0
		.amdhsa_float_denorm_mode_32 3
		.amdhsa_float_denorm_mode_16_64 3
		.amdhsa_dx10_clamp 1
		.amdhsa_ieee_mode 1
		.amdhsa_fp16_overflow 0
		.amdhsa_tg_split 0
		.amdhsa_exception_fp_ieee_invalid_op 0
		.amdhsa_exception_fp_denorm_src 0
		.amdhsa_exception_fp_ieee_div_zero 0
		.amdhsa_exception_fp_ieee_overflow 0
		.amdhsa_exception_fp_ieee_underflow 0
		.amdhsa_exception_fp_ieee_inexact 0
		.amdhsa_exception_int_div_zero 0
	.end_amdhsa_kernel
	.section	.text._ZN7rocprim17ROCPRIM_400000_NS6detail17trampoline_kernelINS0_14default_configENS1_27scan_by_key_config_selectorIxxEEZZNS1_16scan_by_key_implILNS1_25lookback_scan_determinismE0ELb1ES3_N6thrust23THRUST_200600_302600_NS6detail15normal_iteratorINS9_10device_ptrIxEEEESE_SE_xNS9_10multipliesIxEENS9_8equal_toIxEExEE10hipError_tPvRmT2_T3_T4_T5_mT6_T7_P12ihipStream_tbENKUlT_T0_E_clISt17integral_constantIbLb1EESZ_EEDaSU_SV_EUlSU_E_NS1_11comp_targetILNS1_3genE9ELNS1_11target_archE1100ELNS1_3gpuE3ELNS1_3repE0EEENS1_30default_config_static_selectorELNS0_4arch9wavefront6targetE1EEEvT1_,"axG",@progbits,_ZN7rocprim17ROCPRIM_400000_NS6detail17trampoline_kernelINS0_14default_configENS1_27scan_by_key_config_selectorIxxEEZZNS1_16scan_by_key_implILNS1_25lookback_scan_determinismE0ELb1ES3_N6thrust23THRUST_200600_302600_NS6detail15normal_iteratorINS9_10device_ptrIxEEEESE_SE_xNS9_10multipliesIxEENS9_8equal_toIxEExEE10hipError_tPvRmT2_T3_T4_T5_mT6_T7_P12ihipStream_tbENKUlT_T0_E_clISt17integral_constantIbLb1EESZ_EEDaSU_SV_EUlSU_E_NS1_11comp_targetILNS1_3genE9ELNS1_11target_archE1100ELNS1_3gpuE3ELNS1_3repE0EEENS1_30default_config_static_selectorELNS0_4arch9wavefront6targetE1EEEvT1_,comdat
.Lfunc_end405:
	.size	_ZN7rocprim17ROCPRIM_400000_NS6detail17trampoline_kernelINS0_14default_configENS1_27scan_by_key_config_selectorIxxEEZZNS1_16scan_by_key_implILNS1_25lookback_scan_determinismE0ELb1ES3_N6thrust23THRUST_200600_302600_NS6detail15normal_iteratorINS9_10device_ptrIxEEEESE_SE_xNS9_10multipliesIxEENS9_8equal_toIxEExEE10hipError_tPvRmT2_T3_T4_T5_mT6_T7_P12ihipStream_tbENKUlT_T0_E_clISt17integral_constantIbLb1EESZ_EEDaSU_SV_EUlSU_E_NS1_11comp_targetILNS1_3genE9ELNS1_11target_archE1100ELNS1_3gpuE3ELNS1_3repE0EEENS1_30default_config_static_selectorELNS0_4arch9wavefront6targetE1EEEvT1_, .Lfunc_end405-_ZN7rocprim17ROCPRIM_400000_NS6detail17trampoline_kernelINS0_14default_configENS1_27scan_by_key_config_selectorIxxEEZZNS1_16scan_by_key_implILNS1_25lookback_scan_determinismE0ELb1ES3_N6thrust23THRUST_200600_302600_NS6detail15normal_iteratorINS9_10device_ptrIxEEEESE_SE_xNS9_10multipliesIxEENS9_8equal_toIxEExEE10hipError_tPvRmT2_T3_T4_T5_mT6_T7_P12ihipStream_tbENKUlT_T0_E_clISt17integral_constantIbLb1EESZ_EEDaSU_SV_EUlSU_E_NS1_11comp_targetILNS1_3genE9ELNS1_11target_archE1100ELNS1_3gpuE3ELNS1_3repE0EEENS1_30default_config_static_selectorELNS0_4arch9wavefront6targetE1EEEvT1_
                                        ; -- End function
	.section	.AMDGPU.csdata,"",@progbits
; Kernel info:
; codeLenInByte = 0
; NumSgprs: 6
; NumVgprs: 0
; NumAgprs: 0
; TotalNumVgprs: 0
; ScratchSize: 0
; MemoryBound: 0
; FloatMode: 240
; IeeeMode: 1
; LDSByteSize: 0 bytes/workgroup (compile time only)
; SGPRBlocks: 0
; VGPRBlocks: 0
; NumSGPRsForWavesPerEU: 6
; NumVGPRsForWavesPerEU: 1
; AccumOffset: 4
; Occupancy: 8
; WaveLimiterHint : 0
; COMPUTE_PGM_RSRC2:SCRATCH_EN: 0
; COMPUTE_PGM_RSRC2:USER_SGPR: 2
; COMPUTE_PGM_RSRC2:TRAP_HANDLER: 0
; COMPUTE_PGM_RSRC2:TGID_X_EN: 1
; COMPUTE_PGM_RSRC2:TGID_Y_EN: 0
; COMPUTE_PGM_RSRC2:TGID_Z_EN: 0
; COMPUTE_PGM_RSRC2:TIDIG_COMP_CNT: 0
; COMPUTE_PGM_RSRC3_GFX90A:ACCUM_OFFSET: 0
; COMPUTE_PGM_RSRC3_GFX90A:TG_SPLIT: 0
	.section	.text._ZN7rocprim17ROCPRIM_400000_NS6detail17trampoline_kernelINS0_14default_configENS1_27scan_by_key_config_selectorIxxEEZZNS1_16scan_by_key_implILNS1_25lookback_scan_determinismE0ELb1ES3_N6thrust23THRUST_200600_302600_NS6detail15normal_iteratorINS9_10device_ptrIxEEEESE_SE_xNS9_10multipliesIxEENS9_8equal_toIxEExEE10hipError_tPvRmT2_T3_T4_T5_mT6_T7_P12ihipStream_tbENKUlT_T0_E_clISt17integral_constantIbLb1EESZ_EEDaSU_SV_EUlSU_E_NS1_11comp_targetILNS1_3genE8ELNS1_11target_archE1030ELNS1_3gpuE2ELNS1_3repE0EEENS1_30default_config_static_selectorELNS0_4arch9wavefront6targetE1EEEvT1_,"axG",@progbits,_ZN7rocprim17ROCPRIM_400000_NS6detail17trampoline_kernelINS0_14default_configENS1_27scan_by_key_config_selectorIxxEEZZNS1_16scan_by_key_implILNS1_25lookback_scan_determinismE0ELb1ES3_N6thrust23THRUST_200600_302600_NS6detail15normal_iteratorINS9_10device_ptrIxEEEESE_SE_xNS9_10multipliesIxEENS9_8equal_toIxEExEE10hipError_tPvRmT2_T3_T4_T5_mT6_T7_P12ihipStream_tbENKUlT_T0_E_clISt17integral_constantIbLb1EESZ_EEDaSU_SV_EUlSU_E_NS1_11comp_targetILNS1_3genE8ELNS1_11target_archE1030ELNS1_3gpuE2ELNS1_3repE0EEENS1_30default_config_static_selectorELNS0_4arch9wavefront6targetE1EEEvT1_,comdat
	.protected	_ZN7rocprim17ROCPRIM_400000_NS6detail17trampoline_kernelINS0_14default_configENS1_27scan_by_key_config_selectorIxxEEZZNS1_16scan_by_key_implILNS1_25lookback_scan_determinismE0ELb1ES3_N6thrust23THRUST_200600_302600_NS6detail15normal_iteratorINS9_10device_ptrIxEEEESE_SE_xNS9_10multipliesIxEENS9_8equal_toIxEExEE10hipError_tPvRmT2_T3_T4_T5_mT6_T7_P12ihipStream_tbENKUlT_T0_E_clISt17integral_constantIbLb1EESZ_EEDaSU_SV_EUlSU_E_NS1_11comp_targetILNS1_3genE8ELNS1_11target_archE1030ELNS1_3gpuE2ELNS1_3repE0EEENS1_30default_config_static_selectorELNS0_4arch9wavefront6targetE1EEEvT1_ ; -- Begin function _ZN7rocprim17ROCPRIM_400000_NS6detail17trampoline_kernelINS0_14default_configENS1_27scan_by_key_config_selectorIxxEEZZNS1_16scan_by_key_implILNS1_25lookback_scan_determinismE0ELb1ES3_N6thrust23THRUST_200600_302600_NS6detail15normal_iteratorINS9_10device_ptrIxEEEESE_SE_xNS9_10multipliesIxEENS9_8equal_toIxEExEE10hipError_tPvRmT2_T3_T4_T5_mT6_T7_P12ihipStream_tbENKUlT_T0_E_clISt17integral_constantIbLb1EESZ_EEDaSU_SV_EUlSU_E_NS1_11comp_targetILNS1_3genE8ELNS1_11target_archE1030ELNS1_3gpuE2ELNS1_3repE0EEENS1_30default_config_static_selectorELNS0_4arch9wavefront6targetE1EEEvT1_
	.globl	_ZN7rocprim17ROCPRIM_400000_NS6detail17trampoline_kernelINS0_14default_configENS1_27scan_by_key_config_selectorIxxEEZZNS1_16scan_by_key_implILNS1_25lookback_scan_determinismE0ELb1ES3_N6thrust23THRUST_200600_302600_NS6detail15normal_iteratorINS9_10device_ptrIxEEEESE_SE_xNS9_10multipliesIxEENS9_8equal_toIxEExEE10hipError_tPvRmT2_T3_T4_T5_mT6_T7_P12ihipStream_tbENKUlT_T0_E_clISt17integral_constantIbLb1EESZ_EEDaSU_SV_EUlSU_E_NS1_11comp_targetILNS1_3genE8ELNS1_11target_archE1030ELNS1_3gpuE2ELNS1_3repE0EEENS1_30default_config_static_selectorELNS0_4arch9wavefront6targetE1EEEvT1_
	.p2align	8
	.type	_ZN7rocprim17ROCPRIM_400000_NS6detail17trampoline_kernelINS0_14default_configENS1_27scan_by_key_config_selectorIxxEEZZNS1_16scan_by_key_implILNS1_25lookback_scan_determinismE0ELb1ES3_N6thrust23THRUST_200600_302600_NS6detail15normal_iteratorINS9_10device_ptrIxEEEESE_SE_xNS9_10multipliesIxEENS9_8equal_toIxEExEE10hipError_tPvRmT2_T3_T4_T5_mT6_T7_P12ihipStream_tbENKUlT_T0_E_clISt17integral_constantIbLb1EESZ_EEDaSU_SV_EUlSU_E_NS1_11comp_targetILNS1_3genE8ELNS1_11target_archE1030ELNS1_3gpuE2ELNS1_3repE0EEENS1_30default_config_static_selectorELNS0_4arch9wavefront6targetE1EEEvT1_,@function
_ZN7rocprim17ROCPRIM_400000_NS6detail17trampoline_kernelINS0_14default_configENS1_27scan_by_key_config_selectorIxxEEZZNS1_16scan_by_key_implILNS1_25lookback_scan_determinismE0ELb1ES3_N6thrust23THRUST_200600_302600_NS6detail15normal_iteratorINS9_10device_ptrIxEEEESE_SE_xNS9_10multipliesIxEENS9_8equal_toIxEExEE10hipError_tPvRmT2_T3_T4_T5_mT6_T7_P12ihipStream_tbENKUlT_T0_E_clISt17integral_constantIbLb1EESZ_EEDaSU_SV_EUlSU_E_NS1_11comp_targetILNS1_3genE8ELNS1_11target_archE1030ELNS1_3gpuE2ELNS1_3repE0EEENS1_30default_config_static_selectorELNS0_4arch9wavefront6targetE1EEEvT1_: ; @_ZN7rocprim17ROCPRIM_400000_NS6detail17trampoline_kernelINS0_14default_configENS1_27scan_by_key_config_selectorIxxEEZZNS1_16scan_by_key_implILNS1_25lookback_scan_determinismE0ELb1ES3_N6thrust23THRUST_200600_302600_NS6detail15normal_iteratorINS9_10device_ptrIxEEEESE_SE_xNS9_10multipliesIxEENS9_8equal_toIxEExEE10hipError_tPvRmT2_T3_T4_T5_mT6_T7_P12ihipStream_tbENKUlT_T0_E_clISt17integral_constantIbLb1EESZ_EEDaSU_SV_EUlSU_E_NS1_11comp_targetILNS1_3genE8ELNS1_11target_archE1030ELNS1_3gpuE2ELNS1_3repE0EEENS1_30default_config_static_selectorELNS0_4arch9wavefront6targetE1EEEvT1_
; %bb.0:
	.section	.rodata,"a",@progbits
	.p2align	6, 0x0
	.amdhsa_kernel _ZN7rocprim17ROCPRIM_400000_NS6detail17trampoline_kernelINS0_14default_configENS1_27scan_by_key_config_selectorIxxEEZZNS1_16scan_by_key_implILNS1_25lookback_scan_determinismE0ELb1ES3_N6thrust23THRUST_200600_302600_NS6detail15normal_iteratorINS9_10device_ptrIxEEEESE_SE_xNS9_10multipliesIxEENS9_8equal_toIxEExEE10hipError_tPvRmT2_T3_T4_T5_mT6_T7_P12ihipStream_tbENKUlT_T0_E_clISt17integral_constantIbLb1EESZ_EEDaSU_SV_EUlSU_E_NS1_11comp_targetILNS1_3genE8ELNS1_11target_archE1030ELNS1_3gpuE2ELNS1_3repE0EEENS1_30default_config_static_selectorELNS0_4arch9wavefront6targetE1EEEvT1_
		.amdhsa_group_segment_fixed_size 0
		.amdhsa_private_segment_fixed_size 0
		.amdhsa_kernarg_size 136
		.amdhsa_user_sgpr_count 2
		.amdhsa_user_sgpr_dispatch_ptr 0
		.amdhsa_user_sgpr_queue_ptr 0
		.amdhsa_user_sgpr_kernarg_segment_ptr 1
		.amdhsa_user_sgpr_dispatch_id 0
		.amdhsa_user_sgpr_kernarg_preload_length 0
		.amdhsa_user_sgpr_kernarg_preload_offset 0
		.amdhsa_user_sgpr_private_segment_size 0
		.amdhsa_uses_dynamic_stack 0
		.amdhsa_enable_private_segment 0
		.amdhsa_system_sgpr_workgroup_id_x 1
		.amdhsa_system_sgpr_workgroup_id_y 0
		.amdhsa_system_sgpr_workgroup_id_z 0
		.amdhsa_system_sgpr_workgroup_info 0
		.amdhsa_system_vgpr_workitem_id 0
		.amdhsa_next_free_vgpr 1
		.amdhsa_next_free_sgpr 0
		.amdhsa_accum_offset 4
		.amdhsa_reserve_vcc 0
		.amdhsa_float_round_mode_32 0
		.amdhsa_float_round_mode_16_64 0
		.amdhsa_float_denorm_mode_32 3
		.amdhsa_float_denorm_mode_16_64 3
		.amdhsa_dx10_clamp 1
		.amdhsa_ieee_mode 1
		.amdhsa_fp16_overflow 0
		.amdhsa_tg_split 0
		.amdhsa_exception_fp_ieee_invalid_op 0
		.amdhsa_exception_fp_denorm_src 0
		.amdhsa_exception_fp_ieee_div_zero 0
		.amdhsa_exception_fp_ieee_overflow 0
		.amdhsa_exception_fp_ieee_underflow 0
		.amdhsa_exception_fp_ieee_inexact 0
		.amdhsa_exception_int_div_zero 0
	.end_amdhsa_kernel
	.section	.text._ZN7rocprim17ROCPRIM_400000_NS6detail17trampoline_kernelINS0_14default_configENS1_27scan_by_key_config_selectorIxxEEZZNS1_16scan_by_key_implILNS1_25lookback_scan_determinismE0ELb1ES3_N6thrust23THRUST_200600_302600_NS6detail15normal_iteratorINS9_10device_ptrIxEEEESE_SE_xNS9_10multipliesIxEENS9_8equal_toIxEExEE10hipError_tPvRmT2_T3_T4_T5_mT6_T7_P12ihipStream_tbENKUlT_T0_E_clISt17integral_constantIbLb1EESZ_EEDaSU_SV_EUlSU_E_NS1_11comp_targetILNS1_3genE8ELNS1_11target_archE1030ELNS1_3gpuE2ELNS1_3repE0EEENS1_30default_config_static_selectorELNS0_4arch9wavefront6targetE1EEEvT1_,"axG",@progbits,_ZN7rocprim17ROCPRIM_400000_NS6detail17trampoline_kernelINS0_14default_configENS1_27scan_by_key_config_selectorIxxEEZZNS1_16scan_by_key_implILNS1_25lookback_scan_determinismE0ELb1ES3_N6thrust23THRUST_200600_302600_NS6detail15normal_iteratorINS9_10device_ptrIxEEEESE_SE_xNS9_10multipliesIxEENS9_8equal_toIxEExEE10hipError_tPvRmT2_T3_T4_T5_mT6_T7_P12ihipStream_tbENKUlT_T0_E_clISt17integral_constantIbLb1EESZ_EEDaSU_SV_EUlSU_E_NS1_11comp_targetILNS1_3genE8ELNS1_11target_archE1030ELNS1_3gpuE2ELNS1_3repE0EEENS1_30default_config_static_selectorELNS0_4arch9wavefront6targetE1EEEvT1_,comdat
.Lfunc_end406:
	.size	_ZN7rocprim17ROCPRIM_400000_NS6detail17trampoline_kernelINS0_14default_configENS1_27scan_by_key_config_selectorIxxEEZZNS1_16scan_by_key_implILNS1_25lookback_scan_determinismE0ELb1ES3_N6thrust23THRUST_200600_302600_NS6detail15normal_iteratorINS9_10device_ptrIxEEEESE_SE_xNS9_10multipliesIxEENS9_8equal_toIxEExEE10hipError_tPvRmT2_T3_T4_T5_mT6_T7_P12ihipStream_tbENKUlT_T0_E_clISt17integral_constantIbLb1EESZ_EEDaSU_SV_EUlSU_E_NS1_11comp_targetILNS1_3genE8ELNS1_11target_archE1030ELNS1_3gpuE2ELNS1_3repE0EEENS1_30default_config_static_selectorELNS0_4arch9wavefront6targetE1EEEvT1_, .Lfunc_end406-_ZN7rocprim17ROCPRIM_400000_NS6detail17trampoline_kernelINS0_14default_configENS1_27scan_by_key_config_selectorIxxEEZZNS1_16scan_by_key_implILNS1_25lookback_scan_determinismE0ELb1ES3_N6thrust23THRUST_200600_302600_NS6detail15normal_iteratorINS9_10device_ptrIxEEEESE_SE_xNS9_10multipliesIxEENS9_8equal_toIxEExEE10hipError_tPvRmT2_T3_T4_T5_mT6_T7_P12ihipStream_tbENKUlT_T0_E_clISt17integral_constantIbLb1EESZ_EEDaSU_SV_EUlSU_E_NS1_11comp_targetILNS1_3genE8ELNS1_11target_archE1030ELNS1_3gpuE2ELNS1_3repE0EEENS1_30default_config_static_selectorELNS0_4arch9wavefront6targetE1EEEvT1_
                                        ; -- End function
	.section	.AMDGPU.csdata,"",@progbits
; Kernel info:
; codeLenInByte = 0
; NumSgprs: 6
; NumVgprs: 0
; NumAgprs: 0
; TotalNumVgprs: 0
; ScratchSize: 0
; MemoryBound: 0
; FloatMode: 240
; IeeeMode: 1
; LDSByteSize: 0 bytes/workgroup (compile time only)
; SGPRBlocks: 0
; VGPRBlocks: 0
; NumSGPRsForWavesPerEU: 6
; NumVGPRsForWavesPerEU: 1
; AccumOffset: 4
; Occupancy: 8
; WaveLimiterHint : 0
; COMPUTE_PGM_RSRC2:SCRATCH_EN: 0
; COMPUTE_PGM_RSRC2:USER_SGPR: 2
; COMPUTE_PGM_RSRC2:TRAP_HANDLER: 0
; COMPUTE_PGM_RSRC2:TGID_X_EN: 1
; COMPUTE_PGM_RSRC2:TGID_Y_EN: 0
; COMPUTE_PGM_RSRC2:TGID_Z_EN: 0
; COMPUTE_PGM_RSRC2:TIDIG_COMP_CNT: 0
; COMPUTE_PGM_RSRC3_GFX90A:ACCUM_OFFSET: 0
; COMPUTE_PGM_RSRC3_GFX90A:TG_SPLIT: 0
	.section	.text._ZN7rocprim17ROCPRIM_400000_NS6detail17trampoline_kernelINS0_14default_configENS1_27scan_by_key_config_selectorIxxEEZZNS1_16scan_by_key_implILNS1_25lookback_scan_determinismE0ELb1ES3_N6thrust23THRUST_200600_302600_NS6detail15normal_iteratorINS9_10device_ptrIxEEEESE_SE_xNS9_10multipliesIxEENS9_8equal_toIxEExEE10hipError_tPvRmT2_T3_T4_T5_mT6_T7_P12ihipStream_tbENKUlT_T0_E_clISt17integral_constantIbLb1EESY_IbLb0EEEEDaSU_SV_EUlSU_E_NS1_11comp_targetILNS1_3genE0ELNS1_11target_archE4294967295ELNS1_3gpuE0ELNS1_3repE0EEENS1_30default_config_static_selectorELNS0_4arch9wavefront6targetE1EEEvT1_,"axG",@progbits,_ZN7rocprim17ROCPRIM_400000_NS6detail17trampoline_kernelINS0_14default_configENS1_27scan_by_key_config_selectorIxxEEZZNS1_16scan_by_key_implILNS1_25lookback_scan_determinismE0ELb1ES3_N6thrust23THRUST_200600_302600_NS6detail15normal_iteratorINS9_10device_ptrIxEEEESE_SE_xNS9_10multipliesIxEENS9_8equal_toIxEExEE10hipError_tPvRmT2_T3_T4_T5_mT6_T7_P12ihipStream_tbENKUlT_T0_E_clISt17integral_constantIbLb1EESY_IbLb0EEEEDaSU_SV_EUlSU_E_NS1_11comp_targetILNS1_3genE0ELNS1_11target_archE4294967295ELNS1_3gpuE0ELNS1_3repE0EEENS1_30default_config_static_selectorELNS0_4arch9wavefront6targetE1EEEvT1_,comdat
	.protected	_ZN7rocprim17ROCPRIM_400000_NS6detail17trampoline_kernelINS0_14default_configENS1_27scan_by_key_config_selectorIxxEEZZNS1_16scan_by_key_implILNS1_25lookback_scan_determinismE0ELb1ES3_N6thrust23THRUST_200600_302600_NS6detail15normal_iteratorINS9_10device_ptrIxEEEESE_SE_xNS9_10multipliesIxEENS9_8equal_toIxEExEE10hipError_tPvRmT2_T3_T4_T5_mT6_T7_P12ihipStream_tbENKUlT_T0_E_clISt17integral_constantIbLb1EESY_IbLb0EEEEDaSU_SV_EUlSU_E_NS1_11comp_targetILNS1_3genE0ELNS1_11target_archE4294967295ELNS1_3gpuE0ELNS1_3repE0EEENS1_30default_config_static_selectorELNS0_4arch9wavefront6targetE1EEEvT1_ ; -- Begin function _ZN7rocprim17ROCPRIM_400000_NS6detail17trampoline_kernelINS0_14default_configENS1_27scan_by_key_config_selectorIxxEEZZNS1_16scan_by_key_implILNS1_25lookback_scan_determinismE0ELb1ES3_N6thrust23THRUST_200600_302600_NS6detail15normal_iteratorINS9_10device_ptrIxEEEESE_SE_xNS9_10multipliesIxEENS9_8equal_toIxEExEE10hipError_tPvRmT2_T3_T4_T5_mT6_T7_P12ihipStream_tbENKUlT_T0_E_clISt17integral_constantIbLb1EESY_IbLb0EEEEDaSU_SV_EUlSU_E_NS1_11comp_targetILNS1_3genE0ELNS1_11target_archE4294967295ELNS1_3gpuE0ELNS1_3repE0EEENS1_30default_config_static_selectorELNS0_4arch9wavefront6targetE1EEEvT1_
	.globl	_ZN7rocprim17ROCPRIM_400000_NS6detail17trampoline_kernelINS0_14default_configENS1_27scan_by_key_config_selectorIxxEEZZNS1_16scan_by_key_implILNS1_25lookback_scan_determinismE0ELb1ES3_N6thrust23THRUST_200600_302600_NS6detail15normal_iteratorINS9_10device_ptrIxEEEESE_SE_xNS9_10multipliesIxEENS9_8equal_toIxEExEE10hipError_tPvRmT2_T3_T4_T5_mT6_T7_P12ihipStream_tbENKUlT_T0_E_clISt17integral_constantIbLb1EESY_IbLb0EEEEDaSU_SV_EUlSU_E_NS1_11comp_targetILNS1_3genE0ELNS1_11target_archE4294967295ELNS1_3gpuE0ELNS1_3repE0EEENS1_30default_config_static_selectorELNS0_4arch9wavefront6targetE1EEEvT1_
	.p2align	8
	.type	_ZN7rocprim17ROCPRIM_400000_NS6detail17trampoline_kernelINS0_14default_configENS1_27scan_by_key_config_selectorIxxEEZZNS1_16scan_by_key_implILNS1_25lookback_scan_determinismE0ELb1ES3_N6thrust23THRUST_200600_302600_NS6detail15normal_iteratorINS9_10device_ptrIxEEEESE_SE_xNS9_10multipliesIxEENS9_8equal_toIxEExEE10hipError_tPvRmT2_T3_T4_T5_mT6_T7_P12ihipStream_tbENKUlT_T0_E_clISt17integral_constantIbLb1EESY_IbLb0EEEEDaSU_SV_EUlSU_E_NS1_11comp_targetILNS1_3genE0ELNS1_11target_archE4294967295ELNS1_3gpuE0ELNS1_3repE0EEENS1_30default_config_static_selectorELNS0_4arch9wavefront6targetE1EEEvT1_,@function
_ZN7rocprim17ROCPRIM_400000_NS6detail17trampoline_kernelINS0_14default_configENS1_27scan_by_key_config_selectorIxxEEZZNS1_16scan_by_key_implILNS1_25lookback_scan_determinismE0ELb1ES3_N6thrust23THRUST_200600_302600_NS6detail15normal_iteratorINS9_10device_ptrIxEEEESE_SE_xNS9_10multipliesIxEENS9_8equal_toIxEExEE10hipError_tPvRmT2_T3_T4_T5_mT6_T7_P12ihipStream_tbENKUlT_T0_E_clISt17integral_constantIbLb1EESY_IbLb0EEEEDaSU_SV_EUlSU_E_NS1_11comp_targetILNS1_3genE0ELNS1_11target_archE4294967295ELNS1_3gpuE0ELNS1_3repE0EEENS1_30default_config_static_selectorELNS0_4arch9wavefront6targetE1EEEvT1_: ; @_ZN7rocprim17ROCPRIM_400000_NS6detail17trampoline_kernelINS0_14default_configENS1_27scan_by_key_config_selectorIxxEEZZNS1_16scan_by_key_implILNS1_25lookback_scan_determinismE0ELb1ES3_N6thrust23THRUST_200600_302600_NS6detail15normal_iteratorINS9_10device_ptrIxEEEESE_SE_xNS9_10multipliesIxEENS9_8equal_toIxEExEE10hipError_tPvRmT2_T3_T4_T5_mT6_T7_P12ihipStream_tbENKUlT_T0_E_clISt17integral_constantIbLb1EESY_IbLb0EEEEDaSU_SV_EUlSU_E_NS1_11comp_targetILNS1_3genE0ELNS1_11target_archE4294967295ELNS1_3gpuE0ELNS1_3repE0EEENS1_30default_config_static_selectorELNS0_4arch9wavefront6targetE1EEEvT1_
; %bb.0:
	.section	.rodata,"a",@progbits
	.p2align	6, 0x0
	.amdhsa_kernel _ZN7rocprim17ROCPRIM_400000_NS6detail17trampoline_kernelINS0_14default_configENS1_27scan_by_key_config_selectorIxxEEZZNS1_16scan_by_key_implILNS1_25lookback_scan_determinismE0ELb1ES3_N6thrust23THRUST_200600_302600_NS6detail15normal_iteratorINS9_10device_ptrIxEEEESE_SE_xNS9_10multipliesIxEENS9_8equal_toIxEExEE10hipError_tPvRmT2_T3_T4_T5_mT6_T7_P12ihipStream_tbENKUlT_T0_E_clISt17integral_constantIbLb1EESY_IbLb0EEEEDaSU_SV_EUlSU_E_NS1_11comp_targetILNS1_3genE0ELNS1_11target_archE4294967295ELNS1_3gpuE0ELNS1_3repE0EEENS1_30default_config_static_selectorELNS0_4arch9wavefront6targetE1EEEvT1_
		.amdhsa_group_segment_fixed_size 0
		.amdhsa_private_segment_fixed_size 0
		.amdhsa_kernarg_size 136
		.amdhsa_user_sgpr_count 2
		.amdhsa_user_sgpr_dispatch_ptr 0
		.amdhsa_user_sgpr_queue_ptr 0
		.amdhsa_user_sgpr_kernarg_segment_ptr 1
		.amdhsa_user_sgpr_dispatch_id 0
		.amdhsa_user_sgpr_kernarg_preload_length 0
		.amdhsa_user_sgpr_kernarg_preload_offset 0
		.amdhsa_user_sgpr_private_segment_size 0
		.amdhsa_uses_dynamic_stack 0
		.amdhsa_enable_private_segment 0
		.amdhsa_system_sgpr_workgroup_id_x 1
		.amdhsa_system_sgpr_workgroup_id_y 0
		.amdhsa_system_sgpr_workgroup_id_z 0
		.amdhsa_system_sgpr_workgroup_info 0
		.amdhsa_system_vgpr_workitem_id 0
		.amdhsa_next_free_vgpr 1
		.amdhsa_next_free_sgpr 0
		.amdhsa_accum_offset 4
		.amdhsa_reserve_vcc 0
		.amdhsa_float_round_mode_32 0
		.amdhsa_float_round_mode_16_64 0
		.amdhsa_float_denorm_mode_32 3
		.amdhsa_float_denorm_mode_16_64 3
		.amdhsa_dx10_clamp 1
		.amdhsa_ieee_mode 1
		.amdhsa_fp16_overflow 0
		.amdhsa_tg_split 0
		.amdhsa_exception_fp_ieee_invalid_op 0
		.amdhsa_exception_fp_denorm_src 0
		.amdhsa_exception_fp_ieee_div_zero 0
		.amdhsa_exception_fp_ieee_overflow 0
		.amdhsa_exception_fp_ieee_underflow 0
		.amdhsa_exception_fp_ieee_inexact 0
		.amdhsa_exception_int_div_zero 0
	.end_amdhsa_kernel
	.section	.text._ZN7rocprim17ROCPRIM_400000_NS6detail17trampoline_kernelINS0_14default_configENS1_27scan_by_key_config_selectorIxxEEZZNS1_16scan_by_key_implILNS1_25lookback_scan_determinismE0ELb1ES3_N6thrust23THRUST_200600_302600_NS6detail15normal_iteratorINS9_10device_ptrIxEEEESE_SE_xNS9_10multipliesIxEENS9_8equal_toIxEExEE10hipError_tPvRmT2_T3_T4_T5_mT6_T7_P12ihipStream_tbENKUlT_T0_E_clISt17integral_constantIbLb1EESY_IbLb0EEEEDaSU_SV_EUlSU_E_NS1_11comp_targetILNS1_3genE0ELNS1_11target_archE4294967295ELNS1_3gpuE0ELNS1_3repE0EEENS1_30default_config_static_selectorELNS0_4arch9wavefront6targetE1EEEvT1_,"axG",@progbits,_ZN7rocprim17ROCPRIM_400000_NS6detail17trampoline_kernelINS0_14default_configENS1_27scan_by_key_config_selectorIxxEEZZNS1_16scan_by_key_implILNS1_25lookback_scan_determinismE0ELb1ES3_N6thrust23THRUST_200600_302600_NS6detail15normal_iteratorINS9_10device_ptrIxEEEESE_SE_xNS9_10multipliesIxEENS9_8equal_toIxEExEE10hipError_tPvRmT2_T3_T4_T5_mT6_T7_P12ihipStream_tbENKUlT_T0_E_clISt17integral_constantIbLb1EESY_IbLb0EEEEDaSU_SV_EUlSU_E_NS1_11comp_targetILNS1_3genE0ELNS1_11target_archE4294967295ELNS1_3gpuE0ELNS1_3repE0EEENS1_30default_config_static_selectorELNS0_4arch9wavefront6targetE1EEEvT1_,comdat
.Lfunc_end407:
	.size	_ZN7rocprim17ROCPRIM_400000_NS6detail17trampoline_kernelINS0_14default_configENS1_27scan_by_key_config_selectorIxxEEZZNS1_16scan_by_key_implILNS1_25lookback_scan_determinismE0ELb1ES3_N6thrust23THRUST_200600_302600_NS6detail15normal_iteratorINS9_10device_ptrIxEEEESE_SE_xNS9_10multipliesIxEENS9_8equal_toIxEExEE10hipError_tPvRmT2_T3_T4_T5_mT6_T7_P12ihipStream_tbENKUlT_T0_E_clISt17integral_constantIbLb1EESY_IbLb0EEEEDaSU_SV_EUlSU_E_NS1_11comp_targetILNS1_3genE0ELNS1_11target_archE4294967295ELNS1_3gpuE0ELNS1_3repE0EEENS1_30default_config_static_selectorELNS0_4arch9wavefront6targetE1EEEvT1_, .Lfunc_end407-_ZN7rocprim17ROCPRIM_400000_NS6detail17trampoline_kernelINS0_14default_configENS1_27scan_by_key_config_selectorIxxEEZZNS1_16scan_by_key_implILNS1_25lookback_scan_determinismE0ELb1ES3_N6thrust23THRUST_200600_302600_NS6detail15normal_iteratorINS9_10device_ptrIxEEEESE_SE_xNS9_10multipliesIxEENS9_8equal_toIxEExEE10hipError_tPvRmT2_T3_T4_T5_mT6_T7_P12ihipStream_tbENKUlT_T0_E_clISt17integral_constantIbLb1EESY_IbLb0EEEEDaSU_SV_EUlSU_E_NS1_11comp_targetILNS1_3genE0ELNS1_11target_archE4294967295ELNS1_3gpuE0ELNS1_3repE0EEENS1_30default_config_static_selectorELNS0_4arch9wavefront6targetE1EEEvT1_
                                        ; -- End function
	.section	.AMDGPU.csdata,"",@progbits
; Kernel info:
; codeLenInByte = 0
; NumSgprs: 6
; NumVgprs: 0
; NumAgprs: 0
; TotalNumVgprs: 0
; ScratchSize: 0
; MemoryBound: 0
; FloatMode: 240
; IeeeMode: 1
; LDSByteSize: 0 bytes/workgroup (compile time only)
; SGPRBlocks: 0
; VGPRBlocks: 0
; NumSGPRsForWavesPerEU: 6
; NumVGPRsForWavesPerEU: 1
; AccumOffset: 4
; Occupancy: 8
; WaveLimiterHint : 0
; COMPUTE_PGM_RSRC2:SCRATCH_EN: 0
; COMPUTE_PGM_RSRC2:USER_SGPR: 2
; COMPUTE_PGM_RSRC2:TRAP_HANDLER: 0
; COMPUTE_PGM_RSRC2:TGID_X_EN: 1
; COMPUTE_PGM_RSRC2:TGID_Y_EN: 0
; COMPUTE_PGM_RSRC2:TGID_Z_EN: 0
; COMPUTE_PGM_RSRC2:TIDIG_COMP_CNT: 0
; COMPUTE_PGM_RSRC3_GFX90A:ACCUM_OFFSET: 0
; COMPUTE_PGM_RSRC3_GFX90A:TG_SPLIT: 0
	.section	.text._ZN7rocprim17ROCPRIM_400000_NS6detail17trampoline_kernelINS0_14default_configENS1_27scan_by_key_config_selectorIxxEEZZNS1_16scan_by_key_implILNS1_25lookback_scan_determinismE0ELb1ES3_N6thrust23THRUST_200600_302600_NS6detail15normal_iteratorINS9_10device_ptrIxEEEESE_SE_xNS9_10multipliesIxEENS9_8equal_toIxEExEE10hipError_tPvRmT2_T3_T4_T5_mT6_T7_P12ihipStream_tbENKUlT_T0_E_clISt17integral_constantIbLb1EESY_IbLb0EEEEDaSU_SV_EUlSU_E_NS1_11comp_targetILNS1_3genE10ELNS1_11target_archE1201ELNS1_3gpuE5ELNS1_3repE0EEENS1_30default_config_static_selectorELNS0_4arch9wavefront6targetE1EEEvT1_,"axG",@progbits,_ZN7rocprim17ROCPRIM_400000_NS6detail17trampoline_kernelINS0_14default_configENS1_27scan_by_key_config_selectorIxxEEZZNS1_16scan_by_key_implILNS1_25lookback_scan_determinismE0ELb1ES3_N6thrust23THRUST_200600_302600_NS6detail15normal_iteratorINS9_10device_ptrIxEEEESE_SE_xNS9_10multipliesIxEENS9_8equal_toIxEExEE10hipError_tPvRmT2_T3_T4_T5_mT6_T7_P12ihipStream_tbENKUlT_T0_E_clISt17integral_constantIbLb1EESY_IbLb0EEEEDaSU_SV_EUlSU_E_NS1_11comp_targetILNS1_3genE10ELNS1_11target_archE1201ELNS1_3gpuE5ELNS1_3repE0EEENS1_30default_config_static_selectorELNS0_4arch9wavefront6targetE1EEEvT1_,comdat
	.protected	_ZN7rocprim17ROCPRIM_400000_NS6detail17trampoline_kernelINS0_14default_configENS1_27scan_by_key_config_selectorIxxEEZZNS1_16scan_by_key_implILNS1_25lookback_scan_determinismE0ELb1ES3_N6thrust23THRUST_200600_302600_NS6detail15normal_iteratorINS9_10device_ptrIxEEEESE_SE_xNS9_10multipliesIxEENS9_8equal_toIxEExEE10hipError_tPvRmT2_T3_T4_T5_mT6_T7_P12ihipStream_tbENKUlT_T0_E_clISt17integral_constantIbLb1EESY_IbLb0EEEEDaSU_SV_EUlSU_E_NS1_11comp_targetILNS1_3genE10ELNS1_11target_archE1201ELNS1_3gpuE5ELNS1_3repE0EEENS1_30default_config_static_selectorELNS0_4arch9wavefront6targetE1EEEvT1_ ; -- Begin function _ZN7rocprim17ROCPRIM_400000_NS6detail17trampoline_kernelINS0_14default_configENS1_27scan_by_key_config_selectorIxxEEZZNS1_16scan_by_key_implILNS1_25lookback_scan_determinismE0ELb1ES3_N6thrust23THRUST_200600_302600_NS6detail15normal_iteratorINS9_10device_ptrIxEEEESE_SE_xNS9_10multipliesIxEENS9_8equal_toIxEExEE10hipError_tPvRmT2_T3_T4_T5_mT6_T7_P12ihipStream_tbENKUlT_T0_E_clISt17integral_constantIbLb1EESY_IbLb0EEEEDaSU_SV_EUlSU_E_NS1_11comp_targetILNS1_3genE10ELNS1_11target_archE1201ELNS1_3gpuE5ELNS1_3repE0EEENS1_30default_config_static_selectorELNS0_4arch9wavefront6targetE1EEEvT1_
	.globl	_ZN7rocprim17ROCPRIM_400000_NS6detail17trampoline_kernelINS0_14default_configENS1_27scan_by_key_config_selectorIxxEEZZNS1_16scan_by_key_implILNS1_25lookback_scan_determinismE0ELb1ES3_N6thrust23THRUST_200600_302600_NS6detail15normal_iteratorINS9_10device_ptrIxEEEESE_SE_xNS9_10multipliesIxEENS9_8equal_toIxEExEE10hipError_tPvRmT2_T3_T4_T5_mT6_T7_P12ihipStream_tbENKUlT_T0_E_clISt17integral_constantIbLb1EESY_IbLb0EEEEDaSU_SV_EUlSU_E_NS1_11comp_targetILNS1_3genE10ELNS1_11target_archE1201ELNS1_3gpuE5ELNS1_3repE0EEENS1_30default_config_static_selectorELNS0_4arch9wavefront6targetE1EEEvT1_
	.p2align	8
	.type	_ZN7rocprim17ROCPRIM_400000_NS6detail17trampoline_kernelINS0_14default_configENS1_27scan_by_key_config_selectorIxxEEZZNS1_16scan_by_key_implILNS1_25lookback_scan_determinismE0ELb1ES3_N6thrust23THRUST_200600_302600_NS6detail15normal_iteratorINS9_10device_ptrIxEEEESE_SE_xNS9_10multipliesIxEENS9_8equal_toIxEExEE10hipError_tPvRmT2_T3_T4_T5_mT6_T7_P12ihipStream_tbENKUlT_T0_E_clISt17integral_constantIbLb1EESY_IbLb0EEEEDaSU_SV_EUlSU_E_NS1_11comp_targetILNS1_3genE10ELNS1_11target_archE1201ELNS1_3gpuE5ELNS1_3repE0EEENS1_30default_config_static_selectorELNS0_4arch9wavefront6targetE1EEEvT1_,@function
_ZN7rocprim17ROCPRIM_400000_NS6detail17trampoline_kernelINS0_14default_configENS1_27scan_by_key_config_selectorIxxEEZZNS1_16scan_by_key_implILNS1_25lookback_scan_determinismE0ELb1ES3_N6thrust23THRUST_200600_302600_NS6detail15normal_iteratorINS9_10device_ptrIxEEEESE_SE_xNS9_10multipliesIxEENS9_8equal_toIxEExEE10hipError_tPvRmT2_T3_T4_T5_mT6_T7_P12ihipStream_tbENKUlT_T0_E_clISt17integral_constantIbLb1EESY_IbLb0EEEEDaSU_SV_EUlSU_E_NS1_11comp_targetILNS1_3genE10ELNS1_11target_archE1201ELNS1_3gpuE5ELNS1_3repE0EEENS1_30default_config_static_selectorELNS0_4arch9wavefront6targetE1EEEvT1_: ; @_ZN7rocprim17ROCPRIM_400000_NS6detail17trampoline_kernelINS0_14default_configENS1_27scan_by_key_config_selectorIxxEEZZNS1_16scan_by_key_implILNS1_25lookback_scan_determinismE0ELb1ES3_N6thrust23THRUST_200600_302600_NS6detail15normal_iteratorINS9_10device_ptrIxEEEESE_SE_xNS9_10multipliesIxEENS9_8equal_toIxEExEE10hipError_tPvRmT2_T3_T4_T5_mT6_T7_P12ihipStream_tbENKUlT_T0_E_clISt17integral_constantIbLb1EESY_IbLb0EEEEDaSU_SV_EUlSU_E_NS1_11comp_targetILNS1_3genE10ELNS1_11target_archE1201ELNS1_3gpuE5ELNS1_3repE0EEENS1_30default_config_static_selectorELNS0_4arch9wavefront6targetE1EEEvT1_
; %bb.0:
	.section	.rodata,"a",@progbits
	.p2align	6, 0x0
	.amdhsa_kernel _ZN7rocprim17ROCPRIM_400000_NS6detail17trampoline_kernelINS0_14default_configENS1_27scan_by_key_config_selectorIxxEEZZNS1_16scan_by_key_implILNS1_25lookback_scan_determinismE0ELb1ES3_N6thrust23THRUST_200600_302600_NS6detail15normal_iteratorINS9_10device_ptrIxEEEESE_SE_xNS9_10multipliesIxEENS9_8equal_toIxEExEE10hipError_tPvRmT2_T3_T4_T5_mT6_T7_P12ihipStream_tbENKUlT_T0_E_clISt17integral_constantIbLb1EESY_IbLb0EEEEDaSU_SV_EUlSU_E_NS1_11comp_targetILNS1_3genE10ELNS1_11target_archE1201ELNS1_3gpuE5ELNS1_3repE0EEENS1_30default_config_static_selectorELNS0_4arch9wavefront6targetE1EEEvT1_
		.amdhsa_group_segment_fixed_size 0
		.amdhsa_private_segment_fixed_size 0
		.amdhsa_kernarg_size 136
		.amdhsa_user_sgpr_count 2
		.amdhsa_user_sgpr_dispatch_ptr 0
		.amdhsa_user_sgpr_queue_ptr 0
		.amdhsa_user_sgpr_kernarg_segment_ptr 1
		.amdhsa_user_sgpr_dispatch_id 0
		.amdhsa_user_sgpr_kernarg_preload_length 0
		.amdhsa_user_sgpr_kernarg_preload_offset 0
		.amdhsa_user_sgpr_private_segment_size 0
		.amdhsa_uses_dynamic_stack 0
		.amdhsa_enable_private_segment 0
		.amdhsa_system_sgpr_workgroup_id_x 1
		.amdhsa_system_sgpr_workgroup_id_y 0
		.amdhsa_system_sgpr_workgroup_id_z 0
		.amdhsa_system_sgpr_workgroup_info 0
		.amdhsa_system_vgpr_workitem_id 0
		.amdhsa_next_free_vgpr 1
		.amdhsa_next_free_sgpr 0
		.amdhsa_accum_offset 4
		.amdhsa_reserve_vcc 0
		.amdhsa_float_round_mode_32 0
		.amdhsa_float_round_mode_16_64 0
		.amdhsa_float_denorm_mode_32 3
		.amdhsa_float_denorm_mode_16_64 3
		.amdhsa_dx10_clamp 1
		.amdhsa_ieee_mode 1
		.amdhsa_fp16_overflow 0
		.amdhsa_tg_split 0
		.amdhsa_exception_fp_ieee_invalid_op 0
		.amdhsa_exception_fp_denorm_src 0
		.amdhsa_exception_fp_ieee_div_zero 0
		.amdhsa_exception_fp_ieee_overflow 0
		.amdhsa_exception_fp_ieee_underflow 0
		.amdhsa_exception_fp_ieee_inexact 0
		.amdhsa_exception_int_div_zero 0
	.end_amdhsa_kernel
	.section	.text._ZN7rocprim17ROCPRIM_400000_NS6detail17trampoline_kernelINS0_14default_configENS1_27scan_by_key_config_selectorIxxEEZZNS1_16scan_by_key_implILNS1_25lookback_scan_determinismE0ELb1ES3_N6thrust23THRUST_200600_302600_NS6detail15normal_iteratorINS9_10device_ptrIxEEEESE_SE_xNS9_10multipliesIxEENS9_8equal_toIxEExEE10hipError_tPvRmT2_T3_T4_T5_mT6_T7_P12ihipStream_tbENKUlT_T0_E_clISt17integral_constantIbLb1EESY_IbLb0EEEEDaSU_SV_EUlSU_E_NS1_11comp_targetILNS1_3genE10ELNS1_11target_archE1201ELNS1_3gpuE5ELNS1_3repE0EEENS1_30default_config_static_selectorELNS0_4arch9wavefront6targetE1EEEvT1_,"axG",@progbits,_ZN7rocprim17ROCPRIM_400000_NS6detail17trampoline_kernelINS0_14default_configENS1_27scan_by_key_config_selectorIxxEEZZNS1_16scan_by_key_implILNS1_25lookback_scan_determinismE0ELb1ES3_N6thrust23THRUST_200600_302600_NS6detail15normal_iteratorINS9_10device_ptrIxEEEESE_SE_xNS9_10multipliesIxEENS9_8equal_toIxEExEE10hipError_tPvRmT2_T3_T4_T5_mT6_T7_P12ihipStream_tbENKUlT_T0_E_clISt17integral_constantIbLb1EESY_IbLb0EEEEDaSU_SV_EUlSU_E_NS1_11comp_targetILNS1_3genE10ELNS1_11target_archE1201ELNS1_3gpuE5ELNS1_3repE0EEENS1_30default_config_static_selectorELNS0_4arch9wavefront6targetE1EEEvT1_,comdat
.Lfunc_end408:
	.size	_ZN7rocprim17ROCPRIM_400000_NS6detail17trampoline_kernelINS0_14default_configENS1_27scan_by_key_config_selectorIxxEEZZNS1_16scan_by_key_implILNS1_25lookback_scan_determinismE0ELb1ES3_N6thrust23THRUST_200600_302600_NS6detail15normal_iteratorINS9_10device_ptrIxEEEESE_SE_xNS9_10multipliesIxEENS9_8equal_toIxEExEE10hipError_tPvRmT2_T3_T4_T5_mT6_T7_P12ihipStream_tbENKUlT_T0_E_clISt17integral_constantIbLb1EESY_IbLb0EEEEDaSU_SV_EUlSU_E_NS1_11comp_targetILNS1_3genE10ELNS1_11target_archE1201ELNS1_3gpuE5ELNS1_3repE0EEENS1_30default_config_static_selectorELNS0_4arch9wavefront6targetE1EEEvT1_, .Lfunc_end408-_ZN7rocprim17ROCPRIM_400000_NS6detail17trampoline_kernelINS0_14default_configENS1_27scan_by_key_config_selectorIxxEEZZNS1_16scan_by_key_implILNS1_25lookback_scan_determinismE0ELb1ES3_N6thrust23THRUST_200600_302600_NS6detail15normal_iteratorINS9_10device_ptrIxEEEESE_SE_xNS9_10multipliesIxEENS9_8equal_toIxEExEE10hipError_tPvRmT2_T3_T4_T5_mT6_T7_P12ihipStream_tbENKUlT_T0_E_clISt17integral_constantIbLb1EESY_IbLb0EEEEDaSU_SV_EUlSU_E_NS1_11comp_targetILNS1_3genE10ELNS1_11target_archE1201ELNS1_3gpuE5ELNS1_3repE0EEENS1_30default_config_static_selectorELNS0_4arch9wavefront6targetE1EEEvT1_
                                        ; -- End function
	.section	.AMDGPU.csdata,"",@progbits
; Kernel info:
; codeLenInByte = 0
; NumSgprs: 6
; NumVgprs: 0
; NumAgprs: 0
; TotalNumVgprs: 0
; ScratchSize: 0
; MemoryBound: 0
; FloatMode: 240
; IeeeMode: 1
; LDSByteSize: 0 bytes/workgroup (compile time only)
; SGPRBlocks: 0
; VGPRBlocks: 0
; NumSGPRsForWavesPerEU: 6
; NumVGPRsForWavesPerEU: 1
; AccumOffset: 4
; Occupancy: 8
; WaveLimiterHint : 0
; COMPUTE_PGM_RSRC2:SCRATCH_EN: 0
; COMPUTE_PGM_RSRC2:USER_SGPR: 2
; COMPUTE_PGM_RSRC2:TRAP_HANDLER: 0
; COMPUTE_PGM_RSRC2:TGID_X_EN: 1
; COMPUTE_PGM_RSRC2:TGID_Y_EN: 0
; COMPUTE_PGM_RSRC2:TGID_Z_EN: 0
; COMPUTE_PGM_RSRC2:TIDIG_COMP_CNT: 0
; COMPUTE_PGM_RSRC3_GFX90A:ACCUM_OFFSET: 0
; COMPUTE_PGM_RSRC3_GFX90A:TG_SPLIT: 0
	.section	.text._ZN7rocprim17ROCPRIM_400000_NS6detail17trampoline_kernelINS0_14default_configENS1_27scan_by_key_config_selectorIxxEEZZNS1_16scan_by_key_implILNS1_25lookback_scan_determinismE0ELb1ES3_N6thrust23THRUST_200600_302600_NS6detail15normal_iteratorINS9_10device_ptrIxEEEESE_SE_xNS9_10multipliesIxEENS9_8equal_toIxEExEE10hipError_tPvRmT2_T3_T4_T5_mT6_T7_P12ihipStream_tbENKUlT_T0_E_clISt17integral_constantIbLb1EESY_IbLb0EEEEDaSU_SV_EUlSU_E_NS1_11comp_targetILNS1_3genE5ELNS1_11target_archE942ELNS1_3gpuE9ELNS1_3repE0EEENS1_30default_config_static_selectorELNS0_4arch9wavefront6targetE1EEEvT1_,"axG",@progbits,_ZN7rocprim17ROCPRIM_400000_NS6detail17trampoline_kernelINS0_14default_configENS1_27scan_by_key_config_selectorIxxEEZZNS1_16scan_by_key_implILNS1_25lookback_scan_determinismE0ELb1ES3_N6thrust23THRUST_200600_302600_NS6detail15normal_iteratorINS9_10device_ptrIxEEEESE_SE_xNS9_10multipliesIxEENS9_8equal_toIxEExEE10hipError_tPvRmT2_T3_T4_T5_mT6_T7_P12ihipStream_tbENKUlT_T0_E_clISt17integral_constantIbLb1EESY_IbLb0EEEEDaSU_SV_EUlSU_E_NS1_11comp_targetILNS1_3genE5ELNS1_11target_archE942ELNS1_3gpuE9ELNS1_3repE0EEENS1_30default_config_static_selectorELNS0_4arch9wavefront6targetE1EEEvT1_,comdat
	.protected	_ZN7rocprim17ROCPRIM_400000_NS6detail17trampoline_kernelINS0_14default_configENS1_27scan_by_key_config_selectorIxxEEZZNS1_16scan_by_key_implILNS1_25lookback_scan_determinismE0ELb1ES3_N6thrust23THRUST_200600_302600_NS6detail15normal_iteratorINS9_10device_ptrIxEEEESE_SE_xNS9_10multipliesIxEENS9_8equal_toIxEExEE10hipError_tPvRmT2_T3_T4_T5_mT6_T7_P12ihipStream_tbENKUlT_T0_E_clISt17integral_constantIbLb1EESY_IbLb0EEEEDaSU_SV_EUlSU_E_NS1_11comp_targetILNS1_3genE5ELNS1_11target_archE942ELNS1_3gpuE9ELNS1_3repE0EEENS1_30default_config_static_selectorELNS0_4arch9wavefront6targetE1EEEvT1_ ; -- Begin function _ZN7rocprim17ROCPRIM_400000_NS6detail17trampoline_kernelINS0_14default_configENS1_27scan_by_key_config_selectorIxxEEZZNS1_16scan_by_key_implILNS1_25lookback_scan_determinismE0ELb1ES3_N6thrust23THRUST_200600_302600_NS6detail15normal_iteratorINS9_10device_ptrIxEEEESE_SE_xNS9_10multipliesIxEENS9_8equal_toIxEExEE10hipError_tPvRmT2_T3_T4_T5_mT6_T7_P12ihipStream_tbENKUlT_T0_E_clISt17integral_constantIbLb1EESY_IbLb0EEEEDaSU_SV_EUlSU_E_NS1_11comp_targetILNS1_3genE5ELNS1_11target_archE942ELNS1_3gpuE9ELNS1_3repE0EEENS1_30default_config_static_selectorELNS0_4arch9wavefront6targetE1EEEvT1_
	.globl	_ZN7rocprim17ROCPRIM_400000_NS6detail17trampoline_kernelINS0_14default_configENS1_27scan_by_key_config_selectorIxxEEZZNS1_16scan_by_key_implILNS1_25lookback_scan_determinismE0ELb1ES3_N6thrust23THRUST_200600_302600_NS6detail15normal_iteratorINS9_10device_ptrIxEEEESE_SE_xNS9_10multipliesIxEENS9_8equal_toIxEExEE10hipError_tPvRmT2_T3_T4_T5_mT6_T7_P12ihipStream_tbENKUlT_T0_E_clISt17integral_constantIbLb1EESY_IbLb0EEEEDaSU_SV_EUlSU_E_NS1_11comp_targetILNS1_3genE5ELNS1_11target_archE942ELNS1_3gpuE9ELNS1_3repE0EEENS1_30default_config_static_selectorELNS0_4arch9wavefront6targetE1EEEvT1_
	.p2align	8
	.type	_ZN7rocprim17ROCPRIM_400000_NS6detail17trampoline_kernelINS0_14default_configENS1_27scan_by_key_config_selectorIxxEEZZNS1_16scan_by_key_implILNS1_25lookback_scan_determinismE0ELb1ES3_N6thrust23THRUST_200600_302600_NS6detail15normal_iteratorINS9_10device_ptrIxEEEESE_SE_xNS9_10multipliesIxEENS9_8equal_toIxEExEE10hipError_tPvRmT2_T3_T4_T5_mT6_T7_P12ihipStream_tbENKUlT_T0_E_clISt17integral_constantIbLb1EESY_IbLb0EEEEDaSU_SV_EUlSU_E_NS1_11comp_targetILNS1_3genE5ELNS1_11target_archE942ELNS1_3gpuE9ELNS1_3repE0EEENS1_30default_config_static_selectorELNS0_4arch9wavefront6targetE1EEEvT1_,@function
_ZN7rocprim17ROCPRIM_400000_NS6detail17trampoline_kernelINS0_14default_configENS1_27scan_by_key_config_selectorIxxEEZZNS1_16scan_by_key_implILNS1_25lookback_scan_determinismE0ELb1ES3_N6thrust23THRUST_200600_302600_NS6detail15normal_iteratorINS9_10device_ptrIxEEEESE_SE_xNS9_10multipliesIxEENS9_8equal_toIxEExEE10hipError_tPvRmT2_T3_T4_T5_mT6_T7_P12ihipStream_tbENKUlT_T0_E_clISt17integral_constantIbLb1EESY_IbLb0EEEEDaSU_SV_EUlSU_E_NS1_11comp_targetILNS1_3genE5ELNS1_11target_archE942ELNS1_3gpuE9ELNS1_3repE0EEENS1_30default_config_static_selectorELNS0_4arch9wavefront6targetE1EEEvT1_: ; @_ZN7rocprim17ROCPRIM_400000_NS6detail17trampoline_kernelINS0_14default_configENS1_27scan_by_key_config_selectorIxxEEZZNS1_16scan_by_key_implILNS1_25lookback_scan_determinismE0ELb1ES3_N6thrust23THRUST_200600_302600_NS6detail15normal_iteratorINS9_10device_ptrIxEEEESE_SE_xNS9_10multipliesIxEENS9_8equal_toIxEExEE10hipError_tPvRmT2_T3_T4_T5_mT6_T7_P12ihipStream_tbENKUlT_T0_E_clISt17integral_constantIbLb1EESY_IbLb0EEEEDaSU_SV_EUlSU_E_NS1_11comp_targetILNS1_3genE5ELNS1_11target_archE942ELNS1_3gpuE9ELNS1_3repE0EEENS1_30default_config_static_selectorELNS0_4arch9wavefront6targetE1EEEvT1_
; %bb.0:
	s_load_dwordx8 s[44:51], s[0:1], 0x0
	s_load_dwordx2 s[56:57], s[0:1], 0x20
	s_load_dwordx8 s[36:43], s[0:1], 0x30
	s_load_dwordx2 s[58:59], s[0:1], 0x50
	s_load_dword s3, s[0:1], 0x58
	s_load_dwordx4 s[52:55], s[0:1], 0x60
	s_waitcnt lgkmcnt(0)
	s_lshl_b64 s[34:35], s[46:47], 3
	s_add_u32 s4, s44, s34
	s_addc_u32 s5, s45, s35
	s_add_u32 s6, s48, s34
	s_mul_i32 s0, s59, s3
	s_mul_hi_u32 s1, s58, s3
	s_addc_u32 s7, s49, s35
	s_add_i32 s8, s1, s0
	s_mul_i32 s0, s2, 0xe00
	s_mov_b32 s1, 0
	s_lshl_b64 s[44:45], s[0:1], 3
	s_add_u32 s48, s4, s44
	s_addc_u32 s49, s5, s45
	s_add_u32 s46, s6, s44
	s_mul_i32 s3, s58, s3
	s_addc_u32 s47, s7, s45
	s_add_u32 s0, s3, s2
	s_addc_u32 s1, s8, 0
	s_add_u32 s6, s52, -1
	s_addc_u32 s7, s53, -1
	v_mov_b64_e32 v[2:3], s[6:7]
	v_cmp_ge_u64_e64 s[0:1], s[0:1], v[2:3]
	s_mov_b64 s[4:5], -1
	s_and_b64 vcc, exec, s[0:1]
	s_mul_i32 s33, s6, 0xfffff200
	s_barrier
	s_cbranch_vccz .LBB409_76
; %bb.1:
	v_mov_b64_e32 v[2:3], s[48:49]
	flat_load_dwordx2 v[2:3], v[2:3]
	s_add_i32 s43, s33, s42
	v_cmp_gt_u32_e32 vcc, s43, v0
	s_waitcnt vmcnt(0) lgkmcnt(0)
	v_mov_b64_e32 v[4:5], v[2:3]
	s_and_saveexec_b64 s[4:5], vcc
	s_cbranch_execz .LBB409_3
; %bb.2:
	v_lshlrev_b32_e32 v4, 3, v0
	v_mov_b32_e32 v5, 0
	v_lshl_add_u64 v[4:5], s[48:49], 0, v[4:5]
	flat_load_dwordx2 v[4:5], v[4:5]
.LBB409_3:
	s_or_b64 exec, exec, s[4:5]
	v_or_b32_e32 v1, 0x100, v0
	v_cmp_gt_u32_e64 s[28:29], s43, v1
	v_mov_b64_e32 v[6:7], v[2:3]
	s_and_saveexec_b64 s[4:5], s[28:29]
	s_cbranch_execz .LBB409_5
; %bb.4:
	v_lshlrev_b32_e32 v6, 3, v0
	v_mov_b32_e32 v7, 0
	v_lshl_add_u64 v[6:7], s[48:49], 0, v[6:7]
	flat_load_dwordx2 v[6:7], v[6:7] offset:2048
.LBB409_5:
	s_or_b64 exec, exec, s[4:5]
	v_or_b32_e32 v1, 0x200, v0
	v_cmp_gt_u32_e64 s[4:5], s43, v1
	v_mov_b64_e32 v[8:9], v[2:3]
	s_and_saveexec_b64 s[6:7], s[4:5]
	s_cbranch_execz .LBB409_7
; %bb.6:
	v_lshlrev_b32_e32 v8, 3, v1
	v_mov_b32_e32 v9, 0
	v_lshl_add_u64 v[8:9], s[48:49], 0, v[8:9]
	flat_load_dwordx2 v[8:9], v[8:9]
.LBB409_7:
	s_or_b64 exec, exec, s[6:7]
	v_or_b32_e32 v40, 0x300, v0
	v_cmp_gt_u32_e64 s[6:7], s43, v40
	v_mov_b64_e32 v[10:11], v[2:3]
	s_and_saveexec_b64 s[8:9], s[6:7]
	s_cbranch_execz .LBB409_9
; %bb.8:
	v_lshlrev_b32_e32 v10, 3, v40
	v_mov_b32_e32 v11, 0
	v_lshl_add_u64 v[10:11], s[48:49], 0, v[10:11]
	flat_load_dwordx2 v[10:11], v[10:11]
.LBB409_9:
	;; [unrolled: 12-line block ×11, first 2 shown]
	s_or_b64 exec, exec, s[26:27]
	v_or_b32_e32 v64, 0xd00, v0
	v_cmp_gt_u32_e64 s[26:27], s43, v64
	s_and_saveexec_b64 s[30:31], s[26:27]
	s_cbranch_execz .LBB409_29
; %bb.28:
	v_lshlrev_b32_e32 v2, 3, v64
	v_mov_b32_e32 v3, 0
	v_lshl_add_u64 v[2:3], s[48:49], 0, v[2:3]
	flat_load_dwordx2 v[2:3], v[2:3]
.LBB409_29:
	s_or_b64 exec, exec, s[30:31]
	v_lshlrev_b32_e32 v30, 3, v0
	s_waitcnt vmcnt(0) lgkmcnt(0)
	ds_write2st64_b64 v30, v[4:5], v[6:7] offset1:4
	ds_write2st64_b64 v30, v[8:9], v[10:11] offset0:8 offset1:12
	ds_write2st64_b64 v30, v[12:13], v[14:15] offset0:16 offset1:20
	;; [unrolled: 1-line block ×6, first 2 shown]
	v_mov_b64_e32 v[2:3], s[48:49]
	s_waitcnt lgkmcnt(0)
	s_barrier
	flat_load_dwordx2 v[58:59], v[2:3]
	s_movk_i32 s3, 0x68
	v_mad_u32_u24 v62, v0, s3, v30
	s_movk_i32 s3, 0xff98
	v_mad_i32_i24 v31, v0, s3, v62
	s_movk_i32 s3, 0xff
	v_cmp_ne_u32_e64 s[30:31], s3, v0
	ds_read_b128 v[26:29], v62
	ds_read_b128 v[22:25], v62 offset:16
	ds_read_b128 v[18:21], v62 offset:32
	;; [unrolled: 1-line block ×6, first 2 shown]
	s_waitcnt lgkmcnt(0)
	ds_write_b64 v31, v[26:27] offset:30720
	s_waitcnt lgkmcnt(0)
	s_barrier
	s_and_saveexec_b64 s[52:53], s[30:31]
	s_cbranch_execz .LBB409_31
; %bb.30:
	s_waitcnt vmcnt(0)
	ds_read_b64 v[58:59], v30 offset:30728
.LBB409_31:
	s_or_b64 exec, exec, s[52:53]
	v_mov_b32_e32 v31, 0
	s_waitcnt lgkmcnt(0)
	s_barrier
	s_waitcnt lgkmcnt(0)
                                        ; implicit-def: $vgpr32_vgpr33
	s_and_saveexec_b64 s[30:31], vcc
	s_cbranch_execz .LBB409_157
; %bb.32:
	v_lshl_add_u64 v[32:33], s[46:47], 0, v[30:31]
	flat_load_dwordx2 v[32:33], v[32:33]
	s_or_b64 exec, exec, s[30:31]
                                        ; implicit-def: $vgpr34_vgpr35
	s_and_saveexec_b64 s[30:31], s[28:29]
	s_cbranch_execnz .LBB409_158
.LBB409_33:
	s_or_b64 exec, exec, s[30:31]
                                        ; implicit-def: $vgpr36_vgpr37
	s_and_saveexec_b64 s[28:29], s[4:5]
	s_cbranch_execz .LBB409_159
.LBB409_34:
	v_lshlrev_b32_e32 v36, 3, v1
	v_mov_b32_e32 v37, 0
	v_lshl_add_u64 v[36:37], s[46:47], 0, v[36:37]
	flat_load_dwordx2 v[36:37], v[36:37]
	s_or_b64 exec, exec, s[28:29]
                                        ; implicit-def: $vgpr38_vgpr39
	s_and_saveexec_b64 s[4:5], s[6:7]
	s_cbranch_execnz .LBB409_160
.LBB409_35:
	s_or_b64 exec, exec, s[4:5]
                                        ; implicit-def: $vgpr40_vgpr41
	s_and_saveexec_b64 s[4:5], s[8:9]
	s_cbranch_execz .LBB409_161
.LBB409_36:
	v_lshlrev_b32_e32 v40, 3, v42
	v_mov_b32_e32 v41, 0
	v_lshl_add_u64 v[40:41], s[46:47], 0, v[40:41]
	flat_load_dwordx2 v[40:41], v[40:41]
	s_or_b64 exec, exec, s[4:5]
                                        ; implicit-def: $vgpr42_vgpr43
	s_and_saveexec_b64 s[4:5], s[10:11]
	s_cbranch_execnz .LBB409_162
.LBB409_37:
	s_or_b64 exec, exec, s[4:5]
                                        ; implicit-def: $vgpr44_vgpr45
	s_and_saveexec_b64 s[4:5], s[12:13]
	s_cbranch_execz .LBB409_163
.LBB409_38:
	v_lshlrev_b32_e32 v44, 3, v46
	v_mov_b32_e32 v45, 0
	v_lshl_add_u64 v[44:45], s[46:47], 0, v[44:45]
	flat_load_dwordx2 v[44:45], v[44:45]
	s_or_b64 exec, exec, s[4:5]
                                        ; implicit-def: $vgpr46_vgpr47
	s_and_saveexec_b64 s[4:5], s[14:15]
	s_cbranch_execnz .LBB409_164
.LBB409_39:
	s_or_b64 exec, exec, s[4:5]
                                        ; implicit-def: $vgpr48_vgpr49
	s_and_saveexec_b64 s[4:5], s[16:17]
	s_cbranch_execz .LBB409_165
.LBB409_40:
	v_lshlrev_b32_e32 v48, 3, v50
	v_mov_b32_e32 v49, 0
	v_lshl_add_u64 v[48:49], s[46:47], 0, v[48:49]
	flat_load_dwordx2 v[48:49], v[48:49]
	s_or_b64 exec, exec, s[4:5]
                                        ; implicit-def: $vgpr50_vgpr51
	s_and_saveexec_b64 s[4:5], s[18:19]
	s_cbranch_execnz .LBB409_166
.LBB409_41:
	s_or_b64 exec, exec, s[4:5]
                                        ; implicit-def: $vgpr52_vgpr53
	s_and_saveexec_b64 s[4:5], s[20:21]
	s_cbranch_execz .LBB409_167
.LBB409_42:
	v_lshlrev_b32_e32 v52, 3, v54
	v_mov_b32_e32 v53, 0
	v_lshl_add_u64 v[52:53], s[46:47], 0, v[52:53]
	flat_load_dwordx2 v[52:53], v[52:53]
	s_or_b64 exec, exec, s[4:5]
                                        ; implicit-def: $vgpr54_vgpr55
	s_and_saveexec_b64 s[4:5], s[22:23]
	s_cbranch_execnz .LBB409_168
.LBB409_43:
	s_or_b64 exec, exec, s[4:5]
                                        ; implicit-def: $vgpr56_vgpr57
	s_and_saveexec_b64 s[4:5], s[24:25]
	s_cbranch_execz .LBB409_45
.LBB409_44:
	v_lshlrev_b32_e32 v56, 3, v60
	v_mov_b32_e32 v57, 0
	v_lshl_add_u64 v[56:57], s[46:47], 0, v[56:57]
	flat_load_dwordx2 v[56:57], v[56:57]
.LBB409_45:
	s_or_b64 exec, exec, s[4:5]
	v_mul_u32_u24_e32 v63, 14, v0
                                        ; implicit-def: $vgpr60_vgpr61
	s_and_saveexec_b64 s[4:5], s[26:27]
	s_cbranch_execz .LBB409_47
; %bb.46:
	v_lshlrev_b32_e32 v60, 3, v64
	v_mov_b32_e32 v61, 0
	v_lshl_add_u64 v[60:61], s[46:47], 0, v[60:61]
	flat_load_dwordx2 v[60:61], v[60:61]
.LBB409_47:
	s_or_b64 exec, exec, s[4:5]
	s_waitcnt vmcnt(0) lgkmcnt(0)
	ds_write2st64_b64 v30, v[32:33], v[34:35] offset1:4
	ds_write2st64_b64 v30, v[36:37], v[38:39] offset0:8 offset1:12
	ds_write2st64_b64 v30, v[40:41], v[42:43] offset0:16 offset1:20
	;; [unrolled: 1-line block ×6, first 2 shown]
	v_mov_b64_e32 v[54:55], 0
	v_cmp_gt_u32_e32 vcc, s43, v63
	s_mov_b64 s[10:11], 0
	s_mov_b32 s3, 0
	s_mov_b64 s[4:5], 0
	v_mov_b32_e32 v67, 0
	v_mov_b64_e32 v[30:31], v[54:55]
	v_mov_b32_e32 v75, 0
	v_mov_b64_e32 v[56:57], v[54:55]
	;; [unrolled: 2-line block ×12, first 2 shown]
	v_mov_b32_e32 v1, 0
	s_waitcnt lgkmcnt(0)
	s_barrier
	s_waitcnt lgkmcnt(0)
                                        ; implicit-def: $sgpr8_sgpr9
                                        ; implicit-def: $vgpr60_vgpr61
	s_and_saveexec_b64 s[6:7], vcc
	s_cbranch_execz .LBB409_75
; %bb.48:
	ds_read_b64 v[30:31], v62
	v_cmp_ne_u64_e32 vcc, v[26:27], v[28:29]
	v_mov_b32_e32 v26, s57
	v_or_b32_e32 v32, 1, v63
	v_cndmask_b32_e64 v1, 0, 1, vcc
	s_waitcnt lgkmcnt(0)
	v_cndmask_b32_e32 v55, v31, v26, vcc
	v_mov_b32_e32 v26, s56
	v_cndmask_b32_e32 v54, v30, v26, vcc
	v_mov_b64_e32 v[30:31], 0
	v_cmp_gt_u32_e32 vcc, s43, v32
	s_mov_b64 s[12:13], 0
	v_mov_b32_e32 v67, 0
	v_mov_b32_e32 v75, 0
	v_mov_b64_e32 v[56:57], v[30:31]
	v_mov_b32_e32 v74, 0
	v_mov_b64_e32 v[36:37], v[30:31]
	;; [unrolled: 2-line block ×11, first 2 shown]
                                        ; implicit-def: $sgpr14_sgpr15
                                        ; implicit-def: $vgpr60_vgpr61
	s_and_saveexec_b64 s[8:9], vcc
	s_cbranch_execz .LBB409_74
; %bb.49:
	ds_read2_b64 v[30:33], v62 offset0:1 offset1:2
	v_cmp_ne_u64_e32 vcc, v[28:29], v[22:23]
	v_mov_b32_e32 v27, s57
	v_add_u32_e32 v26, 2, v63
	v_cndmask_b32_e64 v64, 0, 1, vcc
	s_waitcnt lgkmcnt(0)
	v_cndmask_b32_e32 v51, v31, v27, vcc
	v_mov_b32_e32 v27, s56
	v_cndmask_b32_e32 v50, v30, v27, vcc
	v_mov_b64_e32 v[30:31], 0
	v_cmp_gt_u32_e32 vcc, s43, v26
	s_mov_b64 s[14:15], 0
	v_mov_b32_e32 v67, 0
	v_mov_b32_e32 v75, 0
	v_mov_b64_e32 v[56:57], v[30:31]
	v_mov_b32_e32 v74, 0
	v_mov_b64_e32 v[36:37], v[30:31]
	;; [unrolled: 2-line block ×10, first 2 shown]
                                        ; implicit-def: $sgpr16_sgpr17
                                        ; implicit-def: $vgpr60_vgpr61
	s_and_saveexec_b64 s[10:11], vcc
	s_cbranch_execz .LBB409_73
; %bb.50:
	v_cmp_ne_u64_e32 vcc, v[22:23], v[24:25]
	v_mov_b32_e32 v22, s57
	v_add_u32_e32 v26, 3, v63
	v_cndmask_b32_e32 v53, v33, v22, vcc
	v_mov_b32_e32 v22, s56
	v_mov_b64_e32 v[30:31], 0
	v_cndmask_b32_e64 v65, 0, 1, vcc
	v_cndmask_b32_e32 v52, v32, v22, vcc
	v_cmp_gt_u32_e32 vcc, s43, v26
	s_mov_b64 s[16:17], 0
	v_mov_b32_e32 v67, 0
	v_mov_b32_e32 v75, 0
	v_mov_b64_e32 v[56:57], v[30:31]
	v_mov_b32_e32 v74, 0
	v_mov_b64_e32 v[36:37], v[30:31]
	;; [unrolled: 2-line block ×9, first 2 shown]
                                        ; implicit-def: $sgpr18_sgpr19
                                        ; implicit-def: $vgpr60_vgpr61
	s_and_saveexec_b64 s[12:13], vcc
	s_cbranch_execz .LBB409_72
; %bb.51:
	ds_read2_b64 v[26:29], v62 offset0:3 offset1:4
	v_cmp_ne_u64_e32 vcc, v[24:25], v[18:19]
	v_mov_b32_e32 v23, s57
	v_add_u32_e32 v22, 4, v63
	v_mov_b64_e32 v[30:31], 0
	s_waitcnt lgkmcnt(0)
	v_cndmask_b32_e32 v47, v27, v23, vcc
	v_mov_b32_e32 v23, s56
	v_cndmask_b32_e64 v66, 0, 1, vcc
	v_cndmask_b32_e32 v46, v26, v23, vcc
	v_cmp_gt_u32_e32 vcc, s43, v22
	s_mov_b64 s[18:19], 0
	v_mov_b32_e32 v67, 0
	v_mov_b32_e32 v75, 0
	v_mov_b64_e32 v[56:57], v[30:31]
	v_mov_b32_e32 v74, 0
	v_mov_b64_e32 v[36:37], v[30:31]
	;; [unrolled: 2-line block ×8, first 2 shown]
                                        ; implicit-def: $sgpr20_sgpr21
                                        ; implicit-def: $vgpr60_vgpr61
	s_and_saveexec_b64 s[14:15], vcc
	s_cbranch_execz .LBB409_71
; %bb.52:
	v_cmp_ne_u64_e32 vcc, v[18:19], v[20:21]
	v_mov_b32_e32 v18, s57
	v_add_u32_e32 v22, 5, v63
	v_cndmask_b32_e32 v49, v29, v18, vcc
	v_mov_b32_e32 v18, s56
	v_mov_b64_e32 v[30:31], 0
	v_cndmask_b32_e64 v68, 0, 1, vcc
	v_cndmask_b32_e32 v48, v28, v18, vcc
	v_cmp_gt_u32_e32 vcc, s43, v22
	s_mov_b64 s[20:21], 0
	v_mov_b32_e32 v67, 0
	v_mov_b32_e32 v75, 0
	v_mov_b64_e32 v[56:57], v[30:31]
	v_mov_b32_e32 v74, 0
	v_mov_b64_e32 v[36:37], v[30:31]
	;; [unrolled: 2-line block ×7, first 2 shown]
                                        ; implicit-def: $sgpr22_sgpr23
                                        ; implicit-def: $vgpr60_vgpr61
	s_and_saveexec_b64 s[16:17], vcc
	s_cbranch_execz .LBB409_70
; %bb.53:
	ds_read2_b64 v[22:25], v62 offset0:5 offset1:6
	v_cmp_ne_u64_e32 vcc, v[20:21], v[14:15]
	v_mov_b32_e32 v19, s57
	v_add_u32_e32 v18, 6, v63
	v_mov_b64_e32 v[30:31], 0
	s_waitcnt lgkmcnt(0)
	v_cndmask_b32_e32 v43, v23, v19, vcc
	v_mov_b32_e32 v19, s56
	v_cndmask_b32_e64 v69, 0, 1, vcc
	v_cndmask_b32_e32 v42, v22, v19, vcc
	v_cmp_gt_u32_e32 vcc, s43, v18
	s_mov_b64 s[22:23], 0
	v_mov_b32_e32 v67, 0
	v_mov_b32_e32 v75, 0
	v_mov_b64_e32 v[56:57], v[30:31]
	v_mov_b32_e32 v74, 0
	v_mov_b64_e32 v[36:37], v[30:31]
	;; [unrolled: 2-line block ×6, first 2 shown]
                                        ; implicit-def: $sgpr24_sgpr25
                                        ; implicit-def: $vgpr60_vgpr61
	s_and_saveexec_b64 s[18:19], vcc
	s_cbranch_execz .LBB409_69
; %bb.54:
	v_cmp_ne_u64_e32 vcc, v[14:15], v[16:17]
	v_mov_b32_e32 v14, s57
	v_add_u32_e32 v18, 7, v63
	v_cndmask_b32_e32 v45, v25, v14, vcc
	v_mov_b32_e32 v14, s56
	v_mov_b64_e32 v[30:31], 0
	v_cndmask_b32_e64 v70, 0, 1, vcc
	v_cndmask_b32_e32 v44, v24, v14, vcc
	v_cmp_gt_u32_e32 vcc, s43, v18
	s_mov_b64 s[24:25], 0
	v_mov_b32_e32 v67, 0
	v_mov_b32_e32 v75, 0
	v_mov_b64_e32 v[56:57], v[30:31]
	v_mov_b32_e32 v74, 0
	v_mov_b64_e32 v[36:37], v[30:31]
	v_mov_b32_e32 v73, 0
	v_mov_b64_e32 v[34:35], v[30:31]
	v_mov_b32_e32 v72, 0
	v_mov_b64_e32 v[40:41], v[30:31]
	v_mov_b32_e32 v71, 0
	v_mov_b64_e32 v[38:39], v[30:31]
                                        ; implicit-def: $sgpr26_sgpr27
                                        ; implicit-def: $vgpr60_vgpr61
	s_and_saveexec_b64 s[20:21], vcc
	s_cbranch_execz .LBB409_68
; %bb.55:
	ds_read2_b64 v[18:21], v62 offset0:7 offset1:8
	v_cmp_ne_u64_e32 vcc, v[16:17], v[10:11]
	v_mov_b32_e32 v15, s57
	v_add_u32_e32 v14, 8, v63
	v_mov_b64_e32 v[30:31], 0
	s_waitcnt lgkmcnt(0)
	v_cndmask_b32_e32 v39, v19, v15, vcc
	v_mov_b32_e32 v15, s56
	v_cndmask_b32_e64 v71, 0, 1, vcc
	v_cndmask_b32_e32 v38, v18, v15, vcc
	v_cmp_gt_u32_e32 vcc, s43, v14
	s_mov_b64 s[26:27], 0
	v_mov_b32_e32 v67, 0
	v_mov_b32_e32 v75, 0
	v_mov_b64_e32 v[56:57], v[30:31]
	v_mov_b32_e32 v74, 0
	v_mov_b64_e32 v[36:37], v[30:31]
	;; [unrolled: 2-line block ×4, first 2 shown]
                                        ; implicit-def: $sgpr28_sgpr29
                                        ; implicit-def: $vgpr60_vgpr61
	s_and_saveexec_b64 s[22:23], vcc
	s_cbranch_execz .LBB409_67
; %bb.56:
	v_cmp_ne_u64_e32 vcc, v[10:11], v[12:13]
	v_mov_b32_e32 v10, s57
	v_add_u32_e32 v14, 9, v63
	v_cndmask_b32_e32 v41, v21, v10, vcc
	v_mov_b32_e32 v10, s56
	v_mov_b64_e32 v[30:31], 0
	v_cndmask_b32_e64 v72, 0, 1, vcc
	v_cndmask_b32_e32 v40, v20, v10, vcc
	v_cmp_gt_u32_e32 vcc, s43, v14
	s_mov_b64 s[28:29], 0
	v_mov_b32_e32 v67, 0
	v_mov_b32_e32 v75, 0
	v_mov_b64_e32 v[56:57], v[30:31]
	v_mov_b32_e32 v74, 0
	v_mov_b64_e32 v[36:37], v[30:31]
	;; [unrolled: 2-line block ×3, first 2 shown]
                                        ; implicit-def: $sgpr30_sgpr31
                                        ; implicit-def: $vgpr60_vgpr61
	s_and_saveexec_b64 s[24:25], vcc
	s_cbranch_execz .LBB409_66
; %bb.57:
	ds_read2_b64 v[14:17], v62 offset0:9 offset1:10
	v_cmp_ne_u64_e32 vcc, v[12:13], v[6:7]
	v_mov_b32_e32 v11, s57
	v_add_u32_e32 v10, 10, v63
	v_mov_b64_e32 v[30:31], 0
	s_waitcnt lgkmcnt(0)
	v_cndmask_b32_e32 v35, v15, v11, vcc
	v_mov_b32_e32 v11, s56
	v_cndmask_b32_e64 v73, 0, 1, vcc
	v_cndmask_b32_e32 v34, v14, v11, vcc
	v_cmp_gt_u32_e32 vcc, s43, v10
	s_mov_b64 s[30:31], 0
	v_mov_b32_e32 v67, 0
	v_mov_b32_e32 v75, 0
	v_mov_b64_e32 v[56:57], v[30:31]
	v_mov_b32_e32 v74, 0
	v_mov_b64_e32 v[36:37], v[30:31]
                                        ; implicit-def: $sgpr52_sgpr53
                                        ; implicit-def: $vgpr60_vgpr61
	s_and_saveexec_b64 s[26:27], vcc
	s_cbranch_execz .LBB409_65
; %bb.58:
	v_cmp_ne_u64_e32 vcc, v[6:7], v[8:9]
	v_mov_b32_e32 v6, s57
	v_add_u32_e32 v10, 11, v63
	v_cndmask_b32_e32 v37, v17, v6, vcc
	v_mov_b32_e32 v6, s56
	v_mov_b64_e32 v[30:31], 0
	v_cndmask_b32_e64 v74, 0, 1, vcc
	v_cndmask_b32_e32 v36, v16, v6, vcc
	v_cmp_gt_u32_e32 vcc, s43, v10
	s_mov_b64 s[52:53], 0
	v_mov_b32_e32 v67, 0
	v_mov_b32_e32 v75, 0
	v_mov_b64_e32 v[56:57], v[30:31]
                                        ; implicit-def: $sgpr60_sgpr61
                                        ; implicit-def: $vgpr60_vgpr61
	s_and_saveexec_b64 s[28:29], vcc
	s_cbranch_execz .LBB409_64
; %bb.59:
	ds_read2_b64 v[10:13], v62 offset0:11 offset1:12
	v_cmp_ne_u64_e32 vcc, v[8:9], v[2:3]
	v_mov_b32_e32 v7, s57
	v_add_u32_e32 v6, 12, v63
	v_cndmask_b32_e64 v75, 0, 1, vcc
	s_waitcnt lgkmcnt(0)
	v_cndmask_b32_e32 v57, v11, v7, vcc
	v_mov_b32_e32 v7, s56
	v_cndmask_b32_e32 v56, v10, v7, vcc
	v_cmp_gt_u32_e32 vcc, s43, v6
	v_mov_b32_e32 v67, 0
	v_mov_b64_e32 v[30:31], 0
                                        ; implicit-def: $sgpr60_sgpr61
                                        ; implicit-def: $vgpr60_vgpr61
	s_and_saveexec_b64 s[30:31], vcc
	s_cbranch_execz .LBB409_63
; %bb.60:
	v_cmp_ne_u64_e32 vcc, v[2:3], v[4:5]
	v_mov_b32_e32 v2, s57
	v_add_u32_e32 v6, 13, v63
	v_cndmask_b32_e32 v31, v13, v2, vcc
	v_mov_b32_e32 v2, s56
	v_cndmask_b32_e64 v67, 0, 1, vcc
	v_cndmask_b32_e32 v30, v12, v2, vcc
	v_cmp_gt_u32_e32 vcc, s43, v6
                                        ; implicit-def: $sgpr60_sgpr61
                                        ; implicit-def: $vgpr60_vgpr61
	s_and_saveexec_b64 s[62:63], vcc
	s_xor_b64 s[62:63], exec, s[62:63]
	s_cbranch_execz .LBB409_62
; %bb.61:
	ds_read_b64 v[2:3], v62 offset:104
	v_mov_b32_e32 v6, s57
	v_mov_b32_e32 v7, s56
	v_cmp_ne_u64_e32 vcc, v[4:5], v[58:59]
	s_mov_b64 s[52:53], exec
	s_and_b64 s[60:61], vcc, exec
	s_waitcnt lgkmcnt(0)
	v_cndmask_b32_e32 v61, v3, v6, vcc
	v_cndmask_b32_e32 v60, v2, v7, vcc
.LBB409_62:
	s_or_b64 exec, exec, s[62:63]
	s_and_b64 s[60:61], s[60:61], exec
	s_and_b64 s[52:53], s[52:53], exec
.LBB409_63:
	s_or_b64 exec, exec, s[30:31]
	s_and_b64 s[60:61], s[60:61], exec
	s_and_b64 s[30:31], s[52:53], exec
.LBB409_64:
	s_or_b64 exec, exec, s[28:29]
	s_and_b64 s[52:53], s[60:61], exec
	s_and_b64 s[28:29], s[30:31], exec
.LBB409_65:
	s_or_b64 exec, exec, s[26:27]
	s_and_b64 s[30:31], s[52:53], exec
	s_and_b64 s[26:27], s[28:29], exec
.LBB409_66:
	s_or_b64 exec, exec, s[24:25]
	s_and_b64 s[28:29], s[30:31], exec
	s_and_b64 s[24:25], s[26:27], exec
.LBB409_67:
	s_or_b64 exec, exec, s[22:23]
	s_and_b64 s[26:27], s[28:29], exec
	s_and_b64 s[22:23], s[24:25], exec
.LBB409_68:
	s_or_b64 exec, exec, s[20:21]
	s_and_b64 s[24:25], s[26:27], exec
	s_and_b64 s[20:21], s[22:23], exec
.LBB409_69:
	s_or_b64 exec, exec, s[18:19]
	s_and_b64 s[22:23], s[24:25], exec
	s_and_b64 s[18:19], s[20:21], exec
.LBB409_70:
	s_or_b64 exec, exec, s[16:17]
	s_and_b64 s[20:21], s[22:23], exec
	s_and_b64 s[16:17], s[18:19], exec
.LBB409_71:
	s_or_b64 exec, exec, s[14:15]
	s_and_b64 s[18:19], s[20:21], exec
	s_and_b64 s[14:15], s[16:17], exec
.LBB409_72:
	s_or_b64 exec, exec, s[12:13]
	s_and_b64 s[16:17], s[18:19], exec
	s_and_b64 s[12:13], s[14:15], exec
.LBB409_73:
	s_or_b64 exec, exec, s[10:11]
	s_and_b64 s[14:15], s[16:17], exec
	s_and_b64 s[10:11], s[12:13], exec
.LBB409_74:
	s_or_b64 exec, exec, s[8:9]
	s_and_b64 s[8:9], s[14:15], exec
	s_and_b64 s[10:11], s[10:11], exec
.LBB409_75:
	s_or_b64 exec, exec, s[6:7]
	s_mov_b64 s[6:7], 0
	s_and_b64 vcc, exec, s[4:5]
	v_lshlrev_b32_e32 v58, 3, v0
	s_cbranch_vccnz .LBB409_77
	s_branch .LBB409_82
.LBB409_76:
	s_mov_b64 s[10:11], 0
                                        ; implicit-def: $sgpr8_sgpr9
                                        ; implicit-def: $vgpr60_vgpr61
                                        ; implicit-def: $vgpr54_vgpr55
                                        ; implicit-def: $vgpr67
                                        ; implicit-def: $vgpr30_vgpr31
                                        ; implicit-def: $vgpr75
                                        ; implicit-def: $vgpr56_vgpr57
                                        ; implicit-def: $vgpr74
                                        ; implicit-def: $vgpr36_vgpr37
                                        ; implicit-def: $vgpr73
                                        ; implicit-def: $vgpr34_vgpr35
                                        ; implicit-def: $vgpr72
                                        ; implicit-def: $vgpr40_vgpr41
                                        ; implicit-def: $vgpr71
                                        ; implicit-def: $vgpr38_vgpr39
                                        ; implicit-def: $vgpr70
                                        ; implicit-def: $vgpr44_vgpr45
                                        ; implicit-def: $vgpr69
                                        ; implicit-def: $vgpr42_vgpr43
                                        ; implicit-def: $vgpr68
                                        ; implicit-def: $vgpr48_vgpr49
                                        ; implicit-def: $vgpr66
                                        ; implicit-def: $vgpr46_vgpr47
                                        ; implicit-def: $vgpr65
                                        ; implicit-def: $vgpr52_vgpr53
                                        ; implicit-def: $vgpr64
                                        ; implicit-def: $vgpr50_vgpr51
                                        ; implicit-def: $vgpr1
                                        ; implicit-def: $sgpr3
                                        ; implicit-def: $sgpr6_sgpr7
	s_and_b64 vcc, exec, s[4:5]
	v_lshlrev_b32_e32 v58, 3, v0
	s_cbranch_vccz .LBB409_82
.LBB409_77:
	v_mov_b32_e32 v59, 0
	v_lshl_add_u64 v[2:3], s[48:49], 0, v[58:59]
	v_add_co_u32_e32 v4, vcc, 0x1000, v2
	s_movk_i32 s3, 0x7000
	s_nop 0
	v_addc_co_u32_e32 v5, vcc, 0, v3, vcc
	flat_load_dwordx2 v[6:7], v[2:3]
	flat_load_dwordx2 v[8:9], v[2:3] offset:2048
	flat_load_dwordx2 v[10:11], v[4:5]
	flat_load_dwordx2 v[12:13], v[4:5] offset:2048
	v_add_co_u32_e32 v4, vcc, 0x2000, v2
	v_mov_b32_e32 v1, s48
	s_nop 0
	v_addc_co_u32_e32 v5, vcc, 0, v3, vcc
	v_add_co_u32_e32 v14, vcc, 0x3000, v2
	s_movk_i32 s4, 0x68
	s_nop 0
	v_addc_co_u32_e32 v15, vcc, 0, v3, vcc
	flat_load_dwordx2 v[16:17], v[4:5]
	flat_load_dwordx2 v[18:19], v[4:5] offset:2048
	flat_load_dwordx2 v[20:21], v[14:15]
	flat_load_dwordx2 v[22:23], v[14:15] offset:2048
	v_add_co_u32_e32 v4, vcc, 0x4000, v2
	s_movk_i32 s10, 0x1000
	s_nop 0
	v_addc_co_u32_e32 v5, vcc, 0, v3, vcc
	v_add_co_u32_e32 v14, vcc, 0x5000, v2
	s_movk_i32 s9, 0x2000
	s_nop 0
	v_addc_co_u32_e32 v15, vcc, 0, v3, vcc
	v_add_co_u32_e32 v2, vcc, 0x6000, v2
	flat_load_dwordx2 v[24:25], v[4:5]
	flat_load_dwordx2 v[26:27], v[4:5] offset:2048
	flat_load_dwordx2 v[28:29], v[14:15]
	flat_load_dwordx2 v[30:31], v[14:15] offset:2048
	v_addc_co_u32_e32 v3, vcc, 0, v3, vcc
	flat_load_dwordx2 v[4:5], v[2:3]
	flat_load_dwordx2 v[14:15], v[2:3] offset:2048
	v_mov_b32_e32 v3, s49
	v_add_co_u32_e32 v2, vcc, s3, v1
	v_mad_u32_u24 v1, v0, s4, v58
	s_nop 0
	v_addc_co_u32_e32 v3, vcc, 0, v3, vcc
	s_movk_i32 s4, 0xff98
	s_movk_i32 s8, 0x3000
	;; [unrolled: 1-line block ×5, first 2 shown]
	s_waitcnt vmcnt(0) lgkmcnt(0)
	ds_write2st64_b64 v58, v[6:7], v[8:9] offset1:4
	ds_write2st64_b64 v58, v[10:11], v[12:13] offset0:8 offset1:12
	ds_write2st64_b64 v58, v[16:17], v[18:19] offset0:16 offset1:20
	;; [unrolled: 1-line block ×6, first 2 shown]
	s_waitcnt lgkmcnt(0)
	s_barrier
	flat_load_dwordx2 v[60:61], v[2:3]
	v_mad_i32_i24 v26, v0, s4, v1
	s_movk_i32 s4, 0xff
	v_cmp_ne_u32_e32 vcc, s4, v0
	ds_read_b128 v[30:33], v1
	ds_read_b128 v[22:25], v1 offset:16
	ds_read_b128 v[18:21], v1 offset:32
	;; [unrolled: 1-line block ×6, first 2 shown]
	s_waitcnt lgkmcnt(0)
	ds_write_b64 v26, v[30:31] offset:30720
	s_waitcnt lgkmcnt(0)
	s_barrier
	s_and_saveexec_b64 s[4:5], vcc
	s_cbranch_execz .LBB409_79
; %bb.78:
	s_waitcnt vmcnt(0)
	ds_read_b64 v[60:61], v58 offset:30728
.LBB409_79:
	s_or_b64 exec, exec, s[4:5]
	v_lshl_add_u64 v[26:27], s[46:47], 0, v[58:59]
	v_add_co_u32_e32 v28, vcc, s10, v26
	s_waitcnt lgkmcnt(0)
	s_nop 0
	v_addc_co_u32_e32 v29, vcc, 0, v27, vcc
	s_barrier
	flat_load_dwordx2 v[34:35], v[26:27]
	flat_load_dwordx2 v[36:37], v[26:27] offset:2048
	flat_load_dwordx2 v[38:39], v[28:29]
	flat_load_dwordx2 v[40:41], v[28:29] offset:2048
	v_add_co_u32_e32 v28, vcc, s9, v26
	v_cmp_eq_u64_e64 s[4:5], v[30:31], v[32:33]
	s_nop 0
	v_addc_co_u32_e32 v29, vcc, 0, v27, vcc
	v_add_co_u32_e32 v42, vcc, s8, v26
	s_nop 1
	v_addc_co_u32_e32 v43, vcc, 0, v27, vcc
	flat_load_dwordx2 v[44:45], v[28:29]
	flat_load_dwordx2 v[46:47], v[28:29] offset:2048
	flat_load_dwordx2 v[48:49], v[42:43]
	flat_load_dwordx2 v[50:51], v[42:43] offset:2048
	v_add_co_u32_e32 v28, vcc, s7, v26
	s_nop 1
	v_addc_co_u32_e32 v29, vcc, 0, v27, vcc
	v_add_co_u32_e32 v42, vcc, s6, v26
	s_nop 1
	v_addc_co_u32_e32 v43, vcc, 0, v27, vcc
	v_add_co_u32_e32 v26, vcc, s3, v26
	flat_load_dwordx2 v[52:53], v[28:29]
	flat_load_dwordx2 v[54:55], v[28:29] offset:2048
	flat_load_dwordx2 v[56:57], v[42:43]
	flat_load_dwordx2 v[62:63], v[42:43] offset:2048
	v_addc_co_u32_e32 v27, vcc, 0, v27, vcc
	flat_load_dwordx2 v[28:29], v[26:27]
	flat_load_dwordx2 v[42:43], v[26:27] offset:2048
	v_cmp_ne_u64_e32 vcc, v[30:31], v[32:33]
	s_waitcnt vmcnt(0) lgkmcnt(0)
	ds_write2st64_b64 v58, v[34:35], v[36:37] offset1:4
	ds_write2st64_b64 v58, v[38:39], v[40:41] offset0:8 offset1:12
	ds_write2st64_b64 v58, v[44:45], v[46:47] offset0:16 offset1:20
	;; [unrolled: 1-line block ×6, first 2 shown]
	s_waitcnt lgkmcnt(0)
	s_barrier
	ds_read2_b64 v[50:53], v1 offset0:1 offset1:2
	ds_read2_b64 v[46:49], v1 offset0:3 offset1:4
	;; [unrolled: 1-line block ×6, first 2 shown]
	ds_read_b64 v[62:63], v1 offset:104
	v_mov_b64_e32 v[54:55], s[56:57]
	s_and_saveexec_b64 s[6:7], s[4:5]
	s_cbranch_execz .LBB409_81
; %bb.80:
	ds_read_b64 v[54:55], v1
.LBB409_81:
	s_or_b64 exec, exec, s[6:7]
	v_cmp_ne_u64_e64 s[8:9], v[18:19], v[20:21]
	v_cmp_ne_u64_e64 s[22:23], v[8:9], v[2:3]
	;; [unrolled: 1-line block ×3, first 2 shown]
	v_mov_b32_e32 v2, s57
	v_mov_b32_e32 v3, s56
	v_cndmask_b32_e64 v1, 0, 1, vcc
	v_cmp_ne_u64_e32 vcc, v[32:33], v[22:23]
	v_cmp_ne_u64_e64 s[4:5], v[22:23], v[24:25]
	v_cmp_ne_u64_e64 s[6:7], v[24:25], v[18:19]
	v_cndmask_b32_e64 v68, 0, 1, s[8:9]
	v_cmp_ne_u64_e64 s[10:11], v[20:21], v[14:15]
	v_cmp_ne_u64_e64 s[12:13], v[14:15], v[16:17]
	;; [unrolled: 1-line block ×6, first 2 shown]
	s_waitcnt lgkmcnt(5)
	v_cndmask_b32_e64 v49, v49, v2, s[8:9]
	v_cndmask_b32_e64 v48, v48, v3, s[8:9]
	v_cmp_ne_u64_e64 s[8:9], v[4:5], v[60:61]
	v_cndmask_b32_e64 v64, 0, 1, vcc
	v_cndmask_b32_e64 v65, 0, 1, s[4:5]
	v_cndmask_b32_e64 v66, 0, 1, s[6:7]
	;; [unrolled: 1-line block ×10, first 2 shown]
	v_cndmask_b32_e32 v51, v51, v2, vcc
	v_cndmask_b32_e32 v50, v50, v3, vcc
	v_cndmask_b32_e64 v53, v53, v2, s[4:5]
	v_cndmask_b32_e64 v52, v52, v3, s[4:5]
	v_cndmask_b32_e64 v47, v47, v2, s[6:7]
	v_cndmask_b32_e64 v46, v46, v3, s[6:7]
	s_waitcnt lgkmcnt(4)
	v_cndmask_b32_e64 v43, v43, v2, s[10:11]
	v_cndmask_b32_e64 v42, v42, v3, s[10:11]
	v_cndmask_b32_e64 v45, v45, v2, s[12:13]
	v_cndmask_b32_e64 v44, v44, v3, s[12:13]
	s_waitcnt lgkmcnt(3)
	;; [unrolled: 5-line block ×5, first 2 shown]
	v_cndmask_b32_e64 v61, v63, v2, s[8:9]
	v_cndmask_b32_e64 v60, v62, v3, s[8:9]
	s_mov_b64 s[10:11], -1
                                        ; implicit-def: $sgpr3
                                        ; implicit-def: $sgpr6_sgpr7
.LBB409_82:
	v_mov_b64_e32 v[28:29], s[6:7]
	v_mov_b32_e32 v59, s3
	s_and_saveexec_b64 s[4:5], s[10:11]
; %bb.83:
	v_cndmask_b32_e64 v59, 0, 1, s[8:9]
	v_mov_b64_e32 v[28:29], v[60:61]
; %bb.84:
	s_or_b64 exec, exec, s[4:5]
	v_or_b32_e32 v2, v59, v67
	s_cmp_lg_u32 s2, 0
	v_or_b32_e32 v63, v2, v75
	v_mbcnt_lo_u32_b32 v62, -1, 0
	s_barrier
	s_cbranch_scc0 .LBB409_169
; %bb.85:
	v_mov_b32_e32 v4, 0
	v_cmp_eq_u16_sdwa s[24:25], v64, v4 src0_sel:BYTE_0 src1_sel:DWORD
	v_cmp_eq_u16_sdwa s[22:23], v65, v4 src0_sel:BYTE_0 src1_sel:DWORD
	v_cmp_eq_u16_sdwa s[20:21], v66, v4 src0_sel:BYTE_0 src1_sel:DWORD
	v_cndmask_b32_e64 v2, 1, v54, s[24:25]
	v_cndmask_b32_e64 v3, 0, v55, s[24:25]
	v_mul_lo_u32 v5, v3, v50
	v_mul_lo_u32 v6, v2, v51
	v_mad_u64_u32 v[2:3], s[4:5], v2, v50, 0
	v_add3_u32 v3, v3, v6, v5
	v_cndmask_b32_e64 v3, 0, v3, s[22:23]
	v_cndmask_b32_e64 v2, 1, v2, s[22:23]
	v_mul_lo_u32 v5, v3, v52
	v_mul_lo_u32 v6, v2, v53
	v_mad_u64_u32 v[2:3], s[4:5], v2, v52, 0
	v_add3_u32 v3, v3, v6, v5
	v_cndmask_b32_e64 v3, 0, v3, s[20:21]
	v_cndmask_b32_e64 v2, 1, v2, s[20:21]
	v_mul_lo_u32 v5, v3, v46
	v_mul_lo_u32 v6, v2, v47
	v_mad_u64_u32 v[2:3], s[4:5], v2, v46, 0
	v_add3_u32 v3, v3, v6, v5
	v_cmp_eq_u16_sdwa s[18:19], v68, v4 src0_sel:BYTE_0 src1_sel:DWORD
	v_cmp_eq_u16_sdwa s[16:17], v69, v4 src0_sel:BYTE_0 src1_sel:DWORD
	v_cmp_eq_u16_sdwa s[14:15], v70, v4 src0_sel:BYTE_0 src1_sel:DWORD
	v_cndmask_b32_e64 v3, 0, v3, s[18:19]
	v_cndmask_b32_e64 v2, 1, v2, s[18:19]
	v_mul_lo_u32 v5, v3, v48
	v_mul_lo_u32 v6, v2, v49
	v_mad_u64_u32 v[2:3], s[4:5], v2, v48, 0
	v_add3_u32 v3, v3, v6, v5
	v_cndmask_b32_e64 v3, 0, v3, s[16:17]
	v_cndmask_b32_e64 v2, 1, v2, s[16:17]
	v_mul_lo_u32 v5, v3, v42
	v_mul_lo_u32 v6, v2, v43
	v_mad_u64_u32 v[2:3], s[4:5], v2, v42, 0
	v_add3_u32 v3, v3, v6, v5
	v_cndmask_b32_e64 v3, 0, v3, s[14:15]
	v_cndmask_b32_e64 v2, 1, v2, s[14:15]
	v_mul_lo_u32 v5, v3, v44
	v_mul_lo_u32 v6, v2, v45
	v_mad_u64_u32 v[2:3], s[4:5], v2, v44, 0
	v_add3_u32 v3, v3, v6, v5
	;; [unrolled: 21-line block ×3, first 2 shown]
	v_cmp_eq_u16_sdwa s[6:7], v74, v4 src0_sel:BYTE_0 src1_sel:DWORD
	v_cmp_eq_u16_sdwa s[28:29], v67, v4 src0_sel:BYTE_0 src1_sel:DWORD
	v_cmp_eq_u16_sdwa vcc, v59, v4 src0_sel:BYTE_0 src1_sel:DWORD
	v_cndmask_b32_e64 v3, 0, v3, s[6:7]
	v_cndmask_b32_e64 v2, 1, v2, s[6:7]
	v_mul_lo_u32 v5, v3, v36
	v_mul_lo_u32 v6, v2, v37
	v_mad_u64_u32 v[2:3], s[4:5], v2, v36, 0
	v_add3_u32 v3, v3, v6, v5
	v_cmp_eq_u16_sdwa s[4:5], v75, v4 src0_sel:BYTE_0 src1_sel:DWORD
	v_mbcnt_hi_u32_b32 v9, -1, v62
	s_nop 0
	v_cndmask_b32_e64 v3, 0, v3, s[4:5]
	v_cndmask_b32_e64 v2, 1, v2, s[4:5]
	v_mul_lo_u32 v5, v3, v56
	v_mul_lo_u32 v6, v2, v57
	v_mad_u64_u32 v[2:3], s[26:27], v2, v56, 0
	v_add3_u32 v3, v3, v6, v5
	v_cndmask_b32_e64 v3, 0, v3, s[28:29]
	v_cndmask_b32_e64 v2, 1, v2, s[28:29]
	v_mul_lo_u32 v5, v3, v30
	v_mul_lo_u32 v6, v2, v31
	v_mad_u64_u32 v[2:3], s[26:27], v2, v30, 0
	v_add3_u32 v3, v3, v6, v5
	v_cndmask_b32_e32 v3, 0, v3, vcc
	v_cndmask_b32_e32 v2, 1, v2, vcc
	v_mul_lo_u32 v4, v3, v28
	v_mul_lo_u32 v5, v2, v29
	v_mad_u64_u32 v[2:3], s[26:27], v2, v28, 0
	v_add3_u32 v3, v3, v5, v4
	v_or_b32_e32 v4, v63, v74
	v_or_b32_e32 v4, v4, v73
	;; [unrolled: 1-line block ×11, first 2 shown]
	v_and_b32_e32 v8, 1, v4
	v_and_b32_e32 v6, 15, v9
	v_cmp_eq_u32_e32 vcc, 1, v8
	v_mov_b32_dpp v11, v2 row_shr:1 row_mask:0xf bank_mask:0xf
	v_mov_b32_dpp v12, v3 row_shr:1 row_mask:0xf bank_mask:0xf
	;; [unrolled: 1-line block ×3, first 2 shown]
	v_cmp_ne_u32_e64 s[26:27], 0, v6
	v_mov_b64_e32 v[4:5], v[2:3]
	v_mov_b32_e32 v7, v8
	s_and_saveexec_b64 s[30:31], s[26:27]
; %bb.86:
	v_cndmask_b32_e64 v4, v12, 0, vcc
	v_cndmask_b32_e64 v5, v11, 1, vcc
	v_mul_lo_u32 v4, v4, v2
	v_mul_lo_u32 v7, v5, v3
	v_mad_u64_u32 v[2:3], s[26:27], v5, v2, 0
	v_add3_u32 v3, v3, v7, v4
	v_and_b32_e32 v4, 1, v10
	v_or_b32_e32 v8, v4, v8
	v_and_b32_e32 v7, 0xffff, v8
	v_mov_b64_e32 v[4:5], v[2:3]
; %bb.87:
	s_or_b64 exec, exec, s[30:31]
	v_mov_b32_dpp v11, v2 row_shr:2 row_mask:0xf bank_mask:0xf
	v_mov_b32_dpp v12, v3 row_shr:2 row_mask:0xf bank_mask:0xf
	v_mov_b32_dpp v10, v7 row_shr:2 row_mask:0xf bank_mask:0xf
	v_cmp_lt_u32_e32 vcc, 1, v6
	s_and_saveexec_b64 s[30:31], vcc
	s_cbranch_execz .LBB409_89
; %bb.88:
	v_cmp_eq_u16_e32 vcc, 0, v8
	s_nop 1
	v_cndmask_b32_e32 v2, 1, v11, vcc
	v_cndmask_b32_e32 v7, 0, v12, vcc
	v_mul_lo_u32 v5, v2, v5
	v_mad_u64_u32 v[2:3], s[26:27], v2, v4, 0
	v_mul_lo_u32 v4, v7, v4
	v_add3_u32 v3, v3, v5, v4
	v_and_b32_e32 v4, 1, v8
	v_cmp_eq_u32_e32 vcc, 1, v4
	v_and_b32_e32 v4, 1, v10
	v_cmp_eq_u32_e64 s[26:27], 1, v4
	s_or_b64 s[26:27], vcc, s[26:27]
	v_mov_b64_e32 v[4:5], v[2:3]
	v_cndmask_b32_e64 v8, 0, 1, s[26:27]
	v_cndmask_b32_e64 v7, 0, 1, s[26:27]
.LBB409_89:
	s_or_b64 exec, exec, s[30:31]
	v_mov_b32_dpp v11, v2 row_shr:4 row_mask:0xf bank_mask:0xf
	v_mov_b32_dpp v12, v3 row_shr:4 row_mask:0xf bank_mask:0xf
	v_mov_b32_dpp v10, v7 row_shr:4 row_mask:0xf bank_mask:0xf
	v_cmp_lt_u32_e32 vcc, 3, v6
	s_and_saveexec_b64 s[30:31], vcc
	s_cbranch_execz .LBB409_91
; %bb.90:
	v_cmp_eq_u16_e32 vcc, 0, v8
	s_nop 1
	v_cndmask_b32_e32 v2, 1, v11, vcc
	v_cndmask_b32_e32 v7, 0, v12, vcc
	v_mul_lo_u32 v5, v2, v5
	v_mad_u64_u32 v[2:3], s[26:27], v2, v4, 0
	v_mul_lo_u32 v4, v7, v4
	v_add3_u32 v3, v3, v5, v4
	v_and_b32_e32 v4, 1, v8
	v_cmp_eq_u32_e32 vcc, 1, v4
	v_and_b32_e32 v4, 1, v10
	v_cmp_eq_u32_e64 s[26:27], 1, v4
	s_or_b64 s[26:27], vcc, s[26:27]
	v_mov_b64_e32 v[4:5], v[2:3]
	v_cndmask_b32_e64 v8, 0, 1, s[26:27]
	v_cndmask_b32_e64 v7, 0, 1, s[26:27]
.LBB409_91:
	;; [unrolled: 25-line block ×3, first 2 shown]
	s_or_b64 exec, exec, s[30:31]
	v_and_b32_e32 v12, 16, v9
	v_mov_b32_dpp v10, v2 row_bcast:15 row_mask:0xf bank_mask:0xf
	v_mov_b32_dpp v11, v3 row_bcast:15 row_mask:0xf bank_mask:0xf
	;; [unrolled: 1-line block ×3, first 2 shown]
	v_cmp_ne_u32_e32 vcc, 0, v12
	s_and_saveexec_b64 s[30:31], vcc
	s_cbranch_execz .LBB409_95
; %bb.94:
	v_cmp_eq_u16_e32 vcc, 0, v8
	s_nop 1
	v_cndmask_b32_e32 v2, 1, v10, vcc
	v_cndmask_b32_e32 v7, 0, v11, vcc
	v_mul_lo_u32 v5, v2, v5
	v_mad_u64_u32 v[2:3], s[26:27], v2, v4, 0
	v_mul_lo_u32 v4, v7, v4
	v_add3_u32 v3, v3, v5, v4
	v_and_b32_e32 v4, 1, v8
	v_cmp_eq_u32_e32 vcc, 1, v4
	v_and_b32_e32 v4, 1, v6
	v_cmp_eq_u32_e64 s[26:27], 1, v4
	s_or_b64 s[26:27], vcc, s[26:27]
	v_mov_b64_e32 v[4:5], v[2:3]
	v_cndmask_b32_e64 v8, 0, 1, s[26:27]
	v_cndmask_b32_e64 v7, 0, 1, s[26:27]
.LBB409_95:
	s_or_b64 exec, exec, s[30:31]
	v_mov_b32_dpp v10, v2 row_bcast:31 row_mask:0xf bank_mask:0xf
	v_mov_b32_dpp v11, v3 row_bcast:31 row_mask:0xf bank_mask:0xf
	;; [unrolled: 1-line block ×3, first 2 shown]
	v_cmp_lt_u32_e32 vcc, 31, v9
	s_and_saveexec_b64 s[30:31], vcc
	s_cbranch_execz .LBB409_97
; %bb.96:
	v_cmp_eq_u16_e32 vcc, 0, v8
	s_nop 1
	v_cndmask_b32_e32 v2, 1, v10, vcc
	v_cndmask_b32_e32 v7, 0, v11, vcc
	v_mul_lo_u32 v5, v2, v5
	v_mad_u64_u32 v[2:3], s[26:27], v2, v4, 0
	v_mul_lo_u32 v4, v7, v4
	v_add3_u32 v3, v3, v5, v4
	v_and_b32_e32 v4, 1, v8
	v_cmp_eq_u32_e32 vcc, 1, v4
	v_and_b32_e32 v4, 1, v6
	v_cmp_eq_u32_e64 s[26:27], 1, v4
	s_or_b64 s[26:27], vcc, s[26:27]
	v_mov_b64_e32 v[4:5], v[2:3]
	v_cndmask_b32_e64 v8, 0, 1, s[26:27]
.LBB409_97:
	s_or_b64 exec, exec, s[30:31]
	v_or_b32_e32 v6, 63, v0
	v_lshrrev_b32_e32 v10, 6, v0
	v_cmp_eq_u32_e32 vcc, v6, v0
	s_and_saveexec_b64 s[26:27], vcc
	s_cbranch_execz .LBB409_99
; %bb.98:
	v_lshlrev_b32_e32 v6, 4, v10
	ds_write_b64 v6, v[4:5]
	ds_write_b8 v6, v8 offset:8
.LBB409_99:
	s_or_b64 exec, exec, s[26:27]
	v_cmp_gt_u32_e32 vcc, 4, v0
	s_waitcnt lgkmcnt(0)
	s_barrier
	s_and_saveexec_b64 s[30:31], vcc
	s_cbranch_execz .LBB409_105
; %bb.100:
	v_lshlrev_b32_e32 v11, 4, v0
	ds_read_b64 v[4:5], v11
	ds_read_b32 v12, v11 offset:8
	v_and_b32_e32 v13, 3, v9
	v_cmp_ne_u32_e32 vcc, 0, v13
	s_waitcnt lgkmcnt(1)
	v_mov_b32_dpp v17, v4 row_shr:1 row_mask:0xf bank_mask:0xf
	v_mov_b32_dpp v18, v5 row_shr:1 row_mask:0xf bank_mask:0xf
	s_waitcnt lgkmcnt(0)
	v_mov_b32_dpp v16, v12 row_shr:1 row_mask:0xf bank_mask:0xf
	v_mov_b32_e32 v15, v12
	v_mov_b32_e32 v14, v12
	;; [unrolled: 1-line block ×4, first 2 shown]
	s_and_saveexec_b64 s[26:27], vcc
	s_cbranch_execz .LBB409_102
; %bb.101:
	v_mov_b32_e32 v6, 0
	v_cmp_eq_u16_sdwa vcc, v12, v6 src0_sel:BYTE_0 src1_sel:DWORD
	s_movk_i32 s3, 0xff00
	s_nop 0
	v_cndmask_b32_e32 v6, 1, v17, vcc
	v_cndmask_b32_e32 v14, 0, v18, vcc
	v_mul_lo_u32 v5, v6, v5
	v_mad_u64_u32 v[6:7], s[46:47], v6, v4, 0
	v_mul_lo_u32 v4, v14, v4
	v_add3_u32 v7, v7, v5, v4
	v_or_b32_e32 v4, v16, v12
	v_and_b32_e32 v14, 1, v4
	v_and_b32_e32 v15, 1, v4
	v_and_or_b32 v12, v12, s3, v14
	v_mov_b64_e32 v[4:5], v[6:7]
.LBB409_102:
	s_or_b64 exec, exec, s[26:27]
	v_mov_b32_dpp v16, v6 row_shr:2 row_mask:0xf bank_mask:0xf
	v_mov_b32_dpp v7, v7 row_shr:2 row_mask:0xf bank_mask:0xf
	;; [unrolled: 1-line block ×3, first 2 shown]
	v_cmp_lt_u32_e32 vcc, 1, v13
	s_and_saveexec_b64 s[46:47], vcc
	s_cbranch_execz .LBB409_104
; %bb.103:
	v_mov_b32_e32 v12, 0
	v_cmp_eq_u16_sdwa vcc, v14, v12 src0_sel:BYTE_0 src1_sel:DWORD
	s_nop 1
	v_cndmask_b32_e32 v12, 1, v16, vcc
	v_cndmask_b32_e32 v7, 0, v7, vcc
	v_mul_lo_u32 v5, v12, v5
	v_mad_u64_u32 v[12:13], s[26:27], v12, v4, 0
	v_mul_lo_u32 v4, v7, v4
	v_add3_u32 v13, v13, v5, v4
	v_and_b32_e32 v4, 1, v14
	v_cmp_eq_u32_e32 vcc, 1, v4
	v_and_b32_e32 v4, 1, v6
	v_cmp_eq_u32_e64 s[26:27], 1, v4
	s_or_b64 s[26:27], vcc, s[26:27]
	v_mov_b64_e32 v[4:5], v[12:13]
	v_cndmask_b32_e64 v15, 0, 1, s[26:27]
.LBB409_104:
	s_or_b64 exec, exec, s[46:47]
	ds_write_b64 v11, v[4:5]
	ds_write_b8 v11, v15 offset:8
.LBB409_105:
	s_or_b64 exec, exec, s[30:31]
	v_cmp_gt_u32_e32 vcc, 64, v0
	v_cmp_lt_u32_e64 s[26:27], 63, v0
	v_mov_b32_e32 v18, 0
	v_mov_b64_e32 v[6:7], 0
	s_waitcnt lgkmcnt(0)
	s_barrier
	s_and_saveexec_b64 s[30:31], s[26:27]
	s_cbranch_execz .LBB409_107
; %bb.106:
	v_lshl_add_u32 v4, v10, 4, -16
	ds_read_b64 v[6:7], v4
	ds_read_u8 v18, v4 offset:8
	v_cmp_eq_u16_e64 s[26:27], 0, v8
	s_waitcnt lgkmcnt(1)
	s_nop 0
	v_cndmask_b32_e64 v4, 1, v6, s[26:27]
	v_cndmask_b32_e64 v5, 0, v7, s[26:27]
	v_mul_lo_u32 v5, v5, v2
	v_mul_lo_u32 v10, v4, v3
	v_mad_u64_u32 v[2:3], s[26:27], v4, v2, 0
	s_waitcnt lgkmcnt(0)
	v_or_b32_e32 v4, v8, v18
	v_add3_u32 v3, v3, v10, v5
	v_and_b32_e32 v8, 1, v4
.LBB409_107:
	s_or_b64 exec, exec, s[30:31]
	v_add_u32_e32 v4, -1, v9
	v_and_b32_e32 v5, 64, v9
	v_cmp_lt_i32_e64 s[26:27], v4, v5
	s_nop 1
	v_cndmask_b32_e64 v4, v4, v9, s[26:27]
	v_lshlrev_b32_e32 v4, 2, v4
	ds_bpermute_b32 v19, v4, v2
	v_and_b32_e32 v2, 0xffff, v8
	ds_bpermute_b32 v20, v4, v3
	ds_bpermute_b32 v21, v4, v2
	v_cmp_eq_u32_e64 s[26:27], 0, v9
	s_and_saveexec_b64 s[46:47], vcc
	s_cbranch_execz .LBB409_154
; %bb.108:
	v_mov_b32_e32 v11, 0
	ds_read2_b64 v[2:5], v11 offset0:6 offset1:7
	s_and_saveexec_b64 s[30:31], s[26:27]
	s_cbranch_execz .LBB409_110
; %bb.109:
	s_add_i32 s48, s2, 64
	s_mov_b32 s49, 0
	s_lshl_b64 s[52:53], s[48:49], 4
	s_add_u32 s52, s36, s52
	s_addc_u32 s53, s37, s53
	s_waitcnt lgkmcnt(0)
	global_store_dword v11, v2, s[52:53] sc1
	global_store_dword v11, v3, s[52:53] offset:4 sc1
	global_store_dword v11, v4, s[52:53] offset:8 sc1
	;; [unrolled: 1-line block ×3, first 2 shown]
	v_mov_b32_e32 v5, s48
	v_mov_b32_e32 v8, 1
	s_waitcnt vmcnt(0)
	global_store_byte v5, v8, s[40:41] sc1
.LBB409_110:
	s_or_b64 exec, exec, s[30:31]
	v_xad_u32 v8, v9, -1, s2
	v_add_u32_e32 v10, 64, v8
	s_waitcnt lgkmcnt(0)
	global_load_ubyte v5, v10, s[40:41] sc1
	s_waitcnt vmcnt(0)
	v_cmp_eq_u16_e32 vcc, 0, v5
	s_and_saveexec_b64 s[30:31], vcc
	s_cbranch_execz .LBB409_116
; %bb.111:
	v_lshl_add_u64 v[12:13], s[40:41], 0, v[10:11]
	s_mov_b32 s3, 1
	s_mov_b64 s[48:49], 0
.LBB409_112:                            ; =>This Loop Header: Depth=1
                                        ;     Child Loop BB409_113 Depth 2
	s_max_u32 s43, s3, 1
.LBB409_113:                            ;   Parent Loop BB409_112 Depth=1
                                        ; =>  This Inner Loop Header: Depth=2
	s_add_i32 s43, s43, -1
	s_cmp_eq_u32 s43, 0
	s_sleep 1
	s_cbranch_scc0 .LBB409_113
; %bb.114:                              ;   in Loop: Header=BB409_112 Depth=1
	global_load_ubyte v5, v[12:13], off sc1
	s_cmp_lt_u32 s3, 32
	s_cselect_b64 s[52:53], -1, 0
	s_cmp_lg_u64 s[52:53], 0
	s_addc_u32 s3, s3, 0
	s_waitcnt vmcnt(0)
	v_cmp_ne_u16_e32 vcc, 0, v5
	s_or_b64 s[48:49], vcc, s[48:49]
	s_andn2_b64 exec, exec, s[48:49]
	s_cbranch_execnz .LBB409_112
; %bb.115:
	s_or_b64 exec, exec, s[48:49]
.LBB409_116:
	s_or_b64 exec, exec, s[30:31]
	v_mov_b32_e32 v12, s39
	v_mov_b32_e32 v13, s37
	v_cmp_eq_u16_e32 vcc, 1, v5
	v_mov_b32_e32 v14, s36
	s_waitcnt vmcnt(0)
	v_cndmask_b32_e32 v13, v12, v13, vcc
	v_mov_b32_e32 v12, s38
	v_cndmask_b32_e32 v12, v12, v14, vcc
	v_lshl_add_u64 v[10:11], v[10:11], 4, v[12:13]
	global_load_dword v12, v[10:11], off sc1
	global_load_dword v13, v[10:11], off offset:4 sc1
	global_load_dword v16, v[10:11], off offset:8 sc1
	s_nop 0
	global_load_dword v10, v[10:11], off offset:12 sc1
	v_cmp_eq_u16_e32 vcc, 2, v5
	s_waitcnt vmcnt(0)
	v_lshlrev_b64 v[10:11], v9, -1
	v_and_b32_e32 v22, 63, v9
	v_and_b32_e32 v14, vcc_hi, v11
	v_and_b32_e32 v15, vcc_lo, v10
	v_cmp_ne_u32_e32 vcc, 63, v22
	v_or_b32_e32 v14, 0x80000000, v14
	v_ffbl_b32_e32 v14, v14
	v_addc_co_u32_e32 v17, vcc, 0, v9, vcc
	v_lshlrev_b32_e32 v23, 2, v17
	v_add_u32_e32 v14, 32, v14
	v_ffbl_b32_e32 v15, v15
	v_min_u32_e32 v17, v15, v14
	v_cmp_lt_u32_e32 vcc, v22, v17
	ds_bpermute_b32 v25, v23, v12
	ds_bpermute_b32 v26, v23, v13
	v_and_b32_e32 v76, 0xff, v16
	ds_bpermute_b32 v24, v23, v76
	v_mov_b64_e32 v[14:15], v[12:13]
	s_and_saveexec_b64 s[30:31], vcc
	s_cbranch_execz .LBB409_118
; %bb.117:
	v_mov_b32_e32 v14, 0
	v_cmp_eq_u16_sdwa vcc, v16, v14 src0_sel:BYTE_0 src1_sel:DWORD
	s_waitcnt lgkmcnt(2)
	s_nop 0
	v_cndmask_b32_e32 v14, 1, v25, vcc
	s_waitcnt lgkmcnt(1)
	v_cndmask_b32_e32 v25, 0, v26, vcc
	v_mul_lo_u32 v13, v14, v13
	v_mad_u64_u32 v[14:15], s[48:49], v14, v12, 0
	v_mul_lo_u32 v12, v25, v12
	v_add3_u32 v15, v15, v13, v12
	s_waitcnt lgkmcnt(0)
	v_or_b32_e32 v12, v24, v16
	v_and_b32_e32 v16, 1, v12
	v_and_b32_e32 v76, 1, v12
	v_mov_b32_e32 v13, v15
	v_mov_b32_e32 v12, v14
.LBB409_118:
	s_or_b64 exec, exec, s[30:31]
	v_cmp_gt_u32_e32 vcc, 62, v22
	s_waitcnt lgkmcnt(2)
	v_add_u32_e32 v25, 2, v22
	s_waitcnt lgkmcnt(0)
	v_cndmask_b32_e64 v24, 0, 1, vcc
	v_lshlrev_b32_e32 v24, 1, v24
	v_add_lshl_u32 v24, v24, v9, 2
	ds_bpermute_b32 v27, v24, v12
	ds_bpermute_b32 v32, v24, v13
	ds_bpermute_b32 v26, v24, v76
	v_cmp_le_u32_e32 vcc, v25, v17
	s_and_saveexec_b64 s[48:49], vcc
	s_cbranch_execz .LBB409_120
; %bb.119:
	v_mov_b32_e32 v12, 0
	v_cmp_eq_u16_sdwa vcc, v16, v12 src0_sel:BYTE_0 src1_sel:DWORD
	s_waitcnt lgkmcnt(2)
	s_nop 0
	v_cndmask_b32_e32 v12, 1, v27, vcc
	s_waitcnt lgkmcnt(1)
	v_cndmask_b32_e32 v27, 0, v32, vcc
	v_mul_lo_u32 v15, v12, v15
	v_mad_u64_u32 v[12:13], s[30:31], v12, v14, 0
	v_mul_lo_u32 v14, v27, v14
	v_add3_u32 v13, v13, v15, v14
	v_and_b32_e32 v14, 1, v16
	v_cmp_eq_u32_e32 vcc, 1, v14
	s_waitcnt lgkmcnt(0)
	v_and_b32_e32 v14, 1, v26
	v_cmp_eq_u32_e64 s[30:31], 1, v14
	s_or_b64 s[30:31], vcc, s[30:31]
	v_mov_b64_e32 v[14:15], v[12:13]
	v_cndmask_b32_e64 v16, 0, 1, s[30:31]
	v_cndmask_b32_e64 v76, 0, 1, s[30:31]
.LBB409_120:
	s_or_b64 exec, exec, s[48:49]
	v_cmp_gt_u32_e32 vcc, 60, v22
	s_waitcnt lgkmcnt(2)
	v_add_u32_e32 v27, 4, v22
	s_waitcnt lgkmcnt(0)
	v_cndmask_b32_e64 v26, 0, 1, vcc
	v_lshlrev_b32_e32 v26, 2, v26
	v_add_lshl_u32 v26, v26, v9, 2
	ds_bpermute_b32 v33, v26, v12
	ds_bpermute_b32 v60, v26, v13
	ds_bpermute_b32 v32, v26, v76
	v_cmp_le_u32_e32 vcc, v27, v17
	s_and_saveexec_b64 s[48:49], vcc
	s_cbranch_execz .LBB409_122
; %bb.121:
	v_mov_b32_e32 v12, 0
	v_cmp_eq_u16_sdwa vcc, v16, v12 src0_sel:BYTE_0 src1_sel:DWORD
	s_waitcnt lgkmcnt(2)
	s_nop 0
	v_cndmask_b32_e32 v12, 1, v33, vcc
	s_waitcnt lgkmcnt(1)
	v_cndmask_b32_e32 v33, 0, v60, vcc
	v_mul_lo_u32 v15, v12, v15
	v_mad_u64_u32 v[12:13], s[30:31], v12, v14, 0
	v_mul_lo_u32 v14, v33, v14
	v_add3_u32 v13, v13, v15, v14
	v_and_b32_e32 v14, 1, v16
	v_cmp_eq_u32_e32 vcc, 1, v14
	s_waitcnt lgkmcnt(0)
	v_and_b32_e32 v14, 1, v32
	v_cmp_eq_u32_e64 s[30:31], 1, v14
	s_or_b64 s[30:31], vcc, s[30:31]
	v_mov_b64_e32 v[14:15], v[12:13]
	v_cndmask_b32_e64 v16, 0, 1, s[30:31]
	v_cndmask_b32_e64 v76, 0, 1, s[30:31]
.LBB409_122:
	;; [unrolled: 36-line block ×4, first 2 shown]
	s_or_b64 exec, exec, s[48:49]
	v_cmp_gt_u32_e32 vcc, 32, v22
	s_waitcnt lgkmcnt(2)
	v_add_u32_e32 v78, 32, v22
	s_waitcnt lgkmcnt(0)
	v_cndmask_b32_e64 v77, 0, 1, vcc
	v_lshlrev_b32_e32 v77, 5, v77
	v_add_lshl_u32 v77, v77, v9, 2
	ds_bpermute_b32 v12, v77, v12
	ds_bpermute_b32 v13, v77, v13
	;; [unrolled: 1-line block ×3, first 2 shown]
	v_cmp_le_u32_e32 vcc, v78, v17
	s_and_saveexec_b64 s[48:49], vcc
	s_cbranch_execz .LBB409_128
; %bb.127:
	v_mov_b32_e32 v17, 0
	v_cmp_eq_u16_sdwa vcc, v16, v17 src0_sel:BYTE_0 src1_sel:DWORD
	s_waitcnt lgkmcnt(0)
	v_and_b32_e32 v9, 1, v9
	v_cndmask_b32_e32 v12, 1, v12, vcc
	v_cndmask_b32_e32 v17, 0, v13, vcc
	v_mul_lo_u32 v15, v12, v15
	v_mad_u64_u32 v[12:13], s[30:31], v12, v14, 0
	v_mul_lo_u32 v14, v17, v14
	v_add3_u32 v13, v13, v15, v14
	v_and_b32_e32 v14, 1, v16
	v_cmp_eq_u32_e32 vcc, 1, v14
	v_cmp_eq_u32_e64 s[30:31], 1, v9
	s_or_b64 s[30:31], vcc, s[30:31]
	v_mov_b64_e32 v[14:15], v[12:13]
	v_cndmask_b32_e64 v16, 0, 1, s[30:31]
.LBB409_128:
	s_or_b64 exec, exec, s[48:49]
	s_waitcnt lgkmcnt(0)
	v_mov_b32_e32 v9, 0
	v_mov_b32_e32 v79, 2
	s_branch .LBB409_130
.LBB409_129:                            ;   in Loop: Header=BB409_130 Depth=1
	s_or_b64 exec, exec, s[52:53]
	v_cmp_eq_u16_sdwa vcc, v76, v9 src0_sel:BYTE_0 src1_sel:DWORD
	v_subrev_u32_e32 v8, 64, v8
	s_waitcnt lgkmcnt(0)
	v_cndmask_b32_e32 v14, 1, v16, vcc
	v_cndmask_b32_e32 v15, 0, v17, vcc
	v_mul_lo_u32 v16, v15, v12
	v_mul_lo_u32 v17, v14, v13
	v_mad_u64_u32 v[14:15], s[30:31], v14, v12, 0
	v_add3_u32 v15, v15, v17, v16
	v_and_b32_e32 v16, 1, v76
	v_cmp_eq_u32_e32 vcc, 1, v16
	s_or_b64 s[30:31], vcc, s[48:49]
	v_cndmask_b32_e64 v16, 0, 1, s[30:31]
.LBB409_130:                            ; =>This Loop Header: Depth=1
                                        ;     Child Loop BB409_133 Depth 2
                                        ;       Child Loop BB409_134 Depth 3
	v_cmp_ne_u16_sdwa s[30:31], v5, v79 src0_sel:BYTE_0 src1_sel:DWORD
	v_mov_b32_e32 v76, v16
	v_mov_b64_e32 v[12:13], v[14:15]
	v_cndmask_b32_e64 v5, 0, 1, s[30:31]
	;;#ASMSTART
	;;#ASMEND
	s_nop 0
	v_cmp_ne_u32_e32 vcc, 0, v5
	s_cmp_lg_u64 vcc, exec
	s_cbranch_scc1 .LBB409_149
; %bb.131:                              ;   in Loop: Header=BB409_130 Depth=1
	global_load_ubyte v5, v8, s[40:41] sc1
	s_waitcnt vmcnt(0)
	v_cmp_eq_u16_e32 vcc, 0, v5
	s_and_saveexec_b64 s[30:31], vcc
	s_cbranch_execz .LBB409_137
; %bb.132:                              ;   in Loop: Header=BB409_130 Depth=1
	v_lshl_add_u64 v[14:15], s[40:41], 0, v[8:9]
	s_mov_b32 s3, 1
	s_mov_b64 s[48:49], 0
.LBB409_133:                            ;   Parent Loop BB409_130 Depth=1
                                        ; =>  This Loop Header: Depth=2
                                        ;       Child Loop BB409_134 Depth 3
	s_max_u32 s43, s3, 1
.LBB409_134:                            ;   Parent Loop BB409_130 Depth=1
                                        ;     Parent Loop BB409_133 Depth=2
                                        ; =>    This Inner Loop Header: Depth=3
	s_add_i32 s43, s43, -1
	s_cmp_eq_u32 s43, 0
	s_sleep 1
	s_cbranch_scc0 .LBB409_134
; %bb.135:                              ;   in Loop: Header=BB409_133 Depth=2
	global_load_ubyte v5, v[14:15], off sc1
	s_cmp_lt_u32 s3, 32
	s_cselect_b64 s[52:53], -1, 0
	s_cmp_lg_u64 s[52:53], 0
	s_addc_u32 s3, s3, 0
	s_waitcnt vmcnt(0)
	v_cmp_ne_u16_e32 vcc, 0, v5
	s_or_b64 s[48:49], vcc, s[48:49]
	s_andn2_b64 exec, exec, s[48:49]
	s_cbranch_execnz .LBB409_133
; %bb.136:                              ;   in Loop: Header=BB409_130 Depth=1
	s_or_b64 exec, exec, s[48:49]
.LBB409_137:                            ;   in Loop: Header=BB409_130 Depth=1
	s_or_b64 exec, exec, s[30:31]
	v_mov_b32_e32 v14, s39
	v_mov_b32_e32 v15, s37
	v_cmp_eq_u16_e32 vcc, 1, v5
	v_mov_b32_e32 v16, s36
	s_waitcnt vmcnt(0)
	v_cndmask_b32_e32 v15, v14, v15, vcc
	v_mov_b32_e32 v14, s38
	v_cndmask_b32_e32 v14, v14, v16, vcc
	v_lshl_add_u64 v[16:17], v[8:9], 4, v[14:15]
	global_load_dword v14, v[16:17], off sc1
	global_load_dword v15, v[16:17], off offset:4 sc1
	global_load_dword v80, v[16:17], off offset:8 sc1
	s_nop 0
	global_load_dword v16, v[16:17], off offset:12 sc1
	v_cmp_eq_u16_e32 vcc, 2, v5
	s_waitcnt vmcnt(3)
	ds_bpermute_b32 v84, v23, v14
	s_waitcnt vmcnt(0)
	v_and_b32_e32 v16, vcc_hi, v11
	v_and_b32_e32 v82, 0xff, v80
	v_or_b32_e32 v16, 0x80000000, v16
	ds_bpermute_b32 v85, v23, v15
	ds_bpermute_b32 v83, v23, v82
	v_and_b32_e32 v17, vcc_lo, v10
	v_ffbl_b32_e32 v16, v16
	v_add_u32_e32 v16, 32, v16
	v_ffbl_b32_e32 v17, v17
	v_min_u32_e32 v81, v17, v16
	v_cmp_lt_u32_e32 vcc, v22, v81
	v_mov_b64_e32 v[16:17], v[14:15]
	s_and_saveexec_b64 s[30:31], vcc
	s_cbranch_execz .LBB409_139
; %bb.138:                              ;   in Loop: Header=BB409_130 Depth=1
	v_cmp_eq_u16_sdwa vcc, v80, v9 src0_sel:BYTE_0 src1_sel:DWORD
	s_waitcnt lgkmcnt(2)
	s_nop 0
	v_cndmask_b32_e32 v16, 1, v84, vcc
	s_waitcnt lgkmcnt(1)
	v_cndmask_b32_e32 v82, 0, v85, vcc
	v_mul_lo_u32 v15, v16, v15
	v_mad_u64_u32 v[16:17], s[48:49], v16, v14, 0
	v_mul_lo_u32 v14, v82, v14
	v_add3_u32 v17, v17, v15, v14
	s_waitcnt lgkmcnt(0)
	v_or_b32_e32 v14, v83, v80
	v_and_b32_e32 v80, 1, v14
	v_and_b32_e32 v82, 1, v14
	v_mov_b32_e32 v15, v17
	v_mov_b32_e32 v14, v16
.LBB409_139:                            ;   in Loop: Header=BB409_130 Depth=1
	s_or_b64 exec, exec, s[30:31]
	s_waitcnt lgkmcnt(2)
	ds_bpermute_b32 v84, v24, v14
	s_waitcnt lgkmcnt(2)
	ds_bpermute_b32 v85, v24, v15
	;; [unrolled: 2-line block ×3, first 2 shown]
	v_and_b32_e32 v86, 1, v80
	v_cmp_le_u32_e32 vcc, v25, v81
	v_cmp_eq_u32_e64 s[48:49], 1, v86
	s_and_saveexec_b64 s[30:31], vcc
	s_cbranch_execz .LBB409_141
; %bb.140:                              ;   in Loop: Header=BB409_130 Depth=1
	v_cmp_eq_u16_sdwa vcc, v80, v9 src0_sel:BYTE_0 src1_sel:DWORD
	s_waitcnt lgkmcnt(2)
	s_nop 0
	v_cndmask_b32_e32 v14, 1, v84, vcc
	s_waitcnt lgkmcnt(1)
	v_cndmask_b32_e32 v80, 0, v85, vcc
	v_mul_lo_u32 v17, v14, v17
	v_mad_u64_u32 v[14:15], s[52:53], v14, v16, 0
	v_mul_lo_u32 v16, v80, v16
	v_add3_u32 v15, v15, v17, v16
	s_waitcnt lgkmcnt(0)
	v_and_b32_e32 v16, 1, v83
	v_cmp_eq_u32_e32 vcc, 1, v16
	s_or_b64 s[52:53], s[48:49], vcc
	v_cndmask_b32_e64 v80, 0, 1, s[52:53]
	v_cndmask_b32_e64 v82, 0, 1, s[52:53]
	s_andn2_b64 s[48:49], s[48:49], exec
	s_and_b64 s[52:53], s[52:53], exec
	s_or_b64 s[48:49], s[48:49], s[52:53]
	v_mov_b64_e32 v[16:17], v[14:15]
.LBB409_141:                            ;   in Loop: Header=BB409_130 Depth=1
	s_or_b64 exec, exec, s[30:31]
	s_waitcnt lgkmcnt(2)
	ds_bpermute_b32 v84, v26, v14
	s_waitcnt lgkmcnt(2)
	ds_bpermute_b32 v85, v26, v15
	s_waitcnt lgkmcnt(2)
	ds_bpermute_b32 v83, v26, v82
	v_cmp_le_u32_e32 vcc, v27, v81
	s_and_saveexec_b64 s[52:53], vcc
	s_cbranch_execz .LBB409_143
; %bb.142:                              ;   in Loop: Header=BB409_130 Depth=1
	v_cmp_eq_u16_sdwa vcc, v80, v9 src0_sel:BYTE_0 src1_sel:DWORD
	s_andn2_b64 s[48:49], s[48:49], exec
	s_waitcnt lgkmcnt(2)
	v_cndmask_b32_e32 v14, 1, v84, vcc
	s_waitcnt lgkmcnt(1)
	v_cndmask_b32_e32 v82, 0, v85, vcc
	v_mul_lo_u32 v17, v14, v17
	v_mad_u64_u32 v[14:15], s[30:31], v14, v16, 0
	v_mul_lo_u32 v16, v82, v16
	v_add3_u32 v15, v15, v17, v16
	v_and_b32_e32 v16, 1, v80
	v_cmp_eq_u32_e32 vcc, 1, v16
	s_waitcnt lgkmcnt(0)
	v_and_b32_e32 v16, 1, v83
	v_cmp_eq_u32_e64 s[30:31], 1, v16
	s_or_b64 s[30:31], vcc, s[30:31]
	v_mov_b64_e32 v[16:17], v[14:15]
	v_cndmask_b32_e64 v80, 0, 1, s[30:31]
	v_cndmask_b32_e64 v82, 0, 1, s[30:31]
	s_and_b64 s[30:31], s[30:31], exec
	s_or_b64 s[48:49], s[48:49], s[30:31]
.LBB409_143:                            ;   in Loop: Header=BB409_130 Depth=1
	s_or_b64 exec, exec, s[52:53]
	s_waitcnt lgkmcnt(2)
	ds_bpermute_b32 v84, v32, v14
	s_waitcnt lgkmcnt(2)
	ds_bpermute_b32 v85, v32, v15
	s_waitcnt lgkmcnt(2)
	ds_bpermute_b32 v83, v32, v82
	v_cmp_le_u32_e32 vcc, v33, v81
	s_and_saveexec_b64 s[52:53], vcc
	s_cbranch_execz .LBB409_145
; %bb.144:                              ;   in Loop: Header=BB409_130 Depth=1
	v_cmp_eq_u16_sdwa vcc, v80, v9 src0_sel:BYTE_0 src1_sel:DWORD
	s_andn2_b64 s[48:49], s[48:49], exec
	s_waitcnt lgkmcnt(2)
	v_cndmask_b32_e32 v14, 1, v84, vcc
	s_waitcnt lgkmcnt(1)
	v_cndmask_b32_e32 v82, 0, v85, vcc
	v_mul_lo_u32 v17, v14, v17
	v_mad_u64_u32 v[14:15], s[30:31], v14, v16, 0
	v_mul_lo_u32 v16, v82, v16
	v_add3_u32 v15, v15, v17, v16
	v_and_b32_e32 v16, 1, v80
	v_cmp_eq_u32_e32 vcc, 1, v16
	s_waitcnt lgkmcnt(0)
	v_and_b32_e32 v16, 1, v83
	v_cmp_eq_u32_e64 s[30:31], 1, v16
	s_or_b64 s[30:31], vcc, s[30:31]
	v_mov_b64_e32 v[16:17], v[14:15]
	v_cndmask_b32_e64 v80, 0, 1, s[30:31]
	v_cndmask_b32_e64 v82, 0, 1, s[30:31]
	s_and_b64 s[30:31], s[30:31], exec
	s_or_b64 s[48:49], s[48:49], s[30:31]
.LBB409_145:                            ;   in Loop: Header=BB409_130 Depth=1
	;; [unrolled: 33-line block ×3, first 2 shown]
	s_or_b64 exec, exec, s[52:53]
	s_waitcnt lgkmcnt(0)
	ds_bpermute_b32 v83, v77, v14
	ds_bpermute_b32 v15, v77, v15
	;; [unrolled: 1-line block ×3, first 2 shown]
	v_cmp_le_u32_e32 vcc, v78, v81
	s_and_saveexec_b64 s[52:53], vcc
	s_cbranch_execz .LBB409_129
; %bb.148:                              ;   in Loop: Header=BB409_130 Depth=1
	v_cmp_eq_u16_sdwa vcc, v80, v9 src0_sel:BYTE_0 src1_sel:DWORD
	s_waitcnt lgkmcnt(0)
	v_and_b32_e32 v14, 1, v14
	s_andn2_b64 s[48:49], s[48:49], exec
	v_cndmask_b32_e32 v81, 1, v83, vcc
	v_cndmask_b32_e32 v15, 0, v15, vcc
	v_mul_lo_u32 v17, v81, v17
	v_mad_u64_u32 v[82:83], s[30:31], v81, v16, 0
	v_mul_lo_u32 v15, v15, v16
	v_add3_u32 v83, v83, v17, v15
	v_and_b32_e32 v15, 1, v80
	v_cmp_eq_u32_e32 vcc, 1, v15
	v_cmp_eq_u32_e64 s[30:31], 1, v14
	s_or_b64 s[30:31], vcc, s[30:31]
	s_and_b64 s[30:31], s[30:31], exec
	s_or_b64 s[48:49], s[48:49], s[30:31]
	v_mov_b64_e32 v[16:17], v[82:83]
	s_branch .LBB409_129
.LBB409_149:                            ;   in Loop: Header=BB409_130 Depth=1
                                        ; implicit-def: $vgpr16
                                        ; implicit-def: $vgpr14_vgpr15
                                        ; implicit-def: $vgpr5
	s_cbranch_execz .LBB409_130
; %bb.150:
	s_and_saveexec_b64 s[30:31], s[26:27]
	s_cbranch_execz .LBB409_152
; %bb.151:
	v_mov_b32_e32 v5, 0
	v_cmp_eq_u32_sdwa vcc, v4, v5 src0_sel:BYTE_0 src1_sel:DWORD
	s_mov_b32 s3, 0
	s_add_i32 s2, s2, 64
	v_cndmask_b32_e32 v8, 1, v12, vcc
	v_cndmask_b32_e32 v9, 0, v13, vcc
	v_mul_lo_u32 v9, v9, v2
	v_mul_lo_u32 v10, v8, v3
	v_mad_u64_u32 v[2:3], s[36:37], v8, v2, 0
	s_lshl_b64 s[36:37], s[2:3], 4
	v_and_b32_e32 v4, 1, v4
	s_add_u32 s36, s38, s36
	v_add3_u32 v3, v3, v10, v9
	v_and_b32_e32 v8, 1, v76
	v_cmp_eq_u32_e32 vcc, 1, v4
	s_addc_u32 s37, s39, s37
	s_nop 0
	v_cndmask_b32_e64 v4, v8, 1, vcc
	global_store_dword v5, v2, s[36:37] sc1
	global_store_dword v5, v3, s[36:37] offset:4 sc1
	global_store_dword v5, v4, s[36:37] offset:8 sc1
	;; [unrolled: 1-line block ×3, first 2 shown]
	v_mov_b32_e32 v2, s2
	v_mov_b32_e32 v3, 2
	s_waitcnt vmcnt(0)
	global_store_byte v2, v3, s[40:41] sc1
.LBB409_152:
	s_or_b64 exec, exec, s[30:31]
	v_cmp_eq_u32_e32 vcc, 0, v0
	s_and_b64 exec, exec, vcc
	s_cbranch_execz .LBB409_154
; %bb.153:
	v_mov_b32_e32 v2, 0
	ds_write_b64 v2, v[12:13] offset:48
	ds_write_b8 v2, v76 offset:56
.LBB409_154:
	s_or_b64 exec, exec, s[46:47]
	v_mov_b32_e32 v4, 0
	s_waitcnt lgkmcnt(0)
	s_barrier
	ds_read_b64 v[2:3], v4 offset:48
	v_cmp_ne_u32_e32 vcc, 0, v0
	s_and_saveexec_b64 s[2:3], vcc
	s_cbranch_execz .LBB409_156
; %bb.155:
	v_cndmask_b32_e64 v5, v21, v18, s[26:27]
	v_cmp_eq_u16_sdwa vcc, v5, v4 src0_sel:BYTE_0 src1_sel:DWORD
	v_cndmask_b32_e64 v6, v19, v6, s[26:27]
	v_cndmask_b32_e64 v7, v20, v7, s[26:27]
	s_waitcnt lgkmcnt(0)
	v_cndmask_b32_e32 v2, 1, v2, vcc
	v_cndmask_b32_e32 v3, 0, v3, vcc
	v_mul_lo_u32 v5, v3, v6
	v_mul_lo_u32 v7, v2, v7
	v_mad_u64_u32 v[2:3], s[26:27], v2, v6, 0
	v_add3_u32 v3, v3, v7, v5
.LBB409_156:
	s_or_b64 exec, exec, s[2:3]
	v_cmp_eq_u16_sdwa vcc, v1, v4 src0_sel:BYTE_0 src1_sel:DWORD
	s_waitcnt lgkmcnt(0)
	s_nop 0
	v_cndmask_b32_e32 v4, 1, v2, vcc
	v_cndmask_b32_e32 v5, 0, v3, vcc
	v_mul_lo_u32 v6, v5, v54
	v_mul_lo_u32 v7, v4, v55
	v_mad_u64_u32 v[4:5], s[2:3], v4, v54, 0
	v_add3_u32 v5, v5, v7, v6
	v_cndmask_b32_e64 v6, 0, v5, s[24:25]
	v_cndmask_b32_e64 v7, 1, v4, s[24:25]
	v_mul_lo_u32 v8, v6, v50
	v_mul_lo_u32 v9, v7, v51
	v_mad_u64_u32 v[6:7], s[2:3], v7, v50, 0
	v_add3_u32 v7, v7, v9, v8
	v_cndmask_b32_e64 v8, 0, v7, s[22:23]
	v_cndmask_b32_e64 v9, 1, v6, s[22:23]
	;; [unrolled: 6-line block ×12, first 2 shown]
	s_branch .LBB409_197
.LBB409_157:
	s_or_b64 exec, exec, s[30:31]
                                        ; implicit-def: $vgpr34_vgpr35
	s_and_saveexec_b64 s[30:31], s[28:29]
	s_cbranch_execz .LBB409_33
.LBB409_158:
	v_mov_b32_e32 v31, 0
	v_lshl_add_u64 v[34:35], s[46:47], 0, v[30:31]
	flat_load_dwordx2 v[34:35], v[34:35] offset:2048
	s_or_b64 exec, exec, s[30:31]
                                        ; implicit-def: $vgpr36_vgpr37
	s_and_saveexec_b64 s[28:29], s[4:5]
	s_cbranch_execnz .LBB409_34
.LBB409_159:
	s_or_b64 exec, exec, s[28:29]
                                        ; implicit-def: $vgpr38_vgpr39
	s_and_saveexec_b64 s[4:5], s[6:7]
	s_cbranch_execz .LBB409_35
.LBB409_160:
	v_lshlrev_b32_e32 v38, 3, v40
	v_mov_b32_e32 v39, 0
	v_lshl_add_u64 v[38:39], s[46:47], 0, v[38:39]
	flat_load_dwordx2 v[38:39], v[38:39]
	s_or_b64 exec, exec, s[4:5]
                                        ; implicit-def: $vgpr40_vgpr41
	s_and_saveexec_b64 s[4:5], s[8:9]
	s_cbranch_execnz .LBB409_36
.LBB409_161:
	s_or_b64 exec, exec, s[4:5]
                                        ; implicit-def: $vgpr42_vgpr43
	s_and_saveexec_b64 s[4:5], s[10:11]
	s_cbranch_execz .LBB409_37
.LBB409_162:
	v_lshlrev_b32_e32 v42, 3, v44
	v_mov_b32_e32 v43, 0
	v_lshl_add_u64 v[42:43], s[46:47], 0, v[42:43]
	flat_load_dwordx2 v[42:43], v[42:43]
	s_or_b64 exec, exec, s[4:5]
                                        ; implicit-def: $vgpr44_vgpr45
	s_and_saveexec_b64 s[4:5], s[12:13]
	s_cbranch_execnz .LBB409_38
.LBB409_163:
	s_or_b64 exec, exec, s[4:5]
                                        ; implicit-def: $vgpr46_vgpr47
	s_and_saveexec_b64 s[4:5], s[14:15]
	s_cbranch_execz .LBB409_39
.LBB409_164:
	v_lshlrev_b32_e32 v46, 3, v48
	v_mov_b32_e32 v47, 0
	v_lshl_add_u64 v[46:47], s[46:47], 0, v[46:47]
	flat_load_dwordx2 v[46:47], v[46:47]
	s_or_b64 exec, exec, s[4:5]
                                        ; implicit-def: $vgpr48_vgpr49
	s_and_saveexec_b64 s[4:5], s[16:17]
	s_cbranch_execnz .LBB409_40
.LBB409_165:
	s_or_b64 exec, exec, s[4:5]
                                        ; implicit-def: $vgpr50_vgpr51
	s_and_saveexec_b64 s[4:5], s[18:19]
	s_cbranch_execz .LBB409_41
.LBB409_166:
	v_lshlrev_b32_e32 v50, 3, v52
	v_mov_b32_e32 v51, 0
	v_lshl_add_u64 v[50:51], s[46:47], 0, v[50:51]
	flat_load_dwordx2 v[50:51], v[50:51]
	s_or_b64 exec, exec, s[4:5]
                                        ; implicit-def: $vgpr52_vgpr53
	s_and_saveexec_b64 s[4:5], s[20:21]
	s_cbranch_execnz .LBB409_42
.LBB409_167:
	s_or_b64 exec, exec, s[4:5]
                                        ; implicit-def: $vgpr54_vgpr55
	s_and_saveexec_b64 s[4:5], s[22:23]
	s_cbranch_execz .LBB409_43
.LBB409_168:
	v_lshlrev_b32_e32 v54, 3, v56
	v_mov_b32_e32 v55, 0
	v_lshl_add_u64 v[54:55], s[46:47], 0, v[54:55]
	flat_load_dwordx2 v[54:55], v[54:55]
	s_or_b64 exec, exec, s[4:5]
                                        ; implicit-def: $vgpr56_vgpr57
	s_and_saveexec_b64 s[4:5], s[24:25]
	s_cbranch_execz .LBB409_45
	s_branch .LBB409_44
.LBB409_169:
                                        ; implicit-def: $vgpr2_vgpr3
                                        ; implicit-def: $vgpr60_vgpr61
                                        ; implicit-def: $vgpr26_vgpr27
                                        ; implicit-def: $vgpr24_vgpr25
                                        ; implicit-def: $vgpr20_vgpr21
                                        ; implicit-def: $vgpr16_vgpr17
                                        ; implicit-def: $vgpr12_vgpr13
                                        ; implicit-def: $vgpr8_vgpr9
	s_cbranch_execz .LBB409_197
; %bb.170:
	s_cmp_lg_u64 s[58:59], 0
	s_cselect_b32 s3, s55, 0
	s_cselect_b32 s2, s54, 0
	s_cmp_eq_u64 s[2:3], 0
	v_mov_b64_e32 v[32:33], s[56:57]
	s_cbranch_scc1 .LBB409_172
; %bb.171:
	v_mov_b32_e32 v2, 0
	global_load_dwordx2 v[32:33], v2, s[2:3]
.LBB409_172:
	v_mov_b32_e32 v4, 0
	v_cmp_eq_u16_sdwa vcc, v64, v4 src0_sel:BYTE_0 src1_sel:DWORD
	v_mbcnt_hi_u32_b32 v8, -1, v62
	s_nop 0
	v_cndmask_b32_e32 v2, 1, v54, vcc
	v_cndmask_b32_e32 v3, 0, v55, vcc
	v_mul_lo_u32 v5, v3, v50
	v_mul_lo_u32 v6, v2, v51
	v_mad_u64_u32 v[2:3], s[2:3], v2, v50, 0
	v_add3_u32 v3, v3, v6, v5
	v_cmp_eq_u16_sdwa s[2:3], v65, v4 src0_sel:BYTE_0 src1_sel:DWORD
	s_nop 1
	v_cndmask_b32_e64 v3, 0, v3, s[2:3]
	v_cndmask_b32_e64 v2, 1, v2, s[2:3]
	v_mul_lo_u32 v5, v3, v52
	v_mul_lo_u32 v6, v2, v53
	v_mad_u64_u32 v[2:3], s[4:5], v2, v52, 0
	v_add3_u32 v3, v3, v6, v5
	v_cmp_eq_u16_sdwa s[4:5], v66, v4 src0_sel:BYTE_0 src1_sel:DWORD
	s_nop 1
	v_cndmask_b32_e64 v3, 0, v3, s[4:5]
	v_cndmask_b32_e64 v2, 1, v2, s[4:5]
	;; [unrolled: 8-line block ×11, first 2 shown]
	v_mul_lo_u32 v5, v3, v30
	v_mul_lo_u32 v6, v2, v31
	v_mad_u64_u32 v[2:3], s[24:25], v2, v30, 0
	v_add3_u32 v3, v3, v6, v5
	v_cmp_eq_u16_sdwa s[24:25], v59, v4 src0_sel:BYTE_0 src1_sel:DWORD
	v_and_b32_e32 v6, 15, v8
	v_cmp_ne_u32_e64 s[26:27], 0, v6
	v_cndmask_b32_e64 v3, 0, v3, s[24:25]
	v_cndmask_b32_e64 v2, 1, v2, s[24:25]
	v_mul_lo_u32 v4, v3, v28
	v_mul_lo_u32 v5, v2, v29
	v_mad_u64_u32 v[2:3], s[24:25], v2, v28, 0
	v_add3_u32 v3, v3, v5, v4
	v_or_b32_e32 v4, v63, v74
	v_or_b32_e32 v4, v4, v73
	;; [unrolled: 1-line block ×11, first 2 shown]
	v_and_b32_e32 v9, 1, v4
	v_cmp_eq_u32_e64 s[24:25], 1, v9
	v_mov_b32_dpp v11, v2 row_shr:1 row_mask:0xf bank_mask:0xf
	v_mov_b32_dpp v12, v3 row_shr:1 row_mask:0xf bank_mask:0xf
	;; [unrolled: 1-line block ×3, first 2 shown]
	v_mov_b32_e32 v5, v3
	v_mov_b32_e32 v4, v2
	;; [unrolled: 1-line block ×3, first 2 shown]
	s_and_saveexec_b64 s[28:29], s[26:27]
; %bb.173:
	v_cndmask_b32_e64 v4, v12, 0, s[24:25]
	v_cndmask_b32_e64 v5, v11, 1, s[24:25]
	v_mul_lo_u32 v4, v4, v2
	v_mul_lo_u32 v7, v5, v3
	v_mad_u64_u32 v[2:3], s[24:25], v5, v2, 0
	v_add3_u32 v3, v3, v7, v4
	v_and_b32_e32 v4, 1, v10
	v_or_b32_e32 v9, v4, v9
	v_and_b32_e32 v7, 0xffff, v9
	v_mov_b32_e32 v5, v3
	v_mov_b32_e32 v4, v2
; %bb.174:
	s_or_b64 exec, exec, s[28:29]
	s_nop 0
	v_mov_b32_dpp v11, v4 row_shr:2 row_mask:0xf bank_mask:0xf
	v_mov_b32_dpp v12, v5 row_shr:2 row_mask:0xf bank_mask:0xf
	v_mov_b32_dpp v10, v7 row_shr:2 row_mask:0xf bank_mask:0xf
	v_cmp_lt_u32_e64 s[24:25], 1, v6
	s_and_saveexec_b64 s[28:29], s[24:25]
	s_cbranch_execz .LBB409_176
; %bb.175:
	v_cmp_eq_u16_e64 s[24:25], 0, v9
	s_nop 1
	v_cndmask_b32_e64 v4, 1, v11, s[24:25]
	v_cndmask_b32_e64 v7, 0, v12, s[24:25]
	v_mul_lo_u32 v3, v4, v3
	v_mad_u64_u32 v[4:5], s[24:25], v4, v2, 0
	v_mul_lo_u32 v2, v7, v2
	v_add3_u32 v5, v5, v3, v2
	v_and_b32_e32 v2, 1, v9
	v_cmp_eq_u32_e64 s[24:25], 1, v2
	v_and_b32_e32 v2, 1, v10
	v_cmp_eq_u32_e64 s[26:27], 1, v2
	s_or_b64 s[24:25], s[24:25], s[26:27]
	v_cndmask_b32_e64 v9, 0, 1, s[24:25]
	v_cndmask_b32_e64 v7, 0, 1, s[24:25]
	v_mov_b64_e32 v[2:3], v[4:5]
.LBB409_176:
	s_or_b64 exec, exec, s[28:29]
	v_mov_b32_dpp v11, v4 row_shr:4 row_mask:0xf bank_mask:0xf
	v_mov_b32_dpp v12, v5 row_shr:4 row_mask:0xf bank_mask:0xf
	v_mov_b32_dpp v10, v7 row_shr:4 row_mask:0xf bank_mask:0xf
	v_cmp_lt_u32_e64 s[24:25], 3, v6
	s_and_saveexec_b64 s[28:29], s[24:25]
	s_cbranch_execz .LBB409_178
; %bb.177:
	v_cmp_eq_u16_e64 s[24:25], 0, v9
	s_nop 1
	v_cndmask_b32_e64 v4, 1, v11, s[24:25]
	v_cndmask_b32_e64 v7, 0, v12, s[24:25]
	v_mul_lo_u32 v3, v4, v3
	v_mad_u64_u32 v[4:5], s[24:25], v4, v2, 0
	v_mul_lo_u32 v2, v7, v2
	v_add3_u32 v5, v5, v3, v2
	v_and_b32_e32 v2, 1, v9
	v_cmp_eq_u32_e64 s[24:25], 1, v2
	v_and_b32_e32 v2, 1, v10
	v_cmp_eq_u32_e64 s[26:27], 1, v2
	s_or_b64 s[24:25], s[24:25], s[26:27]
	v_cndmask_b32_e64 v9, 0, 1, s[24:25]
	v_cndmask_b32_e64 v7, 0, 1, s[24:25]
	v_mov_b64_e32 v[2:3], v[4:5]
.LBB409_178:
	s_or_b64 exec, exec, s[28:29]
	;; [unrolled: 25-line block ×3, first 2 shown]
	v_and_b32_e32 v12, 16, v8
	v_mov_b32_dpp v10, v4 row_bcast:15 row_mask:0xf bank_mask:0xf
	v_mov_b32_dpp v11, v5 row_bcast:15 row_mask:0xf bank_mask:0xf
	;; [unrolled: 1-line block ×3, first 2 shown]
	v_cmp_ne_u32_e64 s[24:25], 0, v12
	s_and_saveexec_b64 s[28:29], s[24:25]
	s_cbranch_execz .LBB409_182
; %bb.181:
	v_cmp_eq_u16_e64 s[24:25], 0, v9
	s_nop 1
	v_cndmask_b32_e64 v4, 1, v10, s[24:25]
	v_cndmask_b32_e64 v7, 0, v11, s[24:25]
	v_mul_lo_u32 v3, v4, v3
	v_mad_u64_u32 v[4:5], s[24:25], v4, v2, 0
	v_mul_lo_u32 v2, v7, v2
	v_add3_u32 v5, v5, v3, v2
	v_and_b32_e32 v2, 1, v9
	v_cmp_eq_u32_e64 s[24:25], 1, v2
	v_and_b32_e32 v2, 1, v6
	v_cmp_eq_u32_e64 s[26:27], 1, v2
	s_or_b64 s[24:25], s[24:25], s[26:27]
	v_cndmask_b32_e64 v9, 0, 1, s[24:25]
	v_cndmask_b32_e64 v7, 0, 1, s[24:25]
	v_mov_b64_e32 v[2:3], v[4:5]
.LBB409_182:
	s_or_b64 exec, exec, s[28:29]
	v_mov_b32_dpp v6, v4 row_bcast:31 row_mask:0xf bank_mask:0xf
	v_mov_b32_dpp v5, v5 row_bcast:31 row_mask:0xf bank_mask:0xf
	;; [unrolled: 1-line block ×3, first 2 shown]
	v_cmp_lt_u32_e64 s[24:25], 31, v8
	s_and_saveexec_b64 s[28:29], s[24:25]
	s_cbranch_execz .LBB409_184
; %bb.183:
	v_cmp_eq_u16_e64 s[24:25], 0, v9
	s_nop 1
	v_cndmask_b32_e64 v6, 1, v6, s[24:25]
	v_cndmask_b32_e64 v5, 0, v5, s[24:25]
	v_mul_lo_u32 v3, v6, v3
	v_mad_u64_u32 v[6:7], s[24:25], v6, v2, 0
	v_mul_lo_u32 v2, v5, v2
	v_add3_u32 v7, v7, v3, v2
	v_and_b32_e32 v2, 1, v9
	v_cmp_eq_u32_e64 s[24:25], 1, v2
	v_and_b32_e32 v2, 1, v4
	v_cmp_eq_u32_e64 s[26:27], 1, v2
	s_or_b64 s[24:25], s[24:25], s[26:27]
	v_cndmask_b32_e64 v9, 0, 1, s[24:25]
	v_mov_b64_e32 v[2:3], v[6:7]
.LBB409_184:
	s_or_b64 exec, exec, s[28:29]
	v_or_b32_e32 v4, 63, v0
	v_lshrrev_b32_e32 v10, 6, v0
	v_cmp_eq_u32_e64 s[24:25], v4, v0
	s_and_saveexec_b64 s[26:27], s[24:25]
	s_cbranch_execz .LBB409_186
; %bb.185:
	v_lshlrev_b32_e32 v4, 4, v10
	ds_write_b64 v4, v[2:3]
	ds_write_b8 v4, v9 offset:8
.LBB409_186:
	s_or_b64 exec, exec, s[26:27]
	v_cmp_gt_u32_e64 s[24:25], 4, v0
	s_waitcnt lgkmcnt(0)
	s_barrier
	s_and_saveexec_b64 s[28:29], s[24:25]
	s_cbranch_execz .LBB409_192
; %bb.187:
	v_lshlrev_b32_e32 v11, 4, v0
	ds_read_b64 v[4:5], v11
	ds_read_b32 v12, v11 offset:8
	v_and_b32_e32 v13, 3, v8
	v_cmp_ne_u32_e64 s[24:25], 0, v13
	s_waitcnt lgkmcnt(1)
	v_mov_b32_dpp v17, v4 row_shr:1 row_mask:0xf bank_mask:0xf
	v_mov_b32_dpp v18, v5 row_shr:1 row_mask:0xf bank_mask:0xf
	s_waitcnt lgkmcnt(0)
	v_mov_b32_dpp v16, v12 row_shr:1 row_mask:0xf bank_mask:0xf
	v_mov_b32_e32 v15, v12
	v_mov_b32_e32 v14, v12
	;; [unrolled: 1-line block ×4, first 2 shown]
	s_and_saveexec_b64 s[26:27], s[24:25]
	s_cbranch_execz .LBB409_189
; %bb.188:
	v_mov_b32_e32 v6, 0
	v_cmp_eq_u16_sdwa s[24:25], v12, v6 src0_sel:BYTE_0 src1_sel:DWORD
	s_nop 1
	v_cndmask_b32_e64 v6, 1, v17, s[24:25]
	v_cndmask_b32_e64 v14, 0, v18, s[24:25]
	v_mul_lo_u32 v5, v6, v5
	v_mad_u64_u32 v[6:7], s[24:25], v6, v4, 0
	v_mul_lo_u32 v4, v14, v4
	v_add3_u32 v7, v7, v5, v4
	v_or_b32_e32 v4, v16, v12
	v_and_b32_e32 v14, 1, v4
	s_movk_i32 s24, 0xff00
	v_and_b32_e32 v15, 1, v4
	v_and_or_b32 v12, v12, s24, v14
	v_mov_b64_e32 v[4:5], v[6:7]
.LBB409_189:
	s_or_b64 exec, exec, s[26:27]
	v_mov_b32_dpp v16, v6 row_shr:2 row_mask:0xf bank_mask:0xf
	v_mov_b32_dpp v7, v7 row_shr:2 row_mask:0xf bank_mask:0xf
	;; [unrolled: 1-line block ×3, first 2 shown]
	v_cmp_lt_u32_e64 s[24:25], 1, v13
	s_and_saveexec_b64 s[30:31], s[24:25]
	s_cbranch_execz .LBB409_191
; %bb.190:
	v_mov_b32_e32 v12, 0
	v_cmp_eq_u16_sdwa s[24:25], v14, v12 src0_sel:BYTE_0 src1_sel:DWORD
	s_nop 1
	v_cndmask_b32_e64 v12, 1, v16, s[24:25]
	v_cndmask_b32_e64 v7, 0, v7, s[24:25]
	v_mul_lo_u32 v5, v12, v5
	v_mad_u64_u32 v[12:13], s[24:25], v12, v4, 0
	v_mul_lo_u32 v4, v7, v4
	v_add3_u32 v13, v13, v5, v4
	v_and_b32_e32 v4, 1, v14
	v_cmp_eq_u32_e64 s[24:25], 1, v4
	v_and_b32_e32 v4, 1, v6
	v_cmp_eq_u32_e64 s[26:27], 1, v4
	s_or_b64 s[24:25], s[24:25], s[26:27]
	v_cndmask_b32_e64 v15, 0, 1, s[24:25]
	v_mov_b64_e32 v[4:5], v[12:13]
.LBB409_191:
	s_or_b64 exec, exec, s[30:31]
	ds_write_b64 v11, v[4:5]
	ds_write_b8 v11, v15 offset:8
.LBB409_192:
	s_or_b64 exec, exec, s[28:29]
	v_cmp_lt_u32_e64 s[24:25], 63, v0
	s_waitcnt vmcnt(0)
	v_mov_b64_e32 v[4:5], v[32:33]
	s_waitcnt lgkmcnt(0)
	s_barrier
	s_and_saveexec_b64 s[26:27], s[24:25]
	s_cbranch_execz .LBB409_194
; %bb.193:
	v_lshl_add_u32 v4, v10, 4, -16
	ds_read_u8 v6, v4 offset:8
	ds_read_b64 v[4:5], v4
	s_waitcnt lgkmcnt(1)
	v_cmp_eq_u16_e64 s[24:25], 0, v6
	s_nop 1
	v_cndmask_b32_e64 v6, 1, v32, s[24:25]
	v_cndmask_b32_e64 v7, 0, v33, s[24:25]
	s_waitcnt lgkmcnt(0)
	v_mul_lo_u32 v10, v6, v5
	v_mul_lo_u32 v7, v7, v4
	v_mad_u64_u32 v[4:5], s[24:25], v6, v4, 0
	v_add3_u32 v5, v5, v10, v7
.LBB409_194:
	s_or_b64 exec, exec, s[26:27]
	v_cmp_eq_u16_e64 s[24:25], 0, v9
	v_mov_b32_e32 v28, 0
	v_cmp_eq_u16_sdwa s[26:27], v1, v28 src0_sel:BYTE_0 src1_sel:DWORD
	v_cndmask_b32_e64 v6, 1, v4, s[24:25]
	v_cndmask_b32_e64 v7, 0, v5, s[24:25]
	v_mul_lo_u32 v7, v7, v2
	v_mul_lo_u32 v9, v6, v3
	v_mad_u64_u32 v[2:3], s[24:25], v6, v2, 0
	v_add3_u32 v3, v3, v9, v7
	v_add_u32_e32 v6, -1, v8
	v_and_b32_e32 v7, 64, v8
	v_cmp_lt_i32_e64 s[24:25], v6, v7
	s_nop 1
	v_cndmask_b32_e64 v6, v6, v8, s[24:25]
	v_lshlrev_b32_e32 v6, 2, v6
	ds_bpermute_b32 v3, v6, v3
	ds_bpermute_b32 v2, v6, v2
	v_cmp_eq_u32_e64 s[24:25], 0, v8
	s_waitcnt lgkmcnt(1)
	s_nop 0
	v_cndmask_b32_e64 v3, v3, v5, s[24:25]
	s_waitcnt lgkmcnt(0)
	v_cndmask_b32_e64 v2, v2, v4, s[24:25]
	v_cmp_eq_u32_e64 s[24:25], 0, v0
	s_nop 1
	v_cndmask_b32_e64 v4, v3, v33, s[24:25]
	v_cndmask_b32_e64 v5, v2, v32, s[24:25]
	;; [unrolled: 1-line block ×4, first 2 shown]
	v_mul_lo_u32 v1, v1, v54
	v_mul_lo_u32 v6, v4, v55
	v_mad_u64_u32 v[4:5], s[26:27], v4, v54, 0
	v_add3_u32 v5, v5, v6, v1
	v_cndmask_b32_e32 v1, 0, v5, vcc
	v_cndmask_b32_e32 v6, 1, v4, vcc
	v_mul_lo_u32 v1, v1, v50
	v_mul_lo_u32 v8, v6, v51
	v_mad_u64_u32 v[6:7], s[26:27], v6, v50, 0
	v_add3_u32 v7, v7, v8, v1
	v_cndmask_b32_e64 v1, 0, v7, s[2:3]
	v_cndmask_b32_e64 v8, 1, v6, s[2:3]
	v_mul_lo_u32 v1, v1, v52
	v_mul_lo_u32 v10, v8, v53
	v_mad_u64_u32 v[8:9], s[2:3], v8, v52, 0
	v_add3_u32 v9, v9, v10, v1
	v_cndmask_b32_e64 v1, 0, v9, s[4:5]
	v_cndmask_b32_e64 v10, 1, v8, s[4:5]
	;; [unrolled: 6-line block ×11, first 2 shown]
	s_and_saveexec_b64 s[2:3], s[24:25]
	s_cbranch_execz .LBB409_196
; %bb.195:
	ds_read_u8 v1, v28 offset:56
	ds_read_b64 v[2:3], v28 offset:48
	s_waitcnt lgkmcnt(1)
	v_cmp_eq_u32_e32 vcc, 0, v1
	s_nop 1
	v_cndmask_b32_e32 v34, 1, v32, vcc
	v_cndmask_b32_e32 v29, 0, v33, vcc
	s_waitcnt lgkmcnt(0)
	v_mul_lo_u32 v3, v34, v3
	v_mul_hi_u32 v35, v34, v2
	v_mul_lo_u32 v29, v29, v2
	v_add_u32_e32 v3, v35, v3
	v_add_u32_e32 v3, v3, v29
	v_mul_lo_u32 v2, v34, v2
	global_store_dword v28, v2, s[38:39] offset:1024 sc1
	global_store_dword v28, v3, s[38:39] offset:1028 sc1
	;; [unrolled: 1-line block ×4, first 2 shown]
	v_mov_b32_e32 v1, 2
	v_mov_b64_e32 v[2:3], v[32:33]
	s_waitcnt vmcnt(0)
	global_store_byte v28, v1, s[40:41] offset:64 sc1
.LBB409_196:
	s_or_b64 exec, exec, s[2:3]
.LBB409_197:
	s_add_u32 s4, s50, s34
	s_addc_u32 s5, s51, s35
	v_mul_lo_u32 v1, v61, v30
	v_mul_lo_u32 v31, v60, v31
	v_mad_u64_u32 v[28:29], s[2:3], v60, v30, 0
	v_add3_u32 v29, v29, v31, v1
	s_add_u32 s2, s4, s44
	v_mul_u32_u24_e32 v1, 14, v0
	s_addc_u32 s3, s5, s45
	s_and_b64 vcc, exec, s[0:1]
	v_lshlrev_b32_e32 v60, 3, v1
	s_cbranch_vccz .LBB409_225
; %bb.198:
	s_movk_i32 s0, 0xff98
	v_mad_i32_i24 v1, v0, s0, v60
	s_barrier
	ds_write_b128 v60, v[2:5]
	ds_write_b128 v60, v[6:9] offset:16
	ds_write_b128 v60, v[10:13] offset:32
	;; [unrolled: 1-line block ×6, first 2 shown]
	s_waitcnt lgkmcnt(0)
	s_barrier
	ds_read2st64_b64 v[52:55], v1 offset0:4 offset1:8
	ds_read2st64_b64 v[48:51], v1 offset0:12 offset1:16
	;; [unrolled: 1-line block ×6, first 2 shown]
	ds_read_b64 v[30:31], v1 offset:26624
	s_add_i32 s33, s33, s42
	v_mov_b32_e32 v59, 0
	v_lshl_add_u64 v[56:57], s[2:3], 0, v[58:59]
	v_cmp_gt_u32_e32 vcc, s33, v0
	s_and_saveexec_b64 s[0:1], vcc
	s_cbranch_execz .LBB409_200
; %bb.199:
	v_mul_i32_i24_e32 v1, 0xffffff98, v0
	v_add_u32_e32 v1, v60, v1
	ds_read_b64 v[62:63], v1
	s_waitcnt lgkmcnt(0)
	flat_store_dwordx2 v[56:57], v[62:63]
.LBB409_200:
	s_or_b64 exec, exec, s[0:1]
	v_or_b32_e32 v1, 0x100, v0
	v_cmp_gt_u32_e32 vcc, s33, v1
	s_and_saveexec_b64 s[0:1], vcc
	s_cbranch_execz .LBB409_202
; %bb.201:
	s_waitcnt lgkmcnt(0)
	flat_store_dwordx2 v[56:57], v[52:53] offset:2048
.LBB409_202:
	s_or_b64 exec, exec, s[0:1]
	v_or_b32_e32 v1, 0x200, v0
	v_cmp_gt_u32_e32 vcc, s33, v1
	s_and_saveexec_b64 s[0:1], vcc
	s_cbranch_execz .LBB409_204
; %bb.203:
	s_waitcnt lgkmcnt(0)
	v_add_co_u32_e32 v52, vcc, 0x1000, v56
	s_nop 1
	v_addc_co_u32_e32 v53, vcc, 0, v57, vcc
	flat_store_dwordx2 v[52:53], v[54:55]
.LBB409_204:
	s_or_b64 exec, exec, s[0:1]
	v_or_b32_e32 v1, 0x300, v0
	v_cmp_gt_u32_e32 vcc, s33, v1
	s_and_saveexec_b64 s[0:1], vcc
	s_cbranch_execz .LBB409_206
; %bb.205:
	s_waitcnt lgkmcnt(0)
	v_add_co_u32_e32 v52, vcc, 0x1000, v56
	s_nop 1
	v_addc_co_u32_e32 v53, vcc, 0, v57, vcc
	flat_store_dwordx2 v[52:53], v[48:49] offset:2048
.LBB409_206:
	s_or_b64 exec, exec, s[0:1]
	v_or_b32_e32 v1, 0x400, v0
	v_cmp_gt_u32_e32 vcc, s33, v1
	s_and_saveexec_b64 s[0:1], vcc
	s_cbranch_execz .LBB409_208
; %bb.207:
	s_waitcnt lgkmcnt(0)
	v_add_co_u32_e32 v48, vcc, 0x2000, v56
	s_nop 1
	v_addc_co_u32_e32 v49, vcc, 0, v57, vcc
	flat_store_dwordx2 v[48:49], v[50:51]
.LBB409_208:
	s_or_b64 exec, exec, s[0:1]
	v_or_b32_e32 v1, 0x500, v0
	v_cmp_gt_u32_e32 vcc, s33, v1
	s_and_saveexec_b64 s[0:1], vcc
	s_cbranch_execz .LBB409_210
; %bb.209:
	s_waitcnt lgkmcnt(0)
	v_add_co_u32_e32 v48, vcc, 0x2000, v56
	s_nop 1
	v_addc_co_u32_e32 v49, vcc, 0, v57, vcc
	flat_store_dwordx2 v[48:49], v[44:45] offset:2048
.LBB409_210:
	;; [unrolled: 24-line block ×5, first 2 shown]
	s_or_b64 exec, exec, s[0:1]
	v_or_b32_e32 v1, 0xc00, v0
	v_cmp_gt_u32_e32 vcc, s33, v1
	s_and_saveexec_b64 s[0:1], vcc
	s_cbranch_execz .LBB409_224
; %bb.223:
	s_waitcnt lgkmcnt(0)
	v_add_co_u32_e32 v32, vcc, 0x6000, v56
	s_nop 1
	v_addc_co_u32_e32 v33, vcc, 0, v57, vcc
	flat_store_dwordx2 v[32:33], v[34:35]
.LBB409_224:
	s_or_b64 exec, exec, s[0:1]
	s_waitcnt lgkmcnt(0)
	v_or_b32_e32 v32, 0xd00, v0
	v_mov_b32_e32 v1, v59
	v_cmp_gt_u32_e64 s[0:1], s33, v32
	s_branch .LBB409_227
.LBB409_225:
	s_mov_b64 s[0:1], 0
                                        ; implicit-def: $vgpr30_vgpr31
	s_cbranch_execz .LBB409_227
; %bb.226:
	v_mov_b32_e32 v1, 0
	s_movk_i32 s4, 0xff98
	s_barrier
	ds_write_b128 v60, v[2:5]
	ds_write_b128 v60, v[6:9] offset:16
	ds_write_b128 v60, v[10:13] offset:32
	;; [unrolled: 1-line block ×6, first 2 shown]
	v_mad_i32_i24 v26, v0, s4, v60
	v_mov_b32_e32 v59, v1
	s_waitcnt lgkmcnt(0)
	s_barrier
	ds_read2st64_b64 v[2:5], v26 offset1:4
	ds_read2st64_b64 v[6:9], v26 offset0:8 offset1:12
	ds_read2st64_b64 v[10:13], v26 offset0:16 offset1:20
	;; [unrolled: 1-line block ×6, first 2 shown]
	v_lshl_add_u64 v[26:27], s[2:3], 0, v[58:59]
	s_movk_i32 s4, 0x1000
	s_waitcnt lgkmcnt(0)
	flat_store_dwordx2 v[26:27], v[2:3]
	flat_store_dwordx2 v[26:27], v[4:5] offset:2048
	v_add_co_u32_e32 v2, vcc, s4, v26
	s_movk_i32 s4, 0x2000
	s_nop 0
	v_addc_co_u32_e32 v3, vcc, 0, v27, vcc
	flat_store_dwordx2 v[2:3], v[6:7]
	flat_store_dwordx2 v[2:3], v[8:9] offset:2048
	v_add_co_u32_e32 v2, vcc, s4, v26
	s_movk_i32 s4, 0x3000
	s_nop 0
	v_addc_co_u32_e32 v3, vcc, 0, v27, vcc
	;; [unrolled: 6-line block ×3, first 2 shown]
	flat_store_dwordx2 v[2:3], v[14:15]
	flat_store_dwordx2 v[2:3], v[16:17] offset:2048
	v_add_co_u32_e32 v2, vcc, s4, v26
	s_or_b64 s[0:1], s[0:1], exec
	s_nop 0
	v_addc_co_u32_e32 v3, vcc, 0, v27, vcc
	flat_store_dwordx2 v[2:3], v[18:19]
	flat_store_dwordx2 v[2:3], v[20:21] offset:2048
	v_add_co_u32_e32 v2, vcc, 0x5000, v26
	s_nop 1
	v_addc_co_u32_e32 v3, vcc, 0, v27, vcc
	flat_store_dwordx2 v[2:3], v[22:23]
	flat_store_dwordx2 v[2:3], v[24:25] offset:2048
	v_add_co_u32_e32 v2, vcc, 0x6000, v26
	s_nop 1
	v_addc_co_u32_e32 v3, vcc, 0, v27, vcc
	flat_store_dwordx2 v[2:3], v[28:29]
.LBB409_227:
	s_and_saveexec_b64 s[4:5], s[0:1]
	s_cbranch_execz .LBB409_229
; %bb.228:
	v_lshl_add_u64 v[0:1], v[0:1], 3, s[2:3]
	v_add_co_u32_e32 v0, vcc, 0x6000, v0
	s_nop 1
	v_addc_co_u32_e32 v1, vcc, 0, v1, vcc
	flat_store_dwordx2 v[0:1], v[30:31] offset:2048
	s_endpgm
.LBB409_229:
	s_endpgm
	.section	.rodata,"a",@progbits
	.p2align	6, 0x0
	.amdhsa_kernel _ZN7rocprim17ROCPRIM_400000_NS6detail17trampoline_kernelINS0_14default_configENS1_27scan_by_key_config_selectorIxxEEZZNS1_16scan_by_key_implILNS1_25lookback_scan_determinismE0ELb1ES3_N6thrust23THRUST_200600_302600_NS6detail15normal_iteratorINS9_10device_ptrIxEEEESE_SE_xNS9_10multipliesIxEENS9_8equal_toIxEExEE10hipError_tPvRmT2_T3_T4_T5_mT6_T7_P12ihipStream_tbENKUlT_T0_E_clISt17integral_constantIbLb1EESY_IbLb0EEEEDaSU_SV_EUlSU_E_NS1_11comp_targetILNS1_3genE5ELNS1_11target_archE942ELNS1_3gpuE9ELNS1_3repE0EEENS1_30default_config_static_selectorELNS0_4arch9wavefront6targetE1EEEvT1_
		.amdhsa_group_segment_fixed_size 32768
		.amdhsa_private_segment_fixed_size 0
		.amdhsa_kernarg_size 136
		.amdhsa_user_sgpr_count 2
		.amdhsa_user_sgpr_dispatch_ptr 0
		.amdhsa_user_sgpr_queue_ptr 0
		.amdhsa_user_sgpr_kernarg_segment_ptr 1
		.amdhsa_user_sgpr_dispatch_id 0
		.amdhsa_user_sgpr_kernarg_preload_length 0
		.amdhsa_user_sgpr_kernarg_preload_offset 0
		.amdhsa_user_sgpr_private_segment_size 0
		.amdhsa_uses_dynamic_stack 0
		.amdhsa_enable_private_segment 0
		.amdhsa_system_sgpr_workgroup_id_x 1
		.amdhsa_system_sgpr_workgroup_id_y 0
		.amdhsa_system_sgpr_workgroup_id_z 0
		.amdhsa_system_sgpr_workgroup_info 0
		.amdhsa_system_vgpr_workitem_id 0
		.amdhsa_next_free_vgpr 87
		.amdhsa_next_free_sgpr 64
		.amdhsa_accum_offset 88
		.amdhsa_reserve_vcc 1
		.amdhsa_float_round_mode_32 0
		.amdhsa_float_round_mode_16_64 0
		.amdhsa_float_denorm_mode_32 3
		.amdhsa_float_denorm_mode_16_64 3
		.amdhsa_dx10_clamp 1
		.amdhsa_ieee_mode 1
		.amdhsa_fp16_overflow 0
		.amdhsa_tg_split 0
		.amdhsa_exception_fp_ieee_invalid_op 0
		.amdhsa_exception_fp_denorm_src 0
		.amdhsa_exception_fp_ieee_div_zero 0
		.amdhsa_exception_fp_ieee_overflow 0
		.amdhsa_exception_fp_ieee_underflow 0
		.amdhsa_exception_fp_ieee_inexact 0
		.amdhsa_exception_int_div_zero 0
	.end_amdhsa_kernel
	.section	.text._ZN7rocprim17ROCPRIM_400000_NS6detail17trampoline_kernelINS0_14default_configENS1_27scan_by_key_config_selectorIxxEEZZNS1_16scan_by_key_implILNS1_25lookback_scan_determinismE0ELb1ES3_N6thrust23THRUST_200600_302600_NS6detail15normal_iteratorINS9_10device_ptrIxEEEESE_SE_xNS9_10multipliesIxEENS9_8equal_toIxEExEE10hipError_tPvRmT2_T3_T4_T5_mT6_T7_P12ihipStream_tbENKUlT_T0_E_clISt17integral_constantIbLb1EESY_IbLb0EEEEDaSU_SV_EUlSU_E_NS1_11comp_targetILNS1_3genE5ELNS1_11target_archE942ELNS1_3gpuE9ELNS1_3repE0EEENS1_30default_config_static_selectorELNS0_4arch9wavefront6targetE1EEEvT1_,"axG",@progbits,_ZN7rocprim17ROCPRIM_400000_NS6detail17trampoline_kernelINS0_14default_configENS1_27scan_by_key_config_selectorIxxEEZZNS1_16scan_by_key_implILNS1_25lookback_scan_determinismE0ELb1ES3_N6thrust23THRUST_200600_302600_NS6detail15normal_iteratorINS9_10device_ptrIxEEEESE_SE_xNS9_10multipliesIxEENS9_8equal_toIxEExEE10hipError_tPvRmT2_T3_T4_T5_mT6_T7_P12ihipStream_tbENKUlT_T0_E_clISt17integral_constantIbLb1EESY_IbLb0EEEEDaSU_SV_EUlSU_E_NS1_11comp_targetILNS1_3genE5ELNS1_11target_archE942ELNS1_3gpuE9ELNS1_3repE0EEENS1_30default_config_static_selectorELNS0_4arch9wavefront6targetE1EEEvT1_,comdat
.Lfunc_end409:
	.size	_ZN7rocprim17ROCPRIM_400000_NS6detail17trampoline_kernelINS0_14default_configENS1_27scan_by_key_config_selectorIxxEEZZNS1_16scan_by_key_implILNS1_25lookback_scan_determinismE0ELb1ES3_N6thrust23THRUST_200600_302600_NS6detail15normal_iteratorINS9_10device_ptrIxEEEESE_SE_xNS9_10multipliesIxEENS9_8equal_toIxEExEE10hipError_tPvRmT2_T3_T4_T5_mT6_T7_P12ihipStream_tbENKUlT_T0_E_clISt17integral_constantIbLb1EESY_IbLb0EEEEDaSU_SV_EUlSU_E_NS1_11comp_targetILNS1_3genE5ELNS1_11target_archE942ELNS1_3gpuE9ELNS1_3repE0EEENS1_30default_config_static_selectorELNS0_4arch9wavefront6targetE1EEEvT1_, .Lfunc_end409-_ZN7rocprim17ROCPRIM_400000_NS6detail17trampoline_kernelINS0_14default_configENS1_27scan_by_key_config_selectorIxxEEZZNS1_16scan_by_key_implILNS1_25lookback_scan_determinismE0ELb1ES3_N6thrust23THRUST_200600_302600_NS6detail15normal_iteratorINS9_10device_ptrIxEEEESE_SE_xNS9_10multipliesIxEENS9_8equal_toIxEExEE10hipError_tPvRmT2_T3_T4_T5_mT6_T7_P12ihipStream_tbENKUlT_T0_E_clISt17integral_constantIbLb1EESY_IbLb0EEEEDaSU_SV_EUlSU_E_NS1_11comp_targetILNS1_3genE5ELNS1_11target_archE942ELNS1_3gpuE9ELNS1_3repE0EEENS1_30default_config_static_selectorELNS0_4arch9wavefront6targetE1EEEvT1_
                                        ; -- End function
	.section	.AMDGPU.csdata,"",@progbits
; Kernel info:
; codeLenInByte = 15300
; NumSgprs: 70
; NumVgprs: 87
; NumAgprs: 0
; TotalNumVgprs: 87
; ScratchSize: 0
; MemoryBound: 0
; FloatMode: 240
; IeeeMode: 1
; LDSByteSize: 32768 bytes/workgroup (compile time only)
; SGPRBlocks: 8
; VGPRBlocks: 10
; NumSGPRsForWavesPerEU: 70
; NumVGPRsForWavesPerEU: 87
; AccumOffset: 88
; Occupancy: 2
; WaveLimiterHint : 1
; COMPUTE_PGM_RSRC2:SCRATCH_EN: 0
; COMPUTE_PGM_RSRC2:USER_SGPR: 2
; COMPUTE_PGM_RSRC2:TRAP_HANDLER: 0
; COMPUTE_PGM_RSRC2:TGID_X_EN: 1
; COMPUTE_PGM_RSRC2:TGID_Y_EN: 0
; COMPUTE_PGM_RSRC2:TGID_Z_EN: 0
; COMPUTE_PGM_RSRC2:TIDIG_COMP_CNT: 0
; COMPUTE_PGM_RSRC3_GFX90A:ACCUM_OFFSET: 21
; COMPUTE_PGM_RSRC3_GFX90A:TG_SPLIT: 0
	.section	.text._ZN7rocprim17ROCPRIM_400000_NS6detail17trampoline_kernelINS0_14default_configENS1_27scan_by_key_config_selectorIxxEEZZNS1_16scan_by_key_implILNS1_25lookback_scan_determinismE0ELb1ES3_N6thrust23THRUST_200600_302600_NS6detail15normal_iteratorINS9_10device_ptrIxEEEESE_SE_xNS9_10multipliesIxEENS9_8equal_toIxEExEE10hipError_tPvRmT2_T3_T4_T5_mT6_T7_P12ihipStream_tbENKUlT_T0_E_clISt17integral_constantIbLb1EESY_IbLb0EEEEDaSU_SV_EUlSU_E_NS1_11comp_targetILNS1_3genE4ELNS1_11target_archE910ELNS1_3gpuE8ELNS1_3repE0EEENS1_30default_config_static_selectorELNS0_4arch9wavefront6targetE1EEEvT1_,"axG",@progbits,_ZN7rocprim17ROCPRIM_400000_NS6detail17trampoline_kernelINS0_14default_configENS1_27scan_by_key_config_selectorIxxEEZZNS1_16scan_by_key_implILNS1_25lookback_scan_determinismE0ELb1ES3_N6thrust23THRUST_200600_302600_NS6detail15normal_iteratorINS9_10device_ptrIxEEEESE_SE_xNS9_10multipliesIxEENS9_8equal_toIxEExEE10hipError_tPvRmT2_T3_T4_T5_mT6_T7_P12ihipStream_tbENKUlT_T0_E_clISt17integral_constantIbLb1EESY_IbLb0EEEEDaSU_SV_EUlSU_E_NS1_11comp_targetILNS1_3genE4ELNS1_11target_archE910ELNS1_3gpuE8ELNS1_3repE0EEENS1_30default_config_static_selectorELNS0_4arch9wavefront6targetE1EEEvT1_,comdat
	.protected	_ZN7rocprim17ROCPRIM_400000_NS6detail17trampoline_kernelINS0_14default_configENS1_27scan_by_key_config_selectorIxxEEZZNS1_16scan_by_key_implILNS1_25lookback_scan_determinismE0ELb1ES3_N6thrust23THRUST_200600_302600_NS6detail15normal_iteratorINS9_10device_ptrIxEEEESE_SE_xNS9_10multipliesIxEENS9_8equal_toIxEExEE10hipError_tPvRmT2_T3_T4_T5_mT6_T7_P12ihipStream_tbENKUlT_T0_E_clISt17integral_constantIbLb1EESY_IbLb0EEEEDaSU_SV_EUlSU_E_NS1_11comp_targetILNS1_3genE4ELNS1_11target_archE910ELNS1_3gpuE8ELNS1_3repE0EEENS1_30default_config_static_selectorELNS0_4arch9wavefront6targetE1EEEvT1_ ; -- Begin function _ZN7rocprim17ROCPRIM_400000_NS6detail17trampoline_kernelINS0_14default_configENS1_27scan_by_key_config_selectorIxxEEZZNS1_16scan_by_key_implILNS1_25lookback_scan_determinismE0ELb1ES3_N6thrust23THRUST_200600_302600_NS6detail15normal_iteratorINS9_10device_ptrIxEEEESE_SE_xNS9_10multipliesIxEENS9_8equal_toIxEExEE10hipError_tPvRmT2_T3_T4_T5_mT6_T7_P12ihipStream_tbENKUlT_T0_E_clISt17integral_constantIbLb1EESY_IbLb0EEEEDaSU_SV_EUlSU_E_NS1_11comp_targetILNS1_3genE4ELNS1_11target_archE910ELNS1_3gpuE8ELNS1_3repE0EEENS1_30default_config_static_selectorELNS0_4arch9wavefront6targetE1EEEvT1_
	.globl	_ZN7rocprim17ROCPRIM_400000_NS6detail17trampoline_kernelINS0_14default_configENS1_27scan_by_key_config_selectorIxxEEZZNS1_16scan_by_key_implILNS1_25lookback_scan_determinismE0ELb1ES3_N6thrust23THRUST_200600_302600_NS6detail15normal_iteratorINS9_10device_ptrIxEEEESE_SE_xNS9_10multipliesIxEENS9_8equal_toIxEExEE10hipError_tPvRmT2_T3_T4_T5_mT6_T7_P12ihipStream_tbENKUlT_T0_E_clISt17integral_constantIbLb1EESY_IbLb0EEEEDaSU_SV_EUlSU_E_NS1_11comp_targetILNS1_3genE4ELNS1_11target_archE910ELNS1_3gpuE8ELNS1_3repE0EEENS1_30default_config_static_selectorELNS0_4arch9wavefront6targetE1EEEvT1_
	.p2align	8
	.type	_ZN7rocprim17ROCPRIM_400000_NS6detail17trampoline_kernelINS0_14default_configENS1_27scan_by_key_config_selectorIxxEEZZNS1_16scan_by_key_implILNS1_25lookback_scan_determinismE0ELb1ES3_N6thrust23THRUST_200600_302600_NS6detail15normal_iteratorINS9_10device_ptrIxEEEESE_SE_xNS9_10multipliesIxEENS9_8equal_toIxEExEE10hipError_tPvRmT2_T3_T4_T5_mT6_T7_P12ihipStream_tbENKUlT_T0_E_clISt17integral_constantIbLb1EESY_IbLb0EEEEDaSU_SV_EUlSU_E_NS1_11comp_targetILNS1_3genE4ELNS1_11target_archE910ELNS1_3gpuE8ELNS1_3repE0EEENS1_30default_config_static_selectorELNS0_4arch9wavefront6targetE1EEEvT1_,@function
_ZN7rocprim17ROCPRIM_400000_NS6detail17trampoline_kernelINS0_14default_configENS1_27scan_by_key_config_selectorIxxEEZZNS1_16scan_by_key_implILNS1_25lookback_scan_determinismE0ELb1ES3_N6thrust23THRUST_200600_302600_NS6detail15normal_iteratorINS9_10device_ptrIxEEEESE_SE_xNS9_10multipliesIxEENS9_8equal_toIxEExEE10hipError_tPvRmT2_T3_T4_T5_mT6_T7_P12ihipStream_tbENKUlT_T0_E_clISt17integral_constantIbLb1EESY_IbLb0EEEEDaSU_SV_EUlSU_E_NS1_11comp_targetILNS1_3genE4ELNS1_11target_archE910ELNS1_3gpuE8ELNS1_3repE0EEENS1_30default_config_static_selectorELNS0_4arch9wavefront6targetE1EEEvT1_: ; @_ZN7rocprim17ROCPRIM_400000_NS6detail17trampoline_kernelINS0_14default_configENS1_27scan_by_key_config_selectorIxxEEZZNS1_16scan_by_key_implILNS1_25lookback_scan_determinismE0ELb1ES3_N6thrust23THRUST_200600_302600_NS6detail15normal_iteratorINS9_10device_ptrIxEEEESE_SE_xNS9_10multipliesIxEENS9_8equal_toIxEExEE10hipError_tPvRmT2_T3_T4_T5_mT6_T7_P12ihipStream_tbENKUlT_T0_E_clISt17integral_constantIbLb1EESY_IbLb0EEEEDaSU_SV_EUlSU_E_NS1_11comp_targetILNS1_3genE4ELNS1_11target_archE910ELNS1_3gpuE8ELNS1_3repE0EEENS1_30default_config_static_selectorELNS0_4arch9wavefront6targetE1EEEvT1_
; %bb.0:
	.section	.rodata,"a",@progbits
	.p2align	6, 0x0
	.amdhsa_kernel _ZN7rocprim17ROCPRIM_400000_NS6detail17trampoline_kernelINS0_14default_configENS1_27scan_by_key_config_selectorIxxEEZZNS1_16scan_by_key_implILNS1_25lookback_scan_determinismE0ELb1ES3_N6thrust23THRUST_200600_302600_NS6detail15normal_iteratorINS9_10device_ptrIxEEEESE_SE_xNS9_10multipliesIxEENS9_8equal_toIxEExEE10hipError_tPvRmT2_T3_T4_T5_mT6_T7_P12ihipStream_tbENKUlT_T0_E_clISt17integral_constantIbLb1EESY_IbLb0EEEEDaSU_SV_EUlSU_E_NS1_11comp_targetILNS1_3genE4ELNS1_11target_archE910ELNS1_3gpuE8ELNS1_3repE0EEENS1_30default_config_static_selectorELNS0_4arch9wavefront6targetE1EEEvT1_
		.amdhsa_group_segment_fixed_size 0
		.amdhsa_private_segment_fixed_size 0
		.amdhsa_kernarg_size 136
		.amdhsa_user_sgpr_count 2
		.amdhsa_user_sgpr_dispatch_ptr 0
		.amdhsa_user_sgpr_queue_ptr 0
		.amdhsa_user_sgpr_kernarg_segment_ptr 1
		.amdhsa_user_sgpr_dispatch_id 0
		.amdhsa_user_sgpr_kernarg_preload_length 0
		.amdhsa_user_sgpr_kernarg_preload_offset 0
		.amdhsa_user_sgpr_private_segment_size 0
		.amdhsa_uses_dynamic_stack 0
		.amdhsa_enable_private_segment 0
		.amdhsa_system_sgpr_workgroup_id_x 1
		.amdhsa_system_sgpr_workgroup_id_y 0
		.amdhsa_system_sgpr_workgroup_id_z 0
		.amdhsa_system_sgpr_workgroup_info 0
		.amdhsa_system_vgpr_workitem_id 0
		.amdhsa_next_free_vgpr 1
		.amdhsa_next_free_sgpr 0
		.amdhsa_accum_offset 4
		.amdhsa_reserve_vcc 0
		.amdhsa_float_round_mode_32 0
		.amdhsa_float_round_mode_16_64 0
		.amdhsa_float_denorm_mode_32 3
		.amdhsa_float_denorm_mode_16_64 3
		.amdhsa_dx10_clamp 1
		.amdhsa_ieee_mode 1
		.amdhsa_fp16_overflow 0
		.amdhsa_tg_split 0
		.amdhsa_exception_fp_ieee_invalid_op 0
		.amdhsa_exception_fp_denorm_src 0
		.amdhsa_exception_fp_ieee_div_zero 0
		.amdhsa_exception_fp_ieee_overflow 0
		.amdhsa_exception_fp_ieee_underflow 0
		.amdhsa_exception_fp_ieee_inexact 0
		.amdhsa_exception_int_div_zero 0
	.end_amdhsa_kernel
	.section	.text._ZN7rocprim17ROCPRIM_400000_NS6detail17trampoline_kernelINS0_14default_configENS1_27scan_by_key_config_selectorIxxEEZZNS1_16scan_by_key_implILNS1_25lookback_scan_determinismE0ELb1ES3_N6thrust23THRUST_200600_302600_NS6detail15normal_iteratorINS9_10device_ptrIxEEEESE_SE_xNS9_10multipliesIxEENS9_8equal_toIxEExEE10hipError_tPvRmT2_T3_T4_T5_mT6_T7_P12ihipStream_tbENKUlT_T0_E_clISt17integral_constantIbLb1EESY_IbLb0EEEEDaSU_SV_EUlSU_E_NS1_11comp_targetILNS1_3genE4ELNS1_11target_archE910ELNS1_3gpuE8ELNS1_3repE0EEENS1_30default_config_static_selectorELNS0_4arch9wavefront6targetE1EEEvT1_,"axG",@progbits,_ZN7rocprim17ROCPRIM_400000_NS6detail17trampoline_kernelINS0_14default_configENS1_27scan_by_key_config_selectorIxxEEZZNS1_16scan_by_key_implILNS1_25lookback_scan_determinismE0ELb1ES3_N6thrust23THRUST_200600_302600_NS6detail15normal_iteratorINS9_10device_ptrIxEEEESE_SE_xNS9_10multipliesIxEENS9_8equal_toIxEExEE10hipError_tPvRmT2_T3_T4_T5_mT6_T7_P12ihipStream_tbENKUlT_T0_E_clISt17integral_constantIbLb1EESY_IbLb0EEEEDaSU_SV_EUlSU_E_NS1_11comp_targetILNS1_3genE4ELNS1_11target_archE910ELNS1_3gpuE8ELNS1_3repE0EEENS1_30default_config_static_selectorELNS0_4arch9wavefront6targetE1EEEvT1_,comdat
.Lfunc_end410:
	.size	_ZN7rocprim17ROCPRIM_400000_NS6detail17trampoline_kernelINS0_14default_configENS1_27scan_by_key_config_selectorIxxEEZZNS1_16scan_by_key_implILNS1_25lookback_scan_determinismE0ELb1ES3_N6thrust23THRUST_200600_302600_NS6detail15normal_iteratorINS9_10device_ptrIxEEEESE_SE_xNS9_10multipliesIxEENS9_8equal_toIxEExEE10hipError_tPvRmT2_T3_T4_T5_mT6_T7_P12ihipStream_tbENKUlT_T0_E_clISt17integral_constantIbLb1EESY_IbLb0EEEEDaSU_SV_EUlSU_E_NS1_11comp_targetILNS1_3genE4ELNS1_11target_archE910ELNS1_3gpuE8ELNS1_3repE0EEENS1_30default_config_static_selectorELNS0_4arch9wavefront6targetE1EEEvT1_, .Lfunc_end410-_ZN7rocprim17ROCPRIM_400000_NS6detail17trampoline_kernelINS0_14default_configENS1_27scan_by_key_config_selectorIxxEEZZNS1_16scan_by_key_implILNS1_25lookback_scan_determinismE0ELb1ES3_N6thrust23THRUST_200600_302600_NS6detail15normal_iteratorINS9_10device_ptrIxEEEESE_SE_xNS9_10multipliesIxEENS9_8equal_toIxEExEE10hipError_tPvRmT2_T3_T4_T5_mT6_T7_P12ihipStream_tbENKUlT_T0_E_clISt17integral_constantIbLb1EESY_IbLb0EEEEDaSU_SV_EUlSU_E_NS1_11comp_targetILNS1_3genE4ELNS1_11target_archE910ELNS1_3gpuE8ELNS1_3repE0EEENS1_30default_config_static_selectorELNS0_4arch9wavefront6targetE1EEEvT1_
                                        ; -- End function
	.section	.AMDGPU.csdata,"",@progbits
; Kernel info:
; codeLenInByte = 0
; NumSgprs: 6
; NumVgprs: 0
; NumAgprs: 0
; TotalNumVgprs: 0
; ScratchSize: 0
; MemoryBound: 0
; FloatMode: 240
; IeeeMode: 1
; LDSByteSize: 0 bytes/workgroup (compile time only)
; SGPRBlocks: 0
; VGPRBlocks: 0
; NumSGPRsForWavesPerEU: 6
; NumVGPRsForWavesPerEU: 1
; AccumOffset: 4
; Occupancy: 8
; WaveLimiterHint : 0
; COMPUTE_PGM_RSRC2:SCRATCH_EN: 0
; COMPUTE_PGM_RSRC2:USER_SGPR: 2
; COMPUTE_PGM_RSRC2:TRAP_HANDLER: 0
; COMPUTE_PGM_RSRC2:TGID_X_EN: 1
; COMPUTE_PGM_RSRC2:TGID_Y_EN: 0
; COMPUTE_PGM_RSRC2:TGID_Z_EN: 0
; COMPUTE_PGM_RSRC2:TIDIG_COMP_CNT: 0
; COMPUTE_PGM_RSRC3_GFX90A:ACCUM_OFFSET: 0
; COMPUTE_PGM_RSRC3_GFX90A:TG_SPLIT: 0
	.section	.text._ZN7rocprim17ROCPRIM_400000_NS6detail17trampoline_kernelINS0_14default_configENS1_27scan_by_key_config_selectorIxxEEZZNS1_16scan_by_key_implILNS1_25lookback_scan_determinismE0ELb1ES3_N6thrust23THRUST_200600_302600_NS6detail15normal_iteratorINS9_10device_ptrIxEEEESE_SE_xNS9_10multipliesIxEENS9_8equal_toIxEExEE10hipError_tPvRmT2_T3_T4_T5_mT6_T7_P12ihipStream_tbENKUlT_T0_E_clISt17integral_constantIbLb1EESY_IbLb0EEEEDaSU_SV_EUlSU_E_NS1_11comp_targetILNS1_3genE3ELNS1_11target_archE908ELNS1_3gpuE7ELNS1_3repE0EEENS1_30default_config_static_selectorELNS0_4arch9wavefront6targetE1EEEvT1_,"axG",@progbits,_ZN7rocprim17ROCPRIM_400000_NS6detail17trampoline_kernelINS0_14default_configENS1_27scan_by_key_config_selectorIxxEEZZNS1_16scan_by_key_implILNS1_25lookback_scan_determinismE0ELb1ES3_N6thrust23THRUST_200600_302600_NS6detail15normal_iteratorINS9_10device_ptrIxEEEESE_SE_xNS9_10multipliesIxEENS9_8equal_toIxEExEE10hipError_tPvRmT2_T3_T4_T5_mT6_T7_P12ihipStream_tbENKUlT_T0_E_clISt17integral_constantIbLb1EESY_IbLb0EEEEDaSU_SV_EUlSU_E_NS1_11comp_targetILNS1_3genE3ELNS1_11target_archE908ELNS1_3gpuE7ELNS1_3repE0EEENS1_30default_config_static_selectorELNS0_4arch9wavefront6targetE1EEEvT1_,comdat
	.protected	_ZN7rocprim17ROCPRIM_400000_NS6detail17trampoline_kernelINS0_14default_configENS1_27scan_by_key_config_selectorIxxEEZZNS1_16scan_by_key_implILNS1_25lookback_scan_determinismE0ELb1ES3_N6thrust23THRUST_200600_302600_NS6detail15normal_iteratorINS9_10device_ptrIxEEEESE_SE_xNS9_10multipliesIxEENS9_8equal_toIxEExEE10hipError_tPvRmT2_T3_T4_T5_mT6_T7_P12ihipStream_tbENKUlT_T0_E_clISt17integral_constantIbLb1EESY_IbLb0EEEEDaSU_SV_EUlSU_E_NS1_11comp_targetILNS1_3genE3ELNS1_11target_archE908ELNS1_3gpuE7ELNS1_3repE0EEENS1_30default_config_static_selectorELNS0_4arch9wavefront6targetE1EEEvT1_ ; -- Begin function _ZN7rocprim17ROCPRIM_400000_NS6detail17trampoline_kernelINS0_14default_configENS1_27scan_by_key_config_selectorIxxEEZZNS1_16scan_by_key_implILNS1_25lookback_scan_determinismE0ELb1ES3_N6thrust23THRUST_200600_302600_NS6detail15normal_iteratorINS9_10device_ptrIxEEEESE_SE_xNS9_10multipliesIxEENS9_8equal_toIxEExEE10hipError_tPvRmT2_T3_T4_T5_mT6_T7_P12ihipStream_tbENKUlT_T0_E_clISt17integral_constantIbLb1EESY_IbLb0EEEEDaSU_SV_EUlSU_E_NS1_11comp_targetILNS1_3genE3ELNS1_11target_archE908ELNS1_3gpuE7ELNS1_3repE0EEENS1_30default_config_static_selectorELNS0_4arch9wavefront6targetE1EEEvT1_
	.globl	_ZN7rocprim17ROCPRIM_400000_NS6detail17trampoline_kernelINS0_14default_configENS1_27scan_by_key_config_selectorIxxEEZZNS1_16scan_by_key_implILNS1_25lookback_scan_determinismE0ELb1ES3_N6thrust23THRUST_200600_302600_NS6detail15normal_iteratorINS9_10device_ptrIxEEEESE_SE_xNS9_10multipliesIxEENS9_8equal_toIxEExEE10hipError_tPvRmT2_T3_T4_T5_mT6_T7_P12ihipStream_tbENKUlT_T0_E_clISt17integral_constantIbLb1EESY_IbLb0EEEEDaSU_SV_EUlSU_E_NS1_11comp_targetILNS1_3genE3ELNS1_11target_archE908ELNS1_3gpuE7ELNS1_3repE0EEENS1_30default_config_static_selectorELNS0_4arch9wavefront6targetE1EEEvT1_
	.p2align	8
	.type	_ZN7rocprim17ROCPRIM_400000_NS6detail17trampoline_kernelINS0_14default_configENS1_27scan_by_key_config_selectorIxxEEZZNS1_16scan_by_key_implILNS1_25lookback_scan_determinismE0ELb1ES3_N6thrust23THRUST_200600_302600_NS6detail15normal_iteratorINS9_10device_ptrIxEEEESE_SE_xNS9_10multipliesIxEENS9_8equal_toIxEExEE10hipError_tPvRmT2_T3_T4_T5_mT6_T7_P12ihipStream_tbENKUlT_T0_E_clISt17integral_constantIbLb1EESY_IbLb0EEEEDaSU_SV_EUlSU_E_NS1_11comp_targetILNS1_3genE3ELNS1_11target_archE908ELNS1_3gpuE7ELNS1_3repE0EEENS1_30default_config_static_selectorELNS0_4arch9wavefront6targetE1EEEvT1_,@function
_ZN7rocprim17ROCPRIM_400000_NS6detail17trampoline_kernelINS0_14default_configENS1_27scan_by_key_config_selectorIxxEEZZNS1_16scan_by_key_implILNS1_25lookback_scan_determinismE0ELb1ES3_N6thrust23THRUST_200600_302600_NS6detail15normal_iteratorINS9_10device_ptrIxEEEESE_SE_xNS9_10multipliesIxEENS9_8equal_toIxEExEE10hipError_tPvRmT2_T3_T4_T5_mT6_T7_P12ihipStream_tbENKUlT_T0_E_clISt17integral_constantIbLb1EESY_IbLb0EEEEDaSU_SV_EUlSU_E_NS1_11comp_targetILNS1_3genE3ELNS1_11target_archE908ELNS1_3gpuE7ELNS1_3repE0EEENS1_30default_config_static_selectorELNS0_4arch9wavefront6targetE1EEEvT1_: ; @_ZN7rocprim17ROCPRIM_400000_NS6detail17trampoline_kernelINS0_14default_configENS1_27scan_by_key_config_selectorIxxEEZZNS1_16scan_by_key_implILNS1_25lookback_scan_determinismE0ELb1ES3_N6thrust23THRUST_200600_302600_NS6detail15normal_iteratorINS9_10device_ptrIxEEEESE_SE_xNS9_10multipliesIxEENS9_8equal_toIxEExEE10hipError_tPvRmT2_T3_T4_T5_mT6_T7_P12ihipStream_tbENKUlT_T0_E_clISt17integral_constantIbLb1EESY_IbLb0EEEEDaSU_SV_EUlSU_E_NS1_11comp_targetILNS1_3genE3ELNS1_11target_archE908ELNS1_3gpuE7ELNS1_3repE0EEENS1_30default_config_static_selectorELNS0_4arch9wavefront6targetE1EEEvT1_
; %bb.0:
	.section	.rodata,"a",@progbits
	.p2align	6, 0x0
	.amdhsa_kernel _ZN7rocprim17ROCPRIM_400000_NS6detail17trampoline_kernelINS0_14default_configENS1_27scan_by_key_config_selectorIxxEEZZNS1_16scan_by_key_implILNS1_25lookback_scan_determinismE0ELb1ES3_N6thrust23THRUST_200600_302600_NS6detail15normal_iteratorINS9_10device_ptrIxEEEESE_SE_xNS9_10multipliesIxEENS9_8equal_toIxEExEE10hipError_tPvRmT2_T3_T4_T5_mT6_T7_P12ihipStream_tbENKUlT_T0_E_clISt17integral_constantIbLb1EESY_IbLb0EEEEDaSU_SV_EUlSU_E_NS1_11comp_targetILNS1_3genE3ELNS1_11target_archE908ELNS1_3gpuE7ELNS1_3repE0EEENS1_30default_config_static_selectorELNS0_4arch9wavefront6targetE1EEEvT1_
		.amdhsa_group_segment_fixed_size 0
		.amdhsa_private_segment_fixed_size 0
		.amdhsa_kernarg_size 136
		.amdhsa_user_sgpr_count 2
		.amdhsa_user_sgpr_dispatch_ptr 0
		.amdhsa_user_sgpr_queue_ptr 0
		.amdhsa_user_sgpr_kernarg_segment_ptr 1
		.amdhsa_user_sgpr_dispatch_id 0
		.amdhsa_user_sgpr_kernarg_preload_length 0
		.amdhsa_user_sgpr_kernarg_preload_offset 0
		.amdhsa_user_sgpr_private_segment_size 0
		.amdhsa_uses_dynamic_stack 0
		.amdhsa_enable_private_segment 0
		.amdhsa_system_sgpr_workgroup_id_x 1
		.amdhsa_system_sgpr_workgroup_id_y 0
		.amdhsa_system_sgpr_workgroup_id_z 0
		.amdhsa_system_sgpr_workgroup_info 0
		.amdhsa_system_vgpr_workitem_id 0
		.amdhsa_next_free_vgpr 1
		.amdhsa_next_free_sgpr 0
		.amdhsa_accum_offset 4
		.amdhsa_reserve_vcc 0
		.amdhsa_float_round_mode_32 0
		.amdhsa_float_round_mode_16_64 0
		.amdhsa_float_denorm_mode_32 3
		.amdhsa_float_denorm_mode_16_64 3
		.amdhsa_dx10_clamp 1
		.amdhsa_ieee_mode 1
		.amdhsa_fp16_overflow 0
		.amdhsa_tg_split 0
		.amdhsa_exception_fp_ieee_invalid_op 0
		.amdhsa_exception_fp_denorm_src 0
		.amdhsa_exception_fp_ieee_div_zero 0
		.amdhsa_exception_fp_ieee_overflow 0
		.amdhsa_exception_fp_ieee_underflow 0
		.amdhsa_exception_fp_ieee_inexact 0
		.amdhsa_exception_int_div_zero 0
	.end_amdhsa_kernel
	.section	.text._ZN7rocprim17ROCPRIM_400000_NS6detail17trampoline_kernelINS0_14default_configENS1_27scan_by_key_config_selectorIxxEEZZNS1_16scan_by_key_implILNS1_25lookback_scan_determinismE0ELb1ES3_N6thrust23THRUST_200600_302600_NS6detail15normal_iteratorINS9_10device_ptrIxEEEESE_SE_xNS9_10multipliesIxEENS9_8equal_toIxEExEE10hipError_tPvRmT2_T3_T4_T5_mT6_T7_P12ihipStream_tbENKUlT_T0_E_clISt17integral_constantIbLb1EESY_IbLb0EEEEDaSU_SV_EUlSU_E_NS1_11comp_targetILNS1_3genE3ELNS1_11target_archE908ELNS1_3gpuE7ELNS1_3repE0EEENS1_30default_config_static_selectorELNS0_4arch9wavefront6targetE1EEEvT1_,"axG",@progbits,_ZN7rocprim17ROCPRIM_400000_NS6detail17trampoline_kernelINS0_14default_configENS1_27scan_by_key_config_selectorIxxEEZZNS1_16scan_by_key_implILNS1_25lookback_scan_determinismE0ELb1ES3_N6thrust23THRUST_200600_302600_NS6detail15normal_iteratorINS9_10device_ptrIxEEEESE_SE_xNS9_10multipliesIxEENS9_8equal_toIxEExEE10hipError_tPvRmT2_T3_T4_T5_mT6_T7_P12ihipStream_tbENKUlT_T0_E_clISt17integral_constantIbLb1EESY_IbLb0EEEEDaSU_SV_EUlSU_E_NS1_11comp_targetILNS1_3genE3ELNS1_11target_archE908ELNS1_3gpuE7ELNS1_3repE0EEENS1_30default_config_static_selectorELNS0_4arch9wavefront6targetE1EEEvT1_,comdat
.Lfunc_end411:
	.size	_ZN7rocprim17ROCPRIM_400000_NS6detail17trampoline_kernelINS0_14default_configENS1_27scan_by_key_config_selectorIxxEEZZNS1_16scan_by_key_implILNS1_25lookback_scan_determinismE0ELb1ES3_N6thrust23THRUST_200600_302600_NS6detail15normal_iteratorINS9_10device_ptrIxEEEESE_SE_xNS9_10multipliesIxEENS9_8equal_toIxEExEE10hipError_tPvRmT2_T3_T4_T5_mT6_T7_P12ihipStream_tbENKUlT_T0_E_clISt17integral_constantIbLb1EESY_IbLb0EEEEDaSU_SV_EUlSU_E_NS1_11comp_targetILNS1_3genE3ELNS1_11target_archE908ELNS1_3gpuE7ELNS1_3repE0EEENS1_30default_config_static_selectorELNS0_4arch9wavefront6targetE1EEEvT1_, .Lfunc_end411-_ZN7rocprim17ROCPRIM_400000_NS6detail17trampoline_kernelINS0_14default_configENS1_27scan_by_key_config_selectorIxxEEZZNS1_16scan_by_key_implILNS1_25lookback_scan_determinismE0ELb1ES3_N6thrust23THRUST_200600_302600_NS6detail15normal_iteratorINS9_10device_ptrIxEEEESE_SE_xNS9_10multipliesIxEENS9_8equal_toIxEExEE10hipError_tPvRmT2_T3_T4_T5_mT6_T7_P12ihipStream_tbENKUlT_T0_E_clISt17integral_constantIbLb1EESY_IbLb0EEEEDaSU_SV_EUlSU_E_NS1_11comp_targetILNS1_3genE3ELNS1_11target_archE908ELNS1_3gpuE7ELNS1_3repE0EEENS1_30default_config_static_selectorELNS0_4arch9wavefront6targetE1EEEvT1_
                                        ; -- End function
	.section	.AMDGPU.csdata,"",@progbits
; Kernel info:
; codeLenInByte = 0
; NumSgprs: 6
; NumVgprs: 0
; NumAgprs: 0
; TotalNumVgprs: 0
; ScratchSize: 0
; MemoryBound: 0
; FloatMode: 240
; IeeeMode: 1
; LDSByteSize: 0 bytes/workgroup (compile time only)
; SGPRBlocks: 0
; VGPRBlocks: 0
; NumSGPRsForWavesPerEU: 6
; NumVGPRsForWavesPerEU: 1
; AccumOffset: 4
; Occupancy: 8
; WaveLimiterHint : 0
; COMPUTE_PGM_RSRC2:SCRATCH_EN: 0
; COMPUTE_PGM_RSRC2:USER_SGPR: 2
; COMPUTE_PGM_RSRC2:TRAP_HANDLER: 0
; COMPUTE_PGM_RSRC2:TGID_X_EN: 1
; COMPUTE_PGM_RSRC2:TGID_Y_EN: 0
; COMPUTE_PGM_RSRC2:TGID_Z_EN: 0
; COMPUTE_PGM_RSRC2:TIDIG_COMP_CNT: 0
; COMPUTE_PGM_RSRC3_GFX90A:ACCUM_OFFSET: 0
; COMPUTE_PGM_RSRC3_GFX90A:TG_SPLIT: 0
	.section	.text._ZN7rocprim17ROCPRIM_400000_NS6detail17trampoline_kernelINS0_14default_configENS1_27scan_by_key_config_selectorIxxEEZZNS1_16scan_by_key_implILNS1_25lookback_scan_determinismE0ELb1ES3_N6thrust23THRUST_200600_302600_NS6detail15normal_iteratorINS9_10device_ptrIxEEEESE_SE_xNS9_10multipliesIxEENS9_8equal_toIxEExEE10hipError_tPvRmT2_T3_T4_T5_mT6_T7_P12ihipStream_tbENKUlT_T0_E_clISt17integral_constantIbLb1EESY_IbLb0EEEEDaSU_SV_EUlSU_E_NS1_11comp_targetILNS1_3genE2ELNS1_11target_archE906ELNS1_3gpuE6ELNS1_3repE0EEENS1_30default_config_static_selectorELNS0_4arch9wavefront6targetE1EEEvT1_,"axG",@progbits,_ZN7rocprim17ROCPRIM_400000_NS6detail17trampoline_kernelINS0_14default_configENS1_27scan_by_key_config_selectorIxxEEZZNS1_16scan_by_key_implILNS1_25lookback_scan_determinismE0ELb1ES3_N6thrust23THRUST_200600_302600_NS6detail15normal_iteratorINS9_10device_ptrIxEEEESE_SE_xNS9_10multipliesIxEENS9_8equal_toIxEExEE10hipError_tPvRmT2_T3_T4_T5_mT6_T7_P12ihipStream_tbENKUlT_T0_E_clISt17integral_constantIbLb1EESY_IbLb0EEEEDaSU_SV_EUlSU_E_NS1_11comp_targetILNS1_3genE2ELNS1_11target_archE906ELNS1_3gpuE6ELNS1_3repE0EEENS1_30default_config_static_selectorELNS0_4arch9wavefront6targetE1EEEvT1_,comdat
	.protected	_ZN7rocprim17ROCPRIM_400000_NS6detail17trampoline_kernelINS0_14default_configENS1_27scan_by_key_config_selectorIxxEEZZNS1_16scan_by_key_implILNS1_25lookback_scan_determinismE0ELb1ES3_N6thrust23THRUST_200600_302600_NS6detail15normal_iteratorINS9_10device_ptrIxEEEESE_SE_xNS9_10multipliesIxEENS9_8equal_toIxEExEE10hipError_tPvRmT2_T3_T4_T5_mT6_T7_P12ihipStream_tbENKUlT_T0_E_clISt17integral_constantIbLb1EESY_IbLb0EEEEDaSU_SV_EUlSU_E_NS1_11comp_targetILNS1_3genE2ELNS1_11target_archE906ELNS1_3gpuE6ELNS1_3repE0EEENS1_30default_config_static_selectorELNS0_4arch9wavefront6targetE1EEEvT1_ ; -- Begin function _ZN7rocprim17ROCPRIM_400000_NS6detail17trampoline_kernelINS0_14default_configENS1_27scan_by_key_config_selectorIxxEEZZNS1_16scan_by_key_implILNS1_25lookback_scan_determinismE0ELb1ES3_N6thrust23THRUST_200600_302600_NS6detail15normal_iteratorINS9_10device_ptrIxEEEESE_SE_xNS9_10multipliesIxEENS9_8equal_toIxEExEE10hipError_tPvRmT2_T3_T4_T5_mT6_T7_P12ihipStream_tbENKUlT_T0_E_clISt17integral_constantIbLb1EESY_IbLb0EEEEDaSU_SV_EUlSU_E_NS1_11comp_targetILNS1_3genE2ELNS1_11target_archE906ELNS1_3gpuE6ELNS1_3repE0EEENS1_30default_config_static_selectorELNS0_4arch9wavefront6targetE1EEEvT1_
	.globl	_ZN7rocprim17ROCPRIM_400000_NS6detail17trampoline_kernelINS0_14default_configENS1_27scan_by_key_config_selectorIxxEEZZNS1_16scan_by_key_implILNS1_25lookback_scan_determinismE0ELb1ES3_N6thrust23THRUST_200600_302600_NS6detail15normal_iteratorINS9_10device_ptrIxEEEESE_SE_xNS9_10multipliesIxEENS9_8equal_toIxEExEE10hipError_tPvRmT2_T3_T4_T5_mT6_T7_P12ihipStream_tbENKUlT_T0_E_clISt17integral_constantIbLb1EESY_IbLb0EEEEDaSU_SV_EUlSU_E_NS1_11comp_targetILNS1_3genE2ELNS1_11target_archE906ELNS1_3gpuE6ELNS1_3repE0EEENS1_30default_config_static_selectorELNS0_4arch9wavefront6targetE1EEEvT1_
	.p2align	8
	.type	_ZN7rocprim17ROCPRIM_400000_NS6detail17trampoline_kernelINS0_14default_configENS1_27scan_by_key_config_selectorIxxEEZZNS1_16scan_by_key_implILNS1_25lookback_scan_determinismE0ELb1ES3_N6thrust23THRUST_200600_302600_NS6detail15normal_iteratorINS9_10device_ptrIxEEEESE_SE_xNS9_10multipliesIxEENS9_8equal_toIxEExEE10hipError_tPvRmT2_T3_T4_T5_mT6_T7_P12ihipStream_tbENKUlT_T0_E_clISt17integral_constantIbLb1EESY_IbLb0EEEEDaSU_SV_EUlSU_E_NS1_11comp_targetILNS1_3genE2ELNS1_11target_archE906ELNS1_3gpuE6ELNS1_3repE0EEENS1_30default_config_static_selectorELNS0_4arch9wavefront6targetE1EEEvT1_,@function
_ZN7rocprim17ROCPRIM_400000_NS6detail17trampoline_kernelINS0_14default_configENS1_27scan_by_key_config_selectorIxxEEZZNS1_16scan_by_key_implILNS1_25lookback_scan_determinismE0ELb1ES3_N6thrust23THRUST_200600_302600_NS6detail15normal_iteratorINS9_10device_ptrIxEEEESE_SE_xNS9_10multipliesIxEENS9_8equal_toIxEExEE10hipError_tPvRmT2_T3_T4_T5_mT6_T7_P12ihipStream_tbENKUlT_T0_E_clISt17integral_constantIbLb1EESY_IbLb0EEEEDaSU_SV_EUlSU_E_NS1_11comp_targetILNS1_3genE2ELNS1_11target_archE906ELNS1_3gpuE6ELNS1_3repE0EEENS1_30default_config_static_selectorELNS0_4arch9wavefront6targetE1EEEvT1_: ; @_ZN7rocprim17ROCPRIM_400000_NS6detail17trampoline_kernelINS0_14default_configENS1_27scan_by_key_config_selectorIxxEEZZNS1_16scan_by_key_implILNS1_25lookback_scan_determinismE0ELb1ES3_N6thrust23THRUST_200600_302600_NS6detail15normal_iteratorINS9_10device_ptrIxEEEESE_SE_xNS9_10multipliesIxEENS9_8equal_toIxEExEE10hipError_tPvRmT2_T3_T4_T5_mT6_T7_P12ihipStream_tbENKUlT_T0_E_clISt17integral_constantIbLb1EESY_IbLb0EEEEDaSU_SV_EUlSU_E_NS1_11comp_targetILNS1_3genE2ELNS1_11target_archE906ELNS1_3gpuE6ELNS1_3repE0EEENS1_30default_config_static_selectorELNS0_4arch9wavefront6targetE1EEEvT1_
; %bb.0:
	.section	.rodata,"a",@progbits
	.p2align	6, 0x0
	.amdhsa_kernel _ZN7rocprim17ROCPRIM_400000_NS6detail17trampoline_kernelINS0_14default_configENS1_27scan_by_key_config_selectorIxxEEZZNS1_16scan_by_key_implILNS1_25lookback_scan_determinismE0ELb1ES3_N6thrust23THRUST_200600_302600_NS6detail15normal_iteratorINS9_10device_ptrIxEEEESE_SE_xNS9_10multipliesIxEENS9_8equal_toIxEExEE10hipError_tPvRmT2_T3_T4_T5_mT6_T7_P12ihipStream_tbENKUlT_T0_E_clISt17integral_constantIbLb1EESY_IbLb0EEEEDaSU_SV_EUlSU_E_NS1_11comp_targetILNS1_3genE2ELNS1_11target_archE906ELNS1_3gpuE6ELNS1_3repE0EEENS1_30default_config_static_selectorELNS0_4arch9wavefront6targetE1EEEvT1_
		.amdhsa_group_segment_fixed_size 0
		.amdhsa_private_segment_fixed_size 0
		.amdhsa_kernarg_size 136
		.amdhsa_user_sgpr_count 2
		.amdhsa_user_sgpr_dispatch_ptr 0
		.amdhsa_user_sgpr_queue_ptr 0
		.amdhsa_user_sgpr_kernarg_segment_ptr 1
		.amdhsa_user_sgpr_dispatch_id 0
		.amdhsa_user_sgpr_kernarg_preload_length 0
		.amdhsa_user_sgpr_kernarg_preload_offset 0
		.amdhsa_user_sgpr_private_segment_size 0
		.amdhsa_uses_dynamic_stack 0
		.amdhsa_enable_private_segment 0
		.amdhsa_system_sgpr_workgroup_id_x 1
		.amdhsa_system_sgpr_workgroup_id_y 0
		.amdhsa_system_sgpr_workgroup_id_z 0
		.amdhsa_system_sgpr_workgroup_info 0
		.amdhsa_system_vgpr_workitem_id 0
		.amdhsa_next_free_vgpr 1
		.amdhsa_next_free_sgpr 0
		.amdhsa_accum_offset 4
		.amdhsa_reserve_vcc 0
		.amdhsa_float_round_mode_32 0
		.amdhsa_float_round_mode_16_64 0
		.amdhsa_float_denorm_mode_32 3
		.amdhsa_float_denorm_mode_16_64 3
		.amdhsa_dx10_clamp 1
		.amdhsa_ieee_mode 1
		.amdhsa_fp16_overflow 0
		.amdhsa_tg_split 0
		.amdhsa_exception_fp_ieee_invalid_op 0
		.amdhsa_exception_fp_denorm_src 0
		.amdhsa_exception_fp_ieee_div_zero 0
		.amdhsa_exception_fp_ieee_overflow 0
		.amdhsa_exception_fp_ieee_underflow 0
		.amdhsa_exception_fp_ieee_inexact 0
		.amdhsa_exception_int_div_zero 0
	.end_amdhsa_kernel
	.section	.text._ZN7rocprim17ROCPRIM_400000_NS6detail17trampoline_kernelINS0_14default_configENS1_27scan_by_key_config_selectorIxxEEZZNS1_16scan_by_key_implILNS1_25lookback_scan_determinismE0ELb1ES3_N6thrust23THRUST_200600_302600_NS6detail15normal_iteratorINS9_10device_ptrIxEEEESE_SE_xNS9_10multipliesIxEENS9_8equal_toIxEExEE10hipError_tPvRmT2_T3_T4_T5_mT6_T7_P12ihipStream_tbENKUlT_T0_E_clISt17integral_constantIbLb1EESY_IbLb0EEEEDaSU_SV_EUlSU_E_NS1_11comp_targetILNS1_3genE2ELNS1_11target_archE906ELNS1_3gpuE6ELNS1_3repE0EEENS1_30default_config_static_selectorELNS0_4arch9wavefront6targetE1EEEvT1_,"axG",@progbits,_ZN7rocprim17ROCPRIM_400000_NS6detail17trampoline_kernelINS0_14default_configENS1_27scan_by_key_config_selectorIxxEEZZNS1_16scan_by_key_implILNS1_25lookback_scan_determinismE0ELb1ES3_N6thrust23THRUST_200600_302600_NS6detail15normal_iteratorINS9_10device_ptrIxEEEESE_SE_xNS9_10multipliesIxEENS9_8equal_toIxEExEE10hipError_tPvRmT2_T3_T4_T5_mT6_T7_P12ihipStream_tbENKUlT_T0_E_clISt17integral_constantIbLb1EESY_IbLb0EEEEDaSU_SV_EUlSU_E_NS1_11comp_targetILNS1_3genE2ELNS1_11target_archE906ELNS1_3gpuE6ELNS1_3repE0EEENS1_30default_config_static_selectorELNS0_4arch9wavefront6targetE1EEEvT1_,comdat
.Lfunc_end412:
	.size	_ZN7rocprim17ROCPRIM_400000_NS6detail17trampoline_kernelINS0_14default_configENS1_27scan_by_key_config_selectorIxxEEZZNS1_16scan_by_key_implILNS1_25lookback_scan_determinismE0ELb1ES3_N6thrust23THRUST_200600_302600_NS6detail15normal_iteratorINS9_10device_ptrIxEEEESE_SE_xNS9_10multipliesIxEENS9_8equal_toIxEExEE10hipError_tPvRmT2_T3_T4_T5_mT6_T7_P12ihipStream_tbENKUlT_T0_E_clISt17integral_constantIbLb1EESY_IbLb0EEEEDaSU_SV_EUlSU_E_NS1_11comp_targetILNS1_3genE2ELNS1_11target_archE906ELNS1_3gpuE6ELNS1_3repE0EEENS1_30default_config_static_selectorELNS0_4arch9wavefront6targetE1EEEvT1_, .Lfunc_end412-_ZN7rocprim17ROCPRIM_400000_NS6detail17trampoline_kernelINS0_14default_configENS1_27scan_by_key_config_selectorIxxEEZZNS1_16scan_by_key_implILNS1_25lookback_scan_determinismE0ELb1ES3_N6thrust23THRUST_200600_302600_NS6detail15normal_iteratorINS9_10device_ptrIxEEEESE_SE_xNS9_10multipliesIxEENS9_8equal_toIxEExEE10hipError_tPvRmT2_T3_T4_T5_mT6_T7_P12ihipStream_tbENKUlT_T0_E_clISt17integral_constantIbLb1EESY_IbLb0EEEEDaSU_SV_EUlSU_E_NS1_11comp_targetILNS1_3genE2ELNS1_11target_archE906ELNS1_3gpuE6ELNS1_3repE0EEENS1_30default_config_static_selectorELNS0_4arch9wavefront6targetE1EEEvT1_
                                        ; -- End function
	.section	.AMDGPU.csdata,"",@progbits
; Kernel info:
; codeLenInByte = 0
; NumSgprs: 6
; NumVgprs: 0
; NumAgprs: 0
; TotalNumVgprs: 0
; ScratchSize: 0
; MemoryBound: 0
; FloatMode: 240
; IeeeMode: 1
; LDSByteSize: 0 bytes/workgroup (compile time only)
; SGPRBlocks: 0
; VGPRBlocks: 0
; NumSGPRsForWavesPerEU: 6
; NumVGPRsForWavesPerEU: 1
; AccumOffset: 4
; Occupancy: 8
; WaveLimiterHint : 0
; COMPUTE_PGM_RSRC2:SCRATCH_EN: 0
; COMPUTE_PGM_RSRC2:USER_SGPR: 2
; COMPUTE_PGM_RSRC2:TRAP_HANDLER: 0
; COMPUTE_PGM_RSRC2:TGID_X_EN: 1
; COMPUTE_PGM_RSRC2:TGID_Y_EN: 0
; COMPUTE_PGM_RSRC2:TGID_Z_EN: 0
; COMPUTE_PGM_RSRC2:TIDIG_COMP_CNT: 0
; COMPUTE_PGM_RSRC3_GFX90A:ACCUM_OFFSET: 0
; COMPUTE_PGM_RSRC3_GFX90A:TG_SPLIT: 0
	.section	.text._ZN7rocprim17ROCPRIM_400000_NS6detail17trampoline_kernelINS0_14default_configENS1_27scan_by_key_config_selectorIxxEEZZNS1_16scan_by_key_implILNS1_25lookback_scan_determinismE0ELb1ES3_N6thrust23THRUST_200600_302600_NS6detail15normal_iteratorINS9_10device_ptrIxEEEESE_SE_xNS9_10multipliesIxEENS9_8equal_toIxEExEE10hipError_tPvRmT2_T3_T4_T5_mT6_T7_P12ihipStream_tbENKUlT_T0_E_clISt17integral_constantIbLb1EESY_IbLb0EEEEDaSU_SV_EUlSU_E_NS1_11comp_targetILNS1_3genE10ELNS1_11target_archE1200ELNS1_3gpuE4ELNS1_3repE0EEENS1_30default_config_static_selectorELNS0_4arch9wavefront6targetE1EEEvT1_,"axG",@progbits,_ZN7rocprim17ROCPRIM_400000_NS6detail17trampoline_kernelINS0_14default_configENS1_27scan_by_key_config_selectorIxxEEZZNS1_16scan_by_key_implILNS1_25lookback_scan_determinismE0ELb1ES3_N6thrust23THRUST_200600_302600_NS6detail15normal_iteratorINS9_10device_ptrIxEEEESE_SE_xNS9_10multipliesIxEENS9_8equal_toIxEExEE10hipError_tPvRmT2_T3_T4_T5_mT6_T7_P12ihipStream_tbENKUlT_T0_E_clISt17integral_constantIbLb1EESY_IbLb0EEEEDaSU_SV_EUlSU_E_NS1_11comp_targetILNS1_3genE10ELNS1_11target_archE1200ELNS1_3gpuE4ELNS1_3repE0EEENS1_30default_config_static_selectorELNS0_4arch9wavefront6targetE1EEEvT1_,comdat
	.protected	_ZN7rocprim17ROCPRIM_400000_NS6detail17trampoline_kernelINS0_14default_configENS1_27scan_by_key_config_selectorIxxEEZZNS1_16scan_by_key_implILNS1_25lookback_scan_determinismE0ELb1ES3_N6thrust23THRUST_200600_302600_NS6detail15normal_iteratorINS9_10device_ptrIxEEEESE_SE_xNS9_10multipliesIxEENS9_8equal_toIxEExEE10hipError_tPvRmT2_T3_T4_T5_mT6_T7_P12ihipStream_tbENKUlT_T0_E_clISt17integral_constantIbLb1EESY_IbLb0EEEEDaSU_SV_EUlSU_E_NS1_11comp_targetILNS1_3genE10ELNS1_11target_archE1200ELNS1_3gpuE4ELNS1_3repE0EEENS1_30default_config_static_selectorELNS0_4arch9wavefront6targetE1EEEvT1_ ; -- Begin function _ZN7rocprim17ROCPRIM_400000_NS6detail17trampoline_kernelINS0_14default_configENS1_27scan_by_key_config_selectorIxxEEZZNS1_16scan_by_key_implILNS1_25lookback_scan_determinismE0ELb1ES3_N6thrust23THRUST_200600_302600_NS6detail15normal_iteratorINS9_10device_ptrIxEEEESE_SE_xNS9_10multipliesIxEENS9_8equal_toIxEExEE10hipError_tPvRmT2_T3_T4_T5_mT6_T7_P12ihipStream_tbENKUlT_T0_E_clISt17integral_constantIbLb1EESY_IbLb0EEEEDaSU_SV_EUlSU_E_NS1_11comp_targetILNS1_3genE10ELNS1_11target_archE1200ELNS1_3gpuE4ELNS1_3repE0EEENS1_30default_config_static_selectorELNS0_4arch9wavefront6targetE1EEEvT1_
	.globl	_ZN7rocprim17ROCPRIM_400000_NS6detail17trampoline_kernelINS0_14default_configENS1_27scan_by_key_config_selectorIxxEEZZNS1_16scan_by_key_implILNS1_25lookback_scan_determinismE0ELb1ES3_N6thrust23THRUST_200600_302600_NS6detail15normal_iteratorINS9_10device_ptrIxEEEESE_SE_xNS9_10multipliesIxEENS9_8equal_toIxEExEE10hipError_tPvRmT2_T3_T4_T5_mT6_T7_P12ihipStream_tbENKUlT_T0_E_clISt17integral_constantIbLb1EESY_IbLb0EEEEDaSU_SV_EUlSU_E_NS1_11comp_targetILNS1_3genE10ELNS1_11target_archE1200ELNS1_3gpuE4ELNS1_3repE0EEENS1_30default_config_static_selectorELNS0_4arch9wavefront6targetE1EEEvT1_
	.p2align	8
	.type	_ZN7rocprim17ROCPRIM_400000_NS6detail17trampoline_kernelINS0_14default_configENS1_27scan_by_key_config_selectorIxxEEZZNS1_16scan_by_key_implILNS1_25lookback_scan_determinismE0ELb1ES3_N6thrust23THRUST_200600_302600_NS6detail15normal_iteratorINS9_10device_ptrIxEEEESE_SE_xNS9_10multipliesIxEENS9_8equal_toIxEExEE10hipError_tPvRmT2_T3_T4_T5_mT6_T7_P12ihipStream_tbENKUlT_T0_E_clISt17integral_constantIbLb1EESY_IbLb0EEEEDaSU_SV_EUlSU_E_NS1_11comp_targetILNS1_3genE10ELNS1_11target_archE1200ELNS1_3gpuE4ELNS1_3repE0EEENS1_30default_config_static_selectorELNS0_4arch9wavefront6targetE1EEEvT1_,@function
_ZN7rocprim17ROCPRIM_400000_NS6detail17trampoline_kernelINS0_14default_configENS1_27scan_by_key_config_selectorIxxEEZZNS1_16scan_by_key_implILNS1_25lookback_scan_determinismE0ELb1ES3_N6thrust23THRUST_200600_302600_NS6detail15normal_iteratorINS9_10device_ptrIxEEEESE_SE_xNS9_10multipliesIxEENS9_8equal_toIxEExEE10hipError_tPvRmT2_T3_T4_T5_mT6_T7_P12ihipStream_tbENKUlT_T0_E_clISt17integral_constantIbLb1EESY_IbLb0EEEEDaSU_SV_EUlSU_E_NS1_11comp_targetILNS1_3genE10ELNS1_11target_archE1200ELNS1_3gpuE4ELNS1_3repE0EEENS1_30default_config_static_selectorELNS0_4arch9wavefront6targetE1EEEvT1_: ; @_ZN7rocprim17ROCPRIM_400000_NS6detail17trampoline_kernelINS0_14default_configENS1_27scan_by_key_config_selectorIxxEEZZNS1_16scan_by_key_implILNS1_25lookback_scan_determinismE0ELb1ES3_N6thrust23THRUST_200600_302600_NS6detail15normal_iteratorINS9_10device_ptrIxEEEESE_SE_xNS9_10multipliesIxEENS9_8equal_toIxEExEE10hipError_tPvRmT2_T3_T4_T5_mT6_T7_P12ihipStream_tbENKUlT_T0_E_clISt17integral_constantIbLb1EESY_IbLb0EEEEDaSU_SV_EUlSU_E_NS1_11comp_targetILNS1_3genE10ELNS1_11target_archE1200ELNS1_3gpuE4ELNS1_3repE0EEENS1_30default_config_static_selectorELNS0_4arch9wavefront6targetE1EEEvT1_
; %bb.0:
	.section	.rodata,"a",@progbits
	.p2align	6, 0x0
	.amdhsa_kernel _ZN7rocprim17ROCPRIM_400000_NS6detail17trampoline_kernelINS0_14default_configENS1_27scan_by_key_config_selectorIxxEEZZNS1_16scan_by_key_implILNS1_25lookback_scan_determinismE0ELb1ES3_N6thrust23THRUST_200600_302600_NS6detail15normal_iteratorINS9_10device_ptrIxEEEESE_SE_xNS9_10multipliesIxEENS9_8equal_toIxEExEE10hipError_tPvRmT2_T3_T4_T5_mT6_T7_P12ihipStream_tbENKUlT_T0_E_clISt17integral_constantIbLb1EESY_IbLb0EEEEDaSU_SV_EUlSU_E_NS1_11comp_targetILNS1_3genE10ELNS1_11target_archE1200ELNS1_3gpuE4ELNS1_3repE0EEENS1_30default_config_static_selectorELNS0_4arch9wavefront6targetE1EEEvT1_
		.amdhsa_group_segment_fixed_size 0
		.amdhsa_private_segment_fixed_size 0
		.amdhsa_kernarg_size 136
		.amdhsa_user_sgpr_count 2
		.amdhsa_user_sgpr_dispatch_ptr 0
		.amdhsa_user_sgpr_queue_ptr 0
		.amdhsa_user_sgpr_kernarg_segment_ptr 1
		.amdhsa_user_sgpr_dispatch_id 0
		.amdhsa_user_sgpr_kernarg_preload_length 0
		.amdhsa_user_sgpr_kernarg_preload_offset 0
		.amdhsa_user_sgpr_private_segment_size 0
		.amdhsa_uses_dynamic_stack 0
		.amdhsa_enable_private_segment 0
		.amdhsa_system_sgpr_workgroup_id_x 1
		.amdhsa_system_sgpr_workgroup_id_y 0
		.amdhsa_system_sgpr_workgroup_id_z 0
		.amdhsa_system_sgpr_workgroup_info 0
		.amdhsa_system_vgpr_workitem_id 0
		.amdhsa_next_free_vgpr 1
		.amdhsa_next_free_sgpr 0
		.amdhsa_accum_offset 4
		.amdhsa_reserve_vcc 0
		.amdhsa_float_round_mode_32 0
		.amdhsa_float_round_mode_16_64 0
		.amdhsa_float_denorm_mode_32 3
		.amdhsa_float_denorm_mode_16_64 3
		.amdhsa_dx10_clamp 1
		.amdhsa_ieee_mode 1
		.amdhsa_fp16_overflow 0
		.amdhsa_tg_split 0
		.amdhsa_exception_fp_ieee_invalid_op 0
		.amdhsa_exception_fp_denorm_src 0
		.amdhsa_exception_fp_ieee_div_zero 0
		.amdhsa_exception_fp_ieee_overflow 0
		.amdhsa_exception_fp_ieee_underflow 0
		.amdhsa_exception_fp_ieee_inexact 0
		.amdhsa_exception_int_div_zero 0
	.end_amdhsa_kernel
	.section	.text._ZN7rocprim17ROCPRIM_400000_NS6detail17trampoline_kernelINS0_14default_configENS1_27scan_by_key_config_selectorIxxEEZZNS1_16scan_by_key_implILNS1_25lookback_scan_determinismE0ELb1ES3_N6thrust23THRUST_200600_302600_NS6detail15normal_iteratorINS9_10device_ptrIxEEEESE_SE_xNS9_10multipliesIxEENS9_8equal_toIxEExEE10hipError_tPvRmT2_T3_T4_T5_mT6_T7_P12ihipStream_tbENKUlT_T0_E_clISt17integral_constantIbLb1EESY_IbLb0EEEEDaSU_SV_EUlSU_E_NS1_11comp_targetILNS1_3genE10ELNS1_11target_archE1200ELNS1_3gpuE4ELNS1_3repE0EEENS1_30default_config_static_selectorELNS0_4arch9wavefront6targetE1EEEvT1_,"axG",@progbits,_ZN7rocprim17ROCPRIM_400000_NS6detail17trampoline_kernelINS0_14default_configENS1_27scan_by_key_config_selectorIxxEEZZNS1_16scan_by_key_implILNS1_25lookback_scan_determinismE0ELb1ES3_N6thrust23THRUST_200600_302600_NS6detail15normal_iteratorINS9_10device_ptrIxEEEESE_SE_xNS9_10multipliesIxEENS9_8equal_toIxEExEE10hipError_tPvRmT2_T3_T4_T5_mT6_T7_P12ihipStream_tbENKUlT_T0_E_clISt17integral_constantIbLb1EESY_IbLb0EEEEDaSU_SV_EUlSU_E_NS1_11comp_targetILNS1_3genE10ELNS1_11target_archE1200ELNS1_3gpuE4ELNS1_3repE0EEENS1_30default_config_static_selectorELNS0_4arch9wavefront6targetE1EEEvT1_,comdat
.Lfunc_end413:
	.size	_ZN7rocprim17ROCPRIM_400000_NS6detail17trampoline_kernelINS0_14default_configENS1_27scan_by_key_config_selectorIxxEEZZNS1_16scan_by_key_implILNS1_25lookback_scan_determinismE0ELb1ES3_N6thrust23THRUST_200600_302600_NS6detail15normal_iteratorINS9_10device_ptrIxEEEESE_SE_xNS9_10multipliesIxEENS9_8equal_toIxEExEE10hipError_tPvRmT2_T3_T4_T5_mT6_T7_P12ihipStream_tbENKUlT_T0_E_clISt17integral_constantIbLb1EESY_IbLb0EEEEDaSU_SV_EUlSU_E_NS1_11comp_targetILNS1_3genE10ELNS1_11target_archE1200ELNS1_3gpuE4ELNS1_3repE0EEENS1_30default_config_static_selectorELNS0_4arch9wavefront6targetE1EEEvT1_, .Lfunc_end413-_ZN7rocprim17ROCPRIM_400000_NS6detail17trampoline_kernelINS0_14default_configENS1_27scan_by_key_config_selectorIxxEEZZNS1_16scan_by_key_implILNS1_25lookback_scan_determinismE0ELb1ES3_N6thrust23THRUST_200600_302600_NS6detail15normal_iteratorINS9_10device_ptrIxEEEESE_SE_xNS9_10multipliesIxEENS9_8equal_toIxEExEE10hipError_tPvRmT2_T3_T4_T5_mT6_T7_P12ihipStream_tbENKUlT_T0_E_clISt17integral_constantIbLb1EESY_IbLb0EEEEDaSU_SV_EUlSU_E_NS1_11comp_targetILNS1_3genE10ELNS1_11target_archE1200ELNS1_3gpuE4ELNS1_3repE0EEENS1_30default_config_static_selectorELNS0_4arch9wavefront6targetE1EEEvT1_
                                        ; -- End function
	.section	.AMDGPU.csdata,"",@progbits
; Kernel info:
; codeLenInByte = 0
; NumSgprs: 6
; NumVgprs: 0
; NumAgprs: 0
; TotalNumVgprs: 0
; ScratchSize: 0
; MemoryBound: 0
; FloatMode: 240
; IeeeMode: 1
; LDSByteSize: 0 bytes/workgroup (compile time only)
; SGPRBlocks: 0
; VGPRBlocks: 0
; NumSGPRsForWavesPerEU: 6
; NumVGPRsForWavesPerEU: 1
; AccumOffset: 4
; Occupancy: 8
; WaveLimiterHint : 0
; COMPUTE_PGM_RSRC2:SCRATCH_EN: 0
; COMPUTE_PGM_RSRC2:USER_SGPR: 2
; COMPUTE_PGM_RSRC2:TRAP_HANDLER: 0
; COMPUTE_PGM_RSRC2:TGID_X_EN: 1
; COMPUTE_PGM_RSRC2:TGID_Y_EN: 0
; COMPUTE_PGM_RSRC2:TGID_Z_EN: 0
; COMPUTE_PGM_RSRC2:TIDIG_COMP_CNT: 0
; COMPUTE_PGM_RSRC3_GFX90A:ACCUM_OFFSET: 0
; COMPUTE_PGM_RSRC3_GFX90A:TG_SPLIT: 0
	.section	.text._ZN7rocprim17ROCPRIM_400000_NS6detail17trampoline_kernelINS0_14default_configENS1_27scan_by_key_config_selectorIxxEEZZNS1_16scan_by_key_implILNS1_25lookback_scan_determinismE0ELb1ES3_N6thrust23THRUST_200600_302600_NS6detail15normal_iteratorINS9_10device_ptrIxEEEESE_SE_xNS9_10multipliesIxEENS9_8equal_toIxEExEE10hipError_tPvRmT2_T3_T4_T5_mT6_T7_P12ihipStream_tbENKUlT_T0_E_clISt17integral_constantIbLb1EESY_IbLb0EEEEDaSU_SV_EUlSU_E_NS1_11comp_targetILNS1_3genE9ELNS1_11target_archE1100ELNS1_3gpuE3ELNS1_3repE0EEENS1_30default_config_static_selectorELNS0_4arch9wavefront6targetE1EEEvT1_,"axG",@progbits,_ZN7rocprim17ROCPRIM_400000_NS6detail17trampoline_kernelINS0_14default_configENS1_27scan_by_key_config_selectorIxxEEZZNS1_16scan_by_key_implILNS1_25lookback_scan_determinismE0ELb1ES3_N6thrust23THRUST_200600_302600_NS6detail15normal_iteratorINS9_10device_ptrIxEEEESE_SE_xNS9_10multipliesIxEENS9_8equal_toIxEExEE10hipError_tPvRmT2_T3_T4_T5_mT6_T7_P12ihipStream_tbENKUlT_T0_E_clISt17integral_constantIbLb1EESY_IbLb0EEEEDaSU_SV_EUlSU_E_NS1_11comp_targetILNS1_3genE9ELNS1_11target_archE1100ELNS1_3gpuE3ELNS1_3repE0EEENS1_30default_config_static_selectorELNS0_4arch9wavefront6targetE1EEEvT1_,comdat
	.protected	_ZN7rocprim17ROCPRIM_400000_NS6detail17trampoline_kernelINS0_14default_configENS1_27scan_by_key_config_selectorIxxEEZZNS1_16scan_by_key_implILNS1_25lookback_scan_determinismE0ELb1ES3_N6thrust23THRUST_200600_302600_NS6detail15normal_iteratorINS9_10device_ptrIxEEEESE_SE_xNS9_10multipliesIxEENS9_8equal_toIxEExEE10hipError_tPvRmT2_T3_T4_T5_mT6_T7_P12ihipStream_tbENKUlT_T0_E_clISt17integral_constantIbLb1EESY_IbLb0EEEEDaSU_SV_EUlSU_E_NS1_11comp_targetILNS1_3genE9ELNS1_11target_archE1100ELNS1_3gpuE3ELNS1_3repE0EEENS1_30default_config_static_selectorELNS0_4arch9wavefront6targetE1EEEvT1_ ; -- Begin function _ZN7rocprim17ROCPRIM_400000_NS6detail17trampoline_kernelINS0_14default_configENS1_27scan_by_key_config_selectorIxxEEZZNS1_16scan_by_key_implILNS1_25lookback_scan_determinismE0ELb1ES3_N6thrust23THRUST_200600_302600_NS6detail15normal_iteratorINS9_10device_ptrIxEEEESE_SE_xNS9_10multipliesIxEENS9_8equal_toIxEExEE10hipError_tPvRmT2_T3_T4_T5_mT6_T7_P12ihipStream_tbENKUlT_T0_E_clISt17integral_constantIbLb1EESY_IbLb0EEEEDaSU_SV_EUlSU_E_NS1_11comp_targetILNS1_3genE9ELNS1_11target_archE1100ELNS1_3gpuE3ELNS1_3repE0EEENS1_30default_config_static_selectorELNS0_4arch9wavefront6targetE1EEEvT1_
	.globl	_ZN7rocprim17ROCPRIM_400000_NS6detail17trampoline_kernelINS0_14default_configENS1_27scan_by_key_config_selectorIxxEEZZNS1_16scan_by_key_implILNS1_25lookback_scan_determinismE0ELb1ES3_N6thrust23THRUST_200600_302600_NS6detail15normal_iteratorINS9_10device_ptrIxEEEESE_SE_xNS9_10multipliesIxEENS9_8equal_toIxEExEE10hipError_tPvRmT2_T3_T4_T5_mT6_T7_P12ihipStream_tbENKUlT_T0_E_clISt17integral_constantIbLb1EESY_IbLb0EEEEDaSU_SV_EUlSU_E_NS1_11comp_targetILNS1_3genE9ELNS1_11target_archE1100ELNS1_3gpuE3ELNS1_3repE0EEENS1_30default_config_static_selectorELNS0_4arch9wavefront6targetE1EEEvT1_
	.p2align	8
	.type	_ZN7rocprim17ROCPRIM_400000_NS6detail17trampoline_kernelINS0_14default_configENS1_27scan_by_key_config_selectorIxxEEZZNS1_16scan_by_key_implILNS1_25lookback_scan_determinismE0ELb1ES3_N6thrust23THRUST_200600_302600_NS6detail15normal_iteratorINS9_10device_ptrIxEEEESE_SE_xNS9_10multipliesIxEENS9_8equal_toIxEExEE10hipError_tPvRmT2_T3_T4_T5_mT6_T7_P12ihipStream_tbENKUlT_T0_E_clISt17integral_constantIbLb1EESY_IbLb0EEEEDaSU_SV_EUlSU_E_NS1_11comp_targetILNS1_3genE9ELNS1_11target_archE1100ELNS1_3gpuE3ELNS1_3repE0EEENS1_30default_config_static_selectorELNS0_4arch9wavefront6targetE1EEEvT1_,@function
_ZN7rocprim17ROCPRIM_400000_NS6detail17trampoline_kernelINS0_14default_configENS1_27scan_by_key_config_selectorIxxEEZZNS1_16scan_by_key_implILNS1_25lookback_scan_determinismE0ELb1ES3_N6thrust23THRUST_200600_302600_NS6detail15normal_iteratorINS9_10device_ptrIxEEEESE_SE_xNS9_10multipliesIxEENS9_8equal_toIxEExEE10hipError_tPvRmT2_T3_T4_T5_mT6_T7_P12ihipStream_tbENKUlT_T0_E_clISt17integral_constantIbLb1EESY_IbLb0EEEEDaSU_SV_EUlSU_E_NS1_11comp_targetILNS1_3genE9ELNS1_11target_archE1100ELNS1_3gpuE3ELNS1_3repE0EEENS1_30default_config_static_selectorELNS0_4arch9wavefront6targetE1EEEvT1_: ; @_ZN7rocprim17ROCPRIM_400000_NS6detail17trampoline_kernelINS0_14default_configENS1_27scan_by_key_config_selectorIxxEEZZNS1_16scan_by_key_implILNS1_25lookback_scan_determinismE0ELb1ES3_N6thrust23THRUST_200600_302600_NS6detail15normal_iteratorINS9_10device_ptrIxEEEESE_SE_xNS9_10multipliesIxEENS9_8equal_toIxEExEE10hipError_tPvRmT2_T3_T4_T5_mT6_T7_P12ihipStream_tbENKUlT_T0_E_clISt17integral_constantIbLb1EESY_IbLb0EEEEDaSU_SV_EUlSU_E_NS1_11comp_targetILNS1_3genE9ELNS1_11target_archE1100ELNS1_3gpuE3ELNS1_3repE0EEENS1_30default_config_static_selectorELNS0_4arch9wavefront6targetE1EEEvT1_
; %bb.0:
	.section	.rodata,"a",@progbits
	.p2align	6, 0x0
	.amdhsa_kernel _ZN7rocprim17ROCPRIM_400000_NS6detail17trampoline_kernelINS0_14default_configENS1_27scan_by_key_config_selectorIxxEEZZNS1_16scan_by_key_implILNS1_25lookback_scan_determinismE0ELb1ES3_N6thrust23THRUST_200600_302600_NS6detail15normal_iteratorINS9_10device_ptrIxEEEESE_SE_xNS9_10multipliesIxEENS9_8equal_toIxEExEE10hipError_tPvRmT2_T3_T4_T5_mT6_T7_P12ihipStream_tbENKUlT_T0_E_clISt17integral_constantIbLb1EESY_IbLb0EEEEDaSU_SV_EUlSU_E_NS1_11comp_targetILNS1_3genE9ELNS1_11target_archE1100ELNS1_3gpuE3ELNS1_3repE0EEENS1_30default_config_static_selectorELNS0_4arch9wavefront6targetE1EEEvT1_
		.amdhsa_group_segment_fixed_size 0
		.amdhsa_private_segment_fixed_size 0
		.amdhsa_kernarg_size 136
		.amdhsa_user_sgpr_count 2
		.amdhsa_user_sgpr_dispatch_ptr 0
		.amdhsa_user_sgpr_queue_ptr 0
		.amdhsa_user_sgpr_kernarg_segment_ptr 1
		.amdhsa_user_sgpr_dispatch_id 0
		.amdhsa_user_sgpr_kernarg_preload_length 0
		.amdhsa_user_sgpr_kernarg_preload_offset 0
		.amdhsa_user_sgpr_private_segment_size 0
		.amdhsa_uses_dynamic_stack 0
		.amdhsa_enable_private_segment 0
		.amdhsa_system_sgpr_workgroup_id_x 1
		.amdhsa_system_sgpr_workgroup_id_y 0
		.amdhsa_system_sgpr_workgroup_id_z 0
		.amdhsa_system_sgpr_workgroup_info 0
		.amdhsa_system_vgpr_workitem_id 0
		.amdhsa_next_free_vgpr 1
		.amdhsa_next_free_sgpr 0
		.amdhsa_accum_offset 4
		.amdhsa_reserve_vcc 0
		.amdhsa_float_round_mode_32 0
		.amdhsa_float_round_mode_16_64 0
		.amdhsa_float_denorm_mode_32 3
		.amdhsa_float_denorm_mode_16_64 3
		.amdhsa_dx10_clamp 1
		.amdhsa_ieee_mode 1
		.amdhsa_fp16_overflow 0
		.amdhsa_tg_split 0
		.amdhsa_exception_fp_ieee_invalid_op 0
		.amdhsa_exception_fp_denorm_src 0
		.amdhsa_exception_fp_ieee_div_zero 0
		.amdhsa_exception_fp_ieee_overflow 0
		.amdhsa_exception_fp_ieee_underflow 0
		.amdhsa_exception_fp_ieee_inexact 0
		.amdhsa_exception_int_div_zero 0
	.end_amdhsa_kernel
	.section	.text._ZN7rocprim17ROCPRIM_400000_NS6detail17trampoline_kernelINS0_14default_configENS1_27scan_by_key_config_selectorIxxEEZZNS1_16scan_by_key_implILNS1_25lookback_scan_determinismE0ELb1ES3_N6thrust23THRUST_200600_302600_NS6detail15normal_iteratorINS9_10device_ptrIxEEEESE_SE_xNS9_10multipliesIxEENS9_8equal_toIxEExEE10hipError_tPvRmT2_T3_T4_T5_mT6_T7_P12ihipStream_tbENKUlT_T0_E_clISt17integral_constantIbLb1EESY_IbLb0EEEEDaSU_SV_EUlSU_E_NS1_11comp_targetILNS1_3genE9ELNS1_11target_archE1100ELNS1_3gpuE3ELNS1_3repE0EEENS1_30default_config_static_selectorELNS0_4arch9wavefront6targetE1EEEvT1_,"axG",@progbits,_ZN7rocprim17ROCPRIM_400000_NS6detail17trampoline_kernelINS0_14default_configENS1_27scan_by_key_config_selectorIxxEEZZNS1_16scan_by_key_implILNS1_25lookback_scan_determinismE0ELb1ES3_N6thrust23THRUST_200600_302600_NS6detail15normal_iteratorINS9_10device_ptrIxEEEESE_SE_xNS9_10multipliesIxEENS9_8equal_toIxEExEE10hipError_tPvRmT2_T3_T4_T5_mT6_T7_P12ihipStream_tbENKUlT_T0_E_clISt17integral_constantIbLb1EESY_IbLb0EEEEDaSU_SV_EUlSU_E_NS1_11comp_targetILNS1_3genE9ELNS1_11target_archE1100ELNS1_3gpuE3ELNS1_3repE0EEENS1_30default_config_static_selectorELNS0_4arch9wavefront6targetE1EEEvT1_,comdat
.Lfunc_end414:
	.size	_ZN7rocprim17ROCPRIM_400000_NS6detail17trampoline_kernelINS0_14default_configENS1_27scan_by_key_config_selectorIxxEEZZNS1_16scan_by_key_implILNS1_25lookback_scan_determinismE0ELb1ES3_N6thrust23THRUST_200600_302600_NS6detail15normal_iteratorINS9_10device_ptrIxEEEESE_SE_xNS9_10multipliesIxEENS9_8equal_toIxEExEE10hipError_tPvRmT2_T3_T4_T5_mT6_T7_P12ihipStream_tbENKUlT_T0_E_clISt17integral_constantIbLb1EESY_IbLb0EEEEDaSU_SV_EUlSU_E_NS1_11comp_targetILNS1_3genE9ELNS1_11target_archE1100ELNS1_3gpuE3ELNS1_3repE0EEENS1_30default_config_static_selectorELNS0_4arch9wavefront6targetE1EEEvT1_, .Lfunc_end414-_ZN7rocprim17ROCPRIM_400000_NS6detail17trampoline_kernelINS0_14default_configENS1_27scan_by_key_config_selectorIxxEEZZNS1_16scan_by_key_implILNS1_25lookback_scan_determinismE0ELb1ES3_N6thrust23THRUST_200600_302600_NS6detail15normal_iteratorINS9_10device_ptrIxEEEESE_SE_xNS9_10multipliesIxEENS9_8equal_toIxEExEE10hipError_tPvRmT2_T3_T4_T5_mT6_T7_P12ihipStream_tbENKUlT_T0_E_clISt17integral_constantIbLb1EESY_IbLb0EEEEDaSU_SV_EUlSU_E_NS1_11comp_targetILNS1_3genE9ELNS1_11target_archE1100ELNS1_3gpuE3ELNS1_3repE0EEENS1_30default_config_static_selectorELNS0_4arch9wavefront6targetE1EEEvT1_
                                        ; -- End function
	.section	.AMDGPU.csdata,"",@progbits
; Kernel info:
; codeLenInByte = 0
; NumSgprs: 6
; NumVgprs: 0
; NumAgprs: 0
; TotalNumVgprs: 0
; ScratchSize: 0
; MemoryBound: 0
; FloatMode: 240
; IeeeMode: 1
; LDSByteSize: 0 bytes/workgroup (compile time only)
; SGPRBlocks: 0
; VGPRBlocks: 0
; NumSGPRsForWavesPerEU: 6
; NumVGPRsForWavesPerEU: 1
; AccumOffset: 4
; Occupancy: 8
; WaveLimiterHint : 0
; COMPUTE_PGM_RSRC2:SCRATCH_EN: 0
; COMPUTE_PGM_RSRC2:USER_SGPR: 2
; COMPUTE_PGM_RSRC2:TRAP_HANDLER: 0
; COMPUTE_PGM_RSRC2:TGID_X_EN: 1
; COMPUTE_PGM_RSRC2:TGID_Y_EN: 0
; COMPUTE_PGM_RSRC2:TGID_Z_EN: 0
; COMPUTE_PGM_RSRC2:TIDIG_COMP_CNT: 0
; COMPUTE_PGM_RSRC3_GFX90A:ACCUM_OFFSET: 0
; COMPUTE_PGM_RSRC3_GFX90A:TG_SPLIT: 0
	.section	.text._ZN7rocprim17ROCPRIM_400000_NS6detail17trampoline_kernelINS0_14default_configENS1_27scan_by_key_config_selectorIxxEEZZNS1_16scan_by_key_implILNS1_25lookback_scan_determinismE0ELb1ES3_N6thrust23THRUST_200600_302600_NS6detail15normal_iteratorINS9_10device_ptrIxEEEESE_SE_xNS9_10multipliesIxEENS9_8equal_toIxEExEE10hipError_tPvRmT2_T3_T4_T5_mT6_T7_P12ihipStream_tbENKUlT_T0_E_clISt17integral_constantIbLb1EESY_IbLb0EEEEDaSU_SV_EUlSU_E_NS1_11comp_targetILNS1_3genE8ELNS1_11target_archE1030ELNS1_3gpuE2ELNS1_3repE0EEENS1_30default_config_static_selectorELNS0_4arch9wavefront6targetE1EEEvT1_,"axG",@progbits,_ZN7rocprim17ROCPRIM_400000_NS6detail17trampoline_kernelINS0_14default_configENS1_27scan_by_key_config_selectorIxxEEZZNS1_16scan_by_key_implILNS1_25lookback_scan_determinismE0ELb1ES3_N6thrust23THRUST_200600_302600_NS6detail15normal_iteratorINS9_10device_ptrIxEEEESE_SE_xNS9_10multipliesIxEENS9_8equal_toIxEExEE10hipError_tPvRmT2_T3_T4_T5_mT6_T7_P12ihipStream_tbENKUlT_T0_E_clISt17integral_constantIbLb1EESY_IbLb0EEEEDaSU_SV_EUlSU_E_NS1_11comp_targetILNS1_3genE8ELNS1_11target_archE1030ELNS1_3gpuE2ELNS1_3repE0EEENS1_30default_config_static_selectorELNS0_4arch9wavefront6targetE1EEEvT1_,comdat
	.protected	_ZN7rocprim17ROCPRIM_400000_NS6detail17trampoline_kernelINS0_14default_configENS1_27scan_by_key_config_selectorIxxEEZZNS1_16scan_by_key_implILNS1_25lookback_scan_determinismE0ELb1ES3_N6thrust23THRUST_200600_302600_NS6detail15normal_iteratorINS9_10device_ptrIxEEEESE_SE_xNS9_10multipliesIxEENS9_8equal_toIxEExEE10hipError_tPvRmT2_T3_T4_T5_mT6_T7_P12ihipStream_tbENKUlT_T0_E_clISt17integral_constantIbLb1EESY_IbLb0EEEEDaSU_SV_EUlSU_E_NS1_11comp_targetILNS1_3genE8ELNS1_11target_archE1030ELNS1_3gpuE2ELNS1_3repE0EEENS1_30default_config_static_selectorELNS0_4arch9wavefront6targetE1EEEvT1_ ; -- Begin function _ZN7rocprim17ROCPRIM_400000_NS6detail17trampoline_kernelINS0_14default_configENS1_27scan_by_key_config_selectorIxxEEZZNS1_16scan_by_key_implILNS1_25lookback_scan_determinismE0ELb1ES3_N6thrust23THRUST_200600_302600_NS6detail15normal_iteratorINS9_10device_ptrIxEEEESE_SE_xNS9_10multipliesIxEENS9_8equal_toIxEExEE10hipError_tPvRmT2_T3_T4_T5_mT6_T7_P12ihipStream_tbENKUlT_T0_E_clISt17integral_constantIbLb1EESY_IbLb0EEEEDaSU_SV_EUlSU_E_NS1_11comp_targetILNS1_3genE8ELNS1_11target_archE1030ELNS1_3gpuE2ELNS1_3repE0EEENS1_30default_config_static_selectorELNS0_4arch9wavefront6targetE1EEEvT1_
	.globl	_ZN7rocprim17ROCPRIM_400000_NS6detail17trampoline_kernelINS0_14default_configENS1_27scan_by_key_config_selectorIxxEEZZNS1_16scan_by_key_implILNS1_25lookback_scan_determinismE0ELb1ES3_N6thrust23THRUST_200600_302600_NS6detail15normal_iteratorINS9_10device_ptrIxEEEESE_SE_xNS9_10multipliesIxEENS9_8equal_toIxEExEE10hipError_tPvRmT2_T3_T4_T5_mT6_T7_P12ihipStream_tbENKUlT_T0_E_clISt17integral_constantIbLb1EESY_IbLb0EEEEDaSU_SV_EUlSU_E_NS1_11comp_targetILNS1_3genE8ELNS1_11target_archE1030ELNS1_3gpuE2ELNS1_3repE0EEENS1_30default_config_static_selectorELNS0_4arch9wavefront6targetE1EEEvT1_
	.p2align	8
	.type	_ZN7rocprim17ROCPRIM_400000_NS6detail17trampoline_kernelINS0_14default_configENS1_27scan_by_key_config_selectorIxxEEZZNS1_16scan_by_key_implILNS1_25lookback_scan_determinismE0ELb1ES3_N6thrust23THRUST_200600_302600_NS6detail15normal_iteratorINS9_10device_ptrIxEEEESE_SE_xNS9_10multipliesIxEENS9_8equal_toIxEExEE10hipError_tPvRmT2_T3_T4_T5_mT6_T7_P12ihipStream_tbENKUlT_T0_E_clISt17integral_constantIbLb1EESY_IbLb0EEEEDaSU_SV_EUlSU_E_NS1_11comp_targetILNS1_3genE8ELNS1_11target_archE1030ELNS1_3gpuE2ELNS1_3repE0EEENS1_30default_config_static_selectorELNS0_4arch9wavefront6targetE1EEEvT1_,@function
_ZN7rocprim17ROCPRIM_400000_NS6detail17trampoline_kernelINS0_14default_configENS1_27scan_by_key_config_selectorIxxEEZZNS1_16scan_by_key_implILNS1_25lookback_scan_determinismE0ELb1ES3_N6thrust23THRUST_200600_302600_NS6detail15normal_iteratorINS9_10device_ptrIxEEEESE_SE_xNS9_10multipliesIxEENS9_8equal_toIxEExEE10hipError_tPvRmT2_T3_T4_T5_mT6_T7_P12ihipStream_tbENKUlT_T0_E_clISt17integral_constantIbLb1EESY_IbLb0EEEEDaSU_SV_EUlSU_E_NS1_11comp_targetILNS1_3genE8ELNS1_11target_archE1030ELNS1_3gpuE2ELNS1_3repE0EEENS1_30default_config_static_selectorELNS0_4arch9wavefront6targetE1EEEvT1_: ; @_ZN7rocprim17ROCPRIM_400000_NS6detail17trampoline_kernelINS0_14default_configENS1_27scan_by_key_config_selectorIxxEEZZNS1_16scan_by_key_implILNS1_25lookback_scan_determinismE0ELb1ES3_N6thrust23THRUST_200600_302600_NS6detail15normal_iteratorINS9_10device_ptrIxEEEESE_SE_xNS9_10multipliesIxEENS9_8equal_toIxEExEE10hipError_tPvRmT2_T3_T4_T5_mT6_T7_P12ihipStream_tbENKUlT_T0_E_clISt17integral_constantIbLb1EESY_IbLb0EEEEDaSU_SV_EUlSU_E_NS1_11comp_targetILNS1_3genE8ELNS1_11target_archE1030ELNS1_3gpuE2ELNS1_3repE0EEENS1_30default_config_static_selectorELNS0_4arch9wavefront6targetE1EEEvT1_
; %bb.0:
	.section	.rodata,"a",@progbits
	.p2align	6, 0x0
	.amdhsa_kernel _ZN7rocprim17ROCPRIM_400000_NS6detail17trampoline_kernelINS0_14default_configENS1_27scan_by_key_config_selectorIxxEEZZNS1_16scan_by_key_implILNS1_25lookback_scan_determinismE0ELb1ES3_N6thrust23THRUST_200600_302600_NS6detail15normal_iteratorINS9_10device_ptrIxEEEESE_SE_xNS9_10multipliesIxEENS9_8equal_toIxEExEE10hipError_tPvRmT2_T3_T4_T5_mT6_T7_P12ihipStream_tbENKUlT_T0_E_clISt17integral_constantIbLb1EESY_IbLb0EEEEDaSU_SV_EUlSU_E_NS1_11comp_targetILNS1_3genE8ELNS1_11target_archE1030ELNS1_3gpuE2ELNS1_3repE0EEENS1_30default_config_static_selectorELNS0_4arch9wavefront6targetE1EEEvT1_
		.amdhsa_group_segment_fixed_size 0
		.amdhsa_private_segment_fixed_size 0
		.amdhsa_kernarg_size 136
		.amdhsa_user_sgpr_count 2
		.amdhsa_user_sgpr_dispatch_ptr 0
		.amdhsa_user_sgpr_queue_ptr 0
		.amdhsa_user_sgpr_kernarg_segment_ptr 1
		.amdhsa_user_sgpr_dispatch_id 0
		.amdhsa_user_sgpr_kernarg_preload_length 0
		.amdhsa_user_sgpr_kernarg_preload_offset 0
		.amdhsa_user_sgpr_private_segment_size 0
		.amdhsa_uses_dynamic_stack 0
		.amdhsa_enable_private_segment 0
		.amdhsa_system_sgpr_workgroup_id_x 1
		.amdhsa_system_sgpr_workgroup_id_y 0
		.amdhsa_system_sgpr_workgroup_id_z 0
		.amdhsa_system_sgpr_workgroup_info 0
		.amdhsa_system_vgpr_workitem_id 0
		.amdhsa_next_free_vgpr 1
		.amdhsa_next_free_sgpr 0
		.amdhsa_accum_offset 4
		.amdhsa_reserve_vcc 0
		.amdhsa_float_round_mode_32 0
		.amdhsa_float_round_mode_16_64 0
		.amdhsa_float_denorm_mode_32 3
		.amdhsa_float_denorm_mode_16_64 3
		.amdhsa_dx10_clamp 1
		.amdhsa_ieee_mode 1
		.amdhsa_fp16_overflow 0
		.amdhsa_tg_split 0
		.amdhsa_exception_fp_ieee_invalid_op 0
		.amdhsa_exception_fp_denorm_src 0
		.amdhsa_exception_fp_ieee_div_zero 0
		.amdhsa_exception_fp_ieee_overflow 0
		.amdhsa_exception_fp_ieee_underflow 0
		.amdhsa_exception_fp_ieee_inexact 0
		.amdhsa_exception_int_div_zero 0
	.end_amdhsa_kernel
	.section	.text._ZN7rocprim17ROCPRIM_400000_NS6detail17trampoline_kernelINS0_14default_configENS1_27scan_by_key_config_selectorIxxEEZZNS1_16scan_by_key_implILNS1_25lookback_scan_determinismE0ELb1ES3_N6thrust23THRUST_200600_302600_NS6detail15normal_iteratorINS9_10device_ptrIxEEEESE_SE_xNS9_10multipliesIxEENS9_8equal_toIxEExEE10hipError_tPvRmT2_T3_T4_T5_mT6_T7_P12ihipStream_tbENKUlT_T0_E_clISt17integral_constantIbLb1EESY_IbLb0EEEEDaSU_SV_EUlSU_E_NS1_11comp_targetILNS1_3genE8ELNS1_11target_archE1030ELNS1_3gpuE2ELNS1_3repE0EEENS1_30default_config_static_selectorELNS0_4arch9wavefront6targetE1EEEvT1_,"axG",@progbits,_ZN7rocprim17ROCPRIM_400000_NS6detail17trampoline_kernelINS0_14default_configENS1_27scan_by_key_config_selectorIxxEEZZNS1_16scan_by_key_implILNS1_25lookback_scan_determinismE0ELb1ES3_N6thrust23THRUST_200600_302600_NS6detail15normal_iteratorINS9_10device_ptrIxEEEESE_SE_xNS9_10multipliesIxEENS9_8equal_toIxEExEE10hipError_tPvRmT2_T3_T4_T5_mT6_T7_P12ihipStream_tbENKUlT_T0_E_clISt17integral_constantIbLb1EESY_IbLb0EEEEDaSU_SV_EUlSU_E_NS1_11comp_targetILNS1_3genE8ELNS1_11target_archE1030ELNS1_3gpuE2ELNS1_3repE0EEENS1_30default_config_static_selectorELNS0_4arch9wavefront6targetE1EEEvT1_,comdat
.Lfunc_end415:
	.size	_ZN7rocprim17ROCPRIM_400000_NS6detail17trampoline_kernelINS0_14default_configENS1_27scan_by_key_config_selectorIxxEEZZNS1_16scan_by_key_implILNS1_25lookback_scan_determinismE0ELb1ES3_N6thrust23THRUST_200600_302600_NS6detail15normal_iteratorINS9_10device_ptrIxEEEESE_SE_xNS9_10multipliesIxEENS9_8equal_toIxEExEE10hipError_tPvRmT2_T3_T4_T5_mT6_T7_P12ihipStream_tbENKUlT_T0_E_clISt17integral_constantIbLb1EESY_IbLb0EEEEDaSU_SV_EUlSU_E_NS1_11comp_targetILNS1_3genE8ELNS1_11target_archE1030ELNS1_3gpuE2ELNS1_3repE0EEENS1_30default_config_static_selectorELNS0_4arch9wavefront6targetE1EEEvT1_, .Lfunc_end415-_ZN7rocprim17ROCPRIM_400000_NS6detail17trampoline_kernelINS0_14default_configENS1_27scan_by_key_config_selectorIxxEEZZNS1_16scan_by_key_implILNS1_25lookback_scan_determinismE0ELb1ES3_N6thrust23THRUST_200600_302600_NS6detail15normal_iteratorINS9_10device_ptrIxEEEESE_SE_xNS9_10multipliesIxEENS9_8equal_toIxEExEE10hipError_tPvRmT2_T3_T4_T5_mT6_T7_P12ihipStream_tbENKUlT_T0_E_clISt17integral_constantIbLb1EESY_IbLb0EEEEDaSU_SV_EUlSU_E_NS1_11comp_targetILNS1_3genE8ELNS1_11target_archE1030ELNS1_3gpuE2ELNS1_3repE0EEENS1_30default_config_static_selectorELNS0_4arch9wavefront6targetE1EEEvT1_
                                        ; -- End function
	.section	.AMDGPU.csdata,"",@progbits
; Kernel info:
; codeLenInByte = 0
; NumSgprs: 6
; NumVgprs: 0
; NumAgprs: 0
; TotalNumVgprs: 0
; ScratchSize: 0
; MemoryBound: 0
; FloatMode: 240
; IeeeMode: 1
; LDSByteSize: 0 bytes/workgroup (compile time only)
; SGPRBlocks: 0
; VGPRBlocks: 0
; NumSGPRsForWavesPerEU: 6
; NumVGPRsForWavesPerEU: 1
; AccumOffset: 4
; Occupancy: 8
; WaveLimiterHint : 0
; COMPUTE_PGM_RSRC2:SCRATCH_EN: 0
; COMPUTE_PGM_RSRC2:USER_SGPR: 2
; COMPUTE_PGM_RSRC2:TRAP_HANDLER: 0
; COMPUTE_PGM_RSRC2:TGID_X_EN: 1
; COMPUTE_PGM_RSRC2:TGID_Y_EN: 0
; COMPUTE_PGM_RSRC2:TGID_Z_EN: 0
; COMPUTE_PGM_RSRC2:TIDIG_COMP_CNT: 0
; COMPUTE_PGM_RSRC3_GFX90A:ACCUM_OFFSET: 0
; COMPUTE_PGM_RSRC3_GFX90A:TG_SPLIT: 0
	.section	.text._ZN7rocprim17ROCPRIM_400000_NS6detail17trampoline_kernelINS0_14default_configENS1_27scan_by_key_config_selectorIxxEEZZNS1_16scan_by_key_implILNS1_25lookback_scan_determinismE0ELb1ES3_N6thrust23THRUST_200600_302600_NS6detail15normal_iteratorINS9_10device_ptrIxEEEESE_SE_xNS9_10multipliesIxEENS9_8equal_toIxEExEE10hipError_tPvRmT2_T3_T4_T5_mT6_T7_P12ihipStream_tbENKUlT_T0_E_clISt17integral_constantIbLb0EESY_IbLb1EEEEDaSU_SV_EUlSU_E_NS1_11comp_targetILNS1_3genE0ELNS1_11target_archE4294967295ELNS1_3gpuE0ELNS1_3repE0EEENS1_30default_config_static_selectorELNS0_4arch9wavefront6targetE1EEEvT1_,"axG",@progbits,_ZN7rocprim17ROCPRIM_400000_NS6detail17trampoline_kernelINS0_14default_configENS1_27scan_by_key_config_selectorIxxEEZZNS1_16scan_by_key_implILNS1_25lookback_scan_determinismE0ELb1ES3_N6thrust23THRUST_200600_302600_NS6detail15normal_iteratorINS9_10device_ptrIxEEEESE_SE_xNS9_10multipliesIxEENS9_8equal_toIxEExEE10hipError_tPvRmT2_T3_T4_T5_mT6_T7_P12ihipStream_tbENKUlT_T0_E_clISt17integral_constantIbLb0EESY_IbLb1EEEEDaSU_SV_EUlSU_E_NS1_11comp_targetILNS1_3genE0ELNS1_11target_archE4294967295ELNS1_3gpuE0ELNS1_3repE0EEENS1_30default_config_static_selectorELNS0_4arch9wavefront6targetE1EEEvT1_,comdat
	.protected	_ZN7rocprim17ROCPRIM_400000_NS6detail17trampoline_kernelINS0_14default_configENS1_27scan_by_key_config_selectorIxxEEZZNS1_16scan_by_key_implILNS1_25lookback_scan_determinismE0ELb1ES3_N6thrust23THRUST_200600_302600_NS6detail15normal_iteratorINS9_10device_ptrIxEEEESE_SE_xNS9_10multipliesIxEENS9_8equal_toIxEExEE10hipError_tPvRmT2_T3_T4_T5_mT6_T7_P12ihipStream_tbENKUlT_T0_E_clISt17integral_constantIbLb0EESY_IbLb1EEEEDaSU_SV_EUlSU_E_NS1_11comp_targetILNS1_3genE0ELNS1_11target_archE4294967295ELNS1_3gpuE0ELNS1_3repE0EEENS1_30default_config_static_selectorELNS0_4arch9wavefront6targetE1EEEvT1_ ; -- Begin function _ZN7rocprim17ROCPRIM_400000_NS6detail17trampoline_kernelINS0_14default_configENS1_27scan_by_key_config_selectorIxxEEZZNS1_16scan_by_key_implILNS1_25lookback_scan_determinismE0ELb1ES3_N6thrust23THRUST_200600_302600_NS6detail15normal_iteratorINS9_10device_ptrIxEEEESE_SE_xNS9_10multipliesIxEENS9_8equal_toIxEExEE10hipError_tPvRmT2_T3_T4_T5_mT6_T7_P12ihipStream_tbENKUlT_T0_E_clISt17integral_constantIbLb0EESY_IbLb1EEEEDaSU_SV_EUlSU_E_NS1_11comp_targetILNS1_3genE0ELNS1_11target_archE4294967295ELNS1_3gpuE0ELNS1_3repE0EEENS1_30default_config_static_selectorELNS0_4arch9wavefront6targetE1EEEvT1_
	.globl	_ZN7rocprim17ROCPRIM_400000_NS6detail17trampoline_kernelINS0_14default_configENS1_27scan_by_key_config_selectorIxxEEZZNS1_16scan_by_key_implILNS1_25lookback_scan_determinismE0ELb1ES3_N6thrust23THRUST_200600_302600_NS6detail15normal_iteratorINS9_10device_ptrIxEEEESE_SE_xNS9_10multipliesIxEENS9_8equal_toIxEExEE10hipError_tPvRmT2_T3_T4_T5_mT6_T7_P12ihipStream_tbENKUlT_T0_E_clISt17integral_constantIbLb0EESY_IbLb1EEEEDaSU_SV_EUlSU_E_NS1_11comp_targetILNS1_3genE0ELNS1_11target_archE4294967295ELNS1_3gpuE0ELNS1_3repE0EEENS1_30default_config_static_selectorELNS0_4arch9wavefront6targetE1EEEvT1_
	.p2align	8
	.type	_ZN7rocprim17ROCPRIM_400000_NS6detail17trampoline_kernelINS0_14default_configENS1_27scan_by_key_config_selectorIxxEEZZNS1_16scan_by_key_implILNS1_25lookback_scan_determinismE0ELb1ES3_N6thrust23THRUST_200600_302600_NS6detail15normal_iteratorINS9_10device_ptrIxEEEESE_SE_xNS9_10multipliesIxEENS9_8equal_toIxEExEE10hipError_tPvRmT2_T3_T4_T5_mT6_T7_P12ihipStream_tbENKUlT_T0_E_clISt17integral_constantIbLb0EESY_IbLb1EEEEDaSU_SV_EUlSU_E_NS1_11comp_targetILNS1_3genE0ELNS1_11target_archE4294967295ELNS1_3gpuE0ELNS1_3repE0EEENS1_30default_config_static_selectorELNS0_4arch9wavefront6targetE1EEEvT1_,@function
_ZN7rocprim17ROCPRIM_400000_NS6detail17trampoline_kernelINS0_14default_configENS1_27scan_by_key_config_selectorIxxEEZZNS1_16scan_by_key_implILNS1_25lookback_scan_determinismE0ELb1ES3_N6thrust23THRUST_200600_302600_NS6detail15normal_iteratorINS9_10device_ptrIxEEEESE_SE_xNS9_10multipliesIxEENS9_8equal_toIxEExEE10hipError_tPvRmT2_T3_T4_T5_mT6_T7_P12ihipStream_tbENKUlT_T0_E_clISt17integral_constantIbLb0EESY_IbLb1EEEEDaSU_SV_EUlSU_E_NS1_11comp_targetILNS1_3genE0ELNS1_11target_archE4294967295ELNS1_3gpuE0ELNS1_3repE0EEENS1_30default_config_static_selectorELNS0_4arch9wavefront6targetE1EEEvT1_: ; @_ZN7rocprim17ROCPRIM_400000_NS6detail17trampoline_kernelINS0_14default_configENS1_27scan_by_key_config_selectorIxxEEZZNS1_16scan_by_key_implILNS1_25lookback_scan_determinismE0ELb1ES3_N6thrust23THRUST_200600_302600_NS6detail15normal_iteratorINS9_10device_ptrIxEEEESE_SE_xNS9_10multipliesIxEENS9_8equal_toIxEExEE10hipError_tPvRmT2_T3_T4_T5_mT6_T7_P12ihipStream_tbENKUlT_T0_E_clISt17integral_constantIbLb0EESY_IbLb1EEEEDaSU_SV_EUlSU_E_NS1_11comp_targetILNS1_3genE0ELNS1_11target_archE4294967295ELNS1_3gpuE0ELNS1_3repE0EEENS1_30default_config_static_selectorELNS0_4arch9wavefront6targetE1EEEvT1_
; %bb.0:
	.section	.rodata,"a",@progbits
	.p2align	6, 0x0
	.amdhsa_kernel _ZN7rocprim17ROCPRIM_400000_NS6detail17trampoline_kernelINS0_14default_configENS1_27scan_by_key_config_selectorIxxEEZZNS1_16scan_by_key_implILNS1_25lookback_scan_determinismE0ELb1ES3_N6thrust23THRUST_200600_302600_NS6detail15normal_iteratorINS9_10device_ptrIxEEEESE_SE_xNS9_10multipliesIxEENS9_8equal_toIxEExEE10hipError_tPvRmT2_T3_T4_T5_mT6_T7_P12ihipStream_tbENKUlT_T0_E_clISt17integral_constantIbLb0EESY_IbLb1EEEEDaSU_SV_EUlSU_E_NS1_11comp_targetILNS1_3genE0ELNS1_11target_archE4294967295ELNS1_3gpuE0ELNS1_3repE0EEENS1_30default_config_static_selectorELNS0_4arch9wavefront6targetE1EEEvT1_
		.amdhsa_group_segment_fixed_size 0
		.amdhsa_private_segment_fixed_size 0
		.amdhsa_kernarg_size 136
		.amdhsa_user_sgpr_count 2
		.amdhsa_user_sgpr_dispatch_ptr 0
		.amdhsa_user_sgpr_queue_ptr 0
		.amdhsa_user_sgpr_kernarg_segment_ptr 1
		.amdhsa_user_sgpr_dispatch_id 0
		.amdhsa_user_sgpr_kernarg_preload_length 0
		.amdhsa_user_sgpr_kernarg_preload_offset 0
		.amdhsa_user_sgpr_private_segment_size 0
		.amdhsa_uses_dynamic_stack 0
		.amdhsa_enable_private_segment 0
		.amdhsa_system_sgpr_workgroup_id_x 1
		.amdhsa_system_sgpr_workgroup_id_y 0
		.amdhsa_system_sgpr_workgroup_id_z 0
		.amdhsa_system_sgpr_workgroup_info 0
		.amdhsa_system_vgpr_workitem_id 0
		.amdhsa_next_free_vgpr 1
		.amdhsa_next_free_sgpr 0
		.amdhsa_accum_offset 4
		.amdhsa_reserve_vcc 0
		.amdhsa_float_round_mode_32 0
		.amdhsa_float_round_mode_16_64 0
		.amdhsa_float_denorm_mode_32 3
		.amdhsa_float_denorm_mode_16_64 3
		.amdhsa_dx10_clamp 1
		.amdhsa_ieee_mode 1
		.amdhsa_fp16_overflow 0
		.amdhsa_tg_split 0
		.amdhsa_exception_fp_ieee_invalid_op 0
		.amdhsa_exception_fp_denorm_src 0
		.amdhsa_exception_fp_ieee_div_zero 0
		.amdhsa_exception_fp_ieee_overflow 0
		.amdhsa_exception_fp_ieee_underflow 0
		.amdhsa_exception_fp_ieee_inexact 0
		.amdhsa_exception_int_div_zero 0
	.end_amdhsa_kernel
	.section	.text._ZN7rocprim17ROCPRIM_400000_NS6detail17trampoline_kernelINS0_14default_configENS1_27scan_by_key_config_selectorIxxEEZZNS1_16scan_by_key_implILNS1_25lookback_scan_determinismE0ELb1ES3_N6thrust23THRUST_200600_302600_NS6detail15normal_iteratorINS9_10device_ptrIxEEEESE_SE_xNS9_10multipliesIxEENS9_8equal_toIxEExEE10hipError_tPvRmT2_T3_T4_T5_mT6_T7_P12ihipStream_tbENKUlT_T0_E_clISt17integral_constantIbLb0EESY_IbLb1EEEEDaSU_SV_EUlSU_E_NS1_11comp_targetILNS1_3genE0ELNS1_11target_archE4294967295ELNS1_3gpuE0ELNS1_3repE0EEENS1_30default_config_static_selectorELNS0_4arch9wavefront6targetE1EEEvT1_,"axG",@progbits,_ZN7rocprim17ROCPRIM_400000_NS6detail17trampoline_kernelINS0_14default_configENS1_27scan_by_key_config_selectorIxxEEZZNS1_16scan_by_key_implILNS1_25lookback_scan_determinismE0ELb1ES3_N6thrust23THRUST_200600_302600_NS6detail15normal_iteratorINS9_10device_ptrIxEEEESE_SE_xNS9_10multipliesIxEENS9_8equal_toIxEExEE10hipError_tPvRmT2_T3_T4_T5_mT6_T7_P12ihipStream_tbENKUlT_T0_E_clISt17integral_constantIbLb0EESY_IbLb1EEEEDaSU_SV_EUlSU_E_NS1_11comp_targetILNS1_3genE0ELNS1_11target_archE4294967295ELNS1_3gpuE0ELNS1_3repE0EEENS1_30default_config_static_selectorELNS0_4arch9wavefront6targetE1EEEvT1_,comdat
.Lfunc_end416:
	.size	_ZN7rocprim17ROCPRIM_400000_NS6detail17trampoline_kernelINS0_14default_configENS1_27scan_by_key_config_selectorIxxEEZZNS1_16scan_by_key_implILNS1_25lookback_scan_determinismE0ELb1ES3_N6thrust23THRUST_200600_302600_NS6detail15normal_iteratorINS9_10device_ptrIxEEEESE_SE_xNS9_10multipliesIxEENS9_8equal_toIxEExEE10hipError_tPvRmT2_T3_T4_T5_mT6_T7_P12ihipStream_tbENKUlT_T0_E_clISt17integral_constantIbLb0EESY_IbLb1EEEEDaSU_SV_EUlSU_E_NS1_11comp_targetILNS1_3genE0ELNS1_11target_archE4294967295ELNS1_3gpuE0ELNS1_3repE0EEENS1_30default_config_static_selectorELNS0_4arch9wavefront6targetE1EEEvT1_, .Lfunc_end416-_ZN7rocprim17ROCPRIM_400000_NS6detail17trampoline_kernelINS0_14default_configENS1_27scan_by_key_config_selectorIxxEEZZNS1_16scan_by_key_implILNS1_25lookback_scan_determinismE0ELb1ES3_N6thrust23THRUST_200600_302600_NS6detail15normal_iteratorINS9_10device_ptrIxEEEESE_SE_xNS9_10multipliesIxEENS9_8equal_toIxEExEE10hipError_tPvRmT2_T3_T4_T5_mT6_T7_P12ihipStream_tbENKUlT_T0_E_clISt17integral_constantIbLb0EESY_IbLb1EEEEDaSU_SV_EUlSU_E_NS1_11comp_targetILNS1_3genE0ELNS1_11target_archE4294967295ELNS1_3gpuE0ELNS1_3repE0EEENS1_30default_config_static_selectorELNS0_4arch9wavefront6targetE1EEEvT1_
                                        ; -- End function
	.section	.AMDGPU.csdata,"",@progbits
; Kernel info:
; codeLenInByte = 0
; NumSgprs: 6
; NumVgprs: 0
; NumAgprs: 0
; TotalNumVgprs: 0
; ScratchSize: 0
; MemoryBound: 0
; FloatMode: 240
; IeeeMode: 1
; LDSByteSize: 0 bytes/workgroup (compile time only)
; SGPRBlocks: 0
; VGPRBlocks: 0
; NumSGPRsForWavesPerEU: 6
; NumVGPRsForWavesPerEU: 1
; AccumOffset: 4
; Occupancy: 8
; WaveLimiterHint : 0
; COMPUTE_PGM_RSRC2:SCRATCH_EN: 0
; COMPUTE_PGM_RSRC2:USER_SGPR: 2
; COMPUTE_PGM_RSRC2:TRAP_HANDLER: 0
; COMPUTE_PGM_RSRC2:TGID_X_EN: 1
; COMPUTE_PGM_RSRC2:TGID_Y_EN: 0
; COMPUTE_PGM_RSRC2:TGID_Z_EN: 0
; COMPUTE_PGM_RSRC2:TIDIG_COMP_CNT: 0
; COMPUTE_PGM_RSRC3_GFX90A:ACCUM_OFFSET: 0
; COMPUTE_PGM_RSRC3_GFX90A:TG_SPLIT: 0
	.section	.text._ZN7rocprim17ROCPRIM_400000_NS6detail17trampoline_kernelINS0_14default_configENS1_27scan_by_key_config_selectorIxxEEZZNS1_16scan_by_key_implILNS1_25lookback_scan_determinismE0ELb1ES3_N6thrust23THRUST_200600_302600_NS6detail15normal_iteratorINS9_10device_ptrIxEEEESE_SE_xNS9_10multipliesIxEENS9_8equal_toIxEExEE10hipError_tPvRmT2_T3_T4_T5_mT6_T7_P12ihipStream_tbENKUlT_T0_E_clISt17integral_constantIbLb0EESY_IbLb1EEEEDaSU_SV_EUlSU_E_NS1_11comp_targetILNS1_3genE10ELNS1_11target_archE1201ELNS1_3gpuE5ELNS1_3repE0EEENS1_30default_config_static_selectorELNS0_4arch9wavefront6targetE1EEEvT1_,"axG",@progbits,_ZN7rocprim17ROCPRIM_400000_NS6detail17trampoline_kernelINS0_14default_configENS1_27scan_by_key_config_selectorIxxEEZZNS1_16scan_by_key_implILNS1_25lookback_scan_determinismE0ELb1ES3_N6thrust23THRUST_200600_302600_NS6detail15normal_iteratorINS9_10device_ptrIxEEEESE_SE_xNS9_10multipliesIxEENS9_8equal_toIxEExEE10hipError_tPvRmT2_T3_T4_T5_mT6_T7_P12ihipStream_tbENKUlT_T0_E_clISt17integral_constantIbLb0EESY_IbLb1EEEEDaSU_SV_EUlSU_E_NS1_11comp_targetILNS1_3genE10ELNS1_11target_archE1201ELNS1_3gpuE5ELNS1_3repE0EEENS1_30default_config_static_selectorELNS0_4arch9wavefront6targetE1EEEvT1_,comdat
	.protected	_ZN7rocprim17ROCPRIM_400000_NS6detail17trampoline_kernelINS0_14default_configENS1_27scan_by_key_config_selectorIxxEEZZNS1_16scan_by_key_implILNS1_25lookback_scan_determinismE0ELb1ES3_N6thrust23THRUST_200600_302600_NS6detail15normal_iteratorINS9_10device_ptrIxEEEESE_SE_xNS9_10multipliesIxEENS9_8equal_toIxEExEE10hipError_tPvRmT2_T3_T4_T5_mT6_T7_P12ihipStream_tbENKUlT_T0_E_clISt17integral_constantIbLb0EESY_IbLb1EEEEDaSU_SV_EUlSU_E_NS1_11comp_targetILNS1_3genE10ELNS1_11target_archE1201ELNS1_3gpuE5ELNS1_3repE0EEENS1_30default_config_static_selectorELNS0_4arch9wavefront6targetE1EEEvT1_ ; -- Begin function _ZN7rocprim17ROCPRIM_400000_NS6detail17trampoline_kernelINS0_14default_configENS1_27scan_by_key_config_selectorIxxEEZZNS1_16scan_by_key_implILNS1_25lookback_scan_determinismE0ELb1ES3_N6thrust23THRUST_200600_302600_NS6detail15normal_iteratorINS9_10device_ptrIxEEEESE_SE_xNS9_10multipliesIxEENS9_8equal_toIxEExEE10hipError_tPvRmT2_T3_T4_T5_mT6_T7_P12ihipStream_tbENKUlT_T0_E_clISt17integral_constantIbLb0EESY_IbLb1EEEEDaSU_SV_EUlSU_E_NS1_11comp_targetILNS1_3genE10ELNS1_11target_archE1201ELNS1_3gpuE5ELNS1_3repE0EEENS1_30default_config_static_selectorELNS0_4arch9wavefront6targetE1EEEvT1_
	.globl	_ZN7rocprim17ROCPRIM_400000_NS6detail17trampoline_kernelINS0_14default_configENS1_27scan_by_key_config_selectorIxxEEZZNS1_16scan_by_key_implILNS1_25lookback_scan_determinismE0ELb1ES3_N6thrust23THRUST_200600_302600_NS6detail15normal_iteratorINS9_10device_ptrIxEEEESE_SE_xNS9_10multipliesIxEENS9_8equal_toIxEExEE10hipError_tPvRmT2_T3_T4_T5_mT6_T7_P12ihipStream_tbENKUlT_T0_E_clISt17integral_constantIbLb0EESY_IbLb1EEEEDaSU_SV_EUlSU_E_NS1_11comp_targetILNS1_3genE10ELNS1_11target_archE1201ELNS1_3gpuE5ELNS1_3repE0EEENS1_30default_config_static_selectorELNS0_4arch9wavefront6targetE1EEEvT1_
	.p2align	8
	.type	_ZN7rocprim17ROCPRIM_400000_NS6detail17trampoline_kernelINS0_14default_configENS1_27scan_by_key_config_selectorIxxEEZZNS1_16scan_by_key_implILNS1_25lookback_scan_determinismE0ELb1ES3_N6thrust23THRUST_200600_302600_NS6detail15normal_iteratorINS9_10device_ptrIxEEEESE_SE_xNS9_10multipliesIxEENS9_8equal_toIxEExEE10hipError_tPvRmT2_T3_T4_T5_mT6_T7_P12ihipStream_tbENKUlT_T0_E_clISt17integral_constantIbLb0EESY_IbLb1EEEEDaSU_SV_EUlSU_E_NS1_11comp_targetILNS1_3genE10ELNS1_11target_archE1201ELNS1_3gpuE5ELNS1_3repE0EEENS1_30default_config_static_selectorELNS0_4arch9wavefront6targetE1EEEvT1_,@function
_ZN7rocprim17ROCPRIM_400000_NS6detail17trampoline_kernelINS0_14default_configENS1_27scan_by_key_config_selectorIxxEEZZNS1_16scan_by_key_implILNS1_25lookback_scan_determinismE0ELb1ES3_N6thrust23THRUST_200600_302600_NS6detail15normal_iteratorINS9_10device_ptrIxEEEESE_SE_xNS9_10multipliesIxEENS9_8equal_toIxEExEE10hipError_tPvRmT2_T3_T4_T5_mT6_T7_P12ihipStream_tbENKUlT_T0_E_clISt17integral_constantIbLb0EESY_IbLb1EEEEDaSU_SV_EUlSU_E_NS1_11comp_targetILNS1_3genE10ELNS1_11target_archE1201ELNS1_3gpuE5ELNS1_3repE0EEENS1_30default_config_static_selectorELNS0_4arch9wavefront6targetE1EEEvT1_: ; @_ZN7rocprim17ROCPRIM_400000_NS6detail17trampoline_kernelINS0_14default_configENS1_27scan_by_key_config_selectorIxxEEZZNS1_16scan_by_key_implILNS1_25lookback_scan_determinismE0ELb1ES3_N6thrust23THRUST_200600_302600_NS6detail15normal_iteratorINS9_10device_ptrIxEEEESE_SE_xNS9_10multipliesIxEENS9_8equal_toIxEExEE10hipError_tPvRmT2_T3_T4_T5_mT6_T7_P12ihipStream_tbENKUlT_T0_E_clISt17integral_constantIbLb0EESY_IbLb1EEEEDaSU_SV_EUlSU_E_NS1_11comp_targetILNS1_3genE10ELNS1_11target_archE1201ELNS1_3gpuE5ELNS1_3repE0EEENS1_30default_config_static_selectorELNS0_4arch9wavefront6targetE1EEEvT1_
; %bb.0:
	.section	.rodata,"a",@progbits
	.p2align	6, 0x0
	.amdhsa_kernel _ZN7rocprim17ROCPRIM_400000_NS6detail17trampoline_kernelINS0_14default_configENS1_27scan_by_key_config_selectorIxxEEZZNS1_16scan_by_key_implILNS1_25lookback_scan_determinismE0ELb1ES3_N6thrust23THRUST_200600_302600_NS6detail15normal_iteratorINS9_10device_ptrIxEEEESE_SE_xNS9_10multipliesIxEENS9_8equal_toIxEExEE10hipError_tPvRmT2_T3_T4_T5_mT6_T7_P12ihipStream_tbENKUlT_T0_E_clISt17integral_constantIbLb0EESY_IbLb1EEEEDaSU_SV_EUlSU_E_NS1_11comp_targetILNS1_3genE10ELNS1_11target_archE1201ELNS1_3gpuE5ELNS1_3repE0EEENS1_30default_config_static_selectorELNS0_4arch9wavefront6targetE1EEEvT1_
		.amdhsa_group_segment_fixed_size 0
		.amdhsa_private_segment_fixed_size 0
		.amdhsa_kernarg_size 136
		.amdhsa_user_sgpr_count 2
		.amdhsa_user_sgpr_dispatch_ptr 0
		.amdhsa_user_sgpr_queue_ptr 0
		.amdhsa_user_sgpr_kernarg_segment_ptr 1
		.amdhsa_user_sgpr_dispatch_id 0
		.amdhsa_user_sgpr_kernarg_preload_length 0
		.amdhsa_user_sgpr_kernarg_preload_offset 0
		.amdhsa_user_sgpr_private_segment_size 0
		.amdhsa_uses_dynamic_stack 0
		.amdhsa_enable_private_segment 0
		.amdhsa_system_sgpr_workgroup_id_x 1
		.amdhsa_system_sgpr_workgroup_id_y 0
		.amdhsa_system_sgpr_workgroup_id_z 0
		.amdhsa_system_sgpr_workgroup_info 0
		.amdhsa_system_vgpr_workitem_id 0
		.amdhsa_next_free_vgpr 1
		.amdhsa_next_free_sgpr 0
		.amdhsa_accum_offset 4
		.amdhsa_reserve_vcc 0
		.amdhsa_float_round_mode_32 0
		.amdhsa_float_round_mode_16_64 0
		.amdhsa_float_denorm_mode_32 3
		.amdhsa_float_denorm_mode_16_64 3
		.amdhsa_dx10_clamp 1
		.amdhsa_ieee_mode 1
		.amdhsa_fp16_overflow 0
		.amdhsa_tg_split 0
		.amdhsa_exception_fp_ieee_invalid_op 0
		.amdhsa_exception_fp_denorm_src 0
		.amdhsa_exception_fp_ieee_div_zero 0
		.amdhsa_exception_fp_ieee_overflow 0
		.amdhsa_exception_fp_ieee_underflow 0
		.amdhsa_exception_fp_ieee_inexact 0
		.amdhsa_exception_int_div_zero 0
	.end_amdhsa_kernel
	.section	.text._ZN7rocprim17ROCPRIM_400000_NS6detail17trampoline_kernelINS0_14default_configENS1_27scan_by_key_config_selectorIxxEEZZNS1_16scan_by_key_implILNS1_25lookback_scan_determinismE0ELb1ES3_N6thrust23THRUST_200600_302600_NS6detail15normal_iteratorINS9_10device_ptrIxEEEESE_SE_xNS9_10multipliesIxEENS9_8equal_toIxEExEE10hipError_tPvRmT2_T3_T4_T5_mT6_T7_P12ihipStream_tbENKUlT_T0_E_clISt17integral_constantIbLb0EESY_IbLb1EEEEDaSU_SV_EUlSU_E_NS1_11comp_targetILNS1_3genE10ELNS1_11target_archE1201ELNS1_3gpuE5ELNS1_3repE0EEENS1_30default_config_static_selectorELNS0_4arch9wavefront6targetE1EEEvT1_,"axG",@progbits,_ZN7rocprim17ROCPRIM_400000_NS6detail17trampoline_kernelINS0_14default_configENS1_27scan_by_key_config_selectorIxxEEZZNS1_16scan_by_key_implILNS1_25lookback_scan_determinismE0ELb1ES3_N6thrust23THRUST_200600_302600_NS6detail15normal_iteratorINS9_10device_ptrIxEEEESE_SE_xNS9_10multipliesIxEENS9_8equal_toIxEExEE10hipError_tPvRmT2_T3_T4_T5_mT6_T7_P12ihipStream_tbENKUlT_T0_E_clISt17integral_constantIbLb0EESY_IbLb1EEEEDaSU_SV_EUlSU_E_NS1_11comp_targetILNS1_3genE10ELNS1_11target_archE1201ELNS1_3gpuE5ELNS1_3repE0EEENS1_30default_config_static_selectorELNS0_4arch9wavefront6targetE1EEEvT1_,comdat
.Lfunc_end417:
	.size	_ZN7rocprim17ROCPRIM_400000_NS6detail17trampoline_kernelINS0_14default_configENS1_27scan_by_key_config_selectorIxxEEZZNS1_16scan_by_key_implILNS1_25lookback_scan_determinismE0ELb1ES3_N6thrust23THRUST_200600_302600_NS6detail15normal_iteratorINS9_10device_ptrIxEEEESE_SE_xNS9_10multipliesIxEENS9_8equal_toIxEExEE10hipError_tPvRmT2_T3_T4_T5_mT6_T7_P12ihipStream_tbENKUlT_T0_E_clISt17integral_constantIbLb0EESY_IbLb1EEEEDaSU_SV_EUlSU_E_NS1_11comp_targetILNS1_3genE10ELNS1_11target_archE1201ELNS1_3gpuE5ELNS1_3repE0EEENS1_30default_config_static_selectorELNS0_4arch9wavefront6targetE1EEEvT1_, .Lfunc_end417-_ZN7rocprim17ROCPRIM_400000_NS6detail17trampoline_kernelINS0_14default_configENS1_27scan_by_key_config_selectorIxxEEZZNS1_16scan_by_key_implILNS1_25lookback_scan_determinismE0ELb1ES3_N6thrust23THRUST_200600_302600_NS6detail15normal_iteratorINS9_10device_ptrIxEEEESE_SE_xNS9_10multipliesIxEENS9_8equal_toIxEExEE10hipError_tPvRmT2_T3_T4_T5_mT6_T7_P12ihipStream_tbENKUlT_T0_E_clISt17integral_constantIbLb0EESY_IbLb1EEEEDaSU_SV_EUlSU_E_NS1_11comp_targetILNS1_3genE10ELNS1_11target_archE1201ELNS1_3gpuE5ELNS1_3repE0EEENS1_30default_config_static_selectorELNS0_4arch9wavefront6targetE1EEEvT1_
                                        ; -- End function
	.section	.AMDGPU.csdata,"",@progbits
; Kernel info:
; codeLenInByte = 0
; NumSgprs: 6
; NumVgprs: 0
; NumAgprs: 0
; TotalNumVgprs: 0
; ScratchSize: 0
; MemoryBound: 0
; FloatMode: 240
; IeeeMode: 1
; LDSByteSize: 0 bytes/workgroup (compile time only)
; SGPRBlocks: 0
; VGPRBlocks: 0
; NumSGPRsForWavesPerEU: 6
; NumVGPRsForWavesPerEU: 1
; AccumOffset: 4
; Occupancy: 8
; WaveLimiterHint : 0
; COMPUTE_PGM_RSRC2:SCRATCH_EN: 0
; COMPUTE_PGM_RSRC2:USER_SGPR: 2
; COMPUTE_PGM_RSRC2:TRAP_HANDLER: 0
; COMPUTE_PGM_RSRC2:TGID_X_EN: 1
; COMPUTE_PGM_RSRC2:TGID_Y_EN: 0
; COMPUTE_PGM_RSRC2:TGID_Z_EN: 0
; COMPUTE_PGM_RSRC2:TIDIG_COMP_CNT: 0
; COMPUTE_PGM_RSRC3_GFX90A:ACCUM_OFFSET: 0
; COMPUTE_PGM_RSRC3_GFX90A:TG_SPLIT: 0
	.section	.text._ZN7rocprim17ROCPRIM_400000_NS6detail17trampoline_kernelINS0_14default_configENS1_27scan_by_key_config_selectorIxxEEZZNS1_16scan_by_key_implILNS1_25lookback_scan_determinismE0ELb1ES3_N6thrust23THRUST_200600_302600_NS6detail15normal_iteratorINS9_10device_ptrIxEEEESE_SE_xNS9_10multipliesIxEENS9_8equal_toIxEExEE10hipError_tPvRmT2_T3_T4_T5_mT6_T7_P12ihipStream_tbENKUlT_T0_E_clISt17integral_constantIbLb0EESY_IbLb1EEEEDaSU_SV_EUlSU_E_NS1_11comp_targetILNS1_3genE5ELNS1_11target_archE942ELNS1_3gpuE9ELNS1_3repE0EEENS1_30default_config_static_selectorELNS0_4arch9wavefront6targetE1EEEvT1_,"axG",@progbits,_ZN7rocprim17ROCPRIM_400000_NS6detail17trampoline_kernelINS0_14default_configENS1_27scan_by_key_config_selectorIxxEEZZNS1_16scan_by_key_implILNS1_25lookback_scan_determinismE0ELb1ES3_N6thrust23THRUST_200600_302600_NS6detail15normal_iteratorINS9_10device_ptrIxEEEESE_SE_xNS9_10multipliesIxEENS9_8equal_toIxEExEE10hipError_tPvRmT2_T3_T4_T5_mT6_T7_P12ihipStream_tbENKUlT_T0_E_clISt17integral_constantIbLb0EESY_IbLb1EEEEDaSU_SV_EUlSU_E_NS1_11comp_targetILNS1_3genE5ELNS1_11target_archE942ELNS1_3gpuE9ELNS1_3repE0EEENS1_30default_config_static_selectorELNS0_4arch9wavefront6targetE1EEEvT1_,comdat
	.protected	_ZN7rocprim17ROCPRIM_400000_NS6detail17trampoline_kernelINS0_14default_configENS1_27scan_by_key_config_selectorIxxEEZZNS1_16scan_by_key_implILNS1_25lookback_scan_determinismE0ELb1ES3_N6thrust23THRUST_200600_302600_NS6detail15normal_iteratorINS9_10device_ptrIxEEEESE_SE_xNS9_10multipliesIxEENS9_8equal_toIxEExEE10hipError_tPvRmT2_T3_T4_T5_mT6_T7_P12ihipStream_tbENKUlT_T0_E_clISt17integral_constantIbLb0EESY_IbLb1EEEEDaSU_SV_EUlSU_E_NS1_11comp_targetILNS1_3genE5ELNS1_11target_archE942ELNS1_3gpuE9ELNS1_3repE0EEENS1_30default_config_static_selectorELNS0_4arch9wavefront6targetE1EEEvT1_ ; -- Begin function _ZN7rocprim17ROCPRIM_400000_NS6detail17trampoline_kernelINS0_14default_configENS1_27scan_by_key_config_selectorIxxEEZZNS1_16scan_by_key_implILNS1_25lookback_scan_determinismE0ELb1ES3_N6thrust23THRUST_200600_302600_NS6detail15normal_iteratorINS9_10device_ptrIxEEEESE_SE_xNS9_10multipliesIxEENS9_8equal_toIxEExEE10hipError_tPvRmT2_T3_T4_T5_mT6_T7_P12ihipStream_tbENKUlT_T0_E_clISt17integral_constantIbLb0EESY_IbLb1EEEEDaSU_SV_EUlSU_E_NS1_11comp_targetILNS1_3genE5ELNS1_11target_archE942ELNS1_3gpuE9ELNS1_3repE0EEENS1_30default_config_static_selectorELNS0_4arch9wavefront6targetE1EEEvT1_
	.globl	_ZN7rocprim17ROCPRIM_400000_NS6detail17trampoline_kernelINS0_14default_configENS1_27scan_by_key_config_selectorIxxEEZZNS1_16scan_by_key_implILNS1_25lookback_scan_determinismE0ELb1ES3_N6thrust23THRUST_200600_302600_NS6detail15normal_iteratorINS9_10device_ptrIxEEEESE_SE_xNS9_10multipliesIxEENS9_8equal_toIxEExEE10hipError_tPvRmT2_T3_T4_T5_mT6_T7_P12ihipStream_tbENKUlT_T0_E_clISt17integral_constantIbLb0EESY_IbLb1EEEEDaSU_SV_EUlSU_E_NS1_11comp_targetILNS1_3genE5ELNS1_11target_archE942ELNS1_3gpuE9ELNS1_3repE0EEENS1_30default_config_static_selectorELNS0_4arch9wavefront6targetE1EEEvT1_
	.p2align	8
	.type	_ZN7rocprim17ROCPRIM_400000_NS6detail17trampoline_kernelINS0_14default_configENS1_27scan_by_key_config_selectorIxxEEZZNS1_16scan_by_key_implILNS1_25lookback_scan_determinismE0ELb1ES3_N6thrust23THRUST_200600_302600_NS6detail15normal_iteratorINS9_10device_ptrIxEEEESE_SE_xNS9_10multipliesIxEENS9_8equal_toIxEExEE10hipError_tPvRmT2_T3_T4_T5_mT6_T7_P12ihipStream_tbENKUlT_T0_E_clISt17integral_constantIbLb0EESY_IbLb1EEEEDaSU_SV_EUlSU_E_NS1_11comp_targetILNS1_3genE5ELNS1_11target_archE942ELNS1_3gpuE9ELNS1_3repE0EEENS1_30default_config_static_selectorELNS0_4arch9wavefront6targetE1EEEvT1_,@function
_ZN7rocprim17ROCPRIM_400000_NS6detail17trampoline_kernelINS0_14default_configENS1_27scan_by_key_config_selectorIxxEEZZNS1_16scan_by_key_implILNS1_25lookback_scan_determinismE0ELb1ES3_N6thrust23THRUST_200600_302600_NS6detail15normal_iteratorINS9_10device_ptrIxEEEESE_SE_xNS9_10multipliesIxEENS9_8equal_toIxEExEE10hipError_tPvRmT2_T3_T4_T5_mT6_T7_P12ihipStream_tbENKUlT_T0_E_clISt17integral_constantIbLb0EESY_IbLb1EEEEDaSU_SV_EUlSU_E_NS1_11comp_targetILNS1_3genE5ELNS1_11target_archE942ELNS1_3gpuE9ELNS1_3repE0EEENS1_30default_config_static_selectorELNS0_4arch9wavefront6targetE1EEEvT1_: ; @_ZN7rocprim17ROCPRIM_400000_NS6detail17trampoline_kernelINS0_14default_configENS1_27scan_by_key_config_selectorIxxEEZZNS1_16scan_by_key_implILNS1_25lookback_scan_determinismE0ELb1ES3_N6thrust23THRUST_200600_302600_NS6detail15normal_iteratorINS9_10device_ptrIxEEEESE_SE_xNS9_10multipliesIxEENS9_8equal_toIxEExEE10hipError_tPvRmT2_T3_T4_T5_mT6_T7_P12ihipStream_tbENKUlT_T0_E_clISt17integral_constantIbLb0EESY_IbLb1EEEEDaSU_SV_EUlSU_E_NS1_11comp_targetILNS1_3genE5ELNS1_11target_archE942ELNS1_3gpuE9ELNS1_3repE0EEENS1_30default_config_static_selectorELNS0_4arch9wavefront6targetE1EEEvT1_
; %bb.0:
	s_load_dwordx8 s[44:51], s[0:1], 0x0
	s_load_dwordx2 s[56:57], s[0:1], 0x20
	s_load_dwordx8 s[36:43], s[0:1], 0x30
	s_load_dwordx2 s[58:59], s[0:1], 0x50
	v_cmp_ne_u32_e64 s[4:5], 0, v0
	v_cmp_eq_u32_e64 s[2:3], 0, v0
	s_and_saveexec_b64 s[6:7], s[2:3]
	s_cbranch_execz .LBB418_4
; %bb.1:
	s_mov_b64 s[10:11], exec
	v_mbcnt_lo_u32_b32 v1, s10, 0
	v_mbcnt_hi_u32_b32 v1, s11, v1
	v_cmp_eq_u32_e32 vcc, 0, v1
                                        ; implicit-def: $vgpr2
	s_and_saveexec_b64 s[8:9], vcc
	s_cbranch_execz .LBB418_3
; %bb.2:
	s_load_dwordx2 s[12:13], s[0:1], 0x80
	s_bcnt1_i32_b64 s10, s[10:11]
	v_mov_b32_e32 v2, 0
	v_mov_b32_e32 v3, s10
	s_waitcnt lgkmcnt(0)
	global_atomic_add v2, v2, v3, s[12:13] sc0
.LBB418_3:
	s_or_b64 exec, exec, s[8:9]
	s_waitcnt vmcnt(0)
	v_readfirstlane_b32 s8, v2
	v_mov_b32_e32 v2, 0
	s_nop 0
	v_add_u32_e32 v1, s8, v1
	ds_write_b32 v2, v1
.LBB418_4:
	s_or_b64 exec, exec, s[6:7]
	s_load_dword s6, s[0:1], 0x58
	s_load_dwordx4 s[52:55], s[0:1], 0x60
	v_mov_b32_e32 v3, 0
	s_waitcnt lgkmcnt(0)
	s_lshl_b64 s[46:47], s[46:47], 3
	s_barrier
	ds_read_b32 v2, v3
	s_add_u32 s0, s44, s46
	s_addc_u32 s1, s45, s47
	s_add_u32 s8, s48, s46
	s_mul_i32 s7, s59, s6
	s_mul_hi_u32 s10, s58, s6
	s_addc_u32 s9, s49, s47
	s_add_i32 s7, s10, s7
	s_movk_i32 s10, 0xe00
	s_waitcnt lgkmcnt(0)
	v_mul_lo_u32 v4, v2, s10
	v_mov_b32_e32 v5, v3
	v_lshlrev_b64 v[54:55], 3, v[4:5]
	s_mul_i32 s6, s58, s6
	v_lshl_add_u64 v[62:63], s[8:9], 0, v[54:55]
	s_add_u32 s8, s52, -1
	v_readfirstlane_b32 s43, v2
	v_lshl_add_u64 v[2:3], s[6:7], 0, v[2:3]
	s_addc_u32 s9, s53, -1
	v_lshl_add_u64 v[64:65], s[0:1], 0, v[54:55]
	v_cmp_le_u64_e64 s[0:1], s[8:9], v[2:3]
	s_mov_b64 s[6:7], -1
	s_and_b64 vcc, exec, s[0:1]
	s_mul_i32 s33, s8, 0xfffff200
	s_barrier
	s_barrier
	s_cbranch_vccz .LBB418_80
; %bb.5:
	flat_load_dwordx2 v[2:3], v[64:65]
	s_add_i32 s52, s33, s42
	v_cmp_gt_u32_e32 vcc, s52, v0
	s_waitcnt vmcnt(0) lgkmcnt(0)
	v_mov_b64_e32 v[4:5], v[2:3]
	s_and_saveexec_b64 s[6:7], vcc
	s_cbranch_execz .LBB418_7
; %bb.6:
	v_lshlrev_b32_e32 v4, 3, v0
	v_mov_b32_e32 v5, 0
	v_lshl_add_u64 v[4:5], v[64:65], 0, v[4:5]
	flat_load_dwordx2 v[4:5], v[4:5]
.LBB418_7:
	s_or_b64 exec, exec, s[6:7]
	v_or_b32_e32 v1, 0x100, v0
	v_cmp_gt_u32_e64 s[6:7], s52, v1
	v_mov_b64_e32 v[6:7], v[2:3]
	s_and_saveexec_b64 s[8:9], s[6:7]
	s_cbranch_execz .LBB418_9
; %bb.8:
	v_lshlrev_b32_e32 v6, 3, v0
	v_mov_b32_e32 v7, 0
	v_lshl_add_u64 v[6:7], v[64:65], 0, v[6:7]
	flat_load_dwordx2 v[6:7], v[6:7] offset:2048
.LBB418_9:
	s_or_b64 exec, exec, s[8:9]
	v_or_b32_e32 v1, 0x200, v0
	v_cmp_gt_u32_e64 s[8:9], s52, v1
	v_lshlrev_b32_e32 v30, 3, v1
	v_mov_b64_e32 v[8:9], v[2:3]
	s_and_saveexec_b64 s[10:11], s[8:9]
	s_cbranch_execz .LBB418_11
; %bb.10:
	v_mov_b32_e32 v31, 0
	v_lshl_add_u64 v[8:9], v[64:65], 0, v[30:31]
	flat_load_dwordx2 v[8:9], v[8:9]
.LBB418_11:
	s_or_b64 exec, exec, s[10:11]
	v_or_b32_e32 v1, 0x300, v0
	v_cmp_gt_u32_e64 s[10:11], s52, v1
	v_lshlrev_b32_e32 v32, 3, v1
	v_mov_b64_e32 v[10:11], v[2:3]
	s_and_saveexec_b64 s[12:13], s[10:11]
	s_cbranch_execz .LBB418_13
; %bb.12:
	v_mov_b32_e32 v33, 0
	v_lshl_add_u64 v[10:11], v[64:65], 0, v[32:33]
	flat_load_dwordx2 v[10:11], v[10:11]
.LBB418_13:
	;; [unrolled: 12-line block ×11, first 2 shown]
	s_or_b64 exec, exec, s[30:31]
	v_or_b32_e32 v1, 0xd00, v0
	v_cmp_gt_u32_e64 s[30:31], s52, v1
	v_lshlrev_b32_e32 v52, 3, v1
	s_and_saveexec_b64 s[34:35], s[30:31]
	s_cbranch_execz .LBB418_33
; %bb.32:
	v_mov_b32_e32 v53, 0
	v_lshl_add_u64 v[2:3], v[64:65], 0, v[52:53]
	flat_load_dwordx2 v[2:3], v[2:3]
.LBB418_33:
	s_or_b64 exec, exec, s[34:35]
	v_lshlrev_b32_e32 v56, 3, v0
	s_waitcnt vmcnt(0) lgkmcnt(0)
	ds_write2st64_b64 v56, v[4:5], v[6:7] offset1:4
	ds_write2st64_b64 v56, v[8:9], v[10:11] offset0:8 offset1:12
	ds_write2st64_b64 v56, v[12:13], v[14:15] offset0:16 offset1:20
	;; [unrolled: 1-line block ×6, first 2 shown]
	s_waitcnt lgkmcnt(0)
	s_barrier
	flat_load_dwordx2 v[60:61], v[64:65]
	s_movk_i32 s34, 0x68
	v_mad_u32_u24 v80, v0, s34, v56
	s_movk_i32 s34, 0xff98
	v_mad_i32_i24 v1, v0, s34, v80
	s_movk_i32 s34, 0xff
	v_cmp_ne_u32_e64 s[34:35], s34, v0
	ds_read_b128 v[26:29], v80
	ds_read_b128 v[22:25], v80 offset:16
	ds_read_b128 v[18:21], v80 offset:32
	;; [unrolled: 1-line block ×6, first 2 shown]
	s_waitcnt lgkmcnt(0)
	ds_write_b64 v1, v[26:27] offset:30720
	s_waitcnt lgkmcnt(0)
	s_barrier
	s_and_saveexec_b64 s[44:45], s[34:35]
	s_cbranch_execz .LBB418_35
; %bb.34:
	s_waitcnt vmcnt(0)
	ds_read_b64 v[60:61], v56 offset:30728
.LBB418_35:
	s_or_b64 exec, exec, s[44:45]
	v_mov_b32_e32 v57, 0
	s_waitcnt lgkmcnt(0)
	s_barrier
	s_waitcnt lgkmcnt(0)
                                        ; implicit-def: $vgpr58_vgpr59
	s_and_saveexec_b64 s[34:35], vcc
	s_cbranch_execz .LBB418_157
; %bb.36:
	v_lshl_add_u64 v[58:59], v[62:63], 0, v[56:57]
	flat_load_dwordx2 v[58:59], v[58:59]
	s_or_b64 exec, exec, s[34:35]
                                        ; implicit-def: $vgpr66_vgpr67
	s_and_saveexec_b64 s[34:35], s[6:7]
	s_cbranch_execnz .LBB418_158
.LBB418_37:
	s_or_b64 exec, exec, s[34:35]
                                        ; implicit-def: $vgpr68_vgpr69
	s_and_saveexec_b64 s[6:7], s[8:9]
	s_cbranch_execz .LBB418_159
.LBB418_38:
	v_mov_b32_e32 v31, 0
	v_lshl_add_u64 v[30:31], v[62:63], 0, v[30:31]
	flat_load_dwordx2 v[68:69], v[30:31]
	s_or_b64 exec, exec, s[6:7]
                                        ; implicit-def: $vgpr30_vgpr31
	s_and_saveexec_b64 s[6:7], s[10:11]
	s_cbranch_execnz .LBB418_160
.LBB418_39:
	s_or_b64 exec, exec, s[6:7]
                                        ; implicit-def: $vgpr32_vgpr33
	s_and_saveexec_b64 s[6:7], s[12:13]
	s_cbranch_execz .LBB418_161
.LBB418_40:
	v_mov_b32_e32 v35, 0
	v_lshl_add_u64 v[32:33], v[62:63], 0, v[34:35]
	flat_load_dwordx2 v[32:33], v[32:33]
	s_or_b64 exec, exec, s[6:7]
                                        ; implicit-def: $vgpr34_vgpr35
	s_and_saveexec_b64 s[6:7], s[14:15]
	s_cbranch_execnz .LBB418_162
.LBB418_41:
	s_or_b64 exec, exec, s[6:7]
                                        ; implicit-def: $vgpr36_vgpr37
	s_and_saveexec_b64 s[6:7], s[16:17]
	s_cbranch_execz .LBB418_163
.LBB418_42:
	v_mov_b32_e32 v39, 0
	v_lshl_add_u64 v[36:37], v[62:63], 0, v[38:39]
	flat_load_dwordx2 v[36:37], v[36:37]
	s_or_b64 exec, exec, s[6:7]
                                        ; implicit-def: $vgpr38_vgpr39
	s_and_saveexec_b64 s[6:7], s[18:19]
	s_cbranch_execnz .LBB418_164
.LBB418_43:
	s_or_b64 exec, exec, s[6:7]
                                        ; implicit-def: $vgpr40_vgpr41
	s_and_saveexec_b64 s[6:7], s[20:21]
	s_cbranch_execz .LBB418_165
.LBB418_44:
	v_mov_b32_e32 v43, 0
	v_lshl_add_u64 v[40:41], v[62:63], 0, v[42:43]
	flat_load_dwordx2 v[40:41], v[40:41]
	s_or_b64 exec, exec, s[6:7]
                                        ; implicit-def: $vgpr42_vgpr43
	s_and_saveexec_b64 s[6:7], s[22:23]
	s_cbranch_execnz .LBB418_166
.LBB418_45:
	s_or_b64 exec, exec, s[6:7]
                                        ; implicit-def: $vgpr44_vgpr45
	s_and_saveexec_b64 s[6:7], s[24:25]
	s_cbranch_execz .LBB418_167
.LBB418_46:
	v_mov_b32_e32 v47, 0
	v_lshl_add_u64 v[44:45], v[62:63], 0, v[46:47]
	flat_load_dwordx2 v[44:45], v[44:45]
	s_or_b64 exec, exec, s[6:7]
                                        ; implicit-def: $vgpr46_vgpr47
	s_and_saveexec_b64 s[6:7], s[26:27]
	s_cbranch_execnz .LBB418_168
.LBB418_47:
	s_or_b64 exec, exec, s[6:7]
                                        ; implicit-def: $vgpr48_vgpr49
	s_and_saveexec_b64 s[6:7], s[28:29]
	s_cbranch_execz .LBB418_49
.LBB418_48:
	v_mov_b32_e32 v51, 0
	v_lshl_add_u64 v[48:49], v[62:63], 0, v[50:51]
	flat_load_dwordx2 v[48:49], v[48:49]
.LBB418_49:
	s_or_b64 exec, exec, s[6:7]
	v_mul_u32_u24_e32 v81, 14, v0
                                        ; implicit-def: $vgpr50_vgpr51
	s_and_saveexec_b64 s[6:7], s[30:31]
	s_cbranch_execz .LBB418_51
; %bb.50:
	v_mov_b32_e32 v53, 0
	v_lshl_add_u64 v[50:51], v[62:63], 0, v[52:53]
	flat_load_dwordx2 v[50:51], v[50:51]
.LBB418_51:
	s_or_b64 exec, exec, s[6:7]
	s_waitcnt vmcnt(0) lgkmcnt(0)
	ds_write2st64_b64 v56, v[58:59], v[66:67] offset1:4
	ds_write2st64_b64 v56, v[68:69], v[30:31] offset0:8 offset1:12
	ds_write2st64_b64 v56, v[32:33], v[34:35] offset0:16 offset1:20
	;; [unrolled: 1-line block ×6, first 2 shown]
	v_mov_b64_e32 v[56:57], 0
	v_cmp_gt_u32_e32 vcc, s52, v81
	s_mov_b64 s[12:13], 0
	s_mov_b32 s60, 0
	s_mov_b64 s[6:7], 0
	v_mov_b32_e32 v71, 0
	v_mov_b64_e32 v[30:31], v[56:57]
	v_mov_b32_e32 v79, 0
	v_mov_b64_e32 v[58:59], v[56:57]
	;; [unrolled: 2-line block ×12, first 2 shown]
	v_mov_b32_e32 v1, 0
	s_waitcnt lgkmcnt(0)
	s_barrier
	s_waitcnt lgkmcnt(0)
                                        ; implicit-def: $sgpr10_sgpr11
                                        ; implicit-def: $vgpr66_vgpr67
	s_and_saveexec_b64 s[8:9], vcc
	s_cbranch_execz .LBB418_79
; %bb.52:
	ds_read_b64 v[30:31], v80
	v_cmp_ne_u64_e32 vcc, v[26:27], v[28:29]
	v_mov_b32_e32 v26, s57
	v_or_b32_e32 v32, 1, v81
	v_cndmask_b32_e64 v1, 0, 1, vcc
	s_waitcnt lgkmcnt(0)
	v_cndmask_b32_e32 v57, v31, v26, vcc
	v_mov_b32_e32 v26, s56
	v_cndmask_b32_e32 v56, v30, v26, vcc
	v_mov_b64_e32 v[30:31], 0
	v_cmp_gt_u32_e32 vcc, s52, v32
	s_mov_b64 s[14:15], 0
	v_mov_b32_e32 v71, 0
	v_mov_b32_e32 v79, 0
	v_mov_b64_e32 v[58:59], v[30:31]
	v_mov_b32_e32 v78, 0
	v_mov_b64_e32 v[36:37], v[30:31]
	;; [unrolled: 2-line block ×11, first 2 shown]
                                        ; implicit-def: $sgpr16_sgpr17
                                        ; implicit-def: $vgpr66_vgpr67
	s_and_saveexec_b64 s[10:11], vcc
	s_cbranch_execz .LBB418_78
; %bb.53:
	ds_read2_b64 v[30:33], v80 offset0:1 offset1:2
	v_cmp_ne_u64_e32 vcc, v[28:29], v[22:23]
	v_mov_b32_e32 v27, s57
	v_add_u32_e32 v26, 2, v81
	v_cndmask_b32_e64 v68, 0, 1, vcc
	s_waitcnt lgkmcnt(0)
	v_cndmask_b32_e32 v51, v31, v27, vcc
	v_mov_b32_e32 v27, s56
	v_cndmask_b32_e32 v50, v30, v27, vcc
	v_mov_b64_e32 v[30:31], 0
	v_cmp_gt_u32_e32 vcc, s52, v26
	s_mov_b64 s[16:17], 0
	v_mov_b32_e32 v71, 0
	v_mov_b32_e32 v79, 0
	v_mov_b64_e32 v[58:59], v[30:31]
	v_mov_b32_e32 v78, 0
	v_mov_b64_e32 v[36:37], v[30:31]
	;; [unrolled: 2-line block ×10, first 2 shown]
                                        ; implicit-def: $sgpr18_sgpr19
                                        ; implicit-def: $vgpr66_vgpr67
	s_and_saveexec_b64 s[12:13], vcc
	s_cbranch_execz .LBB418_77
; %bb.54:
	v_cmp_ne_u64_e32 vcc, v[22:23], v[24:25]
	v_mov_b32_e32 v22, s57
	v_add_u32_e32 v26, 3, v81
	v_cndmask_b32_e32 v53, v33, v22, vcc
	v_mov_b32_e32 v22, s56
	v_mov_b64_e32 v[30:31], 0
	v_cndmask_b32_e64 v69, 0, 1, vcc
	v_cndmask_b32_e32 v52, v32, v22, vcc
	v_cmp_gt_u32_e32 vcc, s52, v26
	s_mov_b64 s[18:19], 0
	v_mov_b32_e32 v71, 0
	v_mov_b32_e32 v79, 0
	v_mov_b64_e32 v[58:59], v[30:31]
	v_mov_b32_e32 v78, 0
	v_mov_b64_e32 v[36:37], v[30:31]
	v_mov_b32_e32 v77, 0
	v_mov_b64_e32 v[34:35], v[30:31]
	v_mov_b32_e32 v76, 0
	v_mov_b64_e32 v[40:41], v[30:31]
	v_mov_b32_e32 v75, 0
	v_mov_b64_e32 v[38:39], v[30:31]
	v_mov_b32_e32 v74, 0
	v_mov_b64_e32 v[44:45], v[30:31]
	v_mov_b32_e32 v73, 0
	v_mov_b64_e32 v[42:43], v[30:31]
	v_mov_b32_e32 v72, 0
	v_mov_b64_e32 v[48:49], v[30:31]
	v_mov_b32_e32 v70, 0
	v_mov_b64_e32 v[46:47], v[30:31]
                                        ; implicit-def: $sgpr20_sgpr21
                                        ; implicit-def: $vgpr66_vgpr67
	s_and_saveexec_b64 s[14:15], vcc
	s_cbranch_execz .LBB418_76
; %bb.55:
	ds_read2_b64 v[26:29], v80 offset0:3 offset1:4
	v_cmp_ne_u64_e32 vcc, v[24:25], v[18:19]
	v_mov_b32_e32 v23, s57
	v_add_u32_e32 v22, 4, v81
	v_mov_b64_e32 v[30:31], 0
	s_waitcnt lgkmcnt(0)
	v_cndmask_b32_e32 v47, v27, v23, vcc
	v_mov_b32_e32 v23, s56
	v_cndmask_b32_e64 v70, 0, 1, vcc
	v_cndmask_b32_e32 v46, v26, v23, vcc
	v_cmp_gt_u32_e32 vcc, s52, v22
	s_mov_b64 s[20:21], 0
	v_mov_b32_e32 v71, 0
	v_mov_b32_e32 v79, 0
	v_mov_b64_e32 v[58:59], v[30:31]
	v_mov_b32_e32 v78, 0
	v_mov_b64_e32 v[36:37], v[30:31]
	;; [unrolled: 2-line block ×8, first 2 shown]
                                        ; implicit-def: $sgpr22_sgpr23
                                        ; implicit-def: $vgpr66_vgpr67
	s_and_saveexec_b64 s[16:17], vcc
	s_cbranch_execz .LBB418_75
; %bb.56:
	v_cmp_ne_u64_e32 vcc, v[18:19], v[20:21]
	v_mov_b32_e32 v18, s57
	v_add_u32_e32 v22, 5, v81
	v_cndmask_b32_e32 v49, v29, v18, vcc
	v_mov_b32_e32 v18, s56
	v_mov_b64_e32 v[30:31], 0
	v_cndmask_b32_e64 v72, 0, 1, vcc
	v_cndmask_b32_e32 v48, v28, v18, vcc
	v_cmp_gt_u32_e32 vcc, s52, v22
	s_mov_b64 s[22:23], 0
	v_mov_b32_e32 v71, 0
	v_mov_b32_e32 v79, 0
	v_mov_b64_e32 v[58:59], v[30:31]
	v_mov_b32_e32 v78, 0
	v_mov_b64_e32 v[36:37], v[30:31]
	;; [unrolled: 2-line block ×7, first 2 shown]
                                        ; implicit-def: $sgpr24_sgpr25
                                        ; implicit-def: $vgpr66_vgpr67
	s_and_saveexec_b64 s[18:19], vcc
	s_cbranch_execz .LBB418_74
; %bb.57:
	ds_read2_b64 v[22:25], v80 offset0:5 offset1:6
	v_cmp_ne_u64_e32 vcc, v[20:21], v[14:15]
	v_mov_b32_e32 v19, s57
	v_add_u32_e32 v18, 6, v81
	v_mov_b64_e32 v[30:31], 0
	s_waitcnt lgkmcnt(0)
	v_cndmask_b32_e32 v43, v23, v19, vcc
	v_mov_b32_e32 v19, s56
	v_cndmask_b32_e64 v73, 0, 1, vcc
	v_cndmask_b32_e32 v42, v22, v19, vcc
	v_cmp_gt_u32_e32 vcc, s52, v18
	s_mov_b64 s[24:25], 0
	v_mov_b32_e32 v71, 0
	v_mov_b32_e32 v79, 0
	v_mov_b64_e32 v[58:59], v[30:31]
	v_mov_b32_e32 v78, 0
	v_mov_b64_e32 v[36:37], v[30:31]
	;; [unrolled: 2-line block ×6, first 2 shown]
                                        ; implicit-def: $sgpr26_sgpr27
                                        ; implicit-def: $vgpr66_vgpr67
	s_and_saveexec_b64 s[20:21], vcc
	s_cbranch_execz .LBB418_73
; %bb.58:
	v_cmp_ne_u64_e32 vcc, v[14:15], v[16:17]
	v_mov_b32_e32 v14, s57
	v_add_u32_e32 v18, 7, v81
	v_cndmask_b32_e32 v45, v25, v14, vcc
	v_mov_b32_e32 v14, s56
	v_mov_b64_e32 v[30:31], 0
	v_cndmask_b32_e64 v74, 0, 1, vcc
	v_cndmask_b32_e32 v44, v24, v14, vcc
	v_cmp_gt_u32_e32 vcc, s52, v18
	s_mov_b64 s[26:27], 0
	v_mov_b32_e32 v71, 0
	v_mov_b32_e32 v79, 0
	v_mov_b64_e32 v[58:59], v[30:31]
	v_mov_b32_e32 v78, 0
	v_mov_b64_e32 v[36:37], v[30:31]
	;; [unrolled: 2-line block ×5, first 2 shown]
                                        ; implicit-def: $sgpr28_sgpr29
                                        ; implicit-def: $vgpr66_vgpr67
	s_and_saveexec_b64 s[22:23], vcc
	s_cbranch_execz .LBB418_72
; %bb.59:
	ds_read2_b64 v[18:21], v80 offset0:7 offset1:8
	v_cmp_ne_u64_e32 vcc, v[16:17], v[10:11]
	v_mov_b32_e32 v15, s57
	v_add_u32_e32 v14, 8, v81
	v_mov_b64_e32 v[30:31], 0
	s_waitcnt lgkmcnt(0)
	v_cndmask_b32_e32 v39, v19, v15, vcc
	v_mov_b32_e32 v15, s56
	v_cndmask_b32_e64 v75, 0, 1, vcc
	v_cndmask_b32_e32 v38, v18, v15, vcc
	v_cmp_gt_u32_e32 vcc, s52, v14
	s_mov_b64 s[28:29], 0
	v_mov_b32_e32 v71, 0
	v_mov_b32_e32 v79, 0
	v_mov_b64_e32 v[58:59], v[30:31]
	v_mov_b32_e32 v78, 0
	v_mov_b64_e32 v[36:37], v[30:31]
	;; [unrolled: 2-line block ×4, first 2 shown]
                                        ; implicit-def: $sgpr30_sgpr31
                                        ; implicit-def: $vgpr66_vgpr67
	s_and_saveexec_b64 s[24:25], vcc
	s_cbranch_execz .LBB418_71
; %bb.60:
	v_cmp_ne_u64_e32 vcc, v[10:11], v[12:13]
	v_mov_b32_e32 v10, s57
	v_add_u32_e32 v14, 9, v81
	v_cndmask_b32_e32 v41, v21, v10, vcc
	v_mov_b32_e32 v10, s56
	v_mov_b64_e32 v[30:31], 0
	v_cndmask_b32_e64 v76, 0, 1, vcc
	v_cndmask_b32_e32 v40, v20, v10, vcc
	v_cmp_gt_u32_e32 vcc, s52, v14
	s_mov_b64 s[30:31], 0
	v_mov_b32_e32 v71, 0
	v_mov_b32_e32 v79, 0
	v_mov_b64_e32 v[58:59], v[30:31]
	v_mov_b32_e32 v78, 0
	v_mov_b64_e32 v[36:37], v[30:31]
	;; [unrolled: 2-line block ×3, first 2 shown]
                                        ; implicit-def: $sgpr34_sgpr35
                                        ; implicit-def: $vgpr66_vgpr67
	s_and_saveexec_b64 s[26:27], vcc
	s_cbranch_execz .LBB418_70
; %bb.61:
	ds_read2_b64 v[14:17], v80 offset0:9 offset1:10
	v_cmp_ne_u64_e32 vcc, v[12:13], v[6:7]
	v_mov_b32_e32 v11, s57
	v_add_u32_e32 v10, 10, v81
	v_mov_b64_e32 v[30:31], 0
	s_waitcnt lgkmcnt(0)
	v_cndmask_b32_e32 v35, v15, v11, vcc
	v_mov_b32_e32 v11, s56
	v_cndmask_b32_e64 v77, 0, 1, vcc
	v_cndmask_b32_e32 v34, v14, v11, vcc
	v_cmp_gt_u32_e32 vcc, s52, v10
	s_mov_b64 s[34:35], 0
	v_mov_b32_e32 v71, 0
	v_mov_b32_e32 v79, 0
	v_mov_b64_e32 v[58:59], v[30:31]
	v_mov_b32_e32 v78, 0
	v_mov_b64_e32 v[36:37], v[30:31]
                                        ; implicit-def: $sgpr44_sgpr45
                                        ; implicit-def: $vgpr66_vgpr67
	s_and_saveexec_b64 s[28:29], vcc
	s_cbranch_execz .LBB418_69
; %bb.62:
	v_cmp_ne_u64_e32 vcc, v[6:7], v[8:9]
	v_mov_b32_e32 v6, s57
	v_add_u32_e32 v10, 11, v81
	v_cndmask_b32_e32 v37, v17, v6, vcc
	v_mov_b32_e32 v6, s56
	v_mov_b64_e32 v[30:31], 0
	v_cndmask_b32_e64 v78, 0, 1, vcc
	v_cndmask_b32_e32 v36, v16, v6, vcc
	v_cmp_gt_u32_e32 vcc, s52, v10
	s_mov_b64 s[44:45], 0
	v_mov_b32_e32 v71, 0
	v_mov_b32_e32 v79, 0
	v_mov_b64_e32 v[58:59], v[30:31]
                                        ; implicit-def: $sgpr48_sgpr49
                                        ; implicit-def: $vgpr66_vgpr67
	s_and_saveexec_b64 s[30:31], vcc
	s_cbranch_execz .LBB418_68
; %bb.63:
	ds_read2_b64 v[10:13], v80 offset0:11 offset1:12
	v_cmp_ne_u64_e32 vcc, v[8:9], v[2:3]
	v_mov_b32_e32 v7, s57
	v_add_u32_e32 v6, 12, v81
	v_cndmask_b32_e64 v79, 0, 1, vcc
	s_waitcnt lgkmcnt(0)
	v_cndmask_b32_e32 v59, v11, v7, vcc
	v_mov_b32_e32 v7, s56
	v_cndmask_b32_e32 v58, v10, v7, vcc
	v_cmp_gt_u32_e32 vcc, s52, v6
	v_mov_b32_e32 v71, 0
	v_mov_b64_e32 v[30:31], 0
                                        ; implicit-def: $sgpr48_sgpr49
                                        ; implicit-def: $vgpr66_vgpr67
	s_and_saveexec_b64 s[34:35], vcc
	s_cbranch_execz .LBB418_67
; %bb.64:
	v_cmp_ne_u64_e32 vcc, v[2:3], v[4:5]
	v_mov_b32_e32 v2, s57
	v_add_u32_e32 v6, 13, v81
	v_cndmask_b32_e32 v31, v13, v2, vcc
	v_mov_b32_e32 v2, s56
	v_cndmask_b32_e64 v71, 0, 1, vcc
	v_cndmask_b32_e32 v30, v12, v2, vcc
	v_cmp_gt_u32_e32 vcc, s52, v6
                                        ; implicit-def: $sgpr48_sgpr49
                                        ; implicit-def: $vgpr66_vgpr67
	s_and_saveexec_b64 s[52:53], vcc
	s_xor_b64 s[52:53], exec, s[52:53]
	s_cbranch_execz .LBB418_66
; %bb.65:
	ds_read_b64 v[2:3], v80 offset:104
	v_mov_b32_e32 v6, s57
	v_mov_b32_e32 v7, s56
	v_cmp_ne_u64_e32 vcc, v[4:5], v[60:61]
	s_mov_b64 s[44:45], exec
	s_and_b64 s[48:49], vcc, exec
	s_waitcnt lgkmcnt(0)
	v_cndmask_b32_e32 v67, v3, v6, vcc
	v_cndmask_b32_e32 v66, v2, v7, vcc
.LBB418_66:
	s_or_b64 exec, exec, s[52:53]
	s_and_b64 s[48:49], s[48:49], exec
	s_and_b64 s[44:45], s[44:45], exec
.LBB418_67:
	s_or_b64 exec, exec, s[34:35]
	s_and_b64 s[48:49], s[48:49], exec
	s_and_b64 s[34:35], s[44:45], exec
.LBB418_68:
	s_or_b64 exec, exec, s[30:31]
	s_and_b64 s[44:45], s[48:49], exec
	s_and_b64 s[30:31], s[34:35], exec
.LBB418_69:
	s_or_b64 exec, exec, s[28:29]
	s_and_b64 s[34:35], s[44:45], exec
	s_and_b64 s[28:29], s[30:31], exec
.LBB418_70:
	s_or_b64 exec, exec, s[26:27]
	s_and_b64 s[30:31], s[34:35], exec
	s_and_b64 s[26:27], s[28:29], exec
.LBB418_71:
	s_or_b64 exec, exec, s[24:25]
	s_and_b64 s[28:29], s[30:31], exec
	s_and_b64 s[24:25], s[26:27], exec
.LBB418_72:
	s_or_b64 exec, exec, s[22:23]
	s_and_b64 s[26:27], s[28:29], exec
	s_and_b64 s[22:23], s[24:25], exec
.LBB418_73:
	s_or_b64 exec, exec, s[20:21]
	s_and_b64 s[24:25], s[26:27], exec
	s_and_b64 s[20:21], s[22:23], exec
.LBB418_74:
	s_or_b64 exec, exec, s[18:19]
	s_and_b64 s[22:23], s[24:25], exec
	s_and_b64 s[18:19], s[20:21], exec
.LBB418_75:
	s_or_b64 exec, exec, s[16:17]
	s_and_b64 s[20:21], s[22:23], exec
	s_and_b64 s[16:17], s[18:19], exec
.LBB418_76:
	s_or_b64 exec, exec, s[14:15]
	s_and_b64 s[18:19], s[20:21], exec
	s_and_b64 s[14:15], s[16:17], exec
.LBB418_77:
	s_or_b64 exec, exec, s[12:13]
	s_and_b64 s[16:17], s[18:19], exec
	s_and_b64 s[12:13], s[14:15], exec
.LBB418_78:
	s_or_b64 exec, exec, s[10:11]
	s_and_b64 s[10:11], s[16:17], exec
	s_and_b64 s[12:13], s[12:13], exec
.LBB418_79:
	s_or_b64 exec, exec, s[8:9]
	s_mov_b64 s[8:9], 0
	s_and_b64 vcc, exec, s[6:7]
	v_lshlrev_b32_e32 v60, 3, v0
	s_cbranch_vccnz .LBB418_81
	s_branch .LBB418_86
.LBB418_80:
	s_mov_b64 s[12:13], 0
                                        ; implicit-def: $sgpr10_sgpr11
                                        ; implicit-def: $vgpr66_vgpr67
                                        ; implicit-def: $vgpr56_vgpr57
                                        ; implicit-def: $vgpr71
                                        ; implicit-def: $vgpr30_vgpr31
                                        ; implicit-def: $vgpr79
                                        ; implicit-def: $vgpr58_vgpr59
                                        ; implicit-def: $vgpr78
                                        ; implicit-def: $vgpr36_vgpr37
                                        ; implicit-def: $vgpr77
                                        ; implicit-def: $vgpr34_vgpr35
                                        ; implicit-def: $vgpr76
                                        ; implicit-def: $vgpr40_vgpr41
                                        ; implicit-def: $vgpr75
                                        ; implicit-def: $vgpr38_vgpr39
                                        ; implicit-def: $vgpr74
                                        ; implicit-def: $vgpr44_vgpr45
                                        ; implicit-def: $vgpr73
                                        ; implicit-def: $vgpr42_vgpr43
                                        ; implicit-def: $vgpr72
                                        ; implicit-def: $vgpr48_vgpr49
                                        ; implicit-def: $vgpr70
                                        ; implicit-def: $vgpr46_vgpr47
                                        ; implicit-def: $vgpr69
                                        ; implicit-def: $vgpr52_vgpr53
                                        ; implicit-def: $vgpr68
                                        ; implicit-def: $vgpr50_vgpr51
                                        ; implicit-def: $vgpr1
                                        ; implicit-def: $sgpr60
                                        ; implicit-def: $sgpr8_sgpr9
	s_and_b64 vcc, exec, s[6:7]
	v_lshlrev_b32_e32 v60, 3, v0
	s_cbranch_vccz .LBB418_86
.LBB418_81:
	v_mov_b32_e32 v61, 0
	v_lshl_add_u64 v[2:3], v[64:65], 0, v[60:61]
	v_add_co_u32_e32 v4, vcc, 0x1000, v2
	s_movk_i32 s6, 0x7000
	s_nop 0
	v_addc_co_u32_e32 v5, vcc, 0, v3, vcc
	flat_load_dwordx2 v[6:7], v[2:3]
	flat_load_dwordx2 v[8:9], v[2:3] offset:2048
	flat_load_dwordx2 v[10:11], v[4:5]
	flat_load_dwordx2 v[12:13], v[4:5] offset:2048
	v_add_co_u32_e32 v4, vcc, 0x2000, v2
	s_movk_i32 s13, 0x1000
	s_nop 0
	v_addc_co_u32_e32 v5, vcc, 0, v3, vcc
	v_add_co_u32_e32 v14, vcc, 0x3000, v2
	s_movk_i32 s12, 0x2000
	s_nop 0
	v_addc_co_u32_e32 v15, vcc, 0, v3, vcc
	flat_load_dwordx2 v[16:17], v[4:5]
	flat_load_dwordx2 v[18:19], v[4:5] offset:2048
	flat_load_dwordx2 v[20:21], v[14:15]
	flat_load_dwordx2 v[22:23], v[14:15] offset:2048
	v_add_co_u32_e32 v4, vcc, 0x4000, v2
	s_movk_i32 s11, 0x3000
	s_nop 0
	v_addc_co_u32_e32 v5, vcc, 0, v3, vcc
	v_add_co_u32_e32 v14, vcc, 0x5000, v2
	s_movk_i32 s10, 0x4000
	s_nop 0
	v_addc_co_u32_e32 v15, vcc, 0, v3, vcc
	v_add_co_u32_e32 v2, vcc, 0x6000, v2
	flat_load_dwordx2 v[24:25], v[4:5]
	flat_load_dwordx2 v[26:27], v[4:5] offset:2048
	flat_load_dwordx2 v[28:29], v[14:15]
	flat_load_dwordx2 v[30:31], v[14:15] offset:2048
	v_addc_co_u32_e32 v3, vcc, 0, v3, vcc
	flat_load_dwordx2 v[4:5], v[2:3]
	flat_load_dwordx2 v[14:15], v[2:3] offset:2048
	v_add_co_u32_e32 v2, vcc, s6, v64
	s_movk_i32 s6, 0x68
	s_nop 0
	v_addc_co_u32_e32 v3, vcc, 0, v65, vcc
	v_mad_u32_u24 v1, v0, s6, v60
	s_movk_i32 s6, 0xff98
	s_movk_i32 s9, 0x5000
	s_movk_i32 s8, 0x6000
	s_waitcnt vmcnt(0) lgkmcnt(0)
	ds_write2st64_b64 v60, v[6:7], v[8:9] offset1:4
	ds_write2st64_b64 v60, v[10:11], v[12:13] offset0:8 offset1:12
	ds_write2st64_b64 v60, v[16:17], v[18:19] offset0:16 offset1:20
	;; [unrolled: 1-line block ×6, first 2 shown]
	s_waitcnt lgkmcnt(0)
	s_barrier
	flat_load_dwordx2 v[64:65], v[2:3]
	v_mad_i32_i24 v26, v0, s6, v1
	s_movk_i32 s6, 0xff
	v_cmp_ne_u32_e32 vcc, s6, v0
	ds_read_b128 v[30:33], v1
	ds_read_b128 v[22:25], v1 offset:16
	ds_read_b128 v[18:21], v1 offset:32
	;; [unrolled: 1-line block ×6, first 2 shown]
	s_waitcnt lgkmcnt(0)
	ds_write_b64 v26, v[30:31] offset:30720
	s_waitcnt lgkmcnt(0)
	s_barrier
	s_and_saveexec_b64 s[6:7], vcc
	s_cbranch_execz .LBB418_83
; %bb.82:
	s_waitcnt vmcnt(0)
	ds_read_b64 v[64:65], v60 offset:30728
.LBB418_83:
	s_or_b64 exec, exec, s[6:7]
	v_lshl_add_u64 v[26:27], v[62:63], 0, v[60:61]
	v_add_co_u32_e32 v28, vcc, s13, v26
	s_waitcnt lgkmcnt(0)
	s_nop 0
	v_addc_co_u32_e32 v29, vcc, 0, v27, vcc
	s_barrier
	flat_load_dwordx2 v[34:35], v[26:27]
	flat_load_dwordx2 v[36:37], v[26:27] offset:2048
	flat_load_dwordx2 v[38:39], v[28:29]
	flat_load_dwordx2 v[40:41], v[28:29] offset:2048
	v_add_co_u32_e32 v28, vcc, s12, v26
	v_cmp_eq_u64_e64 s[6:7], v[30:31], v[32:33]
	s_nop 0
	v_addc_co_u32_e32 v29, vcc, 0, v27, vcc
	v_add_co_u32_e32 v42, vcc, s11, v26
	s_nop 1
	v_addc_co_u32_e32 v43, vcc, 0, v27, vcc
	flat_load_dwordx2 v[44:45], v[28:29]
	flat_load_dwordx2 v[46:47], v[28:29] offset:2048
	flat_load_dwordx2 v[48:49], v[42:43]
	flat_load_dwordx2 v[50:51], v[42:43] offset:2048
	v_add_co_u32_e32 v28, vcc, s10, v26
	s_nop 1
	v_addc_co_u32_e32 v29, vcc, 0, v27, vcc
	v_add_co_u32_e32 v42, vcc, s9, v26
	s_nop 1
	v_addc_co_u32_e32 v43, vcc, 0, v27, vcc
	v_add_co_u32_e32 v26, vcc, s8, v26
	flat_load_dwordx2 v[52:53], v[28:29]
	flat_load_dwordx2 v[56:57], v[28:29] offset:2048
	flat_load_dwordx2 v[58:59], v[42:43]
	flat_load_dwordx2 v[62:63], v[42:43] offset:2048
	v_addc_co_u32_e32 v27, vcc, 0, v27, vcc
	flat_load_dwordx2 v[28:29], v[26:27]
	flat_load_dwordx2 v[42:43], v[26:27] offset:2048
	v_cmp_ne_u64_e32 vcc, v[30:31], v[32:33]
	s_waitcnt vmcnt(0) lgkmcnt(0)
	ds_write2st64_b64 v60, v[34:35], v[36:37] offset1:4
	ds_write2st64_b64 v60, v[38:39], v[40:41] offset0:8 offset1:12
	ds_write2st64_b64 v60, v[44:45], v[46:47] offset0:16 offset1:20
	;; [unrolled: 1-line block ×6, first 2 shown]
	s_waitcnt lgkmcnt(0)
	s_barrier
	ds_read2_b64 v[50:53], v1 offset0:1 offset1:2
	ds_read2_b64 v[46:49], v1 offset0:3 offset1:4
	;; [unrolled: 1-line block ×6, first 2 shown]
	ds_read_b64 v[62:63], v1 offset:104
	v_mov_b64_e32 v[56:57], s[56:57]
	s_and_saveexec_b64 s[8:9], s[6:7]
	s_cbranch_execz .LBB418_85
; %bb.84:
	ds_read_b64 v[56:57], v1
.LBB418_85:
	s_or_b64 exec, exec, s[8:9]
	v_cmp_ne_u64_e64 s[10:11], v[18:19], v[20:21]
	v_cmp_ne_u64_e64 s[24:25], v[8:9], v[2:3]
	;; [unrolled: 1-line block ×3, first 2 shown]
	v_mov_b32_e32 v2, s57
	v_mov_b32_e32 v3, s56
	v_cndmask_b32_e64 v1, 0, 1, vcc
	v_cmp_ne_u64_e32 vcc, v[32:33], v[22:23]
	v_cmp_ne_u64_e64 s[6:7], v[22:23], v[24:25]
	v_cmp_ne_u64_e64 s[8:9], v[24:25], v[18:19]
	v_cndmask_b32_e64 v72, 0, 1, s[10:11]
	v_cmp_ne_u64_e64 s[12:13], v[20:21], v[14:15]
	v_cmp_ne_u64_e64 s[14:15], v[14:15], v[16:17]
	v_cmp_ne_u64_e64 s[16:17], v[16:17], v[10:11]
	v_cmp_ne_u64_e64 s[18:19], v[10:11], v[12:13]
	v_cmp_ne_u64_e64 s[20:21], v[12:13], v[6:7]
	v_cmp_ne_u64_e64 s[22:23], v[6:7], v[8:9]
	s_waitcnt lgkmcnt(5)
	v_cndmask_b32_e64 v49, v49, v2, s[10:11]
	v_cndmask_b32_e64 v48, v48, v3, s[10:11]
	v_cmp_ne_u64_e64 s[10:11], v[4:5], v[64:65]
	v_cndmask_b32_e64 v68, 0, 1, vcc
	v_cndmask_b32_e64 v69, 0, 1, s[6:7]
	v_cndmask_b32_e64 v70, 0, 1, s[8:9]
	;; [unrolled: 1-line block ×10, first 2 shown]
	v_cndmask_b32_e32 v51, v51, v2, vcc
	v_cndmask_b32_e32 v50, v50, v3, vcc
	v_cndmask_b32_e64 v53, v53, v2, s[6:7]
	v_cndmask_b32_e64 v52, v52, v3, s[6:7]
	v_cndmask_b32_e64 v47, v47, v2, s[8:9]
	v_cndmask_b32_e64 v46, v46, v3, s[8:9]
	s_waitcnt lgkmcnt(4)
	v_cndmask_b32_e64 v43, v43, v2, s[12:13]
	v_cndmask_b32_e64 v42, v42, v3, s[12:13]
	v_cndmask_b32_e64 v45, v45, v2, s[14:15]
	v_cndmask_b32_e64 v44, v44, v3, s[14:15]
	s_waitcnt lgkmcnt(3)
	;; [unrolled: 5-line block ×5, first 2 shown]
	v_cndmask_b32_e64 v67, v63, v2, s[10:11]
	v_cndmask_b32_e64 v66, v62, v3, s[10:11]
	s_mov_b64 s[12:13], -1
                                        ; implicit-def: $sgpr60
                                        ; implicit-def: $sgpr8_sgpr9
.LBB418_86:
	v_mov_b64_e32 v[28:29], s[8:9]
	v_mov_b32_e32 v61, s60
	s_and_saveexec_b64 s[6:7], s[12:13]
; %bb.87:
	v_cndmask_b32_e64 v61, 0, 1, s[10:11]
	v_mov_b64_e32 v[28:29], v[66:67]
; %bb.88:
	s_or_b64 exec, exec, s[6:7]
	v_or_b32_e32 v2, v61, v71
	s_cmp_lg_u32 s43, 0
	v_or_b32_e32 v65, v2, v79
	v_mbcnt_lo_u32_b32 v64, -1, 0
	s_barrier
	s_cbranch_scc0 .LBB418_169
; %bb.89:
	v_mov_b32_e32 v4, 0
	v_cmp_eq_u16_sdwa s[28:29], v68, v4 src0_sel:BYTE_0 src1_sel:DWORD
	v_cmp_eq_u16_sdwa s[26:27], v69, v4 src0_sel:BYTE_0 src1_sel:DWORD
	v_cmp_eq_u16_sdwa s[24:25], v70, v4 src0_sel:BYTE_0 src1_sel:DWORD
	v_cndmask_b32_e64 v2, 1, v56, s[28:29]
	v_cndmask_b32_e64 v3, 0, v57, s[28:29]
	v_mul_lo_u32 v5, v3, v50
	v_mul_lo_u32 v6, v2, v51
	v_mad_u64_u32 v[2:3], s[6:7], v2, v50, 0
	v_add3_u32 v3, v3, v6, v5
	v_cndmask_b32_e64 v3, 0, v3, s[26:27]
	v_cndmask_b32_e64 v2, 1, v2, s[26:27]
	v_mul_lo_u32 v5, v3, v52
	v_mul_lo_u32 v6, v2, v53
	v_mad_u64_u32 v[2:3], s[6:7], v2, v52, 0
	v_add3_u32 v3, v3, v6, v5
	v_cndmask_b32_e64 v3, 0, v3, s[24:25]
	v_cndmask_b32_e64 v2, 1, v2, s[24:25]
	v_mul_lo_u32 v5, v3, v46
	v_mul_lo_u32 v6, v2, v47
	v_mad_u64_u32 v[2:3], s[6:7], v2, v46, 0
	v_add3_u32 v3, v3, v6, v5
	v_cmp_eq_u16_sdwa s[22:23], v72, v4 src0_sel:BYTE_0 src1_sel:DWORD
	v_cmp_eq_u16_sdwa s[20:21], v73, v4 src0_sel:BYTE_0 src1_sel:DWORD
	v_cmp_eq_u16_sdwa s[18:19], v74, v4 src0_sel:BYTE_0 src1_sel:DWORD
	v_cndmask_b32_e64 v3, 0, v3, s[22:23]
	v_cndmask_b32_e64 v2, 1, v2, s[22:23]
	v_mul_lo_u32 v5, v3, v48
	v_mul_lo_u32 v6, v2, v49
	v_mad_u64_u32 v[2:3], s[6:7], v2, v48, 0
	v_add3_u32 v3, v3, v6, v5
	v_cndmask_b32_e64 v3, 0, v3, s[20:21]
	v_cndmask_b32_e64 v2, 1, v2, s[20:21]
	v_mul_lo_u32 v5, v3, v42
	v_mul_lo_u32 v6, v2, v43
	v_mad_u64_u32 v[2:3], s[6:7], v2, v42, 0
	v_add3_u32 v3, v3, v6, v5
	v_cndmask_b32_e64 v3, 0, v3, s[18:19]
	v_cndmask_b32_e64 v2, 1, v2, s[18:19]
	v_mul_lo_u32 v5, v3, v44
	v_mul_lo_u32 v6, v2, v45
	v_mad_u64_u32 v[2:3], s[6:7], v2, v44, 0
	v_add3_u32 v3, v3, v6, v5
	;; [unrolled: 21-line block ×3, first 2 shown]
	v_cmp_eq_u16_sdwa s[10:11], v78, v4 src0_sel:BYTE_0 src1_sel:DWORD
	v_cmp_eq_u16_sdwa s[8:9], v79, v4 src0_sel:BYTE_0 src1_sel:DWORD
	v_cmp_eq_u16_sdwa vcc, v61, v4 src0_sel:BYTE_0 src1_sel:DWORD
	v_cndmask_b32_e64 v3, 0, v3, s[10:11]
	v_cndmask_b32_e64 v2, 1, v2, s[10:11]
	v_mul_lo_u32 v5, v3, v36
	v_mul_lo_u32 v6, v2, v37
	v_mad_u64_u32 v[2:3], s[6:7], v2, v36, 0
	v_add3_u32 v3, v3, v6, v5
	v_cndmask_b32_e64 v3, 0, v3, s[8:9]
	v_cndmask_b32_e64 v2, 1, v2, s[8:9]
	v_mul_lo_u32 v5, v3, v58
	v_mul_lo_u32 v6, v2, v59
	v_mad_u64_u32 v[2:3], s[6:7], v2, v58, 0
	v_add3_u32 v3, v3, v6, v5
	v_cmp_eq_u16_sdwa s[6:7], v71, v4 src0_sel:BYTE_0 src1_sel:DWORD
	v_mbcnt_hi_u32_b32 v9, -1, v64
	s_nop 0
	v_cndmask_b32_e64 v3, 0, v3, s[6:7]
	v_cndmask_b32_e64 v2, 1, v2, s[6:7]
	v_mul_lo_u32 v5, v3, v30
	v_mul_lo_u32 v6, v2, v31
	v_mad_u64_u32 v[2:3], s[30:31], v2, v30, 0
	v_add3_u32 v3, v3, v6, v5
	v_cndmask_b32_e32 v3, 0, v3, vcc
	v_cndmask_b32_e32 v2, 1, v2, vcc
	v_mul_lo_u32 v4, v3, v28
	v_mul_lo_u32 v5, v2, v29
	v_mad_u64_u32 v[2:3], s[30:31], v2, v28, 0
	v_add3_u32 v3, v3, v5, v4
	v_or_b32_e32 v4, v65, v78
	v_or_b32_e32 v4, v4, v77
	;; [unrolled: 1-line block ×11, first 2 shown]
	v_and_b32_e32 v8, 1, v4
	v_and_b32_e32 v6, 15, v9
	v_cmp_eq_u32_e32 vcc, 1, v8
	v_mov_b32_dpp v11, v2 row_shr:1 row_mask:0xf bank_mask:0xf
	v_mov_b32_dpp v12, v3 row_shr:1 row_mask:0xf bank_mask:0xf
	;; [unrolled: 1-line block ×3, first 2 shown]
	v_cmp_ne_u32_e64 s[30:31], 0, v6
	v_mov_b64_e32 v[4:5], v[2:3]
	v_mov_b32_e32 v7, v8
	s_and_saveexec_b64 s[34:35], s[30:31]
; %bb.90:
	v_cndmask_b32_e64 v4, v12, 0, vcc
	v_cndmask_b32_e64 v5, v11, 1, vcc
	v_mul_lo_u32 v4, v4, v2
	v_mul_lo_u32 v7, v5, v3
	v_mad_u64_u32 v[2:3], s[30:31], v5, v2, 0
	v_add3_u32 v3, v3, v7, v4
	v_and_b32_e32 v4, 1, v10
	v_or_b32_e32 v8, v4, v8
	v_and_b32_e32 v7, 0xffff, v8
	v_mov_b64_e32 v[4:5], v[2:3]
; %bb.91:
	s_or_b64 exec, exec, s[34:35]
	v_mov_b32_dpp v11, v2 row_shr:2 row_mask:0xf bank_mask:0xf
	v_mov_b32_dpp v12, v3 row_shr:2 row_mask:0xf bank_mask:0xf
	v_mov_b32_dpp v10, v7 row_shr:2 row_mask:0xf bank_mask:0xf
	v_cmp_lt_u32_e32 vcc, 1, v6
	s_and_saveexec_b64 s[34:35], vcc
	s_cbranch_execz .LBB418_93
; %bb.92:
	v_cmp_eq_u16_e32 vcc, 0, v8
	s_nop 1
	v_cndmask_b32_e32 v2, 1, v11, vcc
	v_cndmask_b32_e32 v7, 0, v12, vcc
	v_mul_lo_u32 v5, v2, v5
	v_mad_u64_u32 v[2:3], s[30:31], v2, v4, 0
	v_mul_lo_u32 v4, v7, v4
	v_add3_u32 v3, v3, v5, v4
	v_and_b32_e32 v4, 1, v8
	v_cmp_eq_u32_e32 vcc, 1, v4
	v_and_b32_e32 v4, 1, v10
	v_cmp_eq_u32_e64 s[30:31], 1, v4
	s_or_b64 s[30:31], vcc, s[30:31]
	v_mov_b64_e32 v[4:5], v[2:3]
	v_cndmask_b32_e64 v8, 0, 1, s[30:31]
	v_cndmask_b32_e64 v7, 0, 1, s[30:31]
.LBB418_93:
	s_or_b64 exec, exec, s[34:35]
	v_mov_b32_dpp v11, v2 row_shr:4 row_mask:0xf bank_mask:0xf
	v_mov_b32_dpp v12, v3 row_shr:4 row_mask:0xf bank_mask:0xf
	v_mov_b32_dpp v10, v7 row_shr:4 row_mask:0xf bank_mask:0xf
	v_cmp_lt_u32_e32 vcc, 3, v6
	s_and_saveexec_b64 s[34:35], vcc
	s_cbranch_execz .LBB418_95
; %bb.94:
	v_cmp_eq_u16_e32 vcc, 0, v8
	s_nop 1
	v_cndmask_b32_e32 v2, 1, v11, vcc
	v_cndmask_b32_e32 v7, 0, v12, vcc
	v_mul_lo_u32 v5, v2, v5
	v_mad_u64_u32 v[2:3], s[30:31], v2, v4, 0
	v_mul_lo_u32 v4, v7, v4
	v_add3_u32 v3, v3, v5, v4
	v_and_b32_e32 v4, 1, v8
	v_cmp_eq_u32_e32 vcc, 1, v4
	v_and_b32_e32 v4, 1, v10
	v_cmp_eq_u32_e64 s[30:31], 1, v4
	s_or_b64 s[30:31], vcc, s[30:31]
	v_mov_b64_e32 v[4:5], v[2:3]
	v_cndmask_b32_e64 v8, 0, 1, s[30:31]
	v_cndmask_b32_e64 v7, 0, 1, s[30:31]
.LBB418_95:
	;; [unrolled: 25-line block ×3, first 2 shown]
	s_or_b64 exec, exec, s[34:35]
	v_and_b32_e32 v12, 16, v9
	v_mov_b32_dpp v10, v2 row_bcast:15 row_mask:0xf bank_mask:0xf
	v_mov_b32_dpp v11, v3 row_bcast:15 row_mask:0xf bank_mask:0xf
	;; [unrolled: 1-line block ×3, first 2 shown]
	v_cmp_ne_u32_e32 vcc, 0, v12
	s_and_saveexec_b64 s[34:35], vcc
	s_cbranch_execz .LBB418_99
; %bb.98:
	v_cmp_eq_u16_e32 vcc, 0, v8
	s_nop 1
	v_cndmask_b32_e32 v2, 1, v10, vcc
	v_cndmask_b32_e32 v7, 0, v11, vcc
	v_mul_lo_u32 v5, v2, v5
	v_mad_u64_u32 v[2:3], s[30:31], v2, v4, 0
	v_mul_lo_u32 v4, v7, v4
	v_add3_u32 v3, v3, v5, v4
	v_and_b32_e32 v4, 1, v8
	v_cmp_eq_u32_e32 vcc, 1, v4
	v_and_b32_e32 v4, 1, v6
	v_cmp_eq_u32_e64 s[30:31], 1, v4
	s_or_b64 s[30:31], vcc, s[30:31]
	v_mov_b64_e32 v[4:5], v[2:3]
	v_cndmask_b32_e64 v8, 0, 1, s[30:31]
	v_cndmask_b32_e64 v7, 0, 1, s[30:31]
.LBB418_99:
	s_or_b64 exec, exec, s[34:35]
	v_mov_b32_dpp v10, v2 row_bcast:31 row_mask:0xf bank_mask:0xf
	v_mov_b32_dpp v11, v3 row_bcast:31 row_mask:0xf bank_mask:0xf
	;; [unrolled: 1-line block ×3, first 2 shown]
	v_cmp_lt_u32_e32 vcc, 31, v9
	s_and_saveexec_b64 s[34:35], vcc
	s_cbranch_execz .LBB418_101
; %bb.100:
	v_cmp_eq_u16_e32 vcc, 0, v8
	s_nop 1
	v_cndmask_b32_e32 v2, 1, v10, vcc
	v_cndmask_b32_e32 v7, 0, v11, vcc
	v_mul_lo_u32 v5, v2, v5
	v_mad_u64_u32 v[2:3], s[30:31], v2, v4, 0
	v_mul_lo_u32 v4, v7, v4
	v_add3_u32 v3, v3, v5, v4
	v_and_b32_e32 v4, 1, v8
	v_cmp_eq_u32_e32 vcc, 1, v4
	v_and_b32_e32 v4, 1, v6
	v_cmp_eq_u32_e64 s[30:31], 1, v4
	s_or_b64 s[30:31], vcc, s[30:31]
	v_mov_b64_e32 v[4:5], v[2:3]
	v_cndmask_b32_e64 v8, 0, 1, s[30:31]
.LBB418_101:
	s_or_b64 exec, exec, s[34:35]
	v_or_b32_e32 v6, 63, v0
	v_lshrrev_b32_e32 v10, 6, v0
	v_cmp_eq_u32_e32 vcc, v6, v0
	s_and_saveexec_b64 s[30:31], vcc
	s_cbranch_execz .LBB418_103
; %bb.102:
	v_lshlrev_b32_e32 v6, 4, v10
	ds_write_b64 v6, v[4:5]
	ds_write_b8 v6, v8 offset:8
.LBB418_103:
	s_or_b64 exec, exec, s[30:31]
	v_cmp_gt_u32_e32 vcc, 4, v0
	s_waitcnt lgkmcnt(0)
	s_barrier
	s_and_saveexec_b64 s[34:35], vcc
	s_cbranch_execz .LBB418_109
; %bb.104:
	v_lshlrev_b32_e32 v11, 4, v0
	ds_read_b64 v[4:5], v11
	ds_read_b32 v12, v11 offset:8
	v_and_b32_e32 v13, 3, v9
	v_cmp_ne_u32_e32 vcc, 0, v13
	s_waitcnt lgkmcnt(1)
	v_mov_b32_dpp v17, v4 row_shr:1 row_mask:0xf bank_mask:0xf
	v_mov_b32_dpp v18, v5 row_shr:1 row_mask:0xf bank_mask:0xf
	s_waitcnt lgkmcnt(0)
	v_mov_b32_dpp v16, v12 row_shr:1 row_mask:0xf bank_mask:0xf
	v_mov_b32_e32 v15, v12
	v_mov_b32_e32 v14, v12
	;; [unrolled: 1-line block ×4, first 2 shown]
	s_and_saveexec_b64 s[30:31], vcc
	s_cbranch_execz .LBB418_106
; %bb.105:
	v_mov_b32_e32 v6, 0
	v_cmp_eq_u16_sdwa vcc, v12, v6 src0_sel:BYTE_0 src1_sel:DWORD
	s_nop 1
	v_cndmask_b32_e32 v6, 1, v17, vcc
	v_cndmask_b32_e32 v14, 0, v18, vcc
	v_mul_lo_u32 v5, v6, v5
	v_mad_u64_u32 v[6:7], s[44:45], v6, v4, 0
	v_mul_lo_u32 v4, v14, v4
	v_add3_u32 v7, v7, v5, v4
	v_or_b32_e32 v4, v16, v12
	v_and_b32_e32 v14, 1, v4
	s_movk_i32 s44, 0xff00
	v_and_b32_e32 v15, 1, v4
	v_and_or_b32 v12, v12, s44, v14
	v_mov_b64_e32 v[4:5], v[6:7]
.LBB418_106:
	s_or_b64 exec, exec, s[30:31]
	v_mov_b32_dpp v16, v6 row_shr:2 row_mask:0xf bank_mask:0xf
	v_mov_b32_dpp v7, v7 row_shr:2 row_mask:0xf bank_mask:0xf
	;; [unrolled: 1-line block ×3, first 2 shown]
	v_cmp_lt_u32_e32 vcc, 1, v13
	s_and_saveexec_b64 s[44:45], vcc
	s_cbranch_execz .LBB418_108
; %bb.107:
	v_mov_b32_e32 v12, 0
	v_cmp_eq_u16_sdwa vcc, v14, v12 src0_sel:BYTE_0 src1_sel:DWORD
	s_nop 1
	v_cndmask_b32_e32 v12, 1, v16, vcc
	v_cndmask_b32_e32 v7, 0, v7, vcc
	v_mul_lo_u32 v5, v12, v5
	v_mad_u64_u32 v[12:13], s[30:31], v12, v4, 0
	v_mul_lo_u32 v4, v7, v4
	v_add3_u32 v13, v13, v5, v4
	v_and_b32_e32 v4, 1, v14
	v_cmp_eq_u32_e32 vcc, 1, v4
	v_and_b32_e32 v4, 1, v6
	v_cmp_eq_u32_e64 s[30:31], 1, v4
	s_or_b64 s[30:31], vcc, s[30:31]
	v_mov_b64_e32 v[4:5], v[12:13]
	v_cndmask_b32_e64 v15, 0, 1, s[30:31]
.LBB418_108:
	s_or_b64 exec, exec, s[44:45]
	ds_write_b64 v11, v[4:5]
	ds_write_b8 v11, v15 offset:8
.LBB418_109:
	s_or_b64 exec, exec, s[34:35]
	v_cmp_gt_u32_e32 vcc, 64, v0
	v_cmp_lt_u32_e64 s[30:31], 63, v0
	v_mov_b32_e32 v18, 0
	v_mov_b64_e32 v[6:7], 0
	s_waitcnt lgkmcnt(0)
	s_barrier
	s_and_saveexec_b64 s[34:35], s[30:31]
	s_cbranch_execz .LBB418_111
; %bb.110:
	v_lshl_add_u32 v4, v10, 4, -16
	ds_read_b64 v[6:7], v4
	ds_read_u8 v18, v4 offset:8
	v_cmp_eq_u16_e64 s[30:31], 0, v8
	s_waitcnt lgkmcnt(1)
	s_nop 0
	v_cndmask_b32_e64 v4, 1, v6, s[30:31]
	v_cndmask_b32_e64 v5, 0, v7, s[30:31]
	v_mul_lo_u32 v5, v5, v2
	v_mul_lo_u32 v10, v4, v3
	v_mad_u64_u32 v[2:3], s[30:31], v4, v2, 0
	s_waitcnt lgkmcnt(0)
	v_or_b32_e32 v4, v8, v18
	v_add3_u32 v3, v3, v10, v5
	v_and_b32_e32 v8, 1, v4
.LBB418_111:
	s_or_b64 exec, exec, s[34:35]
	v_add_u32_e32 v4, -1, v9
	v_and_b32_e32 v5, 64, v9
	v_cmp_lt_i32_e64 s[30:31], v4, v5
	s_nop 1
	v_cndmask_b32_e64 v4, v4, v9, s[30:31]
	v_lshlrev_b32_e32 v4, 2, v4
	ds_bpermute_b32 v19, v4, v2
	v_and_b32_e32 v2, 0xffff, v8
	ds_bpermute_b32 v20, v4, v3
	ds_bpermute_b32 v21, v4, v2
	v_cmp_eq_u32_e64 s[30:31], 0, v9
	s_and_saveexec_b64 s[44:45], vcc
	s_cbranch_execz .LBB418_154
; %bb.112:
	v_mov_b32_e32 v11, 0
	ds_read2_b64 v[2:5], v11 offset0:6 offset1:7
	s_and_saveexec_b64 s[34:35], s[30:31]
	s_cbranch_execz .LBB418_114
; %bb.113:
	s_add_i32 s48, s43, 64
	s_mov_b32 s49, 0
	s_lshl_b64 s[52:53], s[48:49], 4
	s_add_u32 s52, s36, s52
	s_addc_u32 s53, s37, s53
	s_waitcnt lgkmcnt(0)
	global_store_dword v11, v2, s[52:53] sc1
	global_store_dword v11, v3, s[52:53] offset:4 sc1
	global_store_dword v11, v4, s[52:53] offset:8 sc1
	;; [unrolled: 1-line block ×3, first 2 shown]
	v_mov_b32_e32 v5, s48
	v_mov_b32_e32 v8, 1
	s_waitcnt vmcnt(0)
	global_store_byte v5, v8, s[40:41] sc1
.LBB418_114:
	s_or_b64 exec, exec, s[34:35]
	v_xad_u32 v8, v9, -1, s43
	v_add_u32_e32 v10, 64, v8
	s_waitcnt lgkmcnt(0)
	global_load_ubyte v5, v10, s[40:41] sc1
	s_waitcnt vmcnt(0)
	v_cmp_eq_u16_e32 vcc, 0, v5
	s_and_saveexec_b64 s[34:35], vcc
	s_cbranch_execz .LBB418_118
; %bb.115:
	v_lshl_add_u64 v[12:13], s[40:41], 0, v[10:11]
	s_mov_b64 s[48:49], 0
.LBB418_116:                            ; =>This Inner Loop Header: Depth=1
	global_load_ubyte v5, v[12:13], off sc1
	s_waitcnt vmcnt(0)
	v_cmp_ne_u16_e32 vcc, 0, v5
	s_or_b64 s[48:49], vcc, s[48:49]
	s_andn2_b64 exec, exec, s[48:49]
	s_cbranch_execnz .LBB418_116
; %bb.117:
	s_or_b64 exec, exec, s[48:49]
.LBB418_118:
	s_or_b64 exec, exec, s[34:35]
	v_mov_b32_e32 v12, s39
	v_mov_b32_e32 v13, s37
	v_cmp_eq_u16_e32 vcc, 1, v5
	v_mov_b32_e32 v14, s36
	s_waitcnt vmcnt(0)
	v_cndmask_b32_e32 v13, v12, v13, vcc
	v_mov_b32_e32 v12, s38
	v_cndmask_b32_e32 v12, v12, v14, vcc
	v_lshl_add_u64 v[10:11], v[10:11], 4, v[12:13]
	global_load_dword v12, v[10:11], off sc1
	global_load_dword v13, v[10:11], off offset:4 sc1
	global_load_dword v16, v[10:11], off offset:8 sc1
	s_nop 0
	global_load_dword v10, v[10:11], off offset:12 sc1
	v_cmp_eq_u16_e32 vcc, 2, v5
	s_waitcnt vmcnt(0)
	v_lshlrev_b64 v[10:11], v9, -1
	v_and_b32_e32 v22, 63, v9
	v_and_b32_e32 v14, vcc_hi, v11
	v_and_b32_e32 v15, vcc_lo, v10
	v_cmp_ne_u32_e32 vcc, 63, v22
	v_or_b32_e32 v14, 0x80000000, v14
	v_ffbl_b32_e32 v14, v14
	v_addc_co_u32_e32 v17, vcc, 0, v9, vcc
	v_lshlrev_b32_e32 v23, 2, v17
	v_add_u32_e32 v14, 32, v14
	v_ffbl_b32_e32 v15, v15
	v_min_u32_e32 v17, v15, v14
	v_cmp_lt_u32_e32 vcc, v22, v17
	ds_bpermute_b32 v25, v23, v12
	ds_bpermute_b32 v26, v23, v13
	v_and_b32_e32 v66, 0xff, v16
	ds_bpermute_b32 v24, v23, v66
	v_mov_b64_e32 v[14:15], v[12:13]
	s_and_saveexec_b64 s[34:35], vcc
	s_cbranch_execz .LBB418_120
; %bb.119:
	v_mov_b32_e32 v14, 0
	v_cmp_eq_u16_sdwa vcc, v16, v14 src0_sel:BYTE_0 src1_sel:DWORD
	s_waitcnt lgkmcnt(2)
	s_nop 0
	v_cndmask_b32_e32 v14, 1, v25, vcc
	s_waitcnt lgkmcnt(1)
	v_cndmask_b32_e32 v25, 0, v26, vcc
	v_mul_lo_u32 v13, v14, v13
	v_mad_u64_u32 v[14:15], s[48:49], v14, v12, 0
	v_mul_lo_u32 v12, v25, v12
	v_add3_u32 v15, v15, v13, v12
	s_waitcnt lgkmcnt(0)
	v_or_b32_e32 v12, v24, v16
	v_and_b32_e32 v16, 1, v12
	v_and_b32_e32 v66, 1, v12
	v_mov_b32_e32 v13, v15
	v_mov_b32_e32 v12, v14
.LBB418_120:
	s_or_b64 exec, exec, s[34:35]
	v_cmp_gt_u32_e32 vcc, 62, v22
	s_waitcnt lgkmcnt(2)
	v_add_u32_e32 v25, 2, v22
	s_waitcnt lgkmcnt(0)
	v_cndmask_b32_e64 v24, 0, 1, vcc
	v_lshlrev_b32_e32 v24, 1, v24
	v_add_lshl_u32 v24, v24, v9, 2
	ds_bpermute_b32 v27, v24, v12
	ds_bpermute_b32 v32, v24, v13
	ds_bpermute_b32 v26, v24, v66
	v_cmp_le_u32_e32 vcc, v25, v17
	s_and_saveexec_b64 s[48:49], vcc
	s_cbranch_execz .LBB418_122
; %bb.121:
	v_mov_b32_e32 v12, 0
	v_cmp_eq_u16_sdwa vcc, v16, v12 src0_sel:BYTE_0 src1_sel:DWORD
	s_waitcnt lgkmcnt(2)
	s_nop 0
	v_cndmask_b32_e32 v12, 1, v27, vcc
	s_waitcnt lgkmcnt(1)
	v_cndmask_b32_e32 v27, 0, v32, vcc
	v_mul_lo_u32 v15, v12, v15
	v_mad_u64_u32 v[12:13], s[34:35], v12, v14, 0
	v_mul_lo_u32 v14, v27, v14
	v_add3_u32 v13, v13, v15, v14
	v_and_b32_e32 v14, 1, v16
	v_cmp_eq_u32_e32 vcc, 1, v14
	s_waitcnt lgkmcnt(0)
	v_and_b32_e32 v14, 1, v26
	v_cmp_eq_u32_e64 s[34:35], 1, v14
	s_or_b64 s[34:35], vcc, s[34:35]
	v_mov_b64_e32 v[14:15], v[12:13]
	v_cndmask_b32_e64 v16, 0, 1, s[34:35]
	v_cndmask_b32_e64 v66, 0, 1, s[34:35]
.LBB418_122:
	s_or_b64 exec, exec, s[48:49]
	v_cmp_gt_u32_e32 vcc, 60, v22
	s_waitcnt lgkmcnt(2)
	v_add_u32_e32 v27, 4, v22
	s_waitcnt lgkmcnt(0)
	v_cndmask_b32_e64 v26, 0, 1, vcc
	v_lshlrev_b32_e32 v26, 2, v26
	v_add_lshl_u32 v26, v26, v9, 2
	ds_bpermute_b32 v33, v26, v12
	ds_bpermute_b32 v62, v26, v13
	ds_bpermute_b32 v32, v26, v66
	v_cmp_le_u32_e32 vcc, v27, v17
	s_and_saveexec_b64 s[48:49], vcc
	s_cbranch_execz .LBB418_124
; %bb.123:
	v_mov_b32_e32 v12, 0
	v_cmp_eq_u16_sdwa vcc, v16, v12 src0_sel:BYTE_0 src1_sel:DWORD
	s_waitcnt lgkmcnt(2)
	s_nop 0
	v_cndmask_b32_e32 v12, 1, v33, vcc
	s_waitcnt lgkmcnt(1)
	v_cndmask_b32_e32 v33, 0, v62, vcc
	v_mul_lo_u32 v15, v12, v15
	v_mad_u64_u32 v[12:13], s[34:35], v12, v14, 0
	v_mul_lo_u32 v14, v33, v14
	v_add3_u32 v13, v13, v15, v14
	v_and_b32_e32 v14, 1, v16
	v_cmp_eq_u32_e32 vcc, 1, v14
	s_waitcnt lgkmcnt(0)
	v_and_b32_e32 v14, 1, v32
	v_cmp_eq_u32_e64 s[34:35], 1, v14
	s_or_b64 s[34:35], vcc, s[34:35]
	v_mov_b64_e32 v[14:15], v[12:13]
	v_cndmask_b32_e64 v16, 0, 1, s[34:35]
	v_cndmask_b32_e64 v66, 0, 1, s[34:35]
.LBB418_124:
	;; [unrolled: 36-line block ×4, first 2 shown]
	s_or_b64 exec, exec, s[48:49]
	v_cmp_gt_u32_e32 vcc, 32, v22
	s_waitcnt lgkmcnt(2)
	v_add_u32_e32 v80, 32, v22
	s_waitcnt lgkmcnt(0)
	v_cndmask_b32_e64 v67, 0, 1, vcc
	v_lshlrev_b32_e32 v67, 5, v67
	v_add_lshl_u32 v67, v67, v9, 2
	ds_bpermute_b32 v12, v67, v12
	ds_bpermute_b32 v13, v67, v13
	;; [unrolled: 1-line block ×3, first 2 shown]
	v_cmp_le_u32_e32 vcc, v80, v17
	s_and_saveexec_b64 s[48:49], vcc
	s_cbranch_execz .LBB418_130
; %bb.129:
	v_mov_b32_e32 v17, 0
	v_cmp_eq_u16_sdwa vcc, v16, v17 src0_sel:BYTE_0 src1_sel:DWORD
	s_waitcnt lgkmcnt(0)
	v_and_b32_e32 v9, 1, v9
	v_cndmask_b32_e32 v12, 1, v12, vcc
	v_cndmask_b32_e32 v17, 0, v13, vcc
	v_mul_lo_u32 v15, v12, v15
	v_mad_u64_u32 v[12:13], s[34:35], v12, v14, 0
	v_mul_lo_u32 v14, v17, v14
	v_add3_u32 v13, v13, v15, v14
	v_and_b32_e32 v14, 1, v16
	v_cmp_eq_u32_e32 vcc, 1, v14
	v_cmp_eq_u32_e64 s[34:35], 1, v9
	s_or_b64 s[34:35], vcc, s[34:35]
	v_mov_b64_e32 v[14:15], v[12:13]
	v_cndmask_b32_e64 v16, 0, 1, s[34:35]
.LBB418_130:
	s_or_b64 exec, exec, s[48:49]
	s_waitcnt lgkmcnt(0)
	v_mov_b32_e32 v9, 0
	v_mov_b32_e32 v81, 2
	s_branch .LBB418_132
.LBB418_131:                            ;   in Loop: Header=BB418_132 Depth=1
	s_or_b64 exec, exec, s[52:53]
	v_cmp_eq_u16_sdwa vcc, v66, v9 src0_sel:BYTE_0 src1_sel:DWORD
	v_subrev_u32_e32 v8, 64, v8
	s_waitcnt lgkmcnt(0)
	v_cndmask_b32_e32 v14, 1, v16, vcc
	v_cndmask_b32_e32 v15, 0, v17, vcc
	v_mul_lo_u32 v16, v15, v12
	v_mul_lo_u32 v17, v14, v13
	v_mad_u64_u32 v[14:15], s[34:35], v14, v12, 0
	v_add3_u32 v15, v15, v17, v16
	v_and_b32_e32 v16, 1, v66
	v_cmp_eq_u32_e32 vcc, 1, v16
	s_or_b64 s[34:35], vcc, s[48:49]
	v_cndmask_b32_e64 v16, 0, 1, s[34:35]
.LBB418_132:                            ; =>This Loop Header: Depth=1
                                        ;     Child Loop BB418_135 Depth 2
	v_cmp_ne_u16_sdwa s[34:35], v5, v81 src0_sel:BYTE_0 src1_sel:DWORD
	v_mov_b32_e32 v66, v16
	v_mov_b64_e32 v[12:13], v[14:15]
	v_cndmask_b32_e64 v5, 0, 1, s[34:35]
	;;#ASMSTART
	;;#ASMEND
	s_nop 0
	v_cmp_ne_u32_e32 vcc, 0, v5
	s_cmp_lg_u64 vcc, exec
	s_cbranch_scc1 .LBB418_149
; %bb.133:                              ;   in Loop: Header=BB418_132 Depth=1
	global_load_ubyte v5, v8, s[40:41] sc1
	s_waitcnt vmcnt(0)
	v_cmp_eq_u16_e32 vcc, 0, v5
	s_and_saveexec_b64 s[34:35], vcc
	s_cbranch_execz .LBB418_137
; %bb.134:                              ;   in Loop: Header=BB418_132 Depth=1
	v_lshl_add_u64 v[14:15], s[40:41], 0, v[8:9]
	s_mov_b64 s[48:49], 0
.LBB418_135:                            ;   Parent Loop BB418_132 Depth=1
                                        ; =>  This Inner Loop Header: Depth=2
	global_load_ubyte v5, v[14:15], off sc1
	s_waitcnt vmcnt(0)
	v_cmp_ne_u16_e32 vcc, 0, v5
	s_or_b64 s[48:49], vcc, s[48:49]
	s_andn2_b64 exec, exec, s[48:49]
	s_cbranch_execnz .LBB418_135
; %bb.136:                              ;   in Loop: Header=BB418_132 Depth=1
	s_or_b64 exec, exec, s[48:49]
.LBB418_137:                            ;   in Loop: Header=BB418_132 Depth=1
	s_or_b64 exec, exec, s[34:35]
	v_mov_b32_e32 v14, s39
	v_mov_b32_e32 v15, s37
	v_cmp_eq_u16_e32 vcc, 1, v5
	v_mov_b32_e32 v16, s36
	s_waitcnt vmcnt(0)
	v_cndmask_b32_e32 v15, v14, v15, vcc
	v_mov_b32_e32 v14, s38
	v_cndmask_b32_e32 v14, v14, v16, vcc
	v_lshl_add_u64 v[16:17], v[8:9], 4, v[14:15]
	global_load_dword v14, v[16:17], off sc1
	global_load_dword v15, v[16:17], off offset:4 sc1
	global_load_dword v82, v[16:17], off offset:8 sc1
	s_nop 0
	global_load_dword v16, v[16:17], off offset:12 sc1
	v_cmp_eq_u16_e32 vcc, 2, v5
	s_waitcnt vmcnt(3)
	ds_bpermute_b32 v86, v23, v14
	s_waitcnt vmcnt(0)
	v_and_b32_e32 v16, vcc_hi, v11
	v_and_b32_e32 v84, 0xff, v82
	v_or_b32_e32 v16, 0x80000000, v16
	ds_bpermute_b32 v87, v23, v15
	ds_bpermute_b32 v85, v23, v84
	v_and_b32_e32 v17, vcc_lo, v10
	v_ffbl_b32_e32 v16, v16
	v_add_u32_e32 v16, 32, v16
	v_ffbl_b32_e32 v17, v17
	v_min_u32_e32 v83, v17, v16
	v_cmp_lt_u32_e32 vcc, v22, v83
	v_mov_b64_e32 v[16:17], v[14:15]
	s_and_saveexec_b64 s[34:35], vcc
	s_cbranch_execz .LBB418_139
; %bb.138:                              ;   in Loop: Header=BB418_132 Depth=1
	v_cmp_eq_u16_sdwa vcc, v82, v9 src0_sel:BYTE_0 src1_sel:DWORD
	s_waitcnt lgkmcnt(2)
	s_nop 0
	v_cndmask_b32_e32 v16, 1, v86, vcc
	s_waitcnt lgkmcnt(1)
	v_cndmask_b32_e32 v84, 0, v87, vcc
	v_mul_lo_u32 v15, v16, v15
	v_mad_u64_u32 v[16:17], s[48:49], v16, v14, 0
	v_mul_lo_u32 v14, v84, v14
	v_add3_u32 v17, v17, v15, v14
	s_waitcnt lgkmcnt(0)
	v_or_b32_e32 v14, v85, v82
	v_and_b32_e32 v82, 1, v14
	v_and_b32_e32 v84, 1, v14
	v_mov_b32_e32 v15, v17
	v_mov_b32_e32 v14, v16
.LBB418_139:                            ;   in Loop: Header=BB418_132 Depth=1
	s_or_b64 exec, exec, s[34:35]
	s_waitcnt lgkmcnt(2)
	ds_bpermute_b32 v86, v24, v14
	s_waitcnt lgkmcnt(2)
	ds_bpermute_b32 v87, v24, v15
	;; [unrolled: 2-line block ×3, first 2 shown]
	v_and_b32_e32 v88, 1, v82
	v_cmp_le_u32_e32 vcc, v25, v83
	v_cmp_eq_u32_e64 s[48:49], 1, v88
	s_and_saveexec_b64 s[34:35], vcc
	s_cbranch_execz .LBB418_141
; %bb.140:                              ;   in Loop: Header=BB418_132 Depth=1
	v_cmp_eq_u16_sdwa vcc, v82, v9 src0_sel:BYTE_0 src1_sel:DWORD
	s_waitcnt lgkmcnt(2)
	s_nop 0
	v_cndmask_b32_e32 v14, 1, v86, vcc
	s_waitcnt lgkmcnt(1)
	v_cndmask_b32_e32 v82, 0, v87, vcc
	v_mul_lo_u32 v17, v14, v17
	v_mad_u64_u32 v[14:15], s[52:53], v14, v16, 0
	v_mul_lo_u32 v16, v82, v16
	v_add3_u32 v15, v15, v17, v16
	s_waitcnt lgkmcnt(0)
	v_and_b32_e32 v16, 1, v85
	v_cmp_eq_u32_e32 vcc, 1, v16
	s_or_b64 s[52:53], s[48:49], vcc
	v_cndmask_b32_e64 v82, 0, 1, s[52:53]
	v_cndmask_b32_e64 v84, 0, 1, s[52:53]
	s_andn2_b64 s[48:49], s[48:49], exec
	s_and_b64 s[52:53], s[52:53], exec
	s_or_b64 s[48:49], s[48:49], s[52:53]
	v_mov_b64_e32 v[16:17], v[14:15]
.LBB418_141:                            ;   in Loop: Header=BB418_132 Depth=1
	s_or_b64 exec, exec, s[34:35]
	s_waitcnt lgkmcnt(2)
	ds_bpermute_b32 v86, v26, v14
	s_waitcnt lgkmcnt(2)
	ds_bpermute_b32 v87, v26, v15
	s_waitcnt lgkmcnt(2)
	ds_bpermute_b32 v85, v26, v84
	v_cmp_le_u32_e32 vcc, v27, v83
	s_and_saveexec_b64 s[52:53], vcc
	s_cbranch_execz .LBB418_143
; %bb.142:                              ;   in Loop: Header=BB418_132 Depth=1
	v_cmp_eq_u16_sdwa vcc, v82, v9 src0_sel:BYTE_0 src1_sel:DWORD
	s_andn2_b64 s[48:49], s[48:49], exec
	s_waitcnt lgkmcnt(2)
	v_cndmask_b32_e32 v14, 1, v86, vcc
	s_waitcnt lgkmcnt(1)
	v_cndmask_b32_e32 v84, 0, v87, vcc
	v_mul_lo_u32 v17, v14, v17
	v_mad_u64_u32 v[14:15], s[34:35], v14, v16, 0
	v_mul_lo_u32 v16, v84, v16
	v_add3_u32 v15, v15, v17, v16
	v_and_b32_e32 v16, 1, v82
	v_cmp_eq_u32_e32 vcc, 1, v16
	s_waitcnt lgkmcnt(0)
	v_and_b32_e32 v16, 1, v85
	v_cmp_eq_u32_e64 s[34:35], 1, v16
	s_or_b64 s[34:35], vcc, s[34:35]
	v_mov_b64_e32 v[16:17], v[14:15]
	v_cndmask_b32_e64 v82, 0, 1, s[34:35]
	v_cndmask_b32_e64 v84, 0, 1, s[34:35]
	s_and_b64 s[34:35], s[34:35], exec
	s_or_b64 s[48:49], s[48:49], s[34:35]
.LBB418_143:                            ;   in Loop: Header=BB418_132 Depth=1
	s_or_b64 exec, exec, s[52:53]
	s_waitcnt lgkmcnt(2)
	ds_bpermute_b32 v86, v32, v14
	s_waitcnt lgkmcnt(2)
	ds_bpermute_b32 v87, v32, v15
	s_waitcnt lgkmcnt(2)
	ds_bpermute_b32 v85, v32, v84
	v_cmp_le_u32_e32 vcc, v33, v83
	s_and_saveexec_b64 s[52:53], vcc
	s_cbranch_execz .LBB418_145
; %bb.144:                              ;   in Loop: Header=BB418_132 Depth=1
	v_cmp_eq_u16_sdwa vcc, v82, v9 src0_sel:BYTE_0 src1_sel:DWORD
	s_andn2_b64 s[48:49], s[48:49], exec
	s_waitcnt lgkmcnt(2)
	v_cndmask_b32_e32 v14, 1, v86, vcc
	s_waitcnt lgkmcnt(1)
	v_cndmask_b32_e32 v84, 0, v87, vcc
	v_mul_lo_u32 v17, v14, v17
	v_mad_u64_u32 v[14:15], s[34:35], v14, v16, 0
	v_mul_lo_u32 v16, v84, v16
	v_add3_u32 v15, v15, v17, v16
	v_and_b32_e32 v16, 1, v82
	v_cmp_eq_u32_e32 vcc, 1, v16
	s_waitcnt lgkmcnt(0)
	v_and_b32_e32 v16, 1, v85
	v_cmp_eq_u32_e64 s[34:35], 1, v16
	s_or_b64 s[34:35], vcc, s[34:35]
	v_mov_b64_e32 v[16:17], v[14:15]
	v_cndmask_b32_e64 v82, 0, 1, s[34:35]
	v_cndmask_b32_e64 v84, 0, 1, s[34:35]
	s_and_b64 s[34:35], s[34:35], exec
	s_or_b64 s[48:49], s[48:49], s[34:35]
.LBB418_145:                            ;   in Loop: Header=BB418_132 Depth=1
	;; [unrolled: 33-line block ×3, first 2 shown]
	s_or_b64 exec, exec, s[52:53]
	s_waitcnt lgkmcnt(0)
	ds_bpermute_b32 v85, v67, v14
	ds_bpermute_b32 v15, v67, v15
	;; [unrolled: 1-line block ×3, first 2 shown]
	v_cmp_le_u32_e32 vcc, v80, v83
	s_and_saveexec_b64 s[52:53], vcc
	s_cbranch_execz .LBB418_131
; %bb.148:                              ;   in Loop: Header=BB418_132 Depth=1
	v_cmp_eq_u16_sdwa vcc, v82, v9 src0_sel:BYTE_0 src1_sel:DWORD
	s_waitcnt lgkmcnt(0)
	v_and_b32_e32 v14, 1, v14
	s_andn2_b64 s[48:49], s[48:49], exec
	v_cndmask_b32_e32 v83, 1, v85, vcc
	v_cndmask_b32_e32 v15, 0, v15, vcc
	v_mul_lo_u32 v17, v83, v17
	v_mad_u64_u32 v[84:85], s[34:35], v83, v16, 0
	v_mul_lo_u32 v15, v15, v16
	v_add3_u32 v85, v85, v17, v15
	v_and_b32_e32 v15, 1, v82
	v_cmp_eq_u32_e32 vcc, 1, v15
	v_cmp_eq_u32_e64 s[34:35], 1, v14
	s_or_b64 s[34:35], vcc, s[34:35]
	s_and_b64 s[34:35], s[34:35], exec
	s_or_b64 s[48:49], s[48:49], s[34:35]
	v_mov_b64_e32 v[16:17], v[84:85]
	s_branch .LBB418_131
.LBB418_149:                            ;   in Loop: Header=BB418_132 Depth=1
                                        ; implicit-def: $vgpr16
                                        ; implicit-def: $vgpr14_vgpr15
                                        ; implicit-def: $vgpr5
	s_cbranch_execz .LBB418_132
; %bb.150:
	s_and_saveexec_b64 s[34:35], s[30:31]
	s_cbranch_execz .LBB418_152
; %bb.151:
	v_mov_b32_e32 v5, 0
	v_cmp_eq_u32_sdwa vcc, v4, v5 src0_sel:BYTE_0 src1_sel:DWORD
	s_mov_b32 s37, 0
	s_add_i32 s36, s43, 64
	v_cndmask_b32_e32 v8, 1, v12, vcc
	v_cndmask_b32_e32 v9, 0, v13, vcc
	v_mul_lo_u32 v9, v9, v2
	v_mul_lo_u32 v10, v8, v3
	v_mad_u64_u32 v[2:3], s[48:49], v8, v2, 0
	s_lshl_b64 s[48:49], s[36:37], 4
	v_and_b32_e32 v4, 1, v4
	s_add_u32 s48, s38, s48
	v_add3_u32 v3, v3, v10, v9
	v_and_b32_e32 v8, 1, v66
	v_cmp_eq_u32_e32 vcc, 1, v4
	s_addc_u32 s49, s39, s49
	s_nop 0
	v_cndmask_b32_e64 v4, v8, 1, vcc
	global_store_dword v5, v2, s[48:49] sc1
	global_store_dword v5, v3, s[48:49] offset:4 sc1
	global_store_dword v5, v4, s[48:49] offset:8 sc1
	;; [unrolled: 1-line block ×3, first 2 shown]
	v_mov_b32_e32 v2, s36
	v_mov_b32_e32 v3, 2
	s_waitcnt vmcnt(0)
	global_store_byte v2, v3, s[40:41] sc1
.LBB418_152:
	s_or_b64 exec, exec, s[34:35]
	s_and_b64 exec, exec, s[2:3]
	s_cbranch_execz .LBB418_154
; %bb.153:
	v_mov_b32_e32 v2, 0
	ds_write_b64 v2, v[12:13] offset:48
	ds_write_b8 v2, v66 offset:56
.LBB418_154:
	s_or_b64 exec, exec, s[44:45]
	v_mov_b32_e32 v4, 0
	s_waitcnt lgkmcnt(0)
	s_barrier
	ds_read_b64 v[2:3], v4 offset:48
	s_and_saveexec_b64 s[34:35], s[4:5]
	s_cbranch_execz .LBB418_156
; %bb.155:
	v_cndmask_b32_e64 v5, v21, v18, s[30:31]
	v_cmp_eq_u16_sdwa vcc, v5, v4 src0_sel:BYTE_0 src1_sel:DWORD
	v_cndmask_b32_e64 v6, v19, v6, s[30:31]
	v_cndmask_b32_e64 v7, v20, v7, s[30:31]
	s_waitcnt lgkmcnt(0)
	v_cndmask_b32_e32 v2, 1, v2, vcc
	v_cndmask_b32_e32 v3, 0, v3, vcc
	v_mul_lo_u32 v5, v3, v6
	v_mul_lo_u32 v7, v2, v7
	v_mad_u64_u32 v[2:3], s[4:5], v2, v6, 0
	v_add3_u32 v3, v3, v7, v5
.LBB418_156:
	s_or_b64 exec, exec, s[34:35]
	v_cmp_eq_u16_sdwa vcc, v1, v4 src0_sel:BYTE_0 src1_sel:DWORD
	s_waitcnt lgkmcnt(0)
	s_nop 0
	v_cndmask_b32_e32 v4, 1, v2, vcc
	v_cndmask_b32_e32 v5, 0, v3, vcc
	v_mul_lo_u32 v6, v5, v56
	v_mul_lo_u32 v7, v4, v57
	v_mad_u64_u32 v[4:5], s[4:5], v4, v56, 0
	v_add3_u32 v5, v5, v7, v6
	v_cndmask_b32_e64 v6, 0, v5, s[28:29]
	v_cndmask_b32_e64 v7, 1, v4, s[28:29]
	v_mul_lo_u32 v8, v6, v50
	v_mul_lo_u32 v9, v7, v51
	v_mad_u64_u32 v[6:7], s[4:5], v7, v50, 0
	v_add3_u32 v7, v7, v9, v8
	v_cndmask_b32_e64 v8, 0, v7, s[26:27]
	v_cndmask_b32_e64 v9, 1, v6, s[26:27]
	;; [unrolled: 6-line block ×12, first 2 shown]
	s_branch .LBB418_197
.LBB418_157:
	s_or_b64 exec, exec, s[34:35]
                                        ; implicit-def: $vgpr66_vgpr67
	s_and_saveexec_b64 s[34:35], s[6:7]
	s_cbranch_execz .LBB418_37
.LBB418_158:
	v_mov_b32_e32 v57, 0
	v_lshl_add_u64 v[66:67], v[62:63], 0, v[56:57]
	flat_load_dwordx2 v[66:67], v[66:67] offset:2048
	s_or_b64 exec, exec, s[34:35]
                                        ; implicit-def: $vgpr68_vgpr69
	s_and_saveexec_b64 s[6:7], s[8:9]
	s_cbranch_execnz .LBB418_38
.LBB418_159:
	s_or_b64 exec, exec, s[6:7]
                                        ; implicit-def: $vgpr30_vgpr31
	s_and_saveexec_b64 s[6:7], s[10:11]
	s_cbranch_execz .LBB418_39
.LBB418_160:
	v_mov_b32_e32 v33, 0
	v_lshl_add_u64 v[30:31], v[62:63], 0, v[32:33]
	flat_load_dwordx2 v[30:31], v[30:31]
	s_or_b64 exec, exec, s[6:7]
                                        ; implicit-def: $vgpr32_vgpr33
	s_and_saveexec_b64 s[6:7], s[12:13]
	s_cbranch_execnz .LBB418_40
.LBB418_161:
	s_or_b64 exec, exec, s[6:7]
                                        ; implicit-def: $vgpr34_vgpr35
	s_and_saveexec_b64 s[6:7], s[14:15]
	s_cbranch_execz .LBB418_41
.LBB418_162:
	v_mov_b32_e32 v37, 0
	v_lshl_add_u64 v[34:35], v[62:63], 0, v[36:37]
	flat_load_dwordx2 v[34:35], v[34:35]
	s_or_b64 exec, exec, s[6:7]
                                        ; implicit-def: $vgpr36_vgpr37
	s_and_saveexec_b64 s[6:7], s[16:17]
	s_cbranch_execnz .LBB418_42
.LBB418_163:
	s_or_b64 exec, exec, s[6:7]
                                        ; implicit-def: $vgpr38_vgpr39
	s_and_saveexec_b64 s[6:7], s[18:19]
	s_cbranch_execz .LBB418_43
.LBB418_164:
	v_mov_b32_e32 v41, 0
	v_lshl_add_u64 v[38:39], v[62:63], 0, v[40:41]
	flat_load_dwordx2 v[38:39], v[38:39]
	s_or_b64 exec, exec, s[6:7]
                                        ; implicit-def: $vgpr40_vgpr41
	s_and_saveexec_b64 s[6:7], s[20:21]
	s_cbranch_execnz .LBB418_44
.LBB418_165:
	s_or_b64 exec, exec, s[6:7]
                                        ; implicit-def: $vgpr42_vgpr43
	s_and_saveexec_b64 s[6:7], s[22:23]
	s_cbranch_execz .LBB418_45
.LBB418_166:
	v_mov_b32_e32 v45, 0
	v_lshl_add_u64 v[42:43], v[62:63], 0, v[44:45]
	flat_load_dwordx2 v[42:43], v[42:43]
	s_or_b64 exec, exec, s[6:7]
                                        ; implicit-def: $vgpr44_vgpr45
	s_and_saveexec_b64 s[6:7], s[24:25]
	s_cbranch_execnz .LBB418_46
.LBB418_167:
	s_or_b64 exec, exec, s[6:7]
                                        ; implicit-def: $vgpr46_vgpr47
	s_and_saveexec_b64 s[6:7], s[26:27]
	s_cbranch_execz .LBB418_47
.LBB418_168:
	v_mov_b32_e32 v49, 0
	v_lshl_add_u64 v[46:47], v[62:63], 0, v[48:49]
	flat_load_dwordx2 v[46:47], v[46:47]
	s_or_b64 exec, exec, s[6:7]
                                        ; implicit-def: $vgpr48_vgpr49
	s_and_saveexec_b64 s[6:7], s[28:29]
	s_cbranch_execz .LBB418_49
	s_branch .LBB418_48
.LBB418_169:
                                        ; implicit-def: $vgpr2_vgpr3
                                        ; implicit-def: $vgpr62_vgpr63
                                        ; implicit-def: $vgpr26_vgpr27
                                        ; implicit-def: $vgpr24_vgpr25
                                        ; implicit-def: $vgpr20_vgpr21
                                        ; implicit-def: $vgpr16_vgpr17
                                        ; implicit-def: $vgpr12_vgpr13
                                        ; implicit-def: $vgpr8_vgpr9
	s_cbranch_execz .LBB418_197
; %bb.170:
	s_cmp_lg_u64 s[58:59], 0
	s_cselect_b32 s5, s55, 0
	s_cselect_b32 s4, s54, 0
	s_cmp_eq_u64 s[4:5], 0
	v_mov_b64_e32 v[32:33], s[56:57]
	s_cbranch_scc1 .LBB418_172
; %bb.171:
	v_mov_b32_e32 v2, 0
	global_load_dwordx2 v[32:33], v2, s[4:5]
.LBB418_172:
	v_mov_b32_e32 v4, 0
	v_cmp_eq_u16_sdwa vcc, v68, v4 src0_sel:BYTE_0 src1_sel:DWORD
	v_mbcnt_hi_u32_b32 v8, -1, v64
	s_nop 0
	v_cndmask_b32_e32 v2, 1, v56, vcc
	v_cndmask_b32_e32 v3, 0, v57, vcc
	v_mul_lo_u32 v5, v3, v50
	v_mul_lo_u32 v6, v2, v51
	v_mad_u64_u32 v[2:3], s[4:5], v2, v50, 0
	v_add3_u32 v3, v3, v6, v5
	v_cmp_eq_u16_sdwa s[4:5], v69, v4 src0_sel:BYTE_0 src1_sel:DWORD
	s_nop 1
	v_cndmask_b32_e64 v3, 0, v3, s[4:5]
	v_cndmask_b32_e64 v2, 1, v2, s[4:5]
	v_mul_lo_u32 v5, v3, v52
	v_mul_lo_u32 v6, v2, v53
	v_mad_u64_u32 v[2:3], s[6:7], v2, v52, 0
	v_add3_u32 v3, v3, v6, v5
	v_cmp_eq_u16_sdwa s[6:7], v70, v4 src0_sel:BYTE_0 src1_sel:DWORD
	s_nop 1
	v_cndmask_b32_e64 v3, 0, v3, s[6:7]
	v_cndmask_b32_e64 v2, 1, v2, s[6:7]
	;; [unrolled: 8-line block ×11, first 2 shown]
	v_mul_lo_u32 v5, v3, v30
	v_mul_lo_u32 v6, v2, v31
	v_mad_u64_u32 v[2:3], s[26:27], v2, v30, 0
	v_add3_u32 v3, v3, v6, v5
	v_cmp_eq_u16_sdwa s[26:27], v61, v4 src0_sel:BYTE_0 src1_sel:DWORD
	v_and_b32_e32 v6, 15, v8
	v_cmp_ne_u32_e64 s[28:29], 0, v6
	v_cndmask_b32_e64 v3, 0, v3, s[26:27]
	v_cndmask_b32_e64 v2, 1, v2, s[26:27]
	v_mul_lo_u32 v4, v3, v28
	v_mul_lo_u32 v5, v2, v29
	v_mad_u64_u32 v[2:3], s[26:27], v2, v28, 0
	v_add3_u32 v3, v3, v5, v4
	v_or_b32_e32 v4, v65, v78
	v_or_b32_e32 v4, v4, v77
	;; [unrolled: 1-line block ×11, first 2 shown]
	v_and_b32_e32 v9, 1, v4
	v_cmp_eq_u32_e64 s[26:27], 1, v9
	v_mov_b32_dpp v11, v2 row_shr:1 row_mask:0xf bank_mask:0xf
	v_mov_b32_dpp v12, v3 row_shr:1 row_mask:0xf bank_mask:0xf
	;; [unrolled: 1-line block ×3, first 2 shown]
	v_mov_b32_e32 v5, v3
	v_mov_b32_e32 v4, v2
	;; [unrolled: 1-line block ×3, first 2 shown]
	s_and_saveexec_b64 s[30:31], s[28:29]
; %bb.173:
	v_cndmask_b32_e64 v4, v12, 0, s[26:27]
	v_cndmask_b32_e64 v5, v11, 1, s[26:27]
	v_mul_lo_u32 v4, v4, v2
	v_mul_lo_u32 v7, v5, v3
	v_mad_u64_u32 v[2:3], s[26:27], v5, v2, 0
	v_add3_u32 v3, v3, v7, v4
	v_and_b32_e32 v4, 1, v10
	v_or_b32_e32 v9, v4, v9
	v_and_b32_e32 v7, 0xffff, v9
	v_mov_b32_e32 v5, v3
	v_mov_b32_e32 v4, v2
; %bb.174:
	s_or_b64 exec, exec, s[30:31]
	s_nop 0
	v_mov_b32_dpp v11, v4 row_shr:2 row_mask:0xf bank_mask:0xf
	v_mov_b32_dpp v12, v5 row_shr:2 row_mask:0xf bank_mask:0xf
	v_mov_b32_dpp v10, v7 row_shr:2 row_mask:0xf bank_mask:0xf
	v_cmp_lt_u32_e64 s[26:27], 1, v6
	s_and_saveexec_b64 s[30:31], s[26:27]
	s_cbranch_execz .LBB418_176
; %bb.175:
	v_cmp_eq_u16_e64 s[26:27], 0, v9
	s_nop 1
	v_cndmask_b32_e64 v4, 1, v11, s[26:27]
	v_cndmask_b32_e64 v7, 0, v12, s[26:27]
	v_mul_lo_u32 v3, v4, v3
	v_mad_u64_u32 v[4:5], s[26:27], v4, v2, 0
	v_mul_lo_u32 v2, v7, v2
	v_add3_u32 v5, v5, v3, v2
	v_and_b32_e32 v2, 1, v9
	v_cmp_eq_u32_e64 s[26:27], 1, v2
	v_and_b32_e32 v2, 1, v10
	v_cmp_eq_u32_e64 s[28:29], 1, v2
	s_or_b64 s[26:27], s[26:27], s[28:29]
	v_cndmask_b32_e64 v9, 0, 1, s[26:27]
	v_cndmask_b32_e64 v7, 0, 1, s[26:27]
	v_mov_b64_e32 v[2:3], v[4:5]
.LBB418_176:
	s_or_b64 exec, exec, s[30:31]
	v_mov_b32_dpp v11, v4 row_shr:4 row_mask:0xf bank_mask:0xf
	v_mov_b32_dpp v12, v5 row_shr:4 row_mask:0xf bank_mask:0xf
	v_mov_b32_dpp v10, v7 row_shr:4 row_mask:0xf bank_mask:0xf
	v_cmp_lt_u32_e64 s[26:27], 3, v6
	s_and_saveexec_b64 s[30:31], s[26:27]
	s_cbranch_execz .LBB418_178
; %bb.177:
	v_cmp_eq_u16_e64 s[26:27], 0, v9
	s_nop 1
	v_cndmask_b32_e64 v4, 1, v11, s[26:27]
	v_cndmask_b32_e64 v7, 0, v12, s[26:27]
	v_mul_lo_u32 v3, v4, v3
	v_mad_u64_u32 v[4:5], s[26:27], v4, v2, 0
	v_mul_lo_u32 v2, v7, v2
	v_add3_u32 v5, v5, v3, v2
	v_and_b32_e32 v2, 1, v9
	v_cmp_eq_u32_e64 s[26:27], 1, v2
	v_and_b32_e32 v2, 1, v10
	v_cmp_eq_u32_e64 s[28:29], 1, v2
	s_or_b64 s[26:27], s[26:27], s[28:29]
	v_cndmask_b32_e64 v9, 0, 1, s[26:27]
	v_cndmask_b32_e64 v7, 0, 1, s[26:27]
	v_mov_b64_e32 v[2:3], v[4:5]
.LBB418_178:
	s_or_b64 exec, exec, s[30:31]
	;; [unrolled: 25-line block ×3, first 2 shown]
	v_and_b32_e32 v12, 16, v8
	v_mov_b32_dpp v10, v4 row_bcast:15 row_mask:0xf bank_mask:0xf
	v_mov_b32_dpp v11, v5 row_bcast:15 row_mask:0xf bank_mask:0xf
	v_mov_b32_dpp v6, v7 row_bcast:15 row_mask:0xf bank_mask:0xf
	v_cmp_ne_u32_e64 s[26:27], 0, v12
	s_and_saveexec_b64 s[30:31], s[26:27]
	s_cbranch_execz .LBB418_182
; %bb.181:
	v_cmp_eq_u16_e64 s[26:27], 0, v9
	s_nop 1
	v_cndmask_b32_e64 v4, 1, v10, s[26:27]
	v_cndmask_b32_e64 v7, 0, v11, s[26:27]
	v_mul_lo_u32 v3, v4, v3
	v_mad_u64_u32 v[4:5], s[26:27], v4, v2, 0
	v_mul_lo_u32 v2, v7, v2
	v_add3_u32 v5, v5, v3, v2
	v_and_b32_e32 v2, 1, v9
	v_cmp_eq_u32_e64 s[26:27], 1, v2
	v_and_b32_e32 v2, 1, v6
	v_cmp_eq_u32_e64 s[28:29], 1, v2
	s_or_b64 s[26:27], s[26:27], s[28:29]
	v_cndmask_b32_e64 v9, 0, 1, s[26:27]
	v_cndmask_b32_e64 v7, 0, 1, s[26:27]
	v_mov_b64_e32 v[2:3], v[4:5]
.LBB418_182:
	s_or_b64 exec, exec, s[30:31]
	v_mov_b32_dpp v6, v4 row_bcast:31 row_mask:0xf bank_mask:0xf
	v_mov_b32_dpp v5, v5 row_bcast:31 row_mask:0xf bank_mask:0xf
	;; [unrolled: 1-line block ×3, first 2 shown]
	v_cmp_lt_u32_e64 s[26:27], 31, v8
	s_and_saveexec_b64 s[30:31], s[26:27]
	s_cbranch_execz .LBB418_184
; %bb.183:
	v_cmp_eq_u16_e64 s[26:27], 0, v9
	s_nop 1
	v_cndmask_b32_e64 v6, 1, v6, s[26:27]
	v_cndmask_b32_e64 v5, 0, v5, s[26:27]
	v_mul_lo_u32 v3, v6, v3
	v_mad_u64_u32 v[6:7], s[26:27], v6, v2, 0
	v_mul_lo_u32 v2, v5, v2
	v_add3_u32 v7, v7, v3, v2
	v_and_b32_e32 v2, 1, v9
	v_cmp_eq_u32_e64 s[26:27], 1, v2
	v_and_b32_e32 v2, 1, v4
	v_cmp_eq_u32_e64 s[28:29], 1, v2
	s_or_b64 s[26:27], s[26:27], s[28:29]
	v_cndmask_b32_e64 v9, 0, 1, s[26:27]
	v_mov_b64_e32 v[2:3], v[6:7]
.LBB418_184:
	s_or_b64 exec, exec, s[30:31]
	v_or_b32_e32 v4, 63, v0
	v_lshrrev_b32_e32 v10, 6, v0
	v_cmp_eq_u32_e64 s[26:27], v4, v0
	s_and_saveexec_b64 s[28:29], s[26:27]
	s_cbranch_execz .LBB418_186
; %bb.185:
	v_lshlrev_b32_e32 v4, 4, v10
	ds_write_b64 v4, v[2:3]
	ds_write_b8 v4, v9 offset:8
.LBB418_186:
	s_or_b64 exec, exec, s[28:29]
	v_cmp_gt_u32_e64 s[26:27], 4, v0
	s_waitcnt lgkmcnt(0)
	s_barrier
	s_and_saveexec_b64 s[30:31], s[26:27]
	s_cbranch_execz .LBB418_192
; %bb.187:
	v_lshlrev_b32_e32 v11, 4, v0
	ds_read_b64 v[4:5], v11
	ds_read_b32 v12, v11 offset:8
	v_and_b32_e32 v13, 3, v8
	v_cmp_ne_u32_e64 s[26:27], 0, v13
	s_waitcnt lgkmcnt(1)
	v_mov_b32_dpp v17, v4 row_shr:1 row_mask:0xf bank_mask:0xf
	v_mov_b32_dpp v18, v5 row_shr:1 row_mask:0xf bank_mask:0xf
	s_waitcnt lgkmcnt(0)
	v_mov_b32_dpp v16, v12 row_shr:1 row_mask:0xf bank_mask:0xf
	v_mov_b32_e32 v15, v12
	v_mov_b32_e32 v14, v12
	;; [unrolled: 1-line block ×4, first 2 shown]
	s_and_saveexec_b64 s[28:29], s[26:27]
	s_cbranch_execz .LBB418_189
; %bb.188:
	v_mov_b32_e32 v6, 0
	v_cmp_eq_u16_sdwa s[26:27], v12, v6 src0_sel:BYTE_0 src1_sel:DWORD
	s_nop 1
	v_cndmask_b32_e64 v6, 1, v17, s[26:27]
	v_cndmask_b32_e64 v14, 0, v18, s[26:27]
	v_mul_lo_u32 v5, v6, v5
	v_mad_u64_u32 v[6:7], s[26:27], v6, v4, 0
	v_mul_lo_u32 v4, v14, v4
	v_add3_u32 v7, v7, v5, v4
	v_or_b32_e32 v4, v16, v12
	v_and_b32_e32 v14, 1, v4
	s_movk_i32 s26, 0xff00
	v_and_b32_e32 v15, 1, v4
	v_and_or_b32 v12, v12, s26, v14
	v_mov_b64_e32 v[4:5], v[6:7]
.LBB418_189:
	s_or_b64 exec, exec, s[28:29]
	v_mov_b32_dpp v16, v6 row_shr:2 row_mask:0xf bank_mask:0xf
	v_mov_b32_dpp v7, v7 row_shr:2 row_mask:0xf bank_mask:0xf
	;; [unrolled: 1-line block ×3, first 2 shown]
	v_cmp_lt_u32_e64 s[26:27], 1, v13
	s_and_saveexec_b64 s[34:35], s[26:27]
	s_cbranch_execz .LBB418_191
; %bb.190:
	v_mov_b32_e32 v12, 0
	v_cmp_eq_u16_sdwa s[26:27], v14, v12 src0_sel:BYTE_0 src1_sel:DWORD
	s_nop 1
	v_cndmask_b32_e64 v12, 1, v16, s[26:27]
	v_cndmask_b32_e64 v7, 0, v7, s[26:27]
	v_mul_lo_u32 v5, v12, v5
	v_mad_u64_u32 v[12:13], s[26:27], v12, v4, 0
	v_mul_lo_u32 v4, v7, v4
	v_add3_u32 v13, v13, v5, v4
	v_and_b32_e32 v4, 1, v14
	v_cmp_eq_u32_e64 s[26:27], 1, v4
	v_and_b32_e32 v4, 1, v6
	v_cmp_eq_u32_e64 s[28:29], 1, v4
	s_or_b64 s[26:27], s[26:27], s[28:29]
	v_cndmask_b32_e64 v15, 0, 1, s[26:27]
	v_mov_b64_e32 v[4:5], v[12:13]
.LBB418_191:
	s_or_b64 exec, exec, s[34:35]
	ds_write_b64 v11, v[4:5]
	ds_write_b8 v11, v15 offset:8
.LBB418_192:
	s_or_b64 exec, exec, s[30:31]
	v_cmp_lt_u32_e64 s[26:27], 63, v0
	s_waitcnt vmcnt(0)
	v_mov_b64_e32 v[4:5], v[32:33]
	s_waitcnt lgkmcnt(0)
	s_barrier
	s_and_saveexec_b64 s[28:29], s[26:27]
	s_cbranch_execz .LBB418_194
; %bb.193:
	v_lshl_add_u32 v4, v10, 4, -16
	ds_read_u8 v6, v4 offset:8
	ds_read_b64 v[4:5], v4
	s_waitcnt lgkmcnt(1)
	v_cmp_eq_u16_e64 s[26:27], 0, v6
	s_nop 1
	v_cndmask_b32_e64 v6, 1, v32, s[26:27]
	v_cndmask_b32_e64 v7, 0, v33, s[26:27]
	s_waitcnt lgkmcnt(0)
	v_mul_lo_u32 v10, v6, v5
	v_mul_lo_u32 v7, v7, v4
	v_mad_u64_u32 v[4:5], s[26:27], v6, v4, 0
	v_add3_u32 v5, v5, v10, v7
.LBB418_194:
	s_or_b64 exec, exec, s[28:29]
	v_cmp_eq_u16_e64 s[26:27], 0, v9
	v_mov_b32_e32 v28, 0
	s_nop 0
	v_cndmask_b32_e64 v6, 1, v4, s[26:27]
	v_cndmask_b32_e64 v7, 0, v5, s[26:27]
	v_mul_lo_u32 v7, v7, v2
	v_mul_lo_u32 v9, v6, v3
	v_mad_u64_u32 v[2:3], s[26:27], v6, v2, 0
	v_add3_u32 v3, v3, v9, v7
	v_add_u32_e32 v6, -1, v8
	v_and_b32_e32 v7, 64, v8
	v_cmp_lt_i32_e64 s[26:27], v6, v7
	s_nop 1
	v_cndmask_b32_e64 v6, v6, v8, s[26:27]
	v_lshlrev_b32_e32 v6, 2, v6
	ds_bpermute_b32 v3, v6, v3
	ds_bpermute_b32 v2, v6, v2
	v_cmp_eq_u32_e64 s[26:27], 0, v8
	s_waitcnt lgkmcnt(1)
	s_nop 0
	v_cndmask_b32_e64 v3, v3, v5, s[26:27]
	s_waitcnt lgkmcnt(0)
	v_cndmask_b32_e64 v2, v2, v4, s[26:27]
	v_cndmask_b32_e64 v4, v3, v33, s[2:3]
	;; [unrolled: 1-line block ×3, first 2 shown]
	v_cmp_eq_u16_sdwa s[26:27], v1, v28 src0_sel:BYTE_0 src1_sel:DWORD
	s_nop 1
	v_cndmask_b32_e64 v1, 0, v4, s[26:27]
	v_cndmask_b32_e64 v4, 1, v5, s[26:27]
	v_mul_lo_u32 v1, v1, v56
	v_mul_lo_u32 v6, v4, v57
	v_mad_u64_u32 v[4:5], s[26:27], v4, v56, 0
	v_add3_u32 v5, v5, v6, v1
	v_cndmask_b32_e32 v1, 0, v5, vcc
	v_cndmask_b32_e32 v6, 1, v4, vcc
	v_mul_lo_u32 v1, v1, v50
	v_mul_lo_u32 v8, v6, v51
	v_mad_u64_u32 v[6:7], s[26:27], v6, v50, 0
	v_add3_u32 v7, v7, v8, v1
	v_cndmask_b32_e64 v1, 0, v7, s[4:5]
	v_cndmask_b32_e64 v8, 1, v6, s[4:5]
	v_mul_lo_u32 v1, v1, v52
	v_mul_lo_u32 v10, v8, v53
	v_mad_u64_u32 v[8:9], s[4:5], v8, v52, 0
	v_add3_u32 v9, v9, v10, v1
	v_cndmask_b32_e64 v1, 0, v9, s[6:7]
	v_cndmask_b32_e64 v10, 1, v8, s[6:7]
	;; [unrolled: 6-line block ×11, first 2 shown]
	s_and_saveexec_b64 s[4:5], s[2:3]
	s_cbranch_execz .LBB418_196
; %bb.195:
	ds_read_u8 v1, v28 offset:56
	ds_read_b64 v[2:3], v28 offset:48
	s_waitcnt lgkmcnt(1)
	v_cmp_eq_u32_e32 vcc, 0, v1
	s_nop 1
	v_cndmask_b32_e32 v34, 1, v32, vcc
	v_cndmask_b32_e32 v29, 0, v33, vcc
	s_waitcnt lgkmcnt(0)
	v_mul_lo_u32 v3, v34, v3
	v_mul_hi_u32 v35, v34, v2
	v_mul_lo_u32 v29, v29, v2
	v_add_u32_e32 v3, v35, v3
	v_add_u32_e32 v3, v3, v29
	v_mul_lo_u32 v2, v34, v2
	global_store_dword v28, v2, s[38:39] offset:1024 sc1
	global_store_dword v28, v3, s[38:39] offset:1028 sc1
	;; [unrolled: 1-line block ×4, first 2 shown]
	v_mov_b32_e32 v1, 2
	v_mov_b64_e32 v[2:3], v[32:33]
	s_waitcnt vmcnt(0)
	global_store_byte v28, v1, s[40:41] offset:64 sc1
.LBB418_196:
	s_or_b64 exec, exec, s[4:5]
.LBB418_197:
	s_add_u32 s2, s50, s46
	v_mul_lo_u32 v1, v63, v30
	v_mul_lo_u32 v31, v62, v31
	v_mad_u64_u32 v[28:29], s[4:5], v62, v30, 0
	s_addc_u32 s3, s51, s47
	v_add3_u32 v29, v29, v31, v1
	v_mul_u32_u24_e32 v1, 14, v0
	v_lshl_add_u64 v[56:57], s[2:3], 0, v[54:55]
	s_and_b64 vcc, exec, s[0:1]
	v_lshlrev_b32_e32 v62, 3, v1
	s_cbranch_vccz .LBB418_225
; %bb.198:
	s_movk_i32 s0, 0xff98
	v_mad_i32_i24 v1, v0, s0, v62
	s_barrier
	ds_write_b128 v62, v[2:5]
	ds_write_b128 v62, v[6:9] offset:16
	ds_write_b128 v62, v[10:13] offset:32
	;; [unrolled: 1-line block ×6, first 2 shown]
	s_waitcnt lgkmcnt(0)
	s_barrier
	ds_read2st64_b64 v[52:55], v1 offset0:4 offset1:8
	ds_read2st64_b64 v[48:51], v1 offset0:12 offset1:16
	;; [unrolled: 1-line block ×6, first 2 shown]
	ds_read_b64 v[30:31], v1 offset:26624
	s_add_i32 s33, s33, s42
	v_mov_b32_e32 v61, 0
	v_lshl_add_u64 v[58:59], v[56:57], 0, v[60:61]
	v_cmp_gt_u32_e32 vcc, s33, v0
	s_and_saveexec_b64 s[0:1], vcc
	s_cbranch_execz .LBB418_200
; %bb.199:
	v_mul_i32_i24_e32 v1, 0xffffff98, v0
	v_add_u32_e32 v1, v62, v1
	ds_read_b64 v[64:65], v1
	s_waitcnt lgkmcnt(0)
	flat_store_dwordx2 v[58:59], v[64:65]
.LBB418_200:
	s_or_b64 exec, exec, s[0:1]
	v_or_b32_e32 v1, 0x100, v0
	v_cmp_gt_u32_e32 vcc, s33, v1
	s_and_saveexec_b64 s[0:1], vcc
	s_cbranch_execz .LBB418_202
; %bb.201:
	s_waitcnt lgkmcnt(0)
	flat_store_dwordx2 v[58:59], v[52:53] offset:2048
.LBB418_202:
	s_or_b64 exec, exec, s[0:1]
	v_or_b32_e32 v1, 0x200, v0
	v_cmp_gt_u32_e32 vcc, s33, v1
	s_and_saveexec_b64 s[0:1], vcc
	s_cbranch_execz .LBB418_204
; %bb.203:
	s_waitcnt lgkmcnt(0)
	v_add_co_u32_e32 v52, vcc, 0x1000, v58
	s_nop 1
	v_addc_co_u32_e32 v53, vcc, 0, v59, vcc
	flat_store_dwordx2 v[52:53], v[54:55]
.LBB418_204:
	s_or_b64 exec, exec, s[0:1]
	v_or_b32_e32 v1, 0x300, v0
	v_cmp_gt_u32_e32 vcc, s33, v1
	s_and_saveexec_b64 s[0:1], vcc
	s_cbranch_execz .LBB418_206
; %bb.205:
	s_waitcnt lgkmcnt(0)
	v_add_co_u32_e32 v52, vcc, 0x1000, v58
	s_nop 1
	v_addc_co_u32_e32 v53, vcc, 0, v59, vcc
	flat_store_dwordx2 v[52:53], v[48:49] offset:2048
.LBB418_206:
	s_or_b64 exec, exec, s[0:1]
	v_or_b32_e32 v1, 0x400, v0
	v_cmp_gt_u32_e32 vcc, s33, v1
	s_and_saveexec_b64 s[0:1], vcc
	s_cbranch_execz .LBB418_208
; %bb.207:
	s_waitcnt lgkmcnt(0)
	v_add_co_u32_e32 v48, vcc, 0x2000, v58
	s_nop 1
	v_addc_co_u32_e32 v49, vcc, 0, v59, vcc
	flat_store_dwordx2 v[48:49], v[50:51]
.LBB418_208:
	s_or_b64 exec, exec, s[0:1]
	v_or_b32_e32 v1, 0x500, v0
	v_cmp_gt_u32_e32 vcc, s33, v1
	s_and_saveexec_b64 s[0:1], vcc
	s_cbranch_execz .LBB418_210
; %bb.209:
	s_waitcnt lgkmcnt(0)
	v_add_co_u32_e32 v48, vcc, 0x2000, v58
	s_nop 1
	v_addc_co_u32_e32 v49, vcc, 0, v59, vcc
	flat_store_dwordx2 v[48:49], v[44:45] offset:2048
.LBB418_210:
	;; [unrolled: 24-line block ×5, first 2 shown]
	s_or_b64 exec, exec, s[0:1]
	v_or_b32_e32 v1, 0xc00, v0
	v_cmp_gt_u32_e32 vcc, s33, v1
	s_and_saveexec_b64 s[0:1], vcc
	s_cbranch_execz .LBB418_224
; %bb.223:
	s_waitcnt lgkmcnt(0)
	v_add_co_u32_e32 v32, vcc, 0x6000, v58
	s_nop 1
	v_addc_co_u32_e32 v33, vcc, 0, v59, vcc
	flat_store_dwordx2 v[32:33], v[34:35]
.LBB418_224:
	s_or_b64 exec, exec, s[0:1]
	s_waitcnt lgkmcnt(0)
	v_or_b32_e32 v32, 0xd00, v0
	v_mov_b32_e32 v1, v61
	v_cmp_gt_u32_e64 s[0:1], s33, v32
	s_branch .LBB418_227
.LBB418_225:
	s_mov_b64 s[0:1], 0
                                        ; implicit-def: $vgpr30_vgpr31
	s_cbranch_execz .LBB418_227
; %bb.226:
	v_mov_b32_e32 v1, 0
	s_movk_i32 s2, 0xff98
	s_barrier
	ds_write_b128 v62, v[2:5]
	ds_write_b128 v62, v[6:9] offset:16
	ds_write_b128 v62, v[10:13] offset:32
	;; [unrolled: 1-line block ×6, first 2 shown]
	v_mad_i32_i24 v26, v0, s2, v62
	v_mov_b32_e32 v61, v1
	s_waitcnt lgkmcnt(0)
	s_barrier
	ds_read2st64_b64 v[2:5], v26 offset1:4
	ds_read2st64_b64 v[6:9], v26 offset0:8 offset1:12
	ds_read2st64_b64 v[10:13], v26 offset0:16 offset1:20
	;; [unrolled: 1-line block ×6, first 2 shown]
	v_lshl_add_u64 v[26:27], v[56:57], 0, v[60:61]
	s_movk_i32 s2, 0x1000
	s_waitcnt lgkmcnt(0)
	flat_store_dwordx2 v[26:27], v[2:3]
	flat_store_dwordx2 v[26:27], v[4:5] offset:2048
	v_add_co_u32_e32 v2, vcc, s2, v26
	s_movk_i32 s2, 0x2000
	s_nop 0
	v_addc_co_u32_e32 v3, vcc, 0, v27, vcc
	flat_store_dwordx2 v[2:3], v[6:7]
	flat_store_dwordx2 v[2:3], v[8:9] offset:2048
	v_add_co_u32_e32 v2, vcc, s2, v26
	s_movk_i32 s2, 0x3000
	s_nop 0
	v_addc_co_u32_e32 v3, vcc, 0, v27, vcc
	;; [unrolled: 6-line block ×3, first 2 shown]
	flat_store_dwordx2 v[2:3], v[14:15]
	flat_store_dwordx2 v[2:3], v[16:17] offset:2048
	v_add_co_u32_e32 v2, vcc, s2, v26
	s_or_b64 s[0:1], s[0:1], exec
	s_nop 0
	v_addc_co_u32_e32 v3, vcc, 0, v27, vcc
	flat_store_dwordx2 v[2:3], v[18:19]
	flat_store_dwordx2 v[2:3], v[20:21] offset:2048
	v_add_co_u32_e32 v2, vcc, 0x5000, v26
	s_nop 1
	v_addc_co_u32_e32 v3, vcc, 0, v27, vcc
	flat_store_dwordx2 v[2:3], v[22:23]
	flat_store_dwordx2 v[2:3], v[24:25] offset:2048
	v_add_co_u32_e32 v2, vcc, 0x6000, v26
	s_nop 1
	v_addc_co_u32_e32 v3, vcc, 0, v27, vcc
	flat_store_dwordx2 v[2:3], v[28:29]
.LBB418_227:
	s_and_saveexec_b64 s[2:3], s[0:1]
	s_cbranch_execz .LBB418_229
; %bb.228:
	v_lshl_add_u64 v[0:1], v[0:1], 3, v[56:57]
	v_add_co_u32_e32 v0, vcc, 0x6000, v0
	s_nop 1
	v_addc_co_u32_e32 v1, vcc, 0, v1, vcc
	flat_store_dwordx2 v[0:1], v[30:31] offset:2048
	s_endpgm
.LBB418_229:
	s_endpgm
	.section	.rodata,"a",@progbits
	.p2align	6, 0x0
	.amdhsa_kernel _ZN7rocprim17ROCPRIM_400000_NS6detail17trampoline_kernelINS0_14default_configENS1_27scan_by_key_config_selectorIxxEEZZNS1_16scan_by_key_implILNS1_25lookback_scan_determinismE0ELb1ES3_N6thrust23THRUST_200600_302600_NS6detail15normal_iteratorINS9_10device_ptrIxEEEESE_SE_xNS9_10multipliesIxEENS9_8equal_toIxEExEE10hipError_tPvRmT2_T3_T4_T5_mT6_T7_P12ihipStream_tbENKUlT_T0_E_clISt17integral_constantIbLb0EESY_IbLb1EEEEDaSU_SV_EUlSU_E_NS1_11comp_targetILNS1_3genE5ELNS1_11target_archE942ELNS1_3gpuE9ELNS1_3repE0EEENS1_30default_config_static_selectorELNS0_4arch9wavefront6targetE1EEEvT1_
		.amdhsa_group_segment_fixed_size 32768
		.amdhsa_private_segment_fixed_size 0
		.amdhsa_kernarg_size 136
		.amdhsa_user_sgpr_count 2
		.amdhsa_user_sgpr_dispatch_ptr 0
		.amdhsa_user_sgpr_queue_ptr 0
		.amdhsa_user_sgpr_kernarg_segment_ptr 1
		.amdhsa_user_sgpr_dispatch_id 0
		.amdhsa_user_sgpr_kernarg_preload_length 0
		.amdhsa_user_sgpr_kernarg_preload_offset 0
		.amdhsa_user_sgpr_private_segment_size 0
		.amdhsa_uses_dynamic_stack 0
		.amdhsa_enable_private_segment 0
		.amdhsa_system_sgpr_workgroup_id_x 1
		.amdhsa_system_sgpr_workgroup_id_y 0
		.amdhsa_system_sgpr_workgroup_id_z 0
		.amdhsa_system_sgpr_workgroup_info 0
		.amdhsa_system_vgpr_workitem_id 0
		.amdhsa_next_free_vgpr 89
		.amdhsa_next_free_sgpr 61
		.amdhsa_accum_offset 92
		.amdhsa_reserve_vcc 1
		.amdhsa_float_round_mode_32 0
		.amdhsa_float_round_mode_16_64 0
		.amdhsa_float_denorm_mode_32 3
		.amdhsa_float_denorm_mode_16_64 3
		.amdhsa_dx10_clamp 1
		.amdhsa_ieee_mode 1
		.amdhsa_fp16_overflow 0
		.amdhsa_tg_split 0
		.amdhsa_exception_fp_ieee_invalid_op 0
		.amdhsa_exception_fp_denorm_src 0
		.amdhsa_exception_fp_ieee_div_zero 0
		.amdhsa_exception_fp_ieee_overflow 0
		.amdhsa_exception_fp_ieee_underflow 0
		.amdhsa_exception_fp_ieee_inexact 0
		.amdhsa_exception_int_div_zero 0
	.end_amdhsa_kernel
	.section	.text._ZN7rocprim17ROCPRIM_400000_NS6detail17trampoline_kernelINS0_14default_configENS1_27scan_by_key_config_selectorIxxEEZZNS1_16scan_by_key_implILNS1_25lookback_scan_determinismE0ELb1ES3_N6thrust23THRUST_200600_302600_NS6detail15normal_iteratorINS9_10device_ptrIxEEEESE_SE_xNS9_10multipliesIxEENS9_8equal_toIxEExEE10hipError_tPvRmT2_T3_T4_T5_mT6_T7_P12ihipStream_tbENKUlT_T0_E_clISt17integral_constantIbLb0EESY_IbLb1EEEEDaSU_SV_EUlSU_E_NS1_11comp_targetILNS1_3genE5ELNS1_11target_archE942ELNS1_3gpuE9ELNS1_3repE0EEENS1_30default_config_static_selectorELNS0_4arch9wavefront6targetE1EEEvT1_,"axG",@progbits,_ZN7rocprim17ROCPRIM_400000_NS6detail17trampoline_kernelINS0_14default_configENS1_27scan_by_key_config_selectorIxxEEZZNS1_16scan_by_key_implILNS1_25lookback_scan_determinismE0ELb1ES3_N6thrust23THRUST_200600_302600_NS6detail15normal_iteratorINS9_10device_ptrIxEEEESE_SE_xNS9_10multipliesIxEENS9_8equal_toIxEExEE10hipError_tPvRmT2_T3_T4_T5_mT6_T7_P12ihipStream_tbENKUlT_T0_E_clISt17integral_constantIbLb0EESY_IbLb1EEEEDaSU_SV_EUlSU_E_NS1_11comp_targetILNS1_3genE5ELNS1_11target_archE942ELNS1_3gpuE9ELNS1_3repE0EEENS1_30default_config_static_selectorELNS0_4arch9wavefront6targetE1EEEvT1_,comdat
.Lfunc_end418:
	.size	_ZN7rocprim17ROCPRIM_400000_NS6detail17trampoline_kernelINS0_14default_configENS1_27scan_by_key_config_selectorIxxEEZZNS1_16scan_by_key_implILNS1_25lookback_scan_determinismE0ELb1ES3_N6thrust23THRUST_200600_302600_NS6detail15normal_iteratorINS9_10device_ptrIxEEEESE_SE_xNS9_10multipliesIxEENS9_8equal_toIxEExEE10hipError_tPvRmT2_T3_T4_T5_mT6_T7_P12ihipStream_tbENKUlT_T0_E_clISt17integral_constantIbLb0EESY_IbLb1EEEEDaSU_SV_EUlSU_E_NS1_11comp_targetILNS1_3genE5ELNS1_11target_archE942ELNS1_3gpuE9ELNS1_3repE0EEENS1_30default_config_static_selectorELNS0_4arch9wavefront6targetE1EEEvT1_, .Lfunc_end418-_ZN7rocprim17ROCPRIM_400000_NS6detail17trampoline_kernelINS0_14default_configENS1_27scan_by_key_config_selectorIxxEEZZNS1_16scan_by_key_implILNS1_25lookback_scan_determinismE0ELb1ES3_N6thrust23THRUST_200600_302600_NS6detail15normal_iteratorINS9_10device_ptrIxEEEESE_SE_xNS9_10multipliesIxEENS9_8equal_toIxEExEE10hipError_tPvRmT2_T3_T4_T5_mT6_T7_P12ihipStream_tbENKUlT_T0_E_clISt17integral_constantIbLb0EESY_IbLb1EEEEDaSU_SV_EUlSU_E_NS1_11comp_targetILNS1_3genE5ELNS1_11target_archE942ELNS1_3gpuE9ELNS1_3repE0EEENS1_30default_config_static_selectorELNS0_4arch9wavefront6targetE1EEEvT1_
                                        ; -- End function
	.section	.AMDGPU.csdata,"",@progbits
; Kernel info:
; codeLenInByte = 15300
; NumSgprs: 67
; NumVgprs: 89
; NumAgprs: 0
; TotalNumVgprs: 89
; ScratchSize: 0
; MemoryBound: 0
; FloatMode: 240
; IeeeMode: 1
; LDSByteSize: 32768 bytes/workgroup (compile time only)
; SGPRBlocks: 8
; VGPRBlocks: 11
; NumSGPRsForWavesPerEU: 67
; NumVGPRsForWavesPerEU: 89
; AccumOffset: 92
; Occupancy: 2
; WaveLimiterHint : 1
; COMPUTE_PGM_RSRC2:SCRATCH_EN: 0
; COMPUTE_PGM_RSRC2:USER_SGPR: 2
; COMPUTE_PGM_RSRC2:TRAP_HANDLER: 0
; COMPUTE_PGM_RSRC2:TGID_X_EN: 1
; COMPUTE_PGM_RSRC2:TGID_Y_EN: 0
; COMPUTE_PGM_RSRC2:TGID_Z_EN: 0
; COMPUTE_PGM_RSRC2:TIDIG_COMP_CNT: 0
; COMPUTE_PGM_RSRC3_GFX90A:ACCUM_OFFSET: 22
; COMPUTE_PGM_RSRC3_GFX90A:TG_SPLIT: 0
	.section	.text._ZN7rocprim17ROCPRIM_400000_NS6detail17trampoline_kernelINS0_14default_configENS1_27scan_by_key_config_selectorIxxEEZZNS1_16scan_by_key_implILNS1_25lookback_scan_determinismE0ELb1ES3_N6thrust23THRUST_200600_302600_NS6detail15normal_iteratorINS9_10device_ptrIxEEEESE_SE_xNS9_10multipliesIxEENS9_8equal_toIxEExEE10hipError_tPvRmT2_T3_T4_T5_mT6_T7_P12ihipStream_tbENKUlT_T0_E_clISt17integral_constantIbLb0EESY_IbLb1EEEEDaSU_SV_EUlSU_E_NS1_11comp_targetILNS1_3genE4ELNS1_11target_archE910ELNS1_3gpuE8ELNS1_3repE0EEENS1_30default_config_static_selectorELNS0_4arch9wavefront6targetE1EEEvT1_,"axG",@progbits,_ZN7rocprim17ROCPRIM_400000_NS6detail17trampoline_kernelINS0_14default_configENS1_27scan_by_key_config_selectorIxxEEZZNS1_16scan_by_key_implILNS1_25lookback_scan_determinismE0ELb1ES3_N6thrust23THRUST_200600_302600_NS6detail15normal_iteratorINS9_10device_ptrIxEEEESE_SE_xNS9_10multipliesIxEENS9_8equal_toIxEExEE10hipError_tPvRmT2_T3_T4_T5_mT6_T7_P12ihipStream_tbENKUlT_T0_E_clISt17integral_constantIbLb0EESY_IbLb1EEEEDaSU_SV_EUlSU_E_NS1_11comp_targetILNS1_3genE4ELNS1_11target_archE910ELNS1_3gpuE8ELNS1_3repE0EEENS1_30default_config_static_selectorELNS0_4arch9wavefront6targetE1EEEvT1_,comdat
	.protected	_ZN7rocprim17ROCPRIM_400000_NS6detail17trampoline_kernelINS0_14default_configENS1_27scan_by_key_config_selectorIxxEEZZNS1_16scan_by_key_implILNS1_25lookback_scan_determinismE0ELb1ES3_N6thrust23THRUST_200600_302600_NS6detail15normal_iteratorINS9_10device_ptrIxEEEESE_SE_xNS9_10multipliesIxEENS9_8equal_toIxEExEE10hipError_tPvRmT2_T3_T4_T5_mT6_T7_P12ihipStream_tbENKUlT_T0_E_clISt17integral_constantIbLb0EESY_IbLb1EEEEDaSU_SV_EUlSU_E_NS1_11comp_targetILNS1_3genE4ELNS1_11target_archE910ELNS1_3gpuE8ELNS1_3repE0EEENS1_30default_config_static_selectorELNS0_4arch9wavefront6targetE1EEEvT1_ ; -- Begin function _ZN7rocprim17ROCPRIM_400000_NS6detail17trampoline_kernelINS0_14default_configENS1_27scan_by_key_config_selectorIxxEEZZNS1_16scan_by_key_implILNS1_25lookback_scan_determinismE0ELb1ES3_N6thrust23THRUST_200600_302600_NS6detail15normal_iteratorINS9_10device_ptrIxEEEESE_SE_xNS9_10multipliesIxEENS9_8equal_toIxEExEE10hipError_tPvRmT2_T3_T4_T5_mT6_T7_P12ihipStream_tbENKUlT_T0_E_clISt17integral_constantIbLb0EESY_IbLb1EEEEDaSU_SV_EUlSU_E_NS1_11comp_targetILNS1_3genE4ELNS1_11target_archE910ELNS1_3gpuE8ELNS1_3repE0EEENS1_30default_config_static_selectorELNS0_4arch9wavefront6targetE1EEEvT1_
	.globl	_ZN7rocprim17ROCPRIM_400000_NS6detail17trampoline_kernelINS0_14default_configENS1_27scan_by_key_config_selectorIxxEEZZNS1_16scan_by_key_implILNS1_25lookback_scan_determinismE0ELb1ES3_N6thrust23THRUST_200600_302600_NS6detail15normal_iteratorINS9_10device_ptrIxEEEESE_SE_xNS9_10multipliesIxEENS9_8equal_toIxEExEE10hipError_tPvRmT2_T3_T4_T5_mT6_T7_P12ihipStream_tbENKUlT_T0_E_clISt17integral_constantIbLb0EESY_IbLb1EEEEDaSU_SV_EUlSU_E_NS1_11comp_targetILNS1_3genE4ELNS1_11target_archE910ELNS1_3gpuE8ELNS1_3repE0EEENS1_30default_config_static_selectorELNS0_4arch9wavefront6targetE1EEEvT1_
	.p2align	8
	.type	_ZN7rocprim17ROCPRIM_400000_NS6detail17trampoline_kernelINS0_14default_configENS1_27scan_by_key_config_selectorIxxEEZZNS1_16scan_by_key_implILNS1_25lookback_scan_determinismE0ELb1ES3_N6thrust23THRUST_200600_302600_NS6detail15normal_iteratorINS9_10device_ptrIxEEEESE_SE_xNS9_10multipliesIxEENS9_8equal_toIxEExEE10hipError_tPvRmT2_T3_T4_T5_mT6_T7_P12ihipStream_tbENKUlT_T0_E_clISt17integral_constantIbLb0EESY_IbLb1EEEEDaSU_SV_EUlSU_E_NS1_11comp_targetILNS1_3genE4ELNS1_11target_archE910ELNS1_3gpuE8ELNS1_3repE0EEENS1_30default_config_static_selectorELNS0_4arch9wavefront6targetE1EEEvT1_,@function
_ZN7rocprim17ROCPRIM_400000_NS6detail17trampoline_kernelINS0_14default_configENS1_27scan_by_key_config_selectorIxxEEZZNS1_16scan_by_key_implILNS1_25lookback_scan_determinismE0ELb1ES3_N6thrust23THRUST_200600_302600_NS6detail15normal_iteratorINS9_10device_ptrIxEEEESE_SE_xNS9_10multipliesIxEENS9_8equal_toIxEExEE10hipError_tPvRmT2_T3_T4_T5_mT6_T7_P12ihipStream_tbENKUlT_T0_E_clISt17integral_constantIbLb0EESY_IbLb1EEEEDaSU_SV_EUlSU_E_NS1_11comp_targetILNS1_3genE4ELNS1_11target_archE910ELNS1_3gpuE8ELNS1_3repE0EEENS1_30default_config_static_selectorELNS0_4arch9wavefront6targetE1EEEvT1_: ; @_ZN7rocprim17ROCPRIM_400000_NS6detail17trampoline_kernelINS0_14default_configENS1_27scan_by_key_config_selectorIxxEEZZNS1_16scan_by_key_implILNS1_25lookback_scan_determinismE0ELb1ES3_N6thrust23THRUST_200600_302600_NS6detail15normal_iteratorINS9_10device_ptrIxEEEESE_SE_xNS9_10multipliesIxEENS9_8equal_toIxEExEE10hipError_tPvRmT2_T3_T4_T5_mT6_T7_P12ihipStream_tbENKUlT_T0_E_clISt17integral_constantIbLb0EESY_IbLb1EEEEDaSU_SV_EUlSU_E_NS1_11comp_targetILNS1_3genE4ELNS1_11target_archE910ELNS1_3gpuE8ELNS1_3repE0EEENS1_30default_config_static_selectorELNS0_4arch9wavefront6targetE1EEEvT1_
; %bb.0:
	.section	.rodata,"a",@progbits
	.p2align	6, 0x0
	.amdhsa_kernel _ZN7rocprim17ROCPRIM_400000_NS6detail17trampoline_kernelINS0_14default_configENS1_27scan_by_key_config_selectorIxxEEZZNS1_16scan_by_key_implILNS1_25lookback_scan_determinismE0ELb1ES3_N6thrust23THRUST_200600_302600_NS6detail15normal_iteratorINS9_10device_ptrIxEEEESE_SE_xNS9_10multipliesIxEENS9_8equal_toIxEExEE10hipError_tPvRmT2_T3_T4_T5_mT6_T7_P12ihipStream_tbENKUlT_T0_E_clISt17integral_constantIbLb0EESY_IbLb1EEEEDaSU_SV_EUlSU_E_NS1_11comp_targetILNS1_3genE4ELNS1_11target_archE910ELNS1_3gpuE8ELNS1_3repE0EEENS1_30default_config_static_selectorELNS0_4arch9wavefront6targetE1EEEvT1_
		.amdhsa_group_segment_fixed_size 0
		.amdhsa_private_segment_fixed_size 0
		.amdhsa_kernarg_size 136
		.amdhsa_user_sgpr_count 2
		.amdhsa_user_sgpr_dispatch_ptr 0
		.amdhsa_user_sgpr_queue_ptr 0
		.amdhsa_user_sgpr_kernarg_segment_ptr 1
		.amdhsa_user_sgpr_dispatch_id 0
		.amdhsa_user_sgpr_kernarg_preload_length 0
		.amdhsa_user_sgpr_kernarg_preload_offset 0
		.amdhsa_user_sgpr_private_segment_size 0
		.amdhsa_uses_dynamic_stack 0
		.amdhsa_enable_private_segment 0
		.amdhsa_system_sgpr_workgroup_id_x 1
		.amdhsa_system_sgpr_workgroup_id_y 0
		.amdhsa_system_sgpr_workgroup_id_z 0
		.amdhsa_system_sgpr_workgroup_info 0
		.amdhsa_system_vgpr_workitem_id 0
		.amdhsa_next_free_vgpr 1
		.amdhsa_next_free_sgpr 0
		.amdhsa_accum_offset 4
		.amdhsa_reserve_vcc 0
		.amdhsa_float_round_mode_32 0
		.amdhsa_float_round_mode_16_64 0
		.amdhsa_float_denorm_mode_32 3
		.amdhsa_float_denorm_mode_16_64 3
		.amdhsa_dx10_clamp 1
		.amdhsa_ieee_mode 1
		.amdhsa_fp16_overflow 0
		.amdhsa_tg_split 0
		.amdhsa_exception_fp_ieee_invalid_op 0
		.amdhsa_exception_fp_denorm_src 0
		.amdhsa_exception_fp_ieee_div_zero 0
		.amdhsa_exception_fp_ieee_overflow 0
		.amdhsa_exception_fp_ieee_underflow 0
		.amdhsa_exception_fp_ieee_inexact 0
		.amdhsa_exception_int_div_zero 0
	.end_amdhsa_kernel
	.section	.text._ZN7rocprim17ROCPRIM_400000_NS6detail17trampoline_kernelINS0_14default_configENS1_27scan_by_key_config_selectorIxxEEZZNS1_16scan_by_key_implILNS1_25lookback_scan_determinismE0ELb1ES3_N6thrust23THRUST_200600_302600_NS6detail15normal_iteratorINS9_10device_ptrIxEEEESE_SE_xNS9_10multipliesIxEENS9_8equal_toIxEExEE10hipError_tPvRmT2_T3_T4_T5_mT6_T7_P12ihipStream_tbENKUlT_T0_E_clISt17integral_constantIbLb0EESY_IbLb1EEEEDaSU_SV_EUlSU_E_NS1_11comp_targetILNS1_3genE4ELNS1_11target_archE910ELNS1_3gpuE8ELNS1_3repE0EEENS1_30default_config_static_selectorELNS0_4arch9wavefront6targetE1EEEvT1_,"axG",@progbits,_ZN7rocprim17ROCPRIM_400000_NS6detail17trampoline_kernelINS0_14default_configENS1_27scan_by_key_config_selectorIxxEEZZNS1_16scan_by_key_implILNS1_25lookback_scan_determinismE0ELb1ES3_N6thrust23THRUST_200600_302600_NS6detail15normal_iteratorINS9_10device_ptrIxEEEESE_SE_xNS9_10multipliesIxEENS9_8equal_toIxEExEE10hipError_tPvRmT2_T3_T4_T5_mT6_T7_P12ihipStream_tbENKUlT_T0_E_clISt17integral_constantIbLb0EESY_IbLb1EEEEDaSU_SV_EUlSU_E_NS1_11comp_targetILNS1_3genE4ELNS1_11target_archE910ELNS1_3gpuE8ELNS1_3repE0EEENS1_30default_config_static_selectorELNS0_4arch9wavefront6targetE1EEEvT1_,comdat
.Lfunc_end419:
	.size	_ZN7rocprim17ROCPRIM_400000_NS6detail17trampoline_kernelINS0_14default_configENS1_27scan_by_key_config_selectorIxxEEZZNS1_16scan_by_key_implILNS1_25lookback_scan_determinismE0ELb1ES3_N6thrust23THRUST_200600_302600_NS6detail15normal_iteratorINS9_10device_ptrIxEEEESE_SE_xNS9_10multipliesIxEENS9_8equal_toIxEExEE10hipError_tPvRmT2_T3_T4_T5_mT6_T7_P12ihipStream_tbENKUlT_T0_E_clISt17integral_constantIbLb0EESY_IbLb1EEEEDaSU_SV_EUlSU_E_NS1_11comp_targetILNS1_3genE4ELNS1_11target_archE910ELNS1_3gpuE8ELNS1_3repE0EEENS1_30default_config_static_selectorELNS0_4arch9wavefront6targetE1EEEvT1_, .Lfunc_end419-_ZN7rocprim17ROCPRIM_400000_NS6detail17trampoline_kernelINS0_14default_configENS1_27scan_by_key_config_selectorIxxEEZZNS1_16scan_by_key_implILNS1_25lookback_scan_determinismE0ELb1ES3_N6thrust23THRUST_200600_302600_NS6detail15normal_iteratorINS9_10device_ptrIxEEEESE_SE_xNS9_10multipliesIxEENS9_8equal_toIxEExEE10hipError_tPvRmT2_T3_T4_T5_mT6_T7_P12ihipStream_tbENKUlT_T0_E_clISt17integral_constantIbLb0EESY_IbLb1EEEEDaSU_SV_EUlSU_E_NS1_11comp_targetILNS1_3genE4ELNS1_11target_archE910ELNS1_3gpuE8ELNS1_3repE0EEENS1_30default_config_static_selectorELNS0_4arch9wavefront6targetE1EEEvT1_
                                        ; -- End function
	.section	.AMDGPU.csdata,"",@progbits
; Kernel info:
; codeLenInByte = 0
; NumSgprs: 6
; NumVgprs: 0
; NumAgprs: 0
; TotalNumVgprs: 0
; ScratchSize: 0
; MemoryBound: 0
; FloatMode: 240
; IeeeMode: 1
; LDSByteSize: 0 bytes/workgroup (compile time only)
; SGPRBlocks: 0
; VGPRBlocks: 0
; NumSGPRsForWavesPerEU: 6
; NumVGPRsForWavesPerEU: 1
; AccumOffset: 4
; Occupancy: 8
; WaveLimiterHint : 0
; COMPUTE_PGM_RSRC2:SCRATCH_EN: 0
; COMPUTE_PGM_RSRC2:USER_SGPR: 2
; COMPUTE_PGM_RSRC2:TRAP_HANDLER: 0
; COMPUTE_PGM_RSRC2:TGID_X_EN: 1
; COMPUTE_PGM_RSRC2:TGID_Y_EN: 0
; COMPUTE_PGM_RSRC2:TGID_Z_EN: 0
; COMPUTE_PGM_RSRC2:TIDIG_COMP_CNT: 0
; COMPUTE_PGM_RSRC3_GFX90A:ACCUM_OFFSET: 0
; COMPUTE_PGM_RSRC3_GFX90A:TG_SPLIT: 0
	.section	.text._ZN7rocprim17ROCPRIM_400000_NS6detail17trampoline_kernelINS0_14default_configENS1_27scan_by_key_config_selectorIxxEEZZNS1_16scan_by_key_implILNS1_25lookback_scan_determinismE0ELb1ES3_N6thrust23THRUST_200600_302600_NS6detail15normal_iteratorINS9_10device_ptrIxEEEESE_SE_xNS9_10multipliesIxEENS9_8equal_toIxEExEE10hipError_tPvRmT2_T3_T4_T5_mT6_T7_P12ihipStream_tbENKUlT_T0_E_clISt17integral_constantIbLb0EESY_IbLb1EEEEDaSU_SV_EUlSU_E_NS1_11comp_targetILNS1_3genE3ELNS1_11target_archE908ELNS1_3gpuE7ELNS1_3repE0EEENS1_30default_config_static_selectorELNS0_4arch9wavefront6targetE1EEEvT1_,"axG",@progbits,_ZN7rocprim17ROCPRIM_400000_NS6detail17trampoline_kernelINS0_14default_configENS1_27scan_by_key_config_selectorIxxEEZZNS1_16scan_by_key_implILNS1_25lookback_scan_determinismE0ELb1ES3_N6thrust23THRUST_200600_302600_NS6detail15normal_iteratorINS9_10device_ptrIxEEEESE_SE_xNS9_10multipliesIxEENS9_8equal_toIxEExEE10hipError_tPvRmT2_T3_T4_T5_mT6_T7_P12ihipStream_tbENKUlT_T0_E_clISt17integral_constantIbLb0EESY_IbLb1EEEEDaSU_SV_EUlSU_E_NS1_11comp_targetILNS1_3genE3ELNS1_11target_archE908ELNS1_3gpuE7ELNS1_3repE0EEENS1_30default_config_static_selectorELNS0_4arch9wavefront6targetE1EEEvT1_,comdat
	.protected	_ZN7rocprim17ROCPRIM_400000_NS6detail17trampoline_kernelINS0_14default_configENS1_27scan_by_key_config_selectorIxxEEZZNS1_16scan_by_key_implILNS1_25lookback_scan_determinismE0ELb1ES3_N6thrust23THRUST_200600_302600_NS6detail15normal_iteratorINS9_10device_ptrIxEEEESE_SE_xNS9_10multipliesIxEENS9_8equal_toIxEExEE10hipError_tPvRmT2_T3_T4_T5_mT6_T7_P12ihipStream_tbENKUlT_T0_E_clISt17integral_constantIbLb0EESY_IbLb1EEEEDaSU_SV_EUlSU_E_NS1_11comp_targetILNS1_3genE3ELNS1_11target_archE908ELNS1_3gpuE7ELNS1_3repE0EEENS1_30default_config_static_selectorELNS0_4arch9wavefront6targetE1EEEvT1_ ; -- Begin function _ZN7rocprim17ROCPRIM_400000_NS6detail17trampoline_kernelINS0_14default_configENS1_27scan_by_key_config_selectorIxxEEZZNS1_16scan_by_key_implILNS1_25lookback_scan_determinismE0ELb1ES3_N6thrust23THRUST_200600_302600_NS6detail15normal_iteratorINS9_10device_ptrIxEEEESE_SE_xNS9_10multipliesIxEENS9_8equal_toIxEExEE10hipError_tPvRmT2_T3_T4_T5_mT6_T7_P12ihipStream_tbENKUlT_T0_E_clISt17integral_constantIbLb0EESY_IbLb1EEEEDaSU_SV_EUlSU_E_NS1_11comp_targetILNS1_3genE3ELNS1_11target_archE908ELNS1_3gpuE7ELNS1_3repE0EEENS1_30default_config_static_selectorELNS0_4arch9wavefront6targetE1EEEvT1_
	.globl	_ZN7rocprim17ROCPRIM_400000_NS6detail17trampoline_kernelINS0_14default_configENS1_27scan_by_key_config_selectorIxxEEZZNS1_16scan_by_key_implILNS1_25lookback_scan_determinismE0ELb1ES3_N6thrust23THRUST_200600_302600_NS6detail15normal_iteratorINS9_10device_ptrIxEEEESE_SE_xNS9_10multipliesIxEENS9_8equal_toIxEExEE10hipError_tPvRmT2_T3_T4_T5_mT6_T7_P12ihipStream_tbENKUlT_T0_E_clISt17integral_constantIbLb0EESY_IbLb1EEEEDaSU_SV_EUlSU_E_NS1_11comp_targetILNS1_3genE3ELNS1_11target_archE908ELNS1_3gpuE7ELNS1_3repE0EEENS1_30default_config_static_selectorELNS0_4arch9wavefront6targetE1EEEvT1_
	.p2align	8
	.type	_ZN7rocprim17ROCPRIM_400000_NS6detail17trampoline_kernelINS0_14default_configENS1_27scan_by_key_config_selectorIxxEEZZNS1_16scan_by_key_implILNS1_25lookback_scan_determinismE0ELb1ES3_N6thrust23THRUST_200600_302600_NS6detail15normal_iteratorINS9_10device_ptrIxEEEESE_SE_xNS9_10multipliesIxEENS9_8equal_toIxEExEE10hipError_tPvRmT2_T3_T4_T5_mT6_T7_P12ihipStream_tbENKUlT_T0_E_clISt17integral_constantIbLb0EESY_IbLb1EEEEDaSU_SV_EUlSU_E_NS1_11comp_targetILNS1_3genE3ELNS1_11target_archE908ELNS1_3gpuE7ELNS1_3repE0EEENS1_30default_config_static_selectorELNS0_4arch9wavefront6targetE1EEEvT1_,@function
_ZN7rocprim17ROCPRIM_400000_NS6detail17trampoline_kernelINS0_14default_configENS1_27scan_by_key_config_selectorIxxEEZZNS1_16scan_by_key_implILNS1_25lookback_scan_determinismE0ELb1ES3_N6thrust23THRUST_200600_302600_NS6detail15normal_iteratorINS9_10device_ptrIxEEEESE_SE_xNS9_10multipliesIxEENS9_8equal_toIxEExEE10hipError_tPvRmT2_T3_T4_T5_mT6_T7_P12ihipStream_tbENKUlT_T0_E_clISt17integral_constantIbLb0EESY_IbLb1EEEEDaSU_SV_EUlSU_E_NS1_11comp_targetILNS1_3genE3ELNS1_11target_archE908ELNS1_3gpuE7ELNS1_3repE0EEENS1_30default_config_static_selectorELNS0_4arch9wavefront6targetE1EEEvT1_: ; @_ZN7rocprim17ROCPRIM_400000_NS6detail17trampoline_kernelINS0_14default_configENS1_27scan_by_key_config_selectorIxxEEZZNS1_16scan_by_key_implILNS1_25lookback_scan_determinismE0ELb1ES3_N6thrust23THRUST_200600_302600_NS6detail15normal_iteratorINS9_10device_ptrIxEEEESE_SE_xNS9_10multipliesIxEENS9_8equal_toIxEExEE10hipError_tPvRmT2_T3_T4_T5_mT6_T7_P12ihipStream_tbENKUlT_T0_E_clISt17integral_constantIbLb0EESY_IbLb1EEEEDaSU_SV_EUlSU_E_NS1_11comp_targetILNS1_3genE3ELNS1_11target_archE908ELNS1_3gpuE7ELNS1_3repE0EEENS1_30default_config_static_selectorELNS0_4arch9wavefront6targetE1EEEvT1_
; %bb.0:
	.section	.rodata,"a",@progbits
	.p2align	6, 0x0
	.amdhsa_kernel _ZN7rocprim17ROCPRIM_400000_NS6detail17trampoline_kernelINS0_14default_configENS1_27scan_by_key_config_selectorIxxEEZZNS1_16scan_by_key_implILNS1_25lookback_scan_determinismE0ELb1ES3_N6thrust23THRUST_200600_302600_NS6detail15normal_iteratorINS9_10device_ptrIxEEEESE_SE_xNS9_10multipliesIxEENS9_8equal_toIxEExEE10hipError_tPvRmT2_T3_T4_T5_mT6_T7_P12ihipStream_tbENKUlT_T0_E_clISt17integral_constantIbLb0EESY_IbLb1EEEEDaSU_SV_EUlSU_E_NS1_11comp_targetILNS1_3genE3ELNS1_11target_archE908ELNS1_3gpuE7ELNS1_3repE0EEENS1_30default_config_static_selectorELNS0_4arch9wavefront6targetE1EEEvT1_
		.amdhsa_group_segment_fixed_size 0
		.amdhsa_private_segment_fixed_size 0
		.amdhsa_kernarg_size 136
		.amdhsa_user_sgpr_count 2
		.amdhsa_user_sgpr_dispatch_ptr 0
		.amdhsa_user_sgpr_queue_ptr 0
		.amdhsa_user_sgpr_kernarg_segment_ptr 1
		.amdhsa_user_sgpr_dispatch_id 0
		.amdhsa_user_sgpr_kernarg_preload_length 0
		.amdhsa_user_sgpr_kernarg_preload_offset 0
		.amdhsa_user_sgpr_private_segment_size 0
		.amdhsa_uses_dynamic_stack 0
		.amdhsa_enable_private_segment 0
		.amdhsa_system_sgpr_workgroup_id_x 1
		.amdhsa_system_sgpr_workgroup_id_y 0
		.amdhsa_system_sgpr_workgroup_id_z 0
		.amdhsa_system_sgpr_workgroup_info 0
		.amdhsa_system_vgpr_workitem_id 0
		.amdhsa_next_free_vgpr 1
		.amdhsa_next_free_sgpr 0
		.amdhsa_accum_offset 4
		.amdhsa_reserve_vcc 0
		.amdhsa_float_round_mode_32 0
		.amdhsa_float_round_mode_16_64 0
		.amdhsa_float_denorm_mode_32 3
		.amdhsa_float_denorm_mode_16_64 3
		.amdhsa_dx10_clamp 1
		.amdhsa_ieee_mode 1
		.amdhsa_fp16_overflow 0
		.amdhsa_tg_split 0
		.amdhsa_exception_fp_ieee_invalid_op 0
		.amdhsa_exception_fp_denorm_src 0
		.amdhsa_exception_fp_ieee_div_zero 0
		.amdhsa_exception_fp_ieee_overflow 0
		.amdhsa_exception_fp_ieee_underflow 0
		.amdhsa_exception_fp_ieee_inexact 0
		.amdhsa_exception_int_div_zero 0
	.end_amdhsa_kernel
	.section	.text._ZN7rocprim17ROCPRIM_400000_NS6detail17trampoline_kernelINS0_14default_configENS1_27scan_by_key_config_selectorIxxEEZZNS1_16scan_by_key_implILNS1_25lookback_scan_determinismE0ELb1ES3_N6thrust23THRUST_200600_302600_NS6detail15normal_iteratorINS9_10device_ptrIxEEEESE_SE_xNS9_10multipliesIxEENS9_8equal_toIxEExEE10hipError_tPvRmT2_T3_T4_T5_mT6_T7_P12ihipStream_tbENKUlT_T0_E_clISt17integral_constantIbLb0EESY_IbLb1EEEEDaSU_SV_EUlSU_E_NS1_11comp_targetILNS1_3genE3ELNS1_11target_archE908ELNS1_3gpuE7ELNS1_3repE0EEENS1_30default_config_static_selectorELNS0_4arch9wavefront6targetE1EEEvT1_,"axG",@progbits,_ZN7rocprim17ROCPRIM_400000_NS6detail17trampoline_kernelINS0_14default_configENS1_27scan_by_key_config_selectorIxxEEZZNS1_16scan_by_key_implILNS1_25lookback_scan_determinismE0ELb1ES3_N6thrust23THRUST_200600_302600_NS6detail15normal_iteratorINS9_10device_ptrIxEEEESE_SE_xNS9_10multipliesIxEENS9_8equal_toIxEExEE10hipError_tPvRmT2_T3_T4_T5_mT6_T7_P12ihipStream_tbENKUlT_T0_E_clISt17integral_constantIbLb0EESY_IbLb1EEEEDaSU_SV_EUlSU_E_NS1_11comp_targetILNS1_3genE3ELNS1_11target_archE908ELNS1_3gpuE7ELNS1_3repE0EEENS1_30default_config_static_selectorELNS0_4arch9wavefront6targetE1EEEvT1_,comdat
.Lfunc_end420:
	.size	_ZN7rocprim17ROCPRIM_400000_NS6detail17trampoline_kernelINS0_14default_configENS1_27scan_by_key_config_selectorIxxEEZZNS1_16scan_by_key_implILNS1_25lookback_scan_determinismE0ELb1ES3_N6thrust23THRUST_200600_302600_NS6detail15normal_iteratorINS9_10device_ptrIxEEEESE_SE_xNS9_10multipliesIxEENS9_8equal_toIxEExEE10hipError_tPvRmT2_T3_T4_T5_mT6_T7_P12ihipStream_tbENKUlT_T0_E_clISt17integral_constantIbLb0EESY_IbLb1EEEEDaSU_SV_EUlSU_E_NS1_11comp_targetILNS1_3genE3ELNS1_11target_archE908ELNS1_3gpuE7ELNS1_3repE0EEENS1_30default_config_static_selectorELNS0_4arch9wavefront6targetE1EEEvT1_, .Lfunc_end420-_ZN7rocprim17ROCPRIM_400000_NS6detail17trampoline_kernelINS0_14default_configENS1_27scan_by_key_config_selectorIxxEEZZNS1_16scan_by_key_implILNS1_25lookback_scan_determinismE0ELb1ES3_N6thrust23THRUST_200600_302600_NS6detail15normal_iteratorINS9_10device_ptrIxEEEESE_SE_xNS9_10multipliesIxEENS9_8equal_toIxEExEE10hipError_tPvRmT2_T3_T4_T5_mT6_T7_P12ihipStream_tbENKUlT_T0_E_clISt17integral_constantIbLb0EESY_IbLb1EEEEDaSU_SV_EUlSU_E_NS1_11comp_targetILNS1_3genE3ELNS1_11target_archE908ELNS1_3gpuE7ELNS1_3repE0EEENS1_30default_config_static_selectorELNS0_4arch9wavefront6targetE1EEEvT1_
                                        ; -- End function
	.section	.AMDGPU.csdata,"",@progbits
; Kernel info:
; codeLenInByte = 0
; NumSgprs: 6
; NumVgprs: 0
; NumAgprs: 0
; TotalNumVgprs: 0
; ScratchSize: 0
; MemoryBound: 0
; FloatMode: 240
; IeeeMode: 1
; LDSByteSize: 0 bytes/workgroup (compile time only)
; SGPRBlocks: 0
; VGPRBlocks: 0
; NumSGPRsForWavesPerEU: 6
; NumVGPRsForWavesPerEU: 1
; AccumOffset: 4
; Occupancy: 8
; WaveLimiterHint : 0
; COMPUTE_PGM_RSRC2:SCRATCH_EN: 0
; COMPUTE_PGM_RSRC2:USER_SGPR: 2
; COMPUTE_PGM_RSRC2:TRAP_HANDLER: 0
; COMPUTE_PGM_RSRC2:TGID_X_EN: 1
; COMPUTE_PGM_RSRC2:TGID_Y_EN: 0
; COMPUTE_PGM_RSRC2:TGID_Z_EN: 0
; COMPUTE_PGM_RSRC2:TIDIG_COMP_CNT: 0
; COMPUTE_PGM_RSRC3_GFX90A:ACCUM_OFFSET: 0
; COMPUTE_PGM_RSRC3_GFX90A:TG_SPLIT: 0
	.section	.text._ZN7rocprim17ROCPRIM_400000_NS6detail17trampoline_kernelINS0_14default_configENS1_27scan_by_key_config_selectorIxxEEZZNS1_16scan_by_key_implILNS1_25lookback_scan_determinismE0ELb1ES3_N6thrust23THRUST_200600_302600_NS6detail15normal_iteratorINS9_10device_ptrIxEEEESE_SE_xNS9_10multipliesIxEENS9_8equal_toIxEExEE10hipError_tPvRmT2_T3_T4_T5_mT6_T7_P12ihipStream_tbENKUlT_T0_E_clISt17integral_constantIbLb0EESY_IbLb1EEEEDaSU_SV_EUlSU_E_NS1_11comp_targetILNS1_3genE2ELNS1_11target_archE906ELNS1_3gpuE6ELNS1_3repE0EEENS1_30default_config_static_selectorELNS0_4arch9wavefront6targetE1EEEvT1_,"axG",@progbits,_ZN7rocprim17ROCPRIM_400000_NS6detail17trampoline_kernelINS0_14default_configENS1_27scan_by_key_config_selectorIxxEEZZNS1_16scan_by_key_implILNS1_25lookback_scan_determinismE0ELb1ES3_N6thrust23THRUST_200600_302600_NS6detail15normal_iteratorINS9_10device_ptrIxEEEESE_SE_xNS9_10multipliesIxEENS9_8equal_toIxEExEE10hipError_tPvRmT2_T3_T4_T5_mT6_T7_P12ihipStream_tbENKUlT_T0_E_clISt17integral_constantIbLb0EESY_IbLb1EEEEDaSU_SV_EUlSU_E_NS1_11comp_targetILNS1_3genE2ELNS1_11target_archE906ELNS1_3gpuE6ELNS1_3repE0EEENS1_30default_config_static_selectorELNS0_4arch9wavefront6targetE1EEEvT1_,comdat
	.protected	_ZN7rocprim17ROCPRIM_400000_NS6detail17trampoline_kernelINS0_14default_configENS1_27scan_by_key_config_selectorIxxEEZZNS1_16scan_by_key_implILNS1_25lookback_scan_determinismE0ELb1ES3_N6thrust23THRUST_200600_302600_NS6detail15normal_iteratorINS9_10device_ptrIxEEEESE_SE_xNS9_10multipliesIxEENS9_8equal_toIxEExEE10hipError_tPvRmT2_T3_T4_T5_mT6_T7_P12ihipStream_tbENKUlT_T0_E_clISt17integral_constantIbLb0EESY_IbLb1EEEEDaSU_SV_EUlSU_E_NS1_11comp_targetILNS1_3genE2ELNS1_11target_archE906ELNS1_3gpuE6ELNS1_3repE0EEENS1_30default_config_static_selectorELNS0_4arch9wavefront6targetE1EEEvT1_ ; -- Begin function _ZN7rocprim17ROCPRIM_400000_NS6detail17trampoline_kernelINS0_14default_configENS1_27scan_by_key_config_selectorIxxEEZZNS1_16scan_by_key_implILNS1_25lookback_scan_determinismE0ELb1ES3_N6thrust23THRUST_200600_302600_NS6detail15normal_iteratorINS9_10device_ptrIxEEEESE_SE_xNS9_10multipliesIxEENS9_8equal_toIxEExEE10hipError_tPvRmT2_T3_T4_T5_mT6_T7_P12ihipStream_tbENKUlT_T0_E_clISt17integral_constantIbLb0EESY_IbLb1EEEEDaSU_SV_EUlSU_E_NS1_11comp_targetILNS1_3genE2ELNS1_11target_archE906ELNS1_3gpuE6ELNS1_3repE0EEENS1_30default_config_static_selectorELNS0_4arch9wavefront6targetE1EEEvT1_
	.globl	_ZN7rocprim17ROCPRIM_400000_NS6detail17trampoline_kernelINS0_14default_configENS1_27scan_by_key_config_selectorIxxEEZZNS1_16scan_by_key_implILNS1_25lookback_scan_determinismE0ELb1ES3_N6thrust23THRUST_200600_302600_NS6detail15normal_iteratorINS9_10device_ptrIxEEEESE_SE_xNS9_10multipliesIxEENS9_8equal_toIxEExEE10hipError_tPvRmT2_T3_T4_T5_mT6_T7_P12ihipStream_tbENKUlT_T0_E_clISt17integral_constantIbLb0EESY_IbLb1EEEEDaSU_SV_EUlSU_E_NS1_11comp_targetILNS1_3genE2ELNS1_11target_archE906ELNS1_3gpuE6ELNS1_3repE0EEENS1_30default_config_static_selectorELNS0_4arch9wavefront6targetE1EEEvT1_
	.p2align	8
	.type	_ZN7rocprim17ROCPRIM_400000_NS6detail17trampoline_kernelINS0_14default_configENS1_27scan_by_key_config_selectorIxxEEZZNS1_16scan_by_key_implILNS1_25lookback_scan_determinismE0ELb1ES3_N6thrust23THRUST_200600_302600_NS6detail15normal_iteratorINS9_10device_ptrIxEEEESE_SE_xNS9_10multipliesIxEENS9_8equal_toIxEExEE10hipError_tPvRmT2_T3_T4_T5_mT6_T7_P12ihipStream_tbENKUlT_T0_E_clISt17integral_constantIbLb0EESY_IbLb1EEEEDaSU_SV_EUlSU_E_NS1_11comp_targetILNS1_3genE2ELNS1_11target_archE906ELNS1_3gpuE6ELNS1_3repE0EEENS1_30default_config_static_selectorELNS0_4arch9wavefront6targetE1EEEvT1_,@function
_ZN7rocprim17ROCPRIM_400000_NS6detail17trampoline_kernelINS0_14default_configENS1_27scan_by_key_config_selectorIxxEEZZNS1_16scan_by_key_implILNS1_25lookback_scan_determinismE0ELb1ES3_N6thrust23THRUST_200600_302600_NS6detail15normal_iteratorINS9_10device_ptrIxEEEESE_SE_xNS9_10multipliesIxEENS9_8equal_toIxEExEE10hipError_tPvRmT2_T3_T4_T5_mT6_T7_P12ihipStream_tbENKUlT_T0_E_clISt17integral_constantIbLb0EESY_IbLb1EEEEDaSU_SV_EUlSU_E_NS1_11comp_targetILNS1_3genE2ELNS1_11target_archE906ELNS1_3gpuE6ELNS1_3repE0EEENS1_30default_config_static_selectorELNS0_4arch9wavefront6targetE1EEEvT1_: ; @_ZN7rocprim17ROCPRIM_400000_NS6detail17trampoline_kernelINS0_14default_configENS1_27scan_by_key_config_selectorIxxEEZZNS1_16scan_by_key_implILNS1_25lookback_scan_determinismE0ELb1ES3_N6thrust23THRUST_200600_302600_NS6detail15normal_iteratorINS9_10device_ptrIxEEEESE_SE_xNS9_10multipliesIxEENS9_8equal_toIxEExEE10hipError_tPvRmT2_T3_T4_T5_mT6_T7_P12ihipStream_tbENKUlT_T0_E_clISt17integral_constantIbLb0EESY_IbLb1EEEEDaSU_SV_EUlSU_E_NS1_11comp_targetILNS1_3genE2ELNS1_11target_archE906ELNS1_3gpuE6ELNS1_3repE0EEENS1_30default_config_static_selectorELNS0_4arch9wavefront6targetE1EEEvT1_
; %bb.0:
	.section	.rodata,"a",@progbits
	.p2align	6, 0x0
	.amdhsa_kernel _ZN7rocprim17ROCPRIM_400000_NS6detail17trampoline_kernelINS0_14default_configENS1_27scan_by_key_config_selectorIxxEEZZNS1_16scan_by_key_implILNS1_25lookback_scan_determinismE0ELb1ES3_N6thrust23THRUST_200600_302600_NS6detail15normal_iteratorINS9_10device_ptrIxEEEESE_SE_xNS9_10multipliesIxEENS9_8equal_toIxEExEE10hipError_tPvRmT2_T3_T4_T5_mT6_T7_P12ihipStream_tbENKUlT_T0_E_clISt17integral_constantIbLb0EESY_IbLb1EEEEDaSU_SV_EUlSU_E_NS1_11comp_targetILNS1_3genE2ELNS1_11target_archE906ELNS1_3gpuE6ELNS1_3repE0EEENS1_30default_config_static_selectorELNS0_4arch9wavefront6targetE1EEEvT1_
		.amdhsa_group_segment_fixed_size 0
		.amdhsa_private_segment_fixed_size 0
		.amdhsa_kernarg_size 136
		.amdhsa_user_sgpr_count 2
		.amdhsa_user_sgpr_dispatch_ptr 0
		.amdhsa_user_sgpr_queue_ptr 0
		.amdhsa_user_sgpr_kernarg_segment_ptr 1
		.amdhsa_user_sgpr_dispatch_id 0
		.amdhsa_user_sgpr_kernarg_preload_length 0
		.amdhsa_user_sgpr_kernarg_preload_offset 0
		.amdhsa_user_sgpr_private_segment_size 0
		.amdhsa_uses_dynamic_stack 0
		.amdhsa_enable_private_segment 0
		.amdhsa_system_sgpr_workgroup_id_x 1
		.amdhsa_system_sgpr_workgroup_id_y 0
		.amdhsa_system_sgpr_workgroup_id_z 0
		.amdhsa_system_sgpr_workgroup_info 0
		.amdhsa_system_vgpr_workitem_id 0
		.amdhsa_next_free_vgpr 1
		.amdhsa_next_free_sgpr 0
		.amdhsa_accum_offset 4
		.amdhsa_reserve_vcc 0
		.amdhsa_float_round_mode_32 0
		.amdhsa_float_round_mode_16_64 0
		.amdhsa_float_denorm_mode_32 3
		.amdhsa_float_denorm_mode_16_64 3
		.amdhsa_dx10_clamp 1
		.amdhsa_ieee_mode 1
		.amdhsa_fp16_overflow 0
		.amdhsa_tg_split 0
		.amdhsa_exception_fp_ieee_invalid_op 0
		.amdhsa_exception_fp_denorm_src 0
		.amdhsa_exception_fp_ieee_div_zero 0
		.amdhsa_exception_fp_ieee_overflow 0
		.amdhsa_exception_fp_ieee_underflow 0
		.amdhsa_exception_fp_ieee_inexact 0
		.amdhsa_exception_int_div_zero 0
	.end_amdhsa_kernel
	.section	.text._ZN7rocprim17ROCPRIM_400000_NS6detail17trampoline_kernelINS0_14default_configENS1_27scan_by_key_config_selectorIxxEEZZNS1_16scan_by_key_implILNS1_25lookback_scan_determinismE0ELb1ES3_N6thrust23THRUST_200600_302600_NS6detail15normal_iteratorINS9_10device_ptrIxEEEESE_SE_xNS9_10multipliesIxEENS9_8equal_toIxEExEE10hipError_tPvRmT2_T3_T4_T5_mT6_T7_P12ihipStream_tbENKUlT_T0_E_clISt17integral_constantIbLb0EESY_IbLb1EEEEDaSU_SV_EUlSU_E_NS1_11comp_targetILNS1_3genE2ELNS1_11target_archE906ELNS1_3gpuE6ELNS1_3repE0EEENS1_30default_config_static_selectorELNS0_4arch9wavefront6targetE1EEEvT1_,"axG",@progbits,_ZN7rocprim17ROCPRIM_400000_NS6detail17trampoline_kernelINS0_14default_configENS1_27scan_by_key_config_selectorIxxEEZZNS1_16scan_by_key_implILNS1_25lookback_scan_determinismE0ELb1ES3_N6thrust23THRUST_200600_302600_NS6detail15normal_iteratorINS9_10device_ptrIxEEEESE_SE_xNS9_10multipliesIxEENS9_8equal_toIxEExEE10hipError_tPvRmT2_T3_T4_T5_mT6_T7_P12ihipStream_tbENKUlT_T0_E_clISt17integral_constantIbLb0EESY_IbLb1EEEEDaSU_SV_EUlSU_E_NS1_11comp_targetILNS1_3genE2ELNS1_11target_archE906ELNS1_3gpuE6ELNS1_3repE0EEENS1_30default_config_static_selectorELNS0_4arch9wavefront6targetE1EEEvT1_,comdat
.Lfunc_end421:
	.size	_ZN7rocprim17ROCPRIM_400000_NS6detail17trampoline_kernelINS0_14default_configENS1_27scan_by_key_config_selectorIxxEEZZNS1_16scan_by_key_implILNS1_25lookback_scan_determinismE0ELb1ES3_N6thrust23THRUST_200600_302600_NS6detail15normal_iteratorINS9_10device_ptrIxEEEESE_SE_xNS9_10multipliesIxEENS9_8equal_toIxEExEE10hipError_tPvRmT2_T3_T4_T5_mT6_T7_P12ihipStream_tbENKUlT_T0_E_clISt17integral_constantIbLb0EESY_IbLb1EEEEDaSU_SV_EUlSU_E_NS1_11comp_targetILNS1_3genE2ELNS1_11target_archE906ELNS1_3gpuE6ELNS1_3repE0EEENS1_30default_config_static_selectorELNS0_4arch9wavefront6targetE1EEEvT1_, .Lfunc_end421-_ZN7rocprim17ROCPRIM_400000_NS6detail17trampoline_kernelINS0_14default_configENS1_27scan_by_key_config_selectorIxxEEZZNS1_16scan_by_key_implILNS1_25lookback_scan_determinismE0ELb1ES3_N6thrust23THRUST_200600_302600_NS6detail15normal_iteratorINS9_10device_ptrIxEEEESE_SE_xNS9_10multipliesIxEENS9_8equal_toIxEExEE10hipError_tPvRmT2_T3_T4_T5_mT6_T7_P12ihipStream_tbENKUlT_T0_E_clISt17integral_constantIbLb0EESY_IbLb1EEEEDaSU_SV_EUlSU_E_NS1_11comp_targetILNS1_3genE2ELNS1_11target_archE906ELNS1_3gpuE6ELNS1_3repE0EEENS1_30default_config_static_selectorELNS0_4arch9wavefront6targetE1EEEvT1_
                                        ; -- End function
	.section	.AMDGPU.csdata,"",@progbits
; Kernel info:
; codeLenInByte = 0
; NumSgprs: 6
; NumVgprs: 0
; NumAgprs: 0
; TotalNumVgprs: 0
; ScratchSize: 0
; MemoryBound: 0
; FloatMode: 240
; IeeeMode: 1
; LDSByteSize: 0 bytes/workgroup (compile time only)
; SGPRBlocks: 0
; VGPRBlocks: 0
; NumSGPRsForWavesPerEU: 6
; NumVGPRsForWavesPerEU: 1
; AccumOffset: 4
; Occupancy: 8
; WaveLimiterHint : 0
; COMPUTE_PGM_RSRC2:SCRATCH_EN: 0
; COMPUTE_PGM_RSRC2:USER_SGPR: 2
; COMPUTE_PGM_RSRC2:TRAP_HANDLER: 0
; COMPUTE_PGM_RSRC2:TGID_X_EN: 1
; COMPUTE_PGM_RSRC2:TGID_Y_EN: 0
; COMPUTE_PGM_RSRC2:TGID_Z_EN: 0
; COMPUTE_PGM_RSRC2:TIDIG_COMP_CNT: 0
; COMPUTE_PGM_RSRC3_GFX90A:ACCUM_OFFSET: 0
; COMPUTE_PGM_RSRC3_GFX90A:TG_SPLIT: 0
	.section	.text._ZN7rocprim17ROCPRIM_400000_NS6detail17trampoline_kernelINS0_14default_configENS1_27scan_by_key_config_selectorIxxEEZZNS1_16scan_by_key_implILNS1_25lookback_scan_determinismE0ELb1ES3_N6thrust23THRUST_200600_302600_NS6detail15normal_iteratorINS9_10device_ptrIxEEEESE_SE_xNS9_10multipliesIxEENS9_8equal_toIxEExEE10hipError_tPvRmT2_T3_T4_T5_mT6_T7_P12ihipStream_tbENKUlT_T0_E_clISt17integral_constantIbLb0EESY_IbLb1EEEEDaSU_SV_EUlSU_E_NS1_11comp_targetILNS1_3genE10ELNS1_11target_archE1200ELNS1_3gpuE4ELNS1_3repE0EEENS1_30default_config_static_selectorELNS0_4arch9wavefront6targetE1EEEvT1_,"axG",@progbits,_ZN7rocprim17ROCPRIM_400000_NS6detail17trampoline_kernelINS0_14default_configENS1_27scan_by_key_config_selectorIxxEEZZNS1_16scan_by_key_implILNS1_25lookback_scan_determinismE0ELb1ES3_N6thrust23THRUST_200600_302600_NS6detail15normal_iteratorINS9_10device_ptrIxEEEESE_SE_xNS9_10multipliesIxEENS9_8equal_toIxEExEE10hipError_tPvRmT2_T3_T4_T5_mT6_T7_P12ihipStream_tbENKUlT_T0_E_clISt17integral_constantIbLb0EESY_IbLb1EEEEDaSU_SV_EUlSU_E_NS1_11comp_targetILNS1_3genE10ELNS1_11target_archE1200ELNS1_3gpuE4ELNS1_3repE0EEENS1_30default_config_static_selectorELNS0_4arch9wavefront6targetE1EEEvT1_,comdat
	.protected	_ZN7rocprim17ROCPRIM_400000_NS6detail17trampoline_kernelINS0_14default_configENS1_27scan_by_key_config_selectorIxxEEZZNS1_16scan_by_key_implILNS1_25lookback_scan_determinismE0ELb1ES3_N6thrust23THRUST_200600_302600_NS6detail15normal_iteratorINS9_10device_ptrIxEEEESE_SE_xNS9_10multipliesIxEENS9_8equal_toIxEExEE10hipError_tPvRmT2_T3_T4_T5_mT6_T7_P12ihipStream_tbENKUlT_T0_E_clISt17integral_constantIbLb0EESY_IbLb1EEEEDaSU_SV_EUlSU_E_NS1_11comp_targetILNS1_3genE10ELNS1_11target_archE1200ELNS1_3gpuE4ELNS1_3repE0EEENS1_30default_config_static_selectorELNS0_4arch9wavefront6targetE1EEEvT1_ ; -- Begin function _ZN7rocprim17ROCPRIM_400000_NS6detail17trampoline_kernelINS0_14default_configENS1_27scan_by_key_config_selectorIxxEEZZNS1_16scan_by_key_implILNS1_25lookback_scan_determinismE0ELb1ES3_N6thrust23THRUST_200600_302600_NS6detail15normal_iteratorINS9_10device_ptrIxEEEESE_SE_xNS9_10multipliesIxEENS9_8equal_toIxEExEE10hipError_tPvRmT2_T3_T4_T5_mT6_T7_P12ihipStream_tbENKUlT_T0_E_clISt17integral_constantIbLb0EESY_IbLb1EEEEDaSU_SV_EUlSU_E_NS1_11comp_targetILNS1_3genE10ELNS1_11target_archE1200ELNS1_3gpuE4ELNS1_3repE0EEENS1_30default_config_static_selectorELNS0_4arch9wavefront6targetE1EEEvT1_
	.globl	_ZN7rocprim17ROCPRIM_400000_NS6detail17trampoline_kernelINS0_14default_configENS1_27scan_by_key_config_selectorIxxEEZZNS1_16scan_by_key_implILNS1_25lookback_scan_determinismE0ELb1ES3_N6thrust23THRUST_200600_302600_NS6detail15normal_iteratorINS9_10device_ptrIxEEEESE_SE_xNS9_10multipliesIxEENS9_8equal_toIxEExEE10hipError_tPvRmT2_T3_T4_T5_mT6_T7_P12ihipStream_tbENKUlT_T0_E_clISt17integral_constantIbLb0EESY_IbLb1EEEEDaSU_SV_EUlSU_E_NS1_11comp_targetILNS1_3genE10ELNS1_11target_archE1200ELNS1_3gpuE4ELNS1_3repE0EEENS1_30default_config_static_selectorELNS0_4arch9wavefront6targetE1EEEvT1_
	.p2align	8
	.type	_ZN7rocprim17ROCPRIM_400000_NS6detail17trampoline_kernelINS0_14default_configENS1_27scan_by_key_config_selectorIxxEEZZNS1_16scan_by_key_implILNS1_25lookback_scan_determinismE0ELb1ES3_N6thrust23THRUST_200600_302600_NS6detail15normal_iteratorINS9_10device_ptrIxEEEESE_SE_xNS9_10multipliesIxEENS9_8equal_toIxEExEE10hipError_tPvRmT2_T3_T4_T5_mT6_T7_P12ihipStream_tbENKUlT_T0_E_clISt17integral_constantIbLb0EESY_IbLb1EEEEDaSU_SV_EUlSU_E_NS1_11comp_targetILNS1_3genE10ELNS1_11target_archE1200ELNS1_3gpuE4ELNS1_3repE0EEENS1_30default_config_static_selectorELNS0_4arch9wavefront6targetE1EEEvT1_,@function
_ZN7rocprim17ROCPRIM_400000_NS6detail17trampoline_kernelINS0_14default_configENS1_27scan_by_key_config_selectorIxxEEZZNS1_16scan_by_key_implILNS1_25lookback_scan_determinismE0ELb1ES3_N6thrust23THRUST_200600_302600_NS6detail15normal_iteratorINS9_10device_ptrIxEEEESE_SE_xNS9_10multipliesIxEENS9_8equal_toIxEExEE10hipError_tPvRmT2_T3_T4_T5_mT6_T7_P12ihipStream_tbENKUlT_T0_E_clISt17integral_constantIbLb0EESY_IbLb1EEEEDaSU_SV_EUlSU_E_NS1_11comp_targetILNS1_3genE10ELNS1_11target_archE1200ELNS1_3gpuE4ELNS1_3repE0EEENS1_30default_config_static_selectorELNS0_4arch9wavefront6targetE1EEEvT1_: ; @_ZN7rocprim17ROCPRIM_400000_NS6detail17trampoline_kernelINS0_14default_configENS1_27scan_by_key_config_selectorIxxEEZZNS1_16scan_by_key_implILNS1_25lookback_scan_determinismE0ELb1ES3_N6thrust23THRUST_200600_302600_NS6detail15normal_iteratorINS9_10device_ptrIxEEEESE_SE_xNS9_10multipliesIxEENS9_8equal_toIxEExEE10hipError_tPvRmT2_T3_T4_T5_mT6_T7_P12ihipStream_tbENKUlT_T0_E_clISt17integral_constantIbLb0EESY_IbLb1EEEEDaSU_SV_EUlSU_E_NS1_11comp_targetILNS1_3genE10ELNS1_11target_archE1200ELNS1_3gpuE4ELNS1_3repE0EEENS1_30default_config_static_selectorELNS0_4arch9wavefront6targetE1EEEvT1_
; %bb.0:
	.section	.rodata,"a",@progbits
	.p2align	6, 0x0
	.amdhsa_kernel _ZN7rocprim17ROCPRIM_400000_NS6detail17trampoline_kernelINS0_14default_configENS1_27scan_by_key_config_selectorIxxEEZZNS1_16scan_by_key_implILNS1_25lookback_scan_determinismE0ELb1ES3_N6thrust23THRUST_200600_302600_NS6detail15normal_iteratorINS9_10device_ptrIxEEEESE_SE_xNS9_10multipliesIxEENS9_8equal_toIxEExEE10hipError_tPvRmT2_T3_T4_T5_mT6_T7_P12ihipStream_tbENKUlT_T0_E_clISt17integral_constantIbLb0EESY_IbLb1EEEEDaSU_SV_EUlSU_E_NS1_11comp_targetILNS1_3genE10ELNS1_11target_archE1200ELNS1_3gpuE4ELNS1_3repE0EEENS1_30default_config_static_selectorELNS0_4arch9wavefront6targetE1EEEvT1_
		.amdhsa_group_segment_fixed_size 0
		.amdhsa_private_segment_fixed_size 0
		.amdhsa_kernarg_size 136
		.amdhsa_user_sgpr_count 2
		.amdhsa_user_sgpr_dispatch_ptr 0
		.amdhsa_user_sgpr_queue_ptr 0
		.amdhsa_user_sgpr_kernarg_segment_ptr 1
		.amdhsa_user_sgpr_dispatch_id 0
		.amdhsa_user_sgpr_kernarg_preload_length 0
		.amdhsa_user_sgpr_kernarg_preload_offset 0
		.amdhsa_user_sgpr_private_segment_size 0
		.amdhsa_uses_dynamic_stack 0
		.amdhsa_enable_private_segment 0
		.amdhsa_system_sgpr_workgroup_id_x 1
		.amdhsa_system_sgpr_workgroup_id_y 0
		.amdhsa_system_sgpr_workgroup_id_z 0
		.amdhsa_system_sgpr_workgroup_info 0
		.amdhsa_system_vgpr_workitem_id 0
		.amdhsa_next_free_vgpr 1
		.amdhsa_next_free_sgpr 0
		.amdhsa_accum_offset 4
		.amdhsa_reserve_vcc 0
		.amdhsa_float_round_mode_32 0
		.amdhsa_float_round_mode_16_64 0
		.amdhsa_float_denorm_mode_32 3
		.amdhsa_float_denorm_mode_16_64 3
		.amdhsa_dx10_clamp 1
		.amdhsa_ieee_mode 1
		.amdhsa_fp16_overflow 0
		.amdhsa_tg_split 0
		.amdhsa_exception_fp_ieee_invalid_op 0
		.amdhsa_exception_fp_denorm_src 0
		.amdhsa_exception_fp_ieee_div_zero 0
		.amdhsa_exception_fp_ieee_overflow 0
		.amdhsa_exception_fp_ieee_underflow 0
		.amdhsa_exception_fp_ieee_inexact 0
		.amdhsa_exception_int_div_zero 0
	.end_amdhsa_kernel
	.section	.text._ZN7rocprim17ROCPRIM_400000_NS6detail17trampoline_kernelINS0_14default_configENS1_27scan_by_key_config_selectorIxxEEZZNS1_16scan_by_key_implILNS1_25lookback_scan_determinismE0ELb1ES3_N6thrust23THRUST_200600_302600_NS6detail15normal_iteratorINS9_10device_ptrIxEEEESE_SE_xNS9_10multipliesIxEENS9_8equal_toIxEExEE10hipError_tPvRmT2_T3_T4_T5_mT6_T7_P12ihipStream_tbENKUlT_T0_E_clISt17integral_constantIbLb0EESY_IbLb1EEEEDaSU_SV_EUlSU_E_NS1_11comp_targetILNS1_3genE10ELNS1_11target_archE1200ELNS1_3gpuE4ELNS1_3repE0EEENS1_30default_config_static_selectorELNS0_4arch9wavefront6targetE1EEEvT1_,"axG",@progbits,_ZN7rocprim17ROCPRIM_400000_NS6detail17trampoline_kernelINS0_14default_configENS1_27scan_by_key_config_selectorIxxEEZZNS1_16scan_by_key_implILNS1_25lookback_scan_determinismE0ELb1ES3_N6thrust23THRUST_200600_302600_NS6detail15normal_iteratorINS9_10device_ptrIxEEEESE_SE_xNS9_10multipliesIxEENS9_8equal_toIxEExEE10hipError_tPvRmT2_T3_T4_T5_mT6_T7_P12ihipStream_tbENKUlT_T0_E_clISt17integral_constantIbLb0EESY_IbLb1EEEEDaSU_SV_EUlSU_E_NS1_11comp_targetILNS1_3genE10ELNS1_11target_archE1200ELNS1_3gpuE4ELNS1_3repE0EEENS1_30default_config_static_selectorELNS0_4arch9wavefront6targetE1EEEvT1_,comdat
.Lfunc_end422:
	.size	_ZN7rocprim17ROCPRIM_400000_NS6detail17trampoline_kernelINS0_14default_configENS1_27scan_by_key_config_selectorIxxEEZZNS1_16scan_by_key_implILNS1_25lookback_scan_determinismE0ELb1ES3_N6thrust23THRUST_200600_302600_NS6detail15normal_iteratorINS9_10device_ptrIxEEEESE_SE_xNS9_10multipliesIxEENS9_8equal_toIxEExEE10hipError_tPvRmT2_T3_T4_T5_mT6_T7_P12ihipStream_tbENKUlT_T0_E_clISt17integral_constantIbLb0EESY_IbLb1EEEEDaSU_SV_EUlSU_E_NS1_11comp_targetILNS1_3genE10ELNS1_11target_archE1200ELNS1_3gpuE4ELNS1_3repE0EEENS1_30default_config_static_selectorELNS0_4arch9wavefront6targetE1EEEvT1_, .Lfunc_end422-_ZN7rocprim17ROCPRIM_400000_NS6detail17trampoline_kernelINS0_14default_configENS1_27scan_by_key_config_selectorIxxEEZZNS1_16scan_by_key_implILNS1_25lookback_scan_determinismE0ELb1ES3_N6thrust23THRUST_200600_302600_NS6detail15normal_iteratorINS9_10device_ptrIxEEEESE_SE_xNS9_10multipliesIxEENS9_8equal_toIxEExEE10hipError_tPvRmT2_T3_T4_T5_mT6_T7_P12ihipStream_tbENKUlT_T0_E_clISt17integral_constantIbLb0EESY_IbLb1EEEEDaSU_SV_EUlSU_E_NS1_11comp_targetILNS1_3genE10ELNS1_11target_archE1200ELNS1_3gpuE4ELNS1_3repE0EEENS1_30default_config_static_selectorELNS0_4arch9wavefront6targetE1EEEvT1_
                                        ; -- End function
	.section	.AMDGPU.csdata,"",@progbits
; Kernel info:
; codeLenInByte = 0
; NumSgprs: 6
; NumVgprs: 0
; NumAgprs: 0
; TotalNumVgprs: 0
; ScratchSize: 0
; MemoryBound: 0
; FloatMode: 240
; IeeeMode: 1
; LDSByteSize: 0 bytes/workgroup (compile time only)
; SGPRBlocks: 0
; VGPRBlocks: 0
; NumSGPRsForWavesPerEU: 6
; NumVGPRsForWavesPerEU: 1
; AccumOffset: 4
; Occupancy: 8
; WaveLimiterHint : 0
; COMPUTE_PGM_RSRC2:SCRATCH_EN: 0
; COMPUTE_PGM_RSRC2:USER_SGPR: 2
; COMPUTE_PGM_RSRC2:TRAP_HANDLER: 0
; COMPUTE_PGM_RSRC2:TGID_X_EN: 1
; COMPUTE_PGM_RSRC2:TGID_Y_EN: 0
; COMPUTE_PGM_RSRC2:TGID_Z_EN: 0
; COMPUTE_PGM_RSRC2:TIDIG_COMP_CNT: 0
; COMPUTE_PGM_RSRC3_GFX90A:ACCUM_OFFSET: 0
; COMPUTE_PGM_RSRC3_GFX90A:TG_SPLIT: 0
	.section	.text._ZN7rocprim17ROCPRIM_400000_NS6detail17trampoline_kernelINS0_14default_configENS1_27scan_by_key_config_selectorIxxEEZZNS1_16scan_by_key_implILNS1_25lookback_scan_determinismE0ELb1ES3_N6thrust23THRUST_200600_302600_NS6detail15normal_iteratorINS9_10device_ptrIxEEEESE_SE_xNS9_10multipliesIxEENS9_8equal_toIxEExEE10hipError_tPvRmT2_T3_T4_T5_mT6_T7_P12ihipStream_tbENKUlT_T0_E_clISt17integral_constantIbLb0EESY_IbLb1EEEEDaSU_SV_EUlSU_E_NS1_11comp_targetILNS1_3genE9ELNS1_11target_archE1100ELNS1_3gpuE3ELNS1_3repE0EEENS1_30default_config_static_selectorELNS0_4arch9wavefront6targetE1EEEvT1_,"axG",@progbits,_ZN7rocprim17ROCPRIM_400000_NS6detail17trampoline_kernelINS0_14default_configENS1_27scan_by_key_config_selectorIxxEEZZNS1_16scan_by_key_implILNS1_25lookback_scan_determinismE0ELb1ES3_N6thrust23THRUST_200600_302600_NS6detail15normal_iteratorINS9_10device_ptrIxEEEESE_SE_xNS9_10multipliesIxEENS9_8equal_toIxEExEE10hipError_tPvRmT2_T3_T4_T5_mT6_T7_P12ihipStream_tbENKUlT_T0_E_clISt17integral_constantIbLb0EESY_IbLb1EEEEDaSU_SV_EUlSU_E_NS1_11comp_targetILNS1_3genE9ELNS1_11target_archE1100ELNS1_3gpuE3ELNS1_3repE0EEENS1_30default_config_static_selectorELNS0_4arch9wavefront6targetE1EEEvT1_,comdat
	.protected	_ZN7rocprim17ROCPRIM_400000_NS6detail17trampoline_kernelINS0_14default_configENS1_27scan_by_key_config_selectorIxxEEZZNS1_16scan_by_key_implILNS1_25lookback_scan_determinismE0ELb1ES3_N6thrust23THRUST_200600_302600_NS6detail15normal_iteratorINS9_10device_ptrIxEEEESE_SE_xNS9_10multipliesIxEENS9_8equal_toIxEExEE10hipError_tPvRmT2_T3_T4_T5_mT6_T7_P12ihipStream_tbENKUlT_T0_E_clISt17integral_constantIbLb0EESY_IbLb1EEEEDaSU_SV_EUlSU_E_NS1_11comp_targetILNS1_3genE9ELNS1_11target_archE1100ELNS1_3gpuE3ELNS1_3repE0EEENS1_30default_config_static_selectorELNS0_4arch9wavefront6targetE1EEEvT1_ ; -- Begin function _ZN7rocprim17ROCPRIM_400000_NS6detail17trampoline_kernelINS0_14default_configENS1_27scan_by_key_config_selectorIxxEEZZNS1_16scan_by_key_implILNS1_25lookback_scan_determinismE0ELb1ES3_N6thrust23THRUST_200600_302600_NS6detail15normal_iteratorINS9_10device_ptrIxEEEESE_SE_xNS9_10multipliesIxEENS9_8equal_toIxEExEE10hipError_tPvRmT2_T3_T4_T5_mT6_T7_P12ihipStream_tbENKUlT_T0_E_clISt17integral_constantIbLb0EESY_IbLb1EEEEDaSU_SV_EUlSU_E_NS1_11comp_targetILNS1_3genE9ELNS1_11target_archE1100ELNS1_3gpuE3ELNS1_3repE0EEENS1_30default_config_static_selectorELNS0_4arch9wavefront6targetE1EEEvT1_
	.globl	_ZN7rocprim17ROCPRIM_400000_NS6detail17trampoline_kernelINS0_14default_configENS1_27scan_by_key_config_selectorIxxEEZZNS1_16scan_by_key_implILNS1_25lookback_scan_determinismE0ELb1ES3_N6thrust23THRUST_200600_302600_NS6detail15normal_iteratorINS9_10device_ptrIxEEEESE_SE_xNS9_10multipliesIxEENS9_8equal_toIxEExEE10hipError_tPvRmT2_T3_T4_T5_mT6_T7_P12ihipStream_tbENKUlT_T0_E_clISt17integral_constantIbLb0EESY_IbLb1EEEEDaSU_SV_EUlSU_E_NS1_11comp_targetILNS1_3genE9ELNS1_11target_archE1100ELNS1_3gpuE3ELNS1_3repE0EEENS1_30default_config_static_selectorELNS0_4arch9wavefront6targetE1EEEvT1_
	.p2align	8
	.type	_ZN7rocprim17ROCPRIM_400000_NS6detail17trampoline_kernelINS0_14default_configENS1_27scan_by_key_config_selectorIxxEEZZNS1_16scan_by_key_implILNS1_25lookback_scan_determinismE0ELb1ES3_N6thrust23THRUST_200600_302600_NS6detail15normal_iteratorINS9_10device_ptrIxEEEESE_SE_xNS9_10multipliesIxEENS9_8equal_toIxEExEE10hipError_tPvRmT2_T3_T4_T5_mT6_T7_P12ihipStream_tbENKUlT_T0_E_clISt17integral_constantIbLb0EESY_IbLb1EEEEDaSU_SV_EUlSU_E_NS1_11comp_targetILNS1_3genE9ELNS1_11target_archE1100ELNS1_3gpuE3ELNS1_3repE0EEENS1_30default_config_static_selectorELNS0_4arch9wavefront6targetE1EEEvT1_,@function
_ZN7rocprim17ROCPRIM_400000_NS6detail17trampoline_kernelINS0_14default_configENS1_27scan_by_key_config_selectorIxxEEZZNS1_16scan_by_key_implILNS1_25lookback_scan_determinismE0ELb1ES3_N6thrust23THRUST_200600_302600_NS6detail15normal_iteratorINS9_10device_ptrIxEEEESE_SE_xNS9_10multipliesIxEENS9_8equal_toIxEExEE10hipError_tPvRmT2_T3_T4_T5_mT6_T7_P12ihipStream_tbENKUlT_T0_E_clISt17integral_constantIbLb0EESY_IbLb1EEEEDaSU_SV_EUlSU_E_NS1_11comp_targetILNS1_3genE9ELNS1_11target_archE1100ELNS1_3gpuE3ELNS1_3repE0EEENS1_30default_config_static_selectorELNS0_4arch9wavefront6targetE1EEEvT1_: ; @_ZN7rocprim17ROCPRIM_400000_NS6detail17trampoline_kernelINS0_14default_configENS1_27scan_by_key_config_selectorIxxEEZZNS1_16scan_by_key_implILNS1_25lookback_scan_determinismE0ELb1ES3_N6thrust23THRUST_200600_302600_NS6detail15normal_iteratorINS9_10device_ptrIxEEEESE_SE_xNS9_10multipliesIxEENS9_8equal_toIxEExEE10hipError_tPvRmT2_T3_T4_T5_mT6_T7_P12ihipStream_tbENKUlT_T0_E_clISt17integral_constantIbLb0EESY_IbLb1EEEEDaSU_SV_EUlSU_E_NS1_11comp_targetILNS1_3genE9ELNS1_11target_archE1100ELNS1_3gpuE3ELNS1_3repE0EEENS1_30default_config_static_selectorELNS0_4arch9wavefront6targetE1EEEvT1_
; %bb.0:
	.section	.rodata,"a",@progbits
	.p2align	6, 0x0
	.amdhsa_kernel _ZN7rocprim17ROCPRIM_400000_NS6detail17trampoline_kernelINS0_14default_configENS1_27scan_by_key_config_selectorIxxEEZZNS1_16scan_by_key_implILNS1_25lookback_scan_determinismE0ELb1ES3_N6thrust23THRUST_200600_302600_NS6detail15normal_iteratorINS9_10device_ptrIxEEEESE_SE_xNS9_10multipliesIxEENS9_8equal_toIxEExEE10hipError_tPvRmT2_T3_T4_T5_mT6_T7_P12ihipStream_tbENKUlT_T0_E_clISt17integral_constantIbLb0EESY_IbLb1EEEEDaSU_SV_EUlSU_E_NS1_11comp_targetILNS1_3genE9ELNS1_11target_archE1100ELNS1_3gpuE3ELNS1_3repE0EEENS1_30default_config_static_selectorELNS0_4arch9wavefront6targetE1EEEvT1_
		.amdhsa_group_segment_fixed_size 0
		.amdhsa_private_segment_fixed_size 0
		.amdhsa_kernarg_size 136
		.amdhsa_user_sgpr_count 2
		.amdhsa_user_sgpr_dispatch_ptr 0
		.amdhsa_user_sgpr_queue_ptr 0
		.amdhsa_user_sgpr_kernarg_segment_ptr 1
		.amdhsa_user_sgpr_dispatch_id 0
		.amdhsa_user_sgpr_kernarg_preload_length 0
		.amdhsa_user_sgpr_kernarg_preload_offset 0
		.amdhsa_user_sgpr_private_segment_size 0
		.amdhsa_uses_dynamic_stack 0
		.amdhsa_enable_private_segment 0
		.amdhsa_system_sgpr_workgroup_id_x 1
		.amdhsa_system_sgpr_workgroup_id_y 0
		.amdhsa_system_sgpr_workgroup_id_z 0
		.amdhsa_system_sgpr_workgroup_info 0
		.amdhsa_system_vgpr_workitem_id 0
		.amdhsa_next_free_vgpr 1
		.amdhsa_next_free_sgpr 0
		.amdhsa_accum_offset 4
		.amdhsa_reserve_vcc 0
		.amdhsa_float_round_mode_32 0
		.amdhsa_float_round_mode_16_64 0
		.amdhsa_float_denorm_mode_32 3
		.amdhsa_float_denorm_mode_16_64 3
		.amdhsa_dx10_clamp 1
		.amdhsa_ieee_mode 1
		.amdhsa_fp16_overflow 0
		.amdhsa_tg_split 0
		.amdhsa_exception_fp_ieee_invalid_op 0
		.amdhsa_exception_fp_denorm_src 0
		.amdhsa_exception_fp_ieee_div_zero 0
		.amdhsa_exception_fp_ieee_overflow 0
		.amdhsa_exception_fp_ieee_underflow 0
		.amdhsa_exception_fp_ieee_inexact 0
		.amdhsa_exception_int_div_zero 0
	.end_amdhsa_kernel
	.section	.text._ZN7rocprim17ROCPRIM_400000_NS6detail17trampoline_kernelINS0_14default_configENS1_27scan_by_key_config_selectorIxxEEZZNS1_16scan_by_key_implILNS1_25lookback_scan_determinismE0ELb1ES3_N6thrust23THRUST_200600_302600_NS6detail15normal_iteratorINS9_10device_ptrIxEEEESE_SE_xNS9_10multipliesIxEENS9_8equal_toIxEExEE10hipError_tPvRmT2_T3_T4_T5_mT6_T7_P12ihipStream_tbENKUlT_T0_E_clISt17integral_constantIbLb0EESY_IbLb1EEEEDaSU_SV_EUlSU_E_NS1_11comp_targetILNS1_3genE9ELNS1_11target_archE1100ELNS1_3gpuE3ELNS1_3repE0EEENS1_30default_config_static_selectorELNS0_4arch9wavefront6targetE1EEEvT1_,"axG",@progbits,_ZN7rocprim17ROCPRIM_400000_NS6detail17trampoline_kernelINS0_14default_configENS1_27scan_by_key_config_selectorIxxEEZZNS1_16scan_by_key_implILNS1_25lookback_scan_determinismE0ELb1ES3_N6thrust23THRUST_200600_302600_NS6detail15normal_iteratorINS9_10device_ptrIxEEEESE_SE_xNS9_10multipliesIxEENS9_8equal_toIxEExEE10hipError_tPvRmT2_T3_T4_T5_mT6_T7_P12ihipStream_tbENKUlT_T0_E_clISt17integral_constantIbLb0EESY_IbLb1EEEEDaSU_SV_EUlSU_E_NS1_11comp_targetILNS1_3genE9ELNS1_11target_archE1100ELNS1_3gpuE3ELNS1_3repE0EEENS1_30default_config_static_selectorELNS0_4arch9wavefront6targetE1EEEvT1_,comdat
.Lfunc_end423:
	.size	_ZN7rocprim17ROCPRIM_400000_NS6detail17trampoline_kernelINS0_14default_configENS1_27scan_by_key_config_selectorIxxEEZZNS1_16scan_by_key_implILNS1_25lookback_scan_determinismE0ELb1ES3_N6thrust23THRUST_200600_302600_NS6detail15normal_iteratorINS9_10device_ptrIxEEEESE_SE_xNS9_10multipliesIxEENS9_8equal_toIxEExEE10hipError_tPvRmT2_T3_T4_T5_mT6_T7_P12ihipStream_tbENKUlT_T0_E_clISt17integral_constantIbLb0EESY_IbLb1EEEEDaSU_SV_EUlSU_E_NS1_11comp_targetILNS1_3genE9ELNS1_11target_archE1100ELNS1_3gpuE3ELNS1_3repE0EEENS1_30default_config_static_selectorELNS0_4arch9wavefront6targetE1EEEvT1_, .Lfunc_end423-_ZN7rocprim17ROCPRIM_400000_NS6detail17trampoline_kernelINS0_14default_configENS1_27scan_by_key_config_selectorIxxEEZZNS1_16scan_by_key_implILNS1_25lookback_scan_determinismE0ELb1ES3_N6thrust23THRUST_200600_302600_NS6detail15normal_iteratorINS9_10device_ptrIxEEEESE_SE_xNS9_10multipliesIxEENS9_8equal_toIxEExEE10hipError_tPvRmT2_T3_T4_T5_mT6_T7_P12ihipStream_tbENKUlT_T0_E_clISt17integral_constantIbLb0EESY_IbLb1EEEEDaSU_SV_EUlSU_E_NS1_11comp_targetILNS1_3genE9ELNS1_11target_archE1100ELNS1_3gpuE3ELNS1_3repE0EEENS1_30default_config_static_selectorELNS0_4arch9wavefront6targetE1EEEvT1_
                                        ; -- End function
	.section	.AMDGPU.csdata,"",@progbits
; Kernel info:
; codeLenInByte = 0
; NumSgprs: 6
; NumVgprs: 0
; NumAgprs: 0
; TotalNumVgprs: 0
; ScratchSize: 0
; MemoryBound: 0
; FloatMode: 240
; IeeeMode: 1
; LDSByteSize: 0 bytes/workgroup (compile time only)
; SGPRBlocks: 0
; VGPRBlocks: 0
; NumSGPRsForWavesPerEU: 6
; NumVGPRsForWavesPerEU: 1
; AccumOffset: 4
; Occupancy: 8
; WaveLimiterHint : 0
; COMPUTE_PGM_RSRC2:SCRATCH_EN: 0
; COMPUTE_PGM_RSRC2:USER_SGPR: 2
; COMPUTE_PGM_RSRC2:TRAP_HANDLER: 0
; COMPUTE_PGM_RSRC2:TGID_X_EN: 1
; COMPUTE_PGM_RSRC2:TGID_Y_EN: 0
; COMPUTE_PGM_RSRC2:TGID_Z_EN: 0
; COMPUTE_PGM_RSRC2:TIDIG_COMP_CNT: 0
; COMPUTE_PGM_RSRC3_GFX90A:ACCUM_OFFSET: 0
; COMPUTE_PGM_RSRC3_GFX90A:TG_SPLIT: 0
	.section	.text._ZN7rocprim17ROCPRIM_400000_NS6detail17trampoline_kernelINS0_14default_configENS1_27scan_by_key_config_selectorIxxEEZZNS1_16scan_by_key_implILNS1_25lookback_scan_determinismE0ELb1ES3_N6thrust23THRUST_200600_302600_NS6detail15normal_iteratorINS9_10device_ptrIxEEEESE_SE_xNS9_10multipliesIxEENS9_8equal_toIxEExEE10hipError_tPvRmT2_T3_T4_T5_mT6_T7_P12ihipStream_tbENKUlT_T0_E_clISt17integral_constantIbLb0EESY_IbLb1EEEEDaSU_SV_EUlSU_E_NS1_11comp_targetILNS1_3genE8ELNS1_11target_archE1030ELNS1_3gpuE2ELNS1_3repE0EEENS1_30default_config_static_selectorELNS0_4arch9wavefront6targetE1EEEvT1_,"axG",@progbits,_ZN7rocprim17ROCPRIM_400000_NS6detail17trampoline_kernelINS0_14default_configENS1_27scan_by_key_config_selectorIxxEEZZNS1_16scan_by_key_implILNS1_25lookback_scan_determinismE0ELb1ES3_N6thrust23THRUST_200600_302600_NS6detail15normal_iteratorINS9_10device_ptrIxEEEESE_SE_xNS9_10multipliesIxEENS9_8equal_toIxEExEE10hipError_tPvRmT2_T3_T4_T5_mT6_T7_P12ihipStream_tbENKUlT_T0_E_clISt17integral_constantIbLb0EESY_IbLb1EEEEDaSU_SV_EUlSU_E_NS1_11comp_targetILNS1_3genE8ELNS1_11target_archE1030ELNS1_3gpuE2ELNS1_3repE0EEENS1_30default_config_static_selectorELNS0_4arch9wavefront6targetE1EEEvT1_,comdat
	.protected	_ZN7rocprim17ROCPRIM_400000_NS6detail17trampoline_kernelINS0_14default_configENS1_27scan_by_key_config_selectorIxxEEZZNS1_16scan_by_key_implILNS1_25lookback_scan_determinismE0ELb1ES3_N6thrust23THRUST_200600_302600_NS6detail15normal_iteratorINS9_10device_ptrIxEEEESE_SE_xNS9_10multipliesIxEENS9_8equal_toIxEExEE10hipError_tPvRmT2_T3_T4_T5_mT6_T7_P12ihipStream_tbENKUlT_T0_E_clISt17integral_constantIbLb0EESY_IbLb1EEEEDaSU_SV_EUlSU_E_NS1_11comp_targetILNS1_3genE8ELNS1_11target_archE1030ELNS1_3gpuE2ELNS1_3repE0EEENS1_30default_config_static_selectorELNS0_4arch9wavefront6targetE1EEEvT1_ ; -- Begin function _ZN7rocprim17ROCPRIM_400000_NS6detail17trampoline_kernelINS0_14default_configENS1_27scan_by_key_config_selectorIxxEEZZNS1_16scan_by_key_implILNS1_25lookback_scan_determinismE0ELb1ES3_N6thrust23THRUST_200600_302600_NS6detail15normal_iteratorINS9_10device_ptrIxEEEESE_SE_xNS9_10multipliesIxEENS9_8equal_toIxEExEE10hipError_tPvRmT2_T3_T4_T5_mT6_T7_P12ihipStream_tbENKUlT_T0_E_clISt17integral_constantIbLb0EESY_IbLb1EEEEDaSU_SV_EUlSU_E_NS1_11comp_targetILNS1_3genE8ELNS1_11target_archE1030ELNS1_3gpuE2ELNS1_3repE0EEENS1_30default_config_static_selectorELNS0_4arch9wavefront6targetE1EEEvT1_
	.globl	_ZN7rocprim17ROCPRIM_400000_NS6detail17trampoline_kernelINS0_14default_configENS1_27scan_by_key_config_selectorIxxEEZZNS1_16scan_by_key_implILNS1_25lookback_scan_determinismE0ELb1ES3_N6thrust23THRUST_200600_302600_NS6detail15normal_iteratorINS9_10device_ptrIxEEEESE_SE_xNS9_10multipliesIxEENS9_8equal_toIxEExEE10hipError_tPvRmT2_T3_T4_T5_mT6_T7_P12ihipStream_tbENKUlT_T0_E_clISt17integral_constantIbLb0EESY_IbLb1EEEEDaSU_SV_EUlSU_E_NS1_11comp_targetILNS1_3genE8ELNS1_11target_archE1030ELNS1_3gpuE2ELNS1_3repE0EEENS1_30default_config_static_selectorELNS0_4arch9wavefront6targetE1EEEvT1_
	.p2align	8
	.type	_ZN7rocprim17ROCPRIM_400000_NS6detail17trampoline_kernelINS0_14default_configENS1_27scan_by_key_config_selectorIxxEEZZNS1_16scan_by_key_implILNS1_25lookback_scan_determinismE0ELb1ES3_N6thrust23THRUST_200600_302600_NS6detail15normal_iteratorINS9_10device_ptrIxEEEESE_SE_xNS9_10multipliesIxEENS9_8equal_toIxEExEE10hipError_tPvRmT2_T3_T4_T5_mT6_T7_P12ihipStream_tbENKUlT_T0_E_clISt17integral_constantIbLb0EESY_IbLb1EEEEDaSU_SV_EUlSU_E_NS1_11comp_targetILNS1_3genE8ELNS1_11target_archE1030ELNS1_3gpuE2ELNS1_3repE0EEENS1_30default_config_static_selectorELNS0_4arch9wavefront6targetE1EEEvT1_,@function
_ZN7rocprim17ROCPRIM_400000_NS6detail17trampoline_kernelINS0_14default_configENS1_27scan_by_key_config_selectorIxxEEZZNS1_16scan_by_key_implILNS1_25lookback_scan_determinismE0ELb1ES3_N6thrust23THRUST_200600_302600_NS6detail15normal_iteratorINS9_10device_ptrIxEEEESE_SE_xNS9_10multipliesIxEENS9_8equal_toIxEExEE10hipError_tPvRmT2_T3_T4_T5_mT6_T7_P12ihipStream_tbENKUlT_T0_E_clISt17integral_constantIbLb0EESY_IbLb1EEEEDaSU_SV_EUlSU_E_NS1_11comp_targetILNS1_3genE8ELNS1_11target_archE1030ELNS1_3gpuE2ELNS1_3repE0EEENS1_30default_config_static_selectorELNS0_4arch9wavefront6targetE1EEEvT1_: ; @_ZN7rocprim17ROCPRIM_400000_NS6detail17trampoline_kernelINS0_14default_configENS1_27scan_by_key_config_selectorIxxEEZZNS1_16scan_by_key_implILNS1_25lookback_scan_determinismE0ELb1ES3_N6thrust23THRUST_200600_302600_NS6detail15normal_iteratorINS9_10device_ptrIxEEEESE_SE_xNS9_10multipliesIxEENS9_8equal_toIxEExEE10hipError_tPvRmT2_T3_T4_T5_mT6_T7_P12ihipStream_tbENKUlT_T0_E_clISt17integral_constantIbLb0EESY_IbLb1EEEEDaSU_SV_EUlSU_E_NS1_11comp_targetILNS1_3genE8ELNS1_11target_archE1030ELNS1_3gpuE2ELNS1_3repE0EEENS1_30default_config_static_selectorELNS0_4arch9wavefront6targetE1EEEvT1_
; %bb.0:
	.section	.rodata,"a",@progbits
	.p2align	6, 0x0
	.amdhsa_kernel _ZN7rocprim17ROCPRIM_400000_NS6detail17trampoline_kernelINS0_14default_configENS1_27scan_by_key_config_selectorIxxEEZZNS1_16scan_by_key_implILNS1_25lookback_scan_determinismE0ELb1ES3_N6thrust23THRUST_200600_302600_NS6detail15normal_iteratorINS9_10device_ptrIxEEEESE_SE_xNS9_10multipliesIxEENS9_8equal_toIxEExEE10hipError_tPvRmT2_T3_T4_T5_mT6_T7_P12ihipStream_tbENKUlT_T0_E_clISt17integral_constantIbLb0EESY_IbLb1EEEEDaSU_SV_EUlSU_E_NS1_11comp_targetILNS1_3genE8ELNS1_11target_archE1030ELNS1_3gpuE2ELNS1_3repE0EEENS1_30default_config_static_selectorELNS0_4arch9wavefront6targetE1EEEvT1_
		.amdhsa_group_segment_fixed_size 0
		.amdhsa_private_segment_fixed_size 0
		.amdhsa_kernarg_size 136
		.amdhsa_user_sgpr_count 2
		.amdhsa_user_sgpr_dispatch_ptr 0
		.amdhsa_user_sgpr_queue_ptr 0
		.amdhsa_user_sgpr_kernarg_segment_ptr 1
		.amdhsa_user_sgpr_dispatch_id 0
		.amdhsa_user_sgpr_kernarg_preload_length 0
		.amdhsa_user_sgpr_kernarg_preload_offset 0
		.amdhsa_user_sgpr_private_segment_size 0
		.amdhsa_uses_dynamic_stack 0
		.amdhsa_enable_private_segment 0
		.amdhsa_system_sgpr_workgroup_id_x 1
		.amdhsa_system_sgpr_workgroup_id_y 0
		.amdhsa_system_sgpr_workgroup_id_z 0
		.amdhsa_system_sgpr_workgroup_info 0
		.amdhsa_system_vgpr_workitem_id 0
		.amdhsa_next_free_vgpr 1
		.amdhsa_next_free_sgpr 0
		.amdhsa_accum_offset 4
		.amdhsa_reserve_vcc 0
		.amdhsa_float_round_mode_32 0
		.amdhsa_float_round_mode_16_64 0
		.amdhsa_float_denorm_mode_32 3
		.amdhsa_float_denorm_mode_16_64 3
		.amdhsa_dx10_clamp 1
		.amdhsa_ieee_mode 1
		.amdhsa_fp16_overflow 0
		.amdhsa_tg_split 0
		.amdhsa_exception_fp_ieee_invalid_op 0
		.amdhsa_exception_fp_denorm_src 0
		.amdhsa_exception_fp_ieee_div_zero 0
		.amdhsa_exception_fp_ieee_overflow 0
		.amdhsa_exception_fp_ieee_underflow 0
		.amdhsa_exception_fp_ieee_inexact 0
		.amdhsa_exception_int_div_zero 0
	.end_amdhsa_kernel
	.section	.text._ZN7rocprim17ROCPRIM_400000_NS6detail17trampoline_kernelINS0_14default_configENS1_27scan_by_key_config_selectorIxxEEZZNS1_16scan_by_key_implILNS1_25lookback_scan_determinismE0ELb1ES3_N6thrust23THRUST_200600_302600_NS6detail15normal_iteratorINS9_10device_ptrIxEEEESE_SE_xNS9_10multipliesIxEENS9_8equal_toIxEExEE10hipError_tPvRmT2_T3_T4_T5_mT6_T7_P12ihipStream_tbENKUlT_T0_E_clISt17integral_constantIbLb0EESY_IbLb1EEEEDaSU_SV_EUlSU_E_NS1_11comp_targetILNS1_3genE8ELNS1_11target_archE1030ELNS1_3gpuE2ELNS1_3repE0EEENS1_30default_config_static_selectorELNS0_4arch9wavefront6targetE1EEEvT1_,"axG",@progbits,_ZN7rocprim17ROCPRIM_400000_NS6detail17trampoline_kernelINS0_14default_configENS1_27scan_by_key_config_selectorIxxEEZZNS1_16scan_by_key_implILNS1_25lookback_scan_determinismE0ELb1ES3_N6thrust23THRUST_200600_302600_NS6detail15normal_iteratorINS9_10device_ptrIxEEEESE_SE_xNS9_10multipliesIxEENS9_8equal_toIxEExEE10hipError_tPvRmT2_T3_T4_T5_mT6_T7_P12ihipStream_tbENKUlT_T0_E_clISt17integral_constantIbLb0EESY_IbLb1EEEEDaSU_SV_EUlSU_E_NS1_11comp_targetILNS1_3genE8ELNS1_11target_archE1030ELNS1_3gpuE2ELNS1_3repE0EEENS1_30default_config_static_selectorELNS0_4arch9wavefront6targetE1EEEvT1_,comdat
.Lfunc_end424:
	.size	_ZN7rocprim17ROCPRIM_400000_NS6detail17trampoline_kernelINS0_14default_configENS1_27scan_by_key_config_selectorIxxEEZZNS1_16scan_by_key_implILNS1_25lookback_scan_determinismE0ELb1ES3_N6thrust23THRUST_200600_302600_NS6detail15normal_iteratorINS9_10device_ptrIxEEEESE_SE_xNS9_10multipliesIxEENS9_8equal_toIxEExEE10hipError_tPvRmT2_T3_T4_T5_mT6_T7_P12ihipStream_tbENKUlT_T0_E_clISt17integral_constantIbLb0EESY_IbLb1EEEEDaSU_SV_EUlSU_E_NS1_11comp_targetILNS1_3genE8ELNS1_11target_archE1030ELNS1_3gpuE2ELNS1_3repE0EEENS1_30default_config_static_selectorELNS0_4arch9wavefront6targetE1EEEvT1_, .Lfunc_end424-_ZN7rocprim17ROCPRIM_400000_NS6detail17trampoline_kernelINS0_14default_configENS1_27scan_by_key_config_selectorIxxEEZZNS1_16scan_by_key_implILNS1_25lookback_scan_determinismE0ELb1ES3_N6thrust23THRUST_200600_302600_NS6detail15normal_iteratorINS9_10device_ptrIxEEEESE_SE_xNS9_10multipliesIxEENS9_8equal_toIxEExEE10hipError_tPvRmT2_T3_T4_T5_mT6_T7_P12ihipStream_tbENKUlT_T0_E_clISt17integral_constantIbLb0EESY_IbLb1EEEEDaSU_SV_EUlSU_E_NS1_11comp_targetILNS1_3genE8ELNS1_11target_archE1030ELNS1_3gpuE2ELNS1_3repE0EEENS1_30default_config_static_selectorELNS0_4arch9wavefront6targetE1EEEvT1_
                                        ; -- End function
	.section	.AMDGPU.csdata,"",@progbits
; Kernel info:
; codeLenInByte = 0
; NumSgprs: 6
; NumVgprs: 0
; NumAgprs: 0
; TotalNumVgprs: 0
; ScratchSize: 0
; MemoryBound: 0
; FloatMode: 240
; IeeeMode: 1
; LDSByteSize: 0 bytes/workgroup (compile time only)
; SGPRBlocks: 0
; VGPRBlocks: 0
; NumSGPRsForWavesPerEU: 6
; NumVGPRsForWavesPerEU: 1
; AccumOffset: 4
; Occupancy: 8
; WaveLimiterHint : 0
; COMPUTE_PGM_RSRC2:SCRATCH_EN: 0
; COMPUTE_PGM_RSRC2:USER_SGPR: 2
; COMPUTE_PGM_RSRC2:TRAP_HANDLER: 0
; COMPUTE_PGM_RSRC2:TGID_X_EN: 1
; COMPUTE_PGM_RSRC2:TGID_Y_EN: 0
; COMPUTE_PGM_RSRC2:TGID_Z_EN: 0
; COMPUTE_PGM_RSRC2:TIDIG_COMP_CNT: 0
; COMPUTE_PGM_RSRC3_GFX90A:ACCUM_OFFSET: 0
; COMPUTE_PGM_RSRC3_GFX90A:TG_SPLIT: 0
	.section	.text._ZN7rocprim17ROCPRIM_400000_NS6detail17trampoline_kernelINS0_14default_configENS1_27scan_by_key_config_selectorIxxEEZZNS1_16scan_by_key_implILNS1_25lookback_scan_determinismE0ELb1ES3_N6thrust23THRUST_200600_302600_NS6detail15normal_iteratorINS9_10device_ptrIxEEEESE_SE_xNS9_4plusIvEENS9_8equal_toIxEExEE10hipError_tPvRmT2_T3_T4_T5_mT6_T7_P12ihipStream_tbENKUlT_T0_E_clISt17integral_constantIbLb0EESZ_EEDaSU_SV_EUlSU_E_NS1_11comp_targetILNS1_3genE0ELNS1_11target_archE4294967295ELNS1_3gpuE0ELNS1_3repE0EEENS1_30default_config_static_selectorELNS0_4arch9wavefront6targetE1EEEvT1_,"axG",@progbits,_ZN7rocprim17ROCPRIM_400000_NS6detail17trampoline_kernelINS0_14default_configENS1_27scan_by_key_config_selectorIxxEEZZNS1_16scan_by_key_implILNS1_25lookback_scan_determinismE0ELb1ES3_N6thrust23THRUST_200600_302600_NS6detail15normal_iteratorINS9_10device_ptrIxEEEESE_SE_xNS9_4plusIvEENS9_8equal_toIxEExEE10hipError_tPvRmT2_T3_T4_T5_mT6_T7_P12ihipStream_tbENKUlT_T0_E_clISt17integral_constantIbLb0EESZ_EEDaSU_SV_EUlSU_E_NS1_11comp_targetILNS1_3genE0ELNS1_11target_archE4294967295ELNS1_3gpuE0ELNS1_3repE0EEENS1_30default_config_static_selectorELNS0_4arch9wavefront6targetE1EEEvT1_,comdat
	.protected	_ZN7rocprim17ROCPRIM_400000_NS6detail17trampoline_kernelINS0_14default_configENS1_27scan_by_key_config_selectorIxxEEZZNS1_16scan_by_key_implILNS1_25lookback_scan_determinismE0ELb1ES3_N6thrust23THRUST_200600_302600_NS6detail15normal_iteratorINS9_10device_ptrIxEEEESE_SE_xNS9_4plusIvEENS9_8equal_toIxEExEE10hipError_tPvRmT2_T3_T4_T5_mT6_T7_P12ihipStream_tbENKUlT_T0_E_clISt17integral_constantIbLb0EESZ_EEDaSU_SV_EUlSU_E_NS1_11comp_targetILNS1_3genE0ELNS1_11target_archE4294967295ELNS1_3gpuE0ELNS1_3repE0EEENS1_30default_config_static_selectorELNS0_4arch9wavefront6targetE1EEEvT1_ ; -- Begin function _ZN7rocprim17ROCPRIM_400000_NS6detail17trampoline_kernelINS0_14default_configENS1_27scan_by_key_config_selectorIxxEEZZNS1_16scan_by_key_implILNS1_25lookback_scan_determinismE0ELb1ES3_N6thrust23THRUST_200600_302600_NS6detail15normal_iteratorINS9_10device_ptrIxEEEESE_SE_xNS9_4plusIvEENS9_8equal_toIxEExEE10hipError_tPvRmT2_T3_T4_T5_mT6_T7_P12ihipStream_tbENKUlT_T0_E_clISt17integral_constantIbLb0EESZ_EEDaSU_SV_EUlSU_E_NS1_11comp_targetILNS1_3genE0ELNS1_11target_archE4294967295ELNS1_3gpuE0ELNS1_3repE0EEENS1_30default_config_static_selectorELNS0_4arch9wavefront6targetE1EEEvT1_
	.globl	_ZN7rocprim17ROCPRIM_400000_NS6detail17trampoline_kernelINS0_14default_configENS1_27scan_by_key_config_selectorIxxEEZZNS1_16scan_by_key_implILNS1_25lookback_scan_determinismE0ELb1ES3_N6thrust23THRUST_200600_302600_NS6detail15normal_iteratorINS9_10device_ptrIxEEEESE_SE_xNS9_4plusIvEENS9_8equal_toIxEExEE10hipError_tPvRmT2_T3_T4_T5_mT6_T7_P12ihipStream_tbENKUlT_T0_E_clISt17integral_constantIbLb0EESZ_EEDaSU_SV_EUlSU_E_NS1_11comp_targetILNS1_3genE0ELNS1_11target_archE4294967295ELNS1_3gpuE0ELNS1_3repE0EEENS1_30default_config_static_selectorELNS0_4arch9wavefront6targetE1EEEvT1_
	.p2align	8
	.type	_ZN7rocprim17ROCPRIM_400000_NS6detail17trampoline_kernelINS0_14default_configENS1_27scan_by_key_config_selectorIxxEEZZNS1_16scan_by_key_implILNS1_25lookback_scan_determinismE0ELb1ES3_N6thrust23THRUST_200600_302600_NS6detail15normal_iteratorINS9_10device_ptrIxEEEESE_SE_xNS9_4plusIvEENS9_8equal_toIxEExEE10hipError_tPvRmT2_T3_T4_T5_mT6_T7_P12ihipStream_tbENKUlT_T0_E_clISt17integral_constantIbLb0EESZ_EEDaSU_SV_EUlSU_E_NS1_11comp_targetILNS1_3genE0ELNS1_11target_archE4294967295ELNS1_3gpuE0ELNS1_3repE0EEENS1_30default_config_static_selectorELNS0_4arch9wavefront6targetE1EEEvT1_,@function
_ZN7rocprim17ROCPRIM_400000_NS6detail17trampoline_kernelINS0_14default_configENS1_27scan_by_key_config_selectorIxxEEZZNS1_16scan_by_key_implILNS1_25lookback_scan_determinismE0ELb1ES3_N6thrust23THRUST_200600_302600_NS6detail15normal_iteratorINS9_10device_ptrIxEEEESE_SE_xNS9_4plusIvEENS9_8equal_toIxEExEE10hipError_tPvRmT2_T3_T4_T5_mT6_T7_P12ihipStream_tbENKUlT_T0_E_clISt17integral_constantIbLb0EESZ_EEDaSU_SV_EUlSU_E_NS1_11comp_targetILNS1_3genE0ELNS1_11target_archE4294967295ELNS1_3gpuE0ELNS1_3repE0EEENS1_30default_config_static_selectorELNS0_4arch9wavefront6targetE1EEEvT1_: ; @_ZN7rocprim17ROCPRIM_400000_NS6detail17trampoline_kernelINS0_14default_configENS1_27scan_by_key_config_selectorIxxEEZZNS1_16scan_by_key_implILNS1_25lookback_scan_determinismE0ELb1ES3_N6thrust23THRUST_200600_302600_NS6detail15normal_iteratorINS9_10device_ptrIxEEEESE_SE_xNS9_4plusIvEENS9_8equal_toIxEExEE10hipError_tPvRmT2_T3_T4_T5_mT6_T7_P12ihipStream_tbENKUlT_T0_E_clISt17integral_constantIbLb0EESZ_EEDaSU_SV_EUlSU_E_NS1_11comp_targetILNS1_3genE0ELNS1_11target_archE4294967295ELNS1_3gpuE0ELNS1_3repE0EEENS1_30default_config_static_selectorELNS0_4arch9wavefront6targetE1EEEvT1_
; %bb.0:
	.section	.rodata,"a",@progbits
	.p2align	6, 0x0
	.amdhsa_kernel _ZN7rocprim17ROCPRIM_400000_NS6detail17trampoline_kernelINS0_14default_configENS1_27scan_by_key_config_selectorIxxEEZZNS1_16scan_by_key_implILNS1_25lookback_scan_determinismE0ELb1ES3_N6thrust23THRUST_200600_302600_NS6detail15normal_iteratorINS9_10device_ptrIxEEEESE_SE_xNS9_4plusIvEENS9_8equal_toIxEExEE10hipError_tPvRmT2_T3_T4_T5_mT6_T7_P12ihipStream_tbENKUlT_T0_E_clISt17integral_constantIbLb0EESZ_EEDaSU_SV_EUlSU_E_NS1_11comp_targetILNS1_3genE0ELNS1_11target_archE4294967295ELNS1_3gpuE0ELNS1_3repE0EEENS1_30default_config_static_selectorELNS0_4arch9wavefront6targetE1EEEvT1_
		.amdhsa_group_segment_fixed_size 0
		.amdhsa_private_segment_fixed_size 0
		.amdhsa_kernarg_size 136
		.amdhsa_user_sgpr_count 2
		.amdhsa_user_sgpr_dispatch_ptr 0
		.amdhsa_user_sgpr_queue_ptr 0
		.amdhsa_user_sgpr_kernarg_segment_ptr 1
		.amdhsa_user_sgpr_dispatch_id 0
		.amdhsa_user_sgpr_kernarg_preload_length 0
		.amdhsa_user_sgpr_kernarg_preload_offset 0
		.amdhsa_user_sgpr_private_segment_size 0
		.amdhsa_uses_dynamic_stack 0
		.amdhsa_enable_private_segment 0
		.amdhsa_system_sgpr_workgroup_id_x 1
		.amdhsa_system_sgpr_workgroup_id_y 0
		.amdhsa_system_sgpr_workgroup_id_z 0
		.amdhsa_system_sgpr_workgroup_info 0
		.amdhsa_system_vgpr_workitem_id 0
		.amdhsa_next_free_vgpr 1
		.amdhsa_next_free_sgpr 0
		.amdhsa_accum_offset 4
		.amdhsa_reserve_vcc 0
		.amdhsa_float_round_mode_32 0
		.amdhsa_float_round_mode_16_64 0
		.amdhsa_float_denorm_mode_32 3
		.amdhsa_float_denorm_mode_16_64 3
		.amdhsa_dx10_clamp 1
		.amdhsa_ieee_mode 1
		.amdhsa_fp16_overflow 0
		.amdhsa_tg_split 0
		.amdhsa_exception_fp_ieee_invalid_op 0
		.amdhsa_exception_fp_denorm_src 0
		.amdhsa_exception_fp_ieee_div_zero 0
		.amdhsa_exception_fp_ieee_overflow 0
		.amdhsa_exception_fp_ieee_underflow 0
		.amdhsa_exception_fp_ieee_inexact 0
		.amdhsa_exception_int_div_zero 0
	.end_amdhsa_kernel
	.section	.text._ZN7rocprim17ROCPRIM_400000_NS6detail17trampoline_kernelINS0_14default_configENS1_27scan_by_key_config_selectorIxxEEZZNS1_16scan_by_key_implILNS1_25lookback_scan_determinismE0ELb1ES3_N6thrust23THRUST_200600_302600_NS6detail15normal_iteratorINS9_10device_ptrIxEEEESE_SE_xNS9_4plusIvEENS9_8equal_toIxEExEE10hipError_tPvRmT2_T3_T4_T5_mT6_T7_P12ihipStream_tbENKUlT_T0_E_clISt17integral_constantIbLb0EESZ_EEDaSU_SV_EUlSU_E_NS1_11comp_targetILNS1_3genE0ELNS1_11target_archE4294967295ELNS1_3gpuE0ELNS1_3repE0EEENS1_30default_config_static_selectorELNS0_4arch9wavefront6targetE1EEEvT1_,"axG",@progbits,_ZN7rocprim17ROCPRIM_400000_NS6detail17trampoline_kernelINS0_14default_configENS1_27scan_by_key_config_selectorIxxEEZZNS1_16scan_by_key_implILNS1_25lookback_scan_determinismE0ELb1ES3_N6thrust23THRUST_200600_302600_NS6detail15normal_iteratorINS9_10device_ptrIxEEEESE_SE_xNS9_4plusIvEENS9_8equal_toIxEExEE10hipError_tPvRmT2_T3_T4_T5_mT6_T7_P12ihipStream_tbENKUlT_T0_E_clISt17integral_constantIbLb0EESZ_EEDaSU_SV_EUlSU_E_NS1_11comp_targetILNS1_3genE0ELNS1_11target_archE4294967295ELNS1_3gpuE0ELNS1_3repE0EEENS1_30default_config_static_selectorELNS0_4arch9wavefront6targetE1EEEvT1_,comdat
.Lfunc_end425:
	.size	_ZN7rocprim17ROCPRIM_400000_NS6detail17trampoline_kernelINS0_14default_configENS1_27scan_by_key_config_selectorIxxEEZZNS1_16scan_by_key_implILNS1_25lookback_scan_determinismE0ELb1ES3_N6thrust23THRUST_200600_302600_NS6detail15normal_iteratorINS9_10device_ptrIxEEEESE_SE_xNS9_4plusIvEENS9_8equal_toIxEExEE10hipError_tPvRmT2_T3_T4_T5_mT6_T7_P12ihipStream_tbENKUlT_T0_E_clISt17integral_constantIbLb0EESZ_EEDaSU_SV_EUlSU_E_NS1_11comp_targetILNS1_3genE0ELNS1_11target_archE4294967295ELNS1_3gpuE0ELNS1_3repE0EEENS1_30default_config_static_selectorELNS0_4arch9wavefront6targetE1EEEvT1_, .Lfunc_end425-_ZN7rocprim17ROCPRIM_400000_NS6detail17trampoline_kernelINS0_14default_configENS1_27scan_by_key_config_selectorIxxEEZZNS1_16scan_by_key_implILNS1_25lookback_scan_determinismE0ELb1ES3_N6thrust23THRUST_200600_302600_NS6detail15normal_iteratorINS9_10device_ptrIxEEEESE_SE_xNS9_4plusIvEENS9_8equal_toIxEExEE10hipError_tPvRmT2_T3_T4_T5_mT6_T7_P12ihipStream_tbENKUlT_T0_E_clISt17integral_constantIbLb0EESZ_EEDaSU_SV_EUlSU_E_NS1_11comp_targetILNS1_3genE0ELNS1_11target_archE4294967295ELNS1_3gpuE0ELNS1_3repE0EEENS1_30default_config_static_selectorELNS0_4arch9wavefront6targetE1EEEvT1_
                                        ; -- End function
	.section	.AMDGPU.csdata,"",@progbits
; Kernel info:
; codeLenInByte = 0
; NumSgprs: 6
; NumVgprs: 0
; NumAgprs: 0
; TotalNumVgprs: 0
; ScratchSize: 0
; MemoryBound: 0
; FloatMode: 240
; IeeeMode: 1
; LDSByteSize: 0 bytes/workgroup (compile time only)
; SGPRBlocks: 0
; VGPRBlocks: 0
; NumSGPRsForWavesPerEU: 6
; NumVGPRsForWavesPerEU: 1
; AccumOffset: 4
; Occupancy: 8
; WaveLimiterHint : 0
; COMPUTE_PGM_RSRC2:SCRATCH_EN: 0
; COMPUTE_PGM_RSRC2:USER_SGPR: 2
; COMPUTE_PGM_RSRC2:TRAP_HANDLER: 0
; COMPUTE_PGM_RSRC2:TGID_X_EN: 1
; COMPUTE_PGM_RSRC2:TGID_Y_EN: 0
; COMPUTE_PGM_RSRC2:TGID_Z_EN: 0
; COMPUTE_PGM_RSRC2:TIDIG_COMP_CNT: 0
; COMPUTE_PGM_RSRC3_GFX90A:ACCUM_OFFSET: 0
; COMPUTE_PGM_RSRC3_GFX90A:TG_SPLIT: 0
	.section	.text._ZN7rocprim17ROCPRIM_400000_NS6detail17trampoline_kernelINS0_14default_configENS1_27scan_by_key_config_selectorIxxEEZZNS1_16scan_by_key_implILNS1_25lookback_scan_determinismE0ELb1ES3_N6thrust23THRUST_200600_302600_NS6detail15normal_iteratorINS9_10device_ptrIxEEEESE_SE_xNS9_4plusIvEENS9_8equal_toIxEExEE10hipError_tPvRmT2_T3_T4_T5_mT6_T7_P12ihipStream_tbENKUlT_T0_E_clISt17integral_constantIbLb0EESZ_EEDaSU_SV_EUlSU_E_NS1_11comp_targetILNS1_3genE10ELNS1_11target_archE1201ELNS1_3gpuE5ELNS1_3repE0EEENS1_30default_config_static_selectorELNS0_4arch9wavefront6targetE1EEEvT1_,"axG",@progbits,_ZN7rocprim17ROCPRIM_400000_NS6detail17trampoline_kernelINS0_14default_configENS1_27scan_by_key_config_selectorIxxEEZZNS1_16scan_by_key_implILNS1_25lookback_scan_determinismE0ELb1ES3_N6thrust23THRUST_200600_302600_NS6detail15normal_iteratorINS9_10device_ptrIxEEEESE_SE_xNS9_4plusIvEENS9_8equal_toIxEExEE10hipError_tPvRmT2_T3_T4_T5_mT6_T7_P12ihipStream_tbENKUlT_T0_E_clISt17integral_constantIbLb0EESZ_EEDaSU_SV_EUlSU_E_NS1_11comp_targetILNS1_3genE10ELNS1_11target_archE1201ELNS1_3gpuE5ELNS1_3repE0EEENS1_30default_config_static_selectorELNS0_4arch9wavefront6targetE1EEEvT1_,comdat
	.protected	_ZN7rocprim17ROCPRIM_400000_NS6detail17trampoline_kernelINS0_14default_configENS1_27scan_by_key_config_selectorIxxEEZZNS1_16scan_by_key_implILNS1_25lookback_scan_determinismE0ELb1ES3_N6thrust23THRUST_200600_302600_NS6detail15normal_iteratorINS9_10device_ptrIxEEEESE_SE_xNS9_4plusIvEENS9_8equal_toIxEExEE10hipError_tPvRmT2_T3_T4_T5_mT6_T7_P12ihipStream_tbENKUlT_T0_E_clISt17integral_constantIbLb0EESZ_EEDaSU_SV_EUlSU_E_NS1_11comp_targetILNS1_3genE10ELNS1_11target_archE1201ELNS1_3gpuE5ELNS1_3repE0EEENS1_30default_config_static_selectorELNS0_4arch9wavefront6targetE1EEEvT1_ ; -- Begin function _ZN7rocprim17ROCPRIM_400000_NS6detail17trampoline_kernelINS0_14default_configENS1_27scan_by_key_config_selectorIxxEEZZNS1_16scan_by_key_implILNS1_25lookback_scan_determinismE0ELb1ES3_N6thrust23THRUST_200600_302600_NS6detail15normal_iteratorINS9_10device_ptrIxEEEESE_SE_xNS9_4plusIvEENS9_8equal_toIxEExEE10hipError_tPvRmT2_T3_T4_T5_mT6_T7_P12ihipStream_tbENKUlT_T0_E_clISt17integral_constantIbLb0EESZ_EEDaSU_SV_EUlSU_E_NS1_11comp_targetILNS1_3genE10ELNS1_11target_archE1201ELNS1_3gpuE5ELNS1_3repE0EEENS1_30default_config_static_selectorELNS0_4arch9wavefront6targetE1EEEvT1_
	.globl	_ZN7rocprim17ROCPRIM_400000_NS6detail17trampoline_kernelINS0_14default_configENS1_27scan_by_key_config_selectorIxxEEZZNS1_16scan_by_key_implILNS1_25lookback_scan_determinismE0ELb1ES3_N6thrust23THRUST_200600_302600_NS6detail15normal_iteratorINS9_10device_ptrIxEEEESE_SE_xNS9_4plusIvEENS9_8equal_toIxEExEE10hipError_tPvRmT2_T3_T4_T5_mT6_T7_P12ihipStream_tbENKUlT_T0_E_clISt17integral_constantIbLb0EESZ_EEDaSU_SV_EUlSU_E_NS1_11comp_targetILNS1_3genE10ELNS1_11target_archE1201ELNS1_3gpuE5ELNS1_3repE0EEENS1_30default_config_static_selectorELNS0_4arch9wavefront6targetE1EEEvT1_
	.p2align	8
	.type	_ZN7rocprim17ROCPRIM_400000_NS6detail17trampoline_kernelINS0_14default_configENS1_27scan_by_key_config_selectorIxxEEZZNS1_16scan_by_key_implILNS1_25lookback_scan_determinismE0ELb1ES3_N6thrust23THRUST_200600_302600_NS6detail15normal_iteratorINS9_10device_ptrIxEEEESE_SE_xNS9_4plusIvEENS9_8equal_toIxEExEE10hipError_tPvRmT2_T3_T4_T5_mT6_T7_P12ihipStream_tbENKUlT_T0_E_clISt17integral_constantIbLb0EESZ_EEDaSU_SV_EUlSU_E_NS1_11comp_targetILNS1_3genE10ELNS1_11target_archE1201ELNS1_3gpuE5ELNS1_3repE0EEENS1_30default_config_static_selectorELNS0_4arch9wavefront6targetE1EEEvT1_,@function
_ZN7rocprim17ROCPRIM_400000_NS6detail17trampoline_kernelINS0_14default_configENS1_27scan_by_key_config_selectorIxxEEZZNS1_16scan_by_key_implILNS1_25lookback_scan_determinismE0ELb1ES3_N6thrust23THRUST_200600_302600_NS6detail15normal_iteratorINS9_10device_ptrIxEEEESE_SE_xNS9_4plusIvEENS9_8equal_toIxEExEE10hipError_tPvRmT2_T3_T4_T5_mT6_T7_P12ihipStream_tbENKUlT_T0_E_clISt17integral_constantIbLb0EESZ_EEDaSU_SV_EUlSU_E_NS1_11comp_targetILNS1_3genE10ELNS1_11target_archE1201ELNS1_3gpuE5ELNS1_3repE0EEENS1_30default_config_static_selectorELNS0_4arch9wavefront6targetE1EEEvT1_: ; @_ZN7rocprim17ROCPRIM_400000_NS6detail17trampoline_kernelINS0_14default_configENS1_27scan_by_key_config_selectorIxxEEZZNS1_16scan_by_key_implILNS1_25lookback_scan_determinismE0ELb1ES3_N6thrust23THRUST_200600_302600_NS6detail15normal_iteratorINS9_10device_ptrIxEEEESE_SE_xNS9_4plusIvEENS9_8equal_toIxEExEE10hipError_tPvRmT2_T3_T4_T5_mT6_T7_P12ihipStream_tbENKUlT_T0_E_clISt17integral_constantIbLb0EESZ_EEDaSU_SV_EUlSU_E_NS1_11comp_targetILNS1_3genE10ELNS1_11target_archE1201ELNS1_3gpuE5ELNS1_3repE0EEENS1_30default_config_static_selectorELNS0_4arch9wavefront6targetE1EEEvT1_
; %bb.0:
	.section	.rodata,"a",@progbits
	.p2align	6, 0x0
	.amdhsa_kernel _ZN7rocprim17ROCPRIM_400000_NS6detail17trampoline_kernelINS0_14default_configENS1_27scan_by_key_config_selectorIxxEEZZNS1_16scan_by_key_implILNS1_25lookback_scan_determinismE0ELb1ES3_N6thrust23THRUST_200600_302600_NS6detail15normal_iteratorINS9_10device_ptrIxEEEESE_SE_xNS9_4plusIvEENS9_8equal_toIxEExEE10hipError_tPvRmT2_T3_T4_T5_mT6_T7_P12ihipStream_tbENKUlT_T0_E_clISt17integral_constantIbLb0EESZ_EEDaSU_SV_EUlSU_E_NS1_11comp_targetILNS1_3genE10ELNS1_11target_archE1201ELNS1_3gpuE5ELNS1_3repE0EEENS1_30default_config_static_selectorELNS0_4arch9wavefront6targetE1EEEvT1_
		.amdhsa_group_segment_fixed_size 0
		.amdhsa_private_segment_fixed_size 0
		.amdhsa_kernarg_size 136
		.amdhsa_user_sgpr_count 2
		.amdhsa_user_sgpr_dispatch_ptr 0
		.amdhsa_user_sgpr_queue_ptr 0
		.amdhsa_user_sgpr_kernarg_segment_ptr 1
		.amdhsa_user_sgpr_dispatch_id 0
		.amdhsa_user_sgpr_kernarg_preload_length 0
		.amdhsa_user_sgpr_kernarg_preload_offset 0
		.amdhsa_user_sgpr_private_segment_size 0
		.amdhsa_uses_dynamic_stack 0
		.amdhsa_enable_private_segment 0
		.amdhsa_system_sgpr_workgroup_id_x 1
		.amdhsa_system_sgpr_workgroup_id_y 0
		.amdhsa_system_sgpr_workgroup_id_z 0
		.amdhsa_system_sgpr_workgroup_info 0
		.amdhsa_system_vgpr_workitem_id 0
		.amdhsa_next_free_vgpr 1
		.amdhsa_next_free_sgpr 0
		.amdhsa_accum_offset 4
		.amdhsa_reserve_vcc 0
		.amdhsa_float_round_mode_32 0
		.amdhsa_float_round_mode_16_64 0
		.amdhsa_float_denorm_mode_32 3
		.amdhsa_float_denorm_mode_16_64 3
		.amdhsa_dx10_clamp 1
		.amdhsa_ieee_mode 1
		.amdhsa_fp16_overflow 0
		.amdhsa_tg_split 0
		.amdhsa_exception_fp_ieee_invalid_op 0
		.amdhsa_exception_fp_denorm_src 0
		.amdhsa_exception_fp_ieee_div_zero 0
		.amdhsa_exception_fp_ieee_overflow 0
		.amdhsa_exception_fp_ieee_underflow 0
		.amdhsa_exception_fp_ieee_inexact 0
		.amdhsa_exception_int_div_zero 0
	.end_amdhsa_kernel
	.section	.text._ZN7rocprim17ROCPRIM_400000_NS6detail17trampoline_kernelINS0_14default_configENS1_27scan_by_key_config_selectorIxxEEZZNS1_16scan_by_key_implILNS1_25lookback_scan_determinismE0ELb1ES3_N6thrust23THRUST_200600_302600_NS6detail15normal_iteratorINS9_10device_ptrIxEEEESE_SE_xNS9_4plusIvEENS9_8equal_toIxEExEE10hipError_tPvRmT2_T3_T4_T5_mT6_T7_P12ihipStream_tbENKUlT_T0_E_clISt17integral_constantIbLb0EESZ_EEDaSU_SV_EUlSU_E_NS1_11comp_targetILNS1_3genE10ELNS1_11target_archE1201ELNS1_3gpuE5ELNS1_3repE0EEENS1_30default_config_static_selectorELNS0_4arch9wavefront6targetE1EEEvT1_,"axG",@progbits,_ZN7rocprim17ROCPRIM_400000_NS6detail17trampoline_kernelINS0_14default_configENS1_27scan_by_key_config_selectorIxxEEZZNS1_16scan_by_key_implILNS1_25lookback_scan_determinismE0ELb1ES3_N6thrust23THRUST_200600_302600_NS6detail15normal_iteratorINS9_10device_ptrIxEEEESE_SE_xNS9_4plusIvEENS9_8equal_toIxEExEE10hipError_tPvRmT2_T3_T4_T5_mT6_T7_P12ihipStream_tbENKUlT_T0_E_clISt17integral_constantIbLb0EESZ_EEDaSU_SV_EUlSU_E_NS1_11comp_targetILNS1_3genE10ELNS1_11target_archE1201ELNS1_3gpuE5ELNS1_3repE0EEENS1_30default_config_static_selectorELNS0_4arch9wavefront6targetE1EEEvT1_,comdat
.Lfunc_end426:
	.size	_ZN7rocprim17ROCPRIM_400000_NS6detail17trampoline_kernelINS0_14default_configENS1_27scan_by_key_config_selectorIxxEEZZNS1_16scan_by_key_implILNS1_25lookback_scan_determinismE0ELb1ES3_N6thrust23THRUST_200600_302600_NS6detail15normal_iteratorINS9_10device_ptrIxEEEESE_SE_xNS9_4plusIvEENS9_8equal_toIxEExEE10hipError_tPvRmT2_T3_T4_T5_mT6_T7_P12ihipStream_tbENKUlT_T0_E_clISt17integral_constantIbLb0EESZ_EEDaSU_SV_EUlSU_E_NS1_11comp_targetILNS1_3genE10ELNS1_11target_archE1201ELNS1_3gpuE5ELNS1_3repE0EEENS1_30default_config_static_selectorELNS0_4arch9wavefront6targetE1EEEvT1_, .Lfunc_end426-_ZN7rocprim17ROCPRIM_400000_NS6detail17trampoline_kernelINS0_14default_configENS1_27scan_by_key_config_selectorIxxEEZZNS1_16scan_by_key_implILNS1_25lookback_scan_determinismE0ELb1ES3_N6thrust23THRUST_200600_302600_NS6detail15normal_iteratorINS9_10device_ptrIxEEEESE_SE_xNS9_4plusIvEENS9_8equal_toIxEExEE10hipError_tPvRmT2_T3_T4_T5_mT6_T7_P12ihipStream_tbENKUlT_T0_E_clISt17integral_constantIbLb0EESZ_EEDaSU_SV_EUlSU_E_NS1_11comp_targetILNS1_3genE10ELNS1_11target_archE1201ELNS1_3gpuE5ELNS1_3repE0EEENS1_30default_config_static_selectorELNS0_4arch9wavefront6targetE1EEEvT1_
                                        ; -- End function
	.section	.AMDGPU.csdata,"",@progbits
; Kernel info:
; codeLenInByte = 0
; NumSgprs: 6
; NumVgprs: 0
; NumAgprs: 0
; TotalNumVgprs: 0
; ScratchSize: 0
; MemoryBound: 0
; FloatMode: 240
; IeeeMode: 1
; LDSByteSize: 0 bytes/workgroup (compile time only)
; SGPRBlocks: 0
; VGPRBlocks: 0
; NumSGPRsForWavesPerEU: 6
; NumVGPRsForWavesPerEU: 1
; AccumOffset: 4
; Occupancy: 8
; WaveLimiterHint : 0
; COMPUTE_PGM_RSRC2:SCRATCH_EN: 0
; COMPUTE_PGM_RSRC2:USER_SGPR: 2
; COMPUTE_PGM_RSRC2:TRAP_HANDLER: 0
; COMPUTE_PGM_RSRC2:TGID_X_EN: 1
; COMPUTE_PGM_RSRC2:TGID_Y_EN: 0
; COMPUTE_PGM_RSRC2:TGID_Z_EN: 0
; COMPUTE_PGM_RSRC2:TIDIG_COMP_CNT: 0
; COMPUTE_PGM_RSRC3_GFX90A:ACCUM_OFFSET: 0
; COMPUTE_PGM_RSRC3_GFX90A:TG_SPLIT: 0
	.section	.text._ZN7rocprim17ROCPRIM_400000_NS6detail17trampoline_kernelINS0_14default_configENS1_27scan_by_key_config_selectorIxxEEZZNS1_16scan_by_key_implILNS1_25lookback_scan_determinismE0ELb1ES3_N6thrust23THRUST_200600_302600_NS6detail15normal_iteratorINS9_10device_ptrIxEEEESE_SE_xNS9_4plusIvEENS9_8equal_toIxEExEE10hipError_tPvRmT2_T3_T4_T5_mT6_T7_P12ihipStream_tbENKUlT_T0_E_clISt17integral_constantIbLb0EESZ_EEDaSU_SV_EUlSU_E_NS1_11comp_targetILNS1_3genE5ELNS1_11target_archE942ELNS1_3gpuE9ELNS1_3repE0EEENS1_30default_config_static_selectorELNS0_4arch9wavefront6targetE1EEEvT1_,"axG",@progbits,_ZN7rocprim17ROCPRIM_400000_NS6detail17trampoline_kernelINS0_14default_configENS1_27scan_by_key_config_selectorIxxEEZZNS1_16scan_by_key_implILNS1_25lookback_scan_determinismE0ELb1ES3_N6thrust23THRUST_200600_302600_NS6detail15normal_iteratorINS9_10device_ptrIxEEEESE_SE_xNS9_4plusIvEENS9_8equal_toIxEExEE10hipError_tPvRmT2_T3_T4_T5_mT6_T7_P12ihipStream_tbENKUlT_T0_E_clISt17integral_constantIbLb0EESZ_EEDaSU_SV_EUlSU_E_NS1_11comp_targetILNS1_3genE5ELNS1_11target_archE942ELNS1_3gpuE9ELNS1_3repE0EEENS1_30default_config_static_selectorELNS0_4arch9wavefront6targetE1EEEvT1_,comdat
	.protected	_ZN7rocprim17ROCPRIM_400000_NS6detail17trampoline_kernelINS0_14default_configENS1_27scan_by_key_config_selectorIxxEEZZNS1_16scan_by_key_implILNS1_25lookback_scan_determinismE0ELb1ES3_N6thrust23THRUST_200600_302600_NS6detail15normal_iteratorINS9_10device_ptrIxEEEESE_SE_xNS9_4plusIvEENS9_8equal_toIxEExEE10hipError_tPvRmT2_T3_T4_T5_mT6_T7_P12ihipStream_tbENKUlT_T0_E_clISt17integral_constantIbLb0EESZ_EEDaSU_SV_EUlSU_E_NS1_11comp_targetILNS1_3genE5ELNS1_11target_archE942ELNS1_3gpuE9ELNS1_3repE0EEENS1_30default_config_static_selectorELNS0_4arch9wavefront6targetE1EEEvT1_ ; -- Begin function _ZN7rocprim17ROCPRIM_400000_NS6detail17trampoline_kernelINS0_14default_configENS1_27scan_by_key_config_selectorIxxEEZZNS1_16scan_by_key_implILNS1_25lookback_scan_determinismE0ELb1ES3_N6thrust23THRUST_200600_302600_NS6detail15normal_iteratorINS9_10device_ptrIxEEEESE_SE_xNS9_4plusIvEENS9_8equal_toIxEExEE10hipError_tPvRmT2_T3_T4_T5_mT6_T7_P12ihipStream_tbENKUlT_T0_E_clISt17integral_constantIbLb0EESZ_EEDaSU_SV_EUlSU_E_NS1_11comp_targetILNS1_3genE5ELNS1_11target_archE942ELNS1_3gpuE9ELNS1_3repE0EEENS1_30default_config_static_selectorELNS0_4arch9wavefront6targetE1EEEvT1_
	.globl	_ZN7rocprim17ROCPRIM_400000_NS6detail17trampoline_kernelINS0_14default_configENS1_27scan_by_key_config_selectorIxxEEZZNS1_16scan_by_key_implILNS1_25lookback_scan_determinismE0ELb1ES3_N6thrust23THRUST_200600_302600_NS6detail15normal_iteratorINS9_10device_ptrIxEEEESE_SE_xNS9_4plusIvEENS9_8equal_toIxEExEE10hipError_tPvRmT2_T3_T4_T5_mT6_T7_P12ihipStream_tbENKUlT_T0_E_clISt17integral_constantIbLb0EESZ_EEDaSU_SV_EUlSU_E_NS1_11comp_targetILNS1_3genE5ELNS1_11target_archE942ELNS1_3gpuE9ELNS1_3repE0EEENS1_30default_config_static_selectorELNS0_4arch9wavefront6targetE1EEEvT1_
	.p2align	8
	.type	_ZN7rocprim17ROCPRIM_400000_NS6detail17trampoline_kernelINS0_14default_configENS1_27scan_by_key_config_selectorIxxEEZZNS1_16scan_by_key_implILNS1_25lookback_scan_determinismE0ELb1ES3_N6thrust23THRUST_200600_302600_NS6detail15normal_iteratorINS9_10device_ptrIxEEEESE_SE_xNS9_4plusIvEENS9_8equal_toIxEExEE10hipError_tPvRmT2_T3_T4_T5_mT6_T7_P12ihipStream_tbENKUlT_T0_E_clISt17integral_constantIbLb0EESZ_EEDaSU_SV_EUlSU_E_NS1_11comp_targetILNS1_3genE5ELNS1_11target_archE942ELNS1_3gpuE9ELNS1_3repE0EEENS1_30default_config_static_selectorELNS0_4arch9wavefront6targetE1EEEvT1_,@function
_ZN7rocprim17ROCPRIM_400000_NS6detail17trampoline_kernelINS0_14default_configENS1_27scan_by_key_config_selectorIxxEEZZNS1_16scan_by_key_implILNS1_25lookback_scan_determinismE0ELb1ES3_N6thrust23THRUST_200600_302600_NS6detail15normal_iteratorINS9_10device_ptrIxEEEESE_SE_xNS9_4plusIvEENS9_8equal_toIxEExEE10hipError_tPvRmT2_T3_T4_T5_mT6_T7_P12ihipStream_tbENKUlT_T0_E_clISt17integral_constantIbLb0EESZ_EEDaSU_SV_EUlSU_E_NS1_11comp_targetILNS1_3genE5ELNS1_11target_archE942ELNS1_3gpuE9ELNS1_3repE0EEENS1_30default_config_static_selectorELNS0_4arch9wavefront6targetE1EEEvT1_: ; @_ZN7rocprim17ROCPRIM_400000_NS6detail17trampoline_kernelINS0_14default_configENS1_27scan_by_key_config_selectorIxxEEZZNS1_16scan_by_key_implILNS1_25lookback_scan_determinismE0ELb1ES3_N6thrust23THRUST_200600_302600_NS6detail15normal_iteratorINS9_10device_ptrIxEEEESE_SE_xNS9_4plusIvEENS9_8equal_toIxEExEE10hipError_tPvRmT2_T3_T4_T5_mT6_T7_P12ihipStream_tbENKUlT_T0_E_clISt17integral_constantIbLb0EESZ_EEDaSU_SV_EUlSU_E_NS1_11comp_targetILNS1_3genE5ELNS1_11target_archE942ELNS1_3gpuE9ELNS1_3repE0EEENS1_30default_config_static_selectorELNS0_4arch9wavefront6targetE1EEEvT1_
; %bb.0:
	s_load_dwordx8 s[44:51], s[0:1], 0x0
	s_load_dwordx2 s[56:57], s[0:1], 0x20
	s_load_dwordx8 s[36:43], s[0:1], 0x30
	s_load_dwordx2 s[58:59], s[0:1], 0x50
	s_load_dword s3, s[0:1], 0x58
	s_load_dwordx4 s[52:55], s[0:1], 0x60
	s_waitcnt lgkmcnt(0)
	s_lshl_b64 s[34:35], s[46:47], 3
	s_add_u32 s4, s44, s34
	s_addc_u32 s5, s45, s35
	s_add_u32 s6, s48, s34
	s_mul_i32 s0, s59, s3
	s_mul_hi_u32 s1, s58, s3
	s_addc_u32 s7, s49, s35
	s_add_i32 s8, s1, s0
	s_mul_i32 s0, s2, 0xe00
	s_mov_b32 s1, 0
	s_lshl_b64 s[44:45], s[0:1], 3
	s_add_u32 s48, s4, s44
	s_addc_u32 s49, s5, s45
	s_add_u32 s46, s6, s44
	s_mul_i32 s3, s58, s3
	s_addc_u32 s47, s7, s45
	s_add_u32 s0, s3, s2
	s_addc_u32 s1, s8, 0
	s_add_u32 s6, s52, -1
	s_addc_u32 s7, s53, -1
	v_mov_b64_e32 v[2:3], s[6:7]
	v_cmp_ge_u64_e64 s[0:1], s[0:1], v[2:3]
	s_mov_b64 s[4:5], -1
	s_and_b64 vcc, exec, s[0:1]
	s_mul_i32 s33, s6, 0xfffff200
	s_barrier
	s_cbranch_vccz .LBB427_76
; %bb.1:
	v_mov_b64_e32 v[2:3], s[48:49]
	flat_load_dwordx2 v[2:3], v[2:3]
	s_add_i32 s43, s33, s42
	v_cmp_gt_u32_e32 vcc, s43, v0
	s_waitcnt vmcnt(0) lgkmcnt(0)
	v_mov_b64_e32 v[4:5], v[2:3]
	s_and_saveexec_b64 s[4:5], vcc
	s_cbranch_execz .LBB427_3
; %bb.2:
	v_lshlrev_b32_e32 v4, 3, v0
	v_mov_b32_e32 v5, 0
	v_lshl_add_u64 v[4:5], s[48:49], 0, v[4:5]
	flat_load_dwordx2 v[4:5], v[4:5]
.LBB427_3:
	s_or_b64 exec, exec, s[4:5]
	v_or_b32_e32 v1, 0x100, v0
	v_cmp_gt_u32_e64 s[28:29], s43, v1
	v_mov_b64_e32 v[6:7], v[2:3]
	s_and_saveexec_b64 s[4:5], s[28:29]
	s_cbranch_execz .LBB427_5
; %bb.4:
	v_lshlrev_b32_e32 v6, 3, v0
	v_mov_b32_e32 v7, 0
	v_lshl_add_u64 v[6:7], s[48:49], 0, v[6:7]
	flat_load_dwordx2 v[6:7], v[6:7] offset:2048
.LBB427_5:
	s_or_b64 exec, exec, s[4:5]
	v_or_b32_e32 v1, 0x200, v0
	v_cmp_gt_u32_e64 s[4:5], s43, v1
	v_lshlrev_b32_e32 v30, 3, v1
	v_mov_b64_e32 v[8:9], v[2:3]
	s_and_saveexec_b64 s[6:7], s[4:5]
	s_cbranch_execz .LBB427_7
; %bb.6:
	v_mov_b32_e32 v31, 0
	v_lshl_add_u64 v[8:9], s[48:49], 0, v[30:31]
	flat_load_dwordx2 v[8:9], v[8:9]
.LBB427_7:
	s_or_b64 exec, exec, s[6:7]
	v_or_b32_e32 v1, 0x300, v0
	v_cmp_gt_u32_e64 s[6:7], s43, v1
	v_lshlrev_b32_e32 v32, 3, v1
	v_mov_b64_e32 v[10:11], v[2:3]
	s_and_saveexec_b64 s[8:9], s[6:7]
	s_cbranch_execz .LBB427_9
; %bb.8:
	v_mov_b32_e32 v33, 0
	v_lshl_add_u64 v[10:11], s[48:49], 0, v[32:33]
	flat_load_dwordx2 v[10:11], v[10:11]
.LBB427_9:
	;; [unrolled: 12-line block ×11, first 2 shown]
	s_or_b64 exec, exec, s[26:27]
	v_or_b32_e32 v1, 0xd00, v0
	v_cmp_gt_u32_e64 s[26:27], s43, v1
	v_lshlrev_b32_e32 v52, 3, v1
	s_and_saveexec_b64 s[30:31], s[26:27]
	s_cbranch_execz .LBB427_29
; %bb.28:
	v_mov_b32_e32 v53, 0
	v_lshl_add_u64 v[2:3], s[48:49], 0, v[52:53]
	flat_load_dwordx2 v[2:3], v[2:3]
.LBB427_29:
	s_or_b64 exec, exec, s[30:31]
	v_lshlrev_b32_e32 v54, 3, v0
	s_waitcnt vmcnt(0) lgkmcnt(0)
	ds_write2st64_b64 v54, v[4:5], v[6:7] offset1:4
	ds_write2st64_b64 v54, v[8:9], v[10:11] offset0:8 offset1:12
	ds_write2st64_b64 v54, v[12:13], v[14:15] offset0:16 offset1:20
	;; [unrolled: 1-line block ×6, first 2 shown]
	v_mov_b64_e32 v[2:3], s[48:49]
	s_waitcnt lgkmcnt(0)
	s_barrier
	flat_load_dwordx2 v[58:59], v[2:3]
	s_movk_i32 s3, 0x68
	v_mad_u32_u24 v76, v0, s3, v54
	s_movk_i32 s3, 0xff98
	v_mad_i32_i24 v1, v0, s3, v76
	s_movk_i32 s3, 0xff
	v_cmp_ne_u32_e64 s[30:31], s3, v0
	ds_read_b128 v[26:29], v76
	ds_read_b128 v[22:25], v76 offset:16
	ds_read_b128 v[18:21], v76 offset:32
	;; [unrolled: 1-line block ×6, first 2 shown]
	s_waitcnt lgkmcnt(0)
	ds_write_b64 v1, v[26:27] offset:30720
	s_waitcnt lgkmcnt(0)
	s_barrier
	s_and_saveexec_b64 s[52:53], s[30:31]
	s_cbranch_execz .LBB427_31
; %bb.30:
	s_waitcnt vmcnt(0)
	ds_read_b64 v[58:59], v54 offset:30728
.LBB427_31:
	s_or_b64 exec, exec, s[52:53]
	v_mov_b32_e32 v55, 0
	s_waitcnt lgkmcnt(0)
	s_barrier
	s_waitcnt lgkmcnt(0)
                                        ; implicit-def: $vgpr56_vgpr57
	s_and_saveexec_b64 s[30:31], vcc
	s_cbranch_execz .LBB427_151
; %bb.32:
	v_lshl_add_u64 v[56:57], s[46:47], 0, v[54:55]
	flat_load_dwordx2 v[56:57], v[56:57]
	s_or_b64 exec, exec, s[30:31]
                                        ; implicit-def: $vgpr60_vgpr61
	s_and_saveexec_b64 s[30:31], s[28:29]
	s_cbranch_execnz .LBB427_152
.LBB427_33:
	s_or_b64 exec, exec, s[30:31]
                                        ; implicit-def: $vgpr62_vgpr63
	s_and_saveexec_b64 s[28:29], s[4:5]
	s_cbranch_execz .LBB427_153
.LBB427_34:
	v_mov_b32_e32 v31, 0
	v_lshl_add_u64 v[30:31], s[46:47], 0, v[30:31]
	flat_load_dwordx2 v[62:63], v[30:31]
	s_or_b64 exec, exec, s[28:29]
                                        ; implicit-def: $vgpr30_vgpr31
	s_and_saveexec_b64 s[4:5], s[6:7]
	s_cbranch_execnz .LBB427_154
.LBB427_35:
	s_or_b64 exec, exec, s[4:5]
                                        ; implicit-def: $vgpr32_vgpr33
	s_and_saveexec_b64 s[4:5], s[8:9]
	s_cbranch_execz .LBB427_155
.LBB427_36:
	v_mov_b32_e32 v35, 0
	v_lshl_add_u64 v[32:33], s[46:47], 0, v[34:35]
	flat_load_dwordx2 v[32:33], v[32:33]
	s_or_b64 exec, exec, s[4:5]
                                        ; implicit-def: $vgpr34_vgpr35
	s_and_saveexec_b64 s[4:5], s[10:11]
	s_cbranch_execnz .LBB427_156
.LBB427_37:
	s_or_b64 exec, exec, s[4:5]
                                        ; implicit-def: $vgpr36_vgpr37
	s_and_saveexec_b64 s[4:5], s[12:13]
	s_cbranch_execz .LBB427_157
.LBB427_38:
	v_mov_b32_e32 v39, 0
	v_lshl_add_u64 v[36:37], s[46:47], 0, v[38:39]
	flat_load_dwordx2 v[36:37], v[36:37]
	s_or_b64 exec, exec, s[4:5]
                                        ; implicit-def: $vgpr38_vgpr39
	s_and_saveexec_b64 s[4:5], s[14:15]
	s_cbranch_execnz .LBB427_158
.LBB427_39:
	s_or_b64 exec, exec, s[4:5]
                                        ; implicit-def: $vgpr40_vgpr41
	s_and_saveexec_b64 s[4:5], s[16:17]
	s_cbranch_execz .LBB427_159
.LBB427_40:
	v_mov_b32_e32 v43, 0
	v_lshl_add_u64 v[40:41], s[46:47], 0, v[42:43]
	flat_load_dwordx2 v[40:41], v[40:41]
	s_or_b64 exec, exec, s[4:5]
                                        ; implicit-def: $vgpr42_vgpr43
	s_and_saveexec_b64 s[4:5], s[18:19]
	s_cbranch_execnz .LBB427_160
.LBB427_41:
	s_or_b64 exec, exec, s[4:5]
                                        ; implicit-def: $vgpr44_vgpr45
	s_and_saveexec_b64 s[4:5], s[20:21]
	s_cbranch_execz .LBB427_161
.LBB427_42:
	v_mov_b32_e32 v47, 0
	v_lshl_add_u64 v[44:45], s[46:47], 0, v[46:47]
	flat_load_dwordx2 v[44:45], v[44:45]
	s_or_b64 exec, exec, s[4:5]
                                        ; implicit-def: $vgpr46_vgpr47
	s_and_saveexec_b64 s[4:5], s[22:23]
	s_cbranch_execnz .LBB427_162
.LBB427_43:
	s_or_b64 exec, exec, s[4:5]
                                        ; implicit-def: $vgpr48_vgpr49
	s_and_saveexec_b64 s[4:5], s[24:25]
	s_cbranch_execz .LBB427_45
.LBB427_44:
	v_mov_b32_e32 v51, 0
	v_lshl_add_u64 v[48:49], s[46:47], 0, v[50:51]
	flat_load_dwordx2 v[48:49], v[48:49]
.LBB427_45:
	s_or_b64 exec, exec, s[4:5]
	v_mul_u32_u24_e32 v77, 14, v0
                                        ; implicit-def: $vgpr50_vgpr51
	s_and_saveexec_b64 s[4:5], s[26:27]
	s_cbranch_execz .LBB427_47
; %bb.46:
	v_mov_b32_e32 v53, 0
	v_lshl_add_u64 v[50:51], s[46:47], 0, v[52:53]
	flat_load_dwordx2 v[50:51], v[50:51]
.LBB427_47:
	s_or_b64 exec, exec, s[4:5]
	s_waitcnt vmcnt(0) lgkmcnt(0)
	ds_write2st64_b64 v54, v[56:57], v[60:61] offset1:4
	ds_write2st64_b64 v54, v[62:63], v[30:31] offset0:8 offset1:12
	ds_write2st64_b64 v54, v[32:33], v[34:35] offset0:16 offset1:20
	;; [unrolled: 1-line block ×6, first 2 shown]
	v_mov_b64_e32 v[54:55], 0
	v_cmp_gt_u32_e32 vcc, s43, v77
	s_mov_b64 s[10:11], 0
	s_mov_b32 s3, 0
	s_mov_b64 s[4:5], 0
	v_mov_b32_e32 v67, 0
	v_mov_b64_e32 v[34:35], v[54:55]
	v_mov_b32_e32 v75, 0
	v_mov_b64_e32 v[56:57], v[54:55]
	;; [unrolled: 2-line block ×12, first 2 shown]
	v_mov_b32_e32 v1, 0
	s_waitcnt lgkmcnt(0)
	s_barrier
	s_waitcnt lgkmcnt(0)
                                        ; implicit-def: $sgpr8_sgpr9
                                        ; implicit-def: $vgpr60_vgpr61
	s_and_saveexec_b64 s[6:7], vcc
	s_cbranch_execz .LBB427_75
; %bb.48:
	ds_read_b64 v[30:31], v76
	v_cmp_ne_u64_e32 vcc, v[26:27], v[28:29]
	v_mov_b32_e32 v26, s57
	v_or_b32_e32 v32, 1, v77
	v_mov_b64_e32 v[34:35], 0
	s_waitcnt lgkmcnt(0)
	v_cndmask_b32_e32 v55, v31, v26, vcc
	v_mov_b32_e32 v26, s56
	v_cndmask_b32_e64 v1, 0, 1, vcc
	v_cndmask_b32_e32 v54, v30, v26, vcc
	v_cmp_gt_u32_e32 vcc, s43, v32
	s_mov_b64 s[12:13], 0
	v_mov_b32_e32 v67, 0
	v_mov_b32_e32 v75, 0
	v_mov_b64_e32 v[56:57], v[34:35]
	v_mov_b32_e32 v74, 0
	v_mov_b64_e32 v[36:37], v[34:35]
	;; [unrolled: 2-line block ×11, first 2 shown]
                                        ; implicit-def: $sgpr14_sgpr15
                                        ; implicit-def: $vgpr60_vgpr61
	s_and_saveexec_b64 s[8:9], vcc
	s_cbranch_execz .LBB427_74
; %bb.49:
	ds_read2_b64 v[30:33], v76 offset0:1 offset1:2
	v_cmp_ne_u64_e32 vcc, v[28:29], v[22:23]
	v_mov_b32_e32 v27, s57
	v_add_u32_e32 v26, 2, v77
	v_mov_b64_e32 v[34:35], 0
	s_waitcnt lgkmcnt(0)
	v_cndmask_b32_e32 v31, v31, v27, vcc
	v_mov_b32_e32 v27, s56
	v_cndmask_b32_e64 v64, 0, 1, vcc
	v_cndmask_b32_e32 v30, v30, v27, vcc
	v_cmp_gt_u32_e32 vcc, s43, v26
	s_mov_b64 s[14:15], 0
	v_mov_b32_e32 v67, 0
	v_mov_b32_e32 v75, 0
	v_mov_b64_e32 v[56:57], v[34:35]
	v_mov_b32_e32 v74, 0
	v_mov_b64_e32 v[36:37], v[34:35]
	v_mov_b32_e32 v73, 0
	v_mov_b64_e32 v[52:53], v[34:35]
	v_mov_b32_e32 v72, 0
	v_mov_b64_e32 v[40:41], v[34:35]
	v_mov_b32_e32 v71, 0
	v_mov_b64_e32 v[38:39], v[34:35]
	v_mov_b32_e32 v70, 0
	v_mov_b64_e32 v[44:45], v[34:35]
	v_mov_b32_e32 v69, 0
	v_mov_b64_e32 v[42:43], v[34:35]
	v_mov_b32_e32 v68, 0
	v_mov_b64_e32 v[48:49], v[34:35]
	v_mov_b32_e32 v66, 0
	v_mov_b64_e32 v[46:47], v[34:35]
	v_mov_b32_e32 v65, 0
	v_mov_b64_e32 v[50:51], v[34:35]
                                        ; implicit-def: $sgpr16_sgpr17
                                        ; implicit-def: $vgpr60_vgpr61
	s_and_saveexec_b64 s[10:11], vcc
	s_cbranch_execz .LBB427_73
; %bb.50:
	v_cmp_ne_u64_e32 vcc, v[22:23], v[24:25]
	v_mov_b32_e32 v22, s57
	v_add_u32_e32 v26, 3, v77
	v_cndmask_b32_e32 v51, v33, v22, vcc
	v_mov_b32_e32 v22, s56
	v_mov_b64_e32 v[34:35], 0
	v_cndmask_b32_e64 v65, 0, 1, vcc
	v_cndmask_b32_e32 v50, v32, v22, vcc
	v_cmp_gt_u32_e32 vcc, s43, v26
	s_mov_b64 s[16:17], 0
	v_mov_b32_e32 v67, 0
	v_mov_b32_e32 v75, 0
	v_mov_b64_e32 v[56:57], v[34:35]
	v_mov_b32_e32 v74, 0
	v_mov_b64_e32 v[36:37], v[34:35]
	;; [unrolled: 2-line block ×9, first 2 shown]
                                        ; implicit-def: $sgpr18_sgpr19
                                        ; implicit-def: $vgpr60_vgpr61
	s_and_saveexec_b64 s[12:13], vcc
	s_cbranch_execz .LBB427_72
; %bb.51:
	ds_read2_b64 v[26:29], v76 offset0:3 offset1:4
	v_cmp_ne_u64_e32 vcc, v[24:25], v[18:19]
	v_mov_b32_e32 v23, s57
	v_add_u32_e32 v22, 4, v77
	v_mov_b64_e32 v[34:35], 0
	s_waitcnt lgkmcnt(0)
	v_cndmask_b32_e32 v47, v27, v23, vcc
	v_mov_b32_e32 v23, s56
	v_cndmask_b32_e64 v66, 0, 1, vcc
	v_cndmask_b32_e32 v46, v26, v23, vcc
	v_cmp_gt_u32_e32 vcc, s43, v22
	s_mov_b64 s[18:19], 0
	v_mov_b32_e32 v67, 0
	v_mov_b32_e32 v75, 0
	v_mov_b64_e32 v[56:57], v[34:35]
	v_mov_b32_e32 v74, 0
	v_mov_b64_e32 v[36:37], v[34:35]
	;; [unrolled: 2-line block ×8, first 2 shown]
                                        ; implicit-def: $sgpr20_sgpr21
                                        ; implicit-def: $vgpr60_vgpr61
	s_and_saveexec_b64 s[14:15], vcc
	s_cbranch_execz .LBB427_71
; %bb.52:
	v_cmp_ne_u64_e32 vcc, v[18:19], v[20:21]
	v_mov_b32_e32 v18, s57
	v_add_u32_e32 v22, 5, v77
	v_cndmask_b32_e32 v49, v29, v18, vcc
	v_mov_b32_e32 v18, s56
	v_mov_b64_e32 v[34:35], 0
	v_cndmask_b32_e64 v68, 0, 1, vcc
	v_cndmask_b32_e32 v48, v28, v18, vcc
	v_cmp_gt_u32_e32 vcc, s43, v22
	s_mov_b64 s[20:21], 0
	v_mov_b32_e32 v67, 0
	v_mov_b32_e32 v75, 0
	v_mov_b64_e32 v[56:57], v[34:35]
	v_mov_b32_e32 v74, 0
	v_mov_b64_e32 v[36:37], v[34:35]
	;; [unrolled: 2-line block ×7, first 2 shown]
                                        ; implicit-def: $sgpr22_sgpr23
                                        ; implicit-def: $vgpr60_vgpr61
	s_and_saveexec_b64 s[16:17], vcc
	s_cbranch_execz .LBB427_70
; %bb.53:
	ds_read2_b64 v[22:25], v76 offset0:5 offset1:6
	v_cmp_ne_u64_e32 vcc, v[20:21], v[14:15]
	v_mov_b32_e32 v19, s57
	v_add_u32_e32 v18, 6, v77
	v_mov_b64_e32 v[34:35], 0
	s_waitcnt lgkmcnt(0)
	v_cndmask_b32_e32 v43, v23, v19, vcc
	v_mov_b32_e32 v19, s56
	v_cndmask_b32_e64 v69, 0, 1, vcc
	v_cndmask_b32_e32 v42, v22, v19, vcc
	v_cmp_gt_u32_e32 vcc, s43, v18
	s_mov_b64 s[22:23], 0
	v_mov_b32_e32 v67, 0
	v_mov_b32_e32 v75, 0
	v_mov_b64_e32 v[56:57], v[34:35]
	v_mov_b32_e32 v74, 0
	v_mov_b64_e32 v[36:37], v[34:35]
	;; [unrolled: 2-line block ×6, first 2 shown]
                                        ; implicit-def: $sgpr24_sgpr25
                                        ; implicit-def: $vgpr60_vgpr61
	s_and_saveexec_b64 s[18:19], vcc
	s_cbranch_execz .LBB427_69
; %bb.54:
	v_cmp_ne_u64_e32 vcc, v[14:15], v[16:17]
	v_mov_b32_e32 v14, s57
	v_add_u32_e32 v18, 7, v77
	v_cndmask_b32_e32 v45, v25, v14, vcc
	v_mov_b32_e32 v14, s56
	v_mov_b64_e32 v[34:35], 0
	v_cndmask_b32_e64 v70, 0, 1, vcc
	v_cndmask_b32_e32 v44, v24, v14, vcc
	v_cmp_gt_u32_e32 vcc, s43, v18
	s_mov_b64 s[24:25], 0
	v_mov_b32_e32 v67, 0
	v_mov_b32_e32 v75, 0
	v_mov_b64_e32 v[56:57], v[34:35]
	v_mov_b32_e32 v74, 0
	v_mov_b64_e32 v[36:37], v[34:35]
	;; [unrolled: 2-line block ×5, first 2 shown]
                                        ; implicit-def: $sgpr26_sgpr27
                                        ; implicit-def: $vgpr60_vgpr61
	s_and_saveexec_b64 s[20:21], vcc
	s_cbranch_execz .LBB427_68
; %bb.55:
	ds_read2_b64 v[18:21], v76 offset0:7 offset1:8
	v_cmp_ne_u64_e32 vcc, v[16:17], v[10:11]
	v_mov_b32_e32 v15, s57
	v_add_u32_e32 v14, 8, v77
	v_mov_b64_e32 v[34:35], 0
	s_waitcnt lgkmcnt(0)
	v_cndmask_b32_e32 v39, v19, v15, vcc
	v_mov_b32_e32 v15, s56
	v_cndmask_b32_e64 v71, 0, 1, vcc
	v_cndmask_b32_e32 v38, v18, v15, vcc
	v_cmp_gt_u32_e32 vcc, s43, v14
	s_mov_b64 s[26:27], 0
	v_mov_b32_e32 v67, 0
	v_mov_b32_e32 v75, 0
	v_mov_b64_e32 v[56:57], v[34:35]
	v_mov_b32_e32 v74, 0
	v_mov_b64_e32 v[36:37], v[34:35]
	;; [unrolled: 2-line block ×4, first 2 shown]
                                        ; implicit-def: $sgpr28_sgpr29
                                        ; implicit-def: $vgpr60_vgpr61
	s_and_saveexec_b64 s[22:23], vcc
	s_cbranch_execz .LBB427_67
; %bb.56:
	v_cmp_ne_u64_e32 vcc, v[10:11], v[12:13]
	v_mov_b32_e32 v10, s57
	v_add_u32_e32 v14, 9, v77
	v_cndmask_b32_e32 v41, v21, v10, vcc
	v_mov_b32_e32 v10, s56
	v_mov_b64_e32 v[34:35], 0
	v_cndmask_b32_e64 v72, 0, 1, vcc
	v_cndmask_b32_e32 v40, v20, v10, vcc
	v_cmp_gt_u32_e32 vcc, s43, v14
	s_mov_b64 s[28:29], 0
	v_mov_b32_e32 v67, 0
	v_mov_b32_e32 v75, 0
	v_mov_b64_e32 v[56:57], v[34:35]
	v_mov_b32_e32 v74, 0
	v_mov_b64_e32 v[36:37], v[34:35]
	;; [unrolled: 2-line block ×3, first 2 shown]
                                        ; implicit-def: $sgpr30_sgpr31
                                        ; implicit-def: $vgpr60_vgpr61
	s_and_saveexec_b64 s[24:25], vcc
	s_cbranch_execz .LBB427_66
; %bb.57:
	ds_read2_b64 v[14:17], v76 offset0:9 offset1:10
	v_cmp_ne_u64_e32 vcc, v[12:13], v[6:7]
	v_mov_b32_e32 v11, s57
	v_add_u32_e32 v10, 10, v77
	v_mov_b64_e32 v[34:35], 0
	s_waitcnt lgkmcnt(0)
	v_cndmask_b32_e32 v53, v15, v11, vcc
	v_mov_b32_e32 v11, s56
	v_cndmask_b32_e64 v73, 0, 1, vcc
	v_cndmask_b32_e32 v52, v14, v11, vcc
	v_cmp_gt_u32_e32 vcc, s43, v10
	s_mov_b64 s[30:31], 0
	v_mov_b32_e32 v67, 0
	v_mov_b32_e32 v75, 0
	v_mov_b64_e32 v[56:57], v[34:35]
	v_mov_b32_e32 v74, 0
	v_mov_b64_e32 v[36:37], v[34:35]
                                        ; implicit-def: $sgpr52_sgpr53
                                        ; implicit-def: $vgpr60_vgpr61
	s_and_saveexec_b64 s[26:27], vcc
	s_cbranch_execz .LBB427_65
; %bb.58:
	v_cmp_ne_u64_e32 vcc, v[6:7], v[8:9]
	v_mov_b32_e32 v6, s57
	v_add_u32_e32 v10, 11, v77
	v_cndmask_b32_e32 v37, v17, v6, vcc
	v_mov_b32_e32 v6, s56
	v_mov_b64_e32 v[34:35], 0
	v_cndmask_b32_e64 v74, 0, 1, vcc
	v_cndmask_b32_e32 v36, v16, v6, vcc
	v_cmp_gt_u32_e32 vcc, s43, v10
	s_mov_b64 s[52:53], 0
	v_mov_b32_e32 v67, 0
	v_mov_b32_e32 v75, 0
	v_mov_b64_e32 v[56:57], v[34:35]
                                        ; implicit-def: $sgpr60_sgpr61
                                        ; implicit-def: $vgpr60_vgpr61
	s_and_saveexec_b64 s[28:29], vcc
	s_cbranch_execz .LBB427_64
; %bb.59:
	ds_read2_b64 v[10:13], v76 offset0:11 offset1:12
	v_cmp_ne_u64_e32 vcc, v[8:9], v[2:3]
	v_mov_b32_e32 v7, s57
	v_add_u32_e32 v6, 12, v77
	v_cndmask_b32_e64 v75, 0, 1, vcc
	s_waitcnt lgkmcnt(0)
	v_cndmask_b32_e32 v57, v11, v7, vcc
	v_mov_b32_e32 v7, s56
	v_cndmask_b32_e32 v56, v10, v7, vcc
	v_cmp_gt_u32_e32 vcc, s43, v6
	v_mov_b32_e32 v67, 0
	v_mov_b64_e32 v[34:35], 0
                                        ; implicit-def: $sgpr60_sgpr61
                                        ; implicit-def: $vgpr60_vgpr61
	s_and_saveexec_b64 s[30:31], vcc
	s_cbranch_execz .LBB427_63
; %bb.60:
	v_cmp_ne_u64_e32 vcc, v[2:3], v[4:5]
	v_mov_b32_e32 v2, s57
	v_add_u32_e32 v6, 13, v77
	v_cndmask_b32_e32 v35, v13, v2, vcc
	v_mov_b32_e32 v2, s56
	v_cndmask_b32_e64 v67, 0, 1, vcc
	v_cndmask_b32_e32 v34, v12, v2, vcc
	v_cmp_gt_u32_e32 vcc, s43, v6
                                        ; implicit-def: $sgpr60_sgpr61
                                        ; implicit-def: $vgpr60_vgpr61
	s_and_saveexec_b64 s[62:63], vcc
	s_xor_b64 s[62:63], exec, s[62:63]
	s_cbranch_execz .LBB427_62
; %bb.61:
	ds_read_b64 v[2:3], v76 offset:104
	v_mov_b32_e32 v6, s57
	v_mov_b32_e32 v7, s56
	v_cmp_ne_u64_e32 vcc, v[4:5], v[58:59]
	s_mov_b64 s[52:53], exec
	s_and_b64 s[60:61], vcc, exec
	s_waitcnt lgkmcnt(0)
	v_cndmask_b32_e32 v61, v3, v6, vcc
	v_cndmask_b32_e32 v60, v2, v7, vcc
.LBB427_62:
	s_or_b64 exec, exec, s[62:63]
	s_and_b64 s[60:61], s[60:61], exec
	s_and_b64 s[52:53], s[52:53], exec
.LBB427_63:
	s_or_b64 exec, exec, s[30:31]
	s_and_b64 s[60:61], s[60:61], exec
	s_and_b64 s[30:31], s[52:53], exec
.LBB427_64:
	s_or_b64 exec, exec, s[28:29]
	s_and_b64 s[52:53], s[60:61], exec
	s_and_b64 s[28:29], s[30:31], exec
.LBB427_65:
	s_or_b64 exec, exec, s[26:27]
	s_and_b64 s[30:31], s[52:53], exec
	s_and_b64 s[26:27], s[28:29], exec
.LBB427_66:
	s_or_b64 exec, exec, s[24:25]
	s_and_b64 s[28:29], s[30:31], exec
	s_and_b64 s[24:25], s[26:27], exec
.LBB427_67:
	s_or_b64 exec, exec, s[22:23]
	s_and_b64 s[26:27], s[28:29], exec
	s_and_b64 s[22:23], s[24:25], exec
.LBB427_68:
	s_or_b64 exec, exec, s[20:21]
	s_and_b64 s[24:25], s[26:27], exec
	s_and_b64 s[20:21], s[22:23], exec
.LBB427_69:
	s_or_b64 exec, exec, s[18:19]
	s_and_b64 s[22:23], s[24:25], exec
	s_and_b64 s[18:19], s[20:21], exec
.LBB427_70:
	s_or_b64 exec, exec, s[16:17]
	s_and_b64 s[20:21], s[22:23], exec
	s_and_b64 s[16:17], s[18:19], exec
.LBB427_71:
	s_or_b64 exec, exec, s[14:15]
	s_and_b64 s[18:19], s[20:21], exec
	s_and_b64 s[14:15], s[16:17], exec
.LBB427_72:
	s_or_b64 exec, exec, s[12:13]
	s_and_b64 s[16:17], s[18:19], exec
	s_and_b64 s[12:13], s[14:15], exec
.LBB427_73:
	s_or_b64 exec, exec, s[10:11]
	s_and_b64 s[14:15], s[16:17], exec
	s_and_b64 s[10:11], s[12:13], exec
.LBB427_74:
	s_or_b64 exec, exec, s[8:9]
	s_and_b64 s[8:9], s[14:15], exec
	s_and_b64 s[10:11], s[10:11], exec
.LBB427_75:
	s_or_b64 exec, exec, s[6:7]
	s_mov_b64 s[6:7], 0
	s_and_b64 vcc, exec, s[4:5]
	v_lshlrev_b32_e32 v58, 3, v0
	s_cbranch_vccnz .LBB427_77
	s_branch .LBB427_82
.LBB427_76:
	s_mov_b64 s[10:11], 0
                                        ; implicit-def: $sgpr8_sgpr9
                                        ; implicit-def: $vgpr60_vgpr61
                                        ; implicit-def: $vgpr54_vgpr55
                                        ; implicit-def: $vgpr67
                                        ; implicit-def: $vgpr34_vgpr35
                                        ; implicit-def: $vgpr75
                                        ; implicit-def: $vgpr56_vgpr57
                                        ; implicit-def: $vgpr74
                                        ; implicit-def: $vgpr36_vgpr37
                                        ; implicit-def: $vgpr73
                                        ; implicit-def: $vgpr52_vgpr53
                                        ; implicit-def: $vgpr72
                                        ; implicit-def: $vgpr40_vgpr41
                                        ; implicit-def: $vgpr71
                                        ; implicit-def: $vgpr38_vgpr39
                                        ; implicit-def: $vgpr70
                                        ; implicit-def: $vgpr44_vgpr45
                                        ; implicit-def: $vgpr69
                                        ; implicit-def: $vgpr42_vgpr43
                                        ; implicit-def: $vgpr68
                                        ; implicit-def: $vgpr48_vgpr49
                                        ; implicit-def: $vgpr66
                                        ; implicit-def: $vgpr46_vgpr47
                                        ; implicit-def: $vgpr65
                                        ; implicit-def: $vgpr50_vgpr51
                                        ; implicit-def: $vgpr64
                                        ; implicit-def: $vgpr30_vgpr31
                                        ; implicit-def: $vgpr1
                                        ; implicit-def: $sgpr3
                                        ; implicit-def: $sgpr6_sgpr7
	s_and_b64 vcc, exec, s[4:5]
	v_lshlrev_b32_e32 v58, 3, v0
	s_cbranch_vccz .LBB427_82
.LBB427_77:
	v_mov_b32_e32 v59, 0
	v_lshl_add_u64 v[2:3], s[48:49], 0, v[58:59]
	v_add_co_u32_e32 v4, vcc, 0x1000, v2
	s_movk_i32 s3, 0x7000
	s_nop 0
	v_addc_co_u32_e32 v5, vcc, 0, v3, vcc
	flat_load_dwordx2 v[6:7], v[2:3]
	flat_load_dwordx2 v[8:9], v[2:3] offset:2048
	flat_load_dwordx2 v[10:11], v[4:5]
	flat_load_dwordx2 v[12:13], v[4:5] offset:2048
	v_add_co_u32_e32 v4, vcc, 0x2000, v2
	v_mov_b32_e32 v1, s48
	s_nop 0
	v_addc_co_u32_e32 v5, vcc, 0, v3, vcc
	v_add_co_u32_e32 v14, vcc, 0x3000, v2
	s_movk_i32 s4, 0x68
	s_nop 0
	v_addc_co_u32_e32 v15, vcc, 0, v3, vcc
	flat_load_dwordx2 v[16:17], v[4:5]
	flat_load_dwordx2 v[18:19], v[4:5] offset:2048
	flat_load_dwordx2 v[20:21], v[14:15]
	flat_load_dwordx2 v[22:23], v[14:15] offset:2048
	v_add_co_u32_e32 v4, vcc, 0x4000, v2
	s_movk_i32 s10, 0x1000
	s_nop 0
	v_addc_co_u32_e32 v5, vcc, 0, v3, vcc
	v_add_co_u32_e32 v14, vcc, 0x5000, v2
	s_movk_i32 s9, 0x2000
	s_nop 0
	v_addc_co_u32_e32 v15, vcc, 0, v3, vcc
	v_add_co_u32_e32 v2, vcc, 0x6000, v2
	flat_load_dwordx2 v[24:25], v[4:5]
	flat_load_dwordx2 v[26:27], v[4:5] offset:2048
	flat_load_dwordx2 v[28:29], v[14:15]
	flat_load_dwordx2 v[30:31], v[14:15] offset:2048
	v_addc_co_u32_e32 v3, vcc, 0, v3, vcc
	flat_load_dwordx2 v[4:5], v[2:3]
	flat_load_dwordx2 v[14:15], v[2:3] offset:2048
	v_mov_b32_e32 v3, s49
	v_add_co_u32_e32 v2, vcc, s3, v1
	v_mad_u32_u24 v1, v0, s4, v58
	s_nop 0
	v_addc_co_u32_e32 v3, vcc, 0, v3, vcc
	s_movk_i32 s4, 0xff98
	s_movk_i32 s8, 0x3000
	;; [unrolled: 1-line block ×5, first 2 shown]
	s_waitcnt vmcnt(0) lgkmcnt(0)
	ds_write2st64_b64 v58, v[6:7], v[8:9] offset1:4
	ds_write2st64_b64 v58, v[10:11], v[12:13] offset0:8 offset1:12
	ds_write2st64_b64 v58, v[16:17], v[18:19] offset0:16 offset1:20
	;; [unrolled: 1-line block ×6, first 2 shown]
	s_waitcnt lgkmcnt(0)
	s_barrier
	flat_load_dwordx2 v[60:61], v[2:3]
	v_mad_i32_i24 v26, v0, s4, v1
	s_movk_i32 s4, 0xff
	v_cmp_ne_u32_e32 vcc, s4, v0
	ds_read_b128 v[30:33], v1
	ds_read_b128 v[22:25], v1 offset:16
	ds_read_b128 v[18:21], v1 offset:32
	;; [unrolled: 1-line block ×6, first 2 shown]
	s_waitcnt lgkmcnt(0)
	ds_write_b64 v26, v[30:31] offset:30720
	s_waitcnt lgkmcnt(0)
	s_barrier
	s_and_saveexec_b64 s[4:5], vcc
	s_cbranch_execz .LBB427_79
; %bb.78:
	s_waitcnt vmcnt(0)
	ds_read_b64 v[60:61], v58 offset:30728
.LBB427_79:
	s_or_b64 exec, exec, s[4:5]
	v_lshl_add_u64 v[26:27], s[46:47], 0, v[58:59]
	v_add_co_u32_e32 v28, vcc, s10, v26
	s_waitcnt lgkmcnt(0)
	s_nop 0
	v_addc_co_u32_e32 v29, vcc, 0, v27, vcc
	s_barrier
	flat_load_dwordx2 v[34:35], v[26:27]
	flat_load_dwordx2 v[36:37], v[26:27] offset:2048
	flat_load_dwordx2 v[38:39], v[28:29]
	flat_load_dwordx2 v[40:41], v[28:29] offset:2048
	v_add_co_u32_e32 v28, vcc, s9, v26
	v_cmp_eq_u64_e64 s[4:5], v[30:31], v[32:33]
	s_nop 0
	v_addc_co_u32_e32 v29, vcc, 0, v27, vcc
	v_add_co_u32_e32 v42, vcc, s8, v26
	s_nop 1
	v_addc_co_u32_e32 v43, vcc, 0, v27, vcc
	flat_load_dwordx2 v[44:45], v[28:29]
	flat_load_dwordx2 v[46:47], v[28:29] offset:2048
	flat_load_dwordx2 v[48:49], v[42:43]
	flat_load_dwordx2 v[50:51], v[42:43] offset:2048
	v_add_co_u32_e32 v28, vcc, s7, v26
	s_nop 1
	v_addc_co_u32_e32 v29, vcc, 0, v27, vcc
	v_add_co_u32_e32 v42, vcc, s6, v26
	s_nop 1
	v_addc_co_u32_e32 v43, vcc, 0, v27, vcc
	v_add_co_u32_e32 v26, vcc, s3, v26
	flat_load_dwordx2 v[52:53], v[28:29]
	flat_load_dwordx2 v[54:55], v[28:29] offset:2048
	flat_load_dwordx2 v[56:57], v[42:43]
	flat_load_dwordx2 v[62:63], v[42:43] offset:2048
	v_addc_co_u32_e32 v27, vcc, 0, v27, vcc
	flat_load_dwordx2 v[28:29], v[26:27]
	flat_load_dwordx2 v[42:43], v[26:27] offset:2048
	v_cmp_ne_u64_e32 vcc, v[30:31], v[32:33]
	s_waitcnt vmcnt(0) lgkmcnt(0)
	ds_write2st64_b64 v58, v[34:35], v[36:37] offset1:4
	ds_write2st64_b64 v58, v[38:39], v[40:41] offset0:8 offset1:12
	ds_write2st64_b64 v58, v[44:45], v[46:47] offset0:16 offset1:20
	;; [unrolled: 1-line block ×6, first 2 shown]
	s_waitcnt lgkmcnt(0)
	s_barrier
	ds_read2_b64 v[50:53], v1 offset0:1 offset1:2
	ds_read2_b64 v[46:49], v1 offset0:3 offset1:4
	;; [unrolled: 1-line block ×6, first 2 shown]
	ds_read_b64 v[62:63], v1 offset:104
	v_mov_b64_e32 v[54:55], s[56:57]
	s_and_saveexec_b64 s[6:7], s[4:5]
	s_cbranch_execz .LBB427_81
; %bb.80:
	ds_read_b64 v[54:55], v1
.LBB427_81:
	s_or_b64 exec, exec, s[6:7]
	v_cmp_ne_u64_e64 s[8:9], v[18:19], v[20:21]
	v_cmp_ne_u64_e64 s[22:23], v[8:9], v[2:3]
	;; [unrolled: 1-line block ×3, first 2 shown]
	v_mov_b32_e32 v2, s57
	v_mov_b32_e32 v3, s56
	v_cndmask_b32_e64 v1, 0, 1, vcc
	v_cmp_ne_u64_e32 vcc, v[32:33], v[22:23]
	v_cmp_ne_u64_e64 s[4:5], v[22:23], v[24:25]
	v_cmp_ne_u64_e64 s[6:7], v[24:25], v[18:19]
	v_cndmask_b32_e64 v68, 0, 1, s[8:9]
	v_cmp_ne_u64_e64 s[10:11], v[20:21], v[14:15]
	v_cmp_ne_u64_e64 s[12:13], v[14:15], v[16:17]
	;; [unrolled: 1-line block ×6, first 2 shown]
	s_waitcnt lgkmcnt(5)
	v_cndmask_b32_e64 v49, v49, v2, s[8:9]
	v_cndmask_b32_e64 v48, v48, v3, s[8:9]
	v_cmp_ne_u64_e64 s[8:9], v[4:5], v[60:61]
	v_cndmask_b32_e64 v64, 0, 1, vcc
	v_cndmask_b32_e64 v65, 0, 1, s[4:5]
	v_cndmask_b32_e64 v66, 0, 1, s[6:7]
	;; [unrolled: 1-line block ×10, first 2 shown]
	v_cndmask_b32_e32 v31, v51, v2, vcc
	v_cndmask_b32_e32 v30, v50, v3, vcc
	v_cndmask_b32_e64 v51, v53, v2, s[4:5]
	v_cndmask_b32_e64 v50, v52, v3, s[4:5]
	v_cndmask_b32_e64 v47, v47, v2, s[6:7]
	v_cndmask_b32_e64 v46, v46, v3, s[6:7]
	s_waitcnt lgkmcnt(4)
	v_cndmask_b32_e64 v43, v43, v2, s[10:11]
	v_cndmask_b32_e64 v42, v42, v3, s[10:11]
	v_cndmask_b32_e64 v45, v45, v2, s[12:13]
	v_cndmask_b32_e64 v44, v44, v3, s[12:13]
	s_waitcnt lgkmcnt(3)
	v_cndmask_b32_e64 v39, v39, v2, s[14:15]
	v_cndmask_b32_e64 v38, v38, v3, s[14:15]
	v_cndmask_b32_e64 v41, v41, v2, s[16:17]
	v_cndmask_b32_e64 v40, v40, v3, s[16:17]
	s_waitcnt lgkmcnt(2)
	v_cndmask_b32_e64 v53, v35, v2, s[18:19]
	v_cndmask_b32_e64 v52, v34, v3, s[18:19]
	v_cndmask_b32_e64 v37, v37, v2, s[20:21]
	v_cndmask_b32_e64 v36, v36, v3, s[20:21]
	s_waitcnt lgkmcnt(1)
	v_cndmask_b32_e64 v57, v27, v2, s[22:23]
	v_cndmask_b32_e64 v56, v26, v3, s[22:23]
	v_cndmask_b32_e64 v35, v29, v2, s[24:25]
	v_cndmask_b32_e64 v34, v28, v3, s[24:25]
	s_waitcnt lgkmcnt(0)
	v_cndmask_b32_e64 v61, v63, v2, s[8:9]
	v_cndmask_b32_e64 v60, v62, v3, s[8:9]
	s_mov_b64 s[10:11], -1
                                        ; implicit-def: $sgpr3
                                        ; implicit-def: $sgpr6_sgpr7
.LBB427_82:
	v_mov_b64_e32 v[28:29], s[6:7]
	v_mov_b32_e32 v59, s3
	s_and_saveexec_b64 s[4:5], s[10:11]
; %bb.83:
	v_cndmask_b32_e64 v59, 0, 1, s[8:9]
	v_mov_b64_e32 v[28:29], v[60:61]
; %bb.84:
	s_or_b64 exec, exec, s[4:5]
	v_or_b32_e32 v2, v59, v67
	s_cmp_lg_u32 s2, 0
	v_or_b32_e32 v63, v2, v75
	v_mbcnt_lo_u32_b32 v62, -1, 0
	s_barrier
	s_cbranch_scc0 .LBB427_163
; %bb.85:
	v_mov_b32_e32 v4, 0
	v_cmp_eq_u16_sdwa s[28:29], v64, v4 src0_sel:BYTE_0 src1_sel:DWORD
	v_cmp_eq_u16_sdwa s[4:5], v65, v4 src0_sel:BYTE_0 src1_sel:DWORD
	;; [unrolled: 1-line block ×3, first 2 shown]
	v_cndmask_b32_e64 v3, 0, v55, s[28:29]
	v_cndmask_b32_e64 v2, 0, v54, s[28:29]
	v_lshl_add_u64 v[2:3], v[2:3], 0, v[30:31]
	v_cndmask_b32_e64 v3, 0, v3, s[4:5]
	v_cndmask_b32_e64 v2, 0, v2, s[4:5]
	v_lshl_add_u64 v[2:3], v[2:3], 0, v[50:51]
	;; [unrolled: 3-line block ×3, first 2 shown]
	v_cmp_eq_u16_sdwa s[8:9], v68, v4 src0_sel:BYTE_0 src1_sel:DWORD
	v_cmp_eq_u16_sdwa s[10:11], v69, v4 src0_sel:BYTE_0 src1_sel:DWORD
	;; [unrolled: 1-line block ×3, first 2 shown]
	v_cndmask_b32_e64 v3, 0, v3, s[8:9]
	v_cndmask_b32_e64 v2, 0, v2, s[8:9]
	v_lshl_add_u64 v[2:3], v[2:3], 0, v[48:49]
	v_cndmask_b32_e64 v3, 0, v3, s[10:11]
	v_cndmask_b32_e64 v2, 0, v2, s[10:11]
	v_lshl_add_u64 v[2:3], v[2:3], 0, v[42:43]
	;; [unrolled: 3-line block ×3, first 2 shown]
	v_cmp_eq_u16_sdwa s[14:15], v71, v4 src0_sel:BYTE_0 src1_sel:DWORD
	v_cmp_eq_u16_sdwa s[16:17], v72, v4 src0_sel:BYTE_0 src1_sel:DWORD
	;; [unrolled: 1-line block ×3, first 2 shown]
	v_cndmask_b32_e64 v3, 0, v3, s[14:15]
	v_cndmask_b32_e64 v2, 0, v2, s[14:15]
	v_lshl_add_u64 v[2:3], v[2:3], 0, v[38:39]
	v_cndmask_b32_e64 v3, 0, v3, s[16:17]
	v_cndmask_b32_e64 v2, 0, v2, s[16:17]
	v_cmp_eq_u16_sdwa s[20:21], v74, v4 src0_sel:BYTE_0 src1_sel:DWORD
	v_cmp_eq_u16_sdwa s[22:23], v75, v4 src0_sel:BYTE_0 src1_sel:DWORD
	;; [unrolled: 1-line block ×3, first 2 shown]
	v_cmp_eq_u16_sdwa vcc, v59, v4 src0_sel:BYTE_0 src1_sel:DWORD
	v_or_b32_e32 v4, v63, v74
	v_lshl_add_u64 v[2:3], v[2:3], 0, v[40:41]
	v_or_b32_e32 v4, v4, v73
	v_cndmask_b32_e64 v3, 0, v3, s[18:19]
	v_cndmask_b32_e64 v2, 0, v2, s[18:19]
	v_or_b32_e32 v4, v4, v72
	v_lshl_add_u64 v[2:3], v[2:3], 0, v[52:53]
	v_or_b32_e32 v4, v4, v71
	v_cndmask_b32_e64 v3, 0, v3, s[20:21]
	v_cndmask_b32_e64 v2, 0, v2, s[20:21]
	;; [unrolled: 5-line block ×4, first 2 shown]
	v_or_b32_e32 v4, v4, v65
	v_lshl_add_u64 v[2:3], v[2:3], 0, v[34:35]
	v_or_b32_e32 v4, v4, v64
	v_cndmask_b32_e32 v3, 0, v3, vcc
	v_cndmask_b32_e32 v2, 0, v2, vcc
	v_or_b32_e32 v4, v4, v1
	v_mbcnt_hi_u32_b32 v9, -1, v62
	v_lshl_add_u64 v[2:3], v[2:3], 0, v[28:29]
	v_and_b32_e32 v8, 1, v4
	v_and_b32_e32 v5, 15, v9
	v_cmp_eq_u32_e32 vcc, 1, v8
	v_mov_b32_dpp v7, v2 row_shr:1 row_mask:0xf bank_mask:0xf
	v_mov_b32_dpp v10, v3 row_shr:1 row_mask:0xf bank_mask:0xf
	;; [unrolled: 1-line block ×3, first 2 shown]
	v_cmp_ne_u32_e64 s[26:27], 0, v5
	v_mov_b32_e32 v4, v8
	s_and_saveexec_b64 s[30:31], s[26:27]
; %bb.86:
	v_and_b32_e32 v4, 1, v6
	v_cndmask_b32_e64 v11, v10, 0, vcc
	v_cndmask_b32_e64 v10, v7, 0, vcc
	v_or_b32_e32 v8, v4, v8
	v_lshl_add_u64 v[2:3], v[10:11], 0, v[2:3]
	v_and_b32_e32 v4, 0xffff, v8
; %bb.87:
	s_or_b64 exec, exec, s[30:31]
	v_mov_b32_dpp v7, v2 row_shr:2 row_mask:0xf bank_mask:0xf
	v_mov_b32_dpp v10, v3 row_shr:2 row_mask:0xf bank_mask:0xf
	;; [unrolled: 1-line block ×3, first 2 shown]
	v_cmp_lt_u32_e32 vcc, 1, v5
	s_and_saveexec_b64 s[30:31], vcc
; %bb.88:
	v_cmp_eq_u16_e32 vcc, 0, v8
	v_and_b32_e32 v4, 1, v8
	s_nop 0
	v_cndmask_b32_e32 v11, 0, v10, vcc
	v_cndmask_b32_e32 v10, 0, v7, vcc
	v_cmp_eq_u32_e32 vcc, 1, v4
	v_and_b32_e32 v4, 1, v6
	v_cmp_eq_u32_e64 s[26:27], 1, v4
	s_or_b64 s[26:27], vcc, s[26:27]
	v_lshl_add_u64 v[2:3], v[10:11], 0, v[2:3]
	v_cndmask_b32_e64 v8, 0, 1, s[26:27]
	v_cndmask_b32_e64 v4, 0, 1, s[26:27]
; %bb.89:
	s_or_b64 exec, exec, s[30:31]
	v_mov_b32_dpp v7, v2 row_shr:4 row_mask:0xf bank_mask:0xf
	v_mov_b32_dpp v10, v3 row_shr:4 row_mask:0xf bank_mask:0xf
	;; [unrolled: 1-line block ×3, first 2 shown]
	v_cmp_lt_u32_e32 vcc, 3, v5
	s_and_saveexec_b64 s[30:31], vcc
; %bb.90:
	v_cmp_eq_u16_e32 vcc, 0, v8
	v_and_b32_e32 v4, 1, v8
	s_nop 0
	v_cndmask_b32_e32 v11, 0, v10, vcc
	v_cndmask_b32_e32 v10, 0, v7, vcc
	v_cmp_eq_u32_e32 vcc, 1, v4
	v_and_b32_e32 v4, 1, v6
	v_cmp_eq_u32_e64 s[26:27], 1, v4
	s_or_b64 s[26:27], vcc, s[26:27]
	v_lshl_add_u64 v[2:3], v[10:11], 0, v[2:3]
	v_cndmask_b32_e64 v8, 0, 1, s[26:27]
	v_cndmask_b32_e64 v4, 0, 1, s[26:27]
; %bb.91:
	s_or_b64 exec, exec, s[30:31]
	v_mov_b32_dpp v7, v2 row_shr:8 row_mask:0xf bank_mask:0xf
	v_mov_b32_dpp v10, v3 row_shr:8 row_mask:0xf bank_mask:0xf
	v_mov_b32_dpp v6, v4 row_shr:8 row_mask:0xf bank_mask:0xf
	v_cmp_lt_u32_e32 vcc, 7, v5
	s_and_saveexec_b64 s[30:31], vcc
; %bb.92:
	v_cmp_eq_u16_e32 vcc, 0, v8
	s_nop 1
	v_cndmask_b32_e32 v5, 0, v10, vcc
	v_cndmask_b32_e32 v4, 0, v7, vcc
	v_lshl_add_u64 v[2:3], v[4:5], 0, v[2:3]
	v_and_b32_e32 v4, 1, v8
	v_cmp_eq_u32_e32 vcc, 1, v4
	v_and_b32_e32 v4, 1, v6
	v_cmp_eq_u32_e64 s[26:27], 1, v4
	s_or_b64 s[26:27], vcc, s[26:27]
	s_nop 0
	v_cndmask_b32_e64 v8, 0, 1, s[26:27]
	v_cndmask_b32_e64 v4, 0, 1, s[26:27]
; %bb.93:
	s_or_b64 exec, exec, s[30:31]
	v_and_b32_e32 v10, 16, v9
	v_mov_b32_dpp v6, v2 row_bcast:15 row_mask:0xf bank_mask:0xf
	v_mov_b32_dpp v7, v3 row_bcast:15 row_mask:0xf bank_mask:0xf
	;; [unrolled: 1-line block ×3, first 2 shown]
	v_cmp_ne_u32_e32 vcc, 0, v10
	s_and_saveexec_b64 s[30:31], vcc
; %bb.94:
	v_cmp_eq_u16_e32 vcc, 0, v8
	v_and_b32_e32 v4, 1, v8
	s_nop 0
	v_cndmask_b32_e32 v7, 0, v7, vcc
	v_cndmask_b32_e32 v6, 0, v6, vcc
	v_cmp_eq_u32_e32 vcc, 1, v4
	v_and_b32_e32 v4, 1, v5
	v_cmp_eq_u32_e64 s[26:27], 1, v4
	s_or_b64 s[26:27], vcc, s[26:27]
	v_lshl_add_u64 v[2:3], v[6:7], 0, v[2:3]
	v_cndmask_b32_e64 v8, 0, 1, s[26:27]
	v_cndmask_b32_e64 v4, 0, 1, s[26:27]
; %bb.95:
	s_or_b64 exec, exec, s[30:31]
	v_mov_b32_dpp v5, v2 row_bcast:31 row_mask:0xf bank_mask:0xf
	v_mov_b32_dpp v6, v3 row_bcast:31 row_mask:0xf bank_mask:0xf
	;; [unrolled: 1-line block ×3, first 2 shown]
	v_cmp_lt_u32_e32 vcc, 31, v9
	s_and_saveexec_b64 s[30:31], vcc
; %bb.96:
	v_cmp_eq_u16_e32 vcc, 0, v8
	v_and_b32_e32 v4, 1, v4
	v_cmp_eq_u32_e64 s[26:27], 1, v4
	v_cndmask_b32_e32 v7, 0, v6, vcc
	v_cndmask_b32_e32 v6, 0, v5, vcc
	v_and_b32_e32 v5, 1, v8
	v_cmp_eq_u32_e32 vcc, 1, v5
	s_or_b64 s[26:27], vcc, s[26:27]
	v_lshl_add_u64 v[2:3], v[6:7], 0, v[2:3]
	v_cndmask_b32_e64 v8, 0, 1, s[26:27]
; %bb.97:
	s_or_b64 exec, exec, s[30:31]
	v_or_b32_e32 v4, 63, v0
	v_lshrrev_b32_e32 v10, 6, v0
	v_cmp_eq_u32_e32 vcc, v4, v0
	s_and_saveexec_b64 s[26:27], vcc
	s_cbranch_execz .LBB427_99
; %bb.98:
	v_lshlrev_b32_e32 v4, 4, v10
	ds_write_b64 v4, v[2:3]
	ds_write_b8 v4, v8 offset:8
.LBB427_99:
	s_or_b64 exec, exec, s[26:27]
	v_cmp_gt_u32_e32 vcc, 4, v0
	s_waitcnt lgkmcnt(0)
	s_barrier
	s_and_saveexec_b64 s[30:31], vcc
	s_cbranch_execz .LBB427_105
; %bb.100:
	v_lshlrev_b32_e32 v6, 4, v0
	ds_read_b64 v[4:5], v6
	ds_read_b32 v7, v6 offset:8
	v_and_b32_e32 v11, 3, v9
	v_cmp_ne_u32_e32 vcc, 0, v11
	s_waitcnt lgkmcnt(1)
	v_mov_b32_dpp v15, v4 row_shr:1 row_mask:0xf bank_mask:0xf
	v_mov_b32_dpp v16, v5 row_shr:1 row_mask:0xf bank_mask:0xf
	s_waitcnt lgkmcnt(0)
	v_mov_b32_dpp v14, v7 row_shr:1 row_mask:0xf bank_mask:0xf
	v_mov_b32_e32 v12, v7
	v_mov_b32_e32 v13, v7
	s_and_saveexec_b64 s[26:27], vcc
; %bb.101:
	v_mov_b32_e32 v12, 0
	v_cmp_eq_u16_sdwa vcc, v7, v12 src0_sel:BYTE_0 src1_sel:DWORD
	s_movk_i32 s3, 0xff00
	s_nop 0
	v_cndmask_b32_e32 v13, 0, v16, vcc
	v_cndmask_b32_e32 v12, 0, v15, vcc
	v_lshl_add_u64 v[4:5], v[12:13], 0, v[4:5]
	v_or_b32_e32 v13, v14, v7
	v_and_b32_e32 v12, 1, v13
	v_and_b32_e32 v13, 1, v13
	v_and_or_b32 v7, v7, s3, v13
; %bb.102:
	s_or_b64 exec, exec, s[26:27]
	v_mov_b32_dpp v14, v4 row_shr:2 row_mask:0xf bank_mask:0xf
	v_mov_b32_dpp v15, v5 row_shr:2 row_mask:0xf bank_mask:0xf
	;; [unrolled: 1-line block ×3, first 2 shown]
	v_cmp_lt_u32_e32 vcc, 1, v11
	s_and_saveexec_b64 s[46:47], vcc
; %bb.103:
	v_mov_b32_e32 v11, 0
	v_cmp_eq_u16_sdwa vcc, v13, v11 src0_sel:BYTE_0 src1_sel:DWORD
	v_and_b32_e32 v11, 1, v13
	v_and_b32_e32 v7, 1, v7
	v_cndmask_b32_e32 v15, 0, v15, vcc
	v_cndmask_b32_e32 v14, 0, v14, vcc
	v_cmp_eq_u32_e32 vcc, 1, v11
	v_cmp_eq_u32_e64 s[26:27], 1, v7
	s_or_b64 s[26:27], vcc, s[26:27]
	v_lshl_add_u64 v[4:5], v[14:15], 0, v[4:5]
	v_cndmask_b32_e64 v12, 0, 1, s[26:27]
; %bb.104:
	s_or_b64 exec, exec, s[46:47]
	ds_write_b64 v6, v[4:5]
	ds_write_b8 v6, v12 offset:8
.LBB427_105:
	s_or_b64 exec, exec, s[30:31]
	v_cmp_gt_u32_e32 vcc, 64, v0
	v_cmp_lt_u32_e64 s[26:27], 63, v0
	v_mov_b32_e32 v16, 0
	v_mov_b64_e32 v[6:7], 0
	s_waitcnt lgkmcnt(0)
	s_barrier
	s_and_saveexec_b64 s[30:31], s[26:27]
	s_cbranch_execz .LBB427_107
; %bb.106:
	v_lshl_add_u32 v4, v10, 4, -16
	ds_read_b64 v[6:7], v4
	ds_read_u8 v16, v4 offset:8
	v_cmp_eq_u16_e64 s[26:27], 0, v8
	s_waitcnt lgkmcnt(0)
	v_or_b32_e32 v8, v8, v16
	v_cndmask_b32_e64 v5, 0, v7, s[26:27]
	v_cndmask_b32_e64 v4, 0, v6, s[26:27]
	v_lshl_add_u64 v[2:3], v[2:3], 0, v[4:5]
	v_and_b32_e32 v8, 1, v8
.LBB427_107:
	s_or_b64 exec, exec, s[30:31]
	v_add_u32_e32 v4, -1, v9
	v_and_b32_e32 v5, 64, v9
	v_cmp_lt_i32_e64 s[26:27], v4, v5
	s_nop 1
	v_cndmask_b32_e64 v4, v4, v9, s[26:27]
	v_lshlrev_b32_e32 v4, 2, v4
	ds_bpermute_b32 v17, v4, v2
	v_and_b32_e32 v2, 0xffff, v8
	ds_bpermute_b32 v18, v4, v3
	ds_bpermute_b32 v19, v4, v2
	v_cmp_eq_u32_e64 s[26:27], 0, v9
	s_and_saveexec_b64 s[46:47], vcc
	s_cbranch_execz .LBB427_150
; %bb.108:
	v_mov_b32_e32 v11, 0
	ds_read2_b64 v[2:5], v11 offset0:6 offset1:7
	s_and_saveexec_b64 s[30:31], s[26:27]
	s_cbranch_execz .LBB427_110
; %bb.109:
	s_add_i32 s48, s2, 64
	s_mov_b32 s49, 0
	s_lshl_b64 s[52:53], s[48:49], 4
	s_add_u32 s52, s36, s52
	s_addc_u32 s53, s37, s53
	s_waitcnt lgkmcnt(0)
	global_store_dword v11, v2, s[52:53] sc1
	global_store_dword v11, v3, s[52:53] offset:4 sc1
	global_store_dword v11, v4, s[52:53] offset:8 sc1
	;; [unrolled: 1-line block ×3, first 2 shown]
	v_mov_b32_e32 v5, s48
	v_mov_b32_e32 v8, 1
	s_waitcnt vmcnt(0)
	global_store_byte v5, v8, s[40:41] sc1
.LBB427_110:
	s_or_b64 exec, exec, s[30:31]
	v_xad_u32 v8, v9, -1, s2
	v_add_u32_e32 v10, 64, v8
	s_waitcnt lgkmcnt(0)
	global_load_ubyte v5, v10, s[40:41] sc1
	s_waitcnt vmcnt(0)
	v_cmp_eq_u16_e32 vcc, 0, v5
	s_and_saveexec_b64 s[30:31], vcc
	s_cbranch_execz .LBB427_114
; %bb.111:
	v_lshl_add_u64 v[12:13], s[40:41], 0, v[10:11]
	s_mov_b64 s[48:49], 0
.LBB427_112:                            ; =>This Inner Loop Header: Depth=1
	global_load_ubyte v5, v[12:13], off sc1
	s_waitcnt vmcnt(0)
	v_cmp_ne_u16_e32 vcc, 0, v5
	s_or_b64 s[48:49], vcc, s[48:49]
	s_andn2_b64 exec, exec, s[48:49]
	s_cbranch_execnz .LBB427_112
; %bb.113:
	s_or_b64 exec, exec, s[48:49]
.LBB427_114:
	s_or_b64 exec, exec, s[30:31]
	v_mov_b32_e32 v12, s39
	v_mov_b32_e32 v13, s37
	v_cmp_eq_u16_e32 vcc, 1, v5
	v_mov_b32_e32 v14, s36
	s_waitcnt vmcnt(0)
	v_cndmask_b32_e32 v13, v12, v13, vcc
	v_mov_b32_e32 v12, s38
	v_cndmask_b32_e32 v12, v12, v14, vcc
	v_lshl_add_u64 v[10:11], v[10:11], 4, v[12:13]
	global_load_dword v14, v[10:11], off sc1
	global_load_dword v15, v[10:11], off offset:4 sc1
	global_load_dword v78, v[10:11], off offset:8 sc1
	s_nop 0
	global_load_dword v10, v[10:11], off offset:12 sc1
	v_cmp_eq_u16_e32 vcc, 2, v5
	s_waitcnt vmcnt(0)
	v_lshlrev_b64 v[10:11], v9, -1
	v_and_b32_e32 v20, 63, v9
	v_and_b32_e32 v12, vcc_hi, v11
	v_and_b32_e32 v25, vcc_lo, v10
	v_cmp_ne_u32_e32 vcc, 63, v20
	v_or_b32_e32 v12, 0x80000000, v12
	v_ffbl_b32_e32 v12, v12
	v_addc_co_u32_e32 v13, vcc, 0, v9, vcc
	v_lshlrev_b32_e32 v21, 2, v13
	v_add_u32_e32 v12, 32, v12
	v_ffbl_b32_e32 v25, v25
	v_min_u32_e32 v12, v25, v12
	v_cmp_lt_u32_e32 vcc, v20, v12
	ds_bpermute_b32 v23, v21, v14
	ds_bpermute_b32 v24, v21, v15
	v_and_b32_e32 v13, 0xff, v78
	ds_bpermute_b32 v22, v21, v13
	s_and_saveexec_b64 s[30:31], vcc
	s_cbranch_execz .LBB427_116
; %bb.115:
	v_mov_b32_e32 v13, 0
	v_cmp_eq_u16_sdwa vcc, v78, v13 src0_sel:BYTE_0 src1_sel:DWORD
	s_waitcnt lgkmcnt(0)
	v_or_b32_e32 v13, v22, v78
	v_and_b32_e32 v78, 1, v13
	v_cndmask_b32_e32 v25, 0, v24, vcc
	v_cndmask_b32_e32 v24, 0, v23, vcc
	v_lshl_add_u64 v[14:15], v[24:25], 0, v[14:15]
	v_and_b32_e32 v13, 1, v13
.LBB427_116:
	s_or_b64 exec, exec, s[30:31]
	v_cmp_gt_u32_e32 vcc, 62, v20
	s_waitcnt lgkmcnt(2)
	v_add_u32_e32 v23, 2, v20
	s_waitcnt lgkmcnt(0)
	v_cndmask_b32_e64 v22, 0, 1, vcc
	v_lshlrev_b32_e32 v22, 1, v22
	v_add_lshl_u32 v22, v22, v9, 2
	ds_bpermute_b32 v25, v22, v14
	ds_bpermute_b32 v26, v22, v15
	ds_bpermute_b32 v24, v22, v13
	v_cmp_le_u32_e32 vcc, v23, v12
	s_and_saveexec_b64 s[48:49], vcc
	s_cbranch_execz .LBB427_118
; %bb.117:
	v_mov_b32_e32 v13, 0
	v_cmp_eq_u16_sdwa vcc, v78, v13 src0_sel:BYTE_0 src1_sel:DWORD
	v_and_b32_e32 v13, 1, v78
	s_waitcnt lgkmcnt(1)
	v_cndmask_b32_e32 v27, 0, v26, vcc
	v_cndmask_b32_e32 v26, 0, v25, vcc
	v_cmp_eq_u32_e32 vcc, 1, v13
	s_waitcnt lgkmcnt(0)
	v_and_b32_e32 v13, 1, v24
	v_cmp_eq_u32_e64 s[30:31], 1, v13
	s_or_b64 s[30:31], vcc, s[30:31]
	v_lshl_add_u64 v[14:15], v[26:27], 0, v[14:15]
	v_cndmask_b32_e64 v78, 0, 1, s[30:31]
	v_cndmask_b32_e64 v13, 0, 1, s[30:31]
.LBB427_118:
	s_or_b64 exec, exec, s[48:49]
	v_cmp_gt_u32_e32 vcc, 60, v20
	s_waitcnt lgkmcnt(2)
	v_add_u32_e32 v25, 4, v20
	s_waitcnt lgkmcnt(0)
	v_cndmask_b32_e64 v24, 0, 1, vcc
	v_lshlrev_b32_e32 v24, 2, v24
	v_add_lshl_u32 v24, v24, v9, 2
	ds_bpermute_b32 v27, v24, v14
	ds_bpermute_b32 v32, v24, v15
	ds_bpermute_b32 v26, v24, v13
	v_cmp_le_u32_e32 vcc, v25, v12
	s_and_saveexec_b64 s[48:49], vcc
	s_cbranch_execz .LBB427_120
; %bb.119:
	v_mov_b32_e32 v13, 0
	v_cmp_eq_u16_sdwa vcc, v78, v13 src0_sel:BYTE_0 src1_sel:DWORD
	v_and_b32_e32 v13, 1, v78
	s_waitcnt lgkmcnt(1)
	v_cndmask_b32_e32 v33, 0, v32, vcc
	v_cndmask_b32_e32 v32, 0, v27, vcc
	v_cmp_eq_u32_e32 vcc, 1, v13
	s_waitcnt lgkmcnt(0)
	v_and_b32_e32 v13, 1, v26
	v_cmp_eq_u32_e64 s[30:31], 1, v13
	s_or_b64 s[30:31], vcc, s[30:31]
	v_lshl_add_u64 v[14:15], v[32:33], 0, v[14:15]
	v_cndmask_b32_e64 v78, 0, 1, s[30:31]
	v_cndmask_b32_e64 v13, 0, 1, s[30:31]
.LBB427_120:
	;; [unrolled: 30-line block ×4, first 2 shown]
	s_or_b64 exec, exec, s[48:49]
	v_cmp_gt_u32_e32 vcc, 32, v20
	s_waitcnt lgkmcnt(1)
	v_add_u32_e32 v76, 32, v20
	s_waitcnt lgkmcnt(0)
	v_cndmask_b32_e64 v60, 0, 1, vcc
	v_lshlrev_b32_e32 v60, 5, v60
	v_add_lshl_u32 v61, v60, v9, 2
	ds_bpermute_b32 v60, v61, v14
	ds_bpermute_b32 v77, v61, v15
	;; [unrolled: 1-line block ×3, first 2 shown]
	v_cmp_le_u32_e32 vcc, v76, v12
	s_and_saveexec_b64 s[48:49], vcc
	s_cbranch_execz .LBB427_126
; %bb.125:
	v_mov_b32_e32 v12, 0
	v_cmp_eq_u16_sdwa vcc, v78, v12 src0_sel:BYTE_0 src1_sel:DWORD
	s_waitcnt lgkmcnt(0)
	v_and_b32_e32 v9, 1, v9
	v_cmp_eq_u32_e64 s[30:31], 1, v9
	v_cndmask_b32_e32 v13, 0, v77, vcc
	v_cndmask_b32_e32 v12, 0, v60, vcc
	v_lshl_add_u64 v[14:15], v[12:13], 0, v[14:15]
	v_and_b32_e32 v12, 1, v78
	v_cmp_eq_u32_e32 vcc, 1, v12
	s_or_b64 s[30:31], vcc, s[30:31]
	v_cndmask_b32_e64 v78, 0, 1, s[30:31]
.LBB427_126:
	s_or_b64 exec, exec, s[48:49]
	s_waitcnt lgkmcnt(0)
	v_mov_b32_e32 v9, 0
	v_mov_b32_e32 v77, 2
	s_branch .LBB427_128
.LBB427_127:                            ;   in Loop: Header=BB427_128 Depth=1
	s_or_b64 exec, exec, s[52:53]
	v_cmp_eq_u16_sdwa vcc, v60, v9 src0_sel:BYTE_0 src1_sel:DWORD
	v_and_b32_e32 v78, 1, v60
	v_subrev_u32_e32 v8, 64, v8
	v_cndmask_b32_e32 v15, 0, v15, vcc
	v_cndmask_b32_e32 v14, 0, v14, vcc
	v_cmp_eq_u32_e32 vcc, 1, v78
	s_or_b64 s[30:31], vcc, s[48:49]
	v_lshl_add_u64 v[14:15], v[14:15], 0, v[12:13]
	v_cndmask_b32_e64 v78, 0, 1, s[30:31]
.LBB427_128:                            ; =>This Loop Header: Depth=1
                                        ;     Child Loop BB427_131 Depth 2
	v_cmp_ne_u16_sdwa s[30:31], v5, v77 src0_sel:BYTE_0 src1_sel:DWORD
	v_mov_b32_e32 v60, v78
	v_mov_b64_e32 v[12:13], v[14:15]
	v_cndmask_b32_e64 v5, 0, 1, s[30:31]
	;;#ASMSTART
	;;#ASMEND
	s_nop 0
	v_cmp_ne_u32_e32 vcc, 0, v5
	s_cmp_lg_u64 vcc, exec
	s_cbranch_scc1 .LBB427_145
; %bb.129:                              ;   in Loop: Header=BB427_128 Depth=1
	global_load_ubyte v5, v8, s[40:41] sc1
	s_waitcnt vmcnt(0)
	v_cmp_eq_u16_e32 vcc, 0, v5
	s_and_saveexec_b64 s[30:31], vcc
	s_cbranch_execz .LBB427_133
; %bb.130:                              ;   in Loop: Header=BB427_128 Depth=1
	v_lshl_add_u64 v[14:15], s[40:41], 0, v[8:9]
	s_mov_b64 s[48:49], 0
.LBB427_131:                            ;   Parent Loop BB427_128 Depth=1
                                        ; =>  This Inner Loop Header: Depth=2
	global_load_ubyte v5, v[14:15], off sc1
	s_waitcnt vmcnt(0)
	v_cmp_ne_u16_e32 vcc, 0, v5
	s_or_b64 s[48:49], vcc, s[48:49]
	s_andn2_b64 exec, exec, s[48:49]
	s_cbranch_execnz .LBB427_131
; %bb.132:                              ;   in Loop: Header=BB427_128 Depth=1
	s_or_b64 exec, exec, s[48:49]
.LBB427_133:                            ;   in Loop: Header=BB427_128 Depth=1
	s_or_b64 exec, exec, s[30:31]
	v_mov_b32_e32 v14, s39
	v_mov_b32_e32 v15, s37
	v_cmp_eq_u16_e32 vcc, 1, v5
	v_mov_b32_e32 v78, s36
	s_waitcnt vmcnt(0)
	v_cndmask_b32_e32 v15, v14, v15, vcc
	v_mov_b32_e32 v14, s38
	v_cndmask_b32_e32 v14, v14, v78, vcc
	s_waitcnt lgkmcnt(0)
	v_lshl_add_u64 v[80:81], v[8:9], 4, v[14:15]
	global_load_dword v14, v[80:81], off sc1
	global_load_dword v15, v[80:81], off offset:4 sc1
	global_load_dword v78, v[80:81], off offset:8 sc1
	;; [unrolled: 1-line block ×3, first 2 shown]
	v_cmp_eq_u16_e32 vcc, 2, v5
	s_waitcnt vmcnt(3)
	ds_bpermute_b32 v82, v21, v14
	s_waitcnt vmcnt(0)
	v_and_b32_e32 v79, vcc_hi, v11
	v_and_b32_e32 v80, 0xff, v78
	v_or_b32_e32 v79, 0x80000000, v79
	ds_bpermute_b32 v83, v21, v15
	ds_bpermute_b32 v81, v21, v80
	v_and_b32_e32 v84, vcc_lo, v10
	v_ffbl_b32_e32 v79, v79
	v_add_u32_e32 v79, 32, v79
	v_ffbl_b32_e32 v84, v84
	v_min_u32_e32 v79, v84, v79
	v_cmp_lt_u32_e32 vcc, v20, v79
	s_and_saveexec_b64 s[30:31], vcc
	s_cbranch_execz .LBB427_135
; %bb.134:                              ;   in Loop: Header=BB427_128 Depth=1
	v_cmp_eq_u16_sdwa vcc, v78, v9 src0_sel:BYTE_0 src1_sel:DWORD
	s_waitcnt lgkmcnt(0)
	v_or_b32_e32 v80, v81, v78
	v_and_b32_e32 v78, 1, v80
	v_cndmask_b32_e32 v83, 0, v83, vcc
	v_cndmask_b32_e32 v82, 0, v82, vcc
	v_lshl_add_u64 v[14:15], v[82:83], 0, v[14:15]
	v_and_b32_e32 v80, 1, v80
.LBB427_135:                            ;   in Loop: Header=BB427_128 Depth=1
	s_or_b64 exec, exec, s[30:31]
	s_waitcnt lgkmcnt(2)
	ds_bpermute_b32 v82, v22, v14
	s_waitcnt lgkmcnt(2)
	ds_bpermute_b32 v83, v22, v15
	;; [unrolled: 2-line block ×3, first 2 shown]
	v_and_b32_e32 v84, 1, v78
	v_cmp_le_u32_e32 vcc, v23, v79
	v_cmp_eq_u32_e64 s[48:49], 1, v84
	s_and_saveexec_b64 s[30:31], vcc
	s_cbranch_execz .LBB427_137
; %bb.136:                              ;   in Loop: Header=BB427_128 Depth=1
	v_cmp_eq_u16_sdwa vcc, v78, v9 src0_sel:BYTE_0 src1_sel:DWORD
	s_waitcnt lgkmcnt(0)
	v_and_b32_e32 v78, 1, v81
	v_cndmask_b32_e32 v83, 0, v83, vcc
	v_cndmask_b32_e32 v82, 0, v82, vcc
	v_cmp_eq_u32_e32 vcc, 1, v78
	s_or_b64 s[52:53], s[48:49], vcc
	v_cndmask_b32_e64 v78, 0, 1, s[52:53]
	v_cndmask_b32_e64 v80, 0, 1, s[52:53]
	s_andn2_b64 s[48:49], s[48:49], exec
	s_and_b64 s[52:53], s[52:53], exec
	v_lshl_add_u64 v[14:15], v[82:83], 0, v[14:15]
	s_or_b64 s[48:49], s[48:49], s[52:53]
.LBB427_137:                            ;   in Loop: Header=BB427_128 Depth=1
	s_or_b64 exec, exec, s[30:31]
	s_waitcnt lgkmcnt(2)
	ds_bpermute_b32 v82, v24, v14
	s_waitcnt lgkmcnt(2)
	ds_bpermute_b32 v83, v24, v15
	s_waitcnt lgkmcnt(2)
	ds_bpermute_b32 v81, v24, v80
	v_cmp_le_u32_e32 vcc, v25, v79
	s_and_saveexec_b64 s[52:53], vcc
	s_cbranch_execz .LBB427_139
; %bb.138:                              ;   in Loop: Header=BB427_128 Depth=1
	v_cmp_eq_u16_sdwa vcc, v78, v9 src0_sel:BYTE_0 src1_sel:DWORD
	v_and_b32_e32 v78, 1, v78
	s_andn2_b64 s[48:49], s[48:49], exec
	s_waitcnt lgkmcnt(1)
	v_cndmask_b32_e32 v83, 0, v83, vcc
	v_cndmask_b32_e32 v82, 0, v82, vcc
	v_cmp_eq_u32_e32 vcc, 1, v78
	s_waitcnt lgkmcnt(0)
	v_and_b32_e32 v78, 1, v81
	v_cmp_eq_u32_e64 s[30:31], 1, v78
	s_or_b64 s[30:31], vcc, s[30:31]
	v_lshl_add_u64 v[14:15], v[82:83], 0, v[14:15]
	v_cndmask_b32_e64 v78, 0, 1, s[30:31]
	v_cndmask_b32_e64 v80, 0, 1, s[30:31]
	s_and_b64 s[30:31], s[30:31], exec
	s_or_b64 s[48:49], s[48:49], s[30:31]
.LBB427_139:                            ;   in Loop: Header=BB427_128 Depth=1
	s_or_b64 exec, exec, s[52:53]
	s_waitcnt lgkmcnt(2)
	ds_bpermute_b32 v82, v26, v14
	s_waitcnt lgkmcnt(2)
	ds_bpermute_b32 v83, v26, v15
	s_waitcnt lgkmcnt(2)
	ds_bpermute_b32 v81, v26, v80
	v_cmp_le_u32_e32 vcc, v27, v79
	s_and_saveexec_b64 s[52:53], vcc
	s_cbranch_execz .LBB427_141
; %bb.140:                              ;   in Loop: Header=BB427_128 Depth=1
	v_cmp_eq_u16_sdwa vcc, v78, v9 src0_sel:BYTE_0 src1_sel:DWORD
	v_and_b32_e32 v78, 1, v78
	s_andn2_b64 s[48:49], s[48:49], exec
	s_waitcnt lgkmcnt(1)
	v_cndmask_b32_e32 v83, 0, v83, vcc
	v_cndmask_b32_e32 v82, 0, v82, vcc
	v_cmp_eq_u32_e32 vcc, 1, v78
	s_waitcnt lgkmcnt(0)
	v_and_b32_e32 v78, 1, v81
	v_cmp_eq_u32_e64 s[30:31], 1, v78
	s_or_b64 s[30:31], vcc, s[30:31]
	v_lshl_add_u64 v[14:15], v[82:83], 0, v[14:15]
	v_cndmask_b32_e64 v78, 0, 1, s[30:31]
	v_cndmask_b32_e64 v80, 0, 1, s[30:31]
	s_and_b64 s[30:31], s[30:31], exec
	s_or_b64 s[48:49], s[48:49], s[30:31]
.LBB427_141:                            ;   in Loop: Header=BB427_128 Depth=1
	s_or_b64 exec, exec, s[52:53]
	s_waitcnt lgkmcnt(2)
	ds_bpermute_b32 v82, v32, v14
	s_waitcnt lgkmcnt(2)
	ds_bpermute_b32 v83, v32, v15
	s_waitcnt lgkmcnt(2)
	ds_bpermute_b32 v81, v32, v80
	v_cmp_le_u32_e32 vcc, v33, v79
	s_and_saveexec_b64 s[52:53], vcc
	s_cbranch_execz .LBB427_143
; %bb.142:                              ;   in Loop: Header=BB427_128 Depth=1
	v_cmp_eq_u16_sdwa vcc, v78, v9 src0_sel:BYTE_0 src1_sel:DWORD
	v_and_b32_e32 v78, 1, v78
	s_andn2_b64 s[48:49], s[48:49], exec
	s_waitcnt lgkmcnt(1)
	v_cndmask_b32_e32 v83, 0, v83, vcc
	v_cndmask_b32_e32 v82, 0, v82, vcc
	v_cmp_eq_u32_e32 vcc, 1, v78
	s_waitcnt lgkmcnt(0)
	v_and_b32_e32 v78, 1, v81
	v_cmp_eq_u32_e64 s[30:31], 1, v78
	s_or_b64 s[30:31], vcc, s[30:31]
	v_lshl_add_u64 v[14:15], v[82:83], 0, v[14:15]
	v_cndmask_b32_e64 v78, 0, 1, s[30:31]
	v_cndmask_b32_e64 v80, 0, 1, s[30:31]
	s_and_b64 s[30:31], s[30:31], exec
	s_or_b64 s[48:49], s[48:49], s[30:31]
.LBB427_143:                            ;   in Loop: Header=BB427_128 Depth=1
	s_or_b64 exec, exec, s[52:53]
	s_waitcnt lgkmcnt(0)
	ds_bpermute_b32 v81, v61, v14
	ds_bpermute_b32 v82, v61, v15
	;; [unrolled: 1-line block ×3, first 2 shown]
	v_cmp_le_u32_e32 vcc, v76, v79
	s_and_saveexec_b64 s[52:53], vcc
	s_cbranch_execz .LBB427_127
; %bb.144:                              ;   in Loop: Header=BB427_128 Depth=1
	v_cmp_eq_u16_sdwa vcc, v78, v9 src0_sel:BYTE_0 src1_sel:DWORD
	v_and_b32_e32 v78, 1, v78
	s_andn2_b64 s[48:49], s[48:49], exec
	s_waitcnt lgkmcnt(1)
	v_cndmask_b32_e32 v83, 0, v82, vcc
	v_cndmask_b32_e32 v82, 0, v81, vcc
	v_cmp_eq_u32_e32 vcc, 1, v78
	s_waitcnt lgkmcnt(0)
	v_and_b32_e32 v78, 1, v80
	v_cmp_eq_u32_e64 s[30:31], 1, v78
	s_or_b64 s[30:31], vcc, s[30:31]
	s_and_b64 s[30:31], s[30:31], exec
	v_lshl_add_u64 v[14:15], v[82:83], 0, v[14:15]
	s_or_b64 s[48:49], s[48:49], s[30:31]
	s_branch .LBB427_127
.LBB427_145:                            ;   in Loop: Header=BB427_128 Depth=1
                                        ; implicit-def: $vgpr78
                                        ; implicit-def: $vgpr14_vgpr15
                                        ; implicit-def: $vgpr5
	s_cbranch_execz .LBB427_128
; %bb.146:
	s_and_saveexec_b64 s[30:31], s[26:27]
	s_cbranch_execz .LBB427_148
; %bb.147:
	s_mov_b32 s3, 0
	v_mov_b32_e32 v5, 0
	s_add_i32 s2, s2, 64
	v_cmp_eq_u32_sdwa vcc, v4, v5 src0_sel:BYTE_0 src1_sel:DWORD
	s_lshl_b64 s[36:37], s[2:3], 4
	v_and_b32_e32 v4, 1, v4
	v_cndmask_b32_e32 v9, 0, v13, vcc
	v_cndmask_b32_e32 v8, 0, v12, vcc
	s_add_u32 s36, s38, s36
	v_lshl_add_u64 v[2:3], v[8:9], 0, v[2:3]
	v_and_b32_e32 v8, 1, v60
	v_cmp_eq_u32_e32 vcc, 1, v4
	s_addc_u32 s37, s39, s37
	s_nop 0
	v_cndmask_b32_e64 v4, v8, 1, vcc
	global_store_dword v5, v2, s[36:37] sc1
	global_store_dword v5, v3, s[36:37] offset:4 sc1
	global_store_dword v5, v4, s[36:37] offset:8 sc1
	;; [unrolled: 1-line block ×3, first 2 shown]
	v_mov_b32_e32 v2, s2
	v_mov_b32_e32 v3, 2
	s_waitcnt vmcnt(0) lgkmcnt(0)
	global_store_byte v2, v3, s[40:41] sc1
.LBB427_148:
	s_or_b64 exec, exec, s[30:31]
	v_cmp_eq_u32_e32 vcc, 0, v0
	s_and_b64 exec, exec, vcc
	s_cbranch_execz .LBB427_150
; %bb.149:
	v_mov_b32_e32 v2, 0
	ds_write_b64 v2, v[12:13] offset:48
	ds_write_b8 v2, v60 offset:56
.LBB427_150:
	s_or_b64 exec, exec, s[46:47]
	v_mov_b32_e32 v8, 0
	s_waitcnt lgkmcnt(0)
	s_barrier
	ds_read_b64 v[2:3], v8 offset:48
	v_cndmask_b32_e64 v9, v19, v16, s[26:27]
	v_cmp_eq_u16_sdwa vcc, v9, v8 src0_sel:BYTE_0 src1_sel:DWORD
	v_cndmask_b32_e64 v4, v17, v6, s[26:27]
	v_cndmask_b32_e64 v5, v18, v7, s[26:27]
	s_waitcnt lgkmcnt(0)
	v_cndmask_b32_e32 v7, 0, v3, vcc
	v_cndmask_b32_e32 v6, 0, v2, vcc
	v_lshl_add_u64 v[4:5], v[4:5], 0, v[6:7]
	v_cmp_eq_u32_e32 vcc, 0, v0
	s_nop 1
	v_cndmask_b32_e32 v3, v5, v3, vcc
	v_cndmask_b32_e32 v2, v4, v2, vcc
	v_cmp_eq_u16_sdwa vcc, v1, v8 src0_sel:BYTE_0 src1_sel:DWORD
	s_nop 1
	v_cndmask_b32_e32 v5, 0, v3, vcc
	v_cndmask_b32_e32 v4, 0, v2, vcc
	v_lshl_add_u64 v[4:5], v[4:5], 0, v[54:55]
	v_cndmask_b32_e64 v7, 0, v5, s[28:29]
	v_cndmask_b32_e64 v6, 0, v4, s[28:29]
	v_lshl_add_u64 v[6:7], v[6:7], 0, v[30:31]
	v_cndmask_b32_e64 v9, 0, v7, s[4:5]
	v_cndmask_b32_e64 v8, 0, v6, s[4:5]
	;; [unrolled: 3-line block ×12, first 2 shown]
	s_branch .LBB427_191
.LBB427_151:
	s_or_b64 exec, exec, s[30:31]
                                        ; implicit-def: $vgpr60_vgpr61
	s_and_saveexec_b64 s[30:31], s[28:29]
	s_cbranch_execz .LBB427_33
.LBB427_152:
	v_mov_b32_e32 v55, 0
	v_lshl_add_u64 v[60:61], s[46:47], 0, v[54:55]
	flat_load_dwordx2 v[60:61], v[60:61] offset:2048
	s_or_b64 exec, exec, s[30:31]
                                        ; implicit-def: $vgpr62_vgpr63
	s_and_saveexec_b64 s[28:29], s[4:5]
	s_cbranch_execnz .LBB427_34
.LBB427_153:
	s_or_b64 exec, exec, s[28:29]
                                        ; implicit-def: $vgpr30_vgpr31
	s_and_saveexec_b64 s[4:5], s[6:7]
	s_cbranch_execz .LBB427_35
.LBB427_154:
	v_mov_b32_e32 v33, 0
	v_lshl_add_u64 v[30:31], s[46:47], 0, v[32:33]
	flat_load_dwordx2 v[30:31], v[30:31]
	s_or_b64 exec, exec, s[4:5]
                                        ; implicit-def: $vgpr32_vgpr33
	s_and_saveexec_b64 s[4:5], s[8:9]
	s_cbranch_execnz .LBB427_36
.LBB427_155:
	s_or_b64 exec, exec, s[4:5]
                                        ; implicit-def: $vgpr34_vgpr35
	s_and_saveexec_b64 s[4:5], s[10:11]
	s_cbranch_execz .LBB427_37
.LBB427_156:
	v_mov_b32_e32 v37, 0
	v_lshl_add_u64 v[34:35], s[46:47], 0, v[36:37]
	flat_load_dwordx2 v[34:35], v[34:35]
	s_or_b64 exec, exec, s[4:5]
                                        ; implicit-def: $vgpr36_vgpr37
	s_and_saveexec_b64 s[4:5], s[12:13]
	s_cbranch_execnz .LBB427_38
.LBB427_157:
	s_or_b64 exec, exec, s[4:5]
                                        ; implicit-def: $vgpr38_vgpr39
	s_and_saveexec_b64 s[4:5], s[14:15]
	s_cbranch_execz .LBB427_39
.LBB427_158:
	v_mov_b32_e32 v41, 0
	v_lshl_add_u64 v[38:39], s[46:47], 0, v[40:41]
	flat_load_dwordx2 v[38:39], v[38:39]
	s_or_b64 exec, exec, s[4:5]
                                        ; implicit-def: $vgpr40_vgpr41
	s_and_saveexec_b64 s[4:5], s[16:17]
	s_cbranch_execnz .LBB427_40
.LBB427_159:
	s_or_b64 exec, exec, s[4:5]
                                        ; implicit-def: $vgpr42_vgpr43
	s_and_saveexec_b64 s[4:5], s[18:19]
	s_cbranch_execz .LBB427_41
.LBB427_160:
	v_mov_b32_e32 v45, 0
	v_lshl_add_u64 v[42:43], s[46:47], 0, v[44:45]
	flat_load_dwordx2 v[42:43], v[42:43]
	s_or_b64 exec, exec, s[4:5]
                                        ; implicit-def: $vgpr44_vgpr45
	s_and_saveexec_b64 s[4:5], s[20:21]
	s_cbranch_execnz .LBB427_42
.LBB427_161:
	s_or_b64 exec, exec, s[4:5]
                                        ; implicit-def: $vgpr46_vgpr47
	s_and_saveexec_b64 s[4:5], s[22:23]
	s_cbranch_execz .LBB427_43
.LBB427_162:
	v_mov_b32_e32 v49, 0
	v_lshl_add_u64 v[46:47], s[46:47], 0, v[48:49]
	flat_load_dwordx2 v[46:47], v[46:47]
	s_or_b64 exec, exec, s[4:5]
                                        ; implicit-def: $vgpr48_vgpr49
	s_and_saveexec_b64 s[4:5], s[24:25]
	s_cbranch_execz .LBB427_45
	s_branch .LBB427_44
.LBB427_163:
                                        ; implicit-def: $vgpr2_vgpr3
                                        ; implicit-def: $vgpr60_vgpr61
                                        ; implicit-def: $vgpr26_vgpr27
                                        ; implicit-def: $vgpr24_vgpr25
                                        ; implicit-def: $vgpr20_vgpr21
                                        ; implicit-def: $vgpr16_vgpr17
                                        ; implicit-def: $vgpr12_vgpr13
                                        ; implicit-def: $vgpr8_vgpr9
	s_cbranch_execz .LBB427_191
; %bb.164:
	s_cmp_lg_u64 s[58:59], 0
	s_cselect_b32 s3, s55, 0
	s_cselect_b32 s2, s54, 0
	s_cmp_eq_u64 s[2:3], 0
	v_mov_b64_e32 v[32:33], s[56:57]
	s_cbranch_scc1 .LBB427_166
; %bb.165:
	v_mov_b32_e32 v2, 0
	global_load_dwordx2 v[32:33], v2, s[2:3]
.LBB427_166:
	v_mov_b32_e32 v4, 0
	v_cmp_eq_u16_sdwa vcc, v64, v4 src0_sel:BYTE_0 src1_sel:DWORD
	v_cmp_eq_u16_sdwa s[2:3], v65, v4 src0_sel:BYTE_0 src1_sel:DWORD
	v_cmp_eq_u16_sdwa s[4:5], v66, v4 src0_sel:BYTE_0 src1_sel:DWORD
	v_cndmask_b32_e32 v3, 0, v55, vcc
	v_cndmask_b32_e32 v2, 0, v54, vcc
	v_lshl_add_u64 v[2:3], v[2:3], 0, v[30:31]
	v_cndmask_b32_e64 v3, 0, v3, s[2:3]
	v_cndmask_b32_e64 v2, 0, v2, s[2:3]
	v_lshl_add_u64 v[2:3], v[2:3], 0, v[50:51]
	v_cndmask_b32_e64 v3, 0, v3, s[4:5]
	v_cndmask_b32_e64 v2, 0, v2, s[4:5]
	v_lshl_add_u64 v[2:3], v[2:3], 0, v[46:47]
	v_cmp_eq_u16_sdwa s[6:7], v68, v4 src0_sel:BYTE_0 src1_sel:DWORD
	v_cmp_eq_u16_sdwa s[8:9], v69, v4 src0_sel:BYTE_0 src1_sel:DWORD
	;; [unrolled: 1-line block ×3, first 2 shown]
	v_cndmask_b32_e64 v3, 0, v3, s[6:7]
	v_cndmask_b32_e64 v2, 0, v2, s[6:7]
	v_lshl_add_u64 v[2:3], v[2:3], 0, v[48:49]
	v_cndmask_b32_e64 v3, 0, v3, s[8:9]
	v_cndmask_b32_e64 v2, 0, v2, s[8:9]
	v_lshl_add_u64 v[2:3], v[2:3], 0, v[42:43]
	v_cndmask_b32_e64 v3, 0, v3, s[10:11]
	v_cndmask_b32_e64 v2, 0, v2, s[10:11]
	v_lshl_add_u64 v[2:3], v[2:3], 0, v[44:45]
	v_cmp_eq_u16_sdwa s[12:13], v71, v4 src0_sel:BYTE_0 src1_sel:DWORD
	v_cmp_eq_u16_sdwa s[14:15], v72, v4 src0_sel:BYTE_0 src1_sel:DWORD
	;; [unrolled: 1-line block ×3, first 2 shown]
	v_cndmask_b32_e64 v3, 0, v3, s[12:13]
	v_cndmask_b32_e64 v2, 0, v2, s[12:13]
	v_lshl_add_u64 v[2:3], v[2:3], 0, v[38:39]
	v_cndmask_b32_e64 v3, 0, v3, s[14:15]
	v_cndmask_b32_e64 v2, 0, v2, s[14:15]
	v_cmp_eq_u16_sdwa s[18:19], v74, v4 src0_sel:BYTE_0 src1_sel:DWORD
	v_cmp_eq_u16_sdwa s[20:21], v75, v4 src0_sel:BYTE_0 src1_sel:DWORD
	;; [unrolled: 1-line block ×4, first 2 shown]
	v_or_b32_e32 v4, v63, v74
	v_lshl_add_u64 v[2:3], v[2:3], 0, v[40:41]
	v_or_b32_e32 v4, v4, v73
	v_cndmask_b32_e64 v3, 0, v3, s[16:17]
	v_cndmask_b32_e64 v2, 0, v2, s[16:17]
	v_or_b32_e32 v4, v4, v72
	v_lshl_add_u64 v[2:3], v[2:3], 0, v[52:53]
	v_or_b32_e32 v4, v4, v71
	v_cndmask_b32_e64 v3, 0, v3, s[18:19]
	v_cndmask_b32_e64 v2, 0, v2, s[18:19]
	;; [unrolled: 5-line block ×5, first 2 shown]
	v_or_b32_e32 v4, v4, v1
	v_mbcnt_hi_u32_b32 v6, -1, v62
	v_lshl_add_u64 v[2:3], v[2:3], 0, v[28:29]
	v_and_b32_e32 v7, 1, v4
	v_and_b32_e32 v5, 15, v6
	v_cmp_eq_u32_e64 s[24:25], 1, v7
	v_mov_b32_dpp v9, v2 row_shr:1 row_mask:0xf bank_mask:0xf
	v_mov_b32_dpp v10, v3 row_shr:1 row_mask:0xf bank_mask:0xf
	;; [unrolled: 1-line block ×3, first 2 shown]
	v_cmp_ne_u32_e64 s[26:27], 0, v5
	v_mov_b32_e32 v4, v7
	s_and_saveexec_b64 s[28:29], s[26:27]
; %bb.167:
	v_and_b32_e32 v4, 1, v8
	v_cndmask_b32_e64 v11, v10, 0, s[24:25]
	v_cndmask_b32_e64 v10, v9, 0, s[24:25]
	v_or_b32_e32 v7, v4, v7
	v_lshl_add_u64 v[2:3], v[10:11], 0, v[2:3]
	v_and_b32_e32 v4, 0xffff, v7
; %bb.168:
	s_or_b64 exec, exec, s[28:29]
	v_mov_b32_dpp v9, v2 row_shr:2 row_mask:0xf bank_mask:0xf
	v_mov_b32_dpp v10, v3 row_shr:2 row_mask:0xf bank_mask:0xf
	;; [unrolled: 1-line block ×3, first 2 shown]
	v_cmp_lt_u32_e64 s[24:25], 1, v5
	s_and_saveexec_b64 s[28:29], s[24:25]
; %bb.169:
	v_cmp_eq_u16_e64 s[24:25], 0, v7
	v_and_b32_e32 v4, 1, v7
	s_nop 0
	v_cndmask_b32_e64 v11, 0, v10, s[24:25]
	v_cndmask_b32_e64 v10, 0, v9, s[24:25]
	v_cmp_eq_u32_e64 s[24:25], 1, v4
	v_and_b32_e32 v4, 1, v8
	v_cmp_eq_u32_e64 s[26:27], 1, v4
	s_or_b64 s[24:25], s[24:25], s[26:27]
	v_lshl_add_u64 v[2:3], v[10:11], 0, v[2:3]
	v_cndmask_b32_e64 v7, 0, 1, s[24:25]
	v_cndmask_b32_e64 v4, 0, 1, s[24:25]
; %bb.170:
	s_or_b64 exec, exec, s[28:29]
	v_mov_b32_dpp v9, v2 row_shr:4 row_mask:0xf bank_mask:0xf
	v_mov_b32_dpp v10, v3 row_shr:4 row_mask:0xf bank_mask:0xf
	;; [unrolled: 1-line block ×3, first 2 shown]
	v_cmp_lt_u32_e64 s[24:25], 3, v5
	s_and_saveexec_b64 s[28:29], s[24:25]
; %bb.171:
	v_cmp_eq_u16_e64 s[24:25], 0, v7
	v_and_b32_e32 v4, 1, v7
	s_nop 0
	v_cndmask_b32_e64 v11, 0, v10, s[24:25]
	v_cndmask_b32_e64 v10, 0, v9, s[24:25]
	v_cmp_eq_u32_e64 s[24:25], 1, v4
	v_and_b32_e32 v4, 1, v8
	v_cmp_eq_u32_e64 s[26:27], 1, v4
	s_or_b64 s[24:25], s[24:25], s[26:27]
	v_lshl_add_u64 v[2:3], v[10:11], 0, v[2:3]
	v_cndmask_b32_e64 v7, 0, 1, s[24:25]
	v_cndmask_b32_e64 v4, 0, 1, s[24:25]
; %bb.172:
	s_or_b64 exec, exec, s[28:29]
	v_mov_b32_dpp v9, v2 row_shr:8 row_mask:0xf bank_mask:0xf
	v_mov_b32_dpp v10, v3 row_shr:8 row_mask:0xf bank_mask:0xf
	v_mov_b32_dpp v8, v4 row_shr:8 row_mask:0xf bank_mask:0xf
	v_cmp_lt_u32_e64 s[24:25], 7, v5
	s_and_saveexec_b64 s[28:29], s[24:25]
; %bb.173:
	v_cmp_eq_u16_e64 s[24:25], 0, v7
	s_nop 1
	v_cndmask_b32_e64 v5, 0, v10, s[24:25]
	v_cndmask_b32_e64 v4, 0, v9, s[24:25]
	v_lshl_add_u64 v[2:3], v[4:5], 0, v[2:3]
	v_and_b32_e32 v4, 1, v7
	v_cmp_eq_u32_e64 s[24:25], 1, v4
	v_and_b32_e32 v4, 1, v8
	v_cmp_eq_u32_e64 s[26:27], 1, v4
	s_or_b64 s[24:25], s[24:25], s[26:27]
	v_cndmask_b32_e64 v7, 0, 1, s[24:25]
	v_cndmask_b32_e64 v4, 0, 1, s[24:25]
; %bb.174:
	s_or_b64 exec, exec, s[28:29]
	v_and_b32_e32 v10, 16, v6
	v_mov_b32_dpp v8, v2 row_bcast:15 row_mask:0xf bank_mask:0xf
	v_mov_b32_dpp v9, v3 row_bcast:15 row_mask:0xf bank_mask:0xf
	;; [unrolled: 1-line block ×3, first 2 shown]
	v_cmp_ne_u32_e64 s[24:25], 0, v10
	s_and_saveexec_b64 s[28:29], s[24:25]
; %bb.175:
	v_cmp_eq_u16_e64 s[24:25], 0, v7
	v_and_b32_e32 v4, 1, v7
	s_nop 0
	v_cndmask_b32_e64 v9, 0, v9, s[24:25]
	v_cndmask_b32_e64 v8, 0, v8, s[24:25]
	v_cmp_eq_u32_e64 s[24:25], 1, v4
	v_and_b32_e32 v4, 1, v5
	v_cmp_eq_u32_e64 s[26:27], 1, v4
	s_or_b64 s[24:25], s[24:25], s[26:27]
	v_lshl_add_u64 v[2:3], v[8:9], 0, v[2:3]
	v_cndmask_b32_e64 v7, 0, 1, s[24:25]
	v_cndmask_b32_e64 v4, 0, 1, s[24:25]
; %bb.176:
	s_or_b64 exec, exec, s[28:29]
	v_mov_b32_dpp v5, v2 row_bcast:31 row_mask:0xf bank_mask:0xf
	v_mov_b32_dpp v8, v3 row_bcast:31 row_mask:0xf bank_mask:0xf
	;; [unrolled: 1-line block ×3, first 2 shown]
	v_cmp_lt_u32_e64 s[24:25], 31, v6
	s_and_saveexec_b64 s[28:29], s[24:25]
; %bb.177:
	v_cmp_eq_u16_e64 s[24:25], 0, v7
	v_and_b32_e32 v4, 1, v4
	v_cmp_eq_u32_e64 s[26:27], 1, v4
	v_cndmask_b32_e64 v9, 0, v8, s[24:25]
	v_cndmask_b32_e64 v8, 0, v5, s[24:25]
	v_and_b32_e32 v5, 1, v7
	v_cmp_eq_u32_e64 s[24:25], 1, v5
	s_or_b64 s[24:25], s[24:25], s[26:27]
	v_lshl_add_u64 v[2:3], v[8:9], 0, v[2:3]
	v_cndmask_b32_e64 v7, 0, 1, s[24:25]
; %bb.178:
	s_or_b64 exec, exec, s[28:29]
	v_or_b32_e32 v4, 63, v0
	v_lshrrev_b32_e32 v8, 6, v0
	v_cmp_eq_u32_e64 s[24:25], v4, v0
	s_and_saveexec_b64 s[26:27], s[24:25]
	s_cbranch_execz .LBB427_180
; %bb.179:
	v_lshlrev_b32_e32 v4, 4, v8
	ds_write_b64 v4, v[2:3]
	ds_write_b8 v4, v7 offset:8
.LBB427_180:
	s_or_b64 exec, exec, s[26:27]
	v_cmp_gt_u32_e64 s[24:25], 4, v0
	s_waitcnt lgkmcnt(0)
	s_barrier
	s_and_saveexec_b64 s[28:29], s[24:25]
	s_cbranch_execz .LBB427_186
; %bb.181:
	v_lshlrev_b32_e32 v9, 4, v0
	ds_read_b64 v[4:5], v9
	ds_read_b32 v10, v9 offset:8
	v_and_b32_e32 v11, 3, v6
	v_cmp_ne_u32_e64 s[24:25], 0, v11
	s_waitcnt lgkmcnt(1)
	v_mov_b32_dpp v15, v4 row_shr:1 row_mask:0xf bank_mask:0xf
	v_mov_b32_dpp v16, v5 row_shr:1 row_mask:0xf bank_mask:0xf
	s_waitcnt lgkmcnt(0)
	v_mov_b32_dpp v14, v10 row_shr:1 row_mask:0xf bank_mask:0xf
	v_mov_b32_e32 v12, v10
	v_mov_b32_e32 v13, v10
	s_and_saveexec_b64 s[26:27], s[24:25]
; %bb.182:
	v_mov_b32_e32 v12, 0
	v_cmp_eq_u16_sdwa s[24:25], v10, v12 src0_sel:BYTE_0 src1_sel:DWORD
	s_nop 1
	v_cndmask_b32_e64 v13, 0, v16, s[24:25]
	v_cndmask_b32_e64 v12, 0, v15, s[24:25]
	v_lshl_add_u64 v[4:5], v[12:13], 0, v[4:5]
	v_or_b32_e32 v13, v14, v10
	v_and_b32_e32 v12, 1, v13
	v_and_b32_e32 v13, 1, v13
	s_movk_i32 s24, 0xff00
	v_and_or_b32 v10, v10, s24, v13
; %bb.183:
	s_or_b64 exec, exec, s[26:27]
	v_mov_b32_dpp v14, v4 row_shr:2 row_mask:0xf bank_mask:0xf
	v_mov_b32_dpp v15, v5 row_shr:2 row_mask:0xf bank_mask:0xf
	;; [unrolled: 1-line block ×3, first 2 shown]
	v_cmp_lt_u32_e64 s[24:25], 1, v11
	s_and_saveexec_b64 s[30:31], s[24:25]
; %bb.184:
	v_mov_b32_e32 v11, 0
	v_cmp_eq_u16_sdwa s[24:25], v13, v11 src0_sel:BYTE_0 src1_sel:DWORD
	v_and_b32_e32 v11, 1, v13
	v_and_b32_e32 v10, 1, v10
	v_cndmask_b32_e64 v15, 0, v15, s[24:25]
	v_cndmask_b32_e64 v14, 0, v14, s[24:25]
	v_cmp_eq_u32_e64 s[24:25], 1, v11
	v_cmp_eq_u32_e64 s[26:27], 1, v10
	s_or_b64 s[24:25], s[24:25], s[26:27]
	v_lshl_add_u64 v[4:5], v[14:15], 0, v[4:5]
	v_cndmask_b32_e64 v12, 0, 1, s[24:25]
; %bb.185:
	s_or_b64 exec, exec, s[30:31]
	ds_write_b64 v9, v[4:5]
	ds_write_b8 v9, v12 offset:8
.LBB427_186:
	s_or_b64 exec, exec, s[28:29]
	v_cmp_lt_u32_e64 s[24:25], 63, v0
	s_waitcnt vmcnt(0)
	v_mov_b64_e32 v[4:5], v[32:33]
	s_waitcnt lgkmcnt(0)
	s_barrier
	s_and_saveexec_b64 s[26:27], s[24:25]
	s_cbranch_execz .LBB427_188
; %bb.187:
	v_lshl_add_u32 v4, v8, 4, -16
	ds_read_u8 v8, v4 offset:8
	ds_read_b64 v[4:5], v4
	s_waitcnt lgkmcnt(1)
	v_cmp_eq_u16_e64 s[24:25], 0, v8
	s_nop 1
	v_cndmask_b32_e64 v9, 0, v33, s[24:25]
	v_cndmask_b32_e64 v8, 0, v32, s[24:25]
	s_waitcnt lgkmcnt(0)
	v_lshl_add_u64 v[4:5], v[8:9], 0, v[4:5]
.LBB427_188:
	s_or_b64 exec, exec, s[26:27]
	v_cmp_eq_u16_e64 s[24:25], 0, v7
	v_add_u32_e32 v7, -1, v6
	v_mov_b32_e32 v28, 0
	v_cndmask_b32_e64 v9, 0, v5, s[24:25]
	v_cndmask_b32_e64 v8, 0, v4, s[24:25]
	v_lshl_add_u64 v[2:3], v[8:9], 0, v[2:3]
	v_and_b32_e32 v8, 64, v6
	v_cmp_lt_i32_e64 s[24:25], v7, v8
	v_cmp_eq_u16_sdwa s[26:27], v1, v28 src0_sel:BYTE_0 src1_sel:DWORD
	s_nop 0
	v_cndmask_b32_e64 v7, v7, v6, s[24:25]
	v_lshlrev_b32_e32 v7, 2, v7
	ds_bpermute_b32 v3, v7, v3
	ds_bpermute_b32 v2, v7, v2
	v_cmp_eq_u32_e64 s[24:25], 0, v6
	s_waitcnt lgkmcnt(1)
	s_nop 0
	v_cndmask_b32_e64 v3, v3, v5, s[24:25]
	s_waitcnt lgkmcnt(0)
	v_cndmask_b32_e64 v2, v2, v4, s[24:25]
	v_cmp_eq_u32_e64 s[24:25], 0, v0
	s_nop 1
	v_cndmask_b32_e64 v4, v2, v32, s[24:25]
	v_cndmask_b32_e64 v5, v3, v33, s[24:25]
	;; [unrolled: 1-line block ×4, first 2 shown]
	v_lshl_add_u64 v[4:5], v[4:5], 0, v[54:55]
	v_cndmask_b32_e32 v7, 0, v5, vcc
	v_cndmask_b32_e32 v6, 0, v4, vcc
	v_lshl_add_u64 v[6:7], v[6:7], 0, v[30:31]
	v_cndmask_b32_e64 v9, 0, v7, s[2:3]
	v_cndmask_b32_e64 v8, 0, v6, s[2:3]
	v_lshl_add_u64 v[8:9], v[8:9], 0, v[50:51]
	v_cndmask_b32_e64 v11, 0, v9, s[4:5]
	v_cndmask_b32_e64 v10, 0, v8, s[4:5]
	;; [unrolled: 3-line block ×11, first 2 shown]
	s_and_saveexec_b64 s[2:3], s[24:25]
	s_cbranch_execz .LBB427_190
; %bb.189:
	ds_read_u8 v1, v28 offset:56
	ds_read_b64 v[2:3], v28 offset:48
	s_waitcnt lgkmcnt(1)
	v_cmp_eq_u32_e32 vcc, 0, v1
	s_nop 1
	v_cndmask_b32_e32 v31, 0, v33, vcc
	v_cndmask_b32_e32 v30, 0, v32, vcc
	s_waitcnt lgkmcnt(0)
	v_lshl_add_u64 v[2:3], v[30:31], 0, v[2:3]
	global_store_dword v28, v2, s[38:39] offset:1024 sc1
	global_store_dword v28, v3, s[38:39] offset:1028 sc1
	;; [unrolled: 1-line block ×4, first 2 shown]
	v_mov_b32_e32 v1, 2
	v_mov_b64_e32 v[2:3], v[32:33]
	s_waitcnt vmcnt(0)
	global_store_byte v28, v1, s[40:41] offset:64 sc1
.LBB427_190:
	s_or_b64 exec, exec, s[2:3]
.LBB427_191:
	s_add_u32 s2, s50, s34
	s_addc_u32 s3, s51, s35
	s_add_u32 s2, s2, s44
	v_mul_u32_u24_e32 v1, 14, v0
	v_lshl_add_u64 v[28:29], v[60:61], 0, v[34:35]
	s_addc_u32 s3, s3, s45
	s_and_b64 vcc, exec, s[0:1]
	v_lshlrev_b32_e32 v60, 3, v1
	s_cbranch_vccz .LBB427_219
; %bb.192:
	s_movk_i32 s0, 0xff98
	v_mad_i32_i24 v1, v0, s0, v60
	s_barrier
	ds_write_b128 v60, v[2:5]
	ds_write_b128 v60, v[6:9] offset:16
	ds_write_b128 v60, v[10:13] offset:32
	;; [unrolled: 1-line block ×6, first 2 shown]
	s_waitcnt lgkmcnt(0)
	s_barrier
	ds_read2st64_b64 v[52:55], v1 offset0:4 offset1:8
	ds_read2st64_b64 v[48:51], v1 offset0:12 offset1:16
	;; [unrolled: 1-line block ×6, first 2 shown]
	ds_read_b64 v[30:31], v1 offset:26624
	s_add_i32 s33, s33, s42
	v_mov_b32_e32 v59, 0
	v_lshl_add_u64 v[56:57], s[2:3], 0, v[58:59]
	v_cmp_gt_u32_e32 vcc, s33, v0
	s_and_saveexec_b64 s[0:1], vcc
	s_cbranch_execz .LBB427_194
; %bb.193:
	v_mul_i32_i24_e32 v1, 0xffffff98, v0
	v_add_u32_e32 v1, v60, v1
	ds_read_b64 v[62:63], v1
	s_waitcnt lgkmcnt(0)
	flat_store_dwordx2 v[56:57], v[62:63]
.LBB427_194:
	s_or_b64 exec, exec, s[0:1]
	v_or_b32_e32 v1, 0x100, v0
	v_cmp_gt_u32_e32 vcc, s33, v1
	s_and_saveexec_b64 s[0:1], vcc
	s_cbranch_execz .LBB427_196
; %bb.195:
	s_waitcnt lgkmcnt(0)
	flat_store_dwordx2 v[56:57], v[52:53] offset:2048
.LBB427_196:
	s_or_b64 exec, exec, s[0:1]
	v_or_b32_e32 v1, 0x200, v0
	v_cmp_gt_u32_e32 vcc, s33, v1
	s_and_saveexec_b64 s[0:1], vcc
	s_cbranch_execz .LBB427_198
; %bb.197:
	s_waitcnt lgkmcnt(0)
	v_add_co_u32_e32 v52, vcc, 0x1000, v56
	s_nop 1
	v_addc_co_u32_e32 v53, vcc, 0, v57, vcc
	flat_store_dwordx2 v[52:53], v[54:55]
.LBB427_198:
	s_or_b64 exec, exec, s[0:1]
	v_or_b32_e32 v1, 0x300, v0
	v_cmp_gt_u32_e32 vcc, s33, v1
	s_and_saveexec_b64 s[0:1], vcc
	s_cbranch_execz .LBB427_200
; %bb.199:
	s_waitcnt lgkmcnt(0)
	v_add_co_u32_e32 v52, vcc, 0x1000, v56
	s_nop 1
	v_addc_co_u32_e32 v53, vcc, 0, v57, vcc
	flat_store_dwordx2 v[52:53], v[48:49] offset:2048
.LBB427_200:
	s_or_b64 exec, exec, s[0:1]
	v_or_b32_e32 v1, 0x400, v0
	v_cmp_gt_u32_e32 vcc, s33, v1
	s_and_saveexec_b64 s[0:1], vcc
	s_cbranch_execz .LBB427_202
; %bb.201:
	s_waitcnt lgkmcnt(0)
	v_add_co_u32_e32 v48, vcc, 0x2000, v56
	s_nop 1
	v_addc_co_u32_e32 v49, vcc, 0, v57, vcc
	flat_store_dwordx2 v[48:49], v[50:51]
.LBB427_202:
	s_or_b64 exec, exec, s[0:1]
	v_or_b32_e32 v1, 0x500, v0
	v_cmp_gt_u32_e32 vcc, s33, v1
	s_and_saveexec_b64 s[0:1], vcc
	s_cbranch_execz .LBB427_204
; %bb.203:
	s_waitcnt lgkmcnt(0)
	v_add_co_u32_e32 v48, vcc, 0x2000, v56
	s_nop 1
	v_addc_co_u32_e32 v49, vcc, 0, v57, vcc
	flat_store_dwordx2 v[48:49], v[44:45] offset:2048
.LBB427_204:
	s_or_b64 exec, exec, s[0:1]
	v_or_b32_e32 v1, 0x600, v0
	v_cmp_gt_u32_e32 vcc, s33, v1
	s_and_saveexec_b64 s[0:1], vcc
	s_cbranch_execz .LBB427_206
; %bb.205:
	s_waitcnt lgkmcnt(0)
	v_add_co_u32_e32 v44, vcc, 0x3000, v56
	s_nop 1
	v_addc_co_u32_e32 v45, vcc, 0, v57, vcc
	flat_store_dwordx2 v[44:45], v[46:47]
.LBB427_206:
	s_or_b64 exec, exec, s[0:1]
	v_or_b32_e32 v1, 0x700, v0
	v_cmp_gt_u32_e32 vcc, s33, v1
	s_and_saveexec_b64 s[0:1], vcc
	s_cbranch_execz .LBB427_208
; %bb.207:
	s_waitcnt lgkmcnt(0)
	v_add_co_u32_e32 v44, vcc, 0x3000, v56
	s_nop 1
	v_addc_co_u32_e32 v45, vcc, 0, v57, vcc
	flat_store_dwordx2 v[44:45], v[40:41] offset:2048
.LBB427_208:
	s_or_b64 exec, exec, s[0:1]
	v_or_b32_e32 v1, 0x800, v0
	v_cmp_gt_u32_e32 vcc, s33, v1
	s_and_saveexec_b64 s[0:1], vcc
	s_cbranch_execz .LBB427_210
; %bb.209:
	s_waitcnt lgkmcnt(0)
	v_add_co_u32_e32 v40, vcc, 0x4000, v56
	s_nop 1
	v_addc_co_u32_e32 v41, vcc, 0, v57, vcc
	flat_store_dwordx2 v[40:41], v[42:43]
.LBB427_210:
	s_or_b64 exec, exec, s[0:1]
	v_or_b32_e32 v1, 0x900, v0
	v_cmp_gt_u32_e32 vcc, s33, v1
	s_and_saveexec_b64 s[0:1], vcc
	s_cbranch_execz .LBB427_212
; %bb.211:
	s_waitcnt lgkmcnt(0)
	v_add_co_u32_e32 v40, vcc, 0x4000, v56
	s_nop 1
	v_addc_co_u32_e32 v41, vcc, 0, v57, vcc
	flat_store_dwordx2 v[40:41], v[36:37] offset:2048
.LBB427_212:
	s_or_b64 exec, exec, s[0:1]
	v_or_b32_e32 v1, 0xa00, v0
	v_cmp_gt_u32_e32 vcc, s33, v1
	s_and_saveexec_b64 s[0:1], vcc
	s_cbranch_execz .LBB427_214
; %bb.213:
	s_waitcnt lgkmcnt(0)
	v_add_co_u32_e32 v36, vcc, 0x5000, v56
	s_nop 1
	v_addc_co_u32_e32 v37, vcc, 0, v57, vcc
	flat_store_dwordx2 v[36:37], v[38:39]
.LBB427_214:
	s_or_b64 exec, exec, s[0:1]
	v_or_b32_e32 v1, 0xb00, v0
	v_cmp_gt_u32_e32 vcc, s33, v1
	s_and_saveexec_b64 s[0:1], vcc
	s_cbranch_execz .LBB427_216
; %bb.215:
	s_waitcnt lgkmcnt(0)
	v_add_co_u32_e32 v36, vcc, 0x5000, v56
	s_nop 1
	v_addc_co_u32_e32 v37, vcc, 0, v57, vcc
	flat_store_dwordx2 v[36:37], v[32:33] offset:2048
.LBB427_216:
	s_or_b64 exec, exec, s[0:1]
	v_or_b32_e32 v1, 0xc00, v0
	v_cmp_gt_u32_e32 vcc, s33, v1
	s_and_saveexec_b64 s[0:1], vcc
	s_cbranch_execz .LBB427_218
; %bb.217:
	s_waitcnt lgkmcnt(0)
	v_add_co_u32_e32 v32, vcc, 0x6000, v56
	s_nop 1
	v_addc_co_u32_e32 v33, vcc, 0, v57, vcc
	flat_store_dwordx2 v[32:33], v[34:35]
.LBB427_218:
	s_or_b64 exec, exec, s[0:1]
	s_waitcnt lgkmcnt(0)
	v_or_b32_e32 v32, 0xd00, v0
	v_mov_b32_e32 v1, v59
	v_cmp_gt_u32_e64 s[0:1], s33, v32
	s_branch .LBB427_221
.LBB427_219:
	s_mov_b64 s[0:1], 0
                                        ; implicit-def: $vgpr30_vgpr31
	s_cbranch_execz .LBB427_221
; %bb.220:
	v_mov_b32_e32 v1, 0
	s_movk_i32 s4, 0xff98
	s_barrier
	ds_write_b128 v60, v[2:5]
	ds_write_b128 v60, v[6:9] offset:16
	ds_write_b128 v60, v[10:13] offset:32
	;; [unrolled: 1-line block ×6, first 2 shown]
	v_mad_i32_i24 v26, v0, s4, v60
	v_mov_b32_e32 v59, v1
	s_waitcnt lgkmcnt(0)
	s_barrier
	ds_read2st64_b64 v[2:5], v26 offset1:4
	ds_read2st64_b64 v[6:9], v26 offset0:8 offset1:12
	ds_read2st64_b64 v[10:13], v26 offset0:16 offset1:20
	;; [unrolled: 1-line block ×6, first 2 shown]
	v_lshl_add_u64 v[26:27], s[2:3], 0, v[58:59]
	s_movk_i32 s4, 0x1000
	s_waitcnt lgkmcnt(0)
	flat_store_dwordx2 v[26:27], v[2:3]
	flat_store_dwordx2 v[26:27], v[4:5] offset:2048
	v_add_co_u32_e32 v2, vcc, s4, v26
	s_movk_i32 s4, 0x2000
	s_nop 0
	v_addc_co_u32_e32 v3, vcc, 0, v27, vcc
	flat_store_dwordx2 v[2:3], v[6:7]
	flat_store_dwordx2 v[2:3], v[8:9] offset:2048
	v_add_co_u32_e32 v2, vcc, s4, v26
	s_movk_i32 s4, 0x3000
	s_nop 0
	v_addc_co_u32_e32 v3, vcc, 0, v27, vcc
	;; [unrolled: 6-line block ×3, first 2 shown]
	flat_store_dwordx2 v[2:3], v[14:15]
	flat_store_dwordx2 v[2:3], v[16:17] offset:2048
	v_add_co_u32_e32 v2, vcc, s4, v26
	s_or_b64 s[0:1], s[0:1], exec
	s_nop 0
	v_addc_co_u32_e32 v3, vcc, 0, v27, vcc
	flat_store_dwordx2 v[2:3], v[18:19]
	flat_store_dwordx2 v[2:3], v[20:21] offset:2048
	v_add_co_u32_e32 v2, vcc, 0x5000, v26
	s_nop 1
	v_addc_co_u32_e32 v3, vcc, 0, v27, vcc
	flat_store_dwordx2 v[2:3], v[22:23]
	flat_store_dwordx2 v[2:3], v[24:25] offset:2048
	v_add_co_u32_e32 v2, vcc, 0x6000, v26
	s_nop 1
	v_addc_co_u32_e32 v3, vcc, 0, v27, vcc
	flat_store_dwordx2 v[2:3], v[28:29]
.LBB427_221:
	s_and_saveexec_b64 s[4:5], s[0:1]
	s_cbranch_execz .LBB427_223
; %bb.222:
	v_lshl_add_u64 v[0:1], v[0:1], 3, s[2:3]
	v_add_co_u32_e32 v0, vcc, 0x6000, v0
	s_nop 1
	v_addc_co_u32_e32 v1, vcc, 0, v1, vcc
	flat_store_dwordx2 v[0:1], v[30:31] offset:2048
	s_endpgm
.LBB427_223:
	s_endpgm
	.section	.rodata,"a",@progbits
	.p2align	6, 0x0
	.amdhsa_kernel _ZN7rocprim17ROCPRIM_400000_NS6detail17trampoline_kernelINS0_14default_configENS1_27scan_by_key_config_selectorIxxEEZZNS1_16scan_by_key_implILNS1_25lookback_scan_determinismE0ELb1ES3_N6thrust23THRUST_200600_302600_NS6detail15normal_iteratorINS9_10device_ptrIxEEEESE_SE_xNS9_4plusIvEENS9_8equal_toIxEExEE10hipError_tPvRmT2_T3_T4_T5_mT6_T7_P12ihipStream_tbENKUlT_T0_E_clISt17integral_constantIbLb0EESZ_EEDaSU_SV_EUlSU_E_NS1_11comp_targetILNS1_3genE5ELNS1_11target_archE942ELNS1_3gpuE9ELNS1_3repE0EEENS1_30default_config_static_selectorELNS0_4arch9wavefront6targetE1EEEvT1_
		.amdhsa_group_segment_fixed_size 32768
		.amdhsa_private_segment_fixed_size 0
		.amdhsa_kernarg_size 136
		.amdhsa_user_sgpr_count 2
		.amdhsa_user_sgpr_dispatch_ptr 0
		.amdhsa_user_sgpr_queue_ptr 0
		.amdhsa_user_sgpr_kernarg_segment_ptr 1
		.amdhsa_user_sgpr_dispatch_id 0
		.amdhsa_user_sgpr_kernarg_preload_length 0
		.amdhsa_user_sgpr_kernarg_preload_offset 0
		.amdhsa_user_sgpr_private_segment_size 0
		.amdhsa_uses_dynamic_stack 0
		.amdhsa_enable_private_segment 0
		.amdhsa_system_sgpr_workgroup_id_x 1
		.amdhsa_system_sgpr_workgroup_id_y 0
		.amdhsa_system_sgpr_workgroup_id_z 0
		.amdhsa_system_sgpr_workgroup_info 0
		.amdhsa_system_vgpr_workitem_id 0
		.amdhsa_next_free_vgpr 85
		.amdhsa_next_free_sgpr 64
		.amdhsa_accum_offset 88
		.amdhsa_reserve_vcc 1
		.amdhsa_float_round_mode_32 0
		.amdhsa_float_round_mode_16_64 0
		.amdhsa_float_denorm_mode_32 3
		.amdhsa_float_denorm_mode_16_64 3
		.amdhsa_dx10_clamp 1
		.amdhsa_ieee_mode 1
		.amdhsa_fp16_overflow 0
		.amdhsa_tg_split 0
		.amdhsa_exception_fp_ieee_invalid_op 0
		.amdhsa_exception_fp_denorm_src 0
		.amdhsa_exception_fp_ieee_div_zero 0
		.amdhsa_exception_fp_ieee_overflow 0
		.amdhsa_exception_fp_ieee_underflow 0
		.amdhsa_exception_fp_ieee_inexact 0
		.amdhsa_exception_int_div_zero 0
	.end_amdhsa_kernel
	.section	.text._ZN7rocprim17ROCPRIM_400000_NS6detail17trampoline_kernelINS0_14default_configENS1_27scan_by_key_config_selectorIxxEEZZNS1_16scan_by_key_implILNS1_25lookback_scan_determinismE0ELb1ES3_N6thrust23THRUST_200600_302600_NS6detail15normal_iteratorINS9_10device_ptrIxEEEESE_SE_xNS9_4plusIvEENS9_8equal_toIxEExEE10hipError_tPvRmT2_T3_T4_T5_mT6_T7_P12ihipStream_tbENKUlT_T0_E_clISt17integral_constantIbLb0EESZ_EEDaSU_SV_EUlSU_E_NS1_11comp_targetILNS1_3genE5ELNS1_11target_archE942ELNS1_3gpuE9ELNS1_3repE0EEENS1_30default_config_static_selectorELNS0_4arch9wavefront6targetE1EEEvT1_,"axG",@progbits,_ZN7rocprim17ROCPRIM_400000_NS6detail17trampoline_kernelINS0_14default_configENS1_27scan_by_key_config_selectorIxxEEZZNS1_16scan_by_key_implILNS1_25lookback_scan_determinismE0ELb1ES3_N6thrust23THRUST_200600_302600_NS6detail15normal_iteratorINS9_10device_ptrIxEEEESE_SE_xNS9_4plusIvEENS9_8equal_toIxEExEE10hipError_tPvRmT2_T3_T4_T5_mT6_T7_P12ihipStream_tbENKUlT_T0_E_clISt17integral_constantIbLb0EESZ_EEDaSU_SV_EUlSU_E_NS1_11comp_targetILNS1_3genE5ELNS1_11target_archE942ELNS1_3gpuE9ELNS1_3repE0EEENS1_30default_config_static_selectorELNS0_4arch9wavefront6targetE1EEEvT1_,comdat
.Lfunc_end427:
	.size	_ZN7rocprim17ROCPRIM_400000_NS6detail17trampoline_kernelINS0_14default_configENS1_27scan_by_key_config_selectorIxxEEZZNS1_16scan_by_key_implILNS1_25lookback_scan_determinismE0ELb1ES3_N6thrust23THRUST_200600_302600_NS6detail15normal_iteratorINS9_10device_ptrIxEEEESE_SE_xNS9_4plusIvEENS9_8equal_toIxEExEE10hipError_tPvRmT2_T3_T4_T5_mT6_T7_P12ihipStream_tbENKUlT_T0_E_clISt17integral_constantIbLb0EESZ_EEDaSU_SV_EUlSU_E_NS1_11comp_targetILNS1_3genE5ELNS1_11target_archE942ELNS1_3gpuE9ELNS1_3repE0EEENS1_30default_config_static_selectorELNS0_4arch9wavefront6targetE1EEEvT1_, .Lfunc_end427-_ZN7rocprim17ROCPRIM_400000_NS6detail17trampoline_kernelINS0_14default_configENS1_27scan_by_key_config_selectorIxxEEZZNS1_16scan_by_key_implILNS1_25lookback_scan_determinismE0ELb1ES3_N6thrust23THRUST_200600_302600_NS6detail15normal_iteratorINS9_10device_ptrIxEEEESE_SE_xNS9_4plusIvEENS9_8equal_toIxEExEE10hipError_tPvRmT2_T3_T4_T5_mT6_T7_P12ihipStream_tbENKUlT_T0_E_clISt17integral_constantIbLb0EESZ_EEDaSU_SV_EUlSU_E_NS1_11comp_targetILNS1_3genE5ELNS1_11target_archE942ELNS1_3gpuE9ELNS1_3repE0EEENS1_30default_config_static_selectorELNS0_4arch9wavefront6targetE1EEEvT1_
                                        ; -- End function
	.section	.AMDGPU.csdata,"",@progbits
; Kernel info:
; codeLenInByte = 12724
; NumSgprs: 70
; NumVgprs: 85
; NumAgprs: 0
; TotalNumVgprs: 85
; ScratchSize: 0
; MemoryBound: 0
; FloatMode: 240
; IeeeMode: 1
; LDSByteSize: 32768 bytes/workgroup (compile time only)
; SGPRBlocks: 8
; VGPRBlocks: 10
; NumSGPRsForWavesPerEU: 70
; NumVGPRsForWavesPerEU: 85
; AccumOffset: 88
; Occupancy: 2
; WaveLimiterHint : 1
; COMPUTE_PGM_RSRC2:SCRATCH_EN: 0
; COMPUTE_PGM_RSRC2:USER_SGPR: 2
; COMPUTE_PGM_RSRC2:TRAP_HANDLER: 0
; COMPUTE_PGM_RSRC2:TGID_X_EN: 1
; COMPUTE_PGM_RSRC2:TGID_Y_EN: 0
; COMPUTE_PGM_RSRC2:TGID_Z_EN: 0
; COMPUTE_PGM_RSRC2:TIDIG_COMP_CNT: 0
; COMPUTE_PGM_RSRC3_GFX90A:ACCUM_OFFSET: 21
; COMPUTE_PGM_RSRC3_GFX90A:TG_SPLIT: 0
	.section	.text._ZN7rocprim17ROCPRIM_400000_NS6detail17trampoline_kernelINS0_14default_configENS1_27scan_by_key_config_selectorIxxEEZZNS1_16scan_by_key_implILNS1_25lookback_scan_determinismE0ELb1ES3_N6thrust23THRUST_200600_302600_NS6detail15normal_iteratorINS9_10device_ptrIxEEEESE_SE_xNS9_4plusIvEENS9_8equal_toIxEExEE10hipError_tPvRmT2_T3_T4_T5_mT6_T7_P12ihipStream_tbENKUlT_T0_E_clISt17integral_constantIbLb0EESZ_EEDaSU_SV_EUlSU_E_NS1_11comp_targetILNS1_3genE4ELNS1_11target_archE910ELNS1_3gpuE8ELNS1_3repE0EEENS1_30default_config_static_selectorELNS0_4arch9wavefront6targetE1EEEvT1_,"axG",@progbits,_ZN7rocprim17ROCPRIM_400000_NS6detail17trampoline_kernelINS0_14default_configENS1_27scan_by_key_config_selectorIxxEEZZNS1_16scan_by_key_implILNS1_25lookback_scan_determinismE0ELb1ES3_N6thrust23THRUST_200600_302600_NS6detail15normal_iteratorINS9_10device_ptrIxEEEESE_SE_xNS9_4plusIvEENS9_8equal_toIxEExEE10hipError_tPvRmT2_T3_T4_T5_mT6_T7_P12ihipStream_tbENKUlT_T0_E_clISt17integral_constantIbLb0EESZ_EEDaSU_SV_EUlSU_E_NS1_11comp_targetILNS1_3genE4ELNS1_11target_archE910ELNS1_3gpuE8ELNS1_3repE0EEENS1_30default_config_static_selectorELNS0_4arch9wavefront6targetE1EEEvT1_,comdat
	.protected	_ZN7rocprim17ROCPRIM_400000_NS6detail17trampoline_kernelINS0_14default_configENS1_27scan_by_key_config_selectorIxxEEZZNS1_16scan_by_key_implILNS1_25lookback_scan_determinismE0ELb1ES3_N6thrust23THRUST_200600_302600_NS6detail15normal_iteratorINS9_10device_ptrIxEEEESE_SE_xNS9_4plusIvEENS9_8equal_toIxEExEE10hipError_tPvRmT2_T3_T4_T5_mT6_T7_P12ihipStream_tbENKUlT_T0_E_clISt17integral_constantIbLb0EESZ_EEDaSU_SV_EUlSU_E_NS1_11comp_targetILNS1_3genE4ELNS1_11target_archE910ELNS1_3gpuE8ELNS1_3repE0EEENS1_30default_config_static_selectorELNS0_4arch9wavefront6targetE1EEEvT1_ ; -- Begin function _ZN7rocprim17ROCPRIM_400000_NS6detail17trampoline_kernelINS0_14default_configENS1_27scan_by_key_config_selectorIxxEEZZNS1_16scan_by_key_implILNS1_25lookback_scan_determinismE0ELb1ES3_N6thrust23THRUST_200600_302600_NS6detail15normal_iteratorINS9_10device_ptrIxEEEESE_SE_xNS9_4plusIvEENS9_8equal_toIxEExEE10hipError_tPvRmT2_T3_T4_T5_mT6_T7_P12ihipStream_tbENKUlT_T0_E_clISt17integral_constantIbLb0EESZ_EEDaSU_SV_EUlSU_E_NS1_11comp_targetILNS1_3genE4ELNS1_11target_archE910ELNS1_3gpuE8ELNS1_3repE0EEENS1_30default_config_static_selectorELNS0_4arch9wavefront6targetE1EEEvT1_
	.globl	_ZN7rocprim17ROCPRIM_400000_NS6detail17trampoline_kernelINS0_14default_configENS1_27scan_by_key_config_selectorIxxEEZZNS1_16scan_by_key_implILNS1_25lookback_scan_determinismE0ELb1ES3_N6thrust23THRUST_200600_302600_NS6detail15normal_iteratorINS9_10device_ptrIxEEEESE_SE_xNS9_4plusIvEENS9_8equal_toIxEExEE10hipError_tPvRmT2_T3_T4_T5_mT6_T7_P12ihipStream_tbENKUlT_T0_E_clISt17integral_constantIbLb0EESZ_EEDaSU_SV_EUlSU_E_NS1_11comp_targetILNS1_3genE4ELNS1_11target_archE910ELNS1_3gpuE8ELNS1_3repE0EEENS1_30default_config_static_selectorELNS0_4arch9wavefront6targetE1EEEvT1_
	.p2align	8
	.type	_ZN7rocprim17ROCPRIM_400000_NS6detail17trampoline_kernelINS0_14default_configENS1_27scan_by_key_config_selectorIxxEEZZNS1_16scan_by_key_implILNS1_25lookback_scan_determinismE0ELb1ES3_N6thrust23THRUST_200600_302600_NS6detail15normal_iteratorINS9_10device_ptrIxEEEESE_SE_xNS9_4plusIvEENS9_8equal_toIxEExEE10hipError_tPvRmT2_T3_T4_T5_mT6_T7_P12ihipStream_tbENKUlT_T0_E_clISt17integral_constantIbLb0EESZ_EEDaSU_SV_EUlSU_E_NS1_11comp_targetILNS1_3genE4ELNS1_11target_archE910ELNS1_3gpuE8ELNS1_3repE0EEENS1_30default_config_static_selectorELNS0_4arch9wavefront6targetE1EEEvT1_,@function
_ZN7rocprim17ROCPRIM_400000_NS6detail17trampoline_kernelINS0_14default_configENS1_27scan_by_key_config_selectorIxxEEZZNS1_16scan_by_key_implILNS1_25lookback_scan_determinismE0ELb1ES3_N6thrust23THRUST_200600_302600_NS6detail15normal_iteratorINS9_10device_ptrIxEEEESE_SE_xNS9_4plusIvEENS9_8equal_toIxEExEE10hipError_tPvRmT2_T3_T4_T5_mT6_T7_P12ihipStream_tbENKUlT_T0_E_clISt17integral_constantIbLb0EESZ_EEDaSU_SV_EUlSU_E_NS1_11comp_targetILNS1_3genE4ELNS1_11target_archE910ELNS1_3gpuE8ELNS1_3repE0EEENS1_30default_config_static_selectorELNS0_4arch9wavefront6targetE1EEEvT1_: ; @_ZN7rocprim17ROCPRIM_400000_NS6detail17trampoline_kernelINS0_14default_configENS1_27scan_by_key_config_selectorIxxEEZZNS1_16scan_by_key_implILNS1_25lookback_scan_determinismE0ELb1ES3_N6thrust23THRUST_200600_302600_NS6detail15normal_iteratorINS9_10device_ptrIxEEEESE_SE_xNS9_4plusIvEENS9_8equal_toIxEExEE10hipError_tPvRmT2_T3_T4_T5_mT6_T7_P12ihipStream_tbENKUlT_T0_E_clISt17integral_constantIbLb0EESZ_EEDaSU_SV_EUlSU_E_NS1_11comp_targetILNS1_3genE4ELNS1_11target_archE910ELNS1_3gpuE8ELNS1_3repE0EEENS1_30default_config_static_selectorELNS0_4arch9wavefront6targetE1EEEvT1_
; %bb.0:
	.section	.rodata,"a",@progbits
	.p2align	6, 0x0
	.amdhsa_kernel _ZN7rocprim17ROCPRIM_400000_NS6detail17trampoline_kernelINS0_14default_configENS1_27scan_by_key_config_selectorIxxEEZZNS1_16scan_by_key_implILNS1_25lookback_scan_determinismE0ELb1ES3_N6thrust23THRUST_200600_302600_NS6detail15normal_iteratorINS9_10device_ptrIxEEEESE_SE_xNS9_4plusIvEENS9_8equal_toIxEExEE10hipError_tPvRmT2_T3_T4_T5_mT6_T7_P12ihipStream_tbENKUlT_T0_E_clISt17integral_constantIbLb0EESZ_EEDaSU_SV_EUlSU_E_NS1_11comp_targetILNS1_3genE4ELNS1_11target_archE910ELNS1_3gpuE8ELNS1_3repE0EEENS1_30default_config_static_selectorELNS0_4arch9wavefront6targetE1EEEvT1_
		.amdhsa_group_segment_fixed_size 0
		.amdhsa_private_segment_fixed_size 0
		.amdhsa_kernarg_size 136
		.amdhsa_user_sgpr_count 2
		.amdhsa_user_sgpr_dispatch_ptr 0
		.amdhsa_user_sgpr_queue_ptr 0
		.amdhsa_user_sgpr_kernarg_segment_ptr 1
		.amdhsa_user_sgpr_dispatch_id 0
		.amdhsa_user_sgpr_kernarg_preload_length 0
		.amdhsa_user_sgpr_kernarg_preload_offset 0
		.amdhsa_user_sgpr_private_segment_size 0
		.amdhsa_uses_dynamic_stack 0
		.amdhsa_enable_private_segment 0
		.amdhsa_system_sgpr_workgroup_id_x 1
		.amdhsa_system_sgpr_workgroup_id_y 0
		.amdhsa_system_sgpr_workgroup_id_z 0
		.amdhsa_system_sgpr_workgroup_info 0
		.amdhsa_system_vgpr_workitem_id 0
		.amdhsa_next_free_vgpr 1
		.amdhsa_next_free_sgpr 0
		.amdhsa_accum_offset 4
		.amdhsa_reserve_vcc 0
		.amdhsa_float_round_mode_32 0
		.amdhsa_float_round_mode_16_64 0
		.amdhsa_float_denorm_mode_32 3
		.amdhsa_float_denorm_mode_16_64 3
		.amdhsa_dx10_clamp 1
		.amdhsa_ieee_mode 1
		.amdhsa_fp16_overflow 0
		.amdhsa_tg_split 0
		.amdhsa_exception_fp_ieee_invalid_op 0
		.amdhsa_exception_fp_denorm_src 0
		.amdhsa_exception_fp_ieee_div_zero 0
		.amdhsa_exception_fp_ieee_overflow 0
		.amdhsa_exception_fp_ieee_underflow 0
		.amdhsa_exception_fp_ieee_inexact 0
		.amdhsa_exception_int_div_zero 0
	.end_amdhsa_kernel
	.section	.text._ZN7rocprim17ROCPRIM_400000_NS6detail17trampoline_kernelINS0_14default_configENS1_27scan_by_key_config_selectorIxxEEZZNS1_16scan_by_key_implILNS1_25lookback_scan_determinismE0ELb1ES3_N6thrust23THRUST_200600_302600_NS6detail15normal_iteratorINS9_10device_ptrIxEEEESE_SE_xNS9_4plusIvEENS9_8equal_toIxEExEE10hipError_tPvRmT2_T3_T4_T5_mT6_T7_P12ihipStream_tbENKUlT_T0_E_clISt17integral_constantIbLb0EESZ_EEDaSU_SV_EUlSU_E_NS1_11comp_targetILNS1_3genE4ELNS1_11target_archE910ELNS1_3gpuE8ELNS1_3repE0EEENS1_30default_config_static_selectorELNS0_4arch9wavefront6targetE1EEEvT1_,"axG",@progbits,_ZN7rocprim17ROCPRIM_400000_NS6detail17trampoline_kernelINS0_14default_configENS1_27scan_by_key_config_selectorIxxEEZZNS1_16scan_by_key_implILNS1_25lookback_scan_determinismE0ELb1ES3_N6thrust23THRUST_200600_302600_NS6detail15normal_iteratorINS9_10device_ptrIxEEEESE_SE_xNS9_4plusIvEENS9_8equal_toIxEExEE10hipError_tPvRmT2_T3_T4_T5_mT6_T7_P12ihipStream_tbENKUlT_T0_E_clISt17integral_constantIbLb0EESZ_EEDaSU_SV_EUlSU_E_NS1_11comp_targetILNS1_3genE4ELNS1_11target_archE910ELNS1_3gpuE8ELNS1_3repE0EEENS1_30default_config_static_selectorELNS0_4arch9wavefront6targetE1EEEvT1_,comdat
.Lfunc_end428:
	.size	_ZN7rocprim17ROCPRIM_400000_NS6detail17trampoline_kernelINS0_14default_configENS1_27scan_by_key_config_selectorIxxEEZZNS1_16scan_by_key_implILNS1_25lookback_scan_determinismE0ELb1ES3_N6thrust23THRUST_200600_302600_NS6detail15normal_iteratorINS9_10device_ptrIxEEEESE_SE_xNS9_4plusIvEENS9_8equal_toIxEExEE10hipError_tPvRmT2_T3_T4_T5_mT6_T7_P12ihipStream_tbENKUlT_T0_E_clISt17integral_constantIbLb0EESZ_EEDaSU_SV_EUlSU_E_NS1_11comp_targetILNS1_3genE4ELNS1_11target_archE910ELNS1_3gpuE8ELNS1_3repE0EEENS1_30default_config_static_selectorELNS0_4arch9wavefront6targetE1EEEvT1_, .Lfunc_end428-_ZN7rocprim17ROCPRIM_400000_NS6detail17trampoline_kernelINS0_14default_configENS1_27scan_by_key_config_selectorIxxEEZZNS1_16scan_by_key_implILNS1_25lookback_scan_determinismE0ELb1ES3_N6thrust23THRUST_200600_302600_NS6detail15normal_iteratorINS9_10device_ptrIxEEEESE_SE_xNS9_4plusIvEENS9_8equal_toIxEExEE10hipError_tPvRmT2_T3_T4_T5_mT6_T7_P12ihipStream_tbENKUlT_T0_E_clISt17integral_constantIbLb0EESZ_EEDaSU_SV_EUlSU_E_NS1_11comp_targetILNS1_3genE4ELNS1_11target_archE910ELNS1_3gpuE8ELNS1_3repE0EEENS1_30default_config_static_selectorELNS0_4arch9wavefront6targetE1EEEvT1_
                                        ; -- End function
	.section	.AMDGPU.csdata,"",@progbits
; Kernel info:
; codeLenInByte = 0
; NumSgprs: 6
; NumVgprs: 0
; NumAgprs: 0
; TotalNumVgprs: 0
; ScratchSize: 0
; MemoryBound: 0
; FloatMode: 240
; IeeeMode: 1
; LDSByteSize: 0 bytes/workgroup (compile time only)
; SGPRBlocks: 0
; VGPRBlocks: 0
; NumSGPRsForWavesPerEU: 6
; NumVGPRsForWavesPerEU: 1
; AccumOffset: 4
; Occupancy: 8
; WaveLimiterHint : 0
; COMPUTE_PGM_RSRC2:SCRATCH_EN: 0
; COMPUTE_PGM_RSRC2:USER_SGPR: 2
; COMPUTE_PGM_RSRC2:TRAP_HANDLER: 0
; COMPUTE_PGM_RSRC2:TGID_X_EN: 1
; COMPUTE_PGM_RSRC2:TGID_Y_EN: 0
; COMPUTE_PGM_RSRC2:TGID_Z_EN: 0
; COMPUTE_PGM_RSRC2:TIDIG_COMP_CNT: 0
; COMPUTE_PGM_RSRC3_GFX90A:ACCUM_OFFSET: 0
; COMPUTE_PGM_RSRC3_GFX90A:TG_SPLIT: 0
	.section	.text._ZN7rocprim17ROCPRIM_400000_NS6detail17trampoline_kernelINS0_14default_configENS1_27scan_by_key_config_selectorIxxEEZZNS1_16scan_by_key_implILNS1_25lookback_scan_determinismE0ELb1ES3_N6thrust23THRUST_200600_302600_NS6detail15normal_iteratorINS9_10device_ptrIxEEEESE_SE_xNS9_4plusIvEENS9_8equal_toIxEExEE10hipError_tPvRmT2_T3_T4_T5_mT6_T7_P12ihipStream_tbENKUlT_T0_E_clISt17integral_constantIbLb0EESZ_EEDaSU_SV_EUlSU_E_NS1_11comp_targetILNS1_3genE3ELNS1_11target_archE908ELNS1_3gpuE7ELNS1_3repE0EEENS1_30default_config_static_selectorELNS0_4arch9wavefront6targetE1EEEvT1_,"axG",@progbits,_ZN7rocprim17ROCPRIM_400000_NS6detail17trampoline_kernelINS0_14default_configENS1_27scan_by_key_config_selectorIxxEEZZNS1_16scan_by_key_implILNS1_25lookback_scan_determinismE0ELb1ES3_N6thrust23THRUST_200600_302600_NS6detail15normal_iteratorINS9_10device_ptrIxEEEESE_SE_xNS9_4plusIvEENS9_8equal_toIxEExEE10hipError_tPvRmT2_T3_T4_T5_mT6_T7_P12ihipStream_tbENKUlT_T0_E_clISt17integral_constantIbLb0EESZ_EEDaSU_SV_EUlSU_E_NS1_11comp_targetILNS1_3genE3ELNS1_11target_archE908ELNS1_3gpuE7ELNS1_3repE0EEENS1_30default_config_static_selectorELNS0_4arch9wavefront6targetE1EEEvT1_,comdat
	.protected	_ZN7rocprim17ROCPRIM_400000_NS6detail17trampoline_kernelINS0_14default_configENS1_27scan_by_key_config_selectorIxxEEZZNS1_16scan_by_key_implILNS1_25lookback_scan_determinismE0ELb1ES3_N6thrust23THRUST_200600_302600_NS6detail15normal_iteratorINS9_10device_ptrIxEEEESE_SE_xNS9_4plusIvEENS9_8equal_toIxEExEE10hipError_tPvRmT2_T3_T4_T5_mT6_T7_P12ihipStream_tbENKUlT_T0_E_clISt17integral_constantIbLb0EESZ_EEDaSU_SV_EUlSU_E_NS1_11comp_targetILNS1_3genE3ELNS1_11target_archE908ELNS1_3gpuE7ELNS1_3repE0EEENS1_30default_config_static_selectorELNS0_4arch9wavefront6targetE1EEEvT1_ ; -- Begin function _ZN7rocprim17ROCPRIM_400000_NS6detail17trampoline_kernelINS0_14default_configENS1_27scan_by_key_config_selectorIxxEEZZNS1_16scan_by_key_implILNS1_25lookback_scan_determinismE0ELb1ES3_N6thrust23THRUST_200600_302600_NS6detail15normal_iteratorINS9_10device_ptrIxEEEESE_SE_xNS9_4plusIvEENS9_8equal_toIxEExEE10hipError_tPvRmT2_T3_T4_T5_mT6_T7_P12ihipStream_tbENKUlT_T0_E_clISt17integral_constantIbLb0EESZ_EEDaSU_SV_EUlSU_E_NS1_11comp_targetILNS1_3genE3ELNS1_11target_archE908ELNS1_3gpuE7ELNS1_3repE0EEENS1_30default_config_static_selectorELNS0_4arch9wavefront6targetE1EEEvT1_
	.globl	_ZN7rocprim17ROCPRIM_400000_NS6detail17trampoline_kernelINS0_14default_configENS1_27scan_by_key_config_selectorIxxEEZZNS1_16scan_by_key_implILNS1_25lookback_scan_determinismE0ELb1ES3_N6thrust23THRUST_200600_302600_NS6detail15normal_iteratorINS9_10device_ptrIxEEEESE_SE_xNS9_4plusIvEENS9_8equal_toIxEExEE10hipError_tPvRmT2_T3_T4_T5_mT6_T7_P12ihipStream_tbENKUlT_T0_E_clISt17integral_constantIbLb0EESZ_EEDaSU_SV_EUlSU_E_NS1_11comp_targetILNS1_3genE3ELNS1_11target_archE908ELNS1_3gpuE7ELNS1_3repE0EEENS1_30default_config_static_selectorELNS0_4arch9wavefront6targetE1EEEvT1_
	.p2align	8
	.type	_ZN7rocprim17ROCPRIM_400000_NS6detail17trampoline_kernelINS0_14default_configENS1_27scan_by_key_config_selectorIxxEEZZNS1_16scan_by_key_implILNS1_25lookback_scan_determinismE0ELb1ES3_N6thrust23THRUST_200600_302600_NS6detail15normal_iteratorINS9_10device_ptrIxEEEESE_SE_xNS9_4plusIvEENS9_8equal_toIxEExEE10hipError_tPvRmT2_T3_T4_T5_mT6_T7_P12ihipStream_tbENKUlT_T0_E_clISt17integral_constantIbLb0EESZ_EEDaSU_SV_EUlSU_E_NS1_11comp_targetILNS1_3genE3ELNS1_11target_archE908ELNS1_3gpuE7ELNS1_3repE0EEENS1_30default_config_static_selectorELNS0_4arch9wavefront6targetE1EEEvT1_,@function
_ZN7rocprim17ROCPRIM_400000_NS6detail17trampoline_kernelINS0_14default_configENS1_27scan_by_key_config_selectorIxxEEZZNS1_16scan_by_key_implILNS1_25lookback_scan_determinismE0ELb1ES3_N6thrust23THRUST_200600_302600_NS6detail15normal_iteratorINS9_10device_ptrIxEEEESE_SE_xNS9_4plusIvEENS9_8equal_toIxEExEE10hipError_tPvRmT2_T3_T4_T5_mT6_T7_P12ihipStream_tbENKUlT_T0_E_clISt17integral_constantIbLb0EESZ_EEDaSU_SV_EUlSU_E_NS1_11comp_targetILNS1_3genE3ELNS1_11target_archE908ELNS1_3gpuE7ELNS1_3repE0EEENS1_30default_config_static_selectorELNS0_4arch9wavefront6targetE1EEEvT1_: ; @_ZN7rocprim17ROCPRIM_400000_NS6detail17trampoline_kernelINS0_14default_configENS1_27scan_by_key_config_selectorIxxEEZZNS1_16scan_by_key_implILNS1_25lookback_scan_determinismE0ELb1ES3_N6thrust23THRUST_200600_302600_NS6detail15normal_iteratorINS9_10device_ptrIxEEEESE_SE_xNS9_4plusIvEENS9_8equal_toIxEExEE10hipError_tPvRmT2_T3_T4_T5_mT6_T7_P12ihipStream_tbENKUlT_T0_E_clISt17integral_constantIbLb0EESZ_EEDaSU_SV_EUlSU_E_NS1_11comp_targetILNS1_3genE3ELNS1_11target_archE908ELNS1_3gpuE7ELNS1_3repE0EEENS1_30default_config_static_selectorELNS0_4arch9wavefront6targetE1EEEvT1_
; %bb.0:
	.section	.rodata,"a",@progbits
	.p2align	6, 0x0
	.amdhsa_kernel _ZN7rocprim17ROCPRIM_400000_NS6detail17trampoline_kernelINS0_14default_configENS1_27scan_by_key_config_selectorIxxEEZZNS1_16scan_by_key_implILNS1_25lookback_scan_determinismE0ELb1ES3_N6thrust23THRUST_200600_302600_NS6detail15normal_iteratorINS9_10device_ptrIxEEEESE_SE_xNS9_4plusIvEENS9_8equal_toIxEExEE10hipError_tPvRmT2_T3_T4_T5_mT6_T7_P12ihipStream_tbENKUlT_T0_E_clISt17integral_constantIbLb0EESZ_EEDaSU_SV_EUlSU_E_NS1_11comp_targetILNS1_3genE3ELNS1_11target_archE908ELNS1_3gpuE7ELNS1_3repE0EEENS1_30default_config_static_selectorELNS0_4arch9wavefront6targetE1EEEvT1_
		.amdhsa_group_segment_fixed_size 0
		.amdhsa_private_segment_fixed_size 0
		.amdhsa_kernarg_size 136
		.amdhsa_user_sgpr_count 2
		.amdhsa_user_sgpr_dispatch_ptr 0
		.amdhsa_user_sgpr_queue_ptr 0
		.amdhsa_user_sgpr_kernarg_segment_ptr 1
		.amdhsa_user_sgpr_dispatch_id 0
		.amdhsa_user_sgpr_kernarg_preload_length 0
		.amdhsa_user_sgpr_kernarg_preload_offset 0
		.amdhsa_user_sgpr_private_segment_size 0
		.amdhsa_uses_dynamic_stack 0
		.amdhsa_enable_private_segment 0
		.amdhsa_system_sgpr_workgroup_id_x 1
		.amdhsa_system_sgpr_workgroup_id_y 0
		.amdhsa_system_sgpr_workgroup_id_z 0
		.amdhsa_system_sgpr_workgroup_info 0
		.amdhsa_system_vgpr_workitem_id 0
		.amdhsa_next_free_vgpr 1
		.amdhsa_next_free_sgpr 0
		.amdhsa_accum_offset 4
		.amdhsa_reserve_vcc 0
		.amdhsa_float_round_mode_32 0
		.amdhsa_float_round_mode_16_64 0
		.amdhsa_float_denorm_mode_32 3
		.amdhsa_float_denorm_mode_16_64 3
		.amdhsa_dx10_clamp 1
		.amdhsa_ieee_mode 1
		.amdhsa_fp16_overflow 0
		.amdhsa_tg_split 0
		.amdhsa_exception_fp_ieee_invalid_op 0
		.amdhsa_exception_fp_denorm_src 0
		.amdhsa_exception_fp_ieee_div_zero 0
		.amdhsa_exception_fp_ieee_overflow 0
		.amdhsa_exception_fp_ieee_underflow 0
		.amdhsa_exception_fp_ieee_inexact 0
		.amdhsa_exception_int_div_zero 0
	.end_amdhsa_kernel
	.section	.text._ZN7rocprim17ROCPRIM_400000_NS6detail17trampoline_kernelINS0_14default_configENS1_27scan_by_key_config_selectorIxxEEZZNS1_16scan_by_key_implILNS1_25lookback_scan_determinismE0ELb1ES3_N6thrust23THRUST_200600_302600_NS6detail15normal_iteratorINS9_10device_ptrIxEEEESE_SE_xNS9_4plusIvEENS9_8equal_toIxEExEE10hipError_tPvRmT2_T3_T4_T5_mT6_T7_P12ihipStream_tbENKUlT_T0_E_clISt17integral_constantIbLb0EESZ_EEDaSU_SV_EUlSU_E_NS1_11comp_targetILNS1_3genE3ELNS1_11target_archE908ELNS1_3gpuE7ELNS1_3repE0EEENS1_30default_config_static_selectorELNS0_4arch9wavefront6targetE1EEEvT1_,"axG",@progbits,_ZN7rocprim17ROCPRIM_400000_NS6detail17trampoline_kernelINS0_14default_configENS1_27scan_by_key_config_selectorIxxEEZZNS1_16scan_by_key_implILNS1_25lookback_scan_determinismE0ELb1ES3_N6thrust23THRUST_200600_302600_NS6detail15normal_iteratorINS9_10device_ptrIxEEEESE_SE_xNS9_4plusIvEENS9_8equal_toIxEExEE10hipError_tPvRmT2_T3_T4_T5_mT6_T7_P12ihipStream_tbENKUlT_T0_E_clISt17integral_constantIbLb0EESZ_EEDaSU_SV_EUlSU_E_NS1_11comp_targetILNS1_3genE3ELNS1_11target_archE908ELNS1_3gpuE7ELNS1_3repE0EEENS1_30default_config_static_selectorELNS0_4arch9wavefront6targetE1EEEvT1_,comdat
.Lfunc_end429:
	.size	_ZN7rocprim17ROCPRIM_400000_NS6detail17trampoline_kernelINS0_14default_configENS1_27scan_by_key_config_selectorIxxEEZZNS1_16scan_by_key_implILNS1_25lookback_scan_determinismE0ELb1ES3_N6thrust23THRUST_200600_302600_NS6detail15normal_iteratorINS9_10device_ptrIxEEEESE_SE_xNS9_4plusIvEENS9_8equal_toIxEExEE10hipError_tPvRmT2_T3_T4_T5_mT6_T7_P12ihipStream_tbENKUlT_T0_E_clISt17integral_constantIbLb0EESZ_EEDaSU_SV_EUlSU_E_NS1_11comp_targetILNS1_3genE3ELNS1_11target_archE908ELNS1_3gpuE7ELNS1_3repE0EEENS1_30default_config_static_selectorELNS0_4arch9wavefront6targetE1EEEvT1_, .Lfunc_end429-_ZN7rocprim17ROCPRIM_400000_NS6detail17trampoline_kernelINS0_14default_configENS1_27scan_by_key_config_selectorIxxEEZZNS1_16scan_by_key_implILNS1_25lookback_scan_determinismE0ELb1ES3_N6thrust23THRUST_200600_302600_NS6detail15normal_iteratorINS9_10device_ptrIxEEEESE_SE_xNS9_4plusIvEENS9_8equal_toIxEExEE10hipError_tPvRmT2_T3_T4_T5_mT6_T7_P12ihipStream_tbENKUlT_T0_E_clISt17integral_constantIbLb0EESZ_EEDaSU_SV_EUlSU_E_NS1_11comp_targetILNS1_3genE3ELNS1_11target_archE908ELNS1_3gpuE7ELNS1_3repE0EEENS1_30default_config_static_selectorELNS0_4arch9wavefront6targetE1EEEvT1_
                                        ; -- End function
	.section	.AMDGPU.csdata,"",@progbits
; Kernel info:
; codeLenInByte = 0
; NumSgprs: 6
; NumVgprs: 0
; NumAgprs: 0
; TotalNumVgprs: 0
; ScratchSize: 0
; MemoryBound: 0
; FloatMode: 240
; IeeeMode: 1
; LDSByteSize: 0 bytes/workgroup (compile time only)
; SGPRBlocks: 0
; VGPRBlocks: 0
; NumSGPRsForWavesPerEU: 6
; NumVGPRsForWavesPerEU: 1
; AccumOffset: 4
; Occupancy: 8
; WaveLimiterHint : 0
; COMPUTE_PGM_RSRC2:SCRATCH_EN: 0
; COMPUTE_PGM_RSRC2:USER_SGPR: 2
; COMPUTE_PGM_RSRC2:TRAP_HANDLER: 0
; COMPUTE_PGM_RSRC2:TGID_X_EN: 1
; COMPUTE_PGM_RSRC2:TGID_Y_EN: 0
; COMPUTE_PGM_RSRC2:TGID_Z_EN: 0
; COMPUTE_PGM_RSRC2:TIDIG_COMP_CNT: 0
; COMPUTE_PGM_RSRC3_GFX90A:ACCUM_OFFSET: 0
; COMPUTE_PGM_RSRC3_GFX90A:TG_SPLIT: 0
	.section	.text._ZN7rocprim17ROCPRIM_400000_NS6detail17trampoline_kernelINS0_14default_configENS1_27scan_by_key_config_selectorIxxEEZZNS1_16scan_by_key_implILNS1_25lookback_scan_determinismE0ELb1ES3_N6thrust23THRUST_200600_302600_NS6detail15normal_iteratorINS9_10device_ptrIxEEEESE_SE_xNS9_4plusIvEENS9_8equal_toIxEExEE10hipError_tPvRmT2_T3_T4_T5_mT6_T7_P12ihipStream_tbENKUlT_T0_E_clISt17integral_constantIbLb0EESZ_EEDaSU_SV_EUlSU_E_NS1_11comp_targetILNS1_3genE2ELNS1_11target_archE906ELNS1_3gpuE6ELNS1_3repE0EEENS1_30default_config_static_selectorELNS0_4arch9wavefront6targetE1EEEvT1_,"axG",@progbits,_ZN7rocprim17ROCPRIM_400000_NS6detail17trampoline_kernelINS0_14default_configENS1_27scan_by_key_config_selectorIxxEEZZNS1_16scan_by_key_implILNS1_25lookback_scan_determinismE0ELb1ES3_N6thrust23THRUST_200600_302600_NS6detail15normal_iteratorINS9_10device_ptrIxEEEESE_SE_xNS9_4plusIvEENS9_8equal_toIxEExEE10hipError_tPvRmT2_T3_T4_T5_mT6_T7_P12ihipStream_tbENKUlT_T0_E_clISt17integral_constantIbLb0EESZ_EEDaSU_SV_EUlSU_E_NS1_11comp_targetILNS1_3genE2ELNS1_11target_archE906ELNS1_3gpuE6ELNS1_3repE0EEENS1_30default_config_static_selectorELNS0_4arch9wavefront6targetE1EEEvT1_,comdat
	.protected	_ZN7rocprim17ROCPRIM_400000_NS6detail17trampoline_kernelINS0_14default_configENS1_27scan_by_key_config_selectorIxxEEZZNS1_16scan_by_key_implILNS1_25lookback_scan_determinismE0ELb1ES3_N6thrust23THRUST_200600_302600_NS6detail15normal_iteratorINS9_10device_ptrIxEEEESE_SE_xNS9_4plusIvEENS9_8equal_toIxEExEE10hipError_tPvRmT2_T3_T4_T5_mT6_T7_P12ihipStream_tbENKUlT_T0_E_clISt17integral_constantIbLb0EESZ_EEDaSU_SV_EUlSU_E_NS1_11comp_targetILNS1_3genE2ELNS1_11target_archE906ELNS1_3gpuE6ELNS1_3repE0EEENS1_30default_config_static_selectorELNS0_4arch9wavefront6targetE1EEEvT1_ ; -- Begin function _ZN7rocprim17ROCPRIM_400000_NS6detail17trampoline_kernelINS0_14default_configENS1_27scan_by_key_config_selectorIxxEEZZNS1_16scan_by_key_implILNS1_25lookback_scan_determinismE0ELb1ES3_N6thrust23THRUST_200600_302600_NS6detail15normal_iteratorINS9_10device_ptrIxEEEESE_SE_xNS9_4plusIvEENS9_8equal_toIxEExEE10hipError_tPvRmT2_T3_T4_T5_mT6_T7_P12ihipStream_tbENKUlT_T0_E_clISt17integral_constantIbLb0EESZ_EEDaSU_SV_EUlSU_E_NS1_11comp_targetILNS1_3genE2ELNS1_11target_archE906ELNS1_3gpuE6ELNS1_3repE0EEENS1_30default_config_static_selectorELNS0_4arch9wavefront6targetE1EEEvT1_
	.globl	_ZN7rocprim17ROCPRIM_400000_NS6detail17trampoline_kernelINS0_14default_configENS1_27scan_by_key_config_selectorIxxEEZZNS1_16scan_by_key_implILNS1_25lookback_scan_determinismE0ELb1ES3_N6thrust23THRUST_200600_302600_NS6detail15normal_iteratorINS9_10device_ptrIxEEEESE_SE_xNS9_4plusIvEENS9_8equal_toIxEExEE10hipError_tPvRmT2_T3_T4_T5_mT6_T7_P12ihipStream_tbENKUlT_T0_E_clISt17integral_constantIbLb0EESZ_EEDaSU_SV_EUlSU_E_NS1_11comp_targetILNS1_3genE2ELNS1_11target_archE906ELNS1_3gpuE6ELNS1_3repE0EEENS1_30default_config_static_selectorELNS0_4arch9wavefront6targetE1EEEvT1_
	.p2align	8
	.type	_ZN7rocprim17ROCPRIM_400000_NS6detail17trampoline_kernelINS0_14default_configENS1_27scan_by_key_config_selectorIxxEEZZNS1_16scan_by_key_implILNS1_25lookback_scan_determinismE0ELb1ES3_N6thrust23THRUST_200600_302600_NS6detail15normal_iteratorINS9_10device_ptrIxEEEESE_SE_xNS9_4plusIvEENS9_8equal_toIxEExEE10hipError_tPvRmT2_T3_T4_T5_mT6_T7_P12ihipStream_tbENKUlT_T0_E_clISt17integral_constantIbLb0EESZ_EEDaSU_SV_EUlSU_E_NS1_11comp_targetILNS1_3genE2ELNS1_11target_archE906ELNS1_3gpuE6ELNS1_3repE0EEENS1_30default_config_static_selectorELNS0_4arch9wavefront6targetE1EEEvT1_,@function
_ZN7rocprim17ROCPRIM_400000_NS6detail17trampoline_kernelINS0_14default_configENS1_27scan_by_key_config_selectorIxxEEZZNS1_16scan_by_key_implILNS1_25lookback_scan_determinismE0ELb1ES3_N6thrust23THRUST_200600_302600_NS6detail15normal_iteratorINS9_10device_ptrIxEEEESE_SE_xNS9_4plusIvEENS9_8equal_toIxEExEE10hipError_tPvRmT2_T3_T4_T5_mT6_T7_P12ihipStream_tbENKUlT_T0_E_clISt17integral_constantIbLb0EESZ_EEDaSU_SV_EUlSU_E_NS1_11comp_targetILNS1_3genE2ELNS1_11target_archE906ELNS1_3gpuE6ELNS1_3repE0EEENS1_30default_config_static_selectorELNS0_4arch9wavefront6targetE1EEEvT1_: ; @_ZN7rocprim17ROCPRIM_400000_NS6detail17trampoline_kernelINS0_14default_configENS1_27scan_by_key_config_selectorIxxEEZZNS1_16scan_by_key_implILNS1_25lookback_scan_determinismE0ELb1ES3_N6thrust23THRUST_200600_302600_NS6detail15normal_iteratorINS9_10device_ptrIxEEEESE_SE_xNS9_4plusIvEENS9_8equal_toIxEExEE10hipError_tPvRmT2_T3_T4_T5_mT6_T7_P12ihipStream_tbENKUlT_T0_E_clISt17integral_constantIbLb0EESZ_EEDaSU_SV_EUlSU_E_NS1_11comp_targetILNS1_3genE2ELNS1_11target_archE906ELNS1_3gpuE6ELNS1_3repE0EEENS1_30default_config_static_selectorELNS0_4arch9wavefront6targetE1EEEvT1_
; %bb.0:
	.section	.rodata,"a",@progbits
	.p2align	6, 0x0
	.amdhsa_kernel _ZN7rocprim17ROCPRIM_400000_NS6detail17trampoline_kernelINS0_14default_configENS1_27scan_by_key_config_selectorIxxEEZZNS1_16scan_by_key_implILNS1_25lookback_scan_determinismE0ELb1ES3_N6thrust23THRUST_200600_302600_NS6detail15normal_iteratorINS9_10device_ptrIxEEEESE_SE_xNS9_4plusIvEENS9_8equal_toIxEExEE10hipError_tPvRmT2_T3_T4_T5_mT6_T7_P12ihipStream_tbENKUlT_T0_E_clISt17integral_constantIbLb0EESZ_EEDaSU_SV_EUlSU_E_NS1_11comp_targetILNS1_3genE2ELNS1_11target_archE906ELNS1_3gpuE6ELNS1_3repE0EEENS1_30default_config_static_selectorELNS0_4arch9wavefront6targetE1EEEvT1_
		.amdhsa_group_segment_fixed_size 0
		.amdhsa_private_segment_fixed_size 0
		.amdhsa_kernarg_size 136
		.amdhsa_user_sgpr_count 2
		.amdhsa_user_sgpr_dispatch_ptr 0
		.amdhsa_user_sgpr_queue_ptr 0
		.amdhsa_user_sgpr_kernarg_segment_ptr 1
		.amdhsa_user_sgpr_dispatch_id 0
		.amdhsa_user_sgpr_kernarg_preload_length 0
		.amdhsa_user_sgpr_kernarg_preload_offset 0
		.amdhsa_user_sgpr_private_segment_size 0
		.amdhsa_uses_dynamic_stack 0
		.amdhsa_enable_private_segment 0
		.amdhsa_system_sgpr_workgroup_id_x 1
		.amdhsa_system_sgpr_workgroup_id_y 0
		.amdhsa_system_sgpr_workgroup_id_z 0
		.amdhsa_system_sgpr_workgroup_info 0
		.amdhsa_system_vgpr_workitem_id 0
		.amdhsa_next_free_vgpr 1
		.amdhsa_next_free_sgpr 0
		.amdhsa_accum_offset 4
		.amdhsa_reserve_vcc 0
		.amdhsa_float_round_mode_32 0
		.amdhsa_float_round_mode_16_64 0
		.amdhsa_float_denorm_mode_32 3
		.amdhsa_float_denorm_mode_16_64 3
		.amdhsa_dx10_clamp 1
		.amdhsa_ieee_mode 1
		.amdhsa_fp16_overflow 0
		.amdhsa_tg_split 0
		.amdhsa_exception_fp_ieee_invalid_op 0
		.amdhsa_exception_fp_denorm_src 0
		.amdhsa_exception_fp_ieee_div_zero 0
		.amdhsa_exception_fp_ieee_overflow 0
		.amdhsa_exception_fp_ieee_underflow 0
		.amdhsa_exception_fp_ieee_inexact 0
		.amdhsa_exception_int_div_zero 0
	.end_amdhsa_kernel
	.section	.text._ZN7rocprim17ROCPRIM_400000_NS6detail17trampoline_kernelINS0_14default_configENS1_27scan_by_key_config_selectorIxxEEZZNS1_16scan_by_key_implILNS1_25lookback_scan_determinismE0ELb1ES3_N6thrust23THRUST_200600_302600_NS6detail15normal_iteratorINS9_10device_ptrIxEEEESE_SE_xNS9_4plusIvEENS9_8equal_toIxEExEE10hipError_tPvRmT2_T3_T4_T5_mT6_T7_P12ihipStream_tbENKUlT_T0_E_clISt17integral_constantIbLb0EESZ_EEDaSU_SV_EUlSU_E_NS1_11comp_targetILNS1_3genE2ELNS1_11target_archE906ELNS1_3gpuE6ELNS1_3repE0EEENS1_30default_config_static_selectorELNS0_4arch9wavefront6targetE1EEEvT1_,"axG",@progbits,_ZN7rocprim17ROCPRIM_400000_NS6detail17trampoline_kernelINS0_14default_configENS1_27scan_by_key_config_selectorIxxEEZZNS1_16scan_by_key_implILNS1_25lookback_scan_determinismE0ELb1ES3_N6thrust23THRUST_200600_302600_NS6detail15normal_iteratorINS9_10device_ptrIxEEEESE_SE_xNS9_4plusIvEENS9_8equal_toIxEExEE10hipError_tPvRmT2_T3_T4_T5_mT6_T7_P12ihipStream_tbENKUlT_T0_E_clISt17integral_constantIbLb0EESZ_EEDaSU_SV_EUlSU_E_NS1_11comp_targetILNS1_3genE2ELNS1_11target_archE906ELNS1_3gpuE6ELNS1_3repE0EEENS1_30default_config_static_selectorELNS0_4arch9wavefront6targetE1EEEvT1_,comdat
.Lfunc_end430:
	.size	_ZN7rocprim17ROCPRIM_400000_NS6detail17trampoline_kernelINS0_14default_configENS1_27scan_by_key_config_selectorIxxEEZZNS1_16scan_by_key_implILNS1_25lookback_scan_determinismE0ELb1ES3_N6thrust23THRUST_200600_302600_NS6detail15normal_iteratorINS9_10device_ptrIxEEEESE_SE_xNS9_4plusIvEENS9_8equal_toIxEExEE10hipError_tPvRmT2_T3_T4_T5_mT6_T7_P12ihipStream_tbENKUlT_T0_E_clISt17integral_constantIbLb0EESZ_EEDaSU_SV_EUlSU_E_NS1_11comp_targetILNS1_3genE2ELNS1_11target_archE906ELNS1_3gpuE6ELNS1_3repE0EEENS1_30default_config_static_selectorELNS0_4arch9wavefront6targetE1EEEvT1_, .Lfunc_end430-_ZN7rocprim17ROCPRIM_400000_NS6detail17trampoline_kernelINS0_14default_configENS1_27scan_by_key_config_selectorIxxEEZZNS1_16scan_by_key_implILNS1_25lookback_scan_determinismE0ELb1ES3_N6thrust23THRUST_200600_302600_NS6detail15normal_iteratorINS9_10device_ptrIxEEEESE_SE_xNS9_4plusIvEENS9_8equal_toIxEExEE10hipError_tPvRmT2_T3_T4_T5_mT6_T7_P12ihipStream_tbENKUlT_T0_E_clISt17integral_constantIbLb0EESZ_EEDaSU_SV_EUlSU_E_NS1_11comp_targetILNS1_3genE2ELNS1_11target_archE906ELNS1_3gpuE6ELNS1_3repE0EEENS1_30default_config_static_selectorELNS0_4arch9wavefront6targetE1EEEvT1_
                                        ; -- End function
	.section	.AMDGPU.csdata,"",@progbits
; Kernel info:
; codeLenInByte = 0
; NumSgprs: 6
; NumVgprs: 0
; NumAgprs: 0
; TotalNumVgprs: 0
; ScratchSize: 0
; MemoryBound: 0
; FloatMode: 240
; IeeeMode: 1
; LDSByteSize: 0 bytes/workgroup (compile time only)
; SGPRBlocks: 0
; VGPRBlocks: 0
; NumSGPRsForWavesPerEU: 6
; NumVGPRsForWavesPerEU: 1
; AccumOffset: 4
; Occupancy: 8
; WaveLimiterHint : 0
; COMPUTE_PGM_RSRC2:SCRATCH_EN: 0
; COMPUTE_PGM_RSRC2:USER_SGPR: 2
; COMPUTE_PGM_RSRC2:TRAP_HANDLER: 0
; COMPUTE_PGM_RSRC2:TGID_X_EN: 1
; COMPUTE_PGM_RSRC2:TGID_Y_EN: 0
; COMPUTE_PGM_RSRC2:TGID_Z_EN: 0
; COMPUTE_PGM_RSRC2:TIDIG_COMP_CNT: 0
; COMPUTE_PGM_RSRC3_GFX90A:ACCUM_OFFSET: 0
; COMPUTE_PGM_RSRC3_GFX90A:TG_SPLIT: 0
	.section	.text._ZN7rocprim17ROCPRIM_400000_NS6detail17trampoline_kernelINS0_14default_configENS1_27scan_by_key_config_selectorIxxEEZZNS1_16scan_by_key_implILNS1_25lookback_scan_determinismE0ELb1ES3_N6thrust23THRUST_200600_302600_NS6detail15normal_iteratorINS9_10device_ptrIxEEEESE_SE_xNS9_4plusIvEENS9_8equal_toIxEExEE10hipError_tPvRmT2_T3_T4_T5_mT6_T7_P12ihipStream_tbENKUlT_T0_E_clISt17integral_constantIbLb0EESZ_EEDaSU_SV_EUlSU_E_NS1_11comp_targetILNS1_3genE10ELNS1_11target_archE1200ELNS1_3gpuE4ELNS1_3repE0EEENS1_30default_config_static_selectorELNS0_4arch9wavefront6targetE1EEEvT1_,"axG",@progbits,_ZN7rocprim17ROCPRIM_400000_NS6detail17trampoline_kernelINS0_14default_configENS1_27scan_by_key_config_selectorIxxEEZZNS1_16scan_by_key_implILNS1_25lookback_scan_determinismE0ELb1ES3_N6thrust23THRUST_200600_302600_NS6detail15normal_iteratorINS9_10device_ptrIxEEEESE_SE_xNS9_4plusIvEENS9_8equal_toIxEExEE10hipError_tPvRmT2_T3_T4_T5_mT6_T7_P12ihipStream_tbENKUlT_T0_E_clISt17integral_constantIbLb0EESZ_EEDaSU_SV_EUlSU_E_NS1_11comp_targetILNS1_3genE10ELNS1_11target_archE1200ELNS1_3gpuE4ELNS1_3repE0EEENS1_30default_config_static_selectorELNS0_4arch9wavefront6targetE1EEEvT1_,comdat
	.protected	_ZN7rocprim17ROCPRIM_400000_NS6detail17trampoline_kernelINS0_14default_configENS1_27scan_by_key_config_selectorIxxEEZZNS1_16scan_by_key_implILNS1_25lookback_scan_determinismE0ELb1ES3_N6thrust23THRUST_200600_302600_NS6detail15normal_iteratorINS9_10device_ptrIxEEEESE_SE_xNS9_4plusIvEENS9_8equal_toIxEExEE10hipError_tPvRmT2_T3_T4_T5_mT6_T7_P12ihipStream_tbENKUlT_T0_E_clISt17integral_constantIbLb0EESZ_EEDaSU_SV_EUlSU_E_NS1_11comp_targetILNS1_3genE10ELNS1_11target_archE1200ELNS1_3gpuE4ELNS1_3repE0EEENS1_30default_config_static_selectorELNS0_4arch9wavefront6targetE1EEEvT1_ ; -- Begin function _ZN7rocprim17ROCPRIM_400000_NS6detail17trampoline_kernelINS0_14default_configENS1_27scan_by_key_config_selectorIxxEEZZNS1_16scan_by_key_implILNS1_25lookback_scan_determinismE0ELb1ES3_N6thrust23THRUST_200600_302600_NS6detail15normal_iteratorINS9_10device_ptrIxEEEESE_SE_xNS9_4plusIvEENS9_8equal_toIxEExEE10hipError_tPvRmT2_T3_T4_T5_mT6_T7_P12ihipStream_tbENKUlT_T0_E_clISt17integral_constantIbLb0EESZ_EEDaSU_SV_EUlSU_E_NS1_11comp_targetILNS1_3genE10ELNS1_11target_archE1200ELNS1_3gpuE4ELNS1_3repE0EEENS1_30default_config_static_selectorELNS0_4arch9wavefront6targetE1EEEvT1_
	.globl	_ZN7rocprim17ROCPRIM_400000_NS6detail17trampoline_kernelINS0_14default_configENS1_27scan_by_key_config_selectorIxxEEZZNS1_16scan_by_key_implILNS1_25lookback_scan_determinismE0ELb1ES3_N6thrust23THRUST_200600_302600_NS6detail15normal_iteratorINS9_10device_ptrIxEEEESE_SE_xNS9_4plusIvEENS9_8equal_toIxEExEE10hipError_tPvRmT2_T3_T4_T5_mT6_T7_P12ihipStream_tbENKUlT_T0_E_clISt17integral_constantIbLb0EESZ_EEDaSU_SV_EUlSU_E_NS1_11comp_targetILNS1_3genE10ELNS1_11target_archE1200ELNS1_3gpuE4ELNS1_3repE0EEENS1_30default_config_static_selectorELNS0_4arch9wavefront6targetE1EEEvT1_
	.p2align	8
	.type	_ZN7rocprim17ROCPRIM_400000_NS6detail17trampoline_kernelINS0_14default_configENS1_27scan_by_key_config_selectorIxxEEZZNS1_16scan_by_key_implILNS1_25lookback_scan_determinismE0ELb1ES3_N6thrust23THRUST_200600_302600_NS6detail15normal_iteratorINS9_10device_ptrIxEEEESE_SE_xNS9_4plusIvEENS9_8equal_toIxEExEE10hipError_tPvRmT2_T3_T4_T5_mT6_T7_P12ihipStream_tbENKUlT_T0_E_clISt17integral_constantIbLb0EESZ_EEDaSU_SV_EUlSU_E_NS1_11comp_targetILNS1_3genE10ELNS1_11target_archE1200ELNS1_3gpuE4ELNS1_3repE0EEENS1_30default_config_static_selectorELNS0_4arch9wavefront6targetE1EEEvT1_,@function
_ZN7rocprim17ROCPRIM_400000_NS6detail17trampoline_kernelINS0_14default_configENS1_27scan_by_key_config_selectorIxxEEZZNS1_16scan_by_key_implILNS1_25lookback_scan_determinismE0ELb1ES3_N6thrust23THRUST_200600_302600_NS6detail15normal_iteratorINS9_10device_ptrIxEEEESE_SE_xNS9_4plusIvEENS9_8equal_toIxEExEE10hipError_tPvRmT2_T3_T4_T5_mT6_T7_P12ihipStream_tbENKUlT_T0_E_clISt17integral_constantIbLb0EESZ_EEDaSU_SV_EUlSU_E_NS1_11comp_targetILNS1_3genE10ELNS1_11target_archE1200ELNS1_3gpuE4ELNS1_3repE0EEENS1_30default_config_static_selectorELNS0_4arch9wavefront6targetE1EEEvT1_: ; @_ZN7rocprim17ROCPRIM_400000_NS6detail17trampoline_kernelINS0_14default_configENS1_27scan_by_key_config_selectorIxxEEZZNS1_16scan_by_key_implILNS1_25lookback_scan_determinismE0ELb1ES3_N6thrust23THRUST_200600_302600_NS6detail15normal_iteratorINS9_10device_ptrIxEEEESE_SE_xNS9_4plusIvEENS9_8equal_toIxEExEE10hipError_tPvRmT2_T3_T4_T5_mT6_T7_P12ihipStream_tbENKUlT_T0_E_clISt17integral_constantIbLb0EESZ_EEDaSU_SV_EUlSU_E_NS1_11comp_targetILNS1_3genE10ELNS1_11target_archE1200ELNS1_3gpuE4ELNS1_3repE0EEENS1_30default_config_static_selectorELNS0_4arch9wavefront6targetE1EEEvT1_
; %bb.0:
	.section	.rodata,"a",@progbits
	.p2align	6, 0x0
	.amdhsa_kernel _ZN7rocprim17ROCPRIM_400000_NS6detail17trampoline_kernelINS0_14default_configENS1_27scan_by_key_config_selectorIxxEEZZNS1_16scan_by_key_implILNS1_25lookback_scan_determinismE0ELb1ES3_N6thrust23THRUST_200600_302600_NS6detail15normal_iteratorINS9_10device_ptrIxEEEESE_SE_xNS9_4plusIvEENS9_8equal_toIxEExEE10hipError_tPvRmT2_T3_T4_T5_mT6_T7_P12ihipStream_tbENKUlT_T0_E_clISt17integral_constantIbLb0EESZ_EEDaSU_SV_EUlSU_E_NS1_11comp_targetILNS1_3genE10ELNS1_11target_archE1200ELNS1_3gpuE4ELNS1_3repE0EEENS1_30default_config_static_selectorELNS0_4arch9wavefront6targetE1EEEvT1_
		.amdhsa_group_segment_fixed_size 0
		.amdhsa_private_segment_fixed_size 0
		.amdhsa_kernarg_size 136
		.amdhsa_user_sgpr_count 2
		.amdhsa_user_sgpr_dispatch_ptr 0
		.amdhsa_user_sgpr_queue_ptr 0
		.amdhsa_user_sgpr_kernarg_segment_ptr 1
		.amdhsa_user_sgpr_dispatch_id 0
		.amdhsa_user_sgpr_kernarg_preload_length 0
		.amdhsa_user_sgpr_kernarg_preload_offset 0
		.amdhsa_user_sgpr_private_segment_size 0
		.amdhsa_uses_dynamic_stack 0
		.amdhsa_enable_private_segment 0
		.amdhsa_system_sgpr_workgroup_id_x 1
		.amdhsa_system_sgpr_workgroup_id_y 0
		.amdhsa_system_sgpr_workgroup_id_z 0
		.amdhsa_system_sgpr_workgroup_info 0
		.amdhsa_system_vgpr_workitem_id 0
		.amdhsa_next_free_vgpr 1
		.amdhsa_next_free_sgpr 0
		.amdhsa_accum_offset 4
		.amdhsa_reserve_vcc 0
		.amdhsa_float_round_mode_32 0
		.amdhsa_float_round_mode_16_64 0
		.amdhsa_float_denorm_mode_32 3
		.amdhsa_float_denorm_mode_16_64 3
		.amdhsa_dx10_clamp 1
		.amdhsa_ieee_mode 1
		.amdhsa_fp16_overflow 0
		.amdhsa_tg_split 0
		.amdhsa_exception_fp_ieee_invalid_op 0
		.amdhsa_exception_fp_denorm_src 0
		.amdhsa_exception_fp_ieee_div_zero 0
		.amdhsa_exception_fp_ieee_overflow 0
		.amdhsa_exception_fp_ieee_underflow 0
		.amdhsa_exception_fp_ieee_inexact 0
		.amdhsa_exception_int_div_zero 0
	.end_amdhsa_kernel
	.section	.text._ZN7rocprim17ROCPRIM_400000_NS6detail17trampoline_kernelINS0_14default_configENS1_27scan_by_key_config_selectorIxxEEZZNS1_16scan_by_key_implILNS1_25lookback_scan_determinismE0ELb1ES3_N6thrust23THRUST_200600_302600_NS6detail15normal_iteratorINS9_10device_ptrIxEEEESE_SE_xNS9_4plusIvEENS9_8equal_toIxEExEE10hipError_tPvRmT2_T3_T4_T5_mT6_T7_P12ihipStream_tbENKUlT_T0_E_clISt17integral_constantIbLb0EESZ_EEDaSU_SV_EUlSU_E_NS1_11comp_targetILNS1_3genE10ELNS1_11target_archE1200ELNS1_3gpuE4ELNS1_3repE0EEENS1_30default_config_static_selectorELNS0_4arch9wavefront6targetE1EEEvT1_,"axG",@progbits,_ZN7rocprim17ROCPRIM_400000_NS6detail17trampoline_kernelINS0_14default_configENS1_27scan_by_key_config_selectorIxxEEZZNS1_16scan_by_key_implILNS1_25lookback_scan_determinismE0ELb1ES3_N6thrust23THRUST_200600_302600_NS6detail15normal_iteratorINS9_10device_ptrIxEEEESE_SE_xNS9_4plusIvEENS9_8equal_toIxEExEE10hipError_tPvRmT2_T3_T4_T5_mT6_T7_P12ihipStream_tbENKUlT_T0_E_clISt17integral_constantIbLb0EESZ_EEDaSU_SV_EUlSU_E_NS1_11comp_targetILNS1_3genE10ELNS1_11target_archE1200ELNS1_3gpuE4ELNS1_3repE0EEENS1_30default_config_static_selectorELNS0_4arch9wavefront6targetE1EEEvT1_,comdat
.Lfunc_end431:
	.size	_ZN7rocprim17ROCPRIM_400000_NS6detail17trampoline_kernelINS0_14default_configENS1_27scan_by_key_config_selectorIxxEEZZNS1_16scan_by_key_implILNS1_25lookback_scan_determinismE0ELb1ES3_N6thrust23THRUST_200600_302600_NS6detail15normal_iteratorINS9_10device_ptrIxEEEESE_SE_xNS9_4plusIvEENS9_8equal_toIxEExEE10hipError_tPvRmT2_T3_T4_T5_mT6_T7_P12ihipStream_tbENKUlT_T0_E_clISt17integral_constantIbLb0EESZ_EEDaSU_SV_EUlSU_E_NS1_11comp_targetILNS1_3genE10ELNS1_11target_archE1200ELNS1_3gpuE4ELNS1_3repE0EEENS1_30default_config_static_selectorELNS0_4arch9wavefront6targetE1EEEvT1_, .Lfunc_end431-_ZN7rocprim17ROCPRIM_400000_NS6detail17trampoline_kernelINS0_14default_configENS1_27scan_by_key_config_selectorIxxEEZZNS1_16scan_by_key_implILNS1_25lookback_scan_determinismE0ELb1ES3_N6thrust23THRUST_200600_302600_NS6detail15normal_iteratorINS9_10device_ptrIxEEEESE_SE_xNS9_4plusIvEENS9_8equal_toIxEExEE10hipError_tPvRmT2_T3_T4_T5_mT6_T7_P12ihipStream_tbENKUlT_T0_E_clISt17integral_constantIbLb0EESZ_EEDaSU_SV_EUlSU_E_NS1_11comp_targetILNS1_3genE10ELNS1_11target_archE1200ELNS1_3gpuE4ELNS1_3repE0EEENS1_30default_config_static_selectorELNS0_4arch9wavefront6targetE1EEEvT1_
                                        ; -- End function
	.section	.AMDGPU.csdata,"",@progbits
; Kernel info:
; codeLenInByte = 0
; NumSgprs: 6
; NumVgprs: 0
; NumAgprs: 0
; TotalNumVgprs: 0
; ScratchSize: 0
; MemoryBound: 0
; FloatMode: 240
; IeeeMode: 1
; LDSByteSize: 0 bytes/workgroup (compile time only)
; SGPRBlocks: 0
; VGPRBlocks: 0
; NumSGPRsForWavesPerEU: 6
; NumVGPRsForWavesPerEU: 1
; AccumOffset: 4
; Occupancy: 8
; WaveLimiterHint : 0
; COMPUTE_PGM_RSRC2:SCRATCH_EN: 0
; COMPUTE_PGM_RSRC2:USER_SGPR: 2
; COMPUTE_PGM_RSRC2:TRAP_HANDLER: 0
; COMPUTE_PGM_RSRC2:TGID_X_EN: 1
; COMPUTE_PGM_RSRC2:TGID_Y_EN: 0
; COMPUTE_PGM_RSRC2:TGID_Z_EN: 0
; COMPUTE_PGM_RSRC2:TIDIG_COMP_CNT: 0
; COMPUTE_PGM_RSRC3_GFX90A:ACCUM_OFFSET: 0
; COMPUTE_PGM_RSRC3_GFX90A:TG_SPLIT: 0
	.section	.text._ZN7rocprim17ROCPRIM_400000_NS6detail17trampoline_kernelINS0_14default_configENS1_27scan_by_key_config_selectorIxxEEZZNS1_16scan_by_key_implILNS1_25lookback_scan_determinismE0ELb1ES3_N6thrust23THRUST_200600_302600_NS6detail15normal_iteratorINS9_10device_ptrIxEEEESE_SE_xNS9_4plusIvEENS9_8equal_toIxEExEE10hipError_tPvRmT2_T3_T4_T5_mT6_T7_P12ihipStream_tbENKUlT_T0_E_clISt17integral_constantIbLb0EESZ_EEDaSU_SV_EUlSU_E_NS1_11comp_targetILNS1_3genE9ELNS1_11target_archE1100ELNS1_3gpuE3ELNS1_3repE0EEENS1_30default_config_static_selectorELNS0_4arch9wavefront6targetE1EEEvT1_,"axG",@progbits,_ZN7rocprim17ROCPRIM_400000_NS6detail17trampoline_kernelINS0_14default_configENS1_27scan_by_key_config_selectorIxxEEZZNS1_16scan_by_key_implILNS1_25lookback_scan_determinismE0ELb1ES3_N6thrust23THRUST_200600_302600_NS6detail15normal_iteratorINS9_10device_ptrIxEEEESE_SE_xNS9_4plusIvEENS9_8equal_toIxEExEE10hipError_tPvRmT2_T3_T4_T5_mT6_T7_P12ihipStream_tbENKUlT_T0_E_clISt17integral_constantIbLb0EESZ_EEDaSU_SV_EUlSU_E_NS1_11comp_targetILNS1_3genE9ELNS1_11target_archE1100ELNS1_3gpuE3ELNS1_3repE0EEENS1_30default_config_static_selectorELNS0_4arch9wavefront6targetE1EEEvT1_,comdat
	.protected	_ZN7rocprim17ROCPRIM_400000_NS6detail17trampoline_kernelINS0_14default_configENS1_27scan_by_key_config_selectorIxxEEZZNS1_16scan_by_key_implILNS1_25lookback_scan_determinismE0ELb1ES3_N6thrust23THRUST_200600_302600_NS6detail15normal_iteratorINS9_10device_ptrIxEEEESE_SE_xNS9_4plusIvEENS9_8equal_toIxEExEE10hipError_tPvRmT2_T3_T4_T5_mT6_T7_P12ihipStream_tbENKUlT_T0_E_clISt17integral_constantIbLb0EESZ_EEDaSU_SV_EUlSU_E_NS1_11comp_targetILNS1_3genE9ELNS1_11target_archE1100ELNS1_3gpuE3ELNS1_3repE0EEENS1_30default_config_static_selectorELNS0_4arch9wavefront6targetE1EEEvT1_ ; -- Begin function _ZN7rocprim17ROCPRIM_400000_NS6detail17trampoline_kernelINS0_14default_configENS1_27scan_by_key_config_selectorIxxEEZZNS1_16scan_by_key_implILNS1_25lookback_scan_determinismE0ELb1ES3_N6thrust23THRUST_200600_302600_NS6detail15normal_iteratorINS9_10device_ptrIxEEEESE_SE_xNS9_4plusIvEENS9_8equal_toIxEExEE10hipError_tPvRmT2_T3_T4_T5_mT6_T7_P12ihipStream_tbENKUlT_T0_E_clISt17integral_constantIbLb0EESZ_EEDaSU_SV_EUlSU_E_NS1_11comp_targetILNS1_3genE9ELNS1_11target_archE1100ELNS1_3gpuE3ELNS1_3repE0EEENS1_30default_config_static_selectorELNS0_4arch9wavefront6targetE1EEEvT1_
	.globl	_ZN7rocprim17ROCPRIM_400000_NS6detail17trampoline_kernelINS0_14default_configENS1_27scan_by_key_config_selectorIxxEEZZNS1_16scan_by_key_implILNS1_25lookback_scan_determinismE0ELb1ES3_N6thrust23THRUST_200600_302600_NS6detail15normal_iteratorINS9_10device_ptrIxEEEESE_SE_xNS9_4plusIvEENS9_8equal_toIxEExEE10hipError_tPvRmT2_T3_T4_T5_mT6_T7_P12ihipStream_tbENKUlT_T0_E_clISt17integral_constantIbLb0EESZ_EEDaSU_SV_EUlSU_E_NS1_11comp_targetILNS1_3genE9ELNS1_11target_archE1100ELNS1_3gpuE3ELNS1_3repE0EEENS1_30default_config_static_selectorELNS0_4arch9wavefront6targetE1EEEvT1_
	.p2align	8
	.type	_ZN7rocprim17ROCPRIM_400000_NS6detail17trampoline_kernelINS0_14default_configENS1_27scan_by_key_config_selectorIxxEEZZNS1_16scan_by_key_implILNS1_25lookback_scan_determinismE0ELb1ES3_N6thrust23THRUST_200600_302600_NS6detail15normal_iteratorINS9_10device_ptrIxEEEESE_SE_xNS9_4plusIvEENS9_8equal_toIxEExEE10hipError_tPvRmT2_T3_T4_T5_mT6_T7_P12ihipStream_tbENKUlT_T0_E_clISt17integral_constantIbLb0EESZ_EEDaSU_SV_EUlSU_E_NS1_11comp_targetILNS1_3genE9ELNS1_11target_archE1100ELNS1_3gpuE3ELNS1_3repE0EEENS1_30default_config_static_selectorELNS0_4arch9wavefront6targetE1EEEvT1_,@function
_ZN7rocprim17ROCPRIM_400000_NS6detail17trampoline_kernelINS0_14default_configENS1_27scan_by_key_config_selectorIxxEEZZNS1_16scan_by_key_implILNS1_25lookback_scan_determinismE0ELb1ES3_N6thrust23THRUST_200600_302600_NS6detail15normal_iteratorINS9_10device_ptrIxEEEESE_SE_xNS9_4plusIvEENS9_8equal_toIxEExEE10hipError_tPvRmT2_T3_T4_T5_mT6_T7_P12ihipStream_tbENKUlT_T0_E_clISt17integral_constantIbLb0EESZ_EEDaSU_SV_EUlSU_E_NS1_11comp_targetILNS1_3genE9ELNS1_11target_archE1100ELNS1_3gpuE3ELNS1_3repE0EEENS1_30default_config_static_selectorELNS0_4arch9wavefront6targetE1EEEvT1_: ; @_ZN7rocprim17ROCPRIM_400000_NS6detail17trampoline_kernelINS0_14default_configENS1_27scan_by_key_config_selectorIxxEEZZNS1_16scan_by_key_implILNS1_25lookback_scan_determinismE0ELb1ES3_N6thrust23THRUST_200600_302600_NS6detail15normal_iteratorINS9_10device_ptrIxEEEESE_SE_xNS9_4plusIvEENS9_8equal_toIxEExEE10hipError_tPvRmT2_T3_T4_T5_mT6_T7_P12ihipStream_tbENKUlT_T0_E_clISt17integral_constantIbLb0EESZ_EEDaSU_SV_EUlSU_E_NS1_11comp_targetILNS1_3genE9ELNS1_11target_archE1100ELNS1_3gpuE3ELNS1_3repE0EEENS1_30default_config_static_selectorELNS0_4arch9wavefront6targetE1EEEvT1_
; %bb.0:
	.section	.rodata,"a",@progbits
	.p2align	6, 0x0
	.amdhsa_kernel _ZN7rocprim17ROCPRIM_400000_NS6detail17trampoline_kernelINS0_14default_configENS1_27scan_by_key_config_selectorIxxEEZZNS1_16scan_by_key_implILNS1_25lookback_scan_determinismE0ELb1ES3_N6thrust23THRUST_200600_302600_NS6detail15normal_iteratorINS9_10device_ptrIxEEEESE_SE_xNS9_4plusIvEENS9_8equal_toIxEExEE10hipError_tPvRmT2_T3_T4_T5_mT6_T7_P12ihipStream_tbENKUlT_T0_E_clISt17integral_constantIbLb0EESZ_EEDaSU_SV_EUlSU_E_NS1_11comp_targetILNS1_3genE9ELNS1_11target_archE1100ELNS1_3gpuE3ELNS1_3repE0EEENS1_30default_config_static_selectorELNS0_4arch9wavefront6targetE1EEEvT1_
		.amdhsa_group_segment_fixed_size 0
		.amdhsa_private_segment_fixed_size 0
		.amdhsa_kernarg_size 136
		.amdhsa_user_sgpr_count 2
		.amdhsa_user_sgpr_dispatch_ptr 0
		.amdhsa_user_sgpr_queue_ptr 0
		.amdhsa_user_sgpr_kernarg_segment_ptr 1
		.amdhsa_user_sgpr_dispatch_id 0
		.amdhsa_user_sgpr_kernarg_preload_length 0
		.amdhsa_user_sgpr_kernarg_preload_offset 0
		.amdhsa_user_sgpr_private_segment_size 0
		.amdhsa_uses_dynamic_stack 0
		.amdhsa_enable_private_segment 0
		.amdhsa_system_sgpr_workgroup_id_x 1
		.amdhsa_system_sgpr_workgroup_id_y 0
		.amdhsa_system_sgpr_workgroup_id_z 0
		.amdhsa_system_sgpr_workgroup_info 0
		.amdhsa_system_vgpr_workitem_id 0
		.amdhsa_next_free_vgpr 1
		.amdhsa_next_free_sgpr 0
		.amdhsa_accum_offset 4
		.amdhsa_reserve_vcc 0
		.amdhsa_float_round_mode_32 0
		.amdhsa_float_round_mode_16_64 0
		.amdhsa_float_denorm_mode_32 3
		.amdhsa_float_denorm_mode_16_64 3
		.amdhsa_dx10_clamp 1
		.amdhsa_ieee_mode 1
		.amdhsa_fp16_overflow 0
		.amdhsa_tg_split 0
		.amdhsa_exception_fp_ieee_invalid_op 0
		.amdhsa_exception_fp_denorm_src 0
		.amdhsa_exception_fp_ieee_div_zero 0
		.amdhsa_exception_fp_ieee_overflow 0
		.amdhsa_exception_fp_ieee_underflow 0
		.amdhsa_exception_fp_ieee_inexact 0
		.amdhsa_exception_int_div_zero 0
	.end_amdhsa_kernel
	.section	.text._ZN7rocprim17ROCPRIM_400000_NS6detail17trampoline_kernelINS0_14default_configENS1_27scan_by_key_config_selectorIxxEEZZNS1_16scan_by_key_implILNS1_25lookback_scan_determinismE0ELb1ES3_N6thrust23THRUST_200600_302600_NS6detail15normal_iteratorINS9_10device_ptrIxEEEESE_SE_xNS9_4plusIvEENS9_8equal_toIxEExEE10hipError_tPvRmT2_T3_T4_T5_mT6_T7_P12ihipStream_tbENKUlT_T0_E_clISt17integral_constantIbLb0EESZ_EEDaSU_SV_EUlSU_E_NS1_11comp_targetILNS1_3genE9ELNS1_11target_archE1100ELNS1_3gpuE3ELNS1_3repE0EEENS1_30default_config_static_selectorELNS0_4arch9wavefront6targetE1EEEvT1_,"axG",@progbits,_ZN7rocprim17ROCPRIM_400000_NS6detail17trampoline_kernelINS0_14default_configENS1_27scan_by_key_config_selectorIxxEEZZNS1_16scan_by_key_implILNS1_25lookback_scan_determinismE0ELb1ES3_N6thrust23THRUST_200600_302600_NS6detail15normal_iteratorINS9_10device_ptrIxEEEESE_SE_xNS9_4plusIvEENS9_8equal_toIxEExEE10hipError_tPvRmT2_T3_T4_T5_mT6_T7_P12ihipStream_tbENKUlT_T0_E_clISt17integral_constantIbLb0EESZ_EEDaSU_SV_EUlSU_E_NS1_11comp_targetILNS1_3genE9ELNS1_11target_archE1100ELNS1_3gpuE3ELNS1_3repE0EEENS1_30default_config_static_selectorELNS0_4arch9wavefront6targetE1EEEvT1_,comdat
.Lfunc_end432:
	.size	_ZN7rocprim17ROCPRIM_400000_NS6detail17trampoline_kernelINS0_14default_configENS1_27scan_by_key_config_selectorIxxEEZZNS1_16scan_by_key_implILNS1_25lookback_scan_determinismE0ELb1ES3_N6thrust23THRUST_200600_302600_NS6detail15normal_iteratorINS9_10device_ptrIxEEEESE_SE_xNS9_4plusIvEENS9_8equal_toIxEExEE10hipError_tPvRmT2_T3_T4_T5_mT6_T7_P12ihipStream_tbENKUlT_T0_E_clISt17integral_constantIbLb0EESZ_EEDaSU_SV_EUlSU_E_NS1_11comp_targetILNS1_3genE9ELNS1_11target_archE1100ELNS1_3gpuE3ELNS1_3repE0EEENS1_30default_config_static_selectorELNS0_4arch9wavefront6targetE1EEEvT1_, .Lfunc_end432-_ZN7rocprim17ROCPRIM_400000_NS6detail17trampoline_kernelINS0_14default_configENS1_27scan_by_key_config_selectorIxxEEZZNS1_16scan_by_key_implILNS1_25lookback_scan_determinismE0ELb1ES3_N6thrust23THRUST_200600_302600_NS6detail15normal_iteratorINS9_10device_ptrIxEEEESE_SE_xNS9_4plusIvEENS9_8equal_toIxEExEE10hipError_tPvRmT2_T3_T4_T5_mT6_T7_P12ihipStream_tbENKUlT_T0_E_clISt17integral_constantIbLb0EESZ_EEDaSU_SV_EUlSU_E_NS1_11comp_targetILNS1_3genE9ELNS1_11target_archE1100ELNS1_3gpuE3ELNS1_3repE0EEENS1_30default_config_static_selectorELNS0_4arch9wavefront6targetE1EEEvT1_
                                        ; -- End function
	.section	.AMDGPU.csdata,"",@progbits
; Kernel info:
; codeLenInByte = 0
; NumSgprs: 6
; NumVgprs: 0
; NumAgprs: 0
; TotalNumVgprs: 0
; ScratchSize: 0
; MemoryBound: 0
; FloatMode: 240
; IeeeMode: 1
; LDSByteSize: 0 bytes/workgroup (compile time only)
; SGPRBlocks: 0
; VGPRBlocks: 0
; NumSGPRsForWavesPerEU: 6
; NumVGPRsForWavesPerEU: 1
; AccumOffset: 4
; Occupancy: 8
; WaveLimiterHint : 0
; COMPUTE_PGM_RSRC2:SCRATCH_EN: 0
; COMPUTE_PGM_RSRC2:USER_SGPR: 2
; COMPUTE_PGM_RSRC2:TRAP_HANDLER: 0
; COMPUTE_PGM_RSRC2:TGID_X_EN: 1
; COMPUTE_PGM_RSRC2:TGID_Y_EN: 0
; COMPUTE_PGM_RSRC2:TGID_Z_EN: 0
; COMPUTE_PGM_RSRC2:TIDIG_COMP_CNT: 0
; COMPUTE_PGM_RSRC3_GFX90A:ACCUM_OFFSET: 0
; COMPUTE_PGM_RSRC3_GFX90A:TG_SPLIT: 0
	.section	.text._ZN7rocprim17ROCPRIM_400000_NS6detail17trampoline_kernelINS0_14default_configENS1_27scan_by_key_config_selectorIxxEEZZNS1_16scan_by_key_implILNS1_25lookback_scan_determinismE0ELb1ES3_N6thrust23THRUST_200600_302600_NS6detail15normal_iteratorINS9_10device_ptrIxEEEESE_SE_xNS9_4plusIvEENS9_8equal_toIxEExEE10hipError_tPvRmT2_T3_T4_T5_mT6_T7_P12ihipStream_tbENKUlT_T0_E_clISt17integral_constantIbLb0EESZ_EEDaSU_SV_EUlSU_E_NS1_11comp_targetILNS1_3genE8ELNS1_11target_archE1030ELNS1_3gpuE2ELNS1_3repE0EEENS1_30default_config_static_selectorELNS0_4arch9wavefront6targetE1EEEvT1_,"axG",@progbits,_ZN7rocprim17ROCPRIM_400000_NS6detail17trampoline_kernelINS0_14default_configENS1_27scan_by_key_config_selectorIxxEEZZNS1_16scan_by_key_implILNS1_25lookback_scan_determinismE0ELb1ES3_N6thrust23THRUST_200600_302600_NS6detail15normal_iteratorINS9_10device_ptrIxEEEESE_SE_xNS9_4plusIvEENS9_8equal_toIxEExEE10hipError_tPvRmT2_T3_T4_T5_mT6_T7_P12ihipStream_tbENKUlT_T0_E_clISt17integral_constantIbLb0EESZ_EEDaSU_SV_EUlSU_E_NS1_11comp_targetILNS1_3genE8ELNS1_11target_archE1030ELNS1_3gpuE2ELNS1_3repE0EEENS1_30default_config_static_selectorELNS0_4arch9wavefront6targetE1EEEvT1_,comdat
	.protected	_ZN7rocprim17ROCPRIM_400000_NS6detail17trampoline_kernelINS0_14default_configENS1_27scan_by_key_config_selectorIxxEEZZNS1_16scan_by_key_implILNS1_25lookback_scan_determinismE0ELb1ES3_N6thrust23THRUST_200600_302600_NS6detail15normal_iteratorINS9_10device_ptrIxEEEESE_SE_xNS9_4plusIvEENS9_8equal_toIxEExEE10hipError_tPvRmT2_T3_T4_T5_mT6_T7_P12ihipStream_tbENKUlT_T0_E_clISt17integral_constantIbLb0EESZ_EEDaSU_SV_EUlSU_E_NS1_11comp_targetILNS1_3genE8ELNS1_11target_archE1030ELNS1_3gpuE2ELNS1_3repE0EEENS1_30default_config_static_selectorELNS0_4arch9wavefront6targetE1EEEvT1_ ; -- Begin function _ZN7rocprim17ROCPRIM_400000_NS6detail17trampoline_kernelINS0_14default_configENS1_27scan_by_key_config_selectorIxxEEZZNS1_16scan_by_key_implILNS1_25lookback_scan_determinismE0ELb1ES3_N6thrust23THRUST_200600_302600_NS6detail15normal_iteratorINS9_10device_ptrIxEEEESE_SE_xNS9_4plusIvEENS9_8equal_toIxEExEE10hipError_tPvRmT2_T3_T4_T5_mT6_T7_P12ihipStream_tbENKUlT_T0_E_clISt17integral_constantIbLb0EESZ_EEDaSU_SV_EUlSU_E_NS1_11comp_targetILNS1_3genE8ELNS1_11target_archE1030ELNS1_3gpuE2ELNS1_3repE0EEENS1_30default_config_static_selectorELNS0_4arch9wavefront6targetE1EEEvT1_
	.globl	_ZN7rocprim17ROCPRIM_400000_NS6detail17trampoline_kernelINS0_14default_configENS1_27scan_by_key_config_selectorIxxEEZZNS1_16scan_by_key_implILNS1_25lookback_scan_determinismE0ELb1ES3_N6thrust23THRUST_200600_302600_NS6detail15normal_iteratorINS9_10device_ptrIxEEEESE_SE_xNS9_4plusIvEENS9_8equal_toIxEExEE10hipError_tPvRmT2_T3_T4_T5_mT6_T7_P12ihipStream_tbENKUlT_T0_E_clISt17integral_constantIbLb0EESZ_EEDaSU_SV_EUlSU_E_NS1_11comp_targetILNS1_3genE8ELNS1_11target_archE1030ELNS1_3gpuE2ELNS1_3repE0EEENS1_30default_config_static_selectorELNS0_4arch9wavefront6targetE1EEEvT1_
	.p2align	8
	.type	_ZN7rocprim17ROCPRIM_400000_NS6detail17trampoline_kernelINS0_14default_configENS1_27scan_by_key_config_selectorIxxEEZZNS1_16scan_by_key_implILNS1_25lookback_scan_determinismE0ELb1ES3_N6thrust23THRUST_200600_302600_NS6detail15normal_iteratorINS9_10device_ptrIxEEEESE_SE_xNS9_4plusIvEENS9_8equal_toIxEExEE10hipError_tPvRmT2_T3_T4_T5_mT6_T7_P12ihipStream_tbENKUlT_T0_E_clISt17integral_constantIbLb0EESZ_EEDaSU_SV_EUlSU_E_NS1_11comp_targetILNS1_3genE8ELNS1_11target_archE1030ELNS1_3gpuE2ELNS1_3repE0EEENS1_30default_config_static_selectorELNS0_4arch9wavefront6targetE1EEEvT1_,@function
_ZN7rocprim17ROCPRIM_400000_NS6detail17trampoline_kernelINS0_14default_configENS1_27scan_by_key_config_selectorIxxEEZZNS1_16scan_by_key_implILNS1_25lookback_scan_determinismE0ELb1ES3_N6thrust23THRUST_200600_302600_NS6detail15normal_iteratorINS9_10device_ptrIxEEEESE_SE_xNS9_4plusIvEENS9_8equal_toIxEExEE10hipError_tPvRmT2_T3_T4_T5_mT6_T7_P12ihipStream_tbENKUlT_T0_E_clISt17integral_constantIbLb0EESZ_EEDaSU_SV_EUlSU_E_NS1_11comp_targetILNS1_3genE8ELNS1_11target_archE1030ELNS1_3gpuE2ELNS1_3repE0EEENS1_30default_config_static_selectorELNS0_4arch9wavefront6targetE1EEEvT1_: ; @_ZN7rocprim17ROCPRIM_400000_NS6detail17trampoline_kernelINS0_14default_configENS1_27scan_by_key_config_selectorIxxEEZZNS1_16scan_by_key_implILNS1_25lookback_scan_determinismE0ELb1ES3_N6thrust23THRUST_200600_302600_NS6detail15normal_iteratorINS9_10device_ptrIxEEEESE_SE_xNS9_4plusIvEENS9_8equal_toIxEExEE10hipError_tPvRmT2_T3_T4_T5_mT6_T7_P12ihipStream_tbENKUlT_T0_E_clISt17integral_constantIbLb0EESZ_EEDaSU_SV_EUlSU_E_NS1_11comp_targetILNS1_3genE8ELNS1_11target_archE1030ELNS1_3gpuE2ELNS1_3repE0EEENS1_30default_config_static_selectorELNS0_4arch9wavefront6targetE1EEEvT1_
; %bb.0:
	.section	.rodata,"a",@progbits
	.p2align	6, 0x0
	.amdhsa_kernel _ZN7rocprim17ROCPRIM_400000_NS6detail17trampoline_kernelINS0_14default_configENS1_27scan_by_key_config_selectorIxxEEZZNS1_16scan_by_key_implILNS1_25lookback_scan_determinismE0ELb1ES3_N6thrust23THRUST_200600_302600_NS6detail15normal_iteratorINS9_10device_ptrIxEEEESE_SE_xNS9_4plusIvEENS9_8equal_toIxEExEE10hipError_tPvRmT2_T3_T4_T5_mT6_T7_P12ihipStream_tbENKUlT_T0_E_clISt17integral_constantIbLb0EESZ_EEDaSU_SV_EUlSU_E_NS1_11comp_targetILNS1_3genE8ELNS1_11target_archE1030ELNS1_3gpuE2ELNS1_3repE0EEENS1_30default_config_static_selectorELNS0_4arch9wavefront6targetE1EEEvT1_
		.amdhsa_group_segment_fixed_size 0
		.amdhsa_private_segment_fixed_size 0
		.amdhsa_kernarg_size 136
		.amdhsa_user_sgpr_count 2
		.amdhsa_user_sgpr_dispatch_ptr 0
		.amdhsa_user_sgpr_queue_ptr 0
		.amdhsa_user_sgpr_kernarg_segment_ptr 1
		.amdhsa_user_sgpr_dispatch_id 0
		.amdhsa_user_sgpr_kernarg_preload_length 0
		.amdhsa_user_sgpr_kernarg_preload_offset 0
		.amdhsa_user_sgpr_private_segment_size 0
		.amdhsa_uses_dynamic_stack 0
		.amdhsa_enable_private_segment 0
		.amdhsa_system_sgpr_workgroup_id_x 1
		.amdhsa_system_sgpr_workgroup_id_y 0
		.amdhsa_system_sgpr_workgroup_id_z 0
		.amdhsa_system_sgpr_workgroup_info 0
		.amdhsa_system_vgpr_workitem_id 0
		.amdhsa_next_free_vgpr 1
		.amdhsa_next_free_sgpr 0
		.amdhsa_accum_offset 4
		.amdhsa_reserve_vcc 0
		.amdhsa_float_round_mode_32 0
		.amdhsa_float_round_mode_16_64 0
		.amdhsa_float_denorm_mode_32 3
		.amdhsa_float_denorm_mode_16_64 3
		.amdhsa_dx10_clamp 1
		.amdhsa_ieee_mode 1
		.amdhsa_fp16_overflow 0
		.amdhsa_tg_split 0
		.amdhsa_exception_fp_ieee_invalid_op 0
		.amdhsa_exception_fp_denorm_src 0
		.amdhsa_exception_fp_ieee_div_zero 0
		.amdhsa_exception_fp_ieee_overflow 0
		.amdhsa_exception_fp_ieee_underflow 0
		.amdhsa_exception_fp_ieee_inexact 0
		.amdhsa_exception_int_div_zero 0
	.end_amdhsa_kernel
	.section	.text._ZN7rocprim17ROCPRIM_400000_NS6detail17trampoline_kernelINS0_14default_configENS1_27scan_by_key_config_selectorIxxEEZZNS1_16scan_by_key_implILNS1_25lookback_scan_determinismE0ELb1ES3_N6thrust23THRUST_200600_302600_NS6detail15normal_iteratorINS9_10device_ptrIxEEEESE_SE_xNS9_4plusIvEENS9_8equal_toIxEExEE10hipError_tPvRmT2_T3_T4_T5_mT6_T7_P12ihipStream_tbENKUlT_T0_E_clISt17integral_constantIbLb0EESZ_EEDaSU_SV_EUlSU_E_NS1_11comp_targetILNS1_3genE8ELNS1_11target_archE1030ELNS1_3gpuE2ELNS1_3repE0EEENS1_30default_config_static_selectorELNS0_4arch9wavefront6targetE1EEEvT1_,"axG",@progbits,_ZN7rocprim17ROCPRIM_400000_NS6detail17trampoline_kernelINS0_14default_configENS1_27scan_by_key_config_selectorIxxEEZZNS1_16scan_by_key_implILNS1_25lookback_scan_determinismE0ELb1ES3_N6thrust23THRUST_200600_302600_NS6detail15normal_iteratorINS9_10device_ptrIxEEEESE_SE_xNS9_4plusIvEENS9_8equal_toIxEExEE10hipError_tPvRmT2_T3_T4_T5_mT6_T7_P12ihipStream_tbENKUlT_T0_E_clISt17integral_constantIbLb0EESZ_EEDaSU_SV_EUlSU_E_NS1_11comp_targetILNS1_3genE8ELNS1_11target_archE1030ELNS1_3gpuE2ELNS1_3repE0EEENS1_30default_config_static_selectorELNS0_4arch9wavefront6targetE1EEEvT1_,comdat
.Lfunc_end433:
	.size	_ZN7rocprim17ROCPRIM_400000_NS6detail17trampoline_kernelINS0_14default_configENS1_27scan_by_key_config_selectorIxxEEZZNS1_16scan_by_key_implILNS1_25lookback_scan_determinismE0ELb1ES3_N6thrust23THRUST_200600_302600_NS6detail15normal_iteratorINS9_10device_ptrIxEEEESE_SE_xNS9_4plusIvEENS9_8equal_toIxEExEE10hipError_tPvRmT2_T3_T4_T5_mT6_T7_P12ihipStream_tbENKUlT_T0_E_clISt17integral_constantIbLb0EESZ_EEDaSU_SV_EUlSU_E_NS1_11comp_targetILNS1_3genE8ELNS1_11target_archE1030ELNS1_3gpuE2ELNS1_3repE0EEENS1_30default_config_static_selectorELNS0_4arch9wavefront6targetE1EEEvT1_, .Lfunc_end433-_ZN7rocprim17ROCPRIM_400000_NS6detail17trampoline_kernelINS0_14default_configENS1_27scan_by_key_config_selectorIxxEEZZNS1_16scan_by_key_implILNS1_25lookback_scan_determinismE0ELb1ES3_N6thrust23THRUST_200600_302600_NS6detail15normal_iteratorINS9_10device_ptrIxEEEESE_SE_xNS9_4plusIvEENS9_8equal_toIxEExEE10hipError_tPvRmT2_T3_T4_T5_mT6_T7_P12ihipStream_tbENKUlT_T0_E_clISt17integral_constantIbLb0EESZ_EEDaSU_SV_EUlSU_E_NS1_11comp_targetILNS1_3genE8ELNS1_11target_archE1030ELNS1_3gpuE2ELNS1_3repE0EEENS1_30default_config_static_selectorELNS0_4arch9wavefront6targetE1EEEvT1_
                                        ; -- End function
	.section	.AMDGPU.csdata,"",@progbits
; Kernel info:
; codeLenInByte = 0
; NumSgprs: 6
; NumVgprs: 0
; NumAgprs: 0
; TotalNumVgprs: 0
; ScratchSize: 0
; MemoryBound: 0
; FloatMode: 240
; IeeeMode: 1
; LDSByteSize: 0 bytes/workgroup (compile time only)
; SGPRBlocks: 0
; VGPRBlocks: 0
; NumSGPRsForWavesPerEU: 6
; NumVGPRsForWavesPerEU: 1
; AccumOffset: 4
; Occupancy: 8
; WaveLimiterHint : 0
; COMPUTE_PGM_RSRC2:SCRATCH_EN: 0
; COMPUTE_PGM_RSRC2:USER_SGPR: 2
; COMPUTE_PGM_RSRC2:TRAP_HANDLER: 0
; COMPUTE_PGM_RSRC2:TGID_X_EN: 1
; COMPUTE_PGM_RSRC2:TGID_Y_EN: 0
; COMPUTE_PGM_RSRC2:TGID_Z_EN: 0
; COMPUTE_PGM_RSRC2:TIDIG_COMP_CNT: 0
; COMPUTE_PGM_RSRC3_GFX90A:ACCUM_OFFSET: 0
; COMPUTE_PGM_RSRC3_GFX90A:TG_SPLIT: 0
	.section	.text._ZN7rocprim17ROCPRIM_400000_NS6detail17trampoline_kernelINS0_14default_configENS1_27scan_by_key_config_selectorIxxEEZZNS1_16scan_by_key_implILNS1_25lookback_scan_determinismE0ELb1ES3_N6thrust23THRUST_200600_302600_NS6detail15normal_iteratorINS9_10device_ptrIxEEEESE_SE_xNS9_4plusIvEENS9_8equal_toIxEExEE10hipError_tPvRmT2_T3_T4_T5_mT6_T7_P12ihipStream_tbENKUlT_T0_E_clISt17integral_constantIbLb1EESZ_EEDaSU_SV_EUlSU_E_NS1_11comp_targetILNS1_3genE0ELNS1_11target_archE4294967295ELNS1_3gpuE0ELNS1_3repE0EEENS1_30default_config_static_selectorELNS0_4arch9wavefront6targetE1EEEvT1_,"axG",@progbits,_ZN7rocprim17ROCPRIM_400000_NS6detail17trampoline_kernelINS0_14default_configENS1_27scan_by_key_config_selectorIxxEEZZNS1_16scan_by_key_implILNS1_25lookback_scan_determinismE0ELb1ES3_N6thrust23THRUST_200600_302600_NS6detail15normal_iteratorINS9_10device_ptrIxEEEESE_SE_xNS9_4plusIvEENS9_8equal_toIxEExEE10hipError_tPvRmT2_T3_T4_T5_mT6_T7_P12ihipStream_tbENKUlT_T0_E_clISt17integral_constantIbLb1EESZ_EEDaSU_SV_EUlSU_E_NS1_11comp_targetILNS1_3genE0ELNS1_11target_archE4294967295ELNS1_3gpuE0ELNS1_3repE0EEENS1_30default_config_static_selectorELNS0_4arch9wavefront6targetE1EEEvT1_,comdat
	.protected	_ZN7rocprim17ROCPRIM_400000_NS6detail17trampoline_kernelINS0_14default_configENS1_27scan_by_key_config_selectorIxxEEZZNS1_16scan_by_key_implILNS1_25lookback_scan_determinismE0ELb1ES3_N6thrust23THRUST_200600_302600_NS6detail15normal_iteratorINS9_10device_ptrIxEEEESE_SE_xNS9_4plusIvEENS9_8equal_toIxEExEE10hipError_tPvRmT2_T3_T4_T5_mT6_T7_P12ihipStream_tbENKUlT_T0_E_clISt17integral_constantIbLb1EESZ_EEDaSU_SV_EUlSU_E_NS1_11comp_targetILNS1_3genE0ELNS1_11target_archE4294967295ELNS1_3gpuE0ELNS1_3repE0EEENS1_30default_config_static_selectorELNS0_4arch9wavefront6targetE1EEEvT1_ ; -- Begin function _ZN7rocprim17ROCPRIM_400000_NS6detail17trampoline_kernelINS0_14default_configENS1_27scan_by_key_config_selectorIxxEEZZNS1_16scan_by_key_implILNS1_25lookback_scan_determinismE0ELb1ES3_N6thrust23THRUST_200600_302600_NS6detail15normal_iteratorINS9_10device_ptrIxEEEESE_SE_xNS9_4plusIvEENS9_8equal_toIxEExEE10hipError_tPvRmT2_T3_T4_T5_mT6_T7_P12ihipStream_tbENKUlT_T0_E_clISt17integral_constantIbLb1EESZ_EEDaSU_SV_EUlSU_E_NS1_11comp_targetILNS1_3genE0ELNS1_11target_archE4294967295ELNS1_3gpuE0ELNS1_3repE0EEENS1_30default_config_static_selectorELNS0_4arch9wavefront6targetE1EEEvT1_
	.globl	_ZN7rocprim17ROCPRIM_400000_NS6detail17trampoline_kernelINS0_14default_configENS1_27scan_by_key_config_selectorIxxEEZZNS1_16scan_by_key_implILNS1_25lookback_scan_determinismE0ELb1ES3_N6thrust23THRUST_200600_302600_NS6detail15normal_iteratorINS9_10device_ptrIxEEEESE_SE_xNS9_4plusIvEENS9_8equal_toIxEExEE10hipError_tPvRmT2_T3_T4_T5_mT6_T7_P12ihipStream_tbENKUlT_T0_E_clISt17integral_constantIbLb1EESZ_EEDaSU_SV_EUlSU_E_NS1_11comp_targetILNS1_3genE0ELNS1_11target_archE4294967295ELNS1_3gpuE0ELNS1_3repE0EEENS1_30default_config_static_selectorELNS0_4arch9wavefront6targetE1EEEvT1_
	.p2align	8
	.type	_ZN7rocprim17ROCPRIM_400000_NS6detail17trampoline_kernelINS0_14default_configENS1_27scan_by_key_config_selectorIxxEEZZNS1_16scan_by_key_implILNS1_25lookback_scan_determinismE0ELb1ES3_N6thrust23THRUST_200600_302600_NS6detail15normal_iteratorINS9_10device_ptrIxEEEESE_SE_xNS9_4plusIvEENS9_8equal_toIxEExEE10hipError_tPvRmT2_T3_T4_T5_mT6_T7_P12ihipStream_tbENKUlT_T0_E_clISt17integral_constantIbLb1EESZ_EEDaSU_SV_EUlSU_E_NS1_11comp_targetILNS1_3genE0ELNS1_11target_archE4294967295ELNS1_3gpuE0ELNS1_3repE0EEENS1_30default_config_static_selectorELNS0_4arch9wavefront6targetE1EEEvT1_,@function
_ZN7rocprim17ROCPRIM_400000_NS6detail17trampoline_kernelINS0_14default_configENS1_27scan_by_key_config_selectorIxxEEZZNS1_16scan_by_key_implILNS1_25lookback_scan_determinismE0ELb1ES3_N6thrust23THRUST_200600_302600_NS6detail15normal_iteratorINS9_10device_ptrIxEEEESE_SE_xNS9_4plusIvEENS9_8equal_toIxEExEE10hipError_tPvRmT2_T3_T4_T5_mT6_T7_P12ihipStream_tbENKUlT_T0_E_clISt17integral_constantIbLb1EESZ_EEDaSU_SV_EUlSU_E_NS1_11comp_targetILNS1_3genE0ELNS1_11target_archE4294967295ELNS1_3gpuE0ELNS1_3repE0EEENS1_30default_config_static_selectorELNS0_4arch9wavefront6targetE1EEEvT1_: ; @_ZN7rocprim17ROCPRIM_400000_NS6detail17trampoline_kernelINS0_14default_configENS1_27scan_by_key_config_selectorIxxEEZZNS1_16scan_by_key_implILNS1_25lookback_scan_determinismE0ELb1ES3_N6thrust23THRUST_200600_302600_NS6detail15normal_iteratorINS9_10device_ptrIxEEEESE_SE_xNS9_4plusIvEENS9_8equal_toIxEExEE10hipError_tPvRmT2_T3_T4_T5_mT6_T7_P12ihipStream_tbENKUlT_T0_E_clISt17integral_constantIbLb1EESZ_EEDaSU_SV_EUlSU_E_NS1_11comp_targetILNS1_3genE0ELNS1_11target_archE4294967295ELNS1_3gpuE0ELNS1_3repE0EEENS1_30default_config_static_selectorELNS0_4arch9wavefront6targetE1EEEvT1_
; %bb.0:
	.section	.rodata,"a",@progbits
	.p2align	6, 0x0
	.amdhsa_kernel _ZN7rocprim17ROCPRIM_400000_NS6detail17trampoline_kernelINS0_14default_configENS1_27scan_by_key_config_selectorIxxEEZZNS1_16scan_by_key_implILNS1_25lookback_scan_determinismE0ELb1ES3_N6thrust23THRUST_200600_302600_NS6detail15normal_iteratorINS9_10device_ptrIxEEEESE_SE_xNS9_4plusIvEENS9_8equal_toIxEExEE10hipError_tPvRmT2_T3_T4_T5_mT6_T7_P12ihipStream_tbENKUlT_T0_E_clISt17integral_constantIbLb1EESZ_EEDaSU_SV_EUlSU_E_NS1_11comp_targetILNS1_3genE0ELNS1_11target_archE4294967295ELNS1_3gpuE0ELNS1_3repE0EEENS1_30default_config_static_selectorELNS0_4arch9wavefront6targetE1EEEvT1_
		.amdhsa_group_segment_fixed_size 0
		.amdhsa_private_segment_fixed_size 0
		.amdhsa_kernarg_size 136
		.amdhsa_user_sgpr_count 2
		.amdhsa_user_sgpr_dispatch_ptr 0
		.amdhsa_user_sgpr_queue_ptr 0
		.amdhsa_user_sgpr_kernarg_segment_ptr 1
		.amdhsa_user_sgpr_dispatch_id 0
		.amdhsa_user_sgpr_kernarg_preload_length 0
		.amdhsa_user_sgpr_kernarg_preload_offset 0
		.amdhsa_user_sgpr_private_segment_size 0
		.amdhsa_uses_dynamic_stack 0
		.amdhsa_enable_private_segment 0
		.amdhsa_system_sgpr_workgroup_id_x 1
		.amdhsa_system_sgpr_workgroup_id_y 0
		.amdhsa_system_sgpr_workgroup_id_z 0
		.amdhsa_system_sgpr_workgroup_info 0
		.amdhsa_system_vgpr_workitem_id 0
		.amdhsa_next_free_vgpr 1
		.amdhsa_next_free_sgpr 0
		.amdhsa_accum_offset 4
		.amdhsa_reserve_vcc 0
		.amdhsa_float_round_mode_32 0
		.amdhsa_float_round_mode_16_64 0
		.amdhsa_float_denorm_mode_32 3
		.amdhsa_float_denorm_mode_16_64 3
		.amdhsa_dx10_clamp 1
		.amdhsa_ieee_mode 1
		.amdhsa_fp16_overflow 0
		.amdhsa_tg_split 0
		.amdhsa_exception_fp_ieee_invalid_op 0
		.amdhsa_exception_fp_denorm_src 0
		.amdhsa_exception_fp_ieee_div_zero 0
		.amdhsa_exception_fp_ieee_overflow 0
		.amdhsa_exception_fp_ieee_underflow 0
		.amdhsa_exception_fp_ieee_inexact 0
		.amdhsa_exception_int_div_zero 0
	.end_amdhsa_kernel
	.section	.text._ZN7rocprim17ROCPRIM_400000_NS6detail17trampoline_kernelINS0_14default_configENS1_27scan_by_key_config_selectorIxxEEZZNS1_16scan_by_key_implILNS1_25lookback_scan_determinismE0ELb1ES3_N6thrust23THRUST_200600_302600_NS6detail15normal_iteratorINS9_10device_ptrIxEEEESE_SE_xNS9_4plusIvEENS9_8equal_toIxEExEE10hipError_tPvRmT2_T3_T4_T5_mT6_T7_P12ihipStream_tbENKUlT_T0_E_clISt17integral_constantIbLb1EESZ_EEDaSU_SV_EUlSU_E_NS1_11comp_targetILNS1_3genE0ELNS1_11target_archE4294967295ELNS1_3gpuE0ELNS1_3repE0EEENS1_30default_config_static_selectorELNS0_4arch9wavefront6targetE1EEEvT1_,"axG",@progbits,_ZN7rocprim17ROCPRIM_400000_NS6detail17trampoline_kernelINS0_14default_configENS1_27scan_by_key_config_selectorIxxEEZZNS1_16scan_by_key_implILNS1_25lookback_scan_determinismE0ELb1ES3_N6thrust23THRUST_200600_302600_NS6detail15normal_iteratorINS9_10device_ptrIxEEEESE_SE_xNS9_4plusIvEENS9_8equal_toIxEExEE10hipError_tPvRmT2_T3_T4_T5_mT6_T7_P12ihipStream_tbENKUlT_T0_E_clISt17integral_constantIbLb1EESZ_EEDaSU_SV_EUlSU_E_NS1_11comp_targetILNS1_3genE0ELNS1_11target_archE4294967295ELNS1_3gpuE0ELNS1_3repE0EEENS1_30default_config_static_selectorELNS0_4arch9wavefront6targetE1EEEvT1_,comdat
.Lfunc_end434:
	.size	_ZN7rocprim17ROCPRIM_400000_NS6detail17trampoline_kernelINS0_14default_configENS1_27scan_by_key_config_selectorIxxEEZZNS1_16scan_by_key_implILNS1_25lookback_scan_determinismE0ELb1ES3_N6thrust23THRUST_200600_302600_NS6detail15normal_iteratorINS9_10device_ptrIxEEEESE_SE_xNS9_4plusIvEENS9_8equal_toIxEExEE10hipError_tPvRmT2_T3_T4_T5_mT6_T7_P12ihipStream_tbENKUlT_T0_E_clISt17integral_constantIbLb1EESZ_EEDaSU_SV_EUlSU_E_NS1_11comp_targetILNS1_3genE0ELNS1_11target_archE4294967295ELNS1_3gpuE0ELNS1_3repE0EEENS1_30default_config_static_selectorELNS0_4arch9wavefront6targetE1EEEvT1_, .Lfunc_end434-_ZN7rocprim17ROCPRIM_400000_NS6detail17trampoline_kernelINS0_14default_configENS1_27scan_by_key_config_selectorIxxEEZZNS1_16scan_by_key_implILNS1_25lookback_scan_determinismE0ELb1ES3_N6thrust23THRUST_200600_302600_NS6detail15normal_iteratorINS9_10device_ptrIxEEEESE_SE_xNS9_4plusIvEENS9_8equal_toIxEExEE10hipError_tPvRmT2_T3_T4_T5_mT6_T7_P12ihipStream_tbENKUlT_T0_E_clISt17integral_constantIbLb1EESZ_EEDaSU_SV_EUlSU_E_NS1_11comp_targetILNS1_3genE0ELNS1_11target_archE4294967295ELNS1_3gpuE0ELNS1_3repE0EEENS1_30default_config_static_selectorELNS0_4arch9wavefront6targetE1EEEvT1_
                                        ; -- End function
	.section	.AMDGPU.csdata,"",@progbits
; Kernel info:
; codeLenInByte = 0
; NumSgprs: 6
; NumVgprs: 0
; NumAgprs: 0
; TotalNumVgprs: 0
; ScratchSize: 0
; MemoryBound: 0
; FloatMode: 240
; IeeeMode: 1
; LDSByteSize: 0 bytes/workgroup (compile time only)
; SGPRBlocks: 0
; VGPRBlocks: 0
; NumSGPRsForWavesPerEU: 6
; NumVGPRsForWavesPerEU: 1
; AccumOffset: 4
; Occupancy: 8
; WaveLimiterHint : 0
; COMPUTE_PGM_RSRC2:SCRATCH_EN: 0
; COMPUTE_PGM_RSRC2:USER_SGPR: 2
; COMPUTE_PGM_RSRC2:TRAP_HANDLER: 0
; COMPUTE_PGM_RSRC2:TGID_X_EN: 1
; COMPUTE_PGM_RSRC2:TGID_Y_EN: 0
; COMPUTE_PGM_RSRC2:TGID_Z_EN: 0
; COMPUTE_PGM_RSRC2:TIDIG_COMP_CNT: 0
; COMPUTE_PGM_RSRC3_GFX90A:ACCUM_OFFSET: 0
; COMPUTE_PGM_RSRC3_GFX90A:TG_SPLIT: 0
	.section	.text._ZN7rocprim17ROCPRIM_400000_NS6detail17trampoline_kernelINS0_14default_configENS1_27scan_by_key_config_selectorIxxEEZZNS1_16scan_by_key_implILNS1_25lookback_scan_determinismE0ELb1ES3_N6thrust23THRUST_200600_302600_NS6detail15normal_iteratorINS9_10device_ptrIxEEEESE_SE_xNS9_4plusIvEENS9_8equal_toIxEExEE10hipError_tPvRmT2_T3_T4_T5_mT6_T7_P12ihipStream_tbENKUlT_T0_E_clISt17integral_constantIbLb1EESZ_EEDaSU_SV_EUlSU_E_NS1_11comp_targetILNS1_3genE10ELNS1_11target_archE1201ELNS1_3gpuE5ELNS1_3repE0EEENS1_30default_config_static_selectorELNS0_4arch9wavefront6targetE1EEEvT1_,"axG",@progbits,_ZN7rocprim17ROCPRIM_400000_NS6detail17trampoline_kernelINS0_14default_configENS1_27scan_by_key_config_selectorIxxEEZZNS1_16scan_by_key_implILNS1_25lookback_scan_determinismE0ELb1ES3_N6thrust23THRUST_200600_302600_NS6detail15normal_iteratorINS9_10device_ptrIxEEEESE_SE_xNS9_4plusIvEENS9_8equal_toIxEExEE10hipError_tPvRmT2_T3_T4_T5_mT6_T7_P12ihipStream_tbENKUlT_T0_E_clISt17integral_constantIbLb1EESZ_EEDaSU_SV_EUlSU_E_NS1_11comp_targetILNS1_3genE10ELNS1_11target_archE1201ELNS1_3gpuE5ELNS1_3repE0EEENS1_30default_config_static_selectorELNS0_4arch9wavefront6targetE1EEEvT1_,comdat
	.protected	_ZN7rocprim17ROCPRIM_400000_NS6detail17trampoline_kernelINS0_14default_configENS1_27scan_by_key_config_selectorIxxEEZZNS1_16scan_by_key_implILNS1_25lookback_scan_determinismE0ELb1ES3_N6thrust23THRUST_200600_302600_NS6detail15normal_iteratorINS9_10device_ptrIxEEEESE_SE_xNS9_4plusIvEENS9_8equal_toIxEExEE10hipError_tPvRmT2_T3_T4_T5_mT6_T7_P12ihipStream_tbENKUlT_T0_E_clISt17integral_constantIbLb1EESZ_EEDaSU_SV_EUlSU_E_NS1_11comp_targetILNS1_3genE10ELNS1_11target_archE1201ELNS1_3gpuE5ELNS1_3repE0EEENS1_30default_config_static_selectorELNS0_4arch9wavefront6targetE1EEEvT1_ ; -- Begin function _ZN7rocprim17ROCPRIM_400000_NS6detail17trampoline_kernelINS0_14default_configENS1_27scan_by_key_config_selectorIxxEEZZNS1_16scan_by_key_implILNS1_25lookback_scan_determinismE0ELb1ES3_N6thrust23THRUST_200600_302600_NS6detail15normal_iteratorINS9_10device_ptrIxEEEESE_SE_xNS9_4plusIvEENS9_8equal_toIxEExEE10hipError_tPvRmT2_T3_T4_T5_mT6_T7_P12ihipStream_tbENKUlT_T0_E_clISt17integral_constantIbLb1EESZ_EEDaSU_SV_EUlSU_E_NS1_11comp_targetILNS1_3genE10ELNS1_11target_archE1201ELNS1_3gpuE5ELNS1_3repE0EEENS1_30default_config_static_selectorELNS0_4arch9wavefront6targetE1EEEvT1_
	.globl	_ZN7rocprim17ROCPRIM_400000_NS6detail17trampoline_kernelINS0_14default_configENS1_27scan_by_key_config_selectorIxxEEZZNS1_16scan_by_key_implILNS1_25lookback_scan_determinismE0ELb1ES3_N6thrust23THRUST_200600_302600_NS6detail15normal_iteratorINS9_10device_ptrIxEEEESE_SE_xNS9_4plusIvEENS9_8equal_toIxEExEE10hipError_tPvRmT2_T3_T4_T5_mT6_T7_P12ihipStream_tbENKUlT_T0_E_clISt17integral_constantIbLb1EESZ_EEDaSU_SV_EUlSU_E_NS1_11comp_targetILNS1_3genE10ELNS1_11target_archE1201ELNS1_3gpuE5ELNS1_3repE0EEENS1_30default_config_static_selectorELNS0_4arch9wavefront6targetE1EEEvT1_
	.p2align	8
	.type	_ZN7rocprim17ROCPRIM_400000_NS6detail17trampoline_kernelINS0_14default_configENS1_27scan_by_key_config_selectorIxxEEZZNS1_16scan_by_key_implILNS1_25lookback_scan_determinismE0ELb1ES3_N6thrust23THRUST_200600_302600_NS6detail15normal_iteratorINS9_10device_ptrIxEEEESE_SE_xNS9_4plusIvEENS9_8equal_toIxEExEE10hipError_tPvRmT2_T3_T4_T5_mT6_T7_P12ihipStream_tbENKUlT_T0_E_clISt17integral_constantIbLb1EESZ_EEDaSU_SV_EUlSU_E_NS1_11comp_targetILNS1_3genE10ELNS1_11target_archE1201ELNS1_3gpuE5ELNS1_3repE0EEENS1_30default_config_static_selectorELNS0_4arch9wavefront6targetE1EEEvT1_,@function
_ZN7rocprim17ROCPRIM_400000_NS6detail17trampoline_kernelINS0_14default_configENS1_27scan_by_key_config_selectorIxxEEZZNS1_16scan_by_key_implILNS1_25lookback_scan_determinismE0ELb1ES3_N6thrust23THRUST_200600_302600_NS6detail15normal_iteratorINS9_10device_ptrIxEEEESE_SE_xNS9_4plusIvEENS9_8equal_toIxEExEE10hipError_tPvRmT2_T3_T4_T5_mT6_T7_P12ihipStream_tbENKUlT_T0_E_clISt17integral_constantIbLb1EESZ_EEDaSU_SV_EUlSU_E_NS1_11comp_targetILNS1_3genE10ELNS1_11target_archE1201ELNS1_3gpuE5ELNS1_3repE0EEENS1_30default_config_static_selectorELNS0_4arch9wavefront6targetE1EEEvT1_: ; @_ZN7rocprim17ROCPRIM_400000_NS6detail17trampoline_kernelINS0_14default_configENS1_27scan_by_key_config_selectorIxxEEZZNS1_16scan_by_key_implILNS1_25lookback_scan_determinismE0ELb1ES3_N6thrust23THRUST_200600_302600_NS6detail15normal_iteratorINS9_10device_ptrIxEEEESE_SE_xNS9_4plusIvEENS9_8equal_toIxEExEE10hipError_tPvRmT2_T3_T4_T5_mT6_T7_P12ihipStream_tbENKUlT_T0_E_clISt17integral_constantIbLb1EESZ_EEDaSU_SV_EUlSU_E_NS1_11comp_targetILNS1_3genE10ELNS1_11target_archE1201ELNS1_3gpuE5ELNS1_3repE0EEENS1_30default_config_static_selectorELNS0_4arch9wavefront6targetE1EEEvT1_
; %bb.0:
	.section	.rodata,"a",@progbits
	.p2align	6, 0x0
	.amdhsa_kernel _ZN7rocprim17ROCPRIM_400000_NS6detail17trampoline_kernelINS0_14default_configENS1_27scan_by_key_config_selectorIxxEEZZNS1_16scan_by_key_implILNS1_25lookback_scan_determinismE0ELb1ES3_N6thrust23THRUST_200600_302600_NS6detail15normal_iteratorINS9_10device_ptrIxEEEESE_SE_xNS9_4plusIvEENS9_8equal_toIxEExEE10hipError_tPvRmT2_T3_T4_T5_mT6_T7_P12ihipStream_tbENKUlT_T0_E_clISt17integral_constantIbLb1EESZ_EEDaSU_SV_EUlSU_E_NS1_11comp_targetILNS1_3genE10ELNS1_11target_archE1201ELNS1_3gpuE5ELNS1_3repE0EEENS1_30default_config_static_selectorELNS0_4arch9wavefront6targetE1EEEvT1_
		.amdhsa_group_segment_fixed_size 0
		.amdhsa_private_segment_fixed_size 0
		.amdhsa_kernarg_size 136
		.amdhsa_user_sgpr_count 2
		.amdhsa_user_sgpr_dispatch_ptr 0
		.amdhsa_user_sgpr_queue_ptr 0
		.amdhsa_user_sgpr_kernarg_segment_ptr 1
		.amdhsa_user_sgpr_dispatch_id 0
		.amdhsa_user_sgpr_kernarg_preload_length 0
		.amdhsa_user_sgpr_kernarg_preload_offset 0
		.amdhsa_user_sgpr_private_segment_size 0
		.amdhsa_uses_dynamic_stack 0
		.amdhsa_enable_private_segment 0
		.amdhsa_system_sgpr_workgroup_id_x 1
		.amdhsa_system_sgpr_workgroup_id_y 0
		.amdhsa_system_sgpr_workgroup_id_z 0
		.amdhsa_system_sgpr_workgroup_info 0
		.amdhsa_system_vgpr_workitem_id 0
		.amdhsa_next_free_vgpr 1
		.amdhsa_next_free_sgpr 0
		.amdhsa_accum_offset 4
		.amdhsa_reserve_vcc 0
		.amdhsa_float_round_mode_32 0
		.amdhsa_float_round_mode_16_64 0
		.amdhsa_float_denorm_mode_32 3
		.amdhsa_float_denorm_mode_16_64 3
		.amdhsa_dx10_clamp 1
		.amdhsa_ieee_mode 1
		.amdhsa_fp16_overflow 0
		.amdhsa_tg_split 0
		.amdhsa_exception_fp_ieee_invalid_op 0
		.amdhsa_exception_fp_denorm_src 0
		.amdhsa_exception_fp_ieee_div_zero 0
		.amdhsa_exception_fp_ieee_overflow 0
		.amdhsa_exception_fp_ieee_underflow 0
		.amdhsa_exception_fp_ieee_inexact 0
		.amdhsa_exception_int_div_zero 0
	.end_amdhsa_kernel
	.section	.text._ZN7rocprim17ROCPRIM_400000_NS6detail17trampoline_kernelINS0_14default_configENS1_27scan_by_key_config_selectorIxxEEZZNS1_16scan_by_key_implILNS1_25lookback_scan_determinismE0ELb1ES3_N6thrust23THRUST_200600_302600_NS6detail15normal_iteratorINS9_10device_ptrIxEEEESE_SE_xNS9_4plusIvEENS9_8equal_toIxEExEE10hipError_tPvRmT2_T3_T4_T5_mT6_T7_P12ihipStream_tbENKUlT_T0_E_clISt17integral_constantIbLb1EESZ_EEDaSU_SV_EUlSU_E_NS1_11comp_targetILNS1_3genE10ELNS1_11target_archE1201ELNS1_3gpuE5ELNS1_3repE0EEENS1_30default_config_static_selectorELNS0_4arch9wavefront6targetE1EEEvT1_,"axG",@progbits,_ZN7rocprim17ROCPRIM_400000_NS6detail17trampoline_kernelINS0_14default_configENS1_27scan_by_key_config_selectorIxxEEZZNS1_16scan_by_key_implILNS1_25lookback_scan_determinismE0ELb1ES3_N6thrust23THRUST_200600_302600_NS6detail15normal_iteratorINS9_10device_ptrIxEEEESE_SE_xNS9_4plusIvEENS9_8equal_toIxEExEE10hipError_tPvRmT2_T3_T4_T5_mT6_T7_P12ihipStream_tbENKUlT_T0_E_clISt17integral_constantIbLb1EESZ_EEDaSU_SV_EUlSU_E_NS1_11comp_targetILNS1_3genE10ELNS1_11target_archE1201ELNS1_3gpuE5ELNS1_3repE0EEENS1_30default_config_static_selectorELNS0_4arch9wavefront6targetE1EEEvT1_,comdat
.Lfunc_end435:
	.size	_ZN7rocprim17ROCPRIM_400000_NS6detail17trampoline_kernelINS0_14default_configENS1_27scan_by_key_config_selectorIxxEEZZNS1_16scan_by_key_implILNS1_25lookback_scan_determinismE0ELb1ES3_N6thrust23THRUST_200600_302600_NS6detail15normal_iteratorINS9_10device_ptrIxEEEESE_SE_xNS9_4plusIvEENS9_8equal_toIxEExEE10hipError_tPvRmT2_T3_T4_T5_mT6_T7_P12ihipStream_tbENKUlT_T0_E_clISt17integral_constantIbLb1EESZ_EEDaSU_SV_EUlSU_E_NS1_11comp_targetILNS1_3genE10ELNS1_11target_archE1201ELNS1_3gpuE5ELNS1_3repE0EEENS1_30default_config_static_selectorELNS0_4arch9wavefront6targetE1EEEvT1_, .Lfunc_end435-_ZN7rocprim17ROCPRIM_400000_NS6detail17trampoline_kernelINS0_14default_configENS1_27scan_by_key_config_selectorIxxEEZZNS1_16scan_by_key_implILNS1_25lookback_scan_determinismE0ELb1ES3_N6thrust23THRUST_200600_302600_NS6detail15normal_iteratorINS9_10device_ptrIxEEEESE_SE_xNS9_4plusIvEENS9_8equal_toIxEExEE10hipError_tPvRmT2_T3_T4_T5_mT6_T7_P12ihipStream_tbENKUlT_T0_E_clISt17integral_constantIbLb1EESZ_EEDaSU_SV_EUlSU_E_NS1_11comp_targetILNS1_3genE10ELNS1_11target_archE1201ELNS1_3gpuE5ELNS1_3repE0EEENS1_30default_config_static_selectorELNS0_4arch9wavefront6targetE1EEEvT1_
                                        ; -- End function
	.section	.AMDGPU.csdata,"",@progbits
; Kernel info:
; codeLenInByte = 0
; NumSgprs: 6
; NumVgprs: 0
; NumAgprs: 0
; TotalNumVgprs: 0
; ScratchSize: 0
; MemoryBound: 0
; FloatMode: 240
; IeeeMode: 1
; LDSByteSize: 0 bytes/workgroup (compile time only)
; SGPRBlocks: 0
; VGPRBlocks: 0
; NumSGPRsForWavesPerEU: 6
; NumVGPRsForWavesPerEU: 1
; AccumOffset: 4
; Occupancy: 8
; WaveLimiterHint : 0
; COMPUTE_PGM_RSRC2:SCRATCH_EN: 0
; COMPUTE_PGM_RSRC2:USER_SGPR: 2
; COMPUTE_PGM_RSRC2:TRAP_HANDLER: 0
; COMPUTE_PGM_RSRC2:TGID_X_EN: 1
; COMPUTE_PGM_RSRC2:TGID_Y_EN: 0
; COMPUTE_PGM_RSRC2:TGID_Z_EN: 0
; COMPUTE_PGM_RSRC2:TIDIG_COMP_CNT: 0
; COMPUTE_PGM_RSRC3_GFX90A:ACCUM_OFFSET: 0
; COMPUTE_PGM_RSRC3_GFX90A:TG_SPLIT: 0
	.section	.text._ZN7rocprim17ROCPRIM_400000_NS6detail17trampoline_kernelINS0_14default_configENS1_27scan_by_key_config_selectorIxxEEZZNS1_16scan_by_key_implILNS1_25lookback_scan_determinismE0ELb1ES3_N6thrust23THRUST_200600_302600_NS6detail15normal_iteratorINS9_10device_ptrIxEEEESE_SE_xNS9_4plusIvEENS9_8equal_toIxEExEE10hipError_tPvRmT2_T3_T4_T5_mT6_T7_P12ihipStream_tbENKUlT_T0_E_clISt17integral_constantIbLb1EESZ_EEDaSU_SV_EUlSU_E_NS1_11comp_targetILNS1_3genE5ELNS1_11target_archE942ELNS1_3gpuE9ELNS1_3repE0EEENS1_30default_config_static_selectorELNS0_4arch9wavefront6targetE1EEEvT1_,"axG",@progbits,_ZN7rocprim17ROCPRIM_400000_NS6detail17trampoline_kernelINS0_14default_configENS1_27scan_by_key_config_selectorIxxEEZZNS1_16scan_by_key_implILNS1_25lookback_scan_determinismE0ELb1ES3_N6thrust23THRUST_200600_302600_NS6detail15normal_iteratorINS9_10device_ptrIxEEEESE_SE_xNS9_4plusIvEENS9_8equal_toIxEExEE10hipError_tPvRmT2_T3_T4_T5_mT6_T7_P12ihipStream_tbENKUlT_T0_E_clISt17integral_constantIbLb1EESZ_EEDaSU_SV_EUlSU_E_NS1_11comp_targetILNS1_3genE5ELNS1_11target_archE942ELNS1_3gpuE9ELNS1_3repE0EEENS1_30default_config_static_selectorELNS0_4arch9wavefront6targetE1EEEvT1_,comdat
	.protected	_ZN7rocprim17ROCPRIM_400000_NS6detail17trampoline_kernelINS0_14default_configENS1_27scan_by_key_config_selectorIxxEEZZNS1_16scan_by_key_implILNS1_25lookback_scan_determinismE0ELb1ES3_N6thrust23THRUST_200600_302600_NS6detail15normal_iteratorINS9_10device_ptrIxEEEESE_SE_xNS9_4plusIvEENS9_8equal_toIxEExEE10hipError_tPvRmT2_T3_T4_T5_mT6_T7_P12ihipStream_tbENKUlT_T0_E_clISt17integral_constantIbLb1EESZ_EEDaSU_SV_EUlSU_E_NS1_11comp_targetILNS1_3genE5ELNS1_11target_archE942ELNS1_3gpuE9ELNS1_3repE0EEENS1_30default_config_static_selectorELNS0_4arch9wavefront6targetE1EEEvT1_ ; -- Begin function _ZN7rocprim17ROCPRIM_400000_NS6detail17trampoline_kernelINS0_14default_configENS1_27scan_by_key_config_selectorIxxEEZZNS1_16scan_by_key_implILNS1_25lookback_scan_determinismE0ELb1ES3_N6thrust23THRUST_200600_302600_NS6detail15normal_iteratorINS9_10device_ptrIxEEEESE_SE_xNS9_4plusIvEENS9_8equal_toIxEExEE10hipError_tPvRmT2_T3_T4_T5_mT6_T7_P12ihipStream_tbENKUlT_T0_E_clISt17integral_constantIbLb1EESZ_EEDaSU_SV_EUlSU_E_NS1_11comp_targetILNS1_3genE5ELNS1_11target_archE942ELNS1_3gpuE9ELNS1_3repE0EEENS1_30default_config_static_selectorELNS0_4arch9wavefront6targetE1EEEvT1_
	.globl	_ZN7rocprim17ROCPRIM_400000_NS6detail17trampoline_kernelINS0_14default_configENS1_27scan_by_key_config_selectorIxxEEZZNS1_16scan_by_key_implILNS1_25lookback_scan_determinismE0ELb1ES3_N6thrust23THRUST_200600_302600_NS6detail15normal_iteratorINS9_10device_ptrIxEEEESE_SE_xNS9_4plusIvEENS9_8equal_toIxEExEE10hipError_tPvRmT2_T3_T4_T5_mT6_T7_P12ihipStream_tbENKUlT_T0_E_clISt17integral_constantIbLb1EESZ_EEDaSU_SV_EUlSU_E_NS1_11comp_targetILNS1_3genE5ELNS1_11target_archE942ELNS1_3gpuE9ELNS1_3repE0EEENS1_30default_config_static_selectorELNS0_4arch9wavefront6targetE1EEEvT1_
	.p2align	8
	.type	_ZN7rocprim17ROCPRIM_400000_NS6detail17trampoline_kernelINS0_14default_configENS1_27scan_by_key_config_selectorIxxEEZZNS1_16scan_by_key_implILNS1_25lookback_scan_determinismE0ELb1ES3_N6thrust23THRUST_200600_302600_NS6detail15normal_iteratorINS9_10device_ptrIxEEEESE_SE_xNS9_4plusIvEENS9_8equal_toIxEExEE10hipError_tPvRmT2_T3_T4_T5_mT6_T7_P12ihipStream_tbENKUlT_T0_E_clISt17integral_constantIbLb1EESZ_EEDaSU_SV_EUlSU_E_NS1_11comp_targetILNS1_3genE5ELNS1_11target_archE942ELNS1_3gpuE9ELNS1_3repE0EEENS1_30default_config_static_selectorELNS0_4arch9wavefront6targetE1EEEvT1_,@function
_ZN7rocprim17ROCPRIM_400000_NS6detail17trampoline_kernelINS0_14default_configENS1_27scan_by_key_config_selectorIxxEEZZNS1_16scan_by_key_implILNS1_25lookback_scan_determinismE0ELb1ES3_N6thrust23THRUST_200600_302600_NS6detail15normal_iteratorINS9_10device_ptrIxEEEESE_SE_xNS9_4plusIvEENS9_8equal_toIxEExEE10hipError_tPvRmT2_T3_T4_T5_mT6_T7_P12ihipStream_tbENKUlT_T0_E_clISt17integral_constantIbLb1EESZ_EEDaSU_SV_EUlSU_E_NS1_11comp_targetILNS1_3genE5ELNS1_11target_archE942ELNS1_3gpuE9ELNS1_3repE0EEENS1_30default_config_static_selectorELNS0_4arch9wavefront6targetE1EEEvT1_: ; @_ZN7rocprim17ROCPRIM_400000_NS6detail17trampoline_kernelINS0_14default_configENS1_27scan_by_key_config_selectorIxxEEZZNS1_16scan_by_key_implILNS1_25lookback_scan_determinismE0ELb1ES3_N6thrust23THRUST_200600_302600_NS6detail15normal_iteratorINS9_10device_ptrIxEEEESE_SE_xNS9_4plusIvEENS9_8equal_toIxEExEE10hipError_tPvRmT2_T3_T4_T5_mT6_T7_P12ihipStream_tbENKUlT_T0_E_clISt17integral_constantIbLb1EESZ_EEDaSU_SV_EUlSU_E_NS1_11comp_targetILNS1_3genE5ELNS1_11target_archE942ELNS1_3gpuE9ELNS1_3repE0EEENS1_30default_config_static_selectorELNS0_4arch9wavefront6targetE1EEEvT1_
; %bb.0:
	s_load_dwordx8 s[44:51], s[0:1], 0x0
	s_load_dwordx2 s[56:57], s[0:1], 0x20
	s_load_dwordx8 s[36:43], s[0:1], 0x30
	s_load_dwordx2 s[58:59], s[0:1], 0x50
	v_cmp_eq_u32_e64 s[30:31], 0, v0
	s_and_saveexec_b64 s[2:3], s[30:31]
	s_cbranch_execz .LBB436_4
; %bb.1:
	s_mov_b64 s[6:7], exec
	v_mbcnt_lo_u32_b32 v1, s6, 0
	v_mbcnt_hi_u32_b32 v1, s7, v1
	v_cmp_eq_u32_e32 vcc, 0, v1
                                        ; implicit-def: $vgpr2
	s_and_saveexec_b64 s[4:5], vcc
	s_cbranch_execz .LBB436_3
; %bb.2:
	s_load_dwordx2 s[8:9], s[0:1], 0x80
	s_bcnt1_i32_b64 s6, s[6:7]
	v_mov_b32_e32 v2, 0
	v_mov_b32_e32 v3, s6
	s_waitcnt lgkmcnt(0)
	global_atomic_add v2, v2, v3, s[8:9] sc0
.LBB436_3:
	s_or_b64 exec, exec, s[4:5]
	s_waitcnt vmcnt(0)
	v_readfirstlane_b32 s4, v2
	v_mov_b32_e32 v2, 0
	s_nop 0
	v_add_u32_e32 v1, s4, v1
	ds_write_b32 v2, v1
.LBB436_4:
	s_or_b64 exec, exec, s[2:3]
	s_load_dword s2, s[0:1], 0x58
	s_load_dwordx4 s[52:55], s[0:1], 0x60
	v_mov_b32_e32 v3, 0
	s_waitcnt lgkmcnt(0)
	s_lshl_b64 s[34:35], s[46:47], 3
	s_barrier
	ds_read_b32 v2, v3
	s_add_u32 s0, s44, s34
	s_addc_u32 s1, s45, s35
	s_add_u32 s4, s48, s34
	s_mul_i32 s3, s59, s2
	s_mul_hi_u32 s6, s58, s2
	s_addc_u32 s5, s49, s35
	s_add_i32 s3, s6, s3
	s_movk_i32 s6, 0xe00
	s_waitcnt lgkmcnt(0)
	v_mul_lo_u32 v4, v2, s6
	v_mov_b32_e32 v5, v3
	v_lshlrev_b64 v[54:55], 3, v[4:5]
	s_mul_i32 s2, s58, s2
	v_lshl_add_u64 v[62:63], s[4:5], 0, v[54:55]
	s_add_u32 s4, s52, -1
	v_readfirstlane_b32 s43, v2
	v_lshl_add_u64 v[2:3], s[2:3], 0, v[2:3]
	s_addc_u32 s5, s53, -1
	v_cmp_le_u64_e64 s[2:3], s[4:5], v[2:3]
	v_lshl_add_u64 v[64:65], s[0:1], 0, v[54:55]
	s_mov_b64 s[0:1], -1
	s_and_b64 vcc, exec, s[2:3]
	s_mul_i32 s33, s4, 0xfffff200
	s_barrier
	s_barrier
	s_cbranch_vccz .LBB436_80
; %bb.5:
	flat_load_dwordx2 v[2:3], v[64:65]
	s_add_i32 s48, s33, s42
	v_cmp_gt_u32_e32 vcc, s48, v0
	s_waitcnt vmcnt(0) lgkmcnt(0)
	v_mov_b64_e32 v[4:5], v[2:3]
	s_and_saveexec_b64 s[0:1], vcc
	s_cbranch_execz .LBB436_7
; %bb.6:
	v_lshlrev_b32_e32 v4, 3, v0
	v_mov_b32_e32 v5, 0
	v_lshl_add_u64 v[4:5], v[64:65], 0, v[4:5]
	flat_load_dwordx2 v[4:5], v[4:5]
.LBB436_7:
	s_or_b64 exec, exec, s[0:1]
	v_or_b32_e32 v1, 0x100, v0
	v_cmp_gt_u32_e64 s[4:5], s48, v1
	v_mov_b64_e32 v[6:7], v[2:3]
	s_and_saveexec_b64 s[0:1], s[4:5]
	s_cbranch_execz .LBB436_9
; %bb.8:
	v_lshlrev_b32_e32 v6, 3, v0
	v_mov_b32_e32 v7, 0
	v_lshl_add_u64 v[6:7], v[64:65], 0, v[6:7]
	flat_load_dwordx2 v[6:7], v[6:7] offset:2048
.LBB436_9:
	s_or_b64 exec, exec, s[0:1]
	v_or_b32_e32 v1, 0x200, v0
	v_cmp_gt_u32_e64 s[6:7], s48, v1
	v_mov_b64_e32 v[8:9], v[2:3]
	s_and_saveexec_b64 s[0:1], s[6:7]
	s_cbranch_execz .LBB436_11
; %bb.10:
	v_lshlrev_b32_e32 v8, 3, v1
	v_mov_b32_e32 v9, 0
	v_lshl_add_u64 v[8:9], v[64:65], 0, v[8:9]
	flat_load_dwordx2 v[8:9], v[8:9]
.LBB436_11:
	s_or_b64 exec, exec, s[0:1]
	v_or_b32_e32 v40, 0x300, v0
	v_cmp_gt_u32_e64 s[8:9], s48, v40
	v_mov_b64_e32 v[10:11], v[2:3]
	s_and_saveexec_b64 s[0:1], s[8:9]
	s_cbranch_execz .LBB436_13
; %bb.12:
	v_lshlrev_b32_e32 v10, 3, v40
	v_mov_b32_e32 v11, 0
	v_lshl_add_u64 v[10:11], v[64:65], 0, v[10:11]
	flat_load_dwordx2 v[10:11], v[10:11]
.LBB436_13:
	;; [unrolled: 12-line block ×11, first 2 shown]
	s_or_b64 exec, exec, s[0:1]
	v_or_b32_e32 v68, 0xd00, v0
	v_cmp_gt_u32_e64 s[28:29], s48, v68
	s_and_saveexec_b64 s[0:1], s[28:29]
	s_cbranch_execz .LBB436_33
; %bb.32:
	v_lshlrev_b32_e32 v2, 3, v68
	v_mov_b32_e32 v3, 0
	v_lshl_add_u64 v[2:3], v[64:65], 0, v[2:3]
	flat_load_dwordx2 v[2:3], v[2:3]
.LBB436_33:
	s_or_b64 exec, exec, s[0:1]
	v_lshlrev_b32_e32 v30, 3, v0
	s_waitcnt vmcnt(0) lgkmcnt(0)
	ds_write2st64_b64 v30, v[4:5], v[6:7] offset1:4
	ds_write2st64_b64 v30, v[8:9], v[10:11] offset0:8 offset1:12
	ds_write2st64_b64 v30, v[12:13], v[14:15] offset0:16 offset1:20
	;; [unrolled: 1-line block ×6, first 2 shown]
	s_waitcnt lgkmcnt(0)
	s_barrier
	flat_load_dwordx2 v[60:61], v[64:65]
	s_movk_i32 s0, 0x68
	v_mad_u32_u24 v80, v0, s0, v30
	s_movk_i32 s0, 0xff98
	v_mad_i32_i24 v31, v0, s0, v80
	s_movk_i32 s0, 0xff
	v_cmp_ne_u32_e64 s[0:1], s0, v0
	ds_read_b128 v[26:29], v80
	ds_read_b128 v[22:25], v80 offset:16
	ds_read_b128 v[18:21], v80 offset:32
	;; [unrolled: 1-line block ×6, first 2 shown]
	s_waitcnt lgkmcnt(0)
	ds_write_b64 v31, v[26:27] offset:30720
	s_waitcnt lgkmcnt(0)
	s_barrier
	s_and_saveexec_b64 s[44:45], s[0:1]
	s_cbranch_execz .LBB436_35
; %bb.34:
	s_waitcnt vmcnt(0)
	ds_read_b64 v[60:61], v30 offset:30728
.LBB436_35:
	s_or_b64 exec, exec, s[44:45]
	v_mov_b32_e32 v31, 0
	s_waitcnt lgkmcnt(0)
	s_barrier
	s_waitcnt lgkmcnt(0)
                                        ; implicit-def: $vgpr32_vgpr33
	s_and_saveexec_b64 s[0:1], vcc
	s_cbranch_execz .LBB436_159
; %bb.36:
	v_lshl_add_u64 v[32:33], v[62:63], 0, v[30:31]
	flat_load_dwordx2 v[32:33], v[32:33]
	s_or_b64 exec, exec, s[0:1]
                                        ; implicit-def: $vgpr34_vgpr35
	s_and_saveexec_b64 s[0:1], s[4:5]
	s_cbranch_execnz .LBB436_160
.LBB436_37:
	s_or_b64 exec, exec, s[0:1]
                                        ; implicit-def: $vgpr36_vgpr37
	s_and_saveexec_b64 s[0:1], s[6:7]
	s_cbranch_execz .LBB436_161
.LBB436_38:
	v_lshlrev_b32_e32 v36, 3, v1
	v_mov_b32_e32 v37, 0
	v_lshl_add_u64 v[36:37], v[62:63], 0, v[36:37]
	flat_load_dwordx2 v[36:37], v[36:37]
	s_or_b64 exec, exec, s[0:1]
                                        ; implicit-def: $vgpr38_vgpr39
	s_and_saveexec_b64 s[0:1], s[8:9]
	s_cbranch_execnz .LBB436_162
.LBB436_39:
	s_or_b64 exec, exec, s[0:1]
                                        ; implicit-def: $vgpr40_vgpr41
	s_and_saveexec_b64 s[0:1], s[10:11]
	s_cbranch_execz .LBB436_163
.LBB436_40:
	v_lshlrev_b32_e32 v40, 3, v42
	v_mov_b32_e32 v41, 0
	v_lshl_add_u64 v[40:41], v[62:63], 0, v[40:41]
	flat_load_dwordx2 v[40:41], v[40:41]
	s_or_b64 exec, exec, s[0:1]
                                        ; implicit-def: $vgpr42_vgpr43
	s_and_saveexec_b64 s[0:1], s[12:13]
	s_cbranch_execnz .LBB436_164
.LBB436_41:
	s_or_b64 exec, exec, s[0:1]
                                        ; implicit-def: $vgpr44_vgpr45
	s_and_saveexec_b64 s[0:1], s[14:15]
	s_cbranch_execz .LBB436_165
.LBB436_42:
	v_lshlrev_b32_e32 v44, 3, v46
	v_mov_b32_e32 v45, 0
	v_lshl_add_u64 v[44:45], v[62:63], 0, v[44:45]
	flat_load_dwordx2 v[44:45], v[44:45]
	s_or_b64 exec, exec, s[0:1]
                                        ; implicit-def: $vgpr46_vgpr47
	s_and_saveexec_b64 s[0:1], s[16:17]
	s_cbranch_execnz .LBB436_166
.LBB436_43:
	s_or_b64 exec, exec, s[0:1]
                                        ; implicit-def: $vgpr48_vgpr49
	s_and_saveexec_b64 s[0:1], s[18:19]
	s_cbranch_execz .LBB436_167
.LBB436_44:
	v_lshlrev_b32_e32 v48, 3, v50
	v_mov_b32_e32 v49, 0
	v_lshl_add_u64 v[48:49], v[62:63], 0, v[48:49]
	flat_load_dwordx2 v[48:49], v[48:49]
	s_or_b64 exec, exec, s[0:1]
                                        ; implicit-def: $vgpr50_vgpr51
	s_and_saveexec_b64 s[0:1], s[20:21]
	s_cbranch_execnz .LBB436_168
.LBB436_45:
	s_or_b64 exec, exec, s[0:1]
                                        ; implicit-def: $vgpr52_vgpr53
	s_and_saveexec_b64 s[0:1], s[22:23]
	s_cbranch_execz .LBB436_169
.LBB436_46:
	v_lshlrev_b32_e32 v52, 3, v56
	v_mov_b32_e32 v53, 0
	v_lshl_add_u64 v[52:53], v[62:63], 0, v[52:53]
	flat_load_dwordx2 v[52:53], v[52:53]
	s_or_b64 exec, exec, s[0:1]
                                        ; implicit-def: $vgpr56_vgpr57
	s_and_saveexec_b64 s[0:1], s[24:25]
	s_cbranch_execnz .LBB436_170
.LBB436_47:
	s_or_b64 exec, exec, s[0:1]
                                        ; implicit-def: $vgpr58_vgpr59
	s_and_saveexec_b64 s[0:1], s[26:27]
	s_cbranch_execz .LBB436_49
.LBB436_48:
	v_lshlrev_b32_e32 v58, 3, v66
	v_mov_b32_e32 v59, 0
	v_lshl_add_u64 v[58:59], v[62:63], 0, v[58:59]
	flat_load_dwordx2 v[58:59], v[58:59]
.LBB436_49:
	s_or_b64 exec, exec, s[0:1]
	v_mul_u32_u24_e32 v81, 14, v0
                                        ; implicit-def: $vgpr66_vgpr67
	s_and_saveexec_b64 s[0:1], s[28:29]
	s_cbranch_execz .LBB436_51
; %bb.50:
	v_lshlrev_b32_e32 v66, 3, v68
	v_mov_b32_e32 v67, 0
	v_lshl_add_u64 v[66:67], v[62:63], 0, v[66:67]
	flat_load_dwordx2 v[66:67], v[66:67]
.LBB436_51:
	s_or_b64 exec, exec, s[0:1]
	s_waitcnt vmcnt(0) lgkmcnt(0)
	ds_write2st64_b64 v30, v[32:33], v[34:35] offset1:4
	ds_write2st64_b64 v30, v[36:37], v[38:39] offset0:8 offset1:12
	ds_write2st64_b64 v30, v[40:41], v[42:43] offset0:16 offset1:20
	;; [unrolled: 1-line block ×6, first 2 shown]
	v_mov_b64_e32 v[56:57], 0
	v_cmp_gt_u32_e32 vcc, s48, v81
	s_mov_b64 s[8:9], 0
	s_mov_b32 s52, 0
	s_mov_b64 s[0:1], 0
	v_mov_b32_e32 v71, 0
	v_mov_b64_e32 v[34:35], v[56:57]
	v_mov_b32_e32 v79, 0
	v_mov_b64_e32 v[58:59], v[56:57]
	v_mov_b32_e32 v78, 0
	v_mov_b64_e32 v[36:37], v[56:57]
	v_mov_b32_e32 v77, 0
	v_mov_b64_e32 v[52:53], v[56:57]
	v_mov_b32_e32 v76, 0
	v_mov_b64_e32 v[40:41], v[56:57]
	v_mov_b32_e32 v75, 0
	v_mov_b64_e32 v[38:39], v[56:57]
	v_mov_b32_e32 v74, 0
	v_mov_b64_e32 v[44:45], v[56:57]
	v_mov_b32_e32 v73, 0
	v_mov_b64_e32 v[42:43], v[56:57]
	v_mov_b32_e32 v72, 0
	v_mov_b64_e32 v[48:49], v[56:57]
	v_mov_b32_e32 v70, 0
	v_mov_b64_e32 v[46:47], v[56:57]
	v_mov_b32_e32 v69, 0
	v_mov_b64_e32 v[50:51], v[56:57]
	v_mov_b32_e32 v68, 0
	v_mov_b64_e32 v[30:31], v[56:57]
	v_mov_b32_e32 v1, 0
	s_waitcnt lgkmcnt(0)
	s_barrier
	s_waitcnt lgkmcnt(0)
                                        ; implicit-def: $sgpr6_sgpr7
                                        ; implicit-def: $vgpr66_vgpr67
	s_and_saveexec_b64 s[4:5], vcc
	s_cbranch_execz .LBB436_79
; %bb.52:
	ds_read_b64 v[30:31], v80
	v_cmp_ne_u64_e32 vcc, v[26:27], v[28:29]
	v_mov_b32_e32 v26, s57
	v_or_b32_e32 v32, 1, v81
	v_mov_b64_e32 v[34:35], 0
	s_waitcnt lgkmcnt(0)
	v_cndmask_b32_e32 v57, v31, v26, vcc
	v_mov_b32_e32 v26, s56
	v_cndmask_b32_e64 v1, 0, 1, vcc
	v_cndmask_b32_e32 v56, v30, v26, vcc
	v_cmp_gt_u32_e32 vcc, s48, v32
	s_mov_b64 s[10:11], 0
	v_mov_b32_e32 v71, 0
	v_mov_b32_e32 v79, 0
	v_mov_b64_e32 v[58:59], v[34:35]
	v_mov_b32_e32 v78, 0
	v_mov_b64_e32 v[36:37], v[34:35]
	;; [unrolled: 2-line block ×11, first 2 shown]
                                        ; implicit-def: $sgpr12_sgpr13
                                        ; implicit-def: $vgpr66_vgpr67
	s_and_saveexec_b64 s[6:7], vcc
	s_cbranch_execz .LBB436_78
; %bb.53:
	ds_read2_b64 v[30:33], v80 offset0:1 offset1:2
	v_cmp_ne_u64_e32 vcc, v[28:29], v[22:23]
	v_mov_b32_e32 v27, s57
	v_add_u32_e32 v26, 2, v81
	v_mov_b64_e32 v[34:35], 0
	s_waitcnt lgkmcnt(0)
	v_cndmask_b32_e32 v31, v31, v27, vcc
	v_mov_b32_e32 v27, s56
	v_cndmask_b32_e64 v68, 0, 1, vcc
	v_cndmask_b32_e32 v30, v30, v27, vcc
	v_cmp_gt_u32_e32 vcc, s48, v26
	s_mov_b64 s[12:13], 0
	v_mov_b32_e32 v71, 0
	v_mov_b32_e32 v79, 0
	v_mov_b64_e32 v[58:59], v[34:35]
	v_mov_b32_e32 v78, 0
	v_mov_b64_e32 v[36:37], v[34:35]
	;; [unrolled: 2-line block ×10, first 2 shown]
                                        ; implicit-def: $sgpr14_sgpr15
                                        ; implicit-def: $vgpr66_vgpr67
	s_and_saveexec_b64 s[8:9], vcc
	s_cbranch_execz .LBB436_77
; %bb.54:
	v_cmp_ne_u64_e32 vcc, v[22:23], v[24:25]
	v_mov_b32_e32 v22, s57
	v_add_u32_e32 v26, 3, v81
	v_cndmask_b32_e32 v51, v33, v22, vcc
	v_mov_b32_e32 v22, s56
	v_mov_b64_e32 v[34:35], 0
	v_cndmask_b32_e64 v69, 0, 1, vcc
	v_cndmask_b32_e32 v50, v32, v22, vcc
	v_cmp_gt_u32_e32 vcc, s48, v26
	s_mov_b64 s[14:15], 0
	v_mov_b32_e32 v71, 0
	v_mov_b32_e32 v79, 0
	v_mov_b64_e32 v[58:59], v[34:35]
	v_mov_b32_e32 v78, 0
	v_mov_b64_e32 v[36:37], v[34:35]
	;; [unrolled: 2-line block ×9, first 2 shown]
                                        ; implicit-def: $sgpr16_sgpr17
                                        ; implicit-def: $vgpr66_vgpr67
	s_and_saveexec_b64 s[10:11], vcc
	s_cbranch_execz .LBB436_76
; %bb.55:
	ds_read2_b64 v[26:29], v80 offset0:3 offset1:4
	v_cmp_ne_u64_e32 vcc, v[24:25], v[18:19]
	v_mov_b32_e32 v23, s57
	v_add_u32_e32 v22, 4, v81
	v_mov_b64_e32 v[34:35], 0
	s_waitcnt lgkmcnt(0)
	v_cndmask_b32_e32 v47, v27, v23, vcc
	v_mov_b32_e32 v23, s56
	v_cndmask_b32_e64 v70, 0, 1, vcc
	v_cndmask_b32_e32 v46, v26, v23, vcc
	v_cmp_gt_u32_e32 vcc, s48, v22
	s_mov_b64 s[16:17], 0
	v_mov_b32_e32 v71, 0
	v_mov_b32_e32 v79, 0
	v_mov_b64_e32 v[58:59], v[34:35]
	v_mov_b32_e32 v78, 0
	v_mov_b64_e32 v[36:37], v[34:35]
	;; [unrolled: 2-line block ×8, first 2 shown]
                                        ; implicit-def: $sgpr18_sgpr19
                                        ; implicit-def: $vgpr66_vgpr67
	s_and_saveexec_b64 s[12:13], vcc
	s_cbranch_execz .LBB436_75
; %bb.56:
	v_cmp_ne_u64_e32 vcc, v[18:19], v[20:21]
	v_mov_b32_e32 v18, s57
	v_add_u32_e32 v22, 5, v81
	v_cndmask_b32_e32 v49, v29, v18, vcc
	v_mov_b32_e32 v18, s56
	v_mov_b64_e32 v[34:35], 0
	v_cndmask_b32_e64 v72, 0, 1, vcc
	v_cndmask_b32_e32 v48, v28, v18, vcc
	v_cmp_gt_u32_e32 vcc, s48, v22
	s_mov_b64 s[18:19], 0
	v_mov_b32_e32 v71, 0
	v_mov_b32_e32 v79, 0
	v_mov_b64_e32 v[58:59], v[34:35]
	v_mov_b32_e32 v78, 0
	v_mov_b64_e32 v[36:37], v[34:35]
	;; [unrolled: 2-line block ×7, first 2 shown]
                                        ; implicit-def: $sgpr20_sgpr21
                                        ; implicit-def: $vgpr66_vgpr67
	s_and_saveexec_b64 s[14:15], vcc
	s_cbranch_execz .LBB436_74
; %bb.57:
	ds_read2_b64 v[22:25], v80 offset0:5 offset1:6
	v_cmp_ne_u64_e32 vcc, v[20:21], v[14:15]
	v_mov_b32_e32 v19, s57
	v_add_u32_e32 v18, 6, v81
	v_mov_b64_e32 v[34:35], 0
	s_waitcnt lgkmcnt(0)
	v_cndmask_b32_e32 v43, v23, v19, vcc
	v_mov_b32_e32 v19, s56
	v_cndmask_b32_e64 v73, 0, 1, vcc
	v_cndmask_b32_e32 v42, v22, v19, vcc
	v_cmp_gt_u32_e32 vcc, s48, v18
	s_mov_b64 s[20:21], 0
	v_mov_b32_e32 v71, 0
	v_mov_b32_e32 v79, 0
	v_mov_b64_e32 v[58:59], v[34:35]
	v_mov_b32_e32 v78, 0
	v_mov_b64_e32 v[36:37], v[34:35]
	;; [unrolled: 2-line block ×6, first 2 shown]
                                        ; implicit-def: $sgpr22_sgpr23
                                        ; implicit-def: $vgpr66_vgpr67
	s_and_saveexec_b64 s[16:17], vcc
	s_cbranch_execz .LBB436_73
; %bb.58:
	v_cmp_ne_u64_e32 vcc, v[14:15], v[16:17]
	v_mov_b32_e32 v14, s57
	v_add_u32_e32 v18, 7, v81
	v_cndmask_b32_e32 v45, v25, v14, vcc
	v_mov_b32_e32 v14, s56
	v_mov_b64_e32 v[34:35], 0
	v_cndmask_b32_e64 v74, 0, 1, vcc
	v_cndmask_b32_e32 v44, v24, v14, vcc
	v_cmp_gt_u32_e32 vcc, s48, v18
	s_mov_b64 s[22:23], 0
	v_mov_b32_e32 v71, 0
	v_mov_b32_e32 v79, 0
	v_mov_b64_e32 v[58:59], v[34:35]
	v_mov_b32_e32 v78, 0
	v_mov_b64_e32 v[36:37], v[34:35]
	;; [unrolled: 2-line block ×5, first 2 shown]
                                        ; implicit-def: $sgpr24_sgpr25
                                        ; implicit-def: $vgpr66_vgpr67
	s_and_saveexec_b64 s[18:19], vcc
	s_cbranch_execz .LBB436_72
; %bb.59:
	ds_read2_b64 v[18:21], v80 offset0:7 offset1:8
	v_cmp_ne_u64_e32 vcc, v[16:17], v[10:11]
	v_mov_b32_e32 v15, s57
	v_add_u32_e32 v14, 8, v81
	v_mov_b64_e32 v[34:35], 0
	s_waitcnt lgkmcnt(0)
	v_cndmask_b32_e32 v39, v19, v15, vcc
	v_mov_b32_e32 v15, s56
	v_cndmask_b32_e64 v75, 0, 1, vcc
	v_cndmask_b32_e32 v38, v18, v15, vcc
	v_cmp_gt_u32_e32 vcc, s48, v14
	s_mov_b64 s[24:25], 0
	v_mov_b32_e32 v71, 0
	v_mov_b32_e32 v79, 0
	v_mov_b64_e32 v[58:59], v[34:35]
	v_mov_b32_e32 v78, 0
	v_mov_b64_e32 v[36:37], v[34:35]
	;; [unrolled: 2-line block ×4, first 2 shown]
                                        ; implicit-def: $sgpr26_sgpr27
                                        ; implicit-def: $vgpr66_vgpr67
	s_and_saveexec_b64 s[20:21], vcc
	s_cbranch_execz .LBB436_71
; %bb.60:
	v_cmp_ne_u64_e32 vcc, v[10:11], v[12:13]
	v_mov_b32_e32 v10, s57
	v_add_u32_e32 v14, 9, v81
	v_cndmask_b32_e32 v41, v21, v10, vcc
	v_mov_b32_e32 v10, s56
	v_mov_b64_e32 v[34:35], 0
	v_cndmask_b32_e64 v76, 0, 1, vcc
	v_cndmask_b32_e32 v40, v20, v10, vcc
	v_cmp_gt_u32_e32 vcc, s48, v14
	s_mov_b64 s[26:27], 0
	v_mov_b32_e32 v71, 0
	v_mov_b32_e32 v79, 0
	v_mov_b64_e32 v[58:59], v[34:35]
	v_mov_b32_e32 v78, 0
	v_mov_b64_e32 v[36:37], v[34:35]
	;; [unrolled: 2-line block ×3, first 2 shown]
                                        ; implicit-def: $sgpr28_sgpr29
                                        ; implicit-def: $vgpr66_vgpr67
	s_and_saveexec_b64 s[22:23], vcc
	s_cbranch_execz .LBB436_70
; %bb.61:
	ds_read2_b64 v[14:17], v80 offset0:9 offset1:10
	v_cmp_ne_u64_e32 vcc, v[12:13], v[6:7]
	v_mov_b32_e32 v11, s57
	v_add_u32_e32 v10, 10, v81
	v_mov_b64_e32 v[34:35], 0
	s_waitcnt lgkmcnt(0)
	v_cndmask_b32_e32 v53, v15, v11, vcc
	v_mov_b32_e32 v11, s56
	v_cndmask_b32_e64 v77, 0, 1, vcc
	v_cndmask_b32_e32 v52, v14, v11, vcc
	v_cmp_gt_u32_e32 vcc, s48, v10
	s_mov_b64 s[28:29], 0
	v_mov_b32_e32 v71, 0
	v_mov_b32_e32 v79, 0
	v_mov_b64_e32 v[58:59], v[34:35]
	v_mov_b32_e32 v78, 0
	v_mov_b64_e32 v[36:37], v[34:35]
                                        ; implicit-def: $sgpr44_sgpr45
                                        ; implicit-def: $vgpr66_vgpr67
	s_and_saveexec_b64 s[24:25], vcc
	s_cbranch_execz .LBB436_69
; %bb.62:
	v_cmp_ne_u64_e32 vcc, v[6:7], v[8:9]
	v_mov_b32_e32 v6, s57
	v_add_u32_e32 v10, 11, v81
	v_cndmask_b32_e32 v37, v17, v6, vcc
	v_mov_b32_e32 v6, s56
	v_mov_b64_e32 v[34:35], 0
	v_cndmask_b32_e64 v78, 0, 1, vcc
	v_cndmask_b32_e32 v36, v16, v6, vcc
	v_cmp_gt_u32_e32 vcc, s48, v10
	s_mov_b64 s[44:45], 0
	v_mov_b32_e32 v71, 0
	v_mov_b32_e32 v79, 0
	v_mov_b64_e32 v[58:59], v[34:35]
                                        ; implicit-def: $sgpr46_sgpr47
                                        ; implicit-def: $vgpr66_vgpr67
	s_and_saveexec_b64 s[26:27], vcc
	s_cbranch_execz .LBB436_68
; %bb.63:
	ds_read2_b64 v[10:13], v80 offset0:11 offset1:12
	v_cmp_ne_u64_e32 vcc, v[8:9], v[2:3]
	v_mov_b32_e32 v7, s57
	v_add_u32_e32 v6, 12, v81
	v_cndmask_b32_e64 v79, 0, 1, vcc
	s_waitcnt lgkmcnt(0)
	v_cndmask_b32_e32 v59, v11, v7, vcc
	v_mov_b32_e32 v7, s56
	v_cndmask_b32_e32 v58, v10, v7, vcc
	v_cmp_gt_u32_e32 vcc, s48, v6
	v_mov_b32_e32 v71, 0
	v_mov_b64_e32 v[34:35], 0
                                        ; implicit-def: $sgpr46_sgpr47
                                        ; implicit-def: $vgpr66_vgpr67
	s_and_saveexec_b64 s[28:29], vcc
	s_cbranch_execz .LBB436_67
; %bb.64:
	v_cmp_ne_u64_e32 vcc, v[2:3], v[4:5]
	v_mov_b32_e32 v2, s57
	v_add_u32_e32 v6, 13, v81
	v_cndmask_b32_e32 v35, v13, v2, vcc
	v_mov_b32_e32 v2, s56
	v_cndmask_b32_e64 v71, 0, 1, vcc
	v_cndmask_b32_e32 v34, v12, v2, vcc
	v_cmp_gt_u32_e32 vcc, s48, v6
                                        ; implicit-def: $sgpr46_sgpr47
                                        ; implicit-def: $vgpr66_vgpr67
	s_and_saveexec_b64 s[48:49], vcc
	s_xor_b64 s[48:49], exec, s[48:49]
	s_cbranch_execz .LBB436_66
; %bb.65:
	ds_read_b64 v[2:3], v80 offset:104
	v_mov_b32_e32 v6, s57
	v_mov_b32_e32 v7, s56
	v_cmp_ne_u64_e32 vcc, v[4:5], v[60:61]
	s_mov_b64 s[44:45], exec
	s_and_b64 s[46:47], vcc, exec
	s_waitcnt lgkmcnt(0)
	v_cndmask_b32_e32 v67, v3, v6, vcc
	v_cndmask_b32_e32 v66, v2, v7, vcc
.LBB436_66:
	s_or_b64 exec, exec, s[48:49]
	s_and_b64 s[46:47], s[46:47], exec
	s_and_b64 s[44:45], s[44:45], exec
.LBB436_67:
	s_or_b64 exec, exec, s[28:29]
	s_and_b64 s[46:47], s[46:47], exec
	s_and_b64 s[28:29], s[44:45], exec
.LBB436_68:
	s_or_b64 exec, exec, s[26:27]
	s_and_b64 s[44:45], s[46:47], exec
	s_and_b64 s[26:27], s[28:29], exec
.LBB436_69:
	s_or_b64 exec, exec, s[24:25]
	s_and_b64 s[28:29], s[44:45], exec
	s_and_b64 s[24:25], s[26:27], exec
.LBB436_70:
	s_or_b64 exec, exec, s[22:23]
	s_and_b64 s[26:27], s[28:29], exec
	s_and_b64 s[22:23], s[24:25], exec
.LBB436_71:
	s_or_b64 exec, exec, s[20:21]
	s_and_b64 s[24:25], s[26:27], exec
	s_and_b64 s[20:21], s[22:23], exec
.LBB436_72:
	s_or_b64 exec, exec, s[18:19]
	s_and_b64 s[22:23], s[24:25], exec
	s_and_b64 s[18:19], s[20:21], exec
.LBB436_73:
	s_or_b64 exec, exec, s[16:17]
	s_and_b64 s[20:21], s[22:23], exec
	s_and_b64 s[16:17], s[18:19], exec
.LBB436_74:
	s_or_b64 exec, exec, s[14:15]
	s_and_b64 s[18:19], s[20:21], exec
	s_and_b64 s[14:15], s[16:17], exec
.LBB436_75:
	s_or_b64 exec, exec, s[12:13]
	s_and_b64 s[16:17], s[18:19], exec
	s_and_b64 s[12:13], s[14:15], exec
.LBB436_76:
	s_or_b64 exec, exec, s[10:11]
	s_and_b64 s[14:15], s[16:17], exec
	s_and_b64 s[10:11], s[12:13], exec
.LBB436_77:
	s_or_b64 exec, exec, s[8:9]
	s_and_b64 s[12:13], s[14:15], exec
	s_and_b64 s[8:9], s[10:11], exec
.LBB436_78:
	s_or_b64 exec, exec, s[6:7]
	s_and_b64 s[6:7], s[12:13], exec
	s_and_b64 s[8:9], s[8:9], exec
.LBB436_79:
	s_or_b64 exec, exec, s[4:5]
	s_mov_b64 s[4:5], 0
	s_and_b64 vcc, exec, s[0:1]
	v_lshlrev_b32_e32 v60, 3, v0
	s_cbranch_vccnz .LBB436_81
	s_branch .LBB436_86
.LBB436_80:
	s_mov_b64 s[8:9], 0
                                        ; implicit-def: $sgpr6_sgpr7
                                        ; implicit-def: $vgpr66_vgpr67
                                        ; implicit-def: $vgpr56_vgpr57
                                        ; implicit-def: $vgpr71
                                        ; implicit-def: $vgpr34_vgpr35
                                        ; implicit-def: $vgpr79
                                        ; implicit-def: $vgpr58_vgpr59
                                        ; implicit-def: $vgpr78
                                        ; implicit-def: $vgpr36_vgpr37
                                        ; implicit-def: $vgpr77
                                        ; implicit-def: $vgpr52_vgpr53
                                        ; implicit-def: $vgpr76
                                        ; implicit-def: $vgpr40_vgpr41
                                        ; implicit-def: $vgpr75
                                        ; implicit-def: $vgpr38_vgpr39
                                        ; implicit-def: $vgpr74
                                        ; implicit-def: $vgpr44_vgpr45
                                        ; implicit-def: $vgpr73
                                        ; implicit-def: $vgpr42_vgpr43
                                        ; implicit-def: $vgpr72
                                        ; implicit-def: $vgpr48_vgpr49
                                        ; implicit-def: $vgpr70
                                        ; implicit-def: $vgpr46_vgpr47
                                        ; implicit-def: $vgpr69
                                        ; implicit-def: $vgpr50_vgpr51
                                        ; implicit-def: $vgpr68
                                        ; implicit-def: $vgpr30_vgpr31
                                        ; implicit-def: $vgpr1
                                        ; implicit-def: $sgpr52
                                        ; implicit-def: $sgpr4_sgpr5
	s_and_b64 vcc, exec, s[0:1]
	v_lshlrev_b32_e32 v60, 3, v0
	s_cbranch_vccz .LBB436_86
.LBB436_81:
	v_mov_b32_e32 v61, 0
	v_lshl_add_u64 v[2:3], v[64:65], 0, v[60:61]
	v_add_co_u32_e32 v4, vcc, 0x1000, v2
	s_movk_i32 s0, 0x7000
	s_nop 0
	v_addc_co_u32_e32 v5, vcc, 0, v3, vcc
	flat_load_dwordx2 v[6:7], v[2:3]
	flat_load_dwordx2 v[8:9], v[2:3] offset:2048
	flat_load_dwordx2 v[10:11], v[4:5]
	flat_load_dwordx2 v[12:13], v[4:5] offset:2048
	v_add_co_u32_e32 v4, vcc, 0x2000, v2
	s_movk_i32 s9, 0x1000
	s_nop 0
	v_addc_co_u32_e32 v5, vcc, 0, v3, vcc
	v_add_co_u32_e32 v14, vcc, 0x3000, v2
	s_movk_i32 s8, 0x2000
	s_nop 0
	v_addc_co_u32_e32 v15, vcc, 0, v3, vcc
	flat_load_dwordx2 v[16:17], v[4:5]
	flat_load_dwordx2 v[18:19], v[4:5] offset:2048
	flat_load_dwordx2 v[20:21], v[14:15]
	flat_load_dwordx2 v[22:23], v[14:15] offset:2048
	v_add_co_u32_e32 v4, vcc, 0x4000, v2
	s_movk_i32 s7, 0x3000
	s_nop 0
	v_addc_co_u32_e32 v5, vcc, 0, v3, vcc
	v_add_co_u32_e32 v14, vcc, 0x5000, v2
	s_movk_i32 s6, 0x4000
	s_nop 0
	v_addc_co_u32_e32 v15, vcc, 0, v3, vcc
	v_add_co_u32_e32 v2, vcc, 0x6000, v2
	flat_load_dwordx2 v[24:25], v[4:5]
	flat_load_dwordx2 v[26:27], v[4:5] offset:2048
	flat_load_dwordx2 v[28:29], v[14:15]
	flat_load_dwordx2 v[30:31], v[14:15] offset:2048
	v_addc_co_u32_e32 v3, vcc, 0, v3, vcc
	flat_load_dwordx2 v[4:5], v[2:3]
	flat_load_dwordx2 v[14:15], v[2:3] offset:2048
	v_add_co_u32_e32 v2, vcc, s0, v64
	s_movk_i32 s0, 0x68
	s_nop 0
	v_addc_co_u32_e32 v3, vcc, 0, v65, vcc
	v_mad_u32_u24 v1, v0, s0, v60
	s_movk_i32 s0, 0xff98
	s_movk_i32 s5, 0x5000
	;; [unrolled: 1-line block ×3, first 2 shown]
	s_waitcnt vmcnt(0) lgkmcnt(0)
	ds_write2st64_b64 v60, v[6:7], v[8:9] offset1:4
	ds_write2st64_b64 v60, v[10:11], v[12:13] offset0:8 offset1:12
	ds_write2st64_b64 v60, v[16:17], v[18:19] offset0:16 offset1:20
	;; [unrolled: 1-line block ×6, first 2 shown]
	s_waitcnt lgkmcnt(0)
	s_barrier
	flat_load_dwordx2 v[64:65], v[2:3]
	v_mad_i32_i24 v26, v0, s0, v1
	s_movk_i32 s0, 0xff
	v_cmp_ne_u32_e32 vcc, s0, v0
	ds_read_b128 v[30:33], v1
	ds_read_b128 v[22:25], v1 offset:16
	ds_read_b128 v[18:21], v1 offset:32
	ds_read_b128 v[14:17], v1 offset:48
	ds_read_b128 v[10:13], v1 offset:64
	ds_read_b128 v[6:9], v1 offset:80
	ds_read_b128 v[2:5], v1 offset:96
	s_waitcnt lgkmcnt(0)
	ds_write_b64 v26, v[30:31] offset:30720
	s_waitcnt lgkmcnt(0)
	s_barrier
	s_and_saveexec_b64 s[0:1], vcc
	s_cbranch_execz .LBB436_83
; %bb.82:
	s_waitcnt vmcnt(0)
	ds_read_b64 v[64:65], v60 offset:30728
.LBB436_83:
	s_or_b64 exec, exec, s[0:1]
	v_lshl_add_u64 v[26:27], v[62:63], 0, v[60:61]
	v_add_co_u32_e32 v28, vcc, s9, v26
	s_waitcnt lgkmcnt(0)
	s_nop 0
	v_addc_co_u32_e32 v29, vcc, 0, v27, vcc
	s_barrier
	flat_load_dwordx2 v[34:35], v[26:27]
	flat_load_dwordx2 v[36:37], v[26:27] offset:2048
	flat_load_dwordx2 v[38:39], v[28:29]
	flat_load_dwordx2 v[40:41], v[28:29] offset:2048
	v_add_co_u32_e32 v28, vcc, s8, v26
	v_cmp_eq_u64_e64 s[0:1], v[30:31], v[32:33]
	s_nop 0
	v_addc_co_u32_e32 v29, vcc, 0, v27, vcc
	v_add_co_u32_e32 v42, vcc, s7, v26
	s_nop 1
	v_addc_co_u32_e32 v43, vcc, 0, v27, vcc
	flat_load_dwordx2 v[44:45], v[28:29]
	flat_load_dwordx2 v[46:47], v[28:29] offset:2048
	flat_load_dwordx2 v[48:49], v[42:43]
	flat_load_dwordx2 v[50:51], v[42:43] offset:2048
	v_add_co_u32_e32 v28, vcc, s6, v26
	s_nop 1
	v_addc_co_u32_e32 v29, vcc, 0, v27, vcc
	v_add_co_u32_e32 v42, vcc, s5, v26
	s_nop 1
	v_addc_co_u32_e32 v43, vcc, 0, v27, vcc
	v_add_co_u32_e32 v26, vcc, s4, v26
	flat_load_dwordx2 v[52:53], v[28:29]
	flat_load_dwordx2 v[56:57], v[28:29] offset:2048
	flat_load_dwordx2 v[58:59], v[42:43]
	flat_load_dwordx2 v[62:63], v[42:43] offset:2048
	v_addc_co_u32_e32 v27, vcc, 0, v27, vcc
	flat_load_dwordx2 v[28:29], v[26:27]
	flat_load_dwordx2 v[42:43], v[26:27] offset:2048
	v_cmp_ne_u64_e32 vcc, v[30:31], v[32:33]
	s_waitcnt vmcnt(0) lgkmcnt(0)
	ds_write2st64_b64 v60, v[34:35], v[36:37] offset1:4
	ds_write2st64_b64 v60, v[38:39], v[40:41] offset0:8 offset1:12
	ds_write2st64_b64 v60, v[44:45], v[46:47] offset0:16 offset1:20
	;; [unrolled: 1-line block ×6, first 2 shown]
	s_waitcnt lgkmcnt(0)
	s_barrier
	ds_read2_b64 v[50:53], v1 offset0:1 offset1:2
	ds_read2_b64 v[46:49], v1 offset0:3 offset1:4
	;; [unrolled: 1-line block ×6, first 2 shown]
	ds_read_b64 v[62:63], v1 offset:104
	v_mov_b64_e32 v[56:57], s[56:57]
	s_and_saveexec_b64 s[4:5], s[0:1]
	s_cbranch_execz .LBB436_85
; %bb.84:
	ds_read_b64 v[56:57], v1
.LBB436_85:
	s_or_b64 exec, exec, s[4:5]
	v_cmp_ne_u64_e64 s[6:7], v[18:19], v[20:21]
	v_cmp_ne_u64_e64 s[20:21], v[8:9], v[2:3]
	;; [unrolled: 1-line block ×3, first 2 shown]
	v_mov_b32_e32 v2, s57
	v_mov_b32_e32 v3, s56
	v_cndmask_b32_e64 v1, 0, 1, vcc
	v_cmp_ne_u64_e32 vcc, v[32:33], v[22:23]
	v_cmp_ne_u64_e64 s[0:1], v[22:23], v[24:25]
	v_cmp_ne_u64_e64 s[4:5], v[24:25], v[18:19]
	v_cndmask_b32_e64 v72, 0, 1, s[6:7]
	v_cmp_ne_u64_e64 s[8:9], v[20:21], v[14:15]
	v_cmp_ne_u64_e64 s[10:11], v[14:15], v[16:17]
	;; [unrolled: 1-line block ×6, first 2 shown]
	s_waitcnt lgkmcnt(5)
	v_cndmask_b32_e64 v49, v49, v2, s[6:7]
	v_cndmask_b32_e64 v48, v48, v3, s[6:7]
	v_cmp_ne_u64_e64 s[6:7], v[4:5], v[64:65]
	v_cndmask_b32_e64 v68, 0, 1, vcc
	v_cndmask_b32_e64 v69, 0, 1, s[0:1]
	v_cndmask_b32_e64 v70, 0, 1, s[4:5]
	;; [unrolled: 1-line block ×10, first 2 shown]
	v_cndmask_b32_e32 v31, v51, v2, vcc
	v_cndmask_b32_e32 v30, v50, v3, vcc
	v_cndmask_b32_e64 v51, v53, v2, s[0:1]
	v_cndmask_b32_e64 v50, v52, v3, s[0:1]
	v_cndmask_b32_e64 v47, v47, v2, s[4:5]
	v_cndmask_b32_e64 v46, v46, v3, s[4:5]
	s_waitcnt lgkmcnt(4)
	v_cndmask_b32_e64 v43, v43, v2, s[8:9]
	v_cndmask_b32_e64 v42, v42, v3, s[8:9]
	v_cndmask_b32_e64 v45, v45, v2, s[10:11]
	v_cndmask_b32_e64 v44, v44, v3, s[10:11]
	s_waitcnt lgkmcnt(3)
	;; [unrolled: 5-line block ×5, first 2 shown]
	v_cndmask_b32_e64 v67, v63, v2, s[6:7]
	v_cndmask_b32_e64 v66, v62, v3, s[6:7]
	s_mov_b64 s[8:9], -1
                                        ; implicit-def: $sgpr52
                                        ; implicit-def: $sgpr4_sgpr5
.LBB436_86:
	v_mov_b64_e32 v[28:29], s[4:5]
	v_mov_b32_e32 v61, s52
	s_and_saveexec_b64 s[0:1], s[8:9]
; %bb.87:
	v_cndmask_b32_e64 v61, 0, 1, s[6:7]
	v_mov_b64_e32 v[28:29], v[66:67]
; %bb.88:
	s_or_b64 exec, exec, s[0:1]
	v_or_b32_e32 v2, v61, v71
	s_cmp_lg_u32 s43, 0
	v_or_b32_e32 v65, v2, v79
	v_mbcnt_lo_u32_b32 v64, -1, 0
	s_barrier
	s_cbranch_scc0 .LBB436_171
; %bb.89:
	v_mov_b32_e32 v4, 0
	v_cmp_eq_u16_sdwa s[4:5], v68, v4 src0_sel:BYTE_0 src1_sel:DWORD
	v_cmp_eq_u16_sdwa s[6:7], v69, v4 src0_sel:BYTE_0 src1_sel:DWORD
	;; [unrolled: 1-line block ×3, first 2 shown]
	v_cndmask_b32_e64 v3, 0, v57, s[4:5]
	v_cndmask_b32_e64 v2, 0, v56, s[4:5]
	v_lshl_add_u64 v[2:3], v[2:3], 0, v[30:31]
	v_cndmask_b32_e64 v3, 0, v3, s[6:7]
	v_cndmask_b32_e64 v2, 0, v2, s[6:7]
	v_lshl_add_u64 v[2:3], v[2:3], 0, v[50:51]
	;; [unrolled: 3-line block ×3, first 2 shown]
	v_cmp_eq_u16_sdwa s[10:11], v72, v4 src0_sel:BYTE_0 src1_sel:DWORD
	v_cmp_eq_u16_sdwa s[12:13], v73, v4 src0_sel:BYTE_0 src1_sel:DWORD
	v_cmp_eq_u16_sdwa s[14:15], v74, v4 src0_sel:BYTE_0 src1_sel:DWORD
	v_cndmask_b32_e64 v3, 0, v3, s[10:11]
	v_cndmask_b32_e64 v2, 0, v2, s[10:11]
	v_lshl_add_u64 v[2:3], v[2:3], 0, v[48:49]
	v_cndmask_b32_e64 v3, 0, v3, s[12:13]
	v_cndmask_b32_e64 v2, 0, v2, s[12:13]
	v_lshl_add_u64 v[2:3], v[2:3], 0, v[42:43]
	;; [unrolled: 3-line block ×3, first 2 shown]
	v_cmp_eq_u16_sdwa s[16:17], v75, v4 src0_sel:BYTE_0 src1_sel:DWORD
	v_cmp_eq_u16_sdwa s[18:19], v76, v4 src0_sel:BYTE_0 src1_sel:DWORD
	;; [unrolled: 1-line block ×3, first 2 shown]
	v_cndmask_b32_e64 v3, 0, v3, s[16:17]
	v_cndmask_b32_e64 v2, 0, v2, s[16:17]
	v_lshl_add_u64 v[2:3], v[2:3], 0, v[38:39]
	v_cndmask_b32_e64 v3, 0, v3, s[18:19]
	v_cndmask_b32_e64 v2, 0, v2, s[18:19]
	v_cmp_eq_u16_sdwa s[22:23], v78, v4 src0_sel:BYTE_0 src1_sel:DWORD
	v_cmp_eq_u16_sdwa s[24:25], v79, v4 src0_sel:BYTE_0 src1_sel:DWORD
	;; [unrolled: 1-line block ×3, first 2 shown]
	v_cmp_eq_u16_sdwa vcc, v61, v4 src0_sel:BYTE_0 src1_sel:DWORD
	v_or_b32_e32 v4, v65, v78
	v_lshl_add_u64 v[2:3], v[2:3], 0, v[40:41]
	v_or_b32_e32 v4, v4, v77
	v_cndmask_b32_e64 v3, 0, v3, s[20:21]
	v_cndmask_b32_e64 v2, 0, v2, s[20:21]
	v_or_b32_e32 v4, v4, v76
	v_lshl_add_u64 v[2:3], v[2:3], 0, v[52:53]
	v_or_b32_e32 v4, v4, v75
	v_cndmask_b32_e64 v3, 0, v3, s[22:23]
	v_cndmask_b32_e64 v2, 0, v2, s[22:23]
	;; [unrolled: 5-line block ×4, first 2 shown]
	v_or_b32_e32 v4, v4, v69
	v_lshl_add_u64 v[2:3], v[2:3], 0, v[34:35]
	v_or_b32_e32 v4, v4, v68
	v_cndmask_b32_e32 v3, 0, v3, vcc
	v_cndmask_b32_e32 v2, 0, v2, vcc
	v_or_b32_e32 v4, v4, v1
	v_mbcnt_hi_u32_b32 v9, -1, v64
	v_lshl_add_u64 v[2:3], v[2:3], 0, v[28:29]
	v_and_b32_e32 v8, 1, v4
	v_and_b32_e32 v5, 15, v9
	v_cmp_eq_u32_e32 vcc, 1, v8
	v_mov_b32_dpp v7, v2 row_shr:1 row_mask:0xf bank_mask:0xf
	v_mov_b32_dpp v10, v3 row_shr:1 row_mask:0xf bank_mask:0xf
	;; [unrolled: 1-line block ×3, first 2 shown]
	v_cmp_ne_u32_e64 s[0:1], 0, v5
	v_mov_b32_e32 v4, v8
	s_and_saveexec_b64 s[28:29], s[0:1]
; %bb.90:
	v_and_b32_e32 v4, 1, v6
	v_cndmask_b32_e64 v11, v10, 0, vcc
	v_cndmask_b32_e64 v10, v7, 0, vcc
	v_or_b32_e32 v8, v4, v8
	v_lshl_add_u64 v[2:3], v[10:11], 0, v[2:3]
	v_and_b32_e32 v4, 0xffff, v8
; %bb.91:
	s_or_b64 exec, exec, s[28:29]
	v_mov_b32_dpp v7, v2 row_shr:2 row_mask:0xf bank_mask:0xf
	v_mov_b32_dpp v10, v3 row_shr:2 row_mask:0xf bank_mask:0xf
	;; [unrolled: 1-line block ×3, first 2 shown]
	v_cmp_lt_u32_e32 vcc, 1, v5
	s_and_saveexec_b64 s[28:29], vcc
; %bb.92:
	v_cmp_eq_u16_e32 vcc, 0, v8
	v_and_b32_e32 v4, 1, v8
	s_nop 0
	v_cndmask_b32_e32 v11, 0, v10, vcc
	v_cndmask_b32_e32 v10, 0, v7, vcc
	v_cmp_eq_u32_e32 vcc, 1, v4
	v_and_b32_e32 v4, 1, v6
	v_cmp_eq_u32_e64 s[0:1], 1, v4
	s_or_b64 s[0:1], vcc, s[0:1]
	v_lshl_add_u64 v[2:3], v[10:11], 0, v[2:3]
	v_cndmask_b32_e64 v8, 0, 1, s[0:1]
	v_cndmask_b32_e64 v4, 0, 1, s[0:1]
; %bb.93:
	s_or_b64 exec, exec, s[28:29]
	v_mov_b32_dpp v7, v2 row_shr:4 row_mask:0xf bank_mask:0xf
	v_mov_b32_dpp v10, v3 row_shr:4 row_mask:0xf bank_mask:0xf
	;; [unrolled: 1-line block ×3, first 2 shown]
	v_cmp_lt_u32_e32 vcc, 3, v5
	s_and_saveexec_b64 s[28:29], vcc
; %bb.94:
	v_cmp_eq_u16_e32 vcc, 0, v8
	v_and_b32_e32 v4, 1, v8
	s_nop 0
	v_cndmask_b32_e32 v11, 0, v10, vcc
	v_cndmask_b32_e32 v10, 0, v7, vcc
	v_cmp_eq_u32_e32 vcc, 1, v4
	v_and_b32_e32 v4, 1, v6
	v_cmp_eq_u32_e64 s[0:1], 1, v4
	s_or_b64 s[0:1], vcc, s[0:1]
	v_lshl_add_u64 v[2:3], v[10:11], 0, v[2:3]
	v_cndmask_b32_e64 v8, 0, 1, s[0:1]
	v_cndmask_b32_e64 v4, 0, 1, s[0:1]
; %bb.95:
	s_or_b64 exec, exec, s[28:29]
	v_mov_b32_dpp v7, v2 row_shr:8 row_mask:0xf bank_mask:0xf
	v_mov_b32_dpp v10, v3 row_shr:8 row_mask:0xf bank_mask:0xf
	;; [unrolled: 1-line block ×3, first 2 shown]
	v_cmp_lt_u32_e32 vcc, 7, v5
	s_and_saveexec_b64 s[28:29], vcc
; %bb.96:
	v_cmp_eq_u16_e32 vcc, 0, v8
	s_nop 1
	v_cndmask_b32_e32 v5, 0, v10, vcc
	v_cndmask_b32_e32 v4, 0, v7, vcc
	v_lshl_add_u64 v[2:3], v[4:5], 0, v[2:3]
	v_and_b32_e32 v4, 1, v8
	v_cmp_eq_u32_e32 vcc, 1, v4
	v_and_b32_e32 v4, 1, v6
	v_cmp_eq_u32_e64 s[0:1], 1, v4
	s_or_b64 s[0:1], vcc, s[0:1]
	s_nop 0
	v_cndmask_b32_e64 v8, 0, 1, s[0:1]
	v_cndmask_b32_e64 v4, 0, 1, s[0:1]
; %bb.97:
	s_or_b64 exec, exec, s[28:29]
	v_and_b32_e32 v10, 16, v9
	v_mov_b32_dpp v6, v2 row_bcast:15 row_mask:0xf bank_mask:0xf
	v_mov_b32_dpp v7, v3 row_bcast:15 row_mask:0xf bank_mask:0xf
	;; [unrolled: 1-line block ×3, first 2 shown]
	v_cmp_ne_u32_e32 vcc, 0, v10
	s_and_saveexec_b64 s[28:29], vcc
; %bb.98:
	v_cmp_eq_u16_e32 vcc, 0, v8
	v_and_b32_e32 v4, 1, v8
	s_nop 0
	v_cndmask_b32_e32 v7, 0, v7, vcc
	v_cndmask_b32_e32 v6, 0, v6, vcc
	v_cmp_eq_u32_e32 vcc, 1, v4
	v_and_b32_e32 v4, 1, v5
	v_cmp_eq_u32_e64 s[0:1], 1, v4
	s_or_b64 s[0:1], vcc, s[0:1]
	v_lshl_add_u64 v[2:3], v[6:7], 0, v[2:3]
	v_cndmask_b32_e64 v8, 0, 1, s[0:1]
	v_cndmask_b32_e64 v4, 0, 1, s[0:1]
; %bb.99:
	s_or_b64 exec, exec, s[28:29]
	v_mov_b32_dpp v5, v2 row_bcast:31 row_mask:0xf bank_mask:0xf
	v_mov_b32_dpp v6, v3 row_bcast:31 row_mask:0xf bank_mask:0xf
	;; [unrolled: 1-line block ×3, first 2 shown]
	v_cmp_lt_u32_e32 vcc, 31, v9
	s_and_saveexec_b64 s[28:29], vcc
; %bb.100:
	v_cmp_eq_u16_e32 vcc, 0, v8
	v_and_b32_e32 v4, 1, v4
	v_cmp_eq_u32_e64 s[0:1], 1, v4
	v_cndmask_b32_e32 v7, 0, v6, vcc
	v_cndmask_b32_e32 v6, 0, v5, vcc
	v_and_b32_e32 v5, 1, v8
	v_cmp_eq_u32_e32 vcc, 1, v5
	s_or_b64 s[0:1], vcc, s[0:1]
	v_lshl_add_u64 v[2:3], v[6:7], 0, v[2:3]
	v_cndmask_b32_e64 v8, 0, 1, s[0:1]
; %bb.101:
	s_or_b64 exec, exec, s[28:29]
	v_or_b32_e32 v4, 63, v0
	v_lshrrev_b32_e32 v10, 6, v0
	v_cmp_eq_u32_e32 vcc, v4, v0
	s_and_saveexec_b64 s[0:1], vcc
	s_cbranch_execz .LBB436_103
; %bb.102:
	v_lshlrev_b32_e32 v4, 4, v10
	ds_write_b64 v4, v[2:3]
	ds_write_b8 v4, v8 offset:8
.LBB436_103:
	s_or_b64 exec, exec, s[0:1]
	v_cmp_gt_u32_e32 vcc, 4, v0
	s_waitcnt lgkmcnt(0)
	s_barrier
	s_and_saveexec_b64 s[28:29], vcc
	s_cbranch_execz .LBB436_109
; %bb.104:
	v_lshlrev_b32_e32 v6, 4, v0
	ds_read_b64 v[4:5], v6
	ds_read_b32 v7, v6 offset:8
	v_and_b32_e32 v11, 3, v9
	v_cmp_ne_u32_e32 vcc, 0, v11
	s_waitcnt lgkmcnt(1)
	v_mov_b32_dpp v15, v4 row_shr:1 row_mask:0xf bank_mask:0xf
	v_mov_b32_dpp v16, v5 row_shr:1 row_mask:0xf bank_mask:0xf
	s_waitcnt lgkmcnt(0)
	v_mov_b32_dpp v14, v7 row_shr:1 row_mask:0xf bank_mask:0xf
	v_mov_b32_e32 v12, v7
	v_mov_b32_e32 v13, v7
	s_and_saveexec_b64 s[0:1], vcc
; %bb.105:
	v_mov_b32_e32 v12, 0
	v_cmp_eq_u16_sdwa vcc, v7, v12 src0_sel:BYTE_0 src1_sel:DWORD
	s_movk_i32 s44, 0xff00
	s_nop 0
	v_cndmask_b32_e32 v13, 0, v16, vcc
	v_cndmask_b32_e32 v12, 0, v15, vcc
	v_lshl_add_u64 v[4:5], v[12:13], 0, v[4:5]
	v_or_b32_e32 v13, v14, v7
	v_and_b32_e32 v12, 1, v13
	v_and_b32_e32 v13, 1, v13
	v_and_or_b32 v7, v7, s44, v13
; %bb.106:
	s_or_b64 exec, exec, s[0:1]
	v_mov_b32_dpp v14, v4 row_shr:2 row_mask:0xf bank_mask:0xf
	v_mov_b32_dpp v15, v5 row_shr:2 row_mask:0xf bank_mask:0xf
	;; [unrolled: 1-line block ×3, first 2 shown]
	v_cmp_lt_u32_e32 vcc, 1, v11
	s_and_saveexec_b64 s[44:45], vcc
; %bb.107:
	v_mov_b32_e32 v11, 0
	v_cmp_eq_u16_sdwa vcc, v13, v11 src0_sel:BYTE_0 src1_sel:DWORD
	v_and_b32_e32 v11, 1, v13
	v_and_b32_e32 v7, 1, v7
	v_cndmask_b32_e32 v15, 0, v15, vcc
	v_cndmask_b32_e32 v14, 0, v14, vcc
	v_cmp_eq_u32_e32 vcc, 1, v11
	v_cmp_eq_u32_e64 s[0:1], 1, v7
	s_or_b64 s[0:1], vcc, s[0:1]
	v_lshl_add_u64 v[4:5], v[14:15], 0, v[4:5]
	v_cndmask_b32_e64 v12, 0, 1, s[0:1]
; %bb.108:
	s_or_b64 exec, exec, s[44:45]
	ds_write_b64 v6, v[4:5]
	ds_write_b8 v6, v12 offset:8
.LBB436_109:
	s_or_b64 exec, exec, s[28:29]
	v_cmp_gt_u32_e32 vcc, 64, v0
	v_cmp_lt_u32_e64 s[0:1], 63, v0
	v_mov_b32_e32 v16, 0
	v_mov_b64_e32 v[6:7], 0
	s_waitcnt lgkmcnt(0)
	s_barrier
	s_and_saveexec_b64 s[28:29], s[0:1]
	s_cbranch_execz .LBB436_111
; %bb.110:
	v_lshl_add_u32 v4, v10, 4, -16
	ds_read_b64 v[6:7], v4
	ds_read_u8 v16, v4 offset:8
	v_cmp_eq_u16_e64 s[0:1], 0, v8
	s_waitcnt lgkmcnt(0)
	v_or_b32_e32 v8, v8, v16
	v_cndmask_b32_e64 v5, 0, v7, s[0:1]
	v_cndmask_b32_e64 v4, 0, v6, s[0:1]
	v_lshl_add_u64 v[2:3], v[2:3], 0, v[4:5]
	v_and_b32_e32 v8, 1, v8
.LBB436_111:
	s_or_b64 exec, exec, s[28:29]
	v_add_u32_e32 v4, -1, v9
	v_and_b32_e32 v5, 64, v9
	v_cmp_lt_i32_e64 s[0:1], v4, v5
	v_cmp_eq_u32_e64 s[28:29], 0, v9
	s_nop 0
	v_cndmask_b32_e64 v4, v4, v9, s[0:1]
	v_lshlrev_b32_e32 v4, 2, v4
	ds_bpermute_b32 v17, v4, v2
	v_and_b32_e32 v2, 0xffff, v8
	ds_bpermute_b32 v18, v4, v3
	ds_bpermute_b32 v19, v4, v2
	s_and_saveexec_b64 s[44:45], vcc
	s_cbranch_execz .LBB436_158
; %bb.112:
	v_mov_b32_e32 v11, 0
	ds_read2_b64 v[2:5], v11 offset0:6 offset1:7
	s_and_saveexec_b64 s[0:1], s[28:29]
	s_cbranch_execz .LBB436_114
; %bb.113:
	s_add_i32 s46, s43, 64
	s_mov_b32 s47, 0
	s_lshl_b64 s[48:49], s[46:47], 4
	s_add_u32 s48, s36, s48
	s_addc_u32 s49, s37, s49
	s_waitcnt lgkmcnt(0)
	global_store_dword v11, v2, s[48:49] sc1
	global_store_dword v11, v3, s[48:49] offset:4 sc1
	global_store_dword v11, v4, s[48:49] offset:8 sc1
	;; [unrolled: 1-line block ×3, first 2 shown]
	v_mov_b32_e32 v5, s46
	v_mov_b32_e32 v8, 1
	s_waitcnt vmcnt(0)
	global_store_byte v5, v8, s[40:41] sc1
.LBB436_114:
	s_or_b64 exec, exec, s[0:1]
	v_xad_u32 v8, v9, -1, s43
	v_add_u32_e32 v10, 64, v8
	s_waitcnt lgkmcnt(0)
	global_load_ubyte v5, v10, s[40:41] sc1
	s_waitcnt vmcnt(0)
	v_cmp_eq_u16_e32 vcc, 0, v5
	s_and_saveexec_b64 s[0:1], vcc
	s_cbranch_execz .LBB436_120
; %bb.115:
	v_lshl_add_u64 v[12:13], s[40:41], 0, v[10:11]
	s_mov_b32 s48, 1
	s_mov_b64 s[46:47], 0
.LBB436_116:                            ; =>This Loop Header: Depth=1
                                        ;     Child Loop BB436_117 Depth 2
	s_max_u32 s49, s48, 1
.LBB436_117:                            ;   Parent Loop BB436_116 Depth=1
                                        ; =>  This Inner Loop Header: Depth=2
	s_add_i32 s49, s49, -1
	s_cmp_eq_u32 s49, 0
	s_sleep 1
	s_cbranch_scc0 .LBB436_117
; %bb.118:                              ;   in Loop: Header=BB436_116 Depth=1
	global_load_ubyte v5, v[12:13], off sc1
	s_cmp_lt_u32 s48, 32
	s_cselect_b64 s[52:53], -1, 0
	s_cmp_lg_u64 s[52:53], 0
	s_addc_u32 s48, s48, 0
	s_waitcnt vmcnt(0)
	v_cmp_ne_u16_e32 vcc, 0, v5
	s_or_b64 s[46:47], vcc, s[46:47]
	s_andn2_b64 exec, exec, s[46:47]
	s_cbranch_execnz .LBB436_116
; %bb.119:
	s_or_b64 exec, exec, s[46:47]
.LBB436_120:
	s_or_b64 exec, exec, s[0:1]
	v_mov_b32_e32 v12, s39
	v_mov_b32_e32 v13, s37
	v_cmp_eq_u16_e32 vcc, 1, v5
	v_mov_b32_e32 v14, s36
	s_waitcnt vmcnt(0)
	v_cndmask_b32_e32 v13, v12, v13, vcc
	v_mov_b32_e32 v12, s38
	v_cndmask_b32_e32 v12, v12, v14, vcc
	v_lshl_add_u64 v[10:11], v[10:11], 4, v[12:13]
	global_load_dword v14, v[10:11], off sc1
	global_load_dword v15, v[10:11], off offset:4 sc1
	global_load_dword v80, v[10:11], off offset:8 sc1
	s_nop 0
	global_load_dword v10, v[10:11], off offset:12 sc1
	v_cmp_eq_u16_e32 vcc, 2, v5
	s_waitcnt vmcnt(0)
	v_lshlrev_b64 v[10:11], v9, -1
	v_and_b32_e32 v20, 63, v9
	v_and_b32_e32 v12, vcc_hi, v11
	v_and_b32_e32 v25, vcc_lo, v10
	v_cmp_ne_u32_e32 vcc, 63, v20
	v_or_b32_e32 v12, 0x80000000, v12
	v_ffbl_b32_e32 v12, v12
	v_addc_co_u32_e32 v13, vcc, 0, v9, vcc
	v_lshlrev_b32_e32 v21, 2, v13
	v_add_u32_e32 v12, 32, v12
	v_ffbl_b32_e32 v25, v25
	v_min_u32_e32 v12, v25, v12
	v_cmp_lt_u32_e32 vcc, v20, v12
	ds_bpermute_b32 v23, v21, v14
	ds_bpermute_b32 v24, v21, v15
	v_and_b32_e32 v13, 0xff, v80
	ds_bpermute_b32 v22, v21, v13
	s_and_saveexec_b64 s[0:1], vcc
	s_cbranch_execz .LBB436_122
; %bb.121:
	v_mov_b32_e32 v13, 0
	v_cmp_eq_u16_sdwa vcc, v80, v13 src0_sel:BYTE_0 src1_sel:DWORD
	s_waitcnt lgkmcnt(0)
	v_or_b32_e32 v13, v22, v80
	v_and_b32_e32 v80, 1, v13
	v_cndmask_b32_e32 v25, 0, v24, vcc
	v_cndmask_b32_e32 v24, 0, v23, vcc
	v_lshl_add_u64 v[14:15], v[24:25], 0, v[14:15]
	v_and_b32_e32 v13, 1, v13
.LBB436_122:
	s_or_b64 exec, exec, s[0:1]
	v_cmp_gt_u32_e32 vcc, 62, v20
	s_waitcnt lgkmcnt(2)
	v_add_u32_e32 v23, 2, v20
	s_waitcnt lgkmcnt(0)
	v_cndmask_b32_e64 v22, 0, 1, vcc
	v_lshlrev_b32_e32 v22, 1, v22
	v_add_lshl_u32 v22, v22, v9, 2
	ds_bpermute_b32 v25, v22, v14
	ds_bpermute_b32 v26, v22, v15
	ds_bpermute_b32 v24, v22, v13
	v_cmp_le_u32_e32 vcc, v23, v12
	s_and_saveexec_b64 s[46:47], vcc
	s_cbranch_execz .LBB436_124
; %bb.123:
	v_mov_b32_e32 v13, 0
	v_cmp_eq_u16_sdwa vcc, v80, v13 src0_sel:BYTE_0 src1_sel:DWORD
	v_and_b32_e32 v13, 1, v80
	s_waitcnt lgkmcnt(1)
	v_cndmask_b32_e32 v27, 0, v26, vcc
	v_cndmask_b32_e32 v26, 0, v25, vcc
	v_cmp_eq_u32_e32 vcc, 1, v13
	s_waitcnt lgkmcnt(0)
	v_and_b32_e32 v13, 1, v24
	v_cmp_eq_u32_e64 s[0:1], 1, v13
	s_or_b64 s[0:1], vcc, s[0:1]
	v_lshl_add_u64 v[14:15], v[26:27], 0, v[14:15]
	v_cndmask_b32_e64 v80, 0, 1, s[0:1]
	v_cndmask_b32_e64 v13, 0, 1, s[0:1]
.LBB436_124:
	s_or_b64 exec, exec, s[46:47]
	v_cmp_gt_u32_e32 vcc, 60, v20
	s_waitcnt lgkmcnt(2)
	v_add_u32_e32 v25, 4, v20
	s_waitcnt lgkmcnt(0)
	v_cndmask_b32_e64 v24, 0, 1, vcc
	v_lshlrev_b32_e32 v24, 2, v24
	v_add_lshl_u32 v24, v24, v9, 2
	ds_bpermute_b32 v27, v24, v14
	ds_bpermute_b32 v32, v24, v15
	ds_bpermute_b32 v26, v24, v13
	v_cmp_le_u32_e32 vcc, v25, v12
	s_and_saveexec_b64 s[46:47], vcc
	s_cbranch_execz .LBB436_126
; %bb.125:
	v_mov_b32_e32 v13, 0
	v_cmp_eq_u16_sdwa vcc, v80, v13 src0_sel:BYTE_0 src1_sel:DWORD
	v_and_b32_e32 v13, 1, v80
	s_waitcnt lgkmcnt(1)
	v_cndmask_b32_e32 v33, 0, v32, vcc
	v_cndmask_b32_e32 v32, 0, v27, vcc
	v_cmp_eq_u32_e32 vcc, 1, v13
	s_waitcnt lgkmcnt(0)
	v_and_b32_e32 v13, 1, v26
	v_cmp_eq_u32_e64 s[0:1], 1, v13
	s_or_b64 s[0:1], vcc, s[0:1]
	v_lshl_add_u64 v[14:15], v[32:33], 0, v[14:15]
	v_cndmask_b32_e64 v80, 0, 1, s[0:1]
	v_cndmask_b32_e64 v13, 0, 1, s[0:1]
.LBB436_126:
	;; [unrolled: 30-line block ×4, first 2 shown]
	s_or_b64 exec, exec, s[46:47]
	v_cmp_gt_u32_e32 vcc, 32, v20
	s_waitcnt lgkmcnt(1)
	v_add_u32_e32 v66, 32, v20
	s_waitcnt lgkmcnt(0)
	v_cndmask_b32_e64 v62, 0, 1, vcc
	v_lshlrev_b32_e32 v62, 5, v62
	v_add_lshl_u32 v63, v62, v9, 2
	ds_bpermute_b32 v62, v63, v14
	ds_bpermute_b32 v67, v63, v15
	;; [unrolled: 1-line block ×3, first 2 shown]
	v_cmp_le_u32_e32 vcc, v66, v12
	s_and_saveexec_b64 s[46:47], vcc
	s_cbranch_execz .LBB436_132
; %bb.131:
	v_mov_b32_e32 v12, 0
	v_cmp_eq_u16_sdwa vcc, v80, v12 src0_sel:BYTE_0 src1_sel:DWORD
	s_waitcnt lgkmcnt(0)
	v_and_b32_e32 v9, 1, v9
	v_cmp_eq_u32_e64 s[0:1], 1, v9
	v_cndmask_b32_e32 v13, 0, v67, vcc
	v_cndmask_b32_e32 v12, 0, v62, vcc
	v_lshl_add_u64 v[14:15], v[12:13], 0, v[14:15]
	v_and_b32_e32 v12, 1, v80
	v_cmp_eq_u32_e32 vcc, 1, v12
	s_or_b64 s[0:1], vcc, s[0:1]
	v_cndmask_b32_e64 v80, 0, 1, s[0:1]
.LBB436_132:
	s_or_b64 exec, exec, s[46:47]
	s_waitcnt lgkmcnt(0)
	v_mov_b32_e32 v9, 0
	v_mov_b32_e32 v67, 2
	s_branch .LBB436_134
.LBB436_133:                            ;   in Loop: Header=BB436_134 Depth=1
	s_or_b64 exec, exec, s[48:49]
	v_cmp_eq_u16_sdwa vcc, v62, v9 src0_sel:BYTE_0 src1_sel:DWORD
	v_and_b32_e32 v80, 1, v62
	v_subrev_u32_e32 v8, 64, v8
	v_cndmask_b32_e32 v15, 0, v15, vcc
	v_cndmask_b32_e32 v14, 0, v14, vcc
	v_cmp_eq_u32_e32 vcc, 1, v80
	s_or_b64 s[0:1], vcc, s[46:47]
	v_lshl_add_u64 v[14:15], v[14:15], 0, v[12:13]
	v_cndmask_b32_e64 v80, 0, 1, s[0:1]
.LBB436_134:                            ; =>This Loop Header: Depth=1
                                        ;     Child Loop BB436_137 Depth 2
                                        ;       Child Loop BB436_138 Depth 3
	v_cmp_ne_u16_sdwa s[0:1], v5, v67 src0_sel:BYTE_0 src1_sel:DWORD
	v_mov_b32_e32 v62, v80
	v_mov_b64_e32 v[12:13], v[14:15]
	v_cndmask_b32_e64 v5, 0, 1, s[0:1]
	;;#ASMSTART
	;;#ASMEND
	s_nop 0
	v_cmp_ne_u32_e32 vcc, 0, v5
	s_cmp_lg_u64 vcc, exec
	s_cbranch_scc1 .LBB436_153
; %bb.135:                              ;   in Loop: Header=BB436_134 Depth=1
	global_load_ubyte v5, v8, s[40:41] sc1
	s_waitcnt vmcnt(0)
	v_cmp_eq_u16_e32 vcc, 0, v5
	s_and_saveexec_b64 s[0:1], vcc
	s_cbranch_execz .LBB436_141
; %bb.136:                              ;   in Loop: Header=BB436_134 Depth=1
	v_lshl_add_u64 v[14:15], s[40:41], 0, v[8:9]
	s_mov_b32 s48, 1
	s_mov_b64 s[46:47], 0
.LBB436_137:                            ;   Parent Loop BB436_134 Depth=1
                                        ; =>  This Loop Header: Depth=2
                                        ;       Child Loop BB436_138 Depth 3
	s_max_u32 s49, s48, 1
.LBB436_138:                            ;   Parent Loop BB436_134 Depth=1
                                        ;     Parent Loop BB436_137 Depth=2
                                        ; =>    This Inner Loop Header: Depth=3
	s_add_i32 s49, s49, -1
	s_cmp_eq_u32 s49, 0
	s_sleep 1
	s_cbranch_scc0 .LBB436_138
; %bb.139:                              ;   in Loop: Header=BB436_137 Depth=2
	global_load_ubyte v5, v[14:15], off sc1
	s_cmp_lt_u32 s48, 32
	s_cselect_b64 s[52:53], -1, 0
	s_cmp_lg_u64 s[52:53], 0
	s_addc_u32 s48, s48, 0
	s_waitcnt vmcnt(0)
	v_cmp_ne_u16_e32 vcc, 0, v5
	s_or_b64 s[46:47], vcc, s[46:47]
	s_andn2_b64 exec, exec, s[46:47]
	s_cbranch_execnz .LBB436_137
; %bb.140:                              ;   in Loop: Header=BB436_134 Depth=1
	s_or_b64 exec, exec, s[46:47]
.LBB436_141:                            ;   in Loop: Header=BB436_134 Depth=1
	s_or_b64 exec, exec, s[0:1]
	v_mov_b32_e32 v14, s39
	v_mov_b32_e32 v15, s37
	v_cmp_eq_u16_e32 vcc, 1, v5
	v_mov_b32_e32 v80, s36
	s_waitcnt vmcnt(0)
	v_cndmask_b32_e32 v15, v14, v15, vcc
	v_mov_b32_e32 v14, s38
	v_cndmask_b32_e32 v14, v14, v80, vcc
	s_waitcnt lgkmcnt(0)
	v_lshl_add_u64 v[82:83], v[8:9], 4, v[14:15]
	global_load_dword v14, v[82:83], off sc1
	global_load_dword v15, v[82:83], off offset:4 sc1
	global_load_dword v80, v[82:83], off offset:8 sc1
	global_load_dword v81, v[82:83], off offset:12 sc1
	v_cmp_eq_u16_e32 vcc, 2, v5
	s_waitcnt vmcnt(3)
	ds_bpermute_b32 v84, v21, v14
	s_waitcnt vmcnt(0)
	v_and_b32_e32 v81, vcc_hi, v11
	v_and_b32_e32 v82, 0xff, v80
	v_or_b32_e32 v81, 0x80000000, v81
	ds_bpermute_b32 v85, v21, v15
	ds_bpermute_b32 v83, v21, v82
	v_and_b32_e32 v86, vcc_lo, v10
	v_ffbl_b32_e32 v81, v81
	v_add_u32_e32 v81, 32, v81
	v_ffbl_b32_e32 v86, v86
	v_min_u32_e32 v81, v86, v81
	v_cmp_lt_u32_e32 vcc, v20, v81
	s_and_saveexec_b64 s[0:1], vcc
	s_cbranch_execz .LBB436_143
; %bb.142:                              ;   in Loop: Header=BB436_134 Depth=1
	v_cmp_eq_u16_sdwa vcc, v80, v9 src0_sel:BYTE_0 src1_sel:DWORD
	s_waitcnt lgkmcnt(0)
	v_or_b32_e32 v82, v83, v80
	v_and_b32_e32 v80, 1, v82
	v_cndmask_b32_e32 v85, 0, v85, vcc
	v_cndmask_b32_e32 v84, 0, v84, vcc
	v_lshl_add_u64 v[14:15], v[84:85], 0, v[14:15]
	v_and_b32_e32 v82, 1, v82
.LBB436_143:                            ;   in Loop: Header=BB436_134 Depth=1
	s_or_b64 exec, exec, s[0:1]
	s_waitcnt lgkmcnt(2)
	ds_bpermute_b32 v84, v22, v14
	s_waitcnt lgkmcnt(2)
	ds_bpermute_b32 v85, v22, v15
	;; [unrolled: 2-line block ×3, first 2 shown]
	v_and_b32_e32 v86, 1, v80
	v_cmp_le_u32_e32 vcc, v23, v81
	v_cmp_eq_u32_e64 s[46:47], 1, v86
	s_and_saveexec_b64 s[0:1], vcc
	s_cbranch_execz .LBB436_145
; %bb.144:                              ;   in Loop: Header=BB436_134 Depth=1
	v_cmp_eq_u16_sdwa vcc, v80, v9 src0_sel:BYTE_0 src1_sel:DWORD
	s_waitcnt lgkmcnt(0)
	v_and_b32_e32 v80, 1, v83
	v_cndmask_b32_e32 v85, 0, v85, vcc
	v_cndmask_b32_e32 v84, 0, v84, vcc
	v_cmp_eq_u32_e32 vcc, 1, v80
	s_or_b64 s[48:49], s[46:47], vcc
	v_cndmask_b32_e64 v80, 0, 1, s[48:49]
	v_cndmask_b32_e64 v82, 0, 1, s[48:49]
	s_andn2_b64 s[46:47], s[46:47], exec
	s_and_b64 s[48:49], s[48:49], exec
	v_lshl_add_u64 v[14:15], v[84:85], 0, v[14:15]
	s_or_b64 s[46:47], s[46:47], s[48:49]
.LBB436_145:                            ;   in Loop: Header=BB436_134 Depth=1
	s_or_b64 exec, exec, s[0:1]
	s_waitcnt lgkmcnt(2)
	ds_bpermute_b32 v84, v24, v14
	s_waitcnt lgkmcnt(2)
	ds_bpermute_b32 v85, v24, v15
	s_waitcnt lgkmcnt(2)
	ds_bpermute_b32 v83, v24, v82
	v_cmp_le_u32_e32 vcc, v25, v81
	s_and_saveexec_b64 s[48:49], vcc
	s_cbranch_execz .LBB436_147
; %bb.146:                              ;   in Loop: Header=BB436_134 Depth=1
	v_cmp_eq_u16_sdwa vcc, v80, v9 src0_sel:BYTE_0 src1_sel:DWORD
	v_and_b32_e32 v80, 1, v80
	s_andn2_b64 s[46:47], s[46:47], exec
	s_waitcnt lgkmcnt(1)
	v_cndmask_b32_e32 v85, 0, v85, vcc
	v_cndmask_b32_e32 v84, 0, v84, vcc
	v_cmp_eq_u32_e32 vcc, 1, v80
	s_waitcnt lgkmcnt(0)
	v_and_b32_e32 v80, 1, v83
	v_cmp_eq_u32_e64 s[0:1], 1, v80
	s_or_b64 s[0:1], vcc, s[0:1]
	v_lshl_add_u64 v[14:15], v[84:85], 0, v[14:15]
	v_cndmask_b32_e64 v80, 0, 1, s[0:1]
	v_cndmask_b32_e64 v82, 0, 1, s[0:1]
	s_and_b64 s[0:1], s[0:1], exec
	s_or_b64 s[46:47], s[46:47], s[0:1]
.LBB436_147:                            ;   in Loop: Header=BB436_134 Depth=1
	s_or_b64 exec, exec, s[48:49]
	s_waitcnt lgkmcnt(2)
	ds_bpermute_b32 v84, v26, v14
	s_waitcnt lgkmcnt(2)
	ds_bpermute_b32 v85, v26, v15
	s_waitcnt lgkmcnt(2)
	ds_bpermute_b32 v83, v26, v82
	v_cmp_le_u32_e32 vcc, v27, v81
	s_and_saveexec_b64 s[48:49], vcc
	s_cbranch_execz .LBB436_149
; %bb.148:                              ;   in Loop: Header=BB436_134 Depth=1
	v_cmp_eq_u16_sdwa vcc, v80, v9 src0_sel:BYTE_0 src1_sel:DWORD
	v_and_b32_e32 v80, 1, v80
	s_andn2_b64 s[46:47], s[46:47], exec
	s_waitcnt lgkmcnt(1)
	v_cndmask_b32_e32 v85, 0, v85, vcc
	v_cndmask_b32_e32 v84, 0, v84, vcc
	v_cmp_eq_u32_e32 vcc, 1, v80
	s_waitcnt lgkmcnt(0)
	v_and_b32_e32 v80, 1, v83
	v_cmp_eq_u32_e64 s[0:1], 1, v80
	s_or_b64 s[0:1], vcc, s[0:1]
	v_lshl_add_u64 v[14:15], v[84:85], 0, v[14:15]
	v_cndmask_b32_e64 v80, 0, 1, s[0:1]
	v_cndmask_b32_e64 v82, 0, 1, s[0:1]
	s_and_b64 s[0:1], s[0:1], exec
	s_or_b64 s[46:47], s[46:47], s[0:1]
.LBB436_149:                            ;   in Loop: Header=BB436_134 Depth=1
	;; [unrolled: 28-line block ×3, first 2 shown]
	s_or_b64 exec, exec, s[48:49]
	s_waitcnt lgkmcnt(0)
	ds_bpermute_b32 v83, v63, v14
	ds_bpermute_b32 v84, v63, v15
	;; [unrolled: 1-line block ×3, first 2 shown]
	v_cmp_le_u32_e32 vcc, v66, v81
	s_and_saveexec_b64 s[48:49], vcc
	s_cbranch_execz .LBB436_133
; %bb.152:                              ;   in Loop: Header=BB436_134 Depth=1
	v_cmp_eq_u16_sdwa vcc, v80, v9 src0_sel:BYTE_0 src1_sel:DWORD
	v_and_b32_e32 v80, 1, v80
	s_andn2_b64 s[46:47], s[46:47], exec
	s_waitcnt lgkmcnt(1)
	v_cndmask_b32_e32 v85, 0, v84, vcc
	v_cndmask_b32_e32 v84, 0, v83, vcc
	v_cmp_eq_u32_e32 vcc, 1, v80
	s_waitcnt lgkmcnt(0)
	v_and_b32_e32 v80, 1, v82
	v_cmp_eq_u32_e64 s[0:1], 1, v80
	s_or_b64 s[0:1], vcc, s[0:1]
	s_and_b64 s[0:1], s[0:1], exec
	v_lshl_add_u64 v[14:15], v[84:85], 0, v[14:15]
	s_or_b64 s[46:47], s[46:47], s[0:1]
	s_branch .LBB436_133
.LBB436_153:                            ;   in Loop: Header=BB436_134 Depth=1
                                        ; implicit-def: $vgpr80
                                        ; implicit-def: $vgpr14_vgpr15
                                        ; implicit-def: $vgpr5
	s_cbranch_execz .LBB436_134
; %bb.154:
	s_and_saveexec_b64 s[0:1], s[28:29]
	s_cbranch_execz .LBB436_156
; %bb.155:
	s_mov_b32 s37, 0
	v_mov_b32_e32 v5, 0
	s_add_i32 s36, s43, 64
	v_cmp_eq_u32_sdwa vcc, v4, v5 src0_sel:BYTE_0 src1_sel:DWORD
	s_lshl_b64 s[46:47], s[36:37], 4
	v_and_b32_e32 v4, 1, v4
	v_cndmask_b32_e32 v9, 0, v13, vcc
	v_cndmask_b32_e32 v8, 0, v12, vcc
	s_add_u32 s46, s38, s46
	v_lshl_add_u64 v[2:3], v[8:9], 0, v[2:3]
	v_and_b32_e32 v8, 1, v62
	v_cmp_eq_u32_e32 vcc, 1, v4
	s_addc_u32 s47, s39, s47
	s_nop 0
	v_cndmask_b32_e64 v4, v8, 1, vcc
	global_store_dword v5, v2, s[46:47] sc1
	global_store_dword v5, v3, s[46:47] offset:4 sc1
	global_store_dword v5, v4, s[46:47] offset:8 sc1
	;; [unrolled: 1-line block ×3, first 2 shown]
	v_mov_b32_e32 v2, s36
	v_mov_b32_e32 v3, 2
	s_waitcnt vmcnt(0) lgkmcnt(0)
	global_store_byte v2, v3, s[40:41] sc1
.LBB436_156:
	s_or_b64 exec, exec, s[0:1]
	s_and_b64 exec, exec, s[30:31]
	s_cbranch_execz .LBB436_158
; %bb.157:
	v_mov_b32_e32 v2, 0
	ds_write_b64 v2, v[12:13] offset:48
	ds_write_b8 v2, v62 offset:56
.LBB436_158:
	s_or_b64 exec, exec, s[44:45]
	v_mov_b32_e32 v8, 0
	s_waitcnt lgkmcnt(0)
	s_barrier
	ds_read_b64 v[2:3], v8 offset:48
	v_cndmask_b32_e64 v9, v19, v16, s[28:29]
	v_cmp_eq_u16_sdwa vcc, v9, v8 src0_sel:BYTE_0 src1_sel:DWORD
	v_cndmask_b32_e64 v4, v17, v6, s[28:29]
	v_cndmask_b32_e64 v5, v18, v7, s[28:29]
	s_waitcnt lgkmcnt(0)
	v_cndmask_b32_e32 v7, 0, v3, vcc
	v_cndmask_b32_e32 v6, 0, v2, vcc
	v_lshl_add_u64 v[4:5], v[4:5], 0, v[6:7]
	v_cndmask_b32_e64 v3, v5, v3, s[30:31]
	v_cndmask_b32_e64 v2, v4, v2, s[30:31]
	v_cmp_eq_u16_sdwa vcc, v1, v8 src0_sel:BYTE_0 src1_sel:DWORD
	s_nop 1
	v_cndmask_b32_e32 v5, 0, v3, vcc
	v_cndmask_b32_e32 v4, 0, v2, vcc
	v_lshl_add_u64 v[4:5], v[4:5], 0, v[56:57]
	v_cndmask_b32_e64 v7, 0, v5, s[4:5]
	v_cndmask_b32_e64 v6, 0, v4, s[4:5]
	v_lshl_add_u64 v[6:7], v[6:7], 0, v[30:31]
	v_cndmask_b32_e64 v9, 0, v7, s[6:7]
	v_cndmask_b32_e64 v8, 0, v6, s[6:7]
	;; [unrolled: 3-line block ×12, first 2 shown]
	s_branch .LBB436_199
.LBB436_159:
	s_or_b64 exec, exec, s[0:1]
                                        ; implicit-def: $vgpr34_vgpr35
	s_and_saveexec_b64 s[0:1], s[4:5]
	s_cbranch_execz .LBB436_37
.LBB436_160:
	v_mov_b32_e32 v31, 0
	v_lshl_add_u64 v[34:35], v[62:63], 0, v[30:31]
	flat_load_dwordx2 v[34:35], v[34:35] offset:2048
	s_or_b64 exec, exec, s[0:1]
                                        ; implicit-def: $vgpr36_vgpr37
	s_and_saveexec_b64 s[0:1], s[6:7]
	s_cbranch_execnz .LBB436_38
.LBB436_161:
	s_or_b64 exec, exec, s[0:1]
                                        ; implicit-def: $vgpr38_vgpr39
	s_and_saveexec_b64 s[0:1], s[8:9]
	s_cbranch_execz .LBB436_39
.LBB436_162:
	v_lshlrev_b32_e32 v38, 3, v40
	v_mov_b32_e32 v39, 0
	v_lshl_add_u64 v[38:39], v[62:63], 0, v[38:39]
	flat_load_dwordx2 v[38:39], v[38:39]
	s_or_b64 exec, exec, s[0:1]
                                        ; implicit-def: $vgpr40_vgpr41
	s_and_saveexec_b64 s[0:1], s[10:11]
	s_cbranch_execnz .LBB436_40
.LBB436_163:
	s_or_b64 exec, exec, s[0:1]
                                        ; implicit-def: $vgpr42_vgpr43
	s_and_saveexec_b64 s[0:1], s[12:13]
	s_cbranch_execz .LBB436_41
.LBB436_164:
	v_lshlrev_b32_e32 v42, 3, v44
	v_mov_b32_e32 v43, 0
	v_lshl_add_u64 v[42:43], v[62:63], 0, v[42:43]
	flat_load_dwordx2 v[42:43], v[42:43]
	s_or_b64 exec, exec, s[0:1]
                                        ; implicit-def: $vgpr44_vgpr45
	s_and_saveexec_b64 s[0:1], s[14:15]
	s_cbranch_execnz .LBB436_42
.LBB436_165:
	s_or_b64 exec, exec, s[0:1]
                                        ; implicit-def: $vgpr46_vgpr47
	s_and_saveexec_b64 s[0:1], s[16:17]
	s_cbranch_execz .LBB436_43
.LBB436_166:
	v_lshlrev_b32_e32 v46, 3, v48
	v_mov_b32_e32 v47, 0
	v_lshl_add_u64 v[46:47], v[62:63], 0, v[46:47]
	flat_load_dwordx2 v[46:47], v[46:47]
	s_or_b64 exec, exec, s[0:1]
                                        ; implicit-def: $vgpr48_vgpr49
	s_and_saveexec_b64 s[0:1], s[18:19]
	s_cbranch_execnz .LBB436_44
.LBB436_167:
	s_or_b64 exec, exec, s[0:1]
                                        ; implicit-def: $vgpr50_vgpr51
	s_and_saveexec_b64 s[0:1], s[20:21]
	s_cbranch_execz .LBB436_45
.LBB436_168:
	v_lshlrev_b32_e32 v50, 3, v52
	v_mov_b32_e32 v51, 0
	v_lshl_add_u64 v[50:51], v[62:63], 0, v[50:51]
	flat_load_dwordx2 v[50:51], v[50:51]
	s_or_b64 exec, exec, s[0:1]
                                        ; implicit-def: $vgpr52_vgpr53
	s_and_saveexec_b64 s[0:1], s[22:23]
	s_cbranch_execnz .LBB436_46
.LBB436_169:
	s_or_b64 exec, exec, s[0:1]
                                        ; implicit-def: $vgpr56_vgpr57
	s_and_saveexec_b64 s[0:1], s[24:25]
	s_cbranch_execz .LBB436_47
.LBB436_170:
	v_lshlrev_b32_e32 v56, 3, v58
	v_mov_b32_e32 v57, 0
	v_lshl_add_u64 v[56:57], v[62:63], 0, v[56:57]
	flat_load_dwordx2 v[56:57], v[56:57]
	s_or_b64 exec, exec, s[0:1]
                                        ; implicit-def: $vgpr58_vgpr59
	s_and_saveexec_b64 s[0:1], s[26:27]
	s_cbranch_execz .LBB436_49
	s_branch .LBB436_48
.LBB436_171:
                                        ; implicit-def: $vgpr2_vgpr3
                                        ; implicit-def: $vgpr62_vgpr63
                                        ; implicit-def: $vgpr26_vgpr27
                                        ; implicit-def: $vgpr24_vgpr25
                                        ; implicit-def: $vgpr20_vgpr21
                                        ; implicit-def: $vgpr16_vgpr17
                                        ; implicit-def: $vgpr12_vgpr13
                                        ; implicit-def: $vgpr8_vgpr9
	s_cbranch_execz .LBB436_199
; %bb.172:
	s_cmp_lg_u64 s[58:59], 0
	s_cselect_b32 s1, s55, 0
	s_cselect_b32 s0, s54, 0
	s_cmp_eq_u64 s[0:1], 0
	v_mov_b64_e32 v[32:33], s[56:57]
	s_cbranch_scc1 .LBB436_174
; %bb.173:
	v_mov_b32_e32 v2, 0
	global_load_dwordx2 v[32:33], v2, s[0:1]
.LBB436_174:
	v_mov_b32_e32 v4, 0
	v_cmp_eq_u16_sdwa vcc, v68, v4 src0_sel:BYTE_0 src1_sel:DWORD
	v_cmp_eq_u16_sdwa s[4:5], v69, v4 src0_sel:BYTE_0 src1_sel:DWORD
	v_cmp_eq_u16_sdwa s[6:7], v70, v4 src0_sel:BYTE_0 src1_sel:DWORD
	v_cndmask_b32_e32 v3, 0, v57, vcc
	v_cndmask_b32_e32 v2, 0, v56, vcc
	v_lshl_add_u64 v[2:3], v[2:3], 0, v[30:31]
	v_cndmask_b32_e64 v3, 0, v3, s[4:5]
	v_cndmask_b32_e64 v2, 0, v2, s[4:5]
	v_lshl_add_u64 v[2:3], v[2:3], 0, v[50:51]
	v_cndmask_b32_e64 v3, 0, v3, s[6:7]
	v_cndmask_b32_e64 v2, 0, v2, s[6:7]
	v_lshl_add_u64 v[2:3], v[2:3], 0, v[46:47]
	v_cmp_eq_u16_sdwa s[8:9], v72, v4 src0_sel:BYTE_0 src1_sel:DWORD
	v_cmp_eq_u16_sdwa s[10:11], v73, v4 src0_sel:BYTE_0 src1_sel:DWORD
	;; [unrolled: 1-line block ×3, first 2 shown]
	v_cndmask_b32_e64 v3, 0, v3, s[8:9]
	v_cndmask_b32_e64 v2, 0, v2, s[8:9]
	v_lshl_add_u64 v[2:3], v[2:3], 0, v[48:49]
	v_cndmask_b32_e64 v3, 0, v3, s[10:11]
	v_cndmask_b32_e64 v2, 0, v2, s[10:11]
	v_lshl_add_u64 v[2:3], v[2:3], 0, v[42:43]
	;; [unrolled: 3-line block ×3, first 2 shown]
	v_cmp_eq_u16_sdwa s[14:15], v75, v4 src0_sel:BYTE_0 src1_sel:DWORD
	v_cmp_eq_u16_sdwa s[16:17], v76, v4 src0_sel:BYTE_0 src1_sel:DWORD
	;; [unrolled: 1-line block ×3, first 2 shown]
	v_cndmask_b32_e64 v3, 0, v3, s[14:15]
	v_cndmask_b32_e64 v2, 0, v2, s[14:15]
	v_lshl_add_u64 v[2:3], v[2:3], 0, v[38:39]
	v_cndmask_b32_e64 v3, 0, v3, s[16:17]
	v_cndmask_b32_e64 v2, 0, v2, s[16:17]
	v_cmp_eq_u16_sdwa s[20:21], v78, v4 src0_sel:BYTE_0 src1_sel:DWORD
	v_cmp_eq_u16_sdwa s[22:23], v79, v4 src0_sel:BYTE_0 src1_sel:DWORD
	;; [unrolled: 1-line block ×4, first 2 shown]
	v_or_b32_e32 v4, v65, v78
	v_lshl_add_u64 v[2:3], v[2:3], 0, v[40:41]
	v_or_b32_e32 v4, v4, v77
	v_cndmask_b32_e64 v3, 0, v3, s[18:19]
	v_cndmask_b32_e64 v2, 0, v2, s[18:19]
	v_or_b32_e32 v4, v4, v76
	v_lshl_add_u64 v[2:3], v[2:3], 0, v[52:53]
	v_or_b32_e32 v4, v4, v75
	v_cndmask_b32_e64 v3, 0, v3, s[20:21]
	v_cndmask_b32_e64 v2, 0, v2, s[20:21]
	;; [unrolled: 5-line block ×5, first 2 shown]
	v_or_b32_e32 v4, v4, v1
	v_mbcnt_hi_u32_b32 v6, -1, v64
	v_lshl_add_u64 v[2:3], v[2:3], 0, v[28:29]
	v_and_b32_e32 v7, 1, v4
	v_and_b32_e32 v5, 15, v6
	v_cmp_eq_u32_e64 s[0:1], 1, v7
	v_mov_b32_dpp v9, v2 row_shr:1 row_mask:0xf bank_mask:0xf
	v_mov_b32_dpp v10, v3 row_shr:1 row_mask:0xf bank_mask:0xf
	;; [unrolled: 1-line block ×3, first 2 shown]
	v_cmp_ne_u32_e64 s[26:27], 0, v5
	v_mov_b32_e32 v4, v7
	s_and_saveexec_b64 s[28:29], s[26:27]
; %bb.175:
	v_and_b32_e32 v4, 1, v8
	v_cndmask_b32_e64 v11, v10, 0, s[0:1]
	v_cndmask_b32_e64 v10, v9, 0, s[0:1]
	v_or_b32_e32 v7, v4, v7
	v_lshl_add_u64 v[2:3], v[10:11], 0, v[2:3]
	v_and_b32_e32 v4, 0xffff, v7
; %bb.176:
	s_or_b64 exec, exec, s[28:29]
	v_mov_b32_dpp v9, v2 row_shr:2 row_mask:0xf bank_mask:0xf
	v_mov_b32_dpp v10, v3 row_shr:2 row_mask:0xf bank_mask:0xf
	;; [unrolled: 1-line block ×3, first 2 shown]
	v_cmp_lt_u32_e64 s[0:1], 1, v5
	s_and_saveexec_b64 s[28:29], s[0:1]
; %bb.177:
	v_cmp_eq_u16_e64 s[0:1], 0, v7
	v_and_b32_e32 v4, 1, v7
	s_nop 0
	v_cndmask_b32_e64 v11, 0, v10, s[0:1]
	v_cndmask_b32_e64 v10, 0, v9, s[0:1]
	v_cmp_eq_u32_e64 s[0:1], 1, v4
	v_and_b32_e32 v4, 1, v8
	v_cmp_eq_u32_e64 s[26:27], 1, v4
	s_or_b64 s[0:1], s[0:1], s[26:27]
	v_lshl_add_u64 v[2:3], v[10:11], 0, v[2:3]
	v_cndmask_b32_e64 v7, 0, 1, s[0:1]
	v_cndmask_b32_e64 v4, 0, 1, s[0:1]
; %bb.178:
	s_or_b64 exec, exec, s[28:29]
	v_mov_b32_dpp v9, v2 row_shr:4 row_mask:0xf bank_mask:0xf
	v_mov_b32_dpp v10, v3 row_shr:4 row_mask:0xf bank_mask:0xf
	;; [unrolled: 1-line block ×3, first 2 shown]
	v_cmp_lt_u32_e64 s[0:1], 3, v5
	s_and_saveexec_b64 s[28:29], s[0:1]
; %bb.179:
	v_cmp_eq_u16_e64 s[0:1], 0, v7
	v_and_b32_e32 v4, 1, v7
	s_nop 0
	v_cndmask_b32_e64 v11, 0, v10, s[0:1]
	v_cndmask_b32_e64 v10, 0, v9, s[0:1]
	v_cmp_eq_u32_e64 s[0:1], 1, v4
	v_and_b32_e32 v4, 1, v8
	v_cmp_eq_u32_e64 s[26:27], 1, v4
	s_or_b64 s[0:1], s[0:1], s[26:27]
	v_lshl_add_u64 v[2:3], v[10:11], 0, v[2:3]
	v_cndmask_b32_e64 v7, 0, 1, s[0:1]
	v_cndmask_b32_e64 v4, 0, 1, s[0:1]
; %bb.180:
	s_or_b64 exec, exec, s[28:29]
	v_mov_b32_dpp v9, v2 row_shr:8 row_mask:0xf bank_mask:0xf
	v_mov_b32_dpp v10, v3 row_shr:8 row_mask:0xf bank_mask:0xf
	;; [unrolled: 1-line block ×3, first 2 shown]
	v_cmp_lt_u32_e64 s[0:1], 7, v5
	s_and_saveexec_b64 s[28:29], s[0:1]
; %bb.181:
	v_cmp_eq_u16_e64 s[0:1], 0, v7
	s_nop 1
	v_cndmask_b32_e64 v5, 0, v10, s[0:1]
	v_cndmask_b32_e64 v4, 0, v9, s[0:1]
	v_lshl_add_u64 v[2:3], v[4:5], 0, v[2:3]
	v_and_b32_e32 v4, 1, v7
	v_cmp_eq_u32_e64 s[0:1], 1, v4
	v_and_b32_e32 v4, 1, v8
	v_cmp_eq_u32_e64 s[26:27], 1, v4
	s_or_b64 s[0:1], s[0:1], s[26:27]
	v_cndmask_b32_e64 v7, 0, 1, s[0:1]
	v_cndmask_b32_e64 v4, 0, 1, s[0:1]
; %bb.182:
	s_or_b64 exec, exec, s[28:29]
	v_and_b32_e32 v10, 16, v6
	v_mov_b32_dpp v8, v2 row_bcast:15 row_mask:0xf bank_mask:0xf
	v_mov_b32_dpp v9, v3 row_bcast:15 row_mask:0xf bank_mask:0xf
	;; [unrolled: 1-line block ×3, first 2 shown]
	v_cmp_ne_u32_e64 s[0:1], 0, v10
	s_and_saveexec_b64 s[28:29], s[0:1]
; %bb.183:
	v_cmp_eq_u16_e64 s[0:1], 0, v7
	v_and_b32_e32 v4, 1, v7
	s_nop 0
	v_cndmask_b32_e64 v9, 0, v9, s[0:1]
	v_cndmask_b32_e64 v8, 0, v8, s[0:1]
	v_cmp_eq_u32_e64 s[0:1], 1, v4
	v_and_b32_e32 v4, 1, v5
	v_cmp_eq_u32_e64 s[26:27], 1, v4
	s_or_b64 s[0:1], s[0:1], s[26:27]
	v_lshl_add_u64 v[2:3], v[8:9], 0, v[2:3]
	v_cndmask_b32_e64 v7, 0, 1, s[0:1]
	v_cndmask_b32_e64 v4, 0, 1, s[0:1]
; %bb.184:
	s_or_b64 exec, exec, s[28:29]
	v_mov_b32_dpp v5, v2 row_bcast:31 row_mask:0xf bank_mask:0xf
	v_mov_b32_dpp v8, v3 row_bcast:31 row_mask:0xf bank_mask:0xf
	;; [unrolled: 1-line block ×3, first 2 shown]
	v_cmp_lt_u32_e64 s[0:1], 31, v6
	s_and_saveexec_b64 s[28:29], s[0:1]
; %bb.185:
	v_cmp_eq_u16_e64 s[0:1], 0, v7
	v_and_b32_e32 v4, 1, v4
	v_cmp_eq_u32_e64 s[26:27], 1, v4
	v_cndmask_b32_e64 v9, 0, v8, s[0:1]
	v_cndmask_b32_e64 v8, 0, v5, s[0:1]
	v_and_b32_e32 v5, 1, v7
	v_cmp_eq_u32_e64 s[0:1], 1, v5
	s_or_b64 s[0:1], s[0:1], s[26:27]
	v_lshl_add_u64 v[2:3], v[8:9], 0, v[2:3]
	v_cndmask_b32_e64 v7, 0, 1, s[0:1]
; %bb.186:
	s_or_b64 exec, exec, s[28:29]
	v_or_b32_e32 v4, 63, v0
	v_lshrrev_b32_e32 v8, 6, v0
	v_cmp_eq_u32_e64 s[0:1], v4, v0
	s_and_saveexec_b64 s[26:27], s[0:1]
	s_cbranch_execz .LBB436_188
; %bb.187:
	v_lshlrev_b32_e32 v4, 4, v8
	ds_write_b64 v4, v[2:3]
	ds_write_b8 v4, v7 offset:8
.LBB436_188:
	s_or_b64 exec, exec, s[26:27]
	v_cmp_gt_u32_e64 s[0:1], 4, v0
	s_waitcnt lgkmcnt(0)
	s_barrier
	s_and_saveexec_b64 s[28:29], s[0:1]
	s_cbranch_execz .LBB436_194
; %bb.189:
	v_lshlrev_b32_e32 v9, 4, v0
	ds_read_b64 v[4:5], v9
	ds_read_b32 v10, v9 offset:8
	v_and_b32_e32 v11, 3, v6
	v_cmp_ne_u32_e64 s[0:1], 0, v11
	s_waitcnt lgkmcnt(1)
	v_mov_b32_dpp v15, v4 row_shr:1 row_mask:0xf bank_mask:0xf
	v_mov_b32_dpp v16, v5 row_shr:1 row_mask:0xf bank_mask:0xf
	s_waitcnt lgkmcnt(0)
	v_mov_b32_dpp v14, v10 row_shr:1 row_mask:0xf bank_mask:0xf
	v_mov_b32_e32 v12, v10
	v_mov_b32_e32 v13, v10
	s_and_saveexec_b64 s[26:27], s[0:1]
; %bb.190:
	v_mov_b32_e32 v12, 0
	v_cmp_eq_u16_sdwa s[0:1], v10, v12 src0_sel:BYTE_0 src1_sel:DWORD
	s_nop 1
	v_cndmask_b32_e64 v13, 0, v16, s[0:1]
	v_cndmask_b32_e64 v12, 0, v15, s[0:1]
	v_lshl_add_u64 v[4:5], v[12:13], 0, v[4:5]
	v_or_b32_e32 v13, v14, v10
	v_and_b32_e32 v12, 1, v13
	v_and_b32_e32 v13, 1, v13
	s_movk_i32 s0, 0xff00
	v_and_or_b32 v10, v10, s0, v13
; %bb.191:
	s_or_b64 exec, exec, s[26:27]
	v_mov_b32_dpp v14, v4 row_shr:2 row_mask:0xf bank_mask:0xf
	v_mov_b32_dpp v15, v5 row_shr:2 row_mask:0xf bank_mask:0xf
	;; [unrolled: 1-line block ×3, first 2 shown]
	v_cmp_lt_u32_e64 s[0:1], 1, v11
	s_and_saveexec_b64 s[36:37], s[0:1]
; %bb.192:
	v_mov_b32_e32 v11, 0
	v_cmp_eq_u16_sdwa s[0:1], v13, v11 src0_sel:BYTE_0 src1_sel:DWORD
	v_and_b32_e32 v11, 1, v13
	v_and_b32_e32 v10, 1, v10
	v_cndmask_b32_e64 v15, 0, v15, s[0:1]
	v_cndmask_b32_e64 v14, 0, v14, s[0:1]
	v_cmp_eq_u32_e64 s[0:1], 1, v11
	v_cmp_eq_u32_e64 s[26:27], 1, v10
	s_or_b64 s[0:1], s[0:1], s[26:27]
	v_lshl_add_u64 v[4:5], v[14:15], 0, v[4:5]
	v_cndmask_b32_e64 v12, 0, 1, s[0:1]
; %bb.193:
	s_or_b64 exec, exec, s[36:37]
	ds_write_b64 v9, v[4:5]
	ds_write_b8 v9, v12 offset:8
.LBB436_194:
	s_or_b64 exec, exec, s[28:29]
	v_cmp_lt_u32_e64 s[0:1], 63, v0
	s_waitcnt vmcnt(0)
	v_mov_b64_e32 v[4:5], v[32:33]
	s_waitcnt lgkmcnt(0)
	s_barrier
	s_and_saveexec_b64 s[26:27], s[0:1]
	s_cbranch_execz .LBB436_196
; %bb.195:
	v_lshl_add_u32 v4, v8, 4, -16
	ds_read_u8 v8, v4 offset:8
	ds_read_b64 v[4:5], v4
	s_waitcnt lgkmcnt(1)
	v_cmp_eq_u16_e64 s[0:1], 0, v8
	s_nop 1
	v_cndmask_b32_e64 v9, 0, v33, s[0:1]
	v_cndmask_b32_e64 v8, 0, v32, s[0:1]
	s_waitcnt lgkmcnt(0)
	v_lshl_add_u64 v[4:5], v[8:9], 0, v[4:5]
.LBB436_196:
	s_or_b64 exec, exec, s[26:27]
	v_cmp_eq_u16_e64 s[0:1], 0, v7
	v_add_u32_e32 v7, -1, v6
	v_mov_b32_e32 v28, 0
	v_cndmask_b32_e64 v9, 0, v5, s[0:1]
	v_cndmask_b32_e64 v8, 0, v4, s[0:1]
	v_lshl_add_u64 v[2:3], v[8:9], 0, v[2:3]
	v_and_b32_e32 v8, 64, v6
	v_cmp_lt_i32_e64 s[0:1], v7, v8
	s_nop 1
	v_cndmask_b32_e64 v7, v7, v6, s[0:1]
	v_lshlrev_b32_e32 v7, 2, v7
	ds_bpermute_b32 v3, v7, v3
	ds_bpermute_b32 v2, v7, v2
	v_cmp_eq_u32_e64 s[0:1], 0, v6
	s_waitcnt lgkmcnt(1)
	s_nop 0
	v_cndmask_b32_e64 v3, v3, v5, s[0:1]
	s_waitcnt lgkmcnt(0)
	v_cndmask_b32_e64 v2, v2, v4, s[0:1]
	v_cndmask_b32_e64 v4, v2, v32, s[30:31]
	;; [unrolled: 1-line block ×3, first 2 shown]
	v_cmp_eq_u16_sdwa s[0:1], v1, v28 src0_sel:BYTE_0 src1_sel:DWORD
	s_nop 1
	v_cndmask_b32_e64 v5, 0, v5, s[0:1]
	v_cndmask_b32_e64 v4, 0, v4, s[0:1]
	v_lshl_add_u64 v[4:5], v[4:5], 0, v[56:57]
	v_cndmask_b32_e32 v7, 0, v5, vcc
	v_cndmask_b32_e32 v6, 0, v4, vcc
	v_lshl_add_u64 v[6:7], v[6:7], 0, v[30:31]
	v_cndmask_b32_e64 v9, 0, v7, s[4:5]
	v_cndmask_b32_e64 v8, 0, v6, s[4:5]
	v_lshl_add_u64 v[8:9], v[8:9], 0, v[50:51]
	v_cndmask_b32_e64 v11, 0, v9, s[6:7]
	v_cndmask_b32_e64 v10, 0, v8, s[6:7]
	;; [unrolled: 3-line block ×11, first 2 shown]
	s_and_saveexec_b64 s[0:1], s[30:31]
	s_cbranch_execz .LBB436_198
; %bb.197:
	ds_read_u8 v1, v28 offset:56
	ds_read_b64 v[2:3], v28 offset:48
	s_waitcnt lgkmcnt(1)
	v_cmp_eq_u32_e32 vcc, 0, v1
	s_nop 1
	v_cndmask_b32_e32 v31, 0, v33, vcc
	v_cndmask_b32_e32 v30, 0, v32, vcc
	s_waitcnt lgkmcnt(0)
	v_lshl_add_u64 v[2:3], v[30:31], 0, v[2:3]
	global_store_dword v28, v2, s[38:39] offset:1024 sc1
	global_store_dword v28, v3, s[38:39] offset:1028 sc1
	;; [unrolled: 1-line block ×4, first 2 shown]
	v_mov_b32_e32 v1, 2
	v_mov_b64_e32 v[2:3], v[32:33]
	s_waitcnt vmcnt(0)
	global_store_byte v28, v1, s[40:41] offset:64 sc1
.LBB436_198:
	s_or_b64 exec, exec, s[0:1]
.LBB436_199:
	s_add_u32 s0, s50, s34
	s_addc_u32 s1, s51, s35
	v_mul_u32_u24_e32 v1, 14, v0
	v_lshl_add_u64 v[28:29], v[62:63], 0, v[34:35]
	v_lshl_add_u64 v[56:57], s[0:1], 0, v[54:55]
	s_and_b64 vcc, exec, s[2:3]
	v_lshlrev_b32_e32 v62, 3, v1
	s_cbranch_vccz .LBB436_227
; %bb.200:
	s_movk_i32 s0, 0xff98
	v_mad_i32_i24 v1, v0, s0, v62
	s_barrier
	ds_write_b128 v62, v[2:5]
	ds_write_b128 v62, v[6:9] offset:16
	ds_write_b128 v62, v[10:13] offset:32
	;; [unrolled: 1-line block ×6, first 2 shown]
	s_waitcnt lgkmcnt(0)
	s_barrier
	ds_read2st64_b64 v[52:55], v1 offset0:4 offset1:8
	ds_read2st64_b64 v[48:51], v1 offset0:12 offset1:16
	;; [unrolled: 1-line block ×6, first 2 shown]
	ds_read_b64 v[30:31], v1 offset:26624
	s_add_i32 s33, s33, s42
	v_mov_b32_e32 v61, 0
	v_lshl_add_u64 v[58:59], v[56:57], 0, v[60:61]
	v_cmp_gt_u32_e32 vcc, s33, v0
	s_and_saveexec_b64 s[0:1], vcc
	s_cbranch_execz .LBB436_202
; %bb.201:
	v_mul_i32_i24_e32 v1, 0xffffff98, v0
	v_add_u32_e32 v1, v62, v1
	ds_read_b64 v[64:65], v1
	s_waitcnt lgkmcnt(0)
	flat_store_dwordx2 v[58:59], v[64:65]
.LBB436_202:
	s_or_b64 exec, exec, s[0:1]
	v_or_b32_e32 v1, 0x100, v0
	v_cmp_gt_u32_e32 vcc, s33, v1
	s_and_saveexec_b64 s[0:1], vcc
	s_cbranch_execz .LBB436_204
; %bb.203:
	s_waitcnt lgkmcnt(0)
	flat_store_dwordx2 v[58:59], v[52:53] offset:2048
.LBB436_204:
	s_or_b64 exec, exec, s[0:1]
	v_or_b32_e32 v1, 0x200, v0
	v_cmp_gt_u32_e32 vcc, s33, v1
	s_and_saveexec_b64 s[0:1], vcc
	s_cbranch_execz .LBB436_206
; %bb.205:
	s_waitcnt lgkmcnt(0)
	v_add_co_u32_e32 v52, vcc, 0x1000, v58
	s_nop 1
	v_addc_co_u32_e32 v53, vcc, 0, v59, vcc
	flat_store_dwordx2 v[52:53], v[54:55]
.LBB436_206:
	s_or_b64 exec, exec, s[0:1]
	v_or_b32_e32 v1, 0x300, v0
	v_cmp_gt_u32_e32 vcc, s33, v1
	s_and_saveexec_b64 s[0:1], vcc
	s_cbranch_execz .LBB436_208
; %bb.207:
	s_waitcnt lgkmcnt(0)
	v_add_co_u32_e32 v52, vcc, 0x1000, v58
	s_nop 1
	v_addc_co_u32_e32 v53, vcc, 0, v59, vcc
	flat_store_dwordx2 v[52:53], v[48:49] offset:2048
.LBB436_208:
	s_or_b64 exec, exec, s[0:1]
	v_or_b32_e32 v1, 0x400, v0
	v_cmp_gt_u32_e32 vcc, s33, v1
	s_and_saveexec_b64 s[0:1], vcc
	s_cbranch_execz .LBB436_210
; %bb.209:
	s_waitcnt lgkmcnt(0)
	v_add_co_u32_e32 v48, vcc, 0x2000, v58
	s_nop 1
	v_addc_co_u32_e32 v49, vcc, 0, v59, vcc
	flat_store_dwordx2 v[48:49], v[50:51]
.LBB436_210:
	s_or_b64 exec, exec, s[0:1]
	v_or_b32_e32 v1, 0x500, v0
	v_cmp_gt_u32_e32 vcc, s33, v1
	s_and_saveexec_b64 s[0:1], vcc
	s_cbranch_execz .LBB436_212
; %bb.211:
	s_waitcnt lgkmcnt(0)
	v_add_co_u32_e32 v48, vcc, 0x2000, v58
	s_nop 1
	v_addc_co_u32_e32 v49, vcc, 0, v59, vcc
	flat_store_dwordx2 v[48:49], v[44:45] offset:2048
.LBB436_212:
	;; [unrolled: 24-line block ×5, first 2 shown]
	s_or_b64 exec, exec, s[0:1]
	v_or_b32_e32 v1, 0xc00, v0
	v_cmp_gt_u32_e32 vcc, s33, v1
	s_and_saveexec_b64 s[0:1], vcc
	s_cbranch_execz .LBB436_226
; %bb.225:
	s_waitcnt lgkmcnt(0)
	v_add_co_u32_e32 v32, vcc, 0x6000, v58
	s_nop 1
	v_addc_co_u32_e32 v33, vcc, 0, v59, vcc
	flat_store_dwordx2 v[32:33], v[34:35]
.LBB436_226:
	s_or_b64 exec, exec, s[0:1]
	s_waitcnt lgkmcnt(0)
	v_or_b32_e32 v32, 0xd00, v0
	v_mov_b32_e32 v1, v61
	v_cmp_gt_u32_e64 s[0:1], s33, v32
	s_branch .LBB436_229
.LBB436_227:
	s_mov_b64 s[0:1], 0
                                        ; implicit-def: $vgpr30_vgpr31
	s_cbranch_execz .LBB436_229
; %bb.228:
	v_mov_b32_e32 v1, 0
	s_movk_i32 s2, 0xff98
	s_barrier
	ds_write_b128 v62, v[2:5]
	ds_write_b128 v62, v[6:9] offset:16
	ds_write_b128 v62, v[10:13] offset:32
	;; [unrolled: 1-line block ×6, first 2 shown]
	v_mad_i32_i24 v26, v0, s2, v62
	v_mov_b32_e32 v61, v1
	s_waitcnt lgkmcnt(0)
	s_barrier
	ds_read2st64_b64 v[2:5], v26 offset1:4
	ds_read2st64_b64 v[6:9], v26 offset0:8 offset1:12
	ds_read2st64_b64 v[10:13], v26 offset0:16 offset1:20
	;; [unrolled: 1-line block ×6, first 2 shown]
	v_lshl_add_u64 v[26:27], v[56:57], 0, v[60:61]
	s_movk_i32 s2, 0x1000
	s_waitcnt lgkmcnt(0)
	flat_store_dwordx2 v[26:27], v[2:3]
	flat_store_dwordx2 v[26:27], v[4:5] offset:2048
	v_add_co_u32_e32 v2, vcc, s2, v26
	s_movk_i32 s2, 0x2000
	s_nop 0
	v_addc_co_u32_e32 v3, vcc, 0, v27, vcc
	flat_store_dwordx2 v[2:3], v[6:7]
	flat_store_dwordx2 v[2:3], v[8:9] offset:2048
	v_add_co_u32_e32 v2, vcc, s2, v26
	s_movk_i32 s2, 0x3000
	s_nop 0
	v_addc_co_u32_e32 v3, vcc, 0, v27, vcc
	;; [unrolled: 6-line block ×3, first 2 shown]
	flat_store_dwordx2 v[2:3], v[14:15]
	flat_store_dwordx2 v[2:3], v[16:17] offset:2048
	v_add_co_u32_e32 v2, vcc, s2, v26
	s_or_b64 s[0:1], s[0:1], exec
	s_nop 0
	v_addc_co_u32_e32 v3, vcc, 0, v27, vcc
	flat_store_dwordx2 v[2:3], v[18:19]
	flat_store_dwordx2 v[2:3], v[20:21] offset:2048
	v_add_co_u32_e32 v2, vcc, 0x5000, v26
	s_nop 1
	v_addc_co_u32_e32 v3, vcc, 0, v27, vcc
	flat_store_dwordx2 v[2:3], v[22:23]
	flat_store_dwordx2 v[2:3], v[24:25] offset:2048
	v_add_co_u32_e32 v2, vcc, 0x6000, v26
	s_nop 1
	v_addc_co_u32_e32 v3, vcc, 0, v27, vcc
	flat_store_dwordx2 v[2:3], v[28:29]
.LBB436_229:
	s_and_saveexec_b64 s[2:3], s[0:1]
	s_cbranch_execz .LBB436_231
; %bb.230:
	v_lshl_add_u64 v[0:1], v[0:1], 3, v[56:57]
	v_add_co_u32_e32 v0, vcc, 0x6000, v0
	s_nop 1
	v_addc_co_u32_e32 v1, vcc, 0, v1, vcc
	flat_store_dwordx2 v[0:1], v[30:31] offset:2048
	s_endpgm
.LBB436_231:
	s_endpgm
	.section	.rodata,"a",@progbits
	.p2align	6, 0x0
	.amdhsa_kernel _ZN7rocprim17ROCPRIM_400000_NS6detail17trampoline_kernelINS0_14default_configENS1_27scan_by_key_config_selectorIxxEEZZNS1_16scan_by_key_implILNS1_25lookback_scan_determinismE0ELb1ES3_N6thrust23THRUST_200600_302600_NS6detail15normal_iteratorINS9_10device_ptrIxEEEESE_SE_xNS9_4plusIvEENS9_8equal_toIxEExEE10hipError_tPvRmT2_T3_T4_T5_mT6_T7_P12ihipStream_tbENKUlT_T0_E_clISt17integral_constantIbLb1EESZ_EEDaSU_SV_EUlSU_E_NS1_11comp_targetILNS1_3genE5ELNS1_11target_archE942ELNS1_3gpuE9ELNS1_3repE0EEENS1_30default_config_static_selectorELNS0_4arch9wavefront6targetE1EEEvT1_
		.amdhsa_group_segment_fixed_size 32768
		.amdhsa_private_segment_fixed_size 0
		.amdhsa_kernarg_size 136
		.amdhsa_user_sgpr_count 2
		.amdhsa_user_sgpr_dispatch_ptr 0
		.amdhsa_user_sgpr_queue_ptr 0
		.amdhsa_user_sgpr_kernarg_segment_ptr 1
		.amdhsa_user_sgpr_dispatch_id 0
		.amdhsa_user_sgpr_kernarg_preload_length 0
		.amdhsa_user_sgpr_kernarg_preload_offset 0
		.amdhsa_user_sgpr_private_segment_size 0
		.amdhsa_uses_dynamic_stack 0
		.amdhsa_enable_private_segment 0
		.amdhsa_system_sgpr_workgroup_id_x 1
		.amdhsa_system_sgpr_workgroup_id_y 0
		.amdhsa_system_sgpr_workgroup_id_z 0
		.amdhsa_system_sgpr_workgroup_info 0
		.amdhsa_system_vgpr_workitem_id 0
		.amdhsa_next_free_vgpr 87
		.amdhsa_next_free_sgpr 60
		.amdhsa_accum_offset 88
		.amdhsa_reserve_vcc 1
		.amdhsa_float_round_mode_32 0
		.amdhsa_float_round_mode_16_64 0
		.amdhsa_float_denorm_mode_32 3
		.amdhsa_float_denorm_mode_16_64 3
		.amdhsa_dx10_clamp 1
		.amdhsa_ieee_mode 1
		.amdhsa_fp16_overflow 0
		.amdhsa_tg_split 0
		.amdhsa_exception_fp_ieee_invalid_op 0
		.amdhsa_exception_fp_denorm_src 0
		.amdhsa_exception_fp_ieee_div_zero 0
		.amdhsa_exception_fp_ieee_overflow 0
		.amdhsa_exception_fp_ieee_underflow 0
		.amdhsa_exception_fp_ieee_inexact 0
		.amdhsa_exception_int_div_zero 0
	.end_amdhsa_kernel
	.section	.text._ZN7rocprim17ROCPRIM_400000_NS6detail17trampoline_kernelINS0_14default_configENS1_27scan_by_key_config_selectorIxxEEZZNS1_16scan_by_key_implILNS1_25lookback_scan_determinismE0ELb1ES3_N6thrust23THRUST_200600_302600_NS6detail15normal_iteratorINS9_10device_ptrIxEEEESE_SE_xNS9_4plusIvEENS9_8equal_toIxEExEE10hipError_tPvRmT2_T3_T4_T5_mT6_T7_P12ihipStream_tbENKUlT_T0_E_clISt17integral_constantIbLb1EESZ_EEDaSU_SV_EUlSU_E_NS1_11comp_targetILNS1_3genE5ELNS1_11target_archE942ELNS1_3gpuE9ELNS1_3repE0EEENS1_30default_config_static_selectorELNS0_4arch9wavefront6targetE1EEEvT1_,"axG",@progbits,_ZN7rocprim17ROCPRIM_400000_NS6detail17trampoline_kernelINS0_14default_configENS1_27scan_by_key_config_selectorIxxEEZZNS1_16scan_by_key_implILNS1_25lookback_scan_determinismE0ELb1ES3_N6thrust23THRUST_200600_302600_NS6detail15normal_iteratorINS9_10device_ptrIxEEEESE_SE_xNS9_4plusIvEENS9_8equal_toIxEExEE10hipError_tPvRmT2_T3_T4_T5_mT6_T7_P12ihipStream_tbENKUlT_T0_E_clISt17integral_constantIbLb1EESZ_EEDaSU_SV_EUlSU_E_NS1_11comp_targetILNS1_3genE5ELNS1_11target_archE942ELNS1_3gpuE9ELNS1_3repE0EEENS1_30default_config_static_selectorELNS0_4arch9wavefront6targetE1EEEvT1_,comdat
.Lfunc_end436:
	.size	_ZN7rocprim17ROCPRIM_400000_NS6detail17trampoline_kernelINS0_14default_configENS1_27scan_by_key_config_selectorIxxEEZZNS1_16scan_by_key_implILNS1_25lookback_scan_determinismE0ELb1ES3_N6thrust23THRUST_200600_302600_NS6detail15normal_iteratorINS9_10device_ptrIxEEEESE_SE_xNS9_4plusIvEENS9_8equal_toIxEExEE10hipError_tPvRmT2_T3_T4_T5_mT6_T7_P12ihipStream_tbENKUlT_T0_E_clISt17integral_constantIbLb1EESZ_EEDaSU_SV_EUlSU_E_NS1_11comp_targetILNS1_3genE5ELNS1_11target_archE942ELNS1_3gpuE9ELNS1_3repE0EEENS1_30default_config_static_selectorELNS0_4arch9wavefront6targetE1EEEvT1_, .Lfunc_end436-_ZN7rocprim17ROCPRIM_400000_NS6detail17trampoline_kernelINS0_14default_configENS1_27scan_by_key_config_selectorIxxEEZZNS1_16scan_by_key_implILNS1_25lookback_scan_determinismE0ELb1ES3_N6thrust23THRUST_200600_302600_NS6detail15normal_iteratorINS9_10device_ptrIxEEEESE_SE_xNS9_4plusIvEENS9_8equal_toIxEExEE10hipError_tPvRmT2_T3_T4_T5_mT6_T7_P12ihipStream_tbENKUlT_T0_E_clISt17integral_constantIbLb1EESZ_EEDaSU_SV_EUlSU_E_NS1_11comp_targetILNS1_3genE5ELNS1_11target_archE942ELNS1_3gpuE9ELNS1_3repE0EEENS1_30default_config_static_selectorELNS0_4arch9wavefront6targetE1EEEvT1_
                                        ; -- End function
	.section	.AMDGPU.csdata,"",@progbits
; Kernel info:
; codeLenInByte = 12972
; NumSgprs: 66
; NumVgprs: 87
; NumAgprs: 0
; TotalNumVgprs: 87
; ScratchSize: 0
; MemoryBound: 0
; FloatMode: 240
; IeeeMode: 1
; LDSByteSize: 32768 bytes/workgroup (compile time only)
; SGPRBlocks: 8
; VGPRBlocks: 10
; NumSGPRsForWavesPerEU: 66
; NumVGPRsForWavesPerEU: 87
; AccumOffset: 88
; Occupancy: 2
; WaveLimiterHint : 1
; COMPUTE_PGM_RSRC2:SCRATCH_EN: 0
; COMPUTE_PGM_RSRC2:USER_SGPR: 2
; COMPUTE_PGM_RSRC2:TRAP_HANDLER: 0
; COMPUTE_PGM_RSRC2:TGID_X_EN: 1
; COMPUTE_PGM_RSRC2:TGID_Y_EN: 0
; COMPUTE_PGM_RSRC2:TGID_Z_EN: 0
; COMPUTE_PGM_RSRC2:TIDIG_COMP_CNT: 0
; COMPUTE_PGM_RSRC3_GFX90A:ACCUM_OFFSET: 21
; COMPUTE_PGM_RSRC3_GFX90A:TG_SPLIT: 0
	.section	.text._ZN7rocprim17ROCPRIM_400000_NS6detail17trampoline_kernelINS0_14default_configENS1_27scan_by_key_config_selectorIxxEEZZNS1_16scan_by_key_implILNS1_25lookback_scan_determinismE0ELb1ES3_N6thrust23THRUST_200600_302600_NS6detail15normal_iteratorINS9_10device_ptrIxEEEESE_SE_xNS9_4plusIvEENS9_8equal_toIxEExEE10hipError_tPvRmT2_T3_T4_T5_mT6_T7_P12ihipStream_tbENKUlT_T0_E_clISt17integral_constantIbLb1EESZ_EEDaSU_SV_EUlSU_E_NS1_11comp_targetILNS1_3genE4ELNS1_11target_archE910ELNS1_3gpuE8ELNS1_3repE0EEENS1_30default_config_static_selectorELNS0_4arch9wavefront6targetE1EEEvT1_,"axG",@progbits,_ZN7rocprim17ROCPRIM_400000_NS6detail17trampoline_kernelINS0_14default_configENS1_27scan_by_key_config_selectorIxxEEZZNS1_16scan_by_key_implILNS1_25lookback_scan_determinismE0ELb1ES3_N6thrust23THRUST_200600_302600_NS6detail15normal_iteratorINS9_10device_ptrIxEEEESE_SE_xNS9_4plusIvEENS9_8equal_toIxEExEE10hipError_tPvRmT2_T3_T4_T5_mT6_T7_P12ihipStream_tbENKUlT_T0_E_clISt17integral_constantIbLb1EESZ_EEDaSU_SV_EUlSU_E_NS1_11comp_targetILNS1_3genE4ELNS1_11target_archE910ELNS1_3gpuE8ELNS1_3repE0EEENS1_30default_config_static_selectorELNS0_4arch9wavefront6targetE1EEEvT1_,comdat
	.protected	_ZN7rocprim17ROCPRIM_400000_NS6detail17trampoline_kernelINS0_14default_configENS1_27scan_by_key_config_selectorIxxEEZZNS1_16scan_by_key_implILNS1_25lookback_scan_determinismE0ELb1ES3_N6thrust23THRUST_200600_302600_NS6detail15normal_iteratorINS9_10device_ptrIxEEEESE_SE_xNS9_4plusIvEENS9_8equal_toIxEExEE10hipError_tPvRmT2_T3_T4_T5_mT6_T7_P12ihipStream_tbENKUlT_T0_E_clISt17integral_constantIbLb1EESZ_EEDaSU_SV_EUlSU_E_NS1_11comp_targetILNS1_3genE4ELNS1_11target_archE910ELNS1_3gpuE8ELNS1_3repE0EEENS1_30default_config_static_selectorELNS0_4arch9wavefront6targetE1EEEvT1_ ; -- Begin function _ZN7rocprim17ROCPRIM_400000_NS6detail17trampoline_kernelINS0_14default_configENS1_27scan_by_key_config_selectorIxxEEZZNS1_16scan_by_key_implILNS1_25lookback_scan_determinismE0ELb1ES3_N6thrust23THRUST_200600_302600_NS6detail15normal_iteratorINS9_10device_ptrIxEEEESE_SE_xNS9_4plusIvEENS9_8equal_toIxEExEE10hipError_tPvRmT2_T3_T4_T5_mT6_T7_P12ihipStream_tbENKUlT_T0_E_clISt17integral_constantIbLb1EESZ_EEDaSU_SV_EUlSU_E_NS1_11comp_targetILNS1_3genE4ELNS1_11target_archE910ELNS1_3gpuE8ELNS1_3repE0EEENS1_30default_config_static_selectorELNS0_4arch9wavefront6targetE1EEEvT1_
	.globl	_ZN7rocprim17ROCPRIM_400000_NS6detail17trampoline_kernelINS0_14default_configENS1_27scan_by_key_config_selectorIxxEEZZNS1_16scan_by_key_implILNS1_25lookback_scan_determinismE0ELb1ES3_N6thrust23THRUST_200600_302600_NS6detail15normal_iteratorINS9_10device_ptrIxEEEESE_SE_xNS9_4plusIvEENS9_8equal_toIxEExEE10hipError_tPvRmT2_T3_T4_T5_mT6_T7_P12ihipStream_tbENKUlT_T0_E_clISt17integral_constantIbLb1EESZ_EEDaSU_SV_EUlSU_E_NS1_11comp_targetILNS1_3genE4ELNS1_11target_archE910ELNS1_3gpuE8ELNS1_3repE0EEENS1_30default_config_static_selectorELNS0_4arch9wavefront6targetE1EEEvT1_
	.p2align	8
	.type	_ZN7rocprim17ROCPRIM_400000_NS6detail17trampoline_kernelINS0_14default_configENS1_27scan_by_key_config_selectorIxxEEZZNS1_16scan_by_key_implILNS1_25lookback_scan_determinismE0ELb1ES3_N6thrust23THRUST_200600_302600_NS6detail15normal_iteratorINS9_10device_ptrIxEEEESE_SE_xNS9_4plusIvEENS9_8equal_toIxEExEE10hipError_tPvRmT2_T3_T4_T5_mT6_T7_P12ihipStream_tbENKUlT_T0_E_clISt17integral_constantIbLb1EESZ_EEDaSU_SV_EUlSU_E_NS1_11comp_targetILNS1_3genE4ELNS1_11target_archE910ELNS1_3gpuE8ELNS1_3repE0EEENS1_30default_config_static_selectorELNS0_4arch9wavefront6targetE1EEEvT1_,@function
_ZN7rocprim17ROCPRIM_400000_NS6detail17trampoline_kernelINS0_14default_configENS1_27scan_by_key_config_selectorIxxEEZZNS1_16scan_by_key_implILNS1_25lookback_scan_determinismE0ELb1ES3_N6thrust23THRUST_200600_302600_NS6detail15normal_iteratorINS9_10device_ptrIxEEEESE_SE_xNS9_4plusIvEENS9_8equal_toIxEExEE10hipError_tPvRmT2_T3_T4_T5_mT6_T7_P12ihipStream_tbENKUlT_T0_E_clISt17integral_constantIbLb1EESZ_EEDaSU_SV_EUlSU_E_NS1_11comp_targetILNS1_3genE4ELNS1_11target_archE910ELNS1_3gpuE8ELNS1_3repE0EEENS1_30default_config_static_selectorELNS0_4arch9wavefront6targetE1EEEvT1_: ; @_ZN7rocprim17ROCPRIM_400000_NS6detail17trampoline_kernelINS0_14default_configENS1_27scan_by_key_config_selectorIxxEEZZNS1_16scan_by_key_implILNS1_25lookback_scan_determinismE0ELb1ES3_N6thrust23THRUST_200600_302600_NS6detail15normal_iteratorINS9_10device_ptrIxEEEESE_SE_xNS9_4plusIvEENS9_8equal_toIxEExEE10hipError_tPvRmT2_T3_T4_T5_mT6_T7_P12ihipStream_tbENKUlT_T0_E_clISt17integral_constantIbLb1EESZ_EEDaSU_SV_EUlSU_E_NS1_11comp_targetILNS1_3genE4ELNS1_11target_archE910ELNS1_3gpuE8ELNS1_3repE0EEENS1_30default_config_static_selectorELNS0_4arch9wavefront6targetE1EEEvT1_
; %bb.0:
	.section	.rodata,"a",@progbits
	.p2align	6, 0x0
	.amdhsa_kernel _ZN7rocprim17ROCPRIM_400000_NS6detail17trampoline_kernelINS0_14default_configENS1_27scan_by_key_config_selectorIxxEEZZNS1_16scan_by_key_implILNS1_25lookback_scan_determinismE0ELb1ES3_N6thrust23THRUST_200600_302600_NS6detail15normal_iteratorINS9_10device_ptrIxEEEESE_SE_xNS9_4plusIvEENS9_8equal_toIxEExEE10hipError_tPvRmT2_T3_T4_T5_mT6_T7_P12ihipStream_tbENKUlT_T0_E_clISt17integral_constantIbLb1EESZ_EEDaSU_SV_EUlSU_E_NS1_11comp_targetILNS1_3genE4ELNS1_11target_archE910ELNS1_3gpuE8ELNS1_3repE0EEENS1_30default_config_static_selectorELNS0_4arch9wavefront6targetE1EEEvT1_
		.amdhsa_group_segment_fixed_size 0
		.amdhsa_private_segment_fixed_size 0
		.amdhsa_kernarg_size 136
		.amdhsa_user_sgpr_count 2
		.amdhsa_user_sgpr_dispatch_ptr 0
		.amdhsa_user_sgpr_queue_ptr 0
		.amdhsa_user_sgpr_kernarg_segment_ptr 1
		.amdhsa_user_sgpr_dispatch_id 0
		.amdhsa_user_sgpr_kernarg_preload_length 0
		.amdhsa_user_sgpr_kernarg_preload_offset 0
		.amdhsa_user_sgpr_private_segment_size 0
		.amdhsa_uses_dynamic_stack 0
		.amdhsa_enable_private_segment 0
		.amdhsa_system_sgpr_workgroup_id_x 1
		.amdhsa_system_sgpr_workgroup_id_y 0
		.amdhsa_system_sgpr_workgroup_id_z 0
		.amdhsa_system_sgpr_workgroup_info 0
		.amdhsa_system_vgpr_workitem_id 0
		.amdhsa_next_free_vgpr 1
		.amdhsa_next_free_sgpr 0
		.amdhsa_accum_offset 4
		.amdhsa_reserve_vcc 0
		.amdhsa_float_round_mode_32 0
		.amdhsa_float_round_mode_16_64 0
		.amdhsa_float_denorm_mode_32 3
		.amdhsa_float_denorm_mode_16_64 3
		.amdhsa_dx10_clamp 1
		.amdhsa_ieee_mode 1
		.amdhsa_fp16_overflow 0
		.amdhsa_tg_split 0
		.amdhsa_exception_fp_ieee_invalid_op 0
		.amdhsa_exception_fp_denorm_src 0
		.amdhsa_exception_fp_ieee_div_zero 0
		.amdhsa_exception_fp_ieee_overflow 0
		.amdhsa_exception_fp_ieee_underflow 0
		.amdhsa_exception_fp_ieee_inexact 0
		.amdhsa_exception_int_div_zero 0
	.end_amdhsa_kernel
	.section	.text._ZN7rocprim17ROCPRIM_400000_NS6detail17trampoline_kernelINS0_14default_configENS1_27scan_by_key_config_selectorIxxEEZZNS1_16scan_by_key_implILNS1_25lookback_scan_determinismE0ELb1ES3_N6thrust23THRUST_200600_302600_NS6detail15normal_iteratorINS9_10device_ptrIxEEEESE_SE_xNS9_4plusIvEENS9_8equal_toIxEExEE10hipError_tPvRmT2_T3_T4_T5_mT6_T7_P12ihipStream_tbENKUlT_T0_E_clISt17integral_constantIbLb1EESZ_EEDaSU_SV_EUlSU_E_NS1_11comp_targetILNS1_3genE4ELNS1_11target_archE910ELNS1_3gpuE8ELNS1_3repE0EEENS1_30default_config_static_selectorELNS0_4arch9wavefront6targetE1EEEvT1_,"axG",@progbits,_ZN7rocprim17ROCPRIM_400000_NS6detail17trampoline_kernelINS0_14default_configENS1_27scan_by_key_config_selectorIxxEEZZNS1_16scan_by_key_implILNS1_25lookback_scan_determinismE0ELb1ES3_N6thrust23THRUST_200600_302600_NS6detail15normal_iteratorINS9_10device_ptrIxEEEESE_SE_xNS9_4plusIvEENS9_8equal_toIxEExEE10hipError_tPvRmT2_T3_T4_T5_mT6_T7_P12ihipStream_tbENKUlT_T0_E_clISt17integral_constantIbLb1EESZ_EEDaSU_SV_EUlSU_E_NS1_11comp_targetILNS1_3genE4ELNS1_11target_archE910ELNS1_3gpuE8ELNS1_3repE0EEENS1_30default_config_static_selectorELNS0_4arch9wavefront6targetE1EEEvT1_,comdat
.Lfunc_end437:
	.size	_ZN7rocprim17ROCPRIM_400000_NS6detail17trampoline_kernelINS0_14default_configENS1_27scan_by_key_config_selectorIxxEEZZNS1_16scan_by_key_implILNS1_25lookback_scan_determinismE0ELb1ES3_N6thrust23THRUST_200600_302600_NS6detail15normal_iteratorINS9_10device_ptrIxEEEESE_SE_xNS9_4plusIvEENS9_8equal_toIxEExEE10hipError_tPvRmT2_T3_T4_T5_mT6_T7_P12ihipStream_tbENKUlT_T0_E_clISt17integral_constantIbLb1EESZ_EEDaSU_SV_EUlSU_E_NS1_11comp_targetILNS1_3genE4ELNS1_11target_archE910ELNS1_3gpuE8ELNS1_3repE0EEENS1_30default_config_static_selectorELNS0_4arch9wavefront6targetE1EEEvT1_, .Lfunc_end437-_ZN7rocprim17ROCPRIM_400000_NS6detail17trampoline_kernelINS0_14default_configENS1_27scan_by_key_config_selectorIxxEEZZNS1_16scan_by_key_implILNS1_25lookback_scan_determinismE0ELb1ES3_N6thrust23THRUST_200600_302600_NS6detail15normal_iteratorINS9_10device_ptrIxEEEESE_SE_xNS9_4plusIvEENS9_8equal_toIxEExEE10hipError_tPvRmT2_T3_T4_T5_mT6_T7_P12ihipStream_tbENKUlT_T0_E_clISt17integral_constantIbLb1EESZ_EEDaSU_SV_EUlSU_E_NS1_11comp_targetILNS1_3genE4ELNS1_11target_archE910ELNS1_3gpuE8ELNS1_3repE0EEENS1_30default_config_static_selectorELNS0_4arch9wavefront6targetE1EEEvT1_
                                        ; -- End function
	.section	.AMDGPU.csdata,"",@progbits
; Kernel info:
; codeLenInByte = 0
; NumSgprs: 6
; NumVgprs: 0
; NumAgprs: 0
; TotalNumVgprs: 0
; ScratchSize: 0
; MemoryBound: 0
; FloatMode: 240
; IeeeMode: 1
; LDSByteSize: 0 bytes/workgroup (compile time only)
; SGPRBlocks: 0
; VGPRBlocks: 0
; NumSGPRsForWavesPerEU: 6
; NumVGPRsForWavesPerEU: 1
; AccumOffset: 4
; Occupancy: 8
; WaveLimiterHint : 0
; COMPUTE_PGM_RSRC2:SCRATCH_EN: 0
; COMPUTE_PGM_RSRC2:USER_SGPR: 2
; COMPUTE_PGM_RSRC2:TRAP_HANDLER: 0
; COMPUTE_PGM_RSRC2:TGID_X_EN: 1
; COMPUTE_PGM_RSRC2:TGID_Y_EN: 0
; COMPUTE_PGM_RSRC2:TGID_Z_EN: 0
; COMPUTE_PGM_RSRC2:TIDIG_COMP_CNT: 0
; COMPUTE_PGM_RSRC3_GFX90A:ACCUM_OFFSET: 0
; COMPUTE_PGM_RSRC3_GFX90A:TG_SPLIT: 0
	.section	.text._ZN7rocprim17ROCPRIM_400000_NS6detail17trampoline_kernelINS0_14default_configENS1_27scan_by_key_config_selectorIxxEEZZNS1_16scan_by_key_implILNS1_25lookback_scan_determinismE0ELb1ES3_N6thrust23THRUST_200600_302600_NS6detail15normal_iteratorINS9_10device_ptrIxEEEESE_SE_xNS9_4plusIvEENS9_8equal_toIxEExEE10hipError_tPvRmT2_T3_T4_T5_mT6_T7_P12ihipStream_tbENKUlT_T0_E_clISt17integral_constantIbLb1EESZ_EEDaSU_SV_EUlSU_E_NS1_11comp_targetILNS1_3genE3ELNS1_11target_archE908ELNS1_3gpuE7ELNS1_3repE0EEENS1_30default_config_static_selectorELNS0_4arch9wavefront6targetE1EEEvT1_,"axG",@progbits,_ZN7rocprim17ROCPRIM_400000_NS6detail17trampoline_kernelINS0_14default_configENS1_27scan_by_key_config_selectorIxxEEZZNS1_16scan_by_key_implILNS1_25lookback_scan_determinismE0ELb1ES3_N6thrust23THRUST_200600_302600_NS6detail15normal_iteratorINS9_10device_ptrIxEEEESE_SE_xNS9_4plusIvEENS9_8equal_toIxEExEE10hipError_tPvRmT2_T3_T4_T5_mT6_T7_P12ihipStream_tbENKUlT_T0_E_clISt17integral_constantIbLb1EESZ_EEDaSU_SV_EUlSU_E_NS1_11comp_targetILNS1_3genE3ELNS1_11target_archE908ELNS1_3gpuE7ELNS1_3repE0EEENS1_30default_config_static_selectorELNS0_4arch9wavefront6targetE1EEEvT1_,comdat
	.protected	_ZN7rocprim17ROCPRIM_400000_NS6detail17trampoline_kernelINS0_14default_configENS1_27scan_by_key_config_selectorIxxEEZZNS1_16scan_by_key_implILNS1_25lookback_scan_determinismE0ELb1ES3_N6thrust23THRUST_200600_302600_NS6detail15normal_iteratorINS9_10device_ptrIxEEEESE_SE_xNS9_4plusIvEENS9_8equal_toIxEExEE10hipError_tPvRmT2_T3_T4_T5_mT6_T7_P12ihipStream_tbENKUlT_T0_E_clISt17integral_constantIbLb1EESZ_EEDaSU_SV_EUlSU_E_NS1_11comp_targetILNS1_3genE3ELNS1_11target_archE908ELNS1_3gpuE7ELNS1_3repE0EEENS1_30default_config_static_selectorELNS0_4arch9wavefront6targetE1EEEvT1_ ; -- Begin function _ZN7rocprim17ROCPRIM_400000_NS6detail17trampoline_kernelINS0_14default_configENS1_27scan_by_key_config_selectorIxxEEZZNS1_16scan_by_key_implILNS1_25lookback_scan_determinismE0ELb1ES3_N6thrust23THRUST_200600_302600_NS6detail15normal_iteratorINS9_10device_ptrIxEEEESE_SE_xNS9_4plusIvEENS9_8equal_toIxEExEE10hipError_tPvRmT2_T3_T4_T5_mT6_T7_P12ihipStream_tbENKUlT_T0_E_clISt17integral_constantIbLb1EESZ_EEDaSU_SV_EUlSU_E_NS1_11comp_targetILNS1_3genE3ELNS1_11target_archE908ELNS1_3gpuE7ELNS1_3repE0EEENS1_30default_config_static_selectorELNS0_4arch9wavefront6targetE1EEEvT1_
	.globl	_ZN7rocprim17ROCPRIM_400000_NS6detail17trampoline_kernelINS0_14default_configENS1_27scan_by_key_config_selectorIxxEEZZNS1_16scan_by_key_implILNS1_25lookback_scan_determinismE0ELb1ES3_N6thrust23THRUST_200600_302600_NS6detail15normal_iteratorINS9_10device_ptrIxEEEESE_SE_xNS9_4plusIvEENS9_8equal_toIxEExEE10hipError_tPvRmT2_T3_T4_T5_mT6_T7_P12ihipStream_tbENKUlT_T0_E_clISt17integral_constantIbLb1EESZ_EEDaSU_SV_EUlSU_E_NS1_11comp_targetILNS1_3genE3ELNS1_11target_archE908ELNS1_3gpuE7ELNS1_3repE0EEENS1_30default_config_static_selectorELNS0_4arch9wavefront6targetE1EEEvT1_
	.p2align	8
	.type	_ZN7rocprim17ROCPRIM_400000_NS6detail17trampoline_kernelINS0_14default_configENS1_27scan_by_key_config_selectorIxxEEZZNS1_16scan_by_key_implILNS1_25lookback_scan_determinismE0ELb1ES3_N6thrust23THRUST_200600_302600_NS6detail15normal_iteratorINS9_10device_ptrIxEEEESE_SE_xNS9_4plusIvEENS9_8equal_toIxEExEE10hipError_tPvRmT2_T3_T4_T5_mT6_T7_P12ihipStream_tbENKUlT_T0_E_clISt17integral_constantIbLb1EESZ_EEDaSU_SV_EUlSU_E_NS1_11comp_targetILNS1_3genE3ELNS1_11target_archE908ELNS1_3gpuE7ELNS1_3repE0EEENS1_30default_config_static_selectorELNS0_4arch9wavefront6targetE1EEEvT1_,@function
_ZN7rocprim17ROCPRIM_400000_NS6detail17trampoline_kernelINS0_14default_configENS1_27scan_by_key_config_selectorIxxEEZZNS1_16scan_by_key_implILNS1_25lookback_scan_determinismE0ELb1ES3_N6thrust23THRUST_200600_302600_NS6detail15normal_iteratorINS9_10device_ptrIxEEEESE_SE_xNS9_4plusIvEENS9_8equal_toIxEExEE10hipError_tPvRmT2_T3_T4_T5_mT6_T7_P12ihipStream_tbENKUlT_T0_E_clISt17integral_constantIbLb1EESZ_EEDaSU_SV_EUlSU_E_NS1_11comp_targetILNS1_3genE3ELNS1_11target_archE908ELNS1_3gpuE7ELNS1_3repE0EEENS1_30default_config_static_selectorELNS0_4arch9wavefront6targetE1EEEvT1_: ; @_ZN7rocprim17ROCPRIM_400000_NS6detail17trampoline_kernelINS0_14default_configENS1_27scan_by_key_config_selectorIxxEEZZNS1_16scan_by_key_implILNS1_25lookback_scan_determinismE0ELb1ES3_N6thrust23THRUST_200600_302600_NS6detail15normal_iteratorINS9_10device_ptrIxEEEESE_SE_xNS9_4plusIvEENS9_8equal_toIxEExEE10hipError_tPvRmT2_T3_T4_T5_mT6_T7_P12ihipStream_tbENKUlT_T0_E_clISt17integral_constantIbLb1EESZ_EEDaSU_SV_EUlSU_E_NS1_11comp_targetILNS1_3genE3ELNS1_11target_archE908ELNS1_3gpuE7ELNS1_3repE0EEENS1_30default_config_static_selectorELNS0_4arch9wavefront6targetE1EEEvT1_
; %bb.0:
	.section	.rodata,"a",@progbits
	.p2align	6, 0x0
	.amdhsa_kernel _ZN7rocprim17ROCPRIM_400000_NS6detail17trampoline_kernelINS0_14default_configENS1_27scan_by_key_config_selectorIxxEEZZNS1_16scan_by_key_implILNS1_25lookback_scan_determinismE0ELb1ES3_N6thrust23THRUST_200600_302600_NS6detail15normal_iteratorINS9_10device_ptrIxEEEESE_SE_xNS9_4plusIvEENS9_8equal_toIxEExEE10hipError_tPvRmT2_T3_T4_T5_mT6_T7_P12ihipStream_tbENKUlT_T0_E_clISt17integral_constantIbLb1EESZ_EEDaSU_SV_EUlSU_E_NS1_11comp_targetILNS1_3genE3ELNS1_11target_archE908ELNS1_3gpuE7ELNS1_3repE0EEENS1_30default_config_static_selectorELNS0_4arch9wavefront6targetE1EEEvT1_
		.amdhsa_group_segment_fixed_size 0
		.amdhsa_private_segment_fixed_size 0
		.amdhsa_kernarg_size 136
		.amdhsa_user_sgpr_count 2
		.amdhsa_user_sgpr_dispatch_ptr 0
		.amdhsa_user_sgpr_queue_ptr 0
		.amdhsa_user_sgpr_kernarg_segment_ptr 1
		.amdhsa_user_sgpr_dispatch_id 0
		.amdhsa_user_sgpr_kernarg_preload_length 0
		.amdhsa_user_sgpr_kernarg_preload_offset 0
		.amdhsa_user_sgpr_private_segment_size 0
		.amdhsa_uses_dynamic_stack 0
		.amdhsa_enable_private_segment 0
		.amdhsa_system_sgpr_workgroup_id_x 1
		.amdhsa_system_sgpr_workgroup_id_y 0
		.amdhsa_system_sgpr_workgroup_id_z 0
		.amdhsa_system_sgpr_workgroup_info 0
		.amdhsa_system_vgpr_workitem_id 0
		.amdhsa_next_free_vgpr 1
		.amdhsa_next_free_sgpr 0
		.amdhsa_accum_offset 4
		.amdhsa_reserve_vcc 0
		.amdhsa_float_round_mode_32 0
		.amdhsa_float_round_mode_16_64 0
		.amdhsa_float_denorm_mode_32 3
		.amdhsa_float_denorm_mode_16_64 3
		.amdhsa_dx10_clamp 1
		.amdhsa_ieee_mode 1
		.amdhsa_fp16_overflow 0
		.amdhsa_tg_split 0
		.amdhsa_exception_fp_ieee_invalid_op 0
		.amdhsa_exception_fp_denorm_src 0
		.amdhsa_exception_fp_ieee_div_zero 0
		.amdhsa_exception_fp_ieee_overflow 0
		.amdhsa_exception_fp_ieee_underflow 0
		.amdhsa_exception_fp_ieee_inexact 0
		.amdhsa_exception_int_div_zero 0
	.end_amdhsa_kernel
	.section	.text._ZN7rocprim17ROCPRIM_400000_NS6detail17trampoline_kernelINS0_14default_configENS1_27scan_by_key_config_selectorIxxEEZZNS1_16scan_by_key_implILNS1_25lookback_scan_determinismE0ELb1ES3_N6thrust23THRUST_200600_302600_NS6detail15normal_iteratorINS9_10device_ptrIxEEEESE_SE_xNS9_4plusIvEENS9_8equal_toIxEExEE10hipError_tPvRmT2_T3_T4_T5_mT6_T7_P12ihipStream_tbENKUlT_T0_E_clISt17integral_constantIbLb1EESZ_EEDaSU_SV_EUlSU_E_NS1_11comp_targetILNS1_3genE3ELNS1_11target_archE908ELNS1_3gpuE7ELNS1_3repE0EEENS1_30default_config_static_selectorELNS0_4arch9wavefront6targetE1EEEvT1_,"axG",@progbits,_ZN7rocprim17ROCPRIM_400000_NS6detail17trampoline_kernelINS0_14default_configENS1_27scan_by_key_config_selectorIxxEEZZNS1_16scan_by_key_implILNS1_25lookback_scan_determinismE0ELb1ES3_N6thrust23THRUST_200600_302600_NS6detail15normal_iteratorINS9_10device_ptrIxEEEESE_SE_xNS9_4plusIvEENS9_8equal_toIxEExEE10hipError_tPvRmT2_T3_T4_T5_mT6_T7_P12ihipStream_tbENKUlT_T0_E_clISt17integral_constantIbLb1EESZ_EEDaSU_SV_EUlSU_E_NS1_11comp_targetILNS1_3genE3ELNS1_11target_archE908ELNS1_3gpuE7ELNS1_3repE0EEENS1_30default_config_static_selectorELNS0_4arch9wavefront6targetE1EEEvT1_,comdat
.Lfunc_end438:
	.size	_ZN7rocprim17ROCPRIM_400000_NS6detail17trampoline_kernelINS0_14default_configENS1_27scan_by_key_config_selectorIxxEEZZNS1_16scan_by_key_implILNS1_25lookback_scan_determinismE0ELb1ES3_N6thrust23THRUST_200600_302600_NS6detail15normal_iteratorINS9_10device_ptrIxEEEESE_SE_xNS9_4plusIvEENS9_8equal_toIxEExEE10hipError_tPvRmT2_T3_T4_T5_mT6_T7_P12ihipStream_tbENKUlT_T0_E_clISt17integral_constantIbLb1EESZ_EEDaSU_SV_EUlSU_E_NS1_11comp_targetILNS1_3genE3ELNS1_11target_archE908ELNS1_3gpuE7ELNS1_3repE0EEENS1_30default_config_static_selectorELNS0_4arch9wavefront6targetE1EEEvT1_, .Lfunc_end438-_ZN7rocprim17ROCPRIM_400000_NS6detail17trampoline_kernelINS0_14default_configENS1_27scan_by_key_config_selectorIxxEEZZNS1_16scan_by_key_implILNS1_25lookback_scan_determinismE0ELb1ES3_N6thrust23THRUST_200600_302600_NS6detail15normal_iteratorINS9_10device_ptrIxEEEESE_SE_xNS9_4plusIvEENS9_8equal_toIxEExEE10hipError_tPvRmT2_T3_T4_T5_mT6_T7_P12ihipStream_tbENKUlT_T0_E_clISt17integral_constantIbLb1EESZ_EEDaSU_SV_EUlSU_E_NS1_11comp_targetILNS1_3genE3ELNS1_11target_archE908ELNS1_3gpuE7ELNS1_3repE0EEENS1_30default_config_static_selectorELNS0_4arch9wavefront6targetE1EEEvT1_
                                        ; -- End function
	.section	.AMDGPU.csdata,"",@progbits
; Kernel info:
; codeLenInByte = 0
; NumSgprs: 6
; NumVgprs: 0
; NumAgprs: 0
; TotalNumVgprs: 0
; ScratchSize: 0
; MemoryBound: 0
; FloatMode: 240
; IeeeMode: 1
; LDSByteSize: 0 bytes/workgroup (compile time only)
; SGPRBlocks: 0
; VGPRBlocks: 0
; NumSGPRsForWavesPerEU: 6
; NumVGPRsForWavesPerEU: 1
; AccumOffset: 4
; Occupancy: 8
; WaveLimiterHint : 0
; COMPUTE_PGM_RSRC2:SCRATCH_EN: 0
; COMPUTE_PGM_RSRC2:USER_SGPR: 2
; COMPUTE_PGM_RSRC2:TRAP_HANDLER: 0
; COMPUTE_PGM_RSRC2:TGID_X_EN: 1
; COMPUTE_PGM_RSRC2:TGID_Y_EN: 0
; COMPUTE_PGM_RSRC2:TGID_Z_EN: 0
; COMPUTE_PGM_RSRC2:TIDIG_COMP_CNT: 0
; COMPUTE_PGM_RSRC3_GFX90A:ACCUM_OFFSET: 0
; COMPUTE_PGM_RSRC3_GFX90A:TG_SPLIT: 0
	.section	.text._ZN7rocprim17ROCPRIM_400000_NS6detail17trampoline_kernelINS0_14default_configENS1_27scan_by_key_config_selectorIxxEEZZNS1_16scan_by_key_implILNS1_25lookback_scan_determinismE0ELb1ES3_N6thrust23THRUST_200600_302600_NS6detail15normal_iteratorINS9_10device_ptrIxEEEESE_SE_xNS9_4plusIvEENS9_8equal_toIxEExEE10hipError_tPvRmT2_T3_T4_T5_mT6_T7_P12ihipStream_tbENKUlT_T0_E_clISt17integral_constantIbLb1EESZ_EEDaSU_SV_EUlSU_E_NS1_11comp_targetILNS1_3genE2ELNS1_11target_archE906ELNS1_3gpuE6ELNS1_3repE0EEENS1_30default_config_static_selectorELNS0_4arch9wavefront6targetE1EEEvT1_,"axG",@progbits,_ZN7rocprim17ROCPRIM_400000_NS6detail17trampoline_kernelINS0_14default_configENS1_27scan_by_key_config_selectorIxxEEZZNS1_16scan_by_key_implILNS1_25lookback_scan_determinismE0ELb1ES3_N6thrust23THRUST_200600_302600_NS6detail15normal_iteratorINS9_10device_ptrIxEEEESE_SE_xNS9_4plusIvEENS9_8equal_toIxEExEE10hipError_tPvRmT2_T3_T4_T5_mT6_T7_P12ihipStream_tbENKUlT_T0_E_clISt17integral_constantIbLb1EESZ_EEDaSU_SV_EUlSU_E_NS1_11comp_targetILNS1_3genE2ELNS1_11target_archE906ELNS1_3gpuE6ELNS1_3repE0EEENS1_30default_config_static_selectorELNS0_4arch9wavefront6targetE1EEEvT1_,comdat
	.protected	_ZN7rocprim17ROCPRIM_400000_NS6detail17trampoline_kernelINS0_14default_configENS1_27scan_by_key_config_selectorIxxEEZZNS1_16scan_by_key_implILNS1_25lookback_scan_determinismE0ELb1ES3_N6thrust23THRUST_200600_302600_NS6detail15normal_iteratorINS9_10device_ptrIxEEEESE_SE_xNS9_4plusIvEENS9_8equal_toIxEExEE10hipError_tPvRmT2_T3_T4_T5_mT6_T7_P12ihipStream_tbENKUlT_T0_E_clISt17integral_constantIbLb1EESZ_EEDaSU_SV_EUlSU_E_NS1_11comp_targetILNS1_3genE2ELNS1_11target_archE906ELNS1_3gpuE6ELNS1_3repE0EEENS1_30default_config_static_selectorELNS0_4arch9wavefront6targetE1EEEvT1_ ; -- Begin function _ZN7rocprim17ROCPRIM_400000_NS6detail17trampoline_kernelINS0_14default_configENS1_27scan_by_key_config_selectorIxxEEZZNS1_16scan_by_key_implILNS1_25lookback_scan_determinismE0ELb1ES3_N6thrust23THRUST_200600_302600_NS6detail15normal_iteratorINS9_10device_ptrIxEEEESE_SE_xNS9_4plusIvEENS9_8equal_toIxEExEE10hipError_tPvRmT2_T3_T4_T5_mT6_T7_P12ihipStream_tbENKUlT_T0_E_clISt17integral_constantIbLb1EESZ_EEDaSU_SV_EUlSU_E_NS1_11comp_targetILNS1_3genE2ELNS1_11target_archE906ELNS1_3gpuE6ELNS1_3repE0EEENS1_30default_config_static_selectorELNS0_4arch9wavefront6targetE1EEEvT1_
	.globl	_ZN7rocprim17ROCPRIM_400000_NS6detail17trampoline_kernelINS0_14default_configENS1_27scan_by_key_config_selectorIxxEEZZNS1_16scan_by_key_implILNS1_25lookback_scan_determinismE0ELb1ES3_N6thrust23THRUST_200600_302600_NS6detail15normal_iteratorINS9_10device_ptrIxEEEESE_SE_xNS9_4plusIvEENS9_8equal_toIxEExEE10hipError_tPvRmT2_T3_T4_T5_mT6_T7_P12ihipStream_tbENKUlT_T0_E_clISt17integral_constantIbLb1EESZ_EEDaSU_SV_EUlSU_E_NS1_11comp_targetILNS1_3genE2ELNS1_11target_archE906ELNS1_3gpuE6ELNS1_3repE0EEENS1_30default_config_static_selectorELNS0_4arch9wavefront6targetE1EEEvT1_
	.p2align	8
	.type	_ZN7rocprim17ROCPRIM_400000_NS6detail17trampoline_kernelINS0_14default_configENS1_27scan_by_key_config_selectorIxxEEZZNS1_16scan_by_key_implILNS1_25lookback_scan_determinismE0ELb1ES3_N6thrust23THRUST_200600_302600_NS6detail15normal_iteratorINS9_10device_ptrIxEEEESE_SE_xNS9_4plusIvEENS9_8equal_toIxEExEE10hipError_tPvRmT2_T3_T4_T5_mT6_T7_P12ihipStream_tbENKUlT_T0_E_clISt17integral_constantIbLb1EESZ_EEDaSU_SV_EUlSU_E_NS1_11comp_targetILNS1_3genE2ELNS1_11target_archE906ELNS1_3gpuE6ELNS1_3repE0EEENS1_30default_config_static_selectorELNS0_4arch9wavefront6targetE1EEEvT1_,@function
_ZN7rocprim17ROCPRIM_400000_NS6detail17trampoline_kernelINS0_14default_configENS1_27scan_by_key_config_selectorIxxEEZZNS1_16scan_by_key_implILNS1_25lookback_scan_determinismE0ELb1ES3_N6thrust23THRUST_200600_302600_NS6detail15normal_iteratorINS9_10device_ptrIxEEEESE_SE_xNS9_4plusIvEENS9_8equal_toIxEExEE10hipError_tPvRmT2_T3_T4_T5_mT6_T7_P12ihipStream_tbENKUlT_T0_E_clISt17integral_constantIbLb1EESZ_EEDaSU_SV_EUlSU_E_NS1_11comp_targetILNS1_3genE2ELNS1_11target_archE906ELNS1_3gpuE6ELNS1_3repE0EEENS1_30default_config_static_selectorELNS0_4arch9wavefront6targetE1EEEvT1_: ; @_ZN7rocprim17ROCPRIM_400000_NS6detail17trampoline_kernelINS0_14default_configENS1_27scan_by_key_config_selectorIxxEEZZNS1_16scan_by_key_implILNS1_25lookback_scan_determinismE0ELb1ES3_N6thrust23THRUST_200600_302600_NS6detail15normal_iteratorINS9_10device_ptrIxEEEESE_SE_xNS9_4plusIvEENS9_8equal_toIxEExEE10hipError_tPvRmT2_T3_T4_T5_mT6_T7_P12ihipStream_tbENKUlT_T0_E_clISt17integral_constantIbLb1EESZ_EEDaSU_SV_EUlSU_E_NS1_11comp_targetILNS1_3genE2ELNS1_11target_archE906ELNS1_3gpuE6ELNS1_3repE0EEENS1_30default_config_static_selectorELNS0_4arch9wavefront6targetE1EEEvT1_
; %bb.0:
	.section	.rodata,"a",@progbits
	.p2align	6, 0x0
	.amdhsa_kernel _ZN7rocprim17ROCPRIM_400000_NS6detail17trampoline_kernelINS0_14default_configENS1_27scan_by_key_config_selectorIxxEEZZNS1_16scan_by_key_implILNS1_25lookback_scan_determinismE0ELb1ES3_N6thrust23THRUST_200600_302600_NS6detail15normal_iteratorINS9_10device_ptrIxEEEESE_SE_xNS9_4plusIvEENS9_8equal_toIxEExEE10hipError_tPvRmT2_T3_T4_T5_mT6_T7_P12ihipStream_tbENKUlT_T0_E_clISt17integral_constantIbLb1EESZ_EEDaSU_SV_EUlSU_E_NS1_11comp_targetILNS1_3genE2ELNS1_11target_archE906ELNS1_3gpuE6ELNS1_3repE0EEENS1_30default_config_static_selectorELNS0_4arch9wavefront6targetE1EEEvT1_
		.amdhsa_group_segment_fixed_size 0
		.amdhsa_private_segment_fixed_size 0
		.amdhsa_kernarg_size 136
		.amdhsa_user_sgpr_count 2
		.amdhsa_user_sgpr_dispatch_ptr 0
		.amdhsa_user_sgpr_queue_ptr 0
		.amdhsa_user_sgpr_kernarg_segment_ptr 1
		.amdhsa_user_sgpr_dispatch_id 0
		.amdhsa_user_sgpr_kernarg_preload_length 0
		.amdhsa_user_sgpr_kernarg_preload_offset 0
		.amdhsa_user_sgpr_private_segment_size 0
		.amdhsa_uses_dynamic_stack 0
		.amdhsa_enable_private_segment 0
		.amdhsa_system_sgpr_workgroup_id_x 1
		.amdhsa_system_sgpr_workgroup_id_y 0
		.amdhsa_system_sgpr_workgroup_id_z 0
		.amdhsa_system_sgpr_workgroup_info 0
		.amdhsa_system_vgpr_workitem_id 0
		.amdhsa_next_free_vgpr 1
		.amdhsa_next_free_sgpr 0
		.amdhsa_accum_offset 4
		.amdhsa_reserve_vcc 0
		.amdhsa_float_round_mode_32 0
		.amdhsa_float_round_mode_16_64 0
		.amdhsa_float_denorm_mode_32 3
		.amdhsa_float_denorm_mode_16_64 3
		.amdhsa_dx10_clamp 1
		.amdhsa_ieee_mode 1
		.amdhsa_fp16_overflow 0
		.amdhsa_tg_split 0
		.amdhsa_exception_fp_ieee_invalid_op 0
		.amdhsa_exception_fp_denorm_src 0
		.amdhsa_exception_fp_ieee_div_zero 0
		.amdhsa_exception_fp_ieee_overflow 0
		.amdhsa_exception_fp_ieee_underflow 0
		.amdhsa_exception_fp_ieee_inexact 0
		.amdhsa_exception_int_div_zero 0
	.end_amdhsa_kernel
	.section	.text._ZN7rocprim17ROCPRIM_400000_NS6detail17trampoline_kernelINS0_14default_configENS1_27scan_by_key_config_selectorIxxEEZZNS1_16scan_by_key_implILNS1_25lookback_scan_determinismE0ELb1ES3_N6thrust23THRUST_200600_302600_NS6detail15normal_iteratorINS9_10device_ptrIxEEEESE_SE_xNS9_4plusIvEENS9_8equal_toIxEExEE10hipError_tPvRmT2_T3_T4_T5_mT6_T7_P12ihipStream_tbENKUlT_T0_E_clISt17integral_constantIbLb1EESZ_EEDaSU_SV_EUlSU_E_NS1_11comp_targetILNS1_3genE2ELNS1_11target_archE906ELNS1_3gpuE6ELNS1_3repE0EEENS1_30default_config_static_selectorELNS0_4arch9wavefront6targetE1EEEvT1_,"axG",@progbits,_ZN7rocprim17ROCPRIM_400000_NS6detail17trampoline_kernelINS0_14default_configENS1_27scan_by_key_config_selectorIxxEEZZNS1_16scan_by_key_implILNS1_25lookback_scan_determinismE0ELb1ES3_N6thrust23THRUST_200600_302600_NS6detail15normal_iteratorINS9_10device_ptrIxEEEESE_SE_xNS9_4plusIvEENS9_8equal_toIxEExEE10hipError_tPvRmT2_T3_T4_T5_mT6_T7_P12ihipStream_tbENKUlT_T0_E_clISt17integral_constantIbLb1EESZ_EEDaSU_SV_EUlSU_E_NS1_11comp_targetILNS1_3genE2ELNS1_11target_archE906ELNS1_3gpuE6ELNS1_3repE0EEENS1_30default_config_static_selectorELNS0_4arch9wavefront6targetE1EEEvT1_,comdat
.Lfunc_end439:
	.size	_ZN7rocprim17ROCPRIM_400000_NS6detail17trampoline_kernelINS0_14default_configENS1_27scan_by_key_config_selectorIxxEEZZNS1_16scan_by_key_implILNS1_25lookback_scan_determinismE0ELb1ES3_N6thrust23THRUST_200600_302600_NS6detail15normal_iteratorINS9_10device_ptrIxEEEESE_SE_xNS9_4plusIvEENS9_8equal_toIxEExEE10hipError_tPvRmT2_T3_T4_T5_mT6_T7_P12ihipStream_tbENKUlT_T0_E_clISt17integral_constantIbLb1EESZ_EEDaSU_SV_EUlSU_E_NS1_11comp_targetILNS1_3genE2ELNS1_11target_archE906ELNS1_3gpuE6ELNS1_3repE0EEENS1_30default_config_static_selectorELNS0_4arch9wavefront6targetE1EEEvT1_, .Lfunc_end439-_ZN7rocprim17ROCPRIM_400000_NS6detail17trampoline_kernelINS0_14default_configENS1_27scan_by_key_config_selectorIxxEEZZNS1_16scan_by_key_implILNS1_25lookback_scan_determinismE0ELb1ES3_N6thrust23THRUST_200600_302600_NS6detail15normal_iteratorINS9_10device_ptrIxEEEESE_SE_xNS9_4plusIvEENS9_8equal_toIxEExEE10hipError_tPvRmT2_T3_T4_T5_mT6_T7_P12ihipStream_tbENKUlT_T0_E_clISt17integral_constantIbLb1EESZ_EEDaSU_SV_EUlSU_E_NS1_11comp_targetILNS1_3genE2ELNS1_11target_archE906ELNS1_3gpuE6ELNS1_3repE0EEENS1_30default_config_static_selectorELNS0_4arch9wavefront6targetE1EEEvT1_
                                        ; -- End function
	.section	.AMDGPU.csdata,"",@progbits
; Kernel info:
; codeLenInByte = 0
; NumSgprs: 6
; NumVgprs: 0
; NumAgprs: 0
; TotalNumVgprs: 0
; ScratchSize: 0
; MemoryBound: 0
; FloatMode: 240
; IeeeMode: 1
; LDSByteSize: 0 bytes/workgroup (compile time only)
; SGPRBlocks: 0
; VGPRBlocks: 0
; NumSGPRsForWavesPerEU: 6
; NumVGPRsForWavesPerEU: 1
; AccumOffset: 4
; Occupancy: 8
; WaveLimiterHint : 0
; COMPUTE_PGM_RSRC2:SCRATCH_EN: 0
; COMPUTE_PGM_RSRC2:USER_SGPR: 2
; COMPUTE_PGM_RSRC2:TRAP_HANDLER: 0
; COMPUTE_PGM_RSRC2:TGID_X_EN: 1
; COMPUTE_PGM_RSRC2:TGID_Y_EN: 0
; COMPUTE_PGM_RSRC2:TGID_Z_EN: 0
; COMPUTE_PGM_RSRC2:TIDIG_COMP_CNT: 0
; COMPUTE_PGM_RSRC3_GFX90A:ACCUM_OFFSET: 0
; COMPUTE_PGM_RSRC3_GFX90A:TG_SPLIT: 0
	.section	.text._ZN7rocprim17ROCPRIM_400000_NS6detail17trampoline_kernelINS0_14default_configENS1_27scan_by_key_config_selectorIxxEEZZNS1_16scan_by_key_implILNS1_25lookback_scan_determinismE0ELb1ES3_N6thrust23THRUST_200600_302600_NS6detail15normal_iteratorINS9_10device_ptrIxEEEESE_SE_xNS9_4plusIvEENS9_8equal_toIxEExEE10hipError_tPvRmT2_T3_T4_T5_mT6_T7_P12ihipStream_tbENKUlT_T0_E_clISt17integral_constantIbLb1EESZ_EEDaSU_SV_EUlSU_E_NS1_11comp_targetILNS1_3genE10ELNS1_11target_archE1200ELNS1_3gpuE4ELNS1_3repE0EEENS1_30default_config_static_selectorELNS0_4arch9wavefront6targetE1EEEvT1_,"axG",@progbits,_ZN7rocprim17ROCPRIM_400000_NS6detail17trampoline_kernelINS0_14default_configENS1_27scan_by_key_config_selectorIxxEEZZNS1_16scan_by_key_implILNS1_25lookback_scan_determinismE0ELb1ES3_N6thrust23THRUST_200600_302600_NS6detail15normal_iteratorINS9_10device_ptrIxEEEESE_SE_xNS9_4plusIvEENS9_8equal_toIxEExEE10hipError_tPvRmT2_T3_T4_T5_mT6_T7_P12ihipStream_tbENKUlT_T0_E_clISt17integral_constantIbLb1EESZ_EEDaSU_SV_EUlSU_E_NS1_11comp_targetILNS1_3genE10ELNS1_11target_archE1200ELNS1_3gpuE4ELNS1_3repE0EEENS1_30default_config_static_selectorELNS0_4arch9wavefront6targetE1EEEvT1_,comdat
	.protected	_ZN7rocprim17ROCPRIM_400000_NS6detail17trampoline_kernelINS0_14default_configENS1_27scan_by_key_config_selectorIxxEEZZNS1_16scan_by_key_implILNS1_25lookback_scan_determinismE0ELb1ES3_N6thrust23THRUST_200600_302600_NS6detail15normal_iteratorINS9_10device_ptrIxEEEESE_SE_xNS9_4plusIvEENS9_8equal_toIxEExEE10hipError_tPvRmT2_T3_T4_T5_mT6_T7_P12ihipStream_tbENKUlT_T0_E_clISt17integral_constantIbLb1EESZ_EEDaSU_SV_EUlSU_E_NS1_11comp_targetILNS1_3genE10ELNS1_11target_archE1200ELNS1_3gpuE4ELNS1_3repE0EEENS1_30default_config_static_selectorELNS0_4arch9wavefront6targetE1EEEvT1_ ; -- Begin function _ZN7rocprim17ROCPRIM_400000_NS6detail17trampoline_kernelINS0_14default_configENS1_27scan_by_key_config_selectorIxxEEZZNS1_16scan_by_key_implILNS1_25lookback_scan_determinismE0ELb1ES3_N6thrust23THRUST_200600_302600_NS6detail15normal_iteratorINS9_10device_ptrIxEEEESE_SE_xNS9_4plusIvEENS9_8equal_toIxEExEE10hipError_tPvRmT2_T3_T4_T5_mT6_T7_P12ihipStream_tbENKUlT_T0_E_clISt17integral_constantIbLb1EESZ_EEDaSU_SV_EUlSU_E_NS1_11comp_targetILNS1_3genE10ELNS1_11target_archE1200ELNS1_3gpuE4ELNS1_3repE0EEENS1_30default_config_static_selectorELNS0_4arch9wavefront6targetE1EEEvT1_
	.globl	_ZN7rocprim17ROCPRIM_400000_NS6detail17trampoline_kernelINS0_14default_configENS1_27scan_by_key_config_selectorIxxEEZZNS1_16scan_by_key_implILNS1_25lookback_scan_determinismE0ELb1ES3_N6thrust23THRUST_200600_302600_NS6detail15normal_iteratorINS9_10device_ptrIxEEEESE_SE_xNS9_4plusIvEENS9_8equal_toIxEExEE10hipError_tPvRmT2_T3_T4_T5_mT6_T7_P12ihipStream_tbENKUlT_T0_E_clISt17integral_constantIbLb1EESZ_EEDaSU_SV_EUlSU_E_NS1_11comp_targetILNS1_3genE10ELNS1_11target_archE1200ELNS1_3gpuE4ELNS1_3repE0EEENS1_30default_config_static_selectorELNS0_4arch9wavefront6targetE1EEEvT1_
	.p2align	8
	.type	_ZN7rocprim17ROCPRIM_400000_NS6detail17trampoline_kernelINS0_14default_configENS1_27scan_by_key_config_selectorIxxEEZZNS1_16scan_by_key_implILNS1_25lookback_scan_determinismE0ELb1ES3_N6thrust23THRUST_200600_302600_NS6detail15normal_iteratorINS9_10device_ptrIxEEEESE_SE_xNS9_4plusIvEENS9_8equal_toIxEExEE10hipError_tPvRmT2_T3_T4_T5_mT6_T7_P12ihipStream_tbENKUlT_T0_E_clISt17integral_constantIbLb1EESZ_EEDaSU_SV_EUlSU_E_NS1_11comp_targetILNS1_3genE10ELNS1_11target_archE1200ELNS1_3gpuE4ELNS1_3repE0EEENS1_30default_config_static_selectorELNS0_4arch9wavefront6targetE1EEEvT1_,@function
_ZN7rocprim17ROCPRIM_400000_NS6detail17trampoline_kernelINS0_14default_configENS1_27scan_by_key_config_selectorIxxEEZZNS1_16scan_by_key_implILNS1_25lookback_scan_determinismE0ELb1ES3_N6thrust23THRUST_200600_302600_NS6detail15normal_iteratorINS9_10device_ptrIxEEEESE_SE_xNS9_4plusIvEENS9_8equal_toIxEExEE10hipError_tPvRmT2_T3_T4_T5_mT6_T7_P12ihipStream_tbENKUlT_T0_E_clISt17integral_constantIbLb1EESZ_EEDaSU_SV_EUlSU_E_NS1_11comp_targetILNS1_3genE10ELNS1_11target_archE1200ELNS1_3gpuE4ELNS1_3repE0EEENS1_30default_config_static_selectorELNS0_4arch9wavefront6targetE1EEEvT1_: ; @_ZN7rocprim17ROCPRIM_400000_NS6detail17trampoline_kernelINS0_14default_configENS1_27scan_by_key_config_selectorIxxEEZZNS1_16scan_by_key_implILNS1_25lookback_scan_determinismE0ELb1ES3_N6thrust23THRUST_200600_302600_NS6detail15normal_iteratorINS9_10device_ptrIxEEEESE_SE_xNS9_4plusIvEENS9_8equal_toIxEExEE10hipError_tPvRmT2_T3_T4_T5_mT6_T7_P12ihipStream_tbENKUlT_T0_E_clISt17integral_constantIbLb1EESZ_EEDaSU_SV_EUlSU_E_NS1_11comp_targetILNS1_3genE10ELNS1_11target_archE1200ELNS1_3gpuE4ELNS1_3repE0EEENS1_30default_config_static_selectorELNS0_4arch9wavefront6targetE1EEEvT1_
; %bb.0:
	.section	.rodata,"a",@progbits
	.p2align	6, 0x0
	.amdhsa_kernel _ZN7rocprim17ROCPRIM_400000_NS6detail17trampoline_kernelINS0_14default_configENS1_27scan_by_key_config_selectorIxxEEZZNS1_16scan_by_key_implILNS1_25lookback_scan_determinismE0ELb1ES3_N6thrust23THRUST_200600_302600_NS6detail15normal_iteratorINS9_10device_ptrIxEEEESE_SE_xNS9_4plusIvEENS9_8equal_toIxEExEE10hipError_tPvRmT2_T3_T4_T5_mT6_T7_P12ihipStream_tbENKUlT_T0_E_clISt17integral_constantIbLb1EESZ_EEDaSU_SV_EUlSU_E_NS1_11comp_targetILNS1_3genE10ELNS1_11target_archE1200ELNS1_3gpuE4ELNS1_3repE0EEENS1_30default_config_static_selectorELNS0_4arch9wavefront6targetE1EEEvT1_
		.amdhsa_group_segment_fixed_size 0
		.amdhsa_private_segment_fixed_size 0
		.amdhsa_kernarg_size 136
		.amdhsa_user_sgpr_count 2
		.amdhsa_user_sgpr_dispatch_ptr 0
		.amdhsa_user_sgpr_queue_ptr 0
		.amdhsa_user_sgpr_kernarg_segment_ptr 1
		.amdhsa_user_sgpr_dispatch_id 0
		.amdhsa_user_sgpr_kernarg_preload_length 0
		.amdhsa_user_sgpr_kernarg_preload_offset 0
		.amdhsa_user_sgpr_private_segment_size 0
		.amdhsa_uses_dynamic_stack 0
		.amdhsa_enable_private_segment 0
		.amdhsa_system_sgpr_workgroup_id_x 1
		.amdhsa_system_sgpr_workgroup_id_y 0
		.amdhsa_system_sgpr_workgroup_id_z 0
		.amdhsa_system_sgpr_workgroup_info 0
		.amdhsa_system_vgpr_workitem_id 0
		.amdhsa_next_free_vgpr 1
		.amdhsa_next_free_sgpr 0
		.amdhsa_accum_offset 4
		.amdhsa_reserve_vcc 0
		.amdhsa_float_round_mode_32 0
		.amdhsa_float_round_mode_16_64 0
		.amdhsa_float_denorm_mode_32 3
		.amdhsa_float_denorm_mode_16_64 3
		.amdhsa_dx10_clamp 1
		.amdhsa_ieee_mode 1
		.amdhsa_fp16_overflow 0
		.amdhsa_tg_split 0
		.amdhsa_exception_fp_ieee_invalid_op 0
		.amdhsa_exception_fp_denorm_src 0
		.amdhsa_exception_fp_ieee_div_zero 0
		.amdhsa_exception_fp_ieee_overflow 0
		.amdhsa_exception_fp_ieee_underflow 0
		.amdhsa_exception_fp_ieee_inexact 0
		.amdhsa_exception_int_div_zero 0
	.end_amdhsa_kernel
	.section	.text._ZN7rocprim17ROCPRIM_400000_NS6detail17trampoline_kernelINS0_14default_configENS1_27scan_by_key_config_selectorIxxEEZZNS1_16scan_by_key_implILNS1_25lookback_scan_determinismE0ELb1ES3_N6thrust23THRUST_200600_302600_NS6detail15normal_iteratorINS9_10device_ptrIxEEEESE_SE_xNS9_4plusIvEENS9_8equal_toIxEExEE10hipError_tPvRmT2_T3_T4_T5_mT6_T7_P12ihipStream_tbENKUlT_T0_E_clISt17integral_constantIbLb1EESZ_EEDaSU_SV_EUlSU_E_NS1_11comp_targetILNS1_3genE10ELNS1_11target_archE1200ELNS1_3gpuE4ELNS1_3repE0EEENS1_30default_config_static_selectorELNS0_4arch9wavefront6targetE1EEEvT1_,"axG",@progbits,_ZN7rocprim17ROCPRIM_400000_NS6detail17trampoline_kernelINS0_14default_configENS1_27scan_by_key_config_selectorIxxEEZZNS1_16scan_by_key_implILNS1_25lookback_scan_determinismE0ELb1ES3_N6thrust23THRUST_200600_302600_NS6detail15normal_iteratorINS9_10device_ptrIxEEEESE_SE_xNS9_4plusIvEENS9_8equal_toIxEExEE10hipError_tPvRmT2_T3_T4_T5_mT6_T7_P12ihipStream_tbENKUlT_T0_E_clISt17integral_constantIbLb1EESZ_EEDaSU_SV_EUlSU_E_NS1_11comp_targetILNS1_3genE10ELNS1_11target_archE1200ELNS1_3gpuE4ELNS1_3repE0EEENS1_30default_config_static_selectorELNS0_4arch9wavefront6targetE1EEEvT1_,comdat
.Lfunc_end440:
	.size	_ZN7rocprim17ROCPRIM_400000_NS6detail17trampoline_kernelINS0_14default_configENS1_27scan_by_key_config_selectorIxxEEZZNS1_16scan_by_key_implILNS1_25lookback_scan_determinismE0ELb1ES3_N6thrust23THRUST_200600_302600_NS6detail15normal_iteratorINS9_10device_ptrIxEEEESE_SE_xNS9_4plusIvEENS9_8equal_toIxEExEE10hipError_tPvRmT2_T3_T4_T5_mT6_T7_P12ihipStream_tbENKUlT_T0_E_clISt17integral_constantIbLb1EESZ_EEDaSU_SV_EUlSU_E_NS1_11comp_targetILNS1_3genE10ELNS1_11target_archE1200ELNS1_3gpuE4ELNS1_3repE0EEENS1_30default_config_static_selectorELNS0_4arch9wavefront6targetE1EEEvT1_, .Lfunc_end440-_ZN7rocprim17ROCPRIM_400000_NS6detail17trampoline_kernelINS0_14default_configENS1_27scan_by_key_config_selectorIxxEEZZNS1_16scan_by_key_implILNS1_25lookback_scan_determinismE0ELb1ES3_N6thrust23THRUST_200600_302600_NS6detail15normal_iteratorINS9_10device_ptrIxEEEESE_SE_xNS9_4plusIvEENS9_8equal_toIxEExEE10hipError_tPvRmT2_T3_T4_T5_mT6_T7_P12ihipStream_tbENKUlT_T0_E_clISt17integral_constantIbLb1EESZ_EEDaSU_SV_EUlSU_E_NS1_11comp_targetILNS1_3genE10ELNS1_11target_archE1200ELNS1_3gpuE4ELNS1_3repE0EEENS1_30default_config_static_selectorELNS0_4arch9wavefront6targetE1EEEvT1_
                                        ; -- End function
	.section	.AMDGPU.csdata,"",@progbits
; Kernel info:
; codeLenInByte = 0
; NumSgprs: 6
; NumVgprs: 0
; NumAgprs: 0
; TotalNumVgprs: 0
; ScratchSize: 0
; MemoryBound: 0
; FloatMode: 240
; IeeeMode: 1
; LDSByteSize: 0 bytes/workgroup (compile time only)
; SGPRBlocks: 0
; VGPRBlocks: 0
; NumSGPRsForWavesPerEU: 6
; NumVGPRsForWavesPerEU: 1
; AccumOffset: 4
; Occupancy: 8
; WaveLimiterHint : 0
; COMPUTE_PGM_RSRC2:SCRATCH_EN: 0
; COMPUTE_PGM_RSRC2:USER_SGPR: 2
; COMPUTE_PGM_RSRC2:TRAP_HANDLER: 0
; COMPUTE_PGM_RSRC2:TGID_X_EN: 1
; COMPUTE_PGM_RSRC2:TGID_Y_EN: 0
; COMPUTE_PGM_RSRC2:TGID_Z_EN: 0
; COMPUTE_PGM_RSRC2:TIDIG_COMP_CNT: 0
; COMPUTE_PGM_RSRC3_GFX90A:ACCUM_OFFSET: 0
; COMPUTE_PGM_RSRC3_GFX90A:TG_SPLIT: 0
	.section	.text._ZN7rocprim17ROCPRIM_400000_NS6detail17trampoline_kernelINS0_14default_configENS1_27scan_by_key_config_selectorIxxEEZZNS1_16scan_by_key_implILNS1_25lookback_scan_determinismE0ELb1ES3_N6thrust23THRUST_200600_302600_NS6detail15normal_iteratorINS9_10device_ptrIxEEEESE_SE_xNS9_4plusIvEENS9_8equal_toIxEExEE10hipError_tPvRmT2_T3_T4_T5_mT6_T7_P12ihipStream_tbENKUlT_T0_E_clISt17integral_constantIbLb1EESZ_EEDaSU_SV_EUlSU_E_NS1_11comp_targetILNS1_3genE9ELNS1_11target_archE1100ELNS1_3gpuE3ELNS1_3repE0EEENS1_30default_config_static_selectorELNS0_4arch9wavefront6targetE1EEEvT1_,"axG",@progbits,_ZN7rocprim17ROCPRIM_400000_NS6detail17trampoline_kernelINS0_14default_configENS1_27scan_by_key_config_selectorIxxEEZZNS1_16scan_by_key_implILNS1_25lookback_scan_determinismE0ELb1ES3_N6thrust23THRUST_200600_302600_NS6detail15normal_iteratorINS9_10device_ptrIxEEEESE_SE_xNS9_4plusIvEENS9_8equal_toIxEExEE10hipError_tPvRmT2_T3_T4_T5_mT6_T7_P12ihipStream_tbENKUlT_T0_E_clISt17integral_constantIbLb1EESZ_EEDaSU_SV_EUlSU_E_NS1_11comp_targetILNS1_3genE9ELNS1_11target_archE1100ELNS1_3gpuE3ELNS1_3repE0EEENS1_30default_config_static_selectorELNS0_4arch9wavefront6targetE1EEEvT1_,comdat
	.protected	_ZN7rocprim17ROCPRIM_400000_NS6detail17trampoline_kernelINS0_14default_configENS1_27scan_by_key_config_selectorIxxEEZZNS1_16scan_by_key_implILNS1_25lookback_scan_determinismE0ELb1ES3_N6thrust23THRUST_200600_302600_NS6detail15normal_iteratorINS9_10device_ptrIxEEEESE_SE_xNS9_4plusIvEENS9_8equal_toIxEExEE10hipError_tPvRmT2_T3_T4_T5_mT6_T7_P12ihipStream_tbENKUlT_T0_E_clISt17integral_constantIbLb1EESZ_EEDaSU_SV_EUlSU_E_NS1_11comp_targetILNS1_3genE9ELNS1_11target_archE1100ELNS1_3gpuE3ELNS1_3repE0EEENS1_30default_config_static_selectorELNS0_4arch9wavefront6targetE1EEEvT1_ ; -- Begin function _ZN7rocprim17ROCPRIM_400000_NS6detail17trampoline_kernelINS0_14default_configENS1_27scan_by_key_config_selectorIxxEEZZNS1_16scan_by_key_implILNS1_25lookback_scan_determinismE0ELb1ES3_N6thrust23THRUST_200600_302600_NS6detail15normal_iteratorINS9_10device_ptrIxEEEESE_SE_xNS9_4plusIvEENS9_8equal_toIxEExEE10hipError_tPvRmT2_T3_T4_T5_mT6_T7_P12ihipStream_tbENKUlT_T0_E_clISt17integral_constantIbLb1EESZ_EEDaSU_SV_EUlSU_E_NS1_11comp_targetILNS1_3genE9ELNS1_11target_archE1100ELNS1_3gpuE3ELNS1_3repE0EEENS1_30default_config_static_selectorELNS0_4arch9wavefront6targetE1EEEvT1_
	.globl	_ZN7rocprim17ROCPRIM_400000_NS6detail17trampoline_kernelINS0_14default_configENS1_27scan_by_key_config_selectorIxxEEZZNS1_16scan_by_key_implILNS1_25lookback_scan_determinismE0ELb1ES3_N6thrust23THRUST_200600_302600_NS6detail15normal_iteratorINS9_10device_ptrIxEEEESE_SE_xNS9_4plusIvEENS9_8equal_toIxEExEE10hipError_tPvRmT2_T3_T4_T5_mT6_T7_P12ihipStream_tbENKUlT_T0_E_clISt17integral_constantIbLb1EESZ_EEDaSU_SV_EUlSU_E_NS1_11comp_targetILNS1_3genE9ELNS1_11target_archE1100ELNS1_3gpuE3ELNS1_3repE0EEENS1_30default_config_static_selectorELNS0_4arch9wavefront6targetE1EEEvT1_
	.p2align	8
	.type	_ZN7rocprim17ROCPRIM_400000_NS6detail17trampoline_kernelINS0_14default_configENS1_27scan_by_key_config_selectorIxxEEZZNS1_16scan_by_key_implILNS1_25lookback_scan_determinismE0ELb1ES3_N6thrust23THRUST_200600_302600_NS6detail15normal_iteratorINS9_10device_ptrIxEEEESE_SE_xNS9_4plusIvEENS9_8equal_toIxEExEE10hipError_tPvRmT2_T3_T4_T5_mT6_T7_P12ihipStream_tbENKUlT_T0_E_clISt17integral_constantIbLb1EESZ_EEDaSU_SV_EUlSU_E_NS1_11comp_targetILNS1_3genE9ELNS1_11target_archE1100ELNS1_3gpuE3ELNS1_3repE0EEENS1_30default_config_static_selectorELNS0_4arch9wavefront6targetE1EEEvT1_,@function
_ZN7rocprim17ROCPRIM_400000_NS6detail17trampoline_kernelINS0_14default_configENS1_27scan_by_key_config_selectorIxxEEZZNS1_16scan_by_key_implILNS1_25lookback_scan_determinismE0ELb1ES3_N6thrust23THRUST_200600_302600_NS6detail15normal_iteratorINS9_10device_ptrIxEEEESE_SE_xNS9_4plusIvEENS9_8equal_toIxEExEE10hipError_tPvRmT2_T3_T4_T5_mT6_T7_P12ihipStream_tbENKUlT_T0_E_clISt17integral_constantIbLb1EESZ_EEDaSU_SV_EUlSU_E_NS1_11comp_targetILNS1_3genE9ELNS1_11target_archE1100ELNS1_3gpuE3ELNS1_3repE0EEENS1_30default_config_static_selectorELNS0_4arch9wavefront6targetE1EEEvT1_: ; @_ZN7rocprim17ROCPRIM_400000_NS6detail17trampoline_kernelINS0_14default_configENS1_27scan_by_key_config_selectorIxxEEZZNS1_16scan_by_key_implILNS1_25lookback_scan_determinismE0ELb1ES3_N6thrust23THRUST_200600_302600_NS6detail15normal_iteratorINS9_10device_ptrIxEEEESE_SE_xNS9_4plusIvEENS9_8equal_toIxEExEE10hipError_tPvRmT2_T3_T4_T5_mT6_T7_P12ihipStream_tbENKUlT_T0_E_clISt17integral_constantIbLb1EESZ_EEDaSU_SV_EUlSU_E_NS1_11comp_targetILNS1_3genE9ELNS1_11target_archE1100ELNS1_3gpuE3ELNS1_3repE0EEENS1_30default_config_static_selectorELNS0_4arch9wavefront6targetE1EEEvT1_
; %bb.0:
	.section	.rodata,"a",@progbits
	.p2align	6, 0x0
	.amdhsa_kernel _ZN7rocprim17ROCPRIM_400000_NS6detail17trampoline_kernelINS0_14default_configENS1_27scan_by_key_config_selectorIxxEEZZNS1_16scan_by_key_implILNS1_25lookback_scan_determinismE0ELb1ES3_N6thrust23THRUST_200600_302600_NS6detail15normal_iteratorINS9_10device_ptrIxEEEESE_SE_xNS9_4plusIvEENS9_8equal_toIxEExEE10hipError_tPvRmT2_T3_T4_T5_mT6_T7_P12ihipStream_tbENKUlT_T0_E_clISt17integral_constantIbLb1EESZ_EEDaSU_SV_EUlSU_E_NS1_11comp_targetILNS1_3genE9ELNS1_11target_archE1100ELNS1_3gpuE3ELNS1_3repE0EEENS1_30default_config_static_selectorELNS0_4arch9wavefront6targetE1EEEvT1_
		.amdhsa_group_segment_fixed_size 0
		.amdhsa_private_segment_fixed_size 0
		.amdhsa_kernarg_size 136
		.amdhsa_user_sgpr_count 2
		.amdhsa_user_sgpr_dispatch_ptr 0
		.amdhsa_user_sgpr_queue_ptr 0
		.amdhsa_user_sgpr_kernarg_segment_ptr 1
		.amdhsa_user_sgpr_dispatch_id 0
		.amdhsa_user_sgpr_kernarg_preload_length 0
		.amdhsa_user_sgpr_kernarg_preload_offset 0
		.amdhsa_user_sgpr_private_segment_size 0
		.amdhsa_uses_dynamic_stack 0
		.amdhsa_enable_private_segment 0
		.amdhsa_system_sgpr_workgroup_id_x 1
		.amdhsa_system_sgpr_workgroup_id_y 0
		.amdhsa_system_sgpr_workgroup_id_z 0
		.amdhsa_system_sgpr_workgroup_info 0
		.amdhsa_system_vgpr_workitem_id 0
		.amdhsa_next_free_vgpr 1
		.amdhsa_next_free_sgpr 0
		.amdhsa_accum_offset 4
		.amdhsa_reserve_vcc 0
		.amdhsa_float_round_mode_32 0
		.amdhsa_float_round_mode_16_64 0
		.amdhsa_float_denorm_mode_32 3
		.amdhsa_float_denorm_mode_16_64 3
		.amdhsa_dx10_clamp 1
		.amdhsa_ieee_mode 1
		.amdhsa_fp16_overflow 0
		.amdhsa_tg_split 0
		.amdhsa_exception_fp_ieee_invalid_op 0
		.amdhsa_exception_fp_denorm_src 0
		.amdhsa_exception_fp_ieee_div_zero 0
		.amdhsa_exception_fp_ieee_overflow 0
		.amdhsa_exception_fp_ieee_underflow 0
		.amdhsa_exception_fp_ieee_inexact 0
		.amdhsa_exception_int_div_zero 0
	.end_amdhsa_kernel
	.section	.text._ZN7rocprim17ROCPRIM_400000_NS6detail17trampoline_kernelINS0_14default_configENS1_27scan_by_key_config_selectorIxxEEZZNS1_16scan_by_key_implILNS1_25lookback_scan_determinismE0ELb1ES3_N6thrust23THRUST_200600_302600_NS6detail15normal_iteratorINS9_10device_ptrIxEEEESE_SE_xNS9_4plusIvEENS9_8equal_toIxEExEE10hipError_tPvRmT2_T3_T4_T5_mT6_T7_P12ihipStream_tbENKUlT_T0_E_clISt17integral_constantIbLb1EESZ_EEDaSU_SV_EUlSU_E_NS1_11comp_targetILNS1_3genE9ELNS1_11target_archE1100ELNS1_3gpuE3ELNS1_3repE0EEENS1_30default_config_static_selectorELNS0_4arch9wavefront6targetE1EEEvT1_,"axG",@progbits,_ZN7rocprim17ROCPRIM_400000_NS6detail17trampoline_kernelINS0_14default_configENS1_27scan_by_key_config_selectorIxxEEZZNS1_16scan_by_key_implILNS1_25lookback_scan_determinismE0ELb1ES3_N6thrust23THRUST_200600_302600_NS6detail15normal_iteratorINS9_10device_ptrIxEEEESE_SE_xNS9_4plusIvEENS9_8equal_toIxEExEE10hipError_tPvRmT2_T3_T4_T5_mT6_T7_P12ihipStream_tbENKUlT_T0_E_clISt17integral_constantIbLb1EESZ_EEDaSU_SV_EUlSU_E_NS1_11comp_targetILNS1_3genE9ELNS1_11target_archE1100ELNS1_3gpuE3ELNS1_3repE0EEENS1_30default_config_static_selectorELNS0_4arch9wavefront6targetE1EEEvT1_,comdat
.Lfunc_end441:
	.size	_ZN7rocprim17ROCPRIM_400000_NS6detail17trampoline_kernelINS0_14default_configENS1_27scan_by_key_config_selectorIxxEEZZNS1_16scan_by_key_implILNS1_25lookback_scan_determinismE0ELb1ES3_N6thrust23THRUST_200600_302600_NS6detail15normal_iteratorINS9_10device_ptrIxEEEESE_SE_xNS9_4plusIvEENS9_8equal_toIxEExEE10hipError_tPvRmT2_T3_T4_T5_mT6_T7_P12ihipStream_tbENKUlT_T0_E_clISt17integral_constantIbLb1EESZ_EEDaSU_SV_EUlSU_E_NS1_11comp_targetILNS1_3genE9ELNS1_11target_archE1100ELNS1_3gpuE3ELNS1_3repE0EEENS1_30default_config_static_selectorELNS0_4arch9wavefront6targetE1EEEvT1_, .Lfunc_end441-_ZN7rocprim17ROCPRIM_400000_NS6detail17trampoline_kernelINS0_14default_configENS1_27scan_by_key_config_selectorIxxEEZZNS1_16scan_by_key_implILNS1_25lookback_scan_determinismE0ELb1ES3_N6thrust23THRUST_200600_302600_NS6detail15normal_iteratorINS9_10device_ptrIxEEEESE_SE_xNS9_4plusIvEENS9_8equal_toIxEExEE10hipError_tPvRmT2_T3_T4_T5_mT6_T7_P12ihipStream_tbENKUlT_T0_E_clISt17integral_constantIbLb1EESZ_EEDaSU_SV_EUlSU_E_NS1_11comp_targetILNS1_3genE9ELNS1_11target_archE1100ELNS1_3gpuE3ELNS1_3repE0EEENS1_30default_config_static_selectorELNS0_4arch9wavefront6targetE1EEEvT1_
                                        ; -- End function
	.section	.AMDGPU.csdata,"",@progbits
; Kernel info:
; codeLenInByte = 0
; NumSgprs: 6
; NumVgprs: 0
; NumAgprs: 0
; TotalNumVgprs: 0
; ScratchSize: 0
; MemoryBound: 0
; FloatMode: 240
; IeeeMode: 1
; LDSByteSize: 0 bytes/workgroup (compile time only)
; SGPRBlocks: 0
; VGPRBlocks: 0
; NumSGPRsForWavesPerEU: 6
; NumVGPRsForWavesPerEU: 1
; AccumOffset: 4
; Occupancy: 8
; WaveLimiterHint : 0
; COMPUTE_PGM_RSRC2:SCRATCH_EN: 0
; COMPUTE_PGM_RSRC2:USER_SGPR: 2
; COMPUTE_PGM_RSRC2:TRAP_HANDLER: 0
; COMPUTE_PGM_RSRC2:TGID_X_EN: 1
; COMPUTE_PGM_RSRC2:TGID_Y_EN: 0
; COMPUTE_PGM_RSRC2:TGID_Z_EN: 0
; COMPUTE_PGM_RSRC2:TIDIG_COMP_CNT: 0
; COMPUTE_PGM_RSRC3_GFX90A:ACCUM_OFFSET: 0
; COMPUTE_PGM_RSRC3_GFX90A:TG_SPLIT: 0
	.section	.text._ZN7rocprim17ROCPRIM_400000_NS6detail17trampoline_kernelINS0_14default_configENS1_27scan_by_key_config_selectorIxxEEZZNS1_16scan_by_key_implILNS1_25lookback_scan_determinismE0ELb1ES3_N6thrust23THRUST_200600_302600_NS6detail15normal_iteratorINS9_10device_ptrIxEEEESE_SE_xNS9_4plusIvEENS9_8equal_toIxEExEE10hipError_tPvRmT2_T3_T4_T5_mT6_T7_P12ihipStream_tbENKUlT_T0_E_clISt17integral_constantIbLb1EESZ_EEDaSU_SV_EUlSU_E_NS1_11comp_targetILNS1_3genE8ELNS1_11target_archE1030ELNS1_3gpuE2ELNS1_3repE0EEENS1_30default_config_static_selectorELNS0_4arch9wavefront6targetE1EEEvT1_,"axG",@progbits,_ZN7rocprim17ROCPRIM_400000_NS6detail17trampoline_kernelINS0_14default_configENS1_27scan_by_key_config_selectorIxxEEZZNS1_16scan_by_key_implILNS1_25lookback_scan_determinismE0ELb1ES3_N6thrust23THRUST_200600_302600_NS6detail15normal_iteratorINS9_10device_ptrIxEEEESE_SE_xNS9_4plusIvEENS9_8equal_toIxEExEE10hipError_tPvRmT2_T3_T4_T5_mT6_T7_P12ihipStream_tbENKUlT_T0_E_clISt17integral_constantIbLb1EESZ_EEDaSU_SV_EUlSU_E_NS1_11comp_targetILNS1_3genE8ELNS1_11target_archE1030ELNS1_3gpuE2ELNS1_3repE0EEENS1_30default_config_static_selectorELNS0_4arch9wavefront6targetE1EEEvT1_,comdat
	.protected	_ZN7rocprim17ROCPRIM_400000_NS6detail17trampoline_kernelINS0_14default_configENS1_27scan_by_key_config_selectorIxxEEZZNS1_16scan_by_key_implILNS1_25lookback_scan_determinismE0ELb1ES3_N6thrust23THRUST_200600_302600_NS6detail15normal_iteratorINS9_10device_ptrIxEEEESE_SE_xNS9_4plusIvEENS9_8equal_toIxEExEE10hipError_tPvRmT2_T3_T4_T5_mT6_T7_P12ihipStream_tbENKUlT_T0_E_clISt17integral_constantIbLb1EESZ_EEDaSU_SV_EUlSU_E_NS1_11comp_targetILNS1_3genE8ELNS1_11target_archE1030ELNS1_3gpuE2ELNS1_3repE0EEENS1_30default_config_static_selectorELNS0_4arch9wavefront6targetE1EEEvT1_ ; -- Begin function _ZN7rocprim17ROCPRIM_400000_NS6detail17trampoline_kernelINS0_14default_configENS1_27scan_by_key_config_selectorIxxEEZZNS1_16scan_by_key_implILNS1_25lookback_scan_determinismE0ELb1ES3_N6thrust23THRUST_200600_302600_NS6detail15normal_iteratorINS9_10device_ptrIxEEEESE_SE_xNS9_4plusIvEENS9_8equal_toIxEExEE10hipError_tPvRmT2_T3_T4_T5_mT6_T7_P12ihipStream_tbENKUlT_T0_E_clISt17integral_constantIbLb1EESZ_EEDaSU_SV_EUlSU_E_NS1_11comp_targetILNS1_3genE8ELNS1_11target_archE1030ELNS1_3gpuE2ELNS1_3repE0EEENS1_30default_config_static_selectorELNS0_4arch9wavefront6targetE1EEEvT1_
	.globl	_ZN7rocprim17ROCPRIM_400000_NS6detail17trampoline_kernelINS0_14default_configENS1_27scan_by_key_config_selectorIxxEEZZNS1_16scan_by_key_implILNS1_25lookback_scan_determinismE0ELb1ES3_N6thrust23THRUST_200600_302600_NS6detail15normal_iteratorINS9_10device_ptrIxEEEESE_SE_xNS9_4plusIvEENS9_8equal_toIxEExEE10hipError_tPvRmT2_T3_T4_T5_mT6_T7_P12ihipStream_tbENKUlT_T0_E_clISt17integral_constantIbLb1EESZ_EEDaSU_SV_EUlSU_E_NS1_11comp_targetILNS1_3genE8ELNS1_11target_archE1030ELNS1_3gpuE2ELNS1_3repE0EEENS1_30default_config_static_selectorELNS0_4arch9wavefront6targetE1EEEvT1_
	.p2align	8
	.type	_ZN7rocprim17ROCPRIM_400000_NS6detail17trampoline_kernelINS0_14default_configENS1_27scan_by_key_config_selectorIxxEEZZNS1_16scan_by_key_implILNS1_25lookback_scan_determinismE0ELb1ES3_N6thrust23THRUST_200600_302600_NS6detail15normal_iteratorINS9_10device_ptrIxEEEESE_SE_xNS9_4plusIvEENS9_8equal_toIxEExEE10hipError_tPvRmT2_T3_T4_T5_mT6_T7_P12ihipStream_tbENKUlT_T0_E_clISt17integral_constantIbLb1EESZ_EEDaSU_SV_EUlSU_E_NS1_11comp_targetILNS1_3genE8ELNS1_11target_archE1030ELNS1_3gpuE2ELNS1_3repE0EEENS1_30default_config_static_selectorELNS0_4arch9wavefront6targetE1EEEvT1_,@function
_ZN7rocprim17ROCPRIM_400000_NS6detail17trampoline_kernelINS0_14default_configENS1_27scan_by_key_config_selectorIxxEEZZNS1_16scan_by_key_implILNS1_25lookback_scan_determinismE0ELb1ES3_N6thrust23THRUST_200600_302600_NS6detail15normal_iteratorINS9_10device_ptrIxEEEESE_SE_xNS9_4plusIvEENS9_8equal_toIxEExEE10hipError_tPvRmT2_T3_T4_T5_mT6_T7_P12ihipStream_tbENKUlT_T0_E_clISt17integral_constantIbLb1EESZ_EEDaSU_SV_EUlSU_E_NS1_11comp_targetILNS1_3genE8ELNS1_11target_archE1030ELNS1_3gpuE2ELNS1_3repE0EEENS1_30default_config_static_selectorELNS0_4arch9wavefront6targetE1EEEvT1_: ; @_ZN7rocprim17ROCPRIM_400000_NS6detail17trampoline_kernelINS0_14default_configENS1_27scan_by_key_config_selectorIxxEEZZNS1_16scan_by_key_implILNS1_25lookback_scan_determinismE0ELb1ES3_N6thrust23THRUST_200600_302600_NS6detail15normal_iteratorINS9_10device_ptrIxEEEESE_SE_xNS9_4plusIvEENS9_8equal_toIxEExEE10hipError_tPvRmT2_T3_T4_T5_mT6_T7_P12ihipStream_tbENKUlT_T0_E_clISt17integral_constantIbLb1EESZ_EEDaSU_SV_EUlSU_E_NS1_11comp_targetILNS1_3genE8ELNS1_11target_archE1030ELNS1_3gpuE2ELNS1_3repE0EEENS1_30default_config_static_selectorELNS0_4arch9wavefront6targetE1EEEvT1_
; %bb.0:
	.section	.rodata,"a",@progbits
	.p2align	6, 0x0
	.amdhsa_kernel _ZN7rocprim17ROCPRIM_400000_NS6detail17trampoline_kernelINS0_14default_configENS1_27scan_by_key_config_selectorIxxEEZZNS1_16scan_by_key_implILNS1_25lookback_scan_determinismE0ELb1ES3_N6thrust23THRUST_200600_302600_NS6detail15normal_iteratorINS9_10device_ptrIxEEEESE_SE_xNS9_4plusIvEENS9_8equal_toIxEExEE10hipError_tPvRmT2_T3_T4_T5_mT6_T7_P12ihipStream_tbENKUlT_T0_E_clISt17integral_constantIbLb1EESZ_EEDaSU_SV_EUlSU_E_NS1_11comp_targetILNS1_3genE8ELNS1_11target_archE1030ELNS1_3gpuE2ELNS1_3repE0EEENS1_30default_config_static_selectorELNS0_4arch9wavefront6targetE1EEEvT1_
		.amdhsa_group_segment_fixed_size 0
		.amdhsa_private_segment_fixed_size 0
		.amdhsa_kernarg_size 136
		.amdhsa_user_sgpr_count 2
		.amdhsa_user_sgpr_dispatch_ptr 0
		.amdhsa_user_sgpr_queue_ptr 0
		.amdhsa_user_sgpr_kernarg_segment_ptr 1
		.amdhsa_user_sgpr_dispatch_id 0
		.amdhsa_user_sgpr_kernarg_preload_length 0
		.amdhsa_user_sgpr_kernarg_preload_offset 0
		.amdhsa_user_sgpr_private_segment_size 0
		.amdhsa_uses_dynamic_stack 0
		.amdhsa_enable_private_segment 0
		.amdhsa_system_sgpr_workgroup_id_x 1
		.amdhsa_system_sgpr_workgroup_id_y 0
		.amdhsa_system_sgpr_workgroup_id_z 0
		.amdhsa_system_sgpr_workgroup_info 0
		.amdhsa_system_vgpr_workitem_id 0
		.amdhsa_next_free_vgpr 1
		.amdhsa_next_free_sgpr 0
		.amdhsa_accum_offset 4
		.amdhsa_reserve_vcc 0
		.amdhsa_float_round_mode_32 0
		.amdhsa_float_round_mode_16_64 0
		.amdhsa_float_denorm_mode_32 3
		.amdhsa_float_denorm_mode_16_64 3
		.amdhsa_dx10_clamp 1
		.amdhsa_ieee_mode 1
		.amdhsa_fp16_overflow 0
		.amdhsa_tg_split 0
		.amdhsa_exception_fp_ieee_invalid_op 0
		.amdhsa_exception_fp_denorm_src 0
		.amdhsa_exception_fp_ieee_div_zero 0
		.amdhsa_exception_fp_ieee_overflow 0
		.amdhsa_exception_fp_ieee_underflow 0
		.amdhsa_exception_fp_ieee_inexact 0
		.amdhsa_exception_int_div_zero 0
	.end_amdhsa_kernel
	.section	.text._ZN7rocprim17ROCPRIM_400000_NS6detail17trampoline_kernelINS0_14default_configENS1_27scan_by_key_config_selectorIxxEEZZNS1_16scan_by_key_implILNS1_25lookback_scan_determinismE0ELb1ES3_N6thrust23THRUST_200600_302600_NS6detail15normal_iteratorINS9_10device_ptrIxEEEESE_SE_xNS9_4plusIvEENS9_8equal_toIxEExEE10hipError_tPvRmT2_T3_T4_T5_mT6_T7_P12ihipStream_tbENKUlT_T0_E_clISt17integral_constantIbLb1EESZ_EEDaSU_SV_EUlSU_E_NS1_11comp_targetILNS1_3genE8ELNS1_11target_archE1030ELNS1_3gpuE2ELNS1_3repE0EEENS1_30default_config_static_selectorELNS0_4arch9wavefront6targetE1EEEvT1_,"axG",@progbits,_ZN7rocprim17ROCPRIM_400000_NS6detail17trampoline_kernelINS0_14default_configENS1_27scan_by_key_config_selectorIxxEEZZNS1_16scan_by_key_implILNS1_25lookback_scan_determinismE0ELb1ES3_N6thrust23THRUST_200600_302600_NS6detail15normal_iteratorINS9_10device_ptrIxEEEESE_SE_xNS9_4plusIvEENS9_8equal_toIxEExEE10hipError_tPvRmT2_T3_T4_T5_mT6_T7_P12ihipStream_tbENKUlT_T0_E_clISt17integral_constantIbLb1EESZ_EEDaSU_SV_EUlSU_E_NS1_11comp_targetILNS1_3genE8ELNS1_11target_archE1030ELNS1_3gpuE2ELNS1_3repE0EEENS1_30default_config_static_selectorELNS0_4arch9wavefront6targetE1EEEvT1_,comdat
.Lfunc_end442:
	.size	_ZN7rocprim17ROCPRIM_400000_NS6detail17trampoline_kernelINS0_14default_configENS1_27scan_by_key_config_selectorIxxEEZZNS1_16scan_by_key_implILNS1_25lookback_scan_determinismE0ELb1ES3_N6thrust23THRUST_200600_302600_NS6detail15normal_iteratorINS9_10device_ptrIxEEEESE_SE_xNS9_4plusIvEENS9_8equal_toIxEExEE10hipError_tPvRmT2_T3_T4_T5_mT6_T7_P12ihipStream_tbENKUlT_T0_E_clISt17integral_constantIbLb1EESZ_EEDaSU_SV_EUlSU_E_NS1_11comp_targetILNS1_3genE8ELNS1_11target_archE1030ELNS1_3gpuE2ELNS1_3repE0EEENS1_30default_config_static_selectorELNS0_4arch9wavefront6targetE1EEEvT1_, .Lfunc_end442-_ZN7rocprim17ROCPRIM_400000_NS6detail17trampoline_kernelINS0_14default_configENS1_27scan_by_key_config_selectorIxxEEZZNS1_16scan_by_key_implILNS1_25lookback_scan_determinismE0ELb1ES3_N6thrust23THRUST_200600_302600_NS6detail15normal_iteratorINS9_10device_ptrIxEEEESE_SE_xNS9_4plusIvEENS9_8equal_toIxEExEE10hipError_tPvRmT2_T3_T4_T5_mT6_T7_P12ihipStream_tbENKUlT_T0_E_clISt17integral_constantIbLb1EESZ_EEDaSU_SV_EUlSU_E_NS1_11comp_targetILNS1_3genE8ELNS1_11target_archE1030ELNS1_3gpuE2ELNS1_3repE0EEENS1_30default_config_static_selectorELNS0_4arch9wavefront6targetE1EEEvT1_
                                        ; -- End function
	.section	.AMDGPU.csdata,"",@progbits
; Kernel info:
; codeLenInByte = 0
; NumSgprs: 6
; NumVgprs: 0
; NumAgprs: 0
; TotalNumVgprs: 0
; ScratchSize: 0
; MemoryBound: 0
; FloatMode: 240
; IeeeMode: 1
; LDSByteSize: 0 bytes/workgroup (compile time only)
; SGPRBlocks: 0
; VGPRBlocks: 0
; NumSGPRsForWavesPerEU: 6
; NumVGPRsForWavesPerEU: 1
; AccumOffset: 4
; Occupancy: 8
; WaveLimiterHint : 0
; COMPUTE_PGM_RSRC2:SCRATCH_EN: 0
; COMPUTE_PGM_RSRC2:USER_SGPR: 2
; COMPUTE_PGM_RSRC2:TRAP_HANDLER: 0
; COMPUTE_PGM_RSRC2:TGID_X_EN: 1
; COMPUTE_PGM_RSRC2:TGID_Y_EN: 0
; COMPUTE_PGM_RSRC2:TGID_Z_EN: 0
; COMPUTE_PGM_RSRC2:TIDIG_COMP_CNT: 0
; COMPUTE_PGM_RSRC3_GFX90A:ACCUM_OFFSET: 0
; COMPUTE_PGM_RSRC3_GFX90A:TG_SPLIT: 0
	.section	.text._ZN7rocprim17ROCPRIM_400000_NS6detail17trampoline_kernelINS0_14default_configENS1_27scan_by_key_config_selectorIxxEEZZNS1_16scan_by_key_implILNS1_25lookback_scan_determinismE0ELb1ES3_N6thrust23THRUST_200600_302600_NS6detail15normal_iteratorINS9_10device_ptrIxEEEESE_SE_xNS9_4plusIvEENS9_8equal_toIxEExEE10hipError_tPvRmT2_T3_T4_T5_mT6_T7_P12ihipStream_tbENKUlT_T0_E_clISt17integral_constantIbLb1EESY_IbLb0EEEEDaSU_SV_EUlSU_E_NS1_11comp_targetILNS1_3genE0ELNS1_11target_archE4294967295ELNS1_3gpuE0ELNS1_3repE0EEENS1_30default_config_static_selectorELNS0_4arch9wavefront6targetE1EEEvT1_,"axG",@progbits,_ZN7rocprim17ROCPRIM_400000_NS6detail17trampoline_kernelINS0_14default_configENS1_27scan_by_key_config_selectorIxxEEZZNS1_16scan_by_key_implILNS1_25lookback_scan_determinismE0ELb1ES3_N6thrust23THRUST_200600_302600_NS6detail15normal_iteratorINS9_10device_ptrIxEEEESE_SE_xNS9_4plusIvEENS9_8equal_toIxEExEE10hipError_tPvRmT2_T3_T4_T5_mT6_T7_P12ihipStream_tbENKUlT_T0_E_clISt17integral_constantIbLb1EESY_IbLb0EEEEDaSU_SV_EUlSU_E_NS1_11comp_targetILNS1_3genE0ELNS1_11target_archE4294967295ELNS1_3gpuE0ELNS1_3repE0EEENS1_30default_config_static_selectorELNS0_4arch9wavefront6targetE1EEEvT1_,comdat
	.protected	_ZN7rocprim17ROCPRIM_400000_NS6detail17trampoline_kernelINS0_14default_configENS1_27scan_by_key_config_selectorIxxEEZZNS1_16scan_by_key_implILNS1_25lookback_scan_determinismE0ELb1ES3_N6thrust23THRUST_200600_302600_NS6detail15normal_iteratorINS9_10device_ptrIxEEEESE_SE_xNS9_4plusIvEENS9_8equal_toIxEExEE10hipError_tPvRmT2_T3_T4_T5_mT6_T7_P12ihipStream_tbENKUlT_T0_E_clISt17integral_constantIbLb1EESY_IbLb0EEEEDaSU_SV_EUlSU_E_NS1_11comp_targetILNS1_3genE0ELNS1_11target_archE4294967295ELNS1_3gpuE0ELNS1_3repE0EEENS1_30default_config_static_selectorELNS0_4arch9wavefront6targetE1EEEvT1_ ; -- Begin function _ZN7rocprim17ROCPRIM_400000_NS6detail17trampoline_kernelINS0_14default_configENS1_27scan_by_key_config_selectorIxxEEZZNS1_16scan_by_key_implILNS1_25lookback_scan_determinismE0ELb1ES3_N6thrust23THRUST_200600_302600_NS6detail15normal_iteratorINS9_10device_ptrIxEEEESE_SE_xNS9_4plusIvEENS9_8equal_toIxEExEE10hipError_tPvRmT2_T3_T4_T5_mT6_T7_P12ihipStream_tbENKUlT_T0_E_clISt17integral_constantIbLb1EESY_IbLb0EEEEDaSU_SV_EUlSU_E_NS1_11comp_targetILNS1_3genE0ELNS1_11target_archE4294967295ELNS1_3gpuE0ELNS1_3repE0EEENS1_30default_config_static_selectorELNS0_4arch9wavefront6targetE1EEEvT1_
	.globl	_ZN7rocprim17ROCPRIM_400000_NS6detail17trampoline_kernelINS0_14default_configENS1_27scan_by_key_config_selectorIxxEEZZNS1_16scan_by_key_implILNS1_25lookback_scan_determinismE0ELb1ES3_N6thrust23THRUST_200600_302600_NS6detail15normal_iteratorINS9_10device_ptrIxEEEESE_SE_xNS9_4plusIvEENS9_8equal_toIxEExEE10hipError_tPvRmT2_T3_T4_T5_mT6_T7_P12ihipStream_tbENKUlT_T0_E_clISt17integral_constantIbLb1EESY_IbLb0EEEEDaSU_SV_EUlSU_E_NS1_11comp_targetILNS1_3genE0ELNS1_11target_archE4294967295ELNS1_3gpuE0ELNS1_3repE0EEENS1_30default_config_static_selectorELNS0_4arch9wavefront6targetE1EEEvT1_
	.p2align	8
	.type	_ZN7rocprim17ROCPRIM_400000_NS6detail17trampoline_kernelINS0_14default_configENS1_27scan_by_key_config_selectorIxxEEZZNS1_16scan_by_key_implILNS1_25lookback_scan_determinismE0ELb1ES3_N6thrust23THRUST_200600_302600_NS6detail15normal_iteratorINS9_10device_ptrIxEEEESE_SE_xNS9_4plusIvEENS9_8equal_toIxEExEE10hipError_tPvRmT2_T3_T4_T5_mT6_T7_P12ihipStream_tbENKUlT_T0_E_clISt17integral_constantIbLb1EESY_IbLb0EEEEDaSU_SV_EUlSU_E_NS1_11comp_targetILNS1_3genE0ELNS1_11target_archE4294967295ELNS1_3gpuE0ELNS1_3repE0EEENS1_30default_config_static_selectorELNS0_4arch9wavefront6targetE1EEEvT1_,@function
_ZN7rocprim17ROCPRIM_400000_NS6detail17trampoline_kernelINS0_14default_configENS1_27scan_by_key_config_selectorIxxEEZZNS1_16scan_by_key_implILNS1_25lookback_scan_determinismE0ELb1ES3_N6thrust23THRUST_200600_302600_NS6detail15normal_iteratorINS9_10device_ptrIxEEEESE_SE_xNS9_4plusIvEENS9_8equal_toIxEExEE10hipError_tPvRmT2_T3_T4_T5_mT6_T7_P12ihipStream_tbENKUlT_T0_E_clISt17integral_constantIbLb1EESY_IbLb0EEEEDaSU_SV_EUlSU_E_NS1_11comp_targetILNS1_3genE0ELNS1_11target_archE4294967295ELNS1_3gpuE0ELNS1_3repE0EEENS1_30default_config_static_selectorELNS0_4arch9wavefront6targetE1EEEvT1_: ; @_ZN7rocprim17ROCPRIM_400000_NS6detail17trampoline_kernelINS0_14default_configENS1_27scan_by_key_config_selectorIxxEEZZNS1_16scan_by_key_implILNS1_25lookback_scan_determinismE0ELb1ES3_N6thrust23THRUST_200600_302600_NS6detail15normal_iteratorINS9_10device_ptrIxEEEESE_SE_xNS9_4plusIvEENS9_8equal_toIxEExEE10hipError_tPvRmT2_T3_T4_T5_mT6_T7_P12ihipStream_tbENKUlT_T0_E_clISt17integral_constantIbLb1EESY_IbLb0EEEEDaSU_SV_EUlSU_E_NS1_11comp_targetILNS1_3genE0ELNS1_11target_archE4294967295ELNS1_3gpuE0ELNS1_3repE0EEENS1_30default_config_static_selectorELNS0_4arch9wavefront6targetE1EEEvT1_
; %bb.0:
	.section	.rodata,"a",@progbits
	.p2align	6, 0x0
	.amdhsa_kernel _ZN7rocprim17ROCPRIM_400000_NS6detail17trampoline_kernelINS0_14default_configENS1_27scan_by_key_config_selectorIxxEEZZNS1_16scan_by_key_implILNS1_25lookback_scan_determinismE0ELb1ES3_N6thrust23THRUST_200600_302600_NS6detail15normal_iteratorINS9_10device_ptrIxEEEESE_SE_xNS9_4plusIvEENS9_8equal_toIxEExEE10hipError_tPvRmT2_T3_T4_T5_mT6_T7_P12ihipStream_tbENKUlT_T0_E_clISt17integral_constantIbLb1EESY_IbLb0EEEEDaSU_SV_EUlSU_E_NS1_11comp_targetILNS1_3genE0ELNS1_11target_archE4294967295ELNS1_3gpuE0ELNS1_3repE0EEENS1_30default_config_static_selectorELNS0_4arch9wavefront6targetE1EEEvT1_
		.amdhsa_group_segment_fixed_size 0
		.amdhsa_private_segment_fixed_size 0
		.amdhsa_kernarg_size 136
		.amdhsa_user_sgpr_count 2
		.amdhsa_user_sgpr_dispatch_ptr 0
		.amdhsa_user_sgpr_queue_ptr 0
		.amdhsa_user_sgpr_kernarg_segment_ptr 1
		.amdhsa_user_sgpr_dispatch_id 0
		.amdhsa_user_sgpr_kernarg_preload_length 0
		.amdhsa_user_sgpr_kernarg_preload_offset 0
		.amdhsa_user_sgpr_private_segment_size 0
		.amdhsa_uses_dynamic_stack 0
		.amdhsa_enable_private_segment 0
		.amdhsa_system_sgpr_workgroup_id_x 1
		.amdhsa_system_sgpr_workgroup_id_y 0
		.amdhsa_system_sgpr_workgroup_id_z 0
		.amdhsa_system_sgpr_workgroup_info 0
		.amdhsa_system_vgpr_workitem_id 0
		.amdhsa_next_free_vgpr 1
		.amdhsa_next_free_sgpr 0
		.amdhsa_accum_offset 4
		.amdhsa_reserve_vcc 0
		.amdhsa_float_round_mode_32 0
		.amdhsa_float_round_mode_16_64 0
		.amdhsa_float_denorm_mode_32 3
		.amdhsa_float_denorm_mode_16_64 3
		.amdhsa_dx10_clamp 1
		.amdhsa_ieee_mode 1
		.amdhsa_fp16_overflow 0
		.amdhsa_tg_split 0
		.amdhsa_exception_fp_ieee_invalid_op 0
		.amdhsa_exception_fp_denorm_src 0
		.amdhsa_exception_fp_ieee_div_zero 0
		.amdhsa_exception_fp_ieee_overflow 0
		.amdhsa_exception_fp_ieee_underflow 0
		.amdhsa_exception_fp_ieee_inexact 0
		.amdhsa_exception_int_div_zero 0
	.end_amdhsa_kernel
	.section	.text._ZN7rocprim17ROCPRIM_400000_NS6detail17trampoline_kernelINS0_14default_configENS1_27scan_by_key_config_selectorIxxEEZZNS1_16scan_by_key_implILNS1_25lookback_scan_determinismE0ELb1ES3_N6thrust23THRUST_200600_302600_NS6detail15normal_iteratorINS9_10device_ptrIxEEEESE_SE_xNS9_4plusIvEENS9_8equal_toIxEExEE10hipError_tPvRmT2_T3_T4_T5_mT6_T7_P12ihipStream_tbENKUlT_T0_E_clISt17integral_constantIbLb1EESY_IbLb0EEEEDaSU_SV_EUlSU_E_NS1_11comp_targetILNS1_3genE0ELNS1_11target_archE4294967295ELNS1_3gpuE0ELNS1_3repE0EEENS1_30default_config_static_selectorELNS0_4arch9wavefront6targetE1EEEvT1_,"axG",@progbits,_ZN7rocprim17ROCPRIM_400000_NS6detail17trampoline_kernelINS0_14default_configENS1_27scan_by_key_config_selectorIxxEEZZNS1_16scan_by_key_implILNS1_25lookback_scan_determinismE0ELb1ES3_N6thrust23THRUST_200600_302600_NS6detail15normal_iteratorINS9_10device_ptrIxEEEESE_SE_xNS9_4plusIvEENS9_8equal_toIxEExEE10hipError_tPvRmT2_T3_T4_T5_mT6_T7_P12ihipStream_tbENKUlT_T0_E_clISt17integral_constantIbLb1EESY_IbLb0EEEEDaSU_SV_EUlSU_E_NS1_11comp_targetILNS1_3genE0ELNS1_11target_archE4294967295ELNS1_3gpuE0ELNS1_3repE0EEENS1_30default_config_static_selectorELNS0_4arch9wavefront6targetE1EEEvT1_,comdat
.Lfunc_end443:
	.size	_ZN7rocprim17ROCPRIM_400000_NS6detail17trampoline_kernelINS0_14default_configENS1_27scan_by_key_config_selectorIxxEEZZNS1_16scan_by_key_implILNS1_25lookback_scan_determinismE0ELb1ES3_N6thrust23THRUST_200600_302600_NS6detail15normal_iteratorINS9_10device_ptrIxEEEESE_SE_xNS9_4plusIvEENS9_8equal_toIxEExEE10hipError_tPvRmT2_T3_T4_T5_mT6_T7_P12ihipStream_tbENKUlT_T0_E_clISt17integral_constantIbLb1EESY_IbLb0EEEEDaSU_SV_EUlSU_E_NS1_11comp_targetILNS1_3genE0ELNS1_11target_archE4294967295ELNS1_3gpuE0ELNS1_3repE0EEENS1_30default_config_static_selectorELNS0_4arch9wavefront6targetE1EEEvT1_, .Lfunc_end443-_ZN7rocprim17ROCPRIM_400000_NS6detail17trampoline_kernelINS0_14default_configENS1_27scan_by_key_config_selectorIxxEEZZNS1_16scan_by_key_implILNS1_25lookback_scan_determinismE0ELb1ES3_N6thrust23THRUST_200600_302600_NS6detail15normal_iteratorINS9_10device_ptrIxEEEESE_SE_xNS9_4plusIvEENS9_8equal_toIxEExEE10hipError_tPvRmT2_T3_T4_T5_mT6_T7_P12ihipStream_tbENKUlT_T0_E_clISt17integral_constantIbLb1EESY_IbLb0EEEEDaSU_SV_EUlSU_E_NS1_11comp_targetILNS1_3genE0ELNS1_11target_archE4294967295ELNS1_3gpuE0ELNS1_3repE0EEENS1_30default_config_static_selectorELNS0_4arch9wavefront6targetE1EEEvT1_
                                        ; -- End function
	.section	.AMDGPU.csdata,"",@progbits
; Kernel info:
; codeLenInByte = 0
; NumSgprs: 6
; NumVgprs: 0
; NumAgprs: 0
; TotalNumVgprs: 0
; ScratchSize: 0
; MemoryBound: 0
; FloatMode: 240
; IeeeMode: 1
; LDSByteSize: 0 bytes/workgroup (compile time only)
; SGPRBlocks: 0
; VGPRBlocks: 0
; NumSGPRsForWavesPerEU: 6
; NumVGPRsForWavesPerEU: 1
; AccumOffset: 4
; Occupancy: 8
; WaveLimiterHint : 0
; COMPUTE_PGM_RSRC2:SCRATCH_EN: 0
; COMPUTE_PGM_RSRC2:USER_SGPR: 2
; COMPUTE_PGM_RSRC2:TRAP_HANDLER: 0
; COMPUTE_PGM_RSRC2:TGID_X_EN: 1
; COMPUTE_PGM_RSRC2:TGID_Y_EN: 0
; COMPUTE_PGM_RSRC2:TGID_Z_EN: 0
; COMPUTE_PGM_RSRC2:TIDIG_COMP_CNT: 0
; COMPUTE_PGM_RSRC3_GFX90A:ACCUM_OFFSET: 0
; COMPUTE_PGM_RSRC3_GFX90A:TG_SPLIT: 0
	.section	.text._ZN7rocprim17ROCPRIM_400000_NS6detail17trampoline_kernelINS0_14default_configENS1_27scan_by_key_config_selectorIxxEEZZNS1_16scan_by_key_implILNS1_25lookback_scan_determinismE0ELb1ES3_N6thrust23THRUST_200600_302600_NS6detail15normal_iteratorINS9_10device_ptrIxEEEESE_SE_xNS9_4plusIvEENS9_8equal_toIxEExEE10hipError_tPvRmT2_T3_T4_T5_mT6_T7_P12ihipStream_tbENKUlT_T0_E_clISt17integral_constantIbLb1EESY_IbLb0EEEEDaSU_SV_EUlSU_E_NS1_11comp_targetILNS1_3genE10ELNS1_11target_archE1201ELNS1_3gpuE5ELNS1_3repE0EEENS1_30default_config_static_selectorELNS0_4arch9wavefront6targetE1EEEvT1_,"axG",@progbits,_ZN7rocprim17ROCPRIM_400000_NS6detail17trampoline_kernelINS0_14default_configENS1_27scan_by_key_config_selectorIxxEEZZNS1_16scan_by_key_implILNS1_25lookback_scan_determinismE0ELb1ES3_N6thrust23THRUST_200600_302600_NS6detail15normal_iteratorINS9_10device_ptrIxEEEESE_SE_xNS9_4plusIvEENS9_8equal_toIxEExEE10hipError_tPvRmT2_T3_T4_T5_mT6_T7_P12ihipStream_tbENKUlT_T0_E_clISt17integral_constantIbLb1EESY_IbLb0EEEEDaSU_SV_EUlSU_E_NS1_11comp_targetILNS1_3genE10ELNS1_11target_archE1201ELNS1_3gpuE5ELNS1_3repE0EEENS1_30default_config_static_selectorELNS0_4arch9wavefront6targetE1EEEvT1_,comdat
	.protected	_ZN7rocprim17ROCPRIM_400000_NS6detail17trampoline_kernelINS0_14default_configENS1_27scan_by_key_config_selectorIxxEEZZNS1_16scan_by_key_implILNS1_25lookback_scan_determinismE0ELb1ES3_N6thrust23THRUST_200600_302600_NS6detail15normal_iteratorINS9_10device_ptrIxEEEESE_SE_xNS9_4plusIvEENS9_8equal_toIxEExEE10hipError_tPvRmT2_T3_T4_T5_mT6_T7_P12ihipStream_tbENKUlT_T0_E_clISt17integral_constantIbLb1EESY_IbLb0EEEEDaSU_SV_EUlSU_E_NS1_11comp_targetILNS1_3genE10ELNS1_11target_archE1201ELNS1_3gpuE5ELNS1_3repE0EEENS1_30default_config_static_selectorELNS0_4arch9wavefront6targetE1EEEvT1_ ; -- Begin function _ZN7rocprim17ROCPRIM_400000_NS6detail17trampoline_kernelINS0_14default_configENS1_27scan_by_key_config_selectorIxxEEZZNS1_16scan_by_key_implILNS1_25lookback_scan_determinismE0ELb1ES3_N6thrust23THRUST_200600_302600_NS6detail15normal_iteratorINS9_10device_ptrIxEEEESE_SE_xNS9_4plusIvEENS9_8equal_toIxEExEE10hipError_tPvRmT2_T3_T4_T5_mT6_T7_P12ihipStream_tbENKUlT_T0_E_clISt17integral_constantIbLb1EESY_IbLb0EEEEDaSU_SV_EUlSU_E_NS1_11comp_targetILNS1_3genE10ELNS1_11target_archE1201ELNS1_3gpuE5ELNS1_3repE0EEENS1_30default_config_static_selectorELNS0_4arch9wavefront6targetE1EEEvT1_
	.globl	_ZN7rocprim17ROCPRIM_400000_NS6detail17trampoline_kernelINS0_14default_configENS1_27scan_by_key_config_selectorIxxEEZZNS1_16scan_by_key_implILNS1_25lookback_scan_determinismE0ELb1ES3_N6thrust23THRUST_200600_302600_NS6detail15normal_iteratorINS9_10device_ptrIxEEEESE_SE_xNS9_4plusIvEENS9_8equal_toIxEExEE10hipError_tPvRmT2_T3_T4_T5_mT6_T7_P12ihipStream_tbENKUlT_T0_E_clISt17integral_constantIbLb1EESY_IbLb0EEEEDaSU_SV_EUlSU_E_NS1_11comp_targetILNS1_3genE10ELNS1_11target_archE1201ELNS1_3gpuE5ELNS1_3repE0EEENS1_30default_config_static_selectorELNS0_4arch9wavefront6targetE1EEEvT1_
	.p2align	8
	.type	_ZN7rocprim17ROCPRIM_400000_NS6detail17trampoline_kernelINS0_14default_configENS1_27scan_by_key_config_selectorIxxEEZZNS1_16scan_by_key_implILNS1_25lookback_scan_determinismE0ELb1ES3_N6thrust23THRUST_200600_302600_NS6detail15normal_iteratorINS9_10device_ptrIxEEEESE_SE_xNS9_4plusIvEENS9_8equal_toIxEExEE10hipError_tPvRmT2_T3_T4_T5_mT6_T7_P12ihipStream_tbENKUlT_T0_E_clISt17integral_constantIbLb1EESY_IbLb0EEEEDaSU_SV_EUlSU_E_NS1_11comp_targetILNS1_3genE10ELNS1_11target_archE1201ELNS1_3gpuE5ELNS1_3repE0EEENS1_30default_config_static_selectorELNS0_4arch9wavefront6targetE1EEEvT1_,@function
_ZN7rocprim17ROCPRIM_400000_NS6detail17trampoline_kernelINS0_14default_configENS1_27scan_by_key_config_selectorIxxEEZZNS1_16scan_by_key_implILNS1_25lookback_scan_determinismE0ELb1ES3_N6thrust23THRUST_200600_302600_NS6detail15normal_iteratorINS9_10device_ptrIxEEEESE_SE_xNS9_4plusIvEENS9_8equal_toIxEExEE10hipError_tPvRmT2_T3_T4_T5_mT6_T7_P12ihipStream_tbENKUlT_T0_E_clISt17integral_constantIbLb1EESY_IbLb0EEEEDaSU_SV_EUlSU_E_NS1_11comp_targetILNS1_3genE10ELNS1_11target_archE1201ELNS1_3gpuE5ELNS1_3repE0EEENS1_30default_config_static_selectorELNS0_4arch9wavefront6targetE1EEEvT1_: ; @_ZN7rocprim17ROCPRIM_400000_NS6detail17trampoline_kernelINS0_14default_configENS1_27scan_by_key_config_selectorIxxEEZZNS1_16scan_by_key_implILNS1_25lookback_scan_determinismE0ELb1ES3_N6thrust23THRUST_200600_302600_NS6detail15normal_iteratorINS9_10device_ptrIxEEEESE_SE_xNS9_4plusIvEENS9_8equal_toIxEExEE10hipError_tPvRmT2_T3_T4_T5_mT6_T7_P12ihipStream_tbENKUlT_T0_E_clISt17integral_constantIbLb1EESY_IbLb0EEEEDaSU_SV_EUlSU_E_NS1_11comp_targetILNS1_3genE10ELNS1_11target_archE1201ELNS1_3gpuE5ELNS1_3repE0EEENS1_30default_config_static_selectorELNS0_4arch9wavefront6targetE1EEEvT1_
; %bb.0:
	.section	.rodata,"a",@progbits
	.p2align	6, 0x0
	.amdhsa_kernel _ZN7rocprim17ROCPRIM_400000_NS6detail17trampoline_kernelINS0_14default_configENS1_27scan_by_key_config_selectorIxxEEZZNS1_16scan_by_key_implILNS1_25lookback_scan_determinismE0ELb1ES3_N6thrust23THRUST_200600_302600_NS6detail15normal_iteratorINS9_10device_ptrIxEEEESE_SE_xNS9_4plusIvEENS9_8equal_toIxEExEE10hipError_tPvRmT2_T3_T4_T5_mT6_T7_P12ihipStream_tbENKUlT_T0_E_clISt17integral_constantIbLb1EESY_IbLb0EEEEDaSU_SV_EUlSU_E_NS1_11comp_targetILNS1_3genE10ELNS1_11target_archE1201ELNS1_3gpuE5ELNS1_3repE0EEENS1_30default_config_static_selectorELNS0_4arch9wavefront6targetE1EEEvT1_
		.amdhsa_group_segment_fixed_size 0
		.amdhsa_private_segment_fixed_size 0
		.amdhsa_kernarg_size 136
		.amdhsa_user_sgpr_count 2
		.amdhsa_user_sgpr_dispatch_ptr 0
		.amdhsa_user_sgpr_queue_ptr 0
		.amdhsa_user_sgpr_kernarg_segment_ptr 1
		.amdhsa_user_sgpr_dispatch_id 0
		.amdhsa_user_sgpr_kernarg_preload_length 0
		.amdhsa_user_sgpr_kernarg_preload_offset 0
		.amdhsa_user_sgpr_private_segment_size 0
		.amdhsa_uses_dynamic_stack 0
		.amdhsa_enable_private_segment 0
		.amdhsa_system_sgpr_workgroup_id_x 1
		.amdhsa_system_sgpr_workgroup_id_y 0
		.amdhsa_system_sgpr_workgroup_id_z 0
		.amdhsa_system_sgpr_workgroup_info 0
		.amdhsa_system_vgpr_workitem_id 0
		.amdhsa_next_free_vgpr 1
		.amdhsa_next_free_sgpr 0
		.amdhsa_accum_offset 4
		.amdhsa_reserve_vcc 0
		.amdhsa_float_round_mode_32 0
		.amdhsa_float_round_mode_16_64 0
		.amdhsa_float_denorm_mode_32 3
		.amdhsa_float_denorm_mode_16_64 3
		.amdhsa_dx10_clamp 1
		.amdhsa_ieee_mode 1
		.amdhsa_fp16_overflow 0
		.amdhsa_tg_split 0
		.amdhsa_exception_fp_ieee_invalid_op 0
		.amdhsa_exception_fp_denorm_src 0
		.amdhsa_exception_fp_ieee_div_zero 0
		.amdhsa_exception_fp_ieee_overflow 0
		.amdhsa_exception_fp_ieee_underflow 0
		.amdhsa_exception_fp_ieee_inexact 0
		.amdhsa_exception_int_div_zero 0
	.end_amdhsa_kernel
	.section	.text._ZN7rocprim17ROCPRIM_400000_NS6detail17trampoline_kernelINS0_14default_configENS1_27scan_by_key_config_selectorIxxEEZZNS1_16scan_by_key_implILNS1_25lookback_scan_determinismE0ELb1ES3_N6thrust23THRUST_200600_302600_NS6detail15normal_iteratorINS9_10device_ptrIxEEEESE_SE_xNS9_4plusIvEENS9_8equal_toIxEExEE10hipError_tPvRmT2_T3_T4_T5_mT6_T7_P12ihipStream_tbENKUlT_T0_E_clISt17integral_constantIbLb1EESY_IbLb0EEEEDaSU_SV_EUlSU_E_NS1_11comp_targetILNS1_3genE10ELNS1_11target_archE1201ELNS1_3gpuE5ELNS1_3repE0EEENS1_30default_config_static_selectorELNS0_4arch9wavefront6targetE1EEEvT1_,"axG",@progbits,_ZN7rocprim17ROCPRIM_400000_NS6detail17trampoline_kernelINS0_14default_configENS1_27scan_by_key_config_selectorIxxEEZZNS1_16scan_by_key_implILNS1_25lookback_scan_determinismE0ELb1ES3_N6thrust23THRUST_200600_302600_NS6detail15normal_iteratorINS9_10device_ptrIxEEEESE_SE_xNS9_4plusIvEENS9_8equal_toIxEExEE10hipError_tPvRmT2_T3_T4_T5_mT6_T7_P12ihipStream_tbENKUlT_T0_E_clISt17integral_constantIbLb1EESY_IbLb0EEEEDaSU_SV_EUlSU_E_NS1_11comp_targetILNS1_3genE10ELNS1_11target_archE1201ELNS1_3gpuE5ELNS1_3repE0EEENS1_30default_config_static_selectorELNS0_4arch9wavefront6targetE1EEEvT1_,comdat
.Lfunc_end444:
	.size	_ZN7rocprim17ROCPRIM_400000_NS6detail17trampoline_kernelINS0_14default_configENS1_27scan_by_key_config_selectorIxxEEZZNS1_16scan_by_key_implILNS1_25lookback_scan_determinismE0ELb1ES3_N6thrust23THRUST_200600_302600_NS6detail15normal_iteratorINS9_10device_ptrIxEEEESE_SE_xNS9_4plusIvEENS9_8equal_toIxEExEE10hipError_tPvRmT2_T3_T4_T5_mT6_T7_P12ihipStream_tbENKUlT_T0_E_clISt17integral_constantIbLb1EESY_IbLb0EEEEDaSU_SV_EUlSU_E_NS1_11comp_targetILNS1_3genE10ELNS1_11target_archE1201ELNS1_3gpuE5ELNS1_3repE0EEENS1_30default_config_static_selectorELNS0_4arch9wavefront6targetE1EEEvT1_, .Lfunc_end444-_ZN7rocprim17ROCPRIM_400000_NS6detail17trampoline_kernelINS0_14default_configENS1_27scan_by_key_config_selectorIxxEEZZNS1_16scan_by_key_implILNS1_25lookback_scan_determinismE0ELb1ES3_N6thrust23THRUST_200600_302600_NS6detail15normal_iteratorINS9_10device_ptrIxEEEESE_SE_xNS9_4plusIvEENS9_8equal_toIxEExEE10hipError_tPvRmT2_T3_T4_T5_mT6_T7_P12ihipStream_tbENKUlT_T0_E_clISt17integral_constantIbLb1EESY_IbLb0EEEEDaSU_SV_EUlSU_E_NS1_11comp_targetILNS1_3genE10ELNS1_11target_archE1201ELNS1_3gpuE5ELNS1_3repE0EEENS1_30default_config_static_selectorELNS0_4arch9wavefront6targetE1EEEvT1_
                                        ; -- End function
	.section	.AMDGPU.csdata,"",@progbits
; Kernel info:
; codeLenInByte = 0
; NumSgprs: 6
; NumVgprs: 0
; NumAgprs: 0
; TotalNumVgprs: 0
; ScratchSize: 0
; MemoryBound: 0
; FloatMode: 240
; IeeeMode: 1
; LDSByteSize: 0 bytes/workgroup (compile time only)
; SGPRBlocks: 0
; VGPRBlocks: 0
; NumSGPRsForWavesPerEU: 6
; NumVGPRsForWavesPerEU: 1
; AccumOffset: 4
; Occupancy: 8
; WaveLimiterHint : 0
; COMPUTE_PGM_RSRC2:SCRATCH_EN: 0
; COMPUTE_PGM_RSRC2:USER_SGPR: 2
; COMPUTE_PGM_RSRC2:TRAP_HANDLER: 0
; COMPUTE_PGM_RSRC2:TGID_X_EN: 1
; COMPUTE_PGM_RSRC2:TGID_Y_EN: 0
; COMPUTE_PGM_RSRC2:TGID_Z_EN: 0
; COMPUTE_PGM_RSRC2:TIDIG_COMP_CNT: 0
; COMPUTE_PGM_RSRC3_GFX90A:ACCUM_OFFSET: 0
; COMPUTE_PGM_RSRC3_GFX90A:TG_SPLIT: 0
	.section	.text._ZN7rocprim17ROCPRIM_400000_NS6detail17trampoline_kernelINS0_14default_configENS1_27scan_by_key_config_selectorIxxEEZZNS1_16scan_by_key_implILNS1_25lookback_scan_determinismE0ELb1ES3_N6thrust23THRUST_200600_302600_NS6detail15normal_iteratorINS9_10device_ptrIxEEEESE_SE_xNS9_4plusIvEENS9_8equal_toIxEExEE10hipError_tPvRmT2_T3_T4_T5_mT6_T7_P12ihipStream_tbENKUlT_T0_E_clISt17integral_constantIbLb1EESY_IbLb0EEEEDaSU_SV_EUlSU_E_NS1_11comp_targetILNS1_3genE5ELNS1_11target_archE942ELNS1_3gpuE9ELNS1_3repE0EEENS1_30default_config_static_selectorELNS0_4arch9wavefront6targetE1EEEvT1_,"axG",@progbits,_ZN7rocprim17ROCPRIM_400000_NS6detail17trampoline_kernelINS0_14default_configENS1_27scan_by_key_config_selectorIxxEEZZNS1_16scan_by_key_implILNS1_25lookback_scan_determinismE0ELb1ES3_N6thrust23THRUST_200600_302600_NS6detail15normal_iteratorINS9_10device_ptrIxEEEESE_SE_xNS9_4plusIvEENS9_8equal_toIxEExEE10hipError_tPvRmT2_T3_T4_T5_mT6_T7_P12ihipStream_tbENKUlT_T0_E_clISt17integral_constantIbLb1EESY_IbLb0EEEEDaSU_SV_EUlSU_E_NS1_11comp_targetILNS1_3genE5ELNS1_11target_archE942ELNS1_3gpuE9ELNS1_3repE0EEENS1_30default_config_static_selectorELNS0_4arch9wavefront6targetE1EEEvT1_,comdat
	.protected	_ZN7rocprim17ROCPRIM_400000_NS6detail17trampoline_kernelINS0_14default_configENS1_27scan_by_key_config_selectorIxxEEZZNS1_16scan_by_key_implILNS1_25lookback_scan_determinismE0ELb1ES3_N6thrust23THRUST_200600_302600_NS6detail15normal_iteratorINS9_10device_ptrIxEEEESE_SE_xNS9_4plusIvEENS9_8equal_toIxEExEE10hipError_tPvRmT2_T3_T4_T5_mT6_T7_P12ihipStream_tbENKUlT_T0_E_clISt17integral_constantIbLb1EESY_IbLb0EEEEDaSU_SV_EUlSU_E_NS1_11comp_targetILNS1_3genE5ELNS1_11target_archE942ELNS1_3gpuE9ELNS1_3repE0EEENS1_30default_config_static_selectorELNS0_4arch9wavefront6targetE1EEEvT1_ ; -- Begin function _ZN7rocprim17ROCPRIM_400000_NS6detail17trampoline_kernelINS0_14default_configENS1_27scan_by_key_config_selectorIxxEEZZNS1_16scan_by_key_implILNS1_25lookback_scan_determinismE0ELb1ES3_N6thrust23THRUST_200600_302600_NS6detail15normal_iteratorINS9_10device_ptrIxEEEESE_SE_xNS9_4plusIvEENS9_8equal_toIxEExEE10hipError_tPvRmT2_T3_T4_T5_mT6_T7_P12ihipStream_tbENKUlT_T0_E_clISt17integral_constantIbLb1EESY_IbLb0EEEEDaSU_SV_EUlSU_E_NS1_11comp_targetILNS1_3genE5ELNS1_11target_archE942ELNS1_3gpuE9ELNS1_3repE0EEENS1_30default_config_static_selectorELNS0_4arch9wavefront6targetE1EEEvT1_
	.globl	_ZN7rocprim17ROCPRIM_400000_NS6detail17trampoline_kernelINS0_14default_configENS1_27scan_by_key_config_selectorIxxEEZZNS1_16scan_by_key_implILNS1_25lookback_scan_determinismE0ELb1ES3_N6thrust23THRUST_200600_302600_NS6detail15normal_iteratorINS9_10device_ptrIxEEEESE_SE_xNS9_4plusIvEENS9_8equal_toIxEExEE10hipError_tPvRmT2_T3_T4_T5_mT6_T7_P12ihipStream_tbENKUlT_T0_E_clISt17integral_constantIbLb1EESY_IbLb0EEEEDaSU_SV_EUlSU_E_NS1_11comp_targetILNS1_3genE5ELNS1_11target_archE942ELNS1_3gpuE9ELNS1_3repE0EEENS1_30default_config_static_selectorELNS0_4arch9wavefront6targetE1EEEvT1_
	.p2align	8
	.type	_ZN7rocprim17ROCPRIM_400000_NS6detail17trampoline_kernelINS0_14default_configENS1_27scan_by_key_config_selectorIxxEEZZNS1_16scan_by_key_implILNS1_25lookback_scan_determinismE0ELb1ES3_N6thrust23THRUST_200600_302600_NS6detail15normal_iteratorINS9_10device_ptrIxEEEESE_SE_xNS9_4plusIvEENS9_8equal_toIxEExEE10hipError_tPvRmT2_T3_T4_T5_mT6_T7_P12ihipStream_tbENKUlT_T0_E_clISt17integral_constantIbLb1EESY_IbLb0EEEEDaSU_SV_EUlSU_E_NS1_11comp_targetILNS1_3genE5ELNS1_11target_archE942ELNS1_3gpuE9ELNS1_3repE0EEENS1_30default_config_static_selectorELNS0_4arch9wavefront6targetE1EEEvT1_,@function
_ZN7rocprim17ROCPRIM_400000_NS6detail17trampoline_kernelINS0_14default_configENS1_27scan_by_key_config_selectorIxxEEZZNS1_16scan_by_key_implILNS1_25lookback_scan_determinismE0ELb1ES3_N6thrust23THRUST_200600_302600_NS6detail15normal_iteratorINS9_10device_ptrIxEEEESE_SE_xNS9_4plusIvEENS9_8equal_toIxEExEE10hipError_tPvRmT2_T3_T4_T5_mT6_T7_P12ihipStream_tbENKUlT_T0_E_clISt17integral_constantIbLb1EESY_IbLb0EEEEDaSU_SV_EUlSU_E_NS1_11comp_targetILNS1_3genE5ELNS1_11target_archE942ELNS1_3gpuE9ELNS1_3repE0EEENS1_30default_config_static_selectorELNS0_4arch9wavefront6targetE1EEEvT1_: ; @_ZN7rocprim17ROCPRIM_400000_NS6detail17trampoline_kernelINS0_14default_configENS1_27scan_by_key_config_selectorIxxEEZZNS1_16scan_by_key_implILNS1_25lookback_scan_determinismE0ELb1ES3_N6thrust23THRUST_200600_302600_NS6detail15normal_iteratorINS9_10device_ptrIxEEEESE_SE_xNS9_4plusIvEENS9_8equal_toIxEExEE10hipError_tPvRmT2_T3_T4_T5_mT6_T7_P12ihipStream_tbENKUlT_T0_E_clISt17integral_constantIbLb1EESY_IbLb0EEEEDaSU_SV_EUlSU_E_NS1_11comp_targetILNS1_3genE5ELNS1_11target_archE942ELNS1_3gpuE9ELNS1_3repE0EEENS1_30default_config_static_selectorELNS0_4arch9wavefront6targetE1EEEvT1_
; %bb.0:
	s_load_dwordx8 s[44:51], s[0:1], 0x0
	s_load_dwordx2 s[56:57], s[0:1], 0x20
	s_load_dwordx8 s[36:43], s[0:1], 0x30
	s_load_dwordx2 s[58:59], s[0:1], 0x50
	s_load_dword s3, s[0:1], 0x58
	s_load_dwordx4 s[52:55], s[0:1], 0x60
	s_waitcnt lgkmcnt(0)
	s_lshl_b64 s[34:35], s[46:47], 3
	s_add_u32 s4, s44, s34
	s_addc_u32 s5, s45, s35
	s_add_u32 s6, s48, s34
	s_mul_i32 s0, s59, s3
	s_mul_hi_u32 s1, s58, s3
	s_addc_u32 s7, s49, s35
	s_add_i32 s8, s1, s0
	s_mul_i32 s0, s2, 0xe00
	s_mov_b32 s1, 0
	s_lshl_b64 s[44:45], s[0:1], 3
	s_add_u32 s48, s4, s44
	s_addc_u32 s49, s5, s45
	s_add_u32 s46, s6, s44
	s_mul_i32 s3, s58, s3
	s_addc_u32 s47, s7, s45
	s_add_u32 s0, s3, s2
	s_addc_u32 s1, s8, 0
	s_add_u32 s6, s52, -1
	s_addc_u32 s7, s53, -1
	v_mov_b64_e32 v[2:3], s[6:7]
	v_cmp_ge_u64_e64 s[0:1], s[0:1], v[2:3]
	s_mov_b64 s[4:5], -1
	s_and_b64 vcc, exec, s[0:1]
	s_mul_i32 s33, s6, 0xfffff200
	s_barrier
	s_cbranch_vccz .LBB445_76
; %bb.1:
	v_mov_b64_e32 v[2:3], s[48:49]
	flat_load_dwordx2 v[2:3], v[2:3]
	s_add_i32 s43, s33, s42
	v_cmp_gt_u32_e32 vcc, s43, v0
	s_waitcnt vmcnt(0) lgkmcnt(0)
	v_mov_b64_e32 v[4:5], v[2:3]
	s_and_saveexec_b64 s[4:5], vcc
	s_cbranch_execz .LBB445_3
; %bb.2:
	v_lshlrev_b32_e32 v4, 3, v0
	v_mov_b32_e32 v5, 0
	v_lshl_add_u64 v[4:5], s[48:49], 0, v[4:5]
	flat_load_dwordx2 v[4:5], v[4:5]
.LBB445_3:
	s_or_b64 exec, exec, s[4:5]
	v_or_b32_e32 v1, 0x100, v0
	v_cmp_gt_u32_e64 s[28:29], s43, v1
	v_mov_b64_e32 v[6:7], v[2:3]
	s_and_saveexec_b64 s[4:5], s[28:29]
	s_cbranch_execz .LBB445_5
; %bb.4:
	v_lshlrev_b32_e32 v6, 3, v0
	v_mov_b32_e32 v7, 0
	v_lshl_add_u64 v[6:7], s[48:49], 0, v[6:7]
	flat_load_dwordx2 v[6:7], v[6:7] offset:2048
.LBB445_5:
	s_or_b64 exec, exec, s[4:5]
	v_or_b32_e32 v1, 0x200, v0
	v_cmp_gt_u32_e64 s[4:5], s43, v1
	v_mov_b64_e32 v[8:9], v[2:3]
	s_and_saveexec_b64 s[6:7], s[4:5]
	s_cbranch_execz .LBB445_7
; %bb.6:
	v_lshlrev_b32_e32 v8, 3, v1
	v_mov_b32_e32 v9, 0
	v_lshl_add_u64 v[8:9], s[48:49], 0, v[8:9]
	flat_load_dwordx2 v[8:9], v[8:9]
.LBB445_7:
	s_or_b64 exec, exec, s[6:7]
	v_or_b32_e32 v40, 0x300, v0
	v_cmp_gt_u32_e64 s[6:7], s43, v40
	v_mov_b64_e32 v[10:11], v[2:3]
	s_and_saveexec_b64 s[8:9], s[6:7]
	s_cbranch_execz .LBB445_9
; %bb.8:
	v_lshlrev_b32_e32 v10, 3, v40
	v_mov_b32_e32 v11, 0
	v_lshl_add_u64 v[10:11], s[48:49], 0, v[10:11]
	flat_load_dwordx2 v[10:11], v[10:11]
.LBB445_9:
	;; [unrolled: 12-line block ×11, first 2 shown]
	s_or_b64 exec, exec, s[26:27]
	v_or_b32_e32 v64, 0xd00, v0
	v_cmp_gt_u32_e64 s[26:27], s43, v64
	s_and_saveexec_b64 s[30:31], s[26:27]
	s_cbranch_execz .LBB445_29
; %bb.28:
	v_lshlrev_b32_e32 v2, 3, v64
	v_mov_b32_e32 v3, 0
	v_lshl_add_u64 v[2:3], s[48:49], 0, v[2:3]
	flat_load_dwordx2 v[2:3], v[2:3]
.LBB445_29:
	s_or_b64 exec, exec, s[30:31]
	v_lshlrev_b32_e32 v30, 3, v0
	s_waitcnt vmcnt(0) lgkmcnt(0)
	ds_write2st64_b64 v30, v[4:5], v[6:7] offset1:4
	ds_write2st64_b64 v30, v[8:9], v[10:11] offset0:8 offset1:12
	ds_write2st64_b64 v30, v[12:13], v[14:15] offset0:16 offset1:20
	;; [unrolled: 1-line block ×6, first 2 shown]
	v_mov_b64_e32 v[2:3], s[48:49]
	s_waitcnt lgkmcnt(0)
	s_barrier
	flat_load_dwordx2 v[58:59], v[2:3]
	s_movk_i32 s3, 0x68
	v_mad_u32_u24 v62, v0, s3, v30
	s_movk_i32 s3, 0xff98
	v_mad_i32_i24 v31, v0, s3, v62
	s_movk_i32 s3, 0xff
	v_cmp_ne_u32_e64 s[30:31], s3, v0
	ds_read_b128 v[26:29], v62
	ds_read_b128 v[22:25], v62 offset:16
	ds_read_b128 v[18:21], v62 offset:32
	ds_read_b128 v[14:17], v62 offset:48
	ds_read_b128 v[10:13], v62 offset:64
	ds_read_b128 v[6:9], v62 offset:80
	ds_read_b128 v[2:5], v62 offset:96
	s_waitcnt lgkmcnt(0)
	ds_write_b64 v31, v[26:27] offset:30720
	s_waitcnt lgkmcnt(0)
	s_barrier
	s_and_saveexec_b64 s[52:53], s[30:31]
	s_cbranch_execz .LBB445_31
; %bb.30:
	s_waitcnt vmcnt(0)
	ds_read_b64 v[58:59], v30 offset:30728
.LBB445_31:
	s_or_b64 exec, exec, s[52:53]
	v_mov_b32_e32 v31, 0
	s_waitcnt lgkmcnt(0)
	s_barrier
	s_waitcnt lgkmcnt(0)
                                        ; implicit-def: $vgpr32_vgpr33
	s_and_saveexec_b64 s[30:31], vcc
	s_cbranch_execz .LBB445_155
; %bb.32:
	v_lshl_add_u64 v[32:33], s[46:47], 0, v[30:31]
	flat_load_dwordx2 v[32:33], v[32:33]
	s_or_b64 exec, exec, s[30:31]
                                        ; implicit-def: $vgpr34_vgpr35
	s_and_saveexec_b64 s[30:31], s[28:29]
	s_cbranch_execnz .LBB445_156
.LBB445_33:
	s_or_b64 exec, exec, s[30:31]
                                        ; implicit-def: $vgpr36_vgpr37
	s_and_saveexec_b64 s[28:29], s[4:5]
	s_cbranch_execz .LBB445_157
.LBB445_34:
	v_lshlrev_b32_e32 v36, 3, v1
	v_mov_b32_e32 v37, 0
	v_lshl_add_u64 v[36:37], s[46:47], 0, v[36:37]
	flat_load_dwordx2 v[36:37], v[36:37]
	s_or_b64 exec, exec, s[28:29]
                                        ; implicit-def: $vgpr38_vgpr39
	s_and_saveexec_b64 s[4:5], s[6:7]
	s_cbranch_execnz .LBB445_158
.LBB445_35:
	s_or_b64 exec, exec, s[4:5]
                                        ; implicit-def: $vgpr40_vgpr41
	s_and_saveexec_b64 s[4:5], s[8:9]
	s_cbranch_execz .LBB445_159
.LBB445_36:
	v_lshlrev_b32_e32 v40, 3, v42
	v_mov_b32_e32 v41, 0
	v_lshl_add_u64 v[40:41], s[46:47], 0, v[40:41]
	flat_load_dwordx2 v[40:41], v[40:41]
	s_or_b64 exec, exec, s[4:5]
                                        ; implicit-def: $vgpr42_vgpr43
	s_and_saveexec_b64 s[4:5], s[10:11]
	s_cbranch_execnz .LBB445_160
.LBB445_37:
	s_or_b64 exec, exec, s[4:5]
                                        ; implicit-def: $vgpr44_vgpr45
	s_and_saveexec_b64 s[4:5], s[12:13]
	s_cbranch_execz .LBB445_161
.LBB445_38:
	v_lshlrev_b32_e32 v44, 3, v46
	v_mov_b32_e32 v45, 0
	v_lshl_add_u64 v[44:45], s[46:47], 0, v[44:45]
	flat_load_dwordx2 v[44:45], v[44:45]
	s_or_b64 exec, exec, s[4:5]
                                        ; implicit-def: $vgpr46_vgpr47
	s_and_saveexec_b64 s[4:5], s[14:15]
	s_cbranch_execnz .LBB445_162
.LBB445_39:
	s_or_b64 exec, exec, s[4:5]
                                        ; implicit-def: $vgpr48_vgpr49
	s_and_saveexec_b64 s[4:5], s[16:17]
	s_cbranch_execz .LBB445_163
.LBB445_40:
	v_lshlrev_b32_e32 v48, 3, v50
	v_mov_b32_e32 v49, 0
	v_lshl_add_u64 v[48:49], s[46:47], 0, v[48:49]
	flat_load_dwordx2 v[48:49], v[48:49]
	s_or_b64 exec, exec, s[4:5]
                                        ; implicit-def: $vgpr50_vgpr51
	s_and_saveexec_b64 s[4:5], s[18:19]
	s_cbranch_execnz .LBB445_164
.LBB445_41:
	s_or_b64 exec, exec, s[4:5]
                                        ; implicit-def: $vgpr52_vgpr53
	s_and_saveexec_b64 s[4:5], s[20:21]
	s_cbranch_execz .LBB445_165
.LBB445_42:
	v_lshlrev_b32_e32 v52, 3, v54
	v_mov_b32_e32 v53, 0
	v_lshl_add_u64 v[52:53], s[46:47], 0, v[52:53]
	flat_load_dwordx2 v[52:53], v[52:53]
	s_or_b64 exec, exec, s[4:5]
                                        ; implicit-def: $vgpr54_vgpr55
	s_and_saveexec_b64 s[4:5], s[22:23]
	s_cbranch_execnz .LBB445_166
.LBB445_43:
	s_or_b64 exec, exec, s[4:5]
                                        ; implicit-def: $vgpr56_vgpr57
	s_and_saveexec_b64 s[4:5], s[24:25]
	s_cbranch_execz .LBB445_45
.LBB445_44:
	v_lshlrev_b32_e32 v56, 3, v60
	v_mov_b32_e32 v57, 0
	v_lshl_add_u64 v[56:57], s[46:47], 0, v[56:57]
	flat_load_dwordx2 v[56:57], v[56:57]
.LBB445_45:
	s_or_b64 exec, exec, s[4:5]
	v_mul_u32_u24_e32 v63, 14, v0
                                        ; implicit-def: $vgpr60_vgpr61
	s_and_saveexec_b64 s[4:5], s[26:27]
	s_cbranch_execz .LBB445_47
; %bb.46:
	v_lshlrev_b32_e32 v60, 3, v64
	v_mov_b32_e32 v61, 0
	v_lshl_add_u64 v[60:61], s[46:47], 0, v[60:61]
	flat_load_dwordx2 v[60:61], v[60:61]
.LBB445_47:
	s_or_b64 exec, exec, s[4:5]
	s_waitcnt vmcnt(0) lgkmcnt(0)
	ds_write2st64_b64 v30, v[32:33], v[34:35] offset1:4
	ds_write2st64_b64 v30, v[36:37], v[38:39] offset0:8 offset1:12
	ds_write2st64_b64 v30, v[40:41], v[42:43] offset0:16 offset1:20
	;; [unrolled: 1-line block ×6, first 2 shown]
	v_mov_b64_e32 v[54:55], 0
	v_cmp_gt_u32_e32 vcc, s43, v63
	s_mov_b64 s[10:11], 0
	s_mov_b32 s3, 0
	s_mov_b64 s[4:5], 0
	v_mov_b32_e32 v67, 0
	v_mov_b64_e32 v[34:35], v[54:55]
	v_mov_b32_e32 v75, 0
	v_mov_b64_e32 v[56:57], v[54:55]
	;; [unrolled: 2-line block ×12, first 2 shown]
	v_mov_b32_e32 v1, 0
	s_waitcnt lgkmcnt(0)
	s_barrier
	s_waitcnt lgkmcnt(0)
                                        ; implicit-def: $sgpr8_sgpr9
                                        ; implicit-def: $vgpr60_vgpr61
	s_and_saveexec_b64 s[6:7], vcc
	s_cbranch_execz .LBB445_75
; %bb.48:
	ds_read_b64 v[30:31], v62
	v_cmp_ne_u64_e32 vcc, v[26:27], v[28:29]
	v_mov_b32_e32 v26, s57
	v_or_b32_e32 v32, 1, v63
	v_mov_b64_e32 v[34:35], 0
	s_waitcnt lgkmcnt(0)
	v_cndmask_b32_e32 v55, v31, v26, vcc
	v_mov_b32_e32 v26, s56
	v_cndmask_b32_e64 v1, 0, 1, vcc
	v_cndmask_b32_e32 v54, v30, v26, vcc
	v_cmp_gt_u32_e32 vcc, s43, v32
	s_mov_b64 s[12:13], 0
	v_mov_b32_e32 v67, 0
	v_mov_b32_e32 v75, 0
	v_mov_b64_e32 v[56:57], v[34:35]
	v_mov_b32_e32 v74, 0
	v_mov_b64_e32 v[36:37], v[34:35]
	;; [unrolled: 2-line block ×11, first 2 shown]
                                        ; implicit-def: $sgpr14_sgpr15
                                        ; implicit-def: $vgpr60_vgpr61
	s_and_saveexec_b64 s[8:9], vcc
	s_cbranch_execz .LBB445_74
; %bb.49:
	ds_read2_b64 v[30:33], v62 offset0:1 offset1:2
	v_cmp_ne_u64_e32 vcc, v[28:29], v[22:23]
	v_mov_b32_e32 v27, s57
	v_add_u32_e32 v26, 2, v63
	v_mov_b64_e32 v[34:35], 0
	s_waitcnt lgkmcnt(0)
	v_cndmask_b32_e32 v31, v31, v27, vcc
	v_mov_b32_e32 v27, s56
	v_cndmask_b32_e64 v64, 0, 1, vcc
	v_cndmask_b32_e32 v30, v30, v27, vcc
	v_cmp_gt_u32_e32 vcc, s43, v26
	s_mov_b64 s[14:15], 0
	v_mov_b32_e32 v67, 0
	v_mov_b32_e32 v75, 0
	v_mov_b64_e32 v[56:57], v[34:35]
	v_mov_b32_e32 v74, 0
	v_mov_b64_e32 v[36:37], v[34:35]
	;; [unrolled: 2-line block ×10, first 2 shown]
                                        ; implicit-def: $sgpr16_sgpr17
                                        ; implicit-def: $vgpr60_vgpr61
	s_and_saveexec_b64 s[10:11], vcc
	s_cbranch_execz .LBB445_73
; %bb.50:
	v_cmp_ne_u64_e32 vcc, v[22:23], v[24:25]
	v_mov_b32_e32 v22, s57
	v_add_u32_e32 v26, 3, v63
	v_cndmask_b32_e32 v51, v33, v22, vcc
	v_mov_b32_e32 v22, s56
	v_mov_b64_e32 v[34:35], 0
	v_cndmask_b32_e64 v65, 0, 1, vcc
	v_cndmask_b32_e32 v50, v32, v22, vcc
	v_cmp_gt_u32_e32 vcc, s43, v26
	s_mov_b64 s[16:17], 0
	v_mov_b32_e32 v67, 0
	v_mov_b32_e32 v75, 0
	v_mov_b64_e32 v[56:57], v[34:35]
	v_mov_b32_e32 v74, 0
	v_mov_b64_e32 v[36:37], v[34:35]
	;; [unrolled: 2-line block ×9, first 2 shown]
                                        ; implicit-def: $sgpr18_sgpr19
                                        ; implicit-def: $vgpr60_vgpr61
	s_and_saveexec_b64 s[12:13], vcc
	s_cbranch_execz .LBB445_72
; %bb.51:
	ds_read2_b64 v[26:29], v62 offset0:3 offset1:4
	v_cmp_ne_u64_e32 vcc, v[24:25], v[18:19]
	v_mov_b32_e32 v23, s57
	v_add_u32_e32 v22, 4, v63
	v_mov_b64_e32 v[34:35], 0
	s_waitcnt lgkmcnt(0)
	v_cndmask_b32_e32 v47, v27, v23, vcc
	v_mov_b32_e32 v23, s56
	v_cndmask_b32_e64 v66, 0, 1, vcc
	v_cndmask_b32_e32 v46, v26, v23, vcc
	v_cmp_gt_u32_e32 vcc, s43, v22
	s_mov_b64 s[18:19], 0
	v_mov_b32_e32 v67, 0
	v_mov_b32_e32 v75, 0
	v_mov_b64_e32 v[56:57], v[34:35]
	v_mov_b32_e32 v74, 0
	v_mov_b64_e32 v[36:37], v[34:35]
	;; [unrolled: 2-line block ×8, first 2 shown]
                                        ; implicit-def: $sgpr20_sgpr21
                                        ; implicit-def: $vgpr60_vgpr61
	s_and_saveexec_b64 s[14:15], vcc
	s_cbranch_execz .LBB445_71
; %bb.52:
	v_cmp_ne_u64_e32 vcc, v[18:19], v[20:21]
	v_mov_b32_e32 v18, s57
	v_add_u32_e32 v22, 5, v63
	v_cndmask_b32_e32 v49, v29, v18, vcc
	v_mov_b32_e32 v18, s56
	v_mov_b64_e32 v[34:35], 0
	v_cndmask_b32_e64 v68, 0, 1, vcc
	v_cndmask_b32_e32 v48, v28, v18, vcc
	v_cmp_gt_u32_e32 vcc, s43, v22
	s_mov_b64 s[20:21], 0
	v_mov_b32_e32 v67, 0
	v_mov_b32_e32 v75, 0
	v_mov_b64_e32 v[56:57], v[34:35]
	v_mov_b32_e32 v74, 0
	v_mov_b64_e32 v[36:37], v[34:35]
	;; [unrolled: 2-line block ×7, first 2 shown]
                                        ; implicit-def: $sgpr22_sgpr23
                                        ; implicit-def: $vgpr60_vgpr61
	s_and_saveexec_b64 s[16:17], vcc
	s_cbranch_execz .LBB445_70
; %bb.53:
	ds_read2_b64 v[22:25], v62 offset0:5 offset1:6
	v_cmp_ne_u64_e32 vcc, v[20:21], v[14:15]
	v_mov_b32_e32 v19, s57
	v_add_u32_e32 v18, 6, v63
	v_mov_b64_e32 v[34:35], 0
	s_waitcnt lgkmcnt(0)
	v_cndmask_b32_e32 v43, v23, v19, vcc
	v_mov_b32_e32 v19, s56
	v_cndmask_b32_e64 v69, 0, 1, vcc
	v_cndmask_b32_e32 v42, v22, v19, vcc
	v_cmp_gt_u32_e32 vcc, s43, v18
	s_mov_b64 s[22:23], 0
	v_mov_b32_e32 v67, 0
	v_mov_b32_e32 v75, 0
	v_mov_b64_e32 v[56:57], v[34:35]
	v_mov_b32_e32 v74, 0
	v_mov_b64_e32 v[36:37], v[34:35]
	;; [unrolled: 2-line block ×6, first 2 shown]
                                        ; implicit-def: $sgpr24_sgpr25
                                        ; implicit-def: $vgpr60_vgpr61
	s_and_saveexec_b64 s[18:19], vcc
	s_cbranch_execz .LBB445_69
; %bb.54:
	v_cmp_ne_u64_e32 vcc, v[14:15], v[16:17]
	v_mov_b32_e32 v14, s57
	v_add_u32_e32 v18, 7, v63
	v_cndmask_b32_e32 v45, v25, v14, vcc
	v_mov_b32_e32 v14, s56
	v_mov_b64_e32 v[34:35], 0
	v_cndmask_b32_e64 v70, 0, 1, vcc
	v_cndmask_b32_e32 v44, v24, v14, vcc
	v_cmp_gt_u32_e32 vcc, s43, v18
	s_mov_b64 s[24:25], 0
	v_mov_b32_e32 v67, 0
	v_mov_b32_e32 v75, 0
	v_mov_b64_e32 v[56:57], v[34:35]
	v_mov_b32_e32 v74, 0
	v_mov_b64_e32 v[36:37], v[34:35]
	;; [unrolled: 2-line block ×5, first 2 shown]
                                        ; implicit-def: $sgpr26_sgpr27
                                        ; implicit-def: $vgpr60_vgpr61
	s_and_saveexec_b64 s[20:21], vcc
	s_cbranch_execz .LBB445_68
; %bb.55:
	ds_read2_b64 v[18:21], v62 offset0:7 offset1:8
	v_cmp_ne_u64_e32 vcc, v[16:17], v[10:11]
	v_mov_b32_e32 v15, s57
	v_add_u32_e32 v14, 8, v63
	v_mov_b64_e32 v[34:35], 0
	s_waitcnt lgkmcnt(0)
	v_cndmask_b32_e32 v39, v19, v15, vcc
	v_mov_b32_e32 v15, s56
	v_cndmask_b32_e64 v71, 0, 1, vcc
	v_cndmask_b32_e32 v38, v18, v15, vcc
	v_cmp_gt_u32_e32 vcc, s43, v14
	s_mov_b64 s[26:27], 0
	v_mov_b32_e32 v67, 0
	v_mov_b32_e32 v75, 0
	v_mov_b64_e32 v[56:57], v[34:35]
	v_mov_b32_e32 v74, 0
	v_mov_b64_e32 v[36:37], v[34:35]
	;; [unrolled: 2-line block ×4, first 2 shown]
                                        ; implicit-def: $sgpr28_sgpr29
                                        ; implicit-def: $vgpr60_vgpr61
	s_and_saveexec_b64 s[22:23], vcc
	s_cbranch_execz .LBB445_67
; %bb.56:
	v_cmp_ne_u64_e32 vcc, v[10:11], v[12:13]
	v_mov_b32_e32 v10, s57
	v_add_u32_e32 v14, 9, v63
	v_cndmask_b32_e32 v41, v21, v10, vcc
	v_mov_b32_e32 v10, s56
	v_mov_b64_e32 v[34:35], 0
	v_cndmask_b32_e64 v72, 0, 1, vcc
	v_cndmask_b32_e32 v40, v20, v10, vcc
	v_cmp_gt_u32_e32 vcc, s43, v14
	s_mov_b64 s[28:29], 0
	v_mov_b32_e32 v67, 0
	v_mov_b32_e32 v75, 0
	v_mov_b64_e32 v[56:57], v[34:35]
	v_mov_b32_e32 v74, 0
	v_mov_b64_e32 v[36:37], v[34:35]
	;; [unrolled: 2-line block ×3, first 2 shown]
                                        ; implicit-def: $sgpr30_sgpr31
                                        ; implicit-def: $vgpr60_vgpr61
	s_and_saveexec_b64 s[24:25], vcc
	s_cbranch_execz .LBB445_66
; %bb.57:
	ds_read2_b64 v[14:17], v62 offset0:9 offset1:10
	v_cmp_ne_u64_e32 vcc, v[12:13], v[6:7]
	v_mov_b32_e32 v11, s57
	v_add_u32_e32 v10, 10, v63
	v_mov_b64_e32 v[34:35], 0
	s_waitcnt lgkmcnt(0)
	v_cndmask_b32_e32 v53, v15, v11, vcc
	v_mov_b32_e32 v11, s56
	v_cndmask_b32_e64 v73, 0, 1, vcc
	v_cndmask_b32_e32 v52, v14, v11, vcc
	v_cmp_gt_u32_e32 vcc, s43, v10
	s_mov_b64 s[30:31], 0
	v_mov_b32_e32 v67, 0
	v_mov_b32_e32 v75, 0
	v_mov_b64_e32 v[56:57], v[34:35]
	v_mov_b32_e32 v74, 0
	v_mov_b64_e32 v[36:37], v[34:35]
                                        ; implicit-def: $sgpr52_sgpr53
                                        ; implicit-def: $vgpr60_vgpr61
	s_and_saveexec_b64 s[26:27], vcc
	s_cbranch_execz .LBB445_65
; %bb.58:
	v_cmp_ne_u64_e32 vcc, v[6:7], v[8:9]
	v_mov_b32_e32 v6, s57
	v_add_u32_e32 v10, 11, v63
	v_cndmask_b32_e32 v37, v17, v6, vcc
	v_mov_b32_e32 v6, s56
	v_mov_b64_e32 v[34:35], 0
	v_cndmask_b32_e64 v74, 0, 1, vcc
	v_cndmask_b32_e32 v36, v16, v6, vcc
	v_cmp_gt_u32_e32 vcc, s43, v10
	s_mov_b64 s[52:53], 0
	v_mov_b32_e32 v67, 0
	v_mov_b32_e32 v75, 0
	v_mov_b64_e32 v[56:57], v[34:35]
                                        ; implicit-def: $sgpr60_sgpr61
                                        ; implicit-def: $vgpr60_vgpr61
	s_and_saveexec_b64 s[28:29], vcc
	s_cbranch_execz .LBB445_64
; %bb.59:
	ds_read2_b64 v[10:13], v62 offset0:11 offset1:12
	v_cmp_ne_u64_e32 vcc, v[8:9], v[2:3]
	v_mov_b32_e32 v7, s57
	v_add_u32_e32 v6, 12, v63
	v_cndmask_b32_e64 v75, 0, 1, vcc
	s_waitcnt lgkmcnt(0)
	v_cndmask_b32_e32 v57, v11, v7, vcc
	v_mov_b32_e32 v7, s56
	v_cndmask_b32_e32 v56, v10, v7, vcc
	v_cmp_gt_u32_e32 vcc, s43, v6
	v_mov_b32_e32 v67, 0
	v_mov_b64_e32 v[34:35], 0
                                        ; implicit-def: $sgpr60_sgpr61
                                        ; implicit-def: $vgpr60_vgpr61
	s_and_saveexec_b64 s[30:31], vcc
	s_cbranch_execz .LBB445_63
; %bb.60:
	v_cmp_ne_u64_e32 vcc, v[2:3], v[4:5]
	v_mov_b32_e32 v2, s57
	v_add_u32_e32 v6, 13, v63
	v_cndmask_b32_e32 v35, v13, v2, vcc
	v_mov_b32_e32 v2, s56
	v_cndmask_b32_e64 v67, 0, 1, vcc
	v_cndmask_b32_e32 v34, v12, v2, vcc
	v_cmp_gt_u32_e32 vcc, s43, v6
                                        ; implicit-def: $sgpr60_sgpr61
                                        ; implicit-def: $vgpr60_vgpr61
	s_and_saveexec_b64 s[62:63], vcc
	s_xor_b64 s[62:63], exec, s[62:63]
	s_cbranch_execz .LBB445_62
; %bb.61:
	ds_read_b64 v[2:3], v62 offset:104
	v_mov_b32_e32 v6, s57
	v_mov_b32_e32 v7, s56
	v_cmp_ne_u64_e32 vcc, v[4:5], v[58:59]
	s_mov_b64 s[52:53], exec
	s_and_b64 s[60:61], vcc, exec
	s_waitcnt lgkmcnt(0)
	v_cndmask_b32_e32 v61, v3, v6, vcc
	v_cndmask_b32_e32 v60, v2, v7, vcc
.LBB445_62:
	s_or_b64 exec, exec, s[62:63]
	s_and_b64 s[60:61], s[60:61], exec
	s_and_b64 s[52:53], s[52:53], exec
.LBB445_63:
	s_or_b64 exec, exec, s[30:31]
	s_and_b64 s[60:61], s[60:61], exec
	s_and_b64 s[30:31], s[52:53], exec
.LBB445_64:
	s_or_b64 exec, exec, s[28:29]
	s_and_b64 s[52:53], s[60:61], exec
	s_and_b64 s[28:29], s[30:31], exec
.LBB445_65:
	s_or_b64 exec, exec, s[26:27]
	s_and_b64 s[30:31], s[52:53], exec
	s_and_b64 s[26:27], s[28:29], exec
.LBB445_66:
	s_or_b64 exec, exec, s[24:25]
	s_and_b64 s[28:29], s[30:31], exec
	s_and_b64 s[24:25], s[26:27], exec
.LBB445_67:
	s_or_b64 exec, exec, s[22:23]
	s_and_b64 s[26:27], s[28:29], exec
	s_and_b64 s[22:23], s[24:25], exec
.LBB445_68:
	s_or_b64 exec, exec, s[20:21]
	s_and_b64 s[24:25], s[26:27], exec
	s_and_b64 s[20:21], s[22:23], exec
.LBB445_69:
	s_or_b64 exec, exec, s[18:19]
	s_and_b64 s[22:23], s[24:25], exec
	s_and_b64 s[18:19], s[20:21], exec
.LBB445_70:
	s_or_b64 exec, exec, s[16:17]
	s_and_b64 s[20:21], s[22:23], exec
	s_and_b64 s[16:17], s[18:19], exec
.LBB445_71:
	s_or_b64 exec, exec, s[14:15]
	s_and_b64 s[18:19], s[20:21], exec
	s_and_b64 s[14:15], s[16:17], exec
.LBB445_72:
	s_or_b64 exec, exec, s[12:13]
	s_and_b64 s[16:17], s[18:19], exec
	s_and_b64 s[12:13], s[14:15], exec
.LBB445_73:
	s_or_b64 exec, exec, s[10:11]
	s_and_b64 s[14:15], s[16:17], exec
	s_and_b64 s[10:11], s[12:13], exec
.LBB445_74:
	s_or_b64 exec, exec, s[8:9]
	s_and_b64 s[8:9], s[14:15], exec
	s_and_b64 s[10:11], s[10:11], exec
.LBB445_75:
	s_or_b64 exec, exec, s[6:7]
	s_mov_b64 s[6:7], 0
	s_and_b64 vcc, exec, s[4:5]
	v_lshlrev_b32_e32 v58, 3, v0
	s_cbranch_vccnz .LBB445_77
	s_branch .LBB445_82
.LBB445_76:
	s_mov_b64 s[10:11], 0
                                        ; implicit-def: $sgpr8_sgpr9
                                        ; implicit-def: $vgpr60_vgpr61
                                        ; implicit-def: $vgpr54_vgpr55
                                        ; implicit-def: $vgpr67
                                        ; implicit-def: $vgpr34_vgpr35
                                        ; implicit-def: $vgpr75
                                        ; implicit-def: $vgpr56_vgpr57
                                        ; implicit-def: $vgpr74
                                        ; implicit-def: $vgpr36_vgpr37
                                        ; implicit-def: $vgpr73
                                        ; implicit-def: $vgpr52_vgpr53
                                        ; implicit-def: $vgpr72
                                        ; implicit-def: $vgpr40_vgpr41
                                        ; implicit-def: $vgpr71
                                        ; implicit-def: $vgpr38_vgpr39
                                        ; implicit-def: $vgpr70
                                        ; implicit-def: $vgpr44_vgpr45
                                        ; implicit-def: $vgpr69
                                        ; implicit-def: $vgpr42_vgpr43
                                        ; implicit-def: $vgpr68
                                        ; implicit-def: $vgpr48_vgpr49
                                        ; implicit-def: $vgpr66
                                        ; implicit-def: $vgpr46_vgpr47
                                        ; implicit-def: $vgpr65
                                        ; implicit-def: $vgpr50_vgpr51
                                        ; implicit-def: $vgpr64
                                        ; implicit-def: $vgpr30_vgpr31
                                        ; implicit-def: $vgpr1
                                        ; implicit-def: $sgpr3
                                        ; implicit-def: $sgpr6_sgpr7
	s_and_b64 vcc, exec, s[4:5]
	v_lshlrev_b32_e32 v58, 3, v0
	s_cbranch_vccz .LBB445_82
.LBB445_77:
	v_mov_b32_e32 v59, 0
	v_lshl_add_u64 v[2:3], s[48:49], 0, v[58:59]
	v_add_co_u32_e32 v4, vcc, 0x1000, v2
	s_movk_i32 s3, 0x7000
	s_nop 0
	v_addc_co_u32_e32 v5, vcc, 0, v3, vcc
	flat_load_dwordx2 v[6:7], v[2:3]
	flat_load_dwordx2 v[8:9], v[2:3] offset:2048
	flat_load_dwordx2 v[10:11], v[4:5]
	flat_load_dwordx2 v[12:13], v[4:5] offset:2048
	v_add_co_u32_e32 v4, vcc, 0x2000, v2
	v_mov_b32_e32 v1, s48
	s_nop 0
	v_addc_co_u32_e32 v5, vcc, 0, v3, vcc
	v_add_co_u32_e32 v14, vcc, 0x3000, v2
	s_movk_i32 s4, 0x68
	s_nop 0
	v_addc_co_u32_e32 v15, vcc, 0, v3, vcc
	flat_load_dwordx2 v[16:17], v[4:5]
	flat_load_dwordx2 v[18:19], v[4:5] offset:2048
	flat_load_dwordx2 v[20:21], v[14:15]
	flat_load_dwordx2 v[22:23], v[14:15] offset:2048
	v_add_co_u32_e32 v4, vcc, 0x4000, v2
	s_movk_i32 s10, 0x1000
	s_nop 0
	v_addc_co_u32_e32 v5, vcc, 0, v3, vcc
	v_add_co_u32_e32 v14, vcc, 0x5000, v2
	s_movk_i32 s9, 0x2000
	s_nop 0
	v_addc_co_u32_e32 v15, vcc, 0, v3, vcc
	v_add_co_u32_e32 v2, vcc, 0x6000, v2
	flat_load_dwordx2 v[24:25], v[4:5]
	flat_load_dwordx2 v[26:27], v[4:5] offset:2048
	flat_load_dwordx2 v[28:29], v[14:15]
	flat_load_dwordx2 v[30:31], v[14:15] offset:2048
	v_addc_co_u32_e32 v3, vcc, 0, v3, vcc
	flat_load_dwordx2 v[4:5], v[2:3]
	flat_load_dwordx2 v[14:15], v[2:3] offset:2048
	v_mov_b32_e32 v3, s49
	v_add_co_u32_e32 v2, vcc, s3, v1
	v_mad_u32_u24 v1, v0, s4, v58
	s_nop 0
	v_addc_co_u32_e32 v3, vcc, 0, v3, vcc
	s_movk_i32 s4, 0xff98
	s_movk_i32 s8, 0x3000
	;; [unrolled: 1-line block ×5, first 2 shown]
	s_waitcnt vmcnt(0) lgkmcnt(0)
	ds_write2st64_b64 v58, v[6:7], v[8:9] offset1:4
	ds_write2st64_b64 v58, v[10:11], v[12:13] offset0:8 offset1:12
	ds_write2st64_b64 v58, v[16:17], v[18:19] offset0:16 offset1:20
	;; [unrolled: 1-line block ×6, first 2 shown]
	s_waitcnt lgkmcnt(0)
	s_barrier
	flat_load_dwordx2 v[60:61], v[2:3]
	v_mad_i32_i24 v26, v0, s4, v1
	s_movk_i32 s4, 0xff
	v_cmp_ne_u32_e32 vcc, s4, v0
	ds_read_b128 v[30:33], v1
	ds_read_b128 v[22:25], v1 offset:16
	ds_read_b128 v[18:21], v1 offset:32
	;; [unrolled: 1-line block ×6, first 2 shown]
	s_waitcnt lgkmcnt(0)
	ds_write_b64 v26, v[30:31] offset:30720
	s_waitcnt lgkmcnt(0)
	s_barrier
	s_and_saveexec_b64 s[4:5], vcc
	s_cbranch_execz .LBB445_79
; %bb.78:
	s_waitcnt vmcnt(0)
	ds_read_b64 v[60:61], v58 offset:30728
.LBB445_79:
	s_or_b64 exec, exec, s[4:5]
	v_lshl_add_u64 v[26:27], s[46:47], 0, v[58:59]
	v_add_co_u32_e32 v28, vcc, s10, v26
	s_waitcnt lgkmcnt(0)
	s_nop 0
	v_addc_co_u32_e32 v29, vcc, 0, v27, vcc
	s_barrier
	flat_load_dwordx2 v[34:35], v[26:27]
	flat_load_dwordx2 v[36:37], v[26:27] offset:2048
	flat_load_dwordx2 v[38:39], v[28:29]
	flat_load_dwordx2 v[40:41], v[28:29] offset:2048
	v_add_co_u32_e32 v28, vcc, s9, v26
	v_cmp_eq_u64_e64 s[4:5], v[30:31], v[32:33]
	s_nop 0
	v_addc_co_u32_e32 v29, vcc, 0, v27, vcc
	v_add_co_u32_e32 v42, vcc, s8, v26
	s_nop 1
	v_addc_co_u32_e32 v43, vcc, 0, v27, vcc
	flat_load_dwordx2 v[44:45], v[28:29]
	flat_load_dwordx2 v[46:47], v[28:29] offset:2048
	flat_load_dwordx2 v[48:49], v[42:43]
	flat_load_dwordx2 v[50:51], v[42:43] offset:2048
	v_add_co_u32_e32 v28, vcc, s7, v26
	s_nop 1
	v_addc_co_u32_e32 v29, vcc, 0, v27, vcc
	v_add_co_u32_e32 v42, vcc, s6, v26
	s_nop 1
	v_addc_co_u32_e32 v43, vcc, 0, v27, vcc
	v_add_co_u32_e32 v26, vcc, s3, v26
	flat_load_dwordx2 v[52:53], v[28:29]
	flat_load_dwordx2 v[54:55], v[28:29] offset:2048
	flat_load_dwordx2 v[56:57], v[42:43]
	flat_load_dwordx2 v[62:63], v[42:43] offset:2048
	v_addc_co_u32_e32 v27, vcc, 0, v27, vcc
	flat_load_dwordx2 v[28:29], v[26:27]
	flat_load_dwordx2 v[42:43], v[26:27] offset:2048
	v_cmp_ne_u64_e32 vcc, v[30:31], v[32:33]
	s_waitcnt vmcnt(0) lgkmcnt(0)
	ds_write2st64_b64 v58, v[34:35], v[36:37] offset1:4
	ds_write2st64_b64 v58, v[38:39], v[40:41] offset0:8 offset1:12
	ds_write2st64_b64 v58, v[44:45], v[46:47] offset0:16 offset1:20
	;; [unrolled: 1-line block ×6, first 2 shown]
	s_waitcnt lgkmcnt(0)
	s_barrier
	ds_read2_b64 v[50:53], v1 offset0:1 offset1:2
	ds_read2_b64 v[46:49], v1 offset0:3 offset1:4
	;; [unrolled: 1-line block ×6, first 2 shown]
	ds_read_b64 v[62:63], v1 offset:104
	v_mov_b64_e32 v[54:55], s[56:57]
	s_and_saveexec_b64 s[6:7], s[4:5]
	s_cbranch_execz .LBB445_81
; %bb.80:
	ds_read_b64 v[54:55], v1
.LBB445_81:
	s_or_b64 exec, exec, s[6:7]
	v_cmp_ne_u64_e64 s[8:9], v[18:19], v[20:21]
	v_cmp_ne_u64_e64 s[22:23], v[8:9], v[2:3]
	;; [unrolled: 1-line block ×3, first 2 shown]
	v_mov_b32_e32 v2, s57
	v_mov_b32_e32 v3, s56
	v_cndmask_b32_e64 v1, 0, 1, vcc
	v_cmp_ne_u64_e32 vcc, v[32:33], v[22:23]
	v_cmp_ne_u64_e64 s[4:5], v[22:23], v[24:25]
	v_cmp_ne_u64_e64 s[6:7], v[24:25], v[18:19]
	v_cndmask_b32_e64 v68, 0, 1, s[8:9]
	v_cmp_ne_u64_e64 s[10:11], v[20:21], v[14:15]
	v_cmp_ne_u64_e64 s[12:13], v[14:15], v[16:17]
	;; [unrolled: 1-line block ×6, first 2 shown]
	s_waitcnt lgkmcnt(5)
	v_cndmask_b32_e64 v49, v49, v2, s[8:9]
	v_cndmask_b32_e64 v48, v48, v3, s[8:9]
	v_cmp_ne_u64_e64 s[8:9], v[4:5], v[60:61]
	v_cndmask_b32_e64 v64, 0, 1, vcc
	v_cndmask_b32_e64 v65, 0, 1, s[4:5]
	v_cndmask_b32_e64 v66, 0, 1, s[6:7]
	;; [unrolled: 1-line block ×10, first 2 shown]
	v_cndmask_b32_e32 v31, v51, v2, vcc
	v_cndmask_b32_e32 v30, v50, v3, vcc
	v_cndmask_b32_e64 v51, v53, v2, s[4:5]
	v_cndmask_b32_e64 v50, v52, v3, s[4:5]
	v_cndmask_b32_e64 v47, v47, v2, s[6:7]
	v_cndmask_b32_e64 v46, v46, v3, s[6:7]
	s_waitcnt lgkmcnt(4)
	v_cndmask_b32_e64 v43, v43, v2, s[10:11]
	v_cndmask_b32_e64 v42, v42, v3, s[10:11]
	v_cndmask_b32_e64 v45, v45, v2, s[12:13]
	v_cndmask_b32_e64 v44, v44, v3, s[12:13]
	s_waitcnt lgkmcnt(3)
	;; [unrolled: 5-line block ×5, first 2 shown]
	v_cndmask_b32_e64 v61, v63, v2, s[8:9]
	v_cndmask_b32_e64 v60, v62, v3, s[8:9]
	s_mov_b64 s[10:11], -1
                                        ; implicit-def: $sgpr3
                                        ; implicit-def: $sgpr6_sgpr7
.LBB445_82:
	v_mov_b64_e32 v[28:29], s[6:7]
	v_mov_b32_e32 v59, s3
	s_and_saveexec_b64 s[4:5], s[10:11]
; %bb.83:
	v_cndmask_b32_e64 v59, 0, 1, s[8:9]
	v_mov_b64_e32 v[28:29], v[60:61]
; %bb.84:
	s_or_b64 exec, exec, s[4:5]
	v_or_b32_e32 v2, v59, v67
	s_cmp_lg_u32 s2, 0
	v_or_b32_e32 v63, v2, v75
	v_mbcnt_lo_u32_b32 v62, -1, 0
	s_barrier
	s_cbranch_scc0 .LBB445_167
; %bb.85:
	v_mov_b32_e32 v4, 0
	v_cmp_eq_u16_sdwa s[28:29], v64, v4 src0_sel:BYTE_0 src1_sel:DWORD
	v_cmp_eq_u16_sdwa s[4:5], v65, v4 src0_sel:BYTE_0 src1_sel:DWORD
	;; [unrolled: 1-line block ×3, first 2 shown]
	v_cndmask_b32_e64 v3, 0, v55, s[28:29]
	v_cndmask_b32_e64 v2, 0, v54, s[28:29]
	v_lshl_add_u64 v[2:3], v[2:3], 0, v[30:31]
	v_cndmask_b32_e64 v3, 0, v3, s[4:5]
	v_cndmask_b32_e64 v2, 0, v2, s[4:5]
	v_lshl_add_u64 v[2:3], v[2:3], 0, v[50:51]
	;; [unrolled: 3-line block ×3, first 2 shown]
	v_cmp_eq_u16_sdwa s[8:9], v68, v4 src0_sel:BYTE_0 src1_sel:DWORD
	v_cmp_eq_u16_sdwa s[10:11], v69, v4 src0_sel:BYTE_0 src1_sel:DWORD
	;; [unrolled: 1-line block ×3, first 2 shown]
	v_cndmask_b32_e64 v3, 0, v3, s[8:9]
	v_cndmask_b32_e64 v2, 0, v2, s[8:9]
	v_lshl_add_u64 v[2:3], v[2:3], 0, v[48:49]
	v_cndmask_b32_e64 v3, 0, v3, s[10:11]
	v_cndmask_b32_e64 v2, 0, v2, s[10:11]
	v_lshl_add_u64 v[2:3], v[2:3], 0, v[42:43]
	;; [unrolled: 3-line block ×3, first 2 shown]
	v_cmp_eq_u16_sdwa s[14:15], v71, v4 src0_sel:BYTE_0 src1_sel:DWORD
	v_cmp_eq_u16_sdwa s[16:17], v72, v4 src0_sel:BYTE_0 src1_sel:DWORD
	;; [unrolled: 1-line block ×3, first 2 shown]
	v_cndmask_b32_e64 v3, 0, v3, s[14:15]
	v_cndmask_b32_e64 v2, 0, v2, s[14:15]
	v_lshl_add_u64 v[2:3], v[2:3], 0, v[38:39]
	v_cndmask_b32_e64 v3, 0, v3, s[16:17]
	v_cndmask_b32_e64 v2, 0, v2, s[16:17]
	v_cmp_eq_u16_sdwa s[20:21], v74, v4 src0_sel:BYTE_0 src1_sel:DWORD
	v_cmp_eq_u16_sdwa s[22:23], v75, v4 src0_sel:BYTE_0 src1_sel:DWORD
	;; [unrolled: 1-line block ×3, first 2 shown]
	v_cmp_eq_u16_sdwa vcc, v59, v4 src0_sel:BYTE_0 src1_sel:DWORD
	v_or_b32_e32 v4, v63, v74
	v_lshl_add_u64 v[2:3], v[2:3], 0, v[40:41]
	v_or_b32_e32 v4, v4, v73
	v_cndmask_b32_e64 v3, 0, v3, s[18:19]
	v_cndmask_b32_e64 v2, 0, v2, s[18:19]
	v_or_b32_e32 v4, v4, v72
	v_lshl_add_u64 v[2:3], v[2:3], 0, v[52:53]
	v_or_b32_e32 v4, v4, v71
	v_cndmask_b32_e64 v3, 0, v3, s[20:21]
	v_cndmask_b32_e64 v2, 0, v2, s[20:21]
	;; [unrolled: 5-line block ×4, first 2 shown]
	v_or_b32_e32 v4, v4, v65
	v_lshl_add_u64 v[2:3], v[2:3], 0, v[34:35]
	v_or_b32_e32 v4, v4, v64
	v_cndmask_b32_e32 v3, 0, v3, vcc
	v_cndmask_b32_e32 v2, 0, v2, vcc
	v_or_b32_e32 v4, v4, v1
	v_mbcnt_hi_u32_b32 v9, -1, v62
	v_lshl_add_u64 v[2:3], v[2:3], 0, v[28:29]
	v_and_b32_e32 v8, 1, v4
	v_and_b32_e32 v5, 15, v9
	v_cmp_eq_u32_e32 vcc, 1, v8
	v_mov_b32_dpp v7, v2 row_shr:1 row_mask:0xf bank_mask:0xf
	v_mov_b32_dpp v10, v3 row_shr:1 row_mask:0xf bank_mask:0xf
	;; [unrolled: 1-line block ×3, first 2 shown]
	v_cmp_ne_u32_e64 s[26:27], 0, v5
	v_mov_b32_e32 v4, v8
	s_and_saveexec_b64 s[30:31], s[26:27]
; %bb.86:
	v_and_b32_e32 v4, 1, v6
	v_cndmask_b32_e64 v11, v10, 0, vcc
	v_cndmask_b32_e64 v10, v7, 0, vcc
	v_or_b32_e32 v8, v4, v8
	v_lshl_add_u64 v[2:3], v[10:11], 0, v[2:3]
	v_and_b32_e32 v4, 0xffff, v8
; %bb.87:
	s_or_b64 exec, exec, s[30:31]
	v_mov_b32_dpp v7, v2 row_shr:2 row_mask:0xf bank_mask:0xf
	v_mov_b32_dpp v10, v3 row_shr:2 row_mask:0xf bank_mask:0xf
	v_mov_b32_dpp v6, v4 row_shr:2 row_mask:0xf bank_mask:0xf
	v_cmp_lt_u32_e32 vcc, 1, v5
	s_and_saveexec_b64 s[30:31], vcc
; %bb.88:
	v_cmp_eq_u16_e32 vcc, 0, v8
	v_and_b32_e32 v4, 1, v8
	s_nop 0
	v_cndmask_b32_e32 v11, 0, v10, vcc
	v_cndmask_b32_e32 v10, 0, v7, vcc
	v_cmp_eq_u32_e32 vcc, 1, v4
	v_and_b32_e32 v4, 1, v6
	v_cmp_eq_u32_e64 s[26:27], 1, v4
	s_or_b64 s[26:27], vcc, s[26:27]
	v_lshl_add_u64 v[2:3], v[10:11], 0, v[2:3]
	v_cndmask_b32_e64 v8, 0, 1, s[26:27]
	v_cndmask_b32_e64 v4, 0, 1, s[26:27]
; %bb.89:
	s_or_b64 exec, exec, s[30:31]
	v_mov_b32_dpp v7, v2 row_shr:4 row_mask:0xf bank_mask:0xf
	v_mov_b32_dpp v10, v3 row_shr:4 row_mask:0xf bank_mask:0xf
	;; [unrolled: 1-line block ×3, first 2 shown]
	v_cmp_lt_u32_e32 vcc, 3, v5
	s_and_saveexec_b64 s[30:31], vcc
; %bb.90:
	v_cmp_eq_u16_e32 vcc, 0, v8
	v_and_b32_e32 v4, 1, v8
	s_nop 0
	v_cndmask_b32_e32 v11, 0, v10, vcc
	v_cndmask_b32_e32 v10, 0, v7, vcc
	v_cmp_eq_u32_e32 vcc, 1, v4
	v_and_b32_e32 v4, 1, v6
	v_cmp_eq_u32_e64 s[26:27], 1, v4
	s_or_b64 s[26:27], vcc, s[26:27]
	v_lshl_add_u64 v[2:3], v[10:11], 0, v[2:3]
	v_cndmask_b32_e64 v8, 0, 1, s[26:27]
	v_cndmask_b32_e64 v4, 0, 1, s[26:27]
; %bb.91:
	s_or_b64 exec, exec, s[30:31]
	v_mov_b32_dpp v7, v2 row_shr:8 row_mask:0xf bank_mask:0xf
	v_mov_b32_dpp v10, v3 row_shr:8 row_mask:0xf bank_mask:0xf
	;; [unrolled: 1-line block ×3, first 2 shown]
	v_cmp_lt_u32_e32 vcc, 7, v5
	s_and_saveexec_b64 s[30:31], vcc
; %bb.92:
	v_cmp_eq_u16_e32 vcc, 0, v8
	s_nop 1
	v_cndmask_b32_e32 v5, 0, v10, vcc
	v_cndmask_b32_e32 v4, 0, v7, vcc
	v_lshl_add_u64 v[2:3], v[4:5], 0, v[2:3]
	v_and_b32_e32 v4, 1, v8
	v_cmp_eq_u32_e32 vcc, 1, v4
	v_and_b32_e32 v4, 1, v6
	v_cmp_eq_u32_e64 s[26:27], 1, v4
	s_or_b64 s[26:27], vcc, s[26:27]
	s_nop 0
	v_cndmask_b32_e64 v8, 0, 1, s[26:27]
	v_cndmask_b32_e64 v4, 0, 1, s[26:27]
; %bb.93:
	s_or_b64 exec, exec, s[30:31]
	v_and_b32_e32 v10, 16, v9
	v_mov_b32_dpp v6, v2 row_bcast:15 row_mask:0xf bank_mask:0xf
	v_mov_b32_dpp v7, v3 row_bcast:15 row_mask:0xf bank_mask:0xf
	;; [unrolled: 1-line block ×3, first 2 shown]
	v_cmp_ne_u32_e32 vcc, 0, v10
	s_and_saveexec_b64 s[30:31], vcc
; %bb.94:
	v_cmp_eq_u16_e32 vcc, 0, v8
	v_and_b32_e32 v4, 1, v8
	s_nop 0
	v_cndmask_b32_e32 v7, 0, v7, vcc
	v_cndmask_b32_e32 v6, 0, v6, vcc
	v_cmp_eq_u32_e32 vcc, 1, v4
	v_and_b32_e32 v4, 1, v5
	v_cmp_eq_u32_e64 s[26:27], 1, v4
	s_or_b64 s[26:27], vcc, s[26:27]
	v_lshl_add_u64 v[2:3], v[6:7], 0, v[2:3]
	v_cndmask_b32_e64 v8, 0, 1, s[26:27]
	v_cndmask_b32_e64 v4, 0, 1, s[26:27]
; %bb.95:
	s_or_b64 exec, exec, s[30:31]
	v_mov_b32_dpp v5, v2 row_bcast:31 row_mask:0xf bank_mask:0xf
	v_mov_b32_dpp v6, v3 row_bcast:31 row_mask:0xf bank_mask:0xf
	;; [unrolled: 1-line block ×3, first 2 shown]
	v_cmp_lt_u32_e32 vcc, 31, v9
	s_and_saveexec_b64 s[30:31], vcc
; %bb.96:
	v_cmp_eq_u16_e32 vcc, 0, v8
	v_and_b32_e32 v4, 1, v4
	v_cmp_eq_u32_e64 s[26:27], 1, v4
	v_cndmask_b32_e32 v7, 0, v6, vcc
	v_cndmask_b32_e32 v6, 0, v5, vcc
	v_and_b32_e32 v5, 1, v8
	v_cmp_eq_u32_e32 vcc, 1, v5
	s_or_b64 s[26:27], vcc, s[26:27]
	v_lshl_add_u64 v[2:3], v[6:7], 0, v[2:3]
	v_cndmask_b32_e64 v8, 0, 1, s[26:27]
; %bb.97:
	s_or_b64 exec, exec, s[30:31]
	v_or_b32_e32 v4, 63, v0
	v_lshrrev_b32_e32 v10, 6, v0
	v_cmp_eq_u32_e32 vcc, v4, v0
	s_and_saveexec_b64 s[26:27], vcc
	s_cbranch_execz .LBB445_99
; %bb.98:
	v_lshlrev_b32_e32 v4, 4, v10
	ds_write_b64 v4, v[2:3]
	ds_write_b8 v4, v8 offset:8
.LBB445_99:
	s_or_b64 exec, exec, s[26:27]
	v_cmp_gt_u32_e32 vcc, 4, v0
	s_waitcnt lgkmcnt(0)
	s_barrier
	s_and_saveexec_b64 s[30:31], vcc
	s_cbranch_execz .LBB445_105
; %bb.100:
	v_lshlrev_b32_e32 v6, 4, v0
	ds_read_b64 v[4:5], v6
	ds_read_b32 v7, v6 offset:8
	v_and_b32_e32 v11, 3, v9
	v_cmp_ne_u32_e32 vcc, 0, v11
	s_waitcnt lgkmcnt(1)
	v_mov_b32_dpp v15, v4 row_shr:1 row_mask:0xf bank_mask:0xf
	v_mov_b32_dpp v16, v5 row_shr:1 row_mask:0xf bank_mask:0xf
	s_waitcnt lgkmcnt(0)
	v_mov_b32_dpp v14, v7 row_shr:1 row_mask:0xf bank_mask:0xf
	v_mov_b32_e32 v12, v7
	v_mov_b32_e32 v13, v7
	s_and_saveexec_b64 s[26:27], vcc
; %bb.101:
	v_mov_b32_e32 v12, 0
	v_cmp_eq_u16_sdwa vcc, v7, v12 src0_sel:BYTE_0 src1_sel:DWORD
	s_movk_i32 s3, 0xff00
	s_nop 0
	v_cndmask_b32_e32 v13, 0, v16, vcc
	v_cndmask_b32_e32 v12, 0, v15, vcc
	v_lshl_add_u64 v[4:5], v[12:13], 0, v[4:5]
	v_or_b32_e32 v13, v14, v7
	v_and_b32_e32 v12, 1, v13
	v_and_b32_e32 v13, 1, v13
	v_and_or_b32 v7, v7, s3, v13
; %bb.102:
	s_or_b64 exec, exec, s[26:27]
	v_mov_b32_dpp v14, v4 row_shr:2 row_mask:0xf bank_mask:0xf
	v_mov_b32_dpp v15, v5 row_shr:2 row_mask:0xf bank_mask:0xf
	;; [unrolled: 1-line block ×3, first 2 shown]
	v_cmp_lt_u32_e32 vcc, 1, v11
	s_and_saveexec_b64 s[46:47], vcc
; %bb.103:
	v_mov_b32_e32 v11, 0
	v_cmp_eq_u16_sdwa vcc, v13, v11 src0_sel:BYTE_0 src1_sel:DWORD
	v_and_b32_e32 v11, 1, v13
	v_and_b32_e32 v7, 1, v7
	v_cndmask_b32_e32 v15, 0, v15, vcc
	v_cndmask_b32_e32 v14, 0, v14, vcc
	v_cmp_eq_u32_e32 vcc, 1, v11
	v_cmp_eq_u32_e64 s[26:27], 1, v7
	s_or_b64 s[26:27], vcc, s[26:27]
	v_lshl_add_u64 v[4:5], v[14:15], 0, v[4:5]
	v_cndmask_b32_e64 v12, 0, 1, s[26:27]
; %bb.104:
	s_or_b64 exec, exec, s[46:47]
	ds_write_b64 v6, v[4:5]
	ds_write_b8 v6, v12 offset:8
.LBB445_105:
	s_or_b64 exec, exec, s[30:31]
	v_cmp_gt_u32_e32 vcc, 64, v0
	v_cmp_lt_u32_e64 s[26:27], 63, v0
	v_mov_b32_e32 v16, 0
	v_mov_b64_e32 v[6:7], 0
	s_waitcnt lgkmcnt(0)
	s_barrier
	s_and_saveexec_b64 s[30:31], s[26:27]
	s_cbranch_execz .LBB445_107
; %bb.106:
	v_lshl_add_u32 v4, v10, 4, -16
	ds_read_b64 v[6:7], v4
	ds_read_u8 v16, v4 offset:8
	v_cmp_eq_u16_e64 s[26:27], 0, v8
	s_waitcnt lgkmcnt(0)
	v_or_b32_e32 v8, v8, v16
	v_cndmask_b32_e64 v5, 0, v7, s[26:27]
	v_cndmask_b32_e64 v4, 0, v6, s[26:27]
	v_lshl_add_u64 v[2:3], v[2:3], 0, v[4:5]
	v_and_b32_e32 v8, 1, v8
.LBB445_107:
	s_or_b64 exec, exec, s[30:31]
	v_add_u32_e32 v4, -1, v9
	v_and_b32_e32 v5, 64, v9
	v_cmp_lt_i32_e64 s[26:27], v4, v5
	s_nop 1
	v_cndmask_b32_e64 v4, v4, v9, s[26:27]
	v_lshlrev_b32_e32 v4, 2, v4
	ds_bpermute_b32 v17, v4, v2
	v_and_b32_e32 v2, 0xffff, v8
	ds_bpermute_b32 v18, v4, v3
	ds_bpermute_b32 v19, v4, v2
	v_cmp_eq_u32_e64 s[26:27], 0, v9
	s_and_saveexec_b64 s[46:47], vcc
	s_cbranch_execz .LBB445_154
; %bb.108:
	v_mov_b32_e32 v11, 0
	ds_read2_b64 v[2:5], v11 offset0:6 offset1:7
	s_and_saveexec_b64 s[30:31], s[26:27]
	s_cbranch_execz .LBB445_110
; %bb.109:
	s_add_i32 s48, s2, 64
	s_mov_b32 s49, 0
	s_lshl_b64 s[52:53], s[48:49], 4
	s_add_u32 s52, s36, s52
	s_addc_u32 s53, s37, s53
	s_waitcnt lgkmcnt(0)
	global_store_dword v11, v2, s[52:53] sc1
	global_store_dword v11, v3, s[52:53] offset:4 sc1
	global_store_dword v11, v4, s[52:53] offset:8 sc1
	;; [unrolled: 1-line block ×3, first 2 shown]
	v_mov_b32_e32 v5, s48
	v_mov_b32_e32 v8, 1
	s_waitcnt vmcnt(0)
	global_store_byte v5, v8, s[40:41] sc1
.LBB445_110:
	s_or_b64 exec, exec, s[30:31]
	v_xad_u32 v8, v9, -1, s2
	v_add_u32_e32 v10, 64, v8
	s_waitcnt lgkmcnt(0)
	global_load_ubyte v5, v10, s[40:41] sc1
	s_waitcnt vmcnt(0)
	v_cmp_eq_u16_e32 vcc, 0, v5
	s_and_saveexec_b64 s[30:31], vcc
	s_cbranch_execz .LBB445_116
; %bb.111:
	v_lshl_add_u64 v[12:13], s[40:41], 0, v[10:11]
	s_mov_b32 s3, 1
	s_mov_b64 s[48:49], 0
.LBB445_112:                            ; =>This Loop Header: Depth=1
                                        ;     Child Loop BB445_113 Depth 2
	s_max_u32 s43, s3, 1
.LBB445_113:                            ;   Parent Loop BB445_112 Depth=1
                                        ; =>  This Inner Loop Header: Depth=2
	s_add_i32 s43, s43, -1
	s_cmp_eq_u32 s43, 0
	s_sleep 1
	s_cbranch_scc0 .LBB445_113
; %bb.114:                              ;   in Loop: Header=BB445_112 Depth=1
	global_load_ubyte v5, v[12:13], off sc1
	s_cmp_lt_u32 s3, 32
	s_cselect_b64 s[52:53], -1, 0
	s_cmp_lg_u64 s[52:53], 0
	s_addc_u32 s3, s3, 0
	s_waitcnt vmcnt(0)
	v_cmp_ne_u16_e32 vcc, 0, v5
	s_or_b64 s[48:49], vcc, s[48:49]
	s_andn2_b64 exec, exec, s[48:49]
	s_cbranch_execnz .LBB445_112
; %bb.115:
	s_or_b64 exec, exec, s[48:49]
.LBB445_116:
	s_or_b64 exec, exec, s[30:31]
	v_mov_b32_e32 v12, s39
	v_mov_b32_e32 v13, s37
	v_cmp_eq_u16_e32 vcc, 1, v5
	v_mov_b32_e32 v14, s36
	s_waitcnt vmcnt(0)
	v_cndmask_b32_e32 v13, v12, v13, vcc
	v_mov_b32_e32 v12, s38
	v_cndmask_b32_e32 v12, v12, v14, vcc
	v_lshl_add_u64 v[10:11], v[10:11], 4, v[12:13]
	global_load_dword v14, v[10:11], off sc1
	global_load_dword v15, v[10:11], off offset:4 sc1
	global_load_dword v78, v[10:11], off offset:8 sc1
	s_nop 0
	global_load_dword v10, v[10:11], off offset:12 sc1
	v_cmp_eq_u16_e32 vcc, 2, v5
	s_waitcnt vmcnt(0)
	v_lshlrev_b64 v[10:11], v9, -1
	v_and_b32_e32 v20, 63, v9
	v_and_b32_e32 v12, vcc_hi, v11
	v_and_b32_e32 v25, vcc_lo, v10
	v_cmp_ne_u32_e32 vcc, 63, v20
	v_or_b32_e32 v12, 0x80000000, v12
	v_ffbl_b32_e32 v12, v12
	v_addc_co_u32_e32 v13, vcc, 0, v9, vcc
	v_lshlrev_b32_e32 v21, 2, v13
	v_add_u32_e32 v12, 32, v12
	v_ffbl_b32_e32 v25, v25
	v_min_u32_e32 v12, v25, v12
	v_cmp_lt_u32_e32 vcc, v20, v12
	ds_bpermute_b32 v23, v21, v14
	ds_bpermute_b32 v24, v21, v15
	v_and_b32_e32 v13, 0xff, v78
	ds_bpermute_b32 v22, v21, v13
	s_and_saveexec_b64 s[30:31], vcc
	s_cbranch_execz .LBB445_118
; %bb.117:
	v_mov_b32_e32 v13, 0
	v_cmp_eq_u16_sdwa vcc, v78, v13 src0_sel:BYTE_0 src1_sel:DWORD
	s_waitcnt lgkmcnt(0)
	v_or_b32_e32 v13, v22, v78
	v_and_b32_e32 v78, 1, v13
	v_cndmask_b32_e32 v25, 0, v24, vcc
	v_cndmask_b32_e32 v24, 0, v23, vcc
	v_lshl_add_u64 v[14:15], v[24:25], 0, v[14:15]
	v_and_b32_e32 v13, 1, v13
.LBB445_118:
	s_or_b64 exec, exec, s[30:31]
	v_cmp_gt_u32_e32 vcc, 62, v20
	s_waitcnt lgkmcnt(2)
	v_add_u32_e32 v23, 2, v20
	s_waitcnt lgkmcnt(0)
	v_cndmask_b32_e64 v22, 0, 1, vcc
	v_lshlrev_b32_e32 v22, 1, v22
	v_add_lshl_u32 v22, v22, v9, 2
	ds_bpermute_b32 v25, v22, v14
	ds_bpermute_b32 v26, v22, v15
	ds_bpermute_b32 v24, v22, v13
	v_cmp_le_u32_e32 vcc, v23, v12
	s_and_saveexec_b64 s[48:49], vcc
	s_cbranch_execz .LBB445_120
; %bb.119:
	v_mov_b32_e32 v13, 0
	v_cmp_eq_u16_sdwa vcc, v78, v13 src0_sel:BYTE_0 src1_sel:DWORD
	v_and_b32_e32 v13, 1, v78
	s_waitcnt lgkmcnt(1)
	v_cndmask_b32_e32 v27, 0, v26, vcc
	v_cndmask_b32_e32 v26, 0, v25, vcc
	v_cmp_eq_u32_e32 vcc, 1, v13
	s_waitcnt lgkmcnt(0)
	v_and_b32_e32 v13, 1, v24
	v_cmp_eq_u32_e64 s[30:31], 1, v13
	s_or_b64 s[30:31], vcc, s[30:31]
	v_lshl_add_u64 v[14:15], v[26:27], 0, v[14:15]
	v_cndmask_b32_e64 v78, 0, 1, s[30:31]
	v_cndmask_b32_e64 v13, 0, 1, s[30:31]
.LBB445_120:
	s_or_b64 exec, exec, s[48:49]
	v_cmp_gt_u32_e32 vcc, 60, v20
	s_waitcnt lgkmcnt(2)
	v_add_u32_e32 v25, 4, v20
	s_waitcnt lgkmcnt(0)
	v_cndmask_b32_e64 v24, 0, 1, vcc
	v_lshlrev_b32_e32 v24, 2, v24
	v_add_lshl_u32 v24, v24, v9, 2
	ds_bpermute_b32 v27, v24, v14
	ds_bpermute_b32 v32, v24, v15
	ds_bpermute_b32 v26, v24, v13
	v_cmp_le_u32_e32 vcc, v25, v12
	s_and_saveexec_b64 s[48:49], vcc
	s_cbranch_execz .LBB445_122
; %bb.121:
	v_mov_b32_e32 v13, 0
	v_cmp_eq_u16_sdwa vcc, v78, v13 src0_sel:BYTE_0 src1_sel:DWORD
	v_and_b32_e32 v13, 1, v78
	s_waitcnt lgkmcnt(1)
	v_cndmask_b32_e32 v33, 0, v32, vcc
	v_cndmask_b32_e32 v32, 0, v27, vcc
	v_cmp_eq_u32_e32 vcc, 1, v13
	s_waitcnt lgkmcnt(0)
	v_and_b32_e32 v13, 1, v26
	v_cmp_eq_u32_e64 s[30:31], 1, v13
	s_or_b64 s[30:31], vcc, s[30:31]
	v_lshl_add_u64 v[14:15], v[32:33], 0, v[14:15]
	v_cndmask_b32_e64 v78, 0, 1, s[30:31]
	v_cndmask_b32_e64 v13, 0, 1, s[30:31]
.LBB445_122:
	;; [unrolled: 30-line block ×4, first 2 shown]
	s_or_b64 exec, exec, s[48:49]
	v_cmp_gt_u32_e32 vcc, 32, v20
	s_waitcnt lgkmcnt(1)
	v_add_u32_e32 v76, 32, v20
	s_waitcnt lgkmcnt(0)
	v_cndmask_b32_e64 v60, 0, 1, vcc
	v_lshlrev_b32_e32 v60, 5, v60
	v_add_lshl_u32 v61, v60, v9, 2
	ds_bpermute_b32 v60, v61, v14
	ds_bpermute_b32 v77, v61, v15
	;; [unrolled: 1-line block ×3, first 2 shown]
	v_cmp_le_u32_e32 vcc, v76, v12
	s_and_saveexec_b64 s[48:49], vcc
	s_cbranch_execz .LBB445_128
; %bb.127:
	v_mov_b32_e32 v12, 0
	v_cmp_eq_u16_sdwa vcc, v78, v12 src0_sel:BYTE_0 src1_sel:DWORD
	s_waitcnt lgkmcnt(0)
	v_and_b32_e32 v9, 1, v9
	v_cmp_eq_u32_e64 s[30:31], 1, v9
	v_cndmask_b32_e32 v13, 0, v77, vcc
	v_cndmask_b32_e32 v12, 0, v60, vcc
	v_lshl_add_u64 v[14:15], v[12:13], 0, v[14:15]
	v_and_b32_e32 v12, 1, v78
	v_cmp_eq_u32_e32 vcc, 1, v12
	s_or_b64 s[30:31], vcc, s[30:31]
	v_cndmask_b32_e64 v78, 0, 1, s[30:31]
.LBB445_128:
	s_or_b64 exec, exec, s[48:49]
	s_waitcnt lgkmcnt(0)
	v_mov_b32_e32 v9, 0
	v_mov_b32_e32 v77, 2
	s_branch .LBB445_130
.LBB445_129:                            ;   in Loop: Header=BB445_130 Depth=1
	s_or_b64 exec, exec, s[52:53]
	v_cmp_eq_u16_sdwa vcc, v60, v9 src0_sel:BYTE_0 src1_sel:DWORD
	v_and_b32_e32 v78, 1, v60
	v_subrev_u32_e32 v8, 64, v8
	v_cndmask_b32_e32 v15, 0, v15, vcc
	v_cndmask_b32_e32 v14, 0, v14, vcc
	v_cmp_eq_u32_e32 vcc, 1, v78
	s_or_b64 s[30:31], vcc, s[48:49]
	v_lshl_add_u64 v[14:15], v[14:15], 0, v[12:13]
	v_cndmask_b32_e64 v78, 0, 1, s[30:31]
.LBB445_130:                            ; =>This Loop Header: Depth=1
                                        ;     Child Loop BB445_133 Depth 2
                                        ;       Child Loop BB445_134 Depth 3
	v_cmp_ne_u16_sdwa s[30:31], v5, v77 src0_sel:BYTE_0 src1_sel:DWORD
	v_mov_b32_e32 v60, v78
	v_mov_b64_e32 v[12:13], v[14:15]
	v_cndmask_b32_e64 v5, 0, 1, s[30:31]
	;;#ASMSTART
	;;#ASMEND
	s_nop 0
	v_cmp_ne_u32_e32 vcc, 0, v5
	s_cmp_lg_u64 vcc, exec
	s_cbranch_scc1 .LBB445_149
; %bb.131:                              ;   in Loop: Header=BB445_130 Depth=1
	global_load_ubyte v5, v8, s[40:41] sc1
	s_waitcnt vmcnt(0)
	v_cmp_eq_u16_e32 vcc, 0, v5
	s_and_saveexec_b64 s[30:31], vcc
	s_cbranch_execz .LBB445_137
; %bb.132:                              ;   in Loop: Header=BB445_130 Depth=1
	v_lshl_add_u64 v[14:15], s[40:41], 0, v[8:9]
	s_mov_b32 s3, 1
	s_mov_b64 s[48:49], 0
.LBB445_133:                            ;   Parent Loop BB445_130 Depth=1
                                        ; =>  This Loop Header: Depth=2
                                        ;       Child Loop BB445_134 Depth 3
	s_max_u32 s43, s3, 1
.LBB445_134:                            ;   Parent Loop BB445_130 Depth=1
                                        ;     Parent Loop BB445_133 Depth=2
                                        ; =>    This Inner Loop Header: Depth=3
	s_add_i32 s43, s43, -1
	s_cmp_eq_u32 s43, 0
	s_sleep 1
	s_cbranch_scc0 .LBB445_134
; %bb.135:                              ;   in Loop: Header=BB445_133 Depth=2
	global_load_ubyte v5, v[14:15], off sc1
	s_cmp_lt_u32 s3, 32
	s_cselect_b64 s[52:53], -1, 0
	s_cmp_lg_u64 s[52:53], 0
	s_addc_u32 s3, s3, 0
	s_waitcnt vmcnt(0)
	v_cmp_ne_u16_e32 vcc, 0, v5
	s_or_b64 s[48:49], vcc, s[48:49]
	s_andn2_b64 exec, exec, s[48:49]
	s_cbranch_execnz .LBB445_133
; %bb.136:                              ;   in Loop: Header=BB445_130 Depth=1
	s_or_b64 exec, exec, s[48:49]
.LBB445_137:                            ;   in Loop: Header=BB445_130 Depth=1
	s_or_b64 exec, exec, s[30:31]
	v_mov_b32_e32 v14, s39
	v_mov_b32_e32 v15, s37
	v_cmp_eq_u16_e32 vcc, 1, v5
	v_mov_b32_e32 v78, s36
	s_waitcnt vmcnt(0)
	v_cndmask_b32_e32 v15, v14, v15, vcc
	v_mov_b32_e32 v14, s38
	v_cndmask_b32_e32 v14, v14, v78, vcc
	s_waitcnt lgkmcnt(0)
	v_lshl_add_u64 v[80:81], v[8:9], 4, v[14:15]
	global_load_dword v14, v[80:81], off sc1
	global_load_dword v15, v[80:81], off offset:4 sc1
	global_load_dword v78, v[80:81], off offset:8 sc1
	;; [unrolled: 1-line block ×3, first 2 shown]
	v_cmp_eq_u16_e32 vcc, 2, v5
	s_waitcnt vmcnt(3)
	ds_bpermute_b32 v82, v21, v14
	s_waitcnt vmcnt(0)
	v_and_b32_e32 v79, vcc_hi, v11
	v_and_b32_e32 v80, 0xff, v78
	v_or_b32_e32 v79, 0x80000000, v79
	ds_bpermute_b32 v83, v21, v15
	ds_bpermute_b32 v81, v21, v80
	v_and_b32_e32 v84, vcc_lo, v10
	v_ffbl_b32_e32 v79, v79
	v_add_u32_e32 v79, 32, v79
	v_ffbl_b32_e32 v84, v84
	v_min_u32_e32 v79, v84, v79
	v_cmp_lt_u32_e32 vcc, v20, v79
	s_and_saveexec_b64 s[30:31], vcc
	s_cbranch_execz .LBB445_139
; %bb.138:                              ;   in Loop: Header=BB445_130 Depth=1
	v_cmp_eq_u16_sdwa vcc, v78, v9 src0_sel:BYTE_0 src1_sel:DWORD
	s_waitcnt lgkmcnt(0)
	v_or_b32_e32 v80, v81, v78
	v_and_b32_e32 v78, 1, v80
	v_cndmask_b32_e32 v83, 0, v83, vcc
	v_cndmask_b32_e32 v82, 0, v82, vcc
	v_lshl_add_u64 v[14:15], v[82:83], 0, v[14:15]
	v_and_b32_e32 v80, 1, v80
.LBB445_139:                            ;   in Loop: Header=BB445_130 Depth=1
	s_or_b64 exec, exec, s[30:31]
	s_waitcnt lgkmcnt(2)
	ds_bpermute_b32 v82, v22, v14
	s_waitcnt lgkmcnt(2)
	ds_bpermute_b32 v83, v22, v15
	;; [unrolled: 2-line block ×3, first 2 shown]
	v_and_b32_e32 v84, 1, v78
	v_cmp_le_u32_e32 vcc, v23, v79
	v_cmp_eq_u32_e64 s[48:49], 1, v84
	s_and_saveexec_b64 s[30:31], vcc
	s_cbranch_execz .LBB445_141
; %bb.140:                              ;   in Loop: Header=BB445_130 Depth=1
	v_cmp_eq_u16_sdwa vcc, v78, v9 src0_sel:BYTE_0 src1_sel:DWORD
	s_waitcnt lgkmcnt(0)
	v_and_b32_e32 v78, 1, v81
	v_cndmask_b32_e32 v83, 0, v83, vcc
	v_cndmask_b32_e32 v82, 0, v82, vcc
	v_cmp_eq_u32_e32 vcc, 1, v78
	s_or_b64 s[52:53], s[48:49], vcc
	v_cndmask_b32_e64 v78, 0, 1, s[52:53]
	v_cndmask_b32_e64 v80, 0, 1, s[52:53]
	s_andn2_b64 s[48:49], s[48:49], exec
	s_and_b64 s[52:53], s[52:53], exec
	v_lshl_add_u64 v[14:15], v[82:83], 0, v[14:15]
	s_or_b64 s[48:49], s[48:49], s[52:53]
.LBB445_141:                            ;   in Loop: Header=BB445_130 Depth=1
	s_or_b64 exec, exec, s[30:31]
	s_waitcnt lgkmcnt(2)
	ds_bpermute_b32 v82, v24, v14
	s_waitcnt lgkmcnt(2)
	ds_bpermute_b32 v83, v24, v15
	s_waitcnt lgkmcnt(2)
	ds_bpermute_b32 v81, v24, v80
	v_cmp_le_u32_e32 vcc, v25, v79
	s_and_saveexec_b64 s[52:53], vcc
	s_cbranch_execz .LBB445_143
; %bb.142:                              ;   in Loop: Header=BB445_130 Depth=1
	v_cmp_eq_u16_sdwa vcc, v78, v9 src0_sel:BYTE_0 src1_sel:DWORD
	v_and_b32_e32 v78, 1, v78
	s_andn2_b64 s[48:49], s[48:49], exec
	s_waitcnt lgkmcnt(1)
	v_cndmask_b32_e32 v83, 0, v83, vcc
	v_cndmask_b32_e32 v82, 0, v82, vcc
	v_cmp_eq_u32_e32 vcc, 1, v78
	s_waitcnt lgkmcnt(0)
	v_and_b32_e32 v78, 1, v81
	v_cmp_eq_u32_e64 s[30:31], 1, v78
	s_or_b64 s[30:31], vcc, s[30:31]
	v_lshl_add_u64 v[14:15], v[82:83], 0, v[14:15]
	v_cndmask_b32_e64 v78, 0, 1, s[30:31]
	v_cndmask_b32_e64 v80, 0, 1, s[30:31]
	s_and_b64 s[30:31], s[30:31], exec
	s_or_b64 s[48:49], s[48:49], s[30:31]
.LBB445_143:                            ;   in Loop: Header=BB445_130 Depth=1
	s_or_b64 exec, exec, s[52:53]
	s_waitcnt lgkmcnt(2)
	ds_bpermute_b32 v82, v26, v14
	s_waitcnt lgkmcnt(2)
	ds_bpermute_b32 v83, v26, v15
	s_waitcnt lgkmcnt(2)
	ds_bpermute_b32 v81, v26, v80
	v_cmp_le_u32_e32 vcc, v27, v79
	s_and_saveexec_b64 s[52:53], vcc
	s_cbranch_execz .LBB445_145
; %bb.144:                              ;   in Loop: Header=BB445_130 Depth=1
	v_cmp_eq_u16_sdwa vcc, v78, v9 src0_sel:BYTE_0 src1_sel:DWORD
	v_and_b32_e32 v78, 1, v78
	s_andn2_b64 s[48:49], s[48:49], exec
	s_waitcnt lgkmcnt(1)
	v_cndmask_b32_e32 v83, 0, v83, vcc
	v_cndmask_b32_e32 v82, 0, v82, vcc
	v_cmp_eq_u32_e32 vcc, 1, v78
	s_waitcnt lgkmcnt(0)
	v_and_b32_e32 v78, 1, v81
	v_cmp_eq_u32_e64 s[30:31], 1, v78
	s_or_b64 s[30:31], vcc, s[30:31]
	v_lshl_add_u64 v[14:15], v[82:83], 0, v[14:15]
	v_cndmask_b32_e64 v78, 0, 1, s[30:31]
	v_cndmask_b32_e64 v80, 0, 1, s[30:31]
	s_and_b64 s[30:31], s[30:31], exec
	s_or_b64 s[48:49], s[48:49], s[30:31]
.LBB445_145:                            ;   in Loop: Header=BB445_130 Depth=1
	;; [unrolled: 28-line block ×3, first 2 shown]
	s_or_b64 exec, exec, s[52:53]
	s_waitcnt lgkmcnt(0)
	ds_bpermute_b32 v81, v61, v14
	ds_bpermute_b32 v82, v61, v15
	;; [unrolled: 1-line block ×3, first 2 shown]
	v_cmp_le_u32_e32 vcc, v76, v79
	s_and_saveexec_b64 s[52:53], vcc
	s_cbranch_execz .LBB445_129
; %bb.148:                              ;   in Loop: Header=BB445_130 Depth=1
	v_cmp_eq_u16_sdwa vcc, v78, v9 src0_sel:BYTE_0 src1_sel:DWORD
	v_and_b32_e32 v78, 1, v78
	s_andn2_b64 s[48:49], s[48:49], exec
	s_waitcnt lgkmcnt(1)
	v_cndmask_b32_e32 v83, 0, v82, vcc
	v_cndmask_b32_e32 v82, 0, v81, vcc
	v_cmp_eq_u32_e32 vcc, 1, v78
	s_waitcnt lgkmcnt(0)
	v_and_b32_e32 v78, 1, v80
	v_cmp_eq_u32_e64 s[30:31], 1, v78
	s_or_b64 s[30:31], vcc, s[30:31]
	s_and_b64 s[30:31], s[30:31], exec
	v_lshl_add_u64 v[14:15], v[82:83], 0, v[14:15]
	s_or_b64 s[48:49], s[48:49], s[30:31]
	s_branch .LBB445_129
.LBB445_149:                            ;   in Loop: Header=BB445_130 Depth=1
                                        ; implicit-def: $vgpr78
                                        ; implicit-def: $vgpr14_vgpr15
                                        ; implicit-def: $vgpr5
	s_cbranch_execz .LBB445_130
; %bb.150:
	s_and_saveexec_b64 s[30:31], s[26:27]
	s_cbranch_execz .LBB445_152
; %bb.151:
	s_mov_b32 s3, 0
	v_mov_b32_e32 v5, 0
	s_add_i32 s2, s2, 64
	v_cmp_eq_u32_sdwa vcc, v4, v5 src0_sel:BYTE_0 src1_sel:DWORD
	s_lshl_b64 s[36:37], s[2:3], 4
	v_and_b32_e32 v4, 1, v4
	v_cndmask_b32_e32 v9, 0, v13, vcc
	v_cndmask_b32_e32 v8, 0, v12, vcc
	s_add_u32 s36, s38, s36
	v_lshl_add_u64 v[2:3], v[8:9], 0, v[2:3]
	v_and_b32_e32 v8, 1, v60
	v_cmp_eq_u32_e32 vcc, 1, v4
	s_addc_u32 s37, s39, s37
	s_nop 0
	v_cndmask_b32_e64 v4, v8, 1, vcc
	global_store_dword v5, v2, s[36:37] sc1
	global_store_dword v5, v3, s[36:37] offset:4 sc1
	global_store_dword v5, v4, s[36:37] offset:8 sc1
	global_store_dword v5, v5, s[36:37] offset:12 sc1
	v_mov_b32_e32 v2, s2
	v_mov_b32_e32 v3, 2
	s_waitcnt vmcnt(0) lgkmcnt(0)
	global_store_byte v2, v3, s[40:41] sc1
.LBB445_152:
	s_or_b64 exec, exec, s[30:31]
	v_cmp_eq_u32_e32 vcc, 0, v0
	s_and_b64 exec, exec, vcc
	s_cbranch_execz .LBB445_154
; %bb.153:
	v_mov_b32_e32 v2, 0
	ds_write_b64 v2, v[12:13] offset:48
	ds_write_b8 v2, v60 offset:56
.LBB445_154:
	s_or_b64 exec, exec, s[46:47]
	v_mov_b32_e32 v8, 0
	s_waitcnt lgkmcnt(0)
	s_barrier
	ds_read_b64 v[2:3], v8 offset:48
	v_cndmask_b32_e64 v9, v19, v16, s[26:27]
	v_cmp_eq_u16_sdwa vcc, v9, v8 src0_sel:BYTE_0 src1_sel:DWORD
	v_cndmask_b32_e64 v4, v17, v6, s[26:27]
	v_cndmask_b32_e64 v5, v18, v7, s[26:27]
	s_waitcnt lgkmcnt(0)
	v_cndmask_b32_e32 v7, 0, v3, vcc
	v_cndmask_b32_e32 v6, 0, v2, vcc
	v_lshl_add_u64 v[4:5], v[4:5], 0, v[6:7]
	v_cmp_eq_u32_e32 vcc, 0, v0
	s_nop 1
	v_cndmask_b32_e32 v3, v5, v3, vcc
	v_cndmask_b32_e32 v2, v4, v2, vcc
	v_cmp_eq_u16_sdwa vcc, v1, v8 src0_sel:BYTE_0 src1_sel:DWORD
	s_nop 1
	v_cndmask_b32_e32 v5, 0, v3, vcc
	v_cndmask_b32_e32 v4, 0, v2, vcc
	v_lshl_add_u64 v[4:5], v[4:5], 0, v[54:55]
	v_cndmask_b32_e64 v7, 0, v5, s[28:29]
	v_cndmask_b32_e64 v6, 0, v4, s[28:29]
	v_lshl_add_u64 v[6:7], v[6:7], 0, v[30:31]
	v_cndmask_b32_e64 v9, 0, v7, s[4:5]
	v_cndmask_b32_e64 v8, 0, v6, s[4:5]
	v_lshl_add_u64 v[8:9], v[8:9], 0, v[50:51]
	v_cndmask_b32_e64 v11, 0, v9, s[6:7]
	v_cndmask_b32_e64 v10, 0, v8, s[6:7]
	v_lshl_add_u64 v[10:11], v[10:11], 0, v[46:47]
	v_cndmask_b32_e64 v13, 0, v11, s[8:9]
	v_cndmask_b32_e64 v12, 0, v10, s[8:9]
	v_lshl_add_u64 v[12:13], v[12:13], 0, v[48:49]
	v_cndmask_b32_e64 v15, 0, v13, s[10:11]
	v_cndmask_b32_e64 v14, 0, v12, s[10:11]
	v_lshl_add_u64 v[14:15], v[14:15], 0, v[42:43]
	v_cndmask_b32_e64 v17, 0, v15, s[12:13]
	v_cndmask_b32_e64 v16, 0, v14, s[12:13]
	v_lshl_add_u64 v[16:17], v[16:17], 0, v[44:45]
	v_cndmask_b32_e64 v19, 0, v17, s[14:15]
	v_cndmask_b32_e64 v18, 0, v16, s[14:15]
	v_lshl_add_u64 v[18:19], v[18:19], 0, v[38:39]
	v_cndmask_b32_e64 v21, 0, v19, s[16:17]
	v_cndmask_b32_e64 v20, 0, v18, s[16:17]
	v_lshl_add_u64 v[20:21], v[20:21], 0, v[40:41]
	v_cndmask_b32_e64 v23, 0, v21, s[18:19]
	v_cndmask_b32_e64 v22, 0, v20, s[18:19]
	v_lshl_add_u64 v[22:23], v[22:23], 0, v[52:53]
	v_cndmask_b32_e64 v25, 0, v23, s[20:21]
	v_cndmask_b32_e64 v24, 0, v22, s[20:21]
	v_lshl_add_u64 v[24:25], v[24:25], 0, v[36:37]
	v_cndmask_b32_e64 v27, 0, v25, s[22:23]
	v_cndmask_b32_e64 v26, 0, v24, s[22:23]
	v_lshl_add_u64 v[26:27], v[26:27], 0, v[56:57]
	v_cndmask_b32_e64 v61, 0, v27, s[24:25]
	v_cndmask_b32_e64 v60, 0, v26, s[24:25]
	s_branch .LBB445_195
.LBB445_155:
	s_or_b64 exec, exec, s[30:31]
                                        ; implicit-def: $vgpr34_vgpr35
	s_and_saveexec_b64 s[30:31], s[28:29]
	s_cbranch_execz .LBB445_33
.LBB445_156:
	v_mov_b32_e32 v31, 0
	v_lshl_add_u64 v[34:35], s[46:47], 0, v[30:31]
	flat_load_dwordx2 v[34:35], v[34:35] offset:2048
	s_or_b64 exec, exec, s[30:31]
                                        ; implicit-def: $vgpr36_vgpr37
	s_and_saveexec_b64 s[28:29], s[4:5]
	s_cbranch_execnz .LBB445_34
.LBB445_157:
	s_or_b64 exec, exec, s[28:29]
                                        ; implicit-def: $vgpr38_vgpr39
	s_and_saveexec_b64 s[4:5], s[6:7]
	s_cbranch_execz .LBB445_35
.LBB445_158:
	v_lshlrev_b32_e32 v38, 3, v40
	v_mov_b32_e32 v39, 0
	v_lshl_add_u64 v[38:39], s[46:47], 0, v[38:39]
	flat_load_dwordx2 v[38:39], v[38:39]
	s_or_b64 exec, exec, s[4:5]
                                        ; implicit-def: $vgpr40_vgpr41
	s_and_saveexec_b64 s[4:5], s[8:9]
	s_cbranch_execnz .LBB445_36
.LBB445_159:
	s_or_b64 exec, exec, s[4:5]
                                        ; implicit-def: $vgpr42_vgpr43
	s_and_saveexec_b64 s[4:5], s[10:11]
	s_cbranch_execz .LBB445_37
.LBB445_160:
	v_lshlrev_b32_e32 v42, 3, v44
	v_mov_b32_e32 v43, 0
	v_lshl_add_u64 v[42:43], s[46:47], 0, v[42:43]
	flat_load_dwordx2 v[42:43], v[42:43]
	s_or_b64 exec, exec, s[4:5]
                                        ; implicit-def: $vgpr44_vgpr45
	s_and_saveexec_b64 s[4:5], s[12:13]
	s_cbranch_execnz .LBB445_38
.LBB445_161:
	s_or_b64 exec, exec, s[4:5]
                                        ; implicit-def: $vgpr46_vgpr47
	s_and_saveexec_b64 s[4:5], s[14:15]
	s_cbranch_execz .LBB445_39
.LBB445_162:
	v_lshlrev_b32_e32 v46, 3, v48
	v_mov_b32_e32 v47, 0
	v_lshl_add_u64 v[46:47], s[46:47], 0, v[46:47]
	flat_load_dwordx2 v[46:47], v[46:47]
	s_or_b64 exec, exec, s[4:5]
                                        ; implicit-def: $vgpr48_vgpr49
	s_and_saveexec_b64 s[4:5], s[16:17]
	s_cbranch_execnz .LBB445_40
.LBB445_163:
	s_or_b64 exec, exec, s[4:5]
                                        ; implicit-def: $vgpr50_vgpr51
	s_and_saveexec_b64 s[4:5], s[18:19]
	s_cbranch_execz .LBB445_41
.LBB445_164:
	v_lshlrev_b32_e32 v50, 3, v52
	v_mov_b32_e32 v51, 0
	v_lshl_add_u64 v[50:51], s[46:47], 0, v[50:51]
	flat_load_dwordx2 v[50:51], v[50:51]
	s_or_b64 exec, exec, s[4:5]
                                        ; implicit-def: $vgpr52_vgpr53
	s_and_saveexec_b64 s[4:5], s[20:21]
	s_cbranch_execnz .LBB445_42
.LBB445_165:
	s_or_b64 exec, exec, s[4:5]
                                        ; implicit-def: $vgpr54_vgpr55
	s_and_saveexec_b64 s[4:5], s[22:23]
	s_cbranch_execz .LBB445_43
.LBB445_166:
	v_lshlrev_b32_e32 v54, 3, v56
	v_mov_b32_e32 v55, 0
	v_lshl_add_u64 v[54:55], s[46:47], 0, v[54:55]
	flat_load_dwordx2 v[54:55], v[54:55]
	s_or_b64 exec, exec, s[4:5]
                                        ; implicit-def: $vgpr56_vgpr57
	s_and_saveexec_b64 s[4:5], s[24:25]
	s_cbranch_execz .LBB445_45
	s_branch .LBB445_44
.LBB445_167:
                                        ; implicit-def: $vgpr2_vgpr3
                                        ; implicit-def: $vgpr60_vgpr61
                                        ; implicit-def: $vgpr26_vgpr27
                                        ; implicit-def: $vgpr24_vgpr25
                                        ; implicit-def: $vgpr20_vgpr21
                                        ; implicit-def: $vgpr16_vgpr17
                                        ; implicit-def: $vgpr12_vgpr13
                                        ; implicit-def: $vgpr8_vgpr9
	s_cbranch_execz .LBB445_195
; %bb.168:
	s_cmp_lg_u64 s[58:59], 0
	s_cselect_b32 s3, s55, 0
	s_cselect_b32 s2, s54, 0
	s_cmp_eq_u64 s[2:3], 0
	v_mov_b64_e32 v[32:33], s[56:57]
	s_cbranch_scc1 .LBB445_170
; %bb.169:
	v_mov_b32_e32 v2, 0
	global_load_dwordx2 v[32:33], v2, s[2:3]
.LBB445_170:
	v_mov_b32_e32 v4, 0
	v_cmp_eq_u16_sdwa vcc, v64, v4 src0_sel:BYTE_0 src1_sel:DWORD
	v_cmp_eq_u16_sdwa s[2:3], v65, v4 src0_sel:BYTE_0 src1_sel:DWORD
	v_cmp_eq_u16_sdwa s[4:5], v66, v4 src0_sel:BYTE_0 src1_sel:DWORD
	v_cndmask_b32_e32 v3, 0, v55, vcc
	v_cndmask_b32_e32 v2, 0, v54, vcc
	v_lshl_add_u64 v[2:3], v[2:3], 0, v[30:31]
	v_cndmask_b32_e64 v3, 0, v3, s[2:3]
	v_cndmask_b32_e64 v2, 0, v2, s[2:3]
	v_lshl_add_u64 v[2:3], v[2:3], 0, v[50:51]
	v_cndmask_b32_e64 v3, 0, v3, s[4:5]
	v_cndmask_b32_e64 v2, 0, v2, s[4:5]
	v_lshl_add_u64 v[2:3], v[2:3], 0, v[46:47]
	v_cmp_eq_u16_sdwa s[6:7], v68, v4 src0_sel:BYTE_0 src1_sel:DWORD
	v_cmp_eq_u16_sdwa s[8:9], v69, v4 src0_sel:BYTE_0 src1_sel:DWORD
	;; [unrolled: 1-line block ×3, first 2 shown]
	v_cndmask_b32_e64 v3, 0, v3, s[6:7]
	v_cndmask_b32_e64 v2, 0, v2, s[6:7]
	v_lshl_add_u64 v[2:3], v[2:3], 0, v[48:49]
	v_cndmask_b32_e64 v3, 0, v3, s[8:9]
	v_cndmask_b32_e64 v2, 0, v2, s[8:9]
	v_lshl_add_u64 v[2:3], v[2:3], 0, v[42:43]
	;; [unrolled: 3-line block ×3, first 2 shown]
	v_cmp_eq_u16_sdwa s[12:13], v71, v4 src0_sel:BYTE_0 src1_sel:DWORD
	v_cmp_eq_u16_sdwa s[14:15], v72, v4 src0_sel:BYTE_0 src1_sel:DWORD
	;; [unrolled: 1-line block ×3, first 2 shown]
	v_cndmask_b32_e64 v3, 0, v3, s[12:13]
	v_cndmask_b32_e64 v2, 0, v2, s[12:13]
	v_lshl_add_u64 v[2:3], v[2:3], 0, v[38:39]
	v_cndmask_b32_e64 v3, 0, v3, s[14:15]
	v_cndmask_b32_e64 v2, 0, v2, s[14:15]
	v_cmp_eq_u16_sdwa s[18:19], v74, v4 src0_sel:BYTE_0 src1_sel:DWORD
	v_cmp_eq_u16_sdwa s[20:21], v75, v4 src0_sel:BYTE_0 src1_sel:DWORD
	;; [unrolled: 1-line block ×4, first 2 shown]
	v_or_b32_e32 v4, v63, v74
	v_lshl_add_u64 v[2:3], v[2:3], 0, v[40:41]
	v_or_b32_e32 v4, v4, v73
	v_cndmask_b32_e64 v3, 0, v3, s[16:17]
	v_cndmask_b32_e64 v2, 0, v2, s[16:17]
	v_or_b32_e32 v4, v4, v72
	v_lshl_add_u64 v[2:3], v[2:3], 0, v[52:53]
	v_or_b32_e32 v4, v4, v71
	v_cndmask_b32_e64 v3, 0, v3, s[18:19]
	v_cndmask_b32_e64 v2, 0, v2, s[18:19]
	v_or_b32_e32 v4, v4, v70
	v_lshl_add_u64 v[2:3], v[2:3], 0, v[36:37]
	v_or_b32_e32 v4, v4, v69
	v_cndmask_b32_e64 v3, 0, v3, s[20:21]
	v_cndmask_b32_e64 v2, 0, v2, s[20:21]
	v_or_b32_e32 v4, v4, v68
	v_lshl_add_u64 v[2:3], v[2:3], 0, v[56:57]
	v_or_b32_e32 v4, v4, v66
	v_cndmask_b32_e64 v3, 0, v3, s[22:23]
	v_cndmask_b32_e64 v2, 0, v2, s[22:23]
	v_or_b32_e32 v4, v4, v65
	v_lshl_add_u64 v[2:3], v[2:3], 0, v[34:35]
	v_or_b32_e32 v4, v4, v64
	v_cndmask_b32_e64 v3, 0, v3, s[24:25]
	v_cndmask_b32_e64 v2, 0, v2, s[24:25]
	v_or_b32_e32 v4, v4, v1
	v_mbcnt_hi_u32_b32 v6, -1, v62
	v_lshl_add_u64 v[2:3], v[2:3], 0, v[28:29]
	v_and_b32_e32 v7, 1, v4
	v_and_b32_e32 v5, 15, v6
	v_cmp_eq_u32_e64 s[24:25], 1, v7
	v_mov_b32_dpp v9, v2 row_shr:1 row_mask:0xf bank_mask:0xf
	v_mov_b32_dpp v10, v3 row_shr:1 row_mask:0xf bank_mask:0xf
	;; [unrolled: 1-line block ×3, first 2 shown]
	v_cmp_ne_u32_e64 s[26:27], 0, v5
	v_mov_b32_e32 v4, v7
	s_and_saveexec_b64 s[28:29], s[26:27]
; %bb.171:
	v_and_b32_e32 v4, 1, v8
	v_cndmask_b32_e64 v11, v10, 0, s[24:25]
	v_cndmask_b32_e64 v10, v9, 0, s[24:25]
	v_or_b32_e32 v7, v4, v7
	v_lshl_add_u64 v[2:3], v[10:11], 0, v[2:3]
	v_and_b32_e32 v4, 0xffff, v7
; %bb.172:
	s_or_b64 exec, exec, s[28:29]
	v_mov_b32_dpp v9, v2 row_shr:2 row_mask:0xf bank_mask:0xf
	v_mov_b32_dpp v10, v3 row_shr:2 row_mask:0xf bank_mask:0xf
	;; [unrolled: 1-line block ×3, first 2 shown]
	v_cmp_lt_u32_e64 s[24:25], 1, v5
	s_and_saveexec_b64 s[28:29], s[24:25]
; %bb.173:
	v_cmp_eq_u16_e64 s[24:25], 0, v7
	v_and_b32_e32 v4, 1, v7
	s_nop 0
	v_cndmask_b32_e64 v11, 0, v10, s[24:25]
	v_cndmask_b32_e64 v10, 0, v9, s[24:25]
	v_cmp_eq_u32_e64 s[24:25], 1, v4
	v_and_b32_e32 v4, 1, v8
	v_cmp_eq_u32_e64 s[26:27], 1, v4
	s_or_b64 s[24:25], s[24:25], s[26:27]
	v_lshl_add_u64 v[2:3], v[10:11], 0, v[2:3]
	v_cndmask_b32_e64 v7, 0, 1, s[24:25]
	v_cndmask_b32_e64 v4, 0, 1, s[24:25]
; %bb.174:
	s_or_b64 exec, exec, s[28:29]
	v_mov_b32_dpp v9, v2 row_shr:4 row_mask:0xf bank_mask:0xf
	v_mov_b32_dpp v10, v3 row_shr:4 row_mask:0xf bank_mask:0xf
	;; [unrolled: 1-line block ×3, first 2 shown]
	v_cmp_lt_u32_e64 s[24:25], 3, v5
	s_and_saveexec_b64 s[28:29], s[24:25]
; %bb.175:
	v_cmp_eq_u16_e64 s[24:25], 0, v7
	v_and_b32_e32 v4, 1, v7
	s_nop 0
	v_cndmask_b32_e64 v11, 0, v10, s[24:25]
	v_cndmask_b32_e64 v10, 0, v9, s[24:25]
	v_cmp_eq_u32_e64 s[24:25], 1, v4
	v_and_b32_e32 v4, 1, v8
	v_cmp_eq_u32_e64 s[26:27], 1, v4
	s_or_b64 s[24:25], s[24:25], s[26:27]
	v_lshl_add_u64 v[2:3], v[10:11], 0, v[2:3]
	v_cndmask_b32_e64 v7, 0, 1, s[24:25]
	v_cndmask_b32_e64 v4, 0, 1, s[24:25]
; %bb.176:
	s_or_b64 exec, exec, s[28:29]
	v_mov_b32_dpp v9, v2 row_shr:8 row_mask:0xf bank_mask:0xf
	v_mov_b32_dpp v10, v3 row_shr:8 row_mask:0xf bank_mask:0xf
	v_mov_b32_dpp v8, v4 row_shr:8 row_mask:0xf bank_mask:0xf
	v_cmp_lt_u32_e64 s[24:25], 7, v5
	s_and_saveexec_b64 s[28:29], s[24:25]
; %bb.177:
	v_cmp_eq_u16_e64 s[24:25], 0, v7
	s_nop 1
	v_cndmask_b32_e64 v5, 0, v10, s[24:25]
	v_cndmask_b32_e64 v4, 0, v9, s[24:25]
	v_lshl_add_u64 v[2:3], v[4:5], 0, v[2:3]
	v_and_b32_e32 v4, 1, v7
	v_cmp_eq_u32_e64 s[24:25], 1, v4
	v_and_b32_e32 v4, 1, v8
	v_cmp_eq_u32_e64 s[26:27], 1, v4
	s_or_b64 s[24:25], s[24:25], s[26:27]
	v_cndmask_b32_e64 v7, 0, 1, s[24:25]
	v_cndmask_b32_e64 v4, 0, 1, s[24:25]
; %bb.178:
	s_or_b64 exec, exec, s[28:29]
	v_and_b32_e32 v10, 16, v6
	v_mov_b32_dpp v8, v2 row_bcast:15 row_mask:0xf bank_mask:0xf
	v_mov_b32_dpp v9, v3 row_bcast:15 row_mask:0xf bank_mask:0xf
	;; [unrolled: 1-line block ×3, first 2 shown]
	v_cmp_ne_u32_e64 s[24:25], 0, v10
	s_and_saveexec_b64 s[28:29], s[24:25]
; %bb.179:
	v_cmp_eq_u16_e64 s[24:25], 0, v7
	v_and_b32_e32 v4, 1, v7
	s_nop 0
	v_cndmask_b32_e64 v9, 0, v9, s[24:25]
	v_cndmask_b32_e64 v8, 0, v8, s[24:25]
	v_cmp_eq_u32_e64 s[24:25], 1, v4
	v_and_b32_e32 v4, 1, v5
	v_cmp_eq_u32_e64 s[26:27], 1, v4
	s_or_b64 s[24:25], s[24:25], s[26:27]
	v_lshl_add_u64 v[2:3], v[8:9], 0, v[2:3]
	v_cndmask_b32_e64 v7, 0, 1, s[24:25]
	v_cndmask_b32_e64 v4, 0, 1, s[24:25]
; %bb.180:
	s_or_b64 exec, exec, s[28:29]
	v_mov_b32_dpp v5, v2 row_bcast:31 row_mask:0xf bank_mask:0xf
	v_mov_b32_dpp v8, v3 row_bcast:31 row_mask:0xf bank_mask:0xf
	;; [unrolled: 1-line block ×3, first 2 shown]
	v_cmp_lt_u32_e64 s[24:25], 31, v6
	s_and_saveexec_b64 s[28:29], s[24:25]
; %bb.181:
	v_cmp_eq_u16_e64 s[24:25], 0, v7
	v_and_b32_e32 v4, 1, v4
	v_cmp_eq_u32_e64 s[26:27], 1, v4
	v_cndmask_b32_e64 v9, 0, v8, s[24:25]
	v_cndmask_b32_e64 v8, 0, v5, s[24:25]
	v_and_b32_e32 v5, 1, v7
	v_cmp_eq_u32_e64 s[24:25], 1, v5
	s_or_b64 s[24:25], s[24:25], s[26:27]
	v_lshl_add_u64 v[2:3], v[8:9], 0, v[2:3]
	v_cndmask_b32_e64 v7, 0, 1, s[24:25]
; %bb.182:
	s_or_b64 exec, exec, s[28:29]
	v_or_b32_e32 v4, 63, v0
	v_lshrrev_b32_e32 v8, 6, v0
	v_cmp_eq_u32_e64 s[24:25], v4, v0
	s_and_saveexec_b64 s[26:27], s[24:25]
	s_cbranch_execz .LBB445_184
; %bb.183:
	v_lshlrev_b32_e32 v4, 4, v8
	ds_write_b64 v4, v[2:3]
	ds_write_b8 v4, v7 offset:8
.LBB445_184:
	s_or_b64 exec, exec, s[26:27]
	v_cmp_gt_u32_e64 s[24:25], 4, v0
	s_waitcnt lgkmcnt(0)
	s_barrier
	s_and_saveexec_b64 s[28:29], s[24:25]
	s_cbranch_execz .LBB445_190
; %bb.185:
	v_lshlrev_b32_e32 v9, 4, v0
	ds_read_b64 v[4:5], v9
	ds_read_b32 v10, v9 offset:8
	v_and_b32_e32 v11, 3, v6
	v_cmp_ne_u32_e64 s[24:25], 0, v11
	s_waitcnt lgkmcnt(1)
	v_mov_b32_dpp v15, v4 row_shr:1 row_mask:0xf bank_mask:0xf
	v_mov_b32_dpp v16, v5 row_shr:1 row_mask:0xf bank_mask:0xf
	s_waitcnt lgkmcnt(0)
	v_mov_b32_dpp v14, v10 row_shr:1 row_mask:0xf bank_mask:0xf
	v_mov_b32_e32 v12, v10
	v_mov_b32_e32 v13, v10
	s_and_saveexec_b64 s[26:27], s[24:25]
; %bb.186:
	v_mov_b32_e32 v12, 0
	v_cmp_eq_u16_sdwa s[24:25], v10, v12 src0_sel:BYTE_0 src1_sel:DWORD
	s_nop 1
	v_cndmask_b32_e64 v13, 0, v16, s[24:25]
	v_cndmask_b32_e64 v12, 0, v15, s[24:25]
	v_lshl_add_u64 v[4:5], v[12:13], 0, v[4:5]
	v_or_b32_e32 v13, v14, v10
	v_and_b32_e32 v12, 1, v13
	v_and_b32_e32 v13, 1, v13
	s_movk_i32 s24, 0xff00
	v_and_or_b32 v10, v10, s24, v13
; %bb.187:
	s_or_b64 exec, exec, s[26:27]
	v_mov_b32_dpp v14, v4 row_shr:2 row_mask:0xf bank_mask:0xf
	v_mov_b32_dpp v15, v5 row_shr:2 row_mask:0xf bank_mask:0xf
	;; [unrolled: 1-line block ×3, first 2 shown]
	v_cmp_lt_u32_e64 s[24:25], 1, v11
	s_and_saveexec_b64 s[30:31], s[24:25]
; %bb.188:
	v_mov_b32_e32 v11, 0
	v_cmp_eq_u16_sdwa s[24:25], v13, v11 src0_sel:BYTE_0 src1_sel:DWORD
	v_and_b32_e32 v11, 1, v13
	v_and_b32_e32 v10, 1, v10
	v_cndmask_b32_e64 v15, 0, v15, s[24:25]
	v_cndmask_b32_e64 v14, 0, v14, s[24:25]
	v_cmp_eq_u32_e64 s[24:25], 1, v11
	v_cmp_eq_u32_e64 s[26:27], 1, v10
	s_or_b64 s[24:25], s[24:25], s[26:27]
	v_lshl_add_u64 v[4:5], v[14:15], 0, v[4:5]
	v_cndmask_b32_e64 v12, 0, 1, s[24:25]
; %bb.189:
	s_or_b64 exec, exec, s[30:31]
	ds_write_b64 v9, v[4:5]
	ds_write_b8 v9, v12 offset:8
.LBB445_190:
	s_or_b64 exec, exec, s[28:29]
	v_cmp_lt_u32_e64 s[24:25], 63, v0
	s_waitcnt vmcnt(0)
	v_mov_b64_e32 v[4:5], v[32:33]
	s_waitcnt lgkmcnt(0)
	s_barrier
	s_and_saveexec_b64 s[26:27], s[24:25]
	s_cbranch_execz .LBB445_192
; %bb.191:
	v_lshl_add_u32 v4, v8, 4, -16
	ds_read_u8 v8, v4 offset:8
	ds_read_b64 v[4:5], v4
	s_waitcnt lgkmcnt(1)
	v_cmp_eq_u16_e64 s[24:25], 0, v8
	s_nop 1
	v_cndmask_b32_e64 v9, 0, v33, s[24:25]
	v_cndmask_b32_e64 v8, 0, v32, s[24:25]
	s_waitcnt lgkmcnt(0)
	v_lshl_add_u64 v[4:5], v[8:9], 0, v[4:5]
.LBB445_192:
	s_or_b64 exec, exec, s[26:27]
	v_cmp_eq_u16_e64 s[24:25], 0, v7
	v_add_u32_e32 v7, -1, v6
	v_mov_b32_e32 v28, 0
	v_cndmask_b32_e64 v9, 0, v5, s[24:25]
	v_cndmask_b32_e64 v8, 0, v4, s[24:25]
	v_lshl_add_u64 v[2:3], v[8:9], 0, v[2:3]
	v_and_b32_e32 v8, 64, v6
	v_cmp_lt_i32_e64 s[24:25], v7, v8
	v_cmp_eq_u16_sdwa s[26:27], v1, v28 src0_sel:BYTE_0 src1_sel:DWORD
	s_nop 0
	v_cndmask_b32_e64 v7, v7, v6, s[24:25]
	v_lshlrev_b32_e32 v7, 2, v7
	ds_bpermute_b32 v3, v7, v3
	ds_bpermute_b32 v2, v7, v2
	v_cmp_eq_u32_e64 s[24:25], 0, v6
	s_waitcnt lgkmcnt(1)
	s_nop 0
	v_cndmask_b32_e64 v3, v3, v5, s[24:25]
	s_waitcnt lgkmcnt(0)
	v_cndmask_b32_e64 v2, v2, v4, s[24:25]
	v_cmp_eq_u32_e64 s[24:25], 0, v0
	s_nop 1
	v_cndmask_b32_e64 v4, v2, v32, s[24:25]
	v_cndmask_b32_e64 v5, v3, v33, s[24:25]
	;; [unrolled: 1-line block ×4, first 2 shown]
	v_lshl_add_u64 v[4:5], v[4:5], 0, v[54:55]
	v_cndmask_b32_e32 v7, 0, v5, vcc
	v_cndmask_b32_e32 v6, 0, v4, vcc
	v_lshl_add_u64 v[6:7], v[6:7], 0, v[30:31]
	v_cndmask_b32_e64 v9, 0, v7, s[2:3]
	v_cndmask_b32_e64 v8, 0, v6, s[2:3]
	v_lshl_add_u64 v[8:9], v[8:9], 0, v[50:51]
	v_cndmask_b32_e64 v11, 0, v9, s[4:5]
	v_cndmask_b32_e64 v10, 0, v8, s[4:5]
	;; [unrolled: 3-line block ×11, first 2 shown]
	s_and_saveexec_b64 s[2:3], s[24:25]
	s_cbranch_execz .LBB445_194
; %bb.193:
	ds_read_u8 v1, v28 offset:56
	ds_read_b64 v[2:3], v28 offset:48
	s_waitcnt lgkmcnt(1)
	v_cmp_eq_u32_e32 vcc, 0, v1
	s_nop 1
	v_cndmask_b32_e32 v31, 0, v33, vcc
	v_cndmask_b32_e32 v30, 0, v32, vcc
	s_waitcnt lgkmcnt(0)
	v_lshl_add_u64 v[2:3], v[30:31], 0, v[2:3]
	global_store_dword v28, v2, s[38:39] offset:1024 sc1
	global_store_dword v28, v3, s[38:39] offset:1028 sc1
	;; [unrolled: 1-line block ×4, first 2 shown]
	v_mov_b32_e32 v1, 2
	v_mov_b64_e32 v[2:3], v[32:33]
	s_waitcnt vmcnt(0)
	global_store_byte v28, v1, s[40:41] offset:64 sc1
.LBB445_194:
	s_or_b64 exec, exec, s[2:3]
.LBB445_195:
	s_add_u32 s2, s50, s34
	s_addc_u32 s3, s51, s35
	s_add_u32 s2, s2, s44
	v_mul_u32_u24_e32 v1, 14, v0
	v_lshl_add_u64 v[28:29], v[60:61], 0, v[34:35]
	s_addc_u32 s3, s3, s45
	s_and_b64 vcc, exec, s[0:1]
	v_lshlrev_b32_e32 v60, 3, v1
	s_cbranch_vccz .LBB445_223
; %bb.196:
	s_movk_i32 s0, 0xff98
	v_mad_i32_i24 v1, v0, s0, v60
	s_barrier
	ds_write_b128 v60, v[2:5]
	ds_write_b128 v60, v[6:9] offset:16
	ds_write_b128 v60, v[10:13] offset:32
	;; [unrolled: 1-line block ×6, first 2 shown]
	s_waitcnt lgkmcnt(0)
	s_barrier
	ds_read2st64_b64 v[52:55], v1 offset0:4 offset1:8
	ds_read2st64_b64 v[48:51], v1 offset0:12 offset1:16
	;; [unrolled: 1-line block ×6, first 2 shown]
	ds_read_b64 v[30:31], v1 offset:26624
	s_add_i32 s33, s33, s42
	v_mov_b32_e32 v59, 0
	v_lshl_add_u64 v[56:57], s[2:3], 0, v[58:59]
	v_cmp_gt_u32_e32 vcc, s33, v0
	s_and_saveexec_b64 s[0:1], vcc
	s_cbranch_execz .LBB445_198
; %bb.197:
	v_mul_i32_i24_e32 v1, 0xffffff98, v0
	v_add_u32_e32 v1, v60, v1
	ds_read_b64 v[62:63], v1
	s_waitcnt lgkmcnt(0)
	flat_store_dwordx2 v[56:57], v[62:63]
.LBB445_198:
	s_or_b64 exec, exec, s[0:1]
	v_or_b32_e32 v1, 0x100, v0
	v_cmp_gt_u32_e32 vcc, s33, v1
	s_and_saveexec_b64 s[0:1], vcc
	s_cbranch_execz .LBB445_200
; %bb.199:
	s_waitcnt lgkmcnt(0)
	flat_store_dwordx2 v[56:57], v[52:53] offset:2048
.LBB445_200:
	s_or_b64 exec, exec, s[0:1]
	v_or_b32_e32 v1, 0x200, v0
	v_cmp_gt_u32_e32 vcc, s33, v1
	s_and_saveexec_b64 s[0:1], vcc
	s_cbranch_execz .LBB445_202
; %bb.201:
	s_waitcnt lgkmcnt(0)
	v_add_co_u32_e32 v52, vcc, 0x1000, v56
	s_nop 1
	v_addc_co_u32_e32 v53, vcc, 0, v57, vcc
	flat_store_dwordx2 v[52:53], v[54:55]
.LBB445_202:
	s_or_b64 exec, exec, s[0:1]
	v_or_b32_e32 v1, 0x300, v0
	v_cmp_gt_u32_e32 vcc, s33, v1
	s_and_saveexec_b64 s[0:1], vcc
	s_cbranch_execz .LBB445_204
; %bb.203:
	s_waitcnt lgkmcnt(0)
	v_add_co_u32_e32 v52, vcc, 0x1000, v56
	s_nop 1
	v_addc_co_u32_e32 v53, vcc, 0, v57, vcc
	flat_store_dwordx2 v[52:53], v[48:49] offset:2048
.LBB445_204:
	s_or_b64 exec, exec, s[0:1]
	v_or_b32_e32 v1, 0x400, v0
	v_cmp_gt_u32_e32 vcc, s33, v1
	s_and_saveexec_b64 s[0:1], vcc
	s_cbranch_execz .LBB445_206
; %bb.205:
	s_waitcnt lgkmcnt(0)
	v_add_co_u32_e32 v48, vcc, 0x2000, v56
	s_nop 1
	v_addc_co_u32_e32 v49, vcc, 0, v57, vcc
	flat_store_dwordx2 v[48:49], v[50:51]
.LBB445_206:
	s_or_b64 exec, exec, s[0:1]
	v_or_b32_e32 v1, 0x500, v0
	v_cmp_gt_u32_e32 vcc, s33, v1
	s_and_saveexec_b64 s[0:1], vcc
	s_cbranch_execz .LBB445_208
; %bb.207:
	s_waitcnt lgkmcnt(0)
	v_add_co_u32_e32 v48, vcc, 0x2000, v56
	s_nop 1
	v_addc_co_u32_e32 v49, vcc, 0, v57, vcc
	flat_store_dwordx2 v[48:49], v[44:45] offset:2048
.LBB445_208:
	;; [unrolled: 24-line block ×5, first 2 shown]
	s_or_b64 exec, exec, s[0:1]
	v_or_b32_e32 v1, 0xc00, v0
	v_cmp_gt_u32_e32 vcc, s33, v1
	s_and_saveexec_b64 s[0:1], vcc
	s_cbranch_execz .LBB445_222
; %bb.221:
	s_waitcnt lgkmcnt(0)
	v_add_co_u32_e32 v32, vcc, 0x6000, v56
	s_nop 1
	v_addc_co_u32_e32 v33, vcc, 0, v57, vcc
	flat_store_dwordx2 v[32:33], v[34:35]
.LBB445_222:
	s_or_b64 exec, exec, s[0:1]
	s_waitcnt lgkmcnt(0)
	v_or_b32_e32 v32, 0xd00, v0
	v_mov_b32_e32 v1, v59
	v_cmp_gt_u32_e64 s[0:1], s33, v32
	s_branch .LBB445_225
.LBB445_223:
	s_mov_b64 s[0:1], 0
                                        ; implicit-def: $vgpr30_vgpr31
	s_cbranch_execz .LBB445_225
; %bb.224:
	v_mov_b32_e32 v1, 0
	s_movk_i32 s4, 0xff98
	s_barrier
	ds_write_b128 v60, v[2:5]
	ds_write_b128 v60, v[6:9] offset:16
	ds_write_b128 v60, v[10:13] offset:32
	;; [unrolled: 1-line block ×6, first 2 shown]
	v_mad_i32_i24 v26, v0, s4, v60
	v_mov_b32_e32 v59, v1
	s_waitcnt lgkmcnt(0)
	s_barrier
	ds_read2st64_b64 v[2:5], v26 offset1:4
	ds_read2st64_b64 v[6:9], v26 offset0:8 offset1:12
	ds_read2st64_b64 v[10:13], v26 offset0:16 offset1:20
	;; [unrolled: 1-line block ×6, first 2 shown]
	v_lshl_add_u64 v[26:27], s[2:3], 0, v[58:59]
	s_movk_i32 s4, 0x1000
	s_waitcnt lgkmcnt(0)
	flat_store_dwordx2 v[26:27], v[2:3]
	flat_store_dwordx2 v[26:27], v[4:5] offset:2048
	v_add_co_u32_e32 v2, vcc, s4, v26
	s_movk_i32 s4, 0x2000
	s_nop 0
	v_addc_co_u32_e32 v3, vcc, 0, v27, vcc
	flat_store_dwordx2 v[2:3], v[6:7]
	flat_store_dwordx2 v[2:3], v[8:9] offset:2048
	v_add_co_u32_e32 v2, vcc, s4, v26
	s_movk_i32 s4, 0x3000
	s_nop 0
	v_addc_co_u32_e32 v3, vcc, 0, v27, vcc
	;; [unrolled: 6-line block ×3, first 2 shown]
	flat_store_dwordx2 v[2:3], v[14:15]
	flat_store_dwordx2 v[2:3], v[16:17] offset:2048
	v_add_co_u32_e32 v2, vcc, s4, v26
	s_or_b64 s[0:1], s[0:1], exec
	s_nop 0
	v_addc_co_u32_e32 v3, vcc, 0, v27, vcc
	flat_store_dwordx2 v[2:3], v[18:19]
	flat_store_dwordx2 v[2:3], v[20:21] offset:2048
	v_add_co_u32_e32 v2, vcc, 0x5000, v26
	s_nop 1
	v_addc_co_u32_e32 v3, vcc, 0, v27, vcc
	flat_store_dwordx2 v[2:3], v[22:23]
	flat_store_dwordx2 v[2:3], v[24:25] offset:2048
	v_add_co_u32_e32 v2, vcc, 0x6000, v26
	s_nop 1
	v_addc_co_u32_e32 v3, vcc, 0, v27, vcc
	flat_store_dwordx2 v[2:3], v[28:29]
.LBB445_225:
	s_and_saveexec_b64 s[4:5], s[0:1]
	s_cbranch_execz .LBB445_227
; %bb.226:
	v_lshl_add_u64 v[0:1], v[0:1], 3, s[2:3]
	v_add_co_u32_e32 v0, vcc, 0x6000, v0
	s_nop 1
	v_addc_co_u32_e32 v1, vcc, 0, v1, vcc
	flat_store_dwordx2 v[0:1], v[30:31] offset:2048
	s_endpgm
.LBB445_227:
	s_endpgm
	.section	.rodata,"a",@progbits
	.p2align	6, 0x0
	.amdhsa_kernel _ZN7rocprim17ROCPRIM_400000_NS6detail17trampoline_kernelINS0_14default_configENS1_27scan_by_key_config_selectorIxxEEZZNS1_16scan_by_key_implILNS1_25lookback_scan_determinismE0ELb1ES3_N6thrust23THRUST_200600_302600_NS6detail15normal_iteratorINS9_10device_ptrIxEEEESE_SE_xNS9_4plusIvEENS9_8equal_toIxEExEE10hipError_tPvRmT2_T3_T4_T5_mT6_T7_P12ihipStream_tbENKUlT_T0_E_clISt17integral_constantIbLb1EESY_IbLb0EEEEDaSU_SV_EUlSU_E_NS1_11comp_targetILNS1_3genE5ELNS1_11target_archE942ELNS1_3gpuE9ELNS1_3repE0EEENS1_30default_config_static_selectorELNS0_4arch9wavefront6targetE1EEEvT1_
		.amdhsa_group_segment_fixed_size 32768
		.amdhsa_private_segment_fixed_size 0
		.amdhsa_kernarg_size 136
		.amdhsa_user_sgpr_count 2
		.amdhsa_user_sgpr_dispatch_ptr 0
		.amdhsa_user_sgpr_queue_ptr 0
		.amdhsa_user_sgpr_kernarg_segment_ptr 1
		.amdhsa_user_sgpr_dispatch_id 0
		.amdhsa_user_sgpr_kernarg_preload_length 0
		.amdhsa_user_sgpr_kernarg_preload_offset 0
		.amdhsa_user_sgpr_private_segment_size 0
		.amdhsa_uses_dynamic_stack 0
		.amdhsa_enable_private_segment 0
		.amdhsa_system_sgpr_workgroup_id_x 1
		.amdhsa_system_sgpr_workgroup_id_y 0
		.amdhsa_system_sgpr_workgroup_id_z 0
		.amdhsa_system_sgpr_workgroup_info 0
		.amdhsa_system_vgpr_workitem_id 0
		.amdhsa_next_free_vgpr 85
		.amdhsa_next_free_sgpr 64
		.amdhsa_accum_offset 88
		.amdhsa_reserve_vcc 1
		.amdhsa_float_round_mode_32 0
		.amdhsa_float_round_mode_16_64 0
		.amdhsa_float_denorm_mode_32 3
		.amdhsa_float_denorm_mode_16_64 3
		.amdhsa_dx10_clamp 1
		.amdhsa_ieee_mode 1
		.amdhsa_fp16_overflow 0
		.amdhsa_tg_split 0
		.amdhsa_exception_fp_ieee_invalid_op 0
		.amdhsa_exception_fp_denorm_src 0
		.amdhsa_exception_fp_ieee_div_zero 0
		.amdhsa_exception_fp_ieee_overflow 0
		.amdhsa_exception_fp_ieee_underflow 0
		.amdhsa_exception_fp_ieee_inexact 0
		.amdhsa_exception_int_div_zero 0
	.end_amdhsa_kernel
	.section	.text._ZN7rocprim17ROCPRIM_400000_NS6detail17trampoline_kernelINS0_14default_configENS1_27scan_by_key_config_selectorIxxEEZZNS1_16scan_by_key_implILNS1_25lookback_scan_determinismE0ELb1ES3_N6thrust23THRUST_200600_302600_NS6detail15normal_iteratorINS9_10device_ptrIxEEEESE_SE_xNS9_4plusIvEENS9_8equal_toIxEExEE10hipError_tPvRmT2_T3_T4_T5_mT6_T7_P12ihipStream_tbENKUlT_T0_E_clISt17integral_constantIbLb1EESY_IbLb0EEEEDaSU_SV_EUlSU_E_NS1_11comp_targetILNS1_3genE5ELNS1_11target_archE942ELNS1_3gpuE9ELNS1_3repE0EEENS1_30default_config_static_selectorELNS0_4arch9wavefront6targetE1EEEvT1_,"axG",@progbits,_ZN7rocprim17ROCPRIM_400000_NS6detail17trampoline_kernelINS0_14default_configENS1_27scan_by_key_config_selectorIxxEEZZNS1_16scan_by_key_implILNS1_25lookback_scan_determinismE0ELb1ES3_N6thrust23THRUST_200600_302600_NS6detail15normal_iteratorINS9_10device_ptrIxEEEESE_SE_xNS9_4plusIvEENS9_8equal_toIxEExEE10hipError_tPvRmT2_T3_T4_T5_mT6_T7_P12ihipStream_tbENKUlT_T0_E_clISt17integral_constantIbLb1EESY_IbLb0EEEEDaSU_SV_EUlSU_E_NS1_11comp_targetILNS1_3genE5ELNS1_11target_archE942ELNS1_3gpuE9ELNS1_3repE0EEENS1_30default_config_static_selectorELNS0_4arch9wavefront6targetE1EEEvT1_,comdat
.Lfunc_end445:
	.size	_ZN7rocprim17ROCPRIM_400000_NS6detail17trampoline_kernelINS0_14default_configENS1_27scan_by_key_config_selectorIxxEEZZNS1_16scan_by_key_implILNS1_25lookback_scan_determinismE0ELb1ES3_N6thrust23THRUST_200600_302600_NS6detail15normal_iteratorINS9_10device_ptrIxEEEESE_SE_xNS9_4plusIvEENS9_8equal_toIxEExEE10hipError_tPvRmT2_T3_T4_T5_mT6_T7_P12ihipStream_tbENKUlT_T0_E_clISt17integral_constantIbLb1EESY_IbLb0EEEEDaSU_SV_EUlSU_E_NS1_11comp_targetILNS1_3genE5ELNS1_11target_archE942ELNS1_3gpuE9ELNS1_3repE0EEENS1_30default_config_static_selectorELNS0_4arch9wavefront6targetE1EEEvT1_, .Lfunc_end445-_ZN7rocprim17ROCPRIM_400000_NS6detail17trampoline_kernelINS0_14default_configENS1_27scan_by_key_config_selectorIxxEEZZNS1_16scan_by_key_implILNS1_25lookback_scan_determinismE0ELb1ES3_N6thrust23THRUST_200600_302600_NS6detail15normal_iteratorINS9_10device_ptrIxEEEESE_SE_xNS9_4plusIvEENS9_8equal_toIxEExEE10hipError_tPvRmT2_T3_T4_T5_mT6_T7_P12ihipStream_tbENKUlT_T0_E_clISt17integral_constantIbLb1EESY_IbLb0EEEEDaSU_SV_EUlSU_E_NS1_11comp_targetILNS1_3genE5ELNS1_11target_archE942ELNS1_3gpuE9ELNS1_3repE0EEENS1_30default_config_static_selectorELNS0_4arch9wavefront6targetE1EEEvT1_
                                        ; -- End function
	.section	.AMDGPU.csdata,"",@progbits
; Kernel info:
; codeLenInByte = 12852
; NumSgprs: 70
; NumVgprs: 85
; NumAgprs: 0
; TotalNumVgprs: 85
; ScratchSize: 0
; MemoryBound: 0
; FloatMode: 240
; IeeeMode: 1
; LDSByteSize: 32768 bytes/workgroup (compile time only)
; SGPRBlocks: 8
; VGPRBlocks: 10
; NumSGPRsForWavesPerEU: 70
; NumVGPRsForWavesPerEU: 85
; AccumOffset: 88
; Occupancy: 2
; WaveLimiterHint : 1
; COMPUTE_PGM_RSRC2:SCRATCH_EN: 0
; COMPUTE_PGM_RSRC2:USER_SGPR: 2
; COMPUTE_PGM_RSRC2:TRAP_HANDLER: 0
; COMPUTE_PGM_RSRC2:TGID_X_EN: 1
; COMPUTE_PGM_RSRC2:TGID_Y_EN: 0
; COMPUTE_PGM_RSRC2:TGID_Z_EN: 0
; COMPUTE_PGM_RSRC2:TIDIG_COMP_CNT: 0
; COMPUTE_PGM_RSRC3_GFX90A:ACCUM_OFFSET: 21
; COMPUTE_PGM_RSRC3_GFX90A:TG_SPLIT: 0
	.section	.text._ZN7rocprim17ROCPRIM_400000_NS6detail17trampoline_kernelINS0_14default_configENS1_27scan_by_key_config_selectorIxxEEZZNS1_16scan_by_key_implILNS1_25lookback_scan_determinismE0ELb1ES3_N6thrust23THRUST_200600_302600_NS6detail15normal_iteratorINS9_10device_ptrIxEEEESE_SE_xNS9_4plusIvEENS9_8equal_toIxEExEE10hipError_tPvRmT2_T3_T4_T5_mT6_T7_P12ihipStream_tbENKUlT_T0_E_clISt17integral_constantIbLb1EESY_IbLb0EEEEDaSU_SV_EUlSU_E_NS1_11comp_targetILNS1_3genE4ELNS1_11target_archE910ELNS1_3gpuE8ELNS1_3repE0EEENS1_30default_config_static_selectorELNS0_4arch9wavefront6targetE1EEEvT1_,"axG",@progbits,_ZN7rocprim17ROCPRIM_400000_NS6detail17trampoline_kernelINS0_14default_configENS1_27scan_by_key_config_selectorIxxEEZZNS1_16scan_by_key_implILNS1_25lookback_scan_determinismE0ELb1ES3_N6thrust23THRUST_200600_302600_NS6detail15normal_iteratorINS9_10device_ptrIxEEEESE_SE_xNS9_4plusIvEENS9_8equal_toIxEExEE10hipError_tPvRmT2_T3_T4_T5_mT6_T7_P12ihipStream_tbENKUlT_T0_E_clISt17integral_constantIbLb1EESY_IbLb0EEEEDaSU_SV_EUlSU_E_NS1_11comp_targetILNS1_3genE4ELNS1_11target_archE910ELNS1_3gpuE8ELNS1_3repE0EEENS1_30default_config_static_selectorELNS0_4arch9wavefront6targetE1EEEvT1_,comdat
	.protected	_ZN7rocprim17ROCPRIM_400000_NS6detail17trampoline_kernelINS0_14default_configENS1_27scan_by_key_config_selectorIxxEEZZNS1_16scan_by_key_implILNS1_25lookback_scan_determinismE0ELb1ES3_N6thrust23THRUST_200600_302600_NS6detail15normal_iteratorINS9_10device_ptrIxEEEESE_SE_xNS9_4plusIvEENS9_8equal_toIxEExEE10hipError_tPvRmT2_T3_T4_T5_mT6_T7_P12ihipStream_tbENKUlT_T0_E_clISt17integral_constantIbLb1EESY_IbLb0EEEEDaSU_SV_EUlSU_E_NS1_11comp_targetILNS1_3genE4ELNS1_11target_archE910ELNS1_3gpuE8ELNS1_3repE0EEENS1_30default_config_static_selectorELNS0_4arch9wavefront6targetE1EEEvT1_ ; -- Begin function _ZN7rocprim17ROCPRIM_400000_NS6detail17trampoline_kernelINS0_14default_configENS1_27scan_by_key_config_selectorIxxEEZZNS1_16scan_by_key_implILNS1_25lookback_scan_determinismE0ELb1ES3_N6thrust23THRUST_200600_302600_NS6detail15normal_iteratorINS9_10device_ptrIxEEEESE_SE_xNS9_4plusIvEENS9_8equal_toIxEExEE10hipError_tPvRmT2_T3_T4_T5_mT6_T7_P12ihipStream_tbENKUlT_T0_E_clISt17integral_constantIbLb1EESY_IbLb0EEEEDaSU_SV_EUlSU_E_NS1_11comp_targetILNS1_3genE4ELNS1_11target_archE910ELNS1_3gpuE8ELNS1_3repE0EEENS1_30default_config_static_selectorELNS0_4arch9wavefront6targetE1EEEvT1_
	.globl	_ZN7rocprim17ROCPRIM_400000_NS6detail17trampoline_kernelINS0_14default_configENS1_27scan_by_key_config_selectorIxxEEZZNS1_16scan_by_key_implILNS1_25lookback_scan_determinismE0ELb1ES3_N6thrust23THRUST_200600_302600_NS6detail15normal_iteratorINS9_10device_ptrIxEEEESE_SE_xNS9_4plusIvEENS9_8equal_toIxEExEE10hipError_tPvRmT2_T3_T4_T5_mT6_T7_P12ihipStream_tbENKUlT_T0_E_clISt17integral_constantIbLb1EESY_IbLb0EEEEDaSU_SV_EUlSU_E_NS1_11comp_targetILNS1_3genE4ELNS1_11target_archE910ELNS1_3gpuE8ELNS1_3repE0EEENS1_30default_config_static_selectorELNS0_4arch9wavefront6targetE1EEEvT1_
	.p2align	8
	.type	_ZN7rocprim17ROCPRIM_400000_NS6detail17trampoline_kernelINS0_14default_configENS1_27scan_by_key_config_selectorIxxEEZZNS1_16scan_by_key_implILNS1_25lookback_scan_determinismE0ELb1ES3_N6thrust23THRUST_200600_302600_NS6detail15normal_iteratorINS9_10device_ptrIxEEEESE_SE_xNS9_4plusIvEENS9_8equal_toIxEExEE10hipError_tPvRmT2_T3_T4_T5_mT6_T7_P12ihipStream_tbENKUlT_T0_E_clISt17integral_constantIbLb1EESY_IbLb0EEEEDaSU_SV_EUlSU_E_NS1_11comp_targetILNS1_3genE4ELNS1_11target_archE910ELNS1_3gpuE8ELNS1_3repE0EEENS1_30default_config_static_selectorELNS0_4arch9wavefront6targetE1EEEvT1_,@function
_ZN7rocprim17ROCPRIM_400000_NS6detail17trampoline_kernelINS0_14default_configENS1_27scan_by_key_config_selectorIxxEEZZNS1_16scan_by_key_implILNS1_25lookback_scan_determinismE0ELb1ES3_N6thrust23THRUST_200600_302600_NS6detail15normal_iteratorINS9_10device_ptrIxEEEESE_SE_xNS9_4plusIvEENS9_8equal_toIxEExEE10hipError_tPvRmT2_T3_T4_T5_mT6_T7_P12ihipStream_tbENKUlT_T0_E_clISt17integral_constantIbLb1EESY_IbLb0EEEEDaSU_SV_EUlSU_E_NS1_11comp_targetILNS1_3genE4ELNS1_11target_archE910ELNS1_3gpuE8ELNS1_3repE0EEENS1_30default_config_static_selectorELNS0_4arch9wavefront6targetE1EEEvT1_: ; @_ZN7rocprim17ROCPRIM_400000_NS6detail17trampoline_kernelINS0_14default_configENS1_27scan_by_key_config_selectorIxxEEZZNS1_16scan_by_key_implILNS1_25lookback_scan_determinismE0ELb1ES3_N6thrust23THRUST_200600_302600_NS6detail15normal_iteratorINS9_10device_ptrIxEEEESE_SE_xNS9_4plusIvEENS9_8equal_toIxEExEE10hipError_tPvRmT2_T3_T4_T5_mT6_T7_P12ihipStream_tbENKUlT_T0_E_clISt17integral_constantIbLb1EESY_IbLb0EEEEDaSU_SV_EUlSU_E_NS1_11comp_targetILNS1_3genE4ELNS1_11target_archE910ELNS1_3gpuE8ELNS1_3repE0EEENS1_30default_config_static_selectorELNS0_4arch9wavefront6targetE1EEEvT1_
; %bb.0:
	.section	.rodata,"a",@progbits
	.p2align	6, 0x0
	.amdhsa_kernel _ZN7rocprim17ROCPRIM_400000_NS6detail17trampoline_kernelINS0_14default_configENS1_27scan_by_key_config_selectorIxxEEZZNS1_16scan_by_key_implILNS1_25lookback_scan_determinismE0ELb1ES3_N6thrust23THRUST_200600_302600_NS6detail15normal_iteratorINS9_10device_ptrIxEEEESE_SE_xNS9_4plusIvEENS9_8equal_toIxEExEE10hipError_tPvRmT2_T3_T4_T5_mT6_T7_P12ihipStream_tbENKUlT_T0_E_clISt17integral_constantIbLb1EESY_IbLb0EEEEDaSU_SV_EUlSU_E_NS1_11comp_targetILNS1_3genE4ELNS1_11target_archE910ELNS1_3gpuE8ELNS1_3repE0EEENS1_30default_config_static_selectorELNS0_4arch9wavefront6targetE1EEEvT1_
		.amdhsa_group_segment_fixed_size 0
		.amdhsa_private_segment_fixed_size 0
		.amdhsa_kernarg_size 136
		.amdhsa_user_sgpr_count 2
		.amdhsa_user_sgpr_dispatch_ptr 0
		.amdhsa_user_sgpr_queue_ptr 0
		.amdhsa_user_sgpr_kernarg_segment_ptr 1
		.amdhsa_user_sgpr_dispatch_id 0
		.amdhsa_user_sgpr_kernarg_preload_length 0
		.amdhsa_user_sgpr_kernarg_preload_offset 0
		.amdhsa_user_sgpr_private_segment_size 0
		.amdhsa_uses_dynamic_stack 0
		.amdhsa_enable_private_segment 0
		.amdhsa_system_sgpr_workgroup_id_x 1
		.amdhsa_system_sgpr_workgroup_id_y 0
		.amdhsa_system_sgpr_workgroup_id_z 0
		.amdhsa_system_sgpr_workgroup_info 0
		.amdhsa_system_vgpr_workitem_id 0
		.amdhsa_next_free_vgpr 1
		.amdhsa_next_free_sgpr 0
		.amdhsa_accum_offset 4
		.amdhsa_reserve_vcc 0
		.amdhsa_float_round_mode_32 0
		.amdhsa_float_round_mode_16_64 0
		.amdhsa_float_denorm_mode_32 3
		.amdhsa_float_denorm_mode_16_64 3
		.amdhsa_dx10_clamp 1
		.amdhsa_ieee_mode 1
		.amdhsa_fp16_overflow 0
		.amdhsa_tg_split 0
		.amdhsa_exception_fp_ieee_invalid_op 0
		.amdhsa_exception_fp_denorm_src 0
		.amdhsa_exception_fp_ieee_div_zero 0
		.amdhsa_exception_fp_ieee_overflow 0
		.amdhsa_exception_fp_ieee_underflow 0
		.amdhsa_exception_fp_ieee_inexact 0
		.amdhsa_exception_int_div_zero 0
	.end_amdhsa_kernel
	.section	.text._ZN7rocprim17ROCPRIM_400000_NS6detail17trampoline_kernelINS0_14default_configENS1_27scan_by_key_config_selectorIxxEEZZNS1_16scan_by_key_implILNS1_25lookback_scan_determinismE0ELb1ES3_N6thrust23THRUST_200600_302600_NS6detail15normal_iteratorINS9_10device_ptrIxEEEESE_SE_xNS9_4plusIvEENS9_8equal_toIxEExEE10hipError_tPvRmT2_T3_T4_T5_mT6_T7_P12ihipStream_tbENKUlT_T0_E_clISt17integral_constantIbLb1EESY_IbLb0EEEEDaSU_SV_EUlSU_E_NS1_11comp_targetILNS1_3genE4ELNS1_11target_archE910ELNS1_3gpuE8ELNS1_3repE0EEENS1_30default_config_static_selectorELNS0_4arch9wavefront6targetE1EEEvT1_,"axG",@progbits,_ZN7rocprim17ROCPRIM_400000_NS6detail17trampoline_kernelINS0_14default_configENS1_27scan_by_key_config_selectorIxxEEZZNS1_16scan_by_key_implILNS1_25lookback_scan_determinismE0ELb1ES3_N6thrust23THRUST_200600_302600_NS6detail15normal_iteratorINS9_10device_ptrIxEEEESE_SE_xNS9_4plusIvEENS9_8equal_toIxEExEE10hipError_tPvRmT2_T3_T4_T5_mT6_T7_P12ihipStream_tbENKUlT_T0_E_clISt17integral_constantIbLb1EESY_IbLb0EEEEDaSU_SV_EUlSU_E_NS1_11comp_targetILNS1_3genE4ELNS1_11target_archE910ELNS1_3gpuE8ELNS1_3repE0EEENS1_30default_config_static_selectorELNS0_4arch9wavefront6targetE1EEEvT1_,comdat
.Lfunc_end446:
	.size	_ZN7rocprim17ROCPRIM_400000_NS6detail17trampoline_kernelINS0_14default_configENS1_27scan_by_key_config_selectorIxxEEZZNS1_16scan_by_key_implILNS1_25lookback_scan_determinismE0ELb1ES3_N6thrust23THRUST_200600_302600_NS6detail15normal_iteratorINS9_10device_ptrIxEEEESE_SE_xNS9_4plusIvEENS9_8equal_toIxEExEE10hipError_tPvRmT2_T3_T4_T5_mT6_T7_P12ihipStream_tbENKUlT_T0_E_clISt17integral_constantIbLb1EESY_IbLb0EEEEDaSU_SV_EUlSU_E_NS1_11comp_targetILNS1_3genE4ELNS1_11target_archE910ELNS1_3gpuE8ELNS1_3repE0EEENS1_30default_config_static_selectorELNS0_4arch9wavefront6targetE1EEEvT1_, .Lfunc_end446-_ZN7rocprim17ROCPRIM_400000_NS6detail17trampoline_kernelINS0_14default_configENS1_27scan_by_key_config_selectorIxxEEZZNS1_16scan_by_key_implILNS1_25lookback_scan_determinismE0ELb1ES3_N6thrust23THRUST_200600_302600_NS6detail15normal_iteratorINS9_10device_ptrIxEEEESE_SE_xNS9_4plusIvEENS9_8equal_toIxEExEE10hipError_tPvRmT2_T3_T4_T5_mT6_T7_P12ihipStream_tbENKUlT_T0_E_clISt17integral_constantIbLb1EESY_IbLb0EEEEDaSU_SV_EUlSU_E_NS1_11comp_targetILNS1_3genE4ELNS1_11target_archE910ELNS1_3gpuE8ELNS1_3repE0EEENS1_30default_config_static_selectorELNS0_4arch9wavefront6targetE1EEEvT1_
                                        ; -- End function
	.section	.AMDGPU.csdata,"",@progbits
; Kernel info:
; codeLenInByte = 0
; NumSgprs: 6
; NumVgprs: 0
; NumAgprs: 0
; TotalNumVgprs: 0
; ScratchSize: 0
; MemoryBound: 0
; FloatMode: 240
; IeeeMode: 1
; LDSByteSize: 0 bytes/workgroup (compile time only)
; SGPRBlocks: 0
; VGPRBlocks: 0
; NumSGPRsForWavesPerEU: 6
; NumVGPRsForWavesPerEU: 1
; AccumOffset: 4
; Occupancy: 8
; WaveLimiterHint : 0
; COMPUTE_PGM_RSRC2:SCRATCH_EN: 0
; COMPUTE_PGM_RSRC2:USER_SGPR: 2
; COMPUTE_PGM_RSRC2:TRAP_HANDLER: 0
; COMPUTE_PGM_RSRC2:TGID_X_EN: 1
; COMPUTE_PGM_RSRC2:TGID_Y_EN: 0
; COMPUTE_PGM_RSRC2:TGID_Z_EN: 0
; COMPUTE_PGM_RSRC2:TIDIG_COMP_CNT: 0
; COMPUTE_PGM_RSRC3_GFX90A:ACCUM_OFFSET: 0
; COMPUTE_PGM_RSRC3_GFX90A:TG_SPLIT: 0
	.section	.text._ZN7rocprim17ROCPRIM_400000_NS6detail17trampoline_kernelINS0_14default_configENS1_27scan_by_key_config_selectorIxxEEZZNS1_16scan_by_key_implILNS1_25lookback_scan_determinismE0ELb1ES3_N6thrust23THRUST_200600_302600_NS6detail15normal_iteratorINS9_10device_ptrIxEEEESE_SE_xNS9_4plusIvEENS9_8equal_toIxEExEE10hipError_tPvRmT2_T3_T4_T5_mT6_T7_P12ihipStream_tbENKUlT_T0_E_clISt17integral_constantIbLb1EESY_IbLb0EEEEDaSU_SV_EUlSU_E_NS1_11comp_targetILNS1_3genE3ELNS1_11target_archE908ELNS1_3gpuE7ELNS1_3repE0EEENS1_30default_config_static_selectorELNS0_4arch9wavefront6targetE1EEEvT1_,"axG",@progbits,_ZN7rocprim17ROCPRIM_400000_NS6detail17trampoline_kernelINS0_14default_configENS1_27scan_by_key_config_selectorIxxEEZZNS1_16scan_by_key_implILNS1_25lookback_scan_determinismE0ELb1ES3_N6thrust23THRUST_200600_302600_NS6detail15normal_iteratorINS9_10device_ptrIxEEEESE_SE_xNS9_4plusIvEENS9_8equal_toIxEExEE10hipError_tPvRmT2_T3_T4_T5_mT6_T7_P12ihipStream_tbENKUlT_T0_E_clISt17integral_constantIbLb1EESY_IbLb0EEEEDaSU_SV_EUlSU_E_NS1_11comp_targetILNS1_3genE3ELNS1_11target_archE908ELNS1_3gpuE7ELNS1_3repE0EEENS1_30default_config_static_selectorELNS0_4arch9wavefront6targetE1EEEvT1_,comdat
	.protected	_ZN7rocprim17ROCPRIM_400000_NS6detail17trampoline_kernelINS0_14default_configENS1_27scan_by_key_config_selectorIxxEEZZNS1_16scan_by_key_implILNS1_25lookback_scan_determinismE0ELb1ES3_N6thrust23THRUST_200600_302600_NS6detail15normal_iteratorINS9_10device_ptrIxEEEESE_SE_xNS9_4plusIvEENS9_8equal_toIxEExEE10hipError_tPvRmT2_T3_T4_T5_mT6_T7_P12ihipStream_tbENKUlT_T0_E_clISt17integral_constantIbLb1EESY_IbLb0EEEEDaSU_SV_EUlSU_E_NS1_11comp_targetILNS1_3genE3ELNS1_11target_archE908ELNS1_3gpuE7ELNS1_3repE0EEENS1_30default_config_static_selectorELNS0_4arch9wavefront6targetE1EEEvT1_ ; -- Begin function _ZN7rocprim17ROCPRIM_400000_NS6detail17trampoline_kernelINS0_14default_configENS1_27scan_by_key_config_selectorIxxEEZZNS1_16scan_by_key_implILNS1_25lookback_scan_determinismE0ELb1ES3_N6thrust23THRUST_200600_302600_NS6detail15normal_iteratorINS9_10device_ptrIxEEEESE_SE_xNS9_4plusIvEENS9_8equal_toIxEExEE10hipError_tPvRmT2_T3_T4_T5_mT6_T7_P12ihipStream_tbENKUlT_T0_E_clISt17integral_constantIbLb1EESY_IbLb0EEEEDaSU_SV_EUlSU_E_NS1_11comp_targetILNS1_3genE3ELNS1_11target_archE908ELNS1_3gpuE7ELNS1_3repE0EEENS1_30default_config_static_selectorELNS0_4arch9wavefront6targetE1EEEvT1_
	.globl	_ZN7rocprim17ROCPRIM_400000_NS6detail17trampoline_kernelINS0_14default_configENS1_27scan_by_key_config_selectorIxxEEZZNS1_16scan_by_key_implILNS1_25lookback_scan_determinismE0ELb1ES3_N6thrust23THRUST_200600_302600_NS6detail15normal_iteratorINS9_10device_ptrIxEEEESE_SE_xNS9_4plusIvEENS9_8equal_toIxEExEE10hipError_tPvRmT2_T3_T4_T5_mT6_T7_P12ihipStream_tbENKUlT_T0_E_clISt17integral_constantIbLb1EESY_IbLb0EEEEDaSU_SV_EUlSU_E_NS1_11comp_targetILNS1_3genE3ELNS1_11target_archE908ELNS1_3gpuE7ELNS1_3repE0EEENS1_30default_config_static_selectorELNS0_4arch9wavefront6targetE1EEEvT1_
	.p2align	8
	.type	_ZN7rocprim17ROCPRIM_400000_NS6detail17trampoline_kernelINS0_14default_configENS1_27scan_by_key_config_selectorIxxEEZZNS1_16scan_by_key_implILNS1_25lookback_scan_determinismE0ELb1ES3_N6thrust23THRUST_200600_302600_NS6detail15normal_iteratorINS9_10device_ptrIxEEEESE_SE_xNS9_4plusIvEENS9_8equal_toIxEExEE10hipError_tPvRmT2_T3_T4_T5_mT6_T7_P12ihipStream_tbENKUlT_T0_E_clISt17integral_constantIbLb1EESY_IbLb0EEEEDaSU_SV_EUlSU_E_NS1_11comp_targetILNS1_3genE3ELNS1_11target_archE908ELNS1_3gpuE7ELNS1_3repE0EEENS1_30default_config_static_selectorELNS0_4arch9wavefront6targetE1EEEvT1_,@function
_ZN7rocprim17ROCPRIM_400000_NS6detail17trampoline_kernelINS0_14default_configENS1_27scan_by_key_config_selectorIxxEEZZNS1_16scan_by_key_implILNS1_25lookback_scan_determinismE0ELb1ES3_N6thrust23THRUST_200600_302600_NS6detail15normal_iteratorINS9_10device_ptrIxEEEESE_SE_xNS9_4plusIvEENS9_8equal_toIxEExEE10hipError_tPvRmT2_T3_T4_T5_mT6_T7_P12ihipStream_tbENKUlT_T0_E_clISt17integral_constantIbLb1EESY_IbLb0EEEEDaSU_SV_EUlSU_E_NS1_11comp_targetILNS1_3genE3ELNS1_11target_archE908ELNS1_3gpuE7ELNS1_3repE0EEENS1_30default_config_static_selectorELNS0_4arch9wavefront6targetE1EEEvT1_: ; @_ZN7rocprim17ROCPRIM_400000_NS6detail17trampoline_kernelINS0_14default_configENS1_27scan_by_key_config_selectorIxxEEZZNS1_16scan_by_key_implILNS1_25lookback_scan_determinismE0ELb1ES3_N6thrust23THRUST_200600_302600_NS6detail15normal_iteratorINS9_10device_ptrIxEEEESE_SE_xNS9_4plusIvEENS9_8equal_toIxEExEE10hipError_tPvRmT2_T3_T4_T5_mT6_T7_P12ihipStream_tbENKUlT_T0_E_clISt17integral_constantIbLb1EESY_IbLb0EEEEDaSU_SV_EUlSU_E_NS1_11comp_targetILNS1_3genE3ELNS1_11target_archE908ELNS1_3gpuE7ELNS1_3repE0EEENS1_30default_config_static_selectorELNS0_4arch9wavefront6targetE1EEEvT1_
; %bb.0:
	.section	.rodata,"a",@progbits
	.p2align	6, 0x0
	.amdhsa_kernel _ZN7rocprim17ROCPRIM_400000_NS6detail17trampoline_kernelINS0_14default_configENS1_27scan_by_key_config_selectorIxxEEZZNS1_16scan_by_key_implILNS1_25lookback_scan_determinismE0ELb1ES3_N6thrust23THRUST_200600_302600_NS6detail15normal_iteratorINS9_10device_ptrIxEEEESE_SE_xNS9_4plusIvEENS9_8equal_toIxEExEE10hipError_tPvRmT2_T3_T4_T5_mT6_T7_P12ihipStream_tbENKUlT_T0_E_clISt17integral_constantIbLb1EESY_IbLb0EEEEDaSU_SV_EUlSU_E_NS1_11comp_targetILNS1_3genE3ELNS1_11target_archE908ELNS1_3gpuE7ELNS1_3repE0EEENS1_30default_config_static_selectorELNS0_4arch9wavefront6targetE1EEEvT1_
		.amdhsa_group_segment_fixed_size 0
		.amdhsa_private_segment_fixed_size 0
		.amdhsa_kernarg_size 136
		.amdhsa_user_sgpr_count 2
		.amdhsa_user_sgpr_dispatch_ptr 0
		.amdhsa_user_sgpr_queue_ptr 0
		.amdhsa_user_sgpr_kernarg_segment_ptr 1
		.amdhsa_user_sgpr_dispatch_id 0
		.amdhsa_user_sgpr_kernarg_preload_length 0
		.amdhsa_user_sgpr_kernarg_preload_offset 0
		.amdhsa_user_sgpr_private_segment_size 0
		.amdhsa_uses_dynamic_stack 0
		.amdhsa_enable_private_segment 0
		.amdhsa_system_sgpr_workgroup_id_x 1
		.amdhsa_system_sgpr_workgroup_id_y 0
		.amdhsa_system_sgpr_workgroup_id_z 0
		.amdhsa_system_sgpr_workgroup_info 0
		.amdhsa_system_vgpr_workitem_id 0
		.amdhsa_next_free_vgpr 1
		.amdhsa_next_free_sgpr 0
		.amdhsa_accum_offset 4
		.amdhsa_reserve_vcc 0
		.amdhsa_float_round_mode_32 0
		.amdhsa_float_round_mode_16_64 0
		.amdhsa_float_denorm_mode_32 3
		.amdhsa_float_denorm_mode_16_64 3
		.amdhsa_dx10_clamp 1
		.amdhsa_ieee_mode 1
		.amdhsa_fp16_overflow 0
		.amdhsa_tg_split 0
		.amdhsa_exception_fp_ieee_invalid_op 0
		.amdhsa_exception_fp_denorm_src 0
		.amdhsa_exception_fp_ieee_div_zero 0
		.amdhsa_exception_fp_ieee_overflow 0
		.amdhsa_exception_fp_ieee_underflow 0
		.amdhsa_exception_fp_ieee_inexact 0
		.amdhsa_exception_int_div_zero 0
	.end_amdhsa_kernel
	.section	.text._ZN7rocprim17ROCPRIM_400000_NS6detail17trampoline_kernelINS0_14default_configENS1_27scan_by_key_config_selectorIxxEEZZNS1_16scan_by_key_implILNS1_25lookback_scan_determinismE0ELb1ES3_N6thrust23THRUST_200600_302600_NS6detail15normal_iteratorINS9_10device_ptrIxEEEESE_SE_xNS9_4plusIvEENS9_8equal_toIxEExEE10hipError_tPvRmT2_T3_T4_T5_mT6_T7_P12ihipStream_tbENKUlT_T0_E_clISt17integral_constantIbLb1EESY_IbLb0EEEEDaSU_SV_EUlSU_E_NS1_11comp_targetILNS1_3genE3ELNS1_11target_archE908ELNS1_3gpuE7ELNS1_3repE0EEENS1_30default_config_static_selectorELNS0_4arch9wavefront6targetE1EEEvT1_,"axG",@progbits,_ZN7rocprim17ROCPRIM_400000_NS6detail17trampoline_kernelINS0_14default_configENS1_27scan_by_key_config_selectorIxxEEZZNS1_16scan_by_key_implILNS1_25lookback_scan_determinismE0ELb1ES3_N6thrust23THRUST_200600_302600_NS6detail15normal_iteratorINS9_10device_ptrIxEEEESE_SE_xNS9_4plusIvEENS9_8equal_toIxEExEE10hipError_tPvRmT2_T3_T4_T5_mT6_T7_P12ihipStream_tbENKUlT_T0_E_clISt17integral_constantIbLb1EESY_IbLb0EEEEDaSU_SV_EUlSU_E_NS1_11comp_targetILNS1_3genE3ELNS1_11target_archE908ELNS1_3gpuE7ELNS1_3repE0EEENS1_30default_config_static_selectorELNS0_4arch9wavefront6targetE1EEEvT1_,comdat
.Lfunc_end447:
	.size	_ZN7rocprim17ROCPRIM_400000_NS6detail17trampoline_kernelINS0_14default_configENS1_27scan_by_key_config_selectorIxxEEZZNS1_16scan_by_key_implILNS1_25lookback_scan_determinismE0ELb1ES3_N6thrust23THRUST_200600_302600_NS6detail15normal_iteratorINS9_10device_ptrIxEEEESE_SE_xNS9_4plusIvEENS9_8equal_toIxEExEE10hipError_tPvRmT2_T3_T4_T5_mT6_T7_P12ihipStream_tbENKUlT_T0_E_clISt17integral_constantIbLb1EESY_IbLb0EEEEDaSU_SV_EUlSU_E_NS1_11comp_targetILNS1_3genE3ELNS1_11target_archE908ELNS1_3gpuE7ELNS1_3repE0EEENS1_30default_config_static_selectorELNS0_4arch9wavefront6targetE1EEEvT1_, .Lfunc_end447-_ZN7rocprim17ROCPRIM_400000_NS6detail17trampoline_kernelINS0_14default_configENS1_27scan_by_key_config_selectorIxxEEZZNS1_16scan_by_key_implILNS1_25lookback_scan_determinismE0ELb1ES3_N6thrust23THRUST_200600_302600_NS6detail15normal_iteratorINS9_10device_ptrIxEEEESE_SE_xNS9_4plusIvEENS9_8equal_toIxEExEE10hipError_tPvRmT2_T3_T4_T5_mT6_T7_P12ihipStream_tbENKUlT_T0_E_clISt17integral_constantIbLb1EESY_IbLb0EEEEDaSU_SV_EUlSU_E_NS1_11comp_targetILNS1_3genE3ELNS1_11target_archE908ELNS1_3gpuE7ELNS1_3repE0EEENS1_30default_config_static_selectorELNS0_4arch9wavefront6targetE1EEEvT1_
                                        ; -- End function
	.section	.AMDGPU.csdata,"",@progbits
; Kernel info:
; codeLenInByte = 0
; NumSgprs: 6
; NumVgprs: 0
; NumAgprs: 0
; TotalNumVgprs: 0
; ScratchSize: 0
; MemoryBound: 0
; FloatMode: 240
; IeeeMode: 1
; LDSByteSize: 0 bytes/workgroup (compile time only)
; SGPRBlocks: 0
; VGPRBlocks: 0
; NumSGPRsForWavesPerEU: 6
; NumVGPRsForWavesPerEU: 1
; AccumOffset: 4
; Occupancy: 8
; WaveLimiterHint : 0
; COMPUTE_PGM_RSRC2:SCRATCH_EN: 0
; COMPUTE_PGM_RSRC2:USER_SGPR: 2
; COMPUTE_PGM_RSRC2:TRAP_HANDLER: 0
; COMPUTE_PGM_RSRC2:TGID_X_EN: 1
; COMPUTE_PGM_RSRC2:TGID_Y_EN: 0
; COMPUTE_PGM_RSRC2:TGID_Z_EN: 0
; COMPUTE_PGM_RSRC2:TIDIG_COMP_CNT: 0
; COMPUTE_PGM_RSRC3_GFX90A:ACCUM_OFFSET: 0
; COMPUTE_PGM_RSRC3_GFX90A:TG_SPLIT: 0
	.section	.text._ZN7rocprim17ROCPRIM_400000_NS6detail17trampoline_kernelINS0_14default_configENS1_27scan_by_key_config_selectorIxxEEZZNS1_16scan_by_key_implILNS1_25lookback_scan_determinismE0ELb1ES3_N6thrust23THRUST_200600_302600_NS6detail15normal_iteratorINS9_10device_ptrIxEEEESE_SE_xNS9_4plusIvEENS9_8equal_toIxEExEE10hipError_tPvRmT2_T3_T4_T5_mT6_T7_P12ihipStream_tbENKUlT_T0_E_clISt17integral_constantIbLb1EESY_IbLb0EEEEDaSU_SV_EUlSU_E_NS1_11comp_targetILNS1_3genE2ELNS1_11target_archE906ELNS1_3gpuE6ELNS1_3repE0EEENS1_30default_config_static_selectorELNS0_4arch9wavefront6targetE1EEEvT1_,"axG",@progbits,_ZN7rocprim17ROCPRIM_400000_NS6detail17trampoline_kernelINS0_14default_configENS1_27scan_by_key_config_selectorIxxEEZZNS1_16scan_by_key_implILNS1_25lookback_scan_determinismE0ELb1ES3_N6thrust23THRUST_200600_302600_NS6detail15normal_iteratorINS9_10device_ptrIxEEEESE_SE_xNS9_4plusIvEENS9_8equal_toIxEExEE10hipError_tPvRmT2_T3_T4_T5_mT6_T7_P12ihipStream_tbENKUlT_T0_E_clISt17integral_constantIbLb1EESY_IbLb0EEEEDaSU_SV_EUlSU_E_NS1_11comp_targetILNS1_3genE2ELNS1_11target_archE906ELNS1_3gpuE6ELNS1_3repE0EEENS1_30default_config_static_selectorELNS0_4arch9wavefront6targetE1EEEvT1_,comdat
	.protected	_ZN7rocprim17ROCPRIM_400000_NS6detail17trampoline_kernelINS0_14default_configENS1_27scan_by_key_config_selectorIxxEEZZNS1_16scan_by_key_implILNS1_25lookback_scan_determinismE0ELb1ES3_N6thrust23THRUST_200600_302600_NS6detail15normal_iteratorINS9_10device_ptrIxEEEESE_SE_xNS9_4plusIvEENS9_8equal_toIxEExEE10hipError_tPvRmT2_T3_T4_T5_mT6_T7_P12ihipStream_tbENKUlT_T0_E_clISt17integral_constantIbLb1EESY_IbLb0EEEEDaSU_SV_EUlSU_E_NS1_11comp_targetILNS1_3genE2ELNS1_11target_archE906ELNS1_3gpuE6ELNS1_3repE0EEENS1_30default_config_static_selectorELNS0_4arch9wavefront6targetE1EEEvT1_ ; -- Begin function _ZN7rocprim17ROCPRIM_400000_NS6detail17trampoline_kernelINS0_14default_configENS1_27scan_by_key_config_selectorIxxEEZZNS1_16scan_by_key_implILNS1_25lookback_scan_determinismE0ELb1ES3_N6thrust23THRUST_200600_302600_NS6detail15normal_iteratorINS9_10device_ptrIxEEEESE_SE_xNS9_4plusIvEENS9_8equal_toIxEExEE10hipError_tPvRmT2_T3_T4_T5_mT6_T7_P12ihipStream_tbENKUlT_T0_E_clISt17integral_constantIbLb1EESY_IbLb0EEEEDaSU_SV_EUlSU_E_NS1_11comp_targetILNS1_3genE2ELNS1_11target_archE906ELNS1_3gpuE6ELNS1_3repE0EEENS1_30default_config_static_selectorELNS0_4arch9wavefront6targetE1EEEvT1_
	.globl	_ZN7rocprim17ROCPRIM_400000_NS6detail17trampoline_kernelINS0_14default_configENS1_27scan_by_key_config_selectorIxxEEZZNS1_16scan_by_key_implILNS1_25lookback_scan_determinismE0ELb1ES3_N6thrust23THRUST_200600_302600_NS6detail15normal_iteratorINS9_10device_ptrIxEEEESE_SE_xNS9_4plusIvEENS9_8equal_toIxEExEE10hipError_tPvRmT2_T3_T4_T5_mT6_T7_P12ihipStream_tbENKUlT_T0_E_clISt17integral_constantIbLb1EESY_IbLb0EEEEDaSU_SV_EUlSU_E_NS1_11comp_targetILNS1_3genE2ELNS1_11target_archE906ELNS1_3gpuE6ELNS1_3repE0EEENS1_30default_config_static_selectorELNS0_4arch9wavefront6targetE1EEEvT1_
	.p2align	8
	.type	_ZN7rocprim17ROCPRIM_400000_NS6detail17trampoline_kernelINS0_14default_configENS1_27scan_by_key_config_selectorIxxEEZZNS1_16scan_by_key_implILNS1_25lookback_scan_determinismE0ELb1ES3_N6thrust23THRUST_200600_302600_NS6detail15normal_iteratorINS9_10device_ptrIxEEEESE_SE_xNS9_4plusIvEENS9_8equal_toIxEExEE10hipError_tPvRmT2_T3_T4_T5_mT6_T7_P12ihipStream_tbENKUlT_T0_E_clISt17integral_constantIbLb1EESY_IbLb0EEEEDaSU_SV_EUlSU_E_NS1_11comp_targetILNS1_3genE2ELNS1_11target_archE906ELNS1_3gpuE6ELNS1_3repE0EEENS1_30default_config_static_selectorELNS0_4arch9wavefront6targetE1EEEvT1_,@function
_ZN7rocprim17ROCPRIM_400000_NS6detail17trampoline_kernelINS0_14default_configENS1_27scan_by_key_config_selectorIxxEEZZNS1_16scan_by_key_implILNS1_25lookback_scan_determinismE0ELb1ES3_N6thrust23THRUST_200600_302600_NS6detail15normal_iteratorINS9_10device_ptrIxEEEESE_SE_xNS9_4plusIvEENS9_8equal_toIxEExEE10hipError_tPvRmT2_T3_T4_T5_mT6_T7_P12ihipStream_tbENKUlT_T0_E_clISt17integral_constantIbLb1EESY_IbLb0EEEEDaSU_SV_EUlSU_E_NS1_11comp_targetILNS1_3genE2ELNS1_11target_archE906ELNS1_3gpuE6ELNS1_3repE0EEENS1_30default_config_static_selectorELNS0_4arch9wavefront6targetE1EEEvT1_: ; @_ZN7rocprim17ROCPRIM_400000_NS6detail17trampoline_kernelINS0_14default_configENS1_27scan_by_key_config_selectorIxxEEZZNS1_16scan_by_key_implILNS1_25lookback_scan_determinismE0ELb1ES3_N6thrust23THRUST_200600_302600_NS6detail15normal_iteratorINS9_10device_ptrIxEEEESE_SE_xNS9_4plusIvEENS9_8equal_toIxEExEE10hipError_tPvRmT2_T3_T4_T5_mT6_T7_P12ihipStream_tbENKUlT_T0_E_clISt17integral_constantIbLb1EESY_IbLb0EEEEDaSU_SV_EUlSU_E_NS1_11comp_targetILNS1_3genE2ELNS1_11target_archE906ELNS1_3gpuE6ELNS1_3repE0EEENS1_30default_config_static_selectorELNS0_4arch9wavefront6targetE1EEEvT1_
; %bb.0:
	.section	.rodata,"a",@progbits
	.p2align	6, 0x0
	.amdhsa_kernel _ZN7rocprim17ROCPRIM_400000_NS6detail17trampoline_kernelINS0_14default_configENS1_27scan_by_key_config_selectorIxxEEZZNS1_16scan_by_key_implILNS1_25lookback_scan_determinismE0ELb1ES3_N6thrust23THRUST_200600_302600_NS6detail15normal_iteratorINS9_10device_ptrIxEEEESE_SE_xNS9_4plusIvEENS9_8equal_toIxEExEE10hipError_tPvRmT2_T3_T4_T5_mT6_T7_P12ihipStream_tbENKUlT_T0_E_clISt17integral_constantIbLb1EESY_IbLb0EEEEDaSU_SV_EUlSU_E_NS1_11comp_targetILNS1_3genE2ELNS1_11target_archE906ELNS1_3gpuE6ELNS1_3repE0EEENS1_30default_config_static_selectorELNS0_4arch9wavefront6targetE1EEEvT1_
		.amdhsa_group_segment_fixed_size 0
		.amdhsa_private_segment_fixed_size 0
		.amdhsa_kernarg_size 136
		.amdhsa_user_sgpr_count 2
		.amdhsa_user_sgpr_dispatch_ptr 0
		.amdhsa_user_sgpr_queue_ptr 0
		.amdhsa_user_sgpr_kernarg_segment_ptr 1
		.amdhsa_user_sgpr_dispatch_id 0
		.amdhsa_user_sgpr_kernarg_preload_length 0
		.amdhsa_user_sgpr_kernarg_preload_offset 0
		.amdhsa_user_sgpr_private_segment_size 0
		.amdhsa_uses_dynamic_stack 0
		.amdhsa_enable_private_segment 0
		.amdhsa_system_sgpr_workgroup_id_x 1
		.amdhsa_system_sgpr_workgroup_id_y 0
		.amdhsa_system_sgpr_workgroup_id_z 0
		.amdhsa_system_sgpr_workgroup_info 0
		.amdhsa_system_vgpr_workitem_id 0
		.amdhsa_next_free_vgpr 1
		.amdhsa_next_free_sgpr 0
		.amdhsa_accum_offset 4
		.amdhsa_reserve_vcc 0
		.amdhsa_float_round_mode_32 0
		.amdhsa_float_round_mode_16_64 0
		.amdhsa_float_denorm_mode_32 3
		.amdhsa_float_denorm_mode_16_64 3
		.amdhsa_dx10_clamp 1
		.amdhsa_ieee_mode 1
		.amdhsa_fp16_overflow 0
		.amdhsa_tg_split 0
		.amdhsa_exception_fp_ieee_invalid_op 0
		.amdhsa_exception_fp_denorm_src 0
		.amdhsa_exception_fp_ieee_div_zero 0
		.amdhsa_exception_fp_ieee_overflow 0
		.amdhsa_exception_fp_ieee_underflow 0
		.amdhsa_exception_fp_ieee_inexact 0
		.amdhsa_exception_int_div_zero 0
	.end_amdhsa_kernel
	.section	.text._ZN7rocprim17ROCPRIM_400000_NS6detail17trampoline_kernelINS0_14default_configENS1_27scan_by_key_config_selectorIxxEEZZNS1_16scan_by_key_implILNS1_25lookback_scan_determinismE0ELb1ES3_N6thrust23THRUST_200600_302600_NS6detail15normal_iteratorINS9_10device_ptrIxEEEESE_SE_xNS9_4plusIvEENS9_8equal_toIxEExEE10hipError_tPvRmT2_T3_T4_T5_mT6_T7_P12ihipStream_tbENKUlT_T0_E_clISt17integral_constantIbLb1EESY_IbLb0EEEEDaSU_SV_EUlSU_E_NS1_11comp_targetILNS1_3genE2ELNS1_11target_archE906ELNS1_3gpuE6ELNS1_3repE0EEENS1_30default_config_static_selectorELNS0_4arch9wavefront6targetE1EEEvT1_,"axG",@progbits,_ZN7rocprim17ROCPRIM_400000_NS6detail17trampoline_kernelINS0_14default_configENS1_27scan_by_key_config_selectorIxxEEZZNS1_16scan_by_key_implILNS1_25lookback_scan_determinismE0ELb1ES3_N6thrust23THRUST_200600_302600_NS6detail15normal_iteratorINS9_10device_ptrIxEEEESE_SE_xNS9_4plusIvEENS9_8equal_toIxEExEE10hipError_tPvRmT2_T3_T4_T5_mT6_T7_P12ihipStream_tbENKUlT_T0_E_clISt17integral_constantIbLb1EESY_IbLb0EEEEDaSU_SV_EUlSU_E_NS1_11comp_targetILNS1_3genE2ELNS1_11target_archE906ELNS1_3gpuE6ELNS1_3repE0EEENS1_30default_config_static_selectorELNS0_4arch9wavefront6targetE1EEEvT1_,comdat
.Lfunc_end448:
	.size	_ZN7rocprim17ROCPRIM_400000_NS6detail17trampoline_kernelINS0_14default_configENS1_27scan_by_key_config_selectorIxxEEZZNS1_16scan_by_key_implILNS1_25lookback_scan_determinismE0ELb1ES3_N6thrust23THRUST_200600_302600_NS6detail15normal_iteratorINS9_10device_ptrIxEEEESE_SE_xNS9_4plusIvEENS9_8equal_toIxEExEE10hipError_tPvRmT2_T3_T4_T5_mT6_T7_P12ihipStream_tbENKUlT_T0_E_clISt17integral_constantIbLb1EESY_IbLb0EEEEDaSU_SV_EUlSU_E_NS1_11comp_targetILNS1_3genE2ELNS1_11target_archE906ELNS1_3gpuE6ELNS1_3repE0EEENS1_30default_config_static_selectorELNS0_4arch9wavefront6targetE1EEEvT1_, .Lfunc_end448-_ZN7rocprim17ROCPRIM_400000_NS6detail17trampoline_kernelINS0_14default_configENS1_27scan_by_key_config_selectorIxxEEZZNS1_16scan_by_key_implILNS1_25lookback_scan_determinismE0ELb1ES3_N6thrust23THRUST_200600_302600_NS6detail15normal_iteratorINS9_10device_ptrIxEEEESE_SE_xNS9_4plusIvEENS9_8equal_toIxEExEE10hipError_tPvRmT2_T3_T4_T5_mT6_T7_P12ihipStream_tbENKUlT_T0_E_clISt17integral_constantIbLb1EESY_IbLb0EEEEDaSU_SV_EUlSU_E_NS1_11comp_targetILNS1_3genE2ELNS1_11target_archE906ELNS1_3gpuE6ELNS1_3repE0EEENS1_30default_config_static_selectorELNS0_4arch9wavefront6targetE1EEEvT1_
                                        ; -- End function
	.section	.AMDGPU.csdata,"",@progbits
; Kernel info:
; codeLenInByte = 0
; NumSgprs: 6
; NumVgprs: 0
; NumAgprs: 0
; TotalNumVgprs: 0
; ScratchSize: 0
; MemoryBound: 0
; FloatMode: 240
; IeeeMode: 1
; LDSByteSize: 0 bytes/workgroup (compile time only)
; SGPRBlocks: 0
; VGPRBlocks: 0
; NumSGPRsForWavesPerEU: 6
; NumVGPRsForWavesPerEU: 1
; AccumOffset: 4
; Occupancy: 8
; WaveLimiterHint : 0
; COMPUTE_PGM_RSRC2:SCRATCH_EN: 0
; COMPUTE_PGM_RSRC2:USER_SGPR: 2
; COMPUTE_PGM_RSRC2:TRAP_HANDLER: 0
; COMPUTE_PGM_RSRC2:TGID_X_EN: 1
; COMPUTE_PGM_RSRC2:TGID_Y_EN: 0
; COMPUTE_PGM_RSRC2:TGID_Z_EN: 0
; COMPUTE_PGM_RSRC2:TIDIG_COMP_CNT: 0
; COMPUTE_PGM_RSRC3_GFX90A:ACCUM_OFFSET: 0
; COMPUTE_PGM_RSRC3_GFX90A:TG_SPLIT: 0
	.section	.text._ZN7rocprim17ROCPRIM_400000_NS6detail17trampoline_kernelINS0_14default_configENS1_27scan_by_key_config_selectorIxxEEZZNS1_16scan_by_key_implILNS1_25lookback_scan_determinismE0ELb1ES3_N6thrust23THRUST_200600_302600_NS6detail15normal_iteratorINS9_10device_ptrIxEEEESE_SE_xNS9_4plusIvEENS9_8equal_toIxEExEE10hipError_tPvRmT2_T3_T4_T5_mT6_T7_P12ihipStream_tbENKUlT_T0_E_clISt17integral_constantIbLb1EESY_IbLb0EEEEDaSU_SV_EUlSU_E_NS1_11comp_targetILNS1_3genE10ELNS1_11target_archE1200ELNS1_3gpuE4ELNS1_3repE0EEENS1_30default_config_static_selectorELNS0_4arch9wavefront6targetE1EEEvT1_,"axG",@progbits,_ZN7rocprim17ROCPRIM_400000_NS6detail17trampoline_kernelINS0_14default_configENS1_27scan_by_key_config_selectorIxxEEZZNS1_16scan_by_key_implILNS1_25lookback_scan_determinismE0ELb1ES3_N6thrust23THRUST_200600_302600_NS6detail15normal_iteratorINS9_10device_ptrIxEEEESE_SE_xNS9_4plusIvEENS9_8equal_toIxEExEE10hipError_tPvRmT2_T3_T4_T5_mT6_T7_P12ihipStream_tbENKUlT_T0_E_clISt17integral_constantIbLb1EESY_IbLb0EEEEDaSU_SV_EUlSU_E_NS1_11comp_targetILNS1_3genE10ELNS1_11target_archE1200ELNS1_3gpuE4ELNS1_3repE0EEENS1_30default_config_static_selectorELNS0_4arch9wavefront6targetE1EEEvT1_,comdat
	.protected	_ZN7rocprim17ROCPRIM_400000_NS6detail17trampoline_kernelINS0_14default_configENS1_27scan_by_key_config_selectorIxxEEZZNS1_16scan_by_key_implILNS1_25lookback_scan_determinismE0ELb1ES3_N6thrust23THRUST_200600_302600_NS6detail15normal_iteratorINS9_10device_ptrIxEEEESE_SE_xNS9_4plusIvEENS9_8equal_toIxEExEE10hipError_tPvRmT2_T3_T4_T5_mT6_T7_P12ihipStream_tbENKUlT_T0_E_clISt17integral_constantIbLb1EESY_IbLb0EEEEDaSU_SV_EUlSU_E_NS1_11comp_targetILNS1_3genE10ELNS1_11target_archE1200ELNS1_3gpuE4ELNS1_3repE0EEENS1_30default_config_static_selectorELNS0_4arch9wavefront6targetE1EEEvT1_ ; -- Begin function _ZN7rocprim17ROCPRIM_400000_NS6detail17trampoline_kernelINS0_14default_configENS1_27scan_by_key_config_selectorIxxEEZZNS1_16scan_by_key_implILNS1_25lookback_scan_determinismE0ELb1ES3_N6thrust23THRUST_200600_302600_NS6detail15normal_iteratorINS9_10device_ptrIxEEEESE_SE_xNS9_4plusIvEENS9_8equal_toIxEExEE10hipError_tPvRmT2_T3_T4_T5_mT6_T7_P12ihipStream_tbENKUlT_T0_E_clISt17integral_constantIbLb1EESY_IbLb0EEEEDaSU_SV_EUlSU_E_NS1_11comp_targetILNS1_3genE10ELNS1_11target_archE1200ELNS1_3gpuE4ELNS1_3repE0EEENS1_30default_config_static_selectorELNS0_4arch9wavefront6targetE1EEEvT1_
	.globl	_ZN7rocprim17ROCPRIM_400000_NS6detail17trampoline_kernelINS0_14default_configENS1_27scan_by_key_config_selectorIxxEEZZNS1_16scan_by_key_implILNS1_25lookback_scan_determinismE0ELb1ES3_N6thrust23THRUST_200600_302600_NS6detail15normal_iteratorINS9_10device_ptrIxEEEESE_SE_xNS9_4plusIvEENS9_8equal_toIxEExEE10hipError_tPvRmT2_T3_T4_T5_mT6_T7_P12ihipStream_tbENKUlT_T0_E_clISt17integral_constantIbLb1EESY_IbLb0EEEEDaSU_SV_EUlSU_E_NS1_11comp_targetILNS1_3genE10ELNS1_11target_archE1200ELNS1_3gpuE4ELNS1_3repE0EEENS1_30default_config_static_selectorELNS0_4arch9wavefront6targetE1EEEvT1_
	.p2align	8
	.type	_ZN7rocprim17ROCPRIM_400000_NS6detail17trampoline_kernelINS0_14default_configENS1_27scan_by_key_config_selectorIxxEEZZNS1_16scan_by_key_implILNS1_25lookback_scan_determinismE0ELb1ES3_N6thrust23THRUST_200600_302600_NS6detail15normal_iteratorINS9_10device_ptrIxEEEESE_SE_xNS9_4plusIvEENS9_8equal_toIxEExEE10hipError_tPvRmT2_T3_T4_T5_mT6_T7_P12ihipStream_tbENKUlT_T0_E_clISt17integral_constantIbLb1EESY_IbLb0EEEEDaSU_SV_EUlSU_E_NS1_11comp_targetILNS1_3genE10ELNS1_11target_archE1200ELNS1_3gpuE4ELNS1_3repE0EEENS1_30default_config_static_selectorELNS0_4arch9wavefront6targetE1EEEvT1_,@function
_ZN7rocprim17ROCPRIM_400000_NS6detail17trampoline_kernelINS0_14default_configENS1_27scan_by_key_config_selectorIxxEEZZNS1_16scan_by_key_implILNS1_25lookback_scan_determinismE0ELb1ES3_N6thrust23THRUST_200600_302600_NS6detail15normal_iteratorINS9_10device_ptrIxEEEESE_SE_xNS9_4plusIvEENS9_8equal_toIxEExEE10hipError_tPvRmT2_T3_T4_T5_mT6_T7_P12ihipStream_tbENKUlT_T0_E_clISt17integral_constantIbLb1EESY_IbLb0EEEEDaSU_SV_EUlSU_E_NS1_11comp_targetILNS1_3genE10ELNS1_11target_archE1200ELNS1_3gpuE4ELNS1_3repE0EEENS1_30default_config_static_selectorELNS0_4arch9wavefront6targetE1EEEvT1_: ; @_ZN7rocprim17ROCPRIM_400000_NS6detail17trampoline_kernelINS0_14default_configENS1_27scan_by_key_config_selectorIxxEEZZNS1_16scan_by_key_implILNS1_25lookback_scan_determinismE0ELb1ES3_N6thrust23THRUST_200600_302600_NS6detail15normal_iteratorINS9_10device_ptrIxEEEESE_SE_xNS9_4plusIvEENS9_8equal_toIxEExEE10hipError_tPvRmT2_T3_T4_T5_mT6_T7_P12ihipStream_tbENKUlT_T0_E_clISt17integral_constantIbLb1EESY_IbLb0EEEEDaSU_SV_EUlSU_E_NS1_11comp_targetILNS1_3genE10ELNS1_11target_archE1200ELNS1_3gpuE4ELNS1_3repE0EEENS1_30default_config_static_selectorELNS0_4arch9wavefront6targetE1EEEvT1_
; %bb.0:
	.section	.rodata,"a",@progbits
	.p2align	6, 0x0
	.amdhsa_kernel _ZN7rocprim17ROCPRIM_400000_NS6detail17trampoline_kernelINS0_14default_configENS1_27scan_by_key_config_selectorIxxEEZZNS1_16scan_by_key_implILNS1_25lookback_scan_determinismE0ELb1ES3_N6thrust23THRUST_200600_302600_NS6detail15normal_iteratorINS9_10device_ptrIxEEEESE_SE_xNS9_4plusIvEENS9_8equal_toIxEExEE10hipError_tPvRmT2_T3_T4_T5_mT6_T7_P12ihipStream_tbENKUlT_T0_E_clISt17integral_constantIbLb1EESY_IbLb0EEEEDaSU_SV_EUlSU_E_NS1_11comp_targetILNS1_3genE10ELNS1_11target_archE1200ELNS1_3gpuE4ELNS1_3repE0EEENS1_30default_config_static_selectorELNS0_4arch9wavefront6targetE1EEEvT1_
		.amdhsa_group_segment_fixed_size 0
		.amdhsa_private_segment_fixed_size 0
		.amdhsa_kernarg_size 136
		.amdhsa_user_sgpr_count 2
		.amdhsa_user_sgpr_dispatch_ptr 0
		.amdhsa_user_sgpr_queue_ptr 0
		.amdhsa_user_sgpr_kernarg_segment_ptr 1
		.amdhsa_user_sgpr_dispatch_id 0
		.amdhsa_user_sgpr_kernarg_preload_length 0
		.amdhsa_user_sgpr_kernarg_preload_offset 0
		.amdhsa_user_sgpr_private_segment_size 0
		.amdhsa_uses_dynamic_stack 0
		.amdhsa_enable_private_segment 0
		.amdhsa_system_sgpr_workgroup_id_x 1
		.amdhsa_system_sgpr_workgroup_id_y 0
		.amdhsa_system_sgpr_workgroup_id_z 0
		.amdhsa_system_sgpr_workgroup_info 0
		.amdhsa_system_vgpr_workitem_id 0
		.amdhsa_next_free_vgpr 1
		.amdhsa_next_free_sgpr 0
		.amdhsa_accum_offset 4
		.amdhsa_reserve_vcc 0
		.amdhsa_float_round_mode_32 0
		.amdhsa_float_round_mode_16_64 0
		.amdhsa_float_denorm_mode_32 3
		.amdhsa_float_denorm_mode_16_64 3
		.amdhsa_dx10_clamp 1
		.amdhsa_ieee_mode 1
		.amdhsa_fp16_overflow 0
		.amdhsa_tg_split 0
		.amdhsa_exception_fp_ieee_invalid_op 0
		.amdhsa_exception_fp_denorm_src 0
		.amdhsa_exception_fp_ieee_div_zero 0
		.amdhsa_exception_fp_ieee_overflow 0
		.amdhsa_exception_fp_ieee_underflow 0
		.amdhsa_exception_fp_ieee_inexact 0
		.amdhsa_exception_int_div_zero 0
	.end_amdhsa_kernel
	.section	.text._ZN7rocprim17ROCPRIM_400000_NS6detail17trampoline_kernelINS0_14default_configENS1_27scan_by_key_config_selectorIxxEEZZNS1_16scan_by_key_implILNS1_25lookback_scan_determinismE0ELb1ES3_N6thrust23THRUST_200600_302600_NS6detail15normal_iteratorINS9_10device_ptrIxEEEESE_SE_xNS9_4plusIvEENS9_8equal_toIxEExEE10hipError_tPvRmT2_T3_T4_T5_mT6_T7_P12ihipStream_tbENKUlT_T0_E_clISt17integral_constantIbLb1EESY_IbLb0EEEEDaSU_SV_EUlSU_E_NS1_11comp_targetILNS1_3genE10ELNS1_11target_archE1200ELNS1_3gpuE4ELNS1_3repE0EEENS1_30default_config_static_selectorELNS0_4arch9wavefront6targetE1EEEvT1_,"axG",@progbits,_ZN7rocprim17ROCPRIM_400000_NS6detail17trampoline_kernelINS0_14default_configENS1_27scan_by_key_config_selectorIxxEEZZNS1_16scan_by_key_implILNS1_25lookback_scan_determinismE0ELb1ES3_N6thrust23THRUST_200600_302600_NS6detail15normal_iteratorINS9_10device_ptrIxEEEESE_SE_xNS9_4plusIvEENS9_8equal_toIxEExEE10hipError_tPvRmT2_T3_T4_T5_mT6_T7_P12ihipStream_tbENKUlT_T0_E_clISt17integral_constantIbLb1EESY_IbLb0EEEEDaSU_SV_EUlSU_E_NS1_11comp_targetILNS1_3genE10ELNS1_11target_archE1200ELNS1_3gpuE4ELNS1_3repE0EEENS1_30default_config_static_selectorELNS0_4arch9wavefront6targetE1EEEvT1_,comdat
.Lfunc_end449:
	.size	_ZN7rocprim17ROCPRIM_400000_NS6detail17trampoline_kernelINS0_14default_configENS1_27scan_by_key_config_selectorIxxEEZZNS1_16scan_by_key_implILNS1_25lookback_scan_determinismE0ELb1ES3_N6thrust23THRUST_200600_302600_NS6detail15normal_iteratorINS9_10device_ptrIxEEEESE_SE_xNS9_4plusIvEENS9_8equal_toIxEExEE10hipError_tPvRmT2_T3_T4_T5_mT6_T7_P12ihipStream_tbENKUlT_T0_E_clISt17integral_constantIbLb1EESY_IbLb0EEEEDaSU_SV_EUlSU_E_NS1_11comp_targetILNS1_3genE10ELNS1_11target_archE1200ELNS1_3gpuE4ELNS1_3repE0EEENS1_30default_config_static_selectorELNS0_4arch9wavefront6targetE1EEEvT1_, .Lfunc_end449-_ZN7rocprim17ROCPRIM_400000_NS6detail17trampoline_kernelINS0_14default_configENS1_27scan_by_key_config_selectorIxxEEZZNS1_16scan_by_key_implILNS1_25lookback_scan_determinismE0ELb1ES3_N6thrust23THRUST_200600_302600_NS6detail15normal_iteratorINS9_10device_ptrIxEEEESE_SE_xNS9_4plusIvEENS9_8equal_toIxEExEE10hipError_tPvRmT2_T3_T4_T5_mT6_T7_P12ihipStream_tbENKUlT_T0_E_clISt17integral_constantIbLb1EESY_IbLb0EEEEDaSU_SV_EUlSU_E_NS1_11comp_targetILNS1_3genE10ELNS1_11target_archE1200ELNS1_3gpuE4ELNS1_3repE0EEENS1_30default_config_static_selectorELNS0_4arch9wavefront6targetE1EEEvT1_
                                        ; -- End function
	.section	.AMDGPU.csdata,"",@progbits
; Kernel info:
; codeLenInByte = 0
; NumSgprs: 6
; NumVgprs: 0
; NumAgprs: 0
; TotalNumVgprs: 0
; ScratchSize: 0
; MemoryBound: 0
; FloatMode: 240
; IeeeMode: 1
; LDSByteSize: 0 bytes/workgroup (compile time only)
; SGPRBlocks: 0
; VGPRBlocks: 0
; NumSGPRsForWavesPerEU: 6
; NumVGPRsForWavesPerEU: 1
; AccumOffset: 4
; Occupancy: 8
; WaveLimiterHint : 0
; COMPUTE_PGM_RSRC2:SCRATCH_EN: 0
; COMPUTE_PGM_RSRC2:USER_SGPR: 2
; COMPUTE_PGM_RSRC2:TRAP_HANDLER: 0
; COMPUTE_PGM_RSRC2:TGID_X_EN: 1
; COMPUTE_PGM_RSRC2:TGID_Y_EN: 0
; COMPUTE_PGM_RSRC2:TGID_Z_EN: 0
; COMPUTE_PGM_RSRC2:TIDIG_COMP_CNT: 0
; COMPUTE_PGM_RSRC3_GFX90A:ACCUM_OFFSET: 0
; COMPUTE_PGM_RSRC3_GFX90A:TG_SPLIT: 0
	.section	.text._ZN7rocprim17ROCPRIM_400000_NS6detail17trampoline_kernelINS0_14default_configENS1_27scan_by_key_config_selectorIxxEEZZNS1_16scan_by_key_implILNS1_25lookback_scan_determinismE0ELb1ES3_N6thrust23THRUST_200600_302600_NS6detail15normal_iteratorINS9_10device_ptrIxEEEESE_SE_xNS9_4plusIvEENS9_8equal_toIxEExEE10hipError_tPvRmT2_T3_T4_T5_mT6_T7_P12ihipStream_tbENKUlT_T0_E_clISt17integral_constantIbLb1EESY_IbLb0EEEEDaSU_SV_EUlSU_E_NS1_11comp_targetILNS1_3genE9ELNS1_11target_archE1100ELNS1_3gpuE3ELNS1_3repE0EEENS1_30default_config_static_selectorELNS0_4arch9wavefront6targetE1EEEvT1_,"axG",@progbits,_ZN7rocprim17ROCPRIM_400000_NS6detail17trampoline_kernelINS0_14default_configENS1_27scan_by_key_config_selectorIxxEEZZNS1_16scan_by_key_implILNS1_25lookback_scan_determinismE0ELb1ES3_N6thrust23THRUST_200600_302600_NS6detail15normal_iteratorINS9_10device_ptrIxEEEESE_SE_xNS9_4plusIvEENS9_8equal_toIxEExEE10hipError_tPvRmT2_T3_T4_T5_mT6_T7_P12ihipStream_tbENKUlT_T0_E_clISt17integral_constantIbLb1EESY_IbLb0EEEEDaSU_SV_EUlSU_E_NS1_11comp_targetILNS1_3genE9ELNS1_11target_archE1100ELNS1_3gpuE3ELNS1_3repE0EEENS1_30default_config_static_selectorELNS0_4arch9wavefront6targetE1EEEvT1_,comdat
	.protected	_ZN7rocprim17ROCPRIM_400000_NS6detail17trampoline_kernelINS0_14default_configENS1_27scan_by_key_config_selectorIxxEEZZNS1_16scan_by_key_implILNS1_25lookback_scan_determinismE0ELb1ES3_N6thrust23THRUST_200600_302600_NS6detail15normal_iteratorINS9_10device_ptrIxEEEESE_SE_xNS9_4plusIvEENS9_8equal_toIxEExEE10hipError_tPvRmT2_T3_T4_T5_mT6_T7_P12ihipStream_tbENKUlT_T0_E_clISt17integral_constantIbLb1EESY_IbLb0EEEEDaSU_SV_EUlSU_E_NS1_11comp_targetILNS1_3genE9ELNS1_11target_archE1100ELNS1_3gpuE3ELNS1_3repE0EEENS1_30default_config_static_selectorELNS0_4arch9wavefront6targetE1EEEvT1_ ; -- Begin function _ZN7rocprim17ROCPRIM_400000_NS6detail17trampoline_kernelINS0_14default_configENS1_27scan_by_key_config_selectorIxxEEZZNS1_16scan_by_key_implILNS1_25lookback_scan_determinismE0ELb1ES3_N6thrust23THRUST_200600_302600_NS6detail15normal_iteratorINS9_10device_ptrIxEEEESE_SE_xNS9_4plusIvEENS9_8equal_toIxEExEE10hipError_tPvRmT2_T3_T4_T5_mT6_T7_P12ihipStream_tbENKUlT_T0_E_clISt17integral_constantIbLb1EESY_IbLb0EEEEDaSU_SV_EUlSU_E_NS1_11comp_targetILNS1_3genE9ELNS1_11target_archE1100ELNS1_3gpuE3ELNS1_3repE0EEENS1_30default_config_static_selectorELNS0_4arch9wavefront6targetE1EEEvT1_
	.globl	_ZN7rocprim17ROCPRIM_400000_NS6detail17trampoline_kernelINS0_14default_configENS1_27scan_by_key_config_selectorIxxEEZZNS1_16scan_by_key_implILNS1_25lookback_scan_determinismE0ELb1ES3_N6thrust23THRUST_200600_302600_NS6detail15normal_iteratorINS9_10device_ptrIxEEEESE_SE_xNS9_4plusIvEENS9_8equal_toIxEExEE10hipError_tPvRmT2_T3_T4_T5_mT6_T7_P12ihipStream_tbENKUlT_T0_E_clISt17integral_constantIbLb1EESY_IbLb0EEEEDaSU_SV_EUlSU_E_NS1_11comp_targetILNS1_3genE9ELNS1_11target_archE1100ELNS1_3gpuE3ELNS1_3repE0EEENS1_30default_config_static_selectorELNS0_4arch9wavefront6targetE1EEEvT1_
	.p2align	8
	.type	_ZN7rocprim17ROCPRIM_400000_NS6detail17trampoline_kernelINS0_14default_configENS1_27scan_by_key_config_selectorIxxEEZZNS1_16scan_by_key_implILNS1_25lookback_scan_determinismE0ELb1ES3_N6thrust23THRUST_200600_302600_NS6detail15normal_iteratorINS9_10device_ptrIxEEEESE_SE_xNS9_4plusIvEENS9_8equal_toIxEExEE10hipError_tPvRmT2_T3_T4_T5_mT6_T7_P12ihipStream_tbENKUlT_T0_E_clISt17integral_constantIbLb1EESY_IbLb0EEEEDaSU_SV_EUlSU_E_NS1_11comp_targetILNS1_3genE9ELNS1_11target_archE1100ELNS1_3gpuE3ELNS1_3repE0EEENS1_30default_config_static_selectorELNS0_4arch9wavefront6targetE1EEEvT1_,@function
_ZN7rocprim17ROCPRIM_400000_NS6detail17trampoline_kernelINS0_14default_configENS1_27scan_by_key_config_selectorIxxEEZZNS1_16scan_by_key_implILNS1_25lookback_scan_determinismE0ELb1ES3_N6thrust23THRUST_200600_302600_NS6detail15normal_iteratorINS9_10device_ptrIxEEEESE_SE_xNS9_4plusIvEENS9_8equal_toIxEExEE10hipError_tPvRmT2_T3_T4_T5_mT6_T7_P12ihipStream_tbENKUlT_T0_E_clISt17integral_constantIbLb1EESY_IbLb0EEEEDaSU_SV_EUlSU_E_NS1_11comp_targetILNS1_3genE9ELNS1_11target_archE1100ELNS1_3gpuE3ELNS1_3repE0EEENS1_30default_config_static_selectorELNS0_4arch9wavefront6targetE1EEEvT1_: ; @_ZN7rocprim17ROCPRIM_400000_NS6detail17trampoline_kernelINS0_14default_configENS1_27scan_by_key_config_selectorIxxEEZZNS1_16scan_by_key_implILNS1_25lookback_scan_determinismE0ELb1ES3_N6thrust23THRUST_200600_302600_NS6detail15normal_iteratorINS9_10device_ptrIxEEEESE_SE_xNS9_4plusIvEENS9_8equal_toIxEExEE10hipError_tPvRmT2_T3_T4_T5_mT6_T7_P12ihipStream_tbENKUlT_T0_E_clISt17integral_constantIbLb1EESY_IbLb0EEEEDaSU_SV_EUlSU_E_NS1_11comp_targetILNS1_3genE9ELNS1_11target_archE1100ELNS1_3gpuE3ELNS1_3repE0EEENS1_30default_config_static_selectorELNS0_4arch9wavefront6targetE1EEEvT1_
; %bb.0:
	.section	.rodata,"a",@progbits
	.p2align	6, 0x0
	.amdhsa_kernel _ZN7rocprim17ROCPRIM_400000_NS6detail17trampoline_kernelINS0_14default_configENS1_27scan_by_key_config_selectorIxxEEZZNS1_16scan_by_key_implILNS1_25lookback_scan_determinismE0ELb1ES3_N6thrust23THRUST_200600_302600_NS6detail15normal_iteratorINS9_10device_ptrIxEEEESE_SE_xNS9_4plusIvEENS9_8equal_toIxEExEE10hipError_tPvRmT2_T3_T4_T5_mT6_T7_P12ihipStream_tbENKUlT_T0_E_clISt17integral_constantIbLb1EESY_IbLb0EEEEDaSU_SV_EUlSU_E_NS1_11comp_targetILNS1_3genE9ELNS1_11target_archE1100ELNS1_3gpuE3ELNS1_3repE0EEENS1_30default_config_static_selectorELNS0_4arch9wavefront6targetE1EEEvT1_
		.amdhsa_group_segment_fixed_size 0
		.amdhsa_private_segment_fixed_size 0
		.amdhsa_kernarg_size 136
		.amdhsa_user_sgpr_count 2
		.amdhsa_user_sgpr_dispatch_ptr 0
		.amdhsa_user_sgpr_queue_ptr 0
		.amdhsa_user_sgpr_kernarg_segment_ptr 1
		.amdhsa_user_sgpr_dispatch_id 0
		.amdhsa_user_sgpr_kernarg_preload_length 0
		.amdhsa_user_sgpr_kernarg_preload_offset 0
		.amdhsa_user_sgpr_private_segment_size 0
		.amdhsa_uses_dynamic_stack 0
		.amdhsa_enable_private_segment 0
		.amdhsa_system_sgpr_workgroup_id_x 1
		.amdhsa_system_sgpr_workgroup_id_y 0
		.amdhsa_system_sgpr_workgroup_id_z 0
		.amdhsa_system_sgpr_workgroup_info 0
		.amdhsa_system_vgpr_workitem_id 0
		.amdhsa_next_free_vgpr 1
		.amdhsa_next_free_sgpr 0
		.amdhsa_accum_offset 4
		.amdhsa_reserve_vcc 0
		.amdhsa_float_round_mode_32 0
		.amdhsa_float_round_mode_16_64 0
		.amdhsa_float_denorm_mode_32 3
		.amdhsa_float_denorm_mode_16_64 3
		.amdhsa_dx10_clamp 1
		.amdhsa_ieee_mode 1
		.amdhsa_fp16_overflow 0
		.amdhsa_tg_split 0
		.amdhsa_exception_fp_ieee_invalid_op 0
		.amdhsa_exception_fp_denorm_src 0
		.amdhsa_exception_fp_ieee_div_zero 0
		.amdhsa_exception_fp_ieee_overflow 0
		.amdhsa_exception_fp_ieee_underflow 0
		.amdhsa_exception_fp_ieee_inexact 0
		.amdhsa_exception_int_div_zero 0
	.end_amdhsa_kernel
	.section	.text._ZN7rocprim17ROCPRIM_400000_NS6detail17trampoline_kernelINS0_14default_configENS1_27scan_by_key_config_selectorIxxEEZZNS1_16scan_by_key_implILNS1_25lookback_scan_determinismE0ELb1ES3_N6thrust23THRUST_200600_302600_NS6detail15normal_iteratorINS9_10device_ptrIxEEEESE_SE_xNS9_4plusIvEENS9_8equal_toIxEExEE10hipError_tPvRmT2_T3_T4_T5_mT6_T7_P12ihipStream_tbENKUlT_T0_E_clISt17integral_constantIbLb1EESY_IbLb0EEEEDaSU_SV_EUlSU_E_NS1_11comp_targetILNS1_3genE9ELNS1_11target_archE1100ELNS1_3gpuE3ELNS1_3repE0EEENS1_30default_config_static_selectorELNS0_4arch9wavefront6targetE1EEEvT1_,"axG",@progbits,_ZN7rocprim17ROCPRIM_400000_NS6detail17trampoline_kernelINS0_14default_configENS1_27scan_by_key_config_selectorIxxEEZZNS1_16scan_by_key_implILNS1_25lookback_scan_determinismE0ELb1ES3_N6thrust23THRUST_200600_302600_NS6detail15normal_iteratorINS9_10device_ptrIxEEEESE_SE_xNS9_4plusIvEENS9_8equal_toIxEExEE10hipError_tPvRmT2_T3_T4_T5_mT6_T7_P12ihipStream_tbENKUlT_T0_E_clISt17integral_constantIbLb1EESY_IbLb0EEEEDaSU_SV_EUlSU_E_NS1_11comp_targetILNS1_3genE9ELNS1_11target_archE1100ELNS1_3gpuE3ELNS1_3repE0EEENS1_30default_config_static_selectorELNS0_4arch9wavefront6targetE1EEEvT1_,comdat
.Lfunc_end450:
	.size	_ZN7rocprim17ROCPRIM_400000_NS6detail17trampoline_kernelINS0_14default_configENS1_27scan_by_key_config_selectorIxxEEZZNS1_16scan_by_key_implILNS1_25lookback_scan_determinismE0ELb1ES3_N6thrust23THRUST_200600_302600_NS6detail15normal_iteratorINS9_10device_ptrIxEEEESE_SE_xNS9_4plusIvEENS9_8equal_toIxEExEE10hipError_tPvRmT2_T3_T4_T5_mT6_T7_P12ihipStream_tbENKUlT_T0_E_clISt17integral_constantIbLb1EESY_IbLb0EEEEDaSU_SV_EUlSU_E_NS1_11comp_targetILNS1_3genE9ELNS1_11target_archE1100ELNS1_3gpuE3ELNS1_3repE0EEENS1_30default_config_static_selectorELNS0_4arch9wavefront6targetE1EEEvT1_, .Lfunc_end450-_ZN7rocprim17ROCPRIM_400000_NS6detail17trampoline_kernelINS0_14default_configENS1_27scan_by_key_config_selectorIxxEEZZNS1_16scan_by_key_implILNS1_25lookback_scan_determinismE0ELb1ES3_N6thrust23THRUST_200600_302600_NS6detail15normal_iteratorINS9_10device_ptrIxEEEESE_SE_xNS9_4plusIvEENS9_8equal_toIxEExEE10hipError_tPvRmT2_T3_T4_T5_mT6_T7_P12ihipStream_tbENKUlT_T0_E_clISt17integral_constantIbLb1EESY_IbLb0EEEEDaSU_SV_EUlSU_E_NS1_11comp_targetILNS1_3genE9ELNS1_11target_archE1100ELNS1_3gpuE3ELNS1_3repE0EEENS1_30default_config_static_selectorELNS0_4arch9wavefront6targetE1EEEvT1_
                                        ; -- End function
	.section	.AMDGPU.csdata,"",@progbits
; Kernel info:
; codeLenInByte = 0
; NumSgprs: 6
; NumVgprs: 0
; NumAgprs: 0
; TotalNumVgprs: 0
; ScratchSize: 0
; MemoryBound: 0
; FloatMode: 240
; IeeeMode: 1
; LDSByteSize: 0 bytes/workgroup (compile time only)
; SGPRBlocks: 0
; VGPRBlocks: 0
; NumSGPRsForWavesPerEU: 6
; NumVGPRsForWavesPerEU: 1
; AccumOffset: 4
; Occupancy: 8
; WaveLimiterHint : 0
; COMPUTE_PGM_RSRC2:SCRATCH_EN: 0
; COMPUTE_PGM_RSRC2:USER_SGPR: 2
; COMPUTE_PGM_RSRC2:TRAP_HANDLER: 0
; COMPUTE_PGM_RSRC2:TGID_X_EN: 1
; COMPUTE_PGM_RSRC2:TGID_Y_EN: 0
; COMPUTE_PGM_RSRC2:TGID_Z_EN: 0
; COMPUTE_PGM_RSRC2:TIDIG_COMP_CNT: 0
; COMPUTE_PGM_RSRC3_GFX90A:ACCUM_OFFSET: 0
; COMPUTE_PGM_RSRC3_GFX90A:TG_SPLIT: 0
	.section	.text._ZN7rocprim17ROCPRIM_400000_NS6detail17trampoline_kernelINS0_14default_configENS1_27scan_by_key_config_selectorIxxEEZZNS1_16scan_by_key_implILNS1_25lookback_scan_determinismE0ELb1ES3_N6thrust23THRUST_200600_302600_NS6detail15normal_iteratorINS9_10device_ptrIxEEEESE_SE_xNS9_4plusIvEENS9_8equal_toIxEExEE10hipError_tPvRmT2_T3_T4_T5_mT6_T7_P12ihipStream_tbENKUlT_T0_E_clISt17integral_constantIbLb1EESY_IbLb0EEEEDaSU_SV_EUlSU_E_NS1_11comp_targetILNS1_3genE8ELNS1_11target_archE1030ELNS1_3gpuE2ELNS1_3repE0EEENS1_30default_config_static_selectorELNS0_4arch9wavefront6targetE1EEEvT1_,"axG",@progbits,_ZN7rocprim17ROCPRIM_400000_NS6detail17trampoline_kernelINS0_14default_configENS1_27scan_by_key_config_selectorIxxEEZZNS1_16scan_by_key_implILNS1_25lookback_scan_determinismE0ELb1ES3_N6thrust23THRUST_200600_302600_NS6detail15normal_iteratorINS9_10device_ptrIxEEEESE_SE_xNS9_4plusIvEENS9_8equal_toIxEExEE10hipError_tPvRmT2_T3_T4_T5_mT6_T7_P12ihipStream_tbENKUlT_T0_E_clISt17integral_constantIbLb1EESY_IbLb0EEEEDaSU_SV_EUlSU_E_NS1_11comp_targetILNS1_3genE8ELNS1_11target_archE1030ELNS1_3gpuE2ELNS1_3repE0EEENS1_30default_config_static_selectorELNS0_4arch9wavefront6targetE1EEEvT1_,comdat
	.protected	_ZN7rocprim17ROCPRIM_400000_NS6detail17trampoline_kernelINS0_14default_configENS1_27scan_by_key_config_selectorIxxEEZZNS1_16scan_by_key_implILNS1_25lookback_scan_determinismE0ELb1ES3_N6thrust23THRUST_200600_302600_NS6detail15normal_iteratorINS9_10device_ptrIxEEEESE_SE_xNS9_4plusIvEENS9_8equal_toIxEExEE10hipError_tPvRmT2_T3_T4_T5_mT6_T7_P12ihipStream_tbENKUlT_T0_E_clISt17integral_constantIbLb1EESY_IbLb0EEEEDaSU_SV_EUlSU_E_NS1_11comp_targetILNS1_3genE8ELNS1_11target_archE1030ELNS1_3gpuE2ELNS1_3repE0EEENS1_30default_config_static_selectorELNS0_4arch9wavefront6targetE1EEEvT1_ ; -- Begin function _ZN7rocprim17ROCPRIM_400000_NS6detail17trampoline_kernelINS0_14default_configENS1_27scan_by_key_config_selectorIxxEEZZNS1_16scan_by_key_implILNS1_25lookback_scan_determinismE0ELb1ES3_N6thrust23THRUST_200600_302600_NS6detail15normal_iteratorINS9_10device_ptrIxEEEESE_SE_xNS9_4plusIvEENS9_8equal_toIxEExEE10hipError_tPvRmT2_T3_T4_T5_mT6_T7_P12ihipStream_tbENKUlT_T0_E_clISt17integral_constantIbLb1EESY_IbLb0EEEEDaSU_SV_EUlSU_E_NS1_11comp_targetILNS1_3genE8ELNS1_11target_archE1030ELNS1_3gpuE2ELNS1_3repE0EEENS1_30default_config_static_selectorELNS0_4arch9wavefront6targetE1EEEvT1_
	.globl	_ZN7rocprim17ROCPRIM_400000_NS6detail17trampoline_kernelINS0_14default_configENS1_27scan_by_key_config_selectorIxxEEZZNS1_16scan_by_key_implILNS1_25lookback_scan_determinismE0ELb1ES3_N6thrust23THRUST_200600_302600_NS6detail15normal_iteratorINS9_10device_ptrIxEEEESE_SE_xNS9_4plusIvEENS9_8equal_toIxEExEE10hipError_tPvRmT2_T3_T4_T5_mT6_T7_P12ihipStream_tbENKUlT_T0_E_clISt17integral_constantIbLb1EESY_IbLb0EEEEDaSU_SV_EUlSU_E_NS1_11comp_targetILNS1_3genE8ELNS1_11target_archE1030ELNS1_3gpuE2ELNS1_3repE0EEENS1_30default_config_static_selectorELNS0_4arch9wavefront6targetE1EEEvT1_
	.p2align	8
	.type	_ZN7rocprim17ROCPRIM_400000_NS6detail17trampoline_kernelINS0_14default_configENS1_27scan_by_key_config_selectorIxxEEZZNS1_16scan_by_key_implILNS1_25lookback_scan_determinismE0ELb1ES3_N6thrust23THRUST_200600_302600_NS6detail15normal_iteratorINS9_10device_ptrIxEEEESE_SE_xNS9_4plusIvEENS9_8equal_toIxEExEE10hipError_tPvRmT2_T3_T4_T5_mT6_T7_P12ihipStream_tbENKUlT_T0_E_clISt17integral_constantIbLb1EESY_IbLb0EEEEDaSU_SV_EUlSU_E_NS1_11comp_targetILNS1_3genE8ELNS1_11target_archE1030ELNS1_3gpuE2ELNS1_3repE0EEENS1_30default_config_static_selectorELNS0_4arch9wavefront6targetE1EEEvT1_,@function
_ZN7rocprim17ROCPRIM_400000_NS6detail17trampoline_kernelINS0_14default_configENS1_27scan_by_key_config_selectorIxxEEZZNS1_16scan_by_key_implILNS1_25lookback_scan_determinismE0ELb1ES3_N6thrust23THRUST_200600_302600_NS6detail15normal_iteratorINS9_10device_ptrIxEEEESE_SE_xNS9_4plusIvEENS9_8equal_toIxEExEE10hipError_tPvRmT2_T3_T4_T5_mT6_T7_P12ihipStream_tbENKUlT_T0_E_clISt17integral_constantIbLb1EESY_IbLb0EEEEDaSU_SV_EUlSU_E_NS1_11comp_targetILNS1_3genE8ELNS1_11target_archE1030ELNS1_3gpuE2ELNS1_3repE0EEENS1_30default_config_static_selectorELNS0_4arch9wavefront6targetE1EEEvT1_: ; @_ZN7rocprim17ROCPRIM_400000_NS6detail17trampoline_kernelINS0_14default_configENS1_27scan_by_key_config_selectorIxxEEZZNS1_16scan_by_key_implILNS1_25lookback_scan_determinismE0ELb1ES3_N6thrust23THRUST_200600_302600_NS6detail15normal_iteratorINS9_10device_ptrIxEEEESE_SE_xNS9_4plusIvEENS9_8equal_toIxEExEE10hipError_tPvRmT2_T3_T4_T5_mT6_T7_P12ihipStream_tbENKUlT_T0_E_clISt17integral_constantIbLb1EESY_IbLb0EEEEDaSU_SV_EUlSU_E_NS1_11comp_targetILNS1_3genE8ELNS1_11target_archE1030ELNS1_3gpuE2ELNS1_3repE0EEENS1_30default_config_static_selectorELNS0_4arch9wavefront6targetE1EEEvT1_
; %bb.0:
	.section	.rodata,"a",@progbits
	.p2align	6, 0x0
	.amdhsa_kernel _ZN7rocprim17ROCPRIM_400000_NS6detail17trampoline_kernelINS0_14default_configENS1_27scan_by_key_config_selectorIxxEEZZNS1_16scan_by_key_implILNS1_25lookback_scan_determinismE0ELb1ES3_N6thrust23THRUST_200600_302600_NS6detail15normal_iteratorINS9_10device_ptrIxEEEESE_SE_xNS9_4plusIvEENS9_8equal_toIxEExEE10hipError_tPvRmT2_T3_T4_T5_mT6_T7_P12ihipStream_tbENKUlT_T0_E_clISt17integral_constantIbLb1EESY_IbLb0EEEEDaSU_SV_EUlSU_E_NS1_11comp_targetILNS1_3genE8ELNS1_11target_archE1030ELNS1_3gpuE2ELNS1_3repE0EEENS1_30default_config_static_selectorELNS0_4arch9wavefront6targetE1EEEvT1_
		.amdhsa_group_segment_fixed_size 0
		.amdhsa_private_segment_fixed_size 0
		.amdhsa_kernarg_size 136
		.amdhsa_user_sgpr_count 2
		.amdhsa_user_sgpr_dispatch_ptr 0
		.amdhsa_user_sgpr_queue_ptr 0
		.amdhsa_user_sgpr_kernarg_segment_ptr 1
		.amdhsa_user_sgpr_dispatch_id 0
		.amdhsa_user_sgpr_kernarg_preload_length 0
		.amdhsa_user_sgpr_kernarg_preload_offset 0
		.amdhsa_user_sgpr_private_segment_size 0
		.amdhsa_uses_dynamic_stack 0
		.amdhsa_enable_private_segment 0
		.amdhsa_system_sgpr_workgroup_id_x 1
		.amdhsa_system_sgpr_workgroup_id_y 0
		.amdhsa_system_sgpr_workgroup_id_z 0
		.amdhsa_system_sgpr_workgroup_info 0
		.amdhsa_system_vgpr_workitem_id 0
		.amdhsa_next_free_vgpr 1
		.amdhsa_next_free_sgpr 0
		.amdhsa_accum_offset 4
		.amdhsa_reserve_vcc 0
		.amdhsa_float_round_mode_32 0
		.amdhsa_float_round_mode_16_64 0
		.amdhsa_float_denorm_mode_32 3
		.amdhsa_float_denorm_mode_16_64 3
		.amdhsa_dx10_clamp 1
		.amdhsa_ieee_mode 1
		.amdhsa_fp16_overflow 0
		.amdhsa_tg_split 0
		.amdhsa_exception_fp_ieee_invalid_op 0
		.amdhsa_exception_fp_denorm_src 0
		.amdhsa_exception_fp_ieee_div_zero 0
		.amdhsa_exception_fp_ieee_overflow 0
		.amdhsa_exception_fp_ieee_underflow 0
		.amdhsa_exception_fp_ieee_inexact 0
		.amdhsa_exception_int_div_zero 0
	.end_amdhsa_kernel
	.section	.text._ZN7rocprim17ROCPRIM_400000_NS6detail17trampoline_kernelINS0_14default_configENS1_27scan_by_key_config_selectorIxxEEZZNS1_16scan_by_key_implILNS1_25lookback_scan_determinismE0ELb1ES3_N6thrust23THRUST_200600_302600_NS6detail15normal_iteratorINS9_10device_ptrIxEEEESE_SE_xNS9_4plusIvEENS9_8equal_toIxEExEE10hipError_tPvRmT2_T3_T4_T5_mT6_T7_P12ihipStream_tbENKUlT_T0_E_clISt17integral_constantIbLb1EESY_IbLb0EEEEDaSU_SV_EUlSU_E_NS1_11comp_targetILNS1_3genE8ELNS1_11target_archE1030ELNS1_3gpuE2ELNS1_3repE0EEENS1_30default_config_static_selectorELNS0_4arch9wavefront6targetE1EEEvT1_,"axG",@progbits,_ZN7rocprim17ROCPRIM_400000_NS6detail17trampoline_kernelINS0_14default_configENS1_27scan_by_key_config_selectorIxxEEZZNS1_16scan_by_key_implILNS1_25lookback_scan_determinismE0ELb1ES3_N6thrust23THRUST_200600_302600_NS6detail15normal_iteratorINS9_10device_ptrIxEEEESE_SE_xNS9_4plusIvEENS9_8equal_toIxEExEE10hipError_tPvRmT2_T3_T4_T5_mT6_T7_P12ihipStream_tbENKUlT_T0_E_clISt17integral_constantIbLb1EESY_IbLb0EEEEDaSU_SV_EUlSU_E_NS1_11comp_targetILNS1_3genE8ELNS1_11target_archE1030ELNS1_3gpuE2ELNS1_3repE0EEENS1_30default_config_static_selectorELNS0_4arch9wavefront6targetE1EEEvT1_,comdat
.Lfunc_end451:
	.size	_ZN7rocprim17ROCPRIM_400000_NS6detail17trampoline_kernelINS0_14default_configENS1_27scan_by_key_config_selectorIxxEEZZNS1_16scan_by_key_implILNS1_25lookback_scan_determinismE0ELb1ES3_N6thrust23THRUST_200600_302600_NS6detail15normal_iteratorINS9_10device_ptrIxEEEESE_SE_xNS9_4plusIvEENS9_8equal_toIxEExEE10hipError_tPvRmT2_T3_T4_T5_mT6_T7_P12ihipStream_tbENKUlT_T0_E_clISt17integral_constantIbLb1EESY_IbLb0EEEEDaSU_SV_EUlSU_E_NS1_11comp_targetILNS1_3genE8ELNS1_11target_archE1030ELNS1_3gpuE2ELNS1_3repE0EEENS1_30default_config_static_selectorELNS0_4arch9wavefront6targetE1EEEvT1_, .Lfunc_end451-_ZN7rocprim17ROCPRIM_400000_NS6detail17trampoline_kernelINS0_14default_configENS1_27scan_by_key_config_selectorIxxEEZZNS1_16scan_by_key_implILNS1_25lookback_scan_determinismE0ELb1ES3_N6thrust23THRUST_200600_302600_NS6detail15normal_iteratorINS9_10device_ptrIxEEEESE_SE_xNS9_4plusIvEENS9_8equal_toIxEExEE10hipError_tPvRmT2_T3_T4_T5_mT6_T7_P12ihipStream_tbENKUlT_T0_E_clISt17integral_constantIbLb1EESY_IbLb0EEEEDaSU_SV_EUlSU_E_NS1_11comp_targetILNS1_3genE8ELNS1_11target_archE1030ELNS1_3gpuE2ELNS1_3repE0EEENS1_30default_config_static_selectorELNS0_4arch9wavefront6targetE1EEEvT1_
                                        ; -- End function
	.section	.AMDGPU.csdata,"",@progbits
; Kernel info:
; codeLenInByte = 0
; NumSgprs: 6
; NumVgprs: 0
; NumAgprs: 0
; TotalNumVgprs: 0
; ScratchSize: 0
; MemoryBound: 0
; FloatMode: 240
; IeeeMode: 1
; LDSByteSize: 0 bytes/workgroup (compile time only)
; SGPRBlocks: 0
; VGPRBlocks: 0
; NumSGPRsForWavesPerEU: 6
; NumVGPRsForWavesPerEU: 1
; AccumOffset: 4
; Occupancy: 8
; WaveLimiterHint : 0
; COMPUTE_PGM_RSRC2:SCRATCH_EN: 0
; COMPUTE_PGM_RSRC2:USER_SGPR: 2
; COMPUTE_PGM_RSRC2:TRAP_HANDLER: 0
; COMPUTE_PGM_RSRC2:TGID_X_EN: 1
; COMPUTE_PGM_RSRC2:TGID_Y_EN: 0
; COMPUTE_PGM_RSRC2:TGID_Z_EN: 0
; COMPUTE_PGM_RSRC2:TIDIG_COMP_CNT: 0
; COMPUTE_PGM_RSRC3_GFX90A:ACCUM_OFFSET: 0
; COMPUTE_PGM_RSRC3_GFX90A:TG_SPLIT: 0
	.section	.text._ZN7rocprim17ROCPRIM_400000_NS6detail17trampoline_kernelINS0_14default_configENS1_27scan_by_key_config_selectorIxxEEZZNS1_16scan_by_key_implILNS1_25lookback_scan_determinismE0ELb1ES3_N6thrust23THRUST_200600_302600_NS6detail15normal_iteratorINS9_10device_ptrIxEEEESE_SE_xNS9_4plusIvEENS9_8equal_toIxEExEE10hipError_tPvRmT2_T3_T4_T5_mT6_T7_P12ihipStream_tbENKUlT_T0_E_clISt17integral_constantIbLb0EESY_IbLb1EEEEDaSU_SV_EUlSU_E_NS1_11comp_targetILNS1_3genE0ELNS1_11target_archE4294967295ELNS1_3gpuE0ELNS1_3repE0EEENS1_30default_config_static_selectorELNS0_4arch9wavefront6targetE1EEEvT1_,"axG",@progbits,_ZN7rocprim17ROCPRIM_400000_NS6detail17trampoline_kernelINS0_14default_configENS1_27scan_by_key_config_selectorIxxEEZZNS1_16scan_by_key_implILNS1_25lookback_scan_determinismE0ELb1ES3_N6thrust23THRUST_200600_302600_NS6detail15normal_iteratorINS9_10device_ptrIxEEEESE_SE_xNS9_4plusIvEENS9_8equal_toIxEExEE10hipError_tPvRmT2_T3_T4_T5_mT6_T7_P12ihipStream_tbENKUlT_T0_E_clISt17integral_constantIbLb0EESY_IbLb1EEEEDaSU_SV_EUlSU_E_NS1_11comp_targetILNS1_3genE0ELNS1_11target_archE4294967295ELNS1_3gpuE0ELNS1_3repE0EEENS1_30default_config_static_selectorELNS0_4arch9wavefront6targetE1EEEvT1_,comdat
	.protected	_ZN7rocprim17ROCPRIM_400000_NS6detail17trampoline_kernelINS0_14default_configENS1_27scan_by_key_config_selectorIxxEEZZNS1_16scan_by_key_implILNS1_25lookback_scan_determinismE0ELb1ES3_N6thrust23THRUST_200600_302600_NS6detail15normal_iteratorINS9_10device_ptrIxEEEESE_SE_xNS9_4plusIvEENS9_8equal_toIxEExEE10hipError_tPvRmT2_T3_T4_T5_mT6_T7_P12ihipStream_tbENKUlT_T0_E_clISt17integral_constantIbLb0EESY_IbLb1EEEEDaSU_SV_EUlSU_E_NS1_11comp_targetILNS1_3genE0ELNS1_11target_archE4294967295ELNS1_3gpuE0ELNS1_3repE0EEENS1_30default_config_static_selectorELNS0_4arch9wavefront6targetE1EEEvT1_ ; -- Begin function _ZN7rocprim17ROCPRIM_400000_NS6detail17trampoline_kernelINS0_14default_configENS1_27scan_by_key_config_selectorIxxEEZZNS1_16scan_by_key_implILNS1_25lookback_scan_determinismE0ELb1ES3_N6thrust23THRUST_200600_302600_NS6detail15normal_iteratorINS9_10device_ptrIxEEEESE_SE_xNS9_4plusIvEENS9_8equal_toIxEExEE10hipError_tPvRmT2_T3_T4_T5_mT6_T7_P12ihipStream_tbENKUlT_T0_E_clISt17integral_constantIbLb0EESY_IbLb1EEEEDaSU_SV_EUlSU_E_NS1_11comp_targetILNS1_3genE0ELNS1_11target_archE4294967295ELNS1_3gpuE0ELNS1_3repE0EEENS1_30default_config_static_selectorELNS0_4arch9wavefront6targetE1EEEvT1_
	.globl	_ZN7rocprim17ROCPRIM_400000_NS6detail17trampoline_kernelINS0_14default_configENS1_27scan_by_key_config_selectorIxxEEZZNS1_16scan_by_key_implILNS1_25lookback_scan_determinismE0ELb1ES3_N6thrust23THRUST_200600_302600_NS6detail15normal_iteratorINS9_10device_ptrIxEEEESE_SE_xNS9_4plusIvEENS9_8equal_toIxEExEE10hipError_tPvRmT2_T3_T4_T5_mT6_T7_P12ihipStream_tbENKUlT_T0_E_clISt17integral_constantIbLb0EESY_IbLb1EEEEDaSU_SV_EUlSU_E_NS1_11comp_targetILNS1_3genE0ELNS1_11target_archE4294967295ELNS1_3gpuE0ELNS1_3repE0EEENS1_30default_config_static_selectorELNS0_4arch9wavefront6targetE1EEEvT1_
	.p2align	8
	.type	_ZN7rocprim17ROCPRIM_400000_NS6detail17trampoline_kernelINS0_14default_configENS1_27scan_by_key_config_selectorIxxEEZZNS1_16scan_by_key_implILNS1_25lookback_scan_determinismE0ELb1ES3_N6thrust23THRUST_200600_302600_NS6detail15normal_iteratorINS9_10device_ptrIxEEEESE_SE_xNS9_4plusIvEENS9_8equal_toIxEExEE10hipError_tPvRmT2_T3_T4_T5_mT6_T7_P12ihipStream_tbENKUlT_T0_E_clISt17integral_constantIbLb0EESY_IbLb1EEEEDaSU_SV_EUlSU_E_NS1_11comp_targetILNS1_3genE0ELNS1_11target_archE4294967295ELNS1_3gpuE0ELNS1_3repE0EEENS1_30default_config_static_selectorELNS0_4arch9wavefront6targetE1EEEvT1_,@function
_ZN7rocprim17ROCPRIM_400000_NS6detail17trampoline_kernelINS0_14default_configENS1_27scan_by_key_config_selectorIxxEEZZNS1_16scan_by_key_implILNS1_25lookback_scan_determinismE0ELb1ES3_N6thrust23THRUST_200600_302600_NS6detail15normal_iteratorINS9_10device_ptrIxEEEESE_SE_xNS9_4plusIvEENS9_8equal_toIxEExEE10hipError_tPvRmT2_T3_T4_T5_mT6_T7_P12ihipStream_tbENKUlT_T0_E_clISt17integral_constantIbLb0EESY_IbLb1EEEEDaSU_SV_EUlSU_E_NS1_11comp_targetILNS1_3genE0ELNS1_11target_archE4294967295ELNS1_3gpuE0ELNS1_3repE0EEENS1_30default_config_static_selectorELNS0_4arch9wavefront6targetE1EEEvT1_: ; @_ZN7rocprim17ROCPRIM_400000_NS6detail17trampoline_kernelINS0_14default_configENS1_27scan_by_key_config_selectorIxxEEZZNS1_16scan_by_key_implILNS1_25lookback_scan_determinismE0ELb1ES3_N6thrust23THRUST_200600_302600_NS6detail15normal_iteratorINS9_10device_ptrIxEEEESE_SE_xNS9_4plusIvEENS9_8equal_toIxEExEE10hipError_tPvRmT2_T3_T4_T5_mT6_T7_P12ihipStream_tbENKUlT_T0_E_clISt17integral_constantIbLb0EESY_IbLb1EEEEDaSU_SV_EUlSU_E_NS1_11comp_targetILNS1_3genE0ELNS1_11target_archE4294967295ELNS1_3gpuE0ELNS1_3repE0EEENS1_30default_config_static_selectorELNS0_4arch9wavefront6targetE1EEEvT1_
; %bb.0:
	.section	.rodata,"a",@progbits
	.p2align	6, 0x0
	.amdhsa_kernel _ZN7rocprim17ROCPRIM_400000_NS6detail17trampoline_kernelINS0_14default_configENS1_27scan_by_key_config_selectorIxxEEZZNS1_16scan_by_key_implILNS1_25lookback_scan_determinismE0ELb1ES3_N6thrust23THRUST_200600_302600_NS6detail15normal_iteratorINS9_10device_ptrIxEEEESE_SE_xNS9_4plusIvEENS9_8equal_toIxEExEE10hipError_tPvRmT2_T3_T4_T5_mT6_T7_P12ihipStream_tbENKUlT_T0_E_clISt17integral_constantIbLb0EESY_IbLb1EEEEDaSU_SV_EUlSU_E_NS1_11comp_targetILNS1_3genE0ELNS1_11target_archE4294967295ELNS1_3gpuE0ELNS1_3repE0EEENS1_30default_config_static_selectorELNS0_4arch9wavefront6targetE1EEEvT1_
		.amdhsa_group_segment_fixed_size 0
		.amdhsa_private_segment_fixed_size 0
		.amdhsa_kernarg_size 136
		.amdhsa_user_sgpr_count 2
		.amdhsa_user_sgpr_dispatch_ptr 0
		.amdhsa_user_sgpr_queue_ptr 0
		.amdhsa_user_sgpr_kernarg_segment_ptr 1
		.amdhsa_user_sgpr_dispatch_id 0
		.amdhsa_user_sgpr_kernarg_preload_length 0
		.amdhsa_user_sgpr_kernarg_preload_offset 0
		.amdhsa_user_sgpr_private_segment_size 0
		.amdhsa_uses_dynamic_stack 0
		.amdhsa_enable_private_segment 0
		.amdhsa_system_sgpr_workgroup_id_x 1
		.amdhsa_system_sgpr_workgroup_id_y 0
		.amdhsa_system_sgpr_workgroup_id_z 0
		.amdhsa_system_sgpr_workgroup_info 0
		.amdhsa_system_vgpr_workitem_id 0
		.amdhsa_next_free_vgpr 1
		.amdhsa_next_free_sgpr 0
		.amdhsa_accum_offset 4
		.amdhsa_reserve_vcc 0
		.amdhsa_float_round_mode_32 0
		.amdhsa_float_round_mode_16_64 0
		.amdhsa_float_denorm_mode_32 3
		.amdhsa_float_denorm_mode_16_64 3
		.amdhsa_dx10_clamp 1
		.amdhsa_ieee_mode 1
		.amdhsa_fp16_overflow 0
		.amdhsa_tg_split 0
		.amdhsa_exception_fp_ieee_invalid_op 0
		.amdhsa_exception_fp_denorm_src 0
		.amdhsa_exception_fp_ieee_div_zero 0
		.amdhsa_exception_fp_ieee_overflow 0
		.amdhsa_exception_fp_ieee_underflow 0
		.amdhsa_exception_fp_ieee_inexact 0
		.amdhsa_exception_int_div_zero 0
	.end_amdhsa_kernel
	.section	.text._ZN7rocprim17ROCPRIM_400000_NS6detail17trampoline_kernelINS0_14default_configENS1_27scan_by_key_config_selectorIxxEEZZNS1_16scan_by_key_implILNS1_25lookback_scan_determinismE0ELb1ES3_N6thrust23THRUST_200600_302600_NS6detail15normal_iteratorINS9_10device_ptrIxEEEESE_SE_xNS9_4plusIvEENS9_8equal_toIxEExEE10hipError_tPvRmT2_T3_T4_T5_mT6_T7_P12ihipStream_tbENKUlT_T0_E_clISt17integral_constantIbLb0EESY_IbLb1EEEEDaSU_SV_EUlSU_E_NS1_11comp_targetILNS1_3genE0ELNS1_11target_archE4294967295ELNS1_3gpuE0ELNS1_3repE0EEENS1_30default_config_static_selectorELNS0_4arch9wavefront6targetE1EEEvT1_,"axG",@progbits,_ZN7rocprim17ROCPRIM_400000_NS6detail17trampoline_kernelINS0_14default_configENS1_27scan_by_key_config_selectorIxxEEZZNS1_16scan_by_key_implILNS1_25lookback_scan_determinismE0ELb1ES3_N6thrust23THRUST_200600_302600_NS6detail15normal_iteratorINS9_10device_ptrIxEEEESE_SE_xNS9_4plusIvEENS9_8equal_toIxEExEE10hipError_tPvRmT2_T3_T4_T5_mT6_T7_P12ihipStream_tbENKUlT_T0_E_clISt17integral_constantIbLb0EESY_IbLb1EEEEDaSU_SV_EUlSU_E_NS1_11comp_targetILNS1_3genE0ELNS1_11target_archE4294967295ELNS1_3gpuE0ELNS1_3repE0EEENS1_30default_config_static_selectorELNS0_4arch9wavefront6targetE1EEEvT1_,comdat
.Lfunc_end452:
	.size	_ZN7rocprim17ROCPRIM_400000_NS6detail17trampoline_kernelINS0_14default_configENS1_27scan_by_key_config_selectorIxxEEZZNS1_16scan_by_key_implILNS1_25lookback_scan_determinismE0ELb1ES3_N6thrust23THRUST_200600_302600_NS6detail15normal_iteratorINS9_10device_ptrIxEEEESE_SE_xNS9_4plusIvEENS9_8equal_toIxEExEE10hipError_tPvRmT2_T3_T4_T5_mT6_T7_P12ihipStream_tbENKUlT_T0_E_clISt17integral_constantIbLb0EESY_IbLb1EEEEDaSU_SV_EUlSU_E_NS1_11comp_targetILNS1_3genE0ELNS1_11target_archE4294967295ELNS1_3gpuE0ELNS1_3repE0EEENS1_30default_config_static_selectorELNS0_4arch9wavefront6targetE1EEEvT1_, .Lfunc_end452-_ZN7rocprim17ROCPRIM_400000_NS6detail17trampoline_kernelINS0_14default_configENS1_27scan_by_key_config_selectorIxxEEZZNS1_16scan_by_key_implILNS1_25lookback_scan_determinismE0ELb1ES3_N6thrust23THRUST_200600_302600_NS6detail15normal_iteratorINS9_10device_ptrIxEEEESE_SE_xNS9_4plusIvEENS9_8equal_toIxEExEE10hipError_tPvRmT2_T3_T4_T5_mT6_T7_P12ihipStream_tbENKUlT_T0_E_clISt17integral_constantIbLb0EESY_IbLb1EEEEDaSU_SV_EUlSU_E_NS1_11comp_targetILNS1_3genE0ELNS1_11target_archE4294967295ELNS1_3gpuE0ELNS1_3repE0EEENS1_30default_config_static_selectorELNS0_4arch9wavefront6targetE1EEEvT1_
                                        ; -- End function
	.section	.AMDGPU.csdata,"",@progbits
; Kernel info:
; codeLenInByte = 0
; NumSgprs: 6
; NumVgprs: 0
; NumAgprs: 0
; TotalNumVgprs: 0
; ScratchSize: 0
; MemoryBound: 0
; FloatMode: 240
; IeeeMode: 1
; LDSByteSize: 0 bytes/workgroup (compile time only)
; SGPRBlocks: 0
; VGPRBlocks: 0
; NumSGPRsForWavesPerEU: 6
; NumVGPRsForWavesPerEU: 1
; AccumOffset: 4
; Occupancy: 8
; WaveLimiterHint : 0
; COMPUTE_PGM_RSRC2:SCRATCH_EN: 0
; COMPUTE_PGM_RSRC2:USER_SGPR: 2
; COMPUTE_PGM_RSRC2:TRAP_HANDLER: 0
; COMPUTE_PGM_RSRC2:TGID_X_EN: 1
; COMPUTE_PGM_RSRC2:TGID_Y_EN: 0
; COMPUTE_PGM_RSRC2:TGID_Z_EN: 0
; COMPUTE_PGM_RSRC2:TIDIG_COMP_CNT: 0
; COMPUTE_PGM_RSRC3_GFX90A:ACCUM_OFFSET: 0
; COMPUTE_PGM_RSRC3_GFX90A:TG_SPLIT: 0
	.section	.text._ZN7rocprim17ROCPRIM_400000_NS6detail17trampoline_kernelINS0_14default_configENS1_27scan_by_key_config_selectorIxxEEZZNS1_16scan_by_key_implILNS1_25lookback_scan_determinismE0ELb1ES3_N6thrust23THRUST_200600_302600_NS6detail15normal_iteratorINS9_10device_ptrIxEEEESE_SE_xNS9_4plusIvEENS9_8equal_toIxEExEE10hipError_tPvRmT2_T3_T4_T5_mT6_T7_P12ihipStream_tbENKUlT_T0_E_clISt17integral_constantIbLb0EESY_IbLb1EEEEDaSU_SV_EUlSU_E_NS1_11comp_targetILNS1_3genE10ELNS1_11target_archE1201ELNS1_3gpuE5ELNS1_3repE0EEENS1_30default_config_static_selectorELNS0_4arch9wavefront6targetE1EEEvT1_,"axG",@progbits,_ZN7rocprim17ROCPRIM_400000_NS6detail17trampoline_kernelINS0_14default_configENS1_27scan_by_key_config_selectorIxxEEZZNS1_16scan_by_key_implILNS1_25lookback_scan_determinismE0ELb1ES3_N6thrust23THRUST_200600_302600_NS6detail15normal_iteratorINS9_10device_ptrIxEEEESE_SE_xNS9_4plusIvEENS9_8equal_toIxEExEE10hipError_tPvRmT2_T3_T4_T5_mT6_T7_P12ihipStream_tbENKUlT_T0_E_clISt17integral_constantIbLb0EESY_IbLb1EEEEDaSU_SV_EUlSU_E_NS1_11comp_targetILNS1_3genE10ELNS1_11target_archE1201ELNS1_3gpuE5ELNS1_3repE0EEENS1_30default_config_static_selectorELNS0_4arch9wavefront6targetE1EEEvT1_,comdat
	.protected	_ZN7rocprim17ROCPRIM_400000_NS6detail17trampoline_kernelINS0_14default_configENS1_27scan_by_key_config_selectorIxxEEZZNS1_16scan_by_key_implILNS1_25lookback_scan_determinismE0ELb1ES3_N6thrust23THRUST_200600_302600_NS6detail15normal_iteratorINS9_10device_ptrIxEEEESE_SE_xNS9_4plusIvEENS9_8equal_toIxEExEE10hipError_tPvRmT2_T3_T4_T5_mT6_T7_P12ihipStream_tbENKUlT_T0_E_clISt17integral_constantIbLb0EESY_IbLb1EEEEDaSU_SV_EUlSU_E_NS1_11comp_targetILNS1_3genE10ELNS1_11target_archE1201ELNS1_3gpuE5ELNS1_3repE0EEENS1_30default_config_static_selectorELNS0_4arch9wavefront6targetE1EEEvT1_ ; -- Begin function _ZN7rocprim17ROCPRIM_400000_NS6detail17trampoline_kernelINS0_14default_configENS1_27scan_by_key_config_selectorIxxEEZZNS1_16scan_by_key_implILNS1_25lookback_scan_determinismE0ELb1ES3_N6thrust23THRUST_200600_302600_NS6detail15normal_iteratorINS9_10device_ptrIxEEEESE_SE_xNS9_4plusIvEENS9_8equal_toIxEExEE10hipError_tPvRmT2_T3_T4_T5_mT6_T7_P12ihipStream_tbENKUlT_T0_E_clISt17integral_constantIbLb0EESY_IbLb1EEEEDaSU_SV_EUlSU_E_NS1_11comp_targetILNS1_3genE10ELNS1_11target_archE1201ELNS1_3gpuE5ELNS1_3repE0EEENS1_30default_config_static_selectorELNS0_4arch9wavefront6targetE1EEEvT1_
	.globl	_ZN7rocprim17ROCPRIM_400000_NS6detail17trampoline_kernelINS0_14default_configENS1_27scan_by_key_config_selectorIxxEEZZNS1_16scan_by_key_implILNS1_25lookback_scan_determinismE0ELb1ES3_N6thrust23THRUST_200600_302600_NS6detail15normal_iteratorINS9_10device_ptrIxEEEESE_SE_xNS9_4plusIvEENS9_8equal_toIxEExEE10hipError_tPvRmT2_T3_T4_T5_mT6_T7_P12ihipStream_tbENKUlT_T0_E_clISt17integral_constantIbLb0EESY_IbLb1EEEEDaSU_SV_EUlSU_E_NS1_11comp_targetILNS1_3genE10ELNS1_11target_archE1201ELNS1_3gpuE5ELNS1_3repE0EEENS1_30default_config_static_selectorELNS0_4arch9wavefront6targetE1EEEvT1_
	.p2align	8
	.type	_ZN7rocprim17ROCPRIM_400000_NS6detail17trampoline_kernelINS0_14default_configENS1_27scan_by_key_config_selectorIxxEEZZNS1_16scan_by_key_implILNS1_25lookback_scan_determinismE0ELb1ES3_N6thrust23THRUST_200600_302600_NS6detail15normal_iteratorINS9_10device_ptrIxEEEESE_SE_xNS9_4plusIvEENS9_8equal_toIxEExEE10hipError_tPvRmT2_T3_T4_T5_mT6_T7_P12ihipStream_tbENKUlT_T0_E_clISt17integral_constantIbLb0EESY_IbLb1EEEEDaSU_SV_EUlSU_E_NS1_11comp_targetILNS1_3genE10ELNS1_11target_archE1201ELNS1_3gpuE5ELNS1_3repE0EEENS1_30default_config_static_selectorELNS0_4arch9wavefront6targetE1EEEvT1_,@function
_ZN7rocprim17ROCPRIM_400000_NS6detail17trampoline_kernelINS0_14default_configENS1_27scan_by_key_config_selectorIxxEEZZNS1_16scan_by_key_implILNS1_25lookback_scan_determinismE0ELb1ES3_N6thrust23THRUST_200600_302600_NS6detail15normal_iteratorINS9_10device_ptrIxEEEESE_SE_xNS9_4plusIvEENS9_8equal_toIxEExEE10hipError_tPvRmT2_T3_T4_T5_mT6_T7_P12ihipStream_tbENKUlT_T0_E_clISt17integral_constantIbLb0EESY_IbLb1EEEEDaSU_SV_EUlSU_E_NS1_11comp_targetILNS1_3genE10ELNS1_11target_archE1201ELNS1_3gpuE5ELNS1_3repE0EEENS1_30default_config_static_selectorELNS0_4arch9wavefront6targetE1EEEvT1_: ; @_ZN7rocprim17ROCPRIM_400000_NS6detail17trampoline_kernelINS0_14default_configENS1_27scan_by_key_config_selectorIxxEEZZNS1_16scan_by_key_implILNS1_25lookback_scan_determinismE0ELb1ES3_N6thrust23THRUST_200600_302600_NS6detail15normal_iteratorINS9_10device_ptrIxEEEESE_SE_xNS9_4plusIvEENS9_8equal_toIxEExEE10hipError_tPvRmT2_T3_T4_T5_mT6_T7_P12ihipStream_tbENKUlT_T0_E_clISt17integral_constantIbLb0EESY_IbLb1EEEEDaSU_SV_EUlSU_E_NS1_11comp_targetILNS1_3genE10ELNS1_11target_archE1201ELNS1_3gpuE5ELNS1_3repE0EEENS1_30default_config_static_selectorELNS0_4arch9wavefront6targetE1EEEvT1_
; %bb.0:
	.section	.rodata,"a",@progbits
	.p2align	6, 0x0
	.amdhsa_kernel _ZN7rocprim17ROCPRIM_400000_NS6detail17trampoline_kernelINS0_14default_configENS1_27scan_by_key_config_selectorIxxEEZZNS1_16scan_by_key_implILNS1_25lookback_scan_determinismE0ELb1ES3_N6thrust23THRUST_200600_302600_NS6detail15normal_iteratorINS9_10device_ptrIxEEEESE_SE_xNS9_4plusIvEENS9_8equal_toIxEExEE10hipError_tPvRmT2_T3_T4_T5_mT6_T7_P12ihipStream_tbENKUlT_T0_E_clISt17integral_constantIbLb0EESY_IbLb1EEEEDaSU_SV_EUlSU_E_NS1_11comp_targetILNS1_3genE10ELNS1_11target_archE1201ELNS1_3gpuE5ELNS1_3repE0EEENS1_30default_config_static_selectorELNS0_4arch9wavefront6targetE1EEEvT1_
		.amdhsa_group_segment_fixed_size 0
		.amdhsa_private_segment_fixed_size 0
		.amdhsa_kernarg_size 136
		.amdhsa_user_sgpr_count 2
		.amdhsa_user_sgpr_dispatch_ptr 0
		.amdhsa_user_sgpr_queue_ptr 0
		.amdhsa_user_sgpr_kernarg_segment_ptr 1
		.amdhsa_user_sgpr_dispatch_id 0
		.amdhsa_user_sgpr_kernarg_preload_length 0
		.amdhsa_user_sgpr_kernarg_preload_offset 0
		.amdhsa_user_sgpr_private_segment_size 0
		.amdhsa_uses_dynamic_stack 0
		.amdhsa_enable_private_segment 0
		.amdhsa_system_sgpr_workgroup_id_x 1
		.amdhsa_system_sgpr_workgroup_id_y 0
		.amdhsa_system_sgpr_workgroup_id_z 0
		.amdhsa_system_sgpr_workgroup_info 0
		.amdhsa_system_vgpr_workitem_id 0
		.amdhsa_next_free_vgpr 1
		.amdhsa_next_free_sgpr 0
		.amdhsa_accum_offset 4
		.amdhsa_reserve_vcc 0
		.amdhsa_float_round_mode_32 0
		.amdhsa_float_round_mode_16_64 0
		.amdhsa_float_denorm_mode_32 3
		.amdhsa_float_denorm_mode_16_64 3
		.amdhsa_dx10_clamp 1
		.amdhsa_ieee_mode 1
		.amdhsa_fp16_overflow 0
		.amdhsa_tg_split 0
		.amdhsa_exception_fp_ieee_invalid_op 0
		.amdhsa_exception_fp_denorm_src 0
		.amdhsa_exception_fp_ieee_div_zero 0
		.amdhsa_exception_fp_ieee_overflow 0
		.amdhsa_exception_fp_ieee_underflow 0
		.amdhsa_exception_fp_ieee_inexact 0
		.amdhsa_exception_int_div_zero 0
	.end_amdhsa_kernel
	.section	.text._ZN7rocprim17ROCPRIM_400000_NS6detail17trampoline_kernelINS0_14default_configENS1_27scan_by_key_config_selectorIxxEEZZNS1_16scan_by_key_implILNS1_25lookback_scan_determinismE0ELb1ES3_N6thrust23THRUST_200600_302600_NS6detail15normal_iteratorINS9_10device_ptrIxEEEESE_SE_xNS9_4plusIvEENS9_8equal_toIxEExEE10hipError_tPvRmT2_T3_T4_T5_mT6_T7_P12ihipStream_tbENKUlT_T0_E_clISt17integral_constantIbLb0EESY_IbLb1EEEEDaSU_SV_EUlSU_E_NS1_11comp_targetILNS1_3genE10ELNS1_11target_archE1201ELNS1_3gpuE5ELNS1_3repE0EEENS1_30default_config_static_selectorELNS0_4arch9wavefront6targetE1EEEvT1_,"axG",@progbits,_ZN7rocprim17ROCPRIM_400000_NS6detail17trampoline_kernelINS0_14default_configENS1_27scan_by_key_config_selectorIxxEEZZNS1_16scan_by_key_implILNS1_25lookback_scan_determinismE0ELb1ES3_N6thrust23THRUST_200600_302600_NS6detail15normal_iteratorINS9_10device_ptrIxEEEESE_SE_xNS9_4plusIvEENS9_8equal_toIxEExEE10hipError_tPvRmT2_T3_T4_T5_mT6_T7_P12ihipStream_tbENKUlT_T0_E_clISt17integral_constantIbLb0EESY_IbLb1EEEEDaSU_SV_EUlSU_E_NS1_11comp_targetILNS1_3genE10ELNS1_11target_archE1201ELNS1_3gpuE5ELNS1_3repE0EEENS1_30default_config_static_selectorELNS0_4arch9wavefront6targetE1EEEvT1_,comdat
.Lfunc_end453:
	.size	_ZN7rocprim17ROCPRIM_400000_NS6detail17trampoline_kernelINS0_14default_configENS1_27scan_by_key_config_selectorIxxEEZZNS1_16scan_by_key_implILNS1_25lookback_scan_determinismE0ELb1ES3_N6thrust23THRUST_200600_302600_NS6detail15normal_iteratorINS9_10device_ptrIxEEEESE_SE_xNS9_4plusIvEENS9_8equal_toIxEExEE10hipError_tPvRmT2_T3_T4_T5_mT6_T7_P12ihipStream_tbENKUlT_T0_E_clISt17integral_constantIbLb0EESY_IbLb1EEEEDaSU_SV_EUlSU_E_NS1_11comp_targetILNS1_3genE10ELNS1_11target_archE1201ELNS1_3gpuE5ELNS1_3repE0EEENS1_30default_config_static_selectorELNS0_4arch9wavefront6targetE1EEEvT1_, .Lfunc_end453-_ZN7rocprim17ROCPRIM_400000_NS6detail17trampoline_kernelINS0_14default_configENS1_27scan_by_key_config_selectorIxxEEZZNS1_16scan_by_key_implILNS1_25lookback_scan_determinismE0ELb1ES3_N6thrust23THRUST_200600_302600_NS6detail15normal_iteratorINS9_10device_ptrIxEEEESE_SE_xNS9_4plusIvEENS9_8equal_toIxEExEE10hipError_tPvRmT2_T3_T4_T5_mT6_T7_P12ihipStream_tbENKUlT_T0_E_clISt17integral_constantIbLb0EESY_IbLb1EEEEDaSU_SV_EUlSU_E_NS1_11comp_targetILNS1_3genE10ELNS1_11target_archE1201ELNS1_3gpuE5ELNS1_3repE0EEENS1_30default_config_static_selectorELNS0_4arch9wavefront6targetE1EEEvT1_
                                        ; -- End function
	.section	.AMDGPU.csdata,"",@progbits
; Kernel info:
; codeLenInByte = 0
; NumSgprs: 6
; NumVgprs: 0
; NumAgprs: 0
; TotalNumVgprs: 0
; ScratchSize: 0
; MemoryBound: 0
; FloatMode: 240
; IeeeMode: 1
; LDSByteSize: 0 bytes/workgroup (compile time only)
; SGPRBlocks: 0
; VGPRBlocks: 0
; NumSGPRsForWavesPerEU: 6
; NumVGPRsForWavesPerEU: 1
; AccumOffset: 4
; Occupancy: 8
; WaveLimiterHint : 0
; COMPUTE_PGM_RSRC2:SCRATCH_EN: 0
; COMPUTE_PGM_RSRC2:USER_SGPR: 2
; COMPUTE_PGM_RSRC2:TRAP_HANDLER: 0
; COMPUTE_PGM_RSRC2:TGID_X_EN: 1
; COMPUTE_PGM_RSRC2:TGID_Y_EN: 0
; COMPUTE_PGM_RSRC2:TGID_Z_EN: 0
; COMPUTE_PGM_RSRC2:TIDIG_COMP_CNT: 0
; COMPUTE_PGM_RSRC3_GFX90A:ACCUM_OFFSET: 0
; COMPUTE_PGM_RSRC3_GFX90A:TG_SPLIT: 0
	.section	.text._ZN7rocprim17ROCPRIM_400000_NS6detail17trampoline_kernelINS0_14default_configENS1_27scan_by_key_config_selectorIxxEEZZNS1_16scan_by_key_implILNS1_25lookback_scan_determinismE0ELb1ES3_N6thrust23THRUST_200600_302600_NS6detail15normal_iteratorINS9_10device_ptrIxEEEESE_SE_xNS9_4plusIvEENS9_8equal_toIxEExEE10hipError_tPvRmT2_T3_T4_T5_mT6_T7_P12ihipStream_tbENKUlT_T0_E_clISt17integral_constantIbLb0EESY_IbLb1EEEEDaSU_SV_EUlSU_E_NS1_11comp_targetILNS1_3genE5ELNS1_11target_archE942ELNS1_3gpuE9ELNS1_3repE0EEENS1_30default_config_static_selectorELNS0_4arch9wavefront6targetE1EEEvT1_,"axG",@progbits,_ZN7rocprim17ROCPRIM_400000_NS6detail17trampoline_kernelINS0_14default_configENS1_27scan_by_key_config_selectorIxxEEZZNS1_16scan_by_key_implILNS1_25lookback_scan_determinismE0ELb1ES3_N6thrust23THRUST_200600_302600_NS6detail15normal_iteratorINS9_10device_ptrIxEEEESE_SE_xNS9_4plusIvEENS9_8equal_toIxEExEE10hipError_tPvRmT2_T3_T4_T5_mT6_T7_P12ihipStream_tbENKUlT_T0_E_clISt17integral_constantIbLb0EESY_IbLb1EEEEDaSU_SV_EUlSU_E_NS1_11comp_targetILNS1_3genE5ELNS1_11target_archE942ELNS1_3gpuE9ELNS1_3repE0EEENS1_30default_config_static_selectorELNS0_4arch9wavefront6targetE1EEEvT1_,comdat
	.protected	_ZN7rocprim17ROCPRIM_400000_NS6detail17trampoline_kernelINS0_14default_configENS1_27scan_by_key_config_selectorIxxEEZZNS1_16scan_by_key_implILNS1_25lookback_scan_determinismE0ELb1ES3_N6thrust23THRUST_200600_302600_NS6detail15normal_iteratorINS9_10device_ptrIxEEEESE_SE_xNS9_4plusIvEENS9_8equal_toIxEExEE10hipError_tPvRmT2_T3_T4_T5_mT6_T7_P12ihipStream_tbENKUlT_T0_E_clISt17integral_constantIbLb0EESY_IbLb1EEEEDaSU_SV_EUlSU_E_NS1_11comp_targetILNS1_3genE5ELNS1_11target_archE942ELNS1_3gpuE9ELNS1_3repE0EEENS1_30default_config_static_selectorELNS0_4arch9wavefront6targetE1EEEvT1_ ; -- Begin function _ZN7rocprim17ROCPRIM_400000_NS6detail17trampoline_kernelINS0_14default_configENS1_27scan_by_key_config_selectorIxxEEZZNS1_16scan_by_key_implILNS1_25lookback_scan_determinismE0ELb1ES3_N6thrust23THRUST_200600_302600_NS6detail15normal_iteratorINS9_10device_ptrIxEEEESE_SE_xNS9_4plusIvEENS9_8equal_toIxEExEE10hipError_tPvRmT2_T3_T4_T5_mT6_T7_P12ihipStream_tbENKUlT_T0_E_clISt17integral_constantIbLb0EESY_IbLb1EEEEDaSU_SV_EUlSU_E_NS1_11comp_targetILNS1_3genE5ELNS1_11target_archE942ELNS1_3gpuE9ELNS1_3repE0EEENS1_30default_config_static_selectorELNS0_4arch9wavefront6targetE1EEEvT1_
	.globl	_ZN7rocprim17ROCPRIM_400000_NS6detail17trampoline_kernelINS0_14default_configENS1_27scan_by_key_config_selectorIxxEEZZNS1_16scan_by_key_implILNS1_25lookback_scan_determinismE0ELb1ES3_N6thrust23THRUST_200600_302600_NS6detail15normal_iteratorINS9_10device_ptrIxEEEESE_SE_xNS9_4plusIvEENS9_8equal_toIxEExEE10hipError_tPvRmT2_T3_T4_T5_mT6_T7_P12ihipStream_tbENKUlT_T0_E_clISt17integral_constantIbLb0EESY_IbLb1EEEEDaSU_SV_EUlSU_E_NS1_11comp_targetILNS1_3genE5ELNS1_11target_archE942ELNS1_3gpuE9ELNS1_3repE0EEENS1_30default_config_static_selectorELNS0_4arch9wavefront6targetE1EEEvT1_
	.p2align	8
	.type	_ZN7rocprim17ROCPRIM_400000_NS6detail17trampoline_kernelINS0_14default_configENS1_27scan_by_key_config_selectorIxxEEZZNS1_16scan_by_key_implILNS1_25lookback_scan_determinismE0ELb1ES3_N6thrust23THRUST_200600_302600_NS6detail15normal_iteratorINS9_10device_ptrIxEEEESE_SE_xNS9_4plusIvEENS9_8equal_toIxEExEE10hipError_tPvRmT2_T3_T4_T5_mT6_T7_P12ihipStream_tbENKUlT_T0_E_clISt17integral_constantIbLb0EESY_IbLb1EEEEDaSU_SV_EUlSU_E_NS1_11comp_targetILNS1_3genE5ELNS1_11target_archE942ELNS1_3gpuE9ELNS1_3repE0EEENS1_30default_config_static_selectorELNS0_4arch9wavefront6targetE1EEEvT1_,@function
_ZN7rocprim17ROCPRIM_400000_NS6detail17trampoline_kernelINS0_14default_configENS1_27scan_by_key_config_selectorIxxEEZZNS1_16scan_by_key_implILNS1_25lookback_scan_determinismE0ELb1ES3_N6thrust23THRUST_200600_302600_NS6detail15normal_iteratorINS9_10device_ptrIxEEEESE_SE_xNS9_4plusIvEENS9_8equal_toIxEExEE10hipError_tPvRmT2_T3_T4_T5_mT6_T7_P12ihipStream_tbENKUlT_T0_E_clISt17integral_constantIbLb0EESY_IbLb1EEEEDaSU_SV_EUlSU_E_NS1_11comp_targetILNS1_3genE5ELNS1_11target_archE942ELNS1_3gpuE9ELNS1_3repE0EEENS1_30default_config_static_selectorELNS0_4arch9wavefront6targetE1EEEvT1_: ; @_ZN7rocprim17ROCPRIM_400000_NS6detail17trampoline_kernelINS0_14default_configENS1_27scan_by_key_config_selectorIxxEEZZNS1_16scan_by_key_implILNS1_25lookback_scan_determinismE0ELb1ES3_N6thrust23THRUST_200600_302600_NS6detail15normal_iteratorINS9_10device_ptrIxEEEESE_SE_xNS9_4plusIvEENS9_8equal_toIxEExEE10hipError_tPvRmT2_T3_T4_T5_mT6_T7_P12ihipStream_tbENKUlT_T0_E_clISt17integral_constantIbLb0EESY_IbLb1EEEEDaSU_SV_EUlSU_E_NS1_11comp_targetILNS1_3genE5ELNS1_11target_archE942ELNS1_3gpuE9ELNS1_3repE0EEENS1_30default_config_static_selectorELNS0_4arch9wavefront6targetE1EEEvT1_
; %bb.0:
	s_load_dwordx8 s[44:51], s[0:1], 0x0
	s_load_dwordx2 s[56:57], s[0:1], 0x20
	s_load_dwordx8 s[36:43], s[0:1], 0x30
	s_load_dwordx2 s[58:59], s[0:1], 0x50
	v_cmp_eq_u32_e64 s[30:31], 0, v0
	s_and_saveexec_b64 s[2:3], s[30:31]
	s_cbranch_execz .LBB454_4
; %bb.1:
	s_mov_b64 s[6:7], exec
	v_mbcnt_lo_u32_b32 v1, s6, 0
	v_mbcnt_hi_u32_b32 v1, s7, v1
	v_cmp_eq_u32_e32 vcc, 0, v1
                                        ; implicit-def: $vgpr2
	s_and_saveexec_b64 s[4:5], vcc
	s_cbranch_execz .LBB454_3
; %bb.2:
	s_load_dwordx2 s[8:9], s[0:1], 0x80
	s_bcnt1_i32_b64 s6, s[6:7]
	v_mov_b32_e32 v2, 0
	v_mov_b32_e32 v3, s6
	s_waitcnt lgkmcnt(0)
	global_atomic_add v2, v2, v3, s[8:9] sc0
.LBB454_3:
	s_or_b64 exec, exec, s[4:5]
	s_waitcnt vmcnt(0)
	v_readfirstlane_b32 s4, v2
	v_mov_b32_e32 v2, 0
	s_nop 0
	v_add_u32_e32 v1, s4, v1
	ds_write_b32 v2, v1
.LBB454_4:
	s_or_b64 exec, exec, s[2:3]
	s_load_dword s2, s[0:1], 0x58
	s_load_dwordx4 s[52:55], s[0:1], 0x60
	v_mov_b32_e32 v3, 0
	s_waitcnt lgkmcnt(0)
	s_lshl_b64 s[34:35], s[46:47], 3
	s_barrier
	ds_read_b32 v2, v3
	s_add_u32 s0, s44, s34
	s_addc_u32 s1, s45, s35
	s_add_u32 s4, s48, s34
	s_mul_i32 s3, s59, s2
	s_mul_hi_u32 s6, s58, s2
	s_addc_u32 s5, s49, s35
	s_add_i32 s3, s6, s3
	s_movk_i32 s6, 0xe00
	s_waitcnt lgkmcnt(0)
	v_mul_lo_u32 v4, v2, s6
	v_mov_b32_e32 v5, v3
	v_lshlrev_b64 v[54:55], 3, v[4:5]
	s_mul_i32 s2, s58, s2
	v_lshl_add_u64 v[62:63], s[4:5], 0, v[54:55]
	s_add_u32 s4, s52, -1
	v_readfirstlane_b32 s43, v2
	v_lshl_add_u64 v[2:3], s[2:3], 0, v[2:3]
	s_addc_u32 s5, s53, -1
	v_cmp_le_u64_e64 s[2:3], s[4:5], v[2:3]
	v_lshl_add_u64 v[64:65], s[0:1], 0, v[54:55]
	s_mov_b64 s[0:1], -1
	s_and_b64 vcc, exec, s[2:3]
	s_mul_i32 s33, s4, 0xfffff200
	s_barrier
	s_barrier
	s_cbranch_vccz .LBB454_80
; %bb.5:
	flat_load_dwordx2 v[2:3], v[64:65]
	s_add_i32 s48, s33, s42
	v_cmp_gt_u32_e32 vcc, s48, v0
	s_waitcnt vmcnt(0) lgkmcnt(0)
	v_mov_b64_e32 v[4:5], v[2:3]
	s_and_saveexec_b64 s[0:1], vcc
	s_cbranch_execz .LBB454_7
; %bb.6:
	v_lshlrev_b32_e32 v4, 3, v0
	v_mov_b32_e32 v5, 0
	v_lshl_add_u64 v[4:5], v[64:65], 0, v[4:5]
	flat_load_dwordx2 v[4:5], v[4:5]
.LBB454_7:
	s_or_b64 exec, exec, s[0:1]
	v_or_b32_e32 v1, 0x100, v0
	v_cmp_gt_u32_e64 s[4:5], s48, v1
	v_mov_b64_e32 v[6:7], v[2:3]
	s_and_saveexec_b64 s[0:1], s[4:5]
	s_cbranch_execz .LBB454_9
; %bb.8:
	v_lshlrev_b32_e32 v6, 3, v0
	v_mov_b32_e32 v7, 0
	v_lshl_add_u64 v[6:7], v[64:65], 0, v[6:7]
	flat_load_dwordx2 v[6:7], v[6:7] offset:2048
.LBB454_9:
	s_or_b64 exec, exec, s[0:1]
	v_or_b32_e32 v1, 0x200, v0
	v_cmp_gt_u32_e64 s[6:7], s48, v1
	v_lshlrev_b32_e32 v30, 3, v1
	v_mov_b64_e32 v[8:9], v[2:3]
	s_and_saveexec_b64 s[0:1], s[6:7]
	s_cbranch_execz .LBB454_11
; %bb.10:
	v_mov_b32_e32 v31, 0
	v_lshl_add_u64 v[8:9], v[64:65], 0, v[30:31]
	flat_load_dwordx2 v[8:9], v[8:9]
.LBB454_11:
	s_or_b64 exec, exec, s[0:1]
	v_or_b32_e32 v1, 0x300, v0
	v_cmp_gt_u32_e64 s[8:9], s48, v1
	v_lshlrev_b32_e32 v32, 3, v1
	v_mov_b64_e32 v[10:11], v[2:3]
	s_and_saveexec_b64 s[0:1], s[8:9]
	s_cbranch_execz .LBB454_13
; %bb.12:
	v_mov_b32_e32 v33, 0
	v_lshl_add_u64 v[10:11], v[64:65], 0, v[32:33]
	flat_load_dwordx2 v[10:11], v[10:11]
.LBB454_13:
	;; [unrolled: 12-line block ×11, first 2 shown]
	s_or_b64 exec, exec, s[0:1]
	v_or_b32_e32 v1, 0xd00, v0
	v_cmp_gt_u32_e64 s[28:29], s48, v1
	v_lshlrev_b32_e32 v52, 3, v1
	s_and_saveexec_b64 s[0:1], s[28:29]
	s_cbranch_execz .LBB454_33
; %bb.32:
	v_mov_b32_e32 v53, 0
	v_lshl_add_u64 v[2:3], v[64:65], 0, v[52:53]
	flat_load_dwordx2 v[2:3], v[2:3]
.LBB454_33:
	s_or_b64 exec, exec, s[0:1]
	v_lshlrev_b32_e32 v56, 3, v0
	s_waitcnt vmcnt(0) lgkmcnt(0)
	ds_write2st64_b64 v56, v[4:5], v[6:7] offset1:4
	ds_write2st64_b64 v56, v[8:9], v[10:11] offset0:8 offset1:12
	ds_write2st64_b64 v56, v[12:13], v[14:15] offset0:16 offset1:20
	ds_write2st64_b64 v56, v[16:17], v[18:19] offset0:24 offset1:28
	ds_write2st64_b64 v56, v[20:21], v[22:23] offset0:32 offset1:36
	ds_write2st64_b64 v56, v[24:25], v[26:27] offset0:40 offset1:44
	ds_write2st64_b64 v56, v[28:29], v[2:3] offset0:48 offset1:52
	s_waitcnt lgkmcnt(0)
	s_barrier
	flat_load_dwordx2 v[60:61], v[64:65]
	s_movk_i32 s0, 0x68
	v_mad_u32_u24 v80, v0, s0, v56
	s_movk_i32 s0, 0xff98
	v_mad_i32_i24 v1, v0, s0, v80
	s_movk_i32 s0, 0xff
	v_cmp_ne_u32_e64 s[0:1], s0, v0
	ds_read_b128 v[26:29], v80
	ds_read_b128 v[22:25], v80 offset:16
	ds_read_b128 v[18:21], v80 offset:32
	;; [unrolled: 1-line block ×6, first 2 shown]
	s_waitcnt lgkmcnt(0)
	ds_write_b64 v1, v[26:27] offset:30720
	s_waitcnt lgkmcnt(0)
	s_barrier
	s_and_saveexec_b64 s[44:45], s[0:1]
	s_cbranch_execz .LBB454_35
; %bb.34:
	s_waitcnt vmcnt(0)
	ds_read_b64 v[60:61], v56 offset:30728
.LBB454_35:
	s_or_b64 exec, exec, s[44:45]
	v_mov_b32_e32 v57, 0
	s_waitcnt lgkmcnt(0)
	s_barrier
	s_waitcnt lgkmcnt(0)
                                        ; implicit-def: $vgpr58_vgpr59
	s_and_saveexec_b64 s[0:1], vcc
	s_cbranch_execz .LBB454_155
; %bb.36:
	v_lshl_add_u64 v[58:59], v[62:63], 0, v[56:57]
	flat_load_dwordx2 v[58:59], v[58:59]
	s_or_b64 exec, exec, s[0:1]
                                        ; implicit-def: $vgpr66_vgpr67
	s_and_saveexec_b64 s[0:1], s[4:5]
	s_cbranch_execnz .LBB454_156
.LBB454_37:
	s_or_b64 exec, exec, s[0:1]
                                        ; implicit-def: $vgpr68_vgpr69
	s_and_saveexec_b64 s[0:1], s[6:7]
	s_cbranch_execz .LBB454_157
.LBB454_38:
	v_mov_b32_e32 v31, 0
	v_lshl_add_u64 v[30:31], v[62:63], 0, v[30:31]
	flat_load_dwordx2 v[68:69], v[30:31]
	s_or_b64 exec, exec, s[0:1]
                                        ; implicit-def: $vgpr30_vgpr31
	s_and_saveexec_b64 s[0:1], s[8:9]
	s_cbranch_execnz .LBB454_158
.LBB454_39:
	s_or_b64 exec, exec, s[0:1]
                                        ; implicit-def: $vgpr32_vgpr33
	s_and_saveexec_b64 s[0:1], s[10:11]
	s_cbranch_execz .LBB454_159
.LBB454_40:
	v_mov_b32_e32 v35, 0
	v_lshl_add_u64 v[32:33], v[62:63], 0, v[34:35]
	flat_load_dwordx2 v[32:33], v[32:33]
	s_or_b64 exec, exec, s[0:1]
                                        ; implicit-def: $vgpr34_vgpr35
	s_and_saveexec_b64 s[0:1], s[12:13]
	s_cbranch_execnz .LBB454_160
.LBB454_41:
	s_or_b64 exec, exec, s[0:1]
                                        ; implicit-def: $vgpr36_vgpr37
	s_and_saveexec_b64 s[0:1], s[14:15]
	s_cbranch_execz .LBB454_161
.LBB454_42:
	v_mov_b32_e32 v39, 0
	v_lshl_add_u64 v[36:37], v[62:63], 0, v[38:39]
	flat_load_dwordx2 v[36:37], v[36:37]
	s_or_b64 exec, exec, s[0:1]
                                        ; implicit-def: $vgpr38_vgpr39
	s_and_saveexec_b64 s[0:1], s[16:17]
	s_cbranch_execnz .LBB454_162
.LBB454_43:
	s_or_b64 exec, exec, s[0:1]
                                        ; implicit-def: $vgpr40_vgpr41
	s_and_saveexec_b64 s[0:1], s[18:19]
	s_cbranch_execz .LBB454_163
.LBB454_44:
	v_mov_b32_e32 v43, 0
	v_lshl_add_u64 v[40:41], v[62:63], 0, v[42:43]
	flat_load_dwordx2 v[40:41], v[40:41]
	s_or_b64 exec, exec, s[0:1]
                                        ; implicit-def: $vgpr42_vgpr43
	s_and_saveexec_b64 s[0:1], s[20:21]
	s_cbranch_execnz .LBB454_164
.LBB454_45:
	s_or_b64 exec, exec, s[0:1]
                                        ; implicit-def: $vgpr44_vgpr45
	s_and_saveexec_b64 s[0:1], s[22:23]
	s_cbranch_execz .LBB454_165
.LBB454_46:
	v_mov_b32_e32 v47, 0
	v_lshl_add_u64 v[44:45], v[62:63], 0, v[46:47]
	flat_load_dwordx2 v[44:45], v[44:45]
	s_or_b64 exec, exec, s[0:1]
                                        ; implicit-def: $vgpr46_vgpr47
	s_and_saveexec_b64 s[0:1], s[24:25]
	s_cbranch_execnz .LBB454_166
.LBB454_47:
	s_or_b64 exec, exec, s[0:1]
                                        ; implicit-def: $vgpr48_vgpr49
	s_and_saveexec_b64 s[0:1], s[26:27]
	s_cbranch_execz .LBB454_49
.LBB454_48:
	v_mov_b32_e32 v51, 0
	v_lshl_add_u64 v[48:49], v[62:63], 0, v[50:51]
	flat_load_dwordx2 v[48:49], v[48:49]
.LBB454_49:
	s_or_b64 exec, exec, s[0:1]
	v_mul_u32_u24_e32 v81, 14, v0
                                        ; implicit-def: $vgpr50_vgpr51
	s_and_saveexec_b64 s[0:1], s[28:29]
	s_cbranch_execz .LBB454_51
; %bb.50:
	v_mov_b32_e32 v53, 0
	v_lshl_add_u64 v[50:51], v[62:63], 0, v[52:53]
	flat_load_dwordx2 v[50:51], v[50:51]
.LBB454_51:
	s_or_b64 exec, exec, s[0:1]
	s_waitcnt vmcnt(0) lgkmcnt(0)
	ds_write2st64_b64 v56, v[58:59], v[66:67] offset1:4
	ds_write2st64_b64 v56, v[68:69], v[30:31] offset0:8 offset1:12
	ds_write2st64_b64 v56, v[32:33], v[34:35] offset0:16 offset1:20
	;; [unrolled: 1-line block ×6, first 2 shown]
	v_mov_b64_e32 v[56:57], 0
	v_cmp_gt_u32_e32 vcc, s48, v81
	s_mov_b64 s[8:9], 0
	s_mov_b32 s52, 0
	s_mov_b64 s[0:1], 0
	v_mov_b32_e32 v71, 0
	v_mov_b64_e32 v[34:35], v[56:57]
	v_mov_b32_e32 v79, 0
	v_mov_b64_e32 v[58:59], v[56:57]
	;; [unrolled: 2-line block ×12, first 2 shown]
	v_mov_b32_e32 v1, 0
	s_waitcnt lgkmcnt(0)
	s_barrier
	s_waitcnt lgkmcnt(0)
                                        ; implicit-def: $sgpr6_sgpr7
                                        ; implicit-def: $vgpr66_vgpr67
	s_and_saveexec_b64 s[4:5], vcc
	s_cbranch_execz .LBB454_79
; %bb.52:
	ds_read_b64 v[30:31], v80
	v_cmp_ne_u64_e32 vcc, v[26:27], v[28:29]
	v_mov_b32_e32 v26, s57
	v_or_b32_e32 v32, 1, v81
	v_mov_b64_e32 v[34:35], 0
	s_waitcnt lgkmcnt(0)
	v_cndmask_b32_e32 v57, v31, v26, vcc
	v_mov_b32_e32 v26, s56
	v_cndmask_b32_e64 v1, 0, 1, vcc
	v_cndmask_b32_e32 v56, v30, v26, vcc
	v_cmp_gt_u32_e32 vcc, s48, v32
	s_mov_b64 s[10:11], 0
	v_mov_b32_e32 v71, 0
	v_mov_b32_e32 v79, 0
	v_mov_b64_e32 v[58:59], v[34:35]
	v_mov_b32_e32 v78, 0
	v_mov_b64_e32 v[36:37], v[34:35]
	;; [unrolled: 2-line block ×11, first 2 shown]
                                        ; implicit-def: $sgpr12_sgpr13
                                        ; implicit-def: $vgpr66_vgpr67
	s_and_saveexec_b64 s[6:7], vcc
	s_cbranch_execz .LBB454_78
; %bb.53:
	ds_read2_b64 v[30:33], v80 offset0:1 offset1:2
	v_cmp_ne_u64_e32 vcc, v[28:29], v[22:23]
	v_mov_b32_e32 v27, s57
	v_add_u32_e32 v26, 2, v81
	v_mov_b64_e32 v[34:35], 0
	s_waitcnt lgkmcnt(0)
	v_cndmask_b32_e32 v31, v31, v27, vcc
	v_mov_b32_e32 v27, s56
	v_cndmask_b32_e64 v68, 0, 1, vcc
	v_cndmask_b32_e32 v30, v30, v27, vcc
	v_cmp_gt_u32_e32 vcc, s48, v26
	s_mov_b64 s[12:13], 0
	v_mov_b32_e32 v71, 0
	v_mov_b32_e32 v79, 0
	v_mov_b64_e32 v[58:59], v[34:35]
	v_mov_b32_e32 v78, 0
	v_mov_b64_e32 v[36:37], v[34:35]
	;; [unrolled: 2-line block ×10, first 2 shown]
                                        ; implicit-def: $sgpr14_sgpr15
                                        ; implicit-def: $vgpr66_vgpr67
	s_and_saveexec_b64 s[8:9], vcc
	s_cbranch_execz .LBB454_77
; %bb.54:
	v_cmp_ne_u64_e32 vcc, v[22:23], v[24:25]
	v_mov_b32_e32 v22, s57
	v_add_u32_e32 v26, 3, v81
	v_cndmask_b32_e32 v51, v33, v22, vcc
	v_mov_b32_e32 v22, s56
	v_mov_b64_e32 v[34:35], 0
	v_cndmask_b32_e64 v69, 0, 1, vcc
	v_cndmask_b32_e32 v50, v32, v22, vcc
	v_cmp_gt_u32_e32 vcc, s48, v26
	s_mov_b64 s[14:15], 0
	v_mov_b32_e32 v71, 0
	v_mov_b32_e32 v79, 0
	v_mov_b64_e32 v[58:59], v[34:35]
	v_mov_b32_e32 v78, 0
	v_mov_b64_e32 v[36:37], v[34:35]
	;; [unrolled: 2-line block ×9, first 2 shown]
                                        ; implicit-def: $sgpr16_sgpr17
                                        ; implicit-def: $vgpr66_vgpr67
	s_and_saveexec_b64 s[10:11], vcc
	s_cbranch_execz .LBB454_76
; %bb.55:
	ds_read2_b64 v[26:29], v80 offset0:3 offset1:4
	v_cmp_ne_u64_e32 vcc, v[24:25], v[18:19]
	v_mov_b32_e32 v23, s57
	v_add_u32_e32 v22, 4, v81
	v_mov_b64_e32 v[34:35], 0
	s_waitcnt lgkmcnt(0)
	v_cndmask_b32_e32 v47, v27, v23, vcc
	v_mov_b32_e32 v23, s56
	v_cndmask_b32_e64 v70, 0, 1, vcc
	v_cndmask_b32_e32 v46, v26, v23, vcc
	v_cmp_gt_u32_e32 vcc, s48, v22
	s_mov_b64 s[16:17], 0
	v_mov_b32_e32 v71, 0
	v_mov_b32_e32 v79, 0
	v_mov_b64_e32 v[58:59], v[34:35]
	v_mov_b32_e32 v78, 0
	v_mov_b64_e32 v[36:37], v[34:35]
	;; [unrolled: 2-line block ×8, first 2 shown]
                                        ; implicit-def: $sgpr18_sgpr19
                                        ; implicit-def: $vgpr66_vgpr67
	s_and_saveexec_b64 s[12:13], vcc
	s_cbranch_execz .LBB454_75
; %bb.56:
	v_cmp_ne_u64_e32 vcc, v[18:19], v[20:21]
	v_mov_b32_e32 v18, s57
	v_add_u32_e32 v22, 5, v81
	v_cndmask_b32_e32 v49, v29, v18, vcc
	v_mov_b32_e32 v18, s56
	v_mov_b64_e32 v[34:35], 0
	v_cndmask_b32_e64 v72, 0, 1, vcc
	v_cndmask_b32_e32 v48, v28, v18, vcc
	v_cmp_gt_u32_e32 vcc, s48, v22
	s_mov_b64 s[18:19], 0
	v_mov_b32_e32 v71, 0
	v_mov_b32_e32 v79, 0
	v_mov_b64_e32 v[58:59], v[34:35]
	v_mov_b32_e32 v78, 0
	v_mov_b64_e32 v[36:37], v[34:35]
	;; [unrolled: 2-line block ×7, first 2 shown]
                                        ; implicit-def: $sgpr20_sgpr21
                                        ; implicit-def: $vgpr66_vgpr67
	s_and_saveexec_b64 s[14:15], vcc
	s_cbranch_execz .LBB454_74
; %bb.57:
	ds_read2_b64 v[22:25], v80 offset0:5 offset1:6
	v_cmp_ne_u64_e32 vcc, v[20:21], v[14:15]
	v_mov_b32_e32 v19, s57
	v_add_u32_e32 v18, 6, v81
	v_mov_b64_e32 v[34:35], 0
	s_waitcnt lgkmcnt(0)
	v_cndmask_b32_e32 v43, v23, v19, vcc
	v_mov_b32_e32 v19, s56
	v_cndmask_b32_e64 v73, 0, 1, vcc
	v_cndmask_b32_e32 v42, v22, v19, vcc
	v_cmp_gt_u32_e32 vcc, s48, v18
	s_mov_b64 s[20:21], 0
	v_mov_b32_e32 v71, 0
	v_mov_b32_e32 v79, 0
	v_mov_b64_e32 v[58:59], v[34:35]
	v_mov_b32_e32 v78, 0
	v_mov_b64_e32 v[36:37], v[34:35]
	v_mov_b32_e32 v77, 0
	v_mov_b64_e32 v[52:53], v[34:35]
	v_mov_b32_e32 v76, 0
	v_mov_b64_e32 v[40:41], v[34:35]
	v_mov_b32_e32 v75, 0
	v_mov_b64_e32 v[38:39], v[34:35]
	v_mov_b32_e32 v74, 0
	v_mov_b64_e32 v[44:45], v[34:35]
                                        ; implicit-def: $sgpr22_sgpr23
                                        ; implicit-def: $vgpr66_vgpr67
	s_and_saveexec_b64 s[16:17], vcc
	s_cbranch_execz .LBB454_73
; %bb.58:
	v_cmp_ne_u64_e32 vcc, v[14:15], v[16:17]
	v_mov_b32_e32 v14, s57
	v_add_u32_e32 v18, 7, v81
	v_cndmask_b32_e32 v45, v25, v14, vcc
	v_mov_b32_e32 v14, s56
	v_mov_b64_e32 v[34:35], 0
	v_cndmask_b32_e64 v74, 0, 1, vcc
	v_cndmask_b32_e32 v44, v24, v14, vcc
	v_cmp_gt_u32_e32 vcc, s48, v18
	s_mov_b64 s[22:23], 0
	v_mov_b32_e32 v71, 0
	v_mov_b32_e32 v79, 0
	v_mov_b64_e32 v[58:59], v[34:35]
	v_mov_b32_e32 v78, 0
	v_mov_b64_e32 v[36:37], v[34:35]
	;; [unrolled: 2-line block ×5, first 2 shown]
                                        ; implicit-def: $sgpr24_sgpr25
                                        ; implicit-def: $vgpr66_vgpr67
	s_and_saveexec_b64 s[18:19], vcc
	s_cbranch_execz .LBB454_72
; %bb.59:
	ds_read2_b64 v[18:21], v80 offset0:7 offset1:8
	v_cmp_ne_u64_e32 vcc, v[16:17], v[10:11]
	v_mov_b32_e32 v15, s57
	v_add_u32_e32 v14, 8, v81
	v_mov_b64_e32 v[34:35], 0
	s_waitcnt lgkmcnt(0)
	v_cndmask_b32_e32 v39, v19, v15, vcc
	v_mov_b32_e32 v15, s56
	v_cndmask_b32_e64 v75, 0, 1, vcc
	v_cndmask_b32_e32 v38, v18, v15, vcc
	v_cmp_gt_u32_e32 vcc, s48, v14
	s_mov_b64 s[24:25], 0
	v_mov_b32_e32 v71, 0
	v_mov_b32_e32 v79, 0
	v_mov_b64_e32 v[58:59], v[34:35]
	v_mov_b32_e32 v78, 0
	v_mov_b64_e32 v[36:37], v[34:35]
	;; [unrolled: 2-line block ×4, first 2 shown]
                                        ; implicit-def: $sgpr26_sgpr27
                                        ; implicit-def: $vgpr66_vgpr67
	s_and_saveexec_b64 s[20:21], vcc
	s_cbranch_execz .LBB454_71
; %bb.60:
	v_cmp_ne_u64_e32 vcc, v[10:11], v[12:13]
	v_mov_b32_e32 v10, s57
	v_add_u32_e32 v14, 9, v81
	v_cndmask_b32_e32 v41, v21, v10, vcc
	v_mov_b32_e32 v10, s56
	v_mov_b64_e32 v[34:35], 0
	v_cndmask_b32_e64 v76, 0, 1, vcc
	v_cndmask_b32_e32 v40, v20, v10, vcc
	v_cmp_gt_u32_e32 vcc, s48, v14
	s_mov_b64 s[26:27], 0
	v_mov_b32_e32 v71, 0
	v_mov_b32_e32 v79, 0
	v_mov_b64_e32 v[58:59], v[34:35]
	v_mov_b32_e32 v78, 0
	v_mov_b64_e32 v[36:37], v[34:35]
	v_mov_b32_e32 v77, 0
	v_mov_b64_e32 v[52:53], v[34:35]
                                        ; implicit-def: $sgpr28_sgpr29
                                        ; implicit-def: $vgpr66_vgpr67
	s_and_saveexec_b64 s[22:23], vcc
	s_cbranch_execz .LBB454_70
; %bb.61:
	ds_read2_b64 v[14:17], v80 offset0:9 offset1:10
	v_cmp_ne_u64_e32 vcc, v[12:13], v[6:7]
	v_mov_b32_e32 v11, s57
	v_add_u32_e32 v10, 10, v81
	v_mov_b64_e32 v[34:35], 0
	s_waitcnt lgkmcnt(0)
	v_cndmask_b32_e32 v53, v15, v11, vcc
	v_mov_b32_e32 v11, s56
	v_cndmask_b32_e64 v77, 0, 1, vcc
	v_cndmask_b32_e32 v52, v14, v11, vcc
	v_cmp_gt_u32_e32 vcc, s48, v10
	s_mov_b64 s[28:29], 0
	v_mov_b32_e32 v71, 0
	v_mov_b32_e32 v79, 0
	v_mov_b64_e32 v[58:59], v[34:35]
	v_mov_b32_e32 v78, 0
	v_mov_b64_e32 v[36:37], v[34:35]
                                        ; implicit-def: $sgpr44_sgpr45
                                        ; implicit-def: $vgpr66_vgpr67
	s_and_saveexec_b64 s[24:25], vcc
	s_cbranch_execz .LBB454_69
; %bb.62:
	v_cmp_ne_u64_e32 vcc, v[6:7], v[8:9]
	v_mov_b32_e32 v6, s57
	v_add_u32_e32 v10, 11, v81
	v_cndmask_b32_e32 v37, v17, v6, vcc
	v_mov_b32_e32 v6, s56
	v_mov_b64_e32 v[34:35], 0
	v_cndmask_b32_e64 v78, 0, 1, vcc
	v_cndmask_b32_e32 v36, v16, v6, vcc
	v_cmp_gt_u32_e32 vcc, s48, v10
	s_mov_b64 s[44:45], 0
	v_mov_b32_e32 v71, 0
	v_mov_b32_e32 v79, 0
	v_mov_b64_e32 v[58:59], v[34:35]
                                        ; implicit-def: $sgpr46_sgpr47
                                        ; implicit-def: $vgpr66_vgpr67
	s_and_saveexec_b64 s[26:27], vcc
	s_cbranch_execz .LBB454_68
; %bb.63:
	ds_read2_b64 v[10:13], v80 offset0:11 offset1:12
	v_cmp_ne_u64_e32 vcc, v[8:9], v[2:3]
	v_mov_b32_e32 v7, s57
	v_add_u32_e32 v6, 12, v81
	v_cndmask_b32_e64 v79, 0, 1, vcc
	s_waitcnt lgkmcnt(0)
	v_cndmask_b32_e32 v59, v11, v7, vcc
	v_mov_b32_e32 v7, s56
	v_cndmask_b32_e32 v58, v10, v7, vcc
	v_cmp_gt_u32_e32 vcc, s48, v6
	v_mov_b32_e32 v71, 0
	v_mov_b64_e32 v[34:35], 0
                                        ; implicit-def: $sgpr46_sgpr47
                                        ; implicit-def: $vgpr66_vgpr67
	s_and_saveexec_b64 s[28:29], vcc
	s_cbranch_execz .LBB454_67
; %bb.64:
	v_cmp_ne_u64_e32 vcc, v[2:3], v[4:5]
	v_mov_b32_e32 v2, s57
	v_add_u32_e32 v6, 13, v81
	v_cndmask_b32_e32 v35, v13, v2, vcc
	v_mov_b32_e32 v2, s56
	v_cndmask_b32_e64 v71, 0, 1, vcc
	v_cndmask_b32_e32 v34, v12, v2, vcc
	v_cmp_gt_u32_e32 vcc, s48, v6
                                        ; implicit-def: $sgpr46_sgpr47
                                        ; implicit-def: $vgpr66_vgpr67
	s_and_saveexec_b64 s[48:49], vcc
	s_xor_b64 s[48:49], exec, s[48:49]
	s_cbranch_execz .LBB454_66
; %bb.65:
	ds_read_b64 v[2:3], v80 offset:104
	v_mov_b32_e32 v6, s57
	v_mov_b32_e32 v7, s56
	v_cmp_ne_u64_e32 vcc, v[4:5], v[60:61]
	s_mov_b64 s[44:45], exec
	s_and_b64 s[46:47], vcc, exec
	s_waitcnt lgkmcnt(0)
	v_cndmask_b32_e32 v67, v3, v6, vcc
	v_cndmask_b32_e32 v66, v2, v7, vcc
.LBB454_66:
	s_or_b64 exec, exec, s[48:49]
	s_and_b64 s[46:47], s[46:47], exec
	s_and_b64 s[44:45], s[44:45], exec
.LBB454_67:
	s_or_b64 exec, exec, s[28:29]
	s_and_b64 s[46:47], s[46:47], exec
	s_and_b64 s[28:29], s[44:45], exec
.LBB454_68:
	s_or_b64 exec, exec, s[26:27]
	s_and_b64 s[44:45], s[46:47], exec
	s_and_b64 s[26:27], s[28:29], exec
.LBB454_69:
	s_or_b64 exec, exec, s[24:25]
	s_and_b64 s[28:29], s[44:45], exec
	s_and_b64 s[24:25], s[26:27], exec
.LBB454_70:
	s_or_b64 exec, exec, s[22:23]
	s_and_b64 s[26:27], s[28:29], exec
	s_and_b64 s[22:23], s[24:25], exec
.LBB454_71:
	s_or_b64 exec, exec, s[20:21]
	s_and_b64 s[24:25], s[26:27], exec
	s_and_b64 s[20:21], s[22:23], exec
.LBB454_72:
	s_or_b64 exec, exec, s[18:19]
	s_and_b64 s[22:23], s[24:25], exec
	s_and_b64 s[18:19], s[20:21], exec
.LBB454_73:
	s_or_b64 exec, exec, s[16:17]
	s_and_b64 s[20:21], s[22:23], exec
	s_and_b64 s[16:17], s[18:19], exec
.LBB454_74:
	s_or_b64 exec, exec, s[14:15]
	s_and_b64 s[18:19], s[20:21], exec
	s_and_b64 s[14:15], s[16:17], exec
.LBB454_75:
	s_or_b64 exec, exec, s[12:13]
	s_and_b64 s[16:17], s[18:19], exec
	s_and_b64 s[12:13], s[14:15], exec
.LBB454_76:
	s_or_b64 exec, exec, s[10:11]
	s_and_b64 s[14:15], s[16:17], exec
	s_and_b64 s[10:11], s[12:13], exec
.LBB454_77:
	s_or_b64 exec, exec, s[8:9]
	s_and_b64 s[12:13], s[14:15], exec
	s_and_b64 s[8:9], s[10:11], exec
.LBB454_78:
	s_or_b64 exec, exec, s[6:7]
	s_and_b64 s[6:7], s[12:13], exec
	s_and_b64 s[8:9], s[8:9], exec
.LBB454_79:
	s_or_b64 exec, exec, s[4:5]
	s_mov_b64 s[4:5], 0
	s_and_b64 vcc, exec, s[0:1]
	v_lshlrev_b32_e32 v60, 3, v0
	s_cbranch_vccnz .LBB454_81
	s_branch .LBB454_86
.LBB454_80:
	s_mov_b64 s[8:9], 0
                                        ; implicit-def: $sgpr6_sgpr7
                                        ; implicit-def: $vgpr66_vgpr67
                                        ; implicit-def: $vgpr56_vgpr57
                                        ; implicit-def: $vgpr71
                                        ; implicit-def: $vgpr34_vgpr35
                                        ; implicit-def: $vgpr79
                                        ; implicit-def: $vgpr58_vgpr59
                                        ; implicit-def: $vgpr78
                                        ; implicit-def: $vgpr36_vgpr37
                                        ; implicit-def: $vgpr77
                                        ; implicit-def: $vgpr52_vgpr53
                                        ; implicit-def: $vgpr76
                                        ; implicit-def: $vgpr40_vgpr41
                                        ; implicit-def: $vgpr75
                                        ; implicit-def: $vgpr38_vgpr39
                                        ; implicit-def: $vgpr74
                                        ; implicit-def: $vgpr44_vgpr45
                                        ; implicit-def: $vgpr73
                                        ; implicit-def: $vgpr42_vgpr43
                                        ; implicit-def: $vgpr72
                                        ; implicit-def: $vgpr48_vgpr49
                                        ; implicit-def: $vgpr70
                                        ; implicit-def: $vgpr46_vgpr47
                                        ; implicit-def: $vgpr69
                                        ; implicit-def: $vgpr50_vgpr51
                                        ; implicit-def: $vgpr68
                                        ; implicit-def: $vgpr30_vgpr31
                                        ; implicit-def: $vgpr1
                                        ; implicit-def: $sgpr52
                                        ; implicit-def: $sgpr4_sgpr5
	s_and_b64 vcc, exec, s[0:1]
	v_lshlrev_b32_e32 v60, 3, v0
	s_cbranch_vccz .LBB454_86
.LBB454_81:
	v_mov_b32_e32 v61, 0
	v_lshl_add_u64 v[2:3], v[64:65], 0, v[60:61]
	v_add_co_u32_e32 v4, vcc, 0x1000, v2
	s_movk_i32 s0, 0x7000
	s_nop 0
	v_addc_co_u32_e32 v5, vcc, 0, v3, vcc
	flat_load_dwordx2 v[6:7], v[2:3]
	flat_load_dwordx2 v[8:9], v[2:3] offset:2048
	flat_load_dwordx2 v[10:11], v[4:5]
	flat_load_dwordx2 v[12:13], v[4:5] offset:2048
	v_add_co_u32_e32 v4, vcc, 0x2000, v2
	s_movk_i32 s9, 0x1000
	s_nop 0
	v_addc_co_u32_e32 v5, vcc, 0, v3, vcc
	v_add_co_u32_e32 v14, vcc, 0x3000, v2
	s_movk_i32 s8, 0x2000
	s_nop 0
	v_addc_co_u32_e32 v15, vcc, 0, v3, vcc
	flat_load_dwordx2 v[16:17], v[4:5]
	flat_load_dwordx2 v[18:19], v[4:5] offset:2048
	flat_load_dwordx2 v[20:21], v[14:15]
	flat_load_dwordx2 v[22:23], v[14:15] offset:2048
	v_add_co_u32_e32 v4, vcc, 0x4000, v2
	s_movk_i32 s7, 0x3000
	s_nop 0
	v_addc_co_u32_e32 v5, vcc, 0, v3, vcc
	v_add_co_u32_e32 v14, vcc, 0x5000, v2
	s_movk_i32 s6, 0x4000
	s_nop 0
	v_addc_co_u32_e32 v15, vcc, 0, v3, vcc
	v_add_co_u32_e32 v2, vcc, 0x6000, v2
	flat_load_dwordx2 v[24:25], v[4:5]
	flat_load_dwordx2 v[26:27], v[4:5] offset:2048
	flat_load_dwordx2 v[28:29], v[14:15]
	flat_load_dwordx2 v[30:31], v[14:15] offset:2048
	v_addc_co_u32_e32 v3, vcc, 0, v3, vcc
	flat_load_dwordx2 v[4:5], v[2:3]
	flat_load_dwordx2 v[14:15], v[2:3] offset:2048
	v_add_co_u32_e32 v2, vcc, s0, v64
	s_movk_i32 s0, 0x68
	s_nop 0
	v_addc_co_u32_e32 v3, vcc, 0, v65, vcc
	v_mad_u32_u24 v1, v0, s0, v60
	s_movk_i32 s0, 0xff98
	s_movk_i32 s5, 0x5000
	;; [unrolled: 1-line block ×3, first 2 shown]
	s_waitcnt vmcnt(0) lgkmcnt(0)
	ds_write2st64_b64 v60, v[6:7], v[8:9] offset1:4
	ds_write2st64_b64 v60, v[10:11], v[12:13] offset0:8 offset1:12
	ds_write2st64_b64 v60, v[16:17], v[18:19] offset0:16 offset1:20
	;; [unrolled: 1-line block ×6, first 2 shown]
	s_waitcnt lgkmcnt(0)
	s_barrier
	flat_load_dwordx2 v[64:65], v[2:3]
	v_mad_i32_i24 v26, v0, s0, v1
	s_movk_i32 s0, 0xff
	v_cmp_ne_u32_e32 vcc, s0, v0
	ds_read_b128 v[30:33], v1
	ds_read_b128 v[22:25], v1 offset:16
	ds_read_b128 v[18:21], v1 offset:32
	ds_read_b128 v[14:17], v1 offset:48
	ds_read_b128 v[10:13], v1 offset:64
	ds_read_b128 v[6:9], v1 offset:80
	ds_read_b128 v[2:5], v1 offset:96
	s_waitcnt lgkmcnt(0)
	ds_write_b64 v26, v[30:31] offset:30720
	s_waitcnt lgkmcnt(0)
	s_barrier
	s_and_saveexec_b64 s[0:1], vcc
	s_cbranch_execz .LBB454_83
; %bb.82:
	s_waitcnt vmcnt(0)
	ds_read_b64 v[64:65], v60 offset:30728
.LBB454_83:
	s_or_b64 exec, exec, s[0:1]
	v_lshl_add_u64 v[26:27], v[62:63], 0, v[60:61]
	v_add_co_u32_e32 v28, vcc, s9, v26
	s_waitcnt lgkmcnt(0)
	s_nop 0
	v_addc_co_u32_e32 v29, vcc, 0, v27, vcc
	s_barrier
	flat_load_dwordx2 v[34:35], v[26:27]
	flat_load_dwordx2 v[36:37], v[26:27] offset:2048
	flat_load_dwordx2 v[38:39], v[28:29]
	flat_load_dwordx2 v[40:41], v[28:29] offset:2048
	v_add_co_u32_e32 v28, vcc, s8, v26
	v_cmp_eq_u64_e64 s[0:1], v[30:31], v[32:33]
	s_nop 0
	v_addc_co_u32_e32 v29, vcc, 0, v27, vcc
	v_add_co_u32_e32 v42, vcc, s7, v26
	s_nop 1
	v_addc_co_u32_e32 v43, vcc, 0, v27, vcc
	flat_load_dwordx2 v[44:45], v[28:29]
	flat_load_dwordx2 v[46:47], v[28:29] offset:2048
	flat_load_dwordx2 v[48:49], v[42:43]
	flat_load_dwordx2 v[50:51], v[42:43] offset:2048
	v_add_co_u32_e32 v28, vcc, s6, v26
	s_nop 1
	v_addc_co_u32_e32 v29, vcc, 0, v27, vcc
	v_add_co_u32_e32 v42, vcc, s5, v26
	s_nop 1
	v_addc_co_u32_e32 v43, vcc, 0, v27, vcc
	v_add_co_u32_e32 v26, vcc, s4, v26
	flat_load_dwordx2 v[52:53], v[28:29]
	flat_load_dwordx2 v[56:57], v[28:29] offset:2048
	flat_load_dwordx2 v[58:59], v[42:43]
	flat_load_dwordx2 v[62:63], v[42:43] offset:2048
	v_addc_co_u32_e32 v27, vcc, 0, v27, vcc
	flat_load_dwordx2 v[28:29], v[26:27]
	flat_load_dwordx2 v[42:43], v[26:27] offset:2048
	v_cmp_ne_u64_e32 vcc, v[30:31], v[32:33]
	s_waitcnt vmcnt(0) lgkmcnt(0)
	ds_write2st64_b64 v60, v[34:35], v[36:37] offset1:4
	ds_write2st64_b64 v60, v[38:39], v[40:41] offset0:8 offset1:12
	ds_write2st64_b64 v60, v[44:45], v[46:47] offset0:16 offset1:20
	;; [unrolled: 1-line block ×6, first 2 shown]
	s_waitcnt lgkmcnt(0)
	s_barrier
	ds_read2_b64 v[50:53], v1 offset0:1 offset1:2
	ds_read2_b64 v[46:49], v1 offset0:3 offset1:4
	;; [unrolled: 1-line block ×6, first 2 shown]
	ds_read_b64 v[62:63], v1 offset:104
	v_mov_b64_e32 v[56:57], s[56:57]
	s_and_saveexec_b64 s[4:5], s[0:1]
	s_cbranch_execz .LBB454_85
; %bb.84:
	ds_read_b64 v[56:57], v1
.LBB454_85:
	s_or_b64 exec, exec, s[4:5]
	v_cmp_ne_u64_e64 s[6:7], v[18:19], v[20:21]
	v_cmp_ne_u64_e64 s[20:21], v[8:9], v[2:3]
	;; [unrolled: 1-line block ×3, first 2 shown]
	v_mov_b32_e32 v2, s57
	v_mov_b32_e32 v3, s56
	v_cndmask_b32_e64 v1, 0, 1, vcc
	v_cmp_ne_u64_e32 vcc, v[32:33], v[22:23]
	v_cmp_ne_u64_e64 s[0:1], v[22:23], v[24:25]
	v_cmp_ne_u64_e64 s[4:5], v[24:25], v[18:19]
	v_cndmask_b32_e64 v72, 0, 1, s[6:7]
	v_cmp_ne_u64_e64 s[8:9], v[20:21], v[14:15]
	v_cmp_ne_u64_e64 s[10:11], v[14:15], v[16:17]
	v_cmp_ne_u64_e64 s[12:13], v[16:17], v[10:11]
	v_cmp_ne_u64_e64 s[14:15], v[10:11], v[12:13]
	v_cmp_ne_u64_e64 s[16:17], v[12:13], v[6:7]
	v_cmp_ne_u64_e64 s[18:19], v[6:7], v[8:9]
	s_waitcnt lgkmcnt(5)
	v_cndmask_b32_e64 v49, v49, v2, s[6:7]
	v_cndmask_b32_e64 v48, v48, v3, s[6:7]
	v_cmp_ne_u64_e64 s[6:7], v[4:5], v[64:65]
	v_cndmask_b32_e64 v68, 0, 1, vcc
	v_cndmask_b32_e64 v69, 0, 1, s[0:1]
	v_cndmask_b32_e64 v70, 0, 1, s[4:5]
	;; [unrolled: 1-line block ×10, first 2 shown]
	v_cndmask_b32_e32 v31, v51, v2, vcc
	v_cndmask_b32_e32 v30, v50, v3, vcc
	v_cndmask_b32_e64 v51, v53, v2, s[0:1]
	v_cndmask_b32_e64 v50, v52, v3, s[0:1]
	v_cndmask_b32_e64 v47, v47, v2, s[4:5]
	v_cndmask_b32_e64 v46, v46, v3, s[4:5]
	s_waitcnt lgkmcnt(4)
	v_cndmask_b32_e64 v43, v43, v2, s[8:9]
	v_cndmask_b32_e64 v42, v42, v3, s[8:9]
	v_cndmask_b32_e64 v45, v45, v2, s[10:11]
	v_cndmask_b32_e64 v44, v44, v3, s[10:11]
	s_waitcnt lgkmcnt(3)
	v_cndmask_b32_e64 v39, v39, v2, s[12:13]
	v_cndmask_b32_e64 v38, v38, v3, s[12:13]
	v_cndmask_b32_e64 v41, v41, v2, s[14:15]
	v_cndmask_b32_e64 v40, v40, v3, s[14:15]
	s_waitcnt lgkmcnt(2)
	v_cndmask_b32_e64 v53, v35, v2, s[16:17]
	v_cndmask_b32_e64 v52, v34, v3, s[16:17]
	v_cndmask_b32_e64 v37, v37, v2, s[18:19]
	v_cndmask_b32_e64 v36, v36, v3, s[18:19]
	s_waitcnt lgkmcnt(1)
	v_cndmask_b32_e64 v59, v27, v2, s[20:21]
	v_cndmask_b32_e64 v58, v26, v3, s[20:21]
	v_cndmask_b32_e64 v35, v29, v2, s[22:23]
	v_cndmask_b32_e64 v34, v28, v3, s[22:23]
	s_waitcnt lgkmcnt(0)
	v_cndmask_b32_e64 v67, v63, v2, s[6:7]
	v_cndmask_b32_e64 v66, v62, v3, s[6:7]
	s_mov_b64 s[8:9], -1
                                        ; implicit-def: $sgpr52
                                        ; implicit-def: $sgpr4_sgpr5
.LBB454_86:
	v_mov_b64_e32 v[28:29], s[4:5]
	v_mov_b32_e32 v61, s52
	s_and_saveexec_b64 s[0:1], s[8:9]
; %bb.87:
	v_cndmask_b32_e64 v61, 0, 1, s[6:7]
	v_mov_b64_e32 v[28:29], v[66:67]
; %bb.88:
	s_or_b64 exec, exec, s[0:1]
	v_or_b32_e32 v2, v61, v71
	s_cmp_lg_u32 s43, 0
	v_or_b32_e32 v65, v2, v79
	v_mbcnt_lo_u32_b32 v64, -1, 0
	s_barrier
	s_cbranch_scc0 .LBB454_167
; %bb.89:
	v_mov_b32_e32 v4, 0
	v_cmp_eq_u16_sdwa s[4:5], v68, v4 src0_sel:BYTE_0 src1_sel:DWORD
	v_cmp_eq_u16_sdwa s[6:7], v69, v4 src0_sel:BYTE_0 src1_sel:DWORD
	;; [unrolled: 1-line block ×3, first 2 shown]
	v_cndmask_b32_e64 v3, 0, v57, s[4:5]
	v_cndmask_b32_e64 v2, 0, v56, s[4:5]
	v_lshl_add_u64 v[2:3], v[2:3], 0, v[30:31]
	v_cndmask_b32_e64 v3, 0, v3, s[6:7]
	v_cndmask_b32_e64 v2, 0, v2, s[6:7]
	v_lshl_add_u64 v[2:3], v[2:3], 0, v[50:51]
	v_cndmask_b32_e64 v3, 0, v3, s[8:9]
	v_cndmask_b32_e64 v2, 0, v2, s[8:9]
	v_lshl_add_u64 v[2:3], v[2:3], 0, v[46:47]
	v_cmp_eq_u16_sdwa s[10:11], v72, v4 src0_sel:BYTE_0 src1_sel:DWORD
	v_cmp_eq_u16_sdwa s[12:13], v73, v4 src0_sel:BYTE_0 src1_sel:DWORD
	;; [unrolled: 1-line block ×3, first 2 shown]
	v_cndmask_b32_e64 v3, 0, v3, s[10:11]
	v_cndmask_b32_e64 v2, 0, v2, s[10:11]
	v_lshl_add_u64 v[2:3], v[2:3], 0, v[48:49]
	v_cndmask_b32_e64 v3, 0, v3, s[12:13]
	v_cndmask_b32_e64 v2, 0, v2, s[12:13]
	v_lshl_add_u64 v[2:3], v[2:3], 0, v[42:43]
	;; [unrolled: 3-line block ×3, first 2 shown]
	v_cmp_eq_u16_sdwa s[16:17], v75, v4 src0_sel:BYTE_0 src1_sel:DWORD
	v_cmp_eq_u16_sdwa s[18:19], v76, v4 src0_sel:BYTE_0 src1_sel:DWORD
	;; [unrolled: 1-line block ×3, first 2 shown]
	v_cndmask_b32_e64 v3, 0, v3, s[16:17]
	v_cndmask_b32_e64 v2, 0, v2, s[16:17]
	v_lshl_add_u64 v[2:3], v[2:3], 0, v[38:39]
	v_cndmask_b32_e64 v3, 0, v3, s[18:19]
	v_cndmask_b32_e64 v2, 0, v2, s[18:19]
	v_cmp_eq_u16_sdwa s[22:23], v78, v4 src0_sel:BYTE_0 src1_sel:DWORD
	v_cmp_eq_u16_sdwa s[24:25], v79, v4 src0_sel:BYTE_0 src1_sel:DWORD
	;; [unrolled: 1-line block ×3, first 2 shown]
	v_cmp_eq_u16_sdwa vcc, v61, v4 src0_sel:BYTE_0 src1_sel:DWORD
	v_or_b32_e32 v4, v65, v78
	v_lshl_add_u64 v[2:3], v[2:3], 0, v[40:41]
	v_or_b32_e32 v4, v4, v77
	v_cndmask_b32_e64 v3, 0, v3, s[20:21]
	v_cndmask_b32_e64 v2, 0, v2, s[20:21]
	v_or_b32_e32 v4, v4, v76
	v_lshl_add_u64 v[2:3], v[2:3], 0, v[52:53]
	v_or_b32_e32 v4, v4, v75
	v_cndmask_b32_e64 v3, 0, v3, s[22:23]
	v_cndmask_b32_e64 v2, 0, v2, s[22:23]
	;; [unrolled: 5-line block ×4, first 2 shown]
	v_or_b32_e32 v4, v4, v69
	v_lshl_add_u64 v[2:3], v[2:3], 0, v[34:35]
	v_or_b32_e32 v4, v4, v68
	v_cndmask_b32_e32 v3, 0, v3, vcc
	v_cndmask_b32_e32 v2, 0, v2, vcc
	v_or_b32_e32 v4, v4, v1
	v_mbcnt_hi_u32_b32 v9, -1, v64
	v_lshl_add_u64 v[2:3], v[2:3], 0, v[28:29]
	v_and_b32_e32 v8, 1, v4
	v_and_b32_e32 v5, 15, v9
	v_cmp_eq_u32_e32 vcc, 1, v8
	v_mov_b32_dpp v7, v2 row_shr:1 row_mask:0xf bank_mask:0xf
	v_mov_b32_dpp v10, v3 row_shr:1 row_mask:0xf bank_mask:0xf
	;; [unrolled: 1-line block ×3, first 2 shown]
	v_cmp_ne_u32_e64 s[0:1], 0, v5
	v_mov_b32_e32 v4, v8
	s_and_saveexec_b64 s[28:29], s[0:1]
; %bb.90:
	v_and_b32_e32 v4, 1, v6
	v_cndmask_b32_e64 v11, v10, 0, vcc
	v_cndmask_b32_e64 v10, v7, 0, vcc
	v_or_b32_e32 v8, v4, v8
	v_lshl_add_u64 v[2:3], v[10:11], 0, v[2:3]
	v_and_b32_e32 v4, 0xffff, v8
; %bb.91:
	s_or_b64 exec, exec, s[28:29]
	v_mov_b32_dpp v7, v2 row_shr:2 row_mask:0xf bank_mask:0xf
	v_mov_b32_dpp v10, v3 row_shr:2 row_mask:0xf bank_mask:0xf
	;; [unrolled: 1-line block ×3, first 2 shown]
	v_cmp_lt_u32_e32 vcc, 1, v5
	s_and_saveexec_b64 s[28:29], vcc
; %bb.92:
	v_cmp_eq_u16_e32 vcc, 0, v8
	v_and_b32_e32 v4, 1, v8
	s_nop 0
	v_cndmask_b32_e32 v11, 0, v10, vcc
	v_cndmask_b32_e32 v10, 0, v7, vcc
	v_cmp_eq_u32_e32 vcc, 1, v4
	v_and_b32_e32 v4, 1, v6
	v_cmp_eq_u32_e64 s[0:1], 1, v4
	s_or_b64 s[0:1], vcc, s[0:1]
	v_lshl_add_u64 v[2:3], v[10:11], 0, v[2:3]
	v_cndmask_b32_e64 v8, 0, 1, s[0:1]
	v_cndmask_b32_e64 v4, 0, 1, s[0:1]
; %bb.93:
	s_or_b64 exec, exec, s[28:29]
	v_mov_b32_dpp v7, v2 row_shr:4 row_mask:0xf bank_mask:0xf
	v_mov_b32_dpp v10, v3 row_shr:4 row_mask:0xf bank_mask:0xf
	;; [unrolled: 1-line block ×3, first 2 shown]
	v_cmp_lt_u32_e32 vcc, 3, v5
	s_and_saveexec_b64 s[28:29], vcc
; %bb.94:
	v_cmp_eq_u16_e32 vcc, 0, v8
	v_and_b32_e32 v4, 1, v8
	s_nop 0
	v_cndmask_b32_e32 v11, 0, v10, vcc
	v_cndmask_b32_e32 v10, 0, v7, vcc
	v_cmp_eq_u32_e32 vcc, 1, v4
	v_and_b32_e32 v4, 1, v6
	v_cmp_eq_u32_e64 s[0:1], 1, v4
	s_or_b64 s[0:1], vcc, s[0:1]
	v_lshl_add_u64 v[2:3], v[10:11], 0, v[2:3]
	v_cndmask_b32_e64 v8, 0, 1, s[0:1]
	v_cndmask_b32_e64 v4, 0, 1, s[0:1]
; %bb.95:
	s_or_b64 exec, exec, s[28:29]
	v_mov_b32_dpp v7, v2 row_shr:8 row_mask:0xf bank_mask:0xf
	v_mov_b32_dpp v10, v3 row_shr:8 row_mask:0xf bank_mask:0xf
	v_mov_b32_dpp v6, v4 row_shr:8 row_mask:0xf bank_mask:0xf
	v_cmp_lt_u32_e32 vcc, 7, v5
	s_and_saveexec_b64 s[28:29], vcc
; %bb.96:
	v_cmp_eq_u16_e32 vcc, 0, v8
	s_nop 1
	v_cndmask_b32_e32 v5, 0, v10, vcc
	v_cndmask_b32_e32 v4, 0, v7, vcc
	v_lshl_add_u64 v[2:3], v[4:5], 0, v[2:3]
	v_and_b32_e32 v4, 1, v8
	v_cmp_eq_u32_e32 vcc, 1, v4
	v_and_b32_e32 v4, 1, v6
	v_cmp_eq_u32_e64 s[0:1], 1, v4
	s_or_b64 s[0:1], vcc, s[0:1]
	s_nop 0
	v_cndmask_b32_e64 v8, 0, 1, s[0:1]
	v_cndmask_b32_e64 v4, 0, 1, s[0:1]
; %bb.97:
	s_or_b64 exec, exec, s[28:29]
	v_and_b32_e32 v10, 16, v9
	v_mov_b32_dpp v6, v2 row_bcast:15 row_mask:0xf bank_mask:0xf
	v_mov_b32_dpp v7, v3 row_bcast:15 row_mask:0xf bank_mask:0xf
	;; [unrolled: 1-line block ×3, first 2 shown]
	v_cmp_ne_u32_e32 vcc, 0, v10
	s_and_saveexec_b64 s[28:29], vcc
; %bb.98:
	v_cmp_eq_u16_e32 vcc, 0, v8
	v_and_b32_e32 v4, 1, v8
	s_nop 0
	v_cndmask_b32_e32 v7, 0, v7, vcc
	v_cndmask_b32_e32 v6, 0, v6, vcc
	v_cmp_eq_u32_e32 vcc, 1, v4
	v_and_b32_e32 v4, 1, v5
	v_cmp_eq_u32_e64 s[0:1], 1, v4
	s_or_b64 s[0:1], vcc, s[0:1]
	v_lshl_add_u64 v[2:3], v[6:7], 0, v[2:3]
	v_cndmask_b32_e64 v8, 0, 1, s[0:1]
	v_cndmask_b32_e64 v4, 0, 1, s[0:1]
; %bb.99:
	s_or_b64 exec, exec, s[28:29]
	v_mov_b32_dpp v5, v2 row_bcast:31 row_mask:0xf bank_mask:0xf
	v_mov_b32_dpp v6, v3 row_bcast:31 row_mask:0xf bank_mask:0xf
	v_mov_b32_dpp v4, v4 row_bcast:31 row_mask:0xf bank_mask:0xf
	v_cmp_lt_u32_e32 vcc, 31, v9
	s_and_saveexec_b64 s[28:29], vcc
; %bb.100:
	v_cmp_eq_u16_e32 vcc, 0, v8
	v_and_b32_e32 v4, 1, v4
	v_cmp_eq_u32_e64 s[0:1], 1, v4
	v_cndmask_b32_e32 v7, 0, v6, vcc
	v_cndmask_b32_e32 v6, 0, v5, vcc
	v_and_b32_e32 v5, 1, v8
	v_cmp_eq_u32_e32 vcc, 1, v5
	s_or_b64 s[0:1], vcc, s[0:1]
	v_lshl_add_u64 v[2:3], v[6:7], 0, v[2:3]
	v_cndmask_b32_e64 v8, 0, 1, s[0:1]
; %bb.101:
	s_or_b64 exec, exec, s[28:29]
	v_or_b32_e32 v4, 63, v0
	v_lshrrev_b32_e32 v10, 6, v0
	v_cmp_eq_u32_e32 vcc, v4, v0
	s_and_saveexec_b64 s[0:1], vcc
	s_cbranch_execz .LBB454_103
; %bb.102:
	v_lshlrev_b32_e32 v4, 4, v10
	ds_write_b64 v4, v[2:3]
	ds_write_b8 v4, v8 offset:8
.LBB454_103:
	s_or_b64 exec, exec, s[0:1]
	v_cmp_gt_u32_e32 vcc, 4, v0
	s_waitcnt lgkmcnt(0)
	s_barrier
	s_and_saveexec_b64 s[28:29], vcc
	s_cbranch_execz .LBB454_109
; %bb.104:
	v_lshlrev_b32_e32 v6, 4, v0
	ds_read_b64 v[4:5], v6
	ds_read_b32 v7, v6 offset:8
	v_and_b32_e32 v11, 3, v9
	v_cmp_ne_u32_e32 vcc, 0, v11
	s_waitcnt lgkmcnt(1)
	v_mov_b32_dpp v15, v4 row_shr:1 row_mask:0xf bank_mask:0xf
	v_mov_b32_dpp v16, v5 row_shr:1 row_mask:0xf bank_mask:0xf
	s_waitcnt lgkmcnt(0)
	v_mov_b32_dpp v14, v7 row_shr:1 row_mask:0xf bank_mask:0xf
	v_mov_b32_e32 v12, v7
	v_mov_b32_e32 v13, v7
	s_and_saveexec_b64 s[0:1], vcc
; %bb.105:
	v_mov_b32_e32 v12, 0
	v_cmp_eq_u16_sdwa vcc, v7, v12 src0_sel:BYTE_0 src1_sel:DWORD
	s_movk_i32 s44, 0xff00
	s_nop 0
	v_cndmask_b32_e32 v13, 0, v16, vcc
	v_cndmask_b32_e32 v12, 0, v15, vcc
	v_lshl_add_u64 v[4:5], v[12:13], 0, v[4:5]
	v_or_b32_e32 v13, v14, v7
	v_and_b32_e32 v12, 1, v13
	v_and_b32_e32 v13, 1, v13
	v_and_or_b32 v7, v7, s44, v13
; %bb.106:
	s_or_b64 exec, exec, s[0:1]
	v_mov_b32_dpp v14, v4 row_shr:2 row_mask:0xf bank_mask:0xf
	v_mov_b32_dpp v15, v5 row_shr:2 row_mask:0xf bank_mask:0xf
	;; [unrolled: 1-line block ×3, first 2 shown]
	v_cmp_lt_u32_e32 vcc, 1, v11
	s_and_saveexec_b64 s[44:45], vcc
; %bb.107:
	v_mov_b32_e32 v11, 0
	v_cmp_eq_u16_sdwa vcc, v13, v11 src0_sel:BYTE_0 src1_sel:DWORD
	v_and_b32_e32 v11, 1, v13
	v_and_b32_e32 v7, 1, v7
	v_cndmask_b32_e32 v15, 0, v15, vcc
	v_cndmask_b32_e32 v14, 0, v14, vcc
	v_cmp_eq_u32_e32 vcc, 1, v11
	v_cmp_eq_u32_e64 s[0:1], 1, v7
	s_or_b64 s[0:1], vcc, s[0:1]
	v_lshl_add_u64 v[4:5], v[14:15], 0, v[4:5]
	v_cndmask_b32_e64 v12, 0, 1, s[0:1]
; %bb.108:
	s_or_b64 exec, exec, s[44:45]
	ds_write_b64 v6, v[4:5]
	ds_write_b8 v6, v12 offset:8
.LBB454_109:
	s_or_b64 exec, exec, s[28:29]
	v_cmp_gt_u32_e32 vcc, 64, v0
	v_cmp_lt_u32_e64 s[0:1], 63, v0
	v_mov_b32_e32 v16, 0
	v_mov_b64_e32 v[6:7], 0
	s_waitcnt lgkmcnt(0)
	s_barrier
	s_and_saveexec_b64 s[28:29], s[0:1]
	s_cbranch_execz .LBB454_111
; %bb.110:
	v_lshl_add_u32 v4, v10, 4, -16
	ds_read_b64 v[6:7], v4
	ds_read_u8 v16, v4 offset:8
	v_cmp_eq_u16_e64 s[0:1], 0, v8
	s_waitcnt lgkmcnt(0)
	v_or_b32_e32 v8, v8, v16
	v_cndmask_b32_e64 v5, 0, v7, s[0:1]
	v_cndmask_b32_e64 v4, 0, v6, s[0:1]
	v_lshl_add_u64 v[2:3], v[2:3], 0, v[4:5]
	v_and_b32_e32 v8, 1, v8
.LBB454_111:
	s_or_b64 exec, exec, s[28:29]
	v_add_u32_e32 v4, -1, v9
	v_and_b32_e32 v5, 64, v9
	v_cmp_lt_i32_e64 s[0:1], v4, v5
	v_cmp_eq_u32_e64 s[28:29], 0, v9
	s_nop 0
	v_cndmask_b32_e64 v4, v4, v9, s[0:1]
	v_lshlrev_b32_e32 v4, 2, v4
	ds_bpermute_b32 v17, v4, v2
	v_and_b32_e32 v2, 0xffff, v8
	ds_bpermute_b32 v18, v4, v3
	ds_bpermute_b32 v19, v4, v2
	s_and_saveexec_b64 s[44:45], vcc
	s_cbranch_execz .LBB454_154
; %bb.112:
	v_mov_b32_e32 v11, 0
	ds_read2_b64 v[2:5], v11 offset0:6 offset1:7
	s_and_saveexec_b64 s[0:1], s[28:29]
	s_cbranch_execz .LBB454_114
; %bb.113:
	s_add_i32 s46, s43, 64
	s_mov_b32 s47, 0
	s_lshl_b64 s[48:49], s[46:47], 4
	s_add_u32 s48, s36, s48
	s_addc_u32 s49, s37, s49
	s_waitcnt lgkmcnt(0)
	global_store_dword v11, v2, s[48:49] sc1
	global_store_dword v11, v3, s[48:49] offset:4 sc1
	global_store_dword v11, v4, s[48:49] offset:8 sc1
	;; [unrolled: 1-line block ×3, first 2 shown]
	v_mov_b32_e32 v5, s46
	v_mov_b32_e32 v8, 1
	s_waitcnt vmcnt(0)
	global_store_byte v5, v8, s[40:41] sc1
.LBB454_114:
	s_or_b64 exec, exec, s[0:1]
	v_xad_u32 v8, v9, -1, s43
	v_add_u32_e32 v10, 64, v8
	s_waitcnt lgkmcnt(0)
	global_load_ubyte v5, v10, s[40:41] sc1
	s_waitcnt vmcnt(0)
	v_cmp_eq_u16_e32 vcc, 0, v5
	s_and_saveexec_b64 s[0:1], vcc
	s_cbranch_execz .LBB454_118
; %bb.115:
	v_lshl_add_u64 v[12:13], s[40:41], 0, v[10:11]
	s_mov_b64 s[46:47], 0
.LBB454_116:                            ; =>This Inner Loop Header: Depth=1
	global_load_ubyte v5, v[12:13], off sc1
	s_waitcnt vmcnt(0)
	v_cmp_ne_u16_e32 vcc, 0, v5
	s_or_b64 s[46:47], vcc, s[46:47]
	s_andn2_b64 exec, exec, s[46:47]
	s_cbranch_execnz .LBB454_116
; %bb.117:
	s_or_b64 exec, exec, s[46:47]
.LBB454_118:
	s_or_b64 exec, exec, s[0:1]
	v_mov_b32_e32 v12, s39
	v_mov_b32_e32 v13, s37
	v_cmp_eq_u16_e32 vcc, 1, v5
	v_mov_b32_e32 v14, s36
	s_waitcnt vmcnt(0)
	v_cndmask_b32_e32 v13, v12, v13, vcc
	v_mov_b32_e32 v12, s38
	v_cndmask_b32_e32 v12, v12, v14, vcc
	v_lshl_add_u64 v[10:11], v[10:11], 4, v[12:13]
	global_load_dword v14, v[10:11], off sc1
	global_load_dword v15, v[10:11], off offset:4 sc1
	global_load_dword v80, v[10:11], off offset:8 sc1
	s_nop 0
	global_load_dword v10, v[10:11], off offset:12 sc1
	v_cmp_eq_u16_e32 vcc, 2, v5
	s_waitcnt vmcnt(0)
	v_lshlrev_b64 v[10:11], v9, -1
	v_and_b32_e32 v20, 63, v9
	v_and_b32_e32 v12, vcc_hi, v11
	v_and_b32_e32 v25, vcc_lo, v10
	v_cmp_ne_u32_e32 vcc, 63, v20
	v_or_b32_e32 v12, 0x80000000, v12
	v_ffbl_b32_e32 v12, v12
	v_addc_co_u32_e32 v13, vcc, 0, v9, vcc
	v_lshlrev_b32_e32 v21, 2, v13
	v_add_u32_e32 v12, 32, v12
	v_ffbl_b32_e32 v25, v25
	v_min_u32_e32 v12, v25, v12
	v_cmp_lt_u32_e32 vcc, v20, v12
	ds_bpermute_b32 v23, v21, v14
	ds_bpermute_b32 v24, v21, v15
	v_and_b32_e32 v13, 0xff, v80
	ds_bpermute_b32 v22, v21, v13
	s_and_saveexec_b64 s[0:1], vcc
	s_cbranch_execz .LBB454_120
; %bb.119:
	v_mov_b32_e32 v13, 0
	v_cmp_eq_u16_sdwa vcc, v80, v13 src0_sel:BYTE_0 src1_sel:DWORD
	s_waitcnt lgkmcnt(0)
	v_or_b32_e32 v13, v22, v80
	v_and_b32_e32 v80, 1, v13
	v_cndmask_b32_e32 v25, 0, v24, vcc
	v_cndmask_b32_e32 v24, 0, v23, vcc
	v_lshl_add_u64 v[14:15], v[24:25], 0, v[14:15]
	v_and_b32_e32 v13, 1, v13
.LBB454_120:
	s_or_b64 exec, exec, s[0:1]
	v_cmp_gt_u32_e32 vcc, 62, v20
	s_waitcnt lgkmcnt(2)
	v_add_u32_e32 v23, 2, v20
	s_waitcnt lgkmcnt(0)
	v_cndmask_b32_e64 v22, 0, 1, vcc
	v_lshlrev_b32_e32 v22, 1, v22
	v_add_lshl_u32 v22, v22, v9, 2
	ds_bpermute_b32 v25, v22, v14
	ds_bpermute_b32 v26, v22, v15
	ds_bpermute_b32 v24, v22, v13
	v_cmp_le_u32_e32 vcc, v23, v12
	s_and_saveexec_b64 s[46:47], vcc
	s_cbranch_execz .LBB454_122
; %bb.121:
	v_mov_b32_e32 v13, 0
	v_cmp_eq_u16_sdwa vcc, v80, v13 src0_sel:BYTE_0 src1_sel:DWORD
	v_and_b32_e32 v13, 1, v80
	s_waitcnt lgkmcnt(1)
	v_cndmask_b32_e32 v27, 0, v26, vcc
	v_cndmask_b32_e32 v26, 0, v25, vcc
	v_cmp_eq_u32_e32 vcc, 1, v13
	s_waitcnt lgkmcnt(0)
	v_and_b32_e32 v13, 1, v24
	v_cmp_eq_u32_e64 s[0:1], 1, v13
	s_or_b64 s[0:1], vcc, s[0:1]
	v_lshl_add_u64 v[14:15], v[26:27], 0, v[14:15]
	v_cndmask_b32_e64 v80, 0, 1, s[0:1]
	v_cndmask_b32_e64 v13, 0, 1, s[0:1]
.LBB454_122:
	s_or_b64 exec, exec, s[46:47]
	v_cmp_gt_u32_e32 vcc, 60, v20
	s_waitcnt lgkmcnt(2)
	v_add_u32_e32 v25, 4, v20
	s_waitcnt lgkmcnt(0)
	v_cndmask_b32_e64 v24, 0, 1, vcc
	v_lshlrev_b32_e32 v24, 2, v24
	v_add_lshl_u32 v24, v24, v9, 2
	ds_bpermute_b32 v27, v24, v14
	ds_bpermute_b32 v32, v24, v15
	ds_bpermute_b32 v26, v24, v13
	v_cmp_le_u32_e32 vcc, v25, v12
	s_and_saveexec_b64 s[46:47], vcc
	s_cbranch_execz .LBB454_124
; %bb.123:
	v_mov_b32_e32 v13, 0
	v_cmp_eq_u16_sdwa vcc, v80, v13 src0_sel:BYTE_0 src1_sel:DWORD
	v_and_b32_e32 v13, 1, v80
	s_waitcnt lgkmcnt(1)
	v_cndmask_b32_e32 v33, 0, v32, vcc
	v_cndmask_b32_e32 v32, 0, v27, vcc
	v_cmp_eq_u32_e32 vcc, 1, v13
	s_waitcnt lgkmcnt(0)
	v_and_b32_e32 v13, 1, v26
	v_cmp_eq_u32_e64 s[0:1], 1, v13
	s_or_b64 s[0:1], vcc, s[0:1]
	v_lshl_add_u64 v[14:15], v[32:33], 0, v[14:15]
	v_cndmask_b32_e64 v80, 0, 1, s[0:1]
	v_cndmask_b32_e64 v13, 0, 1, s[0:1]
.LBB454_124:
	;; [unrolled: 30-line block ×4, first 2 shown]
	s_or_b64 exec, exec, s[46:47]
	v_cmp_gt_u32_e32 vcc, 32, v20
	s_waitcnt lgkmcnt(1)
	v_add_u32_e32 v66, 32, v20
	s_waitcnt lgkmcnt(0)
	v_cndmask_b32_e64 v62, 0, 1, vcc
	v_lshlrev_b32_e32 v62, 5, v62
	v_add_lshl_u32 v63, v62, v9, 2
	ds_bpermute_b32 v62, v63, v14
	ds_bpermute_b32 v67, v63, v15
	;; [unrolled: 1-line block ×3, first 2 shown]
	v_cmp_le_u32_e32 vcc, v66, v12
	s_and_saveexec_b64 s[46:47], vcc
	s_cbranch_execz .LBB454_130
; %bb.129:
	v_mov_b32_e32 v12, 0
	v_cmp_eq_u16_sdwa vcc, v80, v12 src0_sel:BYTE_0 src1_sel:DWORD
	s_waitcnt lgkmcnt(0)
	v_and_b32_e32 v9, 1, v9
	v_cmp_eq_u32_e64 s[0:1], 1, v9
	v_cndmask_b32_e32 v13, 0, v67, vcc
	v_cndmask_b32_e32 v12, 0, v62, vcc
	v_lshl_add_u64 v[14:15], v[12:13], 0, v[14:15]
	v_and_b32_e32 v12, 1, v80
	v_cmp_eq_u32_e32 vcc, 1, v12
	s_or_b64 s[0:1], vcc, s[0:1]
	v_cndmask_b32_e64 v80, 0, 1, s[0:1]
.LBB454_130:
	s_or_b64 exec, exec, s[46:47]
	s_waitcnt lgkmcnt(0)
	v_mov_b32_e32 v9, 0
	v_mov_b32_e32 v67, 2
	s_branch .LBB454_132
.LBB454_131:                            ;   in Loop: Header=BB454_132 Depth=1
	s_or_b64 exec, exec, s[48:49]
	v_cmp_eq_u16_sdwa vcc, v62, v9 src0_sel:BYTE_0 src1_sel:DWORD
	v_and_b32_e32 v80, 1, v62
	v_subrev_u32_e32 v8, 64, v8
	v_cndmask_b32_e32 v15, 0, v15, vcc
	v_cndmask_b32_e32 v14, 0, v14, vcc
	v_cmp_eq_u32_e32 vcc, 1, v80
	s_or_b64 s[0:1], vcc, s[46:47]
	v_lshl_add_u64 v[14:15], v[14:15], 0, v[12:13]
	v_cndmask_b32_e64 v80, 0, 1, s[0:1]
.LBB454_132:                            ; =>This Loop Header: Depth=1
                                        ;     Child Loop BB454_135 Depth 2
	v_cmp_ne_u16_sdwa s[0:1], v5, v67 src0_sel:BYTE_0 src1_sel:DWORD
	v_mov_b32_e32 v62, v80
	v_mov_b64_e32 v[12:13], v[14:15]
	v_cndmask_b32_e64 v5, 0, 1, s[0:1]
	;;#ASMSTART
	;;#ASMEND
	s_nop 0
	v_cmp_ne_u32_e32 vcc, 0, v5
	s_cmp_lg_u64 vcc, exec
	s_cbranch_scc1 .LBB454_149
; %bb.133:                              ;   in Loop: Header=BB454_132 Depth=1
	global_load_ubyte v5, v8, s[40:41] sc1
	s_waitcnt vmcnt(0)
	v_cmp_eq_u16_e32 vcc, 0, v5
	s_and_saveexec_b64 s[0:1], vcc
	s_cbranch_execz .LBB454_137
; %bb.134:                              ;   in Loop: Header=BB454_132 Depth=1
	v_lshl_add_u64 v[14:15], s[40:41], 0, v[8:9]
	s_mov_b64 s[46:47], 0
.LBB454_135:                            ;   Parent Loop BB454_132 Depth=1
                                        ; =>  This Inner Loop Header: Depth=2
	global_load_ubyte v5, v[14:15], off sc1
	s_waitcnt vmcnt(0)
	v_cmp_ne_u16_e32 vcc, 0, v5
	s_or_b64 s[46:47], vcc, s[46:47]
	s_andn2_b64 exec, exec, s[46:47]
	s_cbranch_execnz .LBB454_135
; %bb.136:                              ;   in Loop: Header=BB454_132 Depth=1
	s_or_b64 exec, exec, s[46:47]
.LBB454_137:                            ;   in Loop: Header=BB454_132 Depth=1
	s_or_b64 exec, exec, s[0:1]
	v_mov_b32_e32 v14, s39
	v_mov_b32_e32 v15, s37
	v_cmp_eq_u16_e32 vcc, 1, v5
	v_mov_b32_e32 v80, s36
	s_waitcnt vmcnt(0)
	v_cndmask_b32_e32 v15, v14, v15, vcc
	v_mov_b32_e32 v14, s38
	v_cndmask_b32_e32 v14, v14, v80, vcc
	s_waitcnt lgkmcnt(0)
	v_lshl_add_u64 v[82:83], v[8:9], 4, v[14:15]
	global_load_dword v14, v[82:83], off sc1
	global_load_dword v15, v[82:83], off offset:4 sc1
	global_load_dword v80, v[82:83], off offset:8 sc1
	;; [unrolled: 1-line block ×3, first 2 shown]
	v_cmp_eq_u16_e32 vcc, 2, v5
	s_waitcnt vmcnt(3)
	ds_bpermute_b32 v84, v21, v14
	s_waitcnt vmcnt(0)
	v_and_b32_e32 v81, vcc_hi, v11
	v_and_b32_e32 v82, 0xff, v80
	v_or_b32_e32 v81, 0x80000000, v81
	ds_bpermute_b32 v85, v21, v15
	ds_bpermute_b32 v83, v21, v82
	v_and_b32_e32 v86, vcc_lo, v10
	v_ffbl_b32_e32 v81, v81
	v_add_u32_e32 v81, 32, v81
	v_ffbl_b32_e32 v86, v86
	v_min_u32_e32 v81, v86, v81
	v_cmp_lt_u32_e32 vcc, v20, v81
	s_and_saveexec_b64 s[0:1], vcc
	s_cbranch_execz .LBB454_139
; %bb.138:                              ;   in Loop: Header=BB454_132 Depth=1
	v_cmp_eq_u16_sdwa vcc, v80, v9 src0_sel:BYTE_0 src1_sel:DWORD
	s_waitcnt lgkmcnt(0)
	v_or_b32_e32 v82, v83, v80
	v_and_b32_e32 v80, 1, v82
	v_cndmask_b32_e32 v85, 0, v85, vcc
	v_cndmask_b32_e32 v84, 0, v84, vcc
	v_lshl_add_u64 v[14:15], v[84:85], 0, v[14:15]
	v_and_b32_e32 v82, 1, v82
.LBB454_139:                            ;   in Loop: Header=BB454_132 Depth=1
	s_or_b64 exec, exec, s[0:1]
	s_waitcnt lgkmcnt(2)
	ds_bpermute_b32 v84, v22, v14
	s_waitcnt lgkmcnt(2)
	ds_bpermute_b32 v85, v22, v15
	;; [unrolled: 2-line block ×3, first 2 shown]
	v_and_b32_e32 v86, 1, v80
	v_cmp_le_u32_e32 vcc, v23, v81
	v_cmp_eq_u32_e64 s[46:47], 1, v86
	s_and_saveexec_b64 s[0:1], vcc
	s_cbranch_execz .LBB454_141
; %bb.140:                              ;   in Loop: Header=BB454_132 Depth=1
	v_cmp_eq_u16_sdwa vcc, v80, v9 src0_sel:BYTE_0 src1_sel:DWORD
	s_waitcnt lgkmcnt(0)
	v_and_b32_e32 v80, 1, v83
	v_cndmask_b32_e32 v85, 0, v85, vcc
	v_cndmask_b32_e32 v84, 0, v84, vcc
	v_cmp_eq_u32_e32 vcc, 1, v80
	s_or_b64 s[48:49], s[46:47], vcc
	v_cndmask_b32_e64 v80, 0, 1, s[48:49]
	v_cndmask_b32_e64 v82, 0, 1, s[48:49]
	s_andn2_b64 s[46:47], s[46:47], exec
	s_and_b64 s[48:49], s[48:49], exec
	v_lshl_add_u64 v[14:15], v[84:85], 0, v[14:15]
	s_or_b64 s[46:47], s[46:47], s[48:49]
.LBB454_141:                            ;   in Loop: Header=BB454_132 Depth=1
	s_or_b64 exec, exec, s[0:1]
	s_waitcnt lgkmcnt(2)
	ds_bpermute_b32 v84, v24, v14
	s_waitcnt lgkmcnt(2)
	ds_bpermute_b32 v85, v24, v15
	s_waitcnt lgkmcnt(2)
	ds_bpermute_b32 v83, v24, v82
	v_cmp_le_u32_e32 vcc, v25, v81
	s_and_saveexec_b64 s[48:49], vcc
	s_cbranch_execz .LBB454_143
; %bb.142:                              ;   in Loop: Header=BB454_132 Depth=1
	v_cmp_eq_u16_sdwa vcc, v80, v9 src0_sel:BYTE_0 src1_sel:DWORD
	v_and_b32_e32 v80, 1, v80
	s_andn2_b64 s[46:47], s[46:47], exec
	s_waitcnt lgkmcnt(1)
	v_cndmask_b32_e32 v85, 0, v85, vcc
	v_cndmask_b32_e32 v84, 0, v84, vcc
	v_cmp_eq_u32_e32 vcc, 1, v80
	s_waitcnt lgkmcnt(0)
	v_and_b32_e32 v80, 1, v83
	v_cmp_eq_u32_e64 s[0:1], 1, v80
	s_or_b64 s[0:1], vcc, s[0:1]
	v_lshl_add_u64 v[14:15], v[84:85], 0, v[14:15]
	v_cndmask_b32_e64 v80, 0, 1, s[0:1]
	v_cndmask_b32_e64 v82, 0, 1, s[0:1]
	s_and_b64 s[0:1], s[0:1], exec
	s_or_b64 s[46:47], s[46:47], s[0:1]
.LBB454_143:                            ;   in Loop: Header=BB454_132 Depth=1
	s_or_b64 exec, exec, s[48:49]
	s_waitcnt lgkmcnt(2)
	ds_bpermute_b32 v84, v26, v14
	s_waitcnt lgkmcnt(2)
	ds_bpermute_b32 v85, v26, v15
	s_waitcnt lgkmcnt(2)
	ds_bpermute_b32 v83, v26, v82
	v_cmp_le_u32_e32 vcc, v27, v81
	s_and_saveexec_b64 s[48:49], vcc
	s_cbranch_execz .LBB454_145
; %bb.144:                              ;   in Loop: Header=BB454_132 Depth=1
	v_cmp_eq_u16_sdwa vcc, v80, v9 src0_sel:BYTE_0 src1_sel:DWORD
	v_and_b32_e32 v80, 1, v80
	s_andn2_b64 s[46:47], s[46:47], exec
	s_waitcnt lgkmcnt(1)
	v_cndmask_b32_e32 v85, 0, v85, vcc
	v_cndmask_b32_e32 v84, 0, v84, vcc
	v_cmp_eq_u32_e32 vcc, 1, v80
	s_waitcnt lgkmcnt(0)
	v_and_b32_e32 v80, 1, v83
	v_cmp_eq_u32_e64 s[0:1], 1, v80
	s_or_b64 s[0:1], vcc, s[0:1]
	v_lshl_add_u64 v[14:15], v[84:85], 0, v[14:15]
	v_cndmask_b32_e64 v80, 0, 1, s[0:1]
	v_cndmask_b32_e64 v82, 0, 1, s[0:1]
	s_and_b64 s[0:1], s[0:1], exec
	s_or_b64 s[46:47], s[46:47], s[0:1]
.LBB454_145:                            ;   in Loop: Header=BB454_132 Depth=1
	;; [unrolled: 28-line block ×3, first 2 shown]
	s_or_b64 exec, exec, s[48:49]
	s_waitcnt lgkmcnt(0)
	ds_bpermute_b32 v83, v63, v14
	ds_bpermute_b32 v84, v63, v15
	;; [unrolled: 1-line block ×3, first 2 shown]
	v_cmp_le_u32_e32 vcc, v66, v81
	s_and_saveexec_b64 s[48:49], vcc
	s_cbranch_execz .LBB454_131
; %bb.148:                              ;   in Loop: Header=BB454_132 Depth=1
	v_cmp_eq_u16_sdwa vcc, v80, v9 src0_sel:BYTE_0 src1_sel:DWORD
	v_and_b32_e32 v80, 1, v80
	s_andn2_b64 s[46:47], s[46:47], exec
	s_waitcnt lgkmcnt(1)
	v_cndmask_b32_e32 v85, 0, v84, vcc
	v_cndmask_b32_e32 v84, 0, v83, vcc
	v_cmp_eq_u32_e32 vcc, 1, v80
	s_waitcnt lgkmcnt(0)
	v_and_b32_e32 v80, 1, v82
	v_cmp_eq_u32_e64 s[0:1], 1, v80
	s_or_b64 s[0:1], vcc, s[0:1]
	s_and_b64 s[0:1], s[0:1], exec
	v_lshl_add_u64 v[14:15], v[84:85], 0, v[14:15]
	s_or_b64 s[46:47], s[46:47], s[0:1]
	s_branch .LBB454_131
.LBB454_149:                            ;   in Loop: Header=BB454_132 Depth=1
                                        ; implicit-def: $vgpr80
                                        ; implicit-def: $vgpr14_vgpr15
                                        ; implicit-def: $vgpr5
	s_cbranch_execz .LBB454_132
; %bb.150:
	s_and_saveexec_b64 s[0:1], s[28:29]
	s_cbranch_execz .LBB454_152
; %bb.151:
	s_mov_b32 s37, 0
	v_mov_b32_e32 v5, 0
	s_add_i32 s36, s43, 64
	v_cmp_eq_u32_sdwa vcc, v4, v5 src0_sel:BYTE_0 src1_sel:DWORD
	s_lshl_b64 s[46:47], s[36:37], 4
	v_and_b32_e32 v4, 1, v4
	v_cndmask_b32_e32 v9, 0, v13, vcc
	v_cndmask_b32_e32 v8, 0, v12, vcc
	s_add_u32 s46, s38, s46
	v_lshl_add_u64 v[2:3], v[8:9], 0, v[2:3]
	v_and_b32_e32 v8, 1, v62
	v_cmp_eq_u32_e32 vcc, 1, v4
	s_addc_u32 s47, s39, s47
	s_nop 0
	v_cndmask_b32_e64 v4, v8, 1, vcc
	global_store_dword v5, v2, s[46:47] sc1
	global_store_dword v5, v3, s[46:47] offset:4 sc1
	global_store_dword v5, v4, s[46:47] offset:8 sc1
	;; [unrolled: 1-line block ×3, first 2 shown]
	v_mov_b32_e32 v2, s36
	v_mov_b32_e32 v3, 2
	s_waitcnt vmcnt(0) lgkmcnt(0)
	global_store_byte v2, v3, s[40:41] sc1
.LBB454_152:
	s_or_b64 exec, exec, s[0:1]
	s_and_b64 exec, exec, s[30:31]
	s_cbranch_execz .LBB454_154
; %bb.153:
	v_mov_b32_e32 v2, 0
	ds_write_b64 v2, v[12:13] offset:48
	ds_write_b8 v2, v62 offset:56
.LBB454_154:
	s_or_b64 exec, exec, s[44:45]
	v_mov_b32_e32 v8, 0
	s_waitcnt lgkmcnt(0)
	s_barrier
	ds_read_b64 v[2:3], v8 offset:48
	v_cndmask_b32_e64 v9, v19, v16, s[28:29]
	v_cmp_eq_u16_sdwa vcc, v9, v8 src0_sel:BYTE_0 src1_sel:DWORD
	v_cndmask_b32_e64 v4, v17, v6, s[28:29]
	v_cndmask_b32_e64 v5, v18, v7, s[28:29]
	s_waitcnt lgkmcnt(0)
	v_cndmask_b32_e32 v7, 0, v3, vcc
	v_cndmask_b32_e32 v6, 0, v2, vcc
	v_lshl_add_u64 v[4:5], v[4:5], 0, v[6:7]
	v_cndmask_b32_e64 v3, v5, v3, s[30:31]
	v_cndmask_b32_e64 v2, v4, v2, s[30:31]
	v_cmp_eq_u16_sdwa vcc, v1, v8 src0_sel:BYTE_0 src1_sel:DWORD
	s_nop 1
	v_cndmask_b32_e32 v5, 0, v3, vcc
	v_cndmask_b32_e32 v4, 0, v2, vcc
	v_lshl_add_u64 v[4:5], v[4:5], 0, v[56:57]
	v_cndmask_b32_e64 v7, 0, v5, s[4:5]
	v_cndmask_b32_e64 v6, 0, v4, s[4:5]
	v_lshl_add_u64 v[6:7], v[6:7], 0, v[30:31]
	v_cndmask_b32_e64 v9, 0, v7, s[6:7]
	v_cndmask_b32_e64 v8, 0, v6, s[6:7]
	;; [unrolled: 3-line block ×12, first 2 shown]
	s_branch .LBB454_195
.LBB454_155:
	s_or_b64 exec, exec, s[0:1]
                                        ; implicit-def: $vgpr66_vgpr67
	s_and_saveexec_b64 s[0:1], s[4:5]
	s_cbranch_execz .LBB454_37
.LBB454_156:
	v_mov_b32_e32 v57, 0
	v_lshl_add_u64 v[66:67], v[62:63], 0, v[56:57]
	flat_load_dwordx2 v[66:67], v[66:67] offset:2048
	s_or_b64 exec, exec, s[0:1]
                                        ; implicit-def: $vgpr68_vgpr69
	s_and_saveexec_b64 s[0:1], s[6:7]
	s_cbranch_execnz .LBB454_38
.LBB454_157:
	s_or_b64 exec, exec, s[0:1]
                                        ; implicit-def: $vgpr30_vgpr31
	s_and_saveexec_b64 s[0:1], s[8:9]
	s_cbranch_execz .LBB454_39
.LBB454_158:
	v_mov_b32_e32 v33, 0
	v_lshl_add_u64 v[30:31], v[62:63], 0, v[32:33]
	flat_load_dwordx2 v[30:31], v[30:31]
	s_or_b64 exec, exec, s[0:1]
                                        ; implicit-def: $vgpr32_vgpr33
	s_and_saveexec_b64 s[0:1], s[10:11]
	s_cbranch_execnz .LBB454_40
.LBB454_159:
	s_or_b64 exec, exec, s[0:1]
                                        ; implicit-def: $vgpr34_vgpr35
	s_and_saveexec_b64 s[0:1], s[12:13]
	s_cbranch_execz .LBB454_41
.LBB454_160:
	v_mov_b32_e32 v37, 0
	v_lshl_add_u64 v[34:35], v[62:63], 0, v[36:37]
	flat_load_dwordx2 v[34:35], v[34:35]
	s_or_b64 exec, exec, s[0:1]
                                        ; implicit-def: $vgpr36_vgpr37
	s_and_saveexec_b64 s[0:1], s[14:15]
	s_cbranch_execnz .LBB454_42
.LBB454_161:
	s_or_b64 exec, exec, s[0:1]
                                        ; implicit-def: $vgpr38_vgpr39
	s_and_saveexec_b64 s[0:1], s[16:17]
	s_cbranch_execz .LBB454_43
.LBB454_162:
	v_mov_b32_e32 v41, 0
	v_lshl_add_u64 v[38:39], v[62:63], 0, v[40:41]
	flat_load_dwordx2 v[38:39], v[38:39]
	s_or_b64 exec, exec, s[0:1]
                                        ; implicit-def: $vgpr40_vgpr41
	s_and_saveexec_b64 s[0:1], s[18:19]
	s_cbranch_execnz .LBB454_44
.LBB454_163:
	s_or_b64 exec, exec, s[0:1]
                                        ; implicit-def: $vgpr42_vgpr43
	s_and_saveexec_b64 s[0:1], s[20:21]
	s_cbranch_execz .LBB454_45
.LBB454_164:
	v_mov_b32_e32 v45, 0
	v_lshl_add_u64 v[42:43], v[62:63], 0, v[44:45]
	flat_load_dwordx2 v[42:43], v[42:43]
	s_or_b64 exec, exec, s[0:1]
                                        ; implicit-def: $vgpr44_vgpr45
	s_and_saveexec_b64 s[0:1], s[22:23]
	s_cbranch_execnz .LBB454_46
.LBB454_165:
	s_or_b64 exec, exec, s[0:1]
                                        ; implicit-def: $vgpr46_vgpr47
	s_and_saveexec_b64 s[0:1], s[24:25]
	s_cbranch_execz .LBB454_47
.LBB454_166:
	v_mov_b32_e32 v49, 0
	v_lshl_add_u64 v[46:47], v[62:63], 0, v[48:49]
	flat_load_dwordx2 v[46:47], v[46:47]
	s_or_b64 exec, exec, s[0:1]
                                        ; implicit-def: $vgpr48_vgpr49
	s_and_saveexec_b64 s[0:1], s[26:27]
	s_cbranch_execz .LBB454_49
	s_branch .LBB454_48
.LBB454_167:
                                        ; implicit-def: $vgpr2_vgpr3
                                        ; implicit-def: $vgpr62_vgpr63
                                        ; implicit-def: $vgpr26_vgpr27
                                        ; implicit-def: $vgpr24_vgpr25
                                        ; implicit-def: $vgpr20_vgpr21
                                        ; implicit-def: $vgpr16_vgpr17
                                        ; implicit-def: $vgpr12_vgpr13
                                        ; implicit-def: $vgpr8_vgpr9
	s_cbranch_execz .LBB454_195
; %bb.168:
	s_cmp_lg_u64 s[58:59], 0
	s_cselect_b32 s1, s55, 0
	s_cselect_b32 s0, s54, 0
	s_cmp_eq_u64 s[0:1], 0
	v_mov_b64_e32 v[32:33], s[56:57]
	s_cbranch_scc1 .LBB454_170
; %bb.169:
	v_mov_b32_e32 v2, 0
	global_load_dwordx2 v[32:33], v2, s[0:1]
.LBB454_170:
	v_mov_b32_e32 v4, 0
	v_cmp_eq_u16_sdwa vcc, v68, v4 src0_sel:BYTE_0 src1_sel:DWORD
	v_cmp_eq_u16_sdwa s[4:5], v69, v4 src0_sel:BYTE_0 src1_sel:DWORD
	v_cmp_eq_u16_sdwa s[6:7], v70, v4 src0_sel:BYTE_0 src1_sel:DWORD
	v_cndmask_b32_e32 v3, 0, v57, vcc
	v_cndmask_b32_e32 v2, 0, v56, vcc
	v_lshl_add_u64 v[2:3], v[2:3], 0, v[30:31]
	v_cndmask_b32_e64 v3, 0, v3, s[4:5]
	v_cndmask_b32_e64 v2, 0, v2, s[4:5]
	v_lshl_add_u64 v[2:3], v[2:3], 0, v[50:51]
	v_cndmask_b32_e64 v3, 0, v3, s[6:7]
	v_cndmask_b32_e64 v2, 0, v2, s[6:7]
	v_lshl_add_u64 v[2:3], v[2:3], 0, v[46:47]
	v_cmp_eq_u16_sdwa s[8:9], v72, v4 src0_sel:BYTE_0 src1_sel:DWORD
	v_cmp_eq_u16_sdwa s[10:11], v73, v4 src0_sel:BYTE_0 src1_sel:DWORD
	;; [unrolled: 1-line block ×3, first 2 shown]
	v_cndmask_b32_e64 v3, 0, v3, s[8:9]
	v_cndmask_b32_e64 v2, 0, v2, s[8:9]
	v_lshl_add_u64 v[2:3], v[2:3], 0, v[48:49]
	v_cndmask_b32_e64 v3, 0, v3, s[10:11]
	v_cndmask_b32_e64 v2, 0, v2, s[10:11]
	v_lshl_add_u64 v[2:3], v[2:3], 0, v[42:43]
	;; [unrolled: 3-line block ×3, first 2 shown]
	v_cmp_eq_u16_sdwa s[14:15], v75, v4 src0_sel:BYTE_0 src1_sel:DWORD
	v_cmp_eq_u16_sdwa s[16:17], v76, v4 src0_sel:BYTE_0 src1_sel:DWORD
	;; [unrolled: 1-line block ×3, first 2 shown]
	v_cndmask_b32_e64 v3, 0, v3, s[14:15]
	v_cndmask_b32_e64 v2, 0, v2, s[14:15]
	v_lshl_add_u64 v[2:3], v[2:3], 0, v[38:39]
	v_cndmask_b32_e64 v3, 0, v3, s[16:17]
	v_cndmask_b32_e64 v2, 0, v2, s[16:17]
	v_cmp_eq_u16_sdwa s[20:21], v78, v4 src0_sel:BYTE_0 src1_sel:DWORD
	v_cmp_eq_u16_sdwa s[22:23], v79, v4 src0_sel:BYTE_0 src1_sel:DWORD
	v_cmp_eq_u16_sdwa s[24:25], v71, v4 src0_sel:BYTE_0 src1_sel:DWORD
	v_cmp_eq_u16_sdwa s[0:1], v61, v4 src0_sel:BYTE_0 src1_sel:DWORD
	v_or_b32_e32 v4, v65, v78
	v_lshl_add_u64 v[2:3], v[2:3], 0, v[40:41]
	v_or_b32_e32 v4, v4, v77
	v_cndmask_b32_e64 v3, 0, v3, s[18:19]
	v_cndmask_b32_e64 v2, 0, v2, s[18:19]
	v_or_b32_e32 v4, v4, v76
	v_lshl_add_u64 v[2:3], v[2:3], 0, v[52:53]
	v_or_b32_e32 v4, v4, v75
	v_cndmask_b32_e64 v3, 0, v3, s[20:21]
	v_cndmask_b32_e64 v2, 0, v2, s[20:21]
	;; [unrolled: 5-line block ×5, first 2 shown]
	v_or_b32_e32 v4, v4, v1
	v_mbcnt_hi_u32_b32 v6, -1, v64
	v_lshl_add_u64 v[2:3], v[2:3], 0, v[28:29]
	v_and_b32_e32 v7, 1, v4
	v_and_b32_e32 v5, 15, v6
	v_cmp_eq_u32_e64 s[0:1], 1, v7
	v_mov_b32_dpp v9, v2 row_shr:1 row_mask:0xf bank_mask:0xf
	v_mov_b32_dpp v10, v3 row_shr:1 row_mask:0xf bank_mask:0xf
	;; [unrolled: 1-line block ×3, first 2 shown]
	v_cmp_ne_u32_e64 s[26:27], 0, v5
	v_mov_b32_e32 v4, v7
	s_and_saveexec_b64 s[28:29], s[26:27]
; %bb.171:
	v_and_b32_e32 v4, 1, v8
	v_cndmask_b32_e64 v11, v10, 0, s[0:1]
	v_cndmask_b32_e64 v10, v9, 0, s[0:1]
	v_or_b32_e32 v7, v4, v7
	v_lshl_add_u64 v[2:3], v[10:11], 0, v[2:3]
	v_and_b32_e32 v4, 0xffff, v7
; %bb.172:
	s_or_b64 exec, exec, s[28:29]
	v_mov_b32_dpp v9, v2 row_shr:2 row_mask:0xf bank_mask:0xf
	v_mov_b32_dpp v10, v3 row_shr:2 row_mask:0xf bank_mask:0xf
	;; [unrolled: 1-line block ×3, first 2 shown]
	v_cmp_lt_u32_e64 s[0:1], 1, v5
	s_and_saveexec_b64 s[28:29], s[0:1]
; %bb.173:
	v_cmp_eq_u16_e64 s[0:1], 0, v7
	v_and_b32_e32 v4, 1, v7
	s_nop 0
	v_cndmask_b32_e64 v11, 0, v10, s[0:1]
	v_cndmask_b32_e64 v10, 0, v9, s[0:1]
	v_cmp_eq_u32_e64 s[0:1], 1, v4
	v_and_b32_e32 v4, 1, v8
	v_cmp_eq_u32_e64 s[26:27], 1, v4
	s_or_b64 s[0:1], s[0:1], s[26:27]
	v_lshl_add_u64 v[2:3], v[10:11], 0, v[2:3]
	v_cndmask_b32_e64 v7, 0, 1, s[0:1]
	v_cndmask_b32_e64 v4, 0, 1, s[0:1]
; %bb.174:
	s_or_b64 exec, exec, s[28:29]
	v_mov_b32_dpp v9, v2 row_shr:4 row_mask:0xf bank_mask:0xf
	v_mov_b32_dpp v10, v3 row_shr:4 row_mask:0xf bank_mask:0xf
	v_mov_b32_dpp v8, v4 row_shr:4 row_mask:0xf bank_mask:0xf
	v_cmp_lt_u32_e64 s[0:1], 3, v5
	s_and_saveexec_b64 s[28:29], s[0:1]
; %bb.175:
	v_cmp_eq_u16_e64 s[0:1], 0, v7
	v_and_b32_e32 v4, 1, v7
	s_nop 0
	v_cndmask_b32_e64 v11, 0, v10, s[0:1]
	v_cndmask_b32_e64 v10, 0, v9, s[0:1]
	v_cmp_eq_u32_e64 s[0:1], 1, v4
	v_and_b32_e32 v4, 1, v8
	v_cmp_eq_u32_e64 s[26:27], 1, v4
	s_or_b64 s[0:1], s[0:1], s[26:27]
	v_lshl_add_u64 v[2:3], v[10:11], 0, v[2:3]
	v_cndmask_b32_e64 v7, 0, 1, s[0:1]
	v_cndmask_b32_e64 v4, 0, 1, s[0:1]
; %bb.176:
	s_or_b64 exec, exec, s[28:29]
	v_mov_b32_dpp v9, v2 row_shr:8 row_mask:0xf bank_mask:0xf
	v_mov_b32_dpp v10, v3 row_shr:8 row_mask:0xf bank_mask:0xf
	;; [unrolled: 1-line block ×3, first 2 shown]
	v_cmp_lt_u32_e64 s[0:1], 7, v5
	s_and_saveexec_b64 s[28:29], s[0:1]
; %bb.177:
	v_cmp_eq_u16_e64 s[0:1], 0, v7
	s_nop 1
	v_cndmask_b32_e64 v5, 0, v10, s[0:1]
	v_cndmask_b32_e64 v4, 0, v9, s[0:1]
	v_lshl_add_u64 v[2:3], v[4:5], 0, v[2:3]
	v_and_b32_e32 v4, 1, v7
	v_cmp_eq_u32_e64 s[0:1], 1, v4
	v_and_b32_e32 v4, 1, v8
	v_cmp_eq_u32_e64 s[26:27], 1, v4
	s_or_b64 s[0:1], s[0:1], s[26:27]
	v_cndmask_b32_e64 v7, 0, 1, s[0:1]
	v_cndmask_b32_e64 v4, 0, 1, s[0:1]
; %bb.178:
	s_or_b64 exec, exec, s[28:29]
	v_and_b32_e32 v10, 16, v6
	v_mov_b32_dpp v8, v2 row_bcast:15 row_mask:0xf bank_mask:0xf
	v_mov_b32_dpp v9, v3 row_bcast:15 row_mask:0xf bank_mask:0xf
	;; [unrolled: 1-line block ×3, first 2 shown]
	v_cmp_ne_u32_e64 s[0:1], 0, v10
	s_and_saveexec_b64 s[28:29], s[0:1]
; %bb.179:
	v_cmp_eq_u16_e64 s[0:1], 0, v7
	v_and_b32_e32 v4, 1, v7
	s_nop 0
	v_cndmask_b32_e64 v9, 0, v9, s[0:1]
	v_cndmask_b32_e64 v8, 0, v8, s[0:1]
	v_cmp_eq_u32_e64 s[0:1], 1, v4
	v_and_b32_e32 v4, 1, v5
	v_cmp_eq_u32_e64 s[26:27], 1, v4
	s_or_b64 s[0:1], s[0:1], s[26:27]
	v_lshl_add_u64 v[2:3], v[8:9], 0, v[2:3]
	v_cndmask_b32_e64 v7, 0, 1, s[0:1]
	v_cndmask_b32_e64 v4, 0, 1, s[0:1]
; %bb.180:
	s_or_b64 exec, exec, s[28:29]
	v_mov_b32_dpp v5, v2 row_bcast:31 row_mask:0xf bank_mask:0xf
	v_mov_b32_dpp v8, v3 row_bcast:31 row_mask:0xf bank_mask:0xf
	;; [unrolled: 1-line block ×3, first 2 shown]
	v_cmp_lt_u32_e64 s[0:1], 31, v6
	s_and_saveexec_b64 s[28:29], s[0:1]
; %bb.181:
	v_cmp_eq_u16_e64 s[0:1], 0, v7
	v_and_b32_e32 v4, 1, v4
	v_cmp_eq_u32_e64 s[26:27], 1, v4
	v_cndmask_b32_e64 v9, 0, v8, s[0:1]
	v_cndmask_b32_e64 v8, 0, v5, s[0:1]
	v_and_b32_e32 v5, 1, v7
	v_cmp_eq_u32_e64 s[0:1], 1, v5
	s_or_b64 s[0:1], s[0:1], s[26:27]
	v_lshl_add_u64 v[2:3], v[8:9], 0, v[2:3]
	v_cndmask_b32_e64 v7, 0, 1, s[0:1]
; %bb.182:
	s_or_b64 exec, exec, s[28:29]
	v_or_b32_e32 v4, 63, v0
	v_lshrrev_b32_e32 v8, 6, v0
	v_cmp_eq_u32_e64 s[0:1], v4, v0
	s_and_saveexec_b64 s[26:27], s[0:1]
	s_cbranch_execz .LBB454_184
; %bb.183:
	v_lshlrev_b32_e32 v4, 4, v8
	ds_write_b64 v4, v[2:3]
	ds_write_b8 v4, v7 offset:8
.LBB454_184:
	s_or_b64 exec, exec, s[26:27]
	v_cmp_gt_u32_e64 s[0:1], 4, v0
	s_waitcnt lgkmcnt(0)
	s_barrier
	s_and_saveexec_b64 s[28:29], s[0:1]
	s_cbranch_execz .LBB454_190
; %bb.185:
	v_lshlrev_b32_e32 v9, 4, v0
	ds_read_b64 v[4:5], v9
	ds_read_b32 v10, v9 offset:8
	v_and_b32_e32 v11, 3, v6
	v_cmp_ne_u32_e64 s[0:1], 0, v11
	s_waitcnt lgkmcnt(1)
	v_mov_b32_dpp v15, v4 row_shr:1 row_mask:0xf bank_mask:0xf
	v_mov_b32_dpp v16, v5 row_shr:1 row_mask:0xf bank_mask:0xf
	s_waitcnt lgkmcnt(0)
	v_mov_b32_dpp v14, v10 row_shr:1 row_mask:0xf bank_mask:0xf
	v_mov_b32_e32 v12, v10
	v_mov_b32_e32 v13, v10
	s_and_saveexec_b64 s[26:27], s[0:1]
; %bb.186:
	v_mov_b32_e32 v12, 0
	v_cmp_eq_u16_sdwa s[0:1], v10, v12 src0_sel:BYTE_0 src1_sel:DWORD
	s_nop 1
	v_cndmask_b32_e64 v13, 0, v16, s[0:1]
	v_cndmask_b32_e64 v12, 0, v15, s[0:1]
	v_lshl_add_u64 v[4:5], v[12:13], 0, v[4:5]
	v_or_b32_e32 v13, v14, v10
	v_and_b32_e32 v12, 1, v13
	v_and_b32_e32 v13, 1, v13
	s_movk_i32 s0, 0xff00
	v_and_or_b32 v10, v10, s0, v13
; %bb.187:
	s_or_b64 exec, exec, s[26:27]
	v_mov_b32_dpp v14, v4 row_shr:2 row_mask:0xf bank_mask:0xf
	v_mov_b32_dpp v15, v5 row_shr:2 row_mask:0xf bank_mask:0xf
	;; [unrolled: 1-line block ×3, first 2 shown]
	v_cmp_lt_u32_e64 s[0:1], 1, v11
	s_and_saveexec_b64 s[36:37], s[0:1]
; %bb.188:
	v_mov_b32_e32 v11, 0
	v_cmp_eq_u16_sdwa s[0:1], v13, v11 src0_sel:BYTE_0 src1_sel:DWORD
	v_and_b32_e32 v11, 1, v13
	v_and_b32_e32 v10, 1, v10
	v_cndmask_b32_e64 v15, 0, v15, s[0:1]
	v_cndmask_b32_e64 v14, 0, v14, s[0:1]
	v_cmp_eq_u32_e64 s[0:1], 1, v11
	v_cmp_eq_u32_e64 s[26:27], 1, v10
	s_or_b64 s[0:1], s[0:1], s[26:27]
	v_lshl_add_u64 v[4:5], v[14:15], 0, v[4:5]
	v_cndmask_b32_e64 v12, 0, 1, s[0:1]
; %bb.189:
	s_or_b64 exec, exec, s[36:37]
	ds_write_b64 v9, v[4:5]
	ds_write_b8 v9, v12 offset:8
.LBB454_190:
	s_or_b64 exec, exec, s[28:29]
	v_cmp_lt_u32_e64 s[0:1], 63, v0
	s_waitcnt vmcnt(0)
	v_mov_b64_e32 v[4:5], v[32:33]
	s_waitcnt lgkmcnt(0)
	s_barrier
	s_and_saveexec_b64 s[26:27], s[0:1]
	s_cbranch_execz .LBB454_192
; %bb.191:
	v_lshl_add_u32 v4, v8, 4, -16
	ds_read_u8 v8, v4 offset:8
	ds_read_b64 v[4:5], v4
	s_waitcnt lgkmcnt(1)
	v_cmp_eq_u16_e64 s[0:1], 0, v8
	s_nop 1
	v_cndmask_b32_e64 v9, 0, v33, s[0:1]
	v_cndmask_b32_e64 v8, 0, v32, s[0:1]
	s_waitcnt lgkmcnt(0)
	v_lshl_add_u64 v[4:5], v[8:9], 0, v[4:5]
.LBB454_192:
	s_or_b64 exec, exec, s[26:27]
	v_cmp_eq_u16_e64 s[0:1], 0, v7
	v_add_u32_e32 v7, -1, v6
	v_mov_b32_e32 v28, 0
	v_cndmask_b32_e64 v9, 0, v5, s[0:1]
	v_cndmask_b32_e64 v8, 0, v4, s[0:1]
	v_lshl_add_u64 v[2:3], v[8:9], 0, v[2:3]
	v_and_b32_e32 v8, 64, v6
	v_cmp_lt_i32_e64 s[0:1], v7, v8
	s_nop 1
	v_cndmask_b32_e64 v7, v7, v6, s[0:1]
	v_lshlrev_b32_e32 v7, 2, v7
	ds_bpermute_b32 v3, v7, v3
	ds_bpermute_b32 v2, v7, v2
	v_cmp_eq_u32_e64 s[0:1], 0, v6
	s_waitcnt lgkmcnt(1)
	s_nop 0
	v_cndmask_b32_e64 v3, v3, v5, s[0:1]
	s_waitcnt lgkmcnt(0)
	v_cndmask_b32_e64 v2, v2, v4, s[0:1]
	v_cndmask_b32_e64 v4, v2, v32, s[30:31]
	;; [unrolled: 1-line block ×3, first 2 shown]
	v_cmp_eq_u16_sdwa s[0:1], v1, v28 src0_sel:BYTE_0 src1_sel:DWORD
	s_nop 1
	v_cndmask_b32_e64 v5, 0, v5, s[0:1]
	v_cndmask_b32_e64 v4, 0, v4, s[0:1]
	v_lshl_add_u64 v[4:5], v[4:5], 0, v[56:57]
	v_cndmask_b32_e32 v7, 0, v5, vcc
	v_cndmask_b32_e32 v6, 0, v4, vcc
	v_lshl_add_u64 v[6:7], v[6:7], 0, v[30:31]
	v_cndmask_b32_e64 v9, 0, v7, s[4:5]
	v_cndmask_b32_e64 v8, 0, v6, s[4:5]
	v_lshl_add_u64 v[8:9], v[8:9], 0, v[50:51]
	v_cndmask_b32_e64 v11, 0, v9, s[6:7]
	v_cndmask_b32_e64 v10, 0, v8, s[6:7]
	;; [unrolled: 3-line block ×11, first 2 shown]
	s_and_saveexec_b64 s[0:1], s[30:31]
	s_cbranch_execz .LBB454_194
; %bb.193:
	ds_read_u8 v1, v28 offset:56
	ds_read_b64 v[2:3], v28 offset:48
	s_waitcnt lgkmcnt(1)
	v_cmp_eq_u32_e32 vcc, 0, v1
	s_nop 1
	v_cndmask_b32_e32 v31, 0, v33, vcc
	v_cndmask_b32_e32 v30, 0, v32, vcc
	s_waitcnt lgkmcnt(0)
	v_lshl_add_u64 v[2:3], v[30:31], 0, v[2:3]
	global_store_dword v28, v2, s[38:39] offset:1024 sc1
	global_store_dword v28, v3, s[38:39] offset:1028 sc1
	global_store_dword v28, v1, s[38:39] offset:1032 sc1
	global_store_dword v28, v28, s[38:39] offset:1036 sc1
	v_mov_b32_e32 v1, 2
	v_mov_b64_e32 v[2:3], v[32:33]
	s_waitcnt vmcnt(0)
	global_store_byte v28, v1, s[40:41] offset:64 sc1
.LBB454_194:
	s_or_b64 exec, exec, s[0:1]
.LBB454_195:
	s_add_u32 s0, s50, s34
	s_addc_u32 s1, s51, s35
	v_mul_u32_u24_e32 v1, 14, v0
	v_lshl_add_u64 v[28:29], v[62:63], 0, v[34:35]
	v_lshl_add_u64 v[56:57], s[0:1], 0, v[54:55]
	s_and_b64 vcc, exec, s[2:3]
	v_lshlrev_b32_e32 v62, 3, v1
	s_cbranch_vccz .LBB454_223
; %bb.196:
	s_movk_i32 s0, 0xff98
	v_mad_i32_i24 v1, v0, s0, v62
	s_barrier
	ds_write_b128 v62, v[2:5]
	ds_write_b128 v62, v[6:9] offset:16
	ds_write_b128 v62, v[10:13] offset:32
	;; [unrolled: 1-line block ×6, first 2 shown]
	s_waitcnt lgkmcnt(0)
	s_barrier
	ds_read2st64_b64 v[52:55], v1 offset0:4 offset1:8
	ds_read2st64_b64 v[48:51], v1 offset0:12 offset1:16
	;; [unrolled: 1-line block ×6, first 2 shown]
	ds_read_b64 v[30:31], v1 offset:26624
	s_add_i32 s33, s33, s42
	v_mov_b32_e32 v61, 0
	v_lshl_add_u64 v[58:59], v[56:57], 0, v[60:61]
	v_cmp_gt_u32_e32 vcc, s33, v0
	s_and_saveexec_b64 s[0:1], vcc
	s_cbranch_execz .LBB454_198
; %bb.197:
	v_mul_i32_i24_e32 v1, 0xffffff98, v0
	v_add_u32_e32 v1, v62, v1
	ds_read_b64 v[64:65], v1
	s_waitcnt lgkmcnt(0)
	flat_store_dwordx2 v[58:59], v[64:65]
.LBB454_198:
	s_or_b64 exec, exec, s[0:1]
	v_or_b32_e32 v1, 0x100, v0
	v_cmp_gt_u32_e32 vcc, s33, v1
	s_and_saveexec_b64 s[0:1], vcc
	s_cbranch_execz .LBB454_200
; %bb.199:
	s_waitcnt lgkmcnt(0)
	flat_store_dwordx2 v[58:59], v[52:53] offset:2048
.LBB454_200:
	s_or_b64 exec, exec, s[0:1]
	v_or_b32_e32 v1, 0x200, v0
	v_cmp_gt_u32_e32 vcc, s33, v1
	s_and_saveexec_b64 s[0:1], vcc
	s_cbranch_execz .LBB454_202
; %bb.201:
	s_waitcnt lgkmcnt(0)
	v_add_co_u32_e32 v52, vcc, 0x1000, v58
	s_nop 1
	v_addc_co_u32_e32 v53, vcc, 0, v59, vcc
	flat_store_dwordx2 v[52:53], v[54:55]
.LBB454_202:
	s_or_b64 exec, exec, s[0:1]
	v_or_b32_e32 v1, 0x300, v0
	v_cmp_gt_u32_e32 vcc, s33, v1
	s_and_saveexec_b64 s[0:1], vcc
	s_cbranch_execz .LBB454_204
; %bb.203:
	s_waitcnt lgkmcnt(0)
	v_add_co_u32_e32 v52, vcc, 0x1000, v58
	s_nop 1
	v_addc_co_u32_e32 v53, vcc, 0, v59, vcc
	flat_store_dwordx2 v[52:53], v[48:49] offset:2048
.LBB454_204:
	s_or_b64 exec, exec, s[0:1]
	v_or_b32_e32 v1, 0x400, v0
	v_cmp_gt_u32_e32 vcc, s33, v1
	s_and_saveexec_b64 s[0:1], vcc
	s_cbranch_execz .LBB454_206
; %bb.205:
	s_waitcnt lgkmcnt(0)
	v_add_co_u32_e32 v48, vcc, 0x2000, v58
	s_nop 1
	v_addc_co_u32_e32 v49, vcc, 0, v59, vcc
	flat_store_dwordx2 v[48:49], v[50:51]
.LBB454_206:
	s_or_b64 exec, exec, s[0:1]
	v_or_b32_e32 v1, 0x500, v0
	v_cmp_gt_u32_e32 vcc, s33, v1
	s_and_saveexec_b64 s[0:1], vcc
	s_cbranch_execz .LBB454_208
; %bb.207:
	s_waitcnt lgkmcnt(0)
	v_add_co_u32_e32 v48, vcc, 0x2000, v58
	s_nop 1
	v_addc_co_u32_e32 v49, vcc, 0, v59, vcc
	flat_store_dwordx2 v[48:49], v[44:45] offset:2048
.LBB454_208:
	;; [unrolled: 24-line block ×5, first 2 shown]
	s_or_b64 exec, exec, s[0:1]
	v_or_b32_e32 v1, 0xc00, v0
	v_cmp_gt_u32_e32 vcc, s33, v1
	s_and_saveexec_b64 s[0:1], vcc
	s_cbranch_execz .LBB454_222
; %bb.221:
	s_waitcnt lgkmcnt(0)
	v_add_co_u32_e32 v32, vcc, 0x6000, v58
	s_nop 1
	v_addc_co_u32_e32 v33, vcc, 0, v59, vcc
	flat_store_dwordx2 v[32:33], v[34:35]
.LBB454_222:
	s_or_b64 exec, exec, s[0:1]
	s_waitcnt lgkmcnt(0)
	v_or_b32_e32 v32, 0xd00, v0
	v_mov_b32_e32 v1, v61
	v_cmp_gt_u32_e64 s[0:1], s33, v32
	s_branch .LBB454_225
.LBB454_223:
	s_mov_b64 s[0:1], 0
                                        ; implicit-def: $vgpr30_vgpr31
	s_cbranch_execz .LBB454_225
; %bb.224:
	v_mov_b32_e32 v1, 0
	s_movk_i32 s2, 0xff98
	s_barrier
	ds_write_b128 v62, v[2:5]
	ds_write_b128 v62, v[6:9] offset:16
	ds_write_b128 v62, v[10:13] offset:32
	;; [unrolled: 1-line block ×6, first 2 shown]
	v_mad_i32_i24 v26, v0, s2, v62
	v_mov_b32_e32 v61, v1
	s_waitcnt lgkmcnt(0)
	s_barrier
	ds_read2st64_b64 v[2:5], v26 offset1:4
	ds_read2st64_b64 v[6:9], v26 offset0:8 offset1:12
	ds_read2st64_b64 v[10:13], v26 offset0:16 offset1:20
	ds_read2st64_b64 v[14:17], v26 offset0:24 offset1:28
	ds_read2st64_b64 v[18:21], v26 offset0:32 offset1:36
	ds_read2st64_b64 v[22:25], v26 offset0:40 offset1:44
	ds_read2st64_b64 v[28:31], v26 offset0:48 offset1:52
	v_lshl_add_u64 v[26:27], v[56:57], 0, v[60:61]
	s_movk_i32 s2, 0x1000
	s_waitcnt lgkmcnt(0)
	flat_store_dwordx2 v[26:27], v[2:3]
	flat_store_dwordx2 v[26:27], v[4:5] offset:2048
	v_add_co_u32_e32 v2, vcc, s2, v26
	s_movk_i32 s2, 0x2000
	s_nop 0
	v_addc_co_u32_e32 v3, vcc, 0, v27, vcc
	flat_store_dwordx2 v[2:3], v[6:7]
	flat_store_dwordx2 v[2:3], v[8:9] offset:2048
	v_add_co_u32_e32 v2, vcc, s2, v26
	s_movk_i32 s2, 0x3000
	s_nop 0
	v_addc_co_u32_e32 v3, vcc, 0, v27, vcc
	;; [unrolled: 6-line block ×3, first 2 shown]
	flat_store_dwordx2 v[2:3], v[14:15]
	flat_store_dwordx2 v[2:3], v[16:17] offset:2048
	v_add_co_u32_e32 v2, vcc, s2, v26
	s_or_b64 s[0:1], s[0:1], exec
	s_nop 0
	v_addc_co_u32_e32 v3, vcc, 0, v27, vcc
	flat_store_dwordx2 v[2:3], v[18:19]
	flat_store_dwordx2 v[2:3], v[20:21] offset:2048
	v_add_co_u32_e32 v2, vcc, 0x5000, v26
	s_nop 1
	v_addc_co_u32_e32 v3, vcc, 0, v27, vcc
	flat_store_dwordx2 v[2:3], v[22:23]
	flat_store_dwordx2 v[2:3], v[24:25] offset:2048
	v_add_co_u32_e32 v2, vcc, 0x6000, v26
	s_nop 1
	v_addc_co_u32_e32 v3, vcc, 0, v27, vcc
	flat_store_dwordx2 v[2:3], v[28:29]
.LBB454_225:
	s_and_saveexec_b64 s[2:3], s[0:1]
	s_cbranch_execz .LBB454_227
; %bb.226:
	v_lshl_add_u64 v[0:1], v[0:1], 3, v[56:57]
	v_add_co_u32_e32 v0, vcc, 0x6000, v0
	s_nop 1
	v_addc_co_u32_e32 v1, vcc, 0, v1, vcc
	flat_store_dwordx2 v[0:1], v[30:31] offset:2048
	s_endpgm
.LBB454_227:
	s_endpgm
	.section	.rodata,"a",@progbits
	.p2align	6, 0x0
	.amdhsa_kernel _ZN7rocprim17ROCPRIM_400000_NS6detail17trampoline_kernelINS0_14default_configENS1_27scan_by_key_config_selectorIxxEEZZNS1_16scan_by_key_implILNS1_25lookback_scan_determinismE0ELb1ES3_N6thrust23THRUST_200600_302600_NS6detail15normal_iteratorINS9_10device_ptrIxEEEESE_SE_xNS9_4plusIvEENS9_8equal_toIxEExEE10hipError_tPvRmT2_T3_T4_T5_mT6_T7_P12ihipStream_tbENKUlT_T0_E_clISt17integral_constantIbLb0EESY_IbLb1EEEEDaSU_SV_EUlSU_E_NS1_11comp_targetILNS1_3genE5ELNS1_11target_archE942ELNS1_3gpuE9ELNS1_3repE0EEENS1_30default_config_static_selectorELNS0_4arch9wavefront6targetE1EEEvT1_
		.amdhsa_group_segment_fixed_size 32768
		.amdhsa_private_segment_fixed_size 0
		.amdhsa_kernarg_size 136
		.amdhsa_user_sgpr_count 2
		.amdhsa_user_sgpr_dispatch_ptr 0
		.amdhsa_user_sgpr_queue_ptr 0
		.amdhsa_user_sgpr_kernarg_segment_ptr 1
		.amdhsa_user_sgpr_dispatch_id 0
		.amdhsa_user_sgpr_kernarg_preload_length 0
		.amdhsa_user_sgpr_kernarg_preload_offset 0
		.amdhsa_user_sgpr_private_segment_size 0
		.amdhsa_uses_dynamic_stack 0
		.amdhsa_enable_private_segment 0
		.amdhsa_system_sgpr_workgroup_id_x 1
		.amdhsa_system_sgpr_workgroup_id_y 0
		.amdhsa_system_sgpr_workgroup_id_z 0
		.amdhsa_system_sgpr_workgroup_info 0
		.amdhsa_system_vgpr_workitem_id 0
		.amdhsa_next_free_vgpr 87
		.amdhsa_next_free_sgpr 60
		.amdhsa_accum_offset 88
		.amdhsa_reserve_vcc 1
		.amdhsa_float_round_mode_32 0
		.amdhsa_float_round_mode_16_64 0
		.amdhsa_float_denorm_mode_32 3
		.amdhsa_float_denorm_mode_16_64 3
		.amdhsa_dx10_clamp 1
		.amdhsa_ieee_mode 1
		.amdhsa_fp16_overflow 0
		.amdhsa_tg_split 0
		.amdhsa_exception_fp_ieee_invalid_op 0
		.amdhsa_exception_fp_denorm_src 0
		.amdhsa_exception_fp_ieee_div_zero 0
		.amdhsa_exception_fp_ieee_overflow 0
		.amdhsa_exception_fp_ieee_underflow 0
		.amdhsa_exception_fp_ieee_inexact 0
		.amdhsa_exception_int_div_zero 0
	.end_amdhsa_kernel
	.section	.text._ZN7rocprim17ROCPRIM_400000_NS6detail17trampoline_kernelINS0_14default_configENS1_27scan_by_key_config_selectorIxxEEZZNS1_16scan_by_key_implILNS1_25lookback_scan_determinismE0ELb1ES3_N6thrust23THRUST_200600_302600_NS6detail15normal_iteratorINS9_10device_ptrIxEEEESE_SE_xNS9_4plusIvEENS9_8equal_toIxEExEE10hipError_tPvRmT2_T3_T4_T5_mT6_T7_P12ihipStream_tbENKUlT_T0_E_clISt17integral_constantIbLb0EESY_IbLb1EEEEDaSU_SV_EUlSU_E_NS1_11comp_targetILNS1_3genE5ELNS1_11target_archE942ELNS1_3gpuE9ELNS1_3repE0EEENS1_30default_config_static_selectorELNS0_4arch9wavefront6targetE1EEEvT1_,"axG",@progbits,_ZN7rocprim17ROCPRIM_400000_NS6detail17trampoline_kernelINS0_14default_configENS1_27scan_by_key_config_selectorIxxEEZZNS1_16scan_by_key_implILNS1_25lookback_scan_determinismE0ELb1ES3_N6thrust23THRUST_200600_302600_NS6detail15normal_iteratorINS9_10device_ptrIxEEEESE_SE_xNS9_4plusIvEENS9_8equal_toIxEExEE10hipError_tPvRmT2_T3_T4_T5_mT6_T7_P12ihipStream_tbENKUlT_T0_E_clISt17integral_constantIbLb0EESY_IbLb1EEEEDaSU_SV_EUlSU_E_NS1_11comp_targetILNS1_3genE5ELNS1_11target_archE942ELNS1_3gpuE9ELNS1_3repE0EEENS1_30default_config_static_selectorELNS0_4arch9wavefront6targetE1EEEvT1_,comdat
.Lfunc_end454:
	.size	_ZN7rocprim17ROCPRIM_400000_NS6detail17trampoline_kernelINS0_14default_configENS1_27scan_by_key_config_selectorIxxEEZZNS1_16scan_by_key_implILNS1_25lookback_scan_determinismE0ELb1ES3_N6thrust23THRUST_200600_302600_NS6detail15normal_iteratorINS9_10device_ptrIxEEEESE_SE_xNS9_4plusIvEENS9_8equal_toIxEExEE10hipError_tPvRmT2_T3_T4_T5_mT6_T7_P12ihipStream_tbENKUlT_T0_E_clISt17integral_constantIbLb0EESY_IbLb1EEEEDaSU_SV_EUlSU_E_NS1_11comp_targetILNS1_3genE5ELNS1_11target_archE942ELNS1_3gpuE9ELNS1_3repE0EEENS1_30default_config_static_selectorELNS0_4arch9wavefront6targetE1EEEvT1_, .Lfunc_end454-_ZN7rocprim17ROCPRIM_400000_NS6detail17trampoline_kernelINS0_14default_configENS1_27scan_by_key_config_selectorIxxEEZZNS1_16scan_by_key_implILNS1_25lookback_scan_determinismE0ELb1ES3_N6thrust23THRUST_200600_302600_NS6detail15normal_iteratorINS9_10device_ptrIxEEEESE_SE_xNS9_4plusIvEENS9_8equal_toIxEExEE10hipError_tPvRmT2_T3_T4_T5_mT6_T7_P12ihipStream_tbENKUlT_T0_E_clISt17integral_constantIbLb0EESY_IbLb1EEEEDaSU_SV_EUlSU_E_NS1_11comp_targetILNS1_3genE5ELNS1_11target_archE942ELNS1_3gpuE9ELNS1_3repE0EEENS1_30default_config_static_selectorELNS0_4arch9wavefront6targetE1EEEvT1_
                                        ; -- End function
	.section	.AMDGPU.csdata,"",@progbits
; Kernel info:
; codeLenInByte = 12844
; NumSgprs: 66
; NumVgprs: 87
; NumAgprs: 0
; TotalNumVgprs: 87
; ScratchSize: 0
; MemoryBound: 0
; FloatMode: 240
; IeeeMode: 1
; LDSByteSize: 32768 bytes/workgroup (compile time only)
; SGPRBlocks: 8
; VGPRBlocks: 10
; NumSGPRsForWavesPerEU: 66
; NumVGPRsForWavesPerEU: 87
; AccumOffset: 88
; Occupancy: 2
; WaveLimiterHint : 1
; COMPUTE_PGM_RSRC2:SCRATCH_EN: 0
; COMPUTE_PGM_RSRC2:USER_SGPR: 2
; COMPUTE_PGM_RSRC2:TRAP_HANDLER: 0
; COMPUTE_PGM_RSRC2:TGID_X_EN: 1
; COMPUTE_PGM_RSRC2:TGID_Y_EN: 0
; COMPUTE_PGM_RSRC2:TGID_Z_EN: 0
; COMPUTE_PGM_RSRC2:TIDIG_COMP_CNT: 0
; COMPUTE_PGM_RSRC3_GFX90A:ACCUM_OFFSET: 21
; COMPUTE_PGM_RSRC3_GFX90A:TG_SPLIT: 0
	.section	.text._ZN7rocprim17ROCPRIM_400000_NS6detail17trampoline_kernelINS0_14default_configENS1_27scan_by_key_config_selectorIxxEEZZNS1_16scan_by_key_implILNS1_25lookback_scan_determinismE0ELb1ES3_N6thrust23THRUST_200600_302600_NS6detail15normal_iteratorINS9_10device_ptrIxEEEESE_SE_xNS9_4plusIvEENS9_8equal_toIxEExEE10hipError_tPvRmT2_T3_T4_T5_mT6_T7_P12ihipStream_tbENKUlT_T0_E_clISt17integral_constantIbLb0EESY_IbLb1EEEEDaSU_SV_EUlSU_E_NS1_11comp_targetILNS1_3genE4ELNS1_11target_archE910ELNS1_3gpuE8ELNS1_3repE0EEENS1_30default_config_static_selectorELNS0_4arch9wavefront6targetE1EEEvT1_,"axG",@progbits,_ZN7rocprim17ROCPRIM_400000_NS6detail17trampoline_kernelINS0_14default_configENS1_27scan_by_key_config_selectorIxxEEZZNS1_16scan_by_key_implILNS1_25lookback_scan_determinismE0ELb1ES3_N6thrust23THRUST_200600_302600_NS6detail15normal_iteratorINS9_10device_ptrIxEEEESE_SE_xNS9_4plusIvEENS9_8equal_toIxEExEE10hipError_tPvRmT2_T3_T4_T5_mT6_T7_P12ihipStream_tbENKUlT_T0_E_clISt17integral_constantIbLb0EESY_IbLb1EEEEDaSU_SV_EUlSU_E_NS1_11comp_targetILNS1_3genE4ELNS1_11target_archE910ELNS1_3gpuE8ELNS1_3repE0EEENS1_30default_config_static_selectorELNS0_4arch9wavefront6targetE1EEEvT1_,comdat
	.protected	_ZN7rocprim17ROCPRIM_400000_NS6detail17trampoline_kernelINS0_14default_configENS1_27scan_by_key_config_selectorIxxEEZZNS1_16scan_by_key_implILNS1_25lookback_scan_determinismE0ELb1ES3_N6thrust23THRUST_200600_302600_NS6detail15normal_iteratorINS9_10device_ptrIxEEEESE_SE_xNS9_4plusIvEENS9_8equal_toIxEExEE10hipError_tPvRmT2_T3_T4_T5_mT6_T7_P12ihipStream_tbENKUlT_T0_E_clISt17integral_constantIbLb0EESY_IbLb1EEEEDaSU_SV_EUlSU_E_NS1_11comp_targetILNS1_3genE4ELNS1_11target_archE910ELNS1_3gpuE8ELNS1_3repE0EEENS1_30default_config_static_selectorELNS0_4arch9wavefront6targetE1EEEvT1_ ; -- Begin function _ZN7rocprim17ROCPRIM_400000_NS6detail17trampoline_kernelINS0_14default_configENS1_27scan_by_key_config_selectorIxxEEZZNS1_16scan_by_key_implILNS1_25lookback_scan_determinismE0ELb1ES3_N6thrust23THRUST_200600_302600_NS6detail15normal_iteratorINS9_10device_ptrIxEEEESE_SE_xNS9_4plusIvEENS9_8equal_toIxEExEE10hipError_tPvRmT2_T3_T4_T5_mT6_T7_P12ihipStream_tbENKUlT_T0_E_clISt17integral_constantIbLb0EESY_IbLb1EEEEDaSU_SV_EUlSU_E_NS1_11comp_targetILNS1_3genE4ELNS1_11target_archE910ELNS1_3gpuE8ELNS1_3repE0EEENS1_30default_config_static_selectorELNS0_4arch9wavefront6targetE1EEEvT1_
	.globl	_ZN7rocprim17ROCPRIM_400000_NS6detail17trampoline_kernelINS0_14default_configENS1_27scan_by_key_config_selectorIxxEEZZNS1_16scan_by_key_implILNS1_25lookback_scan_determinismE0ELb1ES3_N6thrust23THRUST_200600_302600_NS6detail15normal_iteratorINS9_10device_ptrIxEEEESE_SE_xNS9_4plusIvEENS9_8equal_toIxEExEE10hipError_tPvRmT2_T3_T4_T5_mT6_T7_P12ihipStream_tbENKUlT_T0_E_clISt17integral_constantIbLb0EESY_IbLb1EEEEDaSU_SV_EUlSU_E_NS1_11comp_targetILNS1_3genE4ELNS1_11target_archE910ELNS1_3gpuE8ELNS1_3repE0EEENS1_30default_config_static_selectorELNS0_4arch9wavefront6targetE1EEEvT1_
	.p2align	8
	.type	_ZN7rocprim17ROCPRIM_400000_NS6detail17trampoline_kernelINS0_14default_configENS1_27scan_by_key_config_selectorIxxEEZZNS1_16scan_by_key_implILNS1_25lookback_scan_determinismE0ELb1ES3_N6thrust23THRUST_200600_302600_NS6detail15normal_iteratorINS9_10device_ptrIxEEEESE_SE_xNS9_4plusIvEENS9_8equal_toIxEExEE10hipError_tPvRmT2_T3_T4_T5_mT6_T7_P12ihipStream_tbENKUlT_T0_E_clISt17integral_constantIbLb0EESY_IbLb1EEEEDaSU_SV_EUlSU_E_NS1_11comp_targetILNS1_3genE4ELNS1_11target_archE910ELNS1_3gpuE8ELNS1_3repE0EEENS1_30default_config_static_selectorELNS0_4arch9wavefront6targetE1EEEvT1_,@function
_ZN7rocprim17ROCPRIM_400000_NS6detail17trampoline_kernelINS0_14default_configENS1_27scan_by_key_config_selectorIxxEEZZNS1_16scan_by_key_implILNS1_25lookback_scan_determinismE0ELb1ES3_N6thrust23THRUST_200600_302600_NS6detail15normal_iteratorINS9_10device_ptrIxEEEESE_SE_xNS9_4plusIvEENS9_8equal_toIxEExEE10hipError_tPvRmT2_T3_T4_T5_mT6_T7_P12ihipStream_tbENKUlT_T0_E_clISt17integral_constantIbLb0EESY_IbLb1EEEEDaSU_SV_EUlSU_E_NS1_11comp_targetILNS1_3genE4ELNS1_11target_archE910ELNS1_3gpuE8ELNS1_3repE0EEENS1_30default_config_static_selectorELNS0_4arch9wavefront6targetE1EEEvT1_: ; @_ZN7rocprim17ROCPRIM_400000_NS6detail17trampoline_kernelINS0_14default_configENS1_27scan_by_key_config_selectorIxxEEZZNS1_16scan_by_key_implILNS1_25lookback_scan_determinismE0ELb1ES3_N6thrust23THRUST_200600_302600_NS6detail15normal_iteratorINS9_10device_ptrIxEEEESE_SE_xNS9_4plusIvEENS9_8equal_toIxEExEE10hipError_tPvRmT2_T3_T4_T5_mT6_T7_P12ihipStream_tbENKUlT_T0_E_clISt17integral_constantIbLb0EESY_IbLb1EEEEDaSU_SV_EUlSU_E_NS1_11comp_targetILNS1_3genE4ELNS1_11target_archE910ELNS1_3gpuE8ELNS1_3repE0EEENS1_30default_config_static_selectorELNS0_4arch9wavefront6targetE1EEEvT1_
; %bb.0:
	.section	.rodata,"a",@progbits
	.p2align	6, 0x0
	.amdhsa_kernel _ZN7rocprim17ROCPRIM_400000_NS6detail17trampoline_kernelINS0_14default_configENS1_27scan_by_key_config_selectorIxxEEZZNS1_16scan_by_key_implILNS1_25lookback_scan_determinismE0ELb1ES3_N6thrust23THRUST_200600_302600_NS6detail15normal_iteratorINS9_10device_ptrIxEEEESE_SE_xNS9_4plusIvEENS9_8equal_toIxEExEE10hipError_tPvRmT2_T3_T4_T5_mT6_T7_P12ihipStream_tbENKUlT_T0_E_clISt17integral_constantIbLb0EESY_IbLb1EEEEDaSU_SV_EUlSU_E_NS1_11comp_targetILNS1_3genE4ELNS1_11target_archE910ELNS1_3gpuE8ELNS1_3repE0EEENS1_30default_config_static_selectorELNS0_4arch9wavefront6targetE1EEEvT1_
		.amdhsa_group_segment_fixed_size 0
		.amdhsa_private_segment_fixed_size 0
		.amdhsa_kernarg_size 136
		.amdhsa_user_sgpr_count 2
		.amdhsa_user_sgpr_dispatch_ptr 0
		.amdhsa_user_sgpr_queue_ptr 0
		.amdhsa_user_sgpr_kernarg_segment_ptr 1
		.amdhsa_user_sgpr_dispatch_id 0
		.amdhsa_user_sgpr_kernarg_preload_length 0
		.amdhsa_user_sgpr_kernarg_preload_offset 0
		.amdhsa_user_sgpr_private_segment_size 0
		.amdhsa_uses_dynamic_stack 0
		.amdhsa_enable_private_segment 0
		.amdhsa_system_sgpr_workgroup_id_x 1
		.amdhsa_system_sgpr_workgroup_id_y 0
		.amdhsa_system_sgpr_workgroup_id_z 0
		.amdhsa_system_sgpr_workgroup_info 0
		.amdhsa_system_vgpr_workitem_id 0
		.amdhsa_next_free_vgpr 1
		.amdhsa_next_free_sgpr 0
		.amdhsa_accum_offset 4
		.amdhsa_reserve_vcc 0
		.amdhsa_float_round_mode_32 0
		.amdhsa_float_round_mode_16_64 0
		.amdhsa_float_denorm_mode_32 3
		.amdhsa_float_denorm_mode_16_64 3
		.amdhsa_dx10_clamp 1
		.amdhsa_ieee_mode 1
		.amdhsa_fp16_overflow 0
		.amdhsa_tg_split 0
		.amdhsa_exception_fp_ieee_invalid_op 0
		.amdhsa_exception_fp_denorm_src 0
		.amdhsa_exception_fp_ieee_div_zero 0
		.amdhsa_exception_fp_ieee_overflow 0
		.amdhsa_exception_fp_ieee_underflow 0
		.amdhsa_exception_fp_ieee_inexact 0
		.amdhsa_exception_int_div_zero 0
	.end_amdhsa_kernel
	.section	.text._ZN7rocprim17ROCPRIM_400000_NS6detail17trampoline_kernelINS0_14default_configENS1_27scan_by_key_config_selectorIxxEEZZNS1_16scan_by_key_implILNS1_25lookback_scan_determinismE0ELb1ES3_N6thrust23THRUST_200600_302600_NS6detail15normal_iteratorINS9_10device_ptrIxEEEESE_SE_xNS9_4plusIvEENS9_8equal_toIxEExEE10hipError_tPvRmT2_T3_T4_T5_mT6_T7_P12ihipStream_tbENKUlT_T0_E_clISt17integral_constantIbLb0EESY_IbLb1EEEEDaSU_SV_EUlSU_E_NS1_11comp_targetILNS1_3genE4ELNS1_11target_archE910ELNS1_3gpuE8ELNS1_3repE0EEENS1_30default_config_static_selectorELNS0_4arch9wavefront6targetE1EEEvT1_,"axG",@progbits,_ZN7rocprim17ROCPRIM_400000_NS6detail17trampoline_kernelINS0_14default_configENS1_27scan_by_key_config_selectorIxxEEZZNS1_16scan_by_key_implILNS1_25lookback_scan_determinismE0ELb1ES3_N6thrust23THRUST_200600_302600_NS6detail15normal_iteratorINS9_10device_ptrIxEEEESE_SE_xNS9_4plusIvEENS9_8equal_toIxEExEE10hipError_tPvRmT2_T3_T4_T5_mT6_T7_P12ihipStream_tbENKUlT_T0_E_clISt17integral_constantIbLb0EESY_IbLb1EEEEDaSU_SV_EUlSU_E_NS1_11comp_targetILNS1_3genE4ELNS1_11target_archE910ELNS1_3gpuE8ELNS1_3repE0EEENS1_30default_config_static_selectorELNS0_4arch9wavefront6targetE1EEEvT1_,comdat
.Lfunc_end455:
	.size	_ZN7rocprim17ROCPRIM_400000_NS6detail17trampoline_kernelINS0_14default_configENS1_27scan_by_key_config_selectorIxxEEZZNS1_16scan_by_key_implILNS1_25lookback_scan_determinismE0ELb1ES3_N6thrust23THRUST_200600_302600_NS6detail15normal_iteratorINS9_10device_ptrIxEEEESE_SE_xNS9_4plusIvEENS9_8equal_toIxEExEE10hipError_tPvRmT2_T3_T4_T5_mT6_T7_P12ihipStream_tbENKUlT_T0_E_clISt17integral_constantIbLb0EESY_IbLb1EEEEDaSU_SV_EUlSU_E_NS1_11comp_targetILNS1_3genE4ELNS1_11target_archE910ELNS1_3gpuE8ELNS1_3repE0EEENS1_30default_config_static_selectorELNS0_4arch9wavefront6targetE1EEEvT1_, .Lfunc_end455-_ZN7rocprim17ROCPRIM_400000_NS6detail17trampoline_kernelINS0_14default_configENS1_27scan_by_key_config_selectorIxxEEZZNS1_16scan_by_key_implILNS1_25lookback_scan_determinismE0ELb1ES3_N6thrust23THRUST_200600_302600_NS6detail15normal_iteratorINS9_10device_ptrIxEEEESE_SE_xNS9_4plusIvEENS9_8equal_toIxEExEE10hipError_tPvRmT2_T3_T4_T5_mT6_T7_P12ihipStream_tbENKUlT_T0_E_clISt17integral_constantIbLb0EESY_IbLb1EEEEDaSU_SV_EUlSU_E_NS1_11comp_targetILNS1_3genE4ELNS1_11target_archE910ELNS1_3gpuE8ELNS1_3repE0EEENS1_30default_config_static_selectorELNS0_4arch9wavefront6targetE1EEEvT1_
                                        ; -- End function
	.section	.AMDGPU.csdata,"",@progbits
; Kernel info:
; codeLenInByte = 0
; NumSgprs: 6
; NumVgprs: 0
; NumAgprs: 0
; TotalNumVgprs: 0
; ScratchSize: 0
; MemoryBound: 0
; FloatMode: 240
; IeeeMode: 1
; LDSByteSize: 0 bytes/workgroup (compile time only)
; SGPRBlocks: 0
; VGPRBlocks: 0
; NumSGPRsForWavesPerEU: 6
; NumVGPRsForWavesPerEU: 1
; AccumOffset: 4
; Occupancy: 8
; WaveLimiterHint : 0
; COMPUTE_PGM_RSRC2:SCRATCH_EN: 0
; COMPUTE_PGM_RSRC2:USER_SGPR: 2
; COMPUTE_PGM_RSRC2:TRAP_HANDLER: 0
; COMPUTE_PGM_RSRC2:TGID_X_EN: 1
; COMPUTE_PGM_RSRC2:TGID_Y_EN: 0
; COMPUTE_PGM_RSRC2:TGID_Z_EN: 0
; COMPUTE_PGM_RSRC2:TIDIG_COMP_CNT: 0
; COMPUTE_PGM_RSRC3_GFX90A:ACCUM_OFFSET: 0
; COMPUTE_PGM_RSRC3_GFX90A:TG_SPLIT: 0
	.section	.text._ZN7rocprim17ROCPRIM_400000_NS6detail17trampoline_kernelINS0_14default_configENS1_27scan_by_key_config_selectorIxxEEZZNS1_16scan_by_key_implILNS1_25lookback_scan_determinismE0ELb1ES3_N6thrust23THRUST_200600_302600_NS6detail15normal_iteratorINS9_10device_ptrIxEEEESE_SE_xNS9_4plusIvEENS9_8equal_toIxEExEE10hipError_tPvRmT2_T3_T4_T5_mT6_T7_P12ihipStream_tbENKUlT_T0_E_clISt17integral_constantIbLb0EESY_IbLb1EEEEDaSU_SV_EUlSU_E_NS1_11comp_targetILNS1_3genE3ELNS1_11target_archE908ELNS1_3gpuE7ELNS1_3repE0EEENS1_30default_config_static_selectorELNS0_4arch9wavefront6targetE1EEEvT1_,"axG",@progbits,_ZN7rocprim17ROCPRIM_400000_NS6detail17trampoline_kernelINS0_14default_configENS1_27scan_by_key_config_selectorIxxEEZZNS1_16scan_by_key_implILNS1_25lookback_scan_determinismE0ELb1ES3_N6thrust23THRUST_200600_302600_NS6detail15normal_iteratorINS9_10device_ptrIxEEEESE_SE_xNS9_4plusIvEENS9_8equal_toIxEExEE10hipError_tPvRmT2_T3_T4_T5_mT6_T7_P12ihipStream_tbENKUlT_T0_E_clISt17integral_constantIbLb0EESY_IbLb1EEEEDaSU_SV_EUlSU_E_NS1_11comp_targetILNS1_3genE3ELNS1_11target_archE908ELNS1_3gpuE7ELNS1_3repE0EEENS1_30default_config_static_selectorELNS0_4arch9wavefront6targetE1EEEvT1_,comdat
	.protected	_ZN7rocprim17ROCPRIM_400000_NS6detail17trampoline_kernelINS0_14default_configENS1_27scan_by_key_config_selectorIxxEEZZNS1_16scan_by_key_implILNS1_25lookback_scan_determinismE0ELb1ES3_N6thrust23THRUST_200600_302600_NS6detail15normal_iteratorINS9_10device_ptrIxEEEESE_SE_xNS9_4plusIvEENS9_8equal_toIxEExEE10hipError_tPvRmT2_T3_T4_T5_mT6_T7_P12ihipStream_tbENKUlT_T0_E_clISt17integral_constantIbLb0EESY_IbLb1EEEEDaSU_SV_EUlSU_E_NS1_11comp_targetILNS1_3genE3ELNS1_11target_archE908ELNS1_3gpuE7ELNS1_3repE0EEENS1_30default_config_static_selectorELNS0_4arch9wavefront6targetE1EEEvT1_ ; -- Begin function _ZN7rocprim17ROCPRIM_400000_NS6detail17trampoline_kernelINS0_14default_configENS1_27scan_by_key_config_selectorIxxEEZZNS1_16scan_by_key_implILNS1_25lookback_scan_determinismE0ELb1ES3_N6thrust23THRUST_200600_302600_NS6detail15normal_iteratorINS9_10device_ptrIxEEEESE_SE_xNS9_4plusIvEENS9_8equal_toIxEExEE10hipError_tPvRmT2_T3_T4_T5_mT6_T7_P12ihipStream_tbENKUlT_T0_E_clISt17integral_constantIbLb0EESY_IbLb1EEEEDaSU_SV_EUlSU_E_NS1_11comp_targetILNS1_3genE3ELNS1_11target_archE908ELNS1_3gpuE7ELNS1_3repE0EEENS1_30default_config_static_selectorELNS0_4arch9wavefront6targetE1EEEvT1_
	.globl	_ZN7rocprim17ROCPRIM_400000_NS6detail17trampoline_kernelINS0_14default_configENS1_27scan_by_key_config_selectorIxxEEZZNS1_16scan_by_key_implILNS1_25lookback_scan_determinismE0ELb1ES3_N6thrust23THRUST_200600_302600_NS6detail15normal_iteratorINS9_10device_ptrIxEEEESE_SE_xNS9_4plusIvEENS9_8equal_toIxEExEE10hipError_tPvRmT2_T3_T4_T5_mT6_T7_P12ihipStream_tbENKUlT_T0_E_clISt17integral_constantIbLb0EESY_IbLb1EEEEDaSU_SV_EUlSU_E_NS1_11comp_targetILNS1_3genE3ELNS1_11target_archE908ELNS1_3gpuE7ELNS1_3repE0EEENS1_30default_config_static_selectorELNS0_4arch9wavefront6targetE1EEEvT1_
	.p2align	8
	.type	_ZN7rocprim17ROCPRIM_400000_NS6detail17trampoline_kernelINS0_14default_configENS1_27scan_by_key_config_selectorIxxEEZZNS1_16scan_by_key_implILNS1_25lookback_scan_determinismE0ELb1ES3_N6thrust23THRUST_200600_302600_NS6detail15normal_iteratorINS9_10device_ptrIxEEEESE_SE_xNS9_4plusIvEENS9_8equal_toIxEExEE10hipError_tPvRmT2_T3_T4_T5_mT6_T7_P12ihipStream_tbENKUlT_T0_E_clISt17integral_constantIbLb0EESY_IbLb1EEEEDaSU_SV_EUlSU_E_NS1_11comp_targetILNS1_3genE3ELNS1_11target_archE908ELNS1_3gpuE7ELNS1_3repE0EEENS1_30default_config_static_selectorELNS0_4arch9wavefront6targetE1EEEvT1_,@function
_ZN7rocprim17ROCPRIM_400000_NS6detail17trampoline_kernelINS0_14default_configENS1_27scan_by_key_config_selectorIxxEEZZNS1_16scan_by_key_implILNS1_25lookback_scan_determinismE0ELb1ES3_N6thrust23THRUST_200600_302600_NS6detail15normal_iteratorINS9_10device_ptrIxEEEESE_SE_xNS9_4plusIvEENS9_8equal_toIxEExEE10hipError_tPvRmT2_T3_T4_T5_mT6_T7_P12ihipStream_tbENKUlT_T0_E_clISt17integral_constantIbLb0EESY_IbLb1EEEEDaSU_SV_EUlSU_E_NS1_11comp_targetILNS1_3genE3ELNS1_11target_archE908ELNS1_3gpuE7ELNS1_3repE0EEENS1_30default_config_static_selectorELNS0_4arch9wavefront6targetE1EEEvT1_: ; @_ZN7rocprim17ROCPRIM_400000_NS6detail17trampoline_kernelINS0_14default_configENS1_27scan_by_key_config_selectorIxxEEZZNS1_16scan_by_key_implILNS1_25lookback_scan_determinismE0ELb1ES3_N6thrust23THRUST_200600_302600_NS6detail15normal_iteratorINS9_10device_ptrIxEEEESE_SE_xNS9_4plusIvEENS9_8equal_toIxEExEE10hipError_tPvRmT2_T3_T4_T5_mT6_T7_P12ihipStream_tbENKUlT_T0_E_clISt17integral_constantIbLb0EESY_IbLb1EEEEDaSU_SV_EUlSU_E_NS1_11comp_targetILNS1_3genE3ELNS1_11target_archE908ELNS1_3gpuE7ELNS1_3repE0EEENS1_30default_config_static_selectorELNS0_4arch9wavefront6targetE1EEEvT1_
; %bb.0:
	.section	.rodata,"a",@progbits
	.p2align	6, 0x0
	.amdhsa_kernel _ZN7rocprim17ROCPRIM_400000_NS6detail17trampoline_kernelINS0_14default_configENS1_27scan_by_key_config_selectorIxxEEZZNS1_16scan_by_key_implILNS1_25lookback_scan_determinismE0ELb1ES3_N6thrust23THRUST_200600_302600_NS6detail15normal_iteratorINS9_10device_ptrIxEEEESE_SE_xNS9_4plusIvEENS9_8equal_toIxEExEE10hipError_tPvRmT2_T3_T4_T5_mT6_T7_P12ihipStream_tbENKUlT_T0_E_clISt17integral_constantIbLb0EESY_IbLb1EEEEDaSU_SV_EUlSU_E_NS1_11comp_targetILNS1_3genE3ELNS1_11target_archE908ELNS1_3gpuE7ELNS1_3repE0EEENS1_30default_config_static_selectorELNS0_4arch9wavefront6targetE1EEEvT1_
		.amdhsa_group_segment_fixed_size 0
		.amdhsa_private_segment_fixed_size 0
		.amdhsa_kernarg_size 136
		.amdhsa_user_sgpr_count 2
		.amdhsa_user_sgpr_dispatch_ptr 0
		.amdhsa_user_sgpr_queue_ptr 0
		.amdhsa_user_sgpr_kernarg_segment_ptr 1
		.amdhsa_user_sgpr_dispatch_id 0
		.amdhsa_user_sgpr_kernarg_preload_length 0
		.amdhsa_user_sgpr_kernarg_preload_offset 0
		.amdhsa_user_sgpr_private_segment_size 0
		.amdhsa_uses_dynamic_stack 0
		.amdhsa_enable_private_segment 0
		.amdhsa_system_sgpr_workgroup_id_x 1
		.amdhsa_system_sgpr_workgroup_id_y 0
		.amdhsa_system_sgpr_workgroup_id_z 0
		.amdhsa_system_sgpr_workgroup_info 0
		.amdhsa_system_vgpr_workitem_id 0
		.amdhsa_next_free_vgpr 1
		.amdhsa_next_free_sgpr 0
		.amdhsa_accum_offset 4
		.amdhsa_reserve_vcc 0
		.amdhsa_float_round_mode_32 0
		.amdhsa_float_round_mode_16_64 0
		.amdhsa_float_denorm_mode_32 3
		.amdhsa_float_denorm_mode_16_64 3
		.amdhsa_dx10_clamp 1
		.amdhsa_ieee_mode 1
		.amdhsa_fp16_overflow 0
		.amdhsa_tg_split 0
		.amdhsa_exception_fp_ieee_invalid_op 0
		.amdhsa_exception_fp_denorm_src 0
		.amdhsa_exception_fp_ieee_div_zero 0
		.amdhsa_exception_fp_ieee_overflow 0
		.amdhsa_exception_fp_ieee_underflow 0
		.amdhsa_exception_fp_ieee_inexact 0
		.amdhsa_exception_int_div_zero 0
	.end_amdhsa_kernel
	.section	.text._ZN7rocprim17ROCPRIM_400000_NS6detail17trampoline_kernelINS0_14default_configENS1_27scan_by_key_config_selectorIxxEEZZNS1_16scan_by_key_implILNS1_25lookback_scan_determinismE0ELb1ES3_N6thrust23THRUST_200600_302600_NS6detail15normal_iteratorINS9_10device_ptrIxEEEESE_SE_xNS9_4plusIvEENS9_8equal_toIxEExEE10hipError_tPvRmT2_T3_T4_T5_mT6_T7_P12ihipStream_tbENKUlT_T0_E_clISt17integral_constantIbLb0EESY_IbLb1EEEEDaSU_SV_EUlSU_E_NS1_11comp_targetILNS1_3genE3ELNS1_11target_archE908ELNS1_3gpuE7ELNS1_3repE0EEENS1_30default_config_static_selectorELNS0_4arch9wavefront6targetE1EEEvT1_,"axG",@progbits,_ZN7rocprim17ROCPRIM_400000_NS6detail17trampoline_kernelINS0_14default_configENS1_27scan_by_key_config_selectorIxxEEZZNS1_16scan_by_key_implILNS1_25lookback_scan_determinismE0ELb1ES3_N6thrust23THRUST_200600_302600_NS6detail15normal_iteratorINS9_10device_ptrIxEEEESE_SE_xNS9_4plusIvEENS9_8equal_toIxEExEE10hipError_tPvRmT2_T3_T4_T5_mT6_T7_P12ihipStream_tbENKUlT_T0_E_clISt17integral_constantIbLb0EESY_IbLb1EEEEDaSU_SV_EUlSU_E_NS1_11comp_targetILNS1_3genE3ELNS1_11target_archE908ELNS1_3gpuE7ELNS1_3repE0EEENS1_30default_config_static_selectorELNS0_4arch9wavefront6targetE1EEEvT1_,comdat
.Lfunc_end456:
	.size	_ZN7rocprim17ROCPRIM_400000_NS6detail17trampoline_kernelINS0_14default_configENS1_27scan_by_key_config_selectorIxxEEZZNS1_16scan_by_key_implILNS1_25lookback_scan_determinismE0ELb1ES3_N6thrust23THRUST_200600_302600_NS6detail15normal_iteratorINS9_10device_ptrIxEEEESE_SE_xNS9_4plusIvEENS9_8equal_toIxEExEE10hipError_tPvRmT2_T3_T4_T5_mT6_T7_P12ihipStream_tbENKUlT_T0_E_clISt17integral_constantIbLb0EESY_IbLb1EEEEDaSU_SV_EUlSU_E_NS1_11comp_targetILNS1_3genE3ELNS1_11target_archE908ELNS1_3gpuE7ELNS1_3repE0EEENS1_30default_config_static_selectorELNS0_4arch9wavefront6targetE1EEEvT1_, .Lfunc_end456-_ZN7rocprim17ROCPRIM_400000_NS6detail17trampoline_kernelINS0_14default_configENS1_27scan_by_key_config_selectorIxxEEZZNS1_16scan_by_key_implILNS1_25lookback_scan_determinismE0ELb1ES3_N6thrust23THRUST_200600_302600_NS6detail15normal_iteratorINS9_10device_ptrIxEEEESE_SE_xNS9_4plusIvEENS9_8equal_toIxEExEE10hipError_tPvRmT2_T3_T4_T5_mT6_T7_P12ihipStream_tbENKUlT_T0_E_clISt17integral_constantIbLb0EESY_IbLb1EEEEDaSU_SV_EUlSU_E_NS1_11comp_targetILNS1_3genE3ELNS1_11target_archE908ELNS1_3gpuE7ELNS1_3repE0EEENS1_30default_config_static_selectorELNS0_4arch9wavefront6targetE1EEEvT1_
                                        ; -- End function
	.section	.AMDGPU.csdata,"",@progbits
; Kernel info:
; codeLenInByte = 0
; NumSgprs: 6
; NumVgprs: 0
; NumAgprs: 0
; TotalNumVgprs: 0
; ScratchSize: 0
; MemoryBound: 0
; FloatMode: 240
; IeeeMode: 1
; LDSByteSize: 0 bytes/workgroup (compile time only)
; SGPRBlocks: 0
; VGPRBlocks: 0
; NumSGPRsForWavesPerEU: 6
; NumVGPRsForWavesPerEU: 1
; AccumOffset: 4
; Occupancy: 8
; WaveLimiterHint : 0
; COMPUTE_PGM_RSRC2:SCRATCH_EN: 0
; COMPUTE_PGM_RSRC2:USER_SGPR: 2
; COMPUTE_PGM_RSRC2:TRAP_HANDLER: 0
; COMPUTE_PGM_RSRC2:TGID_X_EN: 1
; COMPUTE_PGM_RSRC2:TGID_Y_EN: 0
; COMPUTE_PGM_RSRC2:TGID_Z_EN: 0
; COMPUTE_PGM_RSRC2:TIDIG_COMP_CNT: 0
; COMPUTE_PGM_RSRC3_GFX90A:ACCUM_OFFSET: 0
; COMPUTE_PGM_RSRC3_GFX90A:TG_SPLIT: 0
	.section	.text._ZN7rocprim17ROCPRIM_400000_NS6detail17trampoline_kernelINS0_14default_configENS1_27scan_by_key_config_selectorIxxEEZZNS1_16scan_by_key_implILNS1_25lookback_scan_determinismE0ELb1ES3_N6thrust23THRUST_200600_302600_NS6detail15normal_iteratorINS9_10device_ptrIxEEEESE_SE_xNS9_4plusIvEENS9_8equal_toIxEExEE10hipError_tPvRmT2_T3_T4_T5_mT6_T7_P12ihipStream_tbENKUlT_T0_E_clISt17integral_constantIbLb0EESY_IbLb1EEEEDaSU_SV_EUlSU_E_NS1_11comp_targetILNS1_3genE2ELNS1_11target_archE906ELNS1_3gpuE6ELNS1_3repE0EEENS1_30default_config_static_selectorELNS0_4arch9wavefront6targetE1EEEvT1_,"axG",@progbits,_ZN7rocprim17ROCPRIM_400000_NS6detail17trampoline_kernelINS0_14default_configENS1_27scan_by_key_config_selectorIxxEEZZNS1_16scan_by_key_implILNS1_25lookback_scan_determinismE0ELb1ES3_N6thrust23THRUST_200600_302600_NS6detail15normal_iteratorINS9_10device_ptrIxEEEESE_SE_xNS9_4plusIvEENS9_8equal_toIxEExEE10hipError_tPvRmT2_T3_T4_T5_mT6_T7_P12ihipStream_tbENKUlT_T0_E_clISt17integral_constantIbLb0EESY_IbLb1EEEEDaSU_SV_EUlSU_E_NS1_11comp_targetILNS1_3genE2ELNS1_11target_archE906ELNS1_3gpuE6ELNS1_3repE0EEENS1_30default_config_static_selectorELNS0_4arch9wavefront6targetE1EEEvT1_,comdat
	.protected	_ZN7rocprim17ROCPRIM_400000_NS6detail17trampoline_kernelINS0_14default_configENS1_27scan_by_key_config_selectorIxxEEZZNS1_16scan_by_key_implILNS1_25lookback_scan_determinismE0ELb1ES3_N6thrust23THRUST_200600_302600_NS6detail15normal_iteratorINS9_10device_ptrIxEEEESE_SE_xNS9_4plusIvEENS9_8equal_toIxEExEE10hipError_tPvRmT2_T3_T4_T5_mT6_T7_P12ihipStream_tbENKUlT_T0_E_clISt17integral_constantIbLb0EESY_IbLb1EEEEDaSU_SV_EUlSU_E_NS1_11comp_targetILNS1_3genE2ELNS1_11target_archE906ELNS1_3gpuE6ELNS1_3repE0EEENS1_30default_config_static_selectorELNS0_4arch9wavefront6targetE1EEEvT1_ ; -- Begin function _ZN7rocprim17ROCPRIM_400000_NS6detail17trampoline_kernelINS0_14default_configENS1_27scan_by_key_config_selectorIxxEEZZNS1_16scan_by_key_implILNS1_25lookback_scan_determinismE0ELb1ES3_N6thrust23THRUST_200600_302600_NS6detail15normal_iteratorINS9_10device_ptrIxEEEESE_SE_xNS9_4plusIvEENS9_8equal_toIxEExEE10hipError_tPvRmT2_T3_T4_T5_mT6_T7_P12ihipStream_tbENKUlT_T0_E_clISt17integral_constantIbLb0EESY_IbLb1EEEEDaSU_SV_EUlSU_E_NS1_11comp_targetILNS1_3genE2ELNS1_11target_archE906ELNS1_3gpuE6ELNS1_3repE0EEENS1_30default_config_static_selectorELNS0_4arch9wavefront6targetE1EEEvT1_
	.globl	_ZN7rocprim17ROCPRIM_400000_NS6detail17trampoline_kernelINS0_14default_configENS1_27scan_by_key_config_selectorIxxEEZZNS1_16scan_by_key_implILNS1_25lookback_scan_determinismE0ELb1ES3_N6thrust23THRUST_200600_302600_NS6detail15normal_iteratorINS9_10device_ptrIxEEEESE_SE_xNS9_4plusIvEENS9_8equal_toIxEExEE10hipError_tPvRmT2_T3_T4_T5_mT6_T7_P12ihipStream_tbENKUlT_T0_E_clISt17integral_constantIbLb0EESY_IbLb1EEEEDaSU_SV_EUlSU_E_NS1_11comp_targetILNS1_3genE2ELNS1_11target_archE906ELNS1_3gpuE6ELNS1_3repE0EEENS1_30default_config_static_selectorELNS0_4arch9wavefront6targetE1EEEvT1_
	.p2align	8
	.type	_ZN7rocprim17ROCPRIM_400000_NS6detail17trampoline_kernelINS0_14default_configENS1_27scan_by_key_config_selectorIxxEEZZNS1_16scan_by_key_implILNS1_25lookback_scan_determinismE0ELb1ES3_N6thrust23THRUST_200600_302600_NS6detail15normal_iteratorINS9_10device_ptrIxEEEESE_SE_xNS9_4plusIvEENS9_8equal_toIxEExEE10hipError_tPvRmT2_T3_T4_T5_mT6_T7_P12ihipStream_tbENKUlT_T0_E_clISt17integral_constantIbLb0EESY_IbLb1EEEEDaSU_SV_EUlSU_E_NS1_11comp_targetILNS1_3genE2ELNS1_11target_archE906ELNS1_3gpuE6ELNS1_3repE0EEENS1_30default_config_static_selectorELNS0_4arch9wavefront6targetE1EEEvT1_,@function
_ZN7rocprim17ROCPRIM_400000_NS6detail17trampoline_kernelINS0_14default_configENS1_27scan_by_key_config_selectorIxxEEZZNS1_16scan_by_key_implILNS1_25lookback_scan_determinismE0ELb1ES3_N6thrust23THRUST_200600_302600_NS6detail15normal_iteratorINS9_10device_ptrIxEEEESE_SE_xNS9_4plusIvEENS9_8equal_toIxEExEE10hipError_tPvRmT2_T3_T4_T5_mT6_T7_P12ihipStream_tbENKUlT_T0_E_clISt17integral_constantIbLb0EESY_IbLb1EEEEDaSU_SV_EUlSU_E_NS1_11comp_targetILNS1_3genE2ELNS1_11target_archE906ELNS1_3gpuE6ELNS1_3repE0EEENS1_30default_config_static_selectorELNS0_4arch9wavefront6targetE1EEEvT1_: ; @_ZN7rocprim17ROCPRIM_400000_NS6detail17trampoline_kernelINS0_14default_configENS1_27scan_by_key_config_selectorIxxEEZZNS1_16scan_by_key_implILNS1_25lookback_scan_determinismE0ELb1ES3_N6thrust23THRUST_200600_302600_NS6detail15normal_iteratorINS9_10device_ptrIxEEEESE_SE_xNS9_4plusIvEENS9_8equal_toIxEExEE10hipError_tPvRmT2_T3_T4_T5_mT6_T7_P12ihipStream_tbENKUlT_T0_E_clISt17integral_constantIbLb0EESY_IbLb1EEEEDaSU_SV_EUlSU_E_NS1_11comp_targetILNS1_3genE2ELNS1_11target_archE906ELNS1_3gpuE6ELNS1_3repE0EEENS1_30default_config_static_selectorELNS0_4arch9wavefront6targetE1EEEvT1_
; %bb.0:
	.section	.rodata,"a",@progbits
	.p2align	6, 0x0
	.amdhsa_kernel _ZN7rocprim17ROCPRIM_400000_NS6detail17trampoline_kernelINS0_14default_configENS1_27scan_by_key_config_selectorIxxEEZZNS1_16scan_by_key_implILNS1_25lookback_scan_determinismE0ELb1ES3_N6thrust23THRUST_200600_302600_NS6detail15normal_iteratorINS9_10device_ptrIxEEEESE_SE_xNS9_4plusIvEENS9_8equal_toIxEExEE10hipError_tPvRmT2_T3_T4_T5_mT6_T7_P12ihipStream_tbENKUlT_T0_E_clISt17integral_constantIbLb0EESY_IbLb1EEEEDaSU_SV_EUlSU_E_NS1_11comp_targetILNS1_3genE2ELNS1_11target_archE906ELNS1_3gpuE6ELNS1_3repE0EEENS1_30default_config_static_selectorELNS0_4arch9wavefront6targetE1EEEvT1_
		.amdhsa_group_segment_fixed_size 0
		.amdhsa_private_segment_fixed_size 0
		.amdhsa_kernarg_size 136
		.amdhsa_user_sgpr_count 2
		.amdhsa_user_sgpr_dispatch_ptr 0
		.amdhsa_user_sgpr_queue_ptr 0
		.amdhsa_user_sgpr_kernarg_segment_ptr 1
		.amdhsa_user_sgpr_dispatch_id 0
		.amdhsa_user_sgpr_kernarg_preload_length 0
		.amdhsa_user_sgpr_kernarg_preload_offset 0
		.amdhsa_user_sgpr_private_segment_size 0
		.amdhsa_uses_dynamic_stack 0
		.amdhsa_enable_private_segment 0
		.amdhsa_system_sgpr_workgroup_id_x 1
		.amdhsa_system_sgpr_workgroup_id_y 0
		.amdhsa_system_sgpr_workgroup_id_z 0
		.amdhsa_system_sgpr_workgroup_info 0
		.amdhsa_system_vgpr_workitem_id 0
		.amdhsa_next_free_vgpr 1
		.amdhsa_next_free_sgpr 0
		.amdhsa_accum_offset 4
		.amdhsa_reserve_vcc 0
		.amdhsa_float_round_mode_32 0
		.amdhsa_float_round_mode_16_64 0
		.amdhsa_float_denorm_mode_32 3
		.amdhsa_float_denorm_mode_16_64 3
		.amdhsa_dx10_clamp 1
		.amdhsa_ieee_mode 1
		.amdhsa_fp16_overflow 0
		.amdhsa_tg_split 0
		.amdhsa_exception_fp_ieee_invalid_op 0
		.amdhsa_exception_fp_denorm_src 0
		.amdhsa_exception_fp_ieee_div_zero 0
		.amdhsa_exception_fp_ieee_overflow 0
		.amdhsa_exception_fp_ieee_underflow 0
		.amdhsa_exception_fp_ieee_inexact 0
		.amdhsa_exception_int_div_zero 0
	.end_amdhsa_kernel
	.section	.text._ZN7rocprim17ROCPRIM_400000_NS6detail17trampoline_kernelINS0_14default_configENS1_27scan_by_key_config_selectorIxxEEZZNS1_16scan_by_key_implILNS1_25lookback_scan_determinismE0ELb1ES3_N6thrust23THRUST_200600_302600_NS6detail15normal_iteratorINS9_10device_ptrIxEEEESE_SE_xNS9_4plusIvEENS9_8equal_toIxEExEE10hipError_tPvRmT2_T3_T4_T5_mT6_T7_P12ihipStream_tbENKUlT_T0_E_clISt17integral_constantIbLb0EESY_IbLb1EEEEDaSU_SV_EUlSU_E_NS1_11comp_targetILNS1_3genE2ELNS1_11target_archE906ELNS1_3gpuE6ELNS1_3repE0EEENS1_30default_config_static_selectorELNS0_4arch9wavefront6targetE1EEEvT1_,"axG",@progbits,_ZN7rocprim17ROCPRIM_400000_NS6detail17trampoline_kernelINS0_14default_configENS1_27scan_by_key_config_selectorIxxEEZZNS1_16scan_by_key_implILNS1_25lookback_scan_determinismE0ELb1ES3_N6thrust23THRUST_200600_302600_NS6detail15normal_iteratorINS9_10device_ptrIxEEEESE_SE_xNS9_4plusIvEENS9_8equal_toIxEExEE10hipError_tPvRmT2_T3_T4_T5_mT6_T7_P12ihipStream_tbENKUlT_T0_E_clISt17integral_constantIbLb0EESY_IbLb1EEEEDaSU_SV_EUlSU_E_NS1_11comp_targetILNS1_3genE2ELNS1_11target_archE906ELNS1_3gpuE6ELNS1_3repE0EEENS1_30default_config_static_selectorELNS0_4arch9wavefront6targetE1EEEvT1_,comdat
.Lfunc_end457:
	.size	_ZN7rocprim17ROCPRIM_400000_NS6detail17trampoline_kernelINS0_14default_configENS1_27scan_by_key_config_selectorIxxEEZZNS1_16scan_by_key_implILNS1_25lookback_scan_determinismE0ELb1ES3_N6thrust23THRUST_200600_302600_NS6detail15normal_iteratorINS9_10device_ptrIxEEEESE_SE_xNS9_4plusIvEENS9_8equal_toIxEExEE10hipError_tPvRmT2_T3_T4_T5_mT6_T7_P12ihipStream_tbENKUlT_T0_E_clISt17integral_constantIbLb0EESY_IbLb1EEEEDaSU_SV_EUlSU_E_NS1_11comp_targetILNS1_3genE2ELNS1_11target_archE906ELNS1_3gpuE6ELNS1_3repE0EEENS1_30default_config_static_selectorELNS0_4arch9wavefront6targetE1EEEvT1_, .Lfunc_end457-_ZN7rocprim17ROCPRIM_400000_NS6detail17trampoline_kernelINS0_14default_configENS1_27scan_by_key_config_selectorIxxEEZZNS1_16scan_by_key_implILNS1_25lookback_scan_determinismE0ELb1ES3_N6thrust23THRUST_200600_302600_NS6detail15normal_iteratorINS9_10device_ptrIxEEEESE_SE_xNS9_4plusIvEENS9_8equal_toIxEExEE10hipError_tPvRmT2_T3_T4_T5_mT6_T7_P12ihipStream_tbENKUlT_T0_E_clISt17integral_constantIbLb0EESY_IbLb1EEEEDaSU_SV_EUlSU_E_NS1_11comp_targetILNS1_3genE2ELNS1_11target_archE906ELNS1_3gpuE6ELNS1_3repE0EEENS1_30default_config_static_selectorELNS0_4arch9wavefront6targetE1EEEvT1_
                                        ; -- End function
	.section	.AMDGPU.csdata,"",@progbits
; Kernel info:
; codeLenInByte = 0
; NumSgprs: 6
; NumVgprs: 0
; NumAgprs: 0
; TotalNumVgprs: 0
; ScratchSize: 0
; MemoryBound: 0
; FloatMode: 240
; IeeeMode: 1
; LDSByteSize: 0 bytes/workgroup (compile time only)
; SGPRBlocks: 0
; VGPRBlocks: 0
; NumSGPRsForWavesPerEU: 6
; NumVGPRsForWavesPerEU: 1
; AccumOffset: 4
; Occupancy: 8
; WaveLimiterHint : 0
; COMPUTE_PGM_RSRC2:SCRATCH_EN: 0
; COMPUTE_PGM_RSRC2:USER_SGPR: 2
; COMPUTE_PGM_RSRC2:TRAP_HANDLER: 0
; COMPUTE_PGM_RSRC2:TGID_X_EN: 1
; COMPUTE_PGM_RSRC2:TGID_Y_EN: 0
; COMPUTE_PGM_RSRC2:TGID_Z_EN: 0
; COMPUTE_PGM_RSRC2:TIDIG_COMP_CNT: 0
; COMPUTE_PGM_RSRC3_GFX90A:ACCUM_OFFSET: 0
; COMPUTE_PGM_RSRC3_GFX90A:TG_SPLIT: 0
	.section	.text._ZN7rocprim17ROCPRIM_400000_NS6detail17trampoline_kernelINS0_14default_configENS1_27scan_by_key_config_selectorIxxEEZZNS1_16scan_by_key_implILNS1_25lookback_scan_determinismE0ELb1ES3_N6thrust23THRUST_200600_302600_NS6detail15normal_iteratorINS9_10device_ptrIxEEEESE_SE_xNS9_4plusIvEENS9_8equal_toIxEExEE10hipError_tPvRmT2_T3_T4_T5_mT6_T7_P12ihipStream_tbENKUlT_T0_E_clISt17integral_constantIbLb0EESY_IbLb1EEEEDaSU_SV_EUlSU_E_NS1_11comp_targetILNS1_3genE10ELNS1_11target_archE1200ELNS1_3gpuE4ELNS1_3repE0EEENS1_30default_config_static_selectorELNS0_4arch9wavefront6targetE1EEEvT1_,"axG",@progbits,_ZN7rocprim17ROCPRIM_400000_NS6detail17trampoline_kernelINS0_14default_configENS1_27scan_by_key_config_selectorIxxEEZZNS1_16scan_by_key_implILNS1_25lookback_scan_determinismE0ELb1ES3_N6thrust23THRUST_200600_302600_NS6detail15normal_iteratorINS9_10device_ptrIxEEEESE_SE_xNS9_4plusIvEENS9_8equal_toIxEExEE10hipError_tPvRmT2_T3_T4_T5_mT6_T7_P12ihipStream_tbENKUlT_T0_E_clISt17integral_constantIbLb0EESY_IbLb1EEEEDaSU_SV_EUlSU_E_NS1_11comp_targetILNS1_3genE10ELNS1_11target_archE1200ELNS1_3gpuE4ELNS1_3repE0EEENS1_30default_config_static_selectorELNS0_4arch9wavefront6targetE1EEEvT1_,comdat
	.protected	_ZN7rocprim17ROCPRIM_400000_NS6detail17trampoline_kernelINS0_14default_configENS1_27scan_by_key_config_selectorIxxEEZZNS1_16scan_by_key_implILNS1_25lookback_scan_determinismE0ELb1ES3_N6thrust23THRUST_200600_302600_NS6detail15normal_iteratorINS9_10device_ptrIxEEEESE_SE_xNS9_4plusIvEENS9_8equal_toIxEExEE10hipError_tPvRmT2_T3_T4_T5_mT6_T7_P12ihipStream_tbENKUlT_T0_E_clISt17integral_constantIbLb0EESY_IbLb1EEEEDaSU_SV_EUlSU_E_NS1_11comp_targetILNS1_3genE10ELNS1_11target_archE1200ELNS1_3gpuE4ELNS1_3repE0EEENS1_30default_config_static_selectorELNS0_4arch9wavefront6targetE1EEEvT1_ ; -- Begin function _ZN7rocprim17ROCPRIM_400000_NS6detail17trampoline_kernelINS0_14default_configENS1_27scan_by_key_config_selectorIxxEEZZNS1_16scan_by_key_implILNS1_25lookback_scan_determinismE0ELb1ES3_N6thrust23THRUST_200600_302600_NS6detail15normal_iteratorINS9_10device_ptrIxEEEESE_SE_xNS9_4plusIvEENS9_8equal_toIxEExEE10hipError_tPvRmT2_T3_T4_T5_mT6_T7_P12ihipStream_tbENKUlT_T0_E_clISt17integral_constantIbLb0EESY_IbLb1EEEEDaSU_SV_EUlSU_E_NS1_11comp_targetILNS1_3genE10ELNS1_11target_archE1200ELNS1_3gpuE4ELNS1_3repE0EEENS1_30default_config_static_selectorELNS0_4arch9wavefront6targetE1EEEvT1_
	.globl	_ZN7rocprim17ROCPRIM_400000_NS6detail17trampoline_kernelINS0_14default_configENS1_27scan_by_key_config_selectorIxxEEZZNS1_16scan_by_key_implILNS1_25lookback_scan_determinismE0ELb1ES3_N6thrust23THRUST_200600_302600_NS6detail15normal_iteratorINS9_10device_ptrIxEEEESE_SE_xNS9_4plusIvEENS9_8equal_toIxEExEE10hipError_tPvRmT2_T3_T4_T5_mT6_T7_P12ihipStream_tbENKUlT_T0_E_clISt17integral_constantIbLb0EESY_IbLb1EEEEDaSU_SV_EUlSU_E_NS1_11comp_targetILNS1_3genE10ELNS1_11target_archE1200ELNS1_3gpuE4ELNS1_3repE0EEENS1_30default_config_static_selectorELNS0_4arch9wavefront6targetE1EEEvT1_
	.p2align	8
	.type	_ZN7rocprim17ROCPRIM_400000_NS6detail17trampoline_kernelINS0_14default_configENS1_27scan_by_key_config_selectorIxxEEZZNS1_16scan_by_key_implILNS1_25lookback_scan_determinismE0ELb1ES3_N6thrust23THRUST_200600_302600_NS6detail15normal_iteratorINS9_10device_ptrIxEEEESE_SE_xNS9_4plusIvEENS9_8equal_toIxEExEE10hipError_tPvRmT2_T3_T4_T5_mT6_T7_P12ihipStream_tbENKUlT_T0_E_clISt17integral_constantIbLb0EESY_IbLb1EEEEDaSU_SV_EUlSU_E_NS1_11comp_targetILNS1_3genE10ELNS1_11target_archE1200ELNS1_3gpuE4ELNS1_3repE0EEENS1_30default_config_static_selectorELNS0_4arch9wavefront6targetE1EEEvT1_,@function
_ZN7rocprim17ROCPRIM_400000_NS6detail17trampoline_kernelINS0_14default_configENS1_27scan_by_key_config_selectorIxxEEZZNS1_16scan_by_key_implILNS1_25lookback_scan_determinismE0ELb1ES3_N6thrust23THRUST_200600_302600_NS6detail15normal_iteratorINS9_10device_ptrIxEEEESE_SE_xNS9_4plusIvEENS9_8equal_toIxEExEE10hipError_tPvRmT2_T3_T4_T5_mT6_T7_P12ihipStream_tbENKUlT_T0_E_clISt17integral_constantIbLb0EESY_IbLb1EEEEDaSU_SV_EUlSU_E_NS1_11comp_targetILNS1_3genE10ELNS1_11target_archE1200ELNS1_3gpuE4ELNS1_3repE0EEENS1_30default_config_static_selectorELNS0_4arch9wavefront6targetE1EEEvT1_: ; @_ZN7rocprim17ROCPRIM_400000_NS6detail17trampoline_kernelINS0_14default_configENS1_27scan_by_key_config_selectorIxxEEZZNS1_16scan_by_key_implILNS1_25lookback_scan_determinismE0ELb1ES3_N6thrust23THRUST_200600_302600_NS6detail15normal_iteratorINS9_10device_ptrIxEEEESE_SE_xNS9_4plusIvEENS9_8equal_toIxEExEE10hipError_tPvRmT2_T3_T4_T5_mT6_T7_P12ihipStream_tbENKUlT_T0_E_clISt17integral_constantIbLb0EESY_IbLb1EEEEDaSU_SV_EUlSU_E_NS1_11comp_targetILNS1_3genE10ELNS1_11target_archE1200ELNS1_3gpuE4ELNS1_3repE0EEENS1_30default_config_static_selectorELNS0_4arch9wavefront6targetE1EEEvT1_
; %bb.0:
	.section	.rodata,"a",@progbits
	.p2align	6, 0x0
	.amdhsa_kernel _ZN7rocprim17ROCPRIM_400000_NS6detail17trampoline_kernelINS0_14default_configENS1_27scan_by_key_config_selectorIxxEEZZNS1_16scan_by_key_implILNS1_25lookback_scan_determinismE0ELb1ES3_N6thrust23THRUST_200600_302600_NS6detail15normal_iteratorINS9_10device_ptrIxEEEESE_SE_xNS9_4plusIvEENS9_8equal_toIxEExEE10hipError_tPvRmT2_T3_T4_T5_mT6_T7_P12ihipStream_tbENKUlT_T0_E_clISt17integral_constantIbLb0EESY_IbLb1EEEEDaSU_SV_EUlSU_E_NS1_11comp_targetILNS1_3genE10ELNS1_11target_archE1200ELNS1_3gpuE4ELNS1_3repE0EEENS1_30default_config_static_selectorELNS0_4arch9wavefront6targetE1EEEvT1_
		.amdhsa_group_segment_fixed_size 0
		.amdhsa_private_segment_fixed_size 0
		.amdhsa_kernarg_size 136
		.amdhsa_user_sgpr_count 2
		.amdhsa_user_sgpr_dispatch_ptr 0
		.amdhsa_user_sgpr_queue_ptr 0
		.amdhsa_user_sgpr_kernarg_segment_ptr 1
		.amdhsa_user_sgpr_dispatch_id 0
		.amdhsa_user_sgpr_kernarg_preload_length 0
		.amdhsa_user_sgpr_kernarg_preload_offset 0
		.amdhsa_user_sgpr_private_segment_size 0
		.amdhsa_uses_dynamic_stack 0
		.amdhsa_enable_private_segment 0
		.amdhsa_system_sgpr_workgroup_id_x 1
		.amdhsa_system_sgpr_workgroup_id_y 0
		.amdhsa_system_sgpr_workgroup_id_z 0
		.amdhsa_system_sgpr_workgroup_info 0
		.amdhsa_system_vgpr_workitem_id 0
		.amdhsa_next_free_vgpr 1
		.amdhsa_next_free_sgpr 0
		.amdhsa_accum_offset 4
		.amdhsa_reserve_vcc 0
		.amdhsa_float_round_mode_32 0
		.amdhsa_float_round_mode_16_64 0
		.amdhsa_float_denorm_mode_32 3
		.amdhsa_float_denorm_mode_16_64 3
		.amdhsa_dx10_clamp 1
		.amdhsa_ieee_mode 1
		.amdhsa_fp16_overflow 0
		.amdhsa_tg_split 0
		.amdhsa_exception_fp_ieee_invalid_op 0
		.amdhsa_exception_fp_denorm_src 0
		.amdhsa_exception_fp_ieee_div_zero 0
		.amdhsa_exception_fp_ieee_overflow 0
		.amdhsa_exception_fp_ieee_underflow 0
		.amdhsa_exception_fp_ieee_inexact 0
		.amdhsa_exception_int_div_zero 0
	.end_amdhsa_kernel
	.section	.text._ZN7rocprim17ROCPRIM_400000_NS6detail17trampoline_kernelINS0_14default_configENS1_27scan_by_key_config_selectorIxxEEZZNS1_16scan_by_key_implILNS1_25lookback_scan_determinismE0ELb1ES3_N6thrust23THRUST_200600_302600_NS6detail15normal_iteratorINS9_10device_ptrIxEEEESE_SE_xNS9_4plusIvEENS9_8equal_toIxEExEE10hipError_tPvRmT2_T3_T4_T5_mT6_T7_P12ihipStream_tbENKUlT_T0_E_clISt17integral_constantIbLb0EESY_IbLb1EEEEDaSU_SV_EUlSU_E_NS1_11comp_targetILNS1_3genE10ELNS1_11target_archE1200ELNS1_3gpuE4ELNS1_3repE0EEENS1_30default_config_static_selectorELNS0_4arch9wavefront6targetE1EEEvT1_,"axG",@progbits,_ZN7rocprim17ROCPRIM_400000_NS6detail17trampoline_kernelINS0_14default_configENS1_27scan_by_key_config_selectorIxxEEZZNS1_16scan_by_key_implILNS1_25lookback_scan_determinismE0ELb1ES3_N6thrust23THRUST_200600_302600_NS6detail15normal_iteratorINS9_10device_ptrIxEEEESE_SE_xNS9_4plusIvEENS9_8equal_toIxEExEE10hipError_tPvRmT2_T3_T4_T5_mT6_T7_P12ihipStream_tbENKUlT_T0_E_clISt17integral_constantIbLb0EESY_IbLb1EEEEDaSU_SV_EUlSU_E_NS1_11comp_targetILNS1_3genE10ELNS1_11target_archE1200ELNS1_3gpuE4ELNS1_3repE0EEENS1_30default_config_static_selectorELNS0_4arch9wavefront6targetE1EEEvT1_,comdat
.Lfunc_end458:
	.size	_ZN7rocprim17ROCPRIM_400000_NS6detail17trampoline_kernelINS0_14default_configENS1_27scan_by_key_config_selectorIxxEEZZNS1_16scan_by_key_implILNS1_25lookback_scan_determinismE0ELb1ES3_N6thrust23THRUST_200600_302600_NS6detail15normal_iteratorINS9_10device_ptrIxEEEESE_SE_xNS9_4plusIvEENS9_8equal_toIxEExEE10hipError_tPvRmT2_T3_T4_T5_mT6_T7_P12ihipStream_tbENKUlT_T0_E_clISt17integral_constantIbLb0EESY_IbLb1EEEEDaSU_SV_EUlSU_E_NS1_11comp_targetILNS1_3genE10ELNS1_11target_archE1200ELNS1_3gpuE4ELNS1_3repE0EEENS1_30default_config_static_selectorELNS0_4arch9wavefront6targetE1EEEvT1_, .Lfunc_end458-_ZN7rocprim17ROCPRIM_400000_NS6detail17trampoline_kernelINS0_14default_configENS1_27scan_by_key_config_selectorIxxEEZZNS1_16scan_by_key_implILNS1_25lookback_scan_determinismE0ELb1ES3_N6thrust23THRUST_200600_302600_NS6detail15normal_iteratorINS9_10device_ptrIxEEEESE_SE_xNS9_4plusIvEENS9_8equal_toIxEExEE10hipError_tPvRmT2_T3_T4_T5_mT6_T7_P12ihipStream_tbENKUlT_T0_E_clISt17integral_constantIbLb0EESY_IbLb1EEEEDaSU_SV_EUlSU_E_NS1_11comp_targetILNS1_3genE10ELNS1_11target_archE1200ELNS1_3gpuE4ELNS1_3repE0EEENS1_30default_config_static_selectorELNS0_4arch9wavefront6targetE1EEEvT1_
                                        ; -- End function
	.section	.AMDGPU.csdata,"",@progbits
; Kernel info:
; codeLenInByte = 0
; NumSgprs: 6
; NumVgprs: 0
; NumAgprs: 0
; TotalNumVgprs: 0
; ScratchSize: 0
; MemoryBound: 0
; FloatMode: 240
; IeeeMode: 1
; LDSByteSize: 0 bytes/workgroup (compile time only)
; SGPRBlocks: 0
; VGPRBlocks: 0
; NumSGPRsForWavesPerEU: 6
; NumVGPRsForWavesPerEU: 1
; AccumOffset: 4
; Occupancy: 8
; WaveLimiterHint : 0
; COMPUTE_PGM_RSRC2:SCRATCH_EN: 0
; COMPUTE_PGM_RSRC2:USER_SGPR: 2
; COMPUTE_PGM_RSRC2:TRAP_HANDLER: 0
; COMPUTE_PGM_RSRC2:TGID_X_EN: 1
; COMPUTE_PGM_RSRC2:TGID_Y_EN: 0
; COMPUTE_PGM_RSRC2:TGID_Z_EN: 0
; COMPUTE_PGM_RSRC2:TIDIG_COMP_CNT: 0
; COMPUTE_PGM_RSRC3_GFX90A:ACCUM_OFFSET: 0
; COMPUTE_PGM_RSRC3_GFX90A:TG_SPLIT: 0
	.section	.text._ZN7rocprim17ROCPRIM_400000_NS6detail17trampoline_kernelINS0_14default_configENS1_27scan_by_key_config_selectorIxxEEZZNS1_16scan_by_key_implILNS1_25lookback_scan_determinismE0ELb1ES3_N6thrust23THRUST_200600_302600_NS6detail15normal_iteratorINS9_10device_ptrIxEEEESE_SE_xNS9_4plusIvEENS9_8equal_toIxEExEE10hipError_tPvRmT2_T3_T4_T5_mT6_T7_P12ihipStream_tbENKUlT_T0_E_clISt17integral_constantIbLb0EESY_IbLb1EEEEDaSU_SV_EUlSU_E_NS1_11comp_targetILNS1_3genE9ELNS1_11target_archE1100ELNS1_3gpuE3ELNS1_3repE0EEENS1_30default_config_static_selectorELNS0_4arch9wavefront6targetE1EEEvT1_,"axG",@progbits,_ZN7rocprim17ROCPRIM_400000_NS6detail17trampoline_kernelINS0_14default_configENS1_27scan_by_key_config_selectorIxxEEZZNS1_16scan_by_key_implILNS1_25lookback_scan_determinismE0ELb1ES3_N6thrust23THRUST_200600_302600_NS6detail15normal_iteratorINS9_10device_ptrIxEEEESE_SE_xNS9_4plusIvEENS9_8equal_toIxEExEE10hipError_tPvRmT2_T3_T4_T5_mT6_T7_P12ihipStream_tbENKUlT_T0_E_clISt17integral_constantIbLb0EESY_IbLb1EEEEDaSU_SV_EUlSU_E_NS1_11comp_targetILNS1_3genE9ELNS1_11target_archE1100ELNS1_3gpuE3ELNS1_3repE0EEENS1_30default_config_static_selectorELNS0_4arch9wavefront6targetE1EEEvT1_,comdat
	.protected	_ZN7rocprim17ROCPRIM_400000_NS6detail17trampoline_kernelINS0_14default_configENS1_27scan_by_key_config_selectorIxxEEZZNS1_16scan_by_key_implILNS1_25lookback_scan_determinismE0ELb1ES3_N6thrust23THRUST_200600_302600_NS6detail15normal_iteratorINS9_10device_ptrIxEEEESE_SE_xNS9_4plusIvEENS9_8equal_toIxEExEE10hipError_tPvRmT2_T3_T4_T5_mT6_T7_P12ihipStream_tbENKUlT_T0_E_clISt17integral_constantIbLb0EESY_IbLb1EEEEDaSU_SV_EUlSU_E_NS1_11comp_targetILNS1_3genE9ELNS1_11target_archE1100ELNS1_3gpuE3ELNS1_3repE0EEENS1_30default_config_static_selectorELNS0_4arch9wavefront6targetE1EEEvT1_ ; -- Begin function _ZN7rocprim17ROCPRIM_400000_NS6detail17trampoline_kernelINS0_14default_configENS1_27scan_by_key_config_selectorIxxEEZZNS1_16scan_by_key_implILNS1_25lookback_scan_determinismE0ELb1ES3_N6thrust23THRUST_200600_302600_NS6detail15normal_iteratorINS9_10device_ptrIxEEEESE_SE_xNS9_4plusIvEENS9_8equal_toIxEExEE10hipError_tPvRmT2_T3_T4_T5_mT6_T7_P12ihipStream_tbENKUlT_T0_E_clISt17integral_constantIbLb0EESY_IbLb1EEEEDaSU_SV_EUlSU_E_NS1_11comp_targetILNS1_3genE9ELNS1_11target_archE1100ELNS1_3gpuE3ELNS1_3repE0EEENS1_30default_config_static_selectorELNS0_4arch9wavefront6targetE1EEEvT1_
	.globl	_ZN7rocprim17ROCPRIM_400000_NS6detail17trampoline_kernelINS0_14default_configENS1_27scan_by_key_config_selectorIxxEEZZNS1_16scan_by_key_implILNS1_25lookback_scan_determinismE0ELb1ES3_N6thrust23THRUST_200600_302600_NS6detail15normal_iteratorINS9_10device_ptrIxEEEESE_SE_xNS9_4plusIvEENS9_8equal_toIxEExEE10hipError_tPvRmT2_T3_T4_T5_mT6_T7_P12ihipStream_tbENKUlT_T0_E_clISt17integral_constantIbLb0EESY_IbLb1EEEEDaSU_SV_EUlSU_E_NS1_11comp_targetILNS1_3genE9ELNS1_11target_archE1100ELNS1_3gpuE3ELNS1_3repE0EEENS1_30default_config_static_selectorELNS0_4arch9wavefront6targetE1EEEvT1_
	.p2align	8
	.type	_ZN7rocprim17ROCPRIM_400000_NS6detail17trampoline_kernelINS0_14default_configENS1_27scan_by_key_config_selectorIxxEEZZNS1_16scan_by_key_implILNS1_25lookback_scan_determinismE0ELb1ES3_N6thrust23THRUST_200600_302600_NS6detail15normal_iteratorINS9_10device_ptrIxEEEESE_SE_xNS9_4plusIvEENS9_8equal_toIxEExEE10hipError_tPvRmT2_T3_T4_T5_mT6_T7_P12ihipStream_tbENKUlT_T0_E_clISt17integral_constantIbLb0EESY_IbLb1EEEEDaSU_SV_EUlSU_E_NS1_11comp_targetILNS1_3genE9ELNS1_11target_archE1100ELNS1_3gpuE3ELNS1_3repE0EEENS1_30default_config_static_selectorELNS0_4arch9wavefront6targetE1EEEvT1_,@function
_ZN7rocprim17ROCPRIM_400000_NS6detail17trampoline_kernelINS0_14default_configENS1_27scan_by_key_config_selectorIxxEEZZNS1_16scan_by_key_implILNS1_25lookback_scan_determinismE0ELb1ES3_N6thrust23THRUST_200600_302600_NS6detail15normal_iteratorINS9_10device_ptrIxEEEESE_SE_xNS9_4plusIvEENS9_8equal_toIxEExEE10hipError_tPvRmT2_T3_T4_T5_mT6_T7_P12ihipStream_tbENKUlT_T0_E_clISt17integral_constantIbLb0EESY_IbLb1EEEEDaSU_SV_EUlSU_E_NS1_11comp_targetILNS1_3genE9ELNS1_11target_archE1100ELNS1_3gpuE3ELNS1_3repE0EEENS1_30default_config_static_selectorELNS0_4arch9wavefront6targetE1EEEvT1_: ; @_ZN7rocprim17ROCPRIM_400000_NS6detail17trampoline_kernelINS0_14default_configENS1_27scan_by_key_config_selectorIxxEEZZNS1_16scan_by_key_implILNS1_25lookback_scan_determinismE0ELb1ES3_N6thrust23THRUST_200600_302600_NS6detail15normal_iteratorINS9_10device_ptrIxEEEESE_SE_xNS9_4plusIvEENS9_8equal_toIxEExEE10hipError_tPvRmT2_T3_T4_T5_mT6_T7_P12ihipStream_tbENKUlT_T0_E_clISt17integral_constantIbLb0EESY_IbLb1EEEEDaSU_SV_EUlSU_E_NS1_11comp_targetILNS1_3genE9ELNS1_11target_archE1100ELNS1_3gpuE3ELNS1_3repE0EEENS1_30default_config_static_selectorELNS0_4arch9wavefront6targetE1EEEvT1_
; %bb.0:
	.section	.rodata,"a",@progbits
	.p2align	6, 0x0
	.amdhsa_kernel _ZN7rocprim17ROCPRIM_400000_NS6detail17trampoline_kernelINS0_14default_configENS1_27scan_by_key_config_selectorIxxEEZZNS1_16scan_by_key_implILNS1_25lookback_scan_determinismE0ELb1ES3_N6thrust23THRUST_200600_302600_NS6detail15normal_iteratorINS9_10device_ptrIxEEEESE_SE_xNS9_4plusIvEENS9_8equal_toIxEExEE10hipError_tPvRmT2_T3_T4_T5_mT6_T7_P12ihipStream_tbENKUlT_T0_E_clISt17integral_constantIbLb0EESY_IbLb1EEEEDaSU_SV_EUlSU_E_NS1_11comp_targetILNS1_3genE9ELNS1_11target_archE1100ELNS1_3gpuE3ELNS1_3repE0EEENS1_30default_config_static_selectorELNS0_4arch9wavefront6targetE1EEEvT1_
		.amdhsa_group_segment_fixed_size 0
		.amdhsa_private_segment_fixed_size 0
		.amdhsa_kernarg_size 136
		.amdhsa_user_sgpr_count 2
		.amdhsa_user_sgpr_dispatch_ptr 0
		.amdhsa_user_sgpr_queue_ptr 0
		.amdhsa_user_sgpr_kernarg_segment_ptr 1
		.amdhsa_user_sgpr_dispatch_id 0
		.amdhsa_user_sgpr_kernarg_preload_length 0
		.amdhsa_user_sgpr_kernarg_preload_offset 0
		.amdhsa_user_sgpr_private_segment_size 0
		.amdhsa_uses_dynamic_stack 0
		.amdhsa_enable_private_segment 0
		.amdhsa_system_sgpr_workgroup_id_x 1
		.amdhsa_system_sgpr_workgroup_id_y 0
		.amdhsa_system_sgpr_workgroup_id_z 0
		.amdhsa_system_sgpr_workgroup_info 0
		.amdhsa_system_vgpr_workitem_id 0
		.amdhsa_next_free_vgpr 1
		.amdhsa_next_free_sgpr 0
		.amdhsa_accum_offset 4
		.amdhsa_reserve_vcc 0
		.amdhsa_float_round_mode_32 0
		.amdhsa_float_round_mode_16_64 0
		.amdhsa_float_denorm_mode_32 3
		.amdhsa_float_denorm_mode_16_64 3
		.amdhsa_dx10_clamp 1
		.amdhsa_ieee_mode 1
		.amdhsa_fp16_overflow 0
		.amdhsa_tg_split 0
		.amdhsa_exception_fp_ieee_invalid_op 0
		.amdhsa_exception_fp_denorm_src 0
		.amdhsa_exception_fp_ieee_div_zero 0
		.amdhsa_exception_fp_ieee_overflow 0
		.amdhsa_exception_fp_ieee_underflow 0
		.amdhsa_exception_fp_ieee_inexact 0
		.amdhsa_exception_int_div_zero 0
	.end_amdhsa_kernel
	.section	.text._ZN7rocprim17ROCPRIM_400000_NS6detail17trampoline_kernelINS0_14default_configENS1_27scan_by_key_config_selectorIxxEEZZNS1_16scan_by_key_implILNS1_25lookback_scan_determinismE0ELb1ES3_N6thrust23THRUST_200600_302600_NS6detail15normal_iteratorINS9_10device_ptrIxEEEESE_SE_xNS9_4plusIvEENS9_8equal_toIxEExEE10hipError_tPvRmT2_T3_T4_T5_mT6_T7_P12ihipStream_tbENKUlT_T0_E_clISt17integral_constantIbLb0EESY_IbLb1EEEEDaSU_SV_EUlSU_E_NS1_11comp_targetILNS1_3genE9ELNS1_11target_archE1100ELNS1_3gpuE3ELNS1_3repE0EEENS1_30default_config_static_selectorELNS0_4arch9wavefront6targetE1EEEvT1_,"axG",@progbits,_ZN7rocprim17ROCPRIM_400000_NS6detail17trampoline_kernelINS0_14default_configENS1_27scan_by_key_config_selectorIxxEEZZNS1_16scan_by_key_implILNS1_25lookback_scan_determinismE0ELb1ES3_N6thrust23THRUST_200600_302600_NS6detail15normal_iteratorINS9_10device_ptrIxEEEESE_SE_xNS9_4plusIvEENS9_8equal_toIxEExEE10hipError_tPvRmT2_T3_T4_T5_mT6_T7_P12ihipStream_tbENKUlT_T0_E_clISt17integral_constantIbLb0EESY_IbLb1EEEEDaSU_SV_EUlSU_E_NS1_11comp_targetILNS1_3genE9ELNS1_11target_archE1100ELNS1_3gpuE3ELNS1_3repE0EEENS1_30default_config_static_selectorELNS0_4arch9wavefront6targetE1EEEvT1_,comdat
.Lfunc_end459:
	.size	_ZN7rocprim17ROCPRIM_400000_NS6detail17trampoline_kernelINS0_14default_configENS1_27scan_by_key_config_selectorIxxEEZZNS1_16scan_by_key_implILNS1_25lookback_scan_determinismE0ELb1ES3_N6thrust23THRUST_200600_302600_NS6detail15normal_iteratorINS9_10device_ptrIxEEEESE_SE_xNS9_4plusIvEENS9_8equal_toIxEExEE10hipError_tPvRmT2_T3_T4_T5_mT6_T7_P12ihipStream_tbENKUlT_T0_E_clISt17integral_constantIbLb0EESY_IbLb1EEEEDaSU_SV_EUlSU_E_NS1_11comp_targetILNS1_3genE9ELNS1_11target_archE1100ELNS1_3gpuE3ELNS1_3repE0EEENS1_30default_config_static_selectorELNS0_4arch9wavefront6targetE1EEEvT1_, .Lfunc_end459-_ZN7rocprim17ROCPRIM_400000_NS6detail17trampoline_kernelINS0_14default_configENS1_27scan_by_key_config_selectorIxxEEZZNS1_16scan_by_key_implILNS1_25lookback_scan_determinismE0ELb1ES3_N6thrust23THRUST_200600_302600_NS6detail15normal_iteratorINS9_10device_ptrIxEEEESE_SE_xNS9_4plusIvEENS9_8equal_toIxEExEE10hipError_tPvRmT2_T3_T4_T5_mT6_T7_P12ihipStream_tbENKUlT_T0_E_clISt17integral_constantIbLb0EESY_IbLb1EEEEDaSU_SV_EUlSU_E_NS1_11comp_targetILNS1_3genE9ELNS1_11target_archE1100ELNS1_3gpuE3ELNS1_3repE0EEENS1_30default_config_static_selectorELNS0_4arch9wavefront6targetE1EEEvT1_
                                        ; -- End function
	.section	.AMDGPU.csdata,"",@progbits
; Kernel info:
; codeLenInByte = 0
; NumSgprs: 6
; NumVgprs: 0
; NumAgprs: 0
; TotalNumVgprs: 0
; ScratchSize: 0
; MemoryBound: 0
; FloatMode: 240
; IeeeMode: 1
; LDSByteSize: 0 bytes/workgroup (compile time only)
; SGPRBlocks: 0
; VGPRBlocks: 0
; NumSGPRsForWavesPerEU: 6
; NumVGPRsForWavesPerEU: 1
; AccumOffset: 4
; Occupancy: 8
; WaveLimiterHint : 0
; COMPUTE_PGM_RSRC2:SCRATCH_EN: 0
; COMPUTE_PGM_RSRC2:USER_SGPR: 2
; COMPUTE_PGM_RSRC2:TRAP_HANDLER: 0
; COMPUTE_PGM_RSRC2:TGID_X_EN: 1
; COMPUTE_PGM_RSRC2:TGID_Y_EN: 0
; COMPUTE_PGM_RSRC2:TGID_Z_EN: 0
; COMPUTE_PGM_RSRC2:TIDIG_COMP_CNT: 0
; COMPUTE_PGM_RSRC3_GFX90A:ACCUM_OFFSET: 0
; COMPUTE_PGM_RSRC3_GFX90A:TG_SPLIT: 0
	.section	.text._ZN7rocprim17ROCPRIM_400000_NS6detail17trampoline_kernelINS0_14default_configENS1_27scan_by_key_config_selectorIxxEEZZNS1_16scan_by_key_implILNS1_25lookback_scan_determinismE0ELb1ES3_N6thrust23THRUST_200600_302600_NS6detail15normal_iteratorINS9_10device_ptrIxEEEESE_SE_xNS9_4plusIvEENS9_8equal_toIxEExEE10hipError_tPvRmT2_T3_T4_T5_mT6_T7_P12ihipStream_tbENKUlT_T0_E_clISt17integral_constantIbLb0EESY_IbLb1EEEEDaSU_SV_EUlSU_E_NS1_11comp_targetILNS1_3genE8ELNS1_11target_archE1030ELNS1_3gpuE2ELNS1_3repE0EEENS1_30default_config_static_selectorELNS0_4arch9wavefront6targetE1EEEvT1_,"axG",@progbits,_ZN7rocprim17ROCPRIM_400000_NS6detail17trampoline_kernelINS0_14default_configENS1_27scan_by_key_config_selectorIxxEEZZNS1_16scan_by_key_implILNS1_25lookback_scan_determinismE0ELb1ES3_N6thrust23THRUST_200600_302600_NS6detail15normal_iteratorINS9_10device_ptrIxEEEESE_SE_xNS9_4plusIvEENS9_8equal_toIxEExEE10hipError_tPvRmT2_T3_T4_T5_mT6_T7_P12ihipStream_tbENKUlT_T0_E_clISt17integral_constantIbLb0EESY_IbLb1EEEEDaSU_SV_EUlSU_E_NS1_11comp_targetILNS1_3genE8ELNS1_11target_archE1030ELNS1_3gpuE2ELNS1_3repE0EEENS1_30default_config_static_selectorELNS0_4arch9wavefront6targetE1EEEvT1_,comdat
	.protected	_ZN7rocprim17ROCPRIM_400000_NS6detail17trampoline_kernelINS0_14default_configENS1_27scan_by_key_config_selectorIxxEEZZNS1_16scan_by_key_implILNS1_25lookback_scan_determinismE0ELb1ES3_N6thrust23THRUST_200600_302600_NS6detail15normal_iteratorINS9_10device_ptrIxEEEESE_SE_xNS9_4plusIvEENS9_8equal_toIxEExEE10hipError_tPvRmT2_T3_T4_T5_mT6_T7_P12ihipStream_tbENKUlT_T0_E_clISt17integral_constantIbLb0EESY_IbLb1EEEEDaSU_SV_EUlSU_E_NS1_11comp_targetILNS1_3genE8ELNS1_11target_archE1030ELNS1_3gpuE2ELNS1_3repE0EEENS1_30default_config_static_selectorELNS0_4arch9wavefront6targetE1EEEvT1_ ; -- Begin function _ZN7rocprim17ROCPRIM_400000_NS6detail17trampoline_kernelINS0_14default_configENS1_27scan_by_key_config_selectorIxxEEZZNS1_16scan_by_key_implILNS1_25lookback_scan_determinismE0ELb1ES3_N6thrust23THRUST_200600_302600_NS6detail15normal_iteratorINS9_10device_ptrIxEEEESE_SE_xNS9_4plusIvEENS9_8equal_toIxEExEE10hipError_tPvRmT2_T3_T4_T5_mT6_T7_P12ihipStream_tbENKUlT_T0_E_clISt17integral_constantIbLb0EESY_IbLb1EEEEDaSU_SV_EUlSU_E_NS1_11comp_targetILNS1_3genE8ELNS1_11target_archE1030ELNS1_3gpuE2ELNS1_3repE0EEENS1_30default_config_static_selectorELNS0_4arch9wavefront6targetE1EEEvT1_
	.globl	_ZN7rocprim17ROCPRIM_400000_NS6detail17trampoline_kernelINS0_14default_configENS1_27scan_by_key_config_selectorIxxEEZZNS1_16scan_by_key_implILNS1_25lookback_scan_determinismE0ELb1ES3_N6thrust23THRUST_200600_302600_NS6detail15normal_iteratorINS9_10device_ptrIxEEEESE_SE_xNS9_4plusIvEENS9_8equal_toIxEExEE10hipError_tPvRmT2_T3_T4_T5_mT6_T7_P12ihipStream_tbENKUlT_T0_E_clISt17integral_constantIbLb0EESY_IbLb1EEEEDaSU_SV_EUlSU_E_NS1_11comp_targetILNS1_3genE8ELNS1_11target_archE1030ELNS1_3gpuE2ELNS1_3repE0EEENS1_30default_config_static_selectorELNS0_4arch9wavefront6targetE1EEEvT1_
	.p2align	8
	.type	_ZN7rocprim17ROCPRIM_400000_NS6detail17trampoline_kernelINS0_14default_configENS1_27scan_by_key_config_selectorIxxEEZZNS1_16scan_by_key_implILNS1_25lookback_scan_determinismE0ELb1ES3_N6thrust23THRUST_200600_302600_NS6detail15normal_iteratorINS9_10device_ptrIxEEEESE_SE_xNS9_4plusIvEENS9_8equal_toIxEExEE10hipError_tPvRmT2_T3_T4_T5_mT6_T7_P12ihipStream_tbENKUlT_T0_E_clISt17integral_constantIbLb0EESY_IbLb1EEEEDaSU_SV_EUlSU_E_NS1_11comp_targetILNS1_3genE8ELNS1_11target_archE1030ELNS1_3gpuE2ELNS1_3repE0EEENS1_30default_config_static_selectorELNS0_4arch9wavefront6targetE1EEEvT1_,@function
_ZN7rocprim17ROCPRIM_400000_NS6detail17trampoline_kernelINS0_14default_configENS1_27scan_by_key_config_selectorIxxEEZZNS1_16scan_by_key_implILNS1_25lookback_scan_determinismE0ELb1ES3_N6thrust23THRUST_200600_302600_NS6detail15normal_iteratorINS9_10device_ptrIxEEEESE_SE_xNS9_4plusIvEENS9_8equal_toIxEExEE10hipError_tPvRmT2_T3_T4_T5_mT6_T7_P12ihipStream_tbENKUlT_T0_E_clISt17integral_constantIbLb0EESY_IbLb1EEEEDaSU_SV_EUlSU_E_NS1_11comp_targetILNS1_3genE8ELNS1_11target_archE1030ELNS1_3gpuE2ELNS1_3repE0EEENS1_30default_config_static_selectorELNS0_4arch9wavefront6targetE1EEEvT1_: ; @_ZN7rocprim17ROCPRIM_400000_NS6detail17trampoline_kernelINS0_14default_configENS1_27scan_by_key_config_selectorIxxEEZZNS1_16scan_by_key_implILNS1_25lookback_scan_determinismE0ELb1ES3_N6thrust23THRUST_200600_302600_NS6detail15normal_iteratorINS9_10device_ptrIxEEEESE_SE_xNS9_4plusIvEENS9_8equal_toIxEExEE10hipError_tPvRmT2_T3_T4_T5_mT6_T7_P12ihipStream_tbENKUlT_T0_E_clISt17integral_constantIbLb0EESY_IbLb1EEEEDaSU_SV_EUlSU_E_NS1_11comp_targetILNS1_3genE8ELNS1_11target_archE1030ELNS1_3gpuE2ELNS1_3repE0EEENS1_30default_config_static_selectorELNS0_4arch9wavefront6targetE1EEEvT1_
; %bb.0:
	.section	.rodata,"a",@progbits
	.p2align	6, 0x0
	.amdhsa_kernel _ZN7rocprim17ROCPRIM_400000_NS6detail17trampoline_kernelINS0_14default_configENS1_27scan_by_key_config_selectorIxxEEZZNS1_16scan_by_key_implILNS1_25lookback_scan_determinismE0ELb1ES3_N6thrust23THRUST_200600_302600_NS6detail15normal_iteratorINS9_10device_ptrIxEEEESE_SE_xNS9_4plusIvEENS9_8equal_toIxEExEE10hipError_tPvRmT2_T3_T4_T5_mT6_T7_P12ihipStream_tbENKUlT_T0_E_clISt17integral_constantIbLb0EESY_IbLb1EEEEDaSU_SV_EUlSU_E_NS1_11comp_targetILNS1_3genE8ELNS1_11target_archE1030ELNS1_3gpuE2ELNS1_3repE0EEENS1_30default_config_static_selectorELNS0_4arch9wavefront6targetE1EEEvT1_
		.amdhsa_group_segment_fixed_size 0
		.amdhsa_private_segment_fixed_size 0
		.amdhsa_kernarg_size 136
		.amdhsa_user_sgpr_count 2
		.amdhsa_user_sgpr_dispatch_ptr 0
		.amdhsa_user_sgpr_queue_ptr 0
		.amdhsa_user_sgpr_kernarg_segment_ptr 1
		.amdhsa_user_sgpr_dispatch_id 0
		.amdhsa_user_sgpr_kernarg_preload_length 0
		.amdhsa_user_sgpr_kernarg_preload_offset 0
		.amdhsa_user_sgpr_private_segment_size 0
		.amdhsa_uses_dynamic_stack 0
		.amdhsa_enable_private_segment 0
		.amdhsa_system_sgpr_workgroup_id_x 1
		.amdhsa_system_sgpr_workgroup_id_y 0
		.amdhsa_system_sgpr_workgroup_id_z 0
		.amdhsa_system_sgpr_workgroup_info 0
		.amdhsa_system_vgpr_workitem_id 0
		.amdhsa_next_free_vgpr 1
		.amdhsa_next_free_sgpr 0
		.amdhsa_accum_offset 4
		.amdhsa_reserve_vcc 0
		.amdhsa_float_round_mode_32 0
		.amdhsa_float_round_mode_16_64 0
		.amdhsa_float_denorm_mode_32 3
		.amdhsa_float_denorm_mode_16_64 3
		.amdhsa_dx10_clamp 1
		.amdhsa_ieee_mode 1
		.amdhsa_fp16_overflow 0
		.amdhsa_tg_split 0
		.amdhsa_exception_fp_ieee_invalid_op 0
		.amdhsa_exception_fp_denorm_src 0
		.amdhsa_exception_fp_ieee_div_zero 0
		.amdhsa_exception_fp_ieee_overflow 0
		.amdhsa_exception_fp_ieee_underflow 0
		.amdhsa_exception_fp_ieee_inexact 0
		.amdhsa_exception_int_div_zero 0
	.end_amdhsa_kernel
	.section	.text._ZN7rocprim17ROCPRIM_400000_NS6detail17trampoline_kernelINS0_14default_configENS1_27scan_by_key_config_selectorIxxEEZZNS1_16scan_by_key_implILNS1_25lookback_scan_determinismE0ELb1ES3_N6thrust23THRUST_200600_302600_NS6detail15normal_iteratorINS9_10device_ptrIxEEEESE_SE_xNS9_4plusIvEENS9_8equal_toIxEExEE10hipError_tPvRmT2_T3_T4_T5_mT6_T7_P12ihipStream_tbENKUlT_T0_E_clISt17integral_constantIbLb0EESY_IbLb1EEEEDaSU_SV_EUlSU_E_NS1_11comp_targetILNS1_3genE8ELNS1_11target_archE1030ELNS1_3gpuE2ELNS1_3repE0EEENS1_30default_config_static_selectorELNS0_4arch9wavefront6targetE1EEEvT1_,"axG",@progbits,_ZN7rocprim17ROCPRIM_400000_NS6detail17trampoline_kernelINS0_14default_configENS1_27scan_by_key_config_selectorIxxEEZZNS1_16scan_by_key_implILNS1_25lookback_scan_determinismE0ELb1ES3_N6thrust23THRUST_200600_302600_NS6detail15normal_iteratorINS9_10device_ptrIxEEEESE_SE_xNS9_4plusIvEENS9_8equal_toIxEExEE10hipError_tPvRmT2_T3_T4_T5_mT6_T7_P12ihipStream_tbENKUlT_T0_E_clISt17integral_constantIbLb0EESY_IbLb1EEEEDaSU_SV_EUlSU_E_NS1_11comp_targetILNS1_3genE8ELNS1_11target_archE1030ELNS1_3gpuE2ELNS1_3repE0EEENS1_30default_config_static_selectorELNS0_4arch9wavefront6targetE1EEEvT1_,comdat
.Lfunc_end460:
	.size	_ZN7rocprim17ROCPRIM_400000_NS6detail17trampoline_kernelINS0_14default_configENS1_27scan_by_key_config_selectorIxxEEZZNS1_16scan_by_key_implILNS1_25lookback_scan_determinismE0ELb1ES3_N6thrust23THRUST_200600_302600_NS6detail15normal_iteratorINS9_10device_ptrIxEEEESE_SE_xNS9_4plusIvEENS9_8equal_toIxEExEE10hipError_tPvRmT2_T3_T4_T5_mT6_T7_P12ihipStream_tbENKUlT_T0_E_clISt17integral_constantIbLb0EESY_IbLb1EEEEDaSU_SV_EUlSU_E_NS1_11comp_targetILNS1_3genE8ELNS1_11target_archE1030ELNS1_3gpuE2ELNS1_3repE0EEENS1_30default_config_static_selectorELNS0_4arch9wavefront6targetE1EEEvT1_, .Lfunc_end460-_ZN7rocprim17ROCPRIM_400000_NS6detail17trampoline_kernelINS0_14default_configENS1_27scan_by_key_config_selectorIxxEEZZNS1_16scan_by_key_implILNS1_25lookback_scan_determinismE0ELb1ES3_N6thrust23THRUST_200600_302600_NS6detail15normal_iteratorINS9_10device_ptrIxEEEESE_SE_xNS9_4plusIvEENS9_8equal_toIxEExEE10hipError_tPvRmT2_T3_T4_T5_mT6_T7_P12ihipStream_tbENKUlT_T0_E_clISt17integral_constantIbLb0EESY_IbLb1EEEEDaSU_SV_EUlSU_E_NS1_11comp_targetILNS1_3genE8ELNS1_11target_archE1030ELNS1_3gpuE2ELNS1_3repE0EEENS1_30default_config_static_selectorELNS0_4arch9wavefront6targetE1EEEvT1_
                                        ; -- End function
	.section	.AMDGPU.csdata,"",@progbits
; Kernel info:
; codeLenInByte = 0
; NumSgprs: 6
; NumVgprs: 0
; NumAgprs: 0
; TotalNumVgprs: 0
; ScratchSize: 0
; MemoryBound: 0
; FloatMode: 240
; IeeeMode: 1
; LDSByteSize: 0 bytes/workgroup (compile time only)
; SGPRBlocks: 0
; VGPRBlocks: 0
; NumSGPRsForWavesPerEU: 6
; NumVGPRsForWavesPerEU: 1
; AccumOffset: 4
; Occupancy: 8
; WaveLimiterHint : 0
; COMPUTE_PGM_RSRC2:SCRATCH_EN: 0
; COMPUTE_PGM_RSRC2:USER_SGPR: 2
; COMPUTE_PGM_RSRC2:TRAP_HANDLER: 0
; COMPUTE_PGM_RSRC2:TGID_X_EN: 1
; COMPUTE_PGM_RSRC2:TGID_Y_EN: 0
; COMPUTE_PGM_RSRC2:TGID_Z_EN: 0
; COMPUTE_PGM_RSRC2:TIDIG_COMP_CNT: 0
; COMPUTE_PGM_RSRC3_GFX90A:ACCUM_OFFSET: 0
; COMPUTE_PGM_RSRC3_GFX90A:TG_SPLIT: 0
	.section	.text._ZN7rocprim17ROCPRIM_400000_NS6detail17trampoline_kernelINS0_14default_configENS1_27scan_by_key_config_selectorIiiEEZZNS1_16scan_by_key_implILNS1_25lookback_scan_determinismE0ELb1ES3_N6thrust23THRUST_200600_302600_NS6detail15normal_iteratorINS9_10device_ptrIiEEEESE_SE_iNS9_4plusIvEENS9_8equal_toIvEEiEE10hipError_tPvRmT2_T3_T4_T5_mT6_T7_P12ihipStream_tbENKUlT_T0_E_clISt17integral_constantIbLb0EESZ_EEDaSU_SV_EUlSU_E_NS1_11comp_targetILNS1_3genE0ELNS1_11target_archE4294967295ELNS1_3gpuE0ELNS1_3repE0EEENS1_30default_config_static_selectorELNS0_4arch9wavefront6targetE1EEEvT1_,"axG",@progbits,_ZN7rocprim17ROCPRIM_400000_NS6detail17trampoline_kernelINS0_14default_configENS1_27scan_by_key_config_selectorIiiEEZZNS1_16scan_by_key_implILNS1_25lookback_scan_determinismE0ELb1ES3_N6thrust23THRUST_200600_302600_NS6detail15normal_iteratorINS9_10device_ptrIiEEEESE_SE_iNS9_4plusIvEENS9_8equal_toIvEEiEE10hipError_tPvRmT2_T3_T4_T5_mT6_T7_P12ihipStream_tbENKUlT_T0_E_clISt17integral_constantIbLb0EESZ_EEDaSU_SV_EUlSU_E_NS1_11comp_targetILNS1_3genE0ELNS1_11target_archE4294967295ELNS1_3gpuE0ELNS1_3repE0EEENS1_30default_config_static_selectorELNS0_4arch9wavefront6targetE1EEEvT1_,comdat
	.protected	_ZN7rocprim17ROCPRIM_400000_NS6detail17trampoline_kernelINS0_14default_configENS1_27scan_by_key_config_selectorIiiEEZZNS1_16scan_by_key_implILNS1_25lookback_scan_determinismE0ELb1ES3_N6thrust23THRUST_200600_302600_NS6detail15normal_iteratorINS9_10device_ptrIiEEEESE_SE_iNS9_4plusIvEENS9_8equal_toIvEEiEE10hipError_tPvRmT2_T3_T4_T5_mT6_T7_P12ihipStream_tbENKUlT_T0_E_clISt17integral_constantIbLb0EESZ_EEDaSU_SV_EUlSU_E_NS1_11comp_targetILNS1_3genE0ELNS1_11target_archE4294967295ELNS1_3gpuE0ELNS1_3repE0EEENS1_30default_config_static_selectorELNS0_4arch9wavefront6targetE1EEEvT1_ ; -- Begin function _ZN7rocprim17ROCPRIM_400000_NS6detail17trampoline_kernelINS0_14default_configENS1_27scan_by_key_config_selectorIiiEEZZNS1_16scan_by_key_implILNS1_25lookback_scan_determinismE0ELb1ES3_N6thrust23THRUST_200600_302600_NS6detail15normal_iteratorINS9_10device_ptrIiEEEESE_SE_iNS9_4plusIvEENS9_8equal_toIvEEiEE10hipError_tPvRmT2_T3_T4_T5_mT6_T7_P12ihipStream_tbENKUlT_T0_E_clISt17integral_constantIbLb0EESZ_EEDaSU_SV_EUlSU_E_NS1_11comp_targetILNS1_3genE0ELNS1_11target_archE4294967295ELNS1_3gpuE0ELNS1_3repE0EEENS1_30default_config_static_selectorELNS0_4arch9wavefront6targetE1EEEvT1_
	.globl	_ZN7rocprim17ROCPRIM_400000_NS6detail17trampoline_kernelINS0_14default_configENS1_27scan_by_key_config_selectorIiiEEZZNS1_16scan_by_key_implILNS1_25lookback_scan_determinismE0ELb1ES3_N6thrust23THRUST_200600_302600_NS6detail15normal_iteratorINS9_10device_ptrIiEEEESE_SE_iNS9_4plusIvEENS9_8equal_toIvEEiEE10hipError_tPvRmT2_T3_T4_T5_mT6_T7_P12ihipStream_tbENKUlT_T0_E_clISt17integral_constantIbLb0EESZ_EEDaSU_SV_EUlSU_E_NS1_11comp_targetILNS1_3genE0ELNS1_11target_archE4294967295ELNS1_3gpuE0ELNS1_3repE0EEENS1_30default_config_static_selectorELNS0_4arch9wavefront6targetE1EEEvT1_
	.p2align	8
	.type	_ZN7rocprim17ROCPRIM_400000_NS6detail17trampoline_kernelINS0_14default_configENS1_27scan_by_key_config_selectorIiiEEZZNS1_16scan_by_key_implILNS1_25lookback_scan_determinismE0ELb1ES3_N6thrust23THRUST_200600_302600_NS6detail15normal_iteratorINS9_10device_ptrIiEEEESE_SE_iNS9_4plusIvEENS9_8equal_toIvEEiEE10hipError_tPvRmT2_T3_T4_T5_mT6_T7_P12ihipStream_tbENKUlT_T0_E_clISt17integral_constantIbLb0EESZ_EEDaSU_SV_EUlSU_E_NS1_11comp_targetILNS1_3genE0ELNS1_11target_archE4294967295ELNS1_3gpuE0ELNS1_3repE0EEENS1_30default_config_static_selectorELNS0_4arch9wavefront6targetE1EEEvT1_,@function
_ZN7rocprim17ROCPRIM_400000_NS6detail17trampoline_kernelINS0_14default_configENS1_27scan_by_key_config_selectorIiiEEZZNS1_16scan_by_key_implILNS1_25lookback_scan_determinismE0ELb1ES3_N6thrust23THRUST_200600_302600_NS6detail15normal_iteratorINS9_10device_ptrIiEEEESE_SE_iNS9_4plusIvEENS9_8equal_toIvEEiEE10hipError_tPvRmT2_T3_T4_T5_mT6_T7_P12ihipStream_tbENKUlT_T0_E_clISt17integral_constantIbLb0EESZ_EEDaSU_SV_EUlSU_E_NS1_11comp_targetILNS1_3genE0ELNS1_11target_archE4294967295ELNS1_3gpuE0ELNS1_3repE0EEENS1_30default_config_static_selectorELNS0_4arch9wavefront6targetE1EEEvT1_: ; @_ZN7rocprim17ROCPRIM_400000_NS6detail17trampoline_kernelINS0_14default_configENS1_27scan_by_key_config_selectorIiiEEZZNS1_16scan_by_key_implILNS1_25lookback_scan_determinismE0ELb1ES3_N6thrust23THRUST_200600_302600_NS6detail15normal_iteratorINS9_10device_ptrIiEEEESE_SE_iNS9_4plusIvEENS9_8equal_toIvEEiEE10hipError_tPvRmT2_T3_T4_T5_mT6_T7_P12ihipStream_tbENKUlT_T0_E_clISt17integral_constantIbLb0EESZ_EEDaSU_SV_EUlSU_E_NS1_11comp_targetILNS1_3genE0ELNS1_11target_archE4294967295ELNS1_3gpuE0ELNS1_3repE0EEENS1_30default_config_static_selectorELNS0_4arch9wavefront6targetE1EEEvT1_
; %bb.0:
	.section	.rodata,"a",@progbits
	.p2align	6, 0x0
	.amdhsa_kernel _ZN7rocprim17ROCPRIM_400000_NS6detail17trampoline_kernelINS0_14default_configENS1_27scan_by_key_config_selectorIiiEEZZNS1_16scan_by_key_implILNS1_25lookback_scan_determinismE0ELb1ES3_N6thrust23THRUST_200600_302600_NS6detail15normal_iteratorINS9_10device_ptrIiEEEESE_SE_iNS9_4plusIvEENS9_8equal_toIvEEiEE10hipError_tPvRmT2_T3_T4_T5_mT6_T7_P12ihipStream_tbENKUlT_T0_E_clISt17integral_constantIbLb0EESZ_EEDaSU_SV_EUlSU_E_NS1_11comp_targetILNS1_3genE0ELNS1_11target_archE4294967295ELNS1_3gpuE0ELNS1_3repE0EEENS1_30default_config_static_selectorELNS0_4arch9wavefront6targetE1EEEvT1_
		.amdhsa_group_segment_fixed_size 0
		.amdhsa_private_segment_fixed_size 0
		.amdhsa_kernarg_size 112
		.amdhsa_user_sgpr_count 2
		.amdhsa_user_sgpr_dispatch_ptr 0
		.amdhsa_user_sgpr_queue_ptr 0
		.amdhsa_user_sgpr_kernarg_segment_ptr 1
		.amdhsa_user_sgpr_dispatch_id 0
		.amdhsa_user_sgpr_kernarg_preload_length 0
		.amdhsa_user_sgpr_kernarg_preload_offset 0
		.amdhsa_user_sgpr_private_segment_size 0
		.amdhsa_uses_dynamic_stack 0
		.amdhsa_enable_private_segment 0
		.amdhsa_system_sgpr_workgroup_id_x 1
		.amdhsa_system_sgpr_workgroup_id_y 0
		.amdhsa_system_sgpr_workgroup_id_z 0
		.amdhsa_system_sgpr_workgroup_info 0
		.amdhsa_system_vgpr_workitem_id 0
		.amdhsa_next_free_vgpr 1
		.amdhsa_next_free_sgpr 0
		.amdhsa_accum_offset 4
		.amdhsa_reserve_vcc 0
		.amdhsa_float_round_mode_32 0
		.amdhsa_float_round_mode_16_64 0
		.amdhsa_float_denorm_mode_32 3
		.amdhsa_float_denorm_mode_16_64 3
		.amdhsa_dx10_clamp 1
		.amdhsa_ieee_mode 1
		.amdhsa_fp16_overflow 0
		.amdhsa_tg_split 0
		.amdhsa_exception_fp_ieee_invalid_op 0
		.amdhsa_exception_fp_denorm_src 0
		.amdhsa_exception_fp_ieee_div_zero 0
		.amdhsa_exception_fp_ieee_overflow 0
		.amdhsa_exception_fp_ieee_underflow 0
		.amdhsa_exception_fp_ieee_inexact 0
		.amdhsa_exception_int_div_zero 0
	.end_amdhsa_kernel
	.section	.text._ZN7rocprim17ROCPRIM_400000_NS6detail17trampoline_kernelINS0_14default_configENS1_27scan_by_key_config_selectorIiiEEZZNS1_16scan_by_key_implILNS1_25lookback_scan_determinismE0ELb1ES3_N6thrust23THRUST_200600_302600_NS6detail15normal_iteratorINS9_10device_ptrIiEEEESE_SE_iNS9_4plusIvEENS9_8equal_toIvEEiEE10hipError_tPvRmT2_T3_T4_T5_mT6_T7_P12ihipStream_tbENKUlT_T0_E_clISt17integral_constantIbLb0EESZ_EEDaSU_SV_EUlSU_E_NS1_11comp_targetILNS1_3genE0ELNS1_11target_archE4294967295ELNS1_3gpuE0ELNS1_3repE0EEENS1_30default_config_static_selectorELNS0_4arch9wavefront6targetE1EEEvT1_,"axG",@progbits,_ZN7rocprim17ROCPRIM_400000_NS6detail17trampoline_kernelINS0_14default_configENS1_27scan_by_key_config_selectorIiiEEZZNS1_16scan_by_key_implILNS1_25lookback_scan_determinismE0ELb1ES3_N6thrust23THRUST_200600_302600_NS6detail15normal_iteratorINS9_10device_ptrIiEEEESE_SE_iNS9_4plusIvEENS9_8equal_toIvEEiEE10hipError_tPvRmT2_T3_T4_T5_mT6_T7_P12ihipStream_tbENKUlT_T0_E_clISt17integral_constantIbLb0EESZ_EEDaSU_SV_EUlSU_E_NS1_11comp_targetILNS1_3genE0ELNS1_11target_archE4294967295ELNS1_3gpuE0ELNS1_3repE0EEENS1_30default_config_static_selectorELNS0_4arch9wavefront6targetE1EEEvT1_,comdat
.Lfunc_end461:
	.size	_ZN7rocprim17ROCPRIM_400000_NS6detail17trampoline_kernelINS0_14default_configENS1_27scan_by_key_config_selectorIiiEEZZNS1_16scan_by_key_implILNS1_25lookback_scan_determinismE0ELb1ES3_N6thrust23THRUST_200600_302600_NS6detail15normal_iteratorINS9_10device_ptrIiEEEESE_SE_iNS9_4plusIvEENS9_8equal_toIvEEiEE10hipError_tPvRmT2_T3_T4_T5_mT6_T7_P12ihipStream_tbENKUlT_T0_E_clISt17integral_constantIbLb0EESZ_EEDaSU_SV_EUlSU_E_NS1_11comp_targetILNS1_3genE0ELNS1_11target_archE4294967295ELNS1_3gpuE0ELNS1_3repE0EEENS1_30default_config_static_selectorELNS0_4arch9wavefront6targetE1EEEvT1_, .Lfunc_end461-_ZN7rocprim17ROCPRIM_400000_NS6detail17trampoline_kernelINS0_14default_configENS1_27scan_by_key_config_selectorIiiEEZZNS1_16scan_by_key_implILNS1_25lookback_scan_determinismE0ELb1ES3_N6thrust23THRUST_200600_302600_NS6detail15normal_iteratorINS9_10device_ptrIiEEEESE_SE_iNS9_4plusIvEENS9_8equal_toIvEEiEE10hipError_tPvRmT2_T3_T4_T5_mT6_T7_P12ihipStream_tbENKUlT_T0_E_clISt17integral_constantIbLb0EESZ_EEDaSU_SV_EUlSU_E_NS1_11comp_targetILNS1_3genE0ELNS1_11target_archE4294967295ELNS1_3gpuE0ELNS1_3repE0EEENS1_30default_config_static_selectorELNS0_4arch9wavefront6targetE1EEEvT1_
                                        ; -- End function
	.section	.AMDGPU.csdata,"",@progbits
; Kernel info:
; codeLenInByte = 0
; NumSgprs: 6
; NumVgprs: 0
; NumAgprs: 0
; TotalNumVgprs: 0
; ScratchSize: 0
; MemoryBound: 0
; FloatMode: 240
; IeeeMode: 1
; LDSByteSize: 0 bytes/workgroup (compile time only)
; SGPRBlocks: 0
; VGPRBlocks: 0
; NumSGPRsForWavesPerEU: 6
; NumVGPRsForWavesPerEU: 1
; AccumOffset: 4
; Occupancy: 8
; WaveLimiterHint : 0
; COMPUTE_PGM_RSRC2:SCRATCH_EN: 0
; COMPUTE_PGM_RSRC2:USER_SGPR: 2
; COMPUTE_PGM_RSRC2:TRAP_HANDLER: 0
; COMPUTE_PGM_RSRC2:TGID_X_EN: 1
; COMPUTE_PGM_RSRC2:TGID_Y_EN: 0
; COMPUTE_PGM_RSRC2:TGID_Z_EN: 0
; COMPUTE_PGM_RSRC2:TIDIG_COMP_CNT: 0
; COMPUTE_PGM_RSRC3_GFX90A:ACCUM_OFFSET: 0
; COMPUTE_PGM_RSRC3_GFX90A:TG_SPLIT: 0
	.section	.text._ZN7rocprim17ROCPRIM_400000_NS6detail17trampoline_kernelINS0_14default_configENS1_27scan_by_key_config_selectorIiiEEZZNS1_16scan_by_key_implILNS1_25lookback_scan_determinismE0ELb1ES3_N6thrust23THRUST_200600_302600_NS6detail15normal_iteratorINS9_10device_ptrIiEEEESE_SE_iNS9_4plusIvEENS9_8equal_toIvEEiEE10hipError_tPvRmT2_T3_T4_T5_mT6_T7_P12ihipStream_tbENKUlT_T0_E_clISt17integral_constantIbLb0EESZ_EEDaSU_SV_EUlSU_E_NS1_11comp_targetILNS1_3genE10ELNS1_11target_archE1201ELNS1_3gpuE5ELNS1_3repE0EEENS1_30default_config_static_selectorELNS0_4arch9wavefront6targetE1EEEvT1_,"axG",@progbits,_ZN7rocprim17ROCPRIM_400000_NS6detail17trampoline_kernelINS0_14default_configENS1_27scan_by_key_config_selectorIiiEEZZNS1_16scan_by_key_implILNS1_25lookback_scan_determinismE0ELb1ES3_N6thrust23THRUST_200600_302600_NS6detail15normal_iteratorINS9_10device_ptrIiEEEESE_SE_iNS9_4plusIvEENS9_8equal_toIvEEiEE10hipError_tPvRmT2_T3_T4_T5_mT6_T7_P12ihipStream_tbENKUlT_T0_E_clISt17integral_constantIbLb0EESZ_EEDaSU_SV_EUlSU_E_NS1_11comp_targetILNS1_3genE10ELNS1_11target_archE1201ELNS1_3gpuE5ELNS1_3repE0EEENS1_30default_config_static_selectorELNS0_4arch9wavefront6targetE1EEEvT1_,comdat
	.protected	_ZN7rocprim17ROCPRIM_400000_NS6detail17trampoline_kernelINS0_14default_configENS1_27scan_by_key_config_selectorIiiEEZZNS1_16scan_by_key_implILNS1_25lookback_scan_determinismE0ELb1ES3_N6thrust23THRUST_200600_302600_NS6detail15normal_iteratorINS9_10device_ptrIiEEEESE_SE_iNS9_4plusIvEENS9_8equal_toIvEEiEE10hipError_tPvRmT2_T3_T4_T5_mT6_T7_P12ihipStream_tbENKUlT_T0_E_clISt17integral_constantIbLb0EESZ_EEDaSU_SV_EUlSU_E_NS1_11comp_targetILNS1_3genE10ELNS1_11target_archE1201ELNS1_3gpuE5ELNS1_3repE0EEENS1_30default_config_static_selectorELNS0_4arch9wavefront6targetE1EEEvT1_ ; -- Begin function _ZN7rocprim17ROCPRIM_400000_NS6detail17trampoline_kernelINS0_14default_configENS1_27scan_by_key_config_selectorIiiEEZZNS1_16scan_by_key_implILNS1_25lookback_scan_determinismE0ELb1ES3_N6thrust23THRUST_200600_302600_NS6detail15normal_iteratorINS9_10device_ptrIiEEEESE_SE_iNS9_4plusIvEENS9_8equal_toIvEEiEE10hipError_tPvRmT2_T3_T4_T5_mT6_T7_P12ihipStream_tbENKUlT_T0_E_clISt17integral_constantIbLb0EESZ_EEDaSU_SV_EUlSU_E_NS1_11comp_targetILNS1_3genE10ELNS1_11target_archE1201ELNS1_3gpuE5ELNS1_3repE0EEENS1_30default_config_static_selectorELNS0_4arch9wavefront6targetE1EEEvT1_
	.globl	_ZN7rocprim17ROCPRIM_400000_NS6detail17trampoline_kernelINS0_14default_configENS1_27scan_by_key_config_selectorIiiEEZZNS1_16scan_by_key_implILNS1_25lookback_scan_determinismE0ELb1ES3_N6thrust23THRUST_200600_302600_NS6detail15normal_iteratorINS9_10device_ptrIiEEEESE_SE_iNS9_4plusIvEENS9_8equal_toIvEEiEE10hipError_tPvRmT2_T3_T4_T5_mT6_T7_P12ihipStream_tbENKUlT_T0_E_clISt17integral_constantIbLb0EESZ_EEDaSU_SV_EUlSU_E_NS1_11comp_targetILNS1_3genE10ELNS1_11target_archE1201ELNS1_3gpuE5ELNS1_3repE0EEENS1_30default_config_static_selectorELNS0_4arch9wavefront6targetE1EEEvT1_
	.p2align	8
	.type	_ZN7rocprim17ROCPRIM_400000_NS6detail17trampoline_kernelINS0_14default_configENS1_27scan_by_key_config_selectorIiiEEZZNS1_16scan_by_key_implILNS1_25lookback_scan_determinismE0ELb1ES3_N6thrust23THRUST_200600_302600_NS6detail15normal_iteratorINS9_10device_ptrIiEEEESE_SE_iNS9_4plusIvEENS9_8equal_toIvEEiEE10hipError_tPvRmT2_T3_T4_T5_mT6_T7_P12ihipStream_tbENKUlT_T0_E_clISt17integral_constantIbLb0EESZ_EEDaSU_SV_EUlSU_E_NS1_11comp_targetILNS1_3genE10ELNS1_11target_archE1201ELNS1_3gpuE5ELNS1_3repE0EEENS1_30default_config_static_selectorELNS0_4arch9wavefront6targetE1EEEvT1_,@function
_ZN7rocprim17ROCPRIM_400000_NS6detail17trampoline_kernelINS0_14default_configENS1_27scan_by_key_config_selectorIiiEEZZNS1_16scan_by_key_implILNS1_25lookback_scan_determinismE0ELb1ES3_N6thrust23THRUST_200600_302600_NS6detail15normal_iteratorINS9_10device_ptrIiEEEESE_SE_iNS9_4plusIvEENS9_8equal_toIvEEiEE10hipError_tPvRmT2_T3_T4_T5_mT6_T7_P12ihipStream_tbENKUlT_T0_E_clISt17integral_constantIbLb0EESZ_EEDaSU_SV_EUlSU_E_NS1_11comp_targetILNS1_3genE10ELNS1_11target_archE1201ELNS1_3gpuE5ELNS1_3repE0EEENS1_30default_config_static_selectorELNS0_4arch9wavefront6targetE1EEEvT1_: ; @_ZN7rocprim17ROCPRIM_400000_NS6detail17trampoline_kernelINS0_14default_configENS1_27scan_by_key_config_selectorIiiEEZZNS1_16scan_by_key_implILNS1_25lookback_scan_determinismE0ELb1ES3_N6thrust23THRUST_200600_302600_NS6detail15normal_iteratorINS9_10device_ptrIiEEEESE_SE_iNS9_4plusIvEENS9_8equal_toIvEEiEE10hipError_tPvRmT2_T3_T4_T5_mT6_T7_P12ihipStream_tbENKUlT_T0_E_clISt17integral_constantIbLb0EESZ_EEDaSU_SV_EUlSU_E_NS1_11comp_targetILNS1_3genE10ELNS1_11target_archE1201ELNS1_3gpuE5ELNS1_3repE0EEENS1_30default_config_static_selectorELNS0_4arch9wavefront6targetE1EEEvT1_
; %bb.0:
	.section	.rodata,"a",@progbits
	.p2align	6, 0x0
	.amdhsa_kernel _ZN7rocprim17ROCPRIM_400000_NS6detail17trampoline_kernelINS0_14default_configENS1_27scan_by_key_config_selectorIiiEEZZNS1_16scan_by_key_implILNS1_25lookback_scan_determinismE0ELb1ES3_N6thrust23THRUST_200600_302600_NS6detail15normal_iteratorINS9_10device_ptrIiEEEESE_SE_iNS9_4plusIvEENS9_8equal_toIvEEiEE10hipError_tPvRmT2_T3_T4_T5_mT6_T7_P12ihipStream_tbENKUlT_T0_E_clISt17integral_constantIbLb0EESZ_EEDaSU_SV_EUlSU_E_NS1_11comp_targetILNS1_3genE10ELNS1_11target_archE1201ELNS1_3gpuE5ELNS1_3repE0EEENS1_30default_config_static_selectorELNS0_4arch9wavefront6targetE1EEEvT1_
		.amdhsa_group_segment_fixed_size 0
		.amdhsa_private_segment_fixed_size 0
		.amdhsa_kernarg_size 112
		.amdhsa_user_sgpr_count 2
		.amdhsa_user_sgpr_dispatch_ptr 0
		.amdhsa_user_sgpr_queue_ptr 0
		.amdhsa_user_sgpr_kernarg_segment_ptr 1
		.amdhsa_user_sgpr_dispatch_id 0
		.amdhsa_user_sgpr_kernarg_preload_length 0
		.amdhsa_user_sgpr_kernarg_preload_offset 0
		.amdhsa_user_sgpr_private_segment_size 0
		.amdhsa_uses_dynamic_stack 0
		.amdhsa_enable_private_segment 0
		.amdhsa_system_sgpr_workgroup_id_x 1
		.amdhsa_system_sgpr_workgroup_id_y 0
		.amdhsa_system_sgpr_workgroup_id_z 0
		.amdhsa_system_sgpr_workgroup_info 0
		.amdhsa_system_vgpr_workitem_id 0
		.amdhsa_next_free_vgpr 1
		.amdhsa_next_free_sgpr 0
		.amdhsa_accum_offset 4
		.amdhsa_reserve_vcc 0
		.amdhsa_float_round_mode_32 0
		.amdhsa_float_round_mode_16_64 0
		.amdhsa_float_denorm_mode_32 3
		.amdhsa_float_denorm_mode_16_64 3
		.amdhsa_dx10_clamp 1
		.amdhsa_ieee_mode 1
		.amdhsa_fp16_overflow 0
		.amdhsa_tg_split 0
		.amdhsa_exception_fp_ieee_invalid_op 0
		.amdhsa_exception_fp_denorm_src 0
		.amdhsa_exception_fp_ieee_div_zero 0
		.amdhsa_exception_fp_ieee_overflow 0
		.amdhsa_exception_fp_ieee_underflow 0
		.amdhsa_exception_fp_ieee_inexact 0
		.amdhsa_exception_int_div_zero 0
	.end_amdhsa_kernel
	.section	.text._ZN7rocprim17ROCPRIM_400000_NS6detail17trampoline_kernelINS0_14default_configENS1_27scan_by_key_config_selectorIiiEEZZNS1_16scan_by_key_implILNS1_25lookback_scan_determinismE0ELb1ES3_N6thrust23THRUST_200600_302600_NS6detail15normal_iteratorINS9_10device_ptrIiEEEESE_SE_iNS9_4plusIvEENS9_8equal_toIvEEiEE10hipError_tPvRmT2_T3_T4_T5_mT6_T7_P12ihipStream_tbENKUlT_T0_E_clISt17integral_constantIbLb0EESZ_EEDaSU_SV_EUlSU_E_NS1_11comp_targetILNS1_3genE10ELNS1_11target_archE1201ELNS1_3gpuE5ELNS1_3repE0EEENS1_30default_config_static_selectorELNS0_4arch9wavefront6targetE1EEEvT1_,"axG",@progbits,_ZN7rocprim17ROCPRIM_400000_NS6detail17trampoline_kernelINS0_14default_configENS1_27scan_by_key_config_selectorIiiEEZZNS1_16scan_by_key_implILNS1_25lookback_scan_determinismE0ELb1ES3_N6thrust23THRUST_200600_302600_NS6detail15normal_iteratorINS9_10device_ptrIiEEEESE_SE_iNS9_4plusIvEENS9_8equal_toIvEEiEE10hipError_tPvRmT2_T3_T4_T5_mT6_T7_P12ihipStream_tbENKUlT_T0_E_clISt17integral_constantIbLb0EESZ_EEDaSU_SV_EUlSU_E_NS1_11comp_targetILNS1_3genE10ELNS1_11target_archE1201ELNS1_3gpuE5ELNS1_3repE0EEENS1_30default_config_static_selectorELNS0_4arch9wavefront6targetE1EEEvT1_,comdat
.Lfunc_end462:
	.size	_ZN7rocprim17ROCPRIM_400000_NS6detail17trampoline_kernelINS0_14default_configENS1_27scan_by_key_config_selectorIiiEEZZNS1_16scan_by_key_implILNS1_25lookback_scan_determinismE0ELb1ES3_N6thrust23THRUST_200600_302600_NS6detail15normal_iteratorINS9_10device_ptrIiEEEESE_SE_iNS9_4plusIvEENS9_8equal_toIvEEiEE10hipError_tPvRmT2_T3_T4_T5_mT6_T7_P12ihipStream_tbENKUlT_T0_E_clISt17integral_constantIbLb0EESZ_EEDaSU_SV_EUlSU_E_NS1_11comp_targetILNS1_3genE10ELNS1_11target_archE1201ELNS1_3gpuE5ELNS1_3repE0EEENS1_30default_config_static_selectorELNS0_4arch9wavefront6targetE1EEEvT1_, .Lfunc_end462-_ZN7rocprim17ROCPRIM_400000_NS6detail17trampoline_kernelINS0_14default_configENS1_27scan_by_key_config_selectorIiiEEZZNS1_16scan_by_key_implILNS1_25lookback_scan_determinismE0ELb1ES3_N6thrust23THRUST_200600_302600_NS6detail15normal_iteratorINS9_10device_ptrIiEEEESE_SE_iNS9_4plusIvEENS9_8equal_toIvEEiEE10hipError_tPvRmT2_T3_T4_T5_mT6_T7_P12ihipStream_tbENKUlT_T0_E_clISt17integral_constantIbLb0EESZ_EEDaSU_SV_EUlSU_E_NS1_11comp_targetILNS1_3genE10ELNS1_11target_archE1201ELNS1_3gpuE5ELNS1_3repE0EEENS1_30default_config_static_selectorELNS0_4arch9wavefront6targetE1EEEvT1_
                                        ; -- End function
	.section	.AMDGPU.csdata,"",@progbits
; Kernel info:
; codeLenInByte = 0
; NumSgprs: 6
; NumVgprs: 0
; NumAgprs: 0
; TotalNumVgprs: 0
; ScratchSize: 0
; MemoryBound: 0
; FloatMode: 240
; IeeeMode: 1
; LDSByteSize: 0 bytes/workgroup (compile time only)
; SGPRBlocks: 0
; VGPRBlocks: 0
; NumSGPRsForWavesPerEU: 6
; NumVGPRsForWavesPerEU: 1
; AccumOffset: 4
; Occupancy: 8
; WaveLimiterHint : 0
; COMPUTE_PGM_RSRC2:SCRATCH_EN: 0
; COMPUTE_PGM_RSRC2:USER_SGPR: 2
; COMPUTE_PGM_RSRC2:TRAP_HANDLER: 0
; COMPUTE_PGM_RSRC2:TGID_X_EN: 1
; COMPUTE_PGM_RSRC2:TGID_Y_EN: 0
; COMPUTE_PGM_RSRC2:TGID_Z_EN: 0
; COMPUTE_PGM_RSRC2:TIDIG_COMP_CNT: 0
; COMPUTE_PGM_RSRC3_GFX90A:ACCUM_OFFSET: 0
; COMPUTE_PGM_RSRC3_GFX90A:TG_SPLIT: 0
	.section	.text._ZN7rocprim17ROCPRIM_400000_NS6detail17trampoline_kernelINS0_14default_configENS1_27scan_by_key_config_selectorIiiEEZZNS1_16scan_by_key_implILNS1_25lookback_scan_determinismE0ELb1ES3_N6thrust23THRUST_200600_302600_NS6detail15normal_iteratorINS9_10device_ptrIiEEEESE_SE_iNS9_4plusIvEENS9_8equal_toIvEEiEE10hipError_tPvRmT2_T3_T4_T5_mT6_T7_P12ihipStream_tbENKUlT_T0_E_clISt17integral_constantIbLb0EESZ_EEDaSU_SV_EUlSU_E_NS1_11comp_targetILNS1_3genE5ELNS1_11target_archE942ELNS1_3gpuE9ELNS1_3repE0EEENS1_30default_config_static_selectorELNS0_4arch9wavefront6targetE1EEEvT1_,"axG",@progbits,_ZN7rocprim17ROCPRIM_400000_NS6detail17trampoline_kernelINS0_14default_configENS1_27scan_by_key_config_selectorIiiEEZZNS1_16scan_by_key_implILNS1_25lookback_scan_determinismE0ELb1ES3_N6thrust23THRUST_200600_302600_NS6detail15normal_iteratorINS9_10device_ptrIiEEEESE_SE_iNS9_4plusIvEENS9_8equal_toIvEEiEE10hipError_tPvRmT2_T3_T4_T5_mT6_T7_P12ihipStream_tbENKUlT_T0_E_clISt17integral_constantIbLb0EESZ_EEDaSU_SV_EUlSU_E_NS1_11comp_targetILNS1_3genE5ELNS1_11target_archE942ELNS1_3gpuE9ELNS1_3repE0EEENS1_30default_config_static_selectorELNS0_4arch9wavefront6targetE1EEEvT1_,comdat
	.protected	_ZN7rocprim17ROCPRIM_400000_NS6detail17trampoline_kernelINS0_14default_configENS1_27scan_by_key_config_selectorIiiEEZZNS1_16scan_by_key_implILNS1_25lookback_scan_determinismE0ELb1ES3_N6thrust23THRUST_200600_302600_NS6detail15normal_iteratorINS9_10device_ptrIiEEEESE_SE_iNS9_4plusIvEENS9_8equal_toIvEEiEE10hipError_tPvRmT2_T3_T4_T5_mT6_T7_P12ihipStream_tbENKUlT_T0_E_clISt17integral_constantIbLb0EESZ_EEDaSU_SV_EUlSU_E_NS1_11comp_targetILNS1_3genE5ELNS1_11target_archE942ELNS1_3gpuE9ELNS1_3repE0EEENS1_30default_config_static_selectorELNS0_4arch9wavefront6targetE1EEEvT1_ ; -- Begin function _ZN7rocprim17ROCPRIM_400000_NS6detail17trampoline_kernelINS0_14default_configENS1_27scan_by_key_config_selectorIiiEEZZNS1_16scan_by_key_implILNS1_25lookback_scan_determinismE0ELb1ES3_N6thrust23THRUST_200600_302600_NS6detail15normal_iteratorINS9_10device_ptrIiEEEESE_SE_iNS9_4plusIvEENS9_8equal_toIvEEiEE10hipError_tPvRmT2_T3_T4_T5_mT6_T7_P12ihipStream_tbENKUlT_T0_E_clISt17integral_constantIbLb0EESZ_EEDaSU_SV_EUlSU_E_NS1_11comp_targetILNS1_3genE5ELNS1_11target_archE942ELNS1_3gpuE9ELNS1_3repE0EEENS1_30default_config_static_selectorELNS0_4arch9wavefront6targetE1EEEvT1_
	.globl	_ZN7rocprim17ROCPRIM_400000_NS6detail17trampoline_kernelINS0_14default_configENS1_27scan_by_key_config_selectorIiiEEZZNS1_16scan_by_key_implILNS1_25lookback_scan_determinismE0ELb1ES3_N6thrust23THRUST_200600_302600_NS6detail15normal_iteratorINS9_10device_ptrIiEEEESE_SE_iNS9_4plusIvEENS9_8equal_toIvEEiEE10hipError_tPvRmT2_T3_T4_T5_mT6_T7_P12ihipStream_tbENKUlT_T0_E_clISt17integral_constantIbLb0EESZ_EEDaSU_SV_EUlSU_E_NS1_11comp_targetILNS1_3genE5ELNS1_11target_archE942ELNS1_3gpuE9ELNS1_3repE0EEENS1_30default_config_static_selectorELNS0_4arch9wavefront6targetE1EEEvT1_
	.p2align	8
	.type	_ZN7rocprim17ROCPRIM_400000_NS6detail17trampoline_kernelINS0_14default_configENS1_27scan_by_key_config_selectorIiiEEZZNS1_16scan_by_key_implILNS1_25lookback_scan_determinismE0ELb1ES3_N6thrust23THRUST_200600_302600_NS6detail15normal_iteratorINS9_10device_ptrIiEEEESE_SE_iNS9_4plusIvEENS9_8equal_toIvEEiEE10hipError_tPvRmT2_T3_T4_T5_mT6_T7_P12ihipStream_tbENKUlT_T0_E_clISt17integral_constantIbLb0EESZ_EEDaSU_SV_EUlSU_E_NS1_11comp_targetILNS1_3genE5ELNS1_11target_archE942ELNS1_3gpuE9ELNS1_3repE0EEENS1_30default_config_static_selectorELNS0_4arch9wavefront6targetE1EEEvT1_,@function
_ZN7rocprim17ROCPRIM_400000_NS6detail17trampoline_kernelINS0_14default_configENS1_27scan_by_key_config_selectorIiiEEZZNS1_16scan_by_key_implILNS1_25lookback_scan_determinismE0ELb1ES3_N6thrust23THRUST_200600_302600_NS6detail15normal_iteratorINS9_10device_ptrIiEEEESE_SE_iNS9_4plusIvEENS9_8equal_toIvEEiEE10hipError_tPvRmT2_T3_T4_T5_mT6_T7_P12ihipStream_tbENKUlT_T0_E_clISt17integral_constantIbLb0EESZ_EEDaSU_SV_EUlSU_E_NS1_11comp_targetILNS1_3genE5ELNS1_11target_archE942ELNS1_3gpuE9ELNS1_3repE0EEENS1_30default_config_static_selectorELNS0_4arch9wavefront6targetE1EEEvT1_: ; @_ZN7rocprim17ROCPRIM_400000_NS6detail17trampoline_kernelINS0_14default_configENS1_27scan_by_key_config_selectorIiiEEZZNS1_16scan_by_key_implILNS1_25lookback_scan_determinismE0ELb1ES3_N6thrust23THRUST_200600_302600_NS6detail15normal_iteratorINS9_10device_ptrIiEEEESE_SE_iNS9_4plusIvEENS9_8equal_toIvEEiEE10hipError_tPvRmT2_T3_T4_T5_mT6_T7_P12ihipStream_tbENKUlT_T0_E_clISt17integral_constantIbLb0EESZ_EEDaSU_SV_EUlSU_E_NS1_11comp_targetILNS1_3genE5ELNS1_11target_archE942ELNS1_3gpuE9ELNS1_3repE0EEENS1_30default_config_static_selectorELNS0_4arch9wavefront6targetE1EEEvT1_
; %bb.0:
	s_load_dwordx8 s[48:55], s[0:1], 0x0
	s_load_dword s76, s[0:1], 0x20
	s_load_dwordx4 s[56:59], s[0:1], 0x28
	s_load_dwordx2 s[68:69], s[0:1], 0x38
	s_load_dword s3, s[0:1], 0x40
	s_load_dwordx4 s[60:63], s[0:1], 0x48
	s_waitcnt lgkmcnt(0)
	s_lshl_b64 s[64:65], s[50:51], 2
	s_add_u32 s4, s48, s64
	s_addc_u32 s5, s49, s65
	s_add_u32 s6, s52, s64
	s_mul_i32 s0, s69, s3
	s_mul_hi_u32 s1, s68, s3
	s_addc_u32 s7, s53, s65
	s_add_i32 s8, s1, s0
	s_mul_i32 s0, s2, 0x1700
	s_mov_b32 s1, 0
	s_lshl_b64 s[66:67], s[0:1], 2
	s_add_u32 s70, s4, s66
	s_addc_u32 s71, s5, s67
	s_add_u32 s52, s6, s66
	s_mul_i32 s3, s68, s3
	s_addc_u32 s53, s7, s67
	s_add_u32 s0, s3, s2
	s_addc_u32 s1, s8, 0
	s_add_u32 s6, s60, -1
	s_addc_u32 s7, s61, -1
	v_mov_b64_e32 v[2:3], s[6:7]
	v_cmp_ge_u64_e64 s[0:1], s[0:1], v[2:3]
	s_mov_b64 s[4:5], -1
	s_and_b64 vcc, exec, s[0:1]
	s_mul_i32 s33, s6, 0xffffe900
	s_barrier
	s_cbranch_vccz .LBB463_71
; %bb.1:
	v_mov_b64_e32 v[2:3], s[70:71]
	flat_load_dword v1, v[2:3]
	s_add_i32 s3, s33, s58
	v_cmp_gt_u32_e32 vcc, s3, v0
	s_waitcnt vmcnt(0) lgkmcnt(0)
	v_mov_b32_e32 v4, v1
	s_and_saveexec_b64 s[4:5], vcc
	s_cbranch_execz .LBB463_3
; %bb.2:
	v_lshlrev_b32_e32 v2, 2, v0
	v_mov_b32_e32 v3, 0
	v_lshl_add_u64 v[2:3], s[70:71], 0, v[2:3]
	flat_load_dword v4, v[2:3]
.LBB463_3:
	s_or_b64 exec, exec, s[4:5]
	v_or_b32_e32 v2, 0x100, v0
	v_cmp_gt_u32_e64 s[48:49], s3, v2
	v_mov_b32_e32 v5, v1
	s_and_saveexec_b64 s[4:5], s[48:49]
	s_cbranch_execz .LBB463_5
; %bb.4:
	v_lshlrev_b32_e32 v2, 2, v0
	v_mov_b32_e32 v3, 0
	v_lshl_add_u64 v[2:3], s[70:71], 0, v[2:3]
	flat_load_dword v5, v[2:3] offset:1024
.LBB463_5:
	s_or_b64 exec, exec, s[4:5]
	v_or_b32_e32 v2, 0x200, v0
	v_cmp_gt_u32_e64 s[4:5], s3, v2
	v_mov_b32_e32 v6, v1
	s_and_saveexec_b64 s[6:7], s[4:5]
	s_cbranch_execz .LBB463_7
; %bb.6:
	v_lshlrev_b32_e32 v2, 2, v0
	v_mov_b32_e32 v3, 0
	v_lshl_add_u64 v[2:3], s[70:71], 0, v[2:3]
	flat_load_dword v6, v[2:3] offset:2048
.LBB463_7:
	;; [unrolled: 12-line block ×3, first 2 shown]
	s_or_b64 exec, exec, s[8:9]
	v_or_b32_e32 v2, 0x400, v0
	v_cmp_gt_u32_e64 s[8:9], s3, v2
	v_lshlrev_b32_e32 v2, 2, v2
	v_mov_b32_e32 v3, v1
	s_and_saveexec_b64 s[10:11], s[8:9]
	s_cbranch_execz .LBB463_11
; %bb.10:
	v_mov_b32_e32 v3, 0
	v_lshl_add_u64 v[8:9], s[70:71], 0, v[2:3]
	flat_load_dword v3, v[8:9]
.LBB463_11:
	s_or_b64 exec, exec, s[10:11]
	v_or_b32_e32 v8, 0x500, v0
	v_cmp_gt_u32_e64 s[10:11], s3, v8
	v_lshlrev_b32_e32 v10, 2, v8
	v_mov_b32_e32 v8, v1
	s_and_saveexec_b64 s[12:13], s[10:11]
	s_cbranch_execz .LBB463_13
; %bb.12:
	v_mov_b32_e32 v11, 0
	v_lshl_add_u64 v[8:9], s[70:71], 0, v[10:11]
	flat_load_dword v8, v[8:9]
.LBB463_13:
	;; [unrolled: 12-line block ×18, first 2 shown]
	s_or_b64 exec, exec, s[46:47]
	v_or_b32_e32 v41, 0x1600, v0
	v_cmp_gt_u32_e64 s[46:47], s3, v41
	v_lshlrev_b32_e32 v44, 2, v41
	s_and_saveexec_b64 s[50:51], s[46:47]
	s_cbranch_execz .LBB463_47
; %bb.46:
	v_mov_b32_e32 v45, 0
	v_lshl_add_u64 v[46:47], s[70:71], 0, v[44:45]
	flat_load_dword v1, v[46:47]
.LBB463_47:
	s_or_b64 exec, exec, s[50:51]
	v_lshlrev_b32_e32 v46, 2, v0
	s_waitcnt vmcnt(0) lgkmcnt(0)
	ds_write2st64_b32 v46, v4, v5 offset1:4
	ds_write2st64_b32 v46, v6, v7 offset0:8 offset1:12
	ds_write2st64_b32 v46, v3, v8 offset0:16 offset1:20
	;; [unrolled: 1-line block ×10, first 2 shown]
	ds_write_b32 v46, v1 offset:22528
	v_mov_b64_e32 v[4:5], s[70:71]
	s_waitcnt lgkmcnt(0)
	s_barrier
	flat_load_dword v1, v[4:5]
	s_movk_i32 s50, 0x58
	v_mad_u32_u24 v70, v0, s50, v46
	s_movk_i32 s50, 0xffa8
	v_mad_i32_i24 v3, v0, s50, v70
	s_movk_i32 s50, 0xff
	v_cmp_ne_u32_e64 s[50:51], s50, v0
	ds_read_b32 v72, v70
	ds_read2_b32 v[68:69], v70 offset0:1 offset1:2
	ds_read2_b32 v[66:67], v70 offset0:3 offset1:4
	;; [unrolled: 1-line block ×11, first 2 shown]
	s_waitcnt lgkmcnt(0)
	ds_write_b32 v3, v72 offset:24576
	s_waitcnt lgkmcnt(0)
	s_barrier
	s_and_saveexec_b64 s[60:61], s[50:51]
	s_cbranch_execz .LBB463_49
; %bb.48:
	s_waitcnt vmcnt(0)
	ds_read_b32 v1, v46 offset:24580
.LBB463_49:
	s_or_b64 exec, exec, s[60:61]
	v_mov_b32_e32 v47, 0
	s_waitcnt lgkmcnt(0)
	s_barrier
	s_waitcnt lgkmcnt(0)
                                        ; implicit-def: $vgpr48
	s_and_saveexec_b64 s[50:51], vcc
	s_cbranch_execz .LBB463_72
; %bb.50:
	v_lshl_add_u64 v[48:49], s[52:53], 0, v[46:47]
	flat_load_dword v48, v[48:49]
	s_or_b64 exec, exec, s[50:51]
                                        ; implicit-def: $vgpr49
	s_and_saveexec_b64 s[50:51], s[48:49]
	s_cbranch_execnz .LBB463_73
.LBB463_51:
	s_or_b64 exec, exec, s[50:51]
                                        ; implicit-def: $vgpr50
	s_and_saveexec_b64 s[48:49], s[4:5]
	s_cbranch_execz .LBB463_74
.LBB463_52:
	v_mov_b32_e32 v47, 0
	v_lshl_add_u64 v[50:51], s[52:53], 0, v[46:47]
	flat_load_dword v50, v[50:51] offset:2048
	s_or_b64 exec, exec, s[48:49]
                                        ; implicit-def: $vgpr47
	s_and_saveexec_b64 s[4:5], s[6:7]
	s_cbranch_execnz .LBB463_75
.LBB463_53:
	s_or_b64 exec, exec, s[4:5]
                                        ; implicit-def: $vgpr3
	s_and_saveexec_b64 s[4:5], s[8:9]
	s_cbranch_execz .LBB463_76
.LBB463_54:
	v_mov_b32_e32 v3, 0
	v_lshl_add_u64 v[2:3], s[52:53], 0, v[2:3]
	flat_load_dword v3, v[2:3]
	s_or_b64 exec, exec, s[4:5]
                                        ; implicit-def: $vgpr2
	s_and_saveexec_b64 s[4:5], s[10:11]
	s_cbranch_execnz .LBB463_77
.LBB463_55:
	s_or_b64 exec, exec, s[4:5]
                                        ; implicit-def: $vgpr10
	s_and_saveexec_b64 s[4:5], s[12:13]
	s_cbranch_execz .LBB463_78
.LBB463_56:
	v_mov_b32_e32 v13, 0
	v_lshl_add_u64 v[10:11], s[52:53], 0, v[12:13]
	flat_load_dword v10, v[10:11]
	s_or_b64 exec, exec, s[4:5]
                                        ; implicit-def: $vgpr11
	s_and_saveexec_b64 s[4:5], s[14:15]
	s_cbranch_execnz .LBB463_79
.LBB463_57:
	s_or_b64 exec, exec, s[4:5]
                                        ; implicit-def: $vgpr12
	s_and_saveexec_b64 s[4:5], s[16:17]
	s_cbranch_execz .LBB463_80
.LBB463_58:
	v_mov_b32_e32 v17, 0
	v_lshl_add_u64 v[12:13], s[52:53], 0, v[16:17]
	flat_load_dword v12, v[12:13]
	s_or_b64 exec, exec, s[4:5]
                                        ; implicit-def: $vgpr13
	s_and_saveexec_b64 s[4:5], s[18:19]
	s_cbranch_execnz .LBB463_81
.LBB463_59:
	s_or_b64 exec, exec, s[4:5]
                                        ; implicit-def: $vgpr14
	s_and_saveexec_b64 s[4:5], s[20:21]
	s_cbranch_execz .LBB463_82
.LBB463_60:
	v_mov_b32_e32 v21, 0
	v_lshl_add_u64 v[14:15], s[52:53], 0, v[20:21]
	flat_load_dword v14, v[14:15]
	s_or_b64 exec, exec, s[4:5]
                                        ; implicit-def: $vgpr15
	s_and_saveexec_b64 s[4:5], s[22:23]
	s_cbranch_execnz .LBB463_83
.LBB463_61:
	s_or_b64 exec, exec, s[4:5]
                                        ; implicit-def: $vgpr16
	s_and_saveexec_b64 s[4:5], s[24:25]
	s_cbranch_execz .LBB463_84
.LBB463_62:
	v_mov_b32_e32 v25, 0
	v_lshl_add_u64 v[16:17], s[52:53], 0, v[24:25]
	flat_load_dword v16, v[16:17]
	s_or_b64 exec, exec, s[4:5]
                                        ; implicit-def: $vgpr17
	s_and_saveexec_b64 s[4:5], s[26:27]
	s_cbranch_execnz .LBB463_85
.LBB463_63:
	s_or_b64 exec, exec, s[4:5]
                                        ; implicit-def: $vgpr18
	s_and_saveexec_b64 s[4:5], s[28:29]
	s_cbranch_execz .LBB463_86
.LBB463_64:
	v_mov_b32_e32 v29, 0
	v_lshl_add_u64 v[18:19], s[52:53], 0, v[28:29]
	flat_load_dword v18, v[18:19]
	s_or_b64 exec, exec, s[4:5]
                                        ; implicit-def: $vgpr19
	s_and_saveexec_b64 s[4:5], s[30:31]
	s_cbranch_execnz .LBB463_87
.LBB463_65:
	s_or_b64 exec, exec, s[4:5]
                                        ; implicit-def: $vgpr20
	s_and_saveexec_b64 s[4:5], s[34:35]
	s_cbranch_execz .LBB463_88
.LBB463_66:
	v_mov_b32_e32 v33, 0
	v_lshl_add_u64 v[20:21], s[52:53], 0, v[32:33]
	flat_load_dword v20, v[20:21]
	s_or_b64 exec, exec, s[4:5]
                                        ; implicit-def: $vgpr21
	s_and_saveexec_b64 s[4:5], s[36:37]
	s_cbranch_execnz .LBB463_89
.LBB463_67:
	s_or_b64 exec, exec, s[4:5]
                                        ; implicit-def: $vgpr22
	s_and_saveexec_b64 s[4:5], s[38:39]
	s_cbranch_execz .LBB463_90
.LBB463_68:
	v_mov_b32_e32 v37, 0
	v_lshl_add_u64 v[22:23], s[52:53], 0, v[36:37]
	flat_load_dword v22, v[22:23]
	s_or_b64 exec, exec, s[4:5]
                                        ; implicit-def: $vgpr23
	s_and_saveexec_b64 s[4:5], s[40:41]
	s_cbranch_execnz .LBB463_91
.LBB463_69:
	s_or_b64 exec, exec, s[4:5]
                                        ; implicit-def: $vgpr24
	s_and_saveexec_b64 s[4:5], s[42:43]
	s_cbranch_execz .LBB463_92
.LBB463_70:
	v_mov_b32_e32 v41, 0
	v_lshl_add_u64 v[24:25], s[52:53], 0, v[40:41]
	flat_load_dword v24, v[24:25]
	s_or_b64 exec, exec, s[4:5]
                                        ; implicit-def: $vgpr25
	s_and_saveexec_b64 s[4:5], s[44:45]
	s_cbranch_execz .LBB463_94
	s_branch .LBB463_93
.LBB463_71:
	s_mov_b64 s[10:11], 0
                                        ; implicit-def: $sgpr8_sgpr9
                                        ; implicit-def: $vgpr2
                                        ; implicit-def: $vgpr10_vgpr11
                                        ; implicit-def: $vgpr12_vgpr13
                                        ; implicit-def: $vgpr14_vgpr15
                                        ; implicit-def: $vgpr16_vgpr17
                                        ; implicit-def: $vgpr18_vgpr19
                                        ; implicit-def: $vgpr20_vgpr21
                                        ; implicit-def: $vgpr22_vgpr23
                                        ; implicit-def: $vgpr24_vgpr25
                                        ; implicit-def: $vgpr26_vgpr27
                                        ; implicit-def: $vgpr28_vgpr29
                                        ; implicit-def: $vgpr30_vgpr31
                                        ; implicit-def: $vgpr32_vgpr33
                                        ; implicit-def: $vgpr34_vgpr35
                                        ; implicit-def: $vgpr36_vgpr37
                                        ; implicit-def: $vgpr38_vgpr39
                                        ; implicit-def: $vgpr40_vgpr41
                                        ; implicit-def: $vgpr42_vgpr43
                                        ; implicit-def: $vgpr44_vgpr45
                                        ; implicit-def: $vgpr46_vgpr47
                                        ; implicit-def: $vgpr48_vgpr49
                                        ; implicit-def: $vgpr50_vgpr51
                                        ; implicit-def: $vgpr52_vgpr53
                                        ; implicit-def: $sgpr6_sgpr7
	s_and_b64 vcc, exec, s[4:5]
	v_lshlrev_b32_e32 v54, 2, v0
	s_cbranch_vccz .LBB463_148
	s_branch .LBB463_143
.LBB463_72:
	s_or_b64 exec, exec, s[50:51]
                                        ; implicit-def: $vgpr49
	s_and_saveexec_b64 s[50:51], s[48:49]
	s_cbranch_execz .LBB463_51
.LBB463_73:
	v_mov_b32_e32 v47, 0
	v_lshl_add_u64 v[50:51], s[52:53], 0, v[46:47]
	flat_load_dword v49, v[50:51] offset:1024
	s_or_b64 exec, exec, s[50:51]
                                        ; implicit-def: $vgpr50
	s_and_saveexec_b64 s[48:49], s[4:5]
	s_cbranch_execnz .LBB463_52
.LBB463_74:
	s_or_b64 exec, exec, s[48:49]
                                        ; implicit-def: $vgpr47
	s_and_saveexec_b64 s[4:5], s[6:7]
	s_cbranch_execz .LBB463_53
.LBB463_75:
	v_mov_b32_e32 v47, 0
	v_lshl_add_u64 v[52:53], s[52:53], 0, v[46:47]
	flat_load_dword v47, v[52:53] offset:3072
	s_or_b64 exec, exec, s[4:5]
                                        ; implicit-def: $vgpr3
	s_and_saveexec_b64 s[4:5], s[8:9]
	s_cbranch_execnz .LBB463_54
.LBB463_76:
	s_or_b64 exec, exec, s[4:5]
                                        ; implicit-def: $vgpr2
	s_and_saveexec_b64 s[4:5], s[10:11]
	s_cbranch_execz .LBB463_55
.LBB463_77:
	v_mov_b32_e32 v11, 0
	v_lshl_add_u64 v[10:11], s[52:53], 0, v[10:11]
	flat_load_dword v2, v[10:11]
	s_or_b64 exec, exec, s[4:5]
                                        ; implicit-def: $vgpr10
	s_and_saveexec_b64 s[4:5], s[12:13]
	s_cbranch_execnz .LBB463_56
.LBB463_78:
	s_or_b64 exec, exec, s[4:5]
                                        ; implicit-def: $vgpr11
	s_and_saveexec_b64 s[4:5], s[14:15]
	s_cbranch_execz .LBB463_57
.LBB463_79:
	v_mov_b32_e32 v15, 0
	v_lshl_add_u64 v[12:13], s[52:53], 0, v[14:15]
	flat_load_dword v11, v[12:13]
	s_or_b64 exec, exec, s[4:5]
                                        ; implicit-def: $vgpr12
	s_and_saveexec_b64 s[4:5], s[16:17]
	s_cbranch_execnz .LBB463_58
.LBB463_80:
	s_or_b64 exec, exec, s[4:5]
                                        ; implicit-def: $vgpr13
	s_and_saveexec_b64 s[4:5], s[18:19]
	s_cbranch_execz .LBB463_59
.LBB463_81:
	v_mov_b32_e32 v19, 0
	v_lshl_add_u64 v[14:15], s[52:53], 0, v[18:19]
	flat_load_dword v13, v[14:15]
	s_or_b64 exec, exec, s[4:5]
                                        ; implicit-def: $vgpr14
	s_and_saveexec_b64 s[4:5], s[20:21]
	s_cbranch_execnz .LBB463_60
.LBB463_82:
	s_or_b64 exec, exec, s[4:5]
                                        ; implicit-def: $vgpr15
	s_and_saveexec_b64 s[4:5], s[22:23]
	s_cbranch_execz .LBB463_61
.LBB463_83:
	v_mov_b32_e32 v23, 0
	v_lshl_add_u64 v[16:17], s[52:53], 0, v[22:23]
	flat_load_dword v15, v[16:17]
	s_or_b64 exec, exec, s[4:5]
                                        ; implicit-def: $vgpr16
	s_and_saveexec_b64 s[4:5], s[24:25]
	s_cbranch_execnz .LBB463_62
.LBB463_84:
	s_or_b64 exec, exec, s[4:5]
                                        ; implicit-def: $vgpr17
	s_and_saveexec_b64 s[4:5], s[26:27]
	s_cbranch_execz .LBB463_63
.LBB463_85:
	v_mov_b32_e32 v27, 0
	v_lshl_add_u64 v[18:19], s[52:53], 0, v[26:27]
	flat_load_dword v17, v[18:19]
	s_or_b64 exec, exec, s[4:5]
                                        ; implicit-def: $vgpr18
	s_and_saveexec_b64 s[4:5], s[28:29]
	s_cbranch_execnz .LBB463_64
.LBB463_86:
	s_or_b64 exec, exec, s[4:5]
                                        ; implicit-def: $vgpr19
	s_and_saveexec_b64 s[4:5], s[30:31]
	s_cbranch_execz .LBB463_65
.LBB463_87:
	v_mov_b32_e32 v31, 0
	v_lshl_add_u64 v[20:21], s[52:53], 0, v[30:31]
	flat_load_dword v19, v[20:21]
	s_or_b64 exec, exec, s[4:5]
                                        ; implicit-def: $vgpr20
	s_and_saveexec_b64 s[4:5], s[34:35]
	s_cbranch_execnz .LBB463_66
.LBB463_88:
	s_or_b64 exec, exec, s[4:5]
                                        ; implicit-def: $vgpr21
	s_and_saveexec_b64 s[4:5], s[36:37]
	s_cbranch_execz .LBB463_67
.LBB463_89:
	v_mov_b32_e32 v35, 0
	v_lshl_add_u64 v[22:23], s[52:53], 0, v[34:35]
	flat_load_dword v21, v[22:23]
	s_or_b64 exec, exec, s[4:5]
                                        ; implicit-def: $vgpr22
	s_and_saveexec_b64 s[4:5], s[38:39]
	s_cbranch_execnz .LBB463_68
.LBB463_90:
	s_or_b64 exec, exec, s[4:5]
                                        ; implicit-def: $vgpr23
	s_and_saveexec_b64 s[4:5], s[40:41]
	s_cbranch_execz .LBB463_69
.LBB463_91:
	v_mov_b32_e32 v39, 0
	v_lshl_add_u64 v[24:25], s[52:53], 0, v[38:39]
	flat_load_dword v23, v[24:25]
	s_or_b64 exec, exec, s[4:5]
                                        ; implicit-def: $vgpr24
	s_and_saveexec_b64 s[4:5], s[42:43]
	s_cbranch_execnz .LBB463_70
.LBB463_92:
	s_or_b64 exec, exec, s[4:5]
                                        ; implicit-def: $vgpr25
	s_and_saveexec_b64 s[4:5], s[44:45]
	s_cbranch_execz .LBB463_94
.LBB463_93:
	v_mov_b32_e32 v43, 0
	v_lshl_add_u64 v[26:27], s[52:53], 0, v[42:43]
	flat_load_dword v25, v[26:27]
.LBB463_94:
	s_or_b64 exec, exec, s[4:5]
	v_mul_u32_u24_e32 v71, 23, v0
                                        ; implicit-def: $vgpr26
	s_and_saveexec_b64 s[4:5], s[46:47]
	s_cbranch_execz .LBB463_96
; %bb.95:
	v_mov_b32_e32 v45, 0
	v_lshl_add_u64 v[26:27], s[52:53], 0, v[44:45]
	flat_load_dword v26, v[26:27]
.LBB463_96:
	s_or_b64 exec, exec, s[4:5]
	s_waitcnt vmcnt(0) lgkmcnt(0)
	ds_write2st64_b32 v46, v48, v49 offset1:4
	ds_write2st64_b32 v46, v50, v47 offset0:8 offset1:12
	ds_write2st64_b32 v46, v3, v2 offset0:16 offset1:20
	;; [unrolled: 1-line block ×10, first 2 shown]
	ds_write_b32 v46, v26 offset:22528
	v_mov_b64_e32 v[10:11], 0
	v_cmp_gt_u32_e32 vcc, s3, v71
	s_mov_b64 s[10:11], 0
	s_mov_b64 s[4:5], 0
	v_mov_b64_e32 v[12:13], v[10:11]
	v_mov_b64_e32 v[14:15], v[10:11]
	;; [unrolled: 1-line block ×21, first 2 shown]
	s_waitcnt lgkmcnt(0)
	s_barrier
	s_waitcnt lgkmcnt(0)
                                        ; implicit-def: $sgpr8_sgpr9
                                        ; implicit-def: $vgpr2
	s_and_saveexec_b64 s[6:7], vcc
	s_cbranch_execz .LBB463_142
; %bb.97:
	ds_read_b32 v2, v70
	v_mov_b32_e32 v10, s76
	v_cmp_eq_u32_e32 vcc, v72, v68
	v_add_u32_e32 v3, 1, v71
	v_mov_b64_e32 v[12:13], 0
	s_waitcnt lgkmcnt(0)
	v_cndmask_b32_e32 v10, v10, v2, vcc
	v_cmp_ne_u32_e32 vcc, v72, v68
	s_mov_b64 s[12:13], 0
	v_mov_b64_e32 v[14:15], v[12:13]
	v_cndmask_b32_e64 v11, 0, 1, vcc
	v_cmp_gt_u32_e32 vcc, s3, v3
	v_mov_b64_e32 v[16:17], v[12:13]
	v_mov_b64_e32 v[18:19], v[12:13]
	;; [unrolled: 1-line block ×19, first 2 shown]
                                        ; implicit-def: $sgpr14_sgpr15
                                        ; implicit-def: $vgpr2
	s_and_saveexec_b64 s[8:9], vcc
	s_cbranch_execz .LBB463_141
; %bb.98:
	ds_read2_b32 v[2:3], v70 offset0:1 offset1:2
	v_mov_b32_e32 v12, s76
	v_cmp_eq_u32_e32 vcc, v68, v69
	v_add_u32_e32 v14, 2, v71
	s_mov_b64 s[14:15], 0
	s_waitcnt lgkmcnt(0)
	v_cndmask_b32_e32 v12, v12, v2, vcc
	v_cmp_ne_u32_e32 vcc, v68, v69
                                        ; implicit-def: $sgpr16_sgpr17
                                        ; implicit-def: $vgpr2
	s_nop 1
	v_cndmask_b32_e64 v13, 0, 1, vcc
	v_cmp_gt_u32_e32 vcc, s3, v14
	v_mov_b64_e32 v[14:15], 0
	v_mov_b64_e32 v[16:17], v[14:15]
	;; [unrolled: 1-line block ×20, first 2 shown]
	s_and_saveexec_b64 s[10:11], vcc
	s_cbranch_execz .LBB463_140
; %bb.99:
	v_mov_b32_e32 v14, s76
	v_cmp_eq_u32_e32 vcc, v69, v66
	v_add_u32_e32 v2, 3, v71
	v_mov_b64_e32 v[16:17], 0
	v_cndmask_b32_e32 v14, v14, v3, vcc
	v_cmp_ne_u32_e32 vcc, v69, v66
	s_mov_b64 s[16:17], 0
	v_mov_b64_e32 v[18:19], v[16:17]
	v_cndmask_b32_e64 v15, 0, 1, vcc
	v_cmp_gt_u32_e32 vcc, s3, v2
	v_mov_b64_e32 v[20:21], v[16:17]
	v_mov_b64_e32 v[22:23], v[16:17]
	;; [unrolled: 1-line block ×17, first 2 shown]
                                        ; implicit-def: $sgpr18_sgpr19
                                        ; implicit-def: $vgpr2
	s_and_saveexec_b64 s[12:13], vcc
	s_cbranch_execz .LBB463_139
; %bb.100:
	ds_read2_b32 v[2:3], v70 offset0:3 offset1:4
	v_mov_b32_e32 v16, s76
	v_cmp_eq_u32_e32 vcc, v66, v67
	v_add_u32_e32 v18, 4, v71
	s_mov_b64 s[18:19], 0
	s_waitcnt lgkmcnt(0)
	v_cndmask_b32_e32 v16, v16, v2, vcc
	v_cmp_ne_u32_e32 vcc, v66, v67
                                        ; implicit-def: $sgpr20_sgpr21
                                        ; implicit-def: $vgpr2
	s_nop 1
	v_cndmask_b32_e64 v17, 0, 1, vcc
	v_cmp_gt_u32_e32 vcc, s3, v18
	v_mov_b64_e32 v[18:19], 0
	v_mov_b64_e32 v[20:21], v[18:19]
	;; [unrolled: 1-line block ×18, first 2 shown]
	s_and_saveexec_b64 s[14:15], vcc
	s_cbranch_execz .LBB463_138
; %bb.101:
	v_mov_b32_e32 v18, s76
	v_cmp_eq_u32_e32 vcc, v67, v64
	v_add_u32_e32 v2, 5, v71
	v_mov_b64_e32 v[20:21], 0
	v_cndmask_b32_e32 v18, v18, v3, vcc
	v_cmp_ne_u32_e32 vcc, v67, v64
	s_mov_b64 s[20:21], 0
	v_mov_b64_e32 v[22:23], v[20:21]
	v_cndmask_b32_e64 v19, 0, 1, vcc
	v_cmp_gt_u32_e32 vcc, s3, v2
	v_mov_b64_e32 v[24:25], v[20:21]
	v_mov_b64_e32 v[26:27], v[20:21]
	;; [unrolled: 1-line block ×15, first 2 shown]
                                        ; implicit-def: $sgpr22_sgpr23
                                        ; implicit-def: $vgpr2
	s_and_saveexec_b64 s[16:17], vcc
	s_cbranch_execz .LBB463_137
; %bb.102:
	ds_read2_b32 v[2:3], v70 offset0:5 offset1:6
	v_mov_b32_e32 v20, s76
	v_cmp_eq_u32_e32 vcc, v64, v65
	v_add_u32_e32 v22, 6, v71
	s_mov_b64 s[22:23], 0
	s_waitcnt lgkmcnt(0)
	v_cndmask_b32_e32 v20, v20, v2, vcc
	v_cmp_ne_u32_e32 vcc, v64, v65
                                        ; implicit-def: $sgpr24_sgpr25
                                        ; implicit-def: $vgpr2
	s_nop 1
	v_cndmask_b32_e64 v21, 0, 1, vcc
	v_cmp_gt_u32_e32 vcc, s3, v22
	v_mov_b64_e32 v[22:23], 0
	v_mov_b64_e32 v[24:25], v[22:23]
	;; [unrolled: 1-line block ×16, first 2 shown]
	s_and_saveexec_b64 s[18:19], vcc
	s_cbranch_execz .LBB463_136
; %bb.103:
	v_mov_b32_e32 v22, s76
	v_cmp_eq_u32_e32 vcc, v65, v62
	v_add_u32_e32 v2, 7, v71
	v_mov_b64_e32 v[24:25], 0
	v_cndmask_b32_e32 v22, v22, v3, vcc
	v_cmp_ne_u32_e32 vcc, v65, v62
	s_mov_b64 s[24:25], 0
	v_mov_b64_e32 v[26:27], v[24:25]
	v_cndmask_b32_e64 v23, 0, 1, vcc
	v_cmp_gt_u32_e32 vcc, s3, v2
	v_mov_b64_e32 v[28:29], v[24:25]
	v_mov_b64_e32 v[30:31], v[24:25]
	;; [unrolled: 1-line block ×13, first 2 shown]
                                        ; implicit-def: $sgpr26_sgpr27
                                        ; implicit-def: $vgpr2
	s_and_saveexec_b64 s[20:21], vcc
	s_cbranch_execz .LBB463_135
; %bb.104:
	ds_read2_b32 v[2:3], v70 offset0:7 offset1:8
	v_mov_b32_e32 v24, s76
	v_cmp_eq_u32_e32 vcc, v62, v63
	v_add_u32_e32 v26, 8, v71
	s_mov_b64 s[26:27], 0
	s_waitcnt lgkmcnt(0)
	v_cndmask_b32_e32 v24, v24, v2, vcc
	v_cmp_ne_u32_e32 vcc, v62, v63
                                        ; implicit-def: $sgpr28_sgpr29
                                        ; implicit-def: $vgpr2
	s_nop 1
	v_cndmask_b32_e64 v25, 0, 1, vcc
	v_cmp_gt_u32_e32 vcc, s3, v26
	v_mov_b64_e32 v[26:27], 0
	v_mov_b64_e32 v[28:29], v[26:27]
	;; [unrolled: 1-line block ×14, first 2 shown]
	s_and_saveexec_b64 s[22:23], vcc
	s_cbranch_execz .LBB463_134
; %bb.105:
	v_mov_b32_e32 v26, s76
	v_cmp_eq_u32_e32 vcc, v63, v60
	v_add_u32_e32 v2, 9, v71
	v_mov_b64_e32 v[28:29], 0
	v_cndmask_b32_e32 v26, v26, v3, vcc
	v_cmp_ne_u32_e32 vcc, v63, v60
	s_mov_b64 s[28:29], 0
	v_mov_b64_e32 v[30:31], v[28:29]
	v_cndmask_b32_e64 v27, 0, 1, vcc
	v_cmp_gt_u32_e32 vcc, s3, v2
	v_mov_b64_e32 v[32:33], v[28:29]
	v_mov_b64_e32 v[34:35], v[28:29]
	;; [unrolled: 1-line block ×11, first 2 shown]
                                        ; implicit-def: $sgpr30_sgpr31
                                        ; implicit-def: $vgpr2
	s_and_saveexec_b64 s[24:25], vcc
	s_cbranch_execz .LBB463_133
; %bb.106:
	ds_read2_b32 v[2:3], v70 offset0:9 offset1:10
	v_mov_b32_e32 v28, s76
	v_cmp_eq_u32_e32 vcc, v60, v61
	v_add_u32_e32 v30, 10, v71
	s_mov_b64 s[30:31], 0
	s_waitcnt lgkmcnt(0)
	v_cndmask_b32_e32 v28, v28, v2, vcc
	v_cmp_ne_u32_e32 vcc, v60, v61
                                        ; implicit-def: $sgpr34_sgpr35
                                        ; implicit-def: $vgpr2
	s_nop 1
	v_cndmask_b32_e64 v29, 0, 1, vcc
	v_cmp_gt_u32_e32 vcc, s3, v30
	v_mov_b64_e32 v[30:31], 0
	v_mov_b64_e32 v[32:33], v[30:31]
	;; [unrolled: 1-line block ×12, first 2 shown]
	s_and_saveexec_b64 s[26:27], vcc
	s_cbranch_execz .LBB463_132
; %bb.107:
	v_mov_b32_e32 v30, s76
	v_cmp_eq_u32_e32 vcc, v61, v58
	v_add_u32_e32 v2, 11, v71
	v_mov_b64_e32 v[32:33], 0
	v_cndmask_b32_e32 v30, v30, v3, vcc
	v_cmp_ne_u32_e32 vcc, v61, v58
	s_mov_b64 s[34:35], 0
	v_mov_b64_e32 v[34:35], v[32:33]
	v_cndmask_b32_e64 v31, 0, 1, vcc
	v_cmp_gt_u32_e32 vcc, s3, v2
	v_mov_b64_e32 v[36:37], v[32:33]
	v_mov_b64_e32 v[38:39], v[32:33]
	;; [unrolled: 1-line block ×9, first 2 shown]
                                        ; implicit-def: $sgpr36_sgpr37
                                        ; implicit-def: $vgpr2
	s_and_saveexec_b64 s[28:29], vcc
	s_cbranch_execz .LBB463_131
; %bb.108:
	ds_read2_b32 v[2:3], v70 offset0:11 offset1:12
	v_mov_b32_e32 v32, s76
	v_cmp_eq_u32_e32 vcc, v58, v59
	v_add_u32_e32 v34, 12, v71
	s_mov_b64 s[36:37], 0
	s_waitcnt lgkmcnt(0)
	v_cndmask_b32_e32 v32, v32, v2, vcc
	v_cmp_ne_u32_e32 vcc, v58, v59
                                        ; implicit-def: $sgpr38_sgpr39
                                        ; implicit-def: $vgpr2
	s_nop 1
	v_cndmask_b32_e64 v33, 0, 1, vcc
	v_cmp_gt_u32_e32 vcc, s3, v34
	v_mov_b64_e32 v[34:35], 0
	v_mov_b64_e32 v[36:37], v[34:35]
	;; [unrolled: 1-line block ×10, first 2 shown]
	s_and_saveexec_b64 s[30:31], vcc
	s_cbranch_execz .LBB463_130
; %bb.109:
	v_mov_b32_e32 v34, s76
	v_cmp_eq_u32_e32 vcc, v59, v56
	v_add_u32_e32 v2, 13, v71
	v_mov_b64_e32 v[36:37], 0
	v_cndmask_b32_e32 v34, v34, v3, vcc
	v_cmp_ne_u32_e32 vcc, v59, v56
	s_mov_b64 s[38:39], 0
	v_mov_b64_e32 v[38:39], v[36:37]
	v_cndmask_b32_e64 v35, 0, 1, vcc
	v_cmp_gt_u32_e32 vcc, s3, v2
	v_mov_b64_e32 v[40:41], v[36:37]
	v_mov_b64_e32 v[42:43], v[36:37]
	;; [unrolled: 1-line block ×7, first 2 shown]
                                        ; implicit-def: $sgpr40_sgpr41
                                        ; implicit-def: $vgpr2
	s_and_saveexec_b64 s[34:35], vcc
	s_cbranch_execz .LBB463_129
; %bb.110:
	ds_read2_b32 v[2:3], v70 offset0:13 offset1:14
	v_mov_b32_e32 v36, s76
	v_cmp_eq_u32_e32 vcc, v56, v57
	v_add_u32_e32 v38, 14, v71
	s_mov_b64 s[40:41], 0
	s_waitcnt lgkmcnt(0)
	v_cndmask_b32_e32 v36, v36, v2, vcc
	v_cmp_ne_u32_e32 vcc, v56, v57
                                        ; implicit-def: $sgpr42_sgpr43
                                        ; implicit-def: $vgpr2
	s_nop 1
	v_cndmask_b32_e64 v37, 0, 1, vcc
	v_cmp_gt_u32_e32 vcc, s3, v38
	v_mov_b64_e32 v[38:39], 0
	v_mov_b64_e32 v[40:41], v[38:39]
	;; [unrolled: 1-line block ×8, first 2 shown]
	s_and_saveexec_b64 s[36:37], vcc
	s_cbranch_execz .LBB463_128
; %bb.111:
	v_mov_b32_e32 v38, s76
	v_cmp_eq_u32_e32 vcc, v57, v54
	v_add_u32_e32 v2, 15, v71
	v_mov_b64_e32 v[40:41], 0
	v_cndmask_b32_e32 v38, v38, v3, vcc
	v_cmp_ne_u32_e32 vcc, v57, v54
	s_mov_b64 s[42:43], 0
	v_mov_b64_e32 v[42:43], v[40:41]
	v_cndmask_b32_e64 v39, 0, 1, vcc
	v_cmp_gt_u32_e32 vcc, s3, v2
	v_mov_b64_e32 v[44:45], v[40:41]
	v_mov_b64_e32 v[46:47], v[40:41]
	;; [unrolled: 1-line block ×5, first 2 shown]
                                        ; implicit-def: $sgpr44_sgpr45
                                        ; implicit-def: $vgpr2
	s_and_saveexec_b64 s[38:39], vcc
	s_cbranch_execz .LBB463_127
; %bb.112:
	ds_read2_b32 v[2:3], v70 offset0:15 offset1:16
	v_mov_b32_e32 v40, s76
	v_cmp_eq_u32_e32 vcc, v54, v55
	v_add_u32_e32 v42, 16, v71
	s_mov_b64 s[44:45], 0
	s_waitcnt lgkmcnt(0)
	v_cndmask_b32_e32 v40, v40, v2, vcc
	v_cmp_ne_u32_e32 vcc, v54, v55
                                        ; implicit-def: $sgpr46_sgpr47
                                        ; implicit-def: $vgpr2
	s_nop 1
	v_cndmask_b32_e64 v41, 0, 1, vcc
	v_cmp_gt_u32_e32 vcc, s3, v42
	v_mov_b64_e32 v[42:43], 0
	v_mov_b64_e32 v[44:45], v[42:43]
	;; [unrolled: 1-line block ×6, first 2 shown]
	s_and_saveexec_b64 s[40:41], vcc
	s_cbranch_execz .LBB463_126
; %bb.113:
	v_mov_b32_e32 v42, s76
	v_cmp_eq_u32_e32 vcc, v55, v8
	v_add_u32_e32 v2, 17, v71
	v_mov_b64_e32 v[44:45], 0
	v_cndmask_b32_e32 v42, v42, v3, vcc
	v_cmp_ne_u32_e32 vcc, v55, v8
	s_mov_b64 s[46:47], 0
	v_mov_b64_e32 v[46:47], v[44:45]
	v_cndmask_b32_e64 v43, 0, 1, vcc
	v_cmp_gt_u32_e32 vcc, s3, v2
	v_mov_b64_e32 v[48:49], v[44:45]
	v_mov_b64_e32 v[50:51], v[44:45]
	;; [unrolled: 1-line block ×3, first 2 shown]
                                        ; implicit-def: $sgpr48_sgpr49
                                        ; implicit-def: $vgpr2
	s_and_saveexec_b64 s[42:43], vcc
	s_cbranch_execz .LBB463_125
; %bb.114:
	ds_read2_b32 v[2:3], v70 offset0:17 offset1:18
	v_mov_b32_e32 v44, s76
	v_cmp_eq_u32_e32 vcc, v8, v9
	v_add_u32_e32 v46, 18, v71
	s_mov_b64 s[48:49], 0
	s_waitcnt lgkmcnt(0)
	v_cndmask_b32_e32 v44, v44, v2, vcc
	v_cmp_ne_u32_e32 vcc, v8, v9
                                        ; implicit-def: $sgpr50_sgpr51
                                        ; implicit-def: $vgpr2
	s_nop 1
	v_cndmask_b32_e64 v45, 0, 1, vcc
	v_cmp_gt_u32_e32 vcc, s3, v46
	v_mov_b64_e32 v[46:47], 0
	v_mov_b64_e32 v[48:49], v[46:47]
	;; [unrolled: 1-line block ×4, first 2 shown]
	s_and_saveexec_b64 s[44:45], vcc
	s_cbranch_execz .LBB463_124
; %bb.115:
	v_mov_b32_e32 v8, s76
	v_cmp_eq_u32_e32 vcc, v9, v6
	v_add_u32_e32 v2, 19, v71
	v_mov_b64_e32 v[48:49], 0
	v_cndmask_b32_e32 v46, v8, v3, vcc
	v_cmp_ne_u32_e32 vcc, v9, v6
	s_mov_b64 s[50:51], 0
	v_mov_b64_e32 v[50:51], v[48:49]
	v_cndmask_b32_e64 v47, 0, 1, vcc
	v_cmp_gt_u32_e32 vcc, s3, v2
	v_mov_b64_e32 v[52:53], v[48:49]
                                        ; implicit-def: $sgpr60_sgpr61
                                        ; implicit-def: $vgpr2
	s_and_saveexec_b64 s[46:47], vcc
	s_cbranch_execz .LBB463_123
; %bb.116:
	ds_read2_b32 v[2:3], v70 offset0:19 offset1:20
	v_mov_b32_e32 v9, s76
	v_cmp_eq_u32_e32 vcc, v6, v7
	v_add_u32_e32 v8, 20, v71
	v_mov_b64_e32 v[50:51], 0
	s_waitcnt lgkmcnt(0)
	v_cndmask_b32_e32 v48, v9, v2, vcc
	v_cmp_ne_u32_e32 vcc, v6, v7
	s_mov_b64 s[60:61], 0
	v_mov_b64_e32 v[52:53], v[50:51]
	v_cndmask_b32_e64 v49, 0, 1, vcc
	v_cmp_gt_u32_e32 vcc, s3, v8
                                        ; implicit-def: $sgpr72_sgpr73
                                        ; implicit-def: $vgpr2
	s_and_saveexec_b64 s[48:49], vcc
	s_cbranch_execz .LBB463_122
; %bb.117:
	v_mov_b32_e32 v6, s76
	v_cmp_eq_u32_e32 vcc, v7, v4
	v_add_u32_e32 v2, 21, v71
	v_mov_b64_e32 v[52:53], 0
	v_cndmask_b32_e32 v50, v6, v3, vcc
	v_cmp_ne_u32_e32 vcc, v7, v4
                                        ; implicit-def: $sgpr72_sgpr73
	s_nop 1
	v_cndmask_b32_e64 v51, 0, 1, vcc
	v_cmp_gt_u32_e32 vcc, s3, v2
                                        ; implicit-def: $vgpr2
	s_and_saveexec_b64 s[50:51], vcc
	s_cbranch_execz .LBB463_121
; %bb.118:
	ds_read2_b32 v[2:3], v70 offset0:21 offset1:22
	v_mov_b32_e32 v7, s76
	v_cmp_eq_u32_e32 vcc, v4, v5
	v_add_u32_e32 v6, 22, v71
                                        ; implicit-def: $sgpr72_sgpr73
	s_waitcnt lgkmcnt(0)
	v_cndmask_b32_e32 v52, v7, v2, vcc
	v_cmp_ne_u32_e32 vcc, v4, v5
                                        ; implicit-def: $vgpr2
	s_nop 1
	v_cndmask_b32_e64 v53, 0, 1, vcc
	v_cmp_gt_u32_e32 vcc, s3, v6
	s_and_saveexec_b64 s[74:75], vcc
	s_xor_b64 s[74:75], exec, s[74:75]
; %bb.119:
	v_mov_b32_e32 v2, s76
	v_cmp_ne_u32_e32 vcc, v5, v1
	s_mov_b64 s[60:61], exec
	s_and_b64 s[72:73], vcc, exec
	v_cndmask_b32_e32 v2, v3, v2, vcc
; %bb.120:
	s_or_b64 exec, exec, s[74:75]
	s_and_b64 s[72:73], s[72:73], exec
	s_and_b64 s[60:61], s[60:61], exec
.LBB463_121:
	s_or_b64 exec, exec, s[50:51]
	s_and_b64 s[72:73], s[72:73], exec
	s_and_b64 s[50:51], s[60:61], exec
.LBB463_122:
	s_or_b64 exec, exec, s[48:49]
	s_and_b64 s[60:61], s[72:73], exec
	s_and_b64 s[48:49], s[50:51], exec
.LBB463_123:
	s_or_b64 exec, exec, s[46:47]
	s_and_b64 s[50:51], s[60:61], exec
	s_and_b64 s[46:47], s[48:49], exec
.LBB463_124:
	s_or_b64 exec, exec, s[44:45]
	s_and_b64 s[48:49], s[50:51], exec
	s_and_b64 s[44:45], s[46:47], exec
.LBB463_125:
	s_or_b64 exec, exec, s[42:43]
	s_and_b64 s[46:47], s[48:49], exec
	s_and_b64 s[42:43], s[44:45], exec
.LBB463_126:
	s_or_b64 exec, exec, s[40:41]
	s_and_b64 s[44:45], s[46:47], exec
	s_and_b64 s[40:41], s[42:43], exec
.LBB463_127:
	s_or_b64 exec, exec, s[38:39]
	s_and_b64 s[42:43], s[44:45], exec
	s_and_b64 s[38:39], s[40:41], exec
.LBB463_128:
	s_or_b64 exec, exec, s[36:37]
	s_and_b64 s[40:41], s[42:43], exec
	s_and_b64 s[36:37], s[38:39], exec
.LBB463_129:
	s_or_b64 exec, exec, s[34:35]
	s_and_b64 s[38:39], s[40:41], exec
	s_and_b64 s[34:35], s[36:37], exec
.LBB463_130:
	s_or_b64 exec, exec, s[30:31]
	s_and_b64 s[36:37], s[38:39], exec
	s_and_b64 s[30:31], s[34:35], exec
.LBB463_131:
	s_or_b64 exec, exec, s[28:29]
	s_and_b64 s[34:35], s[36:37], exec
	s_and_b64 s[28:29], s[30:31], exec
.LBB463_132:
	s_or_b64 exec, exec, s[26:27]
	s_and_b64 s[30:31], s[34:35], exec
	s_and_b64 s[26:27], s[28:29], exec
.LBB463_133:
	s_or_b64 exec, exec, s[24:25]
	s_and_b64 s[28:29], s[30:31], exec
	s_and_b64 s[24:25], s[26:27], exec
.LBB463_134:
	s_or_b64 exec, exec, s[22:23]
	s_and_b64 s[26:27], s[28:29], exec
	s_and_b64 s[22:23], s[24:25], exec
.LBB463_135:
	s_or_b64 exec, exec, s[20:21]
	s_and_b64 s[24:25], s[26:27], exec
	s_and_b64 s[20:21], s[22:23], exec
.LBB463_136:
	s_or_b64 exec, exec, s[18:19]
	s_and_b64 s[22:23], s[24:25], exec
	s_and_b64 s[18:19], s[20:21], exec
.LBB463_137:
	s_or_b64 exec, exec, s[16:17]
	s_and_b64 s[20:21], s[22:23], exec
	s_and_b64 s[16:17], s[18:19], exec
.LBB463_138:
	s_or_b64 exec, exec, s[14:15]
	s_and_b64 s[18:19], s[20:21], exec
	s_and_b64 s[14:15], s[16:17], exec
.LBB463_139:
	s_or_b64 exec, exec, s[12:13]
	s_and_b64 s[16:17], s[18:19], exec
	s_and_b64 s[12:13], s[14:15], exec
.LBB463_140:
	s_or_b64 exec, exec, s[10:11]
	s_and_b64 s[14:15], s[16:17], exec
	s_and_b64 s[10:11], s[12:13], exec
.LBB463_141:
	s_or_b64 exec, exec, s[8:9]
	s_and_b64 s[8:9], s[14:15], exec
	s_and_b64 s[10:11], s[10:11], exec
.LBB463_142:
	s_or_b64 exec, exec, s[6:7]
	s_mov_b64 s[6:7], 0
	s_and_b64 vcc, exec, s[4:5]
	v_lshlrev_b32_e32 v54, 2, v0
	s_cbranch_vccz .LBB463_148
.LBB463_143:
	v_mov_b32_e32 v55, 0
	v_lshl_add_u64 v[2:3], s[70:71], 0, v[54:55]
	v_add_co_u32_e32 v4, vcc, 0x1000, v2
	s_movk_i32 s6, 0x58
	s_nop 0
	v_addc_co_u32_e32 v5, vcc, 0, v3, vcc
	flat_load_dword v1, v[2:3]
	flat_load_dword v8, v[2:3] offset:1024
	flat_load_dword v9, v[2:3] offset:2048
	flat_load_dword v10, v[2:3] offset:3072
	flat_load_dword v11, v[4:5]
	flat_load_dword v12, v[4:5] offset:1024
	flat_load_dword v13, v[4:5] offset:2048
	;; [unrolled: 1-line block ×3, first 2 shown]
	v_add_co_u32_e32 v4, vcc, 0x2000, v2
	s_movk_i32 s10, 0x1000
	s_nop 0
	v_addc_co_u32_e32 v5, vcc, 0, v3, vcc
	v_add_co_u32_e32 v6, vcc, 0x3000, v2
	s_mov_b32 s4, 0
	s_nop 0
	v_addc_co_u32_e32 v7, vcc, 0, v3, vcc
	flat_load_dword v15, v[4:5]
	flat_load_dword v16, v[4:5] offset:1024
	flat_load_dword v17, v[4:5] offset:2048
	;; [unrolled: 1-line block ×3, first 2 shown]
	flat_load_dword v19, v[6:7]
	flat_load_dword v20, v[6:7] offset:1024
	flat_load_dword v21, v[6:7] offset:2048
	flat_load_dword v22, v[6:7] offset:3072
	v_add_co_u32_e32 v4, vcc, 0x4000, v2
	s_movk_i32 s9, 0x2000
	s_nop 0
	v_addc_co_u32_e32 v5, vcc, 0, v3, vcc
	v_add_co_u32_e32 v2, vcc, 0x5000, v2
	s_movk_i32 s8, 0x3000
	s_nop 0
	v_addc_co_u32_e32 v3, vcc, 0, v3, vcc
	flat_load_dword v6, v[4:5]
	flat_load_dword v7, v[4:5] offset:1024
	flat_load_dword v23, v[4:5] offset:2048
	flat_load_dword v24, v[4:5] offset:3072
	flat_load_dword v25, v[2:3]
	flat_load_dword v26, v[2:3] offset:1024
	flat_load_dword v27, v[2:3] offset:2048
	v_mov_b32_e32 v2, s70
	v_mov_b32_e32 v3, s71
	v_add_co_u32_e32 v2, vcc, 0x5000, v2
	s_movk_i32 s5, 0x4000
	s_nop 0
	v_addc_co_u32_e32 v3, vcc, 0, v3, vcc
	s_movk_i32 s3, 0x5000
	s_waitcnt vmcnt(0) lgkmcnt(0)
	ds_write2st64_b32 v54, v1, v8 offset1:4
	ds_write2st64_b32 v54, v9, v10 offset0:8 offset1:12
	ds_write2st64_b32 v54, v11, v12 offset0:16 offset1:20
	;; [unrolled: 1-line block ×10, first 2 shown]
	ds_write_b32 v54, v27 offset:22528
	s_waitcnt lgkmcnt(0)
	s_barrier
	flat_load_dword v1, v[2:3] offset:3072
	v_mad_u32_u24 v12, v0, s6, v54
	s_movk_i32 s6, 0xffa8
	v_mad_i32_i24 v11, v0, s6, v12
	s_movk_i32 s6, 0xff
	v_cmp_ne_u32_e32 vcc, s6, v0
	ds_read_b32 v10, v12
	ds_read2_b32 v[14:15], v12 offset0:1 offset1:2
	ds_read2_b32 v[18:19], v12 offset0:3 offset1:4
	;; [unrolled: 1-line block ×11, first 2 shown]
	s_waitcnt lgkmcnt(0)
	ds_write_b32 v11, v10 offset:24576
	s_waitcnt lgkmcnt(0)
	s_barrier
	s_and_saveexec_b64 s[6:7], vcc
	s_cbranch_execz .LBB463_145
; %bb.144:
	s_waitcnt vmcnt(0)
	ds_read_b32 v1, v54 offset:24580
.LBB463_145:
	s_or_b64 exec, exec, s[6:7]
	v_lshl_add_u64 v[16:17], s[52:53], 0, v[54:55]
	v_add_co_u32_e32 v20, vcc, s10, v16
	s_waitcnt lgkmcnt(0)
	s_nop 0
	v_addc_co_u32_e32 v21, vcc, 0, v17, vcc
	s_barrier
	flat_load_dword v11, v[16:17]
	flat_load_dword v13, v[16:17] offset:1024
	flat_load_dword v28, v[16:17] offset:2048
	;; [unrolled: 1-line block ×3, first 2 shown]
	flat_load_dword v32, v[20:21]
	flat_load_dword v33, v[20:21] offset:1024
	flat_load_dword v36, v[20:21] offset:2048
	;; [unrolled: 1-line block ×3, first 2 shown]
	v_add_co_u32_e32 v20, vcc, s9, v16
	s_nop 1
	v_addc_co_u32_e32 v21, vcc, 0, v17, vcc
	v_add_co_u32_e32 v24, vcc, s8, v16
	s_nop 1
	v_addc_co_u32_e32 v25, vcc, 0, v17, vcc
	flat_load_dword v40, v[20:21]
	flat_load_dword v41, v[20:21] offset:1024
	flat_load_dword v42, v[20:21] offset:2048
	;; [unrolled: 1-line block ×3, first 2 shown]
	flat_load_dword v44, v[24:25]
	flat_load_dword v45, v[24:25] offset:1024
	flat_load_dword v46, v[24:25] offset:2048
	;; [unrolled: 1-line block ×3, first 2 shown]
	v_add_co_u32_e32 v20, vcc, s5, v16
	s_mov_b32 s5, 1
	s_nop 0
	v_addc_co_u32_e32 v21, vcc, 0, v17, vcc
	v_add_co_u32_e32 v16, vcc, s3, v16
	s_nop 1
	v_addc_co_u32_e32 v17, vcc, 0, v17, vcc
	flat_load_dword v24, v[20:21]
	flat_load_dword v25, v[20:21] offset:1024
	flat_load_dword v48, v[20:21] offset:2048
	;; [unrolled: 1-line block ×3, first 2 shown]
	flat_load_dword v50, v[16:17]
	flat_load_dword v51, v[16:17] offset:1024
	flat_load_dword v52, v[16:17] offset:2048
	v_cmp_eq_u32_e32 vcc, v10, v14
	s_waitcnt vmcnt(0) lgkmcnt(0)
	ds_write2st64_b32 v54, v11, v13 offset1:4
	ds_write2st64_b32 v54, v28, v29 offset0:8 offset1:12
	ds_write2st64_b32 v54, v32, v33 offset0:16 offset1:20
	;; [unrolled: 1-line block ×10, first 2 shown]
	ds_write_b32 v54, v52 offset:22528
	s_waitcnt lgkmcnt(0)
	s_barrier
	ds_read2_b32 v[16:17], v12 offset0:1 offset1:2
	ds_read2_b32 v[20:21], v12 offset0:3 offset1:4
	;; [unrolled: 1-line block ×11, first 2 shown]
	v_mov_b64_e32 v[10:11], s[4:5]
	v_mov_b32_e32 v13, s76
	s_and_saveexec_b64 s[4:5], vcc
	s_cbranch_execz .LBB463_147
; %bb.146:
	ds_read_b32 v13, v12
	v_mov_b64_e32 v[10:11], 0
.LBB463_147:
	s_or_b64 exec, exec, s[4:5]
	v_mov_b32_e32 v55, s76
	v_cmp_eq_u32_e32 vcc, v14, v15
	s_waitcnt lgkmcnt(0)
	v_or_b32_e32 v10, v10, v13
	v_cmp_ne_u32_e64 s[8:9], v3, v1
	v_cndmask_b32_e32 v12, v55, v16, vcc
	v_cmp_ne_u32_e32 vcc, v14, v15
	s_mov_b64 s[10:11], -1
                                        ; implicit-def: $sgpr6_sgpr7
	s_nop 0
	v_cndmask_b32_e64 v13, 0, 1, vcc
	v_cmp_eq_u32_e32 vcc, v15, v18
	s_nop 1
	v_cndmask_b32_e32 v14, v55, v17, vcc
	v_cmp_ne_u32_e32 vcc, v15, v18
	s_nop 1
	v_cndmask_b32_e64 v15, 0, 1, vcc
	v_cmp_eq_u32_e32 vcc, v18, v19
	s_nop 1
	v_cndmask_b32_e32 v16, v55, v20, vcc
	v_cmp_ne_u32_e32 vcc, v18, v19
	s_nop 1
	v_cndmask_b32_e64 v17, 0, 1, vcc
	v_cmp_eq_u32_e32 vcc, v19, v22
	s_nop 1
	v_cndmask_b32_e32 v18, v55, v21, vcc
	v_cmp_ne_u32_e32 vcc, v19, v22
	s_nop 1
	v_cndmask_b32_e64 v19, 0, 1, vcc
	v_cmp_eq_u32_e32 vcc, v22, v23
	s_nop 1
	v_cndmask_b32_e32 v20, v55, v24, vcc
	v_cmp_ne_u32_e32 vcc, v22, v23
	s_nop 1
	v_cndmask_b32_e64 v21, 0, 1, vcc
	v_cmp_eq_u32_e32 vcc, v23, v26
	s_nop 1
	v_cndmask_b32_e32 v22, v55, v25, vcc
	v_cmp_ne_u32_e32 vcc, v23, v26
	s_nop 1
	v_cndmask_b32_e64 v23, 0, 1, vcc
	v_cmp_eq_u32_e32 vcc, v26, v27
	s_nop 1
	v_cndmask_b32_e32 v24, v55, v28, vcc
	v_cmp_ne_u32_e32 vcc, v26, v27
	s_nop 1
	v_cndmask_b32_e64 v25, 0, 1, vcc
	v_cmp_eq_u32_e32 vcc, v27, v30
	s_nop 1
	v_cndmask_b32_e32 v26, v55, v29, vcc
	v_cmp_ne_u32_e32 vcc, v27, v30
	s_nop 1
	v_cndmask_b32_e64 v27, 0, 1, vcc
	v_cmp_eq_u32_e32 vcc, v30, v31
	s_nop 1
	v_cndmask_b32_e32 v28, v55, v32, vcc
	v_cmp_ne_u32_e32 vcc, v30, v31
	s_nop 1
	v_cndmask_b32_e64 v29, 0, 1, vcc
	v_cmp_eq_u32_e32 vcc, v31, v34
	s_nop 1
	v_cndmask_b32_e32 v30, v55, v33, vcc
	v_cmp_ne_u32_e32 vcc, v31, v34
	s_nop 1
	v_cndmask_b32_e64 v31, 0, 1, vcc
	v_cmp_eq_u32_e32 vcc, v34, v35
	s_nop 1
	v_cndmask_b32_e32 v32, v55, v36, vcc
	v_cmp_ne_u32_e32 vcc, v34, v35
	s_nop 1
	v_cndmask_b32_e64 v33, 0, 1, vcc
	v_cmp_eq_u32_e32 vcc, v35, v38
	s_nop 1
	v_cndmask_b32_e32 v34, v55, v37, vcc
	v_cmp_ne_u32_e32 vcc, v35, v38
	s_nop 1
	v_cndmask_b32_e64 v35, 0, 1, vcc
	v_cmp_eq_u32_e32 vcc, v38, v39
	s_nop 1
	v_cndmask_b32_e32 v36, v55, v40, vcc
	v_cmp_ne_u32_e32 vcc, v38, v39
	s_nop 1
	v_cndmask_b32_e64 v37, 0, 1, vcc
	v_cmp_eq_u32_e32 vcc, v39, v8
	s_nop 1
	v_cndmask_b32_e32 v38, v55, v41, vcc
	v_cmp_ne_u32_e32 vcc, v39, v8
	s_nop 1
	v_cndmask_b32_e64 v39, 0, 1, vcc
	v_cmp_eq_u32_e32 vcc, v8, v9
	s_nop 1
	v_cndmask_b32_e32 v40, v55, v42, vcc
	v_cmp_ne_u32_e32 vcc, v8, v9
	s_nop 1
	v_cndmask_b32_e64 v41, 0, 1, vcc
	v_cmp_eq_u32_e32 vcc, v9, v6
	s_nop 1
	v_cndmask_b32_e32 v42, v55, v43, vcc
	v_cmp_ne_u32_e32 vcc, v9, v6
	s_nop 1
	v_cndmask_b32_e64 v43, 0, 1, vcc
	v_cmp_eq_u32_e32 vcc, v6, v7
	s_nop 1
	v_cndmask_b32_e32 v44, v55, v46, vcc
	v_cmp_ne_u32_e32 vcc, v6, v7
	s_nop 1
	v_cndmask_b32_e64 v45, 0, 1, vcc
	v_cmp_eq_u32_e32 vcc, v7, v4
	s_nop 1
	v_cndmask_b32_e32 v46, v55, v47, vcc
	v_cmp_ne_u32_e32 vcc, v7, v4
	s_nop 1
	v_cndmask_b32_e64 v47, 0, 1, vcc
	v_cmp_eq_u32_e32 vcc, v4, v5
	s_nop 1
	v_cndmask_b32_e32 v48, v55, v50, vcc
	v_cmp_ne_u32_e32 vcc, v4, v5
	s_nop 1
	v_cndmask_b32_e64 v49, 0, 1, vcc
	v_cmp_eq_u32_e32 vcc, v5, v2
	s_nop 1
	v_cndmask_b32_e32 v50, v55, v51, vcc
	v_cmp_ne_u32_e32 vcc, v5, v2
	s_nop 1
	v_cndmask_b32_e64 v51, 0, 1, vcc
	v_cmp_eq_u32_e32 vcc, v2, v3
	s_nop 1
	v_cndmask_b32_e32 v52, v55, v56, vcc
	v_cmp_ne_u32_e32 vcc, v2, v3
	v_cndmask_b32_e64 v2, v57, v55, s[8:9]
	s_nop 0
	v_cndmask_b32_e64 v53, 0, 1, vcc
.LBB463_148:
	v_mov_b64_e32 v[56:57], s[6:7]
	s_and_saveexec_b64 s[4:5], s[10:11]
; %bb.149:
	v_cndmask_b32_e64 v3, 0, 1, s[8:9]
	v_mov_b64_e32 v[56:57], v[2:3]
; %bb.150:
	s_or_b64 exec, exec, s[4:5]
	s_mov_b32 s46, 0
	s_cmp_lg_u32 s2, 0
	v_or_b32_e32 v55, v57, v53
	v_lshrrev_b32_e32 v1, 5, v0
	v_cmp_gt_u32_e32 vcc, 64, v0
	s_barrier
	s_cbranch_scc0 .LBB463_185
; %bb.151:
	s_mov_b32 s47, 1
	v_cmp_gt_u64_e64 s[50:51], s[46:47], v[12:13]
	v_cmp_gt_u64_e64 s[4:5], s[46:47], v[14:15]
	v_cmp_gt_u64_e64 s[6:7], s[46:47], v[16:17]
	v_cndmask_b32_e64 v2, 0, v10, s[50:51]
	v_add_u32_e32 v2, v2, v12
	v_cndmask_b32_e64 v2, 0, v2, s[4:5]
	v_add_u32_e32 v2, v2, v14
	v_cndmask_b32_e64 v2, 0, v2, s[6:7]
	v_add_u32_e32 v2, v2, v16
	v_cmp_gt_u64_e64 s[8:9], s[46:47], v[18:19]
	v_cmp_gt_u64_e64 s[10:11], s[46:47], v[20:21]
	v_cmp_gt_u64_e64 s[12:13], s[46:47], v[22:23]
	v_cndmask_b32_e64 v2, 0, v2, s[8:9]
	v_add_u32_e32 v2, v2, v18
	v_cndmask_b32_e64 v2, 0, v2, s[10:11]
	v_add_u32_e32 v2, v2, v20
	v_cndmask_b32_e64 v2, 0, v2, s[12:13]
	v_add_u32_e32 v2, v2, v22
	v_cmp_gt_u64_e64 s[14:15], s[46:47], v[24:25]
	v_cmp_gt_u64_e64 s[16:17], s[46:47], v[26:27]
	v_cmp_gt_u64_e64 s[18:19], s[46:47], v[28:29]
	v_cndmask_b32_e64 v2, 0, v2, s[14:15]
	v_add_u32_e32 v2, v2, v24
	v_cndmask_b32_e64 v2, 0, v2, s[16:17]
	v_add_u32_e32 v2, v2, v26
	v_cndmask_b32_e64 v2, 0, v2, s[18:19]
	v_add_u32_e32 v2, v2, v28
	v_cmp_gt_u64_e64 s[20:21], s[46:47], v[30:31]
	v_cmp_gt_u64_e64 s[22:23], s[46:47], v[32:33]
	v_cmp_gt_u64_e64 s[24:25], s[46:47], v[34:35]
	v_cndmask_b32_e64 v2, 0, v2, s[20:21]
	v_add_u32_e32 v2, v2, v30
	v_cndmask_b32_e64 v2, 0, v2, s[22:23]
	v_add_u32_e32 v2, v2, v32
	v_cndmask_b32_e64 v2, 0, v2, s[24:25]
	v_add_u32_e32 v2, v2, v34
	v_cmp_gt_u64_e64 s[26:27], s[46:47], v[36:37]
	v_cmp_gt_u64_e64 s[28:29], s[46:47], v[38:39]
	v_cmp_gt_u64_e64 s[30:31], s[46:47], v[40:41]
	v_cndmask_b32_e64 v2, 0, v2, s[26:27]
	v_add_u32_e32 v2, v2, v36
	v_cndmask_b32_e64 v2, 0, v2, s[28:29]
	v_add_u32_e32 v2, v2, v38
	v_cndmask_b32_e64 v2, 0, v2, s[30:31]
	v_add_u32_e32 v2, v2, v40
	v_cmp_gt_u64_e64 s[34:35], s[46:47], v[42:43]
	v_cmp_gt_u64_e64 s[36:37], s[46:47], v[44:45]
	v_cmp_gt_u64_e64 s[38:39], s[46:47], v[46:47]
	v_cndmask_b32_e64 v2, 0, v2, s[34:35]
	v_add_u32_e32 v2, v2, v42
	v_cndmask_b32_e64 v2, 0, v2, s[36:37]
	v_add_u32_e32 v2, v2, v44
	v_cndmask_b32_e64 v2, 0, v2, s[38:39]
	v_add_u32_e32 v2, v2, v46
	v_cmp_gt_u64_e64 s[40:41], s[46:47], v[48:49]
	v_cmp_gt_u64_e64 s[42:43], s[46:47], v[50:51]
	v_cmp_gt_u64_e64 s[44:45], s[46:47], v[52:53]
	v_cndmask_b32_e64 v2, 0, v2, s[40:41]
	v_add_u32_e32 v2, v2, v48
	v_cndmask_b32_e64 v2, 0, v2, s[42:43]
	v_add_u32_e32 v2, v2, v50
	v_cndmask_b32_e64 v2, 0, v2, s[44:45]
	v_add_u32_e32 v2, v2, v52
	v_cmp_gt_u64_e64 s[46:47], s[46:47], v[56:57]
	s_nop 1
	v_cndmask_b32_e64 v2, 0, v2, s[46:47]
	v_add_u32_e32 v62, v2, v56
	v_or3_b32 v2, v55, v51, v49
	v_or3_b32 v2, v2, v47, v45
	;; [unrolled: 1-line block ×10, first 2 shown]
	v_and_b32_e32 v2, 1, v2
	v_cmp_eq_u32_e64 s[46:47], 1, v2
	v_add_lshl_u32 v2, v1, v0, 3
	s_nop 0
	v_cndmask_b32_e64 v63, v11, 1, s[46:47]
	ds_write_b32 v2, v62
	ds_write_b8 v2, v63 offset:4
	s_waitcnt lgkmcnt(0)
	s_barrier
	s_and_saveexec_b64 s[48:49], vcc
	s_cbranch_execz .LBB463_163
; %bb.152:
	v_lshrrev_b32_e32 v2, 3, v0
	v_add_lshl_u32 v4, v2, v54, 3
	ds_read2_b32 v[6:7], v4 offset0:2 offset1:4
	ds_read_b64 v[2:3], v4
	ds_read_u8 v8, v4 offset:12
	ds_read_u8 v9, v4 offset:20
	ds_read_b32 v58, v4 offset:24
	ds_read_u8 v59, v4 offset:28
	v_mov_b32_e32 v60, 0
	s_waitcnt lgkmcnt(3)
	v_cmp_eq_u16_sdwa s[46:47], v8, v60 src0_sel:BYTE_0 src1_sel:DWORD
	v_and_b32_e32 v5, 1, v3
	s_nop 0
	v_cndmask_b32_e64 v61, 0, v2, s[46:47]
	v_add_u32_e32 v6, v61, v6
	s_waitcnt lgkmcnt(2)
	v_cmp_eq_u16_sdwa s[46:47], v9, v60 src0_sel:BYTE_0 src1_sel:DWORD
	s_nop 1
	v_cndmask_b32_e64 v6, 0, v6, s[46:47]
	v_add_u32_e32 v6, v6, v7
	s_waitcnt lgkmcnt(0)
	v_cmp_eq_u16_e64 s[46:47], 0, v59
	s_nop 1
	v_cndmask_b32_e64 v6, 0, v6, s[46:47]
	v_add_u32_e32 v7, v6, v58
	v_or_b32_e32 v6, v59, v9
	v_or_b32_e32 v6, v6, v8
	v_and_b32_e32 v6, 1, v6
	v_cmp_eq_u32_e64 s[46:47], 1, v6
	v_mbcnt_lo_u32_b32 v8, -1, 0
	v_and_b32_e32 v6, 0xffffff00, v3
	v_cndmask_b32_e64 v9, v5, 1, s[46:47]
	v_mbcnt_hi_u32_b32 v8, -1, v8
	v_and_b32_e32 v59, 15, v8
	v_or_b32_sdwa v58, v6, v9 dst_sel:DWORD dst_unused:UNUSED_PAD src0_sel:DWORD src1_sel:WORD_0
	v_mov_b32_dpp v60, v7 row_shr:1 row_mask:0xf bank_mask:0xf
	v_cmp_ne_u32_e64 s[46:47], 0, v59
	v_mov_b32_dpp v61, v58 row_shr:1 row_mask:0xf bank_mask:0xf
	s_and_saveexec_b64 s[52:53], s[46:47]
; %bb.153:
	v_and_b32_e32 v58, 1, v9
	v_and_b32_e32 v61, 1, v61
	v_cmp_eq_u32_e64 s[46:47], 1, v58
	s_nop 1
	v_cndmask_b32_e64 v61, v61, 1, s[46:47]
	v_cmp_eq_u16_e64 s[46:47], 0, v9
	v_or_b32_sdwa v58, v6, v61 dst_sel:DWORD dst_unused:UNUSED_PAD src0_sel:DWORD src1_sel:WORD_0
	s_nop 0
	v_cndmask_b32_e64 v9, 0, v60, s[46:47]
	v_add_u32_e32 v7, v9, v7
	v_mov_b32_e32 v9, v61
; %bb.154:
	s_or_b64 exec, exec, s[52:53]
	v_mov_b32_dpp v60, v7 row_shr:2 row_mask:0xf bank_mask:0xf
	v_mov_b32_dpp v61, v58 row_shr:2 row_mask:0xf bank_mask:0xf
	v_cmp_lt_u32_e64 s[46:47], 1, v59
	s_and_saveexec_b64 s[52:53], s[46:47]
; %bb.155:
	v_and_b32_e32 v58, 1, v9
	v_and_b32_e32 v61, 1, v61
	v_cmp_eq_u32_e64 s[46:47], 1, v58
	s_nop 1
	v_cndmask_b32_e64 v61, v61, 1, s[46:47]
	v_cmp_eq_u16_e64 s[46:47], 0, v9
	v_or_b32_sdwa v58, v6, v61 dst_sel:DWORD dst_unused:UNUSED_PAD src0_sel:DWORD src1_sel:WORD_0
	s_nop 0
	v_cndmask_b32_e64 v9, 0, v60, s[46:47]
	v_add_u32_e32 v7, v9, v7
	v_mov_b32_e32 v9, v61
; %bb.156:
	s_or_b64 exec, exec, s[52:53]
	v_mov_b32_dpp v60, v7 row_shr:4 row_mask:0xf bank_mask:0xf
	v_mov_b32_dpp v61, v58 row_shr:4 row_mask:0xf bank_mask:0xf
	v_cmp_lt_u32_e64 s[46:47], 3, v59
	;; [unrolled: 18-line block ×3, first 2 shown]
	s_and_saveexec_b64 s[52:53], s[46:47]
; %bb.159:
	v_and_b32_e32 v58, 1, v9
	v_and_b32_e32 v59, 1, v61
	v_cmp_eq_u32_e64 s[46:47], 1, v58
	s_nop 1
	v_cndmask_b32_e64 v59, v59, 1, s[46:47]
	v_cmp_eq_u16_e64 s[46:47], 0, v9
	v_or_b32_sdwa v58, v6, v59 dst_sel:DWORD dst_unused:UNUSED_PAD src0_sel:DWORD src1_sel:WORD_0
	s_nop 0
	v_cndmask_b32_e64 v9, 0, v60, s[46:47]
	v_add_u32_e32 v7, v9, v7
	v_mov_b32_e32 v9, v59
; %bb.160:
	s_or_b64 exec, exec, s[52:53]
	v_and_b32_e32 v61, 16, v8
	v_mov_b32_dpp v59, v7 row_bcast:15 row_mask:0xf bank_mask:0xf
	v_mov_b32_dpp v60, v58 row_bcast:15 row_mask:0xf bank_mask:0xf
	v_cmp_ne_u32_e64 s[46:47], 0, v61
	s_and_saveexec_b64 s[52:53], s[46:47]
; %bb.161:
	v_and_b32_e32 v58, 1, v9
	v_and_b32_e32 v60, 1, v60
	v_cmp_eq_u32_e64 s[46:47], 1, v58
	s_nop 1
	v_cndmask_b32_e64 v60, v60, 1, s[46:47]
	v_cmp_eq_u16_e64 s[46:47], 0, v9
	v_or_b32_sdwa v58, v6, v60 dst_sel:DWORD dst_unused:UNUSED_PAD src0_sel:DWORD src1_sel:WORD_0
	s_nop 0
	v_cndmask_b32_e64 v9, 0, v59, s[46:47]
	v_add_u32_e32 v7, v9, v7
	v_mov_b32_e32 v9, v60
; %bb.162:
	s_or_b64 exec, exec, s[52:53]
	v_mov_b32_dpp v58, v58 row_bcast:31 row_mask:0xf bank_mask:0xf
	v_and_b32_e32 v60, 1, v9
	v_and_b32_e32 v58, 1, v58
	v_cmp_eq_u32_e64 s[46:47], 1, v60
	v_mov_b32_e32 v60, 0
	v_cmp_eq_u16_sdwa s[52:53], v9, v60 src0_sel:BYTE_0 src1_sel:DWORD
	v_cndmask_b32_e64 v58, v58, 1, s[46:47]
	v_cmp_lt_u32_e64 s[46:47], 31, v8
	v_mov_b32_dpp v59, v7 row_bcast:31 row_mask:0xf bank_mask:0xf
	s_movk_i32 s3, 0xff
	v_cndmask_b32_e64 v9, v9, v58, s[46:47]
	s_and_b64 s[46:47], s[46:47], s[52:53]
	v_cndmask_b32_e64 v58, 0, v59, s[46:47]
	v_add_u32_e32 v7, v58, v7
	v_add_u32_e32 v58, -1, v8
	v_and_b32_e32 v59, 64, v8
	v_cmp_lt_i32_e64 s[46:47], v58, v59
	v_and_or_b32 v6, v9, s3, v6
	s_nop 0
	v_cndmask_b32_e64 v8, v58, v8, s[46:47]
	v_lshlrev_b32_e32 v8, 2, v8
	ds_bpermute_b32 v7, v8, v7
	ds_bpermute_b32 v6, v8, v6
	v_cmp_eq_u16_sdwa s[46:47], v3, v60 src0_sel:BYTE_0 src1_sel:DWORD
	; wave barrier
	s_waitcnt lgkmcnt(1)
	s_nop 0
	v_cndmask_b32_e64 v3, 0, v7, s[46:47]
	v_add_u32_e32 v2, v3, v2
	s_waitcnt lgkmcnt(0)
	v_and_b32_e32 v3, 1, v6
	v_cmp_eq_u32_e64 s[46:47], 1, v5
	s_nop 1
	v_cndmask_b32_e64 v3, v3, 1, s[46:47]
	v_cmp_eq_u32_e64 s[46:47], 0, v0
	s_nop 1
	v_cndmask_b32_e64 v5, v2, v62, s[46:47]
	v_cndmask_b32_e64 v6, v3, v63, s[46:47]
	ds_write_b32 v4, v5
	ds_write_b8 v4, v6 offset:4
	; wave barrier
	ds_read_u8 v7, v4 offset:12
	ds_read2_b32 v[2:3], v4 offset0:2 offset1:4
	ds_read_u8 v8, v4 offset:20
	ds_read_b32 v9, v4 offset:24
	ds_read_u8 v58, v4 offset:28
	s_waitcnt lgkmcnt(4)
	v_cmp_eq_u16_e64 s[46:47], 0, v7
	s_nop 1
	v_cndmask_b32_e64 v5, 0, v5, s[46:47]
	s_waitcnt lgkmcnt(3)
	v_add_u32_e32 v2, v5, v2
	v_and_b32_e32 v5, 1, v7
	v_cmp_eq_u32_e64 s[46:47], 1, v5
	s_nop 1
	v_cndmask_b32_e64 v5, v6, 1, s[46:47]
	s_waitcnt lgkmcnt(2)
	v_cmp_eq_u16_e64 s[46:47], 0, v8
	ds_write_b8 v4, v5 offset:12
	s_nop 0
	v_cndmask_b32_e64 v6, 0, v2, s[46:47]
	v_add_u32_e32 v3, v6, v3
	v_and_b32_e32 v6, 1, v8
	v_cmp_eq_u32_e64 s[46:47], 1, v6
	s_nop 1
	v_cndmask_b32_e64 v5, v5, 1, s[46:47]
	s_waitcnt lgkmcnt(1)
	v_cmp_eq_u16_e64 s[46:47], 0, v58
	ds_write2_b32 v4, v2, v3 offset0:2 offset1:4
	ds_write_b8 v4, v5 offset:20
	v_cndmask_b32_e64 v2, 0, v3, s[46:47]
	v_and_b32_e32 v3, 1, v58
	v_add_u32_e32 v2, v2, v9
	v_cmp_eq_u32_e64 s[46:47], 1, v3
	s_nop 1
	v_cndmask_b32_e64 v3, v5, 1, s[46:47]
	ds_write_b32 v4, v2 offset:24
	ds_write_b8 v4, v3 offset:28
.LBB463_163:
	s_or_b64 exec, exec, s[48:49]
	v_cmp_eq_u32_e64 s[46:47], 0, v0
	v_cmp_ne_u32_e64 s[48:49], 0, v0
	s_waitcnt lgkmcnt(0)
	s_barrier
	s_and_saveexec_b64 s[52:53], s[48:49]
	s_cbranch_execz .LBB463_165
; %bb.164:
	v_add_u32_e32 v2, -1, v0
	v_lshrrev_b32_e32 v3, 5, v2
	v_add_lshl_u32 v2, v3, v2, 3
	ds_read_b32 v62, v2
	ds_read_u8 v63, v2 offset:4
.LBB463_165:
	s_or_b64 exec, exec, s[52:53]
	s_and_saveexec_b64 s[60:61], vcc
	s_cbranch_execz .LBB463_184
; %bb.166:
	v_mov_b32_e32 v5, 0
	ds_read_b64 v[2:3], v5 offset:2096
	v_mbcnt_lo_u32_b32 v4, -1, 0
	v_mbcnt_hi_u32_b32 v73, -1, v4
	s_mov_b32 s71, 0
	v_cmp_eq_u32_e64 s[48:49], 0, v73
	s_waitcnt lgkmcnt(0)
	v_readfirstlane_b32 s3, v3
	s_and_saveexec_b64 s[52:53], s[48:49]
	s_cbranch_execz .LBB463_168
; %bb.167:
	s_add_i32 s70, s2, 64
	s_lshl_b64 s[72:73], s[70:71], 4
	s_add_u32 s72, s56, s72
	s_addc_u32 s73, s57, s73
	s_and_b32 s75, s3, 0xff000000
	s_mov_b32 s74, s71
	s_and_b32 s79, s3, 0xff0000
	s_mov_b32 s78, s71
	s_or_b64 s[74:75], s[78:79], s[74:75]
	s_and_b32 s79, s3, 0xff00
	s_or_b64 s[74:75], s[74:75], s[78:79]
	s_and_b32 s79, s3, 0xff
	s_or_b64 s[70:71], s[74:75], s[78:79]
	v_mov_b32_e32 v3, s71
	v_mov_b32_e32 v4, 1
	v_mov_b64_e32 v[6:7], s[72:73]
	;;#ASMSTART
	global_store_dwordx4 v[6:7], v[2:5] off sc1	
s_waitcnt vmcnt(0)
	;;#ASMEND
.LBB463_168:
	s_or_b64 exec, exec, s[52:53]
	v_xad_u32 v58, v73, -1, s2
	v_add_u32_e32 v4, 64, v58
	v_lshl_add_u64 v[60:61], v[4:5], 4, s[56:57]
	;;#ASMSTART
	global_load_dwordx4 v[6:9], v[60:61] off sc1	
s_waitcnt vmcnt(0)
	;;#ASMEND
	s_nop 0
	v_and_b32_e32 v3, 0xff0000, v6
	v_and_b32_e32 v4, 0xff000000, v6
	v_and_b32_e32 v7, 0xff, v7
	v_or_b32_sdwa v3, v6, v3 dst_sel:DWORD dst_unused:UNUSED_PAD src0_sel:WORD_0 src1_sel:DWORD
	v_or3_b32 v7, 0, 0, v7
	v_or3_b32 v6, v3, v4, 0
	v_cmp_eq_u16_sdwa s[70:71], v8, v5 src0_sel:BYTE_0 src1_sel:DWORD
	s_and_saveexec_b64 s[52:53], s[70:71]
	s_cbranch_execz .LBB463_172
; %bb.169:
	s_mov_b64 s[70:71], 0
	v_mov_b32_e32 v3, 0
.LBB463_170:                            ; =>This Inner Loop Header: Depth=1
	;;#ASMSTART
	global_load_dwordx4 v[6:9], v[60:61] off sc1	
s_waitcnt vmcnt(0)
	;;#ASMEND
	s_nop 0
	v_cmp_ne_u16_sdwa s[72:73], v8, v3 src0_sel:BYTE_0 src1_sel:DWORD
	s_or_b64 s[70:71], s[72:73], s[70:71]
	s_andn2_b64 exec, exec, s[70:71]
	s_cbranch_execnz .LBB463_170
; %bb.171:
	s_or_b64 exec, exec, s[70:71]
	v_and_b32_e32 v7, 0xff, v7
.LBB463_172:
	s_or_b64 exec, exec, s[52:53]
	v_mov_b32_e32 v3, 2
	v_cmp_eq_u16_sdwa s[52:53], v8, v3 src0_sel:BYTE_0 src1_sel:DWORD
	v_lshlrev_b64 v[4:5], v73, -1
	v_and_b32_e32 v64, 63, v73
	v_and_b32_e32 v9, s53, v5
	v_or_b32_e32 v9, 0x80000000, v9
	v_and_b32_e32 v59, s52, v4
	v_ffbl_b32_e32 v9, v9
	v_add_u32_e32 v9, 32, v9
	v_ffbl_b32_e32 v59, v59
	v_cmp_ne_u32_e32 vcc, 63, v64
	v_min_u32_e32 v9, v59, v9
	s_mov_b32 s70, 0
	v_addc_co_u32_e32 v59, vcc, 0, v73, vcc
	v_lshlrev_b32_e32 v65, 2, v59
	ds_bpermute_b32 v59, v65, v7
	ds_bpermute_b32 v60, v65, v6
	v_and_b32_e32 v61, 1, v7
	s_mov_b32 s71, 1
	v_cmp_eq_u32_e32 vcc, 1, v61
	s_waitcnt lgkmcnt(1)
	v_and_b32_e32 v59, 1, v59
	v_cmp_lt_u32_e64 s[52:53], v64, v9
	v_cndmask_b32_e64 v59, v59, 1, vcc
	v_cmp_gt_u64_e32 vcc, s[70:71], v[6:7]
	s_and_b64 vcc, s[52:53], vcc
	v_and_b32_e32 v61, 0xffff, v59
	v_cndmask_b32_e64 v68, v7, v59, s[52:53]
	s_waitcnt lgkmcnt(0)
	v_cndmask_b32_e32 v59, 0, v60, vcc
	v_cmp_gt_u32_e32 vcc, 62, v64
	v_cndmask_b32_e64 v7, v7, v61, s[52:53]
	v_add_u32_e32 v6, v59, v6
	v_cndmask_b32_e64 v60, 0, 1, vcc
	v_lshlrev_b32_e32 v60, 1, v60
	v_add_lshl_u32 v66, v60, v73, 2
	ds_bpermute_b32 v60, v66, v7
	ds_bpermute_b32 v61, v66, v6
	v_and_b32_e32 v59, 1, v68
	v_cmp_eq_u32_e32 vcc, 1, v59
	v_mov_b32_e32 v59, 0
	s_waitcnt lgkmcnt(1)
	v_and_b32_e32 v60, 1, v60
	v_add_u32_e32 v67, 2, v64
	v_cndmask_b32_e64 v60, v60, 1, vcc
	v_cmp_eq_u16_sdwa vcc, v68, v59 src0_sel:BYTE_0 src1_sel:DWORD
	v_and_b32_e32 v69, 0xffff, v60
	v_add_u32_e32 v77, 32, v64
	s_waitcnt lgkmcnt(0)
	v_cndmask_b32_e32 v61, 0, v61, vcc
	v_cmp_gt_u32_e32 vcc, v67, v9
	s_nop 1
	v_cndmask_b32_e32 v60, v60, v68, vcc
	v_cndmask_b32_e64 v61, v61, 0, vcc
	v_cndmask_b32_e32 v7, v69, v7, vcc
	v_cmp_gt_u32_e32 vcc, 60, v64
	v_add_u32_e32 v6, v61, v6
	v_and_b32_e32 v71, 1, v60
	v_cndmask_b32_e64 v68, 0, 1, vcc
	v_lshlrev_b32_e32 v68, 2, v68
	v_add_lshl_u32 v68, v68, v73, 2
	ds_bpermute_b32 v70, v68, v7
	ds_bpermute_b32 v61, v68, v6
	v_cmp_eq_u32_e32 vcc, 1, v71
	v_add_u32_e32 v69, 4, v64
	s_waitcnt lgkmcnt(1)
	v_and_b32_e32 v70, 1, v70
	v_cndmask_b32_e64 v70, v70, 1, vcc
	v_cmp_eq_u16_sdwa vcc, v60, v59 src0_sel:BYTE_0 src1_sel:DWORD
	v_and_b32_e32 v71, 0xffff, v70
	s_waitcnt lgkmcnt(0)
	v_cndmask_b32_e32 v61, 0, v61, vcc
	v_cmp_gt_u32_e32 vcc, v69, v9
	s_nop 1
	v_cndmask_b32_e32 v60, v70, v60, vcc
	v_cndmask_b32_e64 v61, v61, 0, vcc
	v_cndmask_b32_e32 v7, v71, v7, vcc
	v_cmp_gt_u32_e32 vcc, 56, v64
	v_add_u32_e32 v6, v61, v6
	v_and_b32_e32 v74, 1, v60
	v_cndmask_b32_e64 v70, 0, 1, vcc
	v_lshlrev_b32_e32 v70, 3, v70
	v_add_lshl_u32 v70, v70, v73, 2
	ds_bpermute_b32 v72, v70, v7
	ds_bpermute_b32 v61, v70, v6
	v_cmp_eq_u32_e32 vcc, 1, v74
	v_add_u32_e32 v71, 8, v64
	s_waitcnt lgkmcnt(1)
	v_and_b32_e32 v72, 1, v72
	v_cndmask_b32_e64 v72, v72, 1, vcc
	v_cmp_eq_u16_sdwa vcc, v60, v59 src0_sel:BYTE_0 src1_sel:DWORD
	v_and_b32_e32 v74, 0xffff, v72
	s_waitcnt lgkmcnt(0)
	v_cndmask_b32_e32 v61, 0, v61, vcc
	v_cmp_gt_u32_e32 vcc, v71, v9
	s_nop 1
	v_cndmask_b32_e32 v60, v72, v60, vcc
	v_cndmask_b32_e64 v61, v61, 0, vcc
	v_cndmask_b32_e32 v7, v74, v7, vcc
	v_cmp_gt_u32_e32 vcc, 48, v64
	v_add_u32_e32 v6, v61, v6
	v_and_b32_e32 v76, 1, v60
	v_cndmask_b32_e64 v72, 0, 1, vcc
	v_lshlrev_b32_e32 v72, 4, v72
	v_add_lshl_u32 v72, v72, v73, 2
	ds_bpermute_b32 v75, v72, v7
	ds_bpermute_b32 v61, v72, v6
	v_cmp_eq_u32_e32 vcc, 1, v76
	v_add_u32_e32 v74, 16, v64
	s_waitcnt lgkmcnt(1)
	v_and_b32_e32 v75, 1, v75
	v_cndmask_b32_e64 v75, v75, 1, vcc
	v_cmp_eq_u16_sdwa vcc, v60, v59 src0_sel:BYTE_0 src1_sel:DWORD
	v_and_b32_e32 v76, 0xffff, v75
	s_waitcnt lgkmcnt(0)
	v_cndmask_b32_e32 v61, 0, v61, vcc
	v_cmp_gt_u32_e32 vcc, v74, v9
	s_nop 1
	v_cndmask_b32_e32 v60, v75, v60, vcc
	v_cndmask_b32_e64 v61, v61, 0, vcc
	v_cndmask_b32_e32 v7, v76, v7, vcc
	v_cmp_gt_u32_e32 vcc, 32, v64
	v_add_u32_e32 v6, v61, v6
	s_nop 0
	v_cndmask_b32_e64 v75, 0, 1, vcc
	v_lshlrev_b32_e32 v75, 5, v75
	v_add_lshl_u32 v76, v75, v73, 2
	ds_bpermute_b32 v7, v76, v7
	ds_bpermute_b32 v61, v76, v6
	v_and_b32_e32 v73, 1, v60
	v_cmp_eq_u32_e32 vcc, 1, v73
	s_waitcnt lgkmcnt(1)
	v_and_b32_e32 v7, 1, v7
	v_cndmask_b32_e64 v7, v7, 1, vcc
	v_cmp_eq_u16_sdwa vcc, v60, v59 src0_sel:BYTE_0 src1_sel:DWORD
	s_waitcnt lgkmcnt(0)
	s_nop 0
	v_cndmask_b32_e32 v61, 0, v61, vcc
	v_cmp_gt_u32_e32 vcc, v77, v9
	s_nop 1
	v_cndmask_b32_e64 v9, v61, 0, vcc
	v_cndmask_b32_e32 v7, v7, v60, vcc
	v_add_u32_e32 v6, v9, v6
	s_branch .LBB463_174
.LBB463_173:                            ;   in Loop: Header=BB463_174 Depth=1
	s_or_b64 exec, exec, s[52:53]
	v_cmp_eq_u16_sdwa s[52:53], v8, v3 src0_sel:BYTE_0 src1_sel:DWORD
	ds_bpermute_b32 v61, v65, v7
	v_and_b32_e32 v78, 1, v7
	v_and_b32_e32 v9, s53, v5
	v_or_b32_e32 v9, 0x80000000, v9
	v_and_b32_e32 v60, s52, v4
	v_ffbl_b32_e32 v9, v9
	v_add_u32_e32 v9, 32, v9
	v_ffbl_b32_e32 v60, v60
	v_min_u32_e32 v9, v60, v9
	ds_bpermute_b32 v60, v65, v6
	s_waitcnt lgkmcnt(1)
	v_and_b32_e32 v61, 1, v61
	v_cmp_eq_u32_e32 vcc, 1, v78
	v_cmp_lt_u32_e64 s[52:53], v64, v9
	v_subrev_u32_e32 v58, 64, v58
	v_cndmask_b32_e64 v61, v61, 1, vcc
	v_cmp_gt_u64_e32 vcc, s[70:71], v[6:7]
	v_and_b32_e32 v78, 0xffff, v61
	v_cndmask_b32_e64 v61, v7, v61, s[52:53]
	v_cndmask_b32_e64 v7, v7, v78, s[52:53]
	s_and_b64 vcc, s[52:53], vcc
	ds_bpermute_b32 v78, v66, v7
	s_waitcnt lgkmcnt(1)
	v_cndmask_b32_e32 v60, 0, v60, vcc
	v_add_u32_e32 v6, v60, v6
	ds_bpermute_b32 v60, v66, v6
	v_and_b32_e32 v79, 1, v61
	s_waitcnt lgkmcnt(1)
	v_and_b32_e32 v78, 1, v78
	v_cmp_eq_u32_e32 vcc, 1, v79
	s_nop 1
	v_cndmask_b32_e64 v78, v78, 1, vcc
	v_cmp_eq_u16_sdwa vcc, v61, v59 src0_sel:BYTE_0 src1_sel:DWORD
	v_and_b32_e32 v79, 0xffff, v78
	s_waitcnt lgkmcnt(0)
	v_cndmask_b32_e32 v60, 0, v60, vcc
	v_cmp_gt_u32_e32 vcc, v67, v9
	s_nop 1
	v_cndmask_b32_e32 v7, v79, v7, vcc
	v_cndmask_b32_e32 v61, v78, v61, vcc
	ds_bpermute_b32 v78, v68, v7
	v_cndmask_b32_e64 v60, v60, 0, vcc
	v_add_u32_e32 v6, v60, v6
	ds_bpermute_b32 v60, v68, v6
	v_and_b32_e32 v79, 1, v61
	s_waitcnt lgkmcnt(1)
	v_and_b32_e32 v78, 1, v78
	v_cmp_eq_u32_e32 vcc, 1, v79
	s_nop 1
	v_cndmask_b32_e64 v78, v78, 1, vcc
	v_cmp_eq_u16_sdwa vcc, v61, v59 src0_sel:BYTE_0 src1_sel:DWORD
	v_and_b32_e32 v79, 0xffff, v78
	s_waitcnt lgkmcnt(0)
	v_cndmask_b32_e32 v60, 0, v60, vcc
	v_cmp_gt_u32_e32 vcc, v69, v9
	s_nop 1
	v_cndmask_b32_e32 v7, v79, v7, vcc
	v_cndmask_b32_e32 v61, v78, v61, vcc
	ds_bpermute_b32 v78, v70, v7
	v_cndmask_b32_e64 v60, v60, 0, vcc
	;; [unrolled: 18-line block ×3, first 2 shown]
	v_add_u32_e32 v6, v60, v6
	ds_bpermute_b32 v60, v72, v6
	v_and_b32_e32 v79, 1, v61
	s_waitcnt lgkmcnt(1)
	v_and_b32_e32 v78, 1, v78
	v_cmp_eq_u32_e32 vcc, 1, v79
	s_nop 1
	v_cndmask_b32_e64 v78, v78, 1, vcc
	v_cmp_eq_u16_sdwa vcc, v61, v59 src0_sel:BYTE_0 src1_sel:DWORD
	v_and_b32_e32 v79, 0xffff, v78
	s_waitcnt lgkmcnt(0)
	v_cndmask_b32_e32 v60, 0, v60, vcc
	v_cmp_gt_u32_e32 vcc, v74, v9
	s_nop 1
	v_cndmask_b32_e64 v60, v60, 0, vcc
	v_cndmask_b32_e32 v7, v79, v7, vcc
	ds_bpermute_b32 v7, v76, v7
	v_add_u32_e32 v6, v60, v6
	ds_bpermute_b32 v60, v76, v6
	v_cndmask_b32_e32 v61, v78, v61, vcc
	v_and_b32_e32 v78, 1, v61
	v_cmp_eq_u32_e32 vcc, 1, v78
	s_waitcnt lgkmcnt(1)
	s_nop 0
	v_cndmask_b32_e64 v7, v7, 1, vcc
	v_cmp_eq_u16_sdwa vcc, v61, v59 src0_sel:BYTE_0 src1_sel:DWORD
	s_waitcnt lgkmcnt(0)
	s_nop 0
	v_cndmask_b32_e32 v60, 0, v60, vcc
	v_cmp_gt_u32_e32 vcc, v77, v9
	s_nop 1
	v_cndmask_b32_e64 v9, v60, 0, vcc
	v_cndmask_b32_e32 v7, v7, v61, vcc
	v_add_u32_e32 v6, v9, v6
	v_cmp_eq_u16_sdwa vcc, v73, v59 src0_sel:BYTE_0 src1_sel:DWORD
	v_and_b32_e32 v9, 1, v73
	v_and_b32_e32 v7, 1, v7
	v_cndmask_b32_e32 v6, 0, v6, vcc
	v_cmp_eq_u32_e32 vcc, 1, v9
	v_add_u32_e32 v6, v6, v75
	s_nop 0
	v_cndmask_b32_e64 v7, v7, 1, vcc
.LBB463_174:                            ; =>This Loop Header: Depth=1
                                        ;     Child Loop BB463_177 Depth 2
	v_cmp_ne_u16_sdwa s[52:53], v8, v3 src0_sel:BYTE_0 src1_sel:DWORD
	v_mov_b32_e32 v73, v7
	v_mov_b32_e32 v75, v6
	v_cndmask_b32_e64 v7, 0, 1, s[52:53]
	;;#ASMSTART
	;;#ASMEND
	s_nop 0
	v_cmp_ne_u32_e32 vcc, 0, v7
	s_cmp_lg_u64 vcc, exec
	s_cbranch_scc1 .LBB463_179
; %bb.175:                              ;   in Loop: Header=BB463_174 Depth=1
	v_lshl_add_u64 v[60:61], v[58:59], 4, s[56:57]
	;;#ASMSTART
	global_load_dwordx4 v[6:9], v[60:61] off sc1	
s_waitcnt vmcnt(0)
	;;#ASMEND
	s_nop 0
	v_and_b32_e32 v9, 0xff0000, v6
	v_and_b32_e32 v78, 0xff000000, v6
	;; [unrolled: 1-line block ×3, first 2 shown]
	v_or_b32_sdwa v6, v6, v9 dst_sel:DWORD dst_unused:UNUSED_PAD src0_sel:WORD_0 src1_sel:DWORD
	v_or3_b32 v7, 0, 0, v7
	v_or3_b32 v6, v6, v78, 0
	v_cmp_eq_u16_sdwa s[72:73], v8, v59 src0_sel:BYTE_0 src1_sel:DWORD
	s_and_saveexec_b64 s[52:53], s[72:73]
	s_cbranch_execz .LBB463_173
; %bb.176:                              ;   in Loop: Header=BB463_174 Depth=1
	s_mov_b64 s[72:73], 0
.LBB463_177:                            ;   Parent Loop BB463_174 Depth=1
                                        ; =>  This Inner Loop Header: Depth=2
	;;#ASMSTART
	global_load_dwordx4 v[6:9], v[60:61] off sc1	
s_waitcnt vmcnt(0)
	;;#ASMEND
	s_nop 0
	v_cmp_ne_u16_sdwa s[74:75], v8, v59 src0_sel:BYTE_0 src1_sel:DWORD
	s_or_b64 s[72:73], s[74:75], s[72:73]
	s_andn2_b64 exec, exec, s[72:73]
	s_cbranch_execnz .LBB463_177
; %bb.178:                              ;   in Loop: Header=BB463_174 Depth=1
	s_or_b64 exec, exec, s[72:73]
	v_and_b32_e32 v7, 0xff, v7
	s_branch .LBB463_173
.LBB463_179:                            ;   in Loop: Header=BB463_174 Depth=1
                                        ; implicit-def: $vgpr7
                                        ; implicit-def: $vgpr6
                                        ; implicit-def: $vgpr8
	s_cbranch_execz .LBB463_174
; %bb.180:
	s_and_saveexec_b64 s[52:53], s[48:49]
	s_cbranch_execz .LBB463_182
; %bb.181:
	s_and_b32 s48, s3, 0xff
	s_cmp_eq_u32 s48, 0
	s_cselect_b64 vcc, -1, 0
	s_bitcmp1_b32 s3, 0
	s_mov_b32 s49, 0
	s_cselect_b64 s[70:71], -1, 0
	s_add_i32 s48, s2, 64
	s_lshl_b64 s[2:3], s[48:49], 4
	v_cndmask_b32_e32 v3, 0, v75, vcc
	s_add_u32 s2, s56, s2
	v_add_u32_e32 v2, v3, v2
	v_and_b32_e32 v3, 1, v73
	s_addc_u32 s3, s57, s3
	v_mov_b32_e32 v5, 0
	v_cndmask_b32_e64 v3, v3, 1, s[70:71]
	v_mov_b32_e32 v4, 2
	v_mov_b64_e32 v[6:7], s[2:3]
	;;#ASMSTART
	global_store_dwordx4 v[6:7], v[2:5] off sc1	
s_waitcnt vmcnt(0)
	;;#ASMEND
.LBB463_182:
	s_or_b64 exec, exec, s[52:53]
	s_and_b64 exec, exec, s[46:47]
	s_cbranch_execz .LBB463_184
; %bb.183:
	v_mov_b32_e32 v2, 0
	ds_write_b32 v2, v75
	ds_write_b8 v2, v73 offset:4
.LBB463_184:
	s_or_b64 exec, exec, s[60:61]
	v_mov_b32_e32 v2, 0
	s_waitcnt lgkmcnt(0)
	s_barrier
	ds_read_b32 v3, v2
	v_cmp_eq_u16_sdwa vcc, v63, v2 src0_sel:BYTE_0 src1_sel:DWORD
	s_waitcnt lgkmcnt(0)
	s_nop 0
	v_cndmask_b32_e32 v4, 0, v3, vcc
	v_add_u32_e32 v4, v4, v62
	v_cndmask_b32_e64 v58, v4, v3, s[46:47]
	v_and_b32_e32 v3, 0xff, v11
	v_cmp_eq_u64_e32 vcc, 0, v[2:3]
	s_nop 1
	v_cndmask_b32_e32 v2, 0, v58, vcc
	v_add_u32_e32 v59, v2, v10
	v_cndmask_b32_e64 v2, 0, v59, s[50:51]
	v_add_u32_e32 v60, v2, v12
	v_cndmask_b32_e64 v2, 0, v60, s[4:5]
	v_add_u32_e32 v61, v2, v14
	v_cndmask_b32_e64 v2, 0, v61, s[6:7]
	v_add_u32_e32 v62, v2, v16
	v_cndmask_b32_e64 v2, 0, v62, s[8:9]
	v_add_u32_e32 v63, v2, v18
	v_cndmask_b32_e64 v2, 0, v63, s[10:11]
	v_add_u32_e32 v64, v2, v20
	v_cndmask_b32_e64 v2, 0, v64, s[12:13]
	v_add_u32_e32 v65, v2, v22
	v_cndmask_b32_e64 v2, 0, v65, s[14:15]
	v_add_u32_e32 v66, v2, v24
	v_cndmask_b32_e64 v2, 0, v66, s[16:17]
	v_add_u32_e32 v67, v2, v26
	v_cndmask_b32_e64 v2, 0, v67, s[18:19]
	v_add_u32_e32 v68, v2, v28
	v_cndmask_b32_e64 v2, 0, v68, s[20:21]
	v_add_u32_e32 v69, v2, v30
	v_cndmask_b32_e64 v2, 0, v69, s[22:23]
	v_add_u32_e32 v70, v2, v32
	v_cndmask_b32_e64 v2, 0, v70, s[24:25]
	v_add_u32_e32 v71, v2, v34
	v_cndmask_b32_e64 v2, 0, v71, s[26:27]
	v_add_u32_e32 v72, v2, v36
	v_cndmask_b32_e64 v2, 0, v72, s[28:29]
	v_add_u32_e32 v73, v2, v38
	v_cndmask_b32_e64 v2, 0, v73, s[30:31]
	v_add_u32_e32 v74, v2, v40
	v_cndmask_b32_e64 v2, 0, v74, s[34:35]
	v_add_u32_e32 v75, v2, v42
	v_cndmask_b32_e64 v2, 0, v75, s[36:37]
	v_add_u32_e32 v76, v2, v44
	v_cndmask_b32_e64 v2, 0, v76, s[38:39]
	v_add_u32_e32 v77, v2, v46
	v_cndmask_b32_e64 v2, 0, v77, s[40:41]
	v_add_u32_e32 v78, v2, v48
	v_cndmask_b32_e64 v2, 0, v78, s[42:43]
	v_add_u32_e32 v79, v2, v50
	v_cndmask_b32_e64 v2, 0, v79, s[44:45]
	v_add_u32_e32 v80, v2, v52
	s_branch .LBB463_205
.LBB463_185:
                                        ; implicit-def: $vgpr79
                                        ; implicit-def: $vgpr78
                                        ; implicit-def: $vgpr77
                                        ; implicit-def: $vgpr76
                                        ; implicit-def: $vgpr75
                                        ; implicit-def: $vgpr74
                                        ; implicit-def: $vgpr73
                                        ; implicit-def: $vgpr72
                                        ; implicit-def: $vgpr71
                                        ; implicit-def: $vgpr70
                                        ; implicit-def: $vgpr69
                                        ; implicit-def: $vgpr68
                                        ; implicit-def: $vgpr67
                                        ; implicit-def: $vgpr66
                                        ; implicit-def: $vgpr65
                                        ; implicit-def: $vgpr64
                                        ; implicit-def: $vgpr63
                                        ; implicit-def: $vgpr62
                                        ; implicit-def: $vgpr61
                                        ; implicit-def: $vgpr60
                                        ; implicit-def: $vgpr59
                                        ; implicit-def: $vgpr58
                                        ; implicit-def: $vgpr80
	s_cbranch_execz .LBB463_205
; %bb.186:
	s_cmp_lg_u64 s[68:69], 0
	s_cselect_b32 s3, s63, 0
	s_cselect_b32 s2, s62, 0
	s_mov_b32 s44, 0
	s_cmp_eq_u64 s[2:3], 0
	v_mov_b32_e32 v4, s76
	s_cbranch_scc1 .LBB463_188
; %bb.187:
	v_mov_b32_e32 v2, 0
	global_load_dword v4, v2, s[2:3]
.LBB463_188:
	s_mov_b32 s45, 1
	v_cmp_gt_u64_e32 vcc, s[44:45], v[12:13]
	v_cmp_gt_u64_e64 s[2:3], s[44:45], v[14:15]
	v_cmp_gt_u64_e64 s[4:5], s[44:45], v[16:17]
	v_cndmask_b32_e32 v2, 0, v10, vcc
	v_add_u32_e32 v2, v2, v12
	v_cndmask_b32_e64 v2, 0, v2, s[2:3]
	v_add_u32_e32 v2, v2, v14
	v_cndmask_b32_e64 v2, 0, v2, s[4:5]
	v_add_u32_e32 v2, v2, v16
	v_cmp_gt_u64_e64 s[6:7], s[44:45], v[18:19]
	v_cmp_gt_u64_e64 s[8:9], s[44:45], v[20:21]
	v_cmp_gt_u64_e64 s[10:11], s[44:45], v[22:23]
	v_cndmask_b32_e64 v2, 0, v2, s[6:7]
	v_add_u32_e32 v2, v2, v18
	v_cndmask_b32_e64 v2, 0, v2, s[8:9]
	v_add_u32_e32 v2, v2, v20
	v_cndmask_b32_e64 v2, 0, v2, s[10:11]
	v_add_u32_e32 v2, v2, v22
	v_cmp_gt_u64_e64 s[12:13], s[44:45], v[24:25]
	v_cmp_gt_u64_e64 s[14:15], s[44:45], v[26:27]
	v_cmp_gt_u64_e64 s[16:17], s[44:45], v[28:29]
	v_cndmask_b32_e64 v2, 0, v2, s[12:13]
	;; [unrolled: 9-line block ×6, first 2 shown]
	v_add_u32_e32 v2, v2, v48
	v_cndmask_b32_e64 v2, 0, v2, s[40:41]
	v_add_u32_e32 v2, v2, v50
	v_cndmask_b32_e64 v2, 0, v2, s[42:43]
	v_add_u32_e32 v2, v2, v52
	v_cmp_gt_u64_e64 s[44:45], s[44:45], v[56:57]
	v_add_lshl_u32 v1, v1, v0, 3
	s_nop 0
	v_cndmask_b32_e64 v2, 0, v2, s[44:45]
	v_add_u32_e32 v5, v2, v56
	v_or3_b32 v2, v55, v51, v49
	v_or3_b32 v2, v2, v47, v45
	;; [unrolled: 1-line block ×10, first 2 shown]
	v_and_b32_e32 v2, 1, v2
	v_cmp_eq_u32_e64 s[44:45], 1, v2
	s_nop 1
	v_cndmask_b32_e64 v6, v11, 1, s[44:45]
	v_cmp_gt_u32_e64 s[44:45], 64, v0
	ds_write_b32 v1, v5
	ds_write_b8 v1, v6 offset:4
	s_waitcnt lgkmcnt(0)
	s_barrier
	s_and_saveexec_b64 s[46:47], s[44:45]
	s_cbranch_execz .LBB463_200
; %bb.189:
	v_lshrrev_b32_e32 v1, 3, v0
	v_add_lshl_u32 v1, v1, v54, 3
	ds_read2_b32 v[8:9], v1 offset0:2 offset1:4
	ds_read_b64 v[2:3], v1
	ds_read_u8 v13, v1 offset:12
	ds_read_u8 v15, v1 offset:20
	ds_read_b32 v17, v1 offset:24
	ds_read_u8 v19, v1 offset:28
	v_mov_b32_e32 v21, 0
	s_waitcnt lgkmcnt(3)
	v_cmp_eq_u16_sdwa s[44:45], v13, v21 src0_sel:BYTE_0 src1_sel:DWORD
	v_and_b32_e32 v7, 1, v3
	s_nop 0
	v_cndmask_b32_e64 v23, 0, v2, s[44:45]
	v_add_u32_e32 v8, v23, v8
	s_waitcnt lgkmcnt(2)
	v_cmp_eq_u16_sdwa s[44:45], v15, v21 src0_sel:BYTE_0 src1_sel:DWORD
	s_nop 1
	v_cndmask_b32_e64 v8, 0, v8, s[44:45]
	v_add_u32_e32 v8, v8, v9
	s_waitcnt lgkmcnt(0)
	v_cmp_eq_u16_e64 s[44:45], 0, v19
	s_nop 1
	v_cndmask_b32_e64 v8, 0, v8, s[44:45]
	v_add_u32_e32 v9, v8, v17
	v_or_b32_e32 v8, v19, v15
	v_or_b32_e32 v8, v8, v13
	v_and_b32_e32 v8, 1, v8
	v_cmp_eq_u32_e64 s[44:45], 1, v8
	v_mbcnt_lo_u32_b32 v13, -1, 0
	v_and_b32_e32 v8, 0xffffff00, v3
	v_cndmask_b32_e64 v15, v7, 1, s[44:45]
	v_mbcnt_hi_u32_b32 v13, -1, v13
	v_and_b32_e32 v19, 15, v13
	v_or_b32_sdwa v17, v8, v15 dst_sel:DWORD dst_unused:UNUSED_PAD src0_sel:DWORD src1_sel:WORD_0
	v_mov_b32_dpp v21, v9 row_shr:1 row_mask:0xf bank_mask:0xf
	v_cmp_ne_u32_e64 s[44:45], 0, v19
	v_mov_b32_dpp v23, v17 row_shr:1 row_mask:0xf bank_mask:0xf
	s_and_saveexec_b64 s[48:49], s[44:45]
; %bb.190:
	v_and_b32_e32 v17, 1, v15
	v_and_b32_e32 v23, 1, v23
	v_cmp_eq_u32_e64 s[44:45], 1, v17
	s_nop 1
	v_cndmask_b32_e64 v23, v23, 1, s[44:45]
	v_cmp_eq_u16_e64 s[44:45], 0, v15
	v_or_b32_sdwa v17, v8, v23 dst_sel:DWORD dst_unused:UNUSED_PAD src0_sel:DWORD src1_sel:WORD_0
	s_nop 0
	v_cndmask_b32_e64 v15, 0, v21, s[44:45]
	v_add_u32_e32 v9, v15, v9
	v_mov_b32_e32 v15, v23
; %bb.191:
	s_or_b64 exec, exec, s[48:49]
	v_mov_b32_dpp v21, v9 row_shr:2 row_mask:0xf bank_mask:0xf
	v_mov_b32_dpp v23, v17 row_shr:2 row_mask:0xf bank_mask:0xf
	v_cmp_lt_u32_e64 s[44:45], 1, v19
	s_and_saveexec_b64 s[48:49], s[44:45]
; %bb.192:
	v_and_b32_e32 v17, 1, v15
	v_and_b32_e32 v23, 1, v23
	v_cmp_eq_u32_e64 s[44:45], 1, v17
	s_nop 1
	v_cndmask_b32_e64 v23, v23, 1, s[44:45]
	v_cmp_eq_u16_e64 s[44:45], 0, v15
	v_or_b32_sdwa v17, v8, v23 dst_sel:DWORD dst_unused:UNUSED_PAD src0_sel:DWORD src1_sel:WORD_0
	s_nop 0
	v_cndmask_b32_e64 v15, 0, v21, s[44:45]
	v_add_u32_e32 v9, v15, v9
	v_mov_b32_e32 v15, v23
; %bb.193:
	s_or_b64 exec, exec, s[48:49]
	v_mov_b32_dpp v21, v9 row_shr:4 row_mask:0xf bank_mask:0xf
	v_mov_b32_dpp v23, v17 row_shr:4 row_mask:0xf bank_mask:0xf
	v_cmp_lt_u32_e64 s[44:45], 3, v19
	;; [unrolled: 18-line block ×3, first 2 shown]
	s_and_saveexec_b64 s[48:49], s[44:45]
; %bb.196:
	v_and_b32_e32 v17, 1, v15
	v_and_b32_e32 v19, 1, v23
	v_cmp_eq_u32_e64 s[44:45], 1, v17
	s_nop 1
	v_cndmask_b32_e64 v19, v19, 1, s[44:45]
	v_cmp_eq_u16_e64 s[44:45], 0, v15
	v_or_b32_sdwa v17, v8, v19 dst_sel:DWORD dst_unused:UNUSED_PAD src0_sel:DWORD src1_sel:WORD_0
	s_nop 0
	v_cndmask_b32_e64 v15, 0, v21, s[44:45]
	v_add_u32_e32 v9, v15, v9
	v_mov_b32_e32 v15, v19
; %bb.197:
	s_or_b64 exec, exec, s[48:49]
	v_and_b32_e32 v23, 16, v13
	v_mov_b32_dpp v19, v9 row_bcast:15 row_mask:0xf bank_mask:0xf
	v_mov_b32_dpp v21, v17 row_bcast:15 row_mask:0xf bank_mask:0xf
	v_cmp_ne_u32_e64 s[44:45], 0, v23
	s_and_saveexec_b64 s[48:49], s[44:45]
; %bb.198:
	v_and_b32_e32 v17, 1, v15
	v_and_b32_e32 v21, 1, v21
	v_cmp_eq_u32_e64 s[44:45], 1, v17
	s_nop 1
	v_cndmask_b32_e64 v21, v21, 1, s[44:45]
	v_cmp_eq_u16_e64 s[44:45], 0, v15
	v_or_b32_sdwa v17, v8, v21 dst_sel:DWORD dst_unused:UNUSED_PAD src0_sel:DWORD src1_sel:WORD_0
	s_nop 0
	v_cndmask_b32_e64 v15, 0, v19, s[44:45]
	v_add_u32_e32 v9, v15, v9
	v_mov_b32_e32 v15, v21
; %bb.199:
	s_or_b64 exec, exec, s[48:49]
	v_mov_b32_dpp v17, v17 row_bcast:31 row_mask:0xf bank_mask:0xf
	v_and_b32_e32 v21, 1, v15
	v_and_b32_e32 v17, 1, v17
	v_cmp_eq_u32_e64 s[44:45], 1, v21
	v_mov_b32_e32 v21, 0
	v_cmp_eq_u16_sdwa s[48:49], v15, v21 src0_sel:BYTE_0 src1_sel:DWORD
	v_cndmask_b32_e64 v17, v17, 1, s[44:45]
	v_cmp_lt_u32_e64 s[44:45], 31, v13
	v_mov_b32_dpp v19, v9 row_bcast:31 row_mask:0xf bank_mask:0xf
	s_movk_i32 s50, 0xff
	v_cndmask_b32_e64 v15, v15, v17, s[44:45]
	s_and_b64 s[44:45], s[44:45], s[48:49]
	v_cndmask_b32_e64 v17, 0, v19, s[44:45]
	v_add_u32_e32 v9, v17, v9
	v_add_u32_e32 v17, -1, v13
	v_and_b32_e32 v19, 64, v13
	v_cmp_lt_i32_e64 s[44:45], v17, v19
	v_and_or_b32 v8, v15, s50, v8
	s_nop 0
	v_cndmask_b32_e64 v13, v17, v13, s[44:45]
	v_lshlrev_b32_e32 v13, 2, v13
	ds_bpermute_b32 v9, v13, v9
	ds_bpermute_b32 v8, v13, v8
	v_cmp_eq_u16_sdwa s[44:45], v3, v21 src0_sel:BYTE_0 src1_sel:DWORD
	; wave barrier
	s_waitcnt lgkmcnt(1)
	s_nop 0
	v_cndmask_b32_e64 v3, 0, v9, s[44:45]
	v_add_u32_e32 v2, v3, v2
	s_waitcnt lgkmcnt(0)
	v_and_b32_e32 v3, 1, v8
	v_cmp_eq_u32_e64 s[44:45], 1, v7
	s_nop 1
	v_cndmask_b32_e64 v3, v3, 1, s[44:45]
	v_cmp_eq_u32_e64 s[44:45], 0, v0
	s_nop 1
	v_cndmask_b32_e64 v5, v2, v5, s[44:45]
	v_cndmask_b32_e64 v6, v3, v6, s[44:45]
	ds_write_b32 v1, v5
	ds_write_b8 v1, v6 offset:4
	; wave barrier
	ds_read_u8 v7, v1 offset:12
	ds_read2_b32 v[2:3], v1 offset0:2 offset1:4
	ds_read_u8 v8, v1 offset:20
	ds_read_b32 v9, v1 offset:24
	ds_read_u8 v13, v1 offset:28
	s_waitcnt lgkmcnt(4)
	v_cmp_eq_u16_e64 s[44:45], 0, v7
	s_nop 1
	v_cndmask_b32_e64 v5, 0, v5, s[44:45]
	s_waitcnt lgkmcnt(3)
	v_add_u32_e32 v2, v5, v2
	v_and_b32_e32 v5, 1, v7
	v_cmp_eq_u32_e64 s[44:45], 1, v5
	s_nop 1
	v_cndmask_b32_e64 v5, v6, 1, s[44:45]
	s_waitcnt lgkmcnt(2)
	v_cmp_eq_u16_e64 s[44:45], 0, v8
	ds_write_b8 v1, v5 offset:12
	s_nop 0
	v_cndmask_b32_e64 v6, 0, v2, s[44:45]
	v_add_u32_e32 v3, v6, v3
	v_and_b32_e32 v6, 1, v8
	v_cmp_eq_u32_e64 s[44:45], 1, v6
	s_nop 1
	v_cndmask_b32_e64 v5, v5, 1, s[44:45]
	s_waitcnt lgkmcnt(1)
	v_cmp_eq_u16_e64 s[44:45], 0, v13
	ds_write2_b32 v1, v2, v3 offset0:2 offset1:4
	ds_write_b8 v1, v5 offset:20
	v_cndmask_b32_e64 v2, 0, v3, s[44:45]
	v_and_b32_e32 v3, 1, v13
	v_add_u32_e32 v2, v2, v9
	v_cmp_eq_u32_e64 s[44:45], 1, v3
	s_nop 1
	v_cndmask_b32_e64 v3, v5, 1, s[44:45]
	ds_write_b32 v1, v2 offset:24
	ds_write_b8 v1, v3 offset:28
.LBB463_200:
	s_or_b64 exec, exec, s[46:47]
	v_cmp_eq_u32_e64 s[44:45], 0, v0
	v_cmp_ne_u32_e64 s[46:47], 0, v0
	s_waitcnt vmcnt(0)
	v_mov_b32_e32 v58, v4
	s_waitcnt lgkmcnt(0)
	s_barrier
	s_and_saveexec_b64 s[48:49], s[46:47]
	s_cbranch_execz .LBB463_202
; %bb.201:
	v_add_u32_e32 v1, -1, v0
	v_lshrrev_b32_e32 v2, 5, v1
	v_add_lshl_u32 v1, v2, v1, 3
	ds_read_u8 v2, v1 offset:4
	ds_read_b32 v1, v1
	s_waitcnt lgkmcnt(1)
	v_cmp_eq_u16_e64 s[46:47], 0, v2
	s_nop 1
	v_cndmask_b32_e64 v2, 0, v4, s[46:47]
	s_waitcnt lgkmcnt(0)
	v_add_u32_e32 v58, v2, v1
.LBB463_202:
	s_or_b64 exec, exec, s[48:49]
	v_and_b32_e32 v3, 0xff, v11
	v_mov_b32_e32 v2, 0
	v_cmp_eq_u64_e64 s[46:47], 0, v[2:3]
	s_nop 1
	v_cndmask_b32_e64 v1, 0, v58, s[46:47]
	v_add_u32_e32 v59, v1, v10
	v_cndmask_b32_e32 v1, 0, v59, vcc
	v_add_u32_e32 v60, v1, v12
	v_cndmask_b32_e64 v1, 0, v60, s[2:3]
	v_add_u32_e32 v61, v1, v14
	v_cndmask_b32_e64 v1, 0, v61, s[4:5]
	;; [unrolled: 2-line block ×20, first 2 shown]
	s_and_saveexec_b64 s[2:3], s[44:45]
	s_cbranch_execz .LBB463_204
; %bb.203:
	ds_read_u8 v3, v2 offset:2100
	ds_read_b32 v5, v2 offset:2096
	s_add_u32 s4, s56, 0x400
	s_addc_u32 s5, s57, 0
	v_mov_b32_e32 v6, 2
	s_waitcnt lgkmcnt(1)
	v_cmp_eq_u16_e32 vcc, 0, v3
	v_mov_b32_e32 v7, v2
	s_nop 0
	v_cndmask_b32_e32 v4, 0, v4, vcc
	s_waitcnt lgkmcnt(0)
	v_add_u32_e32 v4, v4, v5
	v_and_b32_e32 v5, 0xffff, v3
	v_mov_b64_e32 v[2:3], s[4:5]
	;;#ASMSTART
	global_store_dwordx4 v[2:3], v[4:7] off sc1	
s_waitcnt vmcnt(0)
	;;#ASMEND
.LBB463_204:
	s_or_b64 exec, exec, s[2:3]
	v_add_u32_e32 v80, v1, v52
.LBB463_205:
	s_add_u32 s2, s54, s64
	s_addc_u32 s3, s55, s65
	s_add_u32 s2, s2, s66
	s_addc_u32 s3, s3, s67
	s_and_b64 vcc, exec, s[0:1]
	s_cbranch_vccz .LBB463_251
; %bb.206:
	s_movk_i32 s0, 0x5c
	v_mul_i32_i24_e32 v26, 0xffffffa8, v0
	v_mul_u32_u24_e32 v1, 0x5c, v0
	v_mad_u32_u24 v2, v0, s0, v26
	s_barrier
	ds_write2_b32 v1, v58, v59 offset1:1
	ds_write2_b32 v1, v60, v61 offset0:2 offset1:3
	ds_write2_b32 v1, v62, v63 offset0:4 offset1:5
	;; [unrolled: 1-line block ×10, first 2 shown]
	ds_write_b32 v1, v80 offset:88
	s_waitcnt lgkmcnt(0)
	s_barrier
	ds_read2st64_b32 v[24:25], v2 offset0:4 offset1:8
	ds_read2st64_b32 v[22:23], v2 offset0:12 offset1:16
	ds_read2st64_b32 v[20:21], v2 offset0:20 offset1:24
	ds_read2st64_b32 v[18:19], v2 offset0:28 offset1:32
	ds_read2st64_b32 v[16:17], v2 offset0:36 offset1:40
	ds_read2st64_b32 v[14:15], v2 offset0:44 offset1:48
	ds_read2st64_b32 v[12:13], v2 offset0:52 offset1:56
	ds_read2st64_b32 v[10:11], v2 offset0:60 offset1:64
	ds_read2st64_b32 v[8:9], v2 offset0:68 offset1:72
	ds_read2st64_b32 v[6:7], v2 offset0:76 offset1:80
	ds_read2st64_b32 v[2:3], v2 offset0:84 offset1:88
	s_add_i32 s33, s33, s58
	v_mov_b32_e32 v55, 0
	v_lshl_add_u64 v[4:5], s[2:3], 0, v[54:55]
	v_cmp_gt_u32_e32 vcc, s33, v0
	s_and_saveexec_b64 s[0:1], vcc
	s_cbranch_execz .LBB463_208
; %bb.207:
	v_add_u32_e32 v1, v1, v26
	ds_read_b32 v1, v1
	s_waitcnt lgkmcnt(0)
	flat_store_dword v[4:5], v1
.LBB463_208:
	s_or_b64 exec, exec, s[0:1]
	v_or_b32_e32 v1, 0x100, v0
	v_cmp_gt_u32_e32 vcc, s33, v1
	s_and_saveexec_b64 s[0:1], vcc
	s_cbranch_execz .LBB463_210
; %bb.209:
	s_waitcnt lgkmcnt(0)
	flat_store_dword v[4:5], v24 offset:1024
.LBB463_210:
	s_or_b64 exec, exec, s[0:1]
	v_or_b32_e32 v1, 0x200, v0
	v_cmp_gt_u32_e32 vcc, s33, v1
	s_and_saveexec_b64 s[0:1], vcc
	s_cbranch_execz .LBB463_212
; %bb.211:
	s_waitcnt lgkmcnt(0)
	flat_store_dword v[4:5], v25 offset:2048
.LBB463_212:
	;; [unrolled: 9-line block ×3, first 2 shown]
	s_or_b64 exec, exec, s[0:1]
	v_or_b32_e32 v1, 0x400, v0
	v_cmp_gt_u32_e32 vcc, s33, v1
	s_and_saveexec_b64 s[0:1], vcc
	s_cbranch_execz .LBB463_216
; %bb.215:
	s_waitcnt lgkmcnt(0)
	v_add_co_u32_e32 v24, vcc, 0x1000, v4
	s_nop 1
	v_addc_co_u32_e32 v25, vcc, 0, v5, vcc
	flat_store_dword v[24:25], v23
.LBB463_216:
	s_or_b64 exec, exec, s[0:1]
	v_or_b32_e32 v1, 0x500, v0
	v_cmp_gt_u32_e32 vcc, s33, v1
	s_and_saveexec_b64 s[0:1], vcc
	s_cbranch_execz .LBB463_218
; %bb.217:
	s_waitcnt lgkmcnt(0)
	v_add_co_u32_e32 v22, vcc, 0x1000, v4
	s_nop 1
	v_addc_co_u32_e32 v23, vcc, 0, v5, vcc
	flat_store_dword v[22:23], v20 offset:1024
.LBB463_218:
	s_or_b64 exec, exec, s[0:1]
	v_or_b32_e32 v1, 0x600, v0
	v_cmp_gt_u32_e32 vcc, s33, v1
	s_and_saveexec_b64 s[0:1], vcc
	s_cbranch_execz .LBB463_220
; %bb.219:
	s_waitcnt lgkmcnt(0)
	v_add_co_u32_e32 v22, vcc, 0x1000, v4
	s_nop 1
	v_addc_co_u32_e32 v23, vcc, 0, v5, vcc
	flat_store_dword v[22:23], v21 offset:2048
.LBB463_220:
	s_or_b64 exec, exec, s[0:1]
	v_or_b32_e32 v1, 0x700, v0
	v_cmp_gt_u32_e32 vcc, s33, v1
	s_and_saveexec_b64 s[0:1], vcc
	s_cbranch_execz .LBB463_222
; %bb.221:
	s_waitcnt lgkmcnt(0)
	v_add_co_u32_e32 v20, vcc, 0x1000, v4
	s_nop 1
	v_addc_co_u32_e32 v21, vcc, 0, v5, vcc
	flat_store_dword v[20:21], v18 offset:3072
.LBB463_222:
	s_or_b64 exec, exec, s[0:1]
	v_or_b32_e32 v1, 0x800, v0
	v_cmp_gt_u32_e32 vcc, s33, v1
	s_and_saveexec_b64 s[0:1], vcc
	s_cbranch_execz .LBB463_224
; %bb.223:
	s_waitcnt lgkmcnt(0)
	v_add_co_u32_e32 v20, vcc, 0x2000, v4
	s_nop 1
	v_addc_co_u32_e32 v21, vcc, 0, v5, vcc
	flat_store_dword v[20:21], v19
.LBB463_224:
	s_or_b64 exec, exec, s[0:1]
	v_or_b32_e32 v1, 0x900, v0
	v_cmp_gt_u32_e32 vcc, s33, v1
	s_and_saveexec_b64 s[0:1], vcc
	s_cbranch_execz .LBB463_226
; %bb.225:
	s_waitcnt lgkmcnt(0)
	v_add_co_u32_e32 v18, vcc, 0x2000, v4
	s_nop 1
	v_addc_co_u32_e32 v19, vcc, 0, v5, vcc
	flat_store_dword v[18:19], v16 offset:1024
.LBB463_226:
	s_or_b64 exec, exec, s[0:1]
	v_or_b32_e32 v1, 0xa00, v0
	v_cmp_gt_u32_e32 vcc, s33, v1
	s_and_saveexec_b64 s[0:1], vcc
	s_cbranch_execz .LBB463_228
; %bb.227:
	s_waitcnt lgkmcnt(0)
	v_add_co_u32_e32 v18, vcc, 0x2000, v4
	s_nop 1
	v_addc_co_u32_e32 v19, vcc, 0, v5, vcc
	flat_store_dword v[18:19], v17 offset:2048
.LBB463_228:
	s_or_b64 exec, exec, s[0:1]
	v_or_b32_e32 v1, 0xb00, v0
	v_cmp_gt_u32_e32 vcc, s33, v1
	s_and_saveexec_b64 s[0:1], vcc
	s_cbranch_execz .LBB463_230
; %bb.229:
	s_waitcnt lgkmcnt(0)
	v_add_co_u32_e32 v16, vcc, 0x2000, v4
	s_nop 1
	v_addc_co_u32_e32 v17, vcc, 0, v5, vcc
	flat_store_dword v[16:17], v14 offset:3072
.LBB463_230:
	;; [unrolled: 48-line block ×4, first 2 shown]
	s_or_b64 exec, exec, s[0:1]
	v_or_b32_e32 v1, 0x1400, v0
	v_cmp_gt_u32_e32 vcc, s33, v1
	s_and_saveexec_b64 s[0:1], vcc
	s_cbranch_execz .LBB463_248
; %bb.247:
	s_waitcnt lgkmcnt(0)
	v_add_co_u32_e32 v8, vcc, 0x5000, v4
	s_nop 1
	v_addc_co_u32_e32 v9, vcc, 0, v5, vcc
	flat_store_dword v[8:9], v7
.LBB463_248:
	s_or_b64 exec, exec, s[0:1]
	v_or_b32_e32 v1, 0x1500, v0
	v_cmp_gt_u32_e32 vcc, s33, v1
	s_and_saveexec_b64 s[0:1], vcc
	s_cbranch_execz .LBB463_250
; %bb.249:
	v_add_co_u32_e32 v4, vcc, 0x5000, v4
	s_nop 1
	v_addc_co_u32_e32 v5, vcc, 0, v5, vcc
	s_waitcnt lgkmcnt(0)
	flat_store_dword v[4:5], v2 offset:1024
.LBB463_250:
	s_or_b64 exec, exec, s[0:1]
	s_waitcnt lgkmcnt(0)
	v_or_b32_e32 v2, 0x1600, v0
	v_mov_b32_e32 v1, v55
	v_cmp_gt_u32_e64 s[0:1], s33, v2
	s_branch .LBB463_253
.LBB463_251:
	s_mov_b64 s[0:1], 0
                                        ; implicit-def: $vgpr3
	s_cbranch_execz .LBB463_253
; %bb.252:
	v_mul_u32_u24_e32 v1, 0x5c, v0
	s_barrier
	s_movk_i32 s4, 0x5c
	ds_write2_b32 v1, v58, v59 offset1:1
	ds_write2_b32 v1, v60, v61 offset0:2 offset1:3
	ds_write2_b32 v1, v62, v63 offset0:4 offset1:5
	;; [unrolled: 1-line block ×10, first 2 shown]
	ds_write_b32 v1, v80 offset:88
	v_mov_b32_e32 v1, 0
	v_mul_i32_i24_e32 v2, 0xffffffa8, v0
	v_mad_u32_u24 v2, v0, s4, v2
	v_mov_b32_e32 v55, v1
	s_waitcnt lgkmcnt(0)
	s_barrier
	ds_read2st64_b32 v[4:5], v2 offset1:4
	ds_read2st64_b32 v[6:7], v2 offset0:8 offset1:12
	ds_read2st64_b32 v[8:9], v2 offset0:16 offset1:20
	;; [unrolled: 1-line block ×10, first 2 shown]
	ds_read_b32 v3, v2 offset:22528
	v_lshl_add_u64 v[26:27], s[2:3], 0, v[54:55]
	s_movk_i32 s4, 0x1000
	s_waitcnt lgkmcnt(0)
	flat_store_dword v[26:27], v4
	flat_store_dword v[26:27], v5 offset:1024
	flat_store_dword v[26:27], v6 offset:2048
	;; [unrolled: 1-line block ×3, first 2 shown]
	v_add_co_u32_e32 v4, vcc, s4, v26
	s_movk_i32 s4, 0x2000
	s_nop 0
	v_addc_co_u32_e32 v5, vcc, 0, v27, vcc
	flat_store_dword v[4:5], v8
	flat_store_dword v[4:5], v9 offset:1024
	flat_store_dword v[4:5], v10 offset:2048
	flat_store_dword v[4:5], v11 offset:3072
	v_add_co_u32_e32 v4, vcc, s4, v26
	s_movk_i32 s4, 0x3000
	s_nop 0
	v_addc_co_u32_e32 v5, vcc, 0, v27, vcc
	flat_store_dword v[4:5], v12
	flat_store_dword v[4:5], v13 offset:1024
	flat_store_dword v[4:5], v14 offset:2048
	;; [unrolled: 1-line block ×3, first 2 shown]
	v_add_co_u32_e32 v4, vcc, s4, v26
	s_or_b64 s[0:1], s[0:1], exec
	s_nop 0
	v_addc_co_u32_e32 v5, vcc, 0, v27, vcc
	flat_store_dword v[4:5], v16
	flat_store_dword v[4:5], v17 offset:1024
	flat_store_dword v[4:5], v18 offset:2048
	;; [unrolled: 1-line block ×3, first 2 shown]
	v_add_co_u32_e32 v4, vcc, 0x4000, v26
	s_nop 1
	v_addc_co_u32_e32 v5, vcc, 0, v27, vcc
	flat_store_dword v[4:5], v20
	flat_store_dword v[4:5], v21 offset:1024
	flat_store_dword v[4:5], v22 offset:2048
	;; [unrolled: 1-line block ×3, first 2 shown]
	v_add_co_u32_e32 v4, vcc, 0x5000, v26
	s_nop 1
	v_addc_co_u32_e32 v5, vcc, 0, v27, vcc
	flat_store_dword v[4:5], v24
	flat_store_dword v[4:5], v25 offset:1024
.LBB463_253:
	s_and_saveexec_b64 s[4:5], s[0:1]
	s_cbranch_execz .LBB463_255
; %bb.254:
	v_lshl_add_u64 v[0:1], v[0:1], 2, s[2:3]
	v_add_co_u32_e32 v0, vcc, 0x5000, v0
	s_nop 1
	v_addc_co_u32_e32 v1, vcc, 0, v1, vcc
	flat_store_dword v[0:1], v3 offset:2048
	s_endpgm
.LBB463_255:
	s_endpgm
	.section	.rodata,"a",@progbits
	.p2align	6, 0x0
	.amdhsa_kernel _ZN7rocprim17ROCPRIM_400000_NS6detail17trampoline_kernelINS0_14default_configENS1_27scan_by_key_config_selectorIiiEEZZNS1_16scan_by_key_implILNS1_25lookback_scan_determinismE0ELb1ES3_N6thrust23THRUST_200600_302600_NS6detail15normal_iteratorINS9_10device_ptrIiEEEESE_SE_iNS9_4plusIvEENS9_8equal_toIvEEiEE10hipError_tPvRmT2_T3_T4_T5_mT6_T7_P12ihipStream_tbENKUlT_T0_E_clISt17integral_constantIbLb0EESZ_EEDaSU_SV_EUlSU_E_NS1_11comp_targetILNS1_3genE5ELNS1_11target_archE942ELNS1_3gpuE9ELNS1_3repE0EEENS1_30default_config_static_selectorELNS0_4arch9wavefront6targetE1EEEvT1_
		.amdhsa_group_segment_fixed_size 25600
		.amdhsa_private_segment_fixed_size 0
		.amdhsa_kernarg_size 112
		.amdhsa_user_sgpr_count 2
		.amdhsa_user_sgpr_dispatch_ptr 0
		.amdhsa_user_sgpr_queue_ptr 0
		.amdhsa_user_sgpr_kernarg_segment_ptr 1
		.amdhsa_user_sgpr_dispatch_id 0
		.amdhsa_user_sgpr_kernarg_preload_length 0
		.amdhsa_user_sgpr_kernarg_preload_offset 0
		.amdhsa_user_sgpr_private_segment_size 0
		.amdhsa_uses_dynamic_stack 0
		.amdhsa_enable_private_segment 0
		.amdhsa_system_sgpr_workgroup_id_x 1
		.amdhsa_system_sgpr_workgroup_id_y 0
		.amdhsa_system_sgpr_workgroup_id_z 0
		.amdhsa_system_sgpr_workgroup_info 0
		.amdhsa_system_vgpr_workitem_id 0
		.amdhsa_next_free_vgpr 81
		.amdhsa_next_free_sgpr 80
		.amdhsa_accum_offset 84
		.amdhsa_reserve_vcc 1
		.amdhsa_float_round_mode_32 0
		.amdhsa_float_round_mode_16_64 0
		.amdhsa_float_denorm_mode_32 3
		.amdhsa_float_denorm_mode_16_64 3
		.amdhsa_dx10_clamp 1
		.amdhsa_ieee_mode 1
		.amdhsa_fp16_overflow 0
		.amdhsa_tg_split 0
		.amdhsa_exception_fp_ieee_invalid_op 0
		.amdhsa_exception_fp_denorm_src 0
		.amdhsa_exception_fp_ieee_div_zero 0
		.amdhsa_exception_fp_ieee_overflow 0
		.amdhsa_exception_fp_ieee_underflow 0
		.amdhsa_exception_fp_ieee_inexact 0
		.amdhsa_exception_int_div_zero 0
	.end_amdhsa_kernel
	.section	.text._ZN7rocprim17ROCPRIM_400000_NS6detail17trampoline_kernelINS0_14default_configENS1_27scan_by_key_config_selectorIiiEEZZNS1_16scan_by_key_implILNS1_25lookback_scan_determinismE0ELb1ES3_N6thrust23THRUST_200600_302600_NS6detail15normal_iteratorINS9_10device_ptrIiEEEESE_SE_iNS9_4plusIvEENS9_8equal_toIvEEiEE10hipError_tPvRmT2_T3_T4_T5_mT6_T7_P12ihipStream_tbENKUlT_T0_E_clISt17integral_constantIbLb0EESZ_EEDaSU_SV_EUlSU_E_NS1_11comp_targetILNS1_3genE5ELNS1_11target_archE942ELNS1_3gpuE9ELNS1_3repE0EEENS1_30default_config_static_selectorELNS0_4arch9wavefront6targetE1EEEvT1_,"axG",@progbits,_ZN7rocprim17ROCPRIM_400000_NS6detail17trampoline_kernelINS0_14default_configENS1_27scan_by_key_config_selectorIiiEEZZNS1_16scan_by_key_implILNS1_25lookback_scan_determinismE0ELb1ES3_N6thrust23THRUST_200600_302600_NS6detail15normal_iteratorINS9_10device_ptrIiEEEESE_SE_iNS9_4plusIvEENS9_8equal_toIvEEiEE10hipError_tPvRmT2_T3_T4_T5_mT6_T7_P12ihipStream_tbENKUlT_T0_E_clISt17integral_constantIbLb0EESZ_EEDaSU_SV_EUlSU_E_NS1_11comp_targetILNS1_3genE5ELNS1_11target_archE942ELNS1_3gpuE9ELNS1_3repE0EEENS1_30default_config_static_selectorELNS0_4arch9wavefront6targetE1EEEvT1_,comdat
.Lfunc_end463:
	.size	_ZN7rocprim17ROCPRIM_400000_NS6detail17trampoline_kernelINS0_14default_configENS1_27scan_by_key_config_selectorIiiEEZZNS1_16scan_by_key_implILNS1_25lookback_scan_determinismE0ELb1ES3_N6thrust23THRUST_200600_302600_NS6detail15normal_iteratorINS9_10device_ptrIiEEEESE_SE_iNS9_4plusIvEENS9_8equal_toIvEEiEE10hipError_tPvRmT2_T3_T4_T5_mT6_T7_P12ihipStream_tbENKUlT_T0_E_clISt17integral_constantIbLb0EESZ_EEDaSU_SV_EUlSU_E_NS1_11comp_targetILNS1_3genE5ELNS1_11target_archE942ELNS1_3gpuE9ELNS1_3repE0EEENS1_30default_config_static_selectorELNS0_4arch9wavefront6targetE1EEEvT1_, .Lfunc_end463-_ZN7rocprim17ROCPRIM_400000_NS6detail17trampoline_kernelINS0_14default_configENS1_27scan_by_key_config_selectorIiiEEZZNS1_16scan_by_key_implILNS1_25lookback_scan_determinismE0ELb1ES3_N6thrust23THRUST_200600_302600_NS6detail15normal_iteratorINS9_10device_ptrIiEEEESE_SE_iNS9_4plusIvEENS9_8equal_toIvEEiEE10hipError_tPvRmT2_T3_T4_T5_mT6_T7_P12ihipStream_tbENKUlT_T0_E_clISt17integral_constantIbLb0EESZ_EEDaSU_SV_EUlSU_E_NS1_11comp_targetILNS1_3genE5ELNS1_11target_archE942ELNS1_3gpuE9ELNS1_3repE0EEENS1_30default_config_static_selectorELNS0_4arch9wavefront6targetE1EEEvT1_
                                        ; -- End function
	.section	.AMDGPU.csdata,"",@progbits
; Kernel info:
; codeLenInByte = 15680
; NumSgprs: 86
; NumVgprs: 81
; NumAgprs: 0
; TotalNumVgprs: 81
; ScratchSize: 0
; MemoryBound: 0
; FloatMode: 240
; IeeeMode: 1
; LDSByteSize: 25600 bytes/workgroup (compile time only)
; SGPRBlocks: 10
; VGPRBlocks: 10
; NumSGPRsForWavesPerEU: 86
; NumVGPRsForWavesPerEU: 81
; AccumOffset: 84
; Occupancy: 2
; WaveLimiterHint : 1
; COMPUTE_PGM_RSRC2:SCRATCH_EN: 0
; COMPUTE_PGM_RSRC2:USER_SGPR: 2
; COMPUTE_PGM_RSRC2:TRAP_HANDLER: 0
; COMPUTE_PGM_RSRC2:TGID_X_EN: 1
; COMPUTE_PGM_RSRC2:TGID_Y_EN: 0
; COMPUTE_PGM_RSRC2:TGID_Z_EN: 0
; COMPUTE_PGM_RSRC2:TIDIG_COMP_CNT: 0
; COMPUTE_PGM_RSRC3_GFX90A:ACCUM_OFFSET: 20
; COMPUTE_PGM_RSRC3_GFX90A:TG_SPLIT: 0
	.section	.text._ZN7rocprim17ROCPRIM_400000_NS6detail17trampoline_kernelINS0_14default_configENS1_27scan_by_key_config_selectorIiiEEZZNS1_16scan_by_key_implILNS1_25lookback_scan_determinismE0ELb1ES3_N6thrust23THRUST_200600_302600_NS6detail15normal_iteratorINS9_10device_ptrIiEEEESE_SE_iNS9_4plusIvEENS9_8equal_toIvEEiEE10hipError_tPvRmT2_T3_T4_T5_mT6_T7_P12ihipStream_tbENKUlT_T0_E_clISt17integral_constantIbLb0EESZ_EEDaSU_SV_EUlSU_E_NS1_11comp_targetILNS1_3genE4ELNS1_11target_archE910ELNS1_3gpuE8ELNS1_3repE0EEENS1_30default_config_static_selectorELNS0_4arch9wavefront6targetE1EEEvT1_,"axG",@progbits,_ZN7rocprim17ROCPRIM_400000_NS6detail17trampoline_kernelINS0_14default_configENS1_27scan_by_key_config_selectorIiiEEZZNS1_16scan_by_key_implILNS1_25lookback_scan_determinismE0ELb1ES3_N6thrust23THRUST_200600_302600_NS6detail15normal_iteratorINS9_10device_ptrIiEEEESE_SE_iNS9_4plusIvEENS9_8equal_toIvEEiEE10hipError_tPvRmT2_T3_T4_T5_mT6_T7_P12ihipStream_tbENKUlT_T0_E_clISt17integral_constantIbLb0EESZ_EEDaSU_SV_EUlSU_E_NS1_11comp_targetILNS1_3genE4ELNS1_11target_archE910ELNS1_3gpuE8ELNS1_3repE0EEENS1_30default_config_static_selectorELNS0_4arch9wavefront6targetE1EEEvT1_,comdat
	.protected	_ZN7rocprim17ROCPRIM_400000_NS6detail17trampoline_kernelINS0_14default_configENS1_27scan_by_key_config_selectorIiiEEZZNS1_16scan_by_key_implILNS1_25lookback_scan_determinismE0ELb1ES3_N6thrust23THRUST_200600_302600_NS6detail15normal_iteratorINS9_10device_ptrIiEEEESE_SE_iNS9_4plusIvEENS9_8equal_toIvEEiEE10hipError_tPvRmT2_T3_T4_T5_mT6_T7_P12ihipStream_tbENKUlT_T0_E_clISt17integral_constantIbLb0EESZ_EEDaSU_SV_EUlSU_E_NS1_11comp_targetILNS1_3genE4ELNS1_11target_archE910ELNS1_3gpuE8ELNS1_3repE0EEENS1_30default_config_static_selectorELNS0_4arch9wavefront6targetE1EEEvT1_ ; -- Begin function _ZN7rocprim17ROCPRIM_400000_NS6detail17trampoline_kernelINS0_14default_configENS1_27scan_by_key_config_selectorIiiEEZZNS1_16scan_by_key_implILNS1_25lookback_scan_determinismE0ELb1ES3_N6thrust23THRUST_200600_302600_NS6detail15normal_iteratorINS9_10device_ptrIiEEEESE_SE_iNS9_4plusIvEENS9_8equal_toIvEEiEE10hipError_tPvRmT2_T3_T4_T5_mT6_T7_P12ihipStream_tbENKUlT_T0_E_clISt17integral_constantIbLb0EESZ_EEDaSU_SV_EUlSU_E_NS1_11comp_targetILNS1_3genE4ELNS1_11target_archE910ELNS1_3gpuE8ELNS1_3repE0EEENS1_30default_config_static_selectorELNS0_4arch9wavefront6targetE1EEEvT1_
	.globl	_ZN7rocprim17ROCPRIM_400000_NS6detail17trampoline_kernelINS0_14default_configENS1_27scan_by_key_config_selectorIiiEEZZNS1_16scan_by_key_implILNS1_25lookback_scan_determinismE0ELb1ES3_N6thrust23THRUST_200600_302600_NS6detail15normal_iteratorINS9_10device_ptrIiEEEESE_SE_iNS9_4plusIvEENS9_8equal_toIvEEiEE10hipError_tPvRmT2_T3_T4_T5_mT6_T7_P12ihipStream_tbENKUlT_T0_E_clISt17integral_constantIbLb0EESZ_EEDaSU_SV_EUlSU_E_NS1_11comp_targetILNS1_3genE4ELNS1_11target_archE910ELNS1_3gpuE8ELNS1_3repE0EEENS1_30default_config_static_selectorELNS0_4arch9wavefront6targetE1EEEvT1_
	.p2align	8
	.type	_ZN7rocprim17ROCPRIM_400000_NS6detail17trampoline_kernelINS0_14default_configENS1_27scan_by_key_config_selectorIiiEEZZNS1_16scan_by_key_implILNS1_25lookback_scan_determinismE0ELb1ES3_N6thrust23THRUST_200600_302600_NS6detail15normal_iteratorINS9_10device_ptrIiEEEESE_SE_iNS9_4plusIvEENS9_8equal_toIvEEiEE10hipError_tPvRmT2_T3_T4_T5_mT6_T7_P12ihipStream_tbENKUlT_T0_E_clISt17integral_constantIbLb0EESZ_EEDaSU_SV_EUlSU_E_NS1_11comp_targetILNS1_3genE4ELNS1_11target_archE910ELNS1_3gpuE8ELNS1_3repE0EEENS1_30default_config_static_selectorELNS0_4arch9wavefront6targetE1EEEvT1_,@function
_ZN7rocprim17ROCPRIM_400000_NS6detail17trampoline_kernelINS0_14default_configENS1_27scan_by_key_config_selectorIiiEEZZNS1_16scan_by_key_implILNS1_25lookback_scan_determinismE0ELb1ES3_N6thrust23THRUST_200600_302600_NS6detail15normal_iteratorINS9_10device_ptrIiEEEESE_SE_iNS9_4plusIvEENS9_8equal_toIvEEiEE10hipError_tPvRmT2_T3_T4_T5_mT6_T7_P12ihipStream_tbENKUlT_T0_E_clISt17integral_constantIbLb0EESZ_EEDaSU_SV_EUlSU_E_NS1_11comp_targetILNS1_3genE4ELNS1_11target_archE910ELNS1_3gpuE8ELNS1_3repE0EEENS1_30default_config_static_selectorELNS0_4arch9wavefront6targetE1EEEvT1_: ; @_ZN7rocprim17ROCPRIM_400000_NS6detail17trampoline_kernelINS0_14default_configENS1_27scan_by_key_config_selectorIiiEEZZNS1_16scan_by_key_implILNS1_25lookback_scan_determinismE0ELb1ES3_N6thrust23THRUST_200600_302600_NS6detail15normal_iteratorINS9_10device_ptrIiEEEESE_SE_iNS9_4plusIvEENS9_8equal_toIvEEiEE10hipError_tPvRmT2_T3_T4_T5_mT6_T7_P12ihipStream_tbENKUlT_T0_E_clISt17integral_constantIbLb0EESZ_EEDaSU_SV_EUlSU_E_NS1_11comp_targetILNS1_3genE4ELNS1_11target_archE910ELNS1_3gpuE8ELNS1_3repE0EEENS1_30default_config_static_selectorELNS0_4arch9wavefront6targetE1EEEvT1_
; %bb.0:
	.section	.rodata,"a",@progbits
	.p2align	6, 0x0
	.amdhsa_kernel _ZN7rocprim17ROCPRIM_400000_NS6detail17trampoline_kernelINS0_14default_configENS1_27scan_by_key_config_selectorIiiEEZZNS1_16scan_by_key_implILNS1_25lookback_scan_determinismE0ELb1ES3_N6thrust23THRUST_200600_302600_NS6detail15normal_iteratorINS9_10device_ptrIiEEEESE_SE_iNS9_4plusIvEENS9_8equal_toIvEEiEE10hipError_tPvRmT2_T3_T4_T5_mT6_T7_P12ihipStream_tbENKUlT_T0_E_clISt17integral_constantIbLb0EESZ_EEDaSU_SV_EUlSU_E_NS1_11comp_targetILNS1_3genE4ELNS1_11target_archE910ELNS1_3gpuE8ELNS1_3repE0EEENS1_30default_config_static_selectorELNS0_4arch9wavefront6targetE1EEEvT1_
		.amdhsa_group_segment_fixed_size 0
		.amdhsa_private_segment_fixed_size 0
		.amdhsa_kernarg_size 112
		.amdhsa_user_sgpr_count 2
		.amdhsa_user_sgpr_dispatch_ptr 0
		.amdhsa_user_sgpr_queue_ptr 0
		.amdhsa_user_sgpr_kernarg_segment_ptr 1
		.amdhsa_user_sgpr_dispatch_id 0
		.amdhsa_user_sgpr_kernarg_preload_length 0
		.amdhsa_user_sgpr_kernarg_preload_offset 0
		.amdhsa_user_sgpr_private_segment_size 0
		.amdhsa_uses_dynamic_stack 0
		.amdhsa_enable_private_segment 0
		.amdhsa_system_sgpr_workgroup_id_x 1
		.amdhsa_system_sgpr_workgroup_id_y 0
		.amdhsa_system_sgpr_workgroup_id_z 0
		.amdhsa_system_sgpr_workgroup_info 0
		.amdhsa_system_vgpr_workitem_id 0
		.amdhsa_next_free_vgpr 1
		.amdhsa_next_free_sgpr 0
		.amdhsa_accum_offset 4
		.amdhsa_reserve_vcc 0
		.amdhsa_float_round_mode_32 0
		.amdhsa_float_round_mode_16_64 0
		.amdhsa_float_denorm_mode_32 3
		.amdhsa_float_denorm_mode_16_64 3
		.amdhsa_dx10_clamp 1
		.amdhsa_ieee_mode 1
		.amdhsa_fp16_overflow 0
		.amdhsa_tg_split 0
		.amdhsa_exception_fp_ieee_invalid_op 0
		.amdhsa_exception_fp_denorm_src 0
		.amdhsa_exception_fp_ieee_div_zero 0
		.amdhsa_exception_fp_ieee_overflow 0
		.amdhsa_exception_fp_ieee_underflow 0
		.amdhsa_exception_fp_ieee_inexact 0
		.amdhsa_exception_int_div_zero 0
	.end_amdhsa_kernel
	.section	.text._ZN7rocprim17ROCPRIM_400000_NS6detail17trampoline_kernelINS0_14default_configENS1_27scan_by_key_config_selectorIiiEEZZNS1_16scan_by_key_implILNS1_25lookback_scan_determinismE0ELb1ES3_N6thrust23THRUST_200600_302600_NS6detail15normal_iteratorINS9_10device_ptrIiEEEESE_SE_iNS9_4plusIvEENS9_8equal_toIvEEiEE10hipError_tPvRmT2_T3_T4_T5_mT6_T7_P12ihipStream_tbENKUlT_T0_E_clISt17integral_constantIbLb0EESZ_EEDaSU_SV_EUlSU_E_NS1_11comp_targetILNS1_3genE4ELNS1_11target_archE910ELNS1_3gpuE8ELNS1_3repE0EEENS1_30default_config_static_selectorELNS0_4arch9wavefront6targetE1EEEvT1_,"axG",@progbits,_ZN7rocprim17ROCPRIM_400000_NS6detail17trampoline_kernelINS0_14default_configENS1_27scan_by_key_config_selectorIiiEEZZNS1_16scan_by_key_implILNS1_25lookback_scan_determinismE0ELb1ES3_N6thrust23THRUST_200600_302600_NS6detail15normal_iteratorINS9_10device_ptrIiEEEESE_SE_iNS9_4plusIvEENS9_8equal_toIvEEiEE10hipError_tPvRmT2_T3_T4_T5_mT6_T7_P12ihipStream_tbENKUlT_T0_E_clISt17integral_constantIbLb0EESZ_EEDaSU_SV_EUlSU_E_NS1_11comp_targetILNS1_3genE4ELNS1_11target_archE910ELNS1_3gpuE8ELNS1_3repE0EEENS1_30default_config_static_selectorELNS0_4arch9wavefront6targetE1EEEvT1_,comdat
.Lfunc_end464:
	.size	_ZN7rocprim17ROCPRIM_400000_NS6detail17trampoline_kernelINS0_14default_configENS1_27scan_by_key_config_selectorIiiEEZZNS1_16scan_by_key_implILNS1_25lookback_scan_determinismE0ELb1ES3_N6thrust23THRUST_200600_302600_NS6detail15normal_iteratorINS9_10device_ptrIiEEEESE_SE_iNS9_4plusIvEENS9_8equal_toIvEEiEE10hipError_tPvRmT2_T3_T4_T5_mT6_T7_P12ihipStream_tbENKUlT_T0_E_clISt17integral_constantIbLb0EESZ_EEDaSU_SV_EUlSU_E_NS1_11comp_targetILNS1_3genE4ELNS1_11target_archE910ELNS1_3gpuE8ELNS1_3repE0EEENS1_30default_config_static_selectorELNS0_4arch9wavefront6targetE1EEEvT1_, .Lfunc_end464-_ZN7rocprim17ROCPRIM_400000_NS6detail17trampoline_kernelINS0_14default_configENS1_27scan_by_key_config_selectorIiiEEZZNS1_16scan_by_key_implILNS1_25lookback_scan_determinismE0ELb1ES3_N6thrust23THRUST_200600_302600_NS6detail15normal_iteratorINS9_10device_ptrIiEEEESE_SE_iNS9_4plusIvEENS9_8equal_toIvEEiEE10hipError_tPvRmT2_T3_T4_T5_mT6_T7_P12ihipStream_tbENKUlT_T0_E_clISt17integral_constantIbLb0EESZ_EEDaSU_SV_EUlSU_E_NS1_11comp_targetILNS1_3genE4ELNS1_11target_archE910ELNS1_3gpuE8ELNS1_3repE0EEENS1_30default_config_static_selectorELNS0_4arch9wavefront6targetE1EEEvT1_
                                        ; -- End function
	.section	.AMDGPU.csdata,"",@progbits
; Kernel info:
; codeLenInByte = 0
; NumSgprs: 6
; NumVgprs: 0
; NumAgprs: 0
; TotalNumVgprs: 0
; ScratchSize: 0
; MemoryBound: 0
; FloatMode: 240
; IeeeMode: 1
; LDSByteSize: 0 bytes/workgroup (compile time only)
; SGPRBlocks: 0
; VGPRBlocks: 0
; NumSGPRsForWavesPerEU: 6
; NumVGPRsForWavesPerEU: 1
; AccumOffset: 4
; Occupancy: 8
; WaveLimiterHint : 0
; COMPUTE_PGM_RSRC2:SCRATCH_EN: 0
; COMPUTE_PGM_RSRC2:USER_SGPR: 2
; COMPUTE_PGM_RSRC2:TRAP_HANDLER: 0
; COMPUTE_PGM_RSRC2:TGID_X_EN: 1
; COMPUTE_PGM_RSRC2:TGID_Y_EN: 0
; COMPUTE_PGM_RSRC2:TGID_Z_EN: 0
; COMPUTE_PGM_RSRC2:TIDIG_COMP_CNT: 0
; COMPUTE_PGM_RSRC3_GFX90A:ACCUM_OFFSET: 0
; COMPUTE_PGM_RSRC3_GFX90A:TG_SPLIT: 0
	.section	.text._ZN7rocprim17ROCPRIM_400000_NS6detail17trampoline_kernelINS0_14default_configENS1_27scan_by_key_config_selectorIiiEEZZNS1_16scan_by_key_implILNS1_25lookback_scan_determinismE0ELb1ES3_N6thrust23THRUST_200600_302600_NS6detail15normal_iteratorINS9_10device_ptrIiEEEESE_SE_iNS9_4plusIvEENS9_8equal_toIvEEiEE10hipError_tPvRmT2_T3_T4_T5_mT6_T7_P12ihipStream_tbENKUlT_T0_E_clISt17integral_constantIbLb0EESZ_EEDaSU_SV_EUlSU_E_NS1_11comp_targetILNS1_3genE3ELNS1_11target_archE908ELNS1_3gpuE7ELNS1_3repE0EEENS1_30default_config_static_selectorELNS0_4arch9wavefront6targetE1EEEvT1_,"axG",@progbits,_ZN7rocprim17ROCPRIM_400000_NS6detail17trampoline_kernelINS0_14default_configENS1_27scan_by_key_config_selectorIiiEEZZNS1_16scan_by_key_implILNS1_25lookback_scan_determinismE0ELb1ES3_N6thrust23THRUST_200600_302600_NS6detail15normal_iteratorINS9_10device_ptrIiEEEESE_SE_iNS9_4plusIvEENS9_8equal_toIvEEiEE10hipError_tPvRmT2_T3_T4_T5_mT6_T7_P12ihipStream_tbENKUlT_T0_E_clISt17integral_constantIbLb0EESZ_EEDaSU_SV_EUlSU_E_NS1_11comp_targetILNS1_3genE3ELNS1_11target_archE908ELNS1_3gpuE7ELNS1_3repE0EEENS1_30default_config_static_selectorELNS0_4arch9wavefront6targetE1EEEvT1_,comdat
	.protected	_ZN7rocprim17ROCPRIM_400000_NS6detail17trampoline_kernelINS0_14default_configENS1_27scan_by_key_config_selectorIiiEEZZNS1_16scan_by_key_implILNS1_25lookback_scan_determinismE0ELb1ES3_N6thrust23THRUST_200600_302600_NS6detail15normal_iteratorINS9_10device_ptrIiEEEESE_SE_iNS9_4plusIvEENS9_8equal_toIvEEiEE10hipError_tPvRmT2_T3_T4_T5_mT6_T7_P12ihipStream_tbENKUlT_T0_E_clISt17integral_constantIbLb0EESZ_EEDaSU_SV_EUlSU_E_NS1_11comp_targetILNS1_3genE3ELNS1_11target_archE908ELNS1_3gpuE7ELNS1_3repE0EEENS1_30default_config_static_selectorELNS0_4arch9wavefront6targetE1EEEvT1_ ; -- Begin function _ZN7rocprim17ROCPRIM_400000_NS6detail17trampoline_kernelINS0_14default_configENS1_27scan_by_key_config_selectorIiiEEZZNS1_16scan_by_key_implILNS1_25lookback_scan_determinismE0ELb1ES3_N6thrust23THRUST_200600_302600_NS6detail15normal_iteratorINS9_10device_ptrIiEEEESE_SE_iNS9_4plusIvEENS9_8equal_toIvEEiEE10hipError_tPvRmT2_T3_T4_T5_mT6_T7_P12ihipStream_tbENKUlT_T0_E_clISt17integral_constantIbLb0EESZ_EEDaSU_SV_EUlSU_E_NS1_11comp_targetILNS1_3genE3ELNS1_11target_archE908ELNS1_3gpuE7ELNS1_3repE0EEENS1_30default_config_static_selectorELNS0_4arch9wavefront6targetE1EEEvT1_
	.globl	_ZN7rocprim17ROCPRIM_400000_NS6detail17trampoline_kernelINS0_14default_configENS1_27scan_by_key_config_selectorIiiEEZZNS1_16scan_by_key_implILNS1_25lookback_scan_determinismE0ELb1ES3_N6thrust23THRUST_200600_302600_NS6detail15normal_iteratorINS9_10device_ptrIiEEEESE_SE_iNS9_4plusIvEENS9_8equal_toIvEEiEE10hipError_tPvRmT2_T3_T4_T5_mT6_T7_P12ihipStream_tbENKUlT_T0_E_clISt17integral_constantIbLb0EESZ_EEDaSU_SV_EUlSU_E_NS1_11comp_targetILNS1_3genE3ELNS1_11target_archE908ELNS1_3gpuE7ELNS1_3repE0EEENS1_30default_config_static_selectorELNS0_4arch9wavefront6targetE1EEEvT1_
	.p2align	8
	.type	_ZN7rocprim17ROCPRIM_400000_NS6detail17trampoline_kernelINS0_14default_configENS1_27scan_by_key_config_selectorIiiEEZZNS1_16scan_by_key_implILNS1_25lookback_scan_determinismE0ELb1ES3_N6thrust23THRUST_200600_302600_NS6detail15normal_iteratorINS9_10device_ptrIiEEEESE_SE_iNS9_4plusIvEENS9_8equal_toIvEEiEE10hipError_tPvRmT2_T3_T4_T5_mT6_T7_P12ihipStream_tbENKUlT_T0_E_clISt17integral_constantIbLb0EESZ_EEDaSU_SV_EUlSU_E_NS1_11comp_targetILNS1_3genE3ELNS1_11target_archE908ELNS1_3gpuE7ELNS1_3repE0EEENS1_30default_config_static_selectorELNS0_4arch9wavefront6targetE1EEEvT1_,@function
_ZN7rocprim17ROCPRIM_400000_NS6detail17trampoline_kernelINS0_14default_configENS1_27scan_by_key_config_selectorIiiEEZZNS1_16scan_by_key_implILNS1_25lookback_scan_determinismE0ELb1ES3_N6thrust23THRUST_200600_302600_NS6detail15normal_iteratorINS9_10device_ptrIiEEEESE_SE_iNS9_4plusIvEENS9_8equal_toIvEEiEE10hipError_tPvRmT2_T3_T4_T5_mT6_T7_P12ihipStream_tbENKUlT_T0_E_clISt17integral_constantIbLb0EESZ_EEDaSU_SV_EUlSU_E_NS1_11comp_targetILNS1_3genE3ELNS1_11target_archE908ELNS1_3gpuE7ELNS1_3repE0EEENS1_30default_config_static_selectorELNS0_4arch9wavefront6targetE1EEEvT1_: ; @_ZN7rocprim17ROCPRIM_400000_NS6detail17trampoline_kernelINS0_14default_configENS1_27scan_by_key_config_selectorIiiEEZZNS1_16scan_by_key_implILNS1_25lookback_scan_determinismE0ELb1ES3_N6thrust23THRUST_200600_302600_NS6detail15normal_iteratorINS9_10device_ptrIiEEEESE_SE_iNS9_4plusIvEENS9_8equal_toIvEEiEE10hipError_tPvRmT2_T3_T4_T5_mT6_T7_P12ihipStream_tbENKUlT_T0_E_clISt17integral_constantIbLb0EESZ_EEDaSU_SV_EUlSU_E_NS1_11comp_targetILNS1_3genE3ELNS1_11target_archE908ELNS1_3gpuE7ELNS1_3repE0EEENS1_30default_config_static_selectorELNS0_4arch9wavefront6targetE1EEEvT1_
; %bb.0:
	.section	.rodata,"a",@progbits
	.p2align	6, 0x0
	.amdhsa_kernel _ZN7rocprim17ROCPRIM_400000_NS6detail17trampoline_kernelINS0_14default_configENS1_27scan_by_key_config_selectorIiiEEZZNS1_16scan_by_key_implILNS1_25lookback_scan_determinismE0ELb1ES3_N6thrust23THRUST_200600_302600_NS6detail15normal_iteratorINS9_10device_ptrIiEEEESE_SE_iNS9_4plusIvEENS9_8equal_toIvEEiEE10hipError_tPvRmT2_T3_T4_T5_mT6_T7_P12ihipStream_tbENKUlT_T0_E_clISt17integral_constantIbLb0EESZ_EEDaSU_SV_EUlSU_E_NS1_11comp_targetILNS1_3genE3ELNS1_11target_archE908ELNS1_3gpuE7ELNS1_3repE0EEENS1_30default_config_static_selectorELNS0_4arch9wavefront6targetE1EEEvT1_
		.amdhsa_group_segment_fixed_size 0
		.amdhsa_private_segment_fixed_size 0
		.amdhsa_kernarg_size 112
		.amdhsa_user_sgpr_count 2
		.amdhsa_user_sgpr_dispatch_ptr 0
		.amdhsa_user_sgpr_queue_ptr 0
		.amdhsa_user_sgpr_kernarg_segment_ptr 1
		.amdhsa_user_sgpr_dispatch_id 0
		.amdhsa_user_sgpr_kernarg_preload_length 0
		.amdhsa_user_sgpr_kernarg_preload_offset 0
		.amdhsa_user_sgpr_private_segment_size 0
		.amdhsa_uses_dynamic_stack 0
		.amdhsa_enable_private_segment 0
		.amdhsa_system_sgpr_workgroup_id_x 1
		.amdhsa_system_sgpr_workgroup_id_y 0
		.amdhsa_system_sgpr_workgroup_id_z 0
		.amdhsa_system_sgpr_workgroup_info 0
		.amdhsa_system_vgpr_workitem_id 0
		.amdhsa_next_free_vgpr 1
		.amdhsa_next_free_sgpr 0
		.amdhsa_accum_offset 4
		.amdhsa_reserve_vcc 0
		.amdhsa_float_round_mode_32 0
		.amdhsa_float_round_mode_16_64 0
		.amdhsa_float_denorm_mode_32 3
		.amdhsa_float_denorm_mode_16_64 3
		.amdhsa_dx10_clamp 1
		.amdhsa_ieee_mode 1
		.amdhsa_fp16_overflow 0
		.amdhsa_tg_split 0
		.amdhsa_exception_fp_ieee_invalid_op 0
		.amdhsa_exception_fp_denorm_src 0
		.amdhsa_exception_fp_ieee_div_zero 0
		.amdhsa_exception_fp_ieee_overflow 0
		.amdhsa_exception_fp_ieee_underflow 0
		.amdhsa_exception_fp_ieee_inexact 0
		.amdhsa_exception_int_div_zero 0
	.end_amdhsa_kernel
	.section	.text._ZN7rocprim17ROCPRIM_400000_NS6detail17trampoline_kernelINS0_14default_configENS1_27scan_by_key_config_selectorIiiEEZZNS1_16scan_by_key_implILNS1_25lookback_scan_determinismE0ELb1ES3_N6thrust23THRUST_200600_302600_NS6detail15normal_iteratorINS9_10device_ptrIiEEEESE_SE_iNS9_4plusIvEENS9_8equal_toIvEEiEE10hipError_tPvRmT2_T3_T4_T5_mT6_T7_P12ihipStream_tbENKUlT_T0_E_clISt17integral_constantIbLb0EESZ_EEDaSU_SV_EUlSU_E_NS1_11comp_targetILNS1_3genE3ELNS1_11target_archE908ELNS1_3gpuE7ELNS1_3repE0EEENS1_30default_config_static_selectorELNS0_4arch9wavefront6targetE1EEEvT1_,"axG",@progbits,_ZN7rocprim17ROCPRIM_400000_NS6detail17trampoline_kernelINS0_14default_configENS1_27scan_by_key_config_selectorIiiEEZZNS1_16scan_by_key_implILNS1_25lookback_scan_determinismE0ELb1ES3_N6thrust23THRUST_200600_302600_NS6detail15normal_iteratorINS9_10device_ptrIiEEEESE_SE_iNS9_4plusIvEENS9_8equal_toIvEEiEE10hipError_tPvRmT2_T3_T4_T5_mT6_T7_P12ihipStream_tbENKUlT_T0_E_clISt17integral_constantIbLb0EESZ_EEDaSU_SV_EUlSU_E_NS1_11comp_targetILNS1_3genE3ELNS1_11target_archE908ELNS1_3gpuE7ELNS1_3repE0EEENS1_30default_config_static_selectorELNS0_4arch9wavefront6targetE1EEEvT1_,comdat
.Lfunc_end465:
	.size	_ZN7rocprim17ROCPRIM_400000_NS6detail17trampoline_kernelINS0_14default_configENS1_27scan_by_key_config_selectorIiiEEZZNS1_16scan_by_key_implILNS1_25lookback_scan_determinismE0ELb1ES3_N6thrust23THRUST_200600_302600_NS6detail15normal_iteratorINS9_10device_ptrIiEEEESE_SE_iNS9_4plusIvEENS9_8equal_toIvEEiEE10hipError_tPvRmT2_T3_T4_T5_mT6_T7_P12ihipStream_tbENKUlT_T0_E_clISt17integral_constantIbLb0EESZ_EEDaSU_SV_EUlSU_E_NS1_11comp_targetILNS1_3genE3ELNS1_11target_archE908ELNS1_3gpuE7ELNS1_3repE0EEENS1_30default_config_static_selectorELNS0_4arch9wavefront6targetE1EEEvT1_, .Lfunc_end465-_ZN7rocprim17ROCPRIM_400000_NS6detail17trampoline_kernelINS0_14default_configENS1_27scan_by_key_config_selectorIiiEEZZNS1_16scan_by_key_implILNS1_25lookback_scan_determinismE0ELb1ES3_N6thrust23THRUST_200600_302600_NS6detail15normal_iteratorINS9_10device_ptrIiEEEESE_SE_iNS9_4plusIvEENS9_8equal_toIvEEiEE10hipError_tPvRmT2_T3_T4_T5_mT6_T7_P12ihipStream_tbENKUlT_T0_E_clISt17integral_constantIbLb0EESZ_EEDaSU_SV_EUlSU_E_NS1_11comp_targetILNS1_3genE3ELNS1_11target_archE908ELNS1_3gpuE7ELNS1_3repE0EEENS1_30default_config_static_selectorELNS0_4arch9wavefront6targetE1EEEvT1_
                                        ; -- End function
	.section	.AMDGPU.csdata,"",@progbits
; Kernel info:
; codeLenInByte = 0
; NumSgprs: 6
; NumVgprs: 0
; NumAgprs: 0
; TotalNumVgprs: 0
; ScratchSize: 0
; MemoryBound: 0
; FloatMode: 240
; IeeeMode: 1
; LDSByteSize: 0 bytes/workgroup (compile time only)
; SGPRBlocks: 0
; VGPRBlocks: 0
; NumSGPRsForWavesPerEU: 6
; NumVGPRsForWavesPerEU: 1
; AccumOffset: 4
; Occupancy: 8
; WaveLimiterHint : 0
; COMPUTE_PGM_RSRC2:SCRATCH_EN: 0
; COMPUTE_PGM_RSRC2:USER_SGPR: 2
; COMPUTE_PGM_RSRC2:TRAP_HANDLER: 0
; COMPUTE_PGM_RSRC2:TGID_X_EN: 1
; COMPUTE_PGM_RSRC2:TGID_Y_EN: 0
; COMPUTE_PGM_RSRC2:TGID_Z_EN: 0
; COMPUTE_PGM_RSRC2:TIDIG_COMP_CNT: 0
; COMPUTE_PGM_RSRC3_GFX90A:ACCUM_OFFSET: 0
; COMPUTE_PGM_RSRC3_GFX90A:TG_SPLIT: 0
	.section	.text._ZN7rocprim17ROCPRIM_400000_NS6detail17trampoline_kernelINS0_14default_configENS1_27scan_by_key_config_selectorIiiEEZZNS1_16scan_by_key_implILNS1_25lookback_scan_determinismE0ELb1ES3_N6thrust23THRUST_200600_302600_NS6detail15normal_iteratorINS9_10device_ptrIiEEEESE_SE_iNS9_4plusIvEENS9_8equal_toIvEEiEE10hipError_tPvRmT2_T3_T4_T5_mT6_T7_P12ihipStream_tbENKUlT_T0_E_clISt17integral_constantIbLb0EESZ_EEDaSU_SV_EUlSU_E_NS1_11comp_targetILNS1_3genE2ELNS1_11target_archE906ELNS1_3gpuE6ELNS1_3repE0EEENS1_30default_config_static_selectorELNS0_4arch9wavefront6targetE1EEEvT1_,"axG",@progbits,_ZN7rocprim17ROCPRIM_400000_NS6detail17trampoline_kernelINS0_14default_configENS1_27scan_by_key_config_selectorIiiEEZZNS1_16scan_by_key_implILNS1_25lookback_scan_determinismE0ELb1ES3_N6thrust23THRUST_200600_302600_NS6detail15normal_iteratorINS9_10device_ptrIiEEEESE_SE_iNS9_4plusIvEENS9_8equal_toIvEEiEE10hipError_tPvRmT2_T3_T4_T5_mT6_T7_P12ihipStream_tbENKUlT_T0_E_clISt17integral_constantIbLb0EESZ_EEDaSU_SV_EUlSU_E_NS1_11comp_targetILNS1_3genE2ELNS1_11target_archE906ELNS1_3gpuE6ELNS1_3repE0EEENS1_30default_config_static_selectorELNS0_4arch9wavefront6targetE1EEEvT1_,comdat
	.protected	_ZN7rocprim17ROCPRIM_400000_NS6detail17trampoline_kernelINS0_14default_configENS1_27scan_by_key_config_selectorIiiEEZZNS1_16scan_by_key_implILNS1_25lookback_scan_determinismE0ELb1ES3_N6thrust23THRUST_200600_302600_NS6detail15normal_iteratorINS9_10device_ptrIiEEEESE_SE_iNS9_4plusIvEENS9_8equal_toIvEEiEE10hipError_tPvRmT2_T3_T4_T5_mT6_T7_P12ihipStream_tbENKUlT_T0_E_clISt17integral_constantIbLb0EESZ_EEDaSU_SV_EUlSU_E_NS1_11comp_targetILNS1_3genE2ELNS1_11target_archE906ELNS1_3gpuE6ELNS1_3repE0EEENS1_30default_config_static_selectorELNS0_4arch9wavefront6targetE1EEEvT1_ ; -- Begin function _ZN7rocprim17ROCPRIM_400000_NS6detail17trampoline_kernelINS0_14default_configENS1_27scan_by_key_config_selectorIiiEEZZNS1_16scan_by_key_implILNS1_25lookback_scan_determinismE0ELb1ES3_N6thrust23THRUST_200600_302600_NS6detail15normal_iteratorINS9_10device_ptrIiEEEESE_SE_iNS9_4plusIvEENS9_8equal_toIvEEiEE10hipError_tPvRmT2_T3_T4_T5_mT6_T7_P12ihipStream_tbENKUlT_T0_E_clISt17integral_constantIbLb0EESZ_EEDaSU_SV_EUlSU_E_NS1_11comp_targetILNS1_3genE2ELNS1_11target_archE906ELNS1_3gpuE6ELNS1_3repE0EEENS1_30default_config_static_selectorELNS0_4arch9wavefront6targetE1EEEvT1_
	.globl	_ZN7rocprim17ROCPRIM_400000_NS6detail17trampoline_kernelINS0_14default_configENS1_27scan_by_key_config_selectorIiiEEZZNS1_16scan_by_key_implILNS1_25lookback_scan_determinismE0ELb1ES3_N6thrust23THRUST_200600_302600_NS6detail15normal_iteratorINS9_10device_ptrIiEEEESE_SE_iNS9_4plusIvEENS9_8equal_toIvEEiEE10hipError_tPvRmT2_T3_T4_T5_mT6_T7_P12ihipStream_tbENKUlT_T0_E_clISt17integral_constantIbLb0EESZ_EEDaSU_SV_EUlSU_E_NS1_11comp_targetILNS1_3genE2ELNS1_11target_archE906ELNS1_3gpuE6ELNS1_3repE0EEENS1_30default_config_static_selectorELNS0_4arch9wavefront6targetE1EEEvT1_
	.p2align	8
	.type	_ZN7rocprim17ROCPRIM_400000_NS6detail17trampoline_kernelINS0_14default_configENS1_27scan_by_key_config_selectorIiiEEZZNS1_16scan_by_key_implILNS1_25lookback_scan_determinismE0ELb1ES3_N6thrust23THRUST_200600_302600_NS6detail15normal_iteratorINS9_10device_ptrIiEEEESE_SE_iNS9_4plusIvEENS9_8equal_toIvEEiEE10hipError_tPvRmT2_T3_T4_T5_mT6_T7_P12ihipStream_tbENKUlT_T0_E_clISt17integral_constantIbLb0EESZ_EEDaSU_SV_EUlSU_E_NS1_11comp_targetILNS1_3genE2ELNS1_11target_archE906ELNS1_3gpuE6ELNS1_3repE0EEENS1_30default_config_static_selectorELNS0_4arch9wavefront6targetE1EEEvT1_,@function
_ZN7rocprim17ROCPRIM_400000_NS6detail17trampoline_kernelINS0_14default_configENS1_27scan_by_key_config_selectorIiiEEZZNS1_16scan_by_key_implILNS1_25lookback_scan_determinismE0ELb1ES3_N6thrust23THRUST_200600_302600_NS6detail15normal_iteratorINS9_10device_ptrIiEEEESE_SE_iNS9_4plusIvEENS9_8equal_toIvEEiEE10hipError_tPvRmT2_T3_T4_T5_mT6_T7_P12ihipStream_tbENKUlT_T0_E_clISt17integral_constantIbLb0EESZ_EEDaSU_SV_EUlSU_E_NS1_11comp_targetILNS1_3genE2ELNS1_11target_archE906ELNS1_3gpuE6ELNS1_3repE0EEENS1_30default_config_static_selectorELNS0_4arch9wavefront6targetE1EEEvT1_: ; @_ZN7rocprim17ROCPRIM_400000_NS6detail17trampoline_kernelINS0_14default_configENS1_27scan_by_key_config_selectorIiiEEZZNS1_16scan_by_key_implILNS1_25lookback_scan_determinismE0ELb1ES3_N6thrust23THRUST_200600_302600_NS6detail15normal_iteratorINS9_10device_ptrIiEEEESE_SE_iNS9_4plusIvEENS9_8equal_toIvEEiEE10hipError_tPvRmT2_T3_T4_T5_mT6_T7_P12ihipStream_tbENKUlT_T0_E_clISt17integral_constantIbLb0EESZ_EEDaSU_SV_EUlSU_E_NS1_11comp_targetILNS1_3genE2ELNS1_11target_archE906ELNS1_3gpuE6ELNS1_3repE0EEENS1_30default_config_static_selectorELNS0_4arch9wavefront6targetE1EEEvT1_
; %bb.0:
	.section	.rodata,"a",@progbits
	.p2align	6, 0x0
	.amdhsa_kernel _ZN7rocprim17ROCPRIM_400000_NS6detail17trampoline_kernelINS0_14default_configENS1_27scan_by_key_config_selectorIiiEEZZNS1_16scan_by_key_implILNS1_25lookback_scan_determinismE0ELb1ES3_N6thrust23THRUST_200600_302600_NS6detail15normal_iteratorINS9_10device_ptrIiEEEESE_SE_iNS9_4plusIvEENS9_8equal_toIvEEiEE10hipError_tPvRmT2_T3_T4_T5_mT6_T7_P12ihipStream_tbENKUlT_T0_E_clISt17integral_constantIbLb0EESZ_EEDaSU_SV_EUlSU_E_NS1_11comp_targetILNS1_3genE2ELNS1_11target_archE906ELNS1_3gpuE6ELNS1_3repE0EEENS1_30default_config_static_selectorELNS0_4arch9wavefront6targetE1EEEvT1_
		.amdhsa_group_segment_fixed_size 0
		.amdhsa_private_segment_fixed_size 0
		.amdhsa_kernarg_size 112
		.amdhsa_user_sgpr_count 2
		.amdhsa_user_sgpr_dispatch_ptr 0
		.amdhsa_user_sgpr_queue_ptr 0
		.amdhsa_user_sgpr_kernarg_segment_ptr 1
		.amdhsa_user_sgpr_dispatch_id 0
		.amdhsa_user_sgpr_kernarg_preload_length 0
		.amdhsa_user_sgpr_kernarg_preload_offset 0
		.amdhsa_user_sgpr_private_segment_size 0
		.amdhsa_uses_dynamic_stack 0
		.amdhsa_enable_private_segment 0
		.amdhsa_system_sgpr_workgroup_id_x 1
		.amdhsa_system_sgpr_workgroup_id_y 0
		.amdhsa_system_sgpr_workgroup_id_z 0
		.amdhsa_system_sgpr_workgroup_info 0
		.amdhsa_system_vgpr_workitem_id 0
		.amdhsa_next_free_vgpr 1
		.amdhsa_next_free_sgpr 0
		.amdhsa_accum_offset 4
		.amdhsa_reserve_vcc 0
		.amdhsa_float_round_mode_32 0
		.amdhsa_float_round_mode_16_64 0
		.amdhsa_float_denorm_mode_32 3
		.amdhsa_float_denorm_mode_16_64 3
		.amdhsa_dx10_clamp 1
		.amdhsa_ieee_mode 1
		.amdhsa_fp16_overflow 0
		.amdhsa_tg_split 0
		.amdhsa_exception_fp_ieee_invalid_op 0
		.amdhsa_exception_fp_denorm_src 0
		.amdhsa_exception_fp_ieee_div_zero 0
		.amdhsa_exception_fp_ieee_overflow 0
		.amdhsa_exception_fp_ieee_underflow 0
		.amdhsa_exception_fp_ieee_inexact 0
		.amdhsa_exception_int_div_zero 0
	.end_amdhsa_kernel
	.section	.text._ZN7rocprim17ROCPRIM_400000_NS6detail17trampoline_kernelINS0_14default_configENS1_27scan_by_key_config_selectorIiiEEZZNS1_16scan_by_key_implILNS1_25lookback_scan_determinismE0ELb1ES3_N6thrust23THRUST_200600_302600_NS6detail15normal_iteratorINS9_10device_ptrIiEEEESE_SE_iNS9_4plusIvEENS9_8equal_toIvEEiEE10hipError_tPvRmT2_T3_T4_T5_mT6_T7_P12ihipStream_tbENKUlT_T0_E_clISt17integral_constantIbLb0EESZ_EEDaSU_SV_EUlSU_E_NS1_11comp_targetILNS1_3genE2ELNS1_11target_archE906ELNS1_3gpuE6ELNS1_3repE0EEENS1_30default_config_static_selectorELNS0_4arch9wavefront6targetE1EEEvT1_,"axG",@progbits,_ZN7rocprim17ROCPRIM_400000_NS6detail17trampoline_kernelINS0_14default_configENS1_27scan_by_key_config_selectorIiiEEZZNS1_16scan_by_key_implILNS1_25lookback_scan_determinismE0ELb1ES3_N6thrust23THRUST_200600_302600_NS6detail15normal_iteratorINS9_10device_ptrIiEEEESE_SE_iNS9_4plusIvEENS9_8equal_toIvEEiEE10hipError_tPvRmT2_T3_T4_T5_mT6_T7_P12ihipStream_tbENKUlT_T0_E_clISt17integral_constantIbLb0EESZ_EEDaSU_SV_EUlSU_E_NS1_11comp_targetILNS1_3genE2ELNS1_11target_archE906ELNS1_3gpuE6ELNS1_3repE0EEENS1_30default_config_static_selectorELNS0_4arch9wavefront6targetE1EEEvT1_,comdat
.Lfunc_end466:
	.size	_ZN7rocprim17ROCPRIM_400000_NS6detail17trampoline_kernelINS0_14default_configENS1_27scan_by_key_config_selectorIiiEEZZNS1_16scan_by_key_implILNS1_25lookback_scan_determinismE0ELb1ES3_N6thrust23THRUST_200600_302600_NS6detail15normal_iteratorINS9_10device_ptrIiEEEESE_SE_iNS9_4plusIvEENS9_8equal_toIvEEiEE10hipError_tPvRmT2_T3_T4_T5_mT6_T7_P12ihipStream_tbENKUlT_T0_E_clISt17integral_constantIbLb0EESZ_EEDaSU_SV_EUlSU_E_NS1_11comp_targetILNS1_3genE2ELNS1_11target_archE906ELNS1_3gpuE6ELNS1_3repE0EEENS1_30default_config_static_selectorELNS0_4arch9wavefront6targetE1EEEvT1_, .Lfunc_end466-_ZN7rocprim17ROCPRIM_400000_NS6detail17trampoline_kernelINS0_14default_configENS1_27scan_by_key_config_selectorIiiEEZZNS1_16scan_by_key_implILNS1_25lookback_scan_determinismE0ELb1ES3_N6thrust23THRUST_200600_302600_NS6detail15normal_iteratorINS9_10device_ptrIiEEEESE_SE_iNS9_4plusIvEENS9_8equal_toIvEEiEE10hipError_tPvRmT2_T3_T4_T5_mT6_T7_P12ihipStream_tbENKUlT_T0_E_clISt17integral_constantIbLb0EESZ_EEDaSU_SV_EUlSU_E_NS1_11comp_targetILNS1_3genE2ELNS1_11target_archE906ELNS1_3gpuE6ELNS1_3repE0EEENS1_30default_config_static_selectorELNS0_4arch9wavefront6targetE1EEEvT1_
                                        ; -- End function
	.section	.AMDGPU.csdata,"",@progbits
; Kernel info:
; codeLenInByte = 0
; NumSgprs: 6
; NumVgprs: 0
; NumAgprs: 0
; TotalNumVgprs: 0
; ScratchSize: 0
; MemoryBound: 0
; FloatMode: 240
; IeeeMode: 1
; LDSByteSize: 0 bytes/workgroup (compile time only)
; SGPRBlocks: 0
; VGPRBlocks: 0
; NumSGPRsForWavesPerEU: 6
; NumVGPRsForWavesPerEU: 1
; AccumOffset: 4
; Occupancy: 8
; WaveLimiterHint : 0
; COMPUTE_PGM_RSRC2:SCRATCH_EN: 0
; COMPUTE_PGM_RSRC2:USER_SGPR: 2
; COMPUTE_PGM_RSRC2:TRAP_HANDLER: 0
; COMPUTE_PGM_RSRC2:TGID_X_EN: 1
; COMPUTE_PGM_RSRC2:TGID_Y_EN: 0
; COMPUTE_PGM_RSRC2:TGID_Z_EN: 0
; COMPUTE_PGM_RSRC2:TIDIG_COMP_CNT: 0
; COMPUTE_PGM_RSRC3_GFX90A:ACCUM_OFFSET: 0
; COMPUTE_PGM_RSRC3_GFX90A:TG_SPLIT: 0
	.section	.text._ZN7rocprim17ROCPRIM_400000_NS6detail17trampoline_kernelINS0_14default_configENS1_27scan_by_key_config_selectorIiiEEZZNS1_16scan_by_key_implILNS1_25lookback_scan_determinismE0ELb1ES3_N6thrust23THRUST_200600_302600_NS6detail15normal_iteratorINS9_10device_ptrIiEEEESE_SE_iNS9_4plusIvEENS9_8equal_toIvEEiEE10hipError_tPvRmT2_T3_T4_T5_mT6_T7_P12ihipStream_tbENKUlT_T0_E_clISt17integral_constantIbLb0EESZ_EEDaSU_SV_EUlSU_E_NS1_11comp_targetILNS1_3genE10ELNS1_11target_archE1200ELNS1_3gpuE4ELNS1_3repE0EEENS1_30default_config_static_selectorELNS0_4arch9wavefront6targetE1EEEvT1_,"axG",@progbits,_ZN7rocprim17ROCPRIM_400000_NS6detail17trampoline_kernelINS0_14default_configENS1_27scan_by_key_config_selectorIiiEEZZNS1_16scan_by_key_implILNS1_25lookback_scan_determinismE0ELb1ES3_N6thrust23THRUST_200600_302600_NS6detail15normal_iteratorINS9_10device_ptrIiEEEESE_SE_iNS9_4plusIvEENS9_8equal_toIvEEiEE10hipError_tPvRmT2_T3_T4_T5_mT6_T7_P12ihipStream_tbENKUlT_T0_E_clISt17integral_constantIbLb0EESZ_EEDaSU_SV_EUlSU_E_NS1_11comp_targetILNS1_3genE10ELNS1_11target_archE1200ELNS1_3gpuE4ELNS1_3repE0EEENS1_30default_config_static_selectorELNS0_4arch9wavefront6targetE1EEEvT1_,comdat
	.protected	_ZN7rocprim17ROCPRIM_400000_NS6detail17trampoline_kernelINS0_14default_configENS1_27scan_by_key_config_selectorIiiEEZZNS1_16scan_by_key_implILNS1_25lookback_scan_determinismE0ELb1ES3_N6thrust23THRUST_200600_302600_NS6detail15normal_iteratorINS9_10device_ptrIiEEEESE_SE_iNS9_4plusIvEENS9_8equal_toIvEEiEE10hipError_tPvRmT2_T3_T4_T5_mT6_T7_P12ihipStream_tbENKUlT_T0_E_clISt17integral_constantIbLb0EESZ_EEDaSU_SV_EUlSU_E_NS1_11comp_targetILNS1_3genE10ELNS1_11target_archE1200ELNS1_3gpuE4ELNS1_3repE0EEENS1_30default_config_static_selectorELNS0_4arch9wavefront6targetE1EEEvT1_ ; -- Begin function _ZN7rocprim17ROCPRIM_400000_NS6detail17trampoline_kernelINS0_14default_configENS1_27scan_by_key_config_selectorIiiEEZZNS1_16scan_by_key_implILNS1_25lookback_scan_determinismE0ELb1ES3_N6thrust23THRUST_200600_302600_NS6detail15normal_iteratorINS9_10device_ptrIiEEEESE_SE_iNS9_4plusIvEENS9_8equal_toIvEEiEE10hipError_tPvRmT2_T3_T4_T5_mT6_T7_P12ihipStream_tbENKUlT_T0_E_clISt17integral_constantIbLb0EESZ_EEDaSU_SV_EUlSU_E_NS1_11comp_targetILNS1_3genE10ELNS1_11target_archE1200ELNS1_3gpuE4ELNS1_3repE0EEENS1_30default_config_static_selectorELNS0_4arch9wavefront6targetE1EEEvT1_
	.globl	_ZN7rocprim17ROCPRIM_400000_NS6detail17trampoline_kernelINS0_14default_configENS1_27scan_by_key_config_selectorIiiEEZZNS1_16scan_by_key_implILNS1_25lookback_scan_determinismE0ELb1ES3_N6thrust23THRUST_200600_302600_NS6detail15normal_iteratorINS9_10device_ptrIiEEEESE_SE_iNS9_4plusIvEENS9_8equal_toIvEEiEE10hipError_tPvRmT2_T3_T4_T5_mT6_T7_P12ihipStream_tbENKUlT_T0_E_clISt17integral_constantIbLb0EESZ_EEDaSU_SV_EUlSU_E_NS1_11comp_targetILNS1_3genE10ELNS1_11target_archE1200ELNS1_3gpuE4ELNS1_3repE0EEENS1_30default_config_static_selectorELNS0_4arch9wavefront6targetE1EEEvT1_
	.p2align	8
	.type	_ZN7rocprim17ROCPRIM_400000_NS6detail17trampoline_kernelINS0_14default_configENS1_27scan_by_key_config_selectorIiiEEZZNS1_16scan_by_key_implILNS1_25lookback_scan_determinismE0ELb1ES3_N6thrust23THRUST_200600_302600_NS6detail15normal_iteratorINS9_10device_ptrIiEEEESE_SE_iNS9_4plusIvEENS9_8equal_toIvEEiEE10hipError_tPvRmT2_T3_T4_T5_mT6_T7_P12ihipStream_tbENKUlT_T0_E_clISt17integral_constantIbLb0EESZ_EEDaSU_SV_EUlSU_E_NS1_11comp_targetILNS1_3genE10ELNS1_11target_archE1200ELNS1_3gpuE4ELNS1_3repE0EEENS1_30default_config_static_selectorELNS0_4arch9wavefront6targetE1EEEvT1_,@function
_ZN7rocprim17ROCPRIM_400000_NS6detail17trampoline_kernelINS0_14default_configENS1_27scan_by_key_config_selectorIiiEEZZNS1_16scan_by_key_implILNS1_25lookback_scan_determinismE0ELb1ES3_N6thrust23THRUST_200600_302600_NS6detail15normal_iteratorINS9_10device_ptrIiEEEESE_SE_iNS9_4plusIvEENS9_8equal_toIvEEiEE10hipError_tPvRmT2_T3_T4_T5_mT6_T7_P12ihipStream_tbENKUlT_T0_E_clISt17integral_constantIbLb0EESZ_EEDaSU_SV_EUlSU_E_NS1_11comp_targetILNS1_3genE10ELNS1_11target_archE1200ELNS1_3gpuE4ELNS1_3repE0EEENS1_30default_config_static_selectorELNS0_4arch9wavefront6targetE1EEEvT1_: ; @_ZN7rocprim17ROCPRIM_400000_NS6detail17trampoline_kernelINS0_14default_configENS1_27scan_by_key_config_selectorIiiEEZZNS1_16scan_by_key_implILNS1_25lookback_scan_determinismE0ELb1ES3_N6thrust23THRUST_200600_302600_NS6detail15normal_iteratorINS9_10device_ptrIiEEEESE_SE_iNS9_4plusIvEENS9_8equal_toIvEEiEE10hipError_tPvRmT2_T3_T4_T5_mT6_T7_P12ihipStream_tbENKUlT_T0_E_clISt17integral_constantIbLb0EESZ_EEDaSU_SV_EUlSU_E_NS1_11comp_targetILNS1_3genE10ELNS1_11target_archE1200ELNS1_3gpuE4ELNS1_3repE0EEENS1_30default_config_static_selectorELNS0_4arch9wavefront6targetE1EEEvT1_
; %bb.0:
	.section	.rodata,"a",@progbits
	.p2align	6, 0x0
	.amdhsa_kernel _ZN7rocprim17ROCPRIM_400000_NS6detail17trampoline_kernelINS0_14default_configENS1_27scan_by_key_config_selectorIiiEEZZNS1_16scan_by_key_implILNS1_25lookback_scan_determinismE0ELb1ES3_N6thrust23THRUST_200600_302600_NS6detail15normal_iteratorINS9_10device_ptrIiEEEESE_SE_iNS9_4plusIvEENS9_8equal_toIvEEiEE10hipError_tPvRmT2_T3_T4_T5_mT6_T7_P12ihipStream_tbENKUlT_T0_E_clISt17integral_constantIbLb0EESZ_EEDaSU_SV_EUlSU_E_NS1_11comp_targetILNS1_3genE10ELNS1_11target_archE1200ELNS1_3gpuE4ELNS1_3repE0EEENS1_30default_config_static_selectorELNS0_4arch9wavefront6targetE1EEEvT1_
		.amdhsa_group_segment_fixed_size 0
		.amdhsa_private_segment_fixed_size 0
		.amdhsa_kernarg_size 112
		.amdhsa_user_sgpr_count 2
		.amdhsa_user_sgpr_dispatch_ptr 0
		.amdhsa_user_sgpr_queue_ptr 0
		.amdhsa_user_sgpr_kernarg_segment_ptr 1
		.amdhsa_user_sgpr_dispatch_id 0
		.amdhsa_user_sgpr_kernarg_preload_length 0
		.amdhsa_user_sgpr_kernarg_preload_offset 0
		.amdhsa_user_sgpr_private_segment_size 0
		.amdhsa_uses_dynamic_stack 0
		.amdhsa_enable_private_segment 0
		.amdhsa_system_sgpr_workgroup_id_x 1
		.amdhsa_system_sgpr_workgroup_id_y 0
		.amdhsa_system_sgpr_workgroup_id_z 0
		.amdhsa_system_sgpr_workgroup_info 0
		.amdhsa_system_vgpr_workitem_id 0
		.amdhsa_next_free_vgpr 1
		.amdhsa_next_free_sgpr 0
		.amdhsa_accum_offset 4
		.amdhsa_reserve_vcc 0
		.amdhsa_float_round_mode_32 0
		.amdhsa_float_round_mode_16_64 0
		.amdhsa_float_denorm_mode_32 3
		.amdhsa_float_denorm_mode_16_64 3
		.amdhsa_dx10_clamp 1
		.amdhsa_ieee_mode 1
		.amdhsa_fp16_overflow 0
		.amdhsa_tg_split 0
		.amdhsa_exception_fp_ieee_invalid_op 0
		.amdhsa_exception_fp_denorm_src 0
		.amdhsa_exception_fp_ieee_div_zero 0
		.amdhsa_exception_fp_ieee_overflow 0
		.amdhsa_exception_fp_ieee_underflow 0
		.amdhsa_exception_fp_ieee_inexact 0
		.amdhsa_exception_int_div_zero 0
	.end_amdhsa_kernel
	.section	.text._ZN7rocprim17ROCPRIM_400000_NS6detail17trampoline_kernelINS0_14default_configENS1_27scan_by_key_config_selectorIiiEEZZNS1_16scan_by_key_implILNS1_25lookback_scan_determinismE0ELb1ES3_N6thrust23THRUST_200600_302600_NS6detail15normal_iteratorINS9_10device_ptrIiEEEESE_SE_iNS9_4plusIvEENS9_8equal_toIvEEiEE10hipError_tPvRmT2_T3_T4_T5_mT6_T7_P12ihipStream_tbENKUlT_T0_E_clISt17integral_constantIbLb0EESZ_EEDaSU_SV_EUlSU_E_NS1_11comp_targetILNS1_3genE10ELNS1_11target_archE1200ELNS1_3gpuE4ELNS1_3repE0EEENS1_30default_config_static_selectorELNS0_4arch9wavefront6targetE1EEEvT1_,"axG",@progbits,_ZN7rocprim17ROCPRIM_400000_NS6detail17trampoline_kernelINS0_14default_configENS1_27scan_by_key_config_selectorIiiEEZZNS1_16scan_by_key_implILNS1_25lookback_scan_determinismE0ELb1ES3_N6thrust23THRUST_200600_302600_NS6detail15normal_iteratorINS9_10device_ptrIiEEEESE_SE_iNS9_4plusIvEENS9_8equal_toIvEEiEE10hipError_tPvRmT2_T3_T4_T5_mT6_T7_P12ihipStream_tbENKUlT_T0_E_clISt17integral_constantIbLb0EESZ_EEDaSU_SV_EUlSU_E_NS1_11comp_targetILNS1_3genE10ELNS1_11target_archE1200ELNS1_3gpuE4ELNS1_3repE0EEENS1_30default_config_static_selectorELNS0_4arch9wavefront6targetE1EEEvT1_,comdat
.Lfunc_end467:
	.size	_ZN7rocprim17ROCPRIM_400000_NS6detail17trampoline_kernelINS0_14default_configENS1_27scan_by_key_config_selectorIiiEEZZNS1_16scan_by_key_implILNS1_25lookback_scan_determinismE0ELb1ES3_N6thrust23THRUST_200600_302600_NS6detail15normal_iteratorINS9_10device_ptrIiEEEESE_SE_iNS9_4plusIvEENS9_8equal_toIvEEiEE10hipError_tPvRmT2_T3_T4_T5_mT6_T7_P12ihipStream_tbENKUlT_T0_E_clISt17integral_constantIbLb0EESZ_EEDaSU_SV_EUlSU_E_NS1_11comp_targetILNS1_3genE10ELNS1_11target_archE1200ELNS1_3gpuE4ELNS1_3repE0EEENS1_30default_config_static_selectorELNS0_4arch9wavefront6targetE1EEEvT1_, .Lfunc_end467-_ZN7rocprim17ROCPRIM_400000_NS6detail17trampoline_kernelINS0_14default_configENS1_27scan_by_key_config_selectorIiiEEZZNS1_16scan_by_key_implILNS1_25lookback_scan_determinismE0ELb1ES3_N6thrust23THRUST_200600_302600_NS6detail15normal_iteratorINS9_10device_ptrIiEEEESE_SE_iNS9_4plusIvEENS9_8equal_toIvEEiEE10hipError_tPvRmT2_T3_T4_T5_mT6_T7_P12ihipStream_tbENKUlT_T0_E_clISt17integral_constantIbLb0EESZ_EEDaSU_SV_EUlSU_E_NS1_11comp_targetILNS1_3genE10ELNS1_11target_archE1200ELNS1_3gpuE4ELNS1_3repE0EEENS1_30default_config_static_selectorELNS0_4arch9wavefront6targetE1EEEvT1_
                                        ; -- End function
	.section	.AMDGPU.csdata,"",@progbits
; Kernel info:
; codeLenInByte = 0
; NumSgprs: 6
; NumVgprs: 0
; NumAgprs: 0
; TotalNumVgprs: 0
; ScratchSize: 0
; MemoryBound: 0
; FloatMode: 240
; IeeeMode: 1
; LDSByteSize: 0 bytes/workgroup (compile time only)
; SGPRBlocks: 0
; VGPRBlocks: 0
; NumSGPRsForWavesPerEU: 6
; NumVGPRsForWavesPerEU: 1
; AccumOffset: 4
; Occupancy: 8
; WaveLimiterHint : 0
; COMPUTE_PGM_RSRC2:SCRATCH_EN: 0
; COMPUTE_PGM_RSRC2:USER_SGPR: 2
; COMPUTE_PGM_RSRC2:TRAP_HANDLER: 0
; COMPUTE_PGM_RSRC2:TGID_X_EN: 1
; COMPUTE_PGM_RSRC2:TGID_Y_EN: 0
; COMPUTE_PGM_RSRC2:TGID_Z_EN: 0
; COMPUTE_PGM_RSRC2:TIDIG_COMP_CNT: 0
; COMPUTE_PGM_RSRC3_GFX90A:ACCUM_OFFSET: 0
; COMPUTE_PGM_RSRC3_GFX90A:TG_SPLIT: 0
	.section	.text._ZN7rocprim17ROCPRIM_400000_NS6detail17trampoline_kernelINS0_14default_configENS1_27scan_by_key_config_selectorIiiEEZZNS1_16scan_by_key_implILNS1_25lookback_scan_determinismE0ELb1ES3_N6thrust23THRUST_200600_302600_NS6detail15normal_iteratorINS9_10device_ptrIiEEEESE_SE_iNS9_4plusIvEENS9_8equal_toIvEEiEE10hipError_tPvRmT2_T3_T4_T5_mT6_T7_P12ihipStream_tbENKUlT_T0_E_clISt17integral_constantIbLb0EESZ_EEDaSU_SV_EUlSU_E_NS1_11comp_targetILNS1_3genE9ELNS1_11target_archE1100ELNS1_3gpuE3ELNS1_3repE0EEENS1_30default_config_static_selectorELNS0_4arch9wavefront6targetE1EEEvT1_,"axG",@progbits,_ZN7rocprim17ROCPRIM_400000_NS6detail17trampoline_kernelINS0_14default_configENS1_27scan_by_key_config_selectorIiiEEZZNS1_16scan_by_key_implILNS1_25lookback_scan_determinismE0ELb1ES3_N6thrust23THRUST_200600_302600_NS6detail15normal_iteratorINS9_10device_ptrIiEEEESE_SE_iNS9_4plusIvEENS9_8equal_toIvEEiEE10hipError_tPvRmT2_T3_T4_T5_mT6_T7_P12ihipStream_tbENKUlT_T0_E_clISt17integral_constantIbLb0EESZ_EEDaSU_SV_EUlSU_E_NS1_11comp_targetILNS1_3genE9ELNS1_11target_archE1100ELNS1_3gpuE3ELNS1_3repE0EEENS1_30default_config_static_selectorELNS0_4arch9wavefront6targetE1EEEvT1_,comdat
	.protected	_ZN7rocprim17ROCPRIM_400000_NS6detail17trampoline_kernelINS0_14default_configENS1_27scan_by_key_config_selectorIiiEEZZNS1_16scan_by_key_implILNS1_25lookback_scan_determinismE0ELb1ES3_N6thrust23THRUST_200600_302600_NS6detail15normal_iteratorINS9_10device_ptrIiEEEESE_SE_iNS9_4plusIvEENS9_8equal_toIvEEiEE10hipError_tPvRmT2_T3_T4_T5_mT6_T7_P12ihipStream_tbENKUlT_T0_E_clISt17integral_constantIbLb0EESZ_EEDaSU_SV_EUlSU_E_NS1_11comp_targetILNS1_3genE9ELNS1_11target_archE1100ELNS1_3gpuE3ELNS1_3repE0EEENS1_30default_config_static_selectorELNS0_4arch9wavefront6targetE1EEEvT1_ ; -- Begin function _ZN7rocprim17ROCPRIM_400000_NS6detail17trampoline_kernelINS0_14default_configENS1_27scan_by_key_config_selectorIiiEEZZNS1_16scan_by_key_implILNS1_25lookback_scan_determinismE0ELb1ES3_N6thrust23THRUST_200600_302600_NS6detail15normal_iteratorINS9_10device_ptrIiEEEESE_SE_iNS9_4plusIvEENS9_8equal_toIvEEiEE10hipError_tPvRmT2_T3_T4_T5_mT6_T7_P12ihipStream_tbENKUlT_T0_E_clISt17integral_constantIbLb0EESZ_EEDaSU_SV_EUlSU_E_NS1_11comp_targetILNS1_3genE9ELNS1_11target_archE1100ELNS1_3gpuE3ELNS1_3repE0EEENS1_30default_config_static_selectorELNS0_4arch9wavefront6targetE1EEEvT1_
	.globl	_ZN7rocprim17ROCPRIM_400000_NS6detail17trampoline_kernelINS0_14default_configENS1_27scan_by_key_config_selectorIiiEEZZNS1_16scan_by_key_implILNS1_25lookback_scan_determinismE0ELb1ES3_N6thrust23THRUST_200600_302600_NS6detail15normal_iteratorINS9_10device_ptrIiEEEESE_SE_iNS9_4plusIvEENS9_8equal_toIvEEiEE10hipError_tPvRmT2_T3_T4_T5_mT6_T7_P12ihipStream_tbENKUlT_T0_E_clISt17integral_constantIbLb0EESZ_EEDaSU_SV_EUlSU_E_NS1_11comp_targetILNS1_3genE9ELNS1_11target_archE1100ELNS1_3gpuE3ELNS1_3repE0EEENS1_30default_config_static_selectorELNS0_4arch9wavefront6targetE1EEEvT1_
	.p2align	8
	.type	_ZN7rocprim17ROCPRIM_400000_NS6detail17trampoline_kernelINS0_14default_configENS1_27scan_by_key_config_selectorIiiEEZZNS1_16scan_by_key_implILNS1_25lookback_scan_determinismE0ELb1ES3_N6thrust23THRUST_200600_302600_NS6detail15normal_iteratorINS9_10device_ptrIiEEEESE_SE_iNS9_4plusIvEENS9_8equal_toIvEEiEE10hipError_tPvRmT2_T3_T4_T5_mT6_T7_P12ihipStream_tbENKUlT_T0_E_clISt17integral_constantIbLb0EESZ_EEDaSU_SV_EUlSU_E_NS1_11comp_targetILNS1_3genE9ELNS1_11target_archE1100ELNS1_3gpuE3ELNS1_3repE0EEENS1_30default_config_static_selectorELNS0_4arch9wavefront6targetE1EEEvT1_,@function
_ZN7rocprim17ROCPRIM_400000_NS6detail17trampoline_kernelINS0_14default_configENS1_27scan_by_key_config_selectorIiiEEZZNS1_16scan_by_key_implILNS1_25lookback_scan_determinismE0ELb1ES3_N6thrust23THRUST_200600_302600_NS6detail15normal_iteratorINS9_10device_ptrIiEEEESE_SE_iNS9_4plusIvEENS9_8equal_toIvEEiEE10hipError_tPvRmT2_T3_T4_T5_mT6_T7_P12ihipStream_tbENKUlT_T0_E_clISt17integral_constantIbLb0EESZ_EEDaSU_SV_EUlSU_E_NS1_11comp_targetILNS1_3genE9ELNS1_11target_archE1100ELNS1_3gpuE3ELNS1_3repE0EEENS1_30default_config_static_selectorELNS0_4arch9wavefront6targetE1EEEvT1_: ; @_ZN7rocprim17ROCPRIM_400000_NS6detail17trampoline_kernelINS0_14default_configENS1_27scan_by_key_config_selectorIiiEEZZNS1_16scan_by_key_implILNS1_25lookback_scan_determinismE0ELb1ES3_N6thrust23THRUST_200600_302600_NS6detail15normal_iteratorINS9_10device_ptrIiEEEESE_SE_iNS9_4plusIvEENS9_8equal_toIvEEiEE10hipError_tPvRmT2_T3_T4_T5_mT6_T7_P12ihipStream_tbENKUlT_T0_E_clISt17integral_constantIbLb0EESZ_EEDaSU_SV_EUlSU_E_NS1_11comp_targetILNS1_3genE9ELNS1_11target_archE1100ELNS1_3gpuE3ELNS1_3repE0EEENS1_30default_config_static_selectorELNS0_4arch9wavefront6targetE1EEEvT1_
; %bb.0:
	.section	.rodata,"a",@progbits
	.p2align	6, 0x0
	.amdhsa_kernel _ZN7rocprim17ROCPRIM_400000_NS6detail17trampoline_kernelINS0_14default_configENS1_27scan_by_key_config_selectorIiiEEZZNS1_16scan_by_key_implILNS1_25lookback_scan_determinismE0ELb1ES3_N6thrust23THRUST_200600_302600_NS6detail15normal_iteratorINS9_10device_ptrIiEEEESE_SE_iNS9_4plusIvEENS9_8equal_toIvEEiEE10hipError_tPvRmT2_T3_T4_T5_mT6_T7_P12ihipStream_tbENKUlT_T0_E_clISt17integral_constantIbLb0EESZ_EEDaSU_SV_EUlSU_E_NS1_11comp_targetILNS1_3genE9ELNS1_11target_archE1100ELNS1_3gpuE3ELNS1_3repE0EEENS1_30default_config_static_selectorELNS0_4arch9wavefront6targetE1EEEvT1_
		.amdhsa_group_segment_fixed_size 0
		.amdhsa_private_segment_fixed_size 0
		.amdhsa_kernarg_size 112
		.amdhsa_user_sgpr_count 2
		.amdhsa_user_sgpr_dispatch_ptr 0
		.amdhsa_user_sgpr_queue_ptr 0
		.amdhsa_user_sgpr_kernarg_segment_ptr 1
		.amdhsa_user_sgpr_dispatch_id 0
		.amdhsa_user_sgpr_kernarg_preload_length 0
		.amdhsa_user_sgpr_kernarg_preload_offset 0
		.amdhsa_user_sgpr_private_segment_size 0
		.amdhsa_uses_dynamic_stack 0
		.amdhsa_enable_private_segment 0
		.amdhsa_system_sgpr_workgroup_id_x 1
		.amdhsa_system_sgpr_workgroup_id_y 0
		.amdhsa_system_sgpr_workgroup_id_z 0
		.amdhsa_system_sgpr_workgroup_info 0
		.amdhsa_system_vgpr_workitem_id 0
		.amdhsa_next_free_vgpr 1
		.amdhsa_next_free_sgpr 0
		.amdhsa_accum_offset 4
		.amdhsa_reserve_vcc 0
		.amdhsa_float_round_mode_32 0
		.amdhsa_float_round_mode_16_64 0
		.amdhsa_float_denorm_mode_32 3
		.amdhsa_float_denorm_mode_16_64 3
		.amdhsa_dx10_clamp 1
		.amdhsa_ieee_mode 1
		.amdhsa_fp16_overflow 0
		.amdhsa_tg_split 0
		.amdhsa_exception_fp_ieee_invalid_op 0
		.amdhsa_exception_fp_denorm_src 0
		.amdhsa_exception_fp_ieee_div_zero 0
		.amdhsa_exception_fp_ieee_overflow 0
		.amdhsa_exception_fp_ieee_underflow 0
		.amdhsa_exception_fp_ieee_inexact 0
		.amdhsa_exception_int_div_zero 0
	.end_amdhsa_kernel
	.section	.text._ZN7rocprim17ROCPRIM_400000_NS6detail17trampoline_kernelINS0_14default_configENS1_27scan_by_key_config_selectorIiiEEZZNS1_16scan_by_key_implILNS1_25lookback_scan_determinismE0ELb1ES3_N6thrust23THRUST_200600_302600_NS6detail15normal_iteratorINS9_10device_ptrIiEEEESE_SE_iNS9_4plusIvEENS9_8equal_toIvEEiEE10hipError_tPvRmT2_T3_T4_T5_mT6_T7_P12ihipStream_tbENKUlT_T0_E_clISt17integral_constantIbLb0EESZ_EEDaSU_SV_EUlSU_E_NS1_11comp_targetILNS1_3genE9ELNS1_11target_archE1100ELNS1_3gpuE3ELNS1_3repE0EEENS1_30default_config_static_selectorELNS0_4arch9wavefront6targetE1EEEvT1_,"axG",@progbits,_ZN7rocprim17ROCPRIM_400000_NS6detail17trampoline_kernelINS0_14default_configENS1_27scan_by_key_config_selectorIiiEEZZNS1_16scan_by_key_implILNS1_25lookback_scan_determinismE0ELb1ES3_N6thrust23THRUST_200600_302600_NS6detail15normal_iteratorINS9_10device_ptrIiEEEESE_SE_iNS9_4plusIvEENS9_8equal_toIvEEiEE10hipError_tPvRmT2_T3_T4_T5_mT6_T7_P12ihipStream_tbENKUlT_T0_E_clISt17integral_constantIbLb0EESZ_EEDaSU_SV_EUlSU_E_NS1_11comp_targetILNS1_3genE9ELNS1_11target_archE1100ELNS1_3gpuE3ELNS1_3repE0EEENS1_30default_config_static_selectorELNS0_4arch9wavefront6targetE1EEEvT1_,comdat
.Lfunc_end468:
	.size	_ZN7rocprim17ROCPRIM_400000_NS6detail17trampoline_kernelINS0_14default_configENS1_27scan_by_key_config_selectorIiiEEZZNS1_16scan_by_key_implILNS1_25lookback_scan_determinismE0ELb1ES3_N6thrust23THRUST_200600_302600_NS6detail15normal_iteratorINS9_10device_ptrIiEEEESE_SE_iNS9_4plusIvEENS9_8equal_toIvEEiEE10hipError_tPvRmT2_T3_T4_T5_mT6_T7_P12ihipStream_tbENKUlT_T0_E_clISt17integral_constantIbLb0EESZ_EEDaSU_SV_EUlSU_E_NS1_11comp_targetILNS1_3genE9ELNS1_11target_archE1100ELNS1_3gpuE3ELNS1_3repE0EEENS1_30default_config_static_selectorELNS0_4arch9wavefront6targetE1EEEvT1_, .Lfunc_end468-_ZN7rocprim17ROCPRIM_400000_NS6detail17trampoline_kernelINS0_14default_configENS1_27scan_by_key_config_selectorIiiEEZZNS1_16scan_by_key_implILNS1_25lookback_scan_determinismE0ELb1ES3_N6thrust23THRUST_200600_302600_NS6detail15normal_iteratorINS9_10device_ptrIiEEEESE_SE_iNS9_4plusIvEENS9_8equal_toIvEEiEE10hipError_tPvRmT2_T3_T4_T5_mT6_T7_P12ihipStream_tbENKUlT_T0_E_clISt17integral_constantIbLb0EESZ_EEDaSU_SV_EUlSU_E_NS1_11comp_targetILNS1_3genE9ELNS1_11target_archE1100ELNS1_3gpuE3ELNS1_3repE0EEENS1_30default_config_static_selectorELNS0_4arch9wavefront6targetE1EEEvT1_
                                        ; -- End function
	.section	.AMDGPU.csdata,"",@progbits
; Kernel info:
; codeLenInByte = 0
; NumSgprs: 6
; NumVgprs: 0
; NumAgprs: 0
; TotalNumVgprs: 0
; ScratchSize: 0
; MemoryBound: 0
; FloatMode: 240
; IeeeMode: 1
; LDSByteSize: 0 bytes/workgroup (compile time only)
; SGPRBlocks: 0
; VGPRBlocks: 0
; NumSGPRsForWavesPerEU: 6
; NumVGPRsForWavesPerEU: 1
; AccumOffset: 4
; Occupancy: 8
; WaveLimiterHint : 0
; COMPUTE_PGM_RSRC2:SCRATCH_EN: 0
; COMPUTE_PGM_RSRC2:USER_SGPR: 2
; COMPUTE_PGM_RSRC2:TRAP_HANDLER: 0
; COMPUTE_PGM_RSRC2:TGID_X_EN: 1
; COMPUTE_PGM_RSRC2:TGID_Y_EN: 0
; COMPUTE_PGM_RSRC2:TGID_Z_EN: 0
; COMPUTE_PGM_RSRC2:TIDIG_COMP_CNT: 0
; COMPUTE_PGM_RSRC3_GFX90A:ACCUM_OFFSET: 0
; COMPUTE_PGM_RSRC3_GFX90A:TG_SPLIT: 0
	.section	.text._ZN7rocprim17ROCPRIM_400000_NS6detail17trampoline_kernelINS0_14default_configENS1_27scan_by_key_config_selectorIiiEEZZNS1_16scan_by_key_implILNS1_25lookback_scan_determinismE0ELb1ES3_N6thrust23THRUST_200600_302600_NS6detail15normal_iteratorINS9_10device_ptrIiEEEESE_SE_iNS9_4plusIvEENS9_8equal_toIvEEiEE10hipError_tPvRmT2_T3_T4_T5_mT6_T7_P12ihipStream_tbENKUlT_T0_E_clISt17integral_constantIbLb0EESZ_EEDaSU_SV_EUlSU_E_NS1_11comp_targetILNS1_3genE8ELNS1_11target_archE1030ELNS1_3gpuE2ELNS1_3repE0EEENS1_30default_config_static_selectorELNS0_4arch9wavefront6targetE1EEEvT1_,"axG",@progbits,_ZN7rocprim17ROCPRIM_400000_NS6detail17trampoline_kernelINS0_14default_configENS1_27scan_by_key_config_selectorIiiEEZZNS1_16scan_by_key_implILNS1_25lookback_scan_determinismE0ELb1ES3_N6thrust23THRUST_200600_302600_NS6detail15normal_iteratorINS9_10device_ptrIiEEEESE_SE_iNS9_4plusIvEENS9_8equal_toIvEEiEE10hipError_tPvRmT2_T3_T4_T5_mT6_T7_P12ihipStream_tbENKUlT_T0_E_clISt17integral_constantIbLb0EESZ_EEDaSU_SV_EUlSU_E_NS1_11comp_targetILNS1_3genE8ELNS1_11target_archE1030ELNS1_3gpuE2ELNS1_3repE0EEENS1_30default_config_static_selectorELNS0_4arch9wavefront6targetE1EEEvT1_,comdat
	.protected	_ZN7rocprim17ROCPRIM_400000_NS6detail17trampoline_kernelINS0_14default_configENS1_27scan_by_key_config_selectorIiiEEZZNS1_16scan_by_key_implILNS1_25lookback_scan_determinismE0ELb1ES3_N6thrust23THRUST_200600_302600_NS6detail15normal_iteratorINS9_10device_ptrIiEEEESE_SE_iNS9_4plusIvEENS9_8equal_toIvEEiEE10hipError_tPvRmT2_T3_T4_T5_mT6_T7_P12ihipStream_tbENKUlT_T0_E_clISt17integral_constantIbLb0EESZ_EEDaSU_SV_EUlSU_E_NS1_11comp_targetILNS1_3genE8ELNS1_11target_archE1030ELNS1_3gpuE2ELNS1_3repE0EEENS1_30default_config_static_selectorELNS0_4arch9wavefront6targetE1EEEvT1_ ; -- Begin function _ZN7rocprim17ROCPRIM_400000_NS6detail17trampoline_kernelINS0_14default_configENS1_27scan_by_key_config_selectorIiiEEZZNS1_16scan_by_key_implILNS1_25lookback_scan_determinismE0ELb1ES3_N6thrust23THRUST_200600_302600_NS6detail15normal_iteratorINS9_10device_ptrIiEEEESE_SE_iNS9_4plusIvEENS9_8equal_toIvEEiEE10hipError_tPvRmT2_T3_T4_T5_mT6_T7_P12ihipStream_tbENKUlT_T0_E_clISt17integral_constantIbLb0EESZ_EEDaSU_SV_EUlSU_E_NS1_11comp_targetILNS1_3genE8ELNS1_11target_archE1030ELNS1_3gpuE2ELNS1_3repE0EEENS1_30default_config_static_selectorELNS0_4arch9wavefront6targetE1EEEvT1_
	.globl	_ZN7rocprim17ROCPRIM_400000_NS6detail17trampoline_kernelINS0_14default_configENS1_27scan_by_key_config_selectorIiiEEZZNS1_16scan_by_key_implILNS1_25lookback_scan_determinismE0ELb1ES3_N6thrust23THRUST_200600_302600_NS6detail15normal_iteratorINS9_10device_ptrIiEEEESE_SE_iNS9_4plusIvEENS9_8equal_toIvEEiEE10hipError_tPvRmT2_T3_T4_T5_mT6_T7_P12ihipStream_tbENKUlT_T0_E_clISt17integral_constantIbLb0EESZ_EEDaSU_SV_EUlSU_E_NS1_11comp_targetILNS1_3genE8ELNS1_11target_archE1030ELNS1_3gpuE2ELNS1_3repE0EEENS1_30default_config_static_selectorELNS0_4arch9wavefront6targetE1EEEvT1_
	.p2align	8
	.type	_ZN7rocprim17ROCPRIM_400000_NS6detail17trampoline_kernelINS0_14default_configENS1_27scan_by_key_config_selectorIiiEEZZNS1_16scan_by_key_implILNS1_25lookback_scan_determinismE0ELb1ES3_N6thrust23THRUST_200600_302600_NS6detail15normal_iteratorINS9_10device_ptrIiEEEESE_SE_iNS9_4plusIvEENS9_8equal_toIvEEiEE10hipError_tPvRmT2_T3_T4_T5_mT6_T7_P12ihipStream_tbENKUlT_T0_E_clISt17integral_constantIbLb0EESZ_EEDaSU_SV_EUlSU_E_NS1_11comp_targetILNS1_3genE8ELNS1_11target_archE1030ELNS1_3gpuE2ELNS1_3repE0EEENS1_30default_config_static_selectorELNS0_4arch9wavefront6targetE1EEEvT1_,@function
_ZN7rocprim17ROCPRIM_400000_NS6detail17trampoline_kernelINS0_14default_configENS1_27scan_by_key_config_selectorIiiEEZZNS1_16scan_by_key_implILNS1_25lookback_scan_determinismE0ELb1ES3_N6thrust23THRUST_200600_302600_NS6detail15normal_iteratorINS9_10device_ptrIiEEEESE_SE_iNS9_4plusIvEENS9_8equal_toIvEEiEE10hipError_tPvRmT2_T3_T4_T5_mT6_T7_P12ihipStream_tbENKUlT_T0_E_clISt17integral_constantIbLb0EESZ_EEDaSU_SV_EUlSU_E_NS1_11comp_targetILNS1_3genE8ELNS1_11target_archE1030ELNS1_3gpuE2ELNS1_3repE0EEENS1_30default_config_static_selectorELNS0_4arch9wavefront6targetE1EEEvT1_: ; @_ZN7rocprim17ROCPRIM_400000_NS6detail17trampoline_kernelINS0_14default_configENS1_27scan_by_key_config_selectorIiiEEZZNS1_16scan_by_key_implILNS1_25lookback_scan_determinismE0ELb1ES3_N6thrust23THRUST_200600_302600_NS6detail15normal_iteratorINS9_10device_ptrIiEEEESE_SE_iNS9_4plusIvEENS9_8equal_toIvEEiEE10hipError_tPvRmT2_T3_T4_T5_mT6_T7_P12ihipStream_tbENKUlT_T0_E_clISt17integral_constantIbLb0EESZ_EEDaSU_SV_EUlSU_E_NS1_11comp_targetILNS1_3genE8ELNS1_11target_archE1030ELNS1_3gpuE2ELNS1_3repE0EEENS1_30default_config_static_selectorELNS0_4arch9wavefront6targetE1EEEvT1_
; %bb.0:
	.section	.rodata,"a",@progbits
	.p2align	6, 0x0
	.amdhsa_kernel _ZN7rocprim17ROCPRIM_400000_NS6detail17trampoline_kernelINS0_14default_configENS1_27scan_by_key_config_selectorIiiEEZZNS1_16scan_by_key_implILNS1_25lookback_scan_determinismE0ELb1ES3_N6thrust23THRUST_200600_302600_NS6detail15normal_iteratorINS9_10device_ptrIiEEEESE_SE_iNS9_4plusIvEENS9_8equal_toIvEEiEE10hipError_tPvRmT2_T3_T4_T5_mT6_T7_P12ihipStream_tbENKUlT_T0_E_clISt17integral_constantIbLb0EESZ_EEDaSU_SV_EUlSU_E_NS1_11comp_targetILNS1_3genE8ELNS1_11target_archE1030ELNS1_3gpuE2ELNS1_3repE0EEENS1_30default_config_static_selectorELNS0_4arch9wavefront6targetE1EEEvT1_
		.amdhsa_group_segment_fixed_size 0
		.amdhsa_private_segment_fixed_size 0
		.amdhsa_kernarg_size 112
		.amdhsa_user_sgpr_count 2
		.amdhsa_user_sgpr_dispatch_ptr 0
		.amdhsa_user_sgpr_queue_ptr 0
		.amdhsa_user_sgpr_kernarg_segment_ptr 1
		.amdhsa_user_sgpr_dispatch_id 0
		.amdhsa_user_sgpr_kernarg_preload_length 0
		.amdhsa_user_sgpr_kernarg_preload_offset 0
		.amdhsa_user_sgpr_private_segment_size 0
		.amdhsa_uses_dynamic_stack 0
		.amdhsa_enable_private_segment 0
		.amdhsa_system_sgpr_workgroup_id_x 1
		.amdhsa_system_sgpr_workgroup_id_y 0
		.amdhsa_system_sgpr_workgroup_id_z 0
		.amdhsa_system_sgpr_workgroup_info 0
		.amdhsa_system_vgpr_workitem_id 0
		.amdhsa_next_free_vgpr 1
		.amdhsa_next_free_sgpr 0
		.amdhsa_accum_offset 4
		.amdhsa_reserve_vcc 0
		.amdhsa_float_round_mode_32 0
		.amdhsa_float_round_mode_16_64 0
		.amdhsa_float_denorm_mode_32 3
		.amdhsa_float_denorm_mode_16_64 3
		.amdhsa_dx10_clamp 1
		.amdhsa_ieee_mode 1
		.amdhsa_fp16_overflow 0
		.amdhsa_tg_split 0
		.amdhsa_exception_fp_ieee_invalid_op 0
		.amdhsa_exception_fp_denorm_src 0
		.amdhsa_exception_fp_ieee_div_zero 0
		.amdhsa_exception_fp_ieee_overflow 0
		.amdhsa_exception_fp_ieee_underflow 0
		.amdhsa_exception_fp_ieee_inexact 0
		.amdhsa_exception_int_div_zero 0
	.end_amdhsa_kernel
	.section	.text._ZN7rocprim17ROCPRIM_400000_NS6detail17trampoline_kernelINS0_14default_configENS1_27scan_by_key_config_selectorIiiEEZZNS1_16scan_by_key_implILNS1_25lookback_scan_determinismE0ELb1ES3_N6thrust23THRUST_200600_302600_NS6detail15normal_iteratorINS9_10device_ptrIiEEEESE_SE_iNS9_4plusIvEENS9_8equal_toIvEEiEE10hipError_tPvRmT2_T3_T4_T5_mT6_T7_P12ihipStream_tbENKUlT_T0_E_clISt17integral_constantIbLb0EESZ_EEDaSU_SV_EUlSU_E_NS1_11comp_targetILNS1_3genE8ELNS1_11target_archE1030ELNS1_3gpuE2ELNS1_3repE0EEENS1_30default_config_static_selectorELNS0_4arch9wavefront6targetE1EEEvT1_,"axG",@progbits,_ZN7rocprim17ROCPRIM_400000_NS6detail17trampoline_kernelINS0_14default_configENS1_27scan_by_key_config_selectorIiiEEZZNS1_16scan_by_key_implILNS1_25lookback_scan_determinismE0ELb1ES3_N6thrust23THRUST_200600_302600_NS6detail15normal_iteratorINS9_10device_ptrIiEEEESE_SE_iNS9_4plusIvEENS9_8equal_toIvEEiEE10hipError_tPvRmT2_T3_T4_T5_mT6_T7_P12ihipStream_tbENKUlT_T0_E_clISt17integral_constantIbLb0EESZ_EEDaSU_SV_EUlSU_E_NS1_11comp_targetILNS1_3genE8ELNS1_11target_archE1030ELNS1_3gpuE2ELNS1_3repE0EEENS1_30default_config_static_selectorELNS0_4arch9wavefront6targetE1EEEvT1_,comdat
.Lfunc_end469:
	.size	_ZN7rocprim17ROCPRIM_400000_NS6detail17trampoline_kernelINS0_14default_configENS1_27scan_by_key_config_selectorIiiEEZZNS1_16scan_by_key_implILNS1_25lookback_scan_determinismE0ELb1ES3_N6thrust23THRUST_200600_302600_NS6detail15normal_iteratorINS9_10device_ptrIiEEEESE_SE_iNS9_4plusIvEENS9_8equal_toIvEEiEE10hipError_tPvRmT2_T3_T4_T5_mT6_T7_P12ihipStream_tbENKUlT_T0_E_clISt17integral_constantIbLb0EESZ_EEDaSU_SV_EUlSU_E_NS1_11comp_targetILNS1_3genE8ELNS1_11target_archE1030ELNS1_3gpuE2ELNS1_3repE0EEENS1_30default_config_static_selectorELNS0_4arch9wavefront6targetE1EEEvT1_, .Lfunc_end469-_ZN7rocprim17ROCPRIM_400000_NS6detail17trampoline_kernelINS0_14default_configENS1_27scan_by_key_config_selectorIiiEEZZNS1_16scan_by_key_implILNS1_25lookback_scan_determinismE0ELb1ES3_N6thrust23THRUST_200600_302600_NS6detail15normal_iteratorINS9_10device_ptrIiEEEESE_SE_iNS9_4plusIvEENS9_8equal_toIvEEiEE10hipError_tPvRmT2_T3_T4_T5_mT6_T7_P12ihipStream_tbENKUlT_T0_E_clISt17integral_constantIbLb0EESZ_EEDaSU_SV_EUlSU_E_NS1_11comp_targetILNS1_3genE8ELNS1_11target_archE1030ELNS1_3gpuE2ELNS1_3repE0EEENS1_30default_config_static_selectorELNS0_4arch9wavefront6targetE1EEEvT1_
                                        ; -- End function
	.section	.AMDGPU.csdata,"",@progbits
; Kernel info:
; codeLenInByte = 0
; NumSgprs: 6
; NumVgprs: 0
; NumAgprs: 0
; TotalNumVgprs: 0
; ScratchSize: 0
; MemoryBound: 0
; FloatMode: 240
; IeeeMode: 1
; LDSByteSize: 0 bytes/workgroup (compile time only)
; SGPRBlocks: 0
; VGPRBlocks: 0
; NumSGPRsForWavesPerEU: 6
; NumVGPRsForWavesPerEU: 1
; AccumOffset: 4
; Occupancy: 8
; WaveLimiterHint : 0
; COMPUTE_PGM_RSRC2:SCRATCH_EN: 0
; COMPUTE_PGM_RSRC2:USER_SGPR: 2
; COMPUTE_PGM_RSRC2:TRAP_HANDLER: 0
; COMPUTE_PGM_RSRC2:TGID_X_EN: 1
; COMPUTE_PGM_RSRC2:TGID_Y_EN: 0
; COMPUTE_PGM_RSRC2:TGID_Z_EN: 0
; COMPUTE_PGM_RSRC2:TIDIG_COMP_CNT: 0
; COMPUTE_PGM_RSRC3_GFX90A:ACCUM_OFFSET: 0
; COMPUTE_PGM_RSRC3_GFX90A:TG_SPLIT: 0
	.section	.text._ZN7rocprim17ROCPRIM_400000_NS6detail17trampoline_kernelINS0_14default_configENS1_27scan_by_key_config_selectorIiiEEZZNS1_16scan_by_key_implILNS1_25lookback_scan_determinismE0ELb1ES3_N6thrust23THRUST_200600_302600_NS6detail15normal_iteratorINS9_10device_ptrIiEEEESE_SE_iNS9_4plusIvEENS9_8equal_toIvEEiEE10hipError_tPvRmT2_T3_T4_T5_mT6_T7_P12ihipStream_tbENKUlT_T0_E_clISt17integral_constantIbLb1EESZ_EEDaSU_SV_EUlSU_E_NS1_11comp_targetILNS1_3genE0ELNS1_11target_archE4294967295ELNS1_3gpuE0ELNS1_3repE0EEENS1_30default_config_static_selectorELNS0_4arch9wavefront6targetE1EEEvT1_,"axG",@progbits,_ZN7rocprim17ROCPRIM_400000_NS6detail17trampoline_kernelINS0_14default_configENS1_27scan_by_key_config_selectorIiiEEZZNS1_16scan_by_key_implILNS1_25lookback_scan_determinismE0ELb1ES3_N6thrust23THRUST_200600_302600_NS6detail15normal_iteratorINS9_10device_ptrIiEEEESE_SE_iNS9_4plusIvEENS9_8equal_toIvEEiEE10hipError_tPvRmT2_T3_T4_T5_mT6_T7_P12ihipStream_tbENKUlT_T0_E_clISt17integral_constantIbLb1EESZ_EEDaSU_SV_EUlSU_E_NS1_11comp_targetILNS1_3genE0ELNS1_11target_archE4294967295ELNS1_3gpuE0ELNS1_3repE0EEENS1_30default_config_static_selectorELNS0_4arch9wavefront6targetE1EEEvT1_,comdat
	.protected	_ZN7rocprim17ROCPRIM_400000_NS6detail17trampoline_kernelINS0_14default_configENS1_27scan_by_key_config_selectorIiiEEZZNS1_16scan_by_key_implILNS1_25lookback_scan_determinismE0ELb1ES3_N6thrust23THRUST_200600_302600_NS6detail15normal_iteratorINS9_10device_ptrIiEEEESE_SE_iNS9_4plusIvEENS9_8equal_toIvEEiEE10hipError_tPvRmT2_T3_T4_T5_mT6_T7_P12ihipStream_tbENKUlT_T0_E_clISt17integral_constantIbLb1EESZ_EEDaSU_SV_EUlSU_E_NS1_11comp_targetILNS1_3genE0ELNS1_11target_archE4294967295ELNS1_3gpuE0ELNS1_3repE0EEENS1_30default_config_static_selectorELNS0_4arch9wavefront6targetE1EEEvT1_ ; -- Begin function _ZN7rocprim17ROCPRIM_400000_NS6detail17trampoline_kernelINS0_14default_configENS1_27scan_by_key_config_selectorIiiEEZZNS1_16scan_by_key_implILNS1_25lookback_scan_determinismE0ELb1ES3_N6thrust23THRUST_200600_302600_NS6detail15normal_iteratorINS9_10device_ptrIiEEEESE_SE_iNS9_4plusIvEENS9_8equal_toIvEEiEE10hipError_tPvRmT2_T3_T4_T5_mT6_T7_P12ihipStream_tbENKUlT_T0_E_clISt17integral_constantIbLb1EESZ_EEDaSU_SV_EUlSU_E_NS1_11comp_targetILNS1_3genE0ELNS1_11target_archE4294967295ELNS1_3gpuE0ELNS1_3repE0EEENS1_30default_config_static_selectorELNS0_4arch9wavefront6targetE1EEEvT1_
	.globl	_ZN7rocprim17ROCPRIM_400000_NS6detail17trampoline_kernelINS0_14default_configENS1_27scan_by_key_config_selectorIiiEEZZNS1_16scan_by_key_implILNS1_25lookback_scan_determinismE0ELb1ES3_N6thrust23THRUST_200600_302600_NS6detail15normal_iteratorINS9_10device_ptrIiEEEESE_SE_iNS9_4plusIvEENS9_8equal_toIvEEiEE10hipError_tPvRmT2_T3_T4_T5_mT6_T7_P12ihipStream_tbENKUlT_T0_E_clISt17integral_constantIbLb1EESZ_EEDaSU_SV_EUlSU_E_NS1_11comp_targetILNS1_3genE0ELNS1_11target_archE4294967295ELNS1_3gpuE0ELNS1_3repE0EEENS1_30default_config_static_selectorELNS0_4arch9wavefront6targetE1EEEvT1_
	.p2align	8
	.type	_ZN7rocprim17ROCPRIM_400000_NS6detail17trampoline_kernelINS0_14default_configENS1_27scan_by_key_config_selectorIiiEEZZNS1_16scan_by_key_implILNS1_25lookback_scan_determinismE0ELb1ES3_N6thrust23THRUST_200600_302600_NS6detail15normal_iteratorINS9_10device_ptrIiEEEESE_SE_iNS9_4plusIvEENS9_8equal_toIvEEiEE10hipError_tPvRmT2_T3_T4_T5_mT6_T7_P12ihipStream_tbENKUlT_T0_E_clISt17integral_constantIbLb1EESZ_EEDaSU_SV_EUlSU_E_NS1_11comp_targetILNS1_3genE0ELNS1_11target_archE4294967295ELNS1_3gpuE0ELNS1_3repE0EEENS1_30default_config_static_selectorELNS0_4arch9wavefront6targetE1EEEvT1_,@function
_ZN7rocprim17ROCPRIM_400000_NS6detail17trampoline_kernelINS0_14default_configENS1_27scan_by_key_config_selectorIiiEEZZNS1_16scan_by_key_implILNS1_25lookback_scan_determinismE0ELb1ES3_N6thrust23THRUST_200600_302600_NS6detail15normal_iteratorINS9_10device_ptrIiEEEESE_SE_iNS9_4plusIvEENS9_8equal_toIvEEiEE10hipError_tPvRmT2_T3_T4_T5_mT6_T7_P12ihipStream_tbENKUlT_T0_E_clISt17integral_constantIbLb1EESZ_EEDaSU_SV_EUlSU_E_NS1_11comp_targetILNS1_3genE0ELNS1_11target_archE4294967295ELNS1_3gpuE0ELNS1_3repE0EEENS1_30default_config_static_selectorELNS0_4arch9wavefront6targetE1EEEvT1_: ; @_ZN7rocprim17ROCPRIM_400000_NS6detail17trampoline_kernelINS0_14default_configENS1_27scan_by_key_config_selectorIiiEEZZNS1_16scan_by_key_implILNS1_25lookback_scan_determinismE0ELb1ES3_N6thrust23THRUST_200600_302600_NS6detail15normal_iteratorINS9_10device_ptrIiEEEESE_SE_iNS9_4plusIvEENS9_8equal_toIvEEiEE10hipError_tPvRmT2_T3_T4_T5_mT6_T7_P12ihipStream_tbENKUlT_T0_E_clISt17integral_constantIbLb1EESZ_EEDaSU_SV_EUlSU_E_NS1_11comp_targetILNS1_3genE0ELNS1_11target_archE4294967295ELNS1_3gpuE0ELNS1_3repE0EEENS1_30default_config_static_selectorELNS0_4arch9wavefront6targetE1EEEvT1_
; %bb.0:
	.section	.rodata,"a",@progbits
	.p2align	6, 0x0
	.amdhsa_kernel _ZN7rocprim17ROCPRIM_400000_NS6detail17trampoline_kernelINS0_14default_configENS1_27scan_by_key_config_selectorIiiEEZZNS1_16scan_by_key_implILNS1_25lookback_scan_determinismE0ELb1ES3_N6thrust23THRUST_200600_302600_NS6detail15normal_iteratorINS9_10device_ptrIiEEEESE_SE_iNS9_4plusIvEENS9_8equal_toIvEEiEE10hipError_tPvRmT2_T3_T4_T5_mT6_T7_P12ihipStream_tbENKUlT_T0_E_clISt17integral_constantIbLb1EESZ_EEDaSU_SV_EUlSU_E_NS1_11comp_targetILNS1_3genE0ELNS1_11target_archE4294967295ELNS1_3gpuE0ELNS1_3repE0EEENS1_30default_config_static_selectorELNS0_4arch9wavefront6targetE1EEEvT1_
		.amdhsa_group_segment_fixed_size 0
		.amdhsa_private_segment_fixed_size 0
		.amdhsa_kernarg_size 112
		.amdhsa_user_sgpr_count 2
		.amdhsa_user_sgpr_dispatch_ptr 0
		.amdhsa_user_sgpr_queue_ptr 0
		.amdhsa_user_sgpr_kernarg_segment_ptr 1
		.amdhsa_user_sgpr_dispatch_id 0
		.amdhsa_user_sgpr_kernarg_preload_length 0
		.amdhsa_user_sgpr_kernarg_preload_offset 0
		.amdhsa_user_sgpr_private_segment_size 0
		.amdhsa_uses_dynamic_stack 0
		.amdhsa_enable_private_segment 0
		.amdhsa_system_sgpr_workgroup_id_x 1
		.amdhsa_system_sgpr_workgroup_id_y 0
		.amdhsa_system_sgpr_workgroup_id_z 0
		.amdhsa_system_sgpr_workgroup_info 0
		.amdhsa_system_vgpr_workitem_id 0
		.amdhsa_next_free_vgpr 1
		.amdhsa_next_free_sgpr 0
		.amdhsa_accum_offset 4
		.amdhsa_reserve_vcc 0
		.amdhsa_float_round_mode_32 0
		.amdhsa_float_round_mode_16_64 0
		.amdhsa_float_denorm_mode_32 3
		.amdhsa_float_denorm_mode_16_64 3
		.amdhsa_dx10_clamp 1
		.amdhsa_ieee_mode 1
		.amdhsa_fp16_overflow 0
		.amdhsa_tg_split 0
		.amdhsa_exception_fp_ieee_invalid_op 0
		.amdhsa_exception_fp_denorm_src 0
		.amdhsa_exception_fp_ieee_div_zero 0
		.amdhsa_exception_fp_ieee_overflow 0
		.amdhsa_exception_fp_ieee_underflow 0
		.amdhsa_exception_fp_ieee_inexact 0
		.amdhsa_exception_int_div_zero 0
	.end_amdhsa_kernel
	.section	.text._ZN7rocprim17ROCPRIM_400000_NS6detail17trampoline_kernelINS0_14default_configENS1_27scan_by_key_config_selectorIiiEEZZNS1_16scan_by_key_implILNS1_25lookback_scan_determinismE0ELb1ES3_N6thrust23THRUST_200600_302600_NS6detail15normal_iteratorINS9_10device_ptrIiEEEESE_SE_iNS9_4plusIvEENS9_8equal_toIvEEiEE10hipError_tPvRmT2_T3_T4_T5_mT6_T7_P12ihipStream_tbENKUlT_T0_E_clISt17integral_constantIbLb1EESZ_EEDaSU_SV_EUlSU_E_NS1_11comp_targetILNS1_3genE0ELNS1_11target_archE4294967295ELNS1_3gpuE0ELNS1_3repE0EEENS1_30default_config_static_selectorELNS0_4arch9wavefront6targetE1EEEvT1_,"axG",@progbits,_ZN7rocprim17ROCPRIM_400000_NS6detail17trampoline_kernelINS0_14default_configENS1_27scan_by_key_config_selectorIiiEEZZNS1_16scan_by_key_implILNS1_25lookback_scan_determinismE0ELb1ES3_N6thrust23THRUST_200600_302600_NS6detail15normal_iteratorINS9_10device_ptrIiEEEESE_SE_iNS9_4plusIvEENS9_8equal_toIvEEiEE10hipError_tPvRmT2_T3_T4_T5_mT6_T7_P12ihipStream_tbENKUlT_T0_E_clISt17integral_constantIbLb1EESZ_EEDaSU_SV_EUlSU_E_NS1_11comp_targetILNS1_3genE0ELNS1_11target_archE4294967295ELNS1_3gpuE0ELNS1_3repE0EEENS1_30default_config_static_selectorELNS0_4arch9wavefront6targetE1EEEvT1_,comdat
.Lfunc_end470:
	.size	_ZN7rocprim17ROCPRIM_400000_NS6detail17trampoline_kernelINS0_14default_configENS1_27scan_by_key_config_selectorIiiEEZZNS1_16scan_by_key_implILNS1_25lookback_scan_determinismE0ELb1ES3_N6thrust23THRUST_200600_302600_NS6detail15normal_iteratorINS9_10device_ptrIiEEEESE_SE_iNS9_4plusIvEENS9_8equal_toIvEEiEE10hipError_tPvRmT2_T3_T4_T5_mT6_T7_P12ihipStream_tbENKUlT_T0_E_clISt17integral_constantIbLb1EESZ_EEDaSU_SV_EUlSU_E_NS1_11comp_targetILNS1_3genE0ELNS1_11target_archE4294967295ELNS1_3gpuE0ELNS1_3repE0EEENS1_30default_config_static_selectorELNS0_4arch9wavefront6targetE1EEEvT1_, .Lfunc_end470-_ZN7rocprim17ROCPRIM_400000_NS6detail17trampoline_kernelINS0_14default_configENS1_27scan_by_key_config_selectorIiiEEZZNS1_16scan_by_key_implILNS1_25lookback_scan_determinismE0ELb1ES3_N6thrust23THRUST_200600_302600_NS6detail15normal_iteratorINS9_10device_ptrIiEEEESE_SE_iNS9_4plusIvEENS9_8equal_toIvEEiEE10hipError_tPvRmT2_T3_T4_T5_mT6_T7_P12ihipStream_tbENKUlT_T0_E_clISt17integral_constantIbLb1EESZ_EEDaSU_SV_EUlSU_E_NS1_11comp_targetILNS1_3genE0ELNS1_11target_archE4294967295ELNS1_3gpuE0ELNS1_3repE0EEENS1_30default_config_static_selectorELNS0_4arch9wavefront6targetE1EEEvT1_
                                        ; -- End function
	.section	.AMDGPU.csdata,"",@progbits
; Kernel info:
; codeLenInByte = 0
; NumSgprs: 6
; NumVgprs: 0
; NumAgprs: 0
; TotalNumVgprs: 0
; ScratchSize: 0
; MemoryBound: 0
; FloatMode: 240
; IeeeMode: 1
; LDSByteSize: 0 bytes/workgroup (compile time only)
; SGPRBlocks: 0
; VGPRBlocks: 0
; NumSGPRsForWavesPerEU: 6
; NumVGPRsForWavesPerEU: 1
; AccumOffset: 4
; Occupancy: 8
; WaveLimiterHint : 0
; COMPUTE_PGM_RSRC2:SCRATCH_EN: 0
; COMPUTE_PGM_RSRC2:USER_SGPR: 2
; COMPUTE_PGM_RSRC2:TRAP_HANDLER: 0
; COMPUTE_PGM_RSRC2:TGID_X_EN: 1
; COMPUTE_PGM_RSRC2:TGID_Y_EN: 0
; COMPUTE_PGM_RSRC2:TGID_Z_EN: 0
; COMPUTE_PGM_RSRC2:TIDIG_COMP_CNT: 0
; COMPUTE_PGM_RSRC3_GFX90A:ACCUM_OFFSET: 0
; COMPUTE_PGM_RSRC3_GFX90A:TG_SPLIT: 0
	.section	.text._ZN7rocprim17ROCPRIM_400000_NS6detail17trampoline_kernelINS0_14default_configENS1_27scan_by_key_config_selectorIiiEEZZNS1_16scan_by_key_implILNS1_25lookback_scan_determinismE0ELb1ES3_N6thrust23THRUST_200600_302600_NS6detail15normal_iteratorINS9_10device_ptrIiEEEESE_SE_iNS9_4plusIvEENS9_8equal_toIvEEiEE10hipError_tPvRmT2_T3_T4_T5_mT6_T7_P12ihipStream_tbENKUlT_T0_E_clISt17integral_constantIbLb1EESZ_EEDaSU_SV_EUlSU_E_NS1_11comp_targetILNS1_3genE10ELNS1_11target_archE1201ELNS1_3gpuE5ELNS1_3repE0EEENS1_30default_config_static_selectorELNS0_4arch9wavefront6targetE1EEEvT1_,"axG",@progbits,_ZN7rocprim17ROCPRIM_400000_NS6detail17trampoline_kernelINS0_14default_configENS1_27scan_by_key_config_selectorIiiEEZZNS1_16scan_by_key_implILNS1_25lookback_scan_determinismE0ELb1ES3_N6thrust23THRUST_200600_302600_NS6detail15normal_iteratorINS9_10device_ptrIiEEEESE_SE_iNS9_4plusIvEENS9_8equal_toIvEEiEE10hipError_tPvRmT2_T3_T4_T5_mT6_T7_P12ihipStream_tbENKUlT_T0_E_clISt17integral_constantIbLb1EESZ_EEDaSU_SV_EUlSU_E_NS1_11comp_targetILNS1_3genE10ELNS1_11target_archE1201ELNS1_3gpuE5ELNS1_3repE0EEENS1_30default_config_static_selectorELNS0_4arch9wavefront6targetE1EEEvT1_,comdat
	.protected	_ZN7rocprim17ROCPRIM_400000_NS6detail17trampoline_kernelINS0_14default_configENS1_27scan_by_key_config_selectorIiiEEZZNS1_16scan_by_key_implILNS1_25lookback_scan_determinismE0ELb1ES3_N6thrust23THRUST_200600_302600_NS6detail15normal_iteratorINS9_10device_ptrIiEEEESE_SE_iNS9_4plusIvEENS9_8equal_toIvEEiEE10hipError_tPvRmT2_T3_T4_T5_mT6_T7_P12ihipStream_tbENKUlT_T0_E_clISt17integral_constantIbLb1EESZ_EEDaSU_SV_EUlSU_E_NS1_11comp_targetILNS1_3genE10ELNS1_11target_archE1201ELNS1_3gpuE5ELNS1_3repE0EEENS1_30default_config_static_selectorELNS0_4arch9wavefront6targetE1EEEvT1_ ; -- Begin function _ZN7rocprim17ROCPRIM_400000_NS6detail17trampoline_kernelINS0_14default_configENS1_27scan_by_key_config_selectorIiiEEZZNS1_16scan_by_key_implILNS1_25lookback_scan_determinismE0ELb1ES3_N6thrust23THRUST_200600_302600_NS6detail15normal_iteratorINS9_10device_ptrIiEEEESE_SE_iNS9_4plusIvEENS9_8equal_toIvEEiEE10hipError_tPvRmT2_T3_T4_T5_mT6_T7_P12ihipStream_tbENKUlT_T0_E_clISt17integral_constantIbLb1EESZ_EEDaSU_SV_EUlSU_E_NS1_11comp_targetILNS1_3genE10ELNS1_11target_archE1201ELNS1_3gpuE5ELNS1_3repE0EEENS1_30default_config_static_selectorELNS0_4arch9wavefront6targetE1EEEvT1_
	.globl	_ZN7rocprim17ROCPRIM_400000_NS6detail17trampoline_kernelINS0_14default_configENS1_27scan_by_key_config_selectorIiiEEZZNS1_16scan_by_key_implILNS1_25lookback_scan_determinismE0ELb1ES3_N6thrust23THRUST_200600_302600_NS6detail15normal_iteratorINS9_10device_ptrIiEEEESE_SE_iNS9_4plusIvEENS9_8equal_toIvEEiEE10hipError_tPvRmT2_T3_T4_T5_mT6_T7_P12ihipStream_tbENKUlT_T0_E_clISt17integral_constantIbLb1EESZ_EEDaSU_SV_EUlSU_E_NS1_11comp_targetILNS1_3genE10ELNS1_11target_archE1201ELNS1_3gpuE5ELNS1_3repE0EEENS1_30default_config_static_selectorELNS0_4arch9wavefront6targetE1EEEvT1_
	.p2align	8
	.type	_ZN7rocprim17ROCPRIM_400000_NS6detail17trampoline_kernelINS0_14default_configENS1_27scan_by_key_config_selectorIiiEEZZNS1_16scan_by_key_implILNS1_25lookback_scan_determinismE0ELb1ES3_N6thrust23THRUST_200600_302600_NS6detail15normal_iteratorINS9_10device_ptrIiEEEESE_SE_iNS9_4plusIvEENS9_8equal_toIvEEiEE10hipError_tPvRmT2_T3_T4_T5_mT6_T7_P12ihipStream_tbENKUlT_T0_E_clISt17integral_constantIbLb1EESZ_EEDaSU_SV_EUlSU_E_NS1_11comp_targetILNS1_3genE10ELNS1_11target_archE1201ELNS1_3gpuE5ELNS1_3repE0EEENS1_30default_config_static_selectorELNS0_4arch9wavefront6targetE1EEEvT1_,@function
_ZN7rocprim17ROCPRIM_400000_NS6detail17trampoline_kernelINS0_14default_configENS1_27scan_by_key_config_selectorIiiEEZZNS1_16scan_by_key_implILNS1_25lookback_scan_determinismE0ELb1ES3_N6thrust23THRUST_200600_302600_NS6detail15normal_iteratorINS9_10device_ptrIiEEEESE_SE_iNS9_4plusIvEENS9_8equal_toIvEEiEE10hipError_tPvRmT2_T3_T4_T5_mT6_T7_P12ihipStream_tbENKUlT_T0_E_clISt17integral_constantIbLb1EESZ_EEDaSU_SV_EUlSU_E_NS1_11comp_targetILNS1_3genE10ELNS1_11target_archE1201ELNS1_3gpuE5ELNS1_3repE0EEENS1_30default_config_static_selectorELNS0_4arch9wavefront6targetE1EEEvT1_: ; @_ZN7rocprim17ROCPRIM_400000_NS6detail17trampoline_kernelINS0_14default_configENS1_27scan_by_key_config_selectorIiiEEZZNS1_16scan_by_key_implILNS1_25lookback_scan_determinismE0ELb1ES3_N6thrust23THRUST_200600_302600_NS6detail15normal_iteratorINS9_10device_ptrIiEEEESE_SE_iNS9_4plusIvEENS9_8equal_toIvEEiEE10hipError_tPvRmT2_T3_T4_T5_mT6_T7_P12ihipStream_tbENKUlT_T0_E_clISt17integral_constantIbLb1EESZ_EEDaSU_SV_EUlSU_E_NS1_11comp_targetILNS1_3genE10ELNS1_11target_archE1201ELNS1_3gpuE5ELNS1_3repE0EEENS1_30default_config_static_selectorELNS0_4arch9wavefront6targetE1EEEvT1_
; %bb.0:
	.section	.rodata,"a",@progbits
	.p2align	6, 0x0
	.amdhsa_kernel _ZN7rocprim17ROCPRIM_400000_NS6detail17trampoline_kernelINS0_14default_configENS1_27scan_by_key_config_selectorIiiEEZZNS1_16scan_by_key_implILNS1_25lookback_scan_determinismE0ELb1ES3_N6thrust23THRUST_200600_302600_NS6detail15normal_iteratorINS9_10device_ptrIiEEEESE_SE_iNS9_4plusIvEENS9_8equal_toIvEEiEE10hipError_tPvRmT2_T3_T4_T5_mT6_T7_P12ihipStream_tbENKUlT_T0_E_clISt17integral_constantIbLb1EESZ_EEDaSU_SV_EUlSU_E_NS1_11comp_targetILNS1_3genE10ELNS1_11target_archE1201ELNS1_3gpuE5ELNS1_3repE0EEENS1_30default_config_static_selectorELNS0_4arch9wavefront6targetE1EEEvT1_
		.amdhsa_group_segment_fixed_size 0
		.amdhsa_private_segment_fixed_size 0
		.amdhsa_kernarg_size 112
		.amdhsa_user_sgpr_count 2
		.amdhsa_user_sgpr_dispatch_ptr 0
		.amdhsa_user_sgpr_queue_ptr 0
		.amdhsa_user_sgpr_kernarg_segment_ptr 1
		.amdhsa_user_sgpr_dispatch_id 0
		.amdhsa_user_sgpr_kernarg_preload_length 0
		.amdhsa_user_sgpr_kernarg_preload_offset 0
		.amdhsa_user_sgpr_private_segment_size 0
		.amdhsa_uses_dynamic_stack 0
		.amdhsa_enable_private_segment 0
		.amdhsa_system_sgpr_workgroup_id_x 1
		.amdhsa_system_sgpr_workgroup_id_y 0
		.amdhsa_system_sgpr_workgroup_id_z 0
		.amdhsa_system_sgpr_workgroup_info 0
		.amdhsa_system_vgpr_workitem_id 0
		.amdhsa_next_free_vgpr 1
		.amdhsa_next_free_sgpr 0
		.amdhsa_accum_offset 4
		.amdhsa_reserve_vcc 0
		.amdhsa_float_round_mode_32 0
		.amdhsa_float_round_mode_16_64 0
		.amdhsa_float_denorm_mode_32 3
		.amdhsa_float_denorm_mode_16_64 3
		.amdhsa_dx10_clamp 1
		.amdhsa_ieee_mode 1
		.amdhsa_fp16_overflow 0
		.amdhsa_tg_split 0
		.amdhsa_exception_fp_ieee_invalid_op 0
		.amdhsa_exception_fp_denorm_src 0
		.amdhsa_exception_fp_ieee_div_zero 0
		.amdhsa_exception_fp_ieee_overflow 0
		.amdhsa_exception_fp_ieee_underflow 0
		.amdhsa_exception_fp_ieee_inexact 0
		.amdhsa_exception_int_div_zero 0
	.end_amdhsa_kernel
	.section	.text._ZN7rocprim17ROCPRIM_400000_NS6detail17trampoline_kernelINS0_14default_configENS1_27scan_by_key_config_selectorIiiEEZZNS1_16scan_by_key_implILNS1_25lookback_scan_determinismE0ELb1ES3_N6thrust23THRUST_200600_302600_NS6detail15normal_iteratorINS9_10device_ptrIiEEEESE_SE_iNS9_4plusIvEENS9_8equal_toIvEEiEE10hipError_tPvRmT2_T3_T4_T5_mT6_T7_P12ihipStream_tbENKUlT_T0_E_clISt17integral_constantIbLb1EESZ_EEDaSU_SV_EUlSU_E_NS1_11comp_targetILNS1_3genE10ELNS1_11target_archE1201ELNS1_3gpuE5ELNS1_3repE0EEENS1_30default_config_static_selectorELNS0_4arch9wavefront6targetE1EEEvT1_,"axG",@progbits,_ZN7rocprim17ROCPRIM_400000_NS6detail17trampoline_kernelINS0_14default_configENS1_27scan_by_key_config_selectorIiiEEZZNS1_16scan_by_key_implILNS1_25lookback_scan_determinismE0ELb1ES3_N6thrust23THRUST_200600_302600_NS6detail15normal_iteratorINS9_10device_ptrIiEEEESE_SE_iNS9_4plusIvEENS9_8equal_toIvEEiEE10hipError_tPvRmT2_T3_T4_T5_mT6_T7_P12ihipStream_tbENKUlT_T0_E_clISt17integral_constantIbLb1EESZ_EEDaSU_SV_EUlSU_E_NS1_11comp_targetILNS1_3genE10ELNS1_11target_archE1201ELNS1_3gpuE5ELNS1_3repE0EEENS1_30default_config_static_selectorELNS0_4arch9wavefront6targetE1EEEvT1_,comdat
.Lfunc_end471:
	.size	_ZN7rocprim17ROCPRIM_400000_NS6detail17trampoline_kernelINS0_14default_configENS1_27scan_by_key_config_selectorIiiEEZZNS1_16scan_by_key_implILNS1_25lookback_scan_determinismE0ELb1ES3_N6thrust23THRUST_200600_302600_NS6detail15normal_iteratorINS9_10device_ptrIiEEEESE_SE_iNS9_4plusIvEENS9_8equal_toIvEEiEE10hipError_tPvRmT2_T3_T4_T5_mT6_T7_P12ihipStream_tbENKUlT_T0_E_clISt17integral_constantIbLb1EESZ_EEDaSU_SV_EUlSU_E_NS1_11comp_targetILNS1_3genE10ELNS1_11target_archE1201ELNS1_3gpuE5ELNS1_3repE0EEENS1_30default_config_static_selectorELNS0_4arch9wavefront6targetE1EEEvT1_, .Lfunc_end471-_ZN7rocprim17ROCPRIM_400000_NS6detail17trampoline_kernelINS0_14default_configENS1_27scan_by_key_config_selectorIiiEEZZNS1_16scan_by_key_implILNS1_25lookback_scan_determinismE0ELb1ES3_N6thrust23THRUST_200600_302600_NS6detail15normal_iteratorINS9_10device_ptrIiEEEESE_SE_iNS9_4plusIvEENS9_8equal_toIvEEiEE10hipError_tPvRmT2_T3_T4_T5_mT6_T7_P12ihipStream_tbENKUlT_T0_E_clISt17integral_constantIbLb1EESZ_EEDaSU_SV_EUlSU_E_NS1_11comp_targetILNS1_3genE10ELNS1_11target_archE1201ELNS1_3gpuE5ELNS1_3repE0EEENS1_30default_config_static_selectorELNS0_4arch9wavefront6targetE1EEEvT1_
                                        ; -- End function
	.section	.AMDGPU.csdata,"",@progbits
; Kernel info:
; codeLenInByte = 0
; NumSgprs: 6
; NumVgprs: 0
; NumAgprs: 0
; TotalNumVgprs: 0
; ScratchSize: 0
; MemoryBound: 0
; FloatMode: 240
; IeeeMode: 1
; LDSByteSize: 0 bytes/workgroup (compile time only)
; SGPRBlocks: 0
; VGPRBlocks: 0
; NumSGPRsForWavesPerEU: 6
; NumVGPRsForWavesPerEU: 1
; AccumOffset: 4
; Occupancy: 8
; WaveLimiterHint : 0
; COMPUTE_PGM_RSRC2:SCRATCH_EN: 0
; COMPUTE_PGM_RSRC2:USER_SGPR: 2
; COMPUTE_PGM_RSRC2:TRAP_HANDLER: 0
; COMPUTE_PGM_RSRC2:TGID_X_EN: 1
; COMPUTE_PGM_RSRC2:TGID_Y_EN: 0
; COMPUTE_PGM_RSRC2:TGID_Z_EN: 0
; COMPUTE_PGM_RSRC2:TIDIG_COMP_CNT: 0
; COMPUTE_PGM_RSRC3_GFX90A:ACCUM_OFFSET: 0
; COMPUTE_PGM_RSRC3_GFX90A:TG_SPLIT: 0
	.section	.text._ZN7rocprim17ROCPRIM_400000_NS6detail17trampoline_kernelINS0_14default_configENS1_27scan_by_key_config_selectorIiiEEZZNS1_16scan_by_key_implILNS1_25lookback_scan_determinismE0ELb1ES3_N6thrust23THRUST_200600_302600_NS6detail15normal_iteratorINS9_10device_ptrIiEEEESE_SE_iNS9_4plusIvEENS9_8equal_toIvEEiEE10hipError_tPvRmT2_T3_T4_T5_mT6_T7_P12ihipStream_tbENKUlT_T0_E_clISt17integral_constantIbLb1EESZ_EEDaSU_SV_EUlSU_E_NS1_11comp_targetILNS1_3genE5ELNS1_11target_archE942ELNS1_3gpuE9ELNS1_3repE0EEENS1_30default_config_static_selectorELNS0_4arch9wavefront6targetE1EEEvT1_,"axG",@progbits,_ZN7rocprim17ROCPRIM_400000_NS6detail17trampoline_kernelINS0_14default_configENS1_27scan_by_key_config_selectorIiiEEZZNS1_16scan_by_key_implILNS1_25lookback_scan_determinismE0ELb1ES3_N6thrust23THRUST_200600_302600_NS6detail15normal_iteratorINS9_10device_ptrIiEEEESE_SE_iNS9_4plusIvEENS9_8equal_toIvEEiEE10hipError_tPvRmT2_T3_T4_T5_mT6_T7_P12ihipStream_tbENKUlT_T0_E_clISt17integral_constantIbLb1EESZ_EEDaSU_SV_EUlSU_E_NS1_11comp_targetILNS1_3genE5ELNS1_11target_archE942ELNS1_3gpuE9ELNS1_3repE0EEENS1_30default_config_static_selectorELNS0_4arch9wavefront6targetE1EEEvT1_,comdat
	.protected	_ZN7rocprim17ROCPRIM_400000_NS6detail17trampoline_kernelINS0_14default_configENS1_27scan_by_key_config_selectorIiiEEZZNS1_16scan_by_key_implILNS1_25lookback_scan_determinismE0ELb1ES3_N6thrust23THRUST_200600_302600_NS6detail15normal_iteratorINS9_10device_ptrIiEEEESE_SE_iNS9_4plusIvEENS9_8equal_toIvEEiEE10hipError_tPvRmT2_T3_T4_T5_mT6_T7_P12ihipStream_tbENKUlT_T0_E_clISt17integral_constantIbLb1EESZ_EEDaSU_SV_EUlSU_E_NS1_11comp_targetILNS1_3genE5ELNS1_11target_archE942ELNS1_3gpuE9ELNS1_3repE0EEENS1_30default_config_static_selectorELNS0_4arch9wavefront6targetE1EEEvT1_ ; -- Begin function _ZN7rocprim17ROCPRIM_400000_NS6detail17trampoline_kernelINS0_14default_configENS1_27scan_by_key_config_selectorIiiEEZZNS1_16scan_by_key_implILNS1_25lookback_scan_determinismE0ELb1ES3_N6thrust23THRUST_200600_302600_NS6detail15normal_iteratorINS9_10device_ptrIiEEEESE_SE_iNS9_4plusIvEENS9_8equal_toIvEEiEE10hipError_tPvRmT2_T3_T4_T5_mT6_T7_P12ihipStream_tbENKUlT_T0_E_clISt17integral_constantIbLb1EESZ_EEDaSU_SV_EUlSU_E_NS1_11comp_targetILNS1_3genE5ELNS1_11target_archE942ELNS1_3gpuE9ELNS1_3repE0EEENS1_30default_config_static_selectorELNS0_4arch9wavefront6targetE1EEEvT1_
	.globl	_ZN7rocprim17ROCPRIM_400000_NS6detail17trampoline_kernelINS0_14default_configENS1_27scan_by_key_config_selectorIiiEEZZNS1_16scan_by_key_implILNS1_25lookback_scan_determinismE0ELb1ES3_N6thrust23THRUST_200600_302600_NS6detail15normal_iteratorINS9_10device_ptrIiEEEESE_SE_iNS9_4plusIvEENS9_8equal_toIvEEiEE10hipError_tPvRmT2_T3_T4_T5_mT6_T7_P12ihipStream_tbENKUlT_T0_E_clISt17integral_constantIbLb1EESZ_EEDaSU_SV_EUlSU_E_NS1_11comp_targetILNS1_3genE5ELNS1_11target_archE942ELNS1_3gpuE9ELNS1_3repE0EEENS1_30default_config_static_selectorELNS0_4arch9wavefront6targetE1EEEvT1_
	.p2align	8
	.type	_ZN7rocprim17ROCPRIM_400000_NS6detail17trampoline_kernelINS0_14default_configENS1_27scan_by_key_config_selectorIiiEEZZNS1_16scan_by_key_implILNS1_25lookback_scan_determinismE0ELb1ES3_N6thrust23THRUST_200600_302600_NS6detail15normal_iteratorINS9_10device_ptrIiEEEESE_SE_iNS9_4plusIvEENS9_8equal_toIvEEiEE10hipError_tPvRmT2_T3_T4_T5_mT6_T7_P12ihipStream_tbENKUlT_T0_E_clISt17integral_constantIbLb1EESZ_EEDaSU_SV_EUlSU_E_NS1_11comp_targetILNS1_3genE5ELNS1_11target_archE942ELNS1_3gpuE9ELNS1_3repE0EEENS1_30default_config_static_selectorELNS0_4arch9wavefront6targetE1EEEvT1_,@function
_ZN7rocprim17ROCPRIM_400000_NS6detail17trampoline_kernelINS0_14default_configENS1_27scan_by_key_config_selectorIiiEEZZNS1_16scan_by_key_implILNS1_25lookback_scan_determinismE0ELb1ES3_N6thrust23THRUST_200600_302600_NS6detail15normal_iteratorINS9_10device_ptrIiEEEESE_SE_iNS9_4plusIvEENS9_8equal_toIvEEiEE10hipError_tPvRmT2_T3_T4_T5_mT6_T7_P12ihipStream_tbENKUlT_T0_E_clISt17integral_constantIbLb1EESZ_EEDaSU_SV_EUlSU_E_NS1_11comp_targetILNS1_3genE5ELNS1_11target_archE942ELNS1_3gpuE9ELNS1_3repE0EEENS1_30default_config_static_selectorELNS0_4arch9wavefront6targetE1EEEvT1_: ; @_ZN7rocprim17ROCPRIM_400000_NS6detail17trampoline_kernelINS0_14default_configENS1_27scan_by_key_config_selectorIiiEEZZNS1_16scan_by_key_implILNS1_25lookback_scan_determinismE0ELb1ES3_N6thrust23THRUST_200600_302600_NS6detail15normal_iteratorINS9_10device_ptrIiEEEESE_SE_iNS9_4plusIvEENS9_8equal_toIvEEiEE10hipError_tPvRmT2_T3_T4_T5_mT6_T7_P12ihipStream_tbENKUlT_T0_E_clISt17integral_constantIbLb1EESZ_EEDaSU_SV_EUlSU_E_NS1_11comp_targetILNS1_3genE5ELNS1_11target_archE942ELNS1_3gpuE9ELNS1_3repE0EEENS1_30default_config_static_selectorELNS0_4arch9wavefront6targetE1EEEvT1_
; %bb.0:
	s_load_dword s74, s[0:1], 0x20
	s_load_dwordx4 s[64:67], s[0:1], 0x28
	s_load_dwordx2 s[72:73], s[0:1], 0x38
	v_cmp_ne_u32_e64 s[4:5], 0, v0
	v_cmp_eq_u32_e64 s[52:53], 0, v0
	s_and_saveexec_b64 s[2:3], s[52:53]
	s_cbranch_execz .LBB472_4
; %bb.1:
	s_mov_b64 s[8:9], exec
	v_mbcnt_lo_u32_b32 v1, s8, 0
	v_mbcnt_hi_u32_b32 v1, s9, v1
	v_cmp_eq_u32_e32 vcc, 0, v1
                                        ; implicit-def: $vgpr2
	s_and_saveexec_b64 s[6:7], vcc
	s_cbranch_execz .LBB472_3
; %bb.2:
	s_load_dwordx2 s[10:11], s[0:1], 0x68
	s_bcnt1_i32_b64 s8, s[8:9]
	v_mov_b32_e32 v2, 0
	v_mov_b32_e32 v3, s8
	s_waitcnt lgkmcnt(0)
	global_atomic_add v2, v2, v3, s[10:11] sc0
.LBB472_3:
	s_or_b64 exec, exec, s[6:7]
	s_waitcnt vmcnt(0)
	v_readfirstlane_b32 s6, v2
	v_mov_b32_e32 v2, 0
	s_nop 0
	v_add_u32_e32 v1, s6, v1
	ds_write_b32 v2, v1
.LBB472_4:
	s_or_b64 exec, exec, s[2:3]
	s_load_dwordx8 s[56:63], s[0:1], 0x0
	s_load_dword s2, s[0:1], 0x40
	s_load_dwordx4 s[68:71], s[0:1], 0x48
	v_mov_b32_e32 v7, 0
	s_waitcnt lgkmcnt(0)
	s_lshl_b64 s[54:55], s[58:59], 2
	s_barrier
	ds_read_b32 v6, v7
	s_add_u32 s0, s56, s54
	s_addc_u32 s1, s57, s55
	s_add_u32 s6, s60, s54
	s_mul_i32 s3, s73, s2
	s_mul_hi_u32 s8, s72, s2
	s_addc_u32 s7, s61, s55
	s_add_i32 s3, s8, s3
	s_movk_i32 s8, 0x1700
	s_waitcnt lgkmcnt(0)
	v_mul_lo_u32 v2, v6, s8
	v_mov_b32_e32 v3, v7
	v_lshlrev_b64 v[10:11], 2, v[2:3]
	s_mul_i32 s2, s72, s2
	v_lshl_add_u64 v[2:3], s[6:7], 0, v[10:11]
	s_add_u32 s6, s68, -1
	v_readfirstlane_b32 s67, v6
	v_lshl_add_u64 v[6:7], s[2:3], 0, v[6:7]
	s_addc_u32 s7, s69, -1
	v_cmp_le_u64_e64 s[2:3], s[6:7], v[6:7]
	v_lshl_add_u64 v[4:5], s[0:1], 0, v[10:11]
	s_mov_b64 s[0:1], -1
	s_and_b64 vcc, exec, s[2:3]
	s_mul_i32 s33, s6, 0xffffe900
	s_barrier
	s_barrier
	s_cbranch_vccz .LBB472_75
; %bb.5:
	flat_load_dword v1, v[4:5]
	s_add_i32 s60, s33, s66
	v_cmp_gt_u32_e32 vcc, s60, v0
	s_waitcnt vmcnt(0) lgkmcnt(0)
	v_mov_b32_e32 v7, v1
	s_and_saveexec_b64 s[0:1], vcc
	s_cbranch_execz .LBB472_7
; %bb.6:
	v_lshlrev_b32_e32 v6, 2, v0
	v_mov_b32_e32 v7, 0
	v_lshl_add_u64 v[6:7], v[4:5], 0, v[6:7]
	flat_load_dword v7, v[6:7]
.LBB472_7:
	s_or_b64 exec, exec, s[0:1]
	v_or_b32_e32 v6, 0x100, v0
	v_cmp_gt_u32_e64 s[6:7], s60, v6
	v_mov_b32_e32 v8, v1
	s_and_saveexec_b64 s[0:1], s[6:7]
	s_cbranch_execz .LBB472_9
; %bb.8:
	v_lshlrev_b32_e32 v8, 2, v0
	v_mov_b32_e32 v9, 0
	v_lshl_add_u64 v[8:9], v[4:5], 0, v[8:9]
	flat_load_dword v8, v[8:9] offset:1024
.LBB472_9:
	s_or_b64 exec, exec, s[0:1]
	v_or_b32_e32 v6, 0x200, v0
	v_cmp_gt_u32_e64 s[8:9], s60, v6
	v_mov_b32_e32 v9, v1
	s_and_saveexec_b64 s[0:1], s[8:9]
	s_cbranch_execz .LBB472_11
; %bb.10:
	v_lshlrev_b32_e32 v12, 2, v0
	v_mov_b32_e32 v13, 0
	v_lshl_add_u64 v[12:13], v[4:5], 0, v[12:13]
	flat_load_dword v9, v[12:13] offset:2048
.LBB472_11:
	;; [unrolled: 12-line block ×3, first 2 shown]
	s_or_b64 exec, exec, s[0:1]
	v_or_b32_e32 v12, 0x400, v0
	v_cmp_gt_u32_e64 s[12:13], s60, v12
	v_mov_b32_e32 v32, v1
	s_and_saveexec_b64 s[0:1], s[12:13]
	s_cbranch_execz .LBB472_15
; %bb.14:
	v_lshlrev_b32_e32 v14, 2, v12
	v_mov_b32_e32 v15, 0
	v_lshl_add_u64 v[14:15], v[4:5], 0, v[14:15]
	flat_load_dword v32, v[14:15]
.LBB472_15:
	s_or_b64 exec, exec, s[0:1]
	v_or_b32_e32 v13, 0x500, v0
	v_cmp_gt_u32_e64 s[14:15], s60, v13
	v_mov_b32_e32 v33, v1
	s_and_saveexec_b64 s[0:1], s[14:15]
	s_cbranch_execz .LBB472_17
; %bb.16:
	v_lshlrev_b32_e32 v14, 2, v13
	v_mov_b32_e32 v15, 0
	v_lshl_add_u64 v[14:15], v[4:5], 0, v[14:15]
	flat_load_dword v33, v[14:15]
.LBB472_17:
	s_or_b64 exec, exec, s[0:1]
	v_or_b32_e32 v14, 0x600, v0
	v_cmp_gt_u32_e64 s[16:17], s60, v14
	v_mov_b32_e32 v34, v1
	s_and_saveexec_b64 s[0:1], s[16:17]
	s_cbranch_execz .LBB472_19
; %bb.18:
	v_lshlrev_b32_e32 v16, 2, v14
	v_mov_b32_e32 v17, 0
	v_lshl_add_u64 v[16:17], v[4:5], 0, v[16:17]
	flat_load_dword v34, v[16:17]
.LBB472_19:
	s_or_b64 exec, exec, s[0:1]
	v_or_b32_e32 v15, 0x700, v0
	v_cmp_gt_u32_e64 s[18:19], s60, v15
	v_mov_b32_e32 v35, v1
	s_and_saveexec_b64 s[0:1], s[18:19]
	s_cbranch_execz .LBB472_21
; %bb.20:
	v_lshlrev_b32_e32 v16, 2, v15
	v_mov_b32_e32 v17, 0
	v_lshl_add_u64 v[16:17], v[4:5], 0, v[16:17]
	flat_load_dword v35, v[16:17]
.LBB472_21:
	s_or_b64 exec, exec, s[0:1]
	v_or_b32_e32 v16, 0x800, v0
	v_cmp_gt_u32_e64 s[20:21], s60, v16
	v_mov_b32_e32 v36, v1
	s_and_saveexec_b64 s[0:1], s[20:21]
	s_cbranch_execz .LBB472_23
; %bb.22:
	v_lshlrev_b32_e32 v18, 2, v16
	v_mov_b32_e32 v19, 0
	v_lshl_add_u64 v[18:19], v[4:5], 0, v[18:19]
	flat_load_dword v36, v[18:19]
.LBB472_23:
	s_or_b64 exec, exec, s[0:1]
	v_or_b32_e32 v17, 0x900, v0
	v_cmp_gt_u32_e64 s[22:23], s60, v17
	v_mov_b32_e32 v37, v1
	s_and_saveexec_b64 s[0:1], s[22:23]
	s_cbranch_execz .LBB472_25
; %bb.24:
	v_lshlrev_b32_e32 v18, 2, v17
	v_mov_b32_e32 v19, 0
	v_lshl_add_u64 v[18:19], v[4:5], 0, v[18:19]
	flat_load_dword v37, v[18:19]
.LBB472_25:
	s_or_b64 exec, exec, s[0:1]
	v_or_b32_e32 v18, 0xa00, v0
	v_cmp_gt_u32_e64 s[24:25], s60, v18
	v_mov_b32_e32 v38, v1
	s_and_saveexec_b64 s[0:1], s[24:25]
	s_cbranch_execz .LBB472_27
; %bb.26:
	v_lshlrev_b32_e32 v20, 2, v18
	v_mov_b32_e32 v21, 0
	v_lshl_add_u64 v[20:21], v[4:5], 0, v[20:21]
	flat_load_dword v38, v[20:21]
.LBB472_27:
	s_or_b64 exec, exec, s[0:1]
	v_or_b32_e32 v19, 0xb00, v0
	v_cmp_gt_u32_e64 s[26:27], s60, v19
	v_mov_b32_e32 v39, v1
	s_and_saveexec_b64 s[0:1], s[26:27]
	s_cbranch_execz .LBB472_29
; %bb.28:
	v_lshlrev_b32_e32 v20, 2, v19
	v_mov_b32_e32 v21, 0
	v_lshl_add_u64 v[20:21], v[4:5], 0, v[20:21]
	flat_load_dword v39, v[20:21]
.LBB472_29:
	s_or_b64 exec, exec, s[0:1]
	v_or_b32_e32 v20, 0xc00, v0
	v_cmp_gt_u32_e64 s[28:29], s60, v20
	v_mov_b32_e32 v40, v1
	s_and_saveexec_b64 s[0:1], s[28:29]
	s_cbranch_execz .LBB472_31
; %bb.30:
	v_lshlrev_b32_e32 v22, 2, v20
	v_mov_b32_e32 v23, 0
	v_lshl_add_u64 v[22:23], v[4:5], 0, v[22:23]
	flat_load_dword v40, v[22:23]
.LBB472_31:
	s_or_b64 exec, exec, s[0:1]
	v_or_b32_e32 v21, 0xd00, v0
	v_cmp_gt_u32_e64 s[30:31], s60, v21
	v_mov_b32_e32 v41, v1
	s_and_saveexec_b64 s[0:1], s[30:31]
	s_cbranch_execz .LBB472_33
; %bb.32:
	v_lshlrev_b32_e32 v22, 2, v21
	v_mov_b32_e32 v23, 0
	v_lshl_add_u64 v[22:23], v[4:5], 0, v[22:23]
	flat_load_dword v41, v[22:23]
.LBB472_33:
	s_or_b64 exec, exec, s[0:1]
	v_or_b32_e32 v22, 0xe00, v0
	v_cmp_gt_u32_e64 s[34:35], s60, v22
	v_mov_b32_e32 v42, v1
	s_and_saveexec_b64 s[0:1], s[34:35]
	s_cbranch_execz .LBB472_35
; %bb.34:
	v_lshlrev_b32_e32 v24, 2, v22
	v_mov_b32_e32 v25, 0
	v_lshl_add_u64 v[24:25], v[4:5], 0, v[24:25]
	flat_load_dword v42, v[24:25]
.LBB472_35:
	s_or_b64 exec, exec, s[0:1]
	v_or_b32_e32 v23, 0xf00, v0
	v_cmp_gt_u32_e64 s[36:37], s60, v23
	v_mov_b32_e32 v43, v1
	s_and_saveexec_b64 s[0:1], s[36:37]
	s_cbranch_execz .LBB472_37
; %bb.36:
	v_lshlrev_b32_e32 v24, 2, v23
	v_mov_b32_e32 v25, 0
	v_lshl_add_u64 v[24:25], v[4:5], 0, v[24:25]
	flat_load_dword v43, v[24:25]
.LBB472_37:
	s_or_b64 exec, exec, s[0:1]
	v_or_b32_e32 v24, 0x1000, v0
	v_cmp_gt_u32_e64 s[38:39], s60, v24
	v_mov_b32_e32 v44, v1
	s_and_saveexec_b64 s[0:1], s[38:39]
	s_cbranch_execz .LBB472_39
; %bb.38:
	v_lshlrev_b32_e32 v26, 2, v24
	v_mov_b32_e32 v27, 0
	v_lshl_add_u64 v[26:27], v[4:5], 0, v[26:27]
	flat_load_dword v44, v[26:27]
.LBB472_39:
	s_or_b64 exec, exec, s[0:1]
	v_or_b32_e32 v25, 0x1100, v0
	v_cmp_gt_u32_e64 s[40:41], s60, v25
	v_mov_b32_e32 v45, v1
	s_and_saveexec_b64 s[0:1], s[40:41]
	s_cbranch_execz .LBB472_41
; %bb.40:
	v_lshlrev_b32_e32 v26, 2, v25
	v_mov_b32_e32 v27, 0
	v_lshl_add_u64 v[26:27], v[4:5], 0, v[26:27]
	flat_load_dword v45, v[26:27]
.LBB472_41:
	s_or_b64 exec, exec, s[0:1]
	v_or_b32_e32 v26, 0x1200, v0
	v_cmp_gt_u32_e64 s[42:43], s60, v26
	v_mov_b32_e32 v46, v1
	s_and_saveexec_b64 s[0:1], s[42:43]
	s_cbranch_execz .LBB472_43
; %bb.42:
	v_lshlrev_b32_e32 v28, 2, v26
	v_mov_b32_e32 v29, 0
	v_lshl_add_u64 v[28:29], v[4:5], 0, v[28:29]
	flat_load_dword v46, v[28:29]
.LBB472_43:
	s_or_b64 exec, exec, s[0:1]
	v_or_b32_e32 v27, 0x1300, v0
	v_cmp_gt_u32_e64 s[44:45], s60, v27
	v_mov_b32_e32 v47, v1
	s_and_saveexec_b64 s[0:1], s[44:45]
	s_cbranch_execz .LBB472_45
; %bb.44:
	v_lshlrev_b32_e32 v28, 2, v27
	v_mov_b32_e32 v29, 0
	v_lshl_add_u64 v[28:29], v[4:5], 0, v[28:29]
	flat_load_dword v47, v[28:29]
.LBB472_45:
	s_or_b64 exec, exec, s[0:1]
	v_or_b32_e32 v28, 0x1400, v0
	v_cmp_gt_u32_e64 s[46:47], s60, v28
	v_mov_b32_e32 v48, v1
	s_and_saveexec_b64 s[0:1], s[46:47]
	s_cbranch_execz .LBB472_47
; %bb.46:
	v_lshlrev_b32_e32 v48, 2, v28
	v_mov_b32_e32 v49, 0
	v_lshl_add_u64 v[48:49], v[4:5], 0, v[48:49]
	flat_load_dword v48, v[48:49]
.LBB472_47:
	s_or_b64 exec, exec, s[0:1]
	v_or_b32_e32 v29, 0x1500, v0
	v_cmp_gt_u32_e64 s[48:49], s60, v29
	v_mov_b32_e32 v49, v1
	s_and_saveexec_b64 s[0:1], s[48:49]
	s_cbranch_execz .LBB472_49
; %bb.48:
	v_lshlrev_b32_e32 v50, 2, v29
	v_mov_b32_e32 v51, 0
	v_lshl_add_u64 v[50:51], v[4:5], 0, v[50:51]
	flat_load_dword v49, v[50:51]
.LBB472_49:
	s_or_b64 exec, exec, s[0:1]
	v_or_b32_e32 v30, 0x1600, v0
	v_cmp_gt_u32_e64 s[50:51], s60, v30
	s_and_saveexec_b64 s[0:1], s[50:51]
	s_cbranch_execz .LBB472_51
; %bb.50:
	v_lshlrev_b32_e32 v50, 2, v30
	v_mov_b32_e32 v51, 0
	v_lshl_add_u64 v[50:51], v[4:5], 0, v[50:51]
	flat_load_dword v1, v[50:51]
.LBB472_51:
	s_or_b64 exec, exec, s[0:1]
	v_lshlrev_b32_e32 v6, 2, v0
	s_waitcnt vmcnt(0) lgkmcnt(0)
	ds_write2st64_b32 v6, v7, v8 offset1:4
	ds_write2st64_b32 v6, v9, v31 offset0:8 offset1:12
	ds_write2st64_b32 v6, v32, v33 offset0:16 offset1:20
	;; [unrolled: 1-line block ×10, first 2 shown]
	ds_write_b32 v6, v1 offset:22528
	s_waitcnt lgkmcnt(0)
	s_barrier
	flat_load_dword v1, v[4:5]
	s_movk_i32 s0, 0x58
	v_mad_u32_u24 v76, v0, s0, v6
	s_movk_i32 s0, 0xffa8
	v_mad_i32_i24 v7, v0, s0, v76
	s_movk_i32 s0, 0xff
	v_cmp_ne_u32_e64 s[0:1], s0, v0
	ds_read_b32 v78, v76
	ds_read2_b32 v[74:75], v76 offset0:1 offset1:2
	ds_read2_b32 v[72:73], v76 offset0:3 offset1:4
	ds_read2_b32 v[70:71], v76 offset0:5 offset1:6
	ds_read2_b32 v[68:69], v76 offset0:7 offset1:8
	ds_read2_b32 v[66:67], v76 offset0:9 offset1:10
	ds_read2_b32 v[64:65], v76 offset0:11 offset1:12
	ds_read2_b32 v[62:63], v76 offset0:13 offset1:14
	ds_read2_b32 v[60:61], v76 offset0:15 offset1:16
	ds_read2_b32 v[58:59], v76 offset0:17 offset1:18
	ds_read2_b32 v[56:57], v76 offset0:19 offset1:20
	ds_read2_b32 v[8:9], v76 offset0:21 offset1:22
	s_waitcnt lgkmcnt(0)
	ds_write_b32 v7, v78 offset:24576
	s_waitcnt lgkmcnt(0)
	s_barrier
	s_and_saveexec_b64 s[56:57], s[0:1]
	s_cbranch_execz .LBB472_53
; %bb.52:
	s_waitcnt vmcnt(0)
	ds_read_b32 v1, v6 offset:24580
.LBB472_53:
	s_or_b64 exec, exec, s[56:57]
	v_mov_b32_e32 v7, 0
	s_waitcnt lgkmcnt(0)
	s_barrier
	s_waitcnt lgkmcnt(0)
                                        ; implicit-def: $vgpr31
	s_and_saveexec_b64 s[0:1], vcc
	s_cbranch_execz .LBB472_76
; %bb.54:
	v_lshl_add_u64 v[32:33], v[2:3], 0, v[6:7]
	flat_load_dword v31, v[32:33]
	s_or_b64 exec, exec, s[0:1]
                                        ; implicit-def: $vgpr32
	s_and_saveexec_b64 s[0:1], s[6:7]
	s_cbranch_execnz .LBB472_77
.LBB472_55:
	s_or_b64 exec, exec, s[0:1]
                                        ; implicit-def: $vgpr33
	s_and_saveexec_b64 s[0:1], s[8:9]
	s_cbranch_execz .LBB472_78
.LBB472_56:
	v_mov_b32_e32 v7, 0
	v_lshl_add_u64 v[34:35], v[2:3], 0, v[6:7]
	flat_load_dword v33, v[34:35] offset:2048
	s_or_b64 exec, exec, s[0:1]
                                        ; implicit-def: $vgpr7
	s_and_saveexec_b64 s[0:1], s[10:11]
	s_cbranch_execnz .LBB472_79
.LBB472_57:
	s_or_b64 exec, exec, s[0:1]
                                        ; implicit-def: $vgpr34
	s_and_saveexec_b64 s[0:1], s[12:13]
	s_cbranch_execz .LBB472_80
.LBB472_58:
	v_lshlrev_b32_e32 v34, 2, v12
	v_mov_b32_e32 v35, 0
	v_lshl_add_u64 v[34:35], v[2:3], 0, v[34:35]
	flat_load_dword v34, v[34:35]
	s_or_b64 exec, exec, s[0:1]
                                        ; implicit-def: $vgpr12
	s_and_saveexec_b64 s[0:1], s[14:15]
	s_cbranch_execnz .LBB472_81
.LBB472_59:
	s_or_b64 exec, exec, s[0:1]
                                        ; implicit-def: $vgpr13
	s_and_saveexec_b64 s[0:1], s[16:17]
	s_cbranch_execz .LBB472_82
.LBB472_60:
	v_lshlrev_b32_e32 v36, 2, v14
	v_mov_b32_e32 v37, 0
	v_lshl_add_u64 v[36:37], v[2:3], 0, v[36:37]
	flat_load_dword v13, v[36:37]
	s_or_b64 exec, exec, s[0:1]
                                        ; implicit-def: $vgpr14
	s_and_saveexec_b64 s[0:1], s[18:19]
	s_cbranch_execnz .LBB472_83
.LBB472_61:
	s_or_b64 exec, exec, s[0:1]
                                        ; implicit-def: $vgpr15
	s_and_saveexec_b64 s[0:1], s[20:21]
	s_cbranch_execz .LBB472_84
.LBB472_62:
	v_lshlrev_b32_e32 v36, 2, v16
	v_mov_b32_e32 v37, 0
	v_lshl_add_u64 v[36:37], v[2:3], 0, v[36:37]
	flat_load_dword v15, v[36:37]
	s_or_b64 exec, exec, s[0:1]
                                        ; implicit-def: $vgpr16
	s_and_saveexec_b64 s[0:1], s[22:23]
	s_cbranch_execnz .LBB472_85
.LBB472_63:
	s_or_b64 exec, exec, s[0:1]
                                        ; implicit-def: $vgpr17
	s_and_saveexec_b64 s[0:1], s[24:25]
	s_cbranch_execz .LBB472_86
.LBB472_64:
	v_lshlrev_b32_e32 v36, 2, v18
	v_mov_b32_e32 v37, 0
	v_lshl_add_u64 v[36:37], v[2:3], 0, v[36:37]
	flat_load_dword v17, v[36:37]
	s_or_b64 exec, exec, s[0:1]
                                        ; implicit-def: $vgpr18
	s_and_saveexec_b64 s[0:1], s[26:27]
	s_cbranch_execnz .LBB472_87
.LBB472_65:
	s_or_b64 exec, exec, s[0:1]
                                        ; implicit-def: $vgpr19
	s_and_saveexec_b64 s[0:1], s[28:29]
	s_cbranch_execz .LBB472_88
.LBB472_66:
	v_lshlrev_b32_e32 v36, 2, v20
	v_mov_b32_e32 v37, 0
	v_lshl_add_u64 v[36:37], v[2:3], 0, v[36:37]
	flat_load_dword v19, v[36:37]
	s_or_b64 exec, exec, s[0:1]
                                        ; implicit-def: $vgpr20
	s_and_saveexec_b64 s[0:1], s[30:31]
	s_cbranch_execnz .LBB472_89
.LBB472_67:
	s_or_b64 exec, exec, s[0:1]
                                        ; implicit-def: $vgpr21
	s_and_saveexec_b64 s[0:1], s[34:35]
	s_cbranch_execz .LBB472_90
.LBB472_68:
	v_lshlrev_b32_e32 v36, 2, v22
	v_mov_b32_e32 v37, 0
	v_lshl_add_u64 v[36:37], v[2:3], 0, v[36:37]
	flat_load_dword v21, v[36:37]
	s_or_b64 exec, exec, s[0:1]
                                        ; implicit-def: $vgpr22
	s_and_saveexec_b64 s[0:1], s[36:37]
	s_cbranch_execnz .LBB472_91
.LBB472_69:
	s_or_b64 exec, exec, s[0:1]
                                        ; implicit-def: $vgpr23
	s_and_saveexec_b64 s[0:1], s[38:39]
	s_cbranch_execz .LBB472_92
.LBB472_70:
	v_lshlrev_b32_e32 v36, 2, v24
	v_mov_b32_e32 v37, 0
	v_lshl_add_u64 v[36:37], v[2:3], 0, v[36:37]
	flat_load_dword v23, v[36:37]
	s_or_b64 exec, exec, s[0:1]
                                        ; implicit-def: $vgpr24
	s_and_saveexec_b64 s[0:1], s[40:41]
	s_cbranch_execnz .LBB472_93
.LBB472_71:
	s_or_b64 exec, exec, s[0:1]
                                        ; implicit-def: $vgpr25
	s_and_saveexec_b64 s[0:1], s[42:43]
	s_cbranch_execz .LBB472_94
.LBB472_72:
	v_lshlrev_b32_e32 v36, 2, v26
	v_mov_b32_e32 v37, 0
	v_lshl_add_u64 v[36:37], v[2:3], 0, v[36:37]
	flat_load_dword v25, v[36:37]
	s_or_b64 exec, exec, s[0:1]
                                        ; implicit-def: $vgpr26
	s_and_saveexec_b64 s[0:1], s[44:45]
	s_cbranch_execnz .LBB472_95
.LBB472_73:
	s_or_b64 exec, exec, s[0:1]
                                        ; implicit-def: $vgpr27
	s_and_saveexec_b64 s[0:1], s[46:47]
	s_cbranch_execz .LBB472_96
.LBB472_74:
	v_lshlrev_b32_e32 v36, 2, v28
	v_mov_b32_e32 v37, 0
	v_lshl_add_u64 v[36:37], v[2:3], 0, v[36:37]
	flat_load_dword v27, v[36:37]
	s_or_b64 exec, exec, s[0:1]
                                        ; implicit-def: $vgpr28
	s_and_saveexec_b64 s[0:1], s[48:49]
	s_cbranch_execz .LBB472_98
	s_branch .LBB472_97
.LBB472_75:
	s_mov_b64 s[10:11], 0
                                        ; implicit-def: $sgpr8_sgpr9
                                        ; implicit-def: $vgpr6
                                        ; implicit-def: $vgpr12_vgpr13
                                        ; implicit-def: $vgpr14_vgpr15
                                        ; implicit-def: $vgpr16_vgpr17
                                        ; implicit-def: $vgpr18_vgpr19
                                        ; implicit-def: $vgpr20_vgpr21
                                        ; implicit-def: $vgpr22_vgpr23
                                        ; implicit-def: $vgpr24_vgpr25
                                        ; implicit-def: $vgpr26_vgpr27
                                        ; implicit-def: $vgpr28_vgpr29
                                        ; implicit-def: $vgpr30_vgpr31
                                        ; implicit-def: $vgpr32_vgpr33
                                        ; implicit-def: $vgpr34_vgpr35
                                        ; implicit-def: $vgpr36_vgpr37
                                        ; implicit-def: $vgpr38_vgpr39
                                        ; implicit-def: $vgpr40_vgpr41
                                        ; implicit-def: $vgpr42_vgpr43
                                        ; implicit-def: $vgpr44_vgpr45
                                        ; implicit-def: $vgpr46_vgpr47
                                        ; implicit-def: $vgpr48_vgpr49
                                        ; implicit-def: $vgpr50_vgpr51
                                        ; implicit-def: $vgpr52_vgpr53
                                        ; implicit-def: $vgpr54_vgpr55
                                        ; implicit-def: $sgpr6_sgpr7
	s_and_b64 vcc, exec, s[0:1]
	v_lshlrev_b32_e32 v56, 2, v0
	s_cbranch_vccz .LBB472_152
	s_branch .LBB472_147
.LBB472_76:
	s_or_b64 exec, exec, s[0:1]
                                        ; implicit-def: $vgpr32
	s_and_saveexec_b64 s[0:1], s[6:7]
	s_cbranch_execz .LBB472_55
.LBB472_77:
	v_mov_b32_e32 v7, 0
	v_lshl_add_u64 v[32:33], v[2:3], 0, v[6:7]
	flat_load_dword v32, v[32:33] offset:1024
	s_or_b64 exec, exec, s[0:1]
                                        ; implicit-def: $vgpr33
	s_and_saveexec_b64 s[0:1], s[8:9]
	s_cbranch_execnz .LBB472_56
.LBB472_78:
	s_or_b64 exec, exec, s[0:1]
                                        ; implicit-def: $vgpr7
	s_and_saveexec_b64 s[0:1], s[10:11]
	s_cbranch_execz .LBB472_57
.LBB472_79:
	v_mov_b32_e32 v7, 0
	v_lshl_add_u64 v[34:35], v[2:3], 0, v[6:7]
	flat_load_dword v7, v[34:35] offset:3072
	s_or_b64 exec, exec, s[0:1]
                                        ; implicit-def: $vgpr34
	s_and_saveexec_b64 s[0:1], s[12:13]
	s_cbranch_execnz .LBB472_58
.LBB472_80:
	s_or_b64 exec, exec, s[0:1]
                                        ; implicit-def: $vgpr12
	s_and_saveexec_b64 s[0:1], s[14:15]
	s_cbranch_execz .LBB472_59
.LBB472_81:
	v_lshlrev_b32_e32 v12, 2, v13
	v_mov_b32_e32 v13, 0
	v_lshl_add_u64 v[12:13], v[2:3], 0, v[12:13]
	flat_load_dword v12, v[12:13]
	s_or_b64 exec, exec, s[0:1]
                                        ; implicit-def: $vgpr13
	s_and_saveexec_b64 s[0:1], s[16:17]
	s_cbranch_execnz .LBB472_60
.LBB472_82:
	s_or_b64 exec, exec, s[0:1]
                                        ; implicit-def: $vgpr14
	s_and_saveexec_b64 s[0:1], s[18:19]
	s_cbranch_execz .LBB472_61
.LBB472_83:
	v_lshlrev_b32_e32 v14, 2, v15
	v_mov_b32_e32 v15, 0
	v_lshl_add_u64 v[14:15], v[2:3], 0, v[14:15]
	flat_load_dword v14, v[14:15]
	s_or_b64 exec, exec, s[0:1]
                                        ; implicit-def: $vgpr15
	s_and_saveexec_b64 s[0:1], s[20:21]
	s_cbranch_execnz .LBB472_62
.LBB472_84:
	s_or_b64 exec, exec, s[0:1]
                                        ; implicit-def: $vgpr16
	s_and_saveexec_b64 s[0:1], s[22:23]
	s_cbranch_execz .LBB472_63
.LBB472_85:
	v_lshlrev_b32_e32 v16, 2, v17
	v_mov_b32_e32 v17, 0
	v_lshl_add_u64 v[16:17], v[2:3], 0, v[16:17]
	flat_load_dword v16, v[16:17]
	s_or_b64 exec, exec, s[0:1]
                                        ; implicit-def: $vgpr17
	s_and_saveexec_b64 s[0:1], s[24:25]
	s_cbranch_execnz .LBB472_64
.LBB472_86:
	s_or_b64 exec, exec, s[0:1]
                                        ; implicit-def: $vgpr18
	s_and_saveexec_b64 s[0:1], s[26:27]
	s_cbranch_execz .LBB472_65
.LBB472_87:
	v_lshlrev_b32_e32 v18, 2, v19
	v_mov_b32_e32 v19, 0
	v_lshl_add_u64 v[18:19], v[2:3], 0, v[18:19]
	flat_load_dword v18, v[18:19]
	s_or_b64 exec, exec, s[0:1]
                                        ; implicit-def: $vgpr19
	s_and_saveexec_b64 s[0:1], s[28:29]
	s_cbranch_execnz .LBB472_66
.LBB472_88:
	s_or_b64 exec, exec, s[0:1]
                                        ; implicit-def: $vgpr20
	s_and_saveexec_b64 s[0:1], s[30:31]
	s_cbranch_execz .LBB472_67
.LBB472_89:
	v_lshlrev_b32_e32 v20, 2, v21
	v_mov_b32_e32 v21, 0
	v_lshl_add_u64 v[20:21], v[2:3], 0, v[20:21]
	flat_load_dword v20, v[20:21]
	s_or_b64 exec, exec, s[0:1]
                                        ; implicit-def: $vgpr21
	s_and_saveexec_b64 s[0:1], s[34:35]
	s_cbranch_execnz .LBB472_68
.LBB472_90:
	s_or_b64 exec, exec, s[0:1]
                                        ; implicit-def: $vgpr22
	s_and_saveexec_b64 s[0:1], s[36:37]
	s_cbranch_execz .LBB472_69
.LBB472_91:
	v_lshlrev_b32_e32 v22, 2, v23
	v_mov_b32_e32 v23, 0
	v_lshl_add_u64 v[22:23], v[2:3], 0, v[22:23]
	flat_load_dword v22, v[22:23]
	s_or_b64 exec, exec, s[0:1]
                                        ; implicit-def: $vgpr23
	s_and_saveexec_b64 s[0:1], s[38:39]
	s_cbranch_execnz .LBB472_70
.LBB472_92:
	s_or_b64 exec, exec, s[0:1]
                                        ; implicit-def: $vgpr24
	s_and_saveexec_b64 s[0:1], s[40:41]
	s_cbranch_execz .LBB472_71
.LBB472_93:
	v_lshlrev_b32_e32 v24, 2, v25
	v_mov_b32_e32 v25, 0
	v_lshl_add_u64 v[24:25], v[2:3], 0, v[24:25]
	flat_load_dword v24, v[24:25]
	s_or_b64 exec, exec, s[0:1]
                                        ; implicit-def: $vgpr25
	s_and_saveexec_b64 s[0:1], s[42:43]
	s_cbranch_execnz .LBB472_72
.LBB472_94:
	s_or_b64 exec, exec, s[0:1]
                                        ; implicit-def: $vgpr26
	s_and_saveexec_b64 s[0:1], s[44:45]
	s_cbranch_execz .LBB472_73
.LBB472_95:
	v_lshlrev_b32_e32 v26, 2, v27
	v_mov_b32_e32 v27, 0
	v_lshl_add_u64 v[26:27], v[2:3], 0, v[26:27]
	flat_load_dword v26, v[26:27]
	s_or_b64 exec, exec, s[0:1]
                                        ; implicit-def: $vgpr27
	s_and_saveexec_b64 s[0:1], s[46:47]
	s_cbranch_execnz .LBB472_74
.LBB472_96:
	s_or_b64 exec, exec, s[0:1]
                                        ; implicit-def: $vgpr28
	s_and_saveexec_b64 s[0:1], s[48:49]
	s_cbranch_execz .LBB472_98
.LBB472_97:
	v_lshlrev_b32_e32 v28, 2, v29
	v_mov_b32_e32 v29, 0
	v_lshl_add_u64 v[28:29], v[2:3], 0, v[28:29]
	flat_load_dword v28, v[28:29]
.LBB472_98:
	s_or_b64 exec, exec, s[0:1]
	v_mul_u32_u24_e32 v77, 23, v0
                                        ; implicit-def: $vgpr29
	s_and_saveexec_b64 s[0:1], s[50:51]
	s_cbranch_execz .LBB472_100
; %bb.99:
	v_lshlrev_b32_e32 v36, 2, v30
	v_mov_b32_e32 v37, 0
	v_lshl_add_u64 v[36:37], v[2:3], 0, v[36:37]
	flat_load_dword v29, v[36:37]
.LBB472_100:
	s_or_b64 exec, exec, s[0:1]
	s_waitcnt vmcnt(0) lgkmcnt(0)
	ds_write2st64_b32 v6, v31, v32 offset1:4
	ds_write2st64_b32 v6, v33, v7 offset0:8 offset1:12
	ds_write2st64_b32 v6, v34, v12 offset0:16 offset1:20
	;; [unrolled: 1-line block ×10, first 2 shown]
	ds_write_b32 v6, v29 offset:22528
	v_mov_b64_e32 v[12:13], 0
	v_cmp_gt_u32_e32 vcc, s60, v77
	s_mov_b64 s[10:11], 0
	s_mov_b64 s[0:1], 0
	v_mov_b64_e32 v[14:15], v[12:13]
	v_mov_b64_e32 v[16:17], v[12:13]
	;; [unrolled: 1-line block ×21, first 2 shown]
	s_waitcnt lgkmcnt(0)
	s_barrier
	s_waitcnt lgkmcnt(0)
                                        ; implicit-def: $sgpr8_sgpr9
                                        ; implicit-def: $vgpr6
	s_and_saveexec_b64 s[6:7], vcc
	s_cbranch_execz .LBB472_146
; %bb.101:
	ds_read_b32 v6, v76
	v_mov_b32_e32 v12, s74
	v_cmp_eq_u32_e32 vcc, v78, v74
	v_add_u32_e32 v7, 1, v77
	v_mov_b64_e32 v[14:15], 0
	s_waitcnt lgkmcnt(0)
	v_cndmask_b32_e32 v12, v12, v6, vcc
	v_cmp_ne_u32_e32 vcc, v78, v74
	s_mov_b64 s[12:13], 0
	v_mov_b64_e32 v[16:17], v[14:15]
	v_cndmask_b32_e64 v13, 0, 1, vcc
	v_cmp_gt_u32_e32 vcc, s60, v7
	v_mov_b64_e32 v[18:19], v[14:15]
	v_mov_b64_e32 v[20:21], v[14:15]
	v_mov_b64_e32 v[22:23], v[14:15]
	v_mov_b64_e32 v[24:25], v[14:15]
	v_mov_b64_e32 v[26:27], v[14:15]
	v_mov_b64_e32 v[28:29], v[14:15]
	v_mov_b64_e32 v[30:31], v[14:15]
	v_mov_b64_e32 v[32:33], v[14:15]
	v_mov_b64_e32 v[34:35], v[14:15]
	v_mov_b64_e32 v[36:37], v[14:15]
	v_mov_b64_e32 v[38:39], v[14:15]
	v_mov_b64_e32 v[40:41], v[14:15]
	v_mov_b64_e32 v[42:43], v[14:15]
	v_mov_b64_e32 v[44:45], v[14:15]
	v_mov_b64_e32 v[46:47], v[14:15]
	v_mov_b64_e32 v[48:49], v[14:15]
	v_mov_b64_e32 v[50:51], v[14:15]
	v_mov_b64_e32 v[52:53], v[14:15]
	v_mov_b64_e32 v[54:55], v[14:15]
                                        ; implicit-def: $sgpr14_sgpr15
                                        ; implicit-def: $vgpr6
	s_and_saveexec_b64 s[8:9], vcc
	s_cbranch_execz .LBB472_145
; %bb.102:
	ds_read2_b32 v[6:7], v76 offset0:1 offset1:2
	v_mov_b32_e32 v14, s74
	v_cmp_eq_u32_e32 vcc, v74, v75
	v_add_u32_e32 v16, 2, v77
	s_mov_b64 s[14:15], 0
	s_waitcnt lgkmcnt(0)
	v_cndmask_b32_e32 v14, v14, v6, vcc
	v_cmp_ne_u32_e32 vcc, v74, v75
                                        ; implicit-def: $sgpr16_sgpr17
                                        ; implicit-def: $vgpr6
	s_nop 1
	v_cndmask_b32_e64 v15, 0, 1, vcc
	v_cmp_gt_u32_e32 vcc, s60, v16
	v_mov_b64_e32 v[16:17], 0
	v_mov_b64_e32 v[18:19], v[16:17]
	;; [unrolled: 1-line block ×20, first 2 shown]
	s_and_saveexec_b64 s[10:11], vcc
	s_cbranch_execz .LBB472_144
; %bb.103:
	v_mov_b32_e32 v16, s74
	v_cmp_eq_u32_e32 vcc, v75, v72
	v_add_u32_e32 v6, 3, v77
	v_mov_b64_e32 v[18:19], 0
	v_cndmask_b32_e32 v16, v16, v7, vcc
	v_cmp_ne_u32_e32 vcc, v75, v72
	s_mov_b64 s[16:17], 0
	v_mov_b64_e32 v[20:21], v[18:19]
	v_cndmask_b32_e64 v17, 0, 1, vcc
	v_cmp_gt_u32_e32 vcc, s60, v6
	v_mov_b64_e32 v[22:23], v[18:19]
	v_mov_b64_e32 v[24:25], v[18:19]
	;; [unrolled: 1-line block ×17, first 2 shown]
                                        ; implicit-def: $sgpr18_sgpr19
                                        ; implicit-def: $vgpr6
	s_and_saveexec_b64 s[12:13], vcc
	s_cbranch_execz .LBB472_143
; %bb.104:
	ds_read2_b32 v[6:7], v76 offset0:3 offset1:4
	v_mov_b32_e32 v18, s74
	v_cmp_eq_u32_e32 vcc, v72, v73
	v_add_u32_e32 v20, 4, v77
	s_mov_b64 s[18:19], 0
	s_waitcnt lgkmcnt(0)
	v_cndmask_b32_e32 v18, v18, v6, vcc
	v_cmp_ne_u32_e32 vcc, v72, v73
                                        ; implicit-def: $sgpr20_sgpr21
                                        ; implicit-def: $vgpr6
	s_nop 1
	v_cndmask_b32_e64 v19, 0, 1, vcc
	v_cmp_gt_u32_e32 vcc, s60, v20
	v_mov_b64_e32 v[20:21], 0
	v_mov_b64_e32 v[22:23], v[20:21]
	;; [unrolled: 1-line block ×18, first 2 shown]
	s_and_saveexec_b64 s[14:15], vcc
	s_cbranch_execz .LBB472_142
; %bb.105:
	v_mov_b32_e32 v20, s74
	v_cmp_eq_u32_e32 vcc, v73, v70
	v_add_u32_e32 v6, 5, v77
	v_mov_b64_e32 v[22:23], 0
	v_cndmask_b32_e32 v20, v20, v7, vcc
	v_cmp_ne_u32_e32 vcc, v73, v70
	s_mov_b64 s[20:21], 0
	v_mov_b64_e32 v[24:25], v[22:23]
	v_cndmask_b32_e64 v21, 0, 1, vcc
	v_cmp_gt_u32_e32 vcc, s60, v6
	v_mov_b64_e32 v[26:27], v[22:23]
	v_mov_b64_e32 v[28:29], v[22:23]
	;; [unrolled: 1-line block ×15, first 2 shown]
                                        ; implicit-def: $sgpr22_sgpr23
                                        ; implicit-def: $vgpr6
	s_and_saveexec_b64 s[16:17], vcc
	s_cbranch_execz .LBB472_141
; %bb.106:
	ds_read2_b32 v[6:7], v76 offset0:5 offset1:6
	v_mov_b32_e32 v22, s74
	v_cmp_eq_u32_e32 vcc, v70, v71
	v_add_u32_e32 v24, 6, v77
	s_mov_b64 s[22:23], 0
	s_waitcnt lgkmcnt(0)
	v_cndmask_b32_e32 v22, v22, v6, vcc
	v_cmp_ne_u32_e32 vcc, v70, v71
                                        ; implicit-def: $sgpr24_sgpr25
                                        ; implicit-def: $vgpr6
	s_nop 1
	v_cndmask_b32_e64 v23, 0, 1, vcc
	v_cmp_gt_u32_e32 vcc, s60, v24
	v_mov_b64_e32 v[24:25], 0
	v_mov_b64_e32 v[26:27], v[24:25]
	v_mov_b64_e32 v[28:29], v[24:25]
	v_mov_b64_e32 v[30:31], v[24:25]
	v_mov_b64_e32 v[32:33], v[24:25]
	v_mov_b64_e32 v[34:35], v[24:25]
	v_mov_b64_e32 v[36:37], v[24:25]
	v_mov_b64_e32 v[38:39], v[24:25]
	v_mov_b64_e32 v[40:41], v[24:25]
	v_mov_b64_e32 v[42:43], v[24:25]
	v_mov_b64_e32 v[44:45], v[24:25]
	v_mov_b64_e32 v[46:47], v[24:25]
	v_mov_b64_e32 v[48:49], v[24:25]
	v_mov_b64_e32 v[50:51], v[24:25]
	v_mov_b64_e32 v[52:53], v[24:25]
	v_mov_b64_e32 v[54:55], v[24:25]
	s_and_saveexec_b64 s[18:19], vcc
	s_cbranch_execz .LBB472_140
; %bb.107:
	v_mov_b32_e32 v24, s74
	v_cmp_eq_u32_e32 vcc, v71, v68
	v_add_u32_e32 v6, 7, v77
	v_mov_b64_e32 v[26:27], 0
	v_cndmask_b32_e32 v24, v24, v7, vcc
	v_cmp_ne_u32_e32 vcc, v71, v68
	s_mov_b64 s[24:25], 0
	v_mov_b64_e32 v[28:29], v[26:27]
	v_cndmask_b32_e64 v25, 0, 1, vcc
	v_cmp_gt_u32_e32 vcc, s60, v6
	v_mov_b64_e32 v[30:31], v[26:27]
	v_mov_b64_e32 v[32:33], v[26:27]
	;; [unrolled: 1-line block ×13, first 2 shown]
                                        ; implicit-def: $sgpr26_sgpr27
                                        ; implicit-def: $vgpr6
	s_and_saveexec_b64 s[20:21], vcc
	s_cbranch_execz .LBB472_139
; %bb.108:
	ds_read2_b32 v[6:7], v76 offset0:7 offset1:8
	v_mov_b32_e32 v26, s74
	v_cmp_eq_u32_e32 vcc, v68, v69
	v_add_u32_e32 v28, 8, v77
	s_mov_b64 s[26:27], 0
	s_waitcnt lgkmcnt(0)
	v_cndmask_b32_e32 v26, v26, v6, vcc
	v_cmp_ne_u32_e32 vcc, v68, v69
                                        ; implicit-def: $sgpr28_sgpr29
                                        ; implicit-def: $vgpr6
	s_nop 1
	v_cndmask_b32_e64 v27, 0, 1, vcc
	v_cmp_gt_u32_e32 vcc, s60, v28
	v_mov_b64_e32 v[28:29], 0
	v_mov_b64_e32 v[30:31], v[28:29]
	v_mov_b64_e32 v[32:33], v[28:29]
	v_mov_b64_e32 v[34:35], v[28:29]
	v_mov_b64_e32 v[36:37], v[28:29]
	v_mov_b64_e32 v[38:39], v[28:29]
	v_mov_b64_e32 v[40:41], v[28:29]
	v_mov_b64_e32 v[42:43], v[28:29]
	v_mov_b64_e32 v[44:45], v[28:29]
	v_mov_b64_e32 v[46:47], v[28:29]
	v_mov_b64_e32 v[48:49], v[28:29]
	v_mov_b64_e32 v[50:51], v[28:29]
	v_mov_b64_e32 v[52:53], v[28:29]
	v_mov_b64_e32 v[54:55], v[28:29]
	s_and_saveexec_b64 s[22:23], vcc
	s_cbranch_execz .LBB472_138
; %bb.109:
	v_mov_b32_e32 v28, s74
	v_cmp_eq_u32_e32 vcc, v69, v66
	v_add_u32_e32 v6, 9, v77
	v_mov_b64_e32 v[30:31], 0
	v_cndmask_b32_e32 v28, v28, v7, vcc
	v_cmp_ne_u32_e32 vcc, v69, v66
	s_mov_b64 s[28:29], 0
	v_mov_b64_e32 v[32:33], v[30:31]
	v_cndmask_b32_e64 v29, 0, 1, vcc
	v_cmp_gt_u32_e32 vcc, s60, v6
	v_mov_b64_e32 v[34:35], v[30:31]
	v_mov_b64_e32 v[36:37], v[30:31]
	;; [unrolled: 1-line block ×11, first 2 shown]
                                        ; implicit-def: $sgpr30_sgpr31
                                        ; implicit-def: $vgpr6
	s_and_saveexec_b64 s[24:25], vcc
	s_cbranch_execz .LBB472_137
; %bb.110:
	ds_read2_b32 v[6:7], v76 offset0:9 offset1:10
	v_mov_b32_e32 v30, s74
	v_cmp_eq_u32_e32 vcc, v66, v67
	v_add_u32_e32 v32, 10, v77
	s_mov_b64 s[30:31], 0
	s_waitcnt lgkmcnt(0)
	v_cndmask_b32_e32 v30, v30, v6, vcc
	v_cmp_ne_u32_e32 vcc, v66, v67
                                        ; implicit-def: $sgpr34_sgpr35
                                        ; implicit-def: $vgpr6
	s_nop 1
	v_cndmask_b32_e64 v31, 0, 1, vcc
	v_cmp_gt_u32_e32 vcc, s60, v32
	v_mov_b64_e32 v[32:33], 0
	v_mov_b64_e32 v[34:35], v[32:33]
	;; [unrolled: 1-line block ×12, first 2 shown]
	s_and_saveexec_b64 s[26:27], vcc
	s_cbranch_execz .LBB472_136
; %bb.111:
	v_mov_b32_e32 v32, s74
	v_cmp_eq_u32_e32 vcc, v67, v64
	v_add_u32_e32 v6, 11, v77
	v_mov_b64_e32 v[34:35], 0
	v_cndmask_b32_e32 v32, v32, v7, vcc
	v_cmp_ne_u32_e32 vcc, v67, v64
	s_mov_b64 s[34:35], 0
	v_mov_b64_e32 v[36:37], v[34:35]
	v_cndmask_b32_e64 v33, 0, 1, vcc
	v_cmp_gt_u32_e32 vcc, s60, v6
	v_mov_b64_e32 v[38:39], v[34:35]
	v_mov_b64_e32 v[40:41], v[34:35]
	;; [unrolled: 1-line block ×9, first 2 shown]
                                        ; implicit-def: $sgpr36_sgpr37
                                        ; implicit-def: $vgpr6
	s_and_saveexec_b64 s[28:29], vcc
	s_cbranch_execz .LBB472_135
; %bb.112:
	ds_read2_b32 v[6:7], v76 offset0:11 offset1:12
	v_mov_b32_e32 v34, s74
	v_cmp_eq_u32_e32 vcc, v64, v65
	v_add_u32_e32 v36, 12, v77
	s_mov_b64 s[36:37], 0
	s_waitcnt lgkmcnt(0)
	v_cndmask_b32_e32 v34, v34, v6, vcc
	v_cmp_ne_u32_e32 vcc, v64, v65
                                        ; implicit-def: $sgpr38_sgpr39
                                        ; implicit-def: $vgpr6
	s_nop 1
	v_cndmask_b32_e64 v35, 0, 1, vcc
	v_cmp_gt_u32_e32 vcc, s60, v36
	v_mov_b64_e32 v[36:37], 0
	v_mov_b64_e32 v[38:39], v[36:37]
	;; [unrolled: 1-line block ×10, first 2 shown]
	s_and_saveexec_b64 s[30:31], vcc
	s_cbranch_execz .LBB472_134
; %bb.113:
	v_mov_b32_e32 v36, s74
	v_cmp_eq_u32_e32 vcc, v65, v62
	v_add_u32_e32 v6, 13, v77
	v_mov_b64_e32 v[38:39], 0
	v_cndmask_b32_e32 v36, v36, v7, vcc
	v_cmp_ne_u32_e32 vcc, v65, v62
	s_mov_b64 s[38:39], 0
	v_mov_b64_e32 v[40:41], v[38:39]
	v_cndmask_b32_e64 v37, 0, 1, vcc
	v_cmp_gt_u32_e32 vcc, s60, v6
	v_mov_b64_e32 v[42:43], v[38:39]
	v_mov_b64_e32 v[44:45], v[38:39]
	;; [unrolled: 1-line block ×7, first 2 shown]
                                        ; implicit-def: $sgpr40_sgpr41
                                        ; implicit-def: $vgpr6
	s_and_saveexec_b64 s[34:35], vcc
	s_cbranch_execz .LBB472_133
; %bb.114:
	ds_read2_b32 v[6:7], v76 offset0:13 offset1:14
	v_mov_b32_e32 v38, s74
	v_cmp_eq_u32_e32 vcc, v62, v63
	v_add_u32_e32 v40, 14, v77
	s_mov_b64 s[40:41], 0
	s_waitcnt lgkmcnt(0)
	v_cndmask_b32_e32 v38, v38, v6, vcc
	v_cmp_ne_u32_e32 vcc, v62, v63
                                        ; implicit-def: $sgpr42_sgpr43
                                        ; implicit-def: $vgpr6
	s_nop 1
	v_cndmask_b32_e64 v39, 0, 1, vcc
	v_cmp_gt_u32_e32 vcc, s60, v40
	v_mov_b64_e32 v[40:41], 0
	v_mov_b64_e32 v[42:43], v[40:41]
	;; [unrolled: 1-line block ×8, first 2 shown]
	s_and_saveexec_b64 s[36:37], vcc
	s_cbranch_execz .LBB472_132
; %bb.115:
	v_mov_b32_e32 v40, s74
	v_cmp_eq_u32_e32 vcc, v63, v60
	v_add_u32_e32 v6, 15, v77
	v_mov_b64_e32 v[42:43], 0
	v_cndmask_b32_e32 v40, v40, v7, vcc
	v_cmp_ne_u32_e32 vcc, v63, v60
	s_mov_b64 s[42:43], 0
	v_mov_b64_e32 v[44:45], v[42:43]
	v_cndmask_b32_e64 v41, 0, 1, vcc
	v_cmp_gt_u32_e32 vcc, s60, v6
	v_mov_b64_e32 v[46:47], v[42:43]
	v_mov_b64_e32 v[48:49], v[42:43]
	;; [unrolled: 1-line block ×5, first 2 shown]
                                        ; implicit-def: $sgpr44_sgpr45
                                        ; implicit-def: $vgpr6
	s_and_saveexec_b64 s[38:39], vcc
	s_cbranch_execz .LBB472_131
; %bb.116:
	ds_read2_b32 v[6:7], v76 offset0:15 offset1:16
	v_mov_b32_e32 v42, s74
	v_cmp_eq_u32_e32 vcc, v60, v61
	v_add_u32_e32 v44, 16, v77
	s_mov_b64 s[44:45], 0
	s_waitcnt lgkmcnt(0)
	v_cndmask_b32_e32 v42, v42, v6, vcc
	v_cmp_ne_u32_e32 vcc, v60, v61
                                        ; implicit-def: $sgpr46_sgpr47
                                        ; implicit-def: $vgpr6
	s_nop 1
	v_cndmask_b32_e64 v43, 0, 1, vcc
	v_cmp_gt_u32_e32 vcc, s60, v44
	v_mov_b64_e32 v[44:45], 0
	v_mov_b64_e32 v[46:47], v[44:45]
	;; [unrolled: 1-line block ×6, first 2 shown]
	s_and_saveexec_b64 s[40:41], vcc
	s_cbranch_execz .LBB472_130
; %bb.117:
	v_mov_b32_e32 v44, s74
	v_cmp_eq_u32_e32 vcc, v61, v58
	v_add_u32_e32 v6, 17, v77
	v_mov_b64_e32 v[46:47], 0
	v_cndmask_b32_e32 v44, v44, v7, vcc
	v_cmp_ne_u32_e32 vcc, v61, v58
	s_mov_b64 s[46:47], 0
	v_mov_b64_e32 v[48:49], v[46:47]
	v_cndmask_b32_e64 v45, 0, 1, vcc
	v_cmp_gt_u32_e32 vcc, s60, v6
	v_mov_b64_e32 v[50:51], v[46:47]
	v_mov_b64_e32 v[52:53], v[46:47]
	;; [unrolled: 1-line block ×3, first 2 shown]
                                        ; implicit-def: $sgpr48_sgpr49
                                        ; implicit-def: $vgpr6
	s_and_saveexec_b64 s[42:43], vcc
	s_cbranch_execz .LBB472_129
; %bb.118:
	ds_read2_b32 v[6:7], v76 offset0:17 offset1:18
	v_mov_b32_e32 v46, s74
	v_cmp_eq_u32_e32 vcc, v58, v59
	v_add_u32_e32 v48, 18, v77
	s_mov_b64 s[48:49], 0
	s_waitcnt lgkmcnt(0)
	v_cndmask_b32_e32 v46, v46, v6, vcc
	v_cmp_ne_u32_e32 vcc, v58, v59
                                        ; implicit-def: $sgpr50_sgpr51
                                        ; implicit-def: $vgpr6
	s_nop 1
	v_cndmask_b32_e64 v47, 0, 1, vcc
	v_cmp_gt_u32_e32 vcc, s60, v48
	v_mov_b64_e32 v[48:49], 0
	v_mov_b64_e32 v[50:51], v[48:49]
	;; [unrolled: 1-line block ×4, first 2 shown]
	s_and_saveexec_b64 s[44:45], vcc
	s_cbranch_execz .LBB472_128
; %bb.119:
	v_mov_b32_e32 v48, s74
	v_cmp_eq_u32_e32 vcc, v59, v56
	v_add_u32_e32 v6, 19, v77
	v_mov_b64_e32 v[50:51], 0
	v_cndmask_b32_e32 v48, v48, v7, vcc
	v_cmp_ne_u32_e32 vcc, v59, v56
	s_mov_b64 s[50:51], 0
	v_mov_b64_e32 v[52:53], v[50:51]
	v_cndmask_b32_e64 v49, 0, 1, vcc
	v_cmp_gt_u32_e32 vcc, s60, v6
	v_mov_b64_e32 v[54:55], v[50:51]
                                        ; implicit-def: $sgpr56_sgpr57
                                        ; implicit-def: $vgpr6
	s_and_saveexec_b64 s[46:47], vcc
	s_cbranch_execz .LBB472_127
; %bb.120:
	ds_read2_b32 v[6:7], v76 offset0:19 offset1:20
	v_mov_b32_e32 v50, s74
	v_cmp_eq_u32_e32 vcc, v56, v57
	v_add_u32_e32 v52, 20, v77
	s_mov_b64 s[56:57], 0
	s_waitcnt lgkmcnt(0)
	v_cndmask_b32_e32 v50, v50, v6, vcc
	v_cmp_ne_u32_e32 vcc, v56, v57
                                        ; implicit-def: $sgpr58_sgpr59
                                        ; implicit-def: $vgpr6
	s_nop 1
	v_cndmask_b32_e64 v51, 0, 1, vcc
	v_cmp_gt_u32_e32 vcc, s60, v52
	v_mov_b64_e32 v[52:53], 0
	v_mov_b64_e32 v[54:55], v[52:53]
	s_and_saveexec_b64 s[48:49], vcc
	s_cbranch_execz .LBB472_126
; %bb.121:
	v_mov_b32_e32 v52, s74
	v_cmp_eq_u32_e32 vcc, v57, v8
	v_add_u32_e32 v6, 21, v77
	v_mov_b64_e32 v[54:55], 0
	v_cndmask_b32_e32 v52, v52, v7, vcc
	v_cmp_ne_u32_e32 vcc, v57, v8
                                        ; implicit-def: $sgpr58_sgpr59
	s_nop 1
	v_cndmask_b32_e64 v53, 0, 1, vcc
	v_cmp_gt_u32_e32 vcc, s60, v6
                                        ; implicit-def: $vgpr6
	s_and_saveexec_b64 s[50:51], vcc
	s_cbranch_execz .LBB472_125
; %bb.122:
	ds_read2_b32 v[6:7], v76 offset0:21 offset1:22
	v_mov_b32_e32 v54, s74
	v_cmp_eq_u32_e32 vcc, v8, v9
	v_add_u32_e32 v56, 22, v77
                                        ; implicit-def: $sgpr58_sgpr59
	s_waitcnt lgkmcnt(0)
	v_cndmask_b32_e32 v54, v54, v6, vcc
	v_cmp_ne_u32_e32 vcc, v8, v9
                                        ; implicit-def: $vgpr6
	s_nop 1
	v_cndmask_b32_e64 v55, 0, 1, vcc
	v_cmp_gt_u32_e32 vcc, s60, v56
	s_and_saveexec_b64 s[60:61], vcc
	s_xor_b64 s[60:61], exec, s[60:61]
; %bb.123:
	v_mov_b32_e32 v6, s74
	v_cmp_ne_u32_e32 vcc, v9, v1
	s_mov_b64 s[56:57], exec
	s_and_b64 s[58:59], vcc, exec
	v_cndmask_b32_e32 v6, v7, v6, vcc
; %bb.124:
	s_or_b64 exec, exec, s[60:61]
	s_and_b64 s[58:59], s[58:59], exec
	s_and_b64 s[56:57], s[56:57], exec
.LBB472_125:
	s_or_b64 exec, exec, s[50:51]
	s_and_b64 s[58:59], s[58:59], exec
	s_and_b64 s[50:51], s[56:57], exec
.LBB472_126:
	s_or_b64 exec, exec, s[48:49]
	s_and_b64 s[56:57], s[58:59], exec
	s_and_b64 s[48:49], s[50:51], exec
.LBB472_127:
	s_or_b64 exec, exec, s[46:47]
	s_and_b64 s[50:51], s[56:57], exec
	s_and_b64 s[46:47], s[48:49], exec
.LBB472_128:
	s_or_b64 exec, exec, s[44:45]
	s_and_b64 s[48:49], s[50:51], exec
	s_and_b64 s[44:45], s[46:47], exec
.LBB472_129:
	s_or_b64 exec, exec, s[42:43]
	s_and_b64 s[46:47], s[48:49], exec
	s_and_b64 s[42:43], s[44:45], exec
.LBB472_130:
	s_or_b64 exec, exec, s[40:41]
	s_and_b64 s[44:45], s[46:47], exec
	s_and_b64 s[40:41], s[42:43], exec
.LBB472_131:
	s_or_b64 exec, exec, s[38:39]
	s_and_b64 s[42:43], s[44:45], exec
	s_and_b64 s[38:39], s[40:41], exec
.LBB472_132:
	s_or_b64 exec, exec, s[36:37]
	s_and_b64 s[40:41], s[42:43], exec
	s_and_b64 s[36:37], s[38:39], exec
.LBB472_133:
	s_or_b64 exec, exec, s[34:35]
	s_and_b64 s[38:39], s[40:41], exec
	s_and_b64 s[34:35], s[36:37], exec
.LBB472_134:
	s_or_b64 exec, exec, s[30:31]
	s_and_b64 s[36:37], s[38:39], exec
	s_and_b64 s[30:31], s[34:35], exec
.LBB472_135:
	s_or_b64 exec, exec, s[28:29]
	s_and_b64 s[34:35], s[36:37], exec
	s_and_b64 s[28:29], s[30:31], exec
.LBB472_136:
	s_or_b64 exec, exec, s[26:27]
	s_and_b64 s[30:31], s[34:35], exec
	s_and_b64 s[26:27], s[28:29], exec
.LBB472_137:
	s_or_b64 exec, exec, s[24:25]
	s_and_b64 s[28:29], s[30:31], exec
	s_and_b64 s[24:25], s[26:27], exec
.LBB472_138:
	s_or_b64 exec, exec, s[22:23]
	s_and_b64 s[26:27], s[28:29], exec
	s_and_b64 s[22:23], s[24:25], exec
.LBB472_139:
	s_or_b64 exec, exec, s[20:21]
	s_and_b64 s[24:25], s[26:27], exec
	s_and_b64 s[20:21], s[22:23], exec
.LBB472_140:
	s_or_b64 exec, exec, s[18:19]
	s_and_b64 s[22:23], s[24:25], exec
	s_and_b64 s[18:19], s[20:21], exec
.LBB472_141:
	s_or_b64 exec, exec, s[16:17]
	s_and_b64 s[20:21], s[22:23], exec
	s_and_b64 s[16:17], s[18:19], exec
.LBB472_142:
	s_or_b64 exec, exec, s[14:15]
	s_and_b64 s[18:19], s[20:21], exec
	s_and_b64 s[14:15], s[16:17], exec
.LBB472_143:
	s_or_b64 exec, exec, s[12:13]
	s_and_b64 s[16:17], s[18:19], exec
	s_and_b64 s[12:13], s[14:15], exec
.LBB472_144:
	s_or_b64 exec, exec, s[10:11]
	s_and_b64 s[14:15], s[16:17], exec
	s_and_b64 s[10:11], s[12:13], exec
.LBB472_145:
	s_or_b64 exec, exec, s[8:9]
	s_and_b64 s[8:9], s[14:15], exec
	s_and_b64 s[10:11], s[10:11], exec
.LBB472_146:
	s_or_b64 exec, exec, s[6:7]
	s_mov_b64 s[6:7], 0
	s_and_b64 vcc, exec, s[0:1]
	v_lshlrev_b32_e32 v56, 2, v0
	s_cbranch_vccz .LBB472_152
.LBB472_147:
	v_mov_b32_e32 v57, 0
	v_lshl_add_u64 v[6:7], v[4:5], 0, v[56:57]
	v_add_co_u32_e32 v8, vcc, 0x1000, v6
	s_movk_i32 s6, 0x58
	s_nop 0
	v_addc_co_u32_e32 v9, vcc, 0, v7, vcc
	flat_load_dword v1, v[6:7]
	flat_load_dword v14, v[6:7] offset:1024
	flat_load_dword v15, v[6:7] offset:2048
	;; [unrolled: 1-line block ×3, first 2 shown]
	flat_load_dword v17, v[8:9]
	flat_load_dword v18, v[8:9] offset:1024
	flat_load_dword v19, v[8:9] offset:2048
	;; [unrolled: 1-line block ×3, first 2 shown]
	v_add_co_u32_e32 v8, vcc, 0x2000, v6
	s_movk_i32 s11, 0x1000
	s_nop 0
	v_addc_co_u32_e32 v9, vcc, 0, v7, vcc
	v_add_co_u32_e32 v12, vcc, 0x3000, v6
	s_mov_b32 s0, 0
	s_nop 0
	v_addc_co_u32_e32 v13, vcc, 0, v7, vcc
	flat_load_dword v21, v[8:9]
	flat_load_dword v22, v[8:9] offset:1024
	flat_load_dword v23, v[8:9] offset:2048
	;; [unrolled: 1-line block ×3, first 2 shown]
	flat_load_dword v25, v[12:13]
	flat_load_dword v26, v[12:13] offset:1024
	flat_load_dword v27, v[12:13] offset:2048
	;; [unrolled: 1-line block ×3, first 2 shown]
	v_add_co_u32_e32 v8, vcc, 0x4000, v6
	s_movk_i32 s10, 0x2000
	s_nop 0
	v_addc_co_u32_e32 v9, vcc, 0, v7, vcc
	v_add_co_u32_e32 v6, vcc, 0x5000, v6
	s_movk_i32 s9, 0x3000
	s_nop 0
	v_addc_co_u32_e32 v7, vcc, 0, v7, vcc
	flat_load_dword v12, v[8:9]
	flat_load_dword v13, v[8:9] offset:1024
	flat_load_dword v29, v[8:9] offset:2048
	;; [unrolled: 1-line block ×3, first 2 shown]
	flat_load_dword v31, v[6:7]
	flat_load_dword v32, v[6:7] offset:1024
	flat_load_dword v33, v[6:7] offset:2048
	v_add_co_u32_e32 v4, vcc, 0x5000, v4
	s_movk_i32 s8, 0x4000
	s_nop 0
	v_addc_co_u32_e32 v5, vcc, 0, v5, vcc
	s_movk_i32 s1, 0x5000
	s_waitcnt vmcnt(0) lgkmcnt(0)
	ds_write2st64_b32 v56, v1, v14 offset1:4
	ds_write2st64_b32 v56, v15, v16 offset0:8 offset1:12
	ds_write2st64_b32 v56, v17, v18 offset0:16 offset1:20
	;; [unrolled: 1-line block ×10, first 2 shown]
	ds_write_b32 v56, v33 offset:22528
	s_waitcnt lgkmcnt(0)
	s_barrier
	flat_load_dword v1, v[4:5] offset:3072
	v_mad_u32_u24 v14, v0, s6, v56
	s_movk_i32 s6, 0xffa8
	v_mad_i32_i24 v13, v0, s6, v14
	s_movk_i32 s6, 0xff
	v_cmp_ne_u32_e32 vcc, s6, v0
	ds_read_b32 v12, v14
	ds_read2_b32 v[16:17], v14 offset0:1 offset1:2
	ds_read2_b32 v[20:21], v14 offset0:3 offset1:4
	;; [unrolled: 1-line block ×11, first 2 shown]
	s_waitcnt lgkmcnt(0)
	ds_write_b32 v13, v12 offset:24576
	s_waitcnt lgkmcnt(0)
	s_barrier
	s_and_saveexec_b64 s[6:7], vcc
	s_cbranch_execz .LBB472_149
; %bb.148:
	s_waitcnt vmcnt(0)
	ds_read_b32 v1, v56 offset:24580
.LBB472_149:
	s_or_b64 exec, exec, s[6:7]
	v_lshl_add_u64 v[2:3], v[2:3], 0, v[56:57]
	v_add_co_u32_e32 v18, vcc, s11, v2
	s_waitcnt lgkmcnt(0)
	s_nop 0
	v_addc_co_u32_e32 v19, vcc, 0, v3, vcc
	s_barrier
	flat_load_dword v13, v[2:3]
	flat_load_dword v15, v[2:3] offset:1024
	flat_load_dword v26, v[2:3] offset:2048
	;; [unrolled: 1-line block ×3, first 2 shown]
	flat_load_dword v30, v[18:19]
	flat_load_dword v31, v[18:19] offset:1024
	flat_load_dword v34, v[18:19] offset:2048
	;; [unrolled: 1-line block ×3, first 2 shown]
	v_add_co_u32_e32 v18, vcc, s10, v2
	s_nop 1
	v_addc_co_u32_e32 v19, vcc, 0, v3, vcc
	v_add_co_u32_e32 v22, vcc, s9, v2
	s_nop 1
	v_addc_co_u32_e32 v23, vcc, 0, v3, vcc
	flat_load_dword v38, v[18:19]
	flat_load_dword v39, v[18:19] offset:1024
	flat_load_dword v42, v[18:19] offset:2048
	;; [unrolled: 1-line block ×3, first 2 shown]
	flat_load_dword v46, v[22:23]
	flat_load_dword v47, v[22:23] offset:1024
	flat_load_dword v48, v[22:23] offset:2048
	;; [unrolled: 1-line block ×3, first 2 shown]
	v_add_co_u32_e32 v18, vcc, s8, v2
	s_nop 1
	v_addc_co_u32_e32 v19, vcc, 0, v3, vcc
	v_add_co_u32_e32 v2, vcc, s1, v2
	s_mov_b32 s1, 1
	s_nop 0
	v_addc_co_u32_e32 v3, vcc, 0, v3, vcc
	flat_load_dword v22, v[18:19]
	flat_load_dword v23, v[18:19] offset:1024
	flat_load_dword v50, v[18:19] offset:2048
	;; [unrolled: 1-line block ×3, first 2 shown]
	flat_load_dword v52, v[2:3]
	flat_load_dword v53, v[2:3] offset:1024
	flat_load_dword v54, v[2:3] offset:2048
	v_cmp_eq_u32_e32 vcc, v12, v16
	s_waitcnt vmcnt(0) lgkmcnt(0)
	ds_write2st64_b32 v56, v13, v15 offset1:4
	ds_write2st64_b32 v56, v26, v27 offset0:8 offset1:12
	ds_write2st64_b32 v56, v30, v31 offset0:16 offset1:20
	;; [unrolled: 1-line block ×10, first 2 shown]
	ds_write_b32 v56, v54 offset:22528
	s_waitcnt lgkmcnt(0)
	s_barrier
	ds_read2_b32 v[18:19], v14 offset0:1 offset1:2
	ds_read2_b32 v[22:23], v14 offset0:3 offset1:4
	;; [unrolled: 1-line block ×11, first 2 shown]
	v_mov_b64_e32 v[12:13], s[0:1]
	v_mov_b32_e32 v15, s74
	s_and_saveexec_b64 s[0:1], vcc
	s_cbranch_execz .LBB472_151
; %bb.150:
	ds_read_b32 v15, v14
	v_mov_b64_e32 v[12:13], 0
.LBB472_151:
	s_or_b64 exec, exec, s[0:1]
	v_mov_b32_e32 v57, s74
	v_cmp_eq_u32_e32 vcc, v16, v17
	s_waitcnt lgkmcnt(0)
	v_or_b32_e32 v12, v12, v15
	v_cmp_ne_u32_e64 s[8:9], v5, v1
	v_cndmask_b32_e32 v14, v57, v18, vcc
	v_cmp_ne_u32_e32 vcc, v16, v17
	s_mov_b64 s[10:11], -1
                                        ; implicit-def: $sgpr6_sgpr7
	s_nop 0
	v_cndmask_b32_e64 v15, 0, 1, vcc
	v_cmp_eq_u32_e32 vcc, v17, v20
	s_nop 1
	v_cndmask_b32_e32 v16, v57, v19, vcc
	v_cmp_ne_u32_e32 vcc, v17, v20
	s_nop 1
	v_cndmask_b32_e64 v17, 0, 1, vcc
	v_cmp_eq_u32_e32 vcc, v20, v21
	s_nop 1
	v_cndmask_b32_e32 v18, v57, v22, vcc
	v_cmp_ne_u32_e32 vcc, v20, v21
	;; [unrolled: 6-line block ×18, first 2 shown]
	v_cndmask_b32_e64 v6, v3, v57, s[8:9]
	s_nop 0
	v_cndmask_b32_e64 v51, 0, 1, vcc
	v_cmp_eq_u32_e32 vcc, v7, v4
	s_nop 1
	v_cndmask_b32_e32 v52, v57, v53, vcc
	v_cmp_ne_u32_e32 vcc, v7, v4
	s_nop 1
	v_cndmask_b32_e64 v53, 0, 1, vcc
	v_cmp_eq_u32_e32 vcc, v4, v5
	s_nop 1
	v_cndmask_b32_e32 v54, v57, v2, vcc
	v_cmp_ne_u32_e32 vcc, v4, v5
	s_nop 1
	v_cndmask_b32_e64 v55, 0, 1, vcc
.LBB472_152:
	v_mov_b64_e32 v[58:59], s[6:7]
	s_and_saveexec_b64 s[0:1], s[10:11]
; %bb.153:
	v_cndmask_b32_e64 v7, 0, 1, s[8:9]
	v_mov_b64_e32 v[58:59], v[6:7]
; %bb.154:
	s_or_b64 exec, exec, s[0:1]
	s_mov_b32 s0, 0
	s_cmp_lg_u32 s67, 0
	v_or_b32_e32 v57, v59, v55
	v_lshrrev_b32_e32 v1, 5, v0
	v_cmp_gt_u32_e32 vcc, 64, v0
	s_barrier
	s_cbranch_scc0 .LBB472_193
; %bb.155:
	s_mov_b32 s1, 1
	v_cmp_gt_u64_e64 s[6:7], s[0:1], v[14:15]
	v_cmp_gt_u64_e64 s[8:9], s[0:1], v[16:17]
	v_cmp_gt_u64_e64 s[10:11], s[0:1], v[18:19]
	v_cndmask_b32_e64 v2, 0, v12, s[6:7]
	v_add_u32_e32 v2, v2, v14
	v_cndmask_b32_e64 v2, 0, v2, s[8:9]
	v_add_u32_e32 v2, v2, v16
	v_cndmask_b32_e64 v2, 0, v2, s[10:11]
	v_add_u32_e32 v2, v2, v18
	v_cmp_gt_u64_e64 s[12:13], s[0:1], v[20:21]
	v_cmp_gt_u64_e64 s[14:15], s[0:1], v[22:23]
	v_cmp_gt_u64_e64 s[16:17], s[0:1], v[24:25]
	v_cndmask_b32_e64 v2, 0, v2, s[12:13]
	v_add_u32_e32 v2, v2, v20
	v_cndmask_b32_e64 v2, 0, v2, s[14:15]
	v_add_u32_e32 v2, v2, v22
	v_cndmask_b32_e64 v2, 0, v2, s[16:17]
	v_add_u32_e32 v2, v2, v24
	;; [unrolled: 9-line block ×7, first 2 shown]
	v_cmp_gt_u64_e64 s[0:1], s[0:1], v[58:59]
	s_nop 1
	v_cndmask_b32_e64 v2, 0, v2, s[0:1]
	v_add_u32_e32 v64, v2, v58
	v_or3_b32 v2, v57, v53, v51
	v_or3_b32 v2, v2, v49, v47
	v_or3_b32 v2, v2, v45, v43
	v_or3_b32 v2, v2, v41, v39
	v_or3_b32 v2, v2, v37, v35
	v_or3_b32 v2, v2, v33, v31
	v_or3_b32 v2, v2, v29, v27
	v_or3_b32 v2, v2, v25, v23
	v_or3_b32 v2, v2, v21, v19
	v_or3_b32 v2, v2, v17, v15
	v_and_b32_e32 v2, 1, v2
	v_cmp_eq_u32_e64 s[0:1], 1, v2
	v_add_lshl_u32 v2, v1, v0, 3
	s_nop 0
	v_cndmask_b32_e64 v65, v13, 1, s[0:1]
	ds_write_b32 v2, v64
	ds_write_b8 v2, v65 offset:4
	s_waitcnt lgkmcnt(0)
	s_barrier
	s_and_saveexec_b64 s[50:51], vcc
	s_cbranch_execz .LBB472_167
; %bb.156:
	v_lshrrev_b32_e32 v2, 3, v0
	v_add_lshl_u32 v4, v2, v56, 3
	ds_read2_b32 v[6:7], v4 offset0:2 offset1:4
	ds_read_b64 v[2:3], v4
	ds_read_u8 v8, v4 offset:12
	ds_read_u8 v9, v4 offset:20
	ds_read_b32 v60, v4 offset:24
	ds_read_u8 v61, v4 offset:28
	v_mov_b32_e32 v62, 0
	s_waitcnt lgkmcnt(3)
	v_cmp_eq_u16_sdwa s[0:1], v8, v62 src0_sel:BYTE_0 src1_sel:DWORD
	v_and_b32_e32 v5, 1, v3
	s_nop 0
	v_cndmask_b32_e64 v63, 0, v2, s[0:1]
	v_add_u32_e32 v6, v63, v6
	s_waitcnt lgkmcnt(2)
	v_cmp_eq_u16_sdwa s[0:1], v9, v62 src0_sel:BYTE_0 src1_sel:DWORD
	s_nop 1
	v_cndmask_b32_e64 v6, 0, v6, s[0:1]
	v_add_u32_e32 v6, v6, v7
	s_waitcnt lgkmcnt(0)
	v_cmp_eq_u16_e64 s[0:1], 0, v61
	s_nop 1
	v_cndmask_b32_e64 v6, 0, v6, s[0:1]
	v_add_u32_e32 v7, v6, v60
	v_or_b32_e32 v6, v61, v9
	v_or_b32_e32 v6, v6, v8
	v_and_b32_e32 v6, 1, v6
	v_cmp_eq_u32_e64 s[0:1], 1, v6
	v_mbcnt_lo_u32_b32 v8, -1, 0
	v_and_b32_e32 v6, 0xffffff00, v3
	v_cndmask_b32_e64 v9, v5, 1, s[0:1]
	v_mbcnt_hi_u32_b32 v8, -1, v8
	v_and_b32_e32 v61, 15, v8
	v_or_b32_sdwa v60, v6, v9 dst_sel:DWORD dst_unused:UNUSED_PAD src0_sel:DWORD src1_sel:WORD_0
	v_mov_b32_dpp v62, v7 row_shr:1 row_mask:0xf bank_mask:0xf
	v_cmp_ne_u32_e64 s[0:1], 0, v61
	v_mov_b32_dpp v63, v60 row_shr:1 row_mask:0xf bank_mask:0xf
	s_and_saveexec_b64 s[56:57], s[0:1]
; %bb.157:
	v_and_b32_e32 v60, 1, v9
	v_and_b32_e32 v63, 1, v63
	v_cmp_eq_u32_e64 s[0:1], 1, v60
	s_nop 1
	v_cndmask_b32_e64 v63, v63, 1, s[0:1]
	v_cmp_eq_u16_e64 s[0:1], 0, v9
	v_or_b32_sdwa v60, v6, v63 dst_sel:DWORD dst_unused:UNUSED_PAD src0_sel:DWORD src1_sel:WORD_0
	s_nop 0
	v_cndmask_b32_e64 v9, 0, v62, s[0:1]
	v_add_u32_e32 v7, v9, v7
	v_mov_b32_e32 v9, v63
; %bb.158:
	s_or_b64 exec, exec, s[56:57]
	v_mov_b32_dpp v62, v7 row_shr:2 row_mask:0xf bank_mask:0xf
	v_mov_b32_dpp v63, v60 row_shr:2 row_mask:0xf bank_mask:0xf
	v_cmp_lt_u32_e64 s[0:1], 1, v61
	s_and_saveexec_b64 s[56:57], s[0:1]
; %bb.159:
	v_and_b32_e32 v60, 1, v9
	v_and_b32_e32 v63, 1, v63
	v_cmp_eq_u32_e64 s[0:1], 1, v60
	s_nop 1
	v_cndmask_b32_e64 v63, v63, 1, s[0:1]
	v_cmp_eq_u16_e64 s[0:1], 0, v9
	v_or_b32_sdwa v60, v6, v63 dst_sel:DWORD dst_unused:UNUSED_PAD src0_sel:DWORD src1_sel:WORD_0
	s_nop 0
	v_cndmask_b32_e64 v9, 0, v62, s[0:1]
	v_add_u32_e32 v7, v9, v7
	v_mov_b32_e32 v9, v63
; %bb.160:
	s_or_b64 exec, exec, s[56:57]
	v_mov_b32_dpp v62, v7 row_shr:4 row_mask:0xf bank_mask:0xf
	v_mov_b32_dpp v63, v60 row_shr:4 row_mask:0xf bank_mask:0xf
	v_cmp_lt_u32_e64 s[0:1], 3, v61
	;; [unrolled: 18-line block ×3, first 2 shown]
	s_and_saveexec_b64 s[56:57], s[0:1]
; %bb.163:
	v_and_b32_e32 v60, 1, v9
	v_and_b32_e32 v61, 1, v63
	v_cmp_eq_u32_e64 s[0:1], 1, v60
	s_nop 1
	v_cndmask_b32_e64 v61, v61, 1, s[0:1]
	v_cmp_eq_u16_e64 s[0:1], 0, v9
	v_or_b32_sdwa v60, v6, v61 dst_sel:DWORD dst_unused:UNUSED_PAD src0_sel:DWORD src1_sel:WORD_0
	s_nop 0
	v_cndmask_b32_e64 v9, 0, v62, s[0:1]
	v_add_u32_e32 v7, v9, v7
	v_mov_b32_e32 v9, v61
; %bb.164:
	s_or_b64 exec, exec, s[56:57]
	v_and_b32_e32 v63, 16, v8
	v_mov_b32_dpp v61, v7 row_bcast:15 row_mask:0xf bank_mask:0xf
	v_mov_b32_dpp v62, v60 row_bcast:15 row_mask:0xf bank_mask:0xf
	v_cmp_ne_u32_e64 s[0:1], 0, v63
	s_and_saveexec_b64 s[56:57], s[0:1]
; %bb.165:
	v_and_b32_e32 v60, 1, v9
	v_and_b32_e32 v62, 1, v62
	v_cmp_eq_u32_e64 s[0:1], 1, v60
	s_nop 1
	v_cndmask_b32_e64 v62, v62, 1, s[0:1]
	v_cmp_eq_u16_e64 s[0:1], 0, v9
	v_or_b32_sdwa v60, v6, v62 dst_sel:DWORD dst_unused:UNUSED_PAD src0_sel:DWORD src1_sel:WORD_0
	s_nop 0
	v_cndmask_b32_e64 v9, 0, v61, s[0:1]
	v_add_u32_e32 v7, v9, v7
	v_mov_b32_e32 v9, v62
; %bb.166:
	s_or_b64 exec, exec, s[56:57]
	v_mov_b32_dpp v60, v60 row_bcast:31 row_mask:0xf bank_mask:0xf
	v_and_b32_e32 v62, 1, v9
	v_and_b32_e32 v60, 1, v60
	v_cmp_eq_u32_e64 s[0:1], 1, v62
	v_mov_b32_e32 v62, 0
	v_cmp_eq_u16_sdwa s[56:57], v9, v62 src0_sel:BYTE_0 src1_sel:DWORD
	v_cndmask_b32_e64 v60, v60, 1, s[0:1]
	v_cmp_lt_u32_e64 s[0:1], 31, v8
	v_mov_b32_dpp v61, v7 row_bcast:31 row_mask:0xf bank_mask:0xf
	s_movk_i32 s58, 0xff
	v_cndmask_b32_e64 v9, v9, v60, s[0:1]
	s_and_b64 s[0:1], s[0:1], s[56:57]
	v_cndmask_b32_e64 v60, 0, v61, s[0:1]
	v_add_u32_e32 v7, v60, v7
	v_add_u32_e32 v60, -1, v8
	v_and_b32_e32 v61, 64, v8
	v_cmp_lt_i32_e64 s[0:1], v60, v61
	v_and_or_b32 v6, v9, s58, v6
	s_nop 0
	v_cndmask_b32_e64 v8, v60, v8, s[0:1]
	v_lshlrev_b32_e32 v8, 2, v8
	ds_bpermute_b32 v7, v8, v7
	ds_bpermute_b32 v6, v8, v6
	v_cmp_eq_u16_sdwa s[0:1], v3, v62 src0_sel:BYTE_0 src1_sel:DWORD
	; wave barrier
	s_waitcnt lgkmcnt(1)
	s_nop 0
	v_cndmask_b32_e64 v3, 0, v7, s[0:1]
	v_add_u32_e32 v2, v3, v2
	s_waitcnt lgkmcnt(0)
	v_and_b32_e32 v3, 1, v6
	v_cmp_eq_u32_e64 s[0:1], 1, v5
	v_cndmask_b32_e64 v5, v2, v64, s[52:53]
	s_nop 0
	v_cndmask_b32_e64 v3, v3, 1, s[0:1]
	v_cndmask_b32_e64 v6, v3, v65, s[52:53]
	ds_write_b32 v4, v5
	ds_write_b8 v4, v6 offset:4
	; wave barrier
	ds_read_u8 v7, v4 offset:12
	ds_read2_b32 v[2:3], v4 offset0:2 offset1:4
	ds_read_u8 v8, v4 offset:20
	ds_read_b32 v9, v4 offset:24
	ds_read_u8 v60, v4 offset:28
	s_waitcnt lgkmcnt(4)
	v_cmp_eq_u16_e64 s[0:1], 0, v7
	s_nop 1
	v_cndmask_b32_e64 v5, 0, v5, s[0:1]
	s_waitcnt lgkmcnt(3)
	v_add_u32_e32 v2, v5, v2
	v_and_b32_e32 v5, 1, v7
	v_cmp_eq_u32_e64 s[0:1], 1, v5
	s_nop 1
	v_cndmask_b32_e64 v5, v6, 1, s[0:1]
	s_waitcnt lgkmcnt(2)
	v_cmp_eq_u16_e64 s[0:1], 0, v8
	ds_write_b8 v4, v5 offset:12
	s_nop 0
	v_cndmask_b32_e64 v6, 0, v2, s[0:1]
	v_add_u32_e32 v3, v6, v3
	v_and_b32_e32 v6, 1, v8
	v_cmp_eq_u32_e64 s[0:1], 1, v6
	s_nop 1
	v_cndmask_b32_e64 v5, v5, 1, s[0:1]
	s_waitcnt lgkmcnt(1)
	v_cmp_eq_u16_e64 s[0:1], 0, v60
	ds_write2_b32 v4, v2, v3 offset0:2 offset1:4
	ds_write_b8 v4, v5 offset:20
	v_cndmask_b32_e64 v2, 0, v3, s[0:1]
	v_and_b32_e32 v3, 1, v60
	v_add_u32_e32 v2, v2, v9
	v_cmp_eq_u32_e64 s[0:1], 1, v3
	s_nop 1
	v_cndmask_b32_e64 v3, v5, 1, s[0:1]
	ds_write_b32 v4, v2 offset:24
	ds_write_b8 v4, v3 offset:28
.LBB472_167:
	s_or_b64 exec, exec, s[50:51]
	s_waitcnt lgkmcnt(0)
	s_barrier
	s_and_saveexec_b64 s[0:1], s[4:5]
	s_cbranch_execz .LBB472_169
; %bb.168:
	v_add_u32_e32 v2, -1, v0
	v_lshrrev_b32_e32 v3, 5, v2
	v_add_lshl_u32 v2, v3, v2, 3
	ds_read_b32 v64, v2
	ds_read_u8 v65, v2 offset:4
.LBB472_169:
	s_or_b64 exec, exec, s[0:1]
	s_and_saveexec_b64 s[56:57], vcc
	s_cbranch_execz .LBB472_192
; %bb.170:
	v_mov_b32_e32 v5, 0
	ds_read_b64 v[2:3], v5 offset:2096
	v_mbcnt_lo_u32_b32 v4, -1, 0
	v_mbcnt_hi_u32_b32 v75, -1, v4
	s_mov_b32 s59, 0
	v_cmp_eq_u32_e64 s[50:51], 0, v75
	s_waitcnt lgkmcnt(0)
	v_readfirstlane_b32 s68, v3
	s_and_saveexec_b64 s[0:1], s[50:51]
	s_cbranch_execz .LBB472_172
; %bb.171:
	s_add_i32 s58, s67, 64
	s_lshl_b64 s[60:61], s[58:59], 4
	s_add_u32 s60, s64, s60
	s_addc_u32 s61, s65, s61
	s_and_b32 s77, s68, 0xff000000
	s_mov_b32 s76, s59
	s_and_b32 s79, s68, 0xff0000
	s_mov_b32 s78, s59
	s_or_b64 s[76:77], s[78:79], s[76:77]
	s_and_b32 s79, s68, 0xff00
	s_or_b64 s[76:77], s[76:77], s[78:79]
	s_and_b32 s79, s68, 0xff
	s_or_b64 s[58:59], s[76:77], s[78:79]
	v_mov_b32_e32 v3, s59
	v_mov_b32_e32 v4, 1
	v_mov_b64_e32 v[6:7], s[60:61]
	;;#ASMSTART
	global_store_dwordx4 v[6:7], v[2:5] off sc1	
s_waitcnt vmcnt(0)
	;;#ASMEND
.LBB472_172:
	s_or_b64 exec, exec, s[0:1]
	v_xad_u32 v60, v75, -1, s67
	v_add_u32_e32 v4, 64, v60
	v_lshl_add_u64 v[62:63], v[4:5], 4, s[64:65]
	;;#ASMSTART
	global_load_dwordx4 v[6:9], v[62:63] off sc1	
s_waitcnt vmcnt(0)
	;;#ASMEND
	s_nop 0
	v_and_b32_e32 v3, 0xff0000, v6
	v_and_b32_e32 v4, 0xff000000, v6
	;; [unrolled: 1-line block ×3, first 2 shown]
	v_or_b32_sdwa v3, v6, v3 dst_sel:DWORD dst_unused:UNUSED_PAD src0_sel:WORD_0 src1_sel:DWORD
	v_or3_b32 v7, 0, 0, v7
	v_or3_b32 v6, v3, v4, 0
	v_cmp_eq_u16_sdwa s[58:59], v8, v5 src0_sel:BYTE_0 src1_sel:DWORD
	s_and_saveexec_b64 s[0:1], s[58:59]
	s_cbranch_execz .LBB472_178
; %bb.173:
	s_mov_b32 s60, 1
	s_mov_b64 s[58:59], 0
	v_mov_b32_e32 v3, 0
.LBB472_174:                            ; =>This Loop Header: Depth=1
                                        ;     Child Loop BB472_175 Depth 2
	s_max_u32 s61, s60, 1
.LBB472_175:                            ;   Parent Loop BB472_174 Depth=1
                                        ; =>  This Inner Loop Header: Depth=2
	s_add_i32 s61, s61, -1
	s_cmp_eq_u32 s61, 0
	s_sleep 1
	s_cbranch_scc0 .LBB472_175
; %bb.176:                              ;   in Loop: Header=BB472_174 Depth=1
	s_cmp_lt_u32 s60, 32
	s_cselect_b64 s[76:77], -1, 0
	s_cmp_lg_u64 s[76:77], 0
	s_addc_u32 s60, s60, 0
	;;#ASMSTART
	global_load_dwordx4 v[6:9], v[62:63] off sc1	
s_waitcnt vmcnt(0)
	;;#ASMEND
	s_nop 0
	v_cmp_ne_u16_sdwa s[76:77], v8, v3 src0_sel:BYTE_0 src1_sel:DWORD
	s_or_b64 s[58:59], s[76:77], s[58:59]
	s_andn2_b64 exec, exec, s[58:59]
	s_cbranch_execnz .LBB472_174
; %bb.177:
	s_or_b64 exec, exec, s[58:59]
	v_and_b32_e32 v7, 0xff, v7
.LBB472_178:
	s_or_b64 exec, exec, s[0:1]
	v_mov_b32_e32 v3, 2
	v_cmp_eq_u16_sdwa s[0:1], v8, v3 src0_sel:BYTE_0 src1_sel:DWORD
	v_lshlrev_b64 v[4:5], v75, -1
	v_and_b32_e32 v66, 63, v75
	v_and_b32_e32 v9, s1, v5
	v_or_b32_e32 v9, 0x80000000, v9
	v_and_b32_e32 v61, s0, v4
	v_ffbl_b32_e32 v9, v9
	v_add_u32_e32 v9, 32, v9
	v_ffbl_b32_e32 v61, v61
	v_cmp_ne_u32_e32 vcc, 63, v66
	v_min_u32_e32 v9, v61, v9
	s_mov_b32 s58, 0
	v_addc_co_u32_e32 v61, vcc, 0, v75, vcc
	v_lshlrev_b32_e32 v67, 2, v61
	ds_bpermute_b32 v61, v67, v7
	ds_bpermute_b32 v62, v67, v6
	v_and_b32_e32 v63, 1, v7
	s_mov_b32 s59, 1
	v_cmp_eq_u32_e32 vcc, 1, v63
	s_waitcnt lgkmcnt(1)
	v_and_b32_e32 v61, 1, v61
	v_cmp_lt_u32_e64 s[0:1], v66, v9
	v_cndmask_b32_e64 v61, v61, 1, vcc
	v_cmp_gt_u64_e32 vcc, s[58:59], v[6:7]
	s_and_b64 vcc, s[0:1], vcc
	v_and_b32_e32 v63, 0xffff, v61
	v_cndmask_b32_e64 v70, v7, v61, s[0:1]
	s_waitcnt lgkmcnt(0)
	v_cndmask_b32_e32 v61, 0, v62, vcc
	v_cmp_gt_u32_e32 vcc, 62, v66
	v_cndmask_b32_e64 v7, v7, v63, s[0:1]
	v_add_u32_e32 v6, v61, v6
	v_cndmask_b32_e64 v62, 0, 1, vcc
	v_lshlrev_b32_e32 v62, 1, v62
	v_add_lshl_u32 v68, v62, v75, 2
	ds_bpermute_b32 v62, v68, v7
	ds_bpermute_b32 v63, v68, v6
	v_and_b32_e32 v61, 1, v70
	v_cmp_eq_u32_e32 vcc, 1, v61
	v_mov_b32_e32 v61, 0
	s_waitcnt lgkmcnt(1)
	v_and_b32_e32 v62, 1, v62
	v_add_u32_e32 v69, 2, v66
	v_cndmask_b32_e64 v62, v62, 1, vcc
	v_cmp_eq_u16_sdwa vcc, v70, v61 src0_sel:BYTE_0 src1_sel:DWORD
	v_and_b32_e32 v71, 0xffff, v62
	v_add_u32_e32 v79, 32, v66
	s_waitcnt lgkmcnt(0)
	v_cndmask_b32_e32 v63, 0, v63, vcc
	v_cmp_gt_u32_e32 vcc, v69, v9
	s_nop 1
	v_cndmask_b32_e32 v62, v62, v70, vcc
	v_cndmask_b32_e64 v63, v63, 0, vcc
	v_cndmask_b32_e32 v7, v71, v7, vcc
	v_cmp_gt_u32_e32 vcc, 60, v66
	v_add_u32_e32 v6, v63, v6
	v_and_b32_e32 v73, 1, v62
	v_cndmask_b32_e64 v70, 0, 1, vcc
	v_lshlrev_b32_e32 v70, 2, v70
	v_add_lshl_u32 v70, v70, v75, 2
	ds_bpermute_b32 v72, v70, v7
	ds_bpermute_b32 v63, v70, v6
	v_cmp_eq_u32_e32 vcc, 1, v73
	v_add_u32_e32 v71, 4, v66
	s_waitcnt lgkmcnt(1)
	v_and_b32_e32 v72, 1, v72
	v_cndmask_b32_e64 v72, v72, 1, vcc
	v_cmp_eq_u16_sdwa vcc, v62, v61 src0_sel:BYTE_0 src1_sel:DWORD
	v_and_b32_e32 v73, 0xffff, v72
	s_waitcnt lgkmcnt(0)
	v_cndmask_b32_e32 v63, 0, v63, vcc
	v_cmp_gt_u32_e32 vcc, v71, v9
	s_nop 1
	v_cndmask_b32_e32 v62, v72, v62, vcc
	v_cndmask_b32_e64 v63, v63, 0, vcc
	v_cndmask_b32_e32 v7, v73, v7, vcc
	v_cmp_gt_u32_e32 vcc, 56, v66
	v_add_u32_e32 v6, v63, v6
	v_and_b32_e32 v76, 1, v62
	v_cndmask_b32_e64 v72, 0, 1, vcc
	v_lshlrev_b32_e32 v72, 3, v72
	v_add_lshl_u32 v72, v72, v75, 2
	ds_bpermute_b32 v74, v72, v7
	ds_bpermute_b32 v63, v72, v6
	v_cmp_eq_u32_e32 vcc, 1, v76
	v_add_u32_e32 v73, 8, v66
	s_waitcnt lgkmcnt(1)
	v_and_b32_e32 v74, 1, v74
	v_cndmask_b32_e64 v74, v74, 1, vcc
	v_cmp_eq_u16_sdwa vcc, v62, v61 src0_sel:BYTE_0 src1_sel:DWORD
	v_and_b32_e32 v76, 0xffff, v74
	;; [unrolled: 22-line block ×3, first 2 shown]
	s_waitcnt lgkmcnt(0)
	v_cndmask_b32_e32 v63, 0, v63, vcc
	v_cmp_gt_u32_e32 vcc, v76, v9
	s_nop 1
	v_cndmask_b32_e32 v62, v77, v62, vcc
	v_cndmask_b32_e64 v63, v63, 0, vcc
	v_cndmask_b32_e32 v7, v78, v7, vcc
	v_cmp_gt_u32_e32 vcc, 32, v66
	v_add_u32_e32 v6, v63, v6
	s_nop 0
	v_cndmask_b32_e64 v77, 0, 1, vcc
	v_lshlrev_b32_e32 v77, 5, v77
	v_add_lshl_u32 v78, v77, v75, 2
	ds_bpermute_b32 v7, v78, v7
	ds_bpermute_b32 v63, v78, v6
	v_and_b32_e32 v75, 1, v62
	v_cmp_eq_u32_e32 vcc, 1, v75
	s_waitcnt lgkmcnt(1)
	v_and_b32_e32 v7, 1, v7
	v_cndmask_b32_e64 v7, v7, 1, vcc
	v_cmp_eq_u16_sdwa vcc, v62, v61 src0_sel:BYTE_0 src1_sel:DWORD
	s_waitcnt lgkmcnt(0)
	s_nop 0
	v_cndmask_b32_e32 v63, 0, v63, vcc
	v_cmp_gt_u32_e32 vcc, v79, v9
	s_nop 1
	v_cndmask_b32_e64 v9, v63, 0, vcc
	v_cndmask_b32_e32 v7, v7, v62, vcc
	v_add_u32_e32 v6, v9, v6
	s_branch .LBB472_180
.LBB472_179:                            ;   in Loop: Header=BB472_180 Depth=1
	s_or_b64 exec, exec, s[0:1]
	v_cmp_eq_u16_sdwa s[0:1], v8, v3 src0_sel:BYTE_0 src1_sel:DWORD
	ds_bpermute_b32 v63, v67, v7
	v_and_b32_e32 v80, 1, v7
	v_and_b32_e32 v9, s1, v5
	v_or_b32_e32 v9, 0x80000000, v9
	v_and_b32_e32 v62, s0, v4
	v_ffbl_b32_e32 v9, v9
	v_add_u32_e32 v9, 32, v9
	v_ffbl_b32_e32 v62, v62
	v_min_u32_e32 v9, v62, v9
	ds_bpermute_b32 v62, v67, v6
	s_waitcnt lgkmcnt(1)
	v_and_b32_e32 v63, 1, v63
	v_cmp_eq_u32_e32 vcc, 1, v80
	v_cmp_lt_u32_e64 s[0:1], v66, v9
	v_subrev_u32_e32 v60, 64, v60
	v_cndmask_b32_e64 v63, v63, 1, vcc
	v_cmp_gt_u64_e32 vcc, s[58:59], v[6:7]
	v_and_b32_e32 v80, 0xffff, v63
	v_cndmask_b32_e64 v63, v7, v63, s[0:1]
	v_cndmask_b32_e64 v7, v7, v80, s[0:1]
	s_and_b64 vcc, s[0:1], vcc
	ds_bpermute_b32 v80, v68, v7
	s_waitcnt lgkmcnt(1)
	v_cndmask_b32_e32 v62, 0, v62, vcc
	v_add_u32_e32 v6, v62, v6
	ds_bpermute_b32 v62, v68, v6
	v_and_b32_e32 v81, 1, v63
	s_waitcnt lgkmcnt(1)
	v_and_b32_e32 v80, 1, v80
	v_cmp_eq_u32_e32 vcc, 1, v81
	s_nop 1
	v_cndmask_b32_e64 v80, v80, 1, vcc
	v_cmp_eq_u16_sdwa vcc, v63, v61 src0_sel:BYTE_0 src1_sel:DWORD
	v_and_b32_e32 v81, 0xffff, v80
	s_waitcnt lgkmcnt(0)
	v_cndmask_b32_e32 v62, 0, v62, vcc
	v_cmp_gt_u32_e32 vcc, v69, v9
	s_nop 1
	v_cndmask_b32_e32 v7, v81, v7, vcc
	v_cndmask_b32_e32 v63, v80, v63, vcc
	ds_bpermute_b32 v80, v70, v7
	v_cndmask_b32_e64 v62, v62, 0, vcc
	v_add_u32_e32 v6, v62, v6
	ds_bpermute_b32 v62, v70, v6
	v_and_b32_e32 v81, 1, v63
	s_waitcnt lgkmcnt(1)
	v_and_b32_e32 v80, 1, v80
	v_cmp_eq_u32_e32 vcc, 1, v81
	s_nop 1
	v_cndmask_b32_e64 v80, v80, 1, vcc
	v_cmp_eq_u16_sdwa vcc, v63, v61 src0_sel:BYTE_0 src1_sel:DWORD
	v_and_b32_e32 v81, 0xffff, v80
	s_waitcnt lgkmcnt(0)
	v_cndmask_b32_e32 v62, 0, v62, vcc
	v_cmp_gt_u32_e32 vcc, v71, v9
	s_nop 1
	v_cndmask_b32_e32 v7, v81, v7, vcc
	v_cndmask_b32_e32 v63, v80, v63, vcc
	ds_bpermute_b32 v80, v72, v7
	v_cndmask_b32_e64 v62, v62, 0, vcc
	;; [unrolled: 18-line block ×3, first 2 shown]
	v_add_u32_e32 v6, v62, v6
	ds_bpermute_b32 v62, v74, v6
	v_and_b32_e32 v81, 1, v63
	s_waitcnt lgkmcnt(1)
	v_and_b32_e32 v80, 1, v80
	v_cmp_eq_u32_e32 vcc, 1, v81
	s_nop 1
	v_cndmask_b32_e64 v80, v80, 1, vcc
	v_cmp_eq_u16_sdwa vcc, v63, v61 src0_sel:BYTE_0 src1_sel:DWORD
	v_and_b32_e32 v81, 0xffff, v80
	s_waitcnt lgkmcnt(0)
	v_cndmask_b32_e32 v62, 0, v62, vcc
	v_cmp_gt_u32_e32 vcc, v76, v9
	s_nop 1
	v_cndmask_b32_e64 v62, v62, 0, vcc
	v_cndmask_b32_e32 v7, v81, v7, vcc
	ds_bpermute_b32 v7, v78, v7
	v_add_u32_e32 v6, v62, v6
	ds_bpermute_b32 v62, v78, v6
	v_cndmask_b32_e32 v63, v80, v63, vcc
	v_and_b32_e32 v80, 1, v63
	v_cmp_eq_u32_e32 vcc, 1, v80
	s_waitcnt lgkmcnt(1)
	s_nop 0
	v_cndmask_b32_e64 v7, v7, 1, vcc
	v_cmp_eq_u16_sdwa vcc, v63, v61 src0_sel:BYTE_0 src1_sel:DWORD
	s_waitcnt lgkmcnt(0)
	s_nop 0
	v_cndmask_b32_e32 v62, 0, v62, vcc
	v_cmp_gt_u32_e32 vcc, v79, v9
	s_nop 1
	v_cndmask_b32_e64 v9, v62, 0, vcc
	v_cndmask_b32_e32 v7, v7, v63, vcc
	v_add_u32_e32 v6, v9, v6
	v_cmp_eq_u16_sdwa vcc, v75, v61 src0_sel:BYTE_0 src1_sel:DWORD
	v_and_b32_e32 v9, 1, v75
	v_and_b32_e32 v7, 1, v7
	v_cndmask_b32_e32 v6, 0, v6, vcc
	v_cmp_eq_u32_e32 vcc, 1, v9
	v_add_u32_e32 v6, v6, v77
	s_nop 0
	v_cndmask_b32_e64 v7, v7, 1, vcc
.LBB472_180:                            ; =>This Loop Header: Depth=1
                                        ;     Child Loop BB472_183 Depth 2
                                        ;       Child Loop BB472_184 Depth 3
	v_cmp_ne_u16_sdwa s[0:1], v8, v3 src0_sel:BYTE_0 src1_sel:DWORD
	v_mov_b32_e32 v75, v7
	v_mov_b32_e32 v77, v6
	v_cndmask_b32_e64 v7, 0, 1, s[0:1]
	;;#ASMSTART
	;;#ASMEND
	s_nop 0
	v_cmp_ne_u32_e32 vcc, 0, v7
	s_cmp_lg_u64 vcc, exec
	s_cbranch_scc1 .LBB472_187
; %bb.181:                              ;   in Loop: Header=BB472_180 Depth=1
	v_lshl_add_u64 v[62:63], v[60:61], 4, s[64:65]
	;;#ASMSTART
	global_load_dwordx4 v[6:9], v[62:63] off sc1	
s_waitcnt vmcnt(0)
	;;#ASMEND
	s_nop 0
	v_and_b32_e32 v9, 0xff0000, v6
	v_and_b32_e32 v80, 0xff000000, v6
	;; [unrolled: 1-line block ×3, first 2 shown]
	v_or_b32_sdwa v6, v6, v9 dst_sel:DWORD dst_unused:UNUSED_PAD src0_sel:WORD_0 src1_sel:DWORD
	v_or3_b32 v7, 0, 0, v7
	v_or3_b32 v6, v6, v80, 0
	v_cmp_eq_u16_sdwa s[60:61], v8, v61 src0_sel:BYTE_0 src1_sel:DWORD
	s_and_saveexec_b64 s[0:1], s[60:61]
	s_cbranch_execz .LBB472_179
; %bb.182:                              ;   in Loop: Header=BB472_180 Depth=1
	s_mov_b32 s69, 1
	s_mov_b64 s[60:61], 0
.LBB472_183:                            ;   Parent Loop BB472_180 Depth=1
                                        ; =>  This Loop Header: Depth=2
                                        ;       Child Loop BB472_184 Depth 3
	s_max_u32 s75, s69, 1
.LBB472_184:                            ;   Parent Loop BB472_180 Depth=1
                                        ;     Parent Loop BB472_183 Depth=2
                                        ; =>    This Inner Loop Header: Depth=3
	s_add_i32 s75, s75, -1
	s_cmp_eq_u32 s75, 0
	s_sleep 1
	s_cbranch_scc0 .LBB472_184
; %bb.185:                              ;   in Loop: Header=BB472_183 Depth=2
	s_cmp_lt_u32 s69, 32
	s_cselect_b64 s[76:77], -1, 0
	s_cmp_lg_u64 s[76:77], 0
	s_addc_u32 s69, s69, 0
	;;#ASMSTART
	global_load_dwordx4 v[6:9], v[62:63] off sc1	
s_waitcnt vmcnt(0)
	;;#ASMEND
	s_nop 0
	v_cmp_ne_u16_sdwa s[76:77], v8, v61 src0_sel:BYTE_0 src1_sel:DWORD
	s_or_b64 s[60:61], s[76:77], s[60:61]
	s_andn2_b64 exec, exec, s[60:61]
	s_cbranch_execnz .LBB472_183
; %bb.186:                              ;   in Loop: Header=BB472_180 Depth=1
	s_or_b64 exec, exec, s[60:61]
	v_and_b32_e32 v7, 0xff, v7
	s_branch .LBB472_179
.LBB472_187:                            ;   in Loop: Header=BB472_180 Depth=1
                                        ; implicit-def: $vgpr7
                                        ; implicit-def: $vgpr6
                                        ; implicit-def: $vgpr8
	s_cbranch_execz .LBB472_180
; %bb.188:
	s_and_saveexec_b64 s[0:1], s[50:51]
	s_cbranch_execz .LBB472_190
; %bb.189:
	s_and_b32 s50, s68, 0xff
	s_cmp_eq_u32 s50, 0
	s_cselect_b64 vcc, -1, 0
	s_bitcmp1_b32 s68, 0
	s_mov_b32 s51, 0
	s_cselect_b64 s[58:59], -1, 0
	s_add_i32 s50, s67, 64
	s_lshl_b64 s[50:51], s[50:51], 4
	v_cndmask_b32_e32 v3, 0, v77, vcc
	s_add_u32 s50, s64, s50
	v_add_u32_e32 v2, v3, v2
	v_and_b32_e32 v3, 1, v75
	s_addc_u32 s51, s65, s51
	v_mov_b32_e32 v5, 0
	v_cndmask_b32_e64 v3, v3, 1, s[58:59]
	v_mov_b32_e32 v4, 2
	v_mov_b64_e32 v[6:7], s[50:51]
	;;#ASMSTART
	global_store_dwordx4 v[6:7], v[2:5] off sc1	
s_waitcnt vmcnt(0)
	;;#ASMEND
.LBB472_190:
	s_or_b64 exec, exec, s[0:1]
	s_and_b64 exec, exec, s[52:53]
	s_cbranch_execz .LBB472_192
; %bb.191:
	v_mov_b32_e32 v2, 0
	ds_write_b32 v2, v77
	ds_write_b8 v2, v75 offset:4
.LBB472_192:
	s_or_b64 exec, exec, s[56:57]
	v_mov_b32_e32 v2, 0
	s_waitcnt lgkmcnt(0)
	s_barrier
	ds_read_b32 v3, v2
	v_cmp_eq_u16_sdwa vcc, v65, v2 src0_sel:BYTE_0 src1_sel:DWORD
	s_waitcnt lgkmcnt(0)
	s_nop 0
	v_cndmask_b32_e32 v4, 0, v3, vcc
	v_add_u32_e32 v4, v4, v64
	v_cndmask_b32_e64 v60, v4, v3, s[52:53]
	v_and_b32_e32 v3, 0xff, v13
	v_cmp_eq_u64_e32 vcc, 0, v[2:3]
	s_nop 1
	v_cndmask_b32_e32 v2, 0, v60, vcc
	v_add_u32_e32 v61, v2, v12
	v_cndmask_b32_e64 v2, 0, v61, s[6:7]
	v_add_u32_e32 v62, v2, v14
	v_cndmask_b32_e64 v2, 0, v62, s[8:9]
	;; [unrolled: 2-line block ×21, first 2 shown]
	v_add_u32_e32 v82, v2, v54
	s_branch .LBB472_213
.LBB472_193:
                                        ; implicit-def: $vgpr81
                                        ; implicit-def: $vgpr80
                                        ; implicit-def: $vgpr79
                                        ; implicit-def: $vgpr78
                                        ; implicit-def: $vgpr77
                                        ; implicit-def: $vgpr76
                                        ; implicit-def: $vgpr75
                                        ; implicit-def: $vgpr74
                                        ; implicit-def: $vgpr73
                                        ; implicit-def: $vgpr72
                                        ; implicit-def: $vgpr71
                                        ; implicit-def: $vgpr70
                                        ; implicit-def: $vgpr69
                                        ; implicit-def: $vgpr68
                                        ; implicit-def: $vgpr67
                                        ; implicit-def: $vgpr66
                                        ; implicit-def: $vgpr65
                                        ; implicit-def: $vgpr64
                                        ; implicit-def: $vgpr63
                                        ; implicit-def: $vgpr62
                                        ; implicit-def: $vgpr61
                                        ; implicit-def: $vgpr60
                                        ; implicit-def: $vgpr82
	s_cbranch_execz .LBB472_213
; %bb.194:
	s_cmp_lg_u64 s[72:73], 0
	s_cselect_b32 s7, s71, 0
	s_cselect_b32 s6, s70, 0
	s_mov_b32 s0, 0
	s_cmp_eq_u64 s[6:7], 0
	v_mov_b32_e32 v4, s74
	s_cbranch_scc1 .LBB472_196
; %bb.195:
	v_mov_b32_e32 v2, 0
	global_load_dword v4, v2, s[6:7]
.LBB472_196:
	s_mov_b32 s1, 1
	v_cmp_gt_u64_e32 vcc, s[0:1], v[14:15]
	v_cmp_gt_u64_e64 s[6:7], s[0:1], v[16:17]
	v_cmp_gt_u64_e64 s[8:9], s[0:1], v[18:19]
	v_cndmask_b32_e32 v2, 0, v12, vcc
	v_add_u32_e32 v2, v2, v14
	v_cndmask_b32_e64 v2, 0, v2, s[6:7]
	v_add_u32_e32 v2, v2, v16
	v_cndmask_b32_e64 v2, 0, v2, s[8:9]
	v_add_u32_e32 v2, v2, v18
	v_cmp_gt_u64_e64 s[10:11], s[0:1], v[20:21]
	v_cmp_gt_u64_e64 s[12:13], s[0:1], v[22:23]
	v_cmp_gt_u64_e64 s[14:15], s[0:1], v[24:25]
	v_cndmask_b32_e64 v2, 0, v2, s[10:11]
	v_add_u32_e32 v2, v2, v20
	v_cndmask_b32_e64 v2, 0, v2, s[12:13]
	v_add_u32_e32 v2, v2, v22
	v_cndmask_b32_e64 v2, 0, v2, s[14:15]
	v_add_u32_e32 v2, v2, v24
	v_cmp_gt_u64_e64 s[16:17], s[0:1], v[26:27]
	v_cmp_gt_u64_e64 s[18:19], s[0:1], v[28:29]
	v_cmp_gt_u64_e64 s[20:21], s[0:1], v[30:31]
	v_cndmask_b32_e64 v2, 0, v2, s[16:17]
	v_add_u32_e32 v2, v2, v26
	v_cndmask_b32_e64 v2, 0, v2, s[18:19]
	v_add_u32_e32 v2, v2, v28
	v_cndmask_b32_e64 v2, 0, v2, s[20:21]
	v_add_u32_e32 v2, v2, v30
	v_cmp_gt_u64_e64 s[22:23], s[0:1], v[32:33]
	v_cmp_gt_u64_e64 s[24:25], s[0:1], v[34:35]
	v_cmp_gt_u64_e64 s[26:27], s[0:1], v[36:37]
	v_cndmask_b32_e64 v2, 0, v2, s[22:23]
	v_add_u32_e32 v2, v2, v32
	v_cndmask_b32_e64 v2, 0, v2, s[24:25]
	v_add_u32_e32 v2, v2, v34
	v_cndmask_b32_e64 v2, 0, v2, s[26:27]
	v_add_u32_e32 v2, v2, v36
	v_cmp_gt_u64_e64 s[28:29], s[0:1], v[38:39]
	v_cmp_gt_u64_e64 s[30:31], s[0:1], v[40:41]
	v_cmp_gt_u64_e64 s[34:35], s[0:1], v[42:43]
	v_cndmask_b32_e64 v2, 0, v2, s[28:29]
	v_add_u32_e32 v2, v2, v38
	v_cndmask_b32_e64 v2, 0, v2, s[30:31]
	v_add_u32_e32 v2, v2, v40
	v_cndmask_b32_e64 v2, 0, v2, s[34:35]
	v_add_u32_e32 v2, v2, v42
	v_cmp_gt_u64_e64 s[36:37], s[0:1], v[44:45]
	v_cmp_gt_u64_e64 s[38:39], s[0:1], v[46:47]
	v_cmp_gt_u64_e64 s[40:41], s[0:1], v[48:49]
	v_cndmask_b32_e64 v2, 0, v2, s[36:37]
	v_add_u32_e32 v2, v2, v44
	v_cndmask_b32_e64 v2, 0, v2, s[38:39]
	v_add_u32_e32 v2, v2, v46
	v_cndmask_b32_e64 v2, 0, v2, s[40:41]
	v_add_u32_e32 v2, v2, v48
	v_cmp_gt_u64_e64 s[42:43], s[0:1], v[50:51]
	v_cmp_gt_u64_e64 s[44:45], s[0:1], v[52:53]
	v_cmp_gt_u64_e64 s[46:47], s[0:1], v[54:55]
	v_cndmask_b32_e64 v2, 0, v2, s[42:43]
	v_add_u32_e32 v2, v2, v50
	v_cndmask_b32_e64 v2, 0, v2, s[44:45]
	v_add_u32_e32 v2, v2, v52
	v_cndmask_b32_e64 v2, 0, v2, s[46:47]
	v_add_u32_e32 v2, v2, v54
	v_cmp_gt_u64_e64 s[0:1], s[0:1], v[58:59]
	v_add_lshl_u32 v1, v1, v0, 3
	s_nop 0
	v_cndmask_b32_e64 v2, 0, v2, s[0:1]
	v_add_u32_e32 v5, v2, v58
	v_or3_b32 v2, v57, v53, v51
	v_or3_b32 v2, v2, v49, v47
	;; [unrolled: 1-line block ×10, first 2 shown]
	v_and_b32_e32 v2, 1, v2
	v_cmp_eq_u32_e64 s[0:1], 1, v2
	s_nop 1
	v_cndmask_b32_e64 v6, v13, 1, s[0:1]
	v_cmp_gt_u32_e64 s[0:1], 64, v0
	ds_write_b32 v1, v5
	ds_write_b8 v1, v6 offset:4
	s_waitcnt lgkmcnt(0)
	s_barrier
	s_and_saveexec_b64 s[48:49], s[0:1]
	s_cbranch_execz .LBB472_208
; %bb.197:
	v_lshrrev_b32_e32 v1, 3, v0
	v_add_lshl_u32 v1, v1, v56, 3
	ds_read2_b32 v[8:9], v1 offset0:2 offset1:4
	ds_read_b64 v[2:3], v1
	ds_read_u8 v15, v1 offset:12
	ds_read_u8 v17, v1 offset:20
	ds_read_b32 v19, v1 offset:24
	ds_read_u8 v21, v1 offset:28
	v_mov_b32_e32 v23, 0
	s_waitcnt lgkmcnt(3)
	v_cmp_eq_u16_sdwa s[0:1], v15, v23 src0_sel:BYTE_0 src1_sel:DWORD
	v_and_b32_e32 v7, 1, v3
	s_nop 0
	v_cndmask_b32_e64 v25, 0, v2, s[0:1]
	v_add_u32_e32 v8, v25, v8
	s_waitcnt lgkmcnt(2)
	v_cmp_eq_u16_sdwa s[0:1], v17, v23 src0_sel:BYTE_0 src1_sel:DWORD
	s_nop 1
	v_cndmask_b32_e64 v8, 0, v8, s[0:1]
	v_add_u32_e32 v8, v8, v9
	s_waitcnt lgkmcnt(0)
	v_cmp_eq_u16_e64 s[0:1], 0, v21
	s_nop 1
	v_cndmask_b32_e64 v8, 0, v8, s[0:1]
	v_add_u32_e32 v9, v8, v19
	v_or_b32_e32 v8, v21, v17
	v_or_b32_e32 v8, v8, v15
	v_and_b32_e32 v8, 1, v8
	v_cmp_eq_u32_e64 s[0:1], 1, v8
	v_mbcnt_lo_u32_b32 v15, -1, 0
	v_and_b32_e32 v8, 0xffffff00, v3
	v_cndmask_b32_e64 v17, v7, 1, s[0:1]
	v_mbcnt_hi_u32_b32 v15, -1, v15
	v_and_b32_e32 v21, 15, v15
	v_or_b32_sdwa v19, v8, v17 dst_sel:DWORD dst_unused:UNUSED_PAD src0_sel:DWORD src1_sel:WORD_0
	v_mov_b32_dpp v23, v9 row_shr:1 row_mask:0xf bank_mask:0xf
	v_cmp_ne_u32_e64 s[0:1], 0, v21
	v_mov_b32_dpp v25, v19 row_shr:1 row_mask:0xf bank_mask:0xf
	s_and_saveexec_b64 s[50:51], s[0:1]
; %bb.198:
	v_and_b32_e32 v19, 1, v17
	v_and_b32_e32 v25, 1, v25
	v_cmp_eq_u32_e64 s[0:1], 1, v19
	s_nop 1
	v_cndmask_b32_e64 v25, v25, 1, s[0:1]
	v_cmp_eq_u16_e64 s[0:1], 0, v17
	v_or_b32_sdwa v19, v8, v25 dst_sel:DWORD dst_unused:UNUSED_PAD src0_sel:DWORD src1_sel:WORD_0
	s_nop 0
	v_cndmask_b32_e64 v17, 0, v23, s[0:1]
	v_add_u32_e32 v9, v17, v9
	v_mov_b32_e32 v17, v25
; %bb.199:
	s_or_b64 exec, exec, s[50:51]
	v_mov_b32_dpp v23, v9 row_shr:2 row_mask:0xf bank_mask:0xf
	v_mov_b32_dpp v25, v19 row_shr:2 row_mask:0xf bank_mask:0xf
	v_cmp_lt_u32_e64 s[0:1], 1, v21
	s_and_saveexec_b64 s[50:51], s[0:1]
; %bb.200:
	v_and_b32_e32 v19, 1, v17
	v_and_b32_e32 v25, 1, v25
	v_cmp_eq_u32_e64 s[0:1], 1, v19
	s_nop 1
	v_cndmask_b32_e64 v25, v25, 1, s[0:1]
	v_cmp_eq_u16_e64 s[0:1], 0, v17
	v_or_b32_sdwa v19, v8, v25 dst_sel:DWORD dst_unused:UNUSED_PAD src0_sel:DWORD src1_sel:WORD_0
	s_nop 0
	v_cndmask_b32_e64 v17, 0, v23, s[0:1]
	v_add_u32_e32 v9, v17, v9
	v_mov_b32_e32 v17, v25
; %bb.201:
	s_or_b64 exec, exec, s[50:51]
	v_mov_b32_dpp v23, v9 row_shr:4 row_mask:0xf bank_mask:0xf
	v_mov_b32_dpp v25, v19 row_shr:4 row_mask:0xf bank_mask:0xf
	v_cmp_lt_u32_e64 s[0:1], 3, v21
	;; [unrolled: 18-line block ×3, first 2 shown]
	s_and_saveexec_b64 s[50:51], s[0:1]
; %bb.204:
	v_and_b32_e32 v19, 1, v17
	v_and_b32_e32 v21, 1, v25
	v_cmp_eq_u32_e64 s[0:1], 1, v19
	s_nop 1
	v_cndmask_b32_e64 v21, v21, 1, s[0:1]
	v_cmp_eq_u16_e64 s[0:1], 0, v17
	v_or_b32_sdwa v19, v8, v21 dst_sel:DWORD dst_unused:UNUSED_PAD src0_sel:DWORD src1_sel:WORD_0
	s_nop 0
	v_cndmask_b32_e64 v17, 0, v23, s[0:1]
	v_add_u32_e32 v9, v17, v9
	v_mov_b32_e32 v17, v21
; %bb.205:
	s_or_b64 exec, exec, s[50:51]
	v_and_b32_e32 v25, 16, v15
	v_mov_b32_dpp v21, v9 row_bcast:15 row_mask:0xf bank_mask:0xf
	v_mov_b32_dpp v23, v19 row_bcast:15 row_mask:0xf bank_mask:0xf
	v_cmp_ne_u32_e64 s[0:1], 0, v25
	s_and_saveexec_b64 s[50:51], s[0:1]
; %bb.206:
	v_and_b32_e32 v19, 1, v17
	v_and_b32_e32 v23, 1, v23
	v_cmp_eq_u32_e64 s[0:1], 1, v19
	s_nop 1
	v_cndmask_b32_e64 v23, v23, 1, s[0:1]
	v_cmp_eq_u16_e64 s[0:1], 0, v17
	v_or_b32_sdwa v19, v8, v23 dst_sel:DWORD dst_unused:UNUSED_PAD src0_sel:DWORD src1_sel:WORD_0
	s_nop 0
	v_cndmask_b32_e64 v17, 0, v21, s[0:1]
	v_add_u32_e32 v9, v17, v9
	v_mov_b32_e32 v17, v23
; %bb.207:
	s_or_b64 exec, exec, s[50:51]
	v_mov_b32_dpp v19, v19 row_bcast:31 row_mask:0xf bank_mask:0xf
	v_and_b32_e32 v23, 1, v17
	v_and_b32_e32 v19, 1, v19
	v_cmp_eq_u32_e64 s[0:1], 1, v23
	v_mov_b32_e32 v23, 0
	v_cmp_eq_u16_sdwa s[50:51], v17, v23 src0_sel:BYTE_0 src1_sel:DWORD
	v_cndmask_b32_e64 v19, v19, 1, s[0:1]
	v_cmp_lt_u32_e64 s[0:1], 31, v15
	v_mov_b32_dpp v21, v9 row_bcast:31 row_mask:0xf bank_mask:0xf
	s_movk_i32 s56, 0xff
	v_cndmask_b32_e64 v17, v17, v19, s[0:1]
	s_and_b64 s[0:1], s[0:1], s[50:51]
	v_cndmask_b32_e64 v19, 0, v21, s[0:1]
	v_add_u32_e32 v9, v19, v9
	v_add_u32_e32 v19, -1, v15
	v_and_b32_e32 v21, 64, v15
	v_cmp_lt_i32_e64 s[0:1], v19, v21
	v_and_or_b32 v8, v17, s56, v8
	s_nop 0
	v_cndmask_b32_e64 v15, v19, v15, s[0:1]
	v_lshlrev_b32_e32 v15, 2, v15
	ds_bpermute_b32 v9, v15, v9
	ds_bpermute_b32 v8, v15, v8
	v_cmp_eq_u16_sdwa s[0:1], v3, v23 src0_sel:BYTE_0 src1_sel:DWORD
	; wave barrier
	s_waitcnt lgkmcnt(1)
	s_nop 0
	v_cndmask_b32_e64 v3, 0, v9, s[0:1]
	v_add_u32_e32 v2, v3, v2
	s_waitcnt lgkmcnt(0)
	v_and_b32_e32 v3, 1, v8
	v_cmp_eq_u32_e64 s[0:1], 1, v7
	v_cndmask_b32_e64 v5, v2, v5, s[52:53]
	s_nop 0
	v_cndmask_b32_e64 v3, v3, 1, s[0:1]
	v_cndmask_b32_e64 v6, v3, v6, s[52:53]
	ds_write_b32 v1, v5
	ds_write_b8 v1, v6 offset:4
	; wave barrier
	ds_read_u8 v7, v1 offset:12
	ds_read2_b32 v[2:3], v1 offset0:2 offset1:4
	ds_read_u8 v8, v1 offset:20
	ds_read_b32 v9, v1 offset:24
	ds_read_u8 v15, v1 offset:28
	s_waitcnt lgkmcnt(4)
	v_cmp_eq_u16_e64 s[0:1], 0, v7
	s_nop 1
	v_cndmask_b32_e64 v5, 0, v5, s[0:1]
	s_waitcnt lgkmcnt(3)
	v_add_u32_e32 v2, v5, v2
	v_and_b32_e32 v5, 1, v7
	v_cmp_eq_u32_e64 s[0:1], 1, v5
	s_nop 1
	v_cndmask_b32_e64 v5, v6, 1, s[0:1]
	s_waitcnt lgkmcnt(2)
	v_cmp_eq_u16_e64 s[0:1], 0, v8
	ds_write_b8 v1, v5 offset:12
	s_nop 0
	v_cndmask_b32_e64 v6, 0, v2, s[0:1]
	v_add_u32_e32 v3, v6, v3
	v_and_b32_e32 v6, 1, v8
	v_cmp_eq_u32_e64 s[0:1], 1, v6
	s_nop 1
	v_cndmask_b32_e64 v5, v5, 1, s[0:1]
	s_waitcnt lgkmcnt(1)
	v_cmp_eq_u16_e64 s[0:1], 0, v15
	ds_write2_b32 v1, v2, v3 offset0:2 offset1:4
	ds_write_b8 v1, v5 offset:20
	v_cndmask_b32_e64 v2, 0, v3, s[0:1]
	v_and_b32_e32 v3, 1, v15
	v_add_u32_e32 v2, v2, v9
	v_cmp_eq_u32_e64 s[0:1], 1, v3
	s_nop 1
	v_cndmask_b32_e64 v3, v5, 1, s[0:1]
	ds_write_b32 v1, v2 offset:24
	ds_write_b8 v1, v3 offset:28
.LBB472_208:
	s_or_b64 exec, exec, s[48:49]
	s_waitcnt vmcnt(0)
	v_mov_b32_e32 v60, v4
	s_waitcnt lgkmcnt(0)
	s_barrier
	s_and_saveexec_b64 s[48:49], s[4:5]
	s_cbranch_execz .LBB472_210
; %bb.209:
	v_add_u32_e32 v1, -1, v0
	v_lshrrev_b32_e32 v2, 5, v1
	v_add_lshl_u32 v1, v2, v1, 3
	ds_read_u8 v2, v1 offset:4
	ds_read_b32 v1, v1
	s_waitcnt lgkmcnt(1)
	v_cmp_eq_u16_e64 s[0:1], 0, v2
	s_nop 1
	v_cndmask_b32_e64 v2, 0, v4, s[0:1]
	s_waitcnt lgkmcnt(0)
	v_add_u32_e32 v60, v2, v1
.LBB472_210:
	s_or_b64 exec, exec, s[48:49]
	v_and_b32_e32 v3, 0xff, v13
	v_mov_b32_e32 v2, 0
	v_cmp_eq_u64_e64 s[0:1], 0, v[2:3]
	s_nop 1
	v_cndmask_b32_e64 v1, 0, v60, s[0:1]
	v_add_u32_e32 v61, v1, v12
	v_cndmask_b32_e32 v1, 0, v61, vcc
	v_add_u32_e32 v62, v1, v14
	v_cndmask_b32_e64 v1, 0, v62, s[6:7]
	v_add_u32_e32 v63, v1, v16
	v_cndmask_b32_e64 v1, 0, v63, s[8:9]
	;; [unrolled: 2-line block ×20, first 2 shown]
	s_and_saveexec_b64 s[0:1], s[52:53]
	s_cbranch_execz .LBB472_212
; %bb.211:
	ds_read_u8 v3, v2 offset:2100
	ds_read_b32 v5, v2 offset:2096
	s_add_u32 s4, s64, 0x400
	s_addc_u32 s5, s65, 0
	v_mov_b32_e32 v6, 2
	s_waitcnt lgkmcnt(1)
	v_cmp_eq_u16_e32 vcc, 0, v3
	v_mov_b32_e32 v7, v2
	s_nop 0
	v_cndmask_b32_e32 v4, 0, v4, vcc
	s_waitcnt lgkmcnt(0)
	v_add_u32_e32 v4, v4, v5
	v_and_b32_e32 v5, 0xffff, v3
	v_mov_b64_e32 v[2:3], s[4:5]
	;;#ASMSTART
	global_store_dwordx4 v[2:3], v[4:7] off sc1	
s_waitcnt vmcnt(0)
	;;#ASMEND
.LBB472_212:
	s_or_b64 exec, exec, s[0:1]
	v_add_u32_e32 v82, v1, v54
.LBB472_213:
	s_add_u32 s0, s62, s54
	s_addc_u32 s1, s63, s55
	v_lshl_add_u64 v[2:3], s[0:1], 0, v[10:11]
	s_and_b64 vcc, exec, s[2:3]
	s_cbranch_vccz .LBB472_259
; %bb.214:
	s_movk_i32 s0, 0x5c
	v_mul_i32_i24_e32 v28, 0xffffffa8, v0
	v_mul_u32_u24_e32 v1, 0x5c, v0
	v_mad_u32_u24 v4, v0, s0, v28
	s_barrier
	ds_write2_b32 v1, v60, v61 offset1:1
	ds_write2_b32 v1, v62, v63 offset0:2 offset1:3
	ds_write2_b32 v1, v64, v65 offset0:4 offset1:5
	;; [unrolled: 1-line block ×10, first 2 shown]
	ds_write_b32 v1, v82 offset:88
	s_waitcnt lgkmcnt(0)
	s_barrier
	ds_read2st64_b32 v[26:27], v4 offset0:4 offset1:8
	ds_read2st64_b32 v[24:25], v4 offset0:12 offset1:16
	;; [unrolled: 1-line block ×11, first 2 shown]
	s_add_i32 s33, s33, s66
	v_mov_b32_e32 v57, 0
	v_lshl_add_u64 v[6:7], v[2:3], 0, v[56:57]
	v_cmp_gt_u32_e32 vcc, s33, v0
	s_and_saveexec_b64 s[0:1], vcc
	s_cbranch_execz .LBB472_216
; %bb.215:
	v_add_u32_e32 v1, v1, v28
	ds_read_b32 v1, v1
	s_waitcnt lgkmcnt(0)
	flat_store_dword v[6:7], v1
.LBB472_216:
	s_or_b64 exec, exec, s[0:1]
	v_or_b32_e32 v1, 0x100, v0
	v_cmp_gt_u32_e32 vcc, s33, v1
	s_and_saveexec_b64 s[0:1], vcc
	s_cbranch_execz .LBB472_218
; %bb.217:
	s_waitcnt lgkmcnt(0)
	flat_store_dword v[6:7], v26 offset:1024
.LBB472_218:
	s_or_b64 exec, exec, s[0:1]
	v_or_b32_e32 v1, 0x200, v0
	v_cmp_gt_u32_e32 vcc, s33, v1
	s_and_saveexec_b64 s[0:1], vcc
	s_cbranch_execz .LBB472_220
; %bb.219:
	s_waitcnt lgkmcnt(0)
	flat_store_dword v[6:7], v27 offset:2048
.LBB472_220:
	;; [unrolled: 9-line block ×3, first 2 shown]
	s_or_b64 exec, exec, s[0:1]
	v_or_b32_e32 v1, 0x400, v0
	v_cmp_gt_u32_e32 vcc, s33, v1
	s_and_saveexec_b64 s[0:1], vcc
	s_cbranch_execz .LBB472_224
; %bb.223:
	s_waitcnt lgkmcnt(0)
	v_add_co_u32_e32 v26, vcc, 0x1000, v6
	s_nop 1
	v_addc_co_u32_e32 v27, vcc, 0, v7, vcc
	flat_store_dword v[26:27], v25
.LBB472_224:
	s_or_b64 exec, exec, s[0:1]
	v_or_b32_e32 v1, 0x500, v0
	v_cmp_gt_u32_e32 vcc, s33, v1
	s_and_saveexec_b64 s[0:1], vcc
	s_cbranch_execz .LBB472_226
; %bb.225:
	s_waitcnt lgkmcnt(0)
	v_add_co_u32_e32 v24, vcc, 0x1000, v6
	s_nop 1
	v_addc_co_u32_e32 v25, vcc, 0, v7, vcc
	flat_store_dword v[24:25], v22 offset:1024
.LBB472_226:
	s_or_b64 exec, exec, s[0:1]
	v_or_b32_e32 v1, 0x600, v0
	v_cmp_gt_u32_e32 vcc, s33, v1
	s_and_saveexec_b64 s[0:1], vcc
	s_cbranch_execz .LBB472_228
; %bb.227:
	s_waitcnt lgkmcnt(0)
	v_add_co_u32_e32 v24, vcc, 0x1000, v6
	s_nop 1
	v_addc_co_u32_e32 v25, vcc, 0, v7, vcc
	flat_store_dword v[24:25], v23 offset:2048
.LBB472_228:
	s_or_b64 exec, exec, s[0:1]
	v_or_b32_e32 v1, 0x700, v0
	v_cmp_gt_u32_e32 vcc, s33, v1
	s_and_saveexec_b64 s[0:1], vcc
	s_cbranch_execz .LBB472_230
; %bb.229:
	s_waitcnt lgkmcnt(0)
	v_add_co_u32_e32 v22, vcc, 0x1000, v6
	s_nop 1
	v_addc_co_u32_e32 v23, vcc, 0, v7, vcc
	flat_store_dword v[22:23], v20 offset:3072
.LBB472_230:
	s_or_b64 exec, exec, s[0:1]
	v_or_b32_e32 v1, 0x800, v0
	v_cmp_gt_u32_e32 vcc, s33, v1
	s_and_saveexec_b64 s[0:1], vcc
	s_cbranch_execz .LBB472_232
; %bb.231:
	s_waitcnt lgkmcnt(0)
	v_add_co_u32_e32 v22, vcc, 0x2000, v6
	s_nop 1
	v_addc_co_u32_e32 v23, vcc, 0, v7, vcc
	flat_store_dword v[22:23], v21
.LBB472_232:
	s_or_b64 exec, exec, s[0:1]
	v_or_b32_e32 v1, 0x900, v0
	v_cmp_gt_u32_e32 vcc, s33, v1
	s_and_saveexec_b64 s[0:1], vcc
	s_cbranch_execz .LBB472_234
; %bb.233:
	s_waitcnt lgkmcnt(0)
	v_add_co_u32_e32 v20, vcc, 0x2000, v6
	s_nop 1
	v_addc_co_u32_e32 v21, vcc, 0, v7, vcc
	flat_store_dword v[20:21], v18 offset:1024
.LBB472_234:
	s_or_b64 exec, exec, s[0:1]
	v_or_b32_e32 v1, 0xa00, v0
	v_cmp_gt_u32_e32 vcc, s33, v1
	s_and_saveexec_b64 s[0:1], vcc
	s_cbranch_execz .LBB472_236
; %bb.235:
	s_waitcnt lgkmcnt(0)
	v_add_co_u32_e32 v20, vcc, 0x2000, v6
	s_nop 1
	v_addc_co_u32_e32 v21, vcc, 0, v7, vcc
	flat_store_dword v[20:21], v19 offset:2048
.LBB472_236:
	s_or_b64 exec, exec, s[0:1]
	v_or_b32_e32 v1, 0xb00, v0
	v_cmp_gt_u32_e32 vcc, s33, v1
	s_and_saveexec_b64 s[0:1], vcc
	s_cbranch_execz .LBB472_238
; %bb.237:
	s_waitcnt lgkmcnt(0)
	v_add_co_u32_e32 v18, vcc, 0x2000, v6
	s_nop 1
	v_addc_co_u32_e32 v19, vcc, 0, v7, vcc
	flat_store_dword v[18:19], v16 offset:3072
.LBB472_238:
	;; [unrolled: 48-line block ×4, first 2 shown]
	s_or_b64 exec, exec, s[0:1]
	v_or_b32_e32 v1, 0x1400, v0
	v_cmp_gt_u32_e32 vcc, s33, v1
	s_and_saveexec_b64 s[0:1], vcc
	s_cbranch_execz .LBB472_256
; %bb.255:
	s_waitcnt lgkmcnt(0)
	v_add_co_u32_e32 v10, vcc, 0x5000, v6
	s_nop 1
	v_addc_co_u32_e32 v11, vcc, 0, v7, vcc
	flat_store_dword v[10:11], v9
.LBB472_256:
	s_or_b64 exec, exec, s[0:1]
	v_or_b32_e32 v1, 0x1500, v0
	v_cmp_gt_u32_e32 vcc, s33, v1
	s_and_saveexec_b64 s[0:1], vcc
	s_cbranch_execz .LBB472_258
; %bb.257:
	v_add_co_u32_e32 v6, vcc, 0x5000, v6
	s_nop 1
	v_addc_co_u32_e32 v7, vcc, 0, v7, vcc
	s_waitcnt lgkmcnt(0)
	flat_store_dword v[6:7], v4 offset:1024
.LBB472_258:
	s_or_b64 exec, exec, s[0:1]
	s_waitcnt lgkmcnt(0)
	v_or_b32_e32 v4, 0x1600, v0
	v_mov_b32_e32 v1, v57
	v_cmp_gt_u32_e64 s[0:1], s33, v4
	s_branch .LBB472_261
.LBB472_259:
	s_mov_b64 s[0:1], 0
                                        ; implicit-def: $vgpr5
	s_cbranch_execz .LBB472_261
; %bb.260:
	v_mul_u32_u24_e32 v1, 0x5c, v0
	s_barrier
	s_movk_i32 s2, 0x5c
	ds_write2_b32 v1, v60, v61 offset1:1
	ds_write2_b32 v1, v62, v63 offset0:2 offset1:3
	ds_write2_b32 v1, v64, v65 offset0:4 offset1:5
	;; [unrolled: 1-line block ×10, first 2 shown]
	ds_write_b32 v1, v82 offset:88
	v_mov_b32_e32 v1, 0
	v_mul_i32_i24_e32 v4, 0xffffffa8, v0
	v_mad_u32_u24 v4, v0, s2, v4
	v_mov_b32_e32 v57, v1
	s_waitcnt lgkmcnt(0)
	s_barrier
	ds_read2st64_b32 v[6:7], v4 offset1:4
	ds_read2st64_b32 v[8:9], v4 offset0:8 offset1:12
	ds_read2st64_b32 v[10:11], v4 offset0:16 offset1:20
	;; [unrolled: 1-line block ×10, first 2 shown]
	ds_read_b32 v5, v4 offset:22528
	v_lshl_add_u64 v[28:29], v[2:3], 0, v[56:57]
	s_movk_i32 s2, 0x1000
	s_waitcnt lgkmcnt(0)
	flat_store_dword v[28:29], v6
	flat_store_dword v[28:29], v7 offset:1024
	flat_store_dword v[28:29], v8 offset:2048
	;; [unrolled: 1-line block ×3, first 2 shown]
	v_add_co_u32_e32 v6, vcc, s2, v28
	s_movk_i32 s2, 0x2000
	s_nop 0
	v_addc_co_u32_e32 v7, vcc, 0, v29, vcc
	flat_store_dword v[6:7], v10
	flat_store_dword v[6:7], v11 offset:1024
	flat_store_dword v[6:7], v12 offset:2048
	;; [unrolled: 1-line block ×3, first 2 shown]
	v_add_co_u32_e32 v6, vcc, s2, v28
	s_movk_i32 s2, 0x3000
	s_nop 0
	v_addc_co_u32_e32 v7, vcc, 0, v29, vcc
	flat_store_dword v[6:7], v14
	flat_store_dword v[6:7], v15 offset:1024
	flat_store_dword v[6:7], v16 offset:2048
	;; [unrolled: 1-line block ×3, first 2 shown]
	v_add_co_u32_e32 v6, vcc, s2, v28
	s_or_b64 s[0:1], s[0:1], exec
	s_nop 0
	v_addc_co_u32_e32 v7, vcc, 0, v29, vcc
	flat_store_dword v[6:7], v18
	flat_store_dword v[6:7], v19 offset:1024
	flat_store_dword v[6:7], v20 offset:2048
	;; [unrolled: 1-line block ×3, first 2 shown]
	v_add_co_u32_e32 v6, vcc, 0x4000, v28
	s_nop 1
	v_addc_co_u32_e32 v7, vcc, 0, v29, vcc
	flat_store_dword v[6:7], v22
	flat_store_dword v[6:7], v23 offset:1024
	flat_store_dword v[6:7], v24 offset:2048
	;; [unrolled: 1-line block ×3, first 2 shown]
	v_add_co_u32_e32 v6, vcc, 0x5000, v28
	s_nop 1
	v_addc_co_u32_e32 v7, vcc, 0, v29, vcc
	flat_store_dword v[6:7], v26
	flat_store_dword v[6:7], v27 offset:1024
.LBB472_261:
	s_and_saveexec_b64 s[2:3], s[0:1]
	s_cbranch_execz .LBB472_263
; %bb.262:
	v_lshl_add_u64 v[0:1], v[0:1], 2, v[2:3]
	v_add_co_u32_e32 v0, vcc, 0x5000, v0
	s_nop 1
	v_addc_co_u32_e32 v1, vcc, 0, v1, vcc
	flat_store_dword v[0:1], v5 offset:2048
	s_endpgm
.LBB472_263:
	s_endpgm
	.section	.rodata,"a",@progbits
	.p2align	6, 0x0
	.amdhsa_kernel _ZN7rocprim17ROCPRIM_400000_NS6detail17trampoline_kernelINS0_14default_configENS1_27scan_by_key_config_selectorIiiEEZZNS1_16scan_by_key_implILNS1_25lookback_scan_determinismE0ELb1ES3_N6thrust23THRUST_200600_302600_NS6detail15normal_iteratorINS9_10device_ptrIiEEEESE_SE_iNS9_4plusIvEENS9_8equal_toIvEEiEE10hipError_tPvRmT2_T3_T4_T5_mT6_T7_P12ihipStream_tbENKUlT_T0_E_clISt17integral_constantIbLb1EESZ_EEDaSU_SV_EUlSU_E_NS1_11comp_targetILNS1_3genE5ELNS1_11target_archE942ELNS1_3gpuE9ELNS1_3repE0EEENS1_30default_config_static_selectorELNS0_4arch9wavefront6targetE1EEEvT1_
		.amdhsa_group_segment_fixed_size 25600
		.amdhsa_private_segment_fixed_size 0
		.amdhsa_kernarg_size 112
		.amdhsa_user_sgpr_count 2
		.amdhsa_user_sgpr_dispatch_ptr 0
		.amdhsa_user_sgpr_queue_ptr 0
		.amdhsa_user_sgpr_kernarg_segment_ptr 1
		.amdhsa_user_sgpr_dispatch_id 0
		.amdhsa_user_sgpr_kernarg_preload_length 0
		.amdhsa_user_sgpr_kernarg_preload_offset 0
		.amdhsa_user_sgpr_private_segment_size 0
		.amdhsa_uses_dynamic_stack 0
		.amdhsa_enable_private_segment 0
		.amdhsa_system_sgpr_workgroup_id_x 1
		.amdhsa_system_sgpr_workgroup_id_y 0
		.amdhsa_system_sgpr_workgroup_id_z 0
		.amdhsa_system_sgpr_workgroup_info 0
		.amdhsa_system_vgpr_workitem_id 0
		.amdhsa_next_free_vgpr 83
		.amdhsa_next_free_sgpr 80
		.amdhsa_accum_offset 84
		.amdhsa_reserve_vcc 1
		.amdhsa_float_round_mode_32 0
		.amdhsa_float_round_mode_16_64 0
		.amdhsa_float_denorm_mode_32 3
		.amdhsa_float_denorm_mode_16_64 3
		.amdhsa_dx10_clamp 1
		.amdhsa_ieee_mode 1
		.amdhsa_fp16_overflow 0
		.amdhsa_tg_split 0
		.amdhsa_exception_fp_ieee_invalid_op 0
		.amdhsa_exception_fp_denorm_src 0
		.amdhsa_exception_fp_ieee_div_zero 0
		.amdhsa_exception_fp_ieee_overflow 0
		.amdhsa_exception_fp_ieee_underflow 0
		.amdhsa_exception_fp_ieee_inexact 0
		.amdhsa_exception_int_div_zero 0
	.end_amdhsa_kernel
	.section	.text._ZN7rocprim17ROCPRIM_400000_NS6detail17trampoline_kernelINS0_14default_configENS1_27scan_by_key_config_selectorIiiEEZZNS1_16scan_by_key_implILNS1_25lookback_scan_determinismE0ELb1ES3_N6thrust23THRUST_200600_302600_NS6detail15normal_iteratorINS9_10device_ptrIiEEEESE_SE_iNS9_4plusIvEENS9_8equal_toIvEEiEE10hipError_tPvRmT2_T3_T4_T5_mT6_T7_P12ihipStream_tbENKUlT_T0_E_clISt17integral_constantIbLb1EESZ_EEDaSU_SV_EUlSU_E_NS1_11comp_targetILNS1_3genE5ELNS1_11target_archE942ELNS1_3gpuE9ELNS1_3repE0EEENS1_30default_config_static_selectorELNS0_4arch9wavefront6targetE1EEEvT1_,"axG",@progbits,_ZN7rocprim17ROCPRIM_400000_NS6detail17trampoline_kernelINS0_14default_configENS1_27scan_by_key_config_selectorIiiEEZZNS1_16scan_by_key_implILNS1_25lookback_scan_determinismE0ELb1ES3_N6thrust23THRUST_200600_302600_NS6detail15normal_iteratorINS9_10device_ptrIiEEEESE_SE_iNS9_4plusIvEENS9_8equal_toIvEEiEE10hipError_tPvRmT2_T3_T4_T5_mT6_T7_P12ihipStream_tbENKUlT_T0_E_clISt17integral_constantIbLb1EESZ_EEDaSU_SV_EUlSU_E_NS1_11comp_targetILNS1_3genE5ELNS1_11target_archE942ELNS1_3gpuE9ELNS1_3repE0EEENS1_30default_config_static_selectorELNS0_4arch9wavefront6targetE1EEEvT1_,comdat
.Lfunc_end472:
	.size	_ZN7rocprim17ROCPRIM_400000_NS6detail17trampoline_kernelINS0_14default_configENS1_27scan_by_key_config_selectorIiiEEZZNS1_16scan_by_key_implILNS1_25lookback_scan_determinismE0ELb1ES3_N6thrust23THRUST_200600_302600_NS6detail15normal_iteratorINS9_10device_ptrIiEEEESE_SE_iNS9_4plusIvEENS9_8equal_toIvEEiEE10hipError_tPvRmT2_T3_T4_T5_mT6_T7_P12ihipStream_tbENKUlT_T0_E_clISt17integral_constantIbLb1EESZ_EEDaSU_SV_EUlSU_E_NS1_11comp_targetILNS1_3genE5ELNS1_11target_archE942ELNS1_3gpuE9ELNS1_3repE0EEENS1_30default_config_static_selectorELNS0_4arch9wavefront6targetE1EEEvT1_, .Lfunc_end472-_ZN7rocprim17ROCPRIM_400000_NS6detail17trampoline_kernelINS0_14default_configENS1_27scan_by_key_config_selectorIiiEEZZNS1_16scan_by_key_implILNS1_25lookback_scan_determinismE0ELb1ES3_N6thrust23THRUST_200600_302600_NS6detail15normal_iteratorINS9_10device_ptrIiEEEESE_SE_iNS9_4plusIvEENS9_8equal_toIvEEiEE10hipError_tPvRmT2_T3_T4_T5_mT6_T7_P12ihipStream_tbENKUlT_T0_E_clISt17integral_constantIbLb1EESZ_EEDaSU_SV_EUlSU_E_NS1_11comp_targetILNS1_3genE5ELNS1_11target_archE942ELNS1_3gpuE9ELNS1_3repE0EEENS1_30default_config_static_selectorELNS0_4arch9wavefront6targetE1EEEvT1_
                                        ; -- End function
	.section	.AMDGPU.csdata,"",@progbits
; Kernel info:
; codeLenInByte = 15924
; NumSgprs: 86
; NumVgprs: 83
; NumAgprs: 0
; TotalNumVgprs: 83
; ScratchSize: 0
; MemoryBound: 0
; FloatMode: 240
; IeeeMode: 1
; LDSByteSize: 25600 bytes/workgroup (compile time only)
; SGPRBlocks: 10
; VGPRBlocks: 10
; NumSGPRsForWavesPerEU: 86
; NumVGPRsForWavesPerEU: 83
; AccumOffset: 84
; Occupancy: 2
; WaveLimiterHint : 1
; COMPUTE_PGM_RSRC2:SCRATCH_EN: 0
; COMPUTE_PGM_RSRC2:USER_SGPR: 2
; COMPUTE_PGM_RSRC2:TRAP_HANDLER: 0
; COMPUTE_PGM_RSRC2:TGID_X_EN: 1
; COMPUTE_PGM_RSRC2:TGID_Y_EN: 0
; COMPUTE_PGM_RSRC2:TGID_Z_EN: 0
; COMPUTE_PGM_RSRC2:TIDIG_COMP_CNT: 0
; COMPUTE_PGM_RSRC3_GFX90A:ACCUM_OFFSET: 20
; COMPUTE_PGM_RSRC3_GFX90A:TG_SPLIT: 0
	.section	.text._ZN7rocprim17ROCPRIM_400000_NS6detail17trampoline_kernelINS0_14default_configENS1_27scan_by_key_config_selectorIiiEEZZNS1_16scan_by_key_implILNS1_25lookback_scan_determinismE0ELb1ES3_N6thrust23THRUST_200600_302600_NS6detail15normal_iteratorINS9_10device_ptrIiEEEESE_SE_iNS9_4plusIvEENS9_8equal_toIvEEiEE10hipError_tPvRmT2_T3_T4_T5_mT6_T7_P12ihipStream_tbENKUlT_T0_E_clISt17integral_constantIbLb1EESZ_EEDaSU_SV_EUlSU_E_NS1_11comp_targetILNS1_3genE4ELNS1_11target_archE910ELNS1_3gpuE8ELNS1_3repE0EEENS1_30default_config_static_selectorELNS0_4arch9wavefront6targetE1EEEvT1_,"axG",@progbits,_ZN7rocprim17ROCPRIM_400000_NS6detail17trampoline_kernelINS0_14default_configENS1_27scan_by_key_config_selectorIiiEEZZNS1_16scan_by_key_implILNS1_25lookback_scan_determinismE0ELb1ES3_N6thrust23THRUST_200600_302600_NS6detail15normal_iteratorINS9_10device_ptrIiEEEESE_SE_iNS9_4plusIvEENS9_8equal_toIvEEiEE10hipError_tPvRmT2_T3_T4_T5_mT6_T7_P12ihipStream_tbENKUlT_T0_E_clISt17integral_constantIbLb1EESZ_EEDaSU_SV_EUlSU_E_NS1_11comp_targetILNS1_3genE4ELNS1_11target_archE910ELNS1_3gpuE8ELNS1_3repE0EEENS1_30default_config_static_selectorELNS0_4arch9wavefront6targetE1EEEvT1_,comdat
	.protected	_ZN7rocprim17ROCPRIM_400000_NS6detail17trampoline_kernelINS0_14default_configENS1_27scan_by_key_config_selectorIiiEEZZNS1_16scan_by_key_implILNS1_25lookback_scan_determinismE0ELb1ES3_N6thrust23THRUST_200600_302600_NS6detail15normal_iteratorINS9_10device_ptrIiEEEESE_SE_iNS9_4plusIvEENS9_8equal_toIvEEiEE10hipError_tPvRmT2_T3_T4_T5_mT6_T7_P12ihipStream_tbENKUlT_T0_E_clISt17integral_constantIbLb1EESZ_EEDaSU_SV_EUlSU_E_NS1_11comp_targetILNS1_3genE4ELNS1_11target_archE910ELNS1_3gpuE8ELNS1_3repE0EEENS1_30default_config_static_selectorELNS0_4arch9wavefront6targetE1EEEvT1_ ; -- Begin function _ZN7rocprim17ROCPRIM_400000_NS6detail17trampoline_kernelINS0_14default_configENS1_27scan_by_key_config_selectorIiiEEZZNS1_16scan_by_key_implILNS1_25lookback_scan_determinismE0ELb1ES3_N6thrust23THRUST_200600_302600_NS6detail15normal_iteratorINS9_10device_ptrIiEEEESE_SE_iNS9_4plusIvEENS9_8equal_toIvEEiEE10hipError_tPvRmT2_T3_T4_T5_mT6_T7_P12ihipStream_tbENKUlT_T0_E_clISt17integral_constantIbLb1EESZ_EEDaSU_SV_EUlSU_E_NS1_11comp_targetILNS1_3genE4ELNS1_11target_archE910ELNS1_3gpuE8ELNS1_3repE0EEENS1_30default_config_static_selectorELNS0_4arch9wavefront6targetE1EEEvT1_
	.globl	_ZN7rocprim17ROCPRIM_400000_NS6detail17trampoline_kernelINS0_14default_configENS1_27scan_by_key_config_selectorIiiEEZZNS1_16scan_by_key_implILNS1_25lookback_scan_determinismE0ELb1ES3_N6thrust23THRUST_200600_302600_NS6detail15normal_iteratorINS9_10device_ptrIiEEEESE_SE_iNS9_4plusIvEENS9_8equal_toIvEEiEE10hipError_tPvRmT2_T3_T4_T5_mT6_T7_P12ihipStream_tbENKUlT_T0_E_clISt17integral_constantIbLb1EESZ_EEDaSU_SV_EUlSU_E_NS1_11comp_targetILNS1_3genE4ELNS1_11target_archE910ELNS1_3gpuE8ELNS1_3repE0EEENS1_30default_config_static_selectorELNS0_4arch9wavefront6targetE1EEEvT1_
	.p2align	8
	.type	_ZN7rocprim17ROCPRIM_400000_NS6detail17trampoline_kernelINS0_14default_configENS1_27scan_by_key_config_selectorIiiEEZZNS1_16scan_by_key_implILNS1_25lookback_scan_determinismE0ELb1ES3_N6thrust23THRUST_200600_302600_NS6detail15normal_iteratorINS9_10device_ptrIiEEEESE_SE_iNS9_4plusIvEENS9_8equal_toIvEEiEE10hipError_tPvRmT2_T3_T4_T5_mT6_T7_P12ihipStream_tbENKUlT_T0_E_clISt17integral_constantIbLb1EESZ_EEDaSU_SV_EUlSU_E_NS1_11comp_targetILNS1_3genE4ELNS1_11target_archE910ELNS1_3gpuE8ELNS1_3repE0EEENS1_30default_config_static_selectorELNS0_4arch9wavefront6targetE1EEEvT1_,@function
_ZN7rocprim17ROCPRIM_400000_NS6detail17trampoline_kernelINS0_14default_configENS1_27scan_by_key_config_selectorIiiEEZZNS1_16scan_by_key_implILNS1_25lookback_scan_determinismE0ELb1ES3_N6thrust23THRUST_200600_302600_NS6detail15normal_iteratorINS9_10device_ptrIiEEEESE_SE_iNS9_4plusIvEENS9_8equal_toIvEEiEE10hipError_tPvRmT2_T3_T4_T5_mT6_T7_P12ihipStream_tbENKUlT_T0_E_clISt17integral_constantIbLb1EESZ_EEDaSU_SV_EUlSU_E_NS1_11comp_targetILNS1_3genE4ELNS1_11target_archE910ELNS1_3gpuE8ELNS1_3repE0EEENS1_30default_config_static_selectorELNS0_4arch9wavefront6targetE1EEEvT1_: ; @_ZN7rocprim17ROCPRIM_400000_NS6detail17trampoline_kernelINS0_14default_configENS1_27scan_by_key_config_selectorIiiEEZZNS1_16scan_by_key_implILNS1_25lookback_scan_determinismE0ELb1ES3_N6thrust23THRUST_200600_302600_NS6detail15normal_iteratorINS9_10device_ptrIiEEEESE_SE_iNS9_4plusIvEENS9_8equal_toIvEEiEE10hipError_tPvRmT2_T3_T4_T5_mT6_T7_P12ihipStream_tbENKUlT_T0_E_clISt17integral_constantIbLb1EESZ_EEDaSU_SV_EUlSU_E_NS1_11comp_targetILNS1_3genE4ELNS1_11target_archE910ELNS1_3gpuE8ELNS1_3repE0EEENS1_30default_config_static_selectorELNS0_4arch9wavefront6targetE1EEEvT1_
; %bb.0:
	.section	.rodata,"a",@progbits
	.p2align	6, 0x0
	.amdhsa_kernel _ZN7rocprim17ROCPRIM_400000_NS6detail17trampoline_kernelINS0_14default_configENS1_27scan_by_key_config_selectorIiiEEZZNS1_16scan_by_key_implILNS1_25lookback_scan_determinismE0ELb1ES3_N6thrust23THRUST_200600_302600_NS6detail15normal_iteratorINS9_10device_ptrIiEEEESE_SE_iNS9_4plusIvEENS9_8equal_toIvEEiEE10hipError_tPvRmT2_T3_T4_T5_mT6_T7_P12ihipStream_tbENKUlT_T0_E_clISt17integral_constantIbLb1EESZ_EEDaSU_SV_EUlSU_E_NS1_11comp_targetILNS1_3genE4ELNS1_11target_archE910ELNS1_3gpuE8ELNS1_3repE0EEENS1_30default_config_static_selectorELNS0_4arch9wavefront6targetE1EEEvT1_
		.amdhsa_group_segment_fixed_size 0
		.amdhsa_private_segment_fixed_size 0
		.amdhsa_kernarg_size 112
		.amdhsa_user_sgpr_count 2
		.amdhsa_user_sgpr_dispatch_ptr 0
		.amdhsa_user_sgpr_queue_ptr 0
		.amdhsa_user_sgpr_kernarg_segment_ptr 1
		.amdhsa_user_sgpr_dispatch_id 0
		.amdhsa_user_sgpr_kernarg_preload_length 0
		.amdhsa_user_sgpr_kernarg_preload_offset 0
		.amdhsa_user_sgpr_private_segment_size 0
		.amdhsa_uses_dynamic_stack 0
		.amdhsa_enable_private_segment 0
		.amdhsa_system_sgpr_workgroup_id_x 1
		.amdhsa_system_sgpr_workgroup_id_y 0
		.amdhsa_system_sgpr_workgroup_id_z 0
		.amdhsa_system_sgpr_workgroup_info 0
		.amdhsa_system_vgpr_workitem_id 0
		.amdhsa_next_free_vgpr 1
		.amdhsa_next_free_sgpr 0
		.amdhsa_accum_offset 4
		.amdhsa_reserve_vcc 0
		.amdhsa_float_round_mode_32 0
		.amdhsa_float_round_mode_16_64 0
		.amdhsa_float_denorm_mode_32 3
		.amdhsa_float_denorm_mode_16_64 3
		.amdhsa_dx10_clamp 1
		.amdhsa_ieee_mode 1
		.amdhsa_fp16_overflow 0
		.amdhsa_tg_split 0
		.amdhsa_exception_fp_ieee_invalid_op 0
		.amdhsa_exception_fp_denorm_src 0
		.amdhsa_exception_fp_ieee_div_zero 0
		.amdhsa_exception_fp_ieee_overflow 0
		.amdhsa_exception_fp_ieee_underflow 0
		.amdhsa_exception_fp_ieee_inexact 0
		.amdhsa_exception_int_div_zero 0
	.end_amdhsa_kernel
	.section	.text._ZN7rocprim17ROCPRIM_400000_NS6detail17trampoline_kernelINS0_14default_configENS1_27scan_by_key_config_selectorIiiEEZZNS1_16scan_by_key_implILNS1_25lookback_scan_determinismE0ELb1ES3_N6thrust23THRUST_200600_302600_NS6detail15normal_iteratorINS9_10device_ptrIiEEEESE_SE_iNS9_4plusIvEENS9_8equal_toIvEEiEE10hipError_tPvRmT2_T3_T4_T5_mT6_T7_P12ihipStream_tbENKUlT_T0_E_clISt17integral_constantIbLb1EESZ_EEDaSU_SV_EUlSU_E_NS1_11comp_targetILNS1_3genE4ELNS1_11target_archE910ELNS1_3gpuE8ELNS1_3repE0EEENS1_30default_config_static_selectorELNS0_4arch9wavefront6targetE1EEEvT1_,"axG",@progbits,_ZN7rocprim17ROCPRIM_400000_NS6detail17trampoline_kernelINS0_14default_configENS1_27scan_by_key_config_selectorIiiEEZZNS1_16scan_by_key_implILNS1_25lookback_scan_determinismE0ELb1ES3_N6thrust23THRUST_200600_302600_NS6detail15normal_iteratorINS9_10device_ptrIiEEEESE_SE_iNS9_4plusIvEENS9_8equal_toIvEEiEE10hipError_tPvRmT2_T3_T4_T5_mT6_T7_P12ihipStream_tbENKUlT_T0_E_clISt17integral_constantIbLb1EESZ_EEDaSU_SV_EUlSU_E_NS1_11comp_targetILNS1_3genE4ELNS1_11target_archE910ELNS1_3gpuE8ELNS1_3repE0EEENS1_30default_config_static_selectorELNS0_4arch9wavefront6targetE1EEEvT1_,comdat
.Lfunc_end473:
	.size	_ZN7rocprim17ROCPRIM_400000_NS6detail17trampoline_kernelINS0_14default_configENS1_27scan_by_key_config_selectorIiiEEZZNS1_16scan_by_key_implILNS1_25lookback_scan_determinismE0ELb1ES3_N6thrust23THRUST_200600_302600_NS6detail15normal_iteratorINS9_10device_ptrIiEEEESE_SE_iNS9_4plusIvEENS9_8equal_toIvEEiEE10hipError_tPvRmT2_T3_T4_T5_mT6_T7_P12ihipStream_tbENKUlT_T0_E_clISt17integral_constantIbLb1EESZ_EEDaSU_SV_EUlSU_E_NS1_11comp_targetILNS1_3genE4ELNS1_11target_archE910ELNS1_3gpuE8ELNS1_3repE0EEENS1_30default_config_static_selectorELNS0_4arch9wavefront6targetE1EEEvT1_, .Lfunc_end473-_ZN7rocprim17ROCPRIM_400000_NS6detail17trampoline_kernelINS0_14default_configENS1_27scan_by_key_config_selectorIiiEEZZNS1_16scan_by_key_implILNS1_25lookback_scan_determinismE0ELb1ES3_N6thrust23THRUST_200600_302600_NS6detail15normal_iteratorINS9_10device_ptrIiEEEESE_SE_iNS9_4plusIvEENS9_8equal_toIvEEiEE10hipError_tPvRmT2_T3_T4_T5_mT6_T7_P12ihipStream_tbENKUlT_T0_E_clISt17integral_constantIbLb1EESZ_EEDaSU_SV_EUlSU_E_NS1_11comp_targetILNS1_3genE4ELNS1_11target_archE910ELNS1_3gpuE8ELNS1_3repE0EEENS1_30default_config_static_selectorELNS0_4arch9wavefront6targetE1EEEvT1_
                                        ; -- End function
	.section	.AMDGPU.csdata,"",@progbits
; Kernel info:
; codeLenInByte = 0
; NumSgprs: 6
; NumVgprs: 0
; NumAgprs: 0
; TotalNumVgprs: 0
; ScratchSize: 0
; MemoryBound: 0
; FloatMode: 240
; IeeeMode: 1
; LDSByteSize: 0 bytes/workgroup (compile time only)
; SGPRBlocks: 0
; VGPRBlocks: 0
; NumSGPRsForWavesPerEU: 6
; NumVGPRsForWavesPerEU: 1
; AccumOffset: 4
; Occupancy: 8
; WaveLimiterHint : 0
; COMPUTE_PGM_RSRC2:SCRATCH_EN: 0
; COMPUTE_PGM_RSRC2:USER_SGPR: 2
; COMPUTE_PGM_RSRC2:TRAP_HANDLER: 0
; COMPUTE_PGM_RSRC2:TGID_X_EN: 1
; COMPUTE_PGM_RSRC2:TGID_Y_EN: 0
; COMPUTE_PGM_RSRC2:TGID_Z_EN: 0
; COMPUTE_PGM_RSRC2:TIDIG_COMP_CNT: 0
; COMPUTE_PGM_RSRC3_GFX90A:ACCUM_OFFSET: 0
; COMPUTE_PGM_RSRC3_GFX90A:TG_SPLIT: 0
	.section	.text._ZN7rocprim17ROCPRIM_400000_NS6detail17trampoline_kernelINS0_14default_configENS1_27scan_by_key_config_selectorIiiEEZZNS1_16scan_by_key_implILNS1_25lookback_scan_determinismE0ELb1ES3_N6thrust23THRUST_200600_302600_NS6detail15normal_iteratorINS9_10device_ptrIiEEEESE_SE_iNS9_4plusIvEENS9_8equal_toIvEEiEE10hipError_tPvRmT2_T3_T4_T5_mT6_T7_P12ihipStream_tbENKUlT_T0_E_clISt17integral_constantIbLb1EESZ_EEDaSU_SV_EUlSU_E_NS1_11comp_targetILNS1_3genE3ELNS1_11target_archE908ELNS1_3gpuE7ELNS1_3repE0EEENS1_30default_config_static_selectorELNS0_4arch9wavefront6targetE1EEEvT1_,"axG",@progbits,_ZN7rocprim17ROCPRIM_400000_NS6detail17trampoline_kernelINS0_14default_configENS1_27scan_by_key_config_selectorIiiEEZZNS1_16scan_by_key_implILNS1_25lookback_scan_determinismE0ELb1ES3_N6thrust23THRUST_200600_302600_NS6detail15normal_iteratorINS9_10device_ptrIiEEEESE_SE_iNS9_4plusIvEENS9_8equal_toIvEEiEE10hipError_tPvRmT2_T3_T4_T5_mT6_T7_P12ihipStream_tbENKUlT_T0_E_clISt17integral_constantIbLb1EESZ_EEDaSU_SV_EUlSU_E_NS1_11comp_targetILNS1_3genE3ELNS1_11target_archE908ELNS1_3gpuE7ELNS1_3repE0EEENS1_30default_config_static_selectorELNS0_4arch9wavefront6targetE1EEEvT1_,comdat
	.protected	_ZN7rocprim17ROCPRIM_400000_NS6detail17trampoline_kernelINS0_14default_configENS1_27scan_by_key_config_selectorIiiEEZZNS1_16scan_by_key_implILNS1_25lookback_scan_determinismE0ELb1ES3_N6thrust23THRUST_200600_302600_NS6detail15normal_iteratorINS9_10device_ptrIiEEEESE_SE_iNS9_4plusIvEENS9_8equal_toIvEEiEE10hipError_tPvRmT2_T3_T4_T5_mT6_T7_P12ihipStream_tbENKUlT_T0_E_clISt17integral_constantIbLb1EESZ_EEDaSU_SV_EUlSU_E_NS1_11comp_targetILNS1_3genE3ELNS1_11target_archE908ELNS1_3gpuE7ELNS1_3repE0EEENS1_30default_config_static_selectorELNS0_4arch9wavefront6targetE1EEEvT1_ ; -- Begin function _ZN7rocprim17ROCPRIM_400000_NS6detail17trampoline_kernelINS0_14default_configENS1_27scan_by_key_config_selectorIiiEEZZNS1_16scan_by_key_implILNS1_25lookback_scan_determinismE0ELb1ES3_N6thrust23THRUST_200600_302600_NS6detail15normal_iteratorINS9_10device_ptrIiEEEESE_SE_iNS9_4plusIvEENS9_8equal_toIvEEiEE10hipError_tPvRmT2_T3_T4_T5_mT6_T7_P12ihipStream_tbENKUlT_T0_E_clISt17integral_constantIbLb1EESZ_EEDaSU_SV_EUlSU_E_NS1_11comp_targetILNS1_3genE3ELNS1_11target_archE908ELNS1_3gpuE7ELNS1_3repE0EEENS1_30default_config_static_selectorELNS0_4arch9wavefront6targetE1EEEvT1_
	.globl	_ZN7rocprim17ROCPRIM_400000_NS6detail17trampoline_kernelINS0_14default_configENS1_27scan_by_key_config_selectorIiiEEZZNS1_16scan_by_key_implILNS1_25lookback_scan_determinismE0ELb1ES3_N6thrust23THRUST_200600_302600_NS6detail15normal_iteratorINS9_10device_ptrIiEEEESE_SE_iNS9_4plusIvEENS9_8equal_toIvEEiEE10hipError_tPvRmT2_T3_T4_T5_mT6_T7_P12ihipStream_tbENKUlT_T0_E_clISt17integral_constantIbLb1EESZ_EEDaSU_SV_EUlSU_E_NS1_11comp_targetILNS1_3genE3ELNS1_11target_archE908ELNS1_3gpuE7ELNS1_3repE0EEENS1_30default_config_static_selectorELNS0_4arch9wavefront6targetE1EEEvT1_
	.p2align	8
	.type	_ZN7rocprim17ROCPRIM_400000_NS6detail17trampoline_kernelINS0_14default_configENS1_27scan_by_key_config_selectorIiiEEZZNS1_16scan_by_key_implILNS1_25lookback_scan_determinismE0ELb1ES3_N6thrust23THRUST_200600_302600_NS6detail15normal_iteratorINS9_10device_ptrIiEEEESE_SE_iNS9_4plusIvEENS9_8equal_toIvEEiEE10hipError_tPvRmT2_T3_T4_T5_mT6_T7_P12ihipStream_tbENKUlT_T0_E_clISt17integral_constantIbLb1EESZ_EEDaSU_SV_EUlSU_E_NS1_11comp_targetILNS1_3genE3ELNS1_11target_archE908ELNS1_3gpuE7ELNS1_3repE0EEENS1_30default_config_static_selectorELNS0_4arch9wavefront6targetE1EEEvT1_,@function
_ZN7rocprim17ROCPRIM_400000_NS6detail17trampoline_kernelINS0_14default_configENS1_27scan_by_key_config_selectorIiiEEZZNS1_16scan_by_key_implILNS1_25lookback_scan_determinismE0ELb1ES3_N6thrust23THRUST_200600_302600_NS6detail15normal_iteratorINS9_10device_ptrIiEEEESE_SE_iNS9_4plusIvEENS9_8equal_toIvEEiEE10hipError_tPvRmT2_T3_T4_T5_mT6_T7_P12ihipStream_tbENKUlT_T0_E_clISt17integral_constantIbLb1EESZ_EEDaSU_SV_EUlSU_E_NS1_11comp_targetILNS1_3genE3ELNS1_11target_archE908ELNS1_3gpuE7ELNS1_3repE0EEENS1_30default_config_static_selectorELNS0_4arch9wavefront6targetE1EEEvT1_: ; @_ZN7rocprim17ROCPRIM_400000_NS6detail17trampoline_kernelINS0_14default_configENS1_27scan_by_key_config_selectorIiiEEZZNS1_16scan_by_key_implILNS1_25lookback_scan_determinismE0ELb1ES3_N6thrust23THRUST_200600_302600_NS6detail15normal_iteratorINS9_10device_ptrIiEEEESE_SE_iNS9_4plusIvEENS9_8equal_toIvEEiEE10hipError_tPvRmT2_T3_T4_T5_mT6_T7_P12ihipStream_tbENKUlT_T0_E_clISt17integral_constantIbLb1EESZ_EEDaSU_SV_EUlSU_E_NS1_11comp_targetILNS1_3genE3ELNS1_11target_archE908ELNS1_3gpuE7ELNS1_3repE0EEENS1_30default_config_static_selectorELNS0_4arch9wavefront6targetE1EEEvT1_
; %bb.0:
	.section	.rodata,"a",@progbits
	.p2align	6, 0x0
	.amdhsa_kernel _ZN7rocprim17ROCPRIM_400000_NS6detail17trampoline_kernelINS0_14default_configENS1_27scan_by_key_config_selectorIiiEEZZNS1_16scan_by_key_implILNS1_25lookback_scan_determinismE0ELb1ES3_N6thrust23THRUST_200600_302600_NS6detail15normal_iteratorINS9_10device_ptrIiEEEESE_SE_iNS9_4plusIvEENS9_8equal_toIvEEiEE10hipError_tPvRmT2_T3_T4_T5_mT6_T7_P12ihipStream_tbENKUlT_T0_E_clISt17integral_constantIbLb1EESZ_EEDaSU_SV_EUlSU_E_NS1_11comp_targetILNS1_3genE3ELNS1_11target_archE908ELNS1_3gpuE7ELNS1_3repE0EEENS1_30default_config_static_selectorELNS0_4arch9wavefront6targetE1EEEvT1_
		.amdhsa_group_segment_fixed_size 0
		.amdhsa_private_segment_fixed_size 0
		.amdhsa_kernarg_size 112
		.amdhsa_user_sgpr_count 2
		.amdhsa_user_sgpr_dispatch_ptr 0
		.amdhsa_user_sgpr_queue_ptr 0
		.amdhsa_user_sgpr_kernarg_segment_ptr 1
		.amdhsa_user_sgpr_dispatch_id 0
		.amdhsa_user_sgpr_kernarg_preload_length 0
		.amdhsa_user_sgpr_kernarg_preload_offset 0
		.amdhsa_user_sgpr_private_segment_size 0
		.amdhsa_uses_dynamic_stack 0
		.amdhsa_enable_private_segment 0
		.amdhsa_system_sgpr_workgroup_id_x 1
		.amdhsa_system_sgpr_workgroup_id_y 0
		.amdhsa_system_sgpr_workgroup_id_z 0
		.amdhsa_system_sgpr_workgroup_info 0
		.amdhsa_system_vgpr_workitem_id 0
		.amdhsa_next_free_vgpr 1
		.amdhsa_next_free_sgpr 0
		.amdhsa_accum_offset 4
		.amdhsa_reserve_vcc 0
		.amdhsa_float_round_mode_32 0
		.amdhsa_float_round_mode_16_64 0
		.amdhsa_float_denorm_mode_32 3
		.amdhsa_float_denorm_mode_16_64 3
		.amdhsa_dx10_clamp 1
		.amdhsa_ieee_mode 1
		.amdhsa_fp16_overflow 0
		.amdhsa_tg_split 0
		.amdhsa_exception_fp_ieee_invalid_op 0
		.amdhsa_exception_fp_denorm_src 0
		.amdhsa_exception_fp_ieee_div_zero 0
		.amdhsa_exception_fp_ieee_overflow 0
		.amdhsa_exception_fp_ieee_underflow 0
		.amdhsa_exception_fp_ieee_inexact 0
		.amdhsa_exception_int_div_zero 0
	.end_amdhsa_kernel
	.section	.text._ZN7rocprim17ROCPRIM_400000_NS6detail17trampoline_kernelINS0_14default_configENS1_27scan_by_key_config_selectorIiiEEZZNS1_16scan_by_key_implILNS1_25lookback_scan_determinismE0ELb1ES3_N6thrust23THRUST_200600_302600_NS6detail15normal_iteratorINS9_10device_ptrIiEEEESE_SE_iNS9_4plusIvEENS9_8equal_toIvEEiEE10hipError_tPvRmT2_T3_T4_T5_mT6_T7_P12ihipStream_tbENKUlT_T0_E_clISt17integral_constantIbLb1EESZ_EEDaSU_SV_EUlSU_E_NS1_11comp_targetILNS1_3genE3ELNS1_11target_archE908ELNS1_3gpuE7ELNS1_3repE0EEENS1_30default_config_static_selectorELNS0_4arch9wavefront6targetE1EEEvT1_,"axG",@progbits,_ZN7rocprim17ROCPRIM_400000_NS6detail17trampoline_kernelINS0_14default_configENS1_27scan_by_key_config_selectorIiiEEZZNS1_16scan_by_key_implILNS1_25lookback_scan_determinismE0ELb1ES3_N6thrust23THRUST_200600_302600_NS6detail15normal_iteratorINS9_10device_ptrIiEEEESE_SE_iNS9_4plusIvEENS9_8equal_toIvEEiEE10hipError_tPvRmT2_T3_T4_T5_mT6_T7_P12ihipStream_tbENKUlT_T0_E_clISt17integral_constantIbLb1EESZ_EEDaSU_SV_EUlSU_E_NS1_11comp_targetILNS1_3genE3ELNS1_11target_archE908ELNS1_3gpuE7ELNS1_3repE0EEENS1_30default_config_static_selectorELNS0_4arch9wavefront6targetE1EEEvT1_,comdat
.Lfunc_end474:
	.size	_ZN7rocprim17ROCPRIM_400000_NS6detail17trampoline_kernelINS0_14default_configENS1_27scan_by_key_config_selectorIiiEEZZNS1_16scan_by_key_implILNS1_25lookback_scan_determinismE0ELb1ES3_N6thrust23THRUST_200600_302600_NS6detail15normal_iteratorINS9_10device_ptrIiEEEESE_SE_iNS9_4plusIvEENS9_8equal_toIvEEiEE10hipError_tPvRmT2_T3_T4_T5_mT6_T7_P12ihipStream_tbENKUlT_T0_E_clISt17integral_constantIbLb1EESZ_EEDaSU_SV_EUlSU_E_NS1_11comp_targetILNS1_3genE3ELNS1_11target_archE908ELNS1_3gpuE7ELNS1_3repE0EEENS1_30default_config_static_selectorELNS0_4arch9wavefront6targetE1EEEvT1_, .Lfunc_end474-_ZN7rocprim17ROCPRIM_400000_NS6detail17trampoline_kernelINS0_14default_configENS1_27scan_by_key_config_selectorIiiEEZZNS1_16scan_by_key_implILNS1_25lookback_scan_determinismE0ELb1ES3_N6thrust23THRUST_200600_302600_NS6detail15normal_iteratorINS9_10device_ptrIiEEEESE_SE_iNS9_4plusIvEENS9_8equal_toIvEEiEE10hipError_tPvRmT2_T3_T4_T5_mT6_T7_P12ihipStream_tbENKUlT_T0_E_clISt17integral_constantIbLb1EESZ_EEDaSU_SV_EUlSU_E_NS1_11comp_targetILNS1_3genE3ELNS1_11target_archE908ELNS1_3gpuE7ELNS1_3repE0EEENS1_30default_config_static_selectorELNS0_4arch9wavefront6targetE1EEEvT1_
                                        ; -- End function
	.section	.AMDGPU.csdata,"",@progbits
; Kernel info:
; codeLenInByte = 0
; NumSgprs: 6
; NumVgprs: 0
; NumAgprs: 0
; TotalNumVgprs: 0
; ScratchSize: 0
; MemoryBound: 0
; FloatMode: 240
; IeeeMode: 1
; LDSByteSize: 0 bytes/workgroup (compile time only)
; SGPRBlocks: 0
; VGPRBlocks: 0
; NumSGPRsForWavesPerEU: 6
; NumVGPRsForWavesPerEU: 1
; AccumOffset: 4
; Occupancy: 8
; WaveLimiterHint : 0
; COMPUTE_PGM_RSRC2:SCRATCH_EN: 0
; COMPUTE_PGM_RSRC2:USER_SGPR: 2
; COMPUTE_PGM_RSRC2:TRAP_HANDLER: 0
; COMPUTE_PGM_RSRC2:TGID_X_EN: 1
; COMPUTE_PGM_RSRC2:TGID_Y_EN: 0
; COMPUTE_PGM_RSRC2:TGID_Z_EN: 0
; COMPUTE_PGM_RSRC2:TIDIG_COMP_CNT: 0
; COMPUTE_PGM_RSRC3_GFX90A:ACCUM_OFFSET: 0
; COMPUTE_PGM_RSRC3_GFX90A:TG_SPLIT: 0
	.section	.text._ZN7rocprim17ROCPRIM_400000_NS6detail17trampoline_kernelINS0_14default_configENS1_27scan_by_key_config_selectorIiiEEZZNS1_16scan_by_key_implILNS1_25lookback_scan_determinismE0ELb1ES3_N6thrust23THRUST_200600_302600_NS6detail15normal_iteratorINS9_10device_ptrIiEEEESE_SE_iNS9_4plusIvEENS9_8equal_toIvEEiEE10hipError_tPvRmT2_T3_T4_T5_mT6_T7_P12ihipStream_tbENKUlT_T0_E_clISt17integral_constantIbLb1EESZ_EEDaSU_SV_EUlSU_E_NS1_11comp_targetILNS1_3genE2ELNS1_11target_archE906ELNS1_3gpuE6ELNS1_3repE0EEENS1_30default_config_static_selectorELNS0_4arch9wavefront6targetE1EEEvT1_,"axG",@progbits,_ZN7rocprim17ROCPRIM_400000_NS6detail17trampoline_kernelINS0_14default_configENS1_27scan_by_key_config_selectorIiiEEZZNS1_16scan_by_key_implILNS1_25lookback_scan_determinismE0ELb1ES3_N6thrust23THRUST_200600_302600_NS6detail15normal_iteratorINS9_10device_ptrIiEEEESE_SE_iNS9_4plusIvEENS9_8equal_toIvEEiEE10hipError_tPvRmT2_T3_T4_T5_mT6_T7_P12ihipStream_tbENKUlT_T0_E_clISt17integral_constantIbLb1EESZ_EEDaSU_SV_EUlSU_E_NS1_11comp_targetILNS1_3genE2ELNS1_11target_archE906ELNS1_3gpuE6ELNS1_3repE0EEENS1_30default_config_static_selectorELNS0_4arch9wavefront6targetE1EEEvT1_,comdat
	.protected	_ZN7rocprim17ROCPRIM_400000_NS6detail17trampoline_kernelINS0_14default_configENS1_27scan_by_key_config_selectorIiiEEZZNS1_16scan_by_key_implILNS1_25lookback_scan_determinismE0ELb1ES3_N6thrust23THRUST_200600_302600_NS6detail15normal_iteratorINS9_10device_ptrIiEEEESE_SE_iNS9_4plusIvEENS9_8equal_toIvEEiEE10hipError_tPvRmT2_T3_T4_T5_mT6_T7_P12ihipStream_tbENKUlT_T0_E_clISt17integral_constantIbLb1EESZ_EEDaSU_SV_EUlSU_E_NS1_11comp_targetILNS1_3genE2ELNS1_11target_archE906ELNS1_3gpuE6ELNS1_3repE0EEENS1_30default_config_static_selectorELNS0_4arch9wavefront6targetE1EEEvT1_ ; -- Begin function _ZN7rocprim17ROCPRIM_400000_NS6detail17trampoline_kernelINS0_14default_configENS1_27scan_by_key_config_selectorIiiEEZZNS1_16scan_by_key_implILNS1_25lookback_scan_determinismE0ELb1ES3_N6thrust23THRUST_200600_302600_NS6detail15normal_iteratorINS9_10device_ptrIiEEEESE_SE_iNS9_4plusIvEENS9_8equal_toIvEEiEE10hipError_tPvRmT2_T3_T4_T5_mT6_T7_P12ihipStream_tbENKUlT_T0_E_clISt17integral_constantIbLb1EESZ_EEDaSU_SV_EUlSU_E_NS1_11comp_targetILNS1_3genE2ELNS1_11target_archE906ELNS1_3gpuE6ELNS1_3repE0EEENS1_30default_config_static_selectorELNS0_4arch9wavefront6targetE1EEEvT1_
	.globl	_ZN7rocprim17ROCPRIM_400000_NS6detail17trampoline_kernelINS0_14default_configENS1_27scan_by_key_config_selectorIiiEEZZNS1_16scan_by_key_implILNS1_25lookback_scan_determinismE0ELb1ES3_N6thrust23THRUST_200600_302600_NS6detail15normal_iteratorINS9_10device_ptrIiEEEESE_SE_iNS9_4plusIvEENS9_8equal_toIvEEiEE10hipError_tPvRmT2_T3_T4_T5_mT6_T7_P12ihipStream_tbENKUlT_T0_E_clISt17integral_constantIbLb1EESZ_EEDaSU_SV_EUlSU_E_NS1_11comp_targetILNS1_3genE2ELNS1_11target_archE906ELNS1_3gpuE6ELNS1_3repE0EEENS1_30default_config_static_selectorELNS0_4arch9wavefront6targetE1EEEvT1_
	.p2align	8
	.type	_ZN7rocprim17ROCPRIM_400000_NS6detail17trampoline_kernelINS0_14default_configENS1_27scan_by_key_config_selectorIiiEEZZNS1_16scan_by_key_implILNS1_25lookback_scan_determinismE0ELb1ES3_N6thrust23THRUST_200600_302600_NS6detail15normal_iteratorINS9_10device_ptrIiEEEESE_SE_iNS9_4plusIvEENS9_8equal_toIvEEiEE10hipError_tPvRmT2_T3_T4_T5_mT6_T7_P12ihipStream_tbENKUlT_T0_E_clISt17integral_constantIbLb1EESZ_EEDaSU_SV_EUlSU_E_NS1_11comp_targetILNS1_3genE2ELNS1_11target_archE906ELNS1_3gpuE6ELNS1_3repE0EEENS1_30default_config_static_selectorELNS0_4arch9wavefront6targetE1EEEvT1_,@function
_ZN7rocprim17ROCPRIM_400000_NS6detail17trampoline_kernelINS0_14default_configENS1_27scan_by_key_config_selectorIiiEEZZNS1_16scan_by_key_implILNS1_25lookback_scan_determinismE0ELb1ES3_N6thrust23THRUST_200600_302600_NS6detail15normal_iteratorINS9_10device_ptrIiEEEESE_SE_iNS9_4plusIvEENS9_8equal_toIvEEiEE10hipError_tPvRmT2_T3_T4_T5_mT6_T7_P12ihipStream_tbENKUlT_T0_E_clISt17integral_constantIbLb1EESZ_EEDaSU_SV_EUlSU_E_NS1_11comp_targetILNS1_3genE2ELNS1_11target_archE906ELNS1_3gpuE6ELNS1_3repE0EEENS1_30default_config_static_selectorELNS0_4arch9wavefront6targetE1EEEvT1_: ; @_ZN7rocprim17ROCPRIM_400000_NS6detail17trampoline_kernelINS0_14default_configENS1_27scan_by_key_config_selectorIiiEEZZNS1_16scan_by_key_implILNS1_25lookback_scan_determinismE0ELb1ES3_N6thrust23THRUST_200600_302600_NS6detail15normal_iteratorINS9_10device_ptrIiEEEESE_SE_iNS9_4plusIvEENS9_8equal_toIvEEiEE10hipError_tPvRmT2_T3_T4_T5_mT6_T7_P12ihipStream_tbENKUlT_T0_E_clISt17integral_constantIbLb1EESZ_EEDaSU_SV_EUlSU_E_NS1_11comp_targetILNS1_3genE2ELNS1_11target_archE906ELNS1_3gpuE6ELNS1_3repE0EEENS1_30default_config_static_selectorELNS0_4arch9wavefront6targetE1EEEvT1_
; %bb.0:
	.section	.rodata,"a",@progbits
	.p2align	6, 0x0
	.amdhsa_kernel _ZN7rocprim17ROCPRIM_400000_NS6detail17trampoline_kernelINS0_14default_configENS1_27scan_by_key_config_selectorIiiEEZZNS1_16scan_by_key_implILNS1_25lookback_scan_determinismE0ELb1ES3_N6thrust23THRUST_200600_302600_NS6detail15normal_iteratorINS9_10device_ptrIiEEEESE_SE_iNS9_4plusIvEENS9_8equal_toIvEEiEE10hipError_tPvRmT2_T3_T4_T5_mT6_T7_P12ihipStream_tbENKUlT_T0_E_clISt17integral_constantIbLb1EESZ_EEDaSU_SV_EUlSU_E_NS1_11comp_targetILNS1_3genE2ELNS1_11target_archE906ELNS1_3gpuE6ELNS1_3repE0EEENS1_30default_config_static_selectorELNS0_4arch9wavefront6targetE1EEEvT1_
		.amdhsa_group_segment_fixed_size 0
		.amdhsa_private_segment_fixed_size 0
		.amdhsa_kernarg_size 112
		.amdhsa_user_sgpr_count 2
		.amdhsa_user_sgpr_dispatch_ptr 0
		.amdhsa_user_sgpr_queue_ptr 0
		.amdhsa_user_sgpr_kernarg_segment_ptr 1
		.amdhsa_user_sgpr_dispatch_id 0
		.amdhsa_user_sgpr_kernarg_preload_length 0
		.amdhsa_user_sgpr_kernarg_preload_offset 0
		.amdhsa_user_sgpr_private_segment_size 0
		.amdhsa_uses_dynamic_stack 0
		.amdhsa_enable_private_segment 0
		.amdhsa_system_sgpr_workgroup_id_x 1
		.amdhsa_system_sgpr_workgroup_id_y 0
		.amdhsa_system_sgpr_workgroup_id_z 0
		.amdhsa_system_sgpr_workgroup_info 0
		.amdhsa_system_vgpr_workitem_id 0
		.amdhsa_next_free_vgpr 1
		.amdhsa_next_free_sgpr 0
		.amdhsa_accum_offset 4
		.amdhsa_reserve_vcc 0
		.amdhsa_float_round_mode_32 0
		.amdhsa_float_round_mode_16_64 0
		.amdhsa_float_denorm_mode_32 3
		.amdhsa_float_denorm_mode_16_64 3
		.amdhsa_dx10_clamp 1
		.amdhsa_ieee_mode 1
		.amdhsa_fp16_overflow 0
		.amdhsa_tg_split 0
		.amdhsa_exception_fp_ieee_invalid_op 0
		.amdhsa_exception_fp_denorm_src 0
		.amdhsa_exception_fp_ieee_div_zero 0
		.amdhsa_exception_fp_ieee_overflow 0
		.amdhsa_exception_fp_ieee_underflow 0
		.amdhsa_exception_fp_ieee_inexact 0
		.amdhsa_exception_int_div_zero 0
	.end_amdhsa_kernel
	.section	.text._ZN7rocprim17ROCPRIM_400000_NS6detail17trampoline_kernelINS0_14default_configENS1_27scan_by_key_config_selectorIiiEEZZNS1_16scan_by_key_implILNS1_25lookback_scan_determinismE0ELb1ES3_N6thrust23THRUST_200600_302600_NS6detail15normal_iteratorINS9_10device_ptrIiEEEESE_SE_iNS9_4plusIvEENS9_8equal_toIvEEiEE10hipError_tPvRmT2_T3_T4_T5_mT6_T7_P12ihipStream_tbENKUlT_T0_E_clISt17integral_constantIbLb1EESZ_EEDaSU_SV_EUlSU_E_NS1_11comp_targetILNS1_3genE2ELNS1_11target_archE906ELNS1_3gpuE6ELNS1_3repE0EEENS1_30default_config_static_selectorELNS0_4arch9wavefront6targetE1EEEvT1_,"axG",@progbits,_ZN7rocprim17ROCPRIM_400000_NS6detail17trampoline_kernelINS0_14default_configENS1_27scan_by_key_config_selectorIiiEEZZNS1_16scan_by_key_implILNS1_25lookback_scan_determinismE0ELb1ES3_N6thrust23THRUST_200600_302600_NS6detail15normal_iteratorINS9_10device_ptrIiEEEESE_SE_iNS9_4plusIvEENS9_8equal_toIvEEiEE10hipError_tPvRmT2_T3_T4_T5_mT6_T7_P12ihipStream_tbENKUlT_T0_E_clISt17integral_constantIbLb1EESZ_EEDaSU_SV_EUlSU_E_NS1_11comp_targetILNS1_3genE2ELNS1_11target_archE906ELNS1_3gpuE6ELNS1_3repE0EEENS1_30default_config_static_selectorELNS0_4arch9wavefront6targetE1EEEvT1_,comdat
.Lfunc_end475:
	.size	_ZN7rocprim17ROCPRIM_400000_NS6detail17trampoline_kernelINS0_14default_configENS1_27scan_by_key_config_selectorIiiEEZZNS1_16scan_by_key_implILNS1_25lookback_scan_determinismE0ELb1ES3_N6thrust23THRUST_200600_302600_NS6detail15normal_iteratorINS9_10device_ptrIiEEEESE_SE_iNS9_4plusIvEENS9_8equal_toIvEEiEE10hipError_tPvRmT2_T3_T4_T5_mT6_T7_P12ihipStream_tbENKUlT_T0_E_clISt17integral_constantIbLb1EESZ_EEDaSU_SV_EUlSU_E_NS1_11comp_targetILNS1_3genE2ELNS1_11target_archE906ELNS1_3gpuE6ELNS1_3repE0EEENS1_30default_config_static_selectorELNS0_4arch9wavefront6targetE1EEEvT1_, .Lfunc_end475-_ZN7rocprim17ROCPRIM_400000_NS6detail17trampoline_kernelINS0_14default_configENS1_27scan_by_key_config_selectorIiiEEZZNS1_16scan_by_key_implILNS1_25lookback_scan_determinismE0ELb1ES3_N6thrust23THRUST_200600_302600_NS6detail15normal_iteratorINS9_10device_ptrIiEEEESE_SE_iNS9_4plusIvEENS9_8equal_toIvEEiEE10hipError_tPvRmT2_T3_T4_T5_mT6_T7_P12ihipStream_tbENKUlT_T0_E_clISt17integral_constantIbLb1EESZ_EEDaSU_SV_EUlSU_E_NS1_11comp_targetILNS1_3genE2ELNS1_11target_archE906ELNS1_3gpuE6ELNS1_3repE0EEENS1_30default_config_static_selectorELNS0_4arch9wavefront6targetE1EEEvT1_
                                        ; -- End function
	.section	.AMDGPU.csdata,"",@progbits
; Kernel info:
; codeLenInByte = 0
; NumSgprs: 6
; NumVgprs: 0
; NumAgprs: 0
; TotalNumVgprs: 0
; ScratchSize: 0
; MemoryBound: 0
; FloatMode: 240
; IeeeMode: 1
; LDSByteSize: 0 bytes/workgroup (compile time only)
; SGPRBlocks: 0
; VGPRBlocks: 0
; NumSGPRsForWavesPerEU: 6
; NumVGPRsForWavesPerEU: 1
; AccumOffset: 4
; Occupancy: 8
; WaveLimiterHint : 0
; COMPUTE_PGM_RSRC2:SCRATCH_EN: 0
; COMPUTE_PGM_RSRC2:USER_SGPR: 2
; COMPUTE_PGM_RSRC2:TRAP_HANDLER: 0
; COMPUTE_PGM_RSRC2:TGID_X_EN: 1
; COMPUTE_PGM_RSRC2:TGID_Y_EN: 0
; COMPUTE_PGM_RSRC2:TGID_Z_EN: 0
; COMPUTE_PGM_RSRC2:TIDIG_COMP_CNT: 0
; COMPUTE_PGM_RSRC3_GFX90A:ACCUM_OFFSET: 0
; COMPUTE_PGM_RSRC3_GFX90A:TG_SPLIT: 0
	.section	.text._ZN7rocprim17ROCPRIM_400000_NS6detail17trampoline_kernelINS0_14default_configENS1_27scan_by_key_config_selectorIiiEEZZNS1_16scan_by_key_implILNS1_25lookback_scan_determinismE0ELb1ES3_N6thrust23THRUST_200600_302600_NS6detail15normal_iteratorINS9_10device_ptrIiEEEESE_SE_iNS9_4plusIvEENS9_8equal_toIvEEiEE10hipError_tPvRmT2_T3_T4_T5_mT6_T7_P12ihipStream_tbENKUlT_T0_E_clISt17integral_constantIbLb1EESZ_EEDaSU_SV_EUlSU_E_NS1_11comp_targetILNS1_3genE10ELNS1_11target_archE1200ELNS1_3gpuE4ELNS1_3repE0EEENS1_30default_config_static_selectorELNS0_4arch9wavefront6targetE1EEEvT1_,"axG",@progbits,_ZN7rocprim17ROCPRIM_400000_NS6detail17trampoline_kernelINS0_14default_configENS1_27scan_by_key_config_selectorIiiEEZZNS1_16scan_by_key_implILNS1_25lookback_scan_determinismE0ELb1ES3_N6thrust23THRUST_200600_302600_NS6detail15normal_iteratorINS9_10device_ptrIiEEEESE_SE_iNS9_4plusIvEENS9_8equal_toIvEEiEE10hipError_tPvRmT2_T3_T4_T5_mT6_T7_P12ihipStream_tbENKUlT_T0_E_clISt17integral_constantIbLb1EESZ_EEDaSU_SV_EUlSU_E_NS1_11comp_targetILNS1_3genE10ELNS1_11target_archE1200ELNS1_3gpuE4ELNS1_3repE0EEENS1_30default_config_static_selectorELNS0_4arch9wavefront6targetE1EEEvT1_,comdat
	.protected	_ZN7rocprim17ROCPRIM_400000_NS6detail17trampoline_kernelINS0_14default_configENS1_27scan_by_key_config_selectorIiiEEZZNS1_16scan_by_key_implILNS1_25lookback_scan_determinismE0ELb1ES3_N6thrust23THRUST_200600_302600_NS6detail15normal_iteratorINS9_10device_ptrIiEEEESE_SE_iNS9_4plusIvEENS9_8equal_toIvEEiEE10hipError_tPvRmT2_T3_T4_T5_mT6_T7_P12ihipStream_tbENKUlT_T0_E_clISt17integral_constantIbLb1EESZ_EEDaSU_SV_EUlSU_E_NS1_11comp_targetILNS1_3genE10ELNS1_11target_archE1200ELNS1_3gpuE4ELNS1_3repE0EEENS1_30default_config_static_selectorELNS0_4arch9wavefront6targetE1EEEvT1_ ; -- Begin function _ZN7rocprim17ROCPRIM_400000_NS6detail17trampoline_kernelINS0_14default_configENS1_27scan_by_key_config_selectorIiiEEZZNS1_16scan_by_key_implILNS1_25lookback_scan_determinismE0ELb1ES3_N6thrust23THRUST_200600_302600_NS6detail15normal_iteratorINS9_10device_ptrIiEEEESE_SE_iNS9_4plusIvEENS9_8equal_toIvEEiEE10hipError_tPvRmT2_T3_T4_T5_mT6_T7_P12ihipStream_tbENKUlT_T0_E_clISt17integral_constantIbLb1EESZ_EEDaSU_SV_EUlSU_E_NS1_11comp_targetILNS1_3genE10ELNS1_11target_archE1200ELNS1_3gpuE4ELNS1_3repE0EEENS1_30default_config_static_selectorELNS0_4arch9wavefront6targetE1EEEvT1_
	.globl	_ZN7rocprim17ROCPRIM_400000_NS6detail17trampoline_kernelINS0_14default_configENS1_27scan_by_key_config_selectorIiiEEZZNS1_16scan_by_key_implILNS1_25lookback_scan_determinismE0ELb1ES3_N6thrust23THRUST_200600_302600_NS6detail15normal_iteratorINS9_10device_ptrIiEEEESE_SE_iNS9_4plusIvEENS9_8equal_toIvEEiEE10hipError_tPvRmT2_T3_T4_T5_mT6_T7_P12ihipStream_tbENKUlT_T0_E_clISt17integral_constantIbLb1EESZ_EEDaSU_SV_EUlSU_E_NS1_11comp_targetILNS1_3genE10ELNS1_11target_archE1200ELNS1_3gpuE4ELNS1_3repE0EEENS1_30default_config_static_selectorELNS0_4arch9wavefront6targetE1EEEvT1_
	.p2align	8
	.type	_ZN7rocprim17ROCPRIM_400000_NS6detail17trampoline_kernelINS0_14default_configENS1_27scan_by_key_config_selectorIiiEEZZNS1_16scan_by_key_implILNS1_25lookback_scan_determinismE0ELb1ES3_N6thrust23THRUST_200600_302600_NS6detail15normal_iteratorINS9_10device_ptrIiEEEESE_SE_iNS9_4plusIvEENS9_8equal_toIvEEiEE10hipError_tPvRmT2_T3_T4_T5_mT6_T7_P12ihipStream_tbENKUlT_T0_E_clISt17integral_constantIbLb1EESZ_EEDaSU_SV_EUlSU_E_NS1_11comp_targetILNS1_3genE10ELNS1_11target_archE1200ELNS1_3gpuE4ELNS1_3repE0EEENS1_30default_config_static_selectorELNS0_4arch9wavefront6targetE1EEEvT1_,@function
_ZN7rocprim17ROCPRIM_400000_NS6detail17trampoline_kernelINS0_14default_configENS1_27scan_by_key_config_selectorIiiEEZZNS1_16scan_by_key_implILNS1_25lookback_scan_determinismE0ELb1ES3_N6thrust23THRUST_200600_302600_NS6detail15normal_iteratorINS9_10device_ptrIiEEEESE_SE_iNS9_4plusIvEENS9_8equal_toIvEEiEE10hipError_tPvRmT2_T3_T4_T5_mT6_T7_P12ihipStream_tbENKUlT_T0_E_clISt17integral_constantIbLb1EESZ_EEDaSU_SV_EUlSU_E_NS1_11comp_targetILNS1_3genE10ELNS1_11target_archE1200ELNS1_3gpuE4ELNS1_3repE0EEENS1_30default_config_static_selectorELNS0_4arch9wavefront6targetE1EEEvT1_: ; @_ZN7rocprim17ROCPRIM_400000_NS6detail17trampoline_kernelINS0_14default_configENS1_27scan_by_key_config_selectorIiiEEZZNS1_16scan_by_key_implILNS1_25lookback_scan_determinismE0ELb1ES3_N6thrust23THRUST_200600_302600_NS6detail15normal_iteratorINS9_10device_ptrIiEEEESE_SE_iNS9_4plusIvEENS9_8equal_toIvEEiEE10hipError_tPvRmT2_T3_T4_T5_mT6_T7_P12ihipStream_tbENKUlT_T0_E_clISt17integral_constantIbLb1EESZ_EEDaSU_SV_EUlSU_E_NS1_11comp_targetILNS1_3genE10ELNS1_11target_archE1200ELNS1_3gpuE4ELNS1_3repE0EEENS1_30default_config_static_selectorELNS0_4arch9wavefront6targetE1EEEvT1_
; %bb.0:
	.section	.rodata,"a",@progbits
	.p2align	6, 0x0
	.amdhsa_kernel _ZN7rocprim17ROCPRIM_400000_NS6detail17trampoline_kernelINS0_14default_configENS1_27scan_by_key_config_selectorIiiEEZZNS1_16scan_by_key_implILNS1_25lookback_scan_determinismE0ELb1ES3_N6thrust23THRUST_200600_302600_NS6detail15normal_iteratorINS9_10device_ptrIiEEEESE_SE_iNS9_4plusIvEENS9_8equal_toIvEEiEE10hipError_tPvRmT2_T3_T4_T5_mT6_T7_P12ihipStream_tbENKUlT_T0_E_clISt17integral_constantIbLb1EESZ_EEDaSU_SV_EUlSU_E_NS1_11comp_targetILNS1_3genE10ELNS1_11target_archE1200ELNS1_3gpuE4ELNS1_3repE0EEENS1_30default_config_static_selectorELNS0_4arch9wavefront6targetE1EEEvT1_
		.amdhsa_group_segment_fixed_size 0
		.amdhsa_private_segment_fixed_size 0
		.amdhsa_kernarg_size 112
		.amdhsa_user_sgpr_count 2
		.amdhsa_user_sgpr_dispatch_ptr 0
		.amdhsa_user_sgpr_queue_ptr 0
		.amdhsa_user_sgpr_kernarg_segment_ptr 1
		.amdhsa_user_sgpr_dispatch_id 0
		.amdhsa_user_sgpr_kernarg_preload_length 0
		.amdhsa_user_sgpr_kernarg_preload_offset 0
		.amdhsa_user_sgpr_private_segment_size 0
		.amdhsa_uses_dynamic_stack 0
		.amdhsa_enable_private_segment 0
		.amdhsa_system_sgpr_workgroup_id_x 1
		.amdhsa_system_sgpr_workgroup_id_y 0
		.amdhsa_system_sgpr_workgroup_id_z 0
		.amdhsa_system_sgpr_workgroup_info 0
		.amdhsa_system_vgpr_workitem_id 0
		.amdhsa_next_free_vgpr 1
		.amdhsa_next_free_sgpr 0
		.amdhsa_accum_offset 4
		.amdhsa_reserve_vcc 0
		.amdhsa_float_round_mode_32 0
		.amdhsa_float_round_mode_16_64 0
		.amdhsa_float_denorm_mode_32 3
		.amdhsa_float_denorm_mode_16_64 3
		.amdhsa_dx10_clamp 1
		.amdhsa_ieee_mode 1
		.amdhsa_fp16_overflow 0
		.amdhsa_tg_split 0
		.amdhsa_exception_fp_ieee_invalid_op 0
		.amdhsa_exception_fp_denorm_src 0
		.amdhsa_exception_fp_ieee_div_zero 0
		.amdhsa_exception_fp_ieee_overflow 0
		.amdhsa_exception_fp_ieee_underflow 0
		.amdhsa_exception_fp_ieee_inexact 0
		.amdhsa_exception_int_div_zero 0
	.end_amdhsa_kernel
	.section	.text._ZN7rocprim17ROCPRIM_400000_NS6detail17trampoline_kernelINS0_14default_configENS1_27scan_by_key_config_selectorIiiEEZZNS1_16scan_by_key_implILNS1_25lookback_scan_determinismE0ELb1ES3_N6thrust23THRUST_200600_302600_NS6detail15normal_iteratorINS9_10device_ptrIiEEEESE_SE_iNS9_4plusIvEENS9_8equal_toIvEEiEE10hipError_tPvRmT2_T3_T4_T5_mT6_T7_P12ihipStream_tbENKUlT_T0_E_clISt17integral_constantIbLb1EESZ_EEDaSU_SV_EUlSU_E_NS1_11comp_targetILNS1_3genE10ELNS1_11target_archE1200ELNS1_3gpuE4ELNS1_3repE0EEENS1_30default_config_static_selectorELNS0_4arch9wavefront6targetE1EEEvT1_,"axG",@progbits,_ZN7rocprim17ROCPRIM_400000_NS6detail17trampoline_kernelINS0_14default_configENS1_27scan_by_key_config_selectorIiiEEZZNS1_16scan_by_key_implILNS1_25lookback_scan_determinismE0ELb1ES3_N6thrust23THRUST_200600_302600_NS6detail15normal_iteratorINS9_10device_ptrIiEEEESE_SE_iNS9_4plusIvEENS9_8equal_toIvEEiEE10hipError_tPvRmT2_T3_T4_T5_mT6_T7_P12ihipStream_tbENKUlT_T0_E_clISt17integral_constantIbLb1EESZ_EEDaSU_SV_EUlSU_E_NS1_11comp_targetILNS1_3genE10ELNS1_11target_archE1200ELNS1_3gpuE4ELNS1_3repE0EEENS1_30default_config_static_selectorELNS0_4arch9wavefront6targetE1EEEvT1_,comdat
.Lfunc_end476:
	.size	_ZN7rocprim17ROCPRIM_400000_NS6detail17trampoline_kernelINS0_14default_configENS1_27scan_by_key_config_selectorIiiEEZZNS1_16scan_by_key_implILNS1_25lookback_scan_determinismE0ELb1ES3_N6thrust23THRUST_200600_302600_NS6detail15normal_iteratorINS9_10device_ptrIiEEEESE_SE_iNS9_4plusIvEENS9_8equal_toIvEEiEE10hipError_tPvRmT2_T3_T4_T5_mT6_T7_P12ihipStream_tbENKUlT_T0_E_clISt17integral_constantIbLb1EESZ_EEDaSU_SV_EUlSU_E_NS1_11comp_targetILNS1_3genE10ELNS1_11target_archE1200ELNS1_3gpuE4ELNS1_3repE0EEENS1_30default_config_static_selectorELNS0_4arch9wavefront6targetE1EEEvT1_, .Lfunc_end476-_ZN7rocprim17ROCPRIM_400000_NS6detail17trampoline_kernelINS0_14default_configENS1_27scan_by_key_config_selectorIiiEEZZNS1_16scan_by_key_implILNS1_25lookback_scan_determinismE0ELb1ES3_N6thrust23THRUST_200600_302600_NS6detail15normal_iteratorINS9_10device_ptrIiEEEESE_SE_iNS9_4plusIvEENS9_8equal_toIvEEiEE10hipError_tPvRmT2_T3_T4_T5_mT6_T7_P12ihipStream_tbENKUlT_T0_E_clISt17integral_constantIbLb1EESZ_EEDaSU_SV_EUlSU_E_NS1_11comp_targetILNS1_3genE10ELNS1_11target_archE1200ELNS1_3gpuE4ELNS1_3repE0EEENS1_30default_config_static_selectorELNS0_4arch9wavefront6targetE1EEEvT1_
                                        ; -- End function
	.section	.AMDGPU.csdata,"",@progbits
; Kernel info:
; codeLenInByte = 0
; NumSgprs: 6
; NumVgprs: 0
; NumAgprs: 0
; TotalNumVgprs: 0
; ScratchSize: 0
; MemoryBound: 0
; FloatMode: 240
; IeeeMode: 1
; LDSByteSize: 0 bytes/workgroup (compile time only)
; SGPRBlocks: 0
; VGPRBlocks: 0
; NumSGPRsForWavesPerEU: 6
; NumVGPRsForWavesPerEU: 1
; AccumOffset: 4
; Occupancy: 8
; WaveLimiterHint : 0
; COMPUTE_PGM_RSRC2:SCRATCH_EN: 0
; COMPUTE_PGM_RSRC2:USER_SGPR: 2
; COMPUTE_PGM_RSRC2:TRAP_HANDLER: 0
; COMPUTE_PGM_RSRC2:TGID_X_EN: 1
; COMPUTE_PGM_RSRC2:TGID_Y_EN: 0
; COMPUTE_PGM_RSRC2:TGID_Z_EN: 0
; COMPUTE_PGM_RSRC2:TIDIG_COMP_CNT: 0
; COMPUTE_PGM_RSRC3_GFX90A:ACCUM_OFFSET: 0
; COMPUTE_PGM_RSRC3_GFX90A:TG_SPLIT: 0
	.section	.text._ZN7rocprim17ROCPRIM_400000_NS6detail17trampoline_kernelINS0_14default_configENS1_27scan_by_key_config_selectorIiiEEZZNS1_16scan_by_key_implILNS1_25lookback_scan_determinismE0ELb1ES3_N6thrust23THRUST_200600_302600_NS6detail15normal_iteratorINS9_10device_ptrIiEEEESE_SE_iNS9_4plusIvEENS9_8equal_toIvEEiEE10hipError_tPvRmT2_T3_T4_T5_mT6_T7_P12ihipStream_tbENKUlT_T0_E_clISt17integral_constantIbLb1EESZ_EEDaSU_SV_EUlSU_E_NS1_11comp_targetILNS1_3genE9ELNS1_11target_archE1100ELNS1_3gpuE3ELNS1_3repE0EEENS1_30default_config_static_selectorELNS0_4arch9wavefront6targetE1EEEvT1_,"axG",@progbits,_ZN7rocprim17ROCPRIM_400000_NS6detail17trampoline_kernelINS0_14default_configENS1_27scan_by_key_config_selectorIiiEEZZNS1_16scan_by_key_implILNS1_25lookback_scan_determinismE0ELb1ES3_N6thrust23THRUST_200600_302600_NS6detail15normal_iteratorINS9_10device_ptrIiEEEESE_SE_iNS9_4plusIvEENS9_8equal_toIvEEiEE10hipError_tPvRmT2_T3_T4_T5_mT6_T7_P12ihipStream_tbENKUlT_T0_E_clISt17integral_constantIbLb1EESZ_EEDaSU_SV_EUlSU_E_NS1_11comp_targetILNS1_3genE9ELNS1_11target_archE1100ELNS1_3gpuE3ELNS1_3repE0EEENS1_30default_config_static_selectorELNS0_4arch9wavefront6targetE1EEEvT1_,comdat
	.protected	_ZN7rocprim17ROCPRIM_400000_NS6detail17trampoline_kernelINS0_14default_configENS1_27scan_by_key_config_selectorIiiEEZZNS1_16scan_by_key_implILNS1_25lookback_scan_determinismE0ELb1ES3_N6thrust23THRUST_200600_302600_NS6detail15normal_iteratorINS9_10device_ptrIiEEEESE_SE_iNS9_4plusIvEENS9_8equal_toIvEEiEE10hipError_tPvRmT2_T3_T4_T5_mT6_T7_P12ihipStream_tbENKUlT_T0_E_clISt17integral_constantIbLb1EESZ_EEDaSU_SV_EUlSU_E_NS1_11comp_targetILNS1_3genE9ELNS1_11target_archE1100ELNS1_3gpuE3ELNS1_3repE0EEENS1_30default_config_static_selectorELNS0_4arch9wavefront6targetE1EEEvT1_ ; -- Begin function _ZN7rocprim17ROCPRIM_400000_NS6detail17trampoline_kernelINS0_14default_configENS1_27scan_by_key_config_selectorIiiEEZZNS1_16scan_by_key_implILNS1_25lookback_scan_determinismE0ELb1ES3_N6thrust23THRUST_200600_302600_NS6detail15normal_iteratorINS9_10device_ptrIiEEEESE_SE_iNS9_4plusIvEENS9_8equal_toIvEEiEE10hipError_tPvRmT2_T3_T4_T5_mT6_T7_P12ihipStream_tbENKUlT_T0_E_clISt17integral_constantIbLb1EESZ_EEDaSU_SV_EUlSU_E_NS1_11comp_targetILNS1_3genE9ELNS1_11target_archE1100ELNS1_3gpuE3ELNS1_3repE0EEENS1_30default_config_static_selectorELNS0_4arch9wavefront6targetE1EEEvT1_
	.globl	_ZN7rocprim17ROCPRIM_400000_NS6detail17trampoline_kernelINS0_14default_configENS1_27scan_by_key_config_selectorIiiEEZZNS1_16scan_by_key_implILNS1_25lookback_scan_determinismE0ELb1ES3_N6thrust23THRUST_200600_302600_NS6detail15normal_iteratorINS9_10device_ptrIiEEEESE_SE_iNS9_4plusIvEENS9_8equal_toIvEEiEE10hipError_tPvRmT2_T3_T4_T5_mT6_T7_P12ihipStream_tbENKUlT_T0_E_clISt17integral_constantIbLb1EESZ_EEDaSU_SV_EUlSU_E_NS1_11comp_targetILNS1_3genE9ELNS1_11target_archE1100ELNS1_3gpuE3ELNS1_3repE0EEENS1_30default_config_static_selectorELNS0_4arch9wavefront6targetE1EEEvT1_
	.p2align	8
	.type	_ZN7rocprim17ROCPRIM_400000_NS6detail17trampoline_kernelINS0_14default_configENS1_27scan_by_key_config_selectorIiiEEZZNS1_16scan_by_key_implILNS1_25lookback_scan_determinismE0ELb1ES3_N6thrust23THRUST_200600_302600_NS6detail15normal_iteratorINS9_10device_ptrIiEEEESE_SE_iNS9_4plusIvEENS9_8equal_toIvEEiEE10hipError_tPvRmT2_T3_T4_T5_mT6_T7_P12ihipStream_tbENKUlT_T0_E_clISt17integral_constantIbLb1EESZ_EEDaSU_SV_EUlSU_E_NS1_11comp_targetILNS1_3genE9ELNS1_11target_archE1100ELNS1_3gpuE3ELNS1_3repE0EEENS1_30default_config_static_selectorELNS0_4arch9wavefront6targetE1EEEvT1_,@function
_ZN7rocprim17ROCPRIM_400000_NS6detail17trampoline_kernelINS0_14default_configENS1_27scan_by_key_config_selectorIiiEEZZNS1_16scan_by_key_implILNS1_25lookback_scan_determinismE0ELb1ES3_N6thrust23THRUST_200600_302600_NS6detail15normal_iteratorINS9_10device_ptrIiEEEESE_SE_iNS9_4plusIvEENS9_8equal_toIvEEiEE10hipError_tPvRmT2_T3_T4_T5_mT6_T7_P12ihipStream_tbENKUlT_T0_E_clISt17integral_constantIbLb1EESZ_EEDaSU_SV_EUlSU_E_NS1_11comp_targetILNS1_3genE9ELNS1_11target_archE1100ELNS1_3gpuE3ELNS1_3repE0EEENS1_30default_config_static_selectorELNS0_4arch9wavefront6targetE1EEEvT1_: ; @_ZN7rocprim17ROCPRIM_400000_NS6detail17trampoline_kernelINS0_14default_configENS1_27scan_by_key_config_selectorIiiEEZZNS1_16scan_by_key_implILNS1_25lookback_scan_determinismE0ELb1ES3_N6thrust23THRUST_200600_302600_NS6detail15normal_iteratorINS9_10device_ptrIiEEEESE_SE_iNS9_4plusIvEENS9_8equal_toIvEEiEE10hipError_tPvRmT2_T3_T4_T5_mT6_T7_P12ihipStream_tbENKUlT_T0_E_clISt17integral_constantIbLb1EESZ_EEDaSU_SV_EUlSU_E_NS1_11comp_targetILNS1_3genE9ELNS1_11target_archE1100ELNS1_3gpuE3ELNS1_3repE0EEENS1_30default_config_static_selectorELNS0_4arch9wavefront6targetE1EEEvT1_
; %bb.0:
	.section	.rodata,"a",@progbits
	.p2align	6, 0x0
	.amdhsa_kernel _ZN7rocprim17ROCPRIM_400000_NS6detail17trampoline_kernelINS0_14default_configENS1_27scan_by_key_config_selectorIiiEEZZNS1_16scan_by_key_implILNS1_25lookback_scan_determinismE0ELb1ES3_N6thrust23THRUST_200600_302600_NS6detail15normal_iteratorINS9_10device_ptrIiEEEESE_SE_iNS9_4plusIvEENS9_8equal_toIvEEiEE10hipError_tPvRmT2_T3_T4_T5_mT6_T7_P12ihipStream_tbENKUlT_T0_E_clISt17integral_constantIbLb1EESZ_EEDaSU_SV_EUlSU_E_NS1_11comp_targetILNS1_3genE9ELNS1_11target_archE1100ELNS1_3gpuE3ELNS1_3repE0EEENS1_30default_config_static_selectorELNS0_4arch9wavefront6targetE1EEEvT1_
		.amdhsa_group_segment_fixed_size 0
		.amdhsa_private_segment_fixed_size 0
		.amdhsa_kernarg_size 112
		.amdhsa_user_sgpr_count 2
		.amdhsa_user_sgpr_dispatch_ptr 0
		.amdhsa_user_sgpr_queue_ptr 0
		.amdhsa_user_sgpr_kernarg_segment_ptr 1
		.amdhsa_user_sgpr_dispatch_id 0
		.amdhsa_user_sgpr_kernarg_preload_length 0
		.amdhsa_user_sgpr_kernarg_preload_offset 0
		.amdhsa_user_sgpr_private_segment_size 0
		.amdhsa_uses_dynamic_stack 0
		.amdhsa_enable_private_segment 0
		.amdhsa_system_sgpr_workgroup_id_x 1
		.amdhsa_system_sgpr_workgroup_id_y 0
		.amdhsa_system_sgpr_workgroup_id_z 0
		.amdhsa_system_sgpr_workgroup_info 0
		.amdhsa_system_vgpr_workitem_id 0
		.amdhsa_next_free_vgpr 1
		.amdhsa_next_free_sgpr 0
		.amdhsa_accum_offset 4
		.amdhsa_reserve_vcc 0
		.amdhsa_float_round_mode_32 0
		.amdhsa_float_round_mode_16_64 0
		.amdhsa_float_denorm_mode_32 3
		.amdhsa_float_denorm_mode_16_64 3
		.amdhsa_dx10_clamp 1
		.amdhsa_ieee_mode 1
		.amdhsa_fp16_overflow 0
		.amdhsa_tg_split 0
		.amdhsa_exception_fp_ieee_invalid_op 0
		.amdhsa_exception_fp_denorm_src 0
		.amdhsa_exception_fp_ieee_div_zero 0
		.amdhsa_exception_fp_ieee_overflow 0
		.amdhsa_exception_fp_ieee_underflow 0
		.amdhsa_exception_fp_ieee_inexact 0
		.amdhsa_exception_int_div_zero 0
	.end_amdhsa_kernel
	.section	.text._ZN7rocprim17ROCPRIM_400000_NS6detail17trampoline_kernelINS0_14default_configENS1_27scan_by_key_config_selectorIiiEEZZNS1_16scan_by_key_implILNS1_25lookback_scan_determinismE0ELb1ES3_N6thrust23THRUST_200600_302600_NS6detail15normal_iteratorINS9_10device_ptrIiEEEESE_SE_iNS9_4plusIvEENS9_8equal_toIvEEiEE10hipError_tPvRmT2_T3_T4_T5_mT6_T7_P12ihipStream_tbENKUlT_T0_E_clISt17integral_constantIbLb1EESZ_EEDaSU_SV_EUlSU_E_NS1_11comp_targetILNS1_3genE9ELNS1_11target_archE1100ELNS1_3gpuE3ELNS1_3repE0EEENS1_30default_config_static_selectorELNS0_4arch9wavefront6targetE1EEEvT1_,"axG",@progbits,_ZN7rocprim17ROCPRIM_400000_NS6detail17trampoline_kernelINS0_14default_configENS1_27scan_by_key_config_selectorIiiEEZZNS1_16scan_by_key_implILNS1_25lookback_scan_determinismE0ELb1ES3_N6thrust23THRUST_200600_302600_NS6detail15normal_iteratorINS9_10device_ptrIiEEEESE_SE_iNS9_4plusIvEENS9_8equal_toIvEEiEE10hipError_tPvRmT2_T3_T4_T5_mT6_T7_P12ihipStream_tbENKUlT_T0_E_clISt17integral_constantIbLb1EESZ_EEDaSU_SV_EUlSU_E_NS1_11comp_targetILNS1_3genE9ELNS1_11target_archE1100ELNS1_3gpuE3ELNS1_3repE0EEENS1_30default_config_static_selectorELNS0_4arch9wavefront6targetE1EEEvT1_,comdat
.Lfunc_end477:
	.size	_ZN7rocprim17ROCPRIM_400000_NS6detail17trampoline_kernelINS0_14default_configENS1_27scan_by_key_config_selectorIiiEEZZNS1_16scan_by_key_implILNS1_25lookback_scan_determinismE0ELb1ES3_N6thrust23THRUST_200600_302600_NS6detail15normal_iteratorINS9_10device_ptrIiEEEESE_SE_iNS9_4plusIvEENS9_8equal_toIvEEiEE10hipError_tPvRmT2_T3_T4_T5_mT6_T7_P12ihipStream_tbENKUlT_T0_E_clISt17integral_constantIbLb1EESZ_EEDaSU_SV_EUlSU_E_NS1_11comp_targetILNS1_3genE9ELNS1_11target_archE1100ELNS1_3gpuE3ELNS1_3repE0EEENS1_30default_config_static_selectorELNS0_4arch9wavefront6targetE1EEEvT1_, .Lfunc_end477-_ZN7rocprim17ROCPRIM_400000_NS6detail17trampoline_kernelINS0_14default_configENS1_27scan_by_key_config_selectorIiiEEZZNS1_16scan_by_key_implILNS1_25lookback_scan_determinismE0ELb1ES3_N6thrust23THRUST_200600_302600_NS6detail15normal_iteratorINS9_10device_ptrIiEEEESE_SE_iNS9_4plusIvEENS9_8equal_toIvEEiEE10hipError_tPvRmT2_T3_T4_T5_mT6_T7_P12ihipStream_tbENKUlT_T0_E_clISt17integral_constantIbLb1EESZ_EEDaSU_SV_EUlSU_E_NS1_11comp_targetILNS1_3genE9ELNS1_11target_archE1100ELNS1_3gpuE3ELNS1_3repE0EEENS1_30default_config_static_selectorELNS0_4arch9wavefront6targetE1EEEvT1_
                                        ; -- End function
	.section	.AMDGPU.csdata,"",@progbits
; Kernel info:
; codeLenInByte = 0
; NumSgprs: 6
; NumVgprs: 0
; NumAgprs: 0
; TotalNumVgprs: 0
; ScratchSize: 0
; MemoryBound: 0
; FloatMode: 240
; IeeeMode: 1
; LDSByteSize: 0 bytes/workgroup (compile time only)
; SGPRBlocks: 0
; VGPRBlocks: 0
; NumSGPRsForWavesPerEU: 6
; NumVGPRsForWavesPerEU: 1
; AccumOffset: 4
; Occupancy: 8
; WaveLimiterHint : 0
; COMPUTE_PGM_RSRC2:SCRATCH_EN: 0
; COMPUTE_PGM_RSRC2:USER_SGPR: 2
; COMPUTE_PGM_RSRC2:TRAP_HANDLER: 0
; COMPUTE_PGM_RSRC2:TGID_X_EN: 1
; COMPUTE_PGM_RSRC2:TGID_Y_EN: 0
; COMPUTE_PGM_RSRC2:TGID_Z_EN: 0
; COMPUTE_PGM_RSRC2:TIDIG_COMP_CNT: 0
; COMPUTE_PGM_RSRC3_GFX90A:ACCUM_OFFSET: 0
; COMPUTE_PGM_RSRC3_GFX90A:TG_SPLIT: 0
	.section	.text._ZN7rocprim17ROCPRIM_400000_NS6detail17trampoline_kernelINS0_14default_configENS1_27scan_by_key_config_selectorIiiEEZZNS1_16scan_by_key_implILNS1_25lookback_scan_determinismE0ELb1ES3_N6thrust23THRUST_200600_302600_NS6detail15normal_iteratorINS9_10device_ptrIiEEEESE_SE_iNS9_4plusIvEENS9_8equal_toIvEEiEE10hipError_tPvRmT2_T3_T4_T5_mT6_T7_P12ihipStream_tbENKUlT_T0_E_clISt17integral_constantIbLb1EESZ_EEDaSU_SV_EUlSU_E_NS1_11comp_targetILNS1_3genE8ELNS1_11target_archE1030ELNS1_3gpuE2ELNS1_3repE0EEENS1_30default_config_static_selectorELNS0_4arch9wavefront6targetE1EEEvT1_,"axG",@progbits,_ZN7rocprim17ROCPRIM_400000_NS6detail17trampoline_kernelINS0_14default_configENS1_27scan_by_key_config_selectorIiiEEZZNS1_16scan_by_key_implILNS1_25lookback_scan_determinismE0ELb1ES3_N6thrust23THRUST_200600_302600_NS6detail15normal_iteratorINS9_10device_ptrIiEEEESE_SE_iNS9_4plusIvEENS9_8equal_toIvEEiEE10hipError_tPvRmT2_T3_T4_T5_mT6_T7_P12ihipStream_tbENKUlT_T0_E_clISt17integral_constantIbLb1EESZ_EEDaSU_SV_EUlSU_E_NS1_11comp_targetILNS1_3genE8ELNS1_11target_archE1030ELNS1_3gpuE2ELNS1_3repE0EEENS1_30default_config_static_selectorELNS0_4arch9wavefront6targetE1EEEvT1_,comdat
	.protected	_ZN7rocprim17ROCPRIM_400000_NS6detail17trampoline_kernelINS0_14default_configENS1_27scan_by_key_config_selectorIiiEEZZNS1_16scan_by_key_implILNS1_25lookback_scan_determinismE0ELb1ES3_N6thrust23THRUST_200600_302600_NS6detail15normal_iteratorINS9_10device_ptrIiEEEESE_SE_iNS9_4plusIvEENS9_8equal_toIvEEiEE10hipError_tPvRmT2_T3_T4_T5_mT6_T7_P12ihipStream_tbENKUlT_T0_E_clISt17integral_constantIbLb1EESZ_EEDaSU_SV_EUlSU_E_NS1_11comp_targetILNS1_3genE8ELNS1_11target_archE1030ELNS1_3gpuE2ELNS1_3repE0EEENS1_30default_config_static_selectorELNS0_4arch9wavefront6targetE1EEEvT1_ ; -- Begin function _ZN7rocprim17ROCPRIM_400000_NS6detail17trampoline_kernelINS0_14default_configENS1_27scan_by_key_config_selectorIiiEEZZNS1_16scan_by_key_implILNS1_25lookback_scan_determinismE0ELb1ES3_N6thrust23THRUST_200600_302600_NS6detail15normal_iteratorINS9_10device_ptrIiEEEESE_SE_iNS9_4plusIvEENS9_8equal_toIvEEiEE10hipError_tPvRmT2_T3_T4_T5_mT6_T7_P12ihipStream_tbENKUlT_T0_E_clISt17integral_constantIbLb1EESZ_EEDaSU_SV_EUlSU_E_NS1_11comp_targetILNS1_3genE8ELNS1_11target_archE1030ELNS1_3gpuE2ELNS1_3repE0EEENS1_30default_config_static_selectorELNS0_4arch9wavefront6targetE1EEEvT1_
	.globl	_ZN7rocprim17ROCPRIM_400000_NS6detail17trampoline_kernelINS0_14default_configENS1_27scan_by_key_config_selectorIiiEEZZNS1_16scan_by_key_implILNS1_25lookback_scan_determinismE0ELb1ES3_N6thrust23THRUST_200600_302600_NS6detail15normal_iteratorINS9_10device_ptrIiEEEESE_SE_iNS9_4plusIvEENS9_8equal_toIvEEiEE10hipError_tPvRmT2_T3_T4_T5_mT6_T7_P12ihipStream_tbENKUlT_T0_E_clISt17integral_constantIbLb1EESZ_EEDaSU_SV_EUlSU_E_NS1_11comp_targetILNS1_3genE8ELNS1_11target_archE1030ELNS1_3gpuE2ELNS1_3repE0EEENS1_30default_config_static_selectorELNS0_4arch9wavefront6targetE1EEEvT1_
	.p2align	8
	.type	_ZN7rocprim17ROCPRIM_400000_NS6detail17trampoline_kernelINS0_14default_configENS1_27scan_by_key_config_selectorIiiEEZZNS1_16scan_by_key_implILNS1_25lookback_scan_determinismE0ELb1ES3_N6thrust23THRUST_200600_302600_NS6detail15normal_iteratorINS9_10device_ptrIiEEEESE_SE_iNS9_4plusIvEENS9_8equal_toIvEEiEE10hipError_tPvRmT2_T3_T4_T5_mT6_T7_P12ihipStream_tbENKUlT_T0_E_clISt17integral_constantIbLb1EESZ_EEDaSU_SV_EUlSU_E_NS1_11comp_targetILNS1_3genE8ELNS1_11target_archE1030ELNS1_3gpuE2ELNS1_3repE0EEENS1_30default_config_static_selectorELNS0_4arch9wavefront6targetE1EEEvT1_,@function
_ZN7rocprim17ROCPRIM_400000_NS6detail17trampoline_kernelINS0_14default_configENS1_27scan_by_key_config_selectorIiiEEZZNS1_16scan_by_key_implILNS1_25lookback_scan_determinismE0ELb1ES3_N6thrust23THRUST_200600_302600_NS6detail15normal_iteratorINS9_10device_ptrIiEEEESE_SE_iNS9_4plusIvEENS9_8equal_toIvEEiEE10hipError_tPvRmT2_T3_T4_T5_mT6_T7_P12ihipStream_tbENKUlT_T0_E_clISt17integral_constantIbLb1EESZ_EEDaSU_SV_EUlSU_E_NS1_11comp_targetILNS1_3genE8ELNS1_11target_archE1030ELNS1_3gpuE2ELNS1_3repE0EEENS1_30default_config_static_selectorELNS0_4arch9wavefront6targetE1EEEvT1_: ; @_ZN7rocprim17ROCPRIM_400000_NS6detail17trampoline_kernelINS0_14default_configENS1_27scan_by_key_config_selectorIiiEEZZNS1_16scan_by_key_implILNS1_25lookback_scan_determinismE0ELb1ES3_N6thrust23THRUST_200600_302600_NS6detail15normal_iteratorINS9_10device_ptrIiEEEESE_SE_iNS9_4plusIvEENS9_8equal_toIvEEiEE10hipError_tPvRmT2_T3_T4_T5_mT6_T7_P12ihipStream_tbENKUlT_T0_E_clISt17integral_constantIbLb1EESZ_EEDaSU_SV_EUlSU_E_NS1_11comp_targetILNS1_3genE8ELNS1_11target_archE1030ELNS1_3gpuE2ELNS1_3repE0EEENS1_30default_config_static_selectorELNS0_4arch9wavefront6targetE1EEEvT1_
; %bb.0:
	.section	.rodata,"a",@progbits
	.p2align	6, 0x0
	.amdhsa_kernel _ZN7rocprim17ROCPRIM_400000_NS6detail17trampoline_kernelINS0_14default_configENS1_27scan_by_key_config_selectorIiiEEZZNS1_16scan_by_key_implILNS1_25lookback_scan_determinismE0ELb1ES3_N6thrust23THRUST_200600_302600_NS6detail15normal_iteratorINS9_10device_ptrIiEEEESE_SE_iNS9_4plusIvEENS9_8equal_toIvEEiEE10hipError_tPvRmT2_T3_T4_T5_mT6_T7_P12ihipStream_tbENKUlT_T0_E_clISt17integral_constantIbLb1EESZ_EEDaSU_SV_EUlSU_E_NS1_11comp_targetILNS1_3genE8ELNS1_11target_archE1030ELNS1_3gpuE2ELNS1_3repE0EEENS1_30default_config_static_selectorELNS0_4arch9wavefront6targetE1EEEvT1_
		.amdhsa_group_segment_fixed_size 0
		.amdhsa_private_segment_fixed_size 0
		.amdhsa_kernarg_size 112
		.amdhsa_user_sgpr_count 2
		.amdhsa_user_sgpr_dispatch_ptr 0
		.amdhsa_user_sgpr_queue_ptr 0
		.amdhsa_user_sgpr_kernarg_segment_ptr 1
		.amdhsa_user_sgpr_dispatch_id 0
		.amdhsa_user_sgpr_kernarg_preload_length 0
		.amdhsa_user_sgpr_kernarg_preload_offset 0
		.amdhsa_user_sgpr_private_segment_size 0
		.amdhsa_uses_dynamic_stack 0
		.amdhsa_enable_private_segment 0
		.amdhsa_system_sgpr_workgroup_id_x 1
		.amdhsa_system_sgpr_workgroup_id_y 0
		.amdhsa_system_sgpr_workgroup_id_z 0
		.amdhsa_system_sgpr_workgroup_info 0
		.amdhsa_system_vgpr_workitem_id 0
		.amdhsa_next_free_vgpr 1
		.amdhsa_next_free_sgpr 0
		.amdhsa_accum_offset 4
		.amdhsa_reserve_vcc 0
		.amdhsa_float_round_mode_32 0
		.amdhsa_float_round_mode_16_64 0
		.amdhsa_float_denorm_mode_32 3
		.amdhsa_float_denorm_mode_16_64 3
		.amdhsa_dx10_clamp 1
		.amdhsa_ieee_mode 1
		.amdhsa_fp16_overflow 0
		.amdhsa_tg_split 0
		.amdhsa_exception_fp_ieee_invalid_op 0
		.amdhsa_exception_fp_denorm_src 0
		.amdhsa_exception_fp_ieee_div_zero 0
		.amdhsa_exception_fp_ieee_overflow 0
		.amdhsa_exception_fp_ieee_underflow 0
		.amdhsa_exception_fp_ieee_inexact 0
		.amdhsa_exception_int_div_zero 0
	.end_amdhsa_kernel
	.section	.text._ZN7rocprim17ROCPRIM_400000_NS6detail17trampoline_kernelINS0_14default_configENS1_27scan_by_key_config_selectorIiiEEZZNS1_16scan_by_key_implILNS1_25lookback_scan_determinismE0ELb1ES3_N6thrust23THRUST_200600_302600_NS6detail15normal_iteratorINS9_10device_ptrIiEEEESE_SE_iNS9_4plusIvEENS9_8equal_toIvEEiEE10hipError_tPvRmT2_T3_T4_T5_mT6_T7_P12ihipStream_tbENKUlT_T0_E_clISt17integral_constantIbLb1EESZ_EEDaSU_SV_EUlSU_E_NS1_11comp_targetILNS1_3genE8ELNS1_11target_archE1030ELNS1_3gpuE2ELNS1_3repE0EEENS1_30default_config_static_selectorELNS0_4arch9wavefront6targetE1EEEvT1_,"axG",@progbits,_ZN7rocprim17ROCPRIM_400000_NS6detail17trampoline_kernelINS0_14default_configENS1_27scan_by_key_config_selectorIiiEEZZNS1_16scan_by_key_implILNS1_25lookback_scan_determinismE0ELb1ES3_N6thrust23THRUST_200600_302600_NS6detail15normal_iteratorINS9_10device_ptrIiEEEESE_SE_iNS9_4plusIvEENS9_8equal_toIvEEiEE10hipError_tPvRmT2_T3_T4_T5_mT6_T7_P12ihipStream_tbENKUlT_T0_E_clISt17integral_constantIbLb1EESZ_EEDaSU_SV_EUlSU_E_NS1_11comp_targetILNS1_3genE8ELNS1_11target_archE1030ELNS1_3gpuE2ELNS1_3repE0EEENS1_30default_config_static_selectorELNS0_4arch9wavefront6targetE1EEEvT1_,comdat
.Lfunc_end478:
	.size	_ZN7rocprim17ROCPRIM_400000_NS6detail17trampoline_kernelINS0_14default_configENS1_27scan_by_key_config_selectorIiiEEZZNS1_16scan_by_key_implILNS1_25lookback_scan_determinismE0ELb1ES3_N6thrust23THRUST_200600_302600_NS6detail15normal_iteratorINS9_10device_ptrIiEEEESE_SE_iNS9_4plusIvEENS9_8equal_toIvEEiEE10hipError_tPvRmT2_T3_T4_T5_mT6_T7_P12ihipStream_tbENKUlT_T0_E_clISt17integral_constantIbLb1EESZ_EEDaSU_SV_EUlSU_E_NS1_11comp_targetILNS1_3genE8ELNS1_11target_archE1030ELNS1_3gpuE2ELNS1_3repE0EEENS1_30default_config_static_selectorELNS0_4arch9wavefront6targetE1EEEvT1_, .Lfunc_end478-_ZN7rocprim17ROCPRIM_400000_NS6detail17trampoline_kernelINS0_14default_configENS1_27scan_by_key_config_selectorIiiEEZZNS1_16scan_by_key_implILNS1_25lookback_scan_determinismE0ELb1ES3_N6thrust23THRUST_200600_302600_NS6detail15normal_iteratorINS9_10device_ptrIiEEEESE_SE_iNS9_4plusIvEENS9_8equal_toIvEEiEE10hipError_tPvRmT2_T3_T4_T5_mT6_T7_P12ihipStream_tbENKUlT_T0_E_clISt17integral_constantIbLb1EESZ_EEDaSU_SV_EUlSU_E_NS1_11comp_targetILNS1_3genE8ELNS1_11target_archE1030ELNS1_3gpuE2ELNS1_3repE0EEENS1_30default_config_static_selectorELNS0_4arch9wavefront6targetE1EEEvT1_
                                        ; -- End function
	.section	.AMDGPU.csdata,"",@progbits
; Kernel info:
; codeLenInByte = 0
; NumSgprs: 6
; NumVgprs: 0
; NumAgprs: 0
; TotalNumVgprs: 0
; ScratchSize: 0
; MemoryBound: 0
; FloatMode: 240
; IeeeMode: 1
; LDSByteSize: 0 bytes/workgroup (compile time only)
; SGPRBlocks: 0
; VGPRBlocks: 0
; NumSGPRsForWavesPerEU: 6
; NumVGPRsForWavesPerEU: 1
; AccumOffset: 4
; Occupancy: 8
; WaveLimiterHint : 0
; COMPUTE_PGM_RSRC2:SCRATCH_EN: 0
; COMPUTE_PGM_RSRC2:USER_SGPR: 2
; COMPUTE_PGM_RSRC2:TRAP_HANDLER: 0
; COMPUTE_PGM_RSRC2:TGID_X_EN: 1
; COMPUTE_PGM_RSRC2:TGID_Y_EN: 0
; COMPUTE_PGM_RSRC2:TGID_Z_EN: 0
; COMPUTE_PGM_RSRC2:TIDIG_COMP_CNT: 0
; COMPUTE_PGM_RSRC3_GFX90A:ACCUM_OFFSET: 0
; COMPUTE_PGM_RSRC3_GFX90A:TG_SPLIT: 0
	.section	.text._ZN7rocprim17ROCPRIM_400000_NS6detail17trampoline_kernelINS0_14default_configENS1_27scan_by_key_config_selectorIiiEEZZNS1_16scan_by_key_implILNS1_25lookback_scan_determinismE0ELb1ES3_N6thrust23THRUST_200600_302600_NS6detail15normal_iteratorINS9_10device_ptrIiEEEESE_SE_iNS9_4plusIvEENS9_8equal_toIvEEiEE10hipError_tPvRmT2_T3_T4_T5_mT6_T7_P12ihipStream_tbENKUlT_T0_E_clISt17integral_constantIbLb1EESY_IbLb0EEEEDaSU_SV_EUlSU_E_NS1_11comp_targetILNS1_3genE0ELNS1_11target_archE4294967295ELNS1_3gpuE0ELNS1_3repE0EEENS1_30default_config_static_selectorELNS0_4arch9wavefront6targetE1EEEvT1_,"axG",@progbits,_ZN7rocprim17ROCPRIM_400000_NS6detail17trampoline_kernelINS0_14default_configENS1_27scan_by_key_config_selectorIiiEEZZNS1_16scan_by_key_implILNS1_25lookback_scan_determinismE0ELb1ES3_N6thrust23THRUST_200600_302600_NS6detail15normal_iteratorINS9_10device_ptrIiEEEESE_SE_iNS9_4plusIvEENS9_8equal_toIvEEiEE10hipError_tPvRmT2_T3_T4_T5_mT6_T7_P12ihipStream_tbENKUlT_T0_E_clISt17integral_constantIbLb1EESY_IbLb0EEEEDaSU_SV_EUlSU_E_NS1_11comp_targetILNS1_3genE0ELNS1_11target_archE4294967295ELNS1_3gpuE0ELNS1_3repE0EEENS1_30default_config_static_selectorELNS0_4arch9wavefront6targetE1EEEvT1_,comdat
	.protected	_ZN7rocprim17ROCPRIM_400000_NS6detail17trampoline_kernelINS0_14default_configENS1_27scan_by_key_config_selectorIiiEEZZNS1_16scan_by_key_implILNS1_25lookback_scan_determinismE0ELb1ES3_N6thrust23THRUST_200600_302600_NS6detail15normal_iteratorINS9_10device_ptrIiEEEESE_SE_iNS9_4plusIvEENS9_8equal_toIvEEiEE10hipError_tPvRmT2_T3_T4_T5_mT6_T7_P12ihipStream_tbENKUlT_T0_E_clISt17integral_constantIbLb1EESY_IbLb0EEEEDaSU_SV_EUlSU_E_NS1_11comp_targetILNS1_3genE0ELNS1_11target_archE4294967295ELNS1_3gpuE0ELNS1_3repE0EEENS1_30default_config_static_selectorELNS0_4arch9wavefront6targetE1EEEvT1_ ; -- Begin function _ZN7rocprim17ROCPRIM_400000_NS6detail17trampoline_kernelINS0_14default_configENS1_27scan_by_key_config_selectorIiiEEZZNS1_16scan_by_key_implILNS1_25lookback_scan_determinismE0ELb1ES3_N6thrust23THRUST_200600_302600_NS6detail15normal_iteratorINS9_10device_ptrIiEEEESE_SE_iNS9_4plusIvEENS9_8equal_toIvEEiEE10hipError_tPvRmT2_T3_T4_T5_mT6_T7_P12ihipStream_tbENKUlT_T0_E_clISt17integral_constantIbLb1EESY_IbLb0EEEEDaSU_SV_EUlSU_E_NS1_11comp_targetILNS1_3genE0ELNS1_11target_archE4294967295ELNS1_3gpuE0ELNS1_3repE0EEENS1_30default_config_static_selectorELNS0_4arch9wavefront6targetE1EEEvT1_
	.globl	_ZN7rocprim17ROCPRIM_400000_NS6detail17trampoline_kernelINS0_14default_configENS1_27scan_by_key_config_selectorIiiEEZZNS1_16scan_by_key_implILNS1_25lookback_scan_determinismE0ELb1ES3_N6thrust23THRUST_200600_302600_NS6detail15normal_iteratorINS9_10device_ptrIiEEEESE_SE_iNS9_4plusIvEENS9_8equal_toIvEEiEE10hipError_tPvRmT2_T3_T4_T5_mT6_T7_P12ihipStream_tbENKUlT_T0_E_clISt17integral_constantIbLb1EESY_IbLb0EEEEDaSU_SV_EUlSU_E_NS1_11comp_targetILNS1_3genE0ELNS1_11target_archE4294967295ELNS1_3gpuE0ELNS1_3repE0EEENS1_30default_config_static_selectorELNS0_4arch9wavefront6targetE1EEEvT1_
	.p2align	8
	.type	_ZN7rocprim17ROCPRIM_400000_NS6detail17trampoline_kernelINS0_14default_configENS1_27scan_by_key_config_selectorIiiEEZZNS1_16scan_by_key_implILNS1_25lookback_scan_determinismE0ELb1ES3_N6thrust23THRUST_200600_302600_NS6detail15normal_iteratorINS9_10device_ptrIiEEEESE_SE_iNS9_4plusIvEENS9_8equal_toIvEEiEE10hipError_tPvRmT2_T3_T4_T5_mT6_T7_P12ihipStream_tbENKUlT_T0_E_clISt17integral_constantIbLb1EESY_IbLb0EEEEDaSU_SV_EUlSU_E_NS1_11comp_targetILNS1_3genE0ELNS1_11target_archE4294967295ELNS1_3gpuE0ELNS1_3repE0EEENS1_30default_config_static_selectorELNS0_4arch9wavefront6targetE1EEEvT1_,@function
_ZN7rocprim17ROCPRIM_400000_NS6detail17trampoline_kernelINS0_14default_configENS1_27scan_by_key_config_selectorIiiEEZZNS1_16scan_by_key_implILNS1_25lookback_scan_determinismE0ELb1ES3_N6thrust23THRUST_200600_302600_NS6detail15normal_iteratorINS9_10device_ptrIiEEEESE_SE_iNS9_4plusIvEENS9_8equal_toIvEEiEE10hipError_tPvRmT2_T3_T4_T5_mT6_T7_P12ihipStream_tbENKUlT_T0_E_clISt17integral_constantIbLb1EESY_IbLb0EEEEDaSU_SV_EUlSU_E_NS1_11comp_targetILNS1_3genE0ELNS1_11target_archE4294967295ELNS1_3gpuE0ELNS1_3repE0EEENS1_30default_config_static_selectorELNS0_4arch9wavefront6targetE1EEEvT1_: ; @_ZN7rocprim17ROCPRIM_400000_NS6detail17trampoline_kernelINS0_14default_configENS1_27scan_by_key_config_selectorIiiEEZZNS1_16scan_by_key_implILNS1_25lookback_scan_determinismE0ELb1ES3_N6thrust23THRUST_200600_302600_NS6detail15normal_iteratorINS9_10device_ptrIiEEEESE_SE_iNS9_4plusIvEENS9_8equal_toIvEEiEE10hipError_tPvRmT2_T3_T4_T5_mT6_T7_P12ihipStream_tbENKUlT_T0_E_clISt17integral_constantIbLb1EESY_IbLb0EEEEDaSU_SV_EUlSU_E_NS1_11comp_targetILNS1_3genE0ELNS1_11target_archE4294967295ELNS1_3gpuE0ELNS1_3repE0EEENS1_30default_config_static_selectorELNS0_4arch9wavefront6targetE1EEEvT1_
; %bb.0:
	.section	.rodata,"a",@progbits
	.p2align	6, 0x0
	.amdhsa_kernel _ZN7rocprim17ROCPRIM_400000_NS6detail17trampoline_kernelINS0_14default_configENS1_27scan_by_key_config_selectorIiiEEZZNS1_16scan_by_key_implILNS1_25lookback_scan_determinismE0ELb1ES3_N6thrust23THRUST_200600_302600_NS6detail15normal_iteratorINS9_10device_ptrIiEEEESE_SE_iNS9_4plusIvEENS9_8equal_toIvEEiEE10hipError_tPvRmT2_T3_T4_T5_mT6_T7_P12ihipStream_tbENKUlT_T0_E_clISt17integral_constantIbLb1EESY_IbLb0EEEEDaSU_SV_EUlSU_E_NS1_11comp_targetILNS1_3genE0ELNS1_11target_archE4294967295ELNS1_3gpuE0ELNS1_3repE0EEENS1_30default_config_static_selectorELNS0_4arch9wavefront6targetE1EEEvT1_
		.amdhsa_group_segment_fixed_size 0
		.amdhsa_private_segment_fixed_size 0
		.amdhsa_kernarg_size 112
		.amdhsa_user_sgpr_count 2
		.amdhsa_user_sgpr_dispatch_ptr 0
		.amdhsa_user_sgpr_queue_ptr 0
		.amdhsa_user_sgpr_kernarg_segment_ptr 1
		.amdhsa_user_sgpr_dispatch_id 0
		.amdhsa_user_sgpr_kernarg_preload_length 0
		.amdhsa_user_sgpr_kernarg_preload_offset 0
		.amdhsa_user_sgpr_private_segment_size 0
		.amdhsa_uses_dynamic_stack 0
		.amdhsa_enable_private_segment 0
		.amdhsa_system_sgpr_workgroup_id_x 1
		.amdhsa_system_sgpr_workgroup_id_y 0
		.amdhsa_system_sgpr_workgroup_id_z 0
		.amdhsa_system_sgpr_workgroup_info 0
		.amdhsa_system_vgpr_workitem_id 0
		.amdhsa_next_free_vgpr 1
		.amdhsa_next_free_sgpr 0
		.amdhsa_accum_offset 4
		.amdhsa_reserve_vcc 0
		.amdhsa_float_round_mode_32 0
		.amdhsa_float_round_mode_16_64 0
		.amdhsa_float_denorm_mode_32 3
		.amdhsa_float_denorm_mode_16_64 3
		.amdhsa_dx10_clamp 1
		.amdhsa_ieee_mode 1
		.amdhsa_fp16_overflow 0
		.amdhsa_tg_split 0
		.amdhsa_exception_fp_ieee_invalid_op 0
		.amdhsa_exception_fp_denorm_src 0
		.amdhsa_exception_fp_ieee_div_zero 0
		.amdhsa_exception_fp_ieee_overflow 0
		.amdhsa_exception_fp_ieee_underflow 0
		.amdhsa_exception_fp_ieee_inexact 0
		.amdhsa_exception_int_div_zero 0
	.end_amdhsa_kernel
	.section	.text._ZN7rocprim17ROCPRIM_400000_NS6detail17trampoline_kernelINS0_14default_configENS1_27scan_by_key_config_selectorIiiEEZZNS1_16scan_by_key_implILNS1_25lookback_scan_determinismE0ELb1ES3_N6thrust23THRUST_200600_302600_NS6detail15normal_iteratorINS9_10device_ptrIiEEEESE_SE_iNS9_4plusIvEENS9_8equal_toIvEEiEE10hipError_tPvRmT2_T3_T4_T5_mT6_T7_P12ihipStream_tbENKUlT_T0_E_clISt17integral_constantIbLb1EESY_IbLb0EEEEDaSU_SV_EUlSU_E_NS1_11comp_targetILNS1_3genE0ELNS1_11target_archE4294967295ELNS1_3gpuE0ELNS1_3repE0EEENS1_30default_config_static_selectorELNS0_4arch9wavefront6targetE1EEEvT1_,"axG",@progbits,_ZN7rocprim17ROCPRIM_400000_NS6detail17trampoline_kernelINS0_14default_configENS1_27scan_by_key_config_selectorIiiEEZZNS1_16scan_by_key_implILNS1_25lookback_scan_determinismE0ELb1ES3_N6thrust23THRUST_200600_302600_NS6detail15normal_iteratorINS9_10device_ptrIiEEEESE_SE_iNS9_4plusIvEENS9_8equal_toIvEEiEE10hipError_tPvRmT2_T3_T4_T5_mT6_T7_P12ihipStream_tbENKUlT_T0_E_clISt17integral_constantIbLb1EESY_IbLb0EEEEDaSU_SV_EUlSU_E_NS1_11comp_targetILNS1_3genE0ELNS1_11target_archE4294967295ELNS1_3gpuE0ELNS1_3repE0EEENS1_30default_config_static_selectorELNS0_4arch9wavefront6targetE1EEEvT1_,comdat
.Lfunc_end479:
	.size	_ZN7rocprim17ROCPRIM_400000_NS6detail17trampoline_kernelINS0_14default_configENS1_27scan_by_key_config_selectorIiiEEZZNS1_16scan_by_key_implILNS1_25lookback_scan_determinismE0ELb1ES3_N6thrust23THRUST_200600_302600_NS6detail15normal_iteratorINS9_10device_ptrIiEEEESE_SE_iNS9_4plusIvEENS9_8equal_toIvEEiEE10hipError_tPvRmT2_T3_T4_T5_mT6_T7_P12ihipStream_tbENKUlT_T0_E_clISt17integral_constantIbLb1EESY_IbLb0EEEEDaSU_SV_EUlSU_E_NS1_11comp_targetILNS1_3genE0ELNS1_11target_archE4294967295ELNS1_3gpuE0ELNS1_3repE0EEENS1_30default_config_static_selectorELNS0_4arch9wavefront6targetE1EEEvT1_, .Lfunc_end479-_ZN7rocprim17ROCPRIM_400000_NS6detail17trampoline_kernelINS0_14default_configENS1_27scan_by_key_config_selectorIiiEEZZNS1_16scan_by_key_implILNS1_25lookback_scan_determinismE0ELb1ES3_N6thrust23THRUST_200600_302600_NS6detail15normal_iteratorINS9_10device_ptrIiEEEESE_SE_iNS9_4plusIvEENS9_8equal_toIvEEiEE10hipError_tPvRmT2_T3_T4_T5_mT6_T7_P12ihipStream_tbENKUlT_T0_E_clISt17integral_constantIbLb1EESY_IbLb0EEEEDaSU_SV_EUlSU_E_NS1_11comp_targetILNS1_3genE0ELNS1_11target_archE4294967295ELNS1_3gpuE0ELNS1_3repE0EEENS1_30default_config_static_selectorELNS0_4arch9wavefront6targetE1EEEvT1_
                                        ; -- End function
	.section	.AMDGPU.csdata,"",@progbits
; Kernel info:
; codeLenInByte = 0
; NumSgprs: 6
; NumVgprs: 0
; NumAgprs: 0
; TotalNumVgprs: 0
; ScratchSize: 0
; MemoryBound: 0
; FloatMode: 240
; IeeeMode: 1
; LDSByteSize: 0 bytes/workgroup (compile time only)
; SGPRBlocks: 0
; VGPRBlocks: 0
; NumSGPRsForWavesPerEU: 6
; NumVGPRsForWavesPerEU: 1
; AccumOffset: 4
; Occupancy: 8
; WaveLimiterHint : 0
; COMPUTE_PGM_RSRC2:SCRATCH_EN: 0
; COMPUTE_PGM_RSRC2:USER_SGPR: 2
; COMPUTE_PGM_RSRC2:TRAP_HANDLER: 0
; COMPUTE_PGM_RSRC2:TGID_X_EN: 1
; COMPUTE_PGM_RSRC2:TGID_Y_EN: 0
; COMPUTE_PGM_RSRC2:TGID_Z_EN: 0
; COMPUTE_PGM_RSRC2:TIDIG_COMP_CNT: 0
; COMPUTE_PGM_RSRC3_GFX90A:ACCUM_OFFSET: 0
; COMPUTE_PGM_RSRC3_GFX90A:TG_SPLIT: 0
	.section	.text._ZN7rocprim17ROCPRIM_400000_NS6detail17trampoline_kernelINS0_14default_configENS1_27scan_by_key_config_selectorIiiEEZZNS1_16scan_by_key_implILNS1_25lookback_scan_determinismE0ELb1ES3_N6thrust23THRUST_200600_302600_NS6detail15normal_iteratorINS9_10device_ptrIiEEEESE_SE_iNS9_4plusIvEENS9_8equal_toIvEEiEE10hipError_tPvRmT2_T3_T4_T5_mT6_T7_P12ihipStream_tbENKUlT_T0_E_clISt17integral_constantIbLb1EESY_IbLb0EEEEDaSU_SV_EUlSU_E_NS1_11comp_targetILNS1_3genE10ELNS1_11target_archE1201ELNS1_3gpuE5ELNS1_3repE0EEENS1_30default_config_static_selectorELNS0_4arch9wavefront6targetE1EEEvT1_,"axG",@progbits,_ZN7rocprim17ROCPRIM_400000_NS6detail17trampoline_kernelINS0_14default_configENS1_27scan_by_key_config_selectorIiiEEZZNS1_16scan_by_key_implILNS1_25lookback_scan_determinismE0ELb1ES3_N6thrust23THRUST_200600_302600_NS6detail15normal_iteratorINS9_10device_ptrIiEEEESE_SE_iNS9_4plusIvEENS9_8equal_toIvEEiEE10hipError_tPvRmT2_T3_T4_T5_mT6_T7_P12ihipStream_tbENKUlT_T0_E_clISt17integral_constantIbLb1EESY_IbLb0EEEEDaSU_SV_EUlSU_E_NS1_11comp_targetILNS1_3genE10ELNS1_11target_archE1201ELNS1_3gpuE5ELNS1_3repE0EEENS1_30default_config_static_selectorELNS0_4arch9wavefront6targetE1EEEvT1_,comdat
	.protected	_ZN7rocprim17ROCPRIM_400000_NS6detail17trampoline_kernelINS0_14default_configENS1_27scan_by_key_config_selectorIiiEEZZNS1_16scan_by_key_implILNS1_25lookback_scan_determinismE0ELb1ES3_N6thrust23THRUST_200600_302600_NS6detail15normal_iteratorINS9_10device_ptrIiEEEESE_SE_iNS9_4plusIvEENS9_8equal_toIvEEiEE10hipError_tPvRmT2_T3_T4_T5_mT6_T7_P12ihipStream_tbENKUlT_T0_E_clISt17integral_constantIbLb1EESY_IbLb0EEEEDaSU_SV_EUlSU_E_NS1_11comp_targetILNS1_3genE10ELNS1_11target_archE1201ELNS1_3gpuE5ELNS1_3repE0EEENS1_30default_config_static_selectorELNS0_4arch9wavefront6targetE1EEEvT1_ ; -- Begin function _ZN7rocprim17ROCPRIM_400000_NS6detail17trampoline_kernelINS0_14default_configENS1_27scan_by_key_config_selectorIiiEEZZNS1_16scan_by_key_implILNS1_25lookback_scan_determinismE0ELb1ES3_N6thrust23THRUST_200600_302600_NS6detail15normal_iteratorINS9_10device_ptrIiEEEESE_SE_iNS9_4plusIvEENS9_8equal_toIvEEiEE10hipError_tPvRmT2_T3_T4_T5_mT6_T7_P12ihipStream_tbENKUlT_T0_E_clISt17integral_constantIbLb1EESY_IbLb0EEEEDaSU_SV_EUlSU_E_NS1_11comp_targetILNS1_3genE10ELNS1_11target_archE1201ELNS1_3gpuE5ELNS1_3repE0EEENS1_30default_config_static_selectorELNS0_4arch9wavefront6targetE1EEEvT1_
	.globl	_ZN7rocprim17ROCPRIM_400000_NS6detail17trampoline_kernelINS0_14default_configENS1_27scan_by_key_config_selectorIiiEEZZNS1_16scan_by_key_implILNS1_25lookback_scan_determinismE0ELb1ES3_N6thrust23THRUST_200600_302600_NS6detail15normal_iteratorINS9_10device_ptrIiEEEESE_SE_iNS9_4plusIvEENS9_8equal_toIvEEiEE10hipError_tPvRmT2_T3_T4_T5_mT6_T7_P12ihipStream_tbENKUlT_T0_E_clISt17integral_constantIbLb1EESY_IbLb0EEEEDaSU_SV_EUlSU_E_NS1_11comp_targetILNS1_3genE10ELNS1_11target_archE1201ELNS1_3gpuE5ELNS1_3repE0EEENS1_30default_config_static_selectorELNS0_4arch9wavefront6targetE1EEEvT1_
	.p2align	8
	.type	_ZN7rocprim17ROCPRIM_400000_NS6detail17trampoline_kernelINS0_14default_configENS1_27scan_by_key_config_selectorIiiEEZZNS1_16scan_by_key_implILNS1_25lookback_scan_determinismE0ELb1ES3_N6thrust23THRUST_200600_302600_NS6detail15normal_iteratorINS9_10device_ptrIiEEEESE_SE_iNS9_4plusIvEENS9_8equal_toIvEEiEE10hipError_tPvRmT2_T3_T4_T5_mT6_T7_P12ihipStream_tbENKUlT_T0_E_clISt17integral_constantIbLb1EESY_IbLb0EEEEDaSU_SV_EUlSU_E_NS1_11comp_targetILNS1_3genE10ELNS1_11target_archE1201ELNS1_3gpuE5ELNS1_3repE0EEENS1_30default_config_static_selectorELNS0_4arch9wavefront6targetE1EEEvT1_,@function
_ZN7rocprim17ROCPRIM_400000_NS6detail17trampoline_kernelINS0_14default_configENS1_27scan_by_key_config_selectorIiiEEZZNS1_16scan_by_key_implILNS1_25lookback_scan_determinismE0ELb1ES3_N6thrust23THRUST_200600_302600_NS6detail15normal_iteratorINS9_10device_ptrIiEEEESE_SE_iNS9_4plusIvEENS9_8equal_toIvEEiEE10hipError_tPvRmT2_T3_T4_T5_mT6_T7_P12ihipStream_tbENKUlT_T0_E_clISt17integral_constantIbLb1EESY_IbLb0EEEEDaSU_SV_EUlSU_E_NS1_11comp_targetILNS1_3genE10ELNS1_11target_archE1201ELNS1_3gpuE5ELNS1_3repE0EEENS1_30default_config_static_selectorELNS0_4arch9wavefront6targetE1EEEvT1_: ; @_ZN7rocprim17ROCPRIM_400000_NS6detail17trampoline_kernelINS0_14default_configENS1_27scan_by_key_config_selectorIiiEEZZNS1_16scan_by_key_implILNS1_25lookback_scan_determinismE0ELb1ES3_N6thrust23THRUST_200600_302600_NS6detail15normal_iteratorINS9_10device_ptrIiEEEESE_SE_iNS9_4plusIvEENS9_8equal_toIvEEiEE10hipError_tPvRmT2_T3_T4_T5_mT6_T7_P12ihipStream_tbENKUlT_T0_E_clISt17integral_constantIbLb1EESY_IbLb0EEEEDaSU_SV_EUlSU_E_NS1_11comp_targetILNS1_3genE10ELNS1_11target_archE1201ELNS1_3gpuE5ELNS1_3repE0EEENS1_30default_config_static_selectorELNS0_4arch9wavefront6targetE1EEEvT1_
; %bb.0:
	.section	.rodata,"a",@progbits
	.p2align	6, 0x0
	.amdhsa_kernel _ZN7rocprim17ROCPRIM_400000_NS6detail17trampoline_kernelINS0_14default_configENS1_27scan_by_key_config_selectorIiiEEZZNS1_16scan_by_key_implILNS1_25lookback_scan_determinismE0ELb1ES3_N6thrust23THRUST_200600_302600_NS6detail15normal_iteratorINS9_10device_ptrIiEEEESE_SE_iNS9_4plusIvEENS9_8equal_toIvEEiEE10hipError_tPvRmT2_T3_T4_T5_mT6_T7_P12ihipStream_tbENKUlT_T0_E_clISt17integral_constantIbLb1EESY_IbLb0EEEEDaSU_SV_EUlSU_E_NS1_11comp_targetILNS1_3genE10ELNS1_11target_archE1201ELNS1_3gpuE5ELNS1_3repE0EEENS1_30default_config_static_selectorELNS0_4arch9wavefront6targetE1EEEvT1_
		.amdhsa_group_segment_fixed_size 0
		.amdhsa_private_segment_fixed_size 0
		.amdhsa_kernarg_size 112
		.amdhsa_user_sgpr_count 2
		.amdhsa_user_sgpr_dispatch_ptr 0
		.amdhsa_user_sgpr_queue_ptr 0
		.amdhsa_user_sgpr_kernarg_segment_ptr 1
		.amdhsa_user_sgpr_dispatch_id 0
		.amdhsa_user_sgpr_kernarg_preload_length 0
		.amdhsa_user_sgpr_kernarg_preload_offset 0
		.amdhsa_user_sgpr_private_segment_size 0
		.amdhsa_uses_dynamic_stack 0
		.amdhsa_enable_private_segment 0
		.amdhsa_system_sgpr_workgroup_id_x 1
		.amdhsa_system_sgpr_workgroup_id_y 0
		.amdhsa_system_sgpr_workgroup_id_z 0
		.amdhsa_system_sgpr_workgroup_info 0
		.amdhsa_system_vgpr_workitem_id 0
		.amdhsa_next_free_vgpr 1
		.amdhsa_next_free_sgpr 0
		.amdhsa_accum_offset 4
		.amdhsa_reserve_vcc 0
		.amdhsa_float_round_mode_32 0
		.amdhsa_float_round_mode_16_64 0
		.amdhsa_float_denorm_mode_32 3
		.amdhsa_float_denorm_mode_16_64 3
		.amdhsa_dx10_clamp 1
		.amdhsa_ieee_mode 1
		.amdhsa_fp16_overflow 0
		.amdhsa_tg_split 0
		.amdhsa_exception_fp_ieee_invalid_op 0
		.amdhsa_exception_fp_denorm_src 0
		.amdhsa_exception_fp_ieee_div_zero 0
		.amdhsa_exception_fp_ieee_overflow 0
		.amdhsa_exception_fp_ieee_underflow 0
		.amdhsa_exception_fp_ieee_inexact 0
		.amdhsa_exception_int_div_zero 0
	.end_amdhsa_kernel
	.section	.text._ZN7rocprim17ROCPRIM_400000_NS6detail17trampoline_kernelINS0_14default_configENS1_27scan_by_key_config_selectorIiiEEZZNS1_16scan_by_key_implILNS1_25lookback_scan_determinismE0ELb1ES3_N6thrust23THRUST_200600_302600_NS6detail15normal_iteratorINS9_10device_ptrIiEEEESE_SE_iNS9_4plusIvEENS9_8equal_toIvEEiEE10hipError_tPvRmT2_T3_T4_T5_mT6_T7_P12ihipStream_tbENKUlT_T0_E_clISt17integral_constantIbLb1EESY_IbLb0EEEEDaSU_SV_EUlSU_E_NS1_11comp_targetILNS1_3genE10ELNS1_11target_archE1201ELNS1_3gpuE5ELNS1_3repE0EEENS1_30default_config_static_selectorELNS0_4arch9wavefront6targetE1EEEvT1_,"axG",@progbits,_ZN7rocprim17ROCPRIM_400000_NS6detail17trampoline_kernelINS0_14default_configENS1_27scan_by_key_config_selectorIiiEEZZNS1_16scan_by_key_implILNS1_25lookback_scan_determinismE0ELb1ES3_N6thrust23THRUST_200600_302600_NS6detail15normal_iteratorINS9_10device_ptrIiEEEESE_SE_iNS9_4plusIvEENS9_8equal_toIvEEiEE10hipError_tPvRmT2_T3_T4_T5_mT6_T7_P12ihipStream_tbENKUlT_T0_E_clISt17integral_constantIbLb1EESY_IbLb0EEEEDaSU_SV_EUlSU_E_NS1_11comp_targetILNS1_3genE10ELNS1_11target_archE1201ELNS1_3gpuE5ELNS1_3repE0EEENS1_30default_config_static_selectorELNS0_4arch9wavefront6targetE1EEEvT1_,comdat
.Lfunc_end480:
	.size	_ZN7rocprim17ROCPRIM_400000_NS6detail17trampoline_kernelINS0_14default_configENS1_27scan_by_key_config_selectorIiiEEZZNS1_16scan_by_key_implILNS1_25lookback_scan_determinismE0ELb1ES3_N6thrust23THRUST_200600_302600_NS6detail15normal_iteratorINS9_10device_ptrIiEEEESE_SE_iNS9_4plusIvEENS9_8equal_toIvEEiEE10hipError_tPvRmT2_T3_T4_T5_mT6_T7_P12ihipStream_tbENKUlT_T0_E_clISt17integral_constantIbLb1EESY_IbLb0EEEEDaSU_SV_EUlSU_E_NS1_11comp_targetILNS1_3genE10ELNS1_11target_archE1201ELNS1_3gpuE5ELNS1_3repE0EEENS1_30default_config_static_selectorELNS0_4arch9wavefront6targetE1EEEvT1_, .Lfunc_end480-_ZN7rocprim17ROCPRIM_400000_NS6detail17trampoline_kernelINS0_14default_configENS1_27scan_by_key_config_selectorIiiEEZZNS1_16scan_by_key_implILNS1_25lookback_scan_determinismE0ELb1ES3_N6thrust23THRUST_200600_302600_NS6detail15normal_iteratorINS9_10device_ptrIiEEEESE_SE_iNS9_4plusIvEENS9_8equal_toIvEEiEE10hipError_tPvRmT2_T3_T4_T5_mT6_T7_P12ihipStream_tbENKUlT_T0_E_clISt17integral_constantIbLb1EESY_IbLb0EEEEDaSU_SV_EUlSU_E_NS1_11comp_targetILNS1_3genE10ELNS1_11target_archE1201ELNS1_3gpuE5ELNS1_3repE0EEENS1_30default_config_static_selectorELNS0_4arch9wavefront6targetE1EEEvT1_
                                        ; -- End function
	.section	.AMDGPU.csdata,"",@progbits
; Kernel info:
; codeLenInByte = 0
; NumSgprs: 6
; NumVgprs: 0
; NumAgprs: 0
; TotalNumVgprs: 0
; ScratchSize: 0
; MemoryBound: 0
; FloatMode: 240
; IeeeMode: 1
; LDSByteSize: 0 bytes/workgroup (compile time only)
; SGPRBlocks: 0
; VGPRBlocks: 0
; NumSGPRsForWavesPerEU: 6
; NumVGPRsForWavesPerEU: 1
; AccumOffset: 4
; Occupancy: 8
; WaveLimiterHint : 0
; COMPUTE_PGM_RSRC2:SCRATCH_EN: 0
; COMPUTE_PGM_RSRC2:USER_SGPR: 2
; COMPUTE_PGM_RSRC2:TRAP_HANDLER: 0
; COMPUTE_PGM_RSRC2:TGID_X_EN: 1
; COMPUTE_PGM_RSRC2:TGID_Y_EN: 0
; COMPUTE_PGM_RSRC2:TGID_Z_EN: 0
; COMPUTE_PGM_RSRC2:TIDIG_COMP_CNT: 0
; COMPUTE_PGM_RSRC3_GFX90A:ACCUM_OFFSET: 0
; COMPUTE_PGM_RSRC3_GFX90A:TG_SPLIT: 0
	.section	.text._ZN7rocprim17ROCPRIM_400000_NS6detail17trampoline_kernelINS0_14default_configENS1_27scan_by_key_config_selectorIiiEEZZNS1_16scan_by_key_implILNS1_25lookback_scan_determinismE0ELb1ES3_N6thrust23THRUST_200600_302600_NS6detail15normal_iteratorINS9_10device_ptrIiEEEESE_SE_iNS9_4plusIvEENS9_8equal_toIvEEiEE10hipError_tPvRmT2_T3_T4_T5_mT6_T7_P12ihipStream_tbENKUlT_T0_E_clISt17integral_constantIbLb1EESY_IbLb0EEEEDaSU_SV_EUlSU_E_NS1_11comp_targetILNS1_3genE5ELNS1_11target_archE942ELNS1_3gpuE9ELNS1_3repE0EEENS1_30default_config_static_selectorELNS0_4arch9wavefront6targetE1EEEvT1_,"axG",@progbits,_ZN7rocprim17ROCPRIM_400000_NS6detail17trampoline_kernelINS0_14default_configENS1_27scan_by_key_config_selectorIiiEEZZNS1_16scan_by_key_implILNS1_25lookback_scan_determinismE0ELb1ES3_N6thrust23THRUST_200600_302600_NS6detail15normal_iteratorINS9_10device_ptrIiEEEESE_SE_iNS9_4plusIvEENS9_8equal_toIvEEiEE10hipError_tPvRmT2_T3_T4_T5_mT6_T7_P12ihipStream_tbENKUlT_T0_E_clISt17integral_constantIbLb1EESY_IbLb0EEEEDaSU_SV_EUlSU_E_NS1_11comp_targetILNS1_3genE5ELNS1_11target_archE942ELNS1_3gpuE9ELNS1_3repE0EEENS1_30default_config_static_selectorELNS0_4arch9wavefront6targetE1EEEvT1_,comdat
	.protected	_ZN7rocprim17ROCPRIM_400000_NS6detail17trampoline_kernelINS0_14default_configENS1_27scan_by_key_config_selectorIiiEEZZNS1_16scan_by_key_implILNS1_25lookback_scan_determinismE0ELb1ES3_N6thrust23THRUST_200600_302600_NS6detail15normal_iteratorINS9_10device_ptrIiEEEESE_SE_iNS9_4plusIvEENS9_8equal_toIvEEiEE10hipError_tPvRmT2_T3_T4_T5_mT6_T7_P12ihipStream_tbENKUlT_T0_E_clISt17integral_constantIbLb1EESY_IbLb0EEEEDaSU_SV_EUlSU_E_NS1_11comp_targetILNS1_3genE5ELNS1_11target_archE942ELNS1_3gpuE9ELNS1_3repE0EEENS1_30default_config_static_selectorELNS0_4arch9wavefront6targetE1EEEvT1_ ; -- Begin function _ZN7rocprim17ROCPRIM_400000_NS6detail17trampoline_kernelINS0_14default_configENS1_27scan_by_key_config_selectorIiiEEZZNS1_16scan_by_key_implILNS1_25lookback_scan_determinismE0ELb1ES3_N6thrust23THRUST_200600_302600_NS6detail15normal_iteratorINS9_10device_ptrIiEEEESE_SE_iNS9_4plusIvEENS9_8equal_toIvEEiEE10hipError_tPvRmT2_T3_T4_T5_mT6_T7_P12ihipStream_tbENKUlT_T0_E_clISt17integral_constantIbLb1EESY_IbLb0EEEEDaSU_SV_EUlSU_E_NS1_11comp_targetILNS1_3genE5ELNS1_11target_archE942ELNS1_3gpuE9ELNS1_3repE0EEENS1_30default_config_static_selectorELNS0_4arch9wavefront6targetE1EEEvT1_
	.globl	_ZN7rocprim17ROCPRIM_400000_NS6detail17trampoline_kernelINS0_14default_configENS1_27scan_by_key_config_selectorIiiEEZZNS1_16scan_by_key_implILNS1_25lookback_scan_determinismE0ELb1ES3_N6thrust23THRUST_200600_302600_NS6detail15normal_iteratorINS9_10device_ptrIiEEEESE_SE_iNS9_4plusIvEENS9_8equal_toIvEEiEE10hipError_tPvRmT2_T3_T4_T5_mT6_T7_P12ihipStream_tbENKUlT_T0_E_clISt17integral_constantIbLb1EESY_IbLb0EEEEDaSU_SV_EUlSU_E_NS1_11comp_targetILNS1_3genE5ELNS1_11target_archE942ELNS1_3gpuE9ELNS1_3repE0EEENS1_30default_config_static_selectorELNS0_4arch9wavefront6targetE1EEEvT1_
	.p2align	8
	.type	_ZN7rocprim17ROCPRIM_400000_NS6detail17trampoline_kernelINS0_14default_configENS1_27scan_by_key_config_selectorIiiEEZZNS1_16scan_by_key_implILNS1_25lookback_scan_determinismE0ELb1ES3_N6thrust23THRUST_200600_302600_NS6detail15normal_iteratorINS9_10device_ptrIiEEEESE_SE_iNS9_4plusIvEENS9_8equal_toIvEEiEE10hipError_tPvRmT2_T3_T4_T5_mT6_T7_P12ihipStream_tbENKUlT_T0_E_clISt17integral_constantIbLb1EESY_IbLb0EEEEDaSU_SV_EUlSU_E_NS1_11comp_targetILNS1_3genE5ELNS1_11target_archE942ELNS1_3gpuE9ELNS1_3repE0EEENS1_30default_config_static_selectorELNS0_4arch9wavefront6targetE1EEEvT1_,@function
_ZN7rocprim17ROCPRIM_400000_NS6detail17trampoline_kernelINS0_14default_configENS1_27scan_by_key_config_selectorIiiEEZZNS1_16scan_by_key_implILNS1_25lookback_scan_determinismE0ELb1ES3_N6thrust23THRUST_200600_302600_NS6detail15normal_iteratorINS9_10device_ptrIiEEEESE_SE_iNS9_4plusIvEENS9_8equal_toIvEEiEE10hipError_tPvRmT2_T3_T4_T5_mT6_T7_P12ihipStream_tbENKUlT_T0_E_clISt17integral_constantIbLb1EESY_IbLb0EEEEDaSU_SV_EUlSU_E_NS1_11comp_targetILNS1_3genE5ELNS1_11target_archE942ELNS1_3gpuE9ELNS1_3repE0EEENS1_30default_config_static_selectorELNS0_4arch9wavefront6targetE1EEEvT1_: ; @_ZN7rocprim17ROCPRIM_400000_NS6detail17trampoline_kernelINS0_14default_configENS1_27scan_by_key_config_selectorIiiEEZZNS1_16scan_by_key_implILNS1_25lookback_scan_determinismE0ELb1ES3_N6thrust23THRUST_200600_302600_NS6detail15normal_iteratorINS9_10device_ptrIiEEEESE_SE_iNS9_4plusIvEENS9_8equal_toIvEEiEE10hipError_tPvRmT2_T3_T4_T5_mT6_T7_P12ihipStream_tbENKUlT_T0_E_clISt17integral_constantIbLb1EESY_IbLb0EEEEDaSU_SV_EUlSU_E_NS1_11comp_targetILNS1_3genE5ELNS1_11target_archE942ELNS1_3gpuE9ELNS1_3repE0EEENS1_30default_config_static_selectorELNS0_4arch9wavefront6targetE1EEEvT1_
; %bb.0:
	s_load_dwordx8 s[48:55], s[0:1], 0x0
	s_load_dword s76, s[0:1], 0x20
	s_load_dwordx4 s[56:59], s[0:1], 0x28
	s_load_dwordx2 s[68:69], s[0:1], 0x38
	s_load_dword s3, s[0:1], 0x40
	s_load_dwordx4 s[60:63], s[0:1], 0x48
	s_waitcnt lgkmcnt(0)
	s_lshl_b64 s[64:65], s[50:51], 2
	s_add_u32 s4, s48, s64
	s_addc_u32 s5, s49, s65
	s_add_u32 s6, s52, s64
	s_mul_i32 s0, s69, s3
	s_mul_hi_u32 s1, s68, s3
	s_addc_u32 s7, s53, s65
	s_add_i32 s8, s1, s0
	s_mul_i32 s0, s2, 0x1700
	s_mov_b32 s1, 0
	s_lshl_b64 s[66:67], s[0:1], 2
	s_add_u32 s70, s4, s66
	s_addc_u32 s71, s5, s67
	s_add_u32 s52, s6, s66
	s_mul_i32 s3, s68, s3
	s_addc_u32 s53, s7, s67
	s_add_u32 s0, s3, s2
	s_addc_u32 s1, s8, 0
	s_add_u32 s6, s60, -1
	s_addc_u32 s7, s61, -1
	v_mov_b64_e32 v[2:3], s[6:7]
	v_cmp_ge_u64_e64 s[0:1], s[0:1], v[2:3]
	s_mov_b64 s[4:5], -1
	s_and_b64 vcc, exec, s[0:1]
	s_mul_i32 s33, s6, 0xffffe900
	s_barrier
	s_cbranch_vccz .LBB481_71
; %bb.1:
	v_mov_b64_e32 v[2:3], s[70:71]
	flat_load_dword v1, v[2:3]
	s_add_i32 s3, s33, s58
	v_cmp_gt_u32_e32 vcc, s3, v0
	s_waitcnt vmcnt(0) lgkmcnt(0)
	v_mov_b32_e32 v3, v1
	s_and_saveexec_b64 s[4:5], vcc
	s_cbranch_execz .LBB481_3
; %bb.2:
	v_lshlrev_b32_e32 v2, 2, v0
	v_mov_b32_e32 v3, 0
	v_lshl_add_u64 v[2:3], s[70:71], 0, v[2:3]
	flat_load_dword v3, v[2:3]
.LBB481_3:
	s_or_b64 exec, exec, s[4:5]
	v_or_b32_e32 v2, 0x100, v0
	v_cmp_gt_u32_e64 s[48:49], s3, v2
	v_mov_b32_e32 v4, v1
	s_and_saveexec_b64 s[4:5], s[48:49]
	s_cbranch_execz .LBB481_5
; %bb.4:
	v_lshlrev_b32_e32 v4, 2, v0
	v_mov_b32_e32 v5, 0
	v_lshl_add_u64 v[4:5], s[70:71], 0, v[4:5]
	flat_load_dword v4, v[4:5] offset:1024
.LBB481_5:
	s_or_b64 exec, exec, s[4:5]
	v_or_b32_e32 v2, 0x200, v0
	v_cmp_gt_u32_e64 s[4:5], s3, v2
	v_mov_b32_e32 v5, v1
	s_and_saveexec_b64 s[6:7], s[4:5]
	s_cbranch_execz .LBB481_7
; %bb.6:
	v_lshlrev_b32_e32 v6, 2, v0
	v_mov_b32_e32 v7, 0
	v_lshl_add_u64 v[6:7], s[70:71], 0, v[6:7]
	flat_load_dword v5, v[6:7] offset:2048
.LBB481_7:
	;; [unrolled: 12-line block ×3, first 2 shown]
	s_or_b64 exec, exec, s[8:9]
	v_or_b32_e32 v10, 0x400, v0
	v_cmp_gt_u32_e64 s[8:9], s3, v10
	v_mov_b32_e32 v7, v1
	s_and_saveexec_b64 s[10:11], s[8:9]
	s_cbranch_execz .LBB481_11
; %bb.10:
	v_lshlrev_b32_e32 v8, 2, v10
	v_mov_b32_e32 v9, 0
	v_lshl_add_u64 v[8:9], s[70:71], 0, v[8:9]
	flat_load_dword v7, v[8:9]
.LBB481_11:
	s_or_b64 exec, exec, s[10:11]
	v_or_b32_e32 v11, 0x500, v0
	v_cmp_gt_u32_e64 s[10:11], s3, v11
	v_mov_b32_e32 v8, v1
	s_and_saveexec_b64 s[12:13], s[10:11]
	s_cbranch_execz .LBB481_13
; %bb.12:
	v_lshlrev_b32_e32 v8, 2, v11
	v_mov_b32_e32 v9, 0
	v_lshl_add_u64 v[8:9], s[70:71], 0, v[8:9]
	flat_load_dword v8, v[8:9]
.LBB481_13:
	;; [unrolled: 12-line block ×18, first 2 shown]
	s_or_b64 exec, exec, s[46:47]
	v_or_b32_e32 v28, 0x1600, v0
	v_cmp_gt_u32_e64 s[46:47], s3, v28
	s_and_saveexec_b64 s[50:51], s[46:47]
	s_cbranch_execz .LBB481_47
; %bb.46:
	v_lshlrev_b32_e32 v44, 2, v28
	v_mov_b32_e32 v45, 0
	v_lshl_add_u64 v[44:45], s[70:71], 0, v[44:45]
	flat_load_dword v1, v[44:45]
.LBB481_47:
	s_or_b64 exec, exec, s[50:51]
	v_lshlrev_b32_e32 v2, 2, v0
	s_waitcnt vmcnt(0) lgkmcnt(0)
	ds_write2st64_b32 v2, v3, v4 offset1:4
	ds_write2st64_b32 v2, v5, v6 offset0:8 offset1:12
	ds_write2st64_b32 v2, v7, v8 offset0:16 offset1:20
	;; [unrolled: 1-line block ×10, first 2 shown]
	ds_write_b32 v2, v1 offset:22528
	v_mov_b64_e32 v[4:5], s[70:71]
	s_waitcnt lgkmcnt(0)
	s_barrier
	flat_load_dword v1, v[4:5]
	s_movk_i32 s50, 0x58
	v_mad_u32_u24 v70, v0, s50, v2
	s_movk_i32 s50, 0xffa8
	v_mad_i32_i24 v3, v0, s50, v70
	s_movk_i32 s50, 0xff
	v_cmp_ne_u32_e64 s[50:51], s50, v0
	ds_read_b32 v72, v70
	ds_read2_b32 v[68:69], v70 offset0:1 offset1:2
	ds_read2_b32 v[66:67], v70 offset0:3 offset1:4
	;; [unrolled: 1-line block ×11, first 2 shown]
	s_waitcnt lgkmcnt(0)
	ds_write_b32 v3, v72 offset:24576
	s_waitcnt lgkmcnt(0)
	s_barrier
	s_and_saveexec_b64 s[60:61], s[50:51]
	s_cbranch_execz .LBB481_49
; %bb.48:
	s_waitcnt vmcnt(0)
	ds_read_b32 v1, v2 offset:24580
.LBB481_49:
	s_or_b64 exec, exec, s[60:61]
	v_mov_b32_e32 v3, 0
	s_waitcnt lgkmcnt(0)
	s_barrier
	s_waitcnt lgkmcnt(0)
                                        ; implicit-def: $vgpr29
	s_and_saveexec_b64 s[50:51], vcc
	s_cbranch_execz .LBB481_72
; %bb.50:
	v_lshl_add_u64 v[30:31], s[52:53], 0, v[2:3]
	flat_load_dword v29, v[30:31]
	s_or_b64 exec, exec, s[50:51]
                                        ; implicit-def: $vgpr30
	s_and_saveexec_b64 s[50:51], s[48:49]
	s_cbranch_execnz .LBB481_73
.LBB481_51:
	s_or_b64 exec, exec, s[50:51]
                                        ; implicit-def: $vgpr31
	s_and_saveexec_b64 s[48:49], s[4:5]
	s_cbranch_execz .LBB481_74
.LBB481_52:
	v_mov_b32_e32 v3, 0
	v_lshl_add_u64 v[32:33], s[52:53], 0, v[2:3]
	flat_load_dword v31, v[32:33] offset:2048
	s_or_b64 exec, exec, s[48:49]
                                        ; implicit-def: $vgpr3
	s_and_saveexec_b64 s[4:5], s[6:7]
	s_cbranch_execnz .LBB481_75
.LBB481_53:
	s_or_b64 exec, exec, s[4:5]
                                        ; implicit-def: $vgpr32
	s_and_saveexec_b64 s[4:5], s[8:9]
	s_cbranch_execz .LBB481_76
.LBB481_54:
	v_lshlrev_b32_e32 v32, 2, v10
	v_mov_b32_e32 v33, 0
	v_lshl_add_u64 v[32:33], s[52:53], 0, v[32:33]
	flat_load_dword v32, v[32:33]
	s_or_b64 exec, exec, s[4:5]
                                        ; implicit-def: $vgpr10
	s_and_saveexec_b64 s[4:5], s[10:11]
	s_cbranch_execnz .LBB481_77
.LBB481_55:
	s_or_b64 exec, exec, s[4:5]
                                        ; implicit-def: $vgpr11
	s_and_saveexec_b64 s[4:5], s[12:13]
	s_cbranch_execz .LBB481_78
.LBB481_56:
	v_lshlrev_b32_e32 v34, 2, v12
	v_mov_b32_e32 v35, 0
	v_lshl_add_u64 v[34:35], s[52:53], 0, v[34:35]
	flat_load_dword v11, v[34:35]
	s_or_b64 exec, exec, s[4:5]
                                        ; implicit-def: $vgpr12
	s_and_saveexec_b64 s[4:5], s[14:15]
	s_cbranch_execnz .LBB481_79
.LBB481_57:
	s_or_b64 exec, exec, s[4:5]
                                        ; implicit-def: $vgpr13
	s_and_saveexec_b64 s[4:5], s[16:17]
	s_cbranch_execz .LBB481_80
.LBB481_58:
	v_lshlrev_b32_e32 v34, 2, v14
	v_mov_b32_e32 v35, 0
	v_lshl_add_u64 v[34:35], s[52:53], 0, v[34:35]
	flat_load_dword v13, v[34:35]
	s_or_b64 exec, exec, s[4:5]
                                        ; implicit-def: $vgpr14
	s_and_saveexec_b64 s[4:5], s[18:19]
	s_cbranch_execnz .LBB481_81
.LBB481_59:
	s_or_b64 exec, exec, s[4:5]
                                        ; implicit-def: $vgpr15
	s_and_saveexec_b64 s[4:5], s[20:21]
	s_cbranch_execz .LBB481_82
.LBB481_60:
	v_lshlrev_b32_e32 v34, 2, v16
	v_mov_b32_e32 v35, 0
	v_lshl_add_u64 v[34:35], s[52:53], 0, v[34:35]
	flat_load_dword v15, v[34:35]
	s_or_b64 exec, exec, s[4:5]
                                        ; implicit-def: $vgpr16
	s_and_saveexec_b64 s[4:5], s[22:23]
	s_cbranch_execnz .LBB481_83
.LBB481_61:
	s_or_b64 exec, exec, s[4:5]
                                        ; implicit-def: $vgpr17
	s_and_saveexec_b64 s[4:5], s[24:25]
	s_cbranch_execz .LBB481_84
.LBB481_62:
	v_lshlrev_b32_e32 v34, 2, v18
	v_mov_b32_e32 v35, 0
	v_lshl_add_u64 v[34:35], s[52:53], 0, v[34:35]
	flat_load_dword v17, v[34:35]
	s_or_b64 exec, exec, s[4:5]
                                        ; implicit-def: $vgpr18
	s_and_saveexec_b64 s[4:5], s[26:27]
	s_cbranch_execnz .LBB481_85
.LBB481_63:
	s_or_b64 exec, exec, s[4:5]
                                        ; implicit-def: $vgpr19
	s_and_saveexec_b64 s[4:5], s[28:29]
	s_cbranch_execz .LBB481_86
.LBB481_64:
	v_lshlrev_b32_e32 v34, 2, v20
	v_mov_b32_e32 v35, 0
	v_lshl_add_u64 v[34:35], s[52:53], 0, v[34:35]
	flat_load_dword v19, v[34:35]
	s_or_b64 exec, exec, s[4:5]
                                        ; implicit-def: $vgpr20
	s_and_saveexec_b64 s[4:5], s[30:31]
	s_cbranch_execnz .LBB481_87
.LBB481_65:
	s_or_b64 exec, exec, s[4:5]
                                        ; implicit-def: $vgpr21
	s_and_saveexec_b64 s[4:5], s[34:35]
	s_cbranch_execz .LBB481_88
.LBB481_66:
	v_lshlrev_b32_e32 v34, 2, v22
	v_mov_b32_e32 v35, 0
	v_lshl_add_u64 v[34:35], s[52:53], 0, v[34:35]
	flat_load_dword v21, v[34:35]
	s_or_b64 exec, exec, s[4:5]
                                        ; implicit-def: $vgpr22
	s_and_saveexec_b64 s[4:5], s[36:37]
	s_cbranch_execnz .LBB481_89
.LBB481_67:
	s_or_b64 exec, exec, s[4:5]
                                        ; implicit-def: $vgpr23
	s_and_saveexec_b64 s[4:5], s[38:39]
	s_cbranch_execz .LBB481_90
.LBB481_68:
	v_lshlrev_b32_e32 v34, 2, v24
	v_mov_b32_e32 v35, 0
	v_lshl_add_u64 v[34:35], s[52:53], 0, v[34:35]
	flat_load_dword v23, v[34:35]
	s_or_b64 exec, exec, s[4:5]
                                        ; implicit-def: $vgpr24
	s_and_saveexec_b64 s[4:5], s[40:41]
	s_cbranch_execnz .LBB481_91
.LBB481_69:
	s_or_b64 exec, exec, s[4:5]
                                        ; implicit-def: $vgpr25
	s_and_saveexec_b64 s[4:5], s[42:43]
	s_cbranch_execz .LBB481_92
.LBB481_70:
	v_lshlrev_b32_e32 v34, 2, v26
	v_mov_b32_e32 v35, 0
	v_lshl_add_u64 v[34:35], s[52:53], 0, v[34:35]
	flat_load_dword v25, v[34:35]
	s_or_b64 exec, exec, s[4:5]
                                        ; implicit-def: $vgpr26
	s_and_saveexec_b64 s[4:5], s[44:45]
	s_cbranch_execz .LBB481_94
	s_branch .LBB481_93
.LBB481_71:
	s_mov_b64 s[10:11], 0
                                        ; implicit-def: $sgpr8_sgpr9
                                        ; implicit-def: $vgpr2
                                        ; implicit-def: $vgpr10_vgpr11
                                        ; implicit-def: $vgpr12_vgpr13
                                        ; implicit-def: $vgpr14_vgpr15
                                        ; implicit-def: $vgpr16_vgpr17
                                        ; implicit-def: $vgpr18_vgpr19
                                        ; implicit-def: $vgpr20_vgpr21
                                        ; implicit-def: $vgpr22_vgpr23
                                        ; implicit-def: $vgpr24_vgpr25
                                        ; implicit-def: $vgpr26_vgpr27
                                        ; implicit-def: $vgpr28_vgpr29
                                        ; implicit-def: $vgpr30_vgpr31
                                        ; implicit-def: $vgpr32_vgpr33
                                        ; implicit-def: $vgpr34_vgpr35
                                        ; implicit-def: $vgpr36_vgpr37
                                        ; implicit-def: $vgpr38_vgpr39
                                        ; implicit-def: $vgpr40_vgpr41
                                        ; implicit-def: $vgpr42_vgpr43
                                        ; implicit-def: $vgpr44_vgpr45
                                        ; implicit-def: $vgpr46_vgpr47
                                        ; implicit-def: $vgpr48_vgpr49
                                        ; implicit-def: $vgpr50_vgpr51
                                        ; implicit-def: $vgpr52_vgpr53
                                        ; implicit-def: $sgpr6_sgpr7
	s_and_b64 vcc, exec, s[4:5]
	v_lshlrev_b32_e32 v54, 2, v0
	s_cbranch_vccz .LBB481_148
	s_branch .LBB481_143
.LBB481_72:
	s_or_b64 exec, exec, s[50:51]
                                        ; implicit-def: $vgpr30
	s_and_saveexec_b64 s[50:51], s[48:49]
	s_cbranch_execz .LBB481_51
.LBB481_73:
	v_mov_b32_e32 v3, 0
	v_lshl_add_u64 v[30:31], s[52:53], 0, v[2:3]
	flat_load_dword v30, v[30:31] offset:1024
	s_or_b64 exec, exec, s[50:51]
                                        ; implicit-def: $vgpr31
	s_and_saveexec_b64 s[48:49], s[4:5]
	s_cbranch_execnz .LBB481_52
.LBB481_74:
	s_or_b64 exec, exec, s[48:49]
                                        ; implicit-def: $vgpr3
	s_and_saveexec_b64 s[4:5], s[6:7]
	s_cbranch_execz .LBB481_53
.LBB481_75:
	v_mov_b32_e32 v3, 0
	v_lshl_add_u64 v[32:33], s[52:53], 0, v[2:3]
	flat_load_dword v3, v[32:33] offset:3072
	s_or_b64 exec, exec, s[4:5]
                                        ; implicit-def: $vgpr32
	s_and_saveexec_b64 s[4:5], s[8:9]
	s_cbranch_execnz .LBB481_54
.LBB481_76:
	s_or_b64 exec, exec, s[4:5]
                                        ; implicit-def: $vgpr10
	s_and_saveexec_b64 s[4:5], s[10:11]
	s_cbranch_execz .LBB481_55
.LBB481_77:
	v_lshlrev_b32_e32 v10, 2, v11
	v_mov_b32_e32 v11, 0
	v_lshl_add_u64 v[10:11], s[52:53], 0, v[10:11]
	flat_load_dword v10, v[10:11]
	s_or_b64 exec, exec, s[4:5]
                                        ; implicit-def: $vgpr11
	s_and_saveexec_b64 s[4:5], s[12:13]
	s_cbranch_execnz .LBB481_56
.LBB481_78:
	s_or_b64 exec, exec, s[4:5]
                                        ; implicit-def: $vgpr12
	s_and_saveexec_b64 s[4:5], s[14:15]
	s_cbranch_execz .LBB481_57
.LBB481_79:
	v_lshlrev_b32_e32 v12, 2, v13
	v_mov_b32_e32 v13, 0
	v_lshl_add_u64 v[12:13], s[52:53], 0, v[12:13]
	flat_load_dword v12, v[12:13]
	s_or_b64 exec, exec, s[4:5]
                                        ; implicit-def: $vgpr13
	s_and_saveexec_b64 s[4:5], s[16:17]
	s_cbranch_execnz .LBB481_58
.LBB481_80:
	s_or_b64 exec, exec, s[4:5]
                                        ; implicit-def: $vgpr14
	s_and_saveexec_b64 s[4:5], s[18:19]
	s_cbranch_execz .LBB481_59
.LBB481_81:
	v_lshlrev_b32_e32 v14, 2, v15
	v_mov_b32_e32 v15, 0
	v_lshl_add_u64 v[14:15], s[52:53], 0, v[14:15]
	flat_load_dword v14, v[14:15]
	s_or_b64 exec, exec, s[4:5]
                                        ; implicit-def: $vgpr15
	s_and_saveexec_b64 s[4:5], s[20:21]
	s_cbranch_execnz .LBB481_60
.LBB481_82:
	s_or_b64 exec, exec, s[4:5]
                                        ; implicit-def: $vgpr16
	s_and_saveexec_b64 s[4:5], s[22:23]
	s_cbranch_execz .LBB481_61
.LBB481_83:
	v_lshlrev_b32_e32 v16, 2, v17
	v_mov_b32_e32 v17, 0
	v_lshl_add_u64 v[16:17], s[52:53], 0, v[16:17]
	flat_load_dword v16, v[16:17]
	s_or_b64 exec, exec, s[4:5]
                                        ; implicit-def: $vgpr17
	s_and_saveexec_b64 s[4:5], s[24:25]
	s_cbranch_execnz .LBB481_62
.LBB481_84:
	s_or_b64 exec, exec, s[4:5]
                                        ; implicit-def: $vgpr18
	s_and_saveexec_b64 s[4:5], s[26:27]
	s_cbranch_execz .LBB481_63
.LBB481_85:
	v_lshlrev_b32_e32 v18, 2, v19
	v_mov_b32_e32 v19, 0
	v_lshl_add_u64 v[18:19], s[52:53], 0, v[18:19]
	flat_load_dword v18, v[18:19]
	s_or_b64 exec, exec, s[4:5]
                                        ; implicit-def: $vgpr19
	s_and_saveexec_b64 s[4:5], s[28:29]
	s_cbranch_execnz .LBB481_64
.LBB481_86:
	s_or_b64 exec, exec, s[4:5]
                                        ; implicit-def: $vgpr20
	s_and_saveexec_b64 s[4:5], s[30:31]
	s_cbranch_execz .LBB481_65
.LBB481_87:
	v_lshlrev_b32_e32 v20, 2, v21
	v_mov_b32_e32 v21, 0
	v_lshl_add_u64 v[20:21], s[52:53], 0, v[20:21]
	flat_load_dword v20, v[20:21]
	s_or_b64 exec, exec, s[4:5]
                                        ; implicit-def: $vgpr21
	s_and_saveexec_b64 s[4:5], s[34:35]
	s_cbranch_execnz .LBB481_66
.LBB481_88:
	s_or_b64 exec, exec, s[4:5]
                                        ; implicit-def: $vgpr22
	s_and_saveexec_b64 s[4:5], s[36:37]
	s_cbranch_execz .LBB481_67
.LBB481_89:
	v_lshlrev_b32_e32 v22, 2, v23
	v_mov_b32_e32 v23, 0
	v_lshl_add_u64 v[22:23], s[52:53], 0, v[22:23]
	flat_load_dword v22, v[22:23]
	s_or_b64 exec, exec, s[4:5]
                                        ; implicit-def: $vgpr23
	s_and_saveexec_b64 s[4:5], s[38:39]
	s_cbranch_execnz .LBB481_68
.LBB481_90:
	s_or_b64 exec, exec, s[4:5]
                                        ; implicit-def: $vgpr24
	s_and_saveexec_b64 s[4:5], s[40:41]
	s_cbranch_execz .LBB481_69
.LBB481_91:
	v_lshlrev_b32_e32 v24, 2, v25
	v_mov_b32_e32 v25, 0
	v_lshl_add_u64 v[24:25], s[52:53], 0, v[24:25]
	flat_load_dword v24, v[24:25]
	s_or_b64 exec, exec, s[4:5]
                                        ; implicit-def: $vgpr25
	s_and_saveexec_b64 s[4:5], s[42:43]
	s_cbranch_execnz .LBB481_70
.LBB481_92:
	s_or_b64 exec, exec, s[4:5]
                                        ; implicit-def: $vgpr26
	s_and_saveexec_b64 s[4:5], s[44:45]
	s_cbranch_execz .LBB481_94
.LBB481_93:
	v_lshlrev_b32_e32 v26, 2, v27
	v_mov_b32_e32 v27, 0
	v_lshl_add_u64 v[26:27], s[52:53], 0, v[26:27]
	flat_load_dword v26, v[26:27]
.LBB481_94:
	s_or_b64 exec, exec, s[4:5]
	v_mul_u32_u24_e32 v71, 23, v0
                                        ; implicit-def: $vgpr27
	s_and_saveexec_b64 s[4:5], s[46:47]
	s_cbranch_execz .LBB481_96
; %bb.95:
	v_lshlrev_b32_e32 v34, 2, v28
	v_mov_b32_e32 v35, 0
	v_lshl_add_u64 v[34:35], s[52:53], 0, v[34:35]
	flat_load_dword v27, v[34:35]
.LBB481_96:
	s_or_b64 exec, exec, s[4:5]
	s_waitcnt vmcnt(0) lgkmcnt(0)
	ds_write2st64_b32 v2, v29, v30 offset1:4
	ds_write2st64_b32 v2, v31, v3 offset0:8 offset1:12
	ds_write2st64_b32 v2, v32, v10 offset0:16 offset1:20
	;; [unrolled: 1-line block ×10, first 2 shown]
	ds_write_b32 v2, v27 offset:22528
	v_mov_b64_e32 v[10:11], 0
	v_cmp_gt_u32_e32 vcc, s3, v71
	s_mov_b64 s[10:11], 0
	s_mov_b64 s[4:5], 0
	v_mov_b64_e32 v[12:13], v[10:11]
	v_mov_b64_e32 v[14:15], v[10:11]
	;; [unrolled: 1-line block ×21, first 2 shown]
	s_waitcnt lgkmcnt(0)
	s_barrier
	s_waitcnt lgkmcnt(0)
                                        ; implicit-def: $sgpr8_sgpr9
                                        ; implicit-def: $vgpr2
	s_and_saveexec_b64 s[6:7], vcc
	s_cbranch_execz .LBB481_142
; %bb.97:
	ds_read_b32 v2, v70
	v_mov_b32_e32 v10, s76
	v_cmp_eq_u32_e32 vcc, v72, v68
	v_add_u32_e32 v3, 1, v71
	v_mov_b64_e32 v[12:13], 0
	s_waitcnt lgkmcnt(0)
	v_cndmask_b32_e32 v10, v10, v2, vcc
	v_cmp_ne_u32_e32 vcc, v72, v68
	s_mov_b64 s[12:13], 0
	v_mov_b64_e32 v[14:15], v[12:13]
	v_cndmask_b32_e64 v11, 0, 1, vcc
	v_cmp_gt_u32_e32 vcc, s3, v3
	v_mov_b64_e32 v[16:17], v[12:13]
	v_mov_b64_e32 v[18:19], v[12:13]
	;; [unrolled: 1-line block ×19, first 2 shown]
                                        ; implicit-def: $sgpr14_sgpr15
                                        ; implicit-def: $vgpr2
	s_and_saveexec_b64 s[8:9], vcc
	s_cbranch_execz .LBB481_141
; %bb.98:
	ds_read2_b32 v[2:3], v70 offset0:1 offset1:2
	v_mov_b32_e32 v12, s76
	v_cmp_eq_u32_e32 vcc, v68, v69
	v_add_u32_e32 v14, 2, v71
	s_mov_b64 s[14:15], 0
	s_waitcnt lgkmcnt(0)
	v_cndmask_b32_e32 v12, v12, v2, vcc
	v_cmp_ne_u32_e32 vcc, v68, v69
                                        ; implicit-def: $sgpr16_sgpr17
                                        ; implicit-def: $vgpr2
	s_nop 1
	v_cndmask_b32_e64 v13, 0, 1, vcc
	v_cmp_gt_u32_e32 vcc, s3, v14
	v_mov_b64_e32 v[14:15], 0
	v_mov_b64_e32 v[16:17], v[14:15]
	;; [unrolled: 1-line block ×20, first 2 shown]
	s_and_saveexec_b64 s[10:11], vcc
	s_cbranch_execz .LBB481_140
; %bb.99:
	v_mov_b32_e32 v14, s76
	v_cmp_eq_u32_e32 vcc, v69, v66
	v_add_u32_e32 v2, 3, v71
	v_mov_b64_e32 v[16:17], 0
	v_cndmask_b32_e32 v14, v14, v3, vcc
	v_cmp_ne_u32_e32 vcc, v69, v66
	s_mov_b64 s[16:17], 0
	v_mov_b64_e32 v[18:19], v[16:17]
	v_cndmask_b32_e64 v15, 0, 1, vcc
	v_cmp_gt_u32_e32 vcc, s3, v2
	v_mov_b64_e32 v[20:21], v[16:17]
	v_mov_b64_e32 v[22:23], v[16:17]
	v_mov_b64_e32 v[24:25], v[16:17]
	v_mov_b64_e32 v[26:27], v[16:17]
	v_mov_b64_e32 v[28:29], v[16:17]
	v_mov_b64_e32 v[30:31], v[16:17]
	v_mov_b64_e32 v[32:33], v[16:17]
	v_mov_b64_e32 v[34:35], v[16:17]
	v_mov_b64_e32 v[36:37], v[16:17]
	v_mov_b64_e32 v[38:39], v[16:17]
	v_mov_b64_e32 v[40:41], v[16:17]
	v_mov_b64_e32 v[42:43], v[16:17]
	v_mov_b64_e32 v[44:45], v[16:17]
	v_mov_b64_e32 v[46:47], v[16:17]
	v_mov_b64_e32 v[48:49], v[16:17]
	v_mov_b64_e32 v[50:51], v[16:17]
	v_mov_b64_e32 v[52:53], v[16:17]
                                        ; implicit-def: $sgpr18_sgpr19
                                        ; implicit-def: $vgpr2
	s_and_saveexec_b64 s[12:13], vcc
	s_cbranch_execz .LBB481_139
; %bb.100:
	ds_read2_b32 v[2:3], v70 offset0:3 offset1:4
	v_mov_b32_e32 v16, s76
	v_cmp_eq_u32_e32 vcc, v66, v67
	v_add_u32_e32 v18, 4, v71
	s_mov_b64 s[18:19], 0
	s_waitcnt lgkmcnt(0)
	v_cndmask_b32_e32 v16, v16, v2, vcc
	v_cmp_ne_u32_e32 vcc, v66, v67
                                        ; implicit-def: $sgpr20_sgpr21
                                        ; implicit-def: $vgpr2
	s_nop 1
	v_cndmask_b32_e64 v17, 0, 1, vcc
	v_cmp_gt_u32_e32 vcc, s3, v18
	v_mov_b64_e32 v[18:19], 0
	v_mov_b64_e32 v[20:21], v[18:19]
	;; [unrolled: 1-line block ×18, first 2 shown]
	s_and_saveexec_b64 s[14:15], vcc
	s_cbranch_execz .LBB481_138
; %bb.101:
	v_mov_b32_e32 v18, s76
	v_cmp_eq_u32_e32 vcc, v67, v64
	v_add_u32_e32 v2, 5, v71
	v_mov_b64_e32 v[20:21], 0
	v_cndmask_b32_e32 v18, v18, v3, vcc
	v_cmp_ne_u32_e32 vcc, v67, v64
	s_mov_b64 s[20:21], 0
	v_mov_b64_e32 v[22:23], v[20:21]
	v_cndmask_b32_e64 v19, 0, 1, vcc
	v_cmp_gt_u32_e32 vcc, s3, v2
	v_mov_b64_e32 v[24:25], v[20:21]
	v_mov_b64_e32 v[26:27], v[20:21]
	;; [unrolled: 1-line block ×15, first 2 shown]
                                        ; implicit-def: $sgpr22_sgpr23
                                        ; implicit-def: $vgpr2
	s_and_saveexec_b64 s[16:17], vcc
	s_cbranch_execz .LBB481_137
; %bb.102:
	ds_read2_b32 v[2:3], v70 offset0:5 offset1:6
	v_mov_b32_e32 v20, s76
	v_cmp_eq_u32_e32 vcc, v64, v65
	v_add_u32_e32 v22, 6, v71
	s_mov_b64 s[22:23], 0
	s_waitcnt lgkmcnt(0)
	v_cndmask_b32_e32 v20, v20, v2, vcc
	v_cmp_ne_u32_e32 vcc, v64, v65
                                        ; implicit-def: $sgpr24_sgpr25
                                        ; implicit-def: $vgpr2
	s_nop 1
	v_cndmask_b32_e64 v21, 0, 1, vcc
	v_cmp_gt_u32_e32 vcc, s3, v22
	v_mov_b64_e32 v[22:23], 0
	v_mov_b64_e32 v[24:25], v[22:23]
	v_mov_b64_e32 v[26:27], v[22:23]
	v_mov_b64_e32 v[28:29], v[22:23]
	v_mov_b64_e32 v[30:31], v[22:23]
	v_mov_b64_e32 v[32:33], v[22:23]
	v_mov_b64_e32 v[34:35], v[22:23]
	v_mov_b64_e32 v[36:37], v[22:23]
	v_mov_b64_e32 v[38:39], v[22:23]
	v_mov_b64_e32 v[40:41], v[22:23]
	v_mov_b64_e32 v[42:43], v[22:23]
	v_mov_b64_e32 v[44:45], v[22:23]
	v_mov_b64_e32 v[46:47], v[22:23]
	v_mov_b64_e32 v[48:49], v[22:23]
	v_mov_b64_e32 v[50:51], v[22:23]
	v_mov_b64_e32 v[52:53], v[22:23]
	s_and_saveexec_b64 s[18:19], vcc
	s_cbranch_execz .LBB481_136
; %bb.103:
	v_mov_b32_e32 v22, s76
	v_cmp_eq_u32_e32 vcc, v65, v62
	v_add_u32_e32 v2, 7, v71
	v_mov_b64_e32 v[24:25], 0
	v_cndmask_b32_e32 v22, v22, v3, vcc
	v_cmp_ne_u32_e32 vcc, v65, v62
	s_mov_b64 s[24:25], 0
	v_mov_b64_e32 v[26:27], v[24:25]
	v_cndmask_b32_e64 v23, 0, 1, vcc
	v_cmp_gt_u32_e32 vcc, s3, v2
	v_mov_b64_e32 v[28:29], v[24:25]
	v_mov_b64_e32 v[30:31], v[24:25]
	;; [unrolled: 1-line block ×13, first 2 shown]
                                        ; implicit-def: $sgpr26_sgpr27
                                        ; implicit-def: $vgpr2
	s_and_saveexec_b64 s[20:21], vcc
	s_cbranch_execz .LBB481_135
; %bb.104:
	ds_read2_b32 v[2:3], v70 offset0:7 offset1:8
	v_mov_b32_e32 v24, s76
	v_cmp_eq_u32_e32 vcc, v62, v63
	v_add_u32_e32 v26, 8, v71
	s_mov_b64 s[26:27], 0
	s_waitcnt lgkmcnt(0)
	v_cndmask_b32_e32 v24, v24, v2, vcc
	v_cmp_ne_u32_e32 vcc, v62, v63
                                        ; implicit-def: $sgpr28_sgpr29
                                        ; implicit-def: $vgpr2
	s_nop 1
	v_cndmask_b32_e64 v25, 0, 1, vcc
	v_cmp_gt_u32_e32 vcc, s3, v26
	v_mov_b64_e32 v[26:27], 0
	v_mov_b64_e32 v[28:29], v[26:27]
	v_mov_b64_e32 v[30:31], v[26:27]
	v_mov_b64_e32 v[32:33], v[26:27]
	v_mov_b64_e32 v[34:35], v[26:27]
	v_mov_b64_e32 v[36:37], v[26:27]
	v_mov_b64_e32 v[38:39], v[26:27]
	v_mov_b64_e32 v[40:41], v[26:27]
	v_mov_b64_e32 v[42:43], v[26:27]
	v_mov_b64_e32 v[44:45], v[26:27]
	v_mov_b64_e32 v[46:47], v[26:27]
	v_mov_b64_e32 v[48:49], v[26:27]
	v_mov_b64_e32 v[50:51], v[26:27]
	v_mov_b64_e32 v[52:53], v[26:27]
	s_and_saveexec_b64 s[22:23], vcc
	s_cbranch_execz .LBB481_134
; %bb.105:
	v_mov_b32_e32 v26, s76
	v_cmp_eq_u32_e32 vcc, v63, v60
	v_add_u32_e32 v2, 9, v71
	v_mov_b64_e32 v[28:29], 0
	v_cndmask_b32_e32 v26, v26, v3, vcc
	v_cmp_ne_u32_e32 vcc, v63, v60
	s_mov_b64 s[28:29], 0
	v_mov_b64_e32 v[30:31], v[28:29]
	v_cndmask_b32_e64 v27, 0, 1, vcc
	v_cmp_gt_u32_e32 vcc, s3, v2
	v_mov_b64_e32 v[32:33], v[28:29]
	v_mov_b64_e32 v[34:35], v[28:29]
	;; [unrolled: 1-line block ×11, first 2 shown]
                                        ; implicit-def: $sgpr30_sgpr31
                                        ; implicit-def: $vgpr2
	s_and_saveexec_b64 s[24:25], vcc
	s_cbranch_execz .LBB481_133
; %bb.106:
	ds_read2_b32 v[2:3], v70 offset0:9 offset1:10
	v_mov_b32_e32 v28, s76
	v_cmp_eq_u32_e32 vcc, v60, v61
	v_add_u32_e32 v30, 10, v71
	s_mov_b64 s[30:31], 0
	s_waitcnt lgkmcnt(0)
	v_cndmask_b32_e32 v28, v28, v2, vcc
	v_cmp_ne_u32_e32 vcc, v60, v61
                                        ; implicit-def: $sgpr34_sgpr35
                                        ; implicit-def: $vgpr2
	s_nop 1
	v_cndmask_b32_e64 v29, 0, 1, vcc
	v_cmp_gt_u32_e32 vcc, s3, v30
	v_mov_b64_e32 v[30:31], 0
	v_mov_b64_e32 v[32:33], v[30:31]
	;; [unrolled: 1-line block ×12, first 2 shown]
	s_and_saveexec_b64 s[26:27], vcc
	s_cbranch_execz .LBB481_132
; %bb.107:
	v_mov_b32_e32 v30, s76
	v_cmp_eq_u32_e32 vcc, v61, v58
	v_add_u32_e32 v2, 11, v71
	v_mov_b64_e32 v[32:33], 0
	v_cndmask_b32_e32 v30, v30, v3, vcc
	v_cmp_ne_u32_e32 vcc, v61, v58
	s_mov_b64 s[34:35], 0
	v_mov_b64_e32 v[34:35], v[32:33]
	v_cndmask_b32_e64 v31, 0, 1, vcc
	v_cmp_gt_u32_e32 vcc, s3, v2
	v_mov_b64_e32 v[36:37], v[32:33]
	v_mov_b64_e32 v[38:39], v[32:33]
	;; [unrolled: 1-line block ×9, first 2 shown]
                                        ; implicit-def: $sgpr36_sgpr37
                                        ; implicit-def: $vgpr2
	s_and_saveexec_b64 s[28:29], vcc
	s_cbranch_execz .LBB481_131
; %bb.108:
	ds_read2_b32 v[2:3], v70 offset0:11 offset1:12
	v_mov_b32_e32 v32, s76
	v_cmp_eq_u32_e32 vcc, v58, v59
	v_add_u32_e32 v34, 12, v71
	s_mov_b64 s[36:37], 0
	s_waitcnt lgkmcnt(0)
	v_cndmask_b32_e32 v32, v32, v2, vcc
	v_cmp_ne_u32_e32 vcc, v58, v59
                                        ; implicit-def: $sgpr38_sgpr39
                                        ; implicit-def: $vgpr2
	s_nop 1
	v_cndmask_b32_e64 v33, 0, 1, vcc
	v_cmp_gt_u32_e32 vcc, s3, v34
	v_mov_b64_e32 v[34:35], 0
	v_mov_b64_e32 v[36:37], v[34:35]
	;; [unrolled: 1-line block ×10, first 2 shown]
	s_and_saveexec_b64 s[30:31], vcc
	s_cbranch_execz .LBB481_130
; %bb.109:
	v_mov_b32_e32 v34, s76
	v_cmp_eq_u32_e32 vcc, v59, v56
	v_add_u32_e32 v2, 13, v71
	v_mov_b64_e32 v[36:37], 0
	v_cndmask_b32_e32 v34, v34, v3, vcc
	v_cmp_ne_u32_e32 vcc, v59, v56
	s_mov_b64 s[38:39], 0
	v_mov_b64_e32 v[38:39], v[36:37]
	v_cndmask_b32_e64 v35, 0, 1, vcc
	v_cmp_gt_u32_e32 vcc, s3, v2
	v_mov_b64_e32 v[40:41], v[36:37]
	v_mov_b64_e32 v[42:43], v[36:37]
	;; [unrolled: 1-line block ×7, first 2 shown]
                                        ; implicit-def: $sgpr40_sgpr41
                                        ; implicit-def: $vgpr2
	s_and_saveexec_b64 s[34:35], vcc
	s_cbranch_execz .LBB481_129
; %bb.110:
	ds_read2_b32 v[2:3], v70 offset0:13 offset1:14
	v_mov_b32_e32 v36, s76
	v_cmp_eq_u32_e32 vcc, v56, v57
	v_add_u32_e32 v38, 14, v71
	s_mov_b64 s[40:41], 0
	s_waitcnt lgkmcnt(0)
	v_cndmask_b32_e32 v36, v36, v2, vcc
	v_cmp_ne_u32_e32 vcc, v56, v57
                                        ; implicit-def: $sgpr42_sgpr43
                                        ; implicit-def: $vgpr2
	s_nop 1
	v_cndmask_b32_e64 v37, 0, 1, vcc
	v_cmp_gt_u32_e32 vcc, s3, v38
	v_mov_b64_e32 v[38:39], 0
	v_mov_b64_e32 v[40:41], v[38:39]
	;; [unrolled: 1-line block ×8, first 2 shown]
	s_and_saveexec_b64 s[36:37], vcc
	s_cbranch_execz .LBB481_128
; %bb.111:
	v_mov_b32_e32 v38, s76
	v_cmp_eq_u32_e32 vcc, v57, v54
	v_add_u32_e32 v2, 15, v71
	v_mov_b64_e32 v[40:41], 0
	v_cndmask_b32_e32 v38, v38, v3, vcc
	v_cmp_ne_u32_e32 vcc, v57, v54
	s_mov_b64 s[42:43], 0
	v_mov_b64_e32 v[42:43], v[40:41]
	v_cndmask_b32_e64 v39, 0, 1, vcc
	v_cmp_gt_u32_e32 vcc, s3, v2
	v_mov_b64_e32 v[44:45], v[40:41]
	v_mov_b64_e32 v[46:47], v[40:41]
	;; [unrolled: 1-line block ×5, first 2 shown]
                                        ; implicit-def: $sgpr44_sgpr45
                                        ; implicit-def: $vgpr2
	s_and_saveexec_b64 s[38:39], vcc
	s_cbranch_execz .LBB481_127
; %bb.112:
	ds_read2_b32 v[2:3], v70 offset0:15 offset1:16
	v_mov_b32_e32 v40, s76
	v_cmp_eq_u32_e32 vcc, v54, v55
	v_add_u32_e32 v42, 16, v71
	s_mov_b64 s[44:45], 0
	s_waitcnt lgkmcnt(0)
	v_cndmask_b32_e32 v40, v40, v2, vcc
	v_cmp_ne_u32_e32 vcc, v54, v55
                                        ; implicit-def: $sgpr46_sgpr47
                                        ; implicit-def: $vgpr2
	s_nop 1
	v_cndmask_b32_e64 v41, 0, 1, vcc
	v_cmp_gt_u32_e32 vcc, s3, v42
	v_mov_b64_e32 v[42:43], 0
	v_mov_b64_e32 v[44:45], v[42:43]
	;; [unrolled: 1-line block ×6, first 2 shown]
	s_and_saveexec_b64 s[40:41], vcc
	s_cbranch_execz .LBB481_126
; %bb.113:
	v_mov_b32_e32 v42, s76
	v_cmp_eq_u32_e32 vcc, v55, v8
	v_add_u32_e32 v2, 17, v71
	v_mov_b64_e32 v[44:45], 0
	v_cndmask_b32_e32 v42, v42, v3, vcc
	v_cmp_ne_u32_e32 vcc, v55, v8
	s_mov_b64 s[46:47], 0
	v_mov_b64_e32 v[46:47], v[44:45]
	v_cndmask_b32_e64 v43, 0, 1, vcc
	v_cmp_gt_u32_e32 vcc, s3, v2
	v_mov_b64_e32 v[48:49], v[44:45]
	v_mov_b64_e32 v[50:51], v[44:45]
	;; [unrolled: 1-line block ×3, first 2 shown]
                                        ; implicit-def: $sgpr48_sgpr49
                                        ; implicit-def: $vgpr2
	s_and_saveexec_b64 s[42:43], vcc
	s_cbranch_execz .LBB481_125
; %bb.114:
	ds_read2_b32 v[2:3], v70 offset0:17 offset1:18
	v_mov_b32_e32 v44, s76
	v_cmp_eq_u32_e32 vcc, v8, v9
	v_add_u32_e32 v46, 18, v71
	s_mov_b64 s[48:49], 0
	s_waitcnt lgkmcnt(0)
	v_cndmask_b32_e32 v44, v44, v2, vcc
	v_cmp_ne_u32_e32 vcc, v8, v9
                                        ; implicit-def: $sgpr50_sgpr51
                                        ; implicit-def: $vgpr2
	s_nop 1
	v_cndmask_b32_e64 v45, 0, 1, vcc
	v_cmp_gt_u32_e32 vcc, s3, v46
	v_mov_b64_e32 v[46:47], 0
	v_mov_b64_e32 v[48:49], v[46:47]
	;; [unrolled: 1-line block ×4, first 2 shown]
	s_and_saveexec_b64 s[44:45], vcc
	s_cbranch_execz .LBB481_124
; %bb.115:
	v_mov_b32_e32 v8, s76
	v_cmp_eq_u32_e32 vcc, v9, v6
	v_add_u32_e32 v2, 19, v71
	v_mov_b64_e32 v[48:49], 0
	v_cndmask_b32_e32 v46, v8, v3, vcc
	v_cmp_ne_u32_e32 vcc, v9, v6
	s_mov_b64 s[50:51], 0
	v_mov_b64_e32 v[50:51], v[48:49]
	v_cndmask_b32_e64 v47, 0, 1, vcc
	v_cmp_gt_u32_e32 vcc, s3, v2
	v_mov_b64_e32 v[52:53], v[48:49]
                                        ; implicit-def: $sgpr60_sgpr61
                                        ; implicit-def: $vgpr2
	s_and_saveexec_b64 s[46:47], vcc
	s_cbranch_execz .LBB481_123
; %bb.116:
	ds_read2_b32 v[2:3], v70 offset0:19 offset1:20
	v_mov_b32_e32 v9, s76
	v_cmp_eq_u32_e32 vcc, v6, v7
	v_add_u32_e32 v8, 20, v71
	v_mov_b64_e32 v[50:51], 0
	s_waitcnt lgkmcnt(0)
	v_cndmask_b32_e32 v48, v9, v2, vcc
	v_cmp_ne_u32_e32 vcc, v6, v7
	s_mov_b64 s[60:61], 0
	v_mov_b64_e32 v[52:53], v[50:51]
	v_cndmask_b32_e64 v49, 0, 1, vcc
	v_cmp_gt_u32_e32 vcc, s3, v8
                                        ; implicit-def: $sgpr72_sgpr73
                                        ; implicit-def: $vgpr2
	s_and_saveexec_b64 s[48:49], vcc
	s_cbranch_execz .LBB481_122
; %bb.117:
	v_mov_b32_e32 v6, s76
	v_cmp_eq_u32_e32 vcc, v7, v4
	v_add_u32_e32 v2, 21, v71
	v_mov_b64_e32 v[52:53], 0
	v_cndmask_b32_e32 v50, v6, v3, vcc
	v_cmp_ne_u32_e32 vcc, v7, v4
                                        ; implicit-def: $sgpr72_sgpr73
	s_nop 1
	v_cndmask_b32_e64 v51, 0, 1, vcc
	v_cmp_gt_u32_e32 vcc, s3, v2
                                        ; implicit-def: $vgpr2
	s_and_saveexec_b64 s[50:51], vcc
	s_cbranch_execz .LBB481_121
; %bb.118:
	ds_read2_b32 v[2:3], v70 offset0:21 offset1:22
	v_mov_b32_e32 v7, s76
	v_cmp_eq_u32_e32 vcc, v4, v5
	v_add_u32_e32 v6, 22, v71
                                        ; implicit-def: $sgpr72_sgpr73
	s_waitcnt lgkmcnt(0)
	v_cndmask_b32_e32 v52, v7, v2, vcc
	v_cmp_ne_u32_e32 vcc, v4, v5
                                        ; implicit-def: $vgpr2
	s_nop 1
	v_cndmask_b32_e64 v53, 0, 1, vcc
	v_cmp_gt_u32_e32 vcc, s3, v6
	s_and_saveexec_b64 s[74:75], vcc
	s_xor_b64 s[74:75], exec, s[74:75]
; %bb.119:
	v_mov_b32_e32 v2, s76
	v_cmp_ne_u32_e32 vcc, v5, v1
	s_mov_b64 s[60:61], exec
	s_and_b64 s[72:73], vcc, exec
	v_cndmask_b32_e32 v2, v3, v2, vcc
; %bb.120:
	s_or_b64 exec, exec, s[74:75]
	s_and_b64 s[72:73], s[72:73], exec
	s_and_b64 s[60:61], s[60:61], exec
.LBB481_121:
	s_or_b64 exec, exec, s[50:51]
	s_and_b64 s[72:73], s[72:73], exec
	s_and_b64 s[50:51], s[60:61], exec
.LBB481_122:
	s_or_b64 exec, exec, s[48:49]
	s_and_b64 s[60:61], s[72:73], exec
	s_and_b64 s[48:49], s[50:51], exec
.LBB481_123:
	s_or_b64 exec, exec, s[46:47]
	s_and_b64 s[50:51], s[60:61], exec
	s_and_b64 s[46:47], s[48:49], exec
.LBB481_124:
	s_or_b64 exec, exec, s[44:45]
	s_and_b64 s[48:49], s[50:51], exec
	s_and_b64 s[44:45], s[46:47], exec
.LBB481_125:
	s_or_b64 exec, exec, s[42:43]
	s_and_b64 s[46:47], s[48:49], exec
	s_and_b64 s[42:43], s[44:45], exec
.LBB481_126:
	s_or_b64 exec, exec, s[40:41]
	s_and_b64 s[44:45], s[46:47], exec
	s_and_b64 s[40:41], s[42:43], exec
.LBB481_127:
	s_or_b64 exec, exec, s[38:39]
	s_and_b64 s[42:43], s[44:45], exec
	s_and_b64 s[38:39], s[40:41], exec
.LBB481_128:
	s_or_b64 exec, exec, s[36:37]
	s_and_b64 s[40:41], s[42:43], exec
	s_and_b64 s[36:37], s[38:39], exec
.LBB481_129:
	s_or_b64 exec, exec, s[34:35]
	s_and_b64 s[38:39], s[40:41], exec
	s_and_b64 s[34:35], s[36:37], exec
.LBB481_130:
	s_or_b64 exec, exec, s[30:31]
	s_and_b64 s[36:37], s[38:39], exec
	s_and_b64 s[30:31], s[34:35], exec
.LBB481_131:
	s_or_b64 exec, exec, s[28:29]
	s_and_b64 s[34:35], s[36:37], exec
	s_and_b64 s[28:29], s[30:31], exec
.LBB481_132:
	s_or_b64 exec, exec, s[26:27]
	s_and_b64 s[30:31], s[34:35], exec
	s_and_b64 s[26:27], s[28:29], exec
.LBB481_133:
	s_or_b64 exec, exec, s[24:25]
	s_and_b64 s[28:29], s[30:31], exec
	s_and_b64 s[24:25], s[26:27], exec
.LBB481_134:
	s_or_b64 exec, exec, s[22:23]
	s_and_b64 s[26:27], s[28:29], exec
	s_and_b64 s[22:23], s[24:25], exec
.LBB481_135:
	s_or_b64 exec, exec, s[20:21]
	s_and_b64 s[24:25], s[26:27], exec
	s_and_b64 s[20:21], s[22:23], exec
.LBB481_136:
	s_or_b64 exec, exec, s[18:19]
	s_and_b64 s[22:23], s[24:25], exec
	s_and_b64 s[18:19], s[20:21], exec
.LBB481_137:
	s_or_b64 exec, exec, s[16:17]
	s_and_b64 s[20:21], s[22:23], exec
	s_and_b64 s[16:17], s[18:19], exec
.LBB481_138:
	s_or_b64 exec, exec, s[14:15]
	s_and_b64 s[18:19], s[20:21], exec
	s_and_b64 s[14:15], s[16:17], exec
.LBB481_139:
	s_or_b64 exec, exec, s[12:13]
	s_and_b64 s[16:17], s[18:19], exec
	s_and_b64 s[12:13], s[14:15], exec
.LBB481_140:
	s_or_b64 exec, exec, s[10:11]
	s_and_b64 s[14:15], s[16:17], exec
	s_and_b64 s[10:11], s[12:13], exec
.LBB481_141:
	s_or_b64 exec, exec, s[8:9]
	s_and_b64 s[8:9], s[14:15], exec
	s_and_b64 s[10:11], s[10:11], exec
.LBB481_142:
	s_or_b64 exec, exec, s[6:7]
	s_mov_b64 s[6:7], 0
	s_and_b64 vcc, exec, s[4:5]
	v_lshlrev_b32_e32 v54, 2, v0
	s_cbranch_vccz .LBB481_148
.LBB481_143:
	v_mov_b32_e32 v55, 0
	v_lshl_add_u64 v[2:3], s[70:71], 0, v[54:55]
	v_add_co_u32_e32 v4, vcc, 0x1000, v2
	s_movk_i32 s6, 0x58
	s_nop 0
	v_addc_co_u32_e32 v5, vcc, 0, v3, vcc
	flat_load_dword v1, v[2:3]
	flat_load_dword v8, v[2:3] offset:1024
	flat_load_dword v9, v[2:3] offset:2048
	flat_load_dword v10, v[2:3] offset:3072
	flat_load_dword v11, v[4:5]
	flat_load_dword v12, v[4:5] offset:1024
	flat_load_dword v13, v[4:5] offset:2048
	;; [unrolled: 1-line block ×3, first 2 shown]
	v_add_co_u32_e32 v4, vcc, 0x2000, v2
	s_movk_i32 s10, 0x1000
	s_nop 0
	v_addc_co_u32_e32 v5, vcc, 0, v3, vcc
	v_add_co_u32_e32 v6, vcc, 0x3000, v2
	s_mov_b32 s4, 0
	s_nop 0
	v_addc_co_u32_e32 v7, vcc, 0, v3, vcc
	flat_load_dword v15, v[4:5]
	flat_load_dword v16, v[4:5] offset:1024
	flat_load_dword v17, v[4:5] offset:2048
	;; [unrolled: 1-line block ×3, first 2 shown]
	flat_load_dword v19, v[6:7]
	flat_load_dword v20, v[6:7] offset:1024
	flat_load_dword v21, v[6:7] offset:2048
	flat_load_dword v22, v[6:7] offset:3072
	v_add_co_u32_e32 v4, vcc, 0x4000, v2
	s_movk_i32 s9, 0x2000
	s_nop 0
	v_addc_co_u32_e32 v5, vcc, 0, v3, vcc
	v_add_co_u32_e32 v2, vcc, 0x5000, v2
	s_movk_i32 s8, 0x3000
	s_nop 0
	v_addc_co_u32_e32 v3, vcc, 0, v3, vcc
	flat_load_dword v6, v[4:5]
	flat_load_dword v7, v[4:5] offset:1024
	flat_load_dword v23, v[4:5] offset:2048
	;; [unrolled: 1-line block ×3, first 2 shown]
	flat_load_dword v25, v[2:3]
	flat_load_dword v26, v[2:3] offset:1024
	flat_load_dword v27, v[2:3] offset:2048
	v_mov_b32_e32 v2, s70
	v_mov_b32_e32 v3, s71
	v_add_co_u32_e32 v2, vcc, 0x5000, v2
	s_movk_i32 s5, 0x4000
	s_nop 0
	v_addc_co_u32_e32 v3, vcc, 0, v3, vcc
	s_movk_i32 s3, 0x5000
	s_waitcnt vmcnt(0) lgkmcnt(0)
	ds_write2st64_b32 v54, v1, v8 offset1:4
	ds_write2st64_b32 v54, v9, v10 offset0:8 offset1:12
	ds_write2st64_b32 v54, v11, v12 offset0:16 offset1:20
	;; [unrolled: 1-line block ×10, first 2 shown]
	ds_write_b32 v54, v27 offset:22528
	s_waitcnt lgkmcnt(0)
	s_barrier
	flat_load_dword v1, v[2:3] offset:3072
	v_mad_u32_u24 v12, v0, s6, v54
	s_movk_i32 s6, 0xffa8
	v_mad_i32_i24 v11, v0, s6, v12
	s_movk_i32 s6, 0xff
	v_cmp_ne_u32_e32 vcc, s6, v0
	ds_read_b32 v10, v12
	ds_read2_b32 v[14:15], v12 offset0:1 offset1:2
	ds_read2_b32 v[18:19], v12 offset0:3 offset1:4
	ds_read2_b32 v[22:23], v12 offset0:5 offset1:6
	ds_read2_b32 v[26:27], v12 offset0:7 offset1:8
	ds_read2_b32 v[30:31], v12 offset0:9 offset1:10
	ds_read2_b32 v[34:35], v12 offset0:11 offset1:12
	ds_read2_b32 v[38:39], v12 offset0:13 offset1:14
	ds_read2_b32 v[8:9], v12 offset0:15 offset1:16
	ds_read2_b32 v[6:7], v12 offset0:17 offset1:18
	ds_read2_b32 v[4:5], v12 offset0:19 offset1:20
	ds_read2_b32 v[2:3], v12 offset0:21 offset1:22
	s_waitcnt lgkmcnt(0)
	ds_write_b32 v11, v10 offset:24576
	s_waitcnt lgkmcnt(0)
	s_barrier
	s_and_saveexec_b64 s[6:7], vcc
	s_cbranch_execz .LBB481_145
; %bb.144:
	s_waitcnt vmcnt(0)
	ds_read_b32 v1, v54 offset:24580
.LBB481_145:
	s_or_b64 exec, exec, s[6:7]
	v_lshl_add_u64 v[16:17], s[52:53], 0, v[54:55]
	v_add_co_u32_e32 v20, vcc, s10, v16
	s_waitcnt lgkmcnt(0)
	s_nop 0
	v_addc_co_u32_e32 v21, vcc, 0, v17, vcc
	s_barrier
	flat_load_dword v11, v[16:17]
	flat_load_dword v13, v[16:17] offset:1024
	flat_load_dword v28, v[16:17] offset:2048
	;; [unrolled: 1-line block ×3, first 2 shown]
	flat_load_dword v32, v[20:21]
	flat_load_dword v33, v[20:21] offset:1024
	flat_load_dword v36, v[20:21] offset:2048
	;; [unrolled: 1-line block ×3, first 2 shown]
	v_add_co_u32_e32 v20, vcc, s9, v16
	s_nop 1
	v_addc_co_u32_e32 v21, vcc, 0, v17, vcc
	v_add_co_u32_e32 v24, vcc, s8, v16
	s_nop 1
	v_addc_co_u32_e32 v25, vcc, 0, v17, vcc
	flat_load_dword v40, v[20:21]
	flat_load_dword v41, v[20:21] offset:1024
	flat_load_dword v42, v[20:21] offset:2048
	;; [unrolled: 1-line block ×3, first 2 shown]
	flat_load_dword v44, v[24:25]
	flat_load_dword v45, v[24:25] offset:1024
	flat_load_dword v46, v[24:25] offset:2048
	;; [unrolled: 1-line block ×3, first 2 shown]
	v_add_co_u32_e32 v20, vcc, s5, v16
	s_mov_b32 s5, 1
	s_nop 0
	v_addc_co_u32_e32 v21, vcc, 0, v17, vcc
	v_add_co_u32_e32 v16, vcc, s3, v16
	s_nop 1
	v_addc_co_u32_e32 v17, vcc, 0, v17, vcc
	flat_load_dword v24, v[20:21]
	flat_load_dword v25, v[20:21] offset:1024
	flat_load_dword v48, v[20:21] offset:2048
	;; [unrolled: 1-line block ×3, first 2 shown]
	flat_load_dword v50, v[16:17]
	flat_load_dword v51, v[16:17] offset:1024
	flat_load_dword v52, v[16:17] offset:2048
	v_cmp_eq_u32_e32 vcc, v10, v14
	s_waitcnt vmcnt(0) lgkmcnt(0)
	ds_write2st64_b32 v54, v11, v13 offset1:4
	ds_write2st64_b32 v54, v28, v29 offset0:8 offset1:12
	ds_write2st64_b32 v54, v32, v33 offset0:16 offset1:20
	;; [unrolled: 1-line block ×10, first 2 shown]
	ds_write_b32 v54, v52 offset:22528
	s_waitcnt lgkmcnt(0)
	s_barrier
	ds_read2_b32 v[16:17], v12 offset0:1 offset1:2
	ds_read2_b32 v[20:21], v12 offset0:3 offset1:4
	;; [unrolled: 1-line block ×11, first 2 shown]
	v_mov_b64_e32 v[10:11], s[4:5]
	v_mov_b32_e32 v13, s76
	s_and_saveexec_b64 s[4:5], vcc
	s_cbranch_execz .LBB481_147
; %bb.146:
	ds_read_b32 v13, v12
	v_mov_b64_e32 v[10:11], 0
.LBB481_147:
	s_or_b64 exec, exec, s[4:5]
	v_mov_b32_e32 v55, s76
	v_cmp_eq_u32_e32 vcc, v14, v15
	s_waitcnt lgkmcnt(0)
	v_or_b32_e32 v10, v10, v13
	v_cmp_ne_u32_e64 s[8:9], v3, v1
	v_cndmask_b32_e32 v12, v55, v16, vcc
	v_cmp_ne_u32_e32 vcc, v14, v15
	s_mov_b64 s[10:11], -1
                                        ; implicit-def: $sgpr6_sgpr7
	s_nop 0
	v_cndmask_b32_e64 v13, 0, 1, vcc
	v_cmp_eq_u32_e32 vcc, v15, v18
	s_nop 1
	v_cndmask_b32_e32 v14, v55, v17, vcc
	v_cmp_ne_u32_e32 vcc, v15, v18
	s_nop 1
	v_cndmask_b32_e64 v15, 0, 1, vcc
	v_cmp_eq_u32_e32 vcc, v18, v19
	s_nop 1
	v_cndmask_b32_e32 v16, v55, v20, vcc
	v_cmp_ne_u32_e32 vcc, v18, v19
	;; [unrolled: 6-line block ×20, first 2 shown]
	v_cndmask_b32_e64 v2, v57, v55, s[8:9]
	s_nop 0
	v_cndmask_b32_e64 v53, 0, 1, vcc
.LBB481_148:
	v_mov_b64_e32 v[56:57], s[6:7]
	s_and_saveexec_b64 s[4:5], s[10:11]
; %bb.149:
	v_cndmask_b32_e64 v3, 0, 1, s[8:9]
	v_mov_b64_e32 v[56:57], v[2:3]
; %bb.150:
	s_or_b64 exec, exec, s[4:5]
	s_mov_b32 s46, 0
	s_cmp_lg_u32 s2, 0
	v_or_b32_e32 v55, v57, v53
	v_lshrrev_b32_e32 v1, 5, v0
	v_cmp_gt_u32_e32 vcc, 64, v0
	s_barrier
	s_cbranch_scc0 .LBB481_189
; %bb.151:
	s_mov_b32 s47, 1
	v_cmp_gt_u64_e64 s[50:51], s[46:47], v[12:13]
	v_cmp_gt_u64_e64 s[4:5], s[46:47], v[14:15]
	v_cmp_gt_u64_e64 s[6:7], s[46:47], v[16:17]
	v_cndmask_b32_e64 v2, 0, v10, s[50:51]
	v_add_u32_e32 v2, v2, v12
	v_cndmask_b32_e64 v2, 0, v2, s[4:5]
	v_add_u32_e32 v2, v2, v14
	v_cndmask_b32_e64 v2, 0, v2, s[6:7]
	v_add_u32_e32 v2, v2, v16
	v_cmp_gt_u64_e64 s[8:9], s[46:47], v[18:19]
	v_cmp_gt_u64_e64 s[10:11], s[46:47], v[20:21]
	v_cmp_gt_u64_e64 s[12:13], s[46:47], v[22:23]
	v_cndmask_b32_e64 v2, 0, v2, s[8:9]
	v_add_u32_e32 v2, v2, v18
	v_cndmask_b32_e64 v2, 0, v2, s[10:11]
	v_add_u32_e32 v2, v2, v20
	v_cndmask_b32_e64 v2, 0, v2, s[12:13]
	v_add_u32_e32 v2, v2, v22
	;; [unrolled: 9-line block ×7, first 2 shown]
	v_cmp_gt_u64_e64 s[46:47], s[46:47], v[56:57]
	s_nop 1
	v_cndmask_b32_e64 v2, 0, v2, s[46:47]
	v_add_u32_e32 v62, v2, v56
	v_or3_b32 v2, v55, v51, v49
	v_or3_b32 v2, v2, v47, v45
	;; [unrolled: 1-line block ×10, first 2 shown]
	v_and_b32_e32 v2, 1, v2
	v_cmp_eq_u32_e64 s[46:47], 1, v2
	v_add_lshl_u32 v2, v1, v0, 3
	s_nop 0
	v_cndmask_b32_e64 v63, v11, 1, s[46:47]
	ds_write_b32 v2, v62
	ds_write_b8 v2, v63 offset:4
	s_waitcnt lgkmcnt(0)
	s_barrier
	s_and_saveexec_b64 s[48:49], vcc
	s_cbranch_execz .LBB481_163
; %bb.152:
	v_lshrrev_b32_e32 v2, 3, v0
	v_add_lshl_u32 v4, v2, v54, 3
	ds_read2_b32 v[6:7], v4 offset0:2 offset1:4
	ds_read_b64 v[2:3], v4
	ds_read_u8 v8, v4 offset:12
	ds_read_u8 v9, v4 offset:20
	ds_read_b32 v58, v4 offset:24
	ds_read_u8 v59, v4 offset:28
	v_mov_b32_e32 v60, 0
	s_waitcnt lgkmcnt(3)
	v_cmp_eq_u16_sdwa s[46:47], v8, v60 src0_sel:BYTE_0 src1_sel:DWORD
	v_and_b32_e32 v5, 1, v3
	s_nop 0
	v_cndmask_b32_e64 v61, 0, v2, s[46:47]
	v_add_u32_e32 v6, v61, v6
	s_waitcnt lgkmcnt(2)
	v_cmp_eq_u16_sdwa s[46:47], v9, v60 src0_sel:BYTE_0 src1_sel:DWORD
	s_nop 1
	v_cndmask_b32_e64 v6, 0, v6, s[46:47]
	v_add_u32_e32 v6, v6, v7
	s_waitcnt lgkmcnt(0)
	v_cmp_eq_u16_e64 s[46:47], 0, v59
	s_nop 1
	v_cndmask_b32_e64 v6, 0, v6, s[46:47]
	v_add_u32_e32 v7, v6, v58
	v_or_b32_e32 v6, v59, v9
	v_or_b32_e32 v6, v6, v8
	v_and_b32_e32 v6, 1, v6
	v_cmp_eq_u32_e64 s[46:47], 1, v6
	v_mbcnt_lo_u32_b32 v8, -1, 0
	v_and_b32_e32 v6, 0xffffff00, v3
	v_cndmask_b32_e64 v9, v5, 1, s[46:47]
	v_mbcnt_hi_u32_b32 v8, -1, v8
	v_and_b32_e32 v59, 15, v8
	v_or_b32_sdwa v58, v6, v9 dst_sel:DWORD dst_unused:UNUSED_PAD src0_sel:DWORD src1_sel:WORD_0
	v_mov_b32_dpp v60, v7 row_shr:1 row_mask:0xf bank_mask:0xf
	v_cmp_ne_u32_e64 s[46:47], 0, v59
	v_mov_b32_dpp v61, v58 row_shr:1 row_mask:0xf bank_mask:0xf
	s_and_saveexec_b64 s[52:53], s[46:47]
; %bb.153:
	v_and_b32_e32 v58, 1, v9
	v_and_b32_e32 v61, 1, v61
	v_cmp_eq_u32_e64 s[46:47], 1, v58
	s_nop 1
	v_cndmask_b32_e64 v61, v61, 1, s[46:47]
	v_cmp_eq_u16_e64 s[46:47], 0, v9
	v_or_b32_sdwa v58, v6, v61 dst_sel:DWORD dst_unused:UNUSED_PAD src0_sel:DWORD src1_sel:WORD_0
	s_nop 0
	v_cndmask_b32_e64 v9, 0, v60, s[46:47]
	v_add_u32_e32 v7, v9, v7
	v_mov_b32_e32 v9, v61
; %bb.154:
	s_or_b64 exec, exec, s[52:53]
	v_mov_b32_dpp v60, v7 row_shr:2 row_mask:0xf bank_mask:0xf
	v_mov_b32_dpp v61, v58 row_shr:2 row_mask:0xf bank_mask:0xf
	v_cmp_lt_u32_e64 s[46:47], 1, v59
	s_and_saveexec_b64 s[52:53], s[46:47]
; %bb.155:
	v_and_b32_e32 v58, 1, v9
	v_and_b32_e32 v61, 1, v61
	v_cmp_eq_u32_e64 s[46:47], 1, v58
	s_nop 1
	v_cndmask_b32_e64 v61, v61, 1, s[46:47]
	v_cmp_eq_u16_e64 s[46:47], 0, v9
	v_or_b32_sdwa v58, v6, v61 dst_sel:DWORD dst_unused:UNUSED_PAD src0_sel:DWORD src1_sel:WORD_0
	s_nop 0
	v_cndmask_b32_e64 v9, 0, v60, s[46:47]
	v_add_u32_e32 v7, v9, v7
	v_mov_b32_e32 v9, v61
; %bb.156:
	s_or_b64 exec, exec, s[52:53]
	v_mov_b32_dpp v60, v7 row_shr:4 row_mask:0xf bank_mask:0xf
	v_mov_b32_dpp v61, v58 row_shr:4 row_mask:0xf bank_mask:0xf
	v_cmp_lt_u32_e64 s[46:47], 3, v59
	;; [unrolled: 18-line block ×3, first 2 shown]
	s_and_saveexec_b64 s[52:53], s[46:47]
; %bb.159:
	v_and_b32_e32 v58, 1, v9
	v_and_b32_e32 v59, 1, v61
	v_cmp_eq_u32_e64 s[46:47], 1, v58
	s_nop 1
	v_cndmask_b32_e64 v59, v59, 1, s[46:47]
	v_cmp_eq_u16_e64 s[46:47], 0, v9
	v_or_b32_sdwa v58, v6, v59 dst_sel:DWORD dst_unused:UNUSED_PAD src0_sel:DWORD src1_sel:WORD_0
	s_nop 0
	v_cndmask_b32_e64 v9, 0, v60, s[46:47]
	v_add_u32_e32 v7, v9, v7
	v_mov_b32_e32 v9, v59
; %bb.160:
	s_or_b64 exec, exec, s[52:53]
	v_and_b32_e32 v61, 16, v8
	v_mov_b32_dpp v59, v7 row_bcast:15 row_mask:0xf bank_mask:0xf
	v_mov_b32_dpp v60, v58 row_bcast:15 row_mask:0xf bank_mask:0xf
	v_cmp_ne_u32_e64 s[46:47], 0, v61
	s_and_saveexec_b64 s[52:53], s[46:47]
; %bb.161:
	v_and_b32_e32 v58, 1, v9
	v_and_b32_e32 v60, 1, v60
	v_cmp_eq_u32_e64 s[46:47], 1, v58
	s_nop 1
	v_cndmask_b32_e64 v60, v60, 1, s[46:47]
	v_cmp_eq_u16_e64 s[46:47], 0, v9
	v_or_b32_sdwa v58, v6, v60 dst_sel:DWORD dst_unused:UNUSED_PAD src0_sel:DWORD src1_sel:WORD_0
	s_nop 0
	v_cndmask_b32_e64 v9, 0, v59, s[46:47]
	v_add_u32_e32 v7, v9, v7
	v_mov_b32_e32 v9, v60
; %bb.162:
	s_or_b64 exec, exec, s[52:53]
	v_mov_b32_dpp v58, v58 row_bcast:31 row_mask:0xf bank_mask:0xf
	v_and_b32_e32 v60, 1, v9
	v_and_b32_e32 v58, 1, v58
	v_cmp_eq_u32_e64 s[46:47], 1, v60
	v_mov_b32_e32 v60, 0
	v_cmp_eq_u16_sdwa s[52:53], v9, v60 src0_sel:BYTE_0 src1_sel:DWORD
	v_cndmask_b32_e64 v58, v58, 1, s[46:47]
	v_cmp_lt_u32_e64 s[46:47], 31, v8
	v_mov_b32_dpp v59, v7 row_bcast:31 row_mask:0xf bank_mask:0xf
	s_movk_i32 s3, 0xff
	v_cndmask_b32_e64 v9, v9, v58, s[46:47]
	s_and_b64 s[46:47], s[46:47], s[52:53]
	v_cndmask_b32_e64 v58, 0, v59, s[46:47]
	v_add_u32_e32 v7, v58, v7
	v_add_u32_e32 v58, -1, v8
	v_and_b32_e32 v59, 64, v8
	v_cmp_lt_i32_e64 s[46:47], v58, v59
	v_and_or_b32 v6, v9, s3, v6
	s_nop 0
	v_cndmask_b32_e64 v8, v58, v8, s[46:47]
	v_lshlrev_b32_e32 v8, 2, v8
	ds_bpermute_b32 v7, v8, v7
	ds_bpermute_b32 v6, v8, v6
	v_cmp_eq_u16_sdwa s[46:47], v3, v60 src0_sel:BYTE_0 src1_sel:DWORD
	; wave barrier
	s_waitcnt lgkmcnt(1)
	s_nop 0
	v_cndmask_b32_e64 v3, 0, v7, s[46:47]
	v_add_u32_e32 v2, v3, v2
	s_waitcnt lgkmcnt(0)
	v_and_b32_e32 v3, 1, v6
	v_cmp_eq_u32_e64 s[46:47], 1, v5
	s_nop 1
	v_cndmask_b32_e64 v3, v3, 1, s[46:47]
	v_cmp_eq_u32_e64 s[46:47], 0, v0
	s_nop 1
	v_cndmask_b32_e64 v5, v2, v62, s[46:47]
	v_cndmask_b32_e64 v6, v3, v63, s[46:47]
	ds_write_b32 v4, v5
	ds_write_b8 v4, v6 offset:4
	; wave barrier
	ds_read_u8 v7, v4 offset:12
	ds_read2_b32 v[2:3], v4 offset0:2 offset1:4
	ds_read_u8 v8, v4 offset:20
	ds_read_b32 v9, v4 offset:24
	ds_read_u8 v58, v4 offset:28
	s_waitcnt lgkmcnt(4)
	v_cmp_eq_u16_e64 s[46:47], 0, v7
	s_nop 1
	v_cndmask_b32_e64 v5, 0, v5, s[46:47]
	s_waitcnt lgkmcnt(3)
	v_add_u32_e32 v2, v5, v2
	v_and_b32_e32 v5, 1, v7
	v_cmp_eq_u32_e64 s[46:47], 1, v5
	s_nop 1
	v_cndmask_b32_e64 v5, v6, 1, s[46:47]
	s_waitcnt lgkmcnt(2)
	v_cmp_eq_u16_e64 s[46:47], 0, v8
	ds_write_b8 v4, v5 offset:12
	s_nop 0
	v_cndmask_b32_e64 v6, 0, v2, s[46:47]
	v_add_u32_e32 v3, v6, v3
	v_and_b32_e32 v6, 1, v8
	v_cmp_eq_u32_e64 s[46:47], 1, v6
	s_nop 1
	v_cndmask_b32_e64 v5, v5, 1, s[46:47]
	s_waitcnt lgkmcnt(1)
	v_cmp_eq_u16_e64 s[46:47], 0, v58
	ds_write2_b32 v4, v2, v3 offset0:2 offset1:4
	ds_write_b8 v4, v5 offset:20
	v_cndmask_b32_e64 v2, 0, v3, s[46:47]
	v_and_b32_e32 v3, 1, v58
	v_add_u32_e32 v2, v2, v9
	v_cmp_eq_u32_e64 s[46:47], 1, v3
	s_nop 1
	v_cndmask_b32_e64 v3, v5, 1, s[46:47]
	ds_write_b32 v4, v2 offset:24
	ds_write_b8 v4, v3 offset:28
.LBB481_163:
	s_or_b64 exec, exec, s[48:49]
	v_cmp_eq_u32_e64 s[46:47], 0, v0
	v_cmp_ne_u32_e64 s[48:49], 0, v0
	s_waitcnt lgkmcnt(0)
	s_barrier
	s_and_saveexec_b64 s[52:53], s[48:49]
	s_cbranch_execz .LBB481_165
; %bb.164:
	v_add_u32_e32 v2, -1, v0
	v_lshrrev_b32_e32 v3, 5, v2
	v_add_lshl_u32 v2, v3, v2, 3
	ds_read_b32 v62, v2
	ds_read_u8 v63, v2 offset:4
.LBB481_165:
	s_or_b64 exec, exec, s[52:53]
	s_and_saveexec_b64 s[60:61], vcc
	s_cbranch_execz .LBB481_188
; %bb.166:
	v_mov_b32_e32 v5, 0
	ds_read_b64 v[2:3], v5 offset:2096
	v_mbcnt_lo_u32_b32 v4, -1, 0
	v_mbcnt_hi_u32_b32 v73, -1, v4
	s_mov_b32 s71, 0
	v_cmp_eq_u32_e64 s[48:49], 0, v73
	s_waitcnt lgkmcnt(0)
	v_readfirstlane_b32 s3, v3
	s_and_saveexec_b64 s[52:53], s[48:49]
	s_cbranch_execz .LBB481_168
; %bb.167:
	s_add_i32 s70, s2, 64
	s_lshl_b64 s[72:73], s[70:71], 4
	s_add_u32 s72, s56, s72
	s_addc_u32 s73, s57, s73
	s_and_b32 s75, s3, 0xff000000
	s_mov_b32 s74, s71
	s_and_b32 s79, s3, 0xff0000
	s_mov_b32 s78, s71
	s_or_b64 s[74:75], s[78:79], s[74:75]
	s_and_b32 s79, s3, 0xff00
	s_or_b64 s[74:75], s[74:75], s[78:79]
	s_and_b32 s79, s3, 0xff
	s_or_b64 s[70:71], s[74:75], s[78:79]
	v_mov_b32_e32 v3, s71
	v_mov_b32_e32 v4, 1
	v_mov_b64_e32 v[6:7], s[72:73]
	;;#ASMSTART
	global_store_dwordx4 v[6:7], v[2:5] off sc1	
s_waitcnt vmcnt(0)
	;;#ASMEND
.LBB481_168:
	s_or_b64 exec, exec, s[52:53]
	v_xad_u32 v58, v73, -1, s2
	v_add_u32_e32 v4, 64, v58
	v_lshl_add_u64 v[60:61], v[4:5], 4, s[56:57]
	;;#ASMSTART
	global_load_dwordx4 v[6:9], v[60:61] off sc1	
s_waitcnt vmcnt(0)
	;;#ASMEND
	s_nop 0
	v_and_b32_e32 v3, 0xff0000, v6
	v_and_b32_e32 v4, 0xff000000, v6
	;; [unrolled: 1-line block ×3, first 2 shown]
	v_or_b32_sdwa v3, v6, v3 dst_sel:DWORD dst_unused:UNUSED_PAD src0_sel:WORD_0 src1_sel:DWORD
	v_or3_b32 v7, 0, 0, v7
	v_or3_b32 v6, v3, v4, 0
	v_cmp_eq_u16_sdwa s[70:71], v8, v5 src0_sel:BYTE_0 src1_sel:DWORD
	s_and_saveexec_b64 s[52:53], s[70:71]
	s_cbranch_execz .LBB481_174
; %bb.169:
	s_mov_b32 s59, 1
	s_mov_b64 s[70:71], 0
	v_mov_b32_e32 v3, 0
.LBB481_170:                            ; =>This Loop Header: Depth=1
                                        ;     Child Loop BB481_171 Depth 2
	s_max_u32 s72, s59, 1
.LBB481_171:                            ;   Parent Loop BB481_170 Depth=1
                                        ; =>  This Inner Loop Header: Depth=2
	s_add_i32 s72, s72, -1
	s_cmp_eq_u32 s72, 0
	s_sleep 1
	s_cbranch_scc0 .LBB481_171
; %bb.172:                              ;   in Loop: Header=BB481_170 Depth=1
	s_cmp_lt_u32 s59, 32
	s_cselect_b64 s[72:73], -1, 0
	s_cmp_lg_u64 s[72:73], 0
	s_addc_u32 s59, s59, 0
	;;#ASMSTART
	global_load_dwordx4 v[6:9], v[60:61] off sc1	
s_waitcnt vmcnt(0)
	;;#ASMEND
	s_nop 0
	v_cmp_ne_u16_sdwa s[72:73], v8, v3 src0_sel:BYTE_0 src1_sel:DWORD
	s_or_b64 s[70:71], s[72:73], s[70:71]
	s_andn2_b64 exec, exec, s[70:71]
	s_cbranch_execnz .LBB481_170
; %bb.173:
	s_or_b64 exec, exec, s[70:71]
	v_and_b32_e32 v7, 0xff, v7
.LBB481_174:
	s_or_b64 exec, exec, s[52:53]
	v_mov_b32_e32 v3, 2
	v_cmp_eq_u16_sdwa s[52:53], v8, v3 src0_sel:BYTE_0 src1_sel:DWORD
	v_lshlrev_b64 v[4:5], v73, -1
	v_and_b32_e32 v64, 63, v73
	v_and_b32_e32 v9, s53, v5
	v_or_b32_e32 v9, 0x80000000, v9
	v_and_b32_e32 v59, s52, v4
	v_ffbl_b32_e32 v9, v9
	v_add_u32_e32 v9, 32, v9
	v_ffbl_b32_e32 v59, v59
	v_cmp_ne_u32_e32 vcc, 63, v64
	v_min_u32_e32 v9, v59, v9
	s_mov_b32 s70, 0
	v_addc_co_u32_e32 v59, vcc, 0, v73, vcc
	v_lshlrev_b32_e32 v65, 2, v59
	ds_bpermute_b32 v59, v65, v7
	ds_bpermute_b32 v60, v65, v6
	v_and_b32_e32 v61, 1, v7
	s_mov_b32 s71, 1
	v_cmp_eq_u32_e32 vcc, 1, v61
	s_waitcnt lgkmcnt(1)
	v_and_b32_e32 v59, 1, v59
	v_cmp_lt_u32_e64 s[52:53], v64, v9
	v_cndmask_b32_e64 v59, v59, 1, vcc
	v_cmp_gt_u64_e32 vcc, s[70:71], v[6:7]
	s_and_b64 vcc, s[52:53], vcc
	v_and_b32_e32 v61, 0xffff, v59
	v_cndmask_b32_e64 v68, v7, v59, s[52:53]
	s_waitcnt lgkmcnt(0)
	v_cndmask_b32_e32 v59, 0, v60, vcc
	v_cmp_gt_u32_e32 vcc, 62, v64
	v_cndmask_b32_e64 v7, v7, v61, s[52:53]
	v_add_u32_e32 v6, v59, v6
	v_cndmask_b32_e64 v60, 0, 1, vcc
	v_lshlrev_b32_e32 v60, 1, v60
	v_add_lshl_u32 v66, v60, v73, 2
	ds_bpermute_b32 v60, v66, v7
	ds_bpermute_b32 v61, v66, v6
	v_and_b32_e32 v59, 1, v68
	v_cmp_eq_u32_e32 vcc, 1, v59
	v_mov_b32_e32 v59, 0
	s_waitcnt lgkmcnt(1)
	v_and_b32_e32 v60, 1, v60
	v_add_u32_e32 v67, 2, v64
	v_cndmask_b32_e64 v60, v60, 1, vcc
	v_cmp_eq_u16_sdwa vcc, v68, v59 src0_sel:BYTE_0 src1_sel:DWORD
	v_and_b32_e32 v69, 0xffff, v60
	v_add_u32_e32 v77, 32, v64
	s_waitcnt lgkmcnt(0)
	v_cndmask_b32_e32 v61, 0, v61, vcc
	v_cmp_gt_u32_e32 vcc, v67, v9
	s_nop 1
	v_cndmask_b32_e32 v60, v60, v68, vcc
	v_cndmask_b32_e64 v61, v61, 0, vcc
	v_cndmask_b32_e32 v7, v69, v7, vcc
	v_cmp_gt_u32_e32 vcc, 60, v64
	v_add_u32_e32 v6, v61, v6
	v_and_b32_e32 v71, 1, v60
	v_cndmask_b32_e64 v68, 0, 1, vcc
	v_lshlrev_b32_e32 v68, 2, v68
	v_add_lshl_u32 v68, v68, v73, 2
	ds_bpermute_b32 v70, v68, v7
	ds_bpermute_b32 v61, v68, v6
	v_cmp_eq_u32_e32 vcc, 1, v71
	v_add_u32_e32 v69, 4, v64
	s_waitcnt lgkmcnt(1)
	v_and_b32_e32 v70, 1, v70
	v_cndmask_b32_e64 v70, v70, 1, vcc
	v_cmp_eq_u16_sdwa vcc, v60, v59 src0_sel:BYTE_0 src1_sel:DWORD
	v_and_b32_e32 v71, 0xffff, v70
	s_waitcnt lgkmcnt(0)
	v_cndmask_b32_e32 v61, 0, v61, vcc
	v_cmp_gt_u32_e32 vcc, v69, v9
	s_nop 1
	v_cndmask_b32_e32 v60, v70, v60, vcc
	v_cndmask_b32_e64 v61, v61, 0, vcc
	v_cndmask_b32_e32 v7, v71, v7, vcc
	v_cmp_gt_u32_e32 vcc, 56, v64
	v_add_u32_e32 v6, v61, v6
	v_and_b32_e32 v74, 1, v60
	v_cndmask_b32_e64 v70, 0, 1, vcc
	v_lshlrev_b32_e32 v70, 3, v70
	v_add_lshl_u32 v70, v70, v73, 2
	ds_bpermute_b32 v72, v70, v7
	ds_bpermute_b32 v61, v70, v6
	v_cmp_eq_u32_e32 vcc, 1, v74
	v_add_u32_e32 v71, 8, v64
	s_waitcnt lgkmcnt(1)
	v_and_b32_e32 v72, 1, v72
	v_cndmask_b32_e64 v72, v72, 1, vcc
	v_cmp_eq_u16_sdwa vcc, v60, v59 src0_sel:BYTE_0 src1_sel:DWORD
	v_and_b32_e32 v74, 0xffff, v72
	;; [unrolled: 22-line block ×3, first 2 shown]
	s_waitcnt lgkmcnt(0)
	v_cndmask_b32_e32 v61, 0, v61, vcc
	v_cmp_gt_u32_e32 vcc, v74, v9
	s_nop 1
	v_cndmask_b32_e32 v60, v75, v60, vcc
	v_cndmask_b32_e64 v61, v61, 0, vcc
	v_cndmask_b32_e32 v7, v76, v7, vcc
	v_cmp_gt_u32_e32 vcc, 32, v64
	v_add_u32_e32 v6, v61, v6
	s_nop 0
	v_cndmask_b32_e64 v75, 0, 1, vcc
	v_lshlrev_b32_e32 v75, 5, v75
	v_add_lshl_u32 v76, v75, v73, 2
	ds_bpermute_b32 v7, v76, v7
	ds_bpermute_b32 v61, v76, v6
	v_and_b32_e32 v73, 1, v60
	v_cmp_eq_u32_e32 vcc, 1, v73
	s_waitcnt lgkmcnt(1)
	v_and_b32_e32 v7, 1, v7
	v_cndmask_b32_e64 v7, v7, 1, vcc
	v_cmp_eq_u16_sdwa vcc, v60, v59 src0_sel:BYTE_0 src1_sel:DWORD
	s_waitcnt lgkmcnt(0)
	s_nop 0
	v_cndmask_b32_e32 v61, 0, v61, vcc
	v_cmp_gt_u32_e32 vcc, v77, v9
	s_nop 1
	v_cndmask_b32_e64 v9, v61, 0, vcc
	v_cndmask_b32_e32 v7, v7, v60, vcc
	v_add_u32_e32 v6, v9, v6
	s_branch .LBB481_176
.LBB481_175:                            ;   in Loop: Header=BB481_176 Depth=1
	s_or_b64 exec, exec, s[52:53]
	v_cmp_eq_u16_sdwa s[52:53], v8, v3 src0_sel:BYTE_0 src1_sel:DWORD
	ds_bpermute_b32 v61, v65, v7
	v_and_b32_e32 v78, 1, v7
	v_and_b32_e32 v9, s53, v5
	v_or_b32_e32 v9, 0x80000000, v9
	v_and_b32_e32 v60, s52, v4
	v_ffbl_b32_e32 v9, v9
	v_add_u32_e32 v9, 32, v9
	v_ffbl_b32_e32 v60, v60
	v_min_u32_e32 v9, v60, v9
	ds_bpermute_b32 v60, v65, v6
	s_waitcnt lgkmcnt(1)
	v_and_b32_e32 v61, 1, v61
	v_cmp_eq_u32_e32 vcc, 1, v78
	v_cmp_lt_u32_e64 s[52:53], v64, v9
	v_subrev_u32_e32 v58, 64, v58
	v_cndmask_b32_e64 v61, v61, 1, vcc
	v_cmp_gt_u64_e32 vcc, s[70:71], v[6:7]
	v_and_b32_e32 v78, 0xffff, v61
	v_cndmask_b32_e64 v61, v7, v61, s[52:53]
	v_cndmask_b32_e64 v7, v7, v78, s[52:53]
	s_and_b64 vcc, s[52:53], vcc
	ds_bpermute_b32 v78, v66, v7
	s_waitcnt lgkmcnt(1)
	v_cndmask_b32_e32 v60, 0, v60, vcc
	v_add_u32_e32 v6, v60, v6
	ds_bpermute_b32 v60, v66, v6
	v_and_b32_e32 v79, 1, v61
	s_waitcnt lgkmcnt(1)
	v_and_b32_e32 v78, 1, v78
	v_cmp_eq_u32_e32 vcc, 1, v79
	s_nop 1
	v_cndmask_b32_e64 v78, v78, 1, vcc
	v_cmp_eq_u16_sdwa vcc, v61, v59 src0_sel:BYTE_0 src1_sel:DWORD
	v_and_b32_e32 v79, 0xffff, v78
	s_waitcnt lgkmcnt(0)
	v_cndmask_b32_e32 v60, 0, v60, vcc
	v_cmp_gt_u32_e32 vcc, v67, v9
	s_nop 1
	v_cndmask_b32_e32 v7, v79, v7, vcc
	v_cndmask_b32_e32 v61, v78, v61, vcc
	ds_bpermute_b32 v78, v68, v7
	v_cndmask_b32_e64 v60, v60, 0, vcc
	v_add_u32_e32 v6, v60, v6
	ds_bpermute_b32 v60, v68, v6
	v_and_b32_e32 v79, 1, v61
	s_waitcnt lgkmcnt(1)
	v_and_b32_e32 v78, 1, v78
	v_cmp_eq_u32_e32 vcc, 1, v79
	s_nop 1
	v_cndmask_b32_e64 v78, v78, 1, vcc
	v_cmp_eq_u16_sdwa vcc, v61, v59 src0_sel:BYTE_0 src1_sel:DWORD
	v_and_b32_e32 v79, 0xffff, v78
	s_waitcnt lgkmcnt(0)
	v_cndmask_b32_e32 v60, 0, v60, vcc
	v_cmp_gt_u32_e32 vcc, v69, v9
	s_nop 1
	v_cndmask_b32_e32 v7, v79, v7, vcc
	v_cndmask_b32_e32 v61, v78, v61, vcc
	ds_bpermute_b32 v78, v70, v7
	v_cndmask_b32_e64 v60, v60, 0, vcc
	;; [unrolled: 18-line block ×3, first 2 shown]
	v_add_u32_e32 v6, v60, v6
	ds_bpermute_b32 v60, v72, v6
	v_and_b32_e32 v79, 1, v61
	s_waitcnt lgkmcnt(1)
	v_and_b32_e32 v78, 1, v78
	v_cmp_eq_u32_e32 vcc, 1, v79
	s_nop 1
	v_cndmask_b32_e64 v78, v78, 1, vcc
	v_cmp_eq_u16_sdwa vcc, v61, v59 src0_sel:BYTE_0 src1_sel:DWORD
	v_and_b32_e32 v79, 0xffff, v78
	s_waitcnt lgkmcnt(0)
	v_cndmask_b32_e32 v60, 0, v60, vcc
	v_cmp_gt_u32_e32 vcc, v74, v9
	s_nop 1
	v_cndmask_b32_e64 v60, v60, 0, vcc
	v_cndmask_b32_e32 v7, v79, v7, vcc
	ds_bpermute_b32 v7, v76, v7
	v_add_u32_e32 v6, v60, v6
	ds_bpermute_b32 v60, v76, v6
	v_cndmask_b32_e32 v61, v78, v61, vcc
	v_and_b32_e32 v78, 1, v61
	v_cmp_eq_u32_e32 vcc, 1, v78
	s_waitcnt lgkmcnt(1)
	s_nop 0
	v_cndmask_b32_e64 v7, v7, 1, vcc
	v_cmp_eq_u16_sdwa vcc, v61, v59 src0_sel:BYTE_0 src1_sel:DWORD
	s_waitcnt lgkmcnt(0)
	s_nop 0
	v_cndmask_b32_e32 v60, 0, v60, vcc
	v_cmp_gt_u32_e32 vcc, v77, v9
	s_nop 1
	v_cndmask_b32_e64 v9, v60, 0, vcc
	v_cndmask_b32_e32 v7, v7, v61, vcc
	v_add_u32_e32 v6, v9, v6
	v_cmp_eq_u16_sdwa vcc, v73, v59 src0_sel:BYTE_0 src1_sel:DWORD
	v_and_b32_e32 v9, 1, v73
	v_and_b32_e32 v7, 1, v7
	v_cndmask_b32_e32 v6, 0, v6, vcc
	v_cmp_eq_u32_e32 vcc, 1, v9
	v_add_u32_e32 v6, v6, v75
	s_nop 0
	v_cndmask_b32_e64 v7, v7, 1, vcc
.LBB481_176:                            ; =>This Loop Header: Depth=1
                                        ;     Child Loop BB481_179 Depth 2
                                        ;       Child Loop BB481_180 Depth 3
	v_cmp_ne_u16_sdwa s[52:53], v8, v3 src0_sel:BYTE_0 src1_sel:DWORD
	v_mov_b32_e32 v73, v7
	v_mov_b32_e32 v75, v6
	v_cndmask_b32_e64 v7, 0, 1, s[52:53]
	;;#ASMSTART
	;;#ASMEND
	s_nop 0
	v_cmp_ne_u32_e32 vcc, 0, v7
	s_cmp_lg_u64 vcc, exec
	s_cbranch_scc1 .LBB481_183
; %bb.177:                              ;   in Loop: Header=BB481_176 Depth=1
	v_lshl_add_u64 v[60:61], v[58:59], 4, s[56:57]
	;;#ASMSTART
	global_load_dwordx4 v[6:9], v[60:61] off sc1	
s_waitcnt vmcnt(0)
	;;#ASMEND
	s_nop 0
	v_and_b32_e32 v9, 0xff0000, v6
	v_and_b32_e32 v78, 0xff000000, v6
	;; [unrolled: 1-line block ×3, first 2 shown]
	v_or_b32_sdwa v6, v6, v9 dst_sel:DWORD dst_unused:UNUSED_PAD src0_sel:WORD_0 src1_sel:DWORD
	v_or3_b32 v7, 0, 0, v7
	v_or3_b32 v6, v6, v78, 0
	v_cmp_eq_u16_sdwa s[72:73], v8, v59 src0_sel:BYTE_0 src1_sel:DWORD
	s_and_saveexec_b64 s[52:53], s[72:73]
	s_cbranch_execz .LBB481_175
; %bb.178:                              ;   in Loop: Header=BB481_176 Depth=1
	s_mov_b32 s59, 1
	s_mov_b64 s[72:73], 0
.LBB481_179:                            ;   Parent Loop BB481_176 Depth=1
                                        ; =>  This Loop Header: Depth=2
                                        ;       Child Loop BB481_180 Depth 3
	s_max_u32 s74, s59, 1
.LBB481_180:                            ;   Parent Loop BB481_176 Depth=1
                                        ;     Parent Loop BB481_179 Depth=2
                                        ; =>    This Inner Loop Header: Depth=3
	s_add_i32 s74, s74, -1
	s_cmp_eq_u32 s74, 0
	s_sleep 1
	s_cbranch_scc0 .LBB481_180
; %bb.181:                              ;   in Loop: Header=BB481_179 Depth=2
	s_cmp_lt_u32 s59, 32
	s_cselect_b64 s[74:75], -1, 0
	s_cmp_lg_u64 s[74:75], 0
	s_addc_u32 s59, s59, 0
	;;#ASMSTART
	global_load_dwordx4 v[6:9], v[60:61] off sc1	
s_waitcnt vmcnt(0)
	;;#ASMEND
	s_nop 0
	v_cmp_ne_u16_sdwa s[74:75], v8, v59 src0_sel:BYTE_0 src1_sel:DWORD
	s_or_b64 s[72:73], s[74:75], s[72:73]
	s_andn2_b64 exec, exec, s[72:73]
	s_cbranch_execnz .LBB481_179
; %bb.182:                              ;   in Loop: Header=BB481_176 Depth=1
	s_or_b64 exec, exec, s[72:73]
	v_and_b32_e32 v7, 0xff, v7
	s_branch .LBB481_175
.LBB481_183:                            ;   in Loop: Header=BB481_176 Depth=1
                                        ; implicit-def: $vgpr7
                                        ; implicit-def: $vgpr6
                                        ; implicit-def: $vgpr8
	s_cbranch_execz .LBB481_176
; %bb.184:
	s_and_saveexec_b64 s[52:53], s[48:49]
	s_cbranch_execz .LBB481_186
; %bb.185:
	s_and_b32 s48, s3, 0xff
	s_cmp_eq_u32 s48, 0
	s_cselect_b64 vcc, -1, 0
	s_bitcmp1_b32 s3, 0
	s_mov_b32 s49, 0
	s_cselect_b64 s[70:71], -1, 0
	s_add_i32 s48, s2, 64
	s_lshl_b64 s[2:3], s[48:49], 4
	v_cndmask_b32_e32 v3, 0, v75, vcc
	s_add_u32 s2, s56, s2
	v_add_u32_e32 v2, v3, v2
	v_and_b32_e32 v3, 1, v73
	s_addc_u32 s3, s57, s3
	v_mov_b32_e32 v5, 0
	v_cndmask_b32_e64 v3, v3, 1, s[70:71]
	v_mov_b32_e32 v4, 2
	v_mov_b64_e32 v[6:7], s[2:3]
	;;#ASMSTART
	global_store_dwordx4 v[6:7], v[2:5] off sc1	
s_waitcnt vmcnt(0)
	;;#ASMEND
.LBB481_186:
	s_or_b64 exec, exec, s[52:53]
	s_and_b64 exec, exec, s[46:47]
	s_cbranch_execz .LBB481_188
; %bb.187:
	v_mov_b32_e32 v2, 0
	ds_write_b32 v2, v75
	ds_write_b8 v2, v73 offset:4
.LBB481_188:
	s_or_b64 exec, exec, s[60:61]
	v_mov_b32_e32 v2, 0
	s_waitcnt lgkmcnt(0)
	s_barrier
	ds_read_b32 v3, v2
	v_cmp_eq_u16_sdwa vcc, v63, v2 src0_sel:BYTE_0 src1_sel:DWORD
	s_waitcnt lgkmcnt(0)
	s_nop 0
	v_cndmask_b32_e32 v4, 0, v3, vcc
	v_add_u32_e32 v4, v4, v62
	v_cndmask_b32_e64 v58, v4, v3, s[46:47]
	v_and_b32_e32 v3, 0xff, v11
	v_cmp_eq_u64_e32 vcc, 0, v[2:3]
	s_nop 1
	v_cndmask_b32_e32 v2, 0, v58, vcc
	v_add_u32_e32 v59, v2, v10
	v_cndmask_b32_e64 v2, 0, v59, s[50:51]
	v_add_u32_e32 v60, v2, v12
	v_cndmask_b32_e64 v2, 0, v60, s[4:5]
	;; [unrolled: 2-line block ×21, first 2 shown]
	v_add_u32_e32 v80, v2, v52
	s_branch .LBB481_209
.LBB481_189:
                                        ; implicit-def: $vgpr79
                                        ; implicit-def: $vgpr78
                                        ; implicit-def: $vgpr77
                                        ; implicit-def: $vgpr76
                                        ; implicit-def: $vgpr75
                                        ; implicit-def: $vgpr74
                                        ; implicit-def: $vgpr73
                                        ; implicit-def: $vgpr72
                                        ; implicit-def: $vgpr71
                                        ; implicit-def: $vgpr70
                                        ; implicit-def: $vgpr69
                                        ; implicit-def: $vgpr68
                                        ; implicit-def: $vgpr67
                                        ; implicit-def: $vgpr66
                                        ; implicit-def: $vgpr65
                                        ; implicit-def: $vgpr64
                                        ; implicit-def: $vgpr63
                                        ; implicit-def: $vgpr62
                                        ; implicit-def: $vgpr61
                                        ; implicit-def: $vgpr60
                                        ; implicit-def: $vgpr59
                                        ; implicit-def: $vgpr58
                                        ; implicit-def: $vgpr80
	s_cbranch_execz .LBB481_209
; %bb.190:
	s_cmp_lg_u64 s[68:69], 0
	s_cselect_b32 s3, s63, 0
	s_cselect_b32 s2, s62, 0
	s_mov_b32 s44, 0
	s_cmp_eq_u64 s[2:3], 0
	v_mov_b32_e32 v4, s76
	s_cbranch_scc1 .LBB481_192
; %bb.191:
	v_mov_b32_e32 v2, 0
	global_load_dword v4, v2, s[2:3]
.LBB481_192:
	s_mov_b32 s45, 1
	v_cmp_gt_u64_e32 vcc, s[44:45], v[12:13]
	v_cmp_gt_u64_e64 s[2:3], s[44:45], v[14:15]
	v_cmp_gt_u64_e64 s[4:5], s[44:45], v[16:17]
	v_cndmask_b32_e32 v2, 0, v10, vcc
	v_add_u32_e32 v2, v2, v12
	v_cndmask_b32_e64 v2, 0, v2, s[2:3]
	v_add_u32_e32 v2, v2, v14
	v_cndmask_b32_e64 v2, 0, v2, s[4:5]
	v_add_u32_e32 v2, v2, v16
	v_cmp_gt_u64_e64 s[6:7], s[44:45], v[18:19]
	v_cmp_gt_u64_e64 s[8:9], s[44:45], v[20:21]
	v_cmp_gt_u64_e64 s[10:11], s[44:45], v[22:23]
	v_cndmask_b32_e64 v2, 0, v2, s[6:7]
	v_add_u32_e32 v2, v2, v18
	v_cndmask_b32_e64 v2, 0, v2, s[8:9]
	v_add_u32_e32 v2, v2, v20
	v_cndmask_b32_e64 v2, 0, v2, s[10:11]
	v_add_u32_e32 v2, v2, v22
	v_cmp_gt_u64_e64 s[12:13], s[44:45], v[24:25]
	v_cmp_gt_u64_e64 s[14:15], s[44:45], v[26:27]
	v_cmp_gt_u64_e64 s[16:17], s[44:45], v[28:29]
	v_cndmask_b32_e64 v2, 0, v2, s[12:13]
	;; [unrolled: 9-line block ×6, first 2 shown]
	v_add_u32_e32 v2, v2, v48
	v_cndmask_b32_e64 v2, 0, v2, s[40:41]
	v_add_u32_e32 v2, v2, v50
	v_cndmask_b32_e64 v2, 0, v2, s[42:43]
	v_add_u32_e32 v2, v2, v52
	v_cmp_gt_u64_e64 s[44:45], s[44:45], v[56:57]
	v_add_lshl_u32 v1, v1, v0, 3
	s_nop 0
	v_cndmask_b32_e64 v2, 0, v2, s[44:45]
	v_add_u32_e32 v5, v2, v56
	v_or3_b32 v2, v55, v51, v49
	v_or3_b32 v2, v2, v47, v45
	;; [unrolled: 1-line block ×10, first 2 shown]
	v_and_b32_e32 v2, 1, v2
	v_cmp_eq_u32_e64 s[44:45], 1, v2
	s_nop 1
	v_cndmask_b32_e64 v6, v11, 1, s[44:45]
	v_cmp_gt_u32_e64 s[44:45], 64, v0
	ds_write_b32 v1, v5
	ds_write_b8 v1, v6 offset:4
	s_waitcnt lgkmcnt(0)
	s_barrier
	s_and_saveexec_b64 s[46:47], s[44:45]
	s_cbranch_execz .LBB481_204
; %bb.193:
	v_lshrrev_b32_e32 v1, 3, v0
	v_add_lshl_u32 v1, v1, v54, 3
	ds_read2_b32 v[8:9], v1 offset0:2 offset1:4
	ds_read_b64 v[2:3], v1
	ds_read_u8 v13, v1 offset:12
	ds_read_u8 v15, v1 offset:20
	ds_read_b32 v17, v1 offset:24
	ds_read_u8 v19, v1 offset:28
	v_mov_b32_e32 v21, 0
	s_waitcnt lgkmcnt(3)
	v_cmp_eq_u16_sdwa s[44:45], v13, v21 src0_sel:BYTE_0 src1_sel:DWORD
	v_and_b32_e32 v7, 1, v3
	s_nop 0
	v_cndmask_b32_e64 v23, 0, v2, s[44:45]
	v_add_u32_e32 v8, v23, v8
	s_waitcnt lgkmcnt(2)
	v_cmp_eq_u16_sdwa s[44:45], v15, v21 src0_sel:BYTE_0 src1_sel:DWORD
	s_nop 1
	v_cndmask_b32_e64 v8, 0, v8, s[44:45]
	v_add_u32_e32 v8, v8, v9
	s_waitcnt lgkmcnt(0)
	v_cmp_eq_u16_e64 s[44:45], 0, v19
	s_nop 1
	v_cndmask_b32_e64 v8, 0, v8, s[44:45]
	v_add_u32_e32 v9, v8, v17
	v_or_b32_e32 v8, v19, v15
	v_or_b32_e32 v8, v8, v13
	v_and_b32_e32 v8, 1, v8
	v_cmp_eq_u32_e64 s[44:45], 1, v8
	v_mbcnt_lo_u32_b32 v13, -1, 0
	v_and_b32_e32 v8, 0xffffff00, v3
	v_cndmask_b32_e64 v15, v7, 1, s[44:45]
	v_mbcnt_hi_u32_b32 v13, -1, v13
	v_and_b32_e32 v19, 15, v13
	v_or_b32_sdwa v17, v8, v15 dst_sel:DWORD dst_unused:UNUSED_PAD src0_sel:DWORD src1_sel:WORD_0
	v_mov_b32_dpp v21, v9 row_shr:1 row_mask:0xf bank_mask:0xf
	v_cmp_ne_u32_e64 s[44:45], 0, v19
	v_mov_b32_dpp v23, v17 row_shr:1 row_mask:0xf bank_mask:0xf
	s_and_saveexec_b64 s[48:49], s[44:45]
; %bb.194:
	v_and_b32_e32 v17, 1, v15
	v_and_b32_e32 v23, 1, v23
	v_cmp_eq_u32_e64 s[44:45], 1, v17
	s_nop 1
	v_cndmask_b32_e64 v23, v23, 1, s[44:45]
	v_cmp_eq_u16_e64 s[44:45], 0, v15
	v_or_b32_sdwa v17, v8, v23 dst_sel:DWORD dst_unused:UNUSED_PAD src0_sel:DWORD src1_sel:WORD_0
	s_nop 0
	v_cndmask_b32_e64 v15, 0, v21, s[44:45]
	v_add_u32_e32 v9, v15, v9
	v_mov_b32_e32 v15, v23
; %bb.195:
	s_or_b64 exec, exec, s[48:49]
	v_mov_b32_dpp v21, v9 row_shr:2 row_mask:0xf bank_mask:0xf
	v_mov_b32_dpp v23, v17 row_shr:2 row_mask:0xf bank_mask:0xf
	v_cmp_lt_u32_e64 s[44:45], 1, v19
	s_and_saveexec_b64 s[48:49], s[44:45]
; %bb.196:
	v_and_b32_e32 v17, 1, v15
	v_and_b32_e32 v23, 1, v23
	v_cmp_eq_u32_e64 s[44:45], 1, v17
	s_nop 1
	v_cndmask_b32_e64 v23, v23, 1, s[44:45]
	v_cmp_eq_u16_e64 s[44:45], 0, v15
	v_or_b32_sdwa v17, v8, v23 dst_sel:DWORD dst_unused:UNUSED_PAD src0_sel:DWORD src1_sel:WORD_0
	s_nop 0
	v_cndmask_b32_e64 v15, 0, v21, s[44:45]
	v_add_u32_e32 v9, v15, v9
	v_mov_b32_e32 v15, v23
; %bb.197:
	s_or_b64 exec, exec, s[48:49]
	v_mov_b32_dpp v21, v9 row_shr:4 row_mask:0xf bank_mask:0xf
	v_mov_b32_dpp v23, v17 row_shr:4 row_mask:0xf bank_mask:0xf
	v_cmp_lt_u32_e64 s[44:45], 3, v19
	;; [unrolled: 18-line block ×3, first 2 shown]
	s_and_saveexec_b64 s[48:49], s[44:45]
; %bb.200:
	v_and_b32_e32 v17, 1, v15
	v_and_b32_e32 v19, 1, v23
	v_cmp_eq_u32_e64 s[44:45], 1, v17
	s_nop 1
	v_cndmask_b32_e64 v19, v19, 1, s[44:45]
	v_cmp_eq_u16_e64 s[44:45], 0, v15
	v_or_b32_sdwa v17, v8, v19 dst_sel:DWORD dst_unused:UNUSED_PAD src0_sel:DWORD src1_sel:WORD_0
	s_nop 0
	v_cndmask_b32_e64 v15, 0, v21, s[44:45]
	v_add_u32_e32 v9, v15, v9
	v_mov_b32_e32 v15, v19
; %bb.201:
	s_or_b64 exec, exec, s[48:49]
	v_and_b32_e32 v23, 16, v13
	v_mov_b32_dpp v19, v9 row_bcast:15 row_mask:0xf bank_mask:0xf
	v_mov_b32_dpp v21, v17 row_bcast:15 row_mask:0xf bank_mask:0xf
	v_cmp_ne_u32_e64 s[44:45], 0, v23
	s_and_saveexec_b64 s[48:49], s[44:45]
; %bb.202:
	v_and_b32_e32 v17, 1, v15
	v_and_b32_e32 v21, 1, v21
	v_cmp_eq_u32_e64 s[44:45], 1, v17
	s_nop 1
	v_cndmask_b32_e64 v21, v21, 1, s[44:45]
	v_cmp_eq_u16_e64 s[44:45], 0, v15
	v_or_b32_sdwa v17, v8, v21 dst_sel:DWORD dst_unused:UNUSED_PAD src0_sel:DWORD src1_sel:WORD_0
	s_nop 0
	v_cndmask_b32_e64 v15, 0, v19, s[44:45]
	v_add_u32_e32 v9, v15, v9
	v_mov_b32_e32 v15, v21
; %bb.203:
	s_or_b64 exec, exec, s[48:49]
	v_mov_b32_dpp v17, v17 row_bcast:31 row_mask:0xf bank_mask:0xf
	v_and_b32_e32 v21, 1, v15
	v_and_b32_e32 v17, 1, v17
	v_cmp_eq_u32_e64 s[44:45], 1, v21
	v_mov_b32_e32 v21, 0
	v_cmp_eq_u16_sdwa s[48:49], v15, v21 src0_sel:BYTE_0 src1_sel:DWORD
	v_cndmask_b32_e64 v17, v17, 1, s[44:45]
	v_cmp_lt_u32_e64 s[44:45], 31, v13
	v_mov_b32_dpp v19, v9 row_bcast:31 row_mask:0xf bank_mask:0xf
	s_movk_i32 s50, 0xff
	v_cndmask_b32_e64 v15, v15, v17, s[44:45]
	s_and_b64 s[44:45], s[44:45], s[48:49]
	v_cndmask_b32_e64 v17, 0, v19, s[44:45]
	v_add_u32_e32 v9, v17, v9
	v_add_u32_e32 v17, -1, v13
	v_and_b32_e32 v19, 64, v13
	v_cmp_lt_i32_e64 s[44:45], v17, v19
	v_and_or_b32 v8, v15, s50, v8
	s_nop 0
	v_cndmask_b32_e64 v13, v17, v13, s[44:45]
	v_lshlrev_b32_e32 v13, 2, v13
	ds_bpermute_b32 v9, v13, v9
	ds_bpermute_b32 v8, v13, v8
	v_cmp_eq_u16_sdwa s[44:45], v3, v21 src0_sel:BYTE_0 src1_sel:DWORD
	; wave barrier
	s_waitcnt lgkmcnt(1)
	s_nop 0
	v_cndmask_b32_e64 v3, 0, v9, s[44:45]
	v_add_u32_e32 v2, v3, v2
	s_waitcnt lgkmcnt(0)
	v_and_b32_e32 v3, 1, v8
	v_cmp_eq_u32_e64 s[44:45], 1, v7
	s_nop 1
	v_cndmask_b32_e64 v3, v3, 1, s[44:45]
	v_cmp_eq_u32_e64 s[44:45], 0, v0
	s_nop 1
	v_cndmask_b32_e64 v5, v2, v5, s[44:45]
	v_cndmask_b32_e64 v6, v3, v6, s[44:45]
	ds_write_b32 v1, v5
	ds_write_b8 v1, v6 offset:4
	; wave barrier
	ds_read_u8 v7, v1 offset:12
	ds_read2_b32 v[2:3], v1 offset0:2 offset1:4
	ds_read_u8 v8, v1 offset:20
	ds_read_b32 v9, v1 offset:24
	ds_read_u8 v13, v1 offset:28
	s_waitcnt lgkmcnt(4)
	v_cmp_eq_u16_e64 s[44:45], 0, v7
	s_nop 1
	v_cndmask_b32_e64 v5, 0, v5, s[44:45]
	s_waitcnt lgkmcnt(3)
	v_add_u32_e32 v2, v5, v2
	v_and_b32_e32 v5, 1, v7
	v_cmp_eq_u32_e64 s[44:45], 1, v5
	s_nop 1
	v_cndmask_b32_e64 v5, v6, 1, s[44:45]
	s_waitcnt lgkmcnt(2)
	v_cmp_eq_u16_e64 s[44:45], 0, v8
	ds_write_b8 v1, v5 offset:12
	s_nop 0
	v_cndmask_b32_e64 v6, 0, v2, s[44:45]
	v_add_u32_e32 v3, v6, v3
	v_and_b32_e32 v6, 1, v8
	v_cmp_eq_u32_e64 s[44:45], 1, v6
	s_nop 1
	v_cndmask_b32_e64 v5, v5, 1, s[44:45]
	s_waitcnt lgkmcnt(1)
	v_cmp_eq_u16_e64 s[44:45], 0, v13
	ds_write2_b32 v1, v2, v3 offset0:2 offset1:4
	ds_write_b8 v1, v5 offset:20
	v_cndmask_b32_e64 v2, 0, v3, s[44:45]
	v_and_b32_e32 v3, 1, v13
	v_add_u32_e32 v2, v2, v9
	v_cmp_eq_u32_e64 s[44:45], 1, v3
	s_nop 1
	v_cndmask_b32_e64 v3, v5, 1, s[44:45]
	ds_write_b32 v1, v2 offset:24
	ds_write_b8 v1, v3 offset:28
.LBB481_204:
	s_or_b64 exec, exec, s[46:47]
	v_cmp_eq_u32_e64 s[44:45], 0, v0
	v_cmp_ne_u32_e64 s[46:47], 0, v0
	s_waitcnt vmcnt(0)
	v_mov_b32_e32 v58, v4
	s_waitcnt lgkmcnt(0)
	s_barrier
	s_and_saveexec_b64 s[48:49], s[46:47]
	s_cbranch_execz .LBB481_206
; %bb.205:
	v_add_u32_e32 v1, -1, v0
	v_lshrrev_b32_e32 v2, 5, v1
	v_add_lshl_u32 v1, v2, v1, 3
	ds_read_u8 v2, v1 offset:4
	ds_read_b32 v1, v1
	s_waitcnt lgkmcnt(1)
	v_cmp_eq_u16_e64 s[46:47], 0, v2
	s_nop 1
	v_cndmask_b32_e64 v2, 0, v4, s[46:47]
	s_waitcnt lgkmcnt(0)
	v_add_u32_e32 v58, v2, v1
.LBB481_206:
	s_or_b64 exec, exec, s[48:49]
	v_and_b32_e32 v3, 0xff, v11
	v_mov_b32_e32 v2, 0
	v_cmp_eq_u64_e64 s[46:47], 0, v[2:3]
	s_nop 1
	v_cndmask_b32_e64 v1, 0, v58, s[46:47]
	v_add_u32_e32 v59, v1, v10
	v_cndmask_b32_e32 v1, 0, v59, vcc
	v_add_u32_e32 v60, v1, v12
	v_cndmask_b32_e64 v1, 0, v60, s[2:3]
	v_add_u32_e32 v61, v1, v14
	v_cndmask_b32_e64 v1, 0, v61, s[4:5]
	;; [unrolled: 2-line block ×20, first 2 shown]
	s_and_saveexec_b64 s[2:3], s[44:45]
	s_cbranch_execz .LBB481_208
; %bb.207:
	ds_read_u8 v3, v2 offset:2100
	ds_read_b32 v5, v2 offset:2096
	s_add_u32 s4, s56, 0x400
	s_addc_u32 s5, s57, 0
	v_mov_b32_e32 v6, 2
	s_waitcnt lgkmcnt(1)
	v_cmp_eq_u16_e32 vcc, 0, v3
	v_mov_b32_e32 v7, v2
	s_nop 0
	v_cndmask_b32_e32 v4, 0, v4, vcc
	s_waitcnt lgkmcnt(0)
	v_add_u32_e32 v4, v4, v5
	v_and_b32_e32 v5, 0xffff, v3
	v_mov_b64_e32 v[2:3], s[4:5]
	;;#ASMSTART
	global_store_dwordx4 v[2:3], v[4:7] off sc1	
s_waitcnt vmcnt(0)
	;;#ASMEND
.LBB481_208:
	s_or_b64 exec, exec, s[2:3]
	v_add_u32_e32 v80, v1, v52
.LBB481_209:
	s_add_u32 s2, s54, s64
	s_addc_u32 s3, s55, s65
	s_add_u32 s2, s2, s66
	s_addc_u32 s3, s3, s67
	s_and_b64 vcc, exec, s[0:1]
	s_cbranch_vccz .LBB481_255
; %bb.210:
	s_movk_i32 s0, 0x5c
	v_mul_i32_i24_e32 v26, 0xffffffa8, v0
	v_mul_u32_u24_e32 v1, 0x5c, v0
	v_mad_u32_u24 v2, v0, s0, v26
	s_barrier
	ds_write2_b32 v1, v58, v59 offset1:1
	ds_write2_b32 v1, v60, v61 offset0:2 offset1:3
	ds_write2_b32 v1, v62, v63 offset0:4 offset1:5
	;; [unrolled: 1-line block ×10, first 2 shown]
	ds_write_b32 v1, v80 offset:88
	s_waitcnt lgkmcnt(0)
	s_barrier
	ds_read2st64_b32 v[24:25], v2 offset0:4 offset1:8
	ds_read2st64_b32 v[22:23], v2 offset0:12 offset1:16
	;; [unrolled: 1-line block ×11, first 2 shown]
	s_add_i32 s33, s33, s58
	v_mov_b32_e32 v55, 0
	v_lshl_add_u64 v[4:5], s[2:3], 0, v[54:55]
	v_cmp_gt_u32_e32 vcc, s33, v0
	s_and_saveexec_b64 s[0:1], vcc
	s_cbranch_execz .LBB481_212
; %bb.211:
	v_add_u32_e32 v1, v1, v26
	ds_read_b32 v1, v1
	s_waitcnt lgkmcnt(0)
	flat_store_dword v[4:5], v1
.LBB481_212:
	s_or_b64 exec, exec, s[0:1]
	v_or_b32_e32 v1, 0x100, v0
	v_cmp_gt_u32_e32 vcc, s33, v1
	s_and_saveexec_b64 s[0:1], vcc
	s_cbranch_execz .LBB481_214
; %bb.213:
	s_waitcnt lgkmcnt(0)
	flat_store_dword v[4:5], v24 offset:1024
.LBB481_214:
	s_or_b64 exec, exec, s[0:1]
	v_or_b32_e32 v1, 0x200, v0
	v_cmp_gt_u32_e32 vcc, s33, v1
	s_and_saveexec_b64 s[0:1], vcc
	s_cbranch_execz .LBB481_216
; %bb.215:
	s_waitcnt lgkmcnt(0)
	flat_store_dword v[4:5], v25 offset:2048
.LBB481_216:
	;; [unrolled: 9-line block ×3, first 2 shown]
	s_or_b64 exec, exec, s[0:1]
	v_or_b32_e32 v1, 0x400, v0
	v_cmp_gt_u32_e32 vcc, s33, v1
	s_and_saveexec_b64 s[0:1], vcc
	s_cbranch_execz .LBB481_220
; %bb.219:
	s_waitcnt lgkmcnt(0)
	v_add_co_u32_e32 v24, vcc, 0x1000, v4
	s_nop 1
	v_addc_co_u32_e32 v25, vcc, 0, v5, vcc
	flat_store_dword v[24:25], v23
.LBB481_220:
	s_or_b64 exec, exec, s[0:1]
	v_or_b32_e32 v1, 0x500, v0
	v_cmp_gt_u32_e32 vcc, s33, v1
	s_and_saveexec_b64 s[0:1], vcc
	s_cbranch_execz .LBB481_222
; %bb.221:
	s_waitcnt lgkmcnt(0)
	v_add_co_u32_e32 v22, vcc, 0x1000, v4
	s_nop 1
	v_addc_co_u32_e32 v23, vcc, 0, v5, vcc
	flat_store_dword v[22:23], v20 offset:1024
.LBB481_222:
	s_or_b64 exec, exec, s[0:1]
	v_or_b32_e32 v1, 0x600, v0
	v_cmp_gt_u32_e32 vcc, s33, v1
	s_and_saveexec_b64 s[0:1], vcc
	s_cbranch_execz .LBB481_224
; %bb.223:
	s_waitcnt lgkmcnt(0)
	v_add_co_u32_e32 v22, vcc, 0x1000, v4
	s_nop 1
	v_addc_co_u32_e32 v23, vcc, 0, v5, vcc
	flat_store_dword v[22:23], v21 offset:2048
.LBB481_224:
	s_or_b64 exec, exec, s[0:1]
	v_or_b32_e32 v1, 0x700, v0
	v_cmp_gt_u32_e32 vcc, s33, v1
	s_and_saveexec_b64 s[0:1], vcc
	s_cbranch_execz .LBB481_226
; %bb.225:
	s_waitcnt lgkmcnt(0)
	v_add_co_u32_e32 v20, vcc, 0x1000, v4
	s_nop 1
	v_addc_co_u32_e32 v21, vcc, 0, v5, vcc
	flat_store_dword v[20:21], v18 offset:3072
.LBB481_226:
	s_or_b64 exec, exec, s[0:1]
	v_or_b32_e32 v1, 0x800, v0
	v_cmp_gt_u32_e32 vcc, s33, v1
	s_and_saveexec_b64 s[0:1], vcc
	s_cbranch_execz .LBB481_228
; %bb.227:
	s_waitcnt lgkmcnt(0)
	v_add_co_u32_e32 v20, vcc, 0x2000, v4
	s_nop 1
	v_addc_co_u32_e32 v21, vcc, 0, v5, vcc
	flat_store_dword v[20:21], v19
.LBB481_228:
	s_or_b64 exec, exec, s[0:1]
	v_or_b32_e32 v1, 0x900, v0
	v_cmp_gt_u32_e32 vcc, s33, v1
	s_and_saveexec_b64 s[0:1], vcc
	s_cbranch_execz .LBB481_230
; %bb.229:
	s_waitcnt lgkmcnt(0)
	v_add_co_u32_e32 v18, vcc, 0x2000, v4
	s_nop 1
	v_addc_co_u32_e32 v19, vcc, 0, v5, vcc
	flat_store_dword v[18:19], v16 offset:1024
.LBB481_230:
	s_or_b64 exec, exec, s[0:1]
	v_or_b32_e32 v1, 0xa00, v0
	v_cmp_gt_u32_e32 vcc, s33, v1
	s_and_saveexec_b64 s[0:1], vcc
	s_cbranch_execz .LBB481_232
; %bb.231:
	s_waitcnt lgkmcnt(0)
	v_add_co_u32_e32 v18, vcc, 0x2000, v4
	s_nop 1
	v_addc_co_u32_e32 v19, vcc, 0, v5, vcc
	flat_store_dword v[18:19], v17 offset:2048
.LBB481_232:
	s_or_b64 exec, exec, s[0:1]
	v_or_b32_e32 v1, 0xb00, v0
	v_cmp_gt_u32_e32 vcc, s33, v1
	s_and_saveexec_b64 s[0:1], vcc
	s_cbranch_execz .LBB481_234
; %bb.233:
	s_waitcnt lgkmcnt(0)
	v_add_co_u32_e32 v16, vcc, 0x2000, v4
	s_nop 1
	v_addc_co_u32_e32 v17, vcc, 0, v5, vcc
	flat_store_dword v[16:17], v14 offset:3072
.LBB481_234:
	;; [unrolled: 48-line block ×4, first 2 shown]
	s_or_b64 exec, exec, s[0:1]
	v_or_b32_e32 v1, 0x1400, v0
	v_cmp_gt_u32_e32 vcc, s33, v1
	s_and_saveexec_b64 s[0:1], vcc
	s_cbranch_execz .LBB481_252
; %bb.251:
	s_waitcnt lgkmcnt(0)
	v_add_co_u32_e32 v8, vcc, 0x5000, v4
	s_nop 1
	v_addc_co_u32_e32 v9, vcc, 0, v5, vcc
	flat_store_dword v[8:9], v7
.LBB481_252:
	s_or_b64 exec, exec, s[0:1]
	v_or_b32_e32 v1, 0x1500, v0
	v_cmp_gt_u32_e32 vcc, s33, v1
	s_and_saveexec_b64 s[0:1], vcc
	s_cbranch_execz .LBB481_254
; %bb.253:
	v_add_co_u32_e32 v4, vcc, 0x5000, v4
	s_nop 1
	v_addc_co_u32_e32 v5, vcc, 0, v5, vcc
	s_waitcnt lgkmcnt(0)
	flat_store_dword v[4:5], v2 offset:1024
.LBB481_254:
	s_or_b64 exec, exec, s[0:1]
	s_waitcnt lgkmcnt(0)
	v_or_b32_e32 v2, 0x1600, v0
	v_mov_b32_e32 v1, v55
	v_cmp_gt_u32_e64 s[0:1], s33, v2
	s_branch .LBB481_257
.LBB481_255:
	s_mov_b64 s[0:1], 0
                                        ; implicit-def: $vgpr3
	s_cbranch_execz .LBB481_257
; %bb.256:
	v_mul_u32_u24_e32 v1, 0x5c, v0
	s_barrier
	s_movk_i32 s4, 0x5c
	ds_write2_b32 v1, v58, v59 offset1:1
	ds_write2_b32 v1, v60, v61 offset0:2 offset1:3
	ds_write2_b32 v1, v62, v63 offset0:4 offset1:5
	;; [unrolled: 1-line block ×10, first 2 shown]
	ds_write_b32 v1, v80 offset:88
	v_mov_b32_e32 v1, 0
	v_mul_i32_i24_e32 v2, 0xffffffa8, v0
	v_mad_u32_u24 v2, v0, s4, v2
	v_mov_b32_e32 v55, v1
	s_waitcnt lgkmcnt(0)
	s_barrier
	ds_read2st64_b32 v[4:5], v2 offset1:4
	ds_read2st64_b32 v[6:7], v2 offset0:8 offset1:12
	ds_read2st64_b32 v[8:9], v2 offset0:16 offset1:20
	;; [unrolled: 1-line block ×10, first 2 shown]
	ds_read_b32 v3, v2 offset:22528
	v_lshl_add_u64 v[26:27], s[2:3], 0, v[54:55]
	s_movk_i32 s4, 0x1000
	s_waitcnt lgkmcnt(0)
	flat_store_dword v[26:27], v4
	flat_store_dword v[26:27], v5 offset:1024
	flat_store_dword v[26:27], v6 offset:2048
	;; [unrolled: 1-line block ×3, first 2 shown]
	v_add_co_u32_e32 v4, vcc, s4, v26
	s_movk_i32 s4, 0x2000
	s_nop 0
	v_addc_co_u32_e32 v5, vcc, 0, v27, vcc
	flat_store_dword v[4:5], v8
	flat_store_dword v[4:5], v9 offset:1024
	flat_store_dword v[4:5], v10 offset:2048
	;; [unrolled: 1-line block ×3, first 2 shown]
	v_add_co_u32_e32 v4, vcc, s4, v26
	s_movk_i32 s4, 0x3000
	s_nop 0
	v_addc_co_u32_e32 v5, vcc, 0, v27, vcc
	flat_store_dword v[4:5], v12
	flat_store_dword v[4:5], v13 offset:1024
	flat_store_dword v[4:5], v14 offset:2048
	;; [unrolled: 1-line block ×3, first 2 shown]
	v_add_co_u32_e32 v4, vcc, s4, v26
	s_or_b64 s[0:1], s[0:1], exec
	s_nop 0
	v_addc_co_u32_e32 v5, vcc, 0, v27, vcc
	flat_store_dword v[4:5], v16
	flat_store_dword v[4:5], v17 offset:1024
	flat_store_dword v[4:5], v18 offset:2048
	;; [unrolled: 1-line block ×3, first 2 shown]
	v_add_co_u32_e32 v4, vcc, 0x4000, v26
	s_nop 1
	v_addc_co_u32_e32 v5, vcc, 0, v27, vcc
	flat_store_dword v[4:5], v20
	flat_store_dword v[4:5], v21 offset:1024
	flat_store_dword v[4:5], v22 offset:2048
	;; [unrolled: 1-line block ×3, first 2 shown]
	v_add_co_u32_e32 v4, vcc, 0x5000, v26
	s_nop 1
	v_addc_co_u32_e32 v5, vcc, 0, v27, vcc
	flat_store_dword v[4:5], v24
	flat_store_dword v[4:5], v25 offset:1024
.LBB481_257:
	s_and_saveexec_b64 s[4:5], s[0:1]
	s_cbranch_execz .LBB481_259
; %bb.258:
	v_lshl_add_u64 v[0:1], v[0:1], 2, s[2:3]
	v_add_co_u32_e32 v0, vcc, 0x5000, v0
	s_nop 1
	v_addc_co_u32_e32 v1, vcc, 0, v1, vcc
	flat_store_dword v[0:1], v3 offset:2048
	s_endpgm
.LBB481_259:
	s_endpgm
	.section	.rodata,"a",@progbits
	.p2align	6, 0x0
	.amdhsa_kernel _ZN7rocprim17ROCPRIM_400000_NS6detail17trampoline_kernelINS0_14default_configENS1_27scan_by_key_config_selectorIiiEEZZNS1_16scan_by_key_implILNS1_25lookback_scan_determinismE0ELb1ES3_N6thrust23THRUST_200600_302600_NS6detail15normal_iteratorINS9_10device_ptrIiEEEESE_SE_iNS9_4plusIvEENS9_8equal_toIvEEiEE10hipError_tPvRmT2_T3_T4_T5_mT6_T7_P12ihipStream_tbENKUlT_T0_E_clISt17integral_constantIbLb1EESY_IbLb0EEEEDaSU_SV_EUlSU_E_NS1_11comp_targetILNS1_3genE5ELNS1_11target_archE942ELNS1_3gpuE9ELNS1_3repE0EEENS1_30default_config_static_selectorELNS0_4arch9wavefront6targetE1EEEvT1_
		.amdhsa_group_segment_fixed_size 25600
		.amdhsa_private_segment_fixed_size 0
		.amdhsa_kernarg_size 112
		.amdhsa_user_sgpr_count 2
		.amdhsa_user_sgpr_dispatch_ptr 0
		.amdhsa_user_sgpr_queue_ptr 0
		.amdhsa_user_sgpr_kernarg_segment_ptr 1
		.amdhsa_user_sgpr_dispatch_id 0
		.amdhsa_user_sgpr_kernarg_preload_length 0
		.amdhsa_user_sgpr_kernarg_preload_offset 0
		.amdhsa_user_sgpr_private_segment_size 0
		.amdhsa_uses_dynamic_stack 0
		.amdhsa_enable_private_segment 0
		.amdhsa_system_sgpr_workgroup_id_x 1
		.amdhsa_system_sgpr_workgroup_id_y 0
		.amdhsa_system_sgpr_workgroup_id_z 0
		.amdhsa_system_sgpr_workgroup_info 0
		.amdhsa_system_vgpr_workitem_id 0
		.amdhsa_next_free_vgpr 81
		.amdhsa_next_free_sgpr 80
		.amdhsa_accum_offset 84
		.amdhsa_reserve_vcc 1
		.amdhsa_float_round_mode_32 0
		.amdhsa_float_round_mode_16_64 0
		.amdhsa_float_denorm_mode_32 3
		.amdhsa_float_denorm_mode_16_64 3
		.amdhsa_dx10_clamp 1
		.amdhsa_ieee_mode 1
		.amdhsa_fp16_overflow 0
		.amdhsa_tg_split 0
		.amdhsa_exception_fp_ieee_invalid_op 0
		.amdhsa_exception_fp_denorm_src 0
		.amdhsa_exception_fp_ieee_div_zero 0
		.amdhsa_exception_fp_ieee_overflow 0
		.amdhsa_exception_fp_ieee_underflow 0
		.amdhsa_exception_fp_ieee_inexact 0
		.amdhsa_exception_int_div_zero 0
	.end_amdhsa_kernel
	.section	.text._ZN7rocprim17ROCPRIM_400000_NS6detail17trampoline_kernelINS0_14default_configENS1_27scan_by_key_config_selectorIiiEEZZNS1_16scan_by_key_implILNS1_25lookback_scan_determinismE0ELb1ES3_N6thrust23THRUST_200600_302600_NS6detail15normal_iteratorINS9_10device_ptrIiEEEESE_SE_iNS9_4plusIvEENS9_8equal_toIvEEiEE10hipError_tPvRmT2_T3_T4_T5_mT6_T7_P12ihipStream_tbENKUlT_T0_E_clISt17integral_constantIbLb1EESY_IbLb0EEEEDaSU_SV_EUlSU_E_NS1_11comp_targetILNS1_3genE5ELNS1_11target_archE942ELNS1_3gpuE9ELNS1_3repE0EEENS1_30default_config_static_selectorELNS0_4arch9wavefront6targetE1EEEvT1_,"axG",@progbits,_ZN7rocprim17ROCPRIM_400000_NS6detail17trampoline_kernelINS0_14default_configENS1_27scan_by_key_config_selectorIiiEEZZNS1_16scan_by_key_implILNS1_25lookback_scan_determinismE0ELb1ES3_N6thrust23THRUST_200600_302600_NS6detail15normal_iteratorINS9_10device_ptrIiEEEESE_SE_iNS9_4plusIvEENS9_8equal_toIvEEiEE10hipError_tPvRmT2_T3_T4_T5_mT6_T7_P12ihipStream_tbENKUlT_T0_E_clISt17integral_constantIbLb1EESY_IbLb0EEEEDaSU_SV_EUlSU_E_NS1_11comp_targetILNS1_3genE5ELNS1_11target_archE942ELNS1_3gpuE9ELNS1_3repE0EEENS1_30default_config_static_selectorELNS0_4arch9wavefront6targetE1EEEvT1_,comdat
.Lfunc_end481:
	.size	_ZN7rocprim17ROCPRIM_400000_NS6detail17trampoline_kernelINS0_14default_configENS1_27scan_by_key_config_selectorIiiEEZZNS1_16scan_by_key_implILNS1_25lookback_scan_determinismE0ELb1ES3_N6thrust23THRUST_200600_302600_NS6detail15normal_iteratorINS9_10device_ptrIiEEEESE_SE_iNS9_4plusIvEENS9_8equal_toIvEEiEE10hipError_tPvRmT2_T3_T4_T5_mT6_T7_P12ihipStream_tbENKUlT_T0_E_clISt17integral_constantIbLb1EESY_IbLb0EEEEDaSU_SV_EUlSU_E_NS1_11comp_targetILNS1_3genE5ELNS1_11target_archE942ELNS1_3gpuE9ELNS1_3repE0EEENS1_30default_config_static_selectorELNS0_4arch9wavefront6targetE1EEEvT1_, .Lfunc_end481-_ZN7rocprim17ROCPRIM_400000_NS6detail17trampoline_kernelINS0_14default_configENS1_27scan_by_key_config_selectorIiiEEZZNS1_16scan_by_key_implILNS1_25lookback_scan_determinismE0ELb1ES3_N6thrust23THRUST_200600_302600_NS6detail15normal_iteratorINS9_10device_ptrIiEEEESE_SE_iNS9_4plusIvEENS9_8equal_toIvEEiEE10hipError_tPvRmT2_T3_T4_T5_mT6_T7_P12ihipStream_tbENKUlT_T0_E_clISt17integral_constantIbLb1EESY_IbLb0EEEEDaSU_SV_EUlSU_E_NS1_11comp_targetILNS1_3genE5ELNS1_11target_archE942ELNS1_3gpuE9ELNS1_3repE0EEENS1_30default_config_static_selectorELNS0_4arch9wavefront6targetE1EEEvT1_
                                        ; -- End function
	.section	.AMDGPU.csdata,"",@progbits
; Kernel info:
; codeLenInByte = 15836
; NumSgprs: 86
; NumVgprs: 81
; NumAgprs: 0
; TotalNumVgprs: 81
; ScratchSize: 0
; MemoryBound: 0
; FloatMode: 240
; IeeeMode: 1
; LDSByteSize: 25600 bytes/workgroup (compile time only)
; SGPRBlocks: 10
; VGPRBlocks: 10
; NumSGPRsForWavesPerEU: 86
; NumVGPRsForWavesPerEU: 81
; AccumOffset: 84
; Occupancy: 2
; WaveLimiterHint : 1
; COMPUTE_PGM_RSRC2:SCRATCH_EN: 0
; COMPUTE_PGM_RSRC2:USER_SGPR: 2
; COMPUTE_PGM_RSRC2:TRAP_HANDLER: 0
; COMPUTE_PGM_RSRC2:TGID_X_EN: 1
; COMPUTE_PGM_RSRC2:TGID_Y_EN: 0
; COMPUTE_PGM_RSRC2:TGID_Z_EN: 0
; COMPUTE_PGM_RSRC2:TIDIG_COMP_CNT: 0
; COMPUTE_PGM_RSRC3_GFX90A:ACCUM_OFFSET: 20
; COMPUTE_PGM_RSRC3_GFX90A:TG_SPLIT: 0
	.section	.text._ZN7rocprim17ROCPRIM_400000_NS6detail17trampoline_kernelINS0_14default_configENS1_27scan_by_key_config_selectorIiiEEZZNS1_16scan_by_key_implILNS1_25lookback_scan_determinismE0ELb1ES3_N6thrust23THRUST_200600_302600_NS6detail15normal_iteratorINS9_10device_ptrIiEEEESE_SE_iNS9_4plusIvEENS9_8equal_toIvEEiEE10hipError_tPvRmT2_T3_T4_T5_mT6_T7_P12ihipStream_tbENKUlT_T0_E_clISt17integral_constantIbLb1EESY_IbLb0EEEEDaSU_SV_EUlSU_E_NS1_11comp_targetILNS1_3genE4ELNS1_11target_archE910ELNS1_3gpuE8ELNS1_3repE0EEENS1_30default_config_static_selectorELNS0_4arch9wavefront6targetE1EEEvT1_,"axG",@progbits,_ZN7rocprim17ROCPRIM_400000_NS6detail17trampoline_kernelINS0_14default_configENS1_27scan_by_key_config_selectorIiiEEZZNS1_16scan_by_key_implILNS1_25lookback_scan_determinismE0ELb1ES3_N6thrust23THRUST_200600_302600_NS6detail15normal_iteratorINS9_10device_ptrIiEEEESE_SE_iNS9_4plusIvEENS9_8equal_toIvEEiEE10hipError_tPvRmT2_T3_T4_T5_mT6_T7_P12ihipStream_tbENKUlT_T0_E_clISt17integral_constantIbLb1EESY_IbLb0EEEEDaSU_SV_EUlSU_E_NS1_11comp_targetILNS1_3genE4ELNS1_11target_archE910ELNS1_3gpuE8ELNS1_3repE0EEENS1_30default_config_static_selectorELNS0_4arch9wavefront6targetE1EEEvT1_,comdat
	.protected	_ZN7rocprim17ROCPRIM_400000_NS6detail17trampoline_kernelINS0_14default_configENS1_27scan_by_key_config_selectorIiiEEZZNS1_16scan_by_key_implILNS1_25lookback_scan_determinismE0ELb1ES3_N6thrust23THRUST_200600_302600_NS6detail15normal_iteratorINS9_10device_ptrIiEEEESE_SE_iNS9_4plusIvEENS9_8equal_toIvEEiEE10hipError_tPvRmT2_T3_T4_T5_mT6_T7_P12ihipStream_tbENKUlT_T0_E_clISt17integral_constantIbLb1EESY_IbLb0EEEEDaSU_SV_EUlSU_E_NS1_11comp_targetILNS1_3genE4ELNS1_11target_archE910ELNS1_3gpuE8ELNS1_3repE0EEENS1_30default_config_static_selectorELNS0_4arch9wavefront6targetE1EEEvT1_ ; -- Begin function _ZN7rocprim17ROCPRIM_400000_NS6detail17trampoline_kernelINS0_14default_configENS1_27scan_by_key_config_selectorIiiEEZZNS1_16scan_by_key_implILNS1_25lookback_scan_determinismE0ELb1ES3_N6thrust23THRUST_200600_302600_NS6detail15normal_iteratorINS9_10device_ptrIiEEEESE_SE_iNS9_4plusIvEENS9_8equal_toIvEEiEE10hipError_tPvRmT2_T3_T4_T5_mT6_T7_P12ihipStream_tbENKUlT_T0_E_clISt17integral_constantIbLb1EESY_IbLb0EEEEDaSU_SV_EUlSU_E_NS1_11comp_targetILNS1_3genE4ELNS1_11target_archE910ELNS1_3gpuE8ELNS1_3repE0EEENS1_30default_config_static_selectorELNS0_4arch9wavefront6targetE1EEEvT1_
	.globl	_ZN7rocprim17ROCPRIM_400000_NS6detail17trampoline_kernelINS0_14default_configENS1_27scan_by_key_config_selectorIiiEEZZNS1_16scan_by_key_implILNS1_25lookback_scan_determinismE0ELb1ES3_N6thrust23THRUST_200600_302600_NS6detail15normal_iteratorINS9_10device_ptrIiEEEESE_SE_iNS9_4plusIvEENS9_8equal_toIvEEiEE10hipError_tPvRmT2_T3_T4_T5_mT6_T7_P12ihipStream_tbENKUlT_T0_E_clISt17integral_constantIbLb1EESY_IbLb0EEEEDaSU_SV_EUlSU_E_NS1_11comp_targetILNS1_3genE4ELNS1_11target_archE910ELNS1_3gpuE8ELNS1_3repE0EEENS1_30default_config_static_selectorELNS0_4arch9wavefront6targetE1EEEvT1_
	.p2align	8
	.type	_ZN7rocprim17ROCPRIM_400000_NS6detail17trampoline_kernelINS0_14default_configENS1_27scan_by_key_config_selectorIiiEEZZNS1_16scan_by_key_implILNS1_25lookback_scan_determinismE0ELb1ES3_N6thrust23THRUST_200600_302600_NS6detail15normal_iteratorINS9_10device_ptrIiEEEESE_SE_iNS9_4plusIvEENS9_8equal_toIvEEiEE10hipError_tPvRmT2_T3_T4_T5_mT6_T7_P12ihipStream_tbENKUlT_T0_E_clISt17integral_constantIbLb1EESY_IbLb0EEEEDaSU_SV_EUlSU_E_NS1_11comp_targetILNS1_3genE4ELNS1_11target_archE910ELNS1_3gpuE8ELNS1_3repE0EEENS1_30default_config_static_selectorELNS0_4arch9wavefront6targetE1EEEvT1_,@function
_ZN7rocprim17ROCPRIM_400000_NS6detail17trampoline_kernelINS0_14default_configENS1_27scan_by_key_config_selectorIiiEEZZNS1_16scan_by_key_implILNS1_25lookback_scan_determinismE0ELb1ES3_N6thrust23THRUST_200600_302600_NS6detail15normal_iteratorINS9_10device_ptrIiEEEESE_SE_iNS9_4plusIvEENS9_8equal_toIvEEiEE10hipError_tPvRmT2_T3_T4_T5_mT6_T7_P12ihipStream_tbENKUlT_T0_E_clISt17integral_constantIbLb1EESY_IbLb0EEEEDaSU_SV_EUlSU_E_NS1_11comp_targetILNS1_3genE4ELNS1_11target_archE910ELNS1_3gpuE8ELNS1_3repE0EEENS1_30default_config_static_selectorELNS0_4arch9wavefront6targetE1EEEvT1_: ; @_ZN7rocprim17ROCPRIM_400000_NS6detail17trampoline_kernelINS0_14default_configENS1_27scan_by_key_config_selectorIiiEEZZNS1_16scan_by_key_implILNS1_25lookback_scan_determinismE0ELb1ES3_N6thrust23THRUST_200600_302600_NS6detail15normal_iteratorINS9_10device_ptrIiEEEESE_SE_iNS9_4plusIvEENS9_8equal_toIvEEiEE10hipError_tPvRmT2_T3_T4_T5_mT6_T7_P12ihipStream_tbENKUlT_T0_E_clISt17integral_constantIbLb1EESY_IbLb0EEEEDaSU_SV_EUlSU_E_NS1_11comp_targetILNS1_3genE4ELNS1_11target_archE910ELNS1_3gpuE8ELNS1_3repE0EEENS1_30default_config_static_selectorELNS0_4arch9wavefront6targetE1EEEvT1_
; %bb.0:
	.section	.rodata,"a",@progbits
	.p2align	6, 0x0
	.amdhsa_kernel _ZN7rocprim17ROCPRIM_400000_NS6detail17trampoline_kernelINS0_14default_configENS1_27scan_by_key_config_selectorIiiEEZZNS1_16scan_by_key_implILNS1_25lookback_scan_determinismE0ELb1ES3_N6thrust23THRUST_200600_302600_NS6detail15normal_iteratorINS9_10device_ptrIiEEEESE_SE_iNS9_4plusIvEENS9_8equal_toIvEEiEE10hipError_tPvRmT2_T3_T4_T5_mT6_T7_P12ihipStream_tbENKUlT_T0_E_clISt17integral_constantIbLb1EESY_IbLb0EEEEDaSU_SV_EUlSU_E_NS1_11comp_targetILNS1_3genE4ELNS1_11target_archE910ELNS1_3gpuE8ELNS1_3repE0EEENS1_30default_config_static_selectorELNS0_4arch9wavefront6targetE1EEEvT1_
		.amdhsa_group_segment_fixed_size 0
		.amdhsa_private_segment_fixed_size 0
		.amdhsa_kernarg_size 112
		.amdhsa_user_sgpr_count 2
		.amdhsa_user_sgpr_dispatch_ptr 0
		.amdhsa_user_sgpr_queue_ptr 0
		.amdhsa_user_sgpr_kernarg_segment_ptr 1
		.amdhsa_user_sgpr_dispatch_id 0
		.amdhsa_user_sgpr_kernarg_preload_length 0
		.amdhsa_user_sgpr_kernarg_preload_offset 0
		.amdhsa_user_sgpr_private_segment_size 0
		.amdhsa_uses_dynamic_stack 0
		.amdhsa_enable_private_segment 0
		.amdhsa_system_sgpr_workgroup_id_x 1
		.amdhsa_system_sgpr_workgroup_id_y 0
		.amdhsa_system_sgpr_workgroup_id_z 0
		.amdhsa_system_sgpr_workgroup_info 0
		.amdhsa_system_vgpr_workitem_id 0
		.amdhsa_next_free_vgpr 1
		.amdhsa_next_free_sgpr 0
		.amdhsa_accum_offset 4
		.amdhsa_reserve_vcc 0
		.amdhsa_float_round_mode_32 0
		.amdhsa_float_round_mode_16_64 0
		.amdhsa_float_denorm_mode_32 3
		.amdhsa_float_denorm_mode_16_64 3
		.amdhsa_dx10_clamp 1
		.amdhsa_ieee_mode 1
		.amdhsa_fp16_overflow 0
		.amdhsa_tg_split 0
		.amdhsa_exception_fp_ieee_invalid_op 0
		.amdhsa_exception_fp_denorm_src 0
		.amdhsa_exception_fp_ieee_div_zero 0
		.amdhsa_exception_fp_ieee_overflow 0
		.amdhsa_exception_fp_ieee_underflow 0
		.amdhsa_exception_fp_ieee_inexact 0
		.amdhsa_exception_int_div_zero 0
	.end_amdhsa_kernel
	.section	.text._ZN7rocprim17ROCPRIM_400000_NS6detail17trampoline_kernelINS0_14default_configENS1_27scan_by_key_config_selectorIiiEEZZNS1_16scan_by_key_implILNS1_25lookback_scan_determinismE0ELb1ES3_N6thrust23THRUST_200600_302600_NS6detail15normal_iteratorINS9_10device_ptrIiEEEESE_SE_iNS9_4plusIvEENS9_8equal_toIvEEiEE10hipError_tPvRmT2_T3_T4_T5_mT6_T7_P12ihipStream_tbENKUlT_T0_E_clISt17integral_constantIbLb1EESY_IbLb0EEEEDaSU_SV_EUlSU_E_NS1_11comp_targetILNS1_3genE4ELNS1_11target_archE910ELNS1_3gpuE8ELNS1_3repE0EEENS1_30default_config_static_selectorELNS0_4arch9wavefront6targetE1EEEvT1_,"axG",@progbits,_ZN7rocprim17ROCPRIM_400000_NS6detail17trampoline_kernelINS0_14default_configENS1_27scan_by_key_config_selectorIiiEEZZNS1_16scan_by_key_implILNS1_25lookback_scan_determinismE0ELb1ES3_N6thrust23THRUST_200600_302600_NS6detail15normal_iteratorINS9_10device_ptrIiEEEESE_SE_iNS9_4plusIvEENS9_8equal_toIvEEiEE10hipError_tPvRmT2_T3_T4_T5_mT6_T7_P12ihipStream_tbENKUlT_T0_E_clISt17integral_constantIbLb1EESY_IbLb0EEEEDaSU_SV_EUlSU_E_NS1_11comp_targetILNS1_3genE4ELNS1_11target_archE910ELNS1_3gpuE8ELNS1_3repE0EEENS1_30default_config_static_selectorELNS0_4arch9wavefront6targetE1EEEvT1_,comdat
.Lfunc_end482:
	.size	_ZN7rocprim17ROCPRIM_400000_NS6detail17trampoline_kernelINS0_14default_configENS1_27scan_by_key_config_selectorIiiEEZZNS1_16scan_by_key_implILNS1_25lookback_scan_determinismE0ELb1ES3_N6thrust23THRUST_200600_302600_NS6detail15normal_iteratorINS9_10device_ptrIiEEEESE_SE_iNS9_4plusIvEENS9_8equal_toIvEEiEE10hipError_tPvRmT2_T3_T4_T5_mT6_T7_P12ihipStream_tbENKUlT_T0_E_clISt17integral_constantIbLb1EESY_IbLb0EEEEDaSU_SV_EUlSU_E_NS1_11comp_targetILNS1_3genE4ELNS1_11target_archE910ELNS1_3gpuE8ELNS1_3repE0EEENS1_30default_config_static_selectorELNS0_4arch9wavefront6targetE1EEEvT1_, .Lfunc_end482-_ZN7rocprim17ROCPRIM_400000_NS6detail17trampoline_kernelINS0_14default_configENS1_27scan_by_key_config_selectorIiiEEZZNS1_16scan_by_key_implILNS1_25lookback_scan_determinismE0ELb1ES3_N6thrust23THRUST_200600_302600_NS6detail15normal_iteratorINS9_10device_ptrIiEEEESE_SE_iNS9_4plusIvEENS9_8equal_toIvEEiEE10hipError_tPvRmT2_T3_T4_T5_mT6_T7_P12ihipStream_tbENKUlT_T0_E_clISt17integral_constantIbLb1EESY_IbLb0EEEEDaSU_SV_EUlSU_E_NS1_11comp_targetILNS1_3genE4ELNS1_11target_archE910ELNS1_3gpuE8ELNS1_3repE0EEENS1_30default_config_static_selectorELNS0_4arch9wavefront6targetE1EEEvT1_
                                        ; -- End function
	.section	.AMDGPU.csdata,"",@progbits
; Kernel info:
; codeLenInByte = 0
; NumSgprs: 6
; NumVgprs: 0
; NumAgprs: 0
; TotalNumVgprs: 0
; ScratchSize: 0
; MemoryBound: 0
; FloatMode: 240
; IeeeMode: 1
; LDSByteSize: 0 bytes/workgroup (compile time only)
; SGPRBlocks: 0
; VGPRBlocks: 0
; NumSGPRsForWavesPerEU: 6
; NumVGPRsForWavesPerEU: 1
; AccumOffset: 4
; Occupancy: 8
; WaveLimiterHint : 0
; COMPUTE_PGM_RSRC2:SCRATCH_EN: 0
; COMPUTE_PGM_RSRC2:USER_SGPR: 2
; COMPUTE_PGM_RSRC2:TRAP_HANDLER: 0
; COMPUTE_PGM_RSRC2:TGID_X_EN: 1
; COMPUTE_PGM_RSRC2:TGID_Y_EN: 0
; COMPUTE_PGM_RSRC2:TGID_Z_EN: 0
; COMPUTE_PGM_RSRC2:TIDIG_COMP_CNT: 0
; COMPUTE_PGM_RSRC3_GFX90A:ACCUM_OFFSET: 0
; COMPUTE_PGM_RSRC3_GFX90A:TG_SPLIT: 0
	.section	.text._ZN7rocprim17ROCPRIM_400000_NS6detail17trampoline_kernelINS0_14default_configENS1_27scan_by_key_config_selectorIiiEEZZNS1_16scan_by_key_implILNS1_25lookback_scan_determinismE0ELb1ES3_N6thrust23THRUST_200600_302600_NS6detail15normal_iteratorINS9_10device_ptrIiEEEESE_SE_iNS9_4plusIvEENS9_8equal_toIvEEiEE10hipError_tPvRmT2_T3_T4_T5_mT6_T7_P12ihipStream_tbENKUlT_T0_E_clISt17integral_constantIbLb1EESY_IbLb0EEEEDaSU_SV_EUlSU_E_NS1_11comp_targetILNS1_3genE3ELNS1_11target_archE908ELNS1_3gpuE7ELNS1_3repE0EEENS1_30default_config_static_selectorELNS0_4arch9wavefront6targetE1EEEvT1_,"axG",@progbits,_ZN7rocprim17ROCPRIM_400000_NS6detail17trampoline_kernelINS0_14default_configENS1_27scan_by_key_config_selectorIiiEEZZNS1_16scan_by_key_implILNS1_25lookback_scan_determinismE0ELb1ES3_N6thrust23THRUST_200600_302600_NS6detail15normal_iteratorINS9_10device_ptrIiEEEESE_SE_iNS9_4plusIvEENS9_8equal_toIvEEiEE10hipError_tPvRmT2_T3_T4_T5_mT6_T7_P12ihipStream_tbENKUlT_T0_E_clISt17integral_constantIbLb1EESY_IbLb0EEEEDaSU_SV_EUlSU_E_NS1_11comp_targetILNS1_3genE3ELNS1_11target_archE908ELNS1_3gpuE7ELNS1_3repE0EEENS1_30default_config_static_selectorELNS0_4arch9wavefront6targetE1EEEvT1_,comdat
	.protected	_ZN7rocprim17ROCPRIM_400000_NS6detail17trampoline_kernelINS0_14default_configENS1_27scan_by_key_config_selectorIiiEEZZNS1_16scan_by_key_implILNS1_25lookback_scan_determinismE0ELb1ES3_N6thrust23THRUST_200600_302600_NS6detail15normal_iteratorINS9_10device_ptrIiEEEESE_SE_iNS9_4plusIvEENS9_8equal_toIvEEiEE10hipError_tPvRmT2_T3_T4_T5_mT6_T7_P12ihipStream_tbENKUlT_T0_E_clISt17integral_constantIbLb1EESY_IbLb0EEEEDaSU_SV_EUlSU_E_NS1_11comp_targetILNS1_3genE3ELNS1_11target_archE908ELNS1_3gpuE7ELNS1_3repE0EEENS1_30default_config_static_selectorELNS0_4arch9wavefront6targetE1EEEvT1_ ; -- Begin function _ZN7rocprim17ROCPRIM_400000_NS6detail17trampoline_kernelINS0_14default_configENS1_27scan_by_key_config_selectorIiiEEZZNS1_16scan_by_key_implILNS1_25lookback_scan_determinismE0ELb1ES3_N6thrust23THRUST_200600_302600_NS6detail15normal_iteratorINS9_10device_ptrIiEEEESE_SE_iNS9_4plusIvEENS9_8equal_toIvEEiEE10hipError_tPvRmT2_T3_T4_T5_mT6_T7_P12ihipStream_tbENKUlT_T0_E_clISt17integral_constantIbLb1EESY_IbLb0EEEEDaSU_SV_EUlSU_E_NS1_11comp_targetILNS1_3genE3ELNS1_11target_archE908ELNS1_3gpuE7ELNS1_3repE0EEENS1_30default_config_static_selectorELNS0_4arch9wavefront6targetE1EEEvT1_
	.globl	_ZN7rocprim17ROCPRIM_400000_NS6detail17trampoline_kernelINS0_14default_configENS1_27scan_by_key_config_selectorIiiEEZZNS1_16scan_by_key_implILNS1_25lookback_scan_determinismE0ELb1ES3_N6thrust23THRUST_200600_302600_NS6detail15normal_iteratorINS9_10device_ptrIiEEEESE_SE_iNS9_4plusIvEENS9_8equal_toIvEEiEE10hipError_tPvRmT2_T3_T4_T5_mT6_T7_P12ihipStream_tbENKUlT_T0_E_clISt17integral_constantIbLb1EESY_IbLb0EEEEDaSU_SV_EUlSU_E_NS1_11comp_targetILNS1_3genE3ELNS1_11target_archE908ELNS1_3gpuE7ELNS1_3repE0EEENS1_30default_config_static_selectorELNS0_4arch9wavefront6targetE1EEEvT1_
	.p2align	8
	.type	_ZN7rocprim17ROCPRIM_400000_NS6detail17trampoline_kernelINS0_14default_configENS1_27scan_by_key_config_selectorIiiEEZZNS1_16scan_by_key_implILNS1_25lookback_scan_determinismE0ELb1ES3_N6thrust23THRUST_200600_302600_NS6detail15normal_iteratorINS9_10device_ptrIiEEEESE_SE_iNS9_4plusIvEENS9_8equal_toIvEEiEE10hipError_tPvRmT2_T3_T4_T5_mT6_T7_P12ihipStream_tbENKUlT_T0_E_clISt17integral_constantIbLb1EESY_IbLb0EEEEDaSU_SV_EUlSU_E_NS1_11comp_targetILNS1_3genE3ELNS1_11target_archE908ELNS1_3gpuE7ELNS1_3repE0EEENS1_30default_config_static_selectorELNS0_4arch9wavefront6targetE1EEEvT1_,@function
_ZN7rocprim17ROCPRIM_400000_NS6detail17trampoline_kernelINS0_14default_configENS1_27scan_by_key_config_selectorIiiEEZZNS1_16scan_by_key_implILNS1_25lookback_scan_determinismE0ELb1ES3_N6thrust23THRUST_200600_302600_NS6detail15normal_iteratorINS9_10device_ptrIiEEEESE_SE_iNS9_4plusIvEENS9_8equal_toIvEEiEE10hipError_tPvRmT2_T3_T4_T5_mT6_T7_P12ihipStream_tbENKUlT_T0_E_clISt17integral_constantIbLb1EESY_IbLb0EEEEDaSU_SV_EUlSU_E_NS1_11comp_targetILNS1_3genE3ELNS1_11target_archE908ELNS1_3gpuE7ELNS1_3repE0EEENS1_30default_config_static_selectorELNS0_4arch9wavefront6targetE1EEEvT1_: ; @_ZN7rocprim17ROCPRIM_400000_NS6detail17trampoline_kernelINS0_14default_configENS1_27scan_by_key_config_selectorIiiEEZZNS1_16scan_by_key_implILNS1_25lookback_scan_determinismE0ELb1ES3_N6thrust23THRUST_200600_302600_NS6detail15normal_iteratorINS9_10device_ptrIiEEEESE_SE_iNS9_4plusIvEENS9_8equal_toIvEEiEE10hipError_tPvRmT2_T3_T4_T5_mT6_T7_P12ihipStream_tbENKUlT_T0_E_clISt17integral_constantIbLb1EESY_IbLb0EEEEDaSU_SV_EUlSU_E_NS1_11comp_targetILNS1_3genE3ELNS1_11target_archE908ELNS1_3gpuE7ELNS1_3repE0EEENS1_30default_config_static_selectorELNS0_4arch9wavefront6targetE1EEEvT1_
; %bb.0:
	.section	.rodata,"a",@progbits
	.p2align	6, 0x0
	.amdhsa_kernel _ZN7rocprim17ROCPRIM_400000_NS6detail17trampoline_kernelINS0_14default_configENS1_27scan_by_key_config_selectorIiiEEZZNS1_16scan_by_key_implILNS1_25lookback_scan_determinismE0ELb1ES3_N6thrust23THRUST_200600_302600_NS6detail15normal_iteratorINS9_10device_ptrIiEEEESE_SE_iNS9_4plusIvEENS9_8equal_toIvEEiEE10hipError_tPvRmT2_T3_T4_T5_mT6_T7_P12ihipStream_tbENKUlT_T0_E_clISt17integral_constantIbLb1EESY_IbLb0EEEEDaSU_SV_EUlSU_E_NS1_11comp_targetILNS1_3genE3ELNS1_11target_archE908ELNS1_3gpuE7ELNS1_3repE0EEENS1_30default_config_static_selectorELNS0_4arch9wavefront6targetE1EEEvT1_
		.amdhsa_group_segment_fixed_size 0
		.amdhsa_private_segment_fixed_size 0
		.amdhsa_kernarg_size 112
		.amdhsa_user_sgpr_count 2
		.amdhsa_user_sgpr_dispatch_ptr 0
		.amdhsa_user_sgpr_queue_ptr 0
		.amdhsa_user_sgpr_kernarg_segment_ptr 1
		.amdhsa_user_sgpr_dispatch_id 0
		.amdhsa_user_sgpr_kernarg_preload_length 0
		.amdhsa_user_sgpr_kernarg_preload_offset 0
		.amdhsa_user_sgpr_private_segment_size 0
		.amdhsa_uses_dynamic_stack 0
		.amdhsa_enable_private_segment 0
		.amdhsa_system_sgpr_workgroup_id_x 1
		.amdhsa_system_sgpr_workgroup_id_y 0
		.amdhsa_system_sgpr_workgroup_id_z 0
		.amdhsa_system_sgpr_workgroup_info 0
		.amdhsa_system_vgpr_workitem_id 0
		.amdhsa_next_free_vgpr 1
		.amdhsa_next_free_sgpr 0
		.amdhsa_accum_offset 4
		.amdhsa_reserve_vcc 0
		.amdhsa_float_round_mode_32 0
		.amdhsa_float_round_mode_16_64 0
		.amdhsa_float_denorm_mode_32 3
		.amdhsa_float_denorm_mode_16_64 3
		.amdhsa_dx10_clamp 1
		.amdhsa_ieee_mode 1
		.amdhsa_fp16_overflow 0
		.amdhsa_tg_split 0
		.amdhsa_exception_fp_ieee_invalid_op 0
		.amdhsa_exception_fp_denorm_src 0
		.amdhsa_exception_fp_ieee_div_zero 0
		.amdhsa_exception_fp_ieee_overflow 0
		.amdhsa_exception_fp_ieee_underflow 0
		.amdhsa_exception_fp_ieee_inexact 0
		.amdhsa_exception_int_div_zero 0
	.end_amdhsa_kernel
	.section	.text._ZN7rocprim17ROCPRIM_400000_NS6detail17trampoline_kernelINS0_14default_configENS1_27scan_by_key_config_selectorIiiEEZZNS1_16scan_by_key_implILNS1_25lookback_scan_determinismE0ELb1ES3_N6thrust23THRUST_200600_302600_NS6detail15normal_iteratorINS9_10device_ptrIiEEEESE_SE_iNS9_4plusIvEENS9_8equal_toIvEEiEE10hipError_tPvRmT2_T3_T4_T5_mT6_T7_P12ihipStream_tbENKUlT_T0_E_clISt17integral_constantIbLb1EESY_IbLb0EEEEDaSU_SV_EUlSU_E_NS1_11comp_targetILNS1_3genE3ELNS1_11target_archE908ELNS1_3gpuE7ELNS1_3repE0EEENS1_30default_config_static_selectorELNS0_4arch9wavefront6targetE1EEEvT1_,"axG",@progbits,_ZN7rocprim17ROCPRIM_400000_NS6detail17trampoline_kernelINS0_14default_configENS1_27scan_by_key_config_selectorIiiEEZZNS1_16scan_by_key_implILNS1_25lookback_scan_determinismE0ELb1ES3_N6thrust23THRUST_200600_302600_NS6detail15normal_iteratorINS9_10device_ptrIiEEEESE_SE_iNS9_4plusIvEENS9_8equal_toIvEEiEE10hipError_tPvRmT2_T3_T4_T5_mT6_T7_P12ihipStream_tbENKUlT_T0_E_clISt17integral_constantIbLb1EESY_IbLb0EEEEDaSU_SV_EUlSU_E_NS1_11comp_targetILNS1_3genE3ELNS1_11target_archE908ELNS1_3gpuE7ELNS1_3repE0EEENS1_30default_config_static_selectorELNS0_4arch9wavefront6targetE1EEEvT1_,comdat
.Lfunc_end483:
	.size	_ZN7rocprim17ROCPRIM_400000_NS6detail17trampoline_kernelINS0_14default_configENS1_27scan_by_key_config_selectorIiiEEZZNS1_16scan_by_key_implILNS1_25lookback_scan_determinismE0ELb1ES3_N6thrust23THRUST_200600_302600_NS6detail15normal_iteratorINS9_10device_ptrIiEEEESE_SE_iNS9_4plusIvEENS9_8equal_toIvEEiEE10hipError_tPvRmT2_T3_T4_T5_mT6_T7_P12ihipStream_tbENKUlT_T0_E_clISt17integral_constantIbLb1EESY_IbLb0EEEEDaSU_SV_EUlSU_E_NS1_11comp_targetILNS1_3genE3ELNS1_11target_archE908ELNS1_3gpuE7ELNS1_3repE0EEENS1_30default_config_static_selectorELNS0_4arch9wavefront6targetE1EEEvT1_, .Lfunc_end483-_ZN7rocprim17ROCPRIM_400000_NS6detail17trampoline_kernelINS0_14default_configENS1_27scan_by_key_config_selectorIiiEEZZNS1_16scan_by_key_implILNS1_25lookback_scan_determinismE0ELb1ES3_N6thrust23THRUST_200600_302600_NS6detail15normal_iteratorINS9_10device_ptrIiEEEESE_SE_iNS9_4plusIvEENS9_8equal_toIvEEiEE10hipError_tPvRmT2_T3_T4_T5_mT6_T7_P12ihipStream_tbENKUlT_T0_E_clISt17integral_constantIbLb1EESY_IbLb0EEEEDaSU_SV_EUlSU_E_NS1_11comp_targetILNS1_3genE3ELNS1_11target_archE908ELNS1_3gpuE7ELNS1_3repE0EEENS1_30default_config_static_selectorELNS0_4arch9wavefront6targetE1EEEvT1_
                                        ; -- End function
	.section	.AMDGPU.csdata,"",@progbits
; Kernel info:
; codeLenInByte = 0
; NumSgprs: 6
; NumVgprs: 0
; NumAgprs: 0
; TotalNumVgprs: 0
; ScratchSize: 0
; MemoryBound: 0
; FloatMode: 240
; IeeeMode: 1
; LDSByteSize: 0 bytes/workgroup (compile time only)
; SGPRBlocks: 0
; VGPRBlocks: 0
; NumSGPRsForWavesPerEU: 6
; NumVGPRsForWavesPerEU: 1
; AccumOffset: 4
; Occupancy: 8
; WaveLimiterHint : 0
; COMPUTE_PGM_RSRC2:SCRATCH_EN: 0
; COMPUTE_PGM_RSRC2:USER_SGPR: 2
; COMPUTE_PGM_RSRC2:TRAP_HANDLER: 0
; COMPUTE_PGM_RSRC2:TGID_X_EN: 1
; COMPUTE_PGM_RSRC2:TGID_Y_EN: 0
; COMPUTE_PGM_RSRC2:TGID_Z_EN: 0
; COMPUTE_PGM_RSRC2:TIDIG_COMP_CNT: 0
; COMPUTE_PGM_RSRC3_GFX90A:ACCUM_OFFSET: 0
; COMPUTE_PGM_RSRC3_GFX90A:TG_SPLIT: 0
	.section	.text._ZN7rocprim17ROCPRIM_400000_NS6detail17trampoline_kernelINS0_14default_configENS1_27scan_by_key_config_selectorIiiEEZZNS1_16scan_by_key_implILNS1_25lookback_scan_determinismE0ELb1ES3_N6thrust23THRUST_200600_302600_NS6detail15normal_iteratorINS9_10device_ptrIiEEEESE_SE_iNS9_4plusIvEENS9_8equal_toIvEEiEE10hipError_tPvRmT2_T3_T4_T5_mT6_T7_P12ihipStream_tbENKUlT_T0_E_clISt17integral_constantIbLb1EESY_IbLb0EEEEDaSU_SV_EUlSU_E_NS1_11comp_targetILNS1_3genE2ELNS1_11target_archE906ELNS1_3gpuE6ELNS1_3repE0EEENS1_30default_config_static_selectorELNS0_4arch9wavefront6targetE1EEEvT1_,"axG",@progbits,_ZN7rocprim17ROCPRIM_400000_NS6detail17trampoline_kernelINS0_14default_configENS1_27scan_by_key_config_selectorIiiEEZZNS1_16scan_by_key_implILNS1_25lookback_scan_determinismE0ELb1ES3_N6thrust23THRUST_200600_302600_NS6detail15normal_iteratorINS9_10device_ptrIiEEEESE_SE_iNS9_4plusIvEENS9_8equal_toIvEEiEE10hipError_tPvRmT2_T3_T4_T5_mT6_T7_P12ihipStream_tbENKUlT_T0_E_clISt17integral_constantIbLb1EESY_IbLb0EEEEDaSU_SV_EUlSU_E_NS1_11comp_targetILNS1_3genE2ELNS1_11target_archE906ELNS1_3gpuE6ELNS1_3repE0EEENS1_30default_config_static_selectorELNS0_4arch9wavefront6targetE1EEEvT1_,comdat
	.protected	_ZN7rocprim17ROCPRIM_400000_NS6detail17trampoline_kernelINS0_14default_configENS1_27scan_by_key_config_selectorIiiEEZZNS1_16scan_by_key_implILNS1_25lookback_scan_determinismE0ELb1ES3_N6thrust23THRUST_200600_302600_NS6detail15normal_iteratorINS9_10device_ptrIiEEEESE_SE_iNS9_4plusIvEENS9_8equal_toIvEEiEE10hipError_tPvRmT2_T3_T4_T5_mT6_T7_P12ihipStream_tbENKUlT_T0_E_clISt17integral_constantIbLb1EESY_IbLb0EEEEDaSU_SV_EUlSU_E_NS1_11comp_targetILNS1_3genE2ELNS1_11target_archE906ELNS1_3gpuE6ELNS1_3repE0EEENS1_30default_config_static_selectorELNS0_4arch9wavefront6targetE1EEEvT1_ ; -- Begin function _ZN7rocprim17ROCPRIM_400000_NS6detail17trampoline_kernelINS0_14default_configENS1_27scan_by_key_config_selectorIiiEEZZNS1_16scan_by_key_implILNS1_25lookback_scan_determinismE0ELb1ES3_N6thrust23THRUST_200600_302600_NS6detail15normal_iteratorINS9_10device_ptrIiEEEESE_SE_iNS9_4plusIvEENS9_8equal_toIvEEiEE10hipError_tPvRmT2_T3_T4_T5_mT6_T7_P12ihipStream_tbENKUlT_T0_E_clISt17integral_constantIbLb1EESY_IbLb0EEEEDaSU_SV_EUlSU_E_NS1_11comp_targetILNS1_3genE2ELNS1_11target_archE906ELNS1_3gpuE6ELNS1_3repE0EEENS1_30default_config_static_selectorELNS0_4arch9wavefront6targetE1EEEvT1_
	.globl	_ZN7rocprim17ROCPRIM_400000_NS6detail17trampoline_kernelINS0_14default_configENS1_27scan_by_key_config_selectorIiiEEZZNS1_16scan_by_key_implILNS1_25lookback_scan_determinismE0ELb1ES3_N6thrust23THRUST_200600_302600_NS6detail15normal_iteratorINS9_10device_ptrIiEEEESE_SE_iNS9_4plusIvEENS9_8equal_toIvEEiEE10hipError_tPvRmT2_T3_T4_T5_mT6_T7_P12ihipStream_tbENKUlT_T0_E_clISt17integral_constantIbLb1EESY_IbLb0EEEEDaSU_SV_EUlSU_E_NS1_11comp_targetILNS1_3genE2ELNS1_11target_archE906ELNS1_3gpuE6ELNS1_3repE0EEENS1_30default_config_static_selectorELNS0_4arch9wavefront6targetE1EEEvT1_
	.p2align	8
	.type	_ZN7rocprim17ROCPRIM_400000_NS6detail17trampoline_kernelINS0_14default_configENS1_27scan_by_key_config_selectorIiiEEZZNS1_16scan_by_key_implILNS1_25lookback_scan_determinismE0ELb1ES3_N6thrust23THRUST_200600_302600_NS6detail15normal_iteratorINS9_10device_ptrIiEEEESE_SE_iNS9_4plusIvEENS9_8equal_toIvEEiEE10hipError_tPvRmT2_T3_T4_T5_mT6_T7_P12ihipStream_tbENKUlT_T0_E_clISt17integral_constantIbLb1EESY_IbLb0EEEEDaSU_SV_EUlSU_E_NS1_11comp_targetILNS1_3genE2ELNS1_11target_archE906ELNS1_3gpuE6ELNS1_3repE0EEENS1_30default_config_static_selectorELNS0_4arch9wavefront6targetE1EEEvT1_,@function
_ZN7rocprim17ROCPRIM_400000_NS6detail17trampoline_kernelINS0_14default_configENS1_27scan_by_key_config_selectorIiiEEZZNS1_16scan_by_key_implILNS1_25lookback_scan_determinismE0ELb1ES3_N6thrust23THRUST_200600_302600_NS6detail15normal_iteratorINS9_10device_ptrIiEEEESE_SE_iNS9_4plusIvEENS9_8equal_toIvEEiEE10hipError_tPvRmT2_T3_T4_T5_mT6_T7_P12ihipStream_tbENKUlT_T0_E_clISt17integral_constantIbLb1EESY_IbLb0EEEEDaSU_SV_EUlSU_E_NS1_11comp_targetILNS1_3genE2ELNS1_11target_archE906ELNS1_3gpuE6ELNS1_3repE0EEENS1_30default_config_static_selectorELNS0_4arch9wavefront6targetE1EEEvT1_: ; @_ZN7rocprim17ROCPRIM_400000_NS6detail17trampoline_kernelINS0_14default_configENS1_27scan_by_key_config_selectorIiiEEZZNS1_16scan_by_key_implILNS1_25lookback_scan_determinismE0ELb1ES3_N6thrust23THRUST_200600_302600_NS6detail15normal_iteratorINS9_10device_ptrIiEEEESE_SE_iNS9_4plusIvEENS9_8equal_toIvEEiEE10hipError_tPvRmT2_T3_T4_T5_mT6_T7_P12ihipStream_tbENKUlT_T0_E_clISt17integral_constantIbLb1EESY_IbLb0EEEEDaSU_SV_EUlSU_E_NS1_11comp_targetILNS1_3genE2ELNS1_11target_archE906ELNS1_3gpuE6ELNS1_3repE0EEENS1_30default_config_static_selectorELNS0_4arch9wavefront6targetE1EEEvT1_
; %bb.0:
	.section	.rodata,"a",@progbits
	.p2align	6, 0x0
	.amdhsa_kernel _ZN7rocprim17ROCPRIM_400000_NS6detail17trampoline_kernelINS0_14default_configENS1_27scan_by_key_config_selectorIiiEEZZNS1_16scan_by_key_implILNS1_25lookback_scan_determinismE0ELb1ES3_N6thrust23THRUST_200600_302600_NS6detail15normal_iteratorINS9_10device_ptrIiEEEESE_SE_iNS9_4plusIvEENS9_8equal_toIvEEiEE10hipError_tPvRmT2_T3_T4_T5_mT6_T7_P12ihipStream_tbENKUlT_T0_E_clISt17integral_constantIbLb1EESY_IbLb0EEEEDaSU_SV_EUlSU_E_NS1_11comp_targetILNS1_3genE2ELNS1_11target_archE906ELNS1_3gpuE6ELNS1_3repE0EEENS1_30default_config_static_selectorELNS0_4arch9wavefront6targetE1EEEvT1_
		.amdhsa_group_segment_fixed_size 0
		.amdhsa_private_segment_fixed_size 0
		.amdhsa_kernarg_size 112
		.amdhsa_user_sgpr_count 2
		.amdhsa_user_sgpr_dispatch_ptr 0
		.amdhsa_user_sgpr_queue_ptr 0
		.amdhsa_user_sgpr_kernarg_segment_ptr 1
		.amdhsa_user_sgpr_dispatch_id 0
		.amdhsa_user_sgpr_kernarg_preload_length 0
		.amdhsa_user_sgpr_kernarg_preload_offset 0
		.amdhsa_user_sgpr_private_segment_size 0
		.amdhsa_uses_dynamic_stack 0
		.amdhsa_enable_private_segment 0
		.amdhsa_system_sgpr_workgroup_id_x 1
		.amdhsa_system_sgpr_workgroup_id_y 0
		.amdhsa_system_sgpr_workgroup_id_z 0
		.amdhsa_system_sgpr_workgroup_info 0
		.amdhsa_system_vgpr_workitem_id 0
		.amdhsa_next_free_vgpr 1
		.amdhsa_next_free_sgpr 0
		.amdhsa_accum_offset 4
		.amdhsa_reserve_vcc 0
		.amdhsa_float_round_mode_32 0
		.amdhsa_float_round_mode_16_64 0
		.amdhsa_float_denorm_mode_32 3
		.amdhsa_float_denorm_mode_16_64 3
		.amdhsa_dx10_clamp 1
		.amdhsa_ieee_mode 1
		.amdhsa_fp16_overflow 0
		.amdhsa_tg_split 0
		.amdhsa_exception_fp_ieee_invalid_op 0
		.amdhsa_exception_fp_denorm_src 0
		.amdhsa_exception_fp_ieee_div_zero 0
		.amdhsa_exception_fp_ieee_overflow 0
		.amdhsa_exception_fp_ieee_underflow 0
		.amdhsa_exception_fp_ieee_inexact 0
		.amdhsa_exception_int_div_zero 0
	.end_amdhsa_kernel
	.section	.text._ZN7rocprim17ROCPRIM_400000_NS6detail17trampoline_kernelINS0_14default_configENS1_27scan_by_key_config_selectorIiiEEZZNS1_16scan_by_key_implILNS1_25lookback_scan_determinismE0ELb1ES3_N6thrust23THRUST_200600_302600_NS6detail15normal_iteratorINS9_10device_ptrIiEEEESE_SE_iNS9_4plusIvEENS9_8equal_toIvEEiEE10hipError_tPvRmT2_T3_T4_T5_mT6_T7_P12ihipStream_tbENKUlT_T0_E_clISt17integral_constantIbLb1EESY_IbLb0EEEEDaSU_SV_EUlSU_E_NS1_11comp_targetILNS1_3genE2ELNS1_11target_archE906ELNS1_3gpuE6ELNS1_3repE0EEENS1_30default_config_static_selectorELNS0_4arch9wavefront6targetE1EEEvT1_,"axG",@progbits,_ZN7rocprim17ROCPRIM_400000_NS6detail17trampoline_kernelINS0_14default_configENS1_27scan_by_key_config_selectorIiiEEZZNS1_16scan_by_key_implILNS1_25lookback_scan_determinismE0ELb1ES3_N6thrust23THRUST_200600_302600_NS6detail15normal_iteratorINS9_10device_ptrIiEEEESE_SE_iNS9_4plusIvEENS9_8equal_toIvEEiEE10hipError_tPvRmT2_T3_T4_T5_mT6_T7_P12ihipStream_tbENKUlT_T0_E_clISt17integral_constantIbLb1EESY_IbLb0EEEEDaSU_SV_EUlSU_E_NS1_11comp_targetILNS1_3genE2ELNS1_11target_archE906ELNS1_3gpuE6ELNS1_3repE0EEENS1_30default_config_static_selectorELNS0_4arch9wavefront6targetE1EEEvT1_,comdat
.Lfunc_end484:
	.size	_ZN7rocprim17ROCPRIM_400000_NS6detail17trampoline_kernelINS0_14default_configENS1_27scan_by_key_config_selectorIiiEEZZNS1_16scan_by_key_implILNS1_25lookback_scan_determinismE0ELb1ES3_N6thrust23THRUST_200600_302600_NS6detail15normal_iteratorINS9_10device_ptrIiEEEESE_SE_iNS9_4plusIvEENS9_8equal_toIvEEiEE10hipError_tPvRmT2_T3_T4_T5_mT6_T7_P12ihipStream_tbENKUlT_T0_E_clISt17integral_constantIbLb1EESY_IbLb0EEEEDaSU_SV_EUlSU_E_NS1_11comp_targetILNS1_3genE2ELNS1_11target_archE906ELNS1_3gpuE6ELNS1_3repE0EEENS1_30default_config_static_selectorELNS0_4arch9wavefront6targetE1EEEvT1_, .Lfunc_end484-_ZN7rocprim17ROCPRIM_400000_NS6detail17trampoline_kernelINS0_14default_configENS1_27scan_by_key_config_selectorIiiEEZZNS1_16scan_by_key_implILNS1_25lookback_scan_determinismE0ELb1ES3_N6thrust23THRUST_200600_302600_NS6detail15normal_iteratorINS9_10device_ptrIiEEEESE_SE_iNS9_4plusIvEENS9_8equal_toIvEEiEE10hipError_tPvRmT2_T3_T4_T5_mT6_T7_P12ihipStream_tbENKUlT_T0_E_clISt17integral_constantIbLb1EESY_IbLb0EEEEDaSU_SV_EUlSU_E_NS1_11comp_targetILNS1_3genE2ELNS1_11target_archE906ELNS1_3gpuE6ELNS1_3repE0EEENS1_30default_config_static_selectorELNS0_4arch9wavefront6targetE1EEEvT1_
                                        ; -- End function
	.section	.AMDGPU.csdata,"",@progbits
; Kernel info:
; codeLenInByte = 0
; NumSgprs: 6
; NumVgprs: 0
; NumAgprs: 0
; TotalNumVgprs: 0
; ScratchSize: 0
; MemoryBound: 0
; FloatMode: 240
; IeeeMode: 1
; LDSByteSize: 0 bytes/workgroup (compile time only)
; SGPRBlocks: 0
; VGPRBlocks: 0
; NumSGPRsForWavesPerEU: 6
; NumVGPRsForWavesPerEU: 1
; AccumOffset: 4
; Occupancy: 8
; WaveLimiterHint : 0
; COMPUTE_PGM_RSRC2:SCRATCH_EN: 0
; COMPUTE_PGM_RSRC2:USER_SGPR: 2
; COMPUTE_PGM_RSRC2:TRAP_HANDLER: 0
; COMPUTE_PGM_RSRC2:TGID_X_EN: 1
; COMPUTE_PGM_RSRC2:TGID_Y_EN: 0
; COMPUTE_PGM_RSRC2:TGID_Z_EN: 0
; COMPUTE_PGM_RSRC2:TIDIG_COMP_CNT: 0
; COMPUTE_PGM_RSRC3_GFX90A:ACCUM_OFFSET: 0
; COMPUTE_PGM_RSRC3_GFX90A:TG_SPLIT: 0
	.section	.text._ZN7rocprim17ROCPRIM_400000_NS6detail17trampoline_kernelINS0_14default_configENS1_27scan_by_key_config_selectorIiiEEZZNS1_16scan_by_key_implILNS1_25lookback_scan_determinismE0ELb1ES3_N6thrust23THRUST_200600_302600_NS6detail15normal_iteratorINS9_10device_ptrIiEEEESE_SE_iNS9_4plusIvEENS9_8equal_toIvEEiEE10hipError_tPvRmT2_T3_T4_T5_mT6_T7_P12ihipStream_tbENKUlT_T0_E_clISt17integral_constantIbLb1EESY_IbLb0EEEEDaSU_SV_EUlSU_E_NS1_11comp_targetILNS1_3genE10ELNS1_11target_archE1200ELNS1_3gpuE4ELNS1_3repE0EEENS1_30default_config_static_selectorELNS0_4arch9wavefront6targetE1EEEvT1_,"axG",@progbits,_ZN7rocprim17ROCPRIM_400000_NS6detail17trampoline_kernelINS0_14default_configENS1_27scan_by_key_config_selectorIiiEEZZNS1_16scan_by_key_implILNS1_25lookback_scan_determinismE0ELb1ES3_N6thrust23THRUST_200600_302600_NS6detail15normal_iteratorINS9_10device_ptrIiEEEESE_SE_iNS9_4plusIvEENS9_8equal_toIvEEiEE10hipError_tPvRmT2_T3_T4_T5_mT6_T7_P12ihipStream_tbENKUlT_T0_E_clISt17integral_constantIbLb1EESY_IbLb0EEEEDaSU_SV_EUlSU_E_NS1_11comp_targetILNS1_3genE10ELNS1_11target_archE1200ELNS1_3gpuE4ELNS1_3repE0EEENS1_30default_config_static_selectorELNS0_4arch9wavefront6targetE1EEEvT1_,comdat
	.protected	_ZN7rocprim17ROCPRIM_400000_NS6detail17trampoline_kernelINS0_14default_configENS1_27scan_by_key_config_selectorIiiEEZZNS1_16scan_by_key_implILNS1_25lookback_scan_determinismE0ELb1ES3_N6thrust23THRUST_200600_302600_NS6detail15normal_iteratorINS9_10device_ptrIiEEEESE_SE_iNS9_4plusIvEENS9_8equal_toIvEEiEE10hipError_tPvRmT2_T3_T4_T5_mT6_T7_P12ihipStream_tbENKUlT_T0_E_clISt17integral_constantIbLb1EESY_IbLb0EEEEDaSU_SV_EUlSU_E_NS1_11comp_targetILNS1_3genE10ELNS1_11target_archE1200ELNS1_3gpuE4ELNS1_3repE0EEENS1_30default_config_static_selectorELNS0_4arch9wavefront6targetE1EEEvT1_ ; -- Begin function _ZN7rocprim17ROCPRIM_400000_NS6detail17trampoline_kernelINS0_14default_configENS1_27scan_by_key_config_selectorIiiEEZZNS1_16scan_by_key_implILNS1_25lookback_scan_determinismE0ELb1ES3_N6thrust23THRUST_200600_302600_NS6detail15normal_iteratorINS9_10device_ptrIiEEEESE_SE_iNS9_4plusIvEENS9_8equal_toIvEEiEE10hipError_tPvRmT2_T3_T4_T5_mT6_T7_P12ihipStream_tbENKUlT_T0_E_clISt17integral_constantIbLb1EESY_IbLb0EEEEDaSU_SV_EUlSU_E_NS1_11comp_targetILNS1_3genE10ELNS1_11target_archE1200ELNS1_3gpuE4ELNS1_3repE0EEENS1_30default_config_static_selectorELNS0_4arch9wavefront6targetE1EEEvT1_
	.globl	_ZN7rocprim17ROCPRIM_400000_NS6detail17trampoline_kernelINS0_14default_configENS1_27scan_by_key_config_selectorIiiEEZZNS1_16scan_by_key_implILNS1_25lookback_scan_determinismE0ELb1ES3_N6thrust23THRUST_200600_302600_NS6detail15normal_iteratorINS9_10device_ptrIiEEEESE_SE_iNS9_4plusIvEENS9_8equal_toIvEEiEE10hipError_tPvRmT2_T3_T4_T5_mT6_T7_P12ihipStream_tbENKUlT_T0_E_clISt17integral_constantIbLb1EESY_IbLb0EEEEDaSU_SV_EUlSU_E_NS1_11comp_targetILNS1_3genE10ELNS1_11target_archE1200ELNS1_3gpuE4ELNS1_3repE0EEENS1_30default_config_static_selectorELNS0_4arch9wavefront6targetE1EEEvT1_
	.p2align	8
	.type	_ZN7rocprim17ROCPRIM_400000_NS6detail17trampoline_kernelINS0_14default_configENS1_27scan_by_key_config_selectorIiiEEZZNS1_16scan_by_key_implILNS1_25lookback_scan_determinismE0ELb1ES3_N6thrust23THRUST_200600_302600_NS6detail15normal_iteratorINS9_10device_ptrIiEEEESE_SE_iNS9_4plusIvEENS9_8equal_toIvEEiEE10hipError_tPvRmT2_T3_T4_T5_mT6_T7_P12ihipStream_tbENKUlT_T0_E_clISt17integral_constantIbLb1EESY_IbLb0EEEEDaSU_SV_EUlSU_E_NS1_11comp_targetILNS1_3genE10ELNS1_11target_archE1200ELNS1_3gpuE4ELNS1_3repE0EEENS1_30default_config_static_selectorELNS0_4arch9wavefront6targetE1EEEvT1_,@function
_ZN7rocprim17ROCPRIM_400000_NS6detail17trampoline_kernelINS0_14default_configENS1_27scan_by_key_config_selectorIiiEEZZNS1_16scan_by_key_implILNS1_25lookback_scan_determinismE0ELb1ES3_N6thrust23THRUST_200600_302600_NS6detail15normal_iteratorINS9_10device_ptrIiEEEESE_SE_iNS9_4plusIvEENS9_8equal_toIvEEiEE10hipError_tPvRmT2_T3_T4_T5_mT6_T7_P12ihipStream_tbENKUlT_T0_E_clISt17integral_constantIbLb1EESY_IbLb0EEEEDaSU_SV_EUlSU_E_NS1_11comp_targetILNS1_3genE10ELNS1_11target_archE1200ELNS1_3gpuE4ELNS1_3repE0EEENS1_30default_config_static_selectorELNS0_4arch9wavefront6targetE1EEEvT1_: ; @_ZN7rocprim17ROCPRIM_400000_NS6detail17trampoline_kernelINS0_14default_configENS1_27scan_by_key_config_selectorIiiEEZZNS1_16scan_by_key_implILNS1_25lookback_scan_determinismE0ELb1ES3_N6thrust23THRUST_200600_302600_NS6detail15normal_iteratorINS9_10device_ptrIiEEEESE_SE_iNS9_4plusIvEENS9_8equal_toIvEEiEE10hipError_tPvRmT2_T3_T4_T5_mT6_T7_P12ihipStream_tbENKUlT_T0_E_clISt17integral_constantIbLb1EESY_IbLb0EEEEDaSU_SV_EUlSU_E_NS1_11comp_targetILNS1_3genE10ELNS1_11target_archE1200ELNS1_3gpuE4ELNS1_3repE0EEENS1_30default_config_static_selectorELNS0_4arch9wavefront6targetE1EEEvT1_
; %bb.0:
	.section	.rodata,"a",@progbits
	.p2align	6, 0x0
	.amdhsa_kernel _ZN7rocprim17ROCPRIM_400000_NS6detail17trampoline_kernelINS0_14default_configENS1_27scan_by_key_config_selectorIiiEEZZNS1_16scan_by_key_implILNS1_25lookback_scan_determinismE0ELb1ES3_N6thrust23THRUST_200600_302600_NS6detail15normal_iteratorINS9_10device_ptrIiEEEESE_SE_iNS9_4plusIvEENS9_8equal_toIvEEiEE10hipError_tPvRmT2_T3_T4_T5_mT6_T7_P12ihipStream_tbENKUlT_T0_E_clISt17integral_constantIbLb1EESY_IbLb0EEEEDaSU_SV_EUlSU_E_NS1_11comp_targetILNS1_3genE10ELNS1_11target_archE1200ELNS1_3gpuE4ELNS1_3repE0EEENS1_30default_config_static_selectorELNS0_4arch9wavefront6targetE1EEEvT1_
		.amdhsa_group_segment_fixed_size 0
		.amdhsa_private_segment_fixed_size 0
		.amdhsa_kernarg_size 112
		.amdhsa_user_sgpr_count 2
		.amdhsa_user_sgpr_dispatch_ptr 0
		.amdhsa_user_sgpr_queue_ptr 0
		.amdhsa_user_sgpr_kernarg_segment_ptr 1
		.amdhsa_user_sgpr_dispatch_id 0
		.amdhsa_user_sgpr_kernarg_preload_length 0
		.amdhsa_user_sgpr_kernarg_preload_offset 0
		.amdhsa_user_sgpr_private_segment_size 0
		.amdhsa_uses_dynamic_stack 0
		.amdhsa_enable_private_segment 0
		.amdhsa_system_sgpr_workgroup_id_x 1
		.amdhsa_system_sgpr_workgroup_id_y 0
		.amdhsa_system_sgpr_workgroup_id_z 0
		.amdhsa_system_sgpr_workgroup_info 0
		.amdhsa_system_vgpr_workitem_id 0
		.amdhsa_next_free_vgpr 1
		.amdhsa_next_free_sgpr 0
		.amdhsa_accum_offset 4
		.amdhsa_reserve_vcc 0
		.amdhsa_float_round_mode_32 0
		.amdhsa_float_round_mode_16_64 0
		.amdhsa_float_denorm_mode_32 3
		.amdhsa_float_denorm_mode_16_64 3
		.amdhsa_dx10_clamp 1
		.amdhsa_ieee_mode 1
		.amdhsa_fp16_overflow 0
		.amdhsa_tg_split 0
		.amdhsa_exception_fp_ieee_invalid_op 0
		.amdhsa_exception_fp_denorm_src 0
		.amdhsa_exception_fp_ieee_div_zero 0
		.amdhsa_exception_fp_ieee_overflow 0
		.amdhsa_exception_fp_ieee_underflow 0
		.amdhsa_exception_fp_ieee_inexact 0
		.amdhsa_exception_int_div_zero 0
	.end_amdhsa_kernel
	.section	.text._ZN7rocprim17ROCPRIM_400000_NS6detail17trampoline_kernelINS0_14default_configENS1_27scan_by_key_config_selectorIiiEEZZNS1_16scan_by_key_implILNS1_25lookback_scan_determinismE0ELb1ES3_N6thrust23THRUST_200600_302600_NS6detail15normal_iteratorINS9_10device_ptrIiEEEESE_SE_iNS9_4plusIvEENS9_8equal_toIvEEiEE10hipError_tPvRmT2_T3_T4_T5_mT6_T7_P12ihipStream_tbENKUlT_T0_E_clISt17integral_constantIbLb1EESY_IbLb0EEEEDaSU_SV_EUlSU_E_NS1_11comp_targetILNS1_3genE10ELNS1_11target_archE1200ELNS1_3gpuE4ELNS1_3repE0EEENS1_30default_config_static_selectorELNS0_4arch9wavefront6targetE1EEEvT1_,"axG",@progbits,_ZN7rocprim17ROCPRIM_400000_NS6detail17trampoline_kernelINS0_14default_configENS1_27scan_by_key_config_selectorIiiEEZZNS1_16scan_by_key_implILNS1_25lookback_scan_determinismE0ELb1ES3_N6thrust23THRUST_200600_302600_NS6detail15normal_iteratorINS9_10device_ptrIiEEEESE_SE_iNS9_4plusIvEENS9_8equal_toIvEEiEE10hipError_tPvRmT2_T3_T4_T5_mT6_T7_P12ihipStream_tbENKUlT_T0_E_clISt17integral_constantIbLb1EESY_IbLb0EEEEDaSU_SV_EUlSU_E_NS1_11comp_targetILNS1_3genE10ELNS1_11target_archE1200ELNS1_3gpuE4ELNS1_3repE0EEENS1_30default_config_static_selectorELNS0_4arch9wavefront6targetE1EEEvT1_,comdat
.Lfunc_end485:
	.size	_ZN7rocprim17ROCPRIM_400000_NS6detail17trampoline_kernelINS0_14default_configENS1_27scan_by_key_config_selectorIiiEEZZNS1_16scan_by_key_implILNS1_25lookback_scan_determinismE0ELb1ES3_N6thrust23THRUST_200600_302600_NS6detail15normal_iteratorINS9_10device_ptrIiEEEESE_SE_iNS9_4plusIvEENS9_8equal_toIvEEiEE10hipError_tPvRmT2_T3_T4_T5_mT6_T7_P12ihipStream_tbENKUlT_T0_E_clISt17integral_constantIbLb1EESY_IbLb0EEEEDaSU_SV_EUlSU_E_NS1_11comp_targetILNS1_3genE10ELNS1_11target_archE1200ELNS1_3gpuE4ELNS1_3repE0EEENS1_30default_config_static_selectorELNS0_4arch9wavefront6targetE1EEEvT1_, .Lfunc_end485-_ZN7rocprim17ROCPRIM_400000_NS6detail17trampoline_kernelINS0_14default_configENS1_27scan_by_key_config_selectorIiiEEZZNS1_16scan_by_key_implILNS1_25lookback_scan_determinismE0ELb1ES3_N6thrust23THRUST_200600_302600_NS6detail15normal_iteratorINS9_10device_ptrIiEEEESE_SE_iNS9_4plusIvEENS9_8equal_toIvEEiEE10hipError_tPvRmT2_T3_T4_T5_mT6_T7_P12ihipStream_tbENKUlT_T0_E_clISt17integral_constantIbLb1EESY_IbLb0EEEEDaSU_SV_EUlSU_E_NS1_11comp_targetILNS1_3genE10ELNS1_11target_archE1200ELNS1_3gpuE4ELNS1_3repE0EEENS1_30default_config_static_selectorELNS0_4arch9wavefront6targetE1EEEvT1_
                                        ; -- End function
	.section	.AMDGPU.csdata,"",@progbits
; Kernel info:
; codeLenInByte = 0
; NumSgprs: 6
; NumVgprs: 0
; NumAgprs: 0
; TotalNumVgprs: 0
; ScratchSize: 0
; MemoryBound: 0
; FloatMode: 240
; IeeeMode: 1
; LDSByteSize: 0 bytes/workgroup (compile time only)
; SGPRBlocks: 0
; VGPRBlocks: 0
; NumSGPRsForWavesPerEU: 6
; NumVGPRsForWavesPerEU: 1
; AccumOffset: 4
; Occupancy: 8
; WaveLimiterHint : 0
; COMPUTE_PGM_RSRC2:SCRATCH_EN: 0
; COMPUTE_PGM_RSRC2:USER_SGPR: 2
; COMPUTE_PGM_RSRC2:TRAP_HANDLER: 0
; COMPUTE_PGM_RSRC2:TGID_X_EN: 1
; COMPUTE_PGM_RSRC2:TGID_Y_EN: 0
; COMPUTE_PGM_RSRC2:TGID_Z_EN: 0
; COMPUTE_PGM_RSRC2:TIDIG_COMP_CNT: 0
; COMPUTE_PGM_RSRC3_GFX90A:ACCUM_OFFSET: 0
; COMPUTE_PGM_RSRC3_GFX90A:TG_SPLIT: 0
	.section	.text._ZN7rocprim17ROCPRIM_400000_NS6detail17trampoline_kernelINS0_14default_configENS1_27scan_by_key_config_selectorIiiEEZZNS1_16scan_by_key_implILNS1_25lookback_scan_determinismE0ELb1ES3_N6thrust23THRUST_200600_302600_NS6detail15normal_iteratorINS9_10device_ptrIiEEEESE_SE_iNS9_4plusIvEENS9_8equal_toIvEEiEE10hipError_tPvRmT2_T3_T4_T5_mT6_T7_P12ihipStream_tbENKUlT_T0_E_clISt17integral_constantIbLb1EESY_IbLb0EEEEDaSU_SV_EUlSU_E_NS1_11comp_targetILNS1_3genE9ELNS1_11target_archE1100ELNS1_3gpuE3ELNS1_3repE0EEENS1_30default_config_static_selectorELNS0_4arch9wavefront6targetE1EEEvT1_,"axG",@progbits,_ZN7rocprim17ROCPRIM_400000_NS6detail17trampoline_kernelINS0_14default_configENS1_27scan_by_key_config_selectorIiiEEZZNS1_16scan_by_key_implILNS1_25lookback_scan_determinismE0ELb1ES3_N6thrust23THRUST_200600_302600_NS6detail15normal_iteratorINS9_10device_ptrIiEEEESE_SE_iNS9_4plusIvEENS9_8equal_toIvEEiEE10hipError_tPvRmT2_T3_T4_T5_mT6_T7_P12ihipStream_tbENKUlT_T0_E_clISt17integral_constantIbLb1EESY_IbLb0EEEEDaSU_SV_EUlSU_E_NS1_11comp_targetILNS1_3genE9ELNS1_11target_archE1100ELNS1_3gpuE3ELNS1_3repE0EEENS1_30default_config_static_selectorELNS0_4arch9wavefront6targetE1EEEvT1_,comdat
	.protected	_ZN7rocprim17ROCPRIM_400000_NS6detail17trampoline_kernelINS0_14default_configENS1_27scan_by_key_config_selectorIiiEEZZNS1_16scan_by_key_implILNS1_25lookback_scan_determinismE0ELb1ES3_N6thrust23THRUST_200600_302600_NS6detail15normal_iteratorINS9_10device_ptrIiEEEESE_SE_iNS9_4plusIvEENS9_8equal_toIvEEiEE10hipError_tPvRmT2_T3_T4_T5_mT6_T7_P12ihipStream_tbENKUlT_T0_E_clISt17integral_constantIbLb1EESY_IbLb0EEEEDaSU_SV_EUlSU_E_NS1_11comp_targetILNS1_3genE9ELNS1_11target_archE1100ELNS1_3gpuE3ELNS1_3repE0EEENS1_30default_config_static_selectorELNS0_4arch9wavefront6targetE1EEEvT1_ ; -- Begin function _ZN7rocprim17ROCPRIM_400000_NS6detail17trampoline_kernelINS0_14default_configENS1_27scan_by_key_config_selectorIiiEEZZNS1_16scan_by_key_implILNS1_25lookback_scan_determinismE0ELb1ES3_N6thrust23THRUST_200600_302600_NS6detail15normal_iteratorINS9_10device_ptrIiEEEESE_SE_iNS9_4plusIvEENS9_8equal_toIvEEiEE10hipError_tPvRmT2_T3_T4_T5_mT6_T7_P12ihipStream_tbENKUlT_T0_E_clISt17integral_constantIbLb1EESY_IbLb0EEEEDaSU_SV_EUlSU_E_NS1_11comp_targetILNS1_3genE9ELNS1_11target_archE1100ELNS1_3gpuE3ELNS1_3repE0EEENS1_30default_config_static_selectorELNS0_4arch9wavefront6targetE1EEEvT1_
	.globl	_ZN7rocprim17ROCPRIM_400000_NS6detail17trampoline_kernelINS0_14default_configENS1_27scan_by_key_config_selectorIiiEEZZNS1_16scan_by_key_implILNS1_25lookback_scan_determinismE0ELb1ES3_N6thrust23THRUST_200600_302600_NS6detail15normal_iteratorINS9_10device_ptrIiEEEESE_SE_iNS9_4plusIvEENS9_8equal_toIvEEiEE10hipError_tPvRmT2_T3_T4_T5_mT6_T7_P12ihipStream_tbENKUlT_T0_E_clISt17integral_constantIbLb1EESY_IbLb0EEEEDaSU_SV_EUlSU_E_NS1_11comp_targetILNS1_3genE9ELNS1_11target_archE1100ELNS1_3gpuE3ELNS1_3repE0EEENS1_30default_config_static_selectorELNS0_4arch9wavefront6targetE1EEEvT1_
	.p2align	8
	.type	_ZN7rocprim17ROCPRIM_400000_NS6detail17trampoline_kernelINS0_14default_configENS1_27scan_by_key_config_selectorIiiEEZZNS1_16scan_by_key_implILNS1_25lookback_scan_determinismE0ELb1ES3_N6thrust23THRUST_200600_302600_NS6detail15normal_iteratorINS9_10device_ptrIiEEEESE_SE_iNS9_4plusIvEENS9_8equal_toIvEEiEE10hipError_tPvRmT2_T3_T4_T5_mT6_T7_P12ihipStream_tbENKUlT_T0_E_clISt17integral_constantIbLb1EESY_IbLb0EEEEDaSU_SV_EUlSU_E_NS1_11comp_targetILNS1_3genE9ELNS1_11target_archE1100ELNS1_3gpuE3ELNS1_3repE0EEENS1_30default_config_static_selectorELNS0_4arch9wavefront6targetE1EEEvT1_,@function
_ZN7rocprim17ROCPRIM_400000_NS6detail17trampoline_kernelINS0_14default_configENS1_27scan_by_key_config_selectorIiiEEZZNS1_16scan_by_key_implILNS1_25lookback_scan_determinismE0ELb1ES3_N6thrust23THRUST_200600_302600_NS6detail15normal_iteratorINS9_10device_ptrIiEEEESE_SE_iNS9_4plusIvEENS9_8equal_toIvEEiEE10hipError_tPvRmT2_T3_T4_T5_mT6_T7_P12ihipStream_tbENKUlT_T0_E_clISt17integral_constantIbLb1EESY_IbLb0EEEEDaSU_SV_EUlSU_E_NS1_11comp_targetILNS1_3genE9ELNS1_11target_archE1100ELNS1_3gpuE3ELNS1_3repE0EEENS1_30default_config_static_selectorELNS0_4arch9wavefront6targetE1EEEvT1_: ; @_ZN7rocprim17ROCPRIM_400000_NS6detail17trampoline_kernelINS0_14default_configENS1_27scan_by_key_config_selectorIiiEEZZNS1_16scan_by_key_implILNS1_25lookback_scan_determinismE0ELb1ES3_N6thrust23THRUST_200600_302600_NS6detail15normal_iteratorINS9_10device_ptrIiEEEESE_SE_iNS9_4plusIvEENS9_8equal_toIvEEiEE10hipError_tPvRmT2_T3_T4_T5_mT6_T7_P12ihipStream_tbENKUlT_T0_E_clISt17integral_constantIbLb1EESY_IbLb0EEEEDaSU_SV_EUlSU_E_NS1_11comp_targetILNS1_3genE9ELNS1_11target_archE1100ELNS1_3gpuE3ELNS1_3repE0EEENS1_30default_config_static_selectorELNS0_4arch9wavefront6targetE1EEEvT1_
; %bb.0:
	.section	.rodata,"a",@progbits
	.p2align	6, 0x0
	.amdhsa_kernel _ZN7rocprim17ROCPRIM_400000_NS6detail17trampoline_kernelINS0_14default_configENS1_27scan_by_key_config_selectorIiiEEZZNS1_16scan_by_key_implILNS1_25lookback_scan_determinismE0ELb1ES3_N6thrust23THRUST_200600_302600_NS6detail15normal_iteratorINS9_10device_ptrIiEEEESE_SE_iNS9_4plusIvEENS9_8equal_toIvEEiEE10hipError_tPvRmT2_T3_T4_T5_mT6_T7_P12ihipStream_tbENKUlT_T0_E_clISt17integral_constantIbLb1EESY_IbLb0EEEEDaSU_SV_EUlSU_E_NS1_11comp_targetILNS1_3genE9ELNS1_11target_archE1100ELNS1_3gpuE3ELNS1_3repE0EEENS1_30default_config_static_selectorELNS0_4arch9wavefront6targetE1EEEvT1_
		.amdhsa_group_segment_fixed_size 0
		.amdhsa_private_segment_fixed_size 0
		.amdhsa_kernarg_size 112
		.amdhsa_user_sgpr_count 2
		.amdhsa_user_sgpr_dispatch_ptr 0
		.amdhsa_user_sgpr_queue_ptr 0
		.amdhsa_user_sgpr_kernarg_segment_ptr 1
		.amdhsa_user_sgpr_dispatch_id 0
		.amdhsa_user_sgpr_kernarg_preload_length 0
		.amdhsa_user_sgpr_kernarg_preload_offset 0
		.amdhsa_user_sgpr_private_segment_size 0
		.amdhsa_uses_dynamic_stack 0
		.amdhsa_enable_private_segment 0
		.amdhsa_system_sgpr_workgroup_id_x 1
		.amdhsa_system_sgpr_workgroup_id_y 0
		.amdhsa_system_sgpr_workgroup_id_z 0
		.amdhsa_system_sgpr_workgroup_info 0
		.amdhsa_system_vgpr_workitem_id 0
		.amdhsa_next_free_vgpr 1
		.amdhsa_next_free_sgpr 0
		.amdhsa_accum_offset 4
		.amdhsa_reserve_vcc 0
		.amdhsa_float_round_mode_32 0
		.amdhsa_float_round_mode_16_64 0
		.amdhsa_float_denorm_mode_32 3
		.amdhsa_float_denorm_mode_16_64 3
		.amdhsa_dx10_clamp 1
		.amdhsa_ieee_mode 1
		.amdhsa_fp16_overflow 0
		.amdhsa_tg_split 0
		.amdhsa_exception_fp_ieee_invalid_op 0
		.amdhsa_exception_fp_denorm_src 0
		.amdhsa_exception_fp_ieee_div_zero 0
		.amdhsa_exception_fp_ieee_overflow 0
		.amdhsa_exception_fp_ieee_underflow 0
		.amdhsa_exception_fp_ieee_inexact 0
		.amdhsa_exception_int_div_zero 0
	.end_amdhsa_kernel
	.section	.text._ZN7rocprim17ROCPRIM_400000_NS6detail17trampoline_kernelINS0_14default_configENS1_27scan_by_key_config_selectorIiiEEZZNS1_16scan_by_key_implILNS1_25lookback_scan_determinismE0ELb1ES3_N6thrust23THRUST_200600_302600_NS6detail15normal_iteratorINS9_10device_ptrIiEEEESE_SE_iNS9_4plusIvEENS9_8equal_toIvEEiEE10hipError_tPvRmT2_T3_T4_T5_mT6_T7_P12ihipStream_tbENKUlT_T0_E_clISt17integral_constantIbLb1EESY_IbLb0EEEEDaSU_SV_EUlSU_E_NS1_11comp_targetILNS1_3genE9ELNS1_11target_archE1100ELNS1_3gpuE3ELNS1_3repE0EEENS1_30default_config_static_selectorELNS0_4arch9wavefront6targetE1EEEvT1_,"axG",@progbits,_ZN7rocprim17ROCPRIM_400000_NS6detail17trampoline_kernelINS0_14default_configENS1_27scan_by_key_config_selectorIiiEEZZNS1_16scan_by_key_implILNS1_25lookback_scan_determinismE0ELb1ES3_N6thrust23THRUST_200600_302600_NS6detail15normal_iteratorINS9_10device_ptrIiEEEESE_SE_iNS9_4plusIvEENS9_8equal_toIvEEiEE10hipError_tPvRmT2_T3_T4_T5_mT6_T7_P12ihipStream_tbENKUlT_T0_E_clISt17integral_constantIbLb1EESY_IbLb0EEEEDaSU_SV_EUlSU_E_NS1_11comp_targetILNS1_3genE9ELNS1_11target_archE1100ELNS1_3gpuE3ELNS1_3repE0EEENS1_30default_config_static_selectorELNS0_4arch9wavefront6targetE1EEEvT1_,comdat
.Lfunc_end486:
	.size	_ZN7rocprim17ROCPRIM_400000_NS6detail17trampoline_kernelINS0_14default_configENS1_27scan_by_key_config_selectorIiiEEZZNS1_16scan_by_key_implILNS1_25lookback_scan_determinismE0ELb1ES3_N6thrust23THRUST_200600_302600_NS6detail15normal_iteratorINS9_10device_ptrIiEEEESE_SE_iNS9_4plusIvEENS9_8equal_toIvEEiEE10hipError_tPvRmT2_T3_T4_T5_mT6_T7_P12ihipStream_tbENKUlT_T0_E_clISt17integral_constantIbLb1EESY_IbLb0EEEEDaSU_SV_EUlSU_E_NS1_11comp_targetILNS1_3genE9ELNS1_11target_archE1100ELNS1_3gpuE3ELNS1_3repE0EEENS1_30default_config_static_selectorELNS0_4arch9wavefront6targetE1EEEvT1_, .Lfunc_end486-_ZN7rocprim17ROCPRIM_400000_NS6detail17trampoline_kernelINS0_14default_configENS1_27scan_by_key_config_selectorIiiEEZZNS1_16scan_by_key_implILNS1_25lookback_scan_determinismE0ELb1ES3_N6thrust23THRUST_200600_302600_NS6detail15normal_iteratorINS9_10device_ptrIiEEEESE_SE_iNS9_4plusIvEENS9_8equal_toIvEEiEE10hipError_tPvRmT2_T3_T4_T5_mT6_T7_P12ihipStream_tbENKUlT_T0_E_clISt17integral_constantIbLb1EESY_IbLb0EEEEDaSU_SV_EUlSU_E_NS1_11comp_targetILNS1_3genE9ELNS1_11target_archE1100ELNS1_3gpuE3ELNS1_3repE0EEENS1_30default_config_static_selectorELNS0_4arch9wavefront6targetE1EEEvT1_
                                        ; -- End function
	.section	.AMDGPU.csdata,"",@progbits
; Kernel info:
; codeLenInByte = 0
; NumSgprs: 6
; NumVgprs: 0
; NumAgprs: 0
; TotalNumVgprs: 0
; ScratchSize: 0
; MemoryBound: 0
; FloatMode: 240
; IeeeMode: 1
; LDSByteSize: 0 bytes/workgroup (compile time only)
; SGPRBlocks: 0
; VGPRBlocks: 0
; NumSGPRsForWavesPerEU: 6
; NumVGPRsForWavesPerEU: 1
; AccumOffset: 4
; Occupancy: 8
; WaveLimiterHint : 0
; COMPUTE_PGM_RSRC2:SCRATCH_EN: 0
; COMPUTE_PGM_RSRC2:USER_SGPR: 2
; COMPUTE_PGM_RSRC2:TRAP_HANDLER: 0
; COMPUTE_PGM_RSRC2:TGID_X_EN: 1
; COMPUTE_PGM_RSRC2:TGID_Y_EN: 0
; COMPUTE_PGM_RSRC2:TGID_Z_EN: 0
; COMPUTE_PGM_RSRC2:TIDIG_COMP_CNT: 0
; COMPUTE_PGM_RSRC3_GFX90A:ACCUM_OFFSET: 0
; COMPUTE_PGM_RSRC3_GFX90A:TG_SPLIT: 0
	.section	.text._ZN7rocprim17ROCPRIM_400000_NS6detail17trampoline_kernelINS0_14default_configENS1_27scan_by_key_config_selectorIiiEEZZNS1_16scan_by_key_implILNS1_25lookback_scan_determinismE0ELb1ES3_N6thrust23THRUST_200600_302600_NS6detail15normal_iteratorINS9_10device_ptrIiEEEESE_SE_iNS9_4plusIvEENS9_8equal_toIvEEiEE10hipError_tPvRmT2_T3_T4_T5_mT6_T7_P12ihipStream_tbENKUlT_T0_E_clISt17integral_constantIbLb1EESY_IbLb0EEEEDaSU_SV_EUlSU_E_NS1_11comp_targetILNS1_3genE8ELNS1_11target_archE1030ELNS1_3gpuE2ELNS1_3repE0EEENS1_30default_config_static_selectorELNS0_4arch9wavefront6targetE1EEEvT1_,"axG",@progbits,_ZN7rocprim17ROCPRIM_400000_NS6detail17trampoline_kernelINS0_14default_configENS1_27scan_by_key_config_selectorIiiEEZZNS1_16scan_by_key_implILNS1_25lookback_scan_determinismE0ELb1ES3_N6thrust23THRUST_200600_302600_NS6detail15normal_iteratorINS9_10device_ptrIiEEEESE_SE_iNS9_4plusIvEENS9_8equal_toIvEEiEE10hipError_tPvRmT2_T3_T4_T5_mT6_T7_P12ihipStream_tbENKUlT_T0_E_clISt17integral_constantIbLb1EESY_IbLb0EEEEDaSU_SV_EUlSU_E_NS1_11comp_targetILNS1_3genE8ELNS1_11target_archE1030ELNS1_3gpuE2ELNS1_3repE0EEENS1_30default_config_static_selectorELNS0_4arch9wavefront6targetE1EEEvT1_,comdat
	.protected	_ZN7rocprim17ROCPRIM_400000_NS6detail17trampoline_kernelINS0_14default_configENS1_27scan_by_key_config_selectorIiiEEZZNS1_16scan_by_key_implILNS1_25lookback_scan_determinismE0ELb1ES3_N6thrust23THRUST_200600_302600_NS6detail15normal_iteratorINS9_10device_ptrIiEEEESE_SE_iNS9_4plusIvEENS9_8equal_toIvEEiEE10hipError_tPvRmT2_T3_T4_T5_mT6_T7_P12ihipStream_tbENKUlT_T0_E_clISt17integral_constantIbLb1EESY_IbLb0EEEEDaSU_SV_EUlSU_E_NS1_11comp_targetILNS1_3genE8ELNS1_11target_archE1030ELNS1_3gpuE2ELNS1_3repE0EEENS1_30default_config_static_selectorELNS0_4arch9wavefront6targetE1EEEvT1_ ; -- Begin function _ZN7rocprim17ROCPRIM_400000_NS6detail17trampoline_kernelINS0_14default_configENS1_27scan_by_key_config_selectorIiiEEZZNS1_16scan_by_key_implILNS1_25lookback_scan_determinismE0ELb1ES3_N6thrust23THRUST_200600_302600_NS6detail15normal_iteratorINS9_10device_ptrIiEEEESE_SE_iNS9_4plusIvEENS9_8equal_toIvEEiEE10hipError_tPvRmT2_T3_T4_T5_mT6_T7_P12ihipStream_tbENKUlT_T0_E_clISt17integral_constantIbLb1EESY_IbLb0EEEEDaSU_SV_EUlSU_E_NS1_11comp_targetILNS1_3genE8ELNS1_11target_archE1030ELNS1_3gpuE2ELNS1_3repE0EEENS1_30default_config_static_selectorELNS0_4arch9wavefront6targetE1EEEvT1_
	.globl	_ZN7rocprim17ROCPRIM_400000_NS6detail17trampoline_kernelINS0_14default_configENS1_27scan_by_key_config_selectorIiiEEZZNS1_16scan_by_key_implILNS1_25lookback_scan_determinismE0ELb1ES3_N6thrust23THRUST_200600_302600_NS6detail15normal_iteratorINS9_10device_ptrIiEEEESE_SE_iNS9_4plusIvEENS9_8equal_toIvEEiEE10hipError_tPvRmT2_T3_T4_T5_mT6_T7_P12ihipStream_tbENKUlT_T0_E_clISt17integral_constantIbLb1EESY_IbLb0EEEEDaSU_SV_EUlSU_E_NS1_11comp_targetILNS1_3genE8ELNS1_11target_archE1030ELNS1_3gpuE2ELNS1_3repE0EEENS1_30default_config_static_selectorELNS0_4arch9wavefront6targetE1EEEvT1_
	.p2align	8
	.type	_ZN7rocprim17ROCPRIM_400000_NS6detail17trampoline_kernelINS0_14default_configENS1_27scan_by_key_config_selectorIiiEEZZNS1_16scan_by_key_implILNS1_25lookback_scan_determinismE0ELb1ES3_N6thrust23THRUST_200600_302600_NS6detail15normal_iteratorINS9_10device_ptrIiEEEESE_SE_iNS9_4plusIvEENS9_8equal_toIvEEiEE10hipError_tPvRmT2_T3_T4_T5_mT6_T7_P12ihipStream_tbENKUlT_T0_E_clISt17integral_constantIbLb1EESY_IbLb0EEEEDaSU_SV_EUlSU_E_NS1_11comp_targetILNS1_3genE8ELNS1_11target_archE1030ELNS1_3gpuE2ELNS1_3repE0EEENS1_30default_config_static_selectorELNS0_4arch9wavefront6targetE1EEEvT1_,@function
_ZN7rocprim17ROCPRIM_400000_NS6detail17trampoline_kernelINS0_14default_configENS1_27scan_by_key_config_selectorIiiEEZZNS1_16scan_by_key_implILNS1_25lookback_scan_determinismE0ELb1ES3_N6thrust23THRUST_200600_302600_NS6detail15normal_iteratorINS9_10device_ptrIiEEEESE_SE_iNS9_4plusIvEENS9_8equal_toIvEEiEE10hipError_tPvRmT2_T3_T4_T5_mT6_T7_P12ihipStream_tbENKUlT_T0_E_clISt17integral_constantIbLb1EESY_IbLb0EEEEDaSU_SV_EUlSU_E_NS1_11comp_targetILNS1_3genE8ELNS1_11target_archE1030ELNS1_3gpuE2ELNS1_3repE0EEENS1_30default_config_static_selectorELNS0_4arch9wavefront6targetE1EEEvT1_: ; @_ZN7rocprim17ROCPRIM_400000_NS6detail17trampoline_kernelINS0_14default_configENS1_27scan_by_key_config_selectorIiiEEZZNS1_16scan_by_key_implILNS1_25lookback_scan_determinismE0ELb1ES3_N6thrust23THRUST_200600_302600_NS6detail15normal_iteratorINS9_10device_ptrIiEEEESE_SE_iNS9_4plusIvEENS9_8equal_toIvEEiEE10hipError_tPvRmT2_T3_T4_T5_mT6_T7_P12ihipStream_tbENKUlT_T0_E_clISt17integral_constantIbLb1EESY_IbLb0EEEEDaSU_SV_EUlSU_E_NS1_11comp_targetILNS1_3genE8ELNS1_11target_archE1030ELNS1_3gpuE2ELNS1_3repE0EEENS1_30default_config_static_selectorELNS0_4arch9wavefront6targetE1EEEvT1_
; %bb.0:
	.section	.rodata,"a",@progbits
	.p2align	6, 0x0
	.amdhsa_kernel _ZN7rocprim17ROCPRIM_400000_NS6detail17trampoline_kernelINS0_14default_configENS1_27scan_by_key_config_selectorIiiEEZZNS1_16scan_by_key_implILNS1_25lookback_scan_determinismE0ELb1ES3_N6thrust23THRUST_200600_302600_NS6detail15normal_iteratorINS9_10device_ptrIiEEEESE_SE_iNS9_4plusIvEENS9_8equal_toIvEEiEE10hipError_tPvRmT2_T3_T4_T5_mT6_T7_P12ihipStream_tbENKUlT_T0_E_clISt17integral_constantIbLb1EESY_IbLb0EEEEDaSU_SV_EUlSU_E_NS1_11comp_targetILNS1_3genE8ELNS1_11target_archE1030ELNS1_3gpuE2ELNS1_3repE0EEENS1_30default_config_static_selectorELNS0_4arch9wavefront6targetE1EEEvT1_
		.amdhsa_group_segment_fixed_size 0
		.amdhsa_private_segment_fixed_size 0
		.amdhsa_kernarg_size 112
		.amdhsa_user_sgpr_count 2
		.amdhsa_user_sgpr_dispatch_ptr 0
		.amdhsa_user_sgpr_queue_ptr 0
		.amdhsa_user_sgpr_kernarg_segment_ptr 1
		.amdhsa_user_sgpr_dispatch_id 0
		.amdhsa_user_sgpr_kernarg_preload_length 0
		.amdhsa_user_sgpr_kernarg_preload_offset 0
		.amdhsa_user_sgpr_private_segment_size 0
		.amdhsa_uses_dynamic_stack 0
		.amdhsa_enable_private_segment 0
		.amdhsa_system_sgpr_workgroup_id_x 1
		.amdhsa_system_sgpr_workgroup_id_y 0
		.amdhsa_system_sgpr_workgroup_id_z 0
		.amdhsa_system_sgpr_workgroup_info 0
		.amdhsa_system_vgpr_workitem_id 0
		.amdhsa_next_free_vgpr 1
		.amdhsa_next_free_sgpr 0
		.amdhsa_accum_offset 4
		.amdhsa_reserve_vcc 0
		.amdhsa_float_round_mode_32 0
		.amdhsa_float_round_mode_16_64 0
		.amdhsa_float_denorm_mode_32 3
		.amdhsa_float_denorm_mode_16_64 3
		.amdhsa_dx10_clamp 1
		.amdhsa_ieee_mode 1
		.amdhsa_fp16_overflow 0
		.amdhsa_tg_split 0
		.amdhsa_exception_fp_ieee_invalid_op 0
		.amdhsa_exception_fp_denorm_src 0
		.amdhsa_exception_fp_ieee_div_zero 0
		.amdhsa_exception_fp_ieee_overflow 0
		.amdhsa_exception_fp_ieee_underflow 0
		.amdhsa_exception_fp_ieee_inexact 0
		.amdhsa_exception_int_div_zero 0
	.end_amdhsa_kernel
	.section	.text._ZN7rocprim17ROCPRIM_400000_NS6detail17trampoline_kernelINS0_14default_configENS1_27scan_by_key_config_selectorIiiEEZZNS1_16scan_by_key_implILNS1_25lookback_scan_determinismE0ELb1ES3_N6thrust23THRUST_200600_302600_NS6detail15normal_iteratorINS9_10device_ptrIiEEEESE_SE_iNS9_4plusIvEENS9_8equal_toIvEEiEE10hipError_tPvRmT2_T3_T4_T5_mT6_T7_P12ihipStream_tbENKUlT_T0_E_clISt17integral_constantIbLb1EESY_IbLb0EEEEDaSU_SV_EUlSU_E_NS1_11comp_targetILNS1_3genE8ELNS1_11target_archE1030ELNS1_3gpuE2ELNS1_3repE0EEENS1_30default_config_static_selectorELNS0_4arch9wavefront6targetE1EEEvT1_,"axG",@progbits,_ZN7rocprim17ROCPRIM_400000_NS6detail17trampoline_kernelINS0_14default_configENS1_27scan_by_key_config_selectorIiiEEZZNS1_16scan_by_key_implILNS1_25lookback_scan_determinismE0ELb1ES3_N6thrust23THRUST_200600_302600_NS6detail15normal_iteratorINS9_10device_ptrIiEEEESE_SE_iNS9_4plusIvEENS9_8equal_toIvEEiEE10hipError_tPvRmT2_T3_T4_T5_mT6_T7_P12ihipStream_tbENKUlT_T0_E_clISt17integral_constantIbLb1EESY_IbLb0EEEEDaSU_SV_EUlSU_E_NS1_11comp_targetILNS1_3genE8ELNS1_11target_archE1030ELNS1_3gpuE2ELNS1_3repE0EEENS1_30default_config_static_selectorELNS0_4arch9wavefront6targetE1EEEvT1_,comdat
.Lfunc_end487:
	.size	_ZN7rocprim17ROCPRIM_400000_NS6detail17trampoline_kernelINS0_14default_configENS1_27scan_by_key_config_selectorIiiEEZZNS1_16scan_by_key_implILNS1_25lookback_scan_determinismE0ELb1ES3_N6thrust23THRUST_200600_302600_NS6detail15normal_iteratorINS9_10device_ptrIiEEEESE_SE_iNS9_4plusIvEENS9_8equal_toIvEEiEE10hipError_tPvRmT2_T3_T4_T5_mT6_T7_P12ihipStream_tbENKUlT_T0_E_clISt17integral_constantIbLb1EESY_IbLb0EEEEDaSU_SV_EUlSU_E_NS1_11comp_targetILNS1_3genE8ELNS1_11target_archE1030ELNS1_3gpuE2ELNS1_3repE0EEENS1_30default_config_static_selectorELNS0_4arch9wavefront6targetE1EEEvT1_, .Lfunc_end487-_ZN7rocprim17ROCPRIM_400000_NS6detail17trampoline_kernelINS0_14default_configENS1_27scan_by_key_config_selectorIiiEEZZNS1_16scan_by_key_implILNS1_25lookback_scan_determinismE0ELb1ES3_N6thrust23THRUST_200600_302600_NS6detail15normal_iteratorINS9_10device_ptrIiEEEESE_SE_iNS9_4plusIvEENS9_8equal_toIvEEiEE10hipError_tPvRmT2_T3_T4_T5_mT6_T7_P12ihipStream_tbENKUlT_T0_E_clISt17integral_constantIbLb1EESY_IbLb0EEEEDaSU_SV_EUlSU_E_NS1_11comp_targetILNS1_3genE8ELNS1_11target_archE1030ELNS1_3gpuE2ELNS1_3repE0EEENS1_30default_config_static_selectorELNS0_4arch9wavefront6targetE1EEEvT1_
                                        ; -- End function
	.section	.AMDGPU.csdata,"",@progbits
; Kernel info:
; codeLenInByte = 0
; NumSgprs: 6
; NumVgprs: 0
; NumAgprs: 0
; TotalNumVgprs: 0
; ScratchSize: 0
; MemoryBound: 0
; FloatMode: 240
; IeeeMode: 1
; LDSByteSize: 0 bytes/workgroup (compile time only)
; SGPRBlocks: 0
; VGPRBlocks: 0
; NumSGPRsForWavesPerEU: 6
; NumVGPRsForWavesPerEU: 1
; AccumOffset: 4
; Occupancy: 8
; WaveLimiterHint : 0
; COMPUTE_PGM_RSRC2:SCRATCH_EN: 0
; COMPUTE_PGM_RSRC2:USER_SGPR: 2
; COMPUTE_PGM_RSRC2:TRAP_HANDLER: 0
; COMPUTE_PGM_RSRC2:TGID_X_EN: 1
; COMPUTE_PGM_RSRC2:TGID_Y_EN: 0
; COMPUTE_PGM_RSRC2:TGID_Z_EN: 0
; COMPUTE_PGM_RSRC2:TIDIG_COMP_CNT: 0
; COMPUTE_PGM_RSRC3_GFX90A:ACCUM_OFFSET: 0
; COMPUTE_PGM_RSRC3_GFX90A:TG_SPLIT: 0
	.section	.text._ZN7rocprim17ROCPRIM_400000_NS6detail17trampoline_kernelINS0_14default_configENS1_27scan_by_key_config_selectorIiiEEZZNS1_16scan_by_key_implILNS1_25lookback_scan_determinismE0ELb1ES3_N6thrust23THRUST_200600_302600_NS6detail15normal_iteratorINS9_10device_ptrIiEEEESE_SE_iNS9_4plusIvEENS9_8equal_toIvEEiEE10hipError_tPvRmT2_T3_T4_T5_mT6_T7_P12ihipStream_tbENKUlT_T0_E_clISt17integral_constantIbLb0EESY_IbLb1EEEEDaSU_SV_EUlSU_E_NS1_11comp_targetILNS1_3genE0ELNS1_11target_archE4294967295ELNS1_3gpuE0ELNS1_3repE0EEENS1_30default_config_static_selectorELNS0_4arch9wavefront6targetE1EEEvT1_,"axG",@progbits,_ZN7rocprim17ROCPRIM_400000_NS6detail17trampoline_kernelINS0_14default_configENS1_27scan_by_key_config_selectorIiiEEZZNS1_16scan_by_key_implILNS1_25lookback_scan_determinismE0ELb1ES3_N6thrust23THRUST_200600_302600_NS6detail15normal_iteratorINS9_10device_ptrIiEEEESE_SE_iNS9_4plusIvEENS9_8equal_toIvEEiEE10hipError_tPvRmT2_T3_T4_T5_mT6_T7_P12ihipStream_tbENKUlT_T0_E_clISt17integral_constantIbLb0EESY_IbLb1EEEEDaSU_SV_EUlSU_E_NS1_11comp_targetILNS1_3genE0ELNS1_11target_archE4294967295ELNS1_3gpuE0ELNS1_3repE0EEENS1_30default_config_static_selectorELNS0_4arch9wavefront6targetE1EEEvT1_,comdat
	.protected	_ZN7rocprim17ROCPRIM_400000_NS6detail17trampoline_kernelINS0_14default_configENS1_27scan_by_key_config_selectorIiiEEZZNS1_16scan_by_key_implILNS1_25lookback_scan_determinismE0ELb1ES3_N6thrust23THRUST_200600_302600_NS6detail15normal_iteratorINS9_10device_ptrIiEEEESE_SE_iNS9_4plusIvEENS9_8equal_toIvEEiEE10hipError_tPvRmT2_T3_T4_T5_mT6_T7_P12ihipStream_tbENKUlT_T0_E_clISt17integral_constantIbLb0EESY_IbLb1EEEEDaSU_SV_EUlSU_E_NS1_11comp_targetILNS1_3genE0ELNS1_11target_archE4294967295ELNS1_3gpuE0ELNS1_3repE0EEENS1_30default_config_static_selectorELNS0_4arch9wavefront6targetE1EEEvT1_ ; -- Begin function _ZN7rocprim17ROCPRIM_400000_NS6detail17trampoline_kernelINS0_14default_configENS1_27scan_by_key_config_selectorIiiEEZZNS1_16scan_by_key_implILNS1_25lookback_scan_determinismE0ELb1ES3_N6thrust23THRUST_200600_302600_NS6detail15normal_iteratorINS9_10device_ptrIiEEEESE_SE_iNS9_4plusIvEENS9_8equal_toIvEEiEE10hipError_tPvRmT2_T3_T4_T5_mT6_T7_P12ihipStream_tbENKUlT_T0_E_clISt17integral_constantIbLb0EESY_IbLb1EEEEDaSU_SV_EUlSU_E_NS1_11comp_targetILNS1_3genE0ELNS1_11target_archE4294967295ELNS1_3gpuE0ELNS1_3repE0EEENS1_30default_config_static_selectorELNS0_4arch9wavefront6targetE1EEEvT1_
	.globl	_ZN7rocprim17ROCPRIM_400000_NS6detail17trampoline_kernelINS0_14default_configENS1_27scan_by_key_config_selectorIiiEEZZNS1_16scan_by_key_implILNS1_25lookback_scan_determinismE0ELb1ES3_N6thrust23THRUST_200600_302600_NS6detail15normal_iteratorINS9_10device_ptrIiEEEESE_SE_iNS9_4plusIvEENS9_8equal_toIvEEiEE10hipError_tPvRmT2_T3_T4_T5_mT6_T7_P12ihipStream_tbENKUlT_T0_E_clISt17integral_constantIbLb0EESY_IbLb1EEEEDaSU_SV_EUlSU_E_NS1_11comp_targetILNS1_3genE0ELNS1_11target_archE4294967295ELNS1_3gpuE0ELNS1_3repE0EEENS1_30default_config_static_selectorELNS0_4arch9wavefront6targetE1EEEvT1_
	.p2align	8
	.type	_ZN7rocprim17ROCPRIM_400000_NS6detail17trampoline_kernelINS0_14default_configENS1_27scan_by_key_config_selectorIiiEEZZNS1_16scan_by_key_implILNS1_25lookback_scan_determinismE0ELb1ES3_N6thrust23THRUST_200600_302600_NS6detail15normal_iteratorINS9_10device_ptrIiEEEESE_SE_iNS9_4plusIvEENS9_8equal_toIvEEiEE10hipError_tPvRmT2_T3_T4_T5_mT6_T7_P12ihipStream_tbENKUlT_T0_E_clISt17integral_constantIbLb0EESY_IbLb1EEEEDaSU_SV_EUlSU_E_NS1_11comp_targetILNS1_3genE0ELNS1_11target_archE4294967295ELNS1_3gpuE0ELNS1_3repE0EEENS1_30default_config_static_selectorELNS0_4arch9wavefront6targetE1EEEvT1_,@function
_ZN7rocprim17ROCPRIM_400000_NS6detail17trampoline_kernelINS0_14default_configENS1_27scan_by_key_config_selectorIiiEEZZNS1_16scan_by_key_implILNS1_25lookback_scan_determinismE0ELb1ES3_N6thrust23THRUST_200600_302600_NS6detail15normal_iteratorINS9_10device_ptrIiEEEESE_SE_iNS9_4plusIvEENS9_8equal_toIvEEiEE10hipError_tPvRmT2_T3_T4_T5_mT6_T7_P12ihipStream_tbENKUlT_T0_E_clISt17integral_constantIbLb0EESY_IbLb1EEEEDaSU_SV_EUlSU_E_NS1_11comp_targetILNS1_3genE0ELNS1_11target_archE4294967295ELNS1_3gpuE0ELNS1_3repE0EEENS1_30default_config_static_selectorELNS0_4arch9wavefront6targetE1EEEvT1_: ; @_ZN7rocprim17ROCPRIM_400000_NS6detail17trampoline_kernelINS0_14default_configENS1_27scan_by_key_config_selectorIiiEEZZNS1_16scan_by_key_implILNS1_25lookback_scan_determinismE0ELb1ES3_N6thrust23THRUST_200600_302600_NS6detail15normal_iteratorINS9_10device_ptrIiEEEESE_SE_iNS9_4plusIvEENS9_8equal_toIvEEiEE10hipError_tPvRmT2_T3_T4_T5_mT6_T7_P12ihipStream_tbENKUlT_T0_E_clISt17integral_constantIbLb0EESY_IbLb1EEEEDaSU_SV_EUlSU_E_NS1_11comp_targetILNS1_3genE0ELNS1_11target_archE4294967295ELNS1_3gpuE0ELNS1_3repE0EEENS1_30default_config_static_selectorELNS0_4arch9wavefront6targetE1EEEvT1_
; %bb.0:
	.section	.rodata,"a",@progbits
	.p2align	6, 0x0
	.amdhsa_kernel _ZN7rocprim17ROCPRIM_400000_NS6detail17trampoline_kernelINS0_14default_configENS1_27scan_by_key_config_selectorIiiEEZZNS1_16scan_by_key_implILNS1_25lookback_scan_determinismE0ELb1ES3_N6thrust23THRUST_200600_302600_NS6detail15normal_iteratorINS9_10device_ptrIiEEEESE_SE_iNS9_4plusIvEENS9_8equal_toIvEEiEE10hipError_tPvRmT2_T3_T4_T5_mT6_T7_P12ihipStream_tbENKUlT_T0_E_clISt17integral_constantIbLb0EESY_IbLb1EEEEDaSU_SV_EUlSU_E_NS1_11comp_targetILNS1_3genE0ELNS1_11target_archE4294967295ELNS1_3gpuE0ELNS1_3repE0EEENS1_30default_config_static_selectorELNS0_4arch9wavefront6targetE1EEEvT1_
		.amdhsa_group_segment_fixed_size 0
		.amdhsa_private_segment_fixed_size 0
		.amdhsa_kernarg_size 112
		.amdhsa_user_sgpr_count 2
		.amdhsa_user_sgpr_dispatch_ptr 0
		.amdhsa_user_sgpr_queue_ptr 0
		.amdhsa_user_sgpr_kernarg_segment_ptr 1
		.amdhsa_user_sgpr_dispatch_id 0
		.amdhsa_user_sgpr_kernarg_preload_length 0
		.amdhsa_user_sgpr_kernarg_preload_offset 0
		.amdhsa_user_sgpr_private_segment_size 0
		.amdhsa_uses_dynamic_stack 0
		.amdhsa_enable_private_segment 0
		.amdhsa_system_sgpr_workgroup_id_x 1
		.amdhsa_system_sgpr_workgroup_id_y 0
		.amdhsa_system_sgpr_workgroup_id_z 0
		.amdhsa_system_sgpr_workgroup_info 0
		.amdhsa_system_vgpr_workitem_id 0
		.amdhsa_next_free_vgpr 1
		.amdhsa_next_free_sgpr 0
		.amdhsa_accum_offset 4
		.amdhsa_reserve_vcc 0
		.amdhsa_float_round_mode_32 0
		.amdhsa_float_round_mode_16_64 0
		.amdhsa_float_denorm_mode_32 3
		.amdhsa_float_denorm_mode_16_64 3
		.amdhsa_dx10_clamp 1
		.amdhsa_ieee_mode 1
		.amdhsa_fp16_overflow 0
		.amdhsa_tg_split 0
		.amdhsa_exception_fp_ieee_invalid_op 0
		.amdhsa_exception_fp_denorm_src 0
		.amdhsa_exception_fp_ieee_div_zero 0
		.amdhsa_exception_fp_ieee_overflow 0
		.amdhsa_exception_fp_ieee_underflow 0
		.amdhsa_exception_fp_ieee_inexact 0
		.amdhsa_exception_int_div_zero 0
	.end_amdhsa_kernel
	.section	.text._ZN7rocprim17ROCPRIM_400000_NS6detail17trampoline_kernelINS0_14default_configENS1_27scan_by_key_config_selectorIiiEEZZNS1_16scan_by_key_implILNS1_25lookback_scan_determinismE0ELb1ES3_N6thrust23THRUST_200600_302600_NS6detail15normal_iteratorINS9_10device_ptrIiEEEESE_SE_iNS9_4plusIvEENS9_8equal_toIvEEiEE10hipError_tPvRmT2_T3_T4_T5_mT6_T7_P12ihipStream_tbENKUlT_T0_E_clISt17integral_constantIbLb0EESY_IbLb1EEEEDaSU_SV_EUlSU_E_NS1_11comp_targetILNS1_3genE0ELNS1_11target_archE4294967295ELNS1_3gpuE0ELNS1_3repE0EEENS1_30default_config_static_selectorELNS0_4arch9wavefront6targetE1EEEvT1_,"axG",@progbits,_ZN7rocprim17ROCPRIM_400000_NS6detail17trampoline_kernelINS0_14default_configENS1_27scan_by_key_config_selectorIiiEEZZNS1_16scan_by_key_implILNS1_25lookback_scan_determinismE0ELb1ES3_N6thrust23THRUST_200600_302600_NS6detail15normal_iteratorINS9_10device_ptrIiEEEESE_SE_iNS9_4plusIvEENS9_8equal_toIvEEiEE10hipError_tPvRmT2_T3_T4_T5_mT6_T7_P12ihipStream_tbENKUlT_T0_E_clISt17integral_constantIbLb0EESY_IbLb1EEEEDaSU_SV_EUlSU_E_NS1_11comp_targetILNS1_3genE0ELNS1_11target_archE4294967295ELNS1_3gpuE0ELNS1_3repE0EEENS1_30default_config_static_selectorELNS0_4arch9wavefront6targetE1EEEvT1_,comdat
.Lfunc_end488:
	.size	_ZN7rocprim17ROCPRIM_400000_NS6detail17trampoline_kernelINS0_14default_configENS1_27scan_by_key_config_selectorIiiEEZZNS1_16scan_by_key_implILNS1_25lookback_scan_determinismE0ELb1ES3_N6thrust23THRUST_200600_302600_NS6detail15normal_iteratorINS9_10device_ptrIiEEEESE_SE_iNS9_4plusIvEENS9_8equal_toIvEEiEE10hipError_tPvRmT2_T3_T4_T5_mT6_T7_P12ihipStream_tbENKUlT_T0_E_clISt17integral_constantIbLb0EESY_IbLb1EEEEDaSU_SV_EUlSU_E_NS1_11comp_targetILNS1_3genE0ELNS1_11target_archE4294967295ELNS1_3gpuE0ELNS1_3repE0EEENS1_30default_config_static_selectorELNS0_4arch9wavefront6targetE1EEEvT1_, .Lfunc_end488-_ZN7rocprim17ROCPRIM_400000_NS6detail17trampoline_kernelINS0_14default_configENS1_27scan_by_key_config_selectorIiiEEZZNS1_16scan_by_key_implILNS1_25lookback_scan_determinismE0ELb1ES3_N6thrust23THRUST_200600_302600_NS6detail15normal_iteratorINS9_10device_ptrIiEEEESE_SE_iNS9_4plusIvEENS9_8equal_toIvEEiEE10hipError_tPvRmT2_T3_T4_T5_mT6_T7_P12ihipStream_tbENKUlT_T0_E_clISt17integral_constantIbLb0EESY_IbLb1EEEEDaSU_SV_EUlSU_E_NS1_11comp_targetILNS1_3genE0ELNS1_11target_archE4294967295ELNS1_3gpuE0ELNS1_3repE0EEENS1_30default_config_static_selectorELNS0_4arch9wavefront6targetE1EEEvT1_
                                        ; -- End function
	.section	.AMDGPU.csdata,"",@progbits
; Kernel info:
; codeLenInByte = 0
; NumSgprs: 6
; NumVgprs: 0
; NumAgprs: 0
; TotalNumVgprs: 0
; ScratchSize: 0
; MemoryBound: 0
; FloatMode: 240
; IeeeMode: 1
; LDSByteSize: 0 bytes/workgroup (compile time only)
; SGPRBlocks: 0
; VGPRBlocks: 0
; NumSGPRsForWavesPerEU: 6
; NumVGPRsForWavesPerEU: 1
; AccumOffset: 4
; Occupancy: 8
; WaveLimiterHint : 0
; COMPUTE_PGM_RSRC2:SCRATCH_EN: 0
; COMPUTE_PGM_RSRC2:USER_SGPR: 2
; COMPUTE_PGM_RSRC2:TRAP_HANDLER: 0
; COMPUTE_PGM_RSRC2:TGID_X_EN: 1
; COMPUTE_PGM_RSRC2:TGID_Y_EN: 0
; COMPUTE_PGM_RSRC2:TGID_Z_EN: 0
; COMPUTE_PGM_RSRC2:TIDIG_COMP_CNT: 0
; COMPUTE_PGM_RSRC3_GFX90A:ACCUM_OFFSET: 0
; COMPUTE_PGM_RSRC3_GFX90A:TG_SPLIT: 0
	.section	.text._ZN7rocprim17ROCPRIM_400000_NS6detail17trampoline_kernelINS0_14default_configENS1_27scan_by_key_config_selectorIiiEEZZNS1_16scan_by_key_implILNS1_25lookback_scan_determinismE0ELb1ES3_N6thrust23THRUST_200600_302600_NS6detail15normal_iteratorINS9_10device_ptrIiEEEESE_SE_iNS9_4plusIvEENS9_8equal_toIvEEiEE10hipError_tPvRmT2_T3_T4_T5_mT6_T7_P12ihipStream_tbENKUlT_T0_E_clISt17integral_constantIbLb0EESY_IbLb1EEEEDaSU_SV_EUlSU_E_NS1_11comp_targetILNS1_3genE10ELNS1_11target_archE1201ELNS1_3gpuE5ELNS1_3repE0EEENS1_30default_config_static_selectorELNS0_4arch9wavefront6targetE1EEEvT1_,"axG",@progbits,_ZN7rocprim17ROCPRIM_400000_NS6detail17trampoline_kernelINS0_14default_configENS1_27scan_by_key_config_selectorIiiEEZZNS1_16scan_by_key_implILNS1_25lookback_scan_determinismE0ELb1ES3_N6thrust23THRUST_200600_302600_NS6detail15normal_iteratorINS9_10device_ptrIiEEEESE_SE_iNS9_4plusIvEENS9_8equal_toIvEEiEE10hipError_tPvRmT2_T3_T4_T5_mT6_T7_P12ihipStream_tbENKUlT_T0_E_clISt17integral_constantIbLb0EESY_IbLb1EEEEDaSU_SV_EUlSU_E_NS1_11comp_targetILNS1_3genE10ELNS1_11target_archE1201ELNS1_3gpuE5ELNS1_3repE0EEENS1_30default_config_static_selectorELNS0_4arch9wavefront6targetE1EEEvT1_,comdat
	.protected	_ZN7rocprim17ROCPRIM_400000_NS6detail17trampoline_kernelINS0_14default_configENS1_27scan_by_key_config_selectorIiiEEZZNS1_16scan_by_key_implILNS1_25lookback_scan_determinismE0ELb1ES3_N6thrust23THRUST_200600_302600_NS6detail15normal_iteratorINS9_10device_ptrIiEEEESE_SE_iNS9_4plusIvEENS9_8equal_toIvEEiEE10hipError_tPvRmT2_T3_T4_T5_mT6_T7_P12ihipStream_tbENKUlT_T0_E_clISt17integral_constantIbLb0EESY_IbLb1EEEEDaSU_SV_EUlSU_E_NS1_11comp_targetILNS1_3genE10ELNS1_11target_archE1201ELNS1_3gpuE5ELNS1_3repE0EEENS1_30default_config_static_selectorELNS0_4arch9wavefront6targetE1EEEvT1_ ; -- Begin function _ZN7rocprim17ROCPRIM_400000_NS6detail17trampoline_kernelINS0_14default_configENS1_27scan_by_key_config_selectorIiiEEZZNS1_16scan_by_key_implILNS1_25lookback_scan_determinismE0ELb1ES3_N6thrust23THRUST_200600_302600_NS6detail15normal_iteratorINS9_10device_ptrIiEEEESE_SE_iNS9_4plusIvEENS9_8equal_toIvEEiEE10hipError_tPvRmT2_T3_T4_T5_mT6_T7_P12ihipStream_tbENKUlT_T0_E_clISt17integral_constantIbLb0EESY_IbLb1EEEEDaSU_SV_EUlSU_E_NS1_11comp_targetILNS1_3genE10ELNS1_11target_archE1201ELNS1_3gpuE5ELNS1_3repE0EEENS1_30default_config_static_selectorELNS0_4arch9wavefront6targetE1EEEvT1_
	.globl	_ZN7rocprim17ROCPRIM_400000_NS6detail17trampoline_kernelINS0_14default_configENS1_27scan_by_key_config_selectorIiiEEZZNS1_16scan_by_key_implILNS1_25lookback_scan_determinismE0ELb1ES3_N6thrust23THRUST_200600_302600_NS6detail15normal_iteratorINS9_10device_ptrIiEEEESE_SE_iNS9_4plusIvEENS9_8equal_toIvEEiEE10hipError_tPvRmT2_T3_T4_T5_mT6_T7_P12ihipStream_tbENKUlT_T0_E_clISt17integral_constantIbLb0EESY_IbLb1EEEEDaSU_SV_EUlSU_E_NS1_11comp_targetILNS1_3genE10ELNS1_11target_archE1201ELNS1_3gpuE5ELNS1_3repE0EEENS1_30default_config_static_selectorELNS0_4arch9wavefront6targetE1EEEvT1_
	.p2align	8
	.type	_ZN7rocprim17ROCPRIM_400000_NS6detail17trampoline_kernelINS0_14default_configENS1_27scan_by_key_config_selectorIiiEEZZNS1_16scan_by_key_implILNS1_25lookback_scan_determinismE0ELb1ES3_N6thrust23THRUST_200600_302600_NS6detail15normal_iteratorINS9_10device_ptrIiEEEESE_SE_iNS9_4plusIvEENS9_8equal_toIvEEiEE10hipError_tPvRmT2_T3_T4_T5_mT6_T7_P12ihipStream_tbENKUlT_T0_E_clISt17integral_constantIbLb0EESY_IbLb1EEEEDaSU_SV_EUlSU_E_NS1_11comp_targetILNS1_3genE10ELNS1_11target_archE1201ELNS1_3gpuE5ELNS1_3repE0EEENS1_30default_config_static_selectorELNS0_4arch9wavefront6targetE1EEEvT1_,@function
_ZN7rocprim17ROCPRIM_400000_NS6detail17trampoline_kernelINS0_14default_configENS1_27scan_by_key_config_selectorIiiEEZZNS1_16scan_by_key_implILNS1_25lookback_scan_determinismE0ELb1ES3_N6thrust23THRUST_200600_302600_NS6detail15normal_iteratorINS9_10device_ptrIiEEEESE_SE_iNS9_4plusIvEENS9_8equal_toIvEEiEE10hipError_tPvRmT2_T3_T4_T5_mT6_T7_P12ihipStream_tbENKUlT_T0_E_clISt17integral_constantIbLb0EESY_IbLb1EEEEDaSU_SV_EUlSU_E_NS1_11comp_targetILNS1_3genE10ELNS1_11target_archE1201ELNS1_3gpuE5ELNS1_3repE0EEENS1_30default_config_static_selectorELNS0_4arch9wavefront6targetE1EEEvT1_: ; @_ZN7rocprim17ROCPRIM_400000_NS6detail17trampoline_kernelINS0_14default_configENS1_27scan_by_key_config_selectorIiiEEZZNS1_16scan_by_key_implILNS1_25lookback_scan_determinismE0ELb1ES3_N6thrust23THRUST_200600_302600_NS6detail15normal_iteratorINS9_10device_ptrIiEEEESE_SE_iNS9_4plusIvEENS9_8equal_toIvEEiEE10hipError_tPvRmT2_T3_T4_T5_mT6_T7_P12ihipStream_tbENKUlT_T0_E_clISt17integral_constantIbLb0EESY_IbLb1EEEEDaSU_SV_EUlSU_E_NS1_11comp_targetILNS1_3genE10ELNS1_11target_archE1201ELNS1_3gpuE5ELNS1_3repE0EEENS1_30default_config_static_selectorELNS0_4arch9wavefront6targetE1EEEvT1_
; %bb.0:
	.section	.rodata,"a",@progbits
	.p2align	6, 0x0
	.amdhsa_kernel _ZN7rocprim17ROCPRIM_400000_NS6detail17trampoline_kernelINS0_14default_configENS1_27scan_by_key_config_selectorIiiEEZZNS1_16scan_by_key_implILNS1_25lookback_scan_determinismE0ELb1ES3_N6thrust23THRUST_200600_302600_NS6detail15normal_iteratorINS9_10device_ptrIiEEEESE_SE_iNS9_4plusIvEENS9_8equal_toIvEEiEE10hipError_tPvRmT2_T3_T4_T5_mT6_T7_P12ihipStream_tbENKUlT_T0_E_clISt17integral_constantIbLb0EESY_IbLb1EEEEDaSU_SV_EUlSU_E_NS1_11comp_targetILNS1_3genE10ELNS1_11target_archE1201ELNS1_3gpuE5ELNS1_3repE0EEENS1_30default_config_static_selectorELNS0_4arch9wavefront6targetE1EEEvT1_
		.amdhsa_group_segment_fixed_size 0
		.amdhsa_private_segment_fixed_size 0
		.amdhsa_kernarg_size 112
		.amdhsa_user_sgpr_count 2
		.amdhsa_user_sgpr_dispatch_ptr 0
		.amdhsa_user_sgpr_queue_ptr 0
		.amdhsa_user_sgpr_kernarg_segment_ptr 1
		.amdhsa_user_sgpr_dispatch_id 0
		.amdhsa_user_sgpr_kernarg_preload_length 0
		.amdhsa_user_sgpr_kernarg_preload_offset 0
		.amdhsa_user_sgpr_private_segment_size 0
		.amdhsa_uses_dynamic_stack 0
		.amdhsa_enable_private_segment 0
		.amdhsa_system_sgpr_workgroup_id_x 1
		.amdhsa_system_sgpr_workgroup_id_y 0
		.amdhsa_system_sgpr_workgroup_id_z 0
		.amdhsa_system_sgpr_workgroup_info 0
		.amdhsa_system_vgpr_workitem_id 0
		.amdhsa_next_free_vgpr 1
		.amdhsa_next_free_sgpr 0
		.amdhsa_accum_offset 4
		.amdhsa_reserve_vcc 0
		.amdhsa_float_round_mode_32 0
		.amdhsa_float_round_mode_16_64 0
		.amdhsa_float_denorm_mode_32 3
		.amdhsa_float_denorm_mode_16_64 3
		.amdhsa_dx10_clamp 1
		.amdhsa_ieee_mode 1
		.amdhsa_fp16_overflow 0
		.amdhsa_tg_split 0
		.amdhsa_exception_fp_ieee_invalid_op 0
		.amdhsa_exception_fp_denorm_src 0
		.amdhsa_exception_fp_ieee_div_zero 0
		.amdhsa_exception_fp_ieee_overflow 0
		.amdhsa_exception_fp_ieee_underflow 0
		.amdhsa_exception_fp_ieee_inexact 0
		.amdhsa_exception_int_div_zero 0
	.end_amdhsa_kernel
	.section	.text._ZN7rocprim17ROCPRIM_400000_NS6detail17trampoline_kernelINS0_14default_configENS1_27scan_by_key_config_selectorIiiEEZZNS1_16scan_by_key_implILNS1_25lookback_scan_determinismE0ELb1ES3_N6thrust23THRUST_200600_302600_NS6detail15normal_iteratorINS9_10device_ptrIiEEEESE_SE_iNS9_4plusIvEENS9_8equal_toIvEEiEE10hipError_tPvRmT2_T3_T4_T5_mT6_T7_P12ihipStream_tbENKUlT_T0_E_clISt17integral_constantIbLb0EESY_IbLb1EEEEDaSU_SV_EUlSU_E_NS1_11comp_targetILNS1_3genE10ELNS1_11target_archE1201ELNS1_3gpuE5ELNS1_3repE0EEENS1_30default_config_static_selectorELNS0_4arch9wavefront6targetE1EEEvT1_,"axG",@progbits,_ZN7rocprim17ROCPRIM_400000_NS6detail17trampoline_kernelINS0_14default_configENS1_27scan_by_key_config_selectorIiiEEZZNS1_16scan_by_key_implILNS1_25lookback_scan_determinismE0ELb1ES3_N6thrust23THRUST_200600_302600_NS6detail15normal_iteratorINS9_10device_ptrIiEEEESE_SE_iNS9_4plusIvEENS9_8equal_toIvEEiEE10hipError_tPvRmT2_T3_T4_T5_mT6_T7_P12ihipStream_tbENKUlT_T0_E_clISt17integral_constantIbLb0EESY_IbLb1EEEEDaSU_SV_EUlSU_E_NS1_11comp_targetILNS1_3genE10ELNS1_11target_archE1201ELNS1_3gpuE5ELNS1_3repE0EEENS1_30default_config_static_selectorELNS0_4arch9wavefront6targetE1EEEvT1_,comdat
.Lfunc_end489:
	.size	_ZN7rocprim17ROCPRIM_400000_NS6detail17trampoline_kernelINS0_14default_configENS1_27scan_by_key_config_selectorIiiEEZZNS1_16scan_by_key_implILNS1_25lookback_scan_determinismE0ELb1ES3_N6thrust23THRUST_200600_302600_NS6detail15normal_iteratorINS9_10device_ptrIiEEEESE_SE_iNS9_4plusIvEENS9_8equal_toIvEEiEE10hipError_tPvRmT2_T3_T4_T5_mT6_T7_P12ihipStream_tbENKUlT_T0_E_clISt17integral_constantIbLb0EESY_IbLb1EEEEDaSU_SV_EUlSU_E_NS1_11comp_targetILNS1_3genE10ELNS1_11target_archE1201ELNS1_3gpuE5ELNS1_3repE0EEENS1_30default_config_static_selectorELNS0_4arch9wavefront6targetE1EEEvT1_, .Lfunc_end489-_ZN7rocprim17ROCPRIM_400000_NS6detail17trampoline_kernelINS0_14default_configENS1_27scan_by_key_config_selectorIiiEEZZNS1_16scan_by_key_implILNS1_25lookback_scan_determinismE0ELb1ES3_N6thrust23THRUST_200600_302600_NS6detail15normal_iteratorINS9_10device_ptrIiEEEESE_SE_iNS9_4plusIvEENS9_8equal_toIvEEiEE10hipError_tPvRmT2_T3_T4_T5_mT6_T7_P12ihipStream_tbENKUlT_T0_E_clISt17integral_constantIbLb0EESY_IbLb1EEEEDaSU_SV_EUlSU_E_NS1_11comp_targetILNS1_3genE10ELNS1_11target_archE1201ELNS1_3gpuE5ELNS1_3repE0EEENS1_30default_config_static_selectorELNS0_4arch9wavefront6targetE1EEEvT1_
                                        ; -- End function
	.section	.AMDGPU.csdata,"",@progbits
; Kernel info:
; codeLenInByte = 0
; NumSgprs: 6
; NumVgprs: 0
; NumAgprs: 0
; TotalNumVgprs: 0
; ScratchSize: 0
; MemoryBound: 0
; FloatMode: 240
; IeeeMode: 1
; LDSByteSize: 0 bytes/workgroup (compile time only)
; SGPRBlocks: 0
; VGPRBlocks: 0
; NumSGPRsForWavesPerEU: 6
; NumVGPRsForWavesPerEU: 1
; AccumOffset: 4
; Occupancy: 8
; WaveLimiterHint : 0
; COMPUTE_PGM_RSRC2:SCRATCH_EN: 0
; COMPUTE_PGM_RSRC2:USER_SGPR: 2
; COMPUTE_PGM_RSRC2:TRAP_HANDLER: 0
; COMPUTE_PGM_RSRC2:TGID_X_EN: 1
; COMPUTE_PGM_RSRC2:TGID_Y_EN: 0
; COMPUTE_PGM_RSRC2:TGID_Z_EN: 0
; COMPUTE_PGM_RSRC2:TIDIG_COMP_CNT: 0
; COMPUTE_PGM_RSRC3_GFX90A:ACCUM_OFFSET: 0
; COMPUTE_PGM_RSRC3_GFX90A:TG_SPLIT: 0
	.section	.text._ZN7rocprim17ROCPRIM_400000_NS6detail17trampoline_kernelINS0_14default_configENS1_27scan_by_key_config_selectorIiiEEZZNS1_16scan_by_key_implILNS1_25lookback_scan_determinismE0ELb1ES3_N6thrust23THRUST_200600_302600_NS6detail15normal_iteratorINS9_10device_ptrIiEEEESE_SE_iNS9_4plusIvEENS9_8equal_toIvEEiEE10hipError_tPvRmT2_T3_T4_T5_mT6_T7_P12ihipStream_tbENKUlT_T0_E_clISt17integral_constantIbLb0EESY_IbLb1EEEEDaSU_SV_EUlSU_E_NS1_11comp_targetILNS1_3genE5ELNS1_11target_archE942ELNS1_3gpuE9ELNS1_3repE0EEENS1_30default_config_static_selectorELNS0_4arch9wavefront6targetE1EEEvT1_,"axG",@progbits,_ZN7rocprim17ROCPRIM_400000_NS6detail17trampoline_kernelINS0_14default_configENS1_27scan_by_key_config_selectorIiiEEZZNS1_16scan_by_key_implILNS1_25lookback_scan_determinismE0ELb1ES3_N6thrust23THRUST_200600_302600_NS6detail15normal_iteratorINS9_10device_ptrIiEEEESE_SE_iNS9_4plusIvEENS9_8equal_toIvEEiEE10hipError_tPvRmT2_T3_T4_T5_mT6_T7_P12ihipStream_tbENKUlT_T0_E_clISt17integral_constantIbLb0EESY_IbLb1EEEEDaSU_SV_EUlSU_E_NS1_11comp_targetILNS1_3genE5ELNS1_11target_archE942ELNS1_3gpuE9ELNS1_3repE0EEENS1_30default_config_static_selectorELNS0_4arch9wavefront6targetE1EEEvT1_,comdat
	.protected	_ZN7rocprim17ROCPRIM_400000_NS6detail17trampoline_kernelINS0_14default_configENS1_27scan_by_key_config_selectorIiiEEZZNS1_16scan_by_key_implILNS1_25lookback_scan_determinismE0ELb1ES3_N6thrust23THRUST_200600_302600_NS6detail15normal_iteratorINS9_10device_ptrIiEEEESE_SE_iNS9_4plusIvEENS9_8equal_toIvEEiEE10hipError_tPvRmT2_T3_T4_T5_mT6_T7_P12ihipStream_tbENKUlT_T0_E_clISt17integral_constantIbLb0EESY_IbLb1EEEEDaSU_SV_EUlSU_E_NS1_11comp_targetILNS1_3genE5ELNS1_11target_archE942ELNS1_3gpuE9ELNS1_3repE0EEENS1_30default_config_static_selectorELNS0_4arch9wavefront6targetE1EEEvT1_ ; -- Begin function _ZN7rocprim17ROCPRIM_400000_NS6detail17trampoline_kernelINS0_14default_configENS1_27scan_by_key_config_selectorIiiEEZZNS1_16scan_by_key_implILNS1_25lookback_scan_determinismE0ELb1ES3_N6thrust23THRUST_200600_302600_NS6detail15normal_iteratorINS9_10device_ptrIiEEEESE_SE_iNS9_4plusIvEENS9_8equal_toIvEEiEE10hipError_tPvRmT2_T3_T4_T5_mT6_T7_P12ihipStream_tbENKUlT_T0_E_clISt17integral_constantIbLb0EESY_IbLb1EEEEDaSU_SV_EUlSU_E_NS1_11comp_targetILNS1_3genE5ELNS1_11target_archE942ELNS1_3gpuE9ELNS1_3repE0EEENS1_30default_config_static_selectorELNS0_4arch9wavefront6targetE1EEEvT1_
	.globl	_ZN7rocprim17ROCPRIM_400000_NS6detail17trampoline_kernelINS0_14default_configENS1_27scan_by_key_config_selectorIiiEEZZNS1_16scan_by_key_implILNS1_25lookback_scan_determinismE0ELb1ES3_N6thrust23THRUST_200600_302600_NS6detail15normal_iteratorINS9_10device_ptrIiEEEESE_SE_iNS9_4plusIvEENS9_8equal_toIvEEiEE10hipError_tPvRmT2_T3_T4_T5_mT6_T7_P12ihipStream_tbENKUlT_T0_E_clISt17integral_constantIbLb0EESY_IbLb1EEEEDaSU_SV_EUlSU_E_NS1_11comp_targetILNS1_3genE5ELNS1_11target_archE942ELNS1_3gpuE9ELNS1_3repE0EEENS1_30default_config_static_selectorELNS0_4arch9wavefront6targetE1EEEvT1_
	.p2align	8
	.type	_ZN7rocprim17ROCPRIM_400000_NS6detail17trampoline_kernelINS0_14default_configENS1_27scan_by_key_config_selectorIiiEEZZNS1_16scan_by_key_implILNS1_25lookback_scan_determinismE0ELb1ES3_N6thrust23THRUST_200600_302600_NS6detail15normal_iteratorINS9_10device_ptrIiEEEESE_SE_iNS9_4plusIvEENS9_8equal_toIvEEiEE10hipError_tPvRmT2_T3_T4_T5_mT6_T7_P12ihipStream_tbENKUlT_T0_E_clISt17integral_constantIbLb0EESY_IbLb1EEEEDaSU_SV_EUlSU_E_NS1_11comp_targetILNS1_3genE5ELNS1_11target_archE942ELNS1_3gpuE9ELNS1_3repE0EEENS1_30default_config_static_selectorELNS0_4arch9wavefront6targetE1EEEvT1_,@function
_ZN7rocprim17ROCPRIM_400000_NS6detail17trampoline_kernelINS0_14default_configENS1_27scan_by_key_config_selectorIiiEEZZNS1_16scan_by_key_implILNS1_25lookback_scan_determinismE0ELb1ES3_N6thrust23THRUST_200600_302600_NS6detail15normal_iteratorINS9_10device_ptrIiEEEESE_SE_iNS9_4plusIvEENS9_8equal_toIvEEiEE10hipError_tPvRmT2_T3_T4_T5_mT6_T7_P12ihipStream_tbENKUlT_T0_E_clISt17integral_constantIbLb0EESY_IbLb1EEEEDaSU_SV_EUlSU_E_NS1_11comp_targetILNS1_3genE5ELNS1_11target_archE942ELNS1_3gpuE9ELNS1_3repE0EEENS1_30default_config_static_selectorELNS0_4arch9wavefront6targetE1EEEvT1_: ; @_ZN7rocprim17ROCPRIM_400000_NS6detail17trampoline_kernelINS0_14default_configENS1_27scan_by_key_config_selectorIiiEEZZNS1_16scan_by_key_implILNS1_25lookback_scan_determinismE0ELb1ES3_N6thrust23THRUST_200600_302600_NS6detail15normal_iteratorINS9_10device_ptrIiEEEESE_SE_iNS9_4plusIvEENS9_8equal_toIvEEiEE10hipError_tPvRmT2_T3_T4_T5_mT6_T7_P12ihipStream_tbENKUlT_T0_E_clISt17integral_constantIbLb0EESY_IbLb1EEEEDaSU_SV_EUlSU_E_NS1_11comp_targetILNS1_3genE5ELNS1_11target_archE942ELNS1_3gpuE9ELNS1_3repE0EEENS1_30default_config_static_selectorELNS0_4arch9wavefront6targetE1EEEvT1_
; %bb.0:
	s_load_dword s74, s[0:1], 0x20
	s_load_dwordx4 s[64:67], s[0:1], 0x28
	s_load_dwordx2 s[72:73], s[0:1], 0x38
	v_cmp_ne_u32_e64 s[4:5], 0, v0
	v_cmp_eq_u32_e64 s[52:53], 0, v0
	s_and_saveexec_b64 s[2:3], s[52:53]
	s_cbranch_execz .LBB490_4
; %bb.1:
	s_mov_b64 s[8:9], exec
	v_mbcnt_lo_u32_b32 v1, s8, 0
	v_mbcnt_hi_u32_b32 v1, s9, v1
	v_cmp_eq_u32_e32 vcc, 0, v1
                                        ; implicit-def: $vgpr2
	s_and_saveexec_b64 s[6:7], vcc
	s_cbranch_execz .LBB490_3
; %bb.2:
	s_load_dwordx2 s[10:11], s[0:1], 0x68
	s_bcnt1_i32_b64 s8, s[8:9]
	v_mov_b32_e32 v2, 0
	v_mov_b32_e32 v3, s8
	s_waitcnt lgkmcnt(0)
	global_atomic_add v2, v2, v3, s[10:11] sc0
.LBB490_3:
	s_or_b64 exec, exec, s[6:7]
	s_waitcnt vmcnt(0)
	v_readfirstlane_b32 s6, v2
	v_mov_b32_e32 v2, 0
	s_nop 0
	v_add_u32_e32 v1, s6, v1
	ds_write_b32 v2, v1
.LBB490_4:
	s_or_b64 exec, exec, s[2:3]
	s_load_dwordx8 s[56:63], s[0:1], 0x0
	s_load_dword s2, s[0:1], 0x40
	s_load_dwordx4 s[68:71], s[0:1], 0x48
	v_mov_b32_e32 v7, 0
	s_waitcnt lgkmcnt(0)
	s_lshl_b64 s[54:55], s[58:59], 2
	s_barrier
	ds_read_b32 v6, v7
	s_add_u32 s0, s56, s54
	s_addc_u32 s1, s57, s55
	s_add_u32 s6, s60, s54
	s_mul_i32 s3, s73, s2
	s_mul_hi_u32 s8, s72, s2
	s_addc_u32 s7, s61, s55
	s_add_i32 s3, s8, s3
	s_movk_i32 s8, 0x1700
	s_waitcnt lgkmcnt(0)
	v_mul_lo_u32 v2, v6, s8
	v_mov_b32_e32 v3, v7
	v_lshlrev_b64 v[10:11], 2, v[2:3]
	s_mul_i32 s2, s72, s2
	v_lshl_add_u64 v[2:3], s[6:7], 0, v[10:11]
	s_add_u32 s6, s68, -1
	v_readfirstlane_b32 s67, v6
	v_lshl_add_u64 v[6:7], s[2:3], 0, v[6:7]
	s_addc_u32 s7, s69, -1
	v_cmp_le_u64_e64 s[2:3], s[6:7], v[6:7]
	v_lshl_add_u64 v[4:5], s[0:1], 0, v[10:11]
	s_mov_b64 s[0:1], -1
	s_and_b64 vcc, exec, s[2:3]
	s_mul_i32 s33, s6, 0xffffe900
	s_barrier
	s_barrier
	s_cbranch_vccz .LBB490_75
; %bb.5:
	flat_load_dword v1, v[4:5]
	s_add_i32 s60, s33, s66
	v_cmp_gt_u32_e32 vcc, s60, v0
	s_waitcnt vmcnt(0) lgkmcnt(0)
	v_mov_b32_e32 v8, v1
	s_and_saveexec_b64 s[0:1], vcc
	s_cbranch_execz .LBB490_7
; %bb.6:
	v_lshlrev_b32_e32 v6, 2, v0
	v_mov_b32_e32 v7, 0
	v_lshl_add_u64 v[6:7], v[4:5], 0, v[6:7]
	flat_load_dword v8, v[6:7]
.LBB490_7:
	s_or_b64 exec, exec, s[0:1]
	v_or_b32_e32 v6, 0x100, v0
	v_cmp_gt_u32_e64 s[6:7], s60, v6
	v_mov_b32_e32 v9, v1
	s_and_saveexec_b64 s[0:1], s[6:7]
	s_cbranch_execz .LBB490_9
; %bb.8:
	v_lshlrev_b32_e32 v6, 2, v0
	v_mov_b32_e32 v7, 0
	v_lshl_add_u64 v[6:7], v[4:5], 0, v[6:7]
	flat_load_dword v9, v[6:7] offset:1024
.LBB490_9:
	s_or_b64 exec, exec, s[0:1]
	v_or_b32_e32 v6, 0x200, v0
	v_cmp_gt_u32_e64 s[8:9], s60, v6
	v_mov_b32_e32 v49, v1
	s_and_saveexec_b64 s[0:1], s[8:9]
	s_cbranch_execz .LBB490_11
; %bb.10:
	v_lshlrev_b32_e32 v6, 2, v0
	v_mov_b32_e32 v7, 0
	v_lshl_add_u64 v[6:7], v[4:5], 0, v[6:7]
	flat_load_dword v49, v[6:7] offset:2048
.LBB490_11:
	;; [unrolled: 12-line block ×3, first 2 shown]
	s_or_b64 exec, exec, s[0:1]
	v_or_b32_e32 v6, 0x400, v0
	v_cmp_gt_u32_e64 s[12:13], s60, v6
	v_lshlrev_b32_e32 v6, 2, v6
	v_mov_b32_e32 v7, v1
	s_and_saveexec_b64 s[0:1], s[12:13]
	s_cbranch_execz .LBB490_15
; %bb.14:
	v_mov_b32_e32 v7, 0
	v_lshl_add_u64 v[12:13], v[4:5], 0, v[6:7]
	flat_load_dword v7, v[12:13]
.LBB490_15:
	s_or_b64 exec, exec, s[0:1]
	v_or_b32_e32 v12, 0x500, v0
	v_cmp_gt_u32_e64 s[14:15], s60, v12
	v_lshlrev_b32_e32 v12, 2, v12
	v_mov_b32_e32 v13, v1
	s_and_saveexec_b64 s[0:1], s[14:15]
	s_cbranch_execz .LBB490_17
; %bb.16:
	v_mov_b32_e32 v13, 0
	v_lshl_add_u64 v[14:15], v[4:5], 0, v[12:13]
	flat_load_dword v13, v[14:15]
.LBB490_17:
	;; [unrolled: 12-line block ×18, first 2 shown]
	s_or_b64 exec, exec, s[0:1]
	v_or_b32_e32 v46, 0x1600, v0
	v_cmp_gt_u32_e64 s[50:51], s60, v46
	v_lshlrev_b32_e32 v46, 2, v46
	s_and_saveexec_b64 s[0:1], s[50:51]
	s_cbranch_execz .LBB490_51
; %bb.50:
	v_mov_b32_e32 v47, 0
	v_lshl_add_u64 v[52:53], v[4:5], 0, v[46:47]
	flat_load_dword v1, v[52:53]
.LBB490_51:
	s_or_b64 exec, exec, s[0:1]
	v_lshlrev_b32_e32 v48, 2, v0
	s_waitcnt vmcnt(0) lgkmcnt(0)
	ds_write2st64_b32 v48, v8, v9 offset1:4
	ds_write2st64_b32 v48, v49, v50 offset0:8 offset1:12
	ds_write2st64_b32 v48, v7, v13 offset0:16 offset1:20
	;; [unrolled: 1-line block ×10, first 2 shown]
	ds_write_b32 v48, v1 offset:22528
	s_waitcnt lgkmcnt(0)
	s_barrier
	flat_load_dword v1, v[4:5]
	s_movk_i32 s0, 0x58
	v_mad_u32_u24 v76, v0, s0, v48
	s_movk_i32 s0, 0xffa8
	v_mad_i32_i24 v7, v0, s0, v76
	s_movk_i32 s0, 0xff
	v_cmp_ne_u32_e64 s[0:1], s0, v0
	ds_read_b32 v78, v76
	ds_read2_b32 v[74:75], v76 offset0:1 offset1:2
	ds_read2_b32 v[72:73], v76 offset0:3 offset1:4
	;; [unrolled: 1-line block ×11, first 2 shown]
	s_waitcnt lgkmcnt(0)
	ds_write_b32 v7, v78 offset:24576
	s_waitcnt lgkmcnt(0)
	s_barrier
	s_and_saveexec_b64 s[56:57], s[0:1]
	s_cbranch_execz .LBB490_53
; %bb.52:
	s_waitcnt vmcnt(0)
	ds_read_b32 v1, v48 offset:24580
.LBB490_53:
	s_or_b64 exec, exec, s[56:57]
	v_mov_b32_e32 v49, 0
	s_waitcnt lgkmcnt(0)
	s_barrier
	s_waitcnt lgkmcnt(0)
                                        ; implicit-def: $vgpr50
	s_and_saveexec_b64 s[0:1], vcc
	s_cbranch_execz .LBB490_76
; %bb.54:
	v_lshl_add_u64 v[50:51], v[2:3], 0, v[48:49]
	flat_load_dword v50, v[50:51]
	s_or_b64 exec, exec, s[0:1]
                                        ; implicit-def: $vgpr51
	s_and_saveexec_b64 s[0:1], s[6:7]
	s_cbranch_execnz .LBB490_77
.LBB490_55:
	s_or_b64 exec, exec, s[0:1]
                                        ; implicit-def: $vgpr52
	s_and_saveexec_b64 s[0:1], s[8:9]
	s_cbranch_execz .LBB490_78
.LBB490_56:
	v_mov_b32_e32 v49, 0
	v_lshl_add_u64 v[52:53], v[2:3], 0, v[48:49]
	flat_load_dword v52, v[52:53] offset:2048
	s_or_b64 exec, exec, s[0:1]
                                        ; implicit-def: $vgpr49
	s_and_saveexec_b64 s[0:1], s[10:11]
	s_cbranch_execnz .LBB490_79
.LBB490_57:
	s_or_b64 exec, exec, s[0:1]
                                        ; implicit-def: $vgpr7
	s_and_saveexec_b64 s[0:1], s[12:13]
	s_cbranch_execz .LBB490_80
.LBB490_58:
	v_mov_b32_e32 v7, 0
	v_lshl_add_u64 v[6:7], v[2:3], 0, v[6:7]
	flat_load_dword v7, v[6:7]
	s_or_b64 exec, exec, s[0:1]
                                        ; implicit-def: $vgpr6
	s_and_saveexec_b64 s[0:1], s[14:15]
	s_cbranch_execnz .LBB490_81
.LBB490_59:
	s_or_b64 exec, exec, s[0:1]
                                        ; implicit-def: $vgpr12
	s_and_saveexec_b64 s[0:1], s[16:17]
	s_cbranch_execz .LBB490_82
.LBB490_60:
	v_mov_b32_e32 v15, 0
	v_lshl_add_u64 v[12:13], v[2:3], 0, v[14:15]
	flat_load_dword v12, v[12:13]
	s_or_b64 exec, exec, s[0:1]
                                        ; implicit-def: $vgpr13
	s_and_saveexec_b64 s[0:1], s[18:19]
	s_cbranch_execnz .LBB490_83
.LBB490_61:
	s_or_b64 exec, exec, s[0:1]
                                        ; implicit-def: $vgpr14
	s_and_saveexec_b64 s[0:1], s[20:21]
	s_cbranch_execz .LBB490_84
.LBB490_62:
	v_mov_b32_e32 v19, 0
	v_lshl_add_u64 v[14:15], v[2:3], 0, v[18:19]
	flat_load_dword v14, v[14:15]
	s_or_b64 exec, exec, s[0:1]
                                        ; implicit-def: $vgpr15
	s_and_saveexec_b64 s[0:1], s[22:23]
	s_cbranch_execnz .LBB490_85
.LBB490_63:
	s_or_b64 exec, exec, s[0:1]
                                        ; implicit-def: $vgpr16
	s_and_saveexec_b64 s[0:1], s[24:25]
	s_cbranch_execz .LBB490_86
.LBB490_64:
	v_mov_b32_e32 v23, 0
	v_lshl_add_u64 v[16:17], v[2:3], 0, v[22:23]
	flat_load_dword v16, v[16:17]
	s_or_b64 exec, exec, s[0:1]
                                        ; implicit-def: $vgpr17
	s_and_saveexec_b64 s[0:1], s[26:27]
	s_cbranch_execnz .LBB490_87
.LBB490_65:
	s_or_b64 exec, exec, s[0:1]
                                        ; implicit-def: $vgpr18
	s_and_saveexec_b64 s[0:1], s[28:29]
	s_cbranch_execz .LBB490_88
.LBB490_66:
	v_mov_b32_e32 v27, 0
	v_lshl_add_u64 v[18:19], v[2:3], 0, v[26:27]
	flat_load_dword v18, v[18:19]
	s_or_b64 exec, exec, s[0:1]
                                        ; implicit-def: $vgpr19
	s_and_saveexec_b64 s[0:1], s[30:31]
	s_cbranch_execnz .LBB490_89
.LBB490_67:
	s_or_b64 exec, exec, s[0:1]
                                        ; implicit-def: $vgpr20
	s_and_saveexec_b64 s[0:1], s[34:35]
	s_cbranch_execz .LBB490_90
.LBB490_68:
	v_mov_b32_e32 v31, 0
	v_lshl_add_u64 v[20:21], v[2:3], 0, v[30:31]
	flat_load_dword v20, v[20:21]
	s_or_b64 exec, exec, s[0:1]
                                        ; implicit-def: $vgpr21
	s_and_saveexec_b64 s[0:1], s[36:37]
	s_cbranch_execnz .LBB490_91
.LBB490_69:
	s_or_b64 exec, exec, s[0:1]
                                        ; implicit-def: $vgpr22
	s_and_saveexec_b64 s[0:1], s[38:39]
	s_cbranch_execz .LBB490_92
.LBB490_70:
	v_mov_b32_e32 v35, 0
	v_lshl_add_u64 v[22:23], v[2:3], 0, v[34:35]
	flat_load_dword v22, v[22:23]
	s_or_b64 exec, exec, s[0:1]
                                        ; implicit-def: $vgpr23
	s_and_saveexec_b64 s[0:1], s[40:41]
	s_cbranch_execnz .LBB490_93
.LBB490_71:
	s_or_b64 exec, exec, s[0:1]
                                        ; implicit-def: $vgpr24
	s_and_saveexec_b64 s[0:1], s[42:43]
	s_cbranch_execz .LBB490_94
.LBB490_72:
	v_mov_b32_e32 v39, 0
	v_lshl_add_u64 v[24:25], v[2:3], 0, v[38:39]
	flat_load_dword v24, v[24:25]
	s_or_b64 exec, exec, s[0:1]
                                        ; implicit-def: $vgpr25
	s_and_saveexec_b64 s[0:1], s[44:45]
	s_cbranch_execnz .LBB490_95
.LBB490_73:
	s_or_b64 exec, exec, s[0:1]
                                        ; implicit-def: $vgpr26
	s_and_saveexec_b64 s[0:1], s[46:47]
	s_cbranch_execz .LBB490_96
.LBB490_74:
	v_mov_b32_e32 v43, 0
	v_lshl_add_u64 v[26:27], v[2:3], 0, v[42:43]
	flat_load_dword v26, v[26:27]
	s_or_b64 exec, exec, s[0:1]
                                        ; implicit-def: $vgpr27
	s_and_saveexec_b64 s[0:1], s[48:49]
	s_cbranch_execz .LBB490_98
	s_branch .LBB490_97
.LBB490_75:
	s_mov_b64 s[10:11], 0
                                        ; implicit-def: $sgpr8_sgpr9
                                        ; implicit-def: $vgpr6
                                        ; implicit-def: $vgpr12_vgpr13
                                        ; implicit-def: $vgpr14_vgpr15
                                        ; implicit-def: $vgpr16_vgpr17
                                        ; implicit-def: $vgpr18_vgpr19
                                        ; implicit-def: $vgpr20_vgpr21
                                        ; implicit-def: $vgpr22_vgpr23
                                        ; implicit-def: $vgpr24_vgpr25
                                        ; implicit-def: $vgpr26_vgpr27
                                        ; implicit-def: $vgpr28_vgpr29
                                        ; implicit-def: $vgpr30_vgpr31
                                        ; implicit-def: $vgpr32_vgpr33
                                        ; implicit-def: $vgpr34_vgpr35
                                        ; implicit-def: $vgpr36_vgpr37
                                        ; implicit-def: $vgpr38_vgpr39
                                        ; implicit-def: $vgpr40_vgpr41
                                        ; implicit-def: $vgpr42_vgpr43
                                        ; implicit-def: $vgpr44_vgpr45
                                        ; implicit-def: $vgpr46_vgpr47
                                        ; implicit-def: $vgpr48_vgpr49
                                        ; implicit-def: $vgpr50_vgpr51
                                        ; implicit-def: $vgpr52_vgpr53
                                        ; implicit-def: $vgpr54_vgpr55
                                        ; implicit-def: $sgpr6_sgpr7
	s_and_b64 vcc, exec, s[0:1]
	v_lshlrev_b32_e32 v56, 2, v0
	s_cbranch_vccz .LBB490_152
	s_branch .LBB490_147
.LBB490_76:
	s_or_b64 exec, exec, s[0:1]
                                        ; implicit-def: $vgpr51
	s_and_saveexec_b64 s[0:1], s[6:7]
	s_cbranch_execz .LBB490_55
.LBB490_77:
	v_mov_b32_e32 v49, 0
	v_lshl_add_u64 v[52:53], v[2:3], 0, v[48:49]
	flat_load_dword v51, v[52:53] offset:1024
	s_or_b64 exec, exec, s[0:1]
                                        ; implicit-def: $vgpr52
	s_and_saveexec_b64 s[0:1], s[8:9]
	s_cbranch_execnz .LBB490_56
.LBB490_78:
	s_or_b64 exec, exec, s[0:1]
                                        ; implicit-def: $vgpr49
	s_and_saveexec_b64 s[0:1], s[10:11]
	s_cbranch_execz .LBB490_57
.LBB490_79:
	v_mov_b32_e32 v49, 0
	v_lshl_add_u64 v[54:55], v[2:3], 0, v[48:49]
	flat_load_dword v49, v[54:55] offset:3072
	s_or_b64 exec, exec, s[0:1]
                                        ; implicit-def: $vgpr7
	s_and_saveexec_b64 s[0:1], s[12:13]
	s_cbranch_execnz .LBB490_58
.LBB490_80:
	s_or_b64 exec, exec, s[0:1]
                                        ; implicit-def: $vgpr6
	s_and_saveexec_b64 s[0:1], s[14:15]
	s_cbranch_execz .LBB490_59
.LBB490_81:
	v_mov_b32_e32 v13, 0
	v_lshl_add_u64 v[12:13], v[2:3], 0, v[12:13]
	flat_load_dword v6, v[12:13]
	s_or_b64 exec, exec, s[0:1]
                                        ; implicit-def: $vgpr12
	s_and_saveexec_b64 s[0:1], s[16:17]
	s_cbranch_execnz .LBB490_60
.LBB490_82:
	s_or_b64 exec, exec, s[0:1]
                                        ; implicit-def: $vgpr13
	s_and_saveexec_b64 s[0:1], s[18:19]
	s_cbranch_execz .LBB490_61
.LBB490_83:
	v_mov_b32_e32 v17, 0
	v_lshl_add_u64 v[14:15], v[2:3], 0, v[16:17]
	flat_load_dword v13, v[14:15]
	s_or_b64 exec, exec, s[0:1]
                                        ; implicit-def: $vgpr14
	s_and_saveexec_b64 s[0:1], s[20:21]
	s_cbranch_execnz .LBB490_62
.LBB490_84:
	s_or_b64 exec, exec, s[0:1]
                                        ; implicit-def: $vgpr15
	s_and_saveexec_b64 s[0:1], s[22:23]
	s_cbranch_execz .LBB490_63
.LBB490_85:
	v_mov_b32_e32 v21, 0
	v_lshl_add_u64 v[16:17], v[2:3], 0, v[20:21]
	flat_load_dword v15, v[16:17]
	s_or_b64 exec, exec, s[0:1]
                                        ; implicit-def: $vgpr16
	s_and_saveexec_b64 s[0:1], s[24:25]
	s_cbranch_execnz .LBB490_64
.LBB490_86:
	s_or_b64 exec, exec, s[0:1]
                                        ; implicit-def: $vgpr17
	s_and_saveexec_b64 s[0:1], s[26:27]
	s_cbranch_execz .LBB490_65
.LBB490_87:
	v_mov_b32_e32 v25, 0
	v_lshl_add_u64 v[18:19], v[2:3], 0, v[24:25]
	flat_load_dword v17, v[18:19]
	s_or_b64 exec, exec, s[0:1]
                                        ; implicit-def: $vgpr18
	s_and_saveexec_b64 s[0:1], s[28:29]
	s_cbranch_execnz .LBB490_66
.LBB490_88:
	s_or_b64 exec, exec, s[0:1]
                                        ; implicit-def: $vgpr19
	s_and_saveexec_b64 s[0:1], s[30:31]
	s_cbranch_execz .LBB490_67
.LBB490_89:
	v_mov_b32_e32 v29, 0
	v_lshl_add_u64 v[20:21], v[2:3], 0, v[28:29]
	flat_load_dword v19, v[20:21]
	s_or_b64 exec, exec, s[0:1]
                                        ; implicit-def: $vgpr20
	s_and_saveexec_b64 s[0:1], s[34:35]
	s_cbranch_execnz .LBB490_68
.LBB490_90:
	s_or_b64 exec, exec, s[0:1]
                                        ; implicit-def: $vgpr21
	s_and_saveexec_b64 s[0:1], s[36:37]
	s_cbranch_execz .LBB490_69
.LBB490_91:
	v_mov_b32_e32 v33, 0
	v_lshl_add_u64 v[22:23], v[2:3], 0, v[32:33]
	flat_load_dword v21, v[22:23]
	s_or_b64 exec, exec, s[0:1]
                                        ; implicit-def: $vgpr22
	s_and_saveexec_b64 s[0:1], s[38:39]
	s_cbranch_execnz .LBB490_70
.LBB490_92:
	s_or_b64 exec, exec, s[0:1]
                                        ; implicit-def: $vgpr23
	s_and_saveexec_b64 s[0:1], s[40:41]
	s_cbranch_execz .LBB490_71
.LBB490_93:
	v_mov_b32_e32 v37, 0
	v_lshl_add_u64 v[24:25], v[2:3], 0, v[36:37]
	flat_load_dword v23, v[24:25]
	s_or_b64 exec, exec, s[0:1]
                                        ; implicit-def: $vgpr24
	s_and_saveexec_b64 s[0:1], s[42:43]
	s_cbranch_execnz .LBB490_72
.LBB490_94:
	s_or_b64 exec, exec, s[0:1]
                                        ; implicit-def: $vgpr25
	s_and_saveexec_b64 s[0:1], s[44:45]
	s_cbranch_execz .LBB490_73
.LBB490_95:
	v_mov_b32_e32 v41, 0
	v_lshl_add_u64 v[26:27], v[2:3], 0, v[40:41]
	flat_load_dword v25, v[26:27]
	s_or_b64 exec, exec, s[0:1]
                                        ; implicit-def: $vgpr26
	s_and_saveexec_b64 s[0:1], s[46:47]
	s_cbranch_execnz .LBB490_74
.LBB490_96:
	s_or_b64 exec, exec, s[0:1]
                                        ; implicit-def: $vgpr27
	s_and_saveexec_b64 s[0:1], s[48:49]
	s_cbranch_execz .LBB490_98
.LBB490_97:
	v_mov_b32_e32 v45, 0
	v_lshl_add_u64 v[28:29], v[2:3], 0, v[44:45]
	flat_load_dword v27, v[28:29]
.LBB490_98:
	s_or_b64 exec, exec, s[0:1]
	v_mul_u32_u24_e32 v77, 23, v0
                                        ; implicit-def: $vgpr28
	s_and_saveexec_b64 s[0:1], s[50:51]
	s_cbranch_execz .LBB490_100
; %bb.99:
	v_mov_b32_e32 v47, 0
	v_lshl_add_u64 v[28:29], v[2:3], 0, v[46:47]
	flat_load_dword v28, v[28:29]
.LBB490_100:
	s_or_b64 exec, exec, s[0:1]
	s_waitcnt vmcnt(0) lgkmcnt(0)
	ds_write2st64_b32 v48, v50, v51 offset1:4
	ds_write2st64_b32 v48, v52, v49 offset0:8 offset1:12
	ds_write2st64_b32 v48, v7, v6 offset0:16 offset1:20
	;; [unrolled: 1-line block ×10, first 2 shown]
	ds_write_b32 v48, v28 offset:22528
	v_mov_b64_e32 v[12:13], 0
	v_cmp_gt_u32_e32 vcc, s60, v77
	s_mov_b64 s[10:11], 0
	s_mov_b64 s[0:1], 0
	v_mov_b64_e32 v[14:15], v[12:13]
	v_mov_b64_e32 v[16:17], v[12:13]
	;; [unrolled: 1-line block ×21, first 2 shown]
	s_waitcnt lgkmcnt(0)
	s_barrier
	s_waitcnt lgkmcnt(0)
                                        ; implicit-def: $sgpr8_sgpr9
                                        ; implicit-def: $vgpr6
	s_and_saveexec_b64 s[6:7], vcc
	s_cbranch_execz .LBB490_146
; %bb.101:
	ds_read_b32 v6, v76
	v_mov_b32_e32 v12, s74
	v_cmp_eq_u32_e32 vcc, v78, v74
	v_add_u32_e32 v7, 1, v77
	v_mov_b64_e32 v[14:15], 0
	s_waitcnt lgkmcnt(0)
	v_cndmask_b32_e32 v12, v12, v6, vcc
	v_cmp_ne_u32_e32 vcc, v78, v74
	s_mov_b64 s[12:13], 0
	v_mov_b64_e32 v[16:17], v[14:15]
	v_cndmask_b32_e64 v13, 0, 1, vcc
	v_cmp_gt_u32_e32 vcc, s60, v7
	v_mov_b64_e32 v[18:19], v[14:15]
	v_mov_b64_e32 v[20:21], v[14:15]
	;; [unrolled: 1-line block ×19, first 2 shown]
                                        ; implicit-def: $sgpr14_sgpr15
                                        ; implicit-def: $vgpr6
	s_and_saveexec_b64 s[8:9], vcc
	s_cbranch_execz .LBB490_145
; %bb.102:
	ds_read2_b32 v[6:7], v76 offset0:1 offset1:2
	v_mov_b32_e32 v14, s74
	v_cmp_eq_u32_e32 vcc, v74, v75
	v_add_u32_e32 v16, 2, v77
	s_mov_b64 s[14:15], 0
	s_waitcnt lgkmcnt(0)
	v_cndmask_b32_e32 v14, v14, v6, vcc
	v_cmp_ne_u32_e32 vcc, v74, v75
                                        ; implicit-def: $sgpr16_sgpr17
                                        ; implicit-def: $vgpr6
	s_nop 1
	v_cndmask_b32_e64 v15, 0, 1, vcc
	v_cmp_gt_u32_e32 vcc, s60, v16
	v_mov_b64_e32 v[16:17], 0
	v_mov_b64_e32 v[18:19], v[16:17]
	;; [unrolled: 1-line block ×20, first 2 shown]
	s_and_saveexec_b64 s[10:11], vcc
	s_cbranch_execz .LBB490_144
; %bb.103:
	v_mov_b32_e32 v16, s74
	v_cmp_eq_u32_e32 vcc, v75, v72
	v_add_u32_e32 v6, 3, v77
	v_mov_b64_e32 v[18:19], 0
	v_cndmask_b32_e32 v16, v16, v7, vcc
	v_cmp_ne_u32_e32 vcc, v75, v72
	s_mov_b64 s[16:17], 0
	v_mov_b64_e32 v[20:21], v[18:19]
	v_cndmask_b32_e64 v17, 0, 1, vcc
	v_cmp_gt_u32_e32 vcc, s60, v6
	v_mov_b64_e32 v[22:23], v[18:19]
	v_mov_b64_e32 v[24:25], v[18:19]
	;; [unrolled: 1-line block ×17, first 2 shown]
                                        ; implicit-def: $sgpr18_sgpr19
                                        ; implicit-def: $vgpr6
	s_and_saveexec_b64 s[12:13], vcc
	s_cbranch_execz .LBB490_143
; %bb.104:
	ds_read2_b32 v[6:7], v76 offset0:3 offset1:4
	v_mov_b32_e32 v18, s74
	v_cmp_eq_u32_e32 vcc, v72, v73
	v_add_u32_e32 v20, 4, v77
	s_mov_b64 s[18:19], 0
	s_waitcnt lgkmcnt(0)
	v_cndmask_b32_e32 v18, v18, v6, vcc
	v_cmp_ne_u32_e32 vcc, v72, v73
                                        ; implicit-def: $sgpr20_sgpr21
                                        ; implicit-def: $vgpr6
	s_nop 1
	v_cndmask_b32_e64 v19, 0, 1, vcc
	v_cmp_gt_u32_e32 vcc, s60, v20
	v_mov_b64_e32 v[20:21], 0
	v_mov_b64_e32 v[22:23], v[20:21]
	;; [unrolled: 1-line block ×18, first 2 shown]
	s_and_saveexec_b64 s[14:15], vcc
	s_cbranch_execz .LBB490_142
; %bb.105:
	v_mov_b32_e32 v20, s74
	v_cmp_eq_u32_e32 vcc, v73, v70
	v_add_u32_e32 v6, 5, v77
	v_mov_b64_e32 v[22:23], 0
	v_cndmask_b32_e32 v20, v20, v7, vcc
	v_cmp_ne_u32_e32 vcc, v73, v70
	s_mov_b64 s[20:21], 0
	v_mov_b64_e32 v[24:25], v[22:23]
	v_cndmask_b32_e64 v21, 0, 1, vcc
	v_cmp_gt_u32_e32 vcc, s60, v6
	v_mov_b64_e32 v[26:27], v[22:23]
	v_mov_b64_e32 v[28:29], v[22:23]
	;; [unrolled: 1-line block ×15, first 2 shown]
                                        ; implicit-def: $sgpr22_sgpr23
                                        ; implicit-def: $vgpr6
	s_and_saveexec_b64 s[16:17], vcc
	s_cbranch_execz .LBB490_141
; %bb.106:
	ds_read2_b32 v[6:7], v76 offset0:5 offset1:6
	v_mov_b32_e32 v22, s74
	v_cmp_eq_u32_e32 vcc, v70, v71
	v_add_u32_e32 v24, 6, v77
	s_mov_b64 s[22:23], 0
	s_waitcnt lgkmcnt(0)
	v_cndmask_b32_e32 v22, v22, v6, vcc
	v_cmp_ne_u32_e32 vcc, v70, v71
                                        ; implicit-def: $sgpr24_sgpr25
                                        ; implicit-def: $vgpr6
	s_nop 1
	v_cndmask_b32_e64 v23, 0, 1, vcc
	v_cmp_gt_u32_e32 vcc, s60, v24
	v_mov_b64_e32 v[24:25], 0
	v_mov_b64_e32 v[26:27], v[24:25]
	v_mov_b64_e32 v[28:29], v[24:25]
	v_mov_b64_e32 v[30:31], v[24:25]
	v_mov_b64_e32 v[32:33], v[24:25]
	v_mov_b64_e32 v[34:35], v[24:25]
	v_mov_b64_e32 v[36:37], v[24:25]
	v_mov_b64_e32 v[38:39], v[24:25]
	v_mov_b64_e32 v[40:41], v[24:25]
	v_mov_b64_e32 v[42:43], v[24:25]
	v_mov_b64_e32 v[44:45], v[24:25]
	v_mov_b64_e32 v[46:47], v[24:25]
	v_mov_b64_e32 v[48:49], v[24:25]
	v_mov_b64_e32 v[50:51], v[24:25]
	v_mov_b64_e32 v[52:53], v[24:25]
	v_mov_b64_e32 v[54:55], v[24:25]
	s_and_saveexec_b64 s[18:19], vcc
	s_cbranch_execz .LBB490_140
; %bb.107:
	v_mov_b32_e32 v24, s74
	v_cmp_eq_u32_e32 vcc, v71, v68
	v_add_u32_e32 v6, 7, v77
	v_mov_b64_e32 v[26:27], 0
	v_cndmask_b32_e32 v24, v24, v7, vcc
	v_cmp_ne_u32_e32 vcc, v71, v68
	s_mov_b64 s[24:25], 0
	v_mov_b64_e32 v[28:29], v[26:27]
	v_cndmask_b32_e64 v25, 0, 1, vcc
	v_cmp_gt_u32_e32 vcc, s60, v6
	v_mov_b64_e32 v[30:31], v[26:27]
	v_mov_b64_e32 v[32:33], v[26:27]
	;; [unrolled: 1-line block ×13, first 2 shown]
                                        ; implicit-def: $sgpr26_sgpr27
                                        ; implicit-def: $vgpr6
	s_and_saveexec_b64 s[20:21], vcc
	s_cbranch_execz .LBB490_139
; %bb.108:
	ds_read2_b32 v[6:7], v76 offset0:7 offset1:8
	v_mov_b32_e32 v26, s74
	v_cmp_eq_u32_e32 vcc, v68, v69
	v_add_u32_e32 v28, 8, v77
	s_mov_b64 s[26:27], 0
	s_waitcnt lgkmcnt(0)
	v_cndmask_b32_e32 v26, v26, v6, vcc
	v_cmp_ne_u32_e32 vcc, v68, v69
                                        ; implicit-def: $sgpr28_sgpr29
                                        ; implicit-def: $vgpr6
	s_nop 1
	v_cndmask_b32_e64 v27, 0, 1, vcc
	v_cmp_gt_u32_e32 vcc, s60, v28
	v_mov_b64_e32 v[28:29], 0
	v_mov_b64_e32 v[30:31], v[28:29]
	;; [unrolled: 1-line block ×14, first 2 shown]
	s_and_saveexec_b64 s[22:23], vcc
	s_cbranch_execz .LBB490_138
; %bb.109:
	v_mov_b32_e32 v28, s74
	v_cmp_eq_u32_e32 vcc, v69, v66
	v_add_u32_e32 v6, 9, v77
	v_mov_b64_e32 v[30:31], 0
	v_cndmask_b32_e32 v28, v28, v7, vcc
	v_cmp_ne_u32_e32 vcc, v69, v66
	s_mov_b64 s[28:29], 0
	v_mov_b64_e32 v[32:33], v[30:31]
	v_cndmask_b32_e64 v29, 0, 1, vcc
	v_cmp_gt_u32_e32 vcc, s60, v6
	v_mov_b64_e32 v[34:35], v[30:31]
	v_mov_b64_e32 v[36:37], v[30:31]
	;; [unrolled: 1-line block ×11, first 2 shown]
                                        ; implicit-def: $sgpr30_sgpr31
                                        ; implicit-def: $vgpr6
	s_and_saveexec_b64 s[24:25], vcc
	s_cbranch_execz .LBB490_137
; %bb.110:
	ds_read2_b32 v[6:7], v76 offset0:9 offset1:10
	v_mov_b32_e32 v30, s74
	v_cmp_eq_u32_e32 vcc, v66, v67
	v_add_u32_e32 v32, 10, v77
	s_mov_b64 s[30:31], 0
	s_waitcnt lgkmcnt(0)
	v_cndmask_b32_e32 v30, v30, v6, vcc
	v_cmp_ne_u32_e32 vcc, v66, v67
                                        ; implicit-def: $sgpr34_sgpr35
                                        ; implicit-def: $vgpr6
	s_nop 1
	v_cndmask_b32_e64 v31, 0, 1, vcc
	v_cmp_gt_u32_e32 vcc, s60, v32
	v_mov_b64_e32 v[32:33], 0
	v_mov_b64_e32 v[34:35], v[32:33]
	;; [unrolled: 1-line block ×12, first 2 shown]
	s_and_saveexec_b64 s[26:27], vcc
	s_cbranch_execz .LBB490_136
; %bb.111:
	v_mov_b32_e32 v32, s74
	v_cmp_eq_u32_e32 vcc, v67, v64
	v_add_u32_e32 v6, 11, v77
	v_mov_b64_e32 v[34:35], 0
	v_cndmask_b32_e32 v32, v32, v7, vcc
	v_cmp_ne_u32_e32 vcc, v67, v64
	s_mov_b64 s[34:35], 0
	v_mov_b64_e32 v[36:37], v[34:35]
	v_cndmask_b32_e64 v33, 0, 1, vcc
	v_cmp_gt_u32_e32 vcc, s60, v6
	v_mov_b64_e32 v[38:39], v[34:35]
	v_mov_b64_e32 v[40:41], v[34:35]
	;; [unrolled: 1-line block ×9, first 2 shown]
                                        ; implicit-def: $sgpr36_sgpr37
                                        ; implicit-def: $vgpr6
	s_and_saveexec_b64 s[28:29], vcc
	s_cbranch_execz .LBB490_135
; %bb.112:
	ds_read2_b32 v[6:7], v76 offset0:11 offset1:12
	v_mov_b32_e32 v34, s74
	v_cmp_eq_u32_e32 vcc, v64, v65
	v_add_u32_e32 v36, 12, v77
	s_mov_b64 s[36:37], 0
	s_waitcnt lgkmcnt(0)
	v_cndmask_b32_e32 v34, v34, v6, vcc
	v_cmp_ne_u32_e32 vcc, v64, v65
                                        ; implicit-def: $sgpr38_sgpr39
                                        ; implicit-def: $vgpr6
	s_nop 1
	v_cndmask_b32_e64 v35, 0, 1, vcc
	v_cmp_gt_u32_e32 vcc, s60, v36
	v_mov_b64_e32 v[36:37], 0
	v_mov_b64_e32 v[38:39], v[36:37]
	;; [unrolled: 1-line block ×10, first 2 shown]
	s_and_saveexec_b64 s[30:31], vcc
	s_cbranch_execz .LBB490_134
; %bb.113:
	v_mov_b32_e32 v36, s74
	v_cmp_eq_u32_e32 vcc, v65, v62
	v_add_u32_e32 v6, 13, v77
	v_mov_b64_e32 v[38:39], 0
	v_cndmask_b32_e32 v36, v36, v7, vcc
	v_cmp_ne_u32_e32 vcc, v65, v62
	s_mov_b64 s[38:39], 0
	v_mov_b64_e32 v[40:41], v[38:39]
	v_cndmask_b32_e64 v37, 0, 1, vcc
	v_cmp_gt_u32_e32 vcc, s60, v6
	v_mov_b64_e32 v[42:43], v[38:39]
	v_mov_b64_e32 v[44:45], v[38:39]
	;; [unrolled: 1-line block ×7, first 2 shown]
                                        ; implicit-def: $sgpr40_sgpr41
                                        ; implicit-def: $vgpr6
	s_and_saveexec_b64 s[34:35], vcc
	s_cbranch_execz .LBB490_133
; %bb.114:
	ds_read2_b32 v[6:7], v76 offset0:13 offset1:14
	v_mov_b32_e32 v38, s74
	v_cmp_eq_u32_e32 vcc, v62, v63
	v_add_u32_e32 v40, 14, v77
	s_mov_b64 s[40:41], 0
	s_waitcnt lgkmcnt(0)
	v_cndmask_b32_e32 v38, v38, v6, vcc
	v_cmp_ne_u32_e32 vcc, v62, v63
                                        ; implicit-def: $sgpr42_sgpr43
                                        ; implicit-def: $vgpr6
	s_nop 1
	v_cndmask_b32_e64 v39, 0, 1, vcc
	v_cmp_gt_u32_e32 vcc, s60, v40
	v_mov_b64_e32 v[40:41], 0
	v_mov_b64_e32 v[42:43], v[40:41]
	;; [unrolled: 1-line block ×8, first 2 shown]
	s_and_saveexec_b64 s[36:37], vcc
	s_cbranch_execz .LBB490_132
; %bb.115:
	v_mov_b32_e32 v40, s74
	v_cmp_eq_u32_e32 vcc, v63, v60
	v_add_u32_e32 v6, 15, v77
	v_mov_b64_e32 v[42:43], 0
	v_cndmask_b32_e32 v40, v40, v7, vcc
	v_cmp_ne_u32_e32 vcc, v63, v60
	s_mov_b64 s[42:43], 0
	v_mov_b64_e32 v[44:45], v[42:43]
	v_cndmask_b32_e64 v41, 0, 1, vcc
	v_cmp_gt_u32_e32 vcc, s60, v6
	v_mov_b64_e32 v[46:47], v[42:43]
	v_mov_b64_e32 v[48:49], v[42:43]
	;; [unrolled: 1-line block ×5, first 2 shown]
                                        ; implicit-def: $sgpr44_sgpr45
                                        ; implicit-def: $vgpr6
	s_and_saveexec_b64 s[38:39], vcc
	s_cbranch_execz .LBB490_131
; %bb.116:
	ds_read2_b32 v[6:7], v76 offset0:15 offset1:16
	v_mov_b32_e32 v42, s74
	v_cmp_eq_u32_e32 vcc, v60, v61
	v_add_u32_e32 v44, 16, v77
	s_mov_b64 s[44:45], 0
	s_waitcnt lgkmcnt(0)
	v_cndmask_b32_e32 v42, v42, v6, vcc
	v_cmp_ne_u32_e32 vcc, v60, v61
                                        ; implicit-def: $sgpr46_sgpr47
                                        ; implicit-def: $vgpr6
	s_nop 1
	v_cndmask_b32_e64 v43, 0, 1, vcc
	v_cmp_gt_u32_e32 vcc, s60, v44
	v_mov_b64_e32 v[44:45], 0
	v_mov_b64_e32 v[46:47], v[44:45]
	;; [unrolled: 1-line block ×6, first 2 shown]
	s_and_saveexec_b64 s[40:41], vcc
	s_cbranch_execz .LBB490_130
; %bb.117:
	v_mov_b32_e32 v44, s74
	v_cmp_eq_u32_e32 vcc, v61, v58
	v_add_u32_e32 v6, 17, v77
	v_mov_b64_e32 v[46:47], 0
	v_cndmask_b32_e32 v44, v44, v7, vcc
	v_cmp_ne_u32_e32 vcc, v61, v58
	s_mov_b64 s[46:47], 0
	v_mov_b64_e32 v[48:49], v[46:47]
	v_cndmask_b32_e64 v45, 0, 1, vcc
	v_cmp_gt_u32_e32 vcc, s60, v6
	v_mov_b64_e32 v[50:51], v[46:47]
	v_mov_b64_e32 v[52:53], v[46:47]
	;; [unrolled: 1-line block ×3, first 2 shown]
                                        ; implicit-def: $sgpr48_sgpr49
                                        ; implicit-def: $vgpr6
	s_and_saveexec_b64 s[42:43], vcc
	s_cbranch_execz .LBB490_129
; %bb.118:
	ds_read2_b32 v[6:7], v76 offset0:17 offset1:18
	v_mov_b32_e32 v46, s74
	v_cmp_eq_u32_e32 vcc, v58, v59
	v_add_u32_e32 v48, 18, v77
	s_mov_b64 s[48:49], 0
	s_waitcnt lgkmcnt(0)
	v_cndmask_b32_e32 v46, v46, v6, vcc
	v_cmp_ne_u32_e32 vcc, v58, v59
                                        ; implicit-def: $sgpr50_sgpr51
                                        ; implicit-def: $vgpr6
	s_nop 1
	v_cndmask_b32_e64 v47, 0, 1, vcc
	v_cmp_gt_u32_e32 vcc, s60, v48
	v_mov_b64_e32 v[48:49], 0
	v_mov_b64_e32 v[50:51], v[48:49]
	;; [unrolled: 1-line block ×4, first 2 shown]
	s_and_saveexec_b64 s[44:45], vcc
	s_cbranch_execz .LBB490_128
; %bb.119:
	v_mov_b32_e32 v48, s74
	v_cmp_eq_u32_e32 vcc, v59, v56
	v_add_u32_e32 v6, 19, v77
	v_mov_b64_e32 v[50:51], 0
	v_cndmask_b32_e32 v48, v48, v7, vcc
	v_cmp_ne_u32_e32 vcc, v59, v56
	s_mov_b64 s[50:51], 0
	v_mov_b64_e32 v[52:53], v[50:51]
	v_cndmask_b32_e64 v49, 0, 1, vcc
	v_cmp_gt_u32_e32 vcc, s60, v6
	v_mov_b64_e32 v[54:55], v[50:51]
                                        ; implicit-def: $sgpr56_sgpr57
                                        ; implicit-def: $vgpr6
	s_and_saveexec_b64 s[46:47], vcc
	s_cbranch_execz .LBB490_127
; %bb.120:
	ds_read2_b32 v[6:7], v76 offset0:19 offset1:20
	v_mov_b32_e32 v50, s74
	v_cmp_eq_u32_e32 vcc, v56, v57
	v_add_u32_e32 v52, 20, v77
	s_mov_b64 s[56:57], 0
	s_waitcnt lgkmcnt(0)
	v_cndmask_b32_e32 v50, v50, v6, vcc
	v_cmp_ne_u32_e32 vcc, v56, v57
                                        ; implicit-def: $sgpr58_sgpr59
                                        ; implicit-def: $vgpr6
	s_nop 1
	v_cndmask_b32_e64 v51, 0, 1, vcc
	v_cmp_gt_u32_e32 vcc, s60, v52
	v_mov_b64_e32 v[52:53], 0
	v_mov_b64_e32 v[54:55], v[52:53]
	s_and_saveexec_b64 s[48:49], vcc
	s_cbranch_execz .LBB490_126
; %bb.121:
	v_mov_b32_e32 v52, s74
	v_cmp_eq_u32_e32 vcc, v57, v8
	v_add_u32_e32 v6, 21, v77
	v_mov_b64_e32 v[54:55], 0
	v_cndmask_b32_e32 v52, v52, v7, vcc
	v_cmp_ne_u32_e32 vcc, v57, v8
                                        ; implicit-def: $sgpr58_sgpr59
	s_nop 1
	v_cndmask_b32_e64 v53, 0, 1, vcc
	v_cmp_gt_u32_e32 vcc, s60, v6
                                        ; implicit-def: $vgpr6
	s_and_saveexec_b64 s[50:51], vcc
	s_cbranch_execz .LBB490_125
; %bb.122:
	ds_read2_b32 v[6:7], v76 offset0:21 offset1:22
	v_mov_b32_e32 v54, s74
	v_cmp_eq_u32_e32 vcc, v8, v9
	v_add_u32_e32 v56, 22, v77
                                        ; implicit-def: $sgpr58_sgpr59
	s_waitcnt lgkmcnt(0)
	v_cndmask_b32_e32 v54, v54, v6, vcc
	v_cmp_ne_u32_e32 vcc, v8, v9
                                        ; implicit-def: $vgpr6
	s_nop 1
	v_cndmask_b32_e64 v55, 0, 1, vcc
	v_cmp_gt_u32_e32 vcc, s60, v56
	s_and_saveexec_b64 s[60:61], vcc
	s_xor_b64 s[60:61], exec, s[60:61]
; %bb.123:
	v_mov_b32_e32 v6, s74
	v_cmp_ne_u32_e32 vcc, v9, v1
	s_mov_b64 s[56:57], exec
	s_and_b64 s[58:59], vcc, exec
	v_cndmask_b32_e32 v6, v7, v6, vcc
; %bb.124:
	s_or_b64 exec, exec, s[60:61]
	s_and_b64 s[58:59], s[58:59], exec
	s_and_b64 s[56:57], s[56:57], exec
.LBB490_125:
	s_or_b64 exec, exec, s[50:51]
	s_and_b64 s[58:59], s[58:59], exec
	s_and_b64 s[50:51], s[56:57], exec
.LBB490_126:
	s_or_b64 exec, exec, s[48:49]
	s_and_b64 s[56:57], s[58:59], exec
	s_and_b64 s[48:49], s[50:51], exec
.LBB490_127:
	s_or_b64 exec, exec, s[46:47]
	s_and_b64 s[50:51], s[56:57], exec
	s_and_b64 s[46:47], s[48:49], exec
.LBB490_128:
	s_or_b64 exec, exec, s[44:45]
	s_and_b64 s[48:49], s[50:51], exec
	s_and_b64 s[44:45], s[46:47], exec
.LBB490_129:
	s_or_b64 exec, exec, s[42:43]
	s_and_b64 s[46:47], s[48:49], exec
	s_and_b64 s[42:43], s[44:45], exec
.LBB490_130:
	s_or_b64 exec, exec, s[40:41]
	s_and_b64 s[44:45], s[46:47], exec
	s_and_b64 s[40:41], s[42:43], exec
.LBB490_131:
	s_or_b64 exec, exec, s[38:39]
	s_and_b64 s[42:43], s[44:45], exec
	s_and_b64 s[38:39], s[40:41], exec
.LBB490_132:
	s_or_b64 exec, exec, s[36:37]
	s_and_b64 s[40:41], s[42:43], exec
	s_and_b64 s[36:37], s[38:39], exec
.LBB490_133:
	s_or_b64 exec, exec, s[34:35]
	s_and_b64 s[38:39], s[40:41], exec
	s_and_b64 s[34:35], s[36:37], exec
.LBB490_134:
	s_or_b64 exec, exec, s[30:31]
	s_and_b64 s[36:37], s[38:39], exec
	s_and_b64 s[30:31], s[34:35], exec
.LBB490_135:
	s_or_b64 exec, exec, s[28:29]
	s_and_b64 s[34:35], s[36:37], exec
	s_and_b64 s[28:29], s[30:31], exec
.LBB490_136:
	s_or_b64 exec, exec, s[26:27]
	s_and_b64 s[30:31], s[34:35], exec
	s_and_b64 s[26:27], s[28:29], exec
.LBB490_137:
	s_or_b64 exec, exec, s[24:25]
	s_and_b64 s[28:29], s[30:31], exec
	s_and_b64 s[24:25], s[26:27], exec
.LBB490_138:
	s_or_b64 exec, exec, s[22:23]
	s_and_b64 s[26:27], s[28:29], exec
	s_and_b64 s[22:23], s[24:25], exec
.LBB490_139:
	s_or_b64 exec, exec, s[20:21]
	s_and_b64 s[24:25], s[26:27], exec
	s_and_b64 s[20:21], s[22:23], exec
.LBB490_140:
	s_or_b64 exec, exec, s[18:19]
	s_and_b64 s[22:23], s[24:25], exec
	s_and_b64 s[18:19], s[20:21], exec
.LBB490_141:
	s_or_b64 exec, exec, s[16:17]
	s_and_b64 s[20:21], s[22:23], exec
	s_and_b64 s[16:17], s[18:19], exec
.LBB490_142:
	s_or_b64 exec, exec, s[14:15]
	s_and_b64 s[18:19], s[20:21], exec
	s_and_b64 s[14:15], s[16:17], exec
.LBB490_143:
	s_or_b64 exec, exec, s[12:13]
	s_and_b64 s[16:17], s[18:19], exec
	s_and_b64 s[12:13], s[14:15], exec
.LBB490_144:
	s_or_b64 exec, exec, s[10:11]
	s_and_b64 s[14:15], s[16:17], exec
	s_and_b64 s[10:11], s[12:13], exec
.LBB490_145:
	s_or_b64 exec, exec, s[8:9]
	s_and_b64 s[8:9], s[14:15], exec
	s_and_b64 s[10:11], s[10:11], exec
.LBB490_146:
	s_or_b64 exec, exec, s[6:7]
	s_mov_b64 s[6:7], 0
	s_and_b64 vcc, exec, s[0:1]
	v_lshlrev_b32_e32 v56, 2, v0
	s_cbranch_vccz .LBB490_152
.LBB490_147:
	v_mov_b32_e32 v57, 0
	v_lshl_add_u64 v[6:7], v[4:5], 0, v[56:57]
	v_add_co_u32_e32 v8, vcc, 0x1000, v6
	s_movk_i32 s6, 0x58
	s_nop 0
	v_addc_co_u32_e32 v9, vcc, 0, v7, vcc
	flat_load_dword v1, v[6:7]
	flat_load_dword v14, v[6:7] offset:1024
	flat_load_dword v15, v[6:7] offset:2048
	;; [unrolled: 1-line block ×3, first 2 shown]
	flat_load_dword v17, v[8:9]
	flat_load_dword v18, v[8:9] offset:1024
	flat_load_dword v19, v[8:9] offset:2048
	;; [unrolled: 1-line block ×3, first 2 shown]
	v_add_co_u32_e32 v8, vcc, 0x2000, v6
	s_movk_i32 s11, 0x1000
	s_nop 0
	v_addc_co_u32_e32 v9, vcc, 0, v7, vcc
	v_add_co_u32_e32 v12, vcc, 0x3000, v6
	s_mov_b32 s0, 0
	s_nop 0
	v_addc_co_u32_e32 v13, vcc, 0, v7, vcc
	flat_load_dword v21, v[8:9]
	flat_load_dword v22, v[8:9] offset:1024
	flat_load_dword v23, v[8:9] offset:2048
	;; [unrolled: 1-line block ×3, first 2 shown]
	flat_load_dword v25, v[12:13]
	flat_load_dword v26, v[12:13] offset:1024
	flat_load_dword v27, v[12:13] offset:2048
	;; [unrolled: 1-line block ×3, first 2 shown]
	v_add_co_u32_e32 v8, vcc, 0x4000, v6
	s_movk_i32 s10, 0x2000
	s_nop 0
	v_addc_co_u32_e32 v9, vcc, 0, v7, vcc
	v_add_co_u32_e32 v6, vcc, 0x5000, v6
	s_movk_i32 s9, 0x3000
	s_nop 0
	v_addc_co_u32_e32 v7, vcc, 0, v7, vcc
	flat_load_dword v12, v[8:9]
	flat_load_dword v13, v[8:9] offset:1024
	flat_load_dword v29, v[8:9] offset:2048
	;; [unrolled: 1-line block ×3, first 2 shown]
	flat_load_dword v31, v[6:7]
	flat_load_dword v32, v[6:7] offset:1024
	flat_load_dword v33, v[6:7] offset:2048
	v_add_co_u32_e32 v4, vcc, 0x5000, v4
	s_movk_i32 s8, 0x4000
	s_nop 0
	v_addc_co_u32_e32 v5, vcc, 0, v5, vcc
	s_movk_i32 s1, 0x5000
	s_waitcnt vmcnt(0) lgkmcnt(0)
	ds_write2st64_b32 v56, v1, v14 offset1:4
	ds_write2st64_b32 v56, v15, v16 offset0:8 offset1:12
	ds_write2st64_b32 v56, v17, v18 offset0:16 offset1:20
	;; [unrolled: 1-line block ×10, first 2 shown]
	ds_write_b32 v56, v33 offset:22528
	s_waitcnt lgkmcnt(0)
	s_barrier
	flat_load_dword v1, v[4:5] offset:3072
	v_mad_u32_u24 v14, v0, s6, v56
	s_movk_i32 s6, 0xffa8
	v_mad_i32_i24 v13, v0, s6, v14
	s_movk_i32 s6, 0xff
	v_cmp_ne_u32_e32 vcc, s6, v0
	ds_read_b32 v12, v14
	ds_read2_b32 v[16:17], v14 offset0:1 offset1:2
	ds_read2_b32 v[20:21], v14 offset0:3 offset1:4
	;; [unrolled: 1-line block ×11, first 2 shown]
	s_waitcnt lgkmcnt(0)
	ds_write_b32 v13, v12 offset:24576
	s_waitcnt lgkmcnt(0)
	s_barrier
	s_and_saveexec_b64 s[6:7], vcc
	s_cbranch_execz .LBB490_149
; %bb.148:
	s_waitcnt vmcnt(0)
	ds_read_b32 v1, v56 offset:24580
.LBB490_149:
	s_or_b64 exec, exec, s[6:7]
	v_lshl_add_u64 v[2:3], v[2:3], 0, v[56:57]
	v_add_co_u32_e32 v18, vcc, s11, v2
	s_waitcnt lgkmcnt(0)
	s_nop 0
	v_addc_co_u32_e32 v19, vcc, 0, v3, vcc
	s_barrier
	flat_load_dword v13, v[2:3]
	flat_load_dword v15, v[2:3] offset:1024
	flat_load_dword v26, v[2:3] offset:2048
	;; [unrolled: 1-line block ×3, first 2 shown]
	flat_load_dword v30, v[18:19]
	flat_load_dword v31, v[18:19] offset:1024
	flat_load_dword v34, v[18:19] offset:2048
	;; [unrolled: 1-line block ×3, first 2 shown]
	v_add_co_u32_e32 v18, vcc, s10, v2
	s_nop 1
	v_addc_co_u32_e32 v19, vcc, 0, v3, vcc
	v_add_co_u32_e32 v22, vcc, s9, v2
	s_nop 1
	v_addc_co_u32_e32 v23, vcc, 0, v3, vcc
	flat_load_dword v38, v[18:19]
	flat_load_dword v39, v[18:19] offset:1024
	flat_load_dword v42, v[18:19] offset:2048
	;; [unrolled: 1-line block ×3, first 2 shown]
	flat_load_dword v46, v[22:23]
	flat_load_dword v47, v[22:23] offset:1024
	flat_load_dword v48, v[22:23] offset:2048
	;; [unrolled: 1-line block ×3, first 2 shown]
	v_add_co_u32_e32 v18, vcc, s8, v2
	s_nop 1
	v_addc_co_u32_e32 v19, vcc, 0, v3, vcc
	v_add_co_u32_e32 v2, vcc, s1, v2
	s_mov_b32 s1, 1
	s_nop 0
	v_addc_co_u32_e32 v3, vcc, 0, v3, vcc
	flat_load_dword v22, v[18:19]
	flat_load_dword v23, v[18:19] offset:1024
	flat_load_dword v50, v[18:19] offset:2048
	;; [unrolled: 1-line block ×3, first 2 shown]
	flat_load_dword v52, v[2:3]
	flat_load_dword v53, v[2:3] offset:1024
	flat_load_dword v54, v[2:3] offset:2048
	v_cmp_eq_u32_e32 vcc, v12, v16
	s_waitcnt vmcnt(0) lgkmcnt(0)
	ds_write2st64_b32 v56, v13, v15 offset1:4
	ds_write2st64_b32 v56, v26, v27 offset0:8 offset1:12
	ds_write2st64_b32 v56, v30, v31 offset0:16 offset1:20
	;; [unrolled: 1-line block ×10, first 2 shown]
	ds_write_b32 v56, v54 offset:22528
	s_waitcnt lgkmcnt(0)
	s_barrier
	ds_read2_b32 v[18:19], v14 offset0:1 offset1:2
	ds_read2_b32 v[22:23], v14 offset0:3 offset1:4
	;; [unrolled: 1-line block ×11, first 2 shown]
	v_mov_b64_e32 v[12:13], s[0:1]
	v_mov_b32_e32 v15, s74
	s_and_saveexec_b64 s[0:1], vcc
	s_cbranch_execz .LBB490_151
; %bb.150:
	ds_read_b32 v15, v14
	v_mov_b64_e32 v[12:13], 0
.LBB490_151:
	s_or_b64 exec, exec, s[0:1]
	v_mov_b32_e32 v57, s74
	v_cmp_eq_u32_e32 vcc, v16, v17
	s_waitcnt lgkmcnt(0)
	v_or_b32_e32 v12, v12, v15
	v_cmp_ne_u32_e64 s[8:9], v5, v1
	v_cndmask_b32_e32 v14, v57, v18, vcc
	v_cmp_ne_u32_e32 vcc, v16, v17
	s_mov_b64 s[10:11], -1
                                        ; implicit-def: $sgpr6_sgpr7
	s_nop 0
	v_cndmask_b32_e64 v15, 0, 1, vcc
	v_cmp_eq_u32_e32 vcc, v17, v20
	s_nop 1
	v_cndmask_b32_e32 v16, v57, v19, vcc
	v_cmp_ne_u32_e32 vcc, v17, v20
	s_nop 1
	v_cndmask_b32_e64 v17, 0, 1, vcc
	v_cmp_eq_u32_e32 vcc, v20, v21
	s_nop 1
	v_cndmask_b32_e32 v18, v57, v22, vcc
	v_cmp_ne_u32_e32 vcc, v20, v21
	;; [unrolled: 6-line block ×18, first 2 shown]
	v_cndmask_b32_e64 v6, v3, v57, s[8:9]
	s_nop 0
	v_cndmask_b32_e64 v51, 0, 1, vcc
	v_cmp_eq_u32_e32 vcc, v7, v4
	s_nop 1
	v_cndmask_b32_e32 v52, v57, v53, vcc
	v_cmp_ne_u32_e32 vcc, v7, v4
	s_nop 1
	v_cndmask_b32_e64 v53, 0, 1, vcc
	v_cmp_eq_u32_e32 vcc, v4, v5
	s_nop 1
	v_cndmask_b32_e32 v54, v57, v2, vcc
	v_cmp_ne_u32_e32 vcc, v4, v5
	s_nop 1
	v_cndmask_b32_e64 v55, 0, 1, vcc
.LBB490_152:
	v_mov_b64_e32 v[58:59], s[6:7]
	s_and_saveexec_b64 s[0:1], s[10:11]
; %bb.153:
	v_cndmask_b32_e64 v7, 0, 1, s[8:9]
	v_mov_b64_e32 v[58:59], v[6:7]
; %bb.154:
	s_or_b64 exec, exec, s[0:1]
	s_mov_b32 s0, 0
	s_cmp_lg_u32 s67, 0
	v_or_b32_e32 v57, v59, v55
	v_lshrrev_b32_e32 v1, 5, v0
	v_cmp_gt_u32_e32 vcc, 64, v0
	s_barrier
	s_cbranch_scc0 .LBB490_189
; %bb.155:
	s_mov_b32 s1, 1
	v_cmp_gt_u64_e64 s[6:7], s[0:1], v[14:15]
	v_cmp_gt_u64_e64 s[8:9], s[0:1], v[16:17]
	v_cmp_gt_u64_e64 s[10:11], s[0:1], v[18:19]
	v_cndmask_b32_e64 v2, 0, v12, s[6:7]
	v_add_u32_e32 v2, v2, v14
	v_cndmask_b32_e64 v2, 0, v2, s[8:9]
	v_add_u32_e32 v2, v2, v16
	v_cndmask_b32_e64 v2, 0, v2, s[10:11]
	v_add_u32_e32 v2, v2, v18
	v_cmp_gt_u64_e64 s[12:13], s[0:1], v[20:21]
	v_cmp_gt_u64_e64 s[14:15], s[0:1], v[22:23]
	v_cmp_gt_u64_e64 s[16:17], s[0:1], v[24:25]
	v_cndmask_b32_e64 v2, 0, v2, s[12:13]
	v_add_u32_e32 v2, v2, v20
	v_cndmask_b32_e64 v2, 0, v2, s[14:15]
	v_add_u32_e32 v2, v2, v22
	v_cndmask_b32_e64 v2, 0, v2, s[16:17]
	v_add_u32_e32 v2, v2, v24
	;; [unrolled: 9-line block ×7, first 2 shown]
	v_cmp_gt_u64_e64 s[0:1], s[0:1], v[58:59]
	s_nop 1
	v_cndmask_b32_e64 v2, 0, v2, s[0:1]
	v_add_u32_e32 v64, v2, v58
	v_or3_b32 v2, v57, v53, v51
	v_or3_b32 v2, v2, v49, v47
	;; [unrolled: 1-line block ×10, first 2 shown]
	v_and_b32_e32 v2, 1, v2
	v_cmp_eq_u32_e64 s[0:1], 1, v2
	v_add_lshl_u32 v2, v1, v0, 3
	s_nop 0
	v_cndmask_b32_e64 v65, v13, 1, s[0:1]
	ds_write_b32 v2, v64
	ds_write_b8 v2, v65 offset:4
	s_waitcnt lgkmcnt(0)
	s_barrier
	s_and_saveexec_b64 s[50:51], vcc
	s_cbranch_execz .LBB490_167
; %bb.156:
	v_lshrrev_b32_e32 v2, 3, v0
	v_add_lshl_u32 v4, v2, v56, 3
	ds_read2_b32 v[6:7], v4 offset0:2 offset1:4
	ds_read_b64 v[2:3], v4
	ds_read_u8 v8, v4 offset:12
	ds_read_u8 v9, v4 offset:20
	ds_read_b32 v60, v4 offset:24
	ds_read_u8 v61, v4 offset:28
	v_mov_b32_e32 v62, 0
	s_waitcnt lgkmcnt(3)
	v_cmp_eq_u16_sdwa s[0:1], v8, v62 src0_sel:BYTE_0 src1_sel:DWORD
	v_and_b32_e32 v5, 1, v3
	s_nop 0
	v_cndmask_b32_e64 v63, 0, v2, s[0:1]
	v_add_u32_e32 v6, v63, v6
	s_waitcnt lgkmcnt(2)
	v_cmp_eq_u16_sdwa s[0:1], v9, v62 src0_sel:BYTE_0 src1_sel:DWORD
	s_nop 1
	v_cndmask_b32_e64 v6, 0, v6, s[0:1]
	v_add_u32_e32 v6, v6, v7
	s_waitcnt lgkmcnt(0)
	v_cmp_eq_u16_e64 s[0:1], 0, v61
	s_nop 1
	v_cndmask_b32_e64 v6, 0, v6, s[0:1]
	v_add_u32_e32 v7, v6, v60
	v_or_b32_e32 v6, v61, v9
	v_or_b32_e32 v6, v6, v8
	v_and_b32_e32 v6, 1, v6
	v_cmp_eq_u32_e64 s[0:1], 1, v6
	v_mbcnt_lo_u32_b32 v8, -1, 0
	v_and_b32_e32 v6, 0xffffff00, v3
	v_cndmask_b32_e64 v9, v5, 1, s[0:1]
	v_mbcnt_hi_u32_b32 v8, -1, v8
	v_and_b32_e32 v61, 15, v8
	v_or_b32_sdwa v60, v6, v9 dst_sel:DWORD dst_unused:UNUSED_PAD src0_sel:DWORD src1_sel:WORD_0
	v_mov_b32_dpp v62, v7 row_shr:1 row_mask:0xf bank_mask:0xf
	v_cmp_ne_u32_e64 s[0:1], 0, v61
	v_mov_b32_dpp v63, v60 row_shr:1 row_mask:0xf bank_mask:0xf
	s_and_saveexec_b64 s[56:57], s[0:1]
; %bb.157:
	v_and_b32_e32 v60, 1, v9
	v_and_b32_e32 v63, 1, v63
	v_cmp_eq_u32_e64 s[0:1], 1, v60
	s_nop 1
	v_cndmask_b32_e64 v63, v63, 1, s[0:1]
	v_cmp_eq_u16_e64 s[0:1], 0, v9
	v_or_b32_sdwa v60, v6, v63 dst_sel:DWORD dst_unused:UNUSED_PAD src0_sel:DWORD src1_sel:WORD_0
	s_nop 0
	v_cndmask_b32_e64 v9, 0, v62, s[0:1]
	v_add_u32_e32 v7, v9, v7
	v_mov_b32_e32 v9, v63
; %bb.158:
	s_or_b64 exec, exec, s[56:57]
	v_mov_b32_dpp v62, v7 row_shr:2 row_mask:0xf bank_mask:0xf
	v_mov_b32_dpp v63, v60 row_shr:2 row_mask:0xf bank_mask:0xf
	v_cmp_lt_u32_e64 s[0:1], 1, v61
	s_and_saveexec_b64 s[56:57], s[0:1]
; %bb.159:
	v_and_b32_e32 v60, 1, v9
	v_and_b32_e32 v63, 1, v63
	v_cmp_eq_u32_e64 s[0:1], 1, v60
	s_nop 1
	v_cndmask_b32_e64 v63, v63, 1, s[0:1]
	v_cmp_eq_u16_e64 s[0:1], 0, v9
	v_or_b32_sdwa v60, v6, v63 dst_sel:DWORD dst_unused:UNUSED_PAD src0_sel:DWORD src1_sel:WORD_0
	s_nop 0
	v_cndmask_b32_e64 v9, 0, v62, s[0:1]
	v_add_u32_e32 v7, v9, v7
	v_mov_b32_e32 v9, v63
; %bb.160:
	s_or_b64 exec, exec, s[56:57]
	v_mov_b32_dpp v62, v7 row_shr:4 row_mask:0xf bank_mask:0xf
	v_mov_b32_dpp v63, v60 row_shr:4 row_mask:0xf bank_mask:0xf
	v_cmp_lt_u32_e64 s[0:1], 3, v61
	;; [unrolled: 18-line block ×3, first 2 shown]
	s_and_saveexec_b64 s[56:57], s[0:1]
; %bb.163:
	v_and_b32_e32 v60, 1, v9
	v_and_b32_e32 v61, 1, v63
	v_cmp_eq_u32_e64 s[0:1], 1, v60
	s_nop 1
	v_cndmask_b32_e64 v61, v61, 1, s[0:1]
	v_cmp_eq_u16_e64 s[0:1], 0, v9
	v_or_b32_sdwa v60, v6, v61 dst_sel:DWORD dst_unused:UNUSED_PAD src0_sel:DWORD src1_sel:WORD_0
	s_nop 0
	v_cndmask_b32_e64 v9, 0, v62, s[0:1]
	v_add_u32_e32 v7, v9, v7
	v_mov_b32_e32 v9, v61
; %bb.164:
	s_or_b64 exec, exec, s[56:57]
	v_and_b32_e32 v63, 16, v8
	v_mov_b32_dpp v61, v7 row_bcast:15 row_mask:0xf bank_mask:0xf
	v_mov_b32_dpp v62, v60 row_bcast:15 row_mask:0xf bank_mask:0xf
	v_cmp_ne_u32_e64 s[0:1], 0, v63
	s_and_saveexec_b64 s[56:57], s[0:1]
; %bb.165:
	v_and_b32_e32 v60, 1, v9
	v_and_b32_e32 v62, 1, v62
	v_cmp_eq_u32_e64 s[0:1], 1, v60
	s_nop 1
	v_cndmask_b32_e64 v62, v62, 1, s[0:1]
	v_cmp_eq_u16_e64 s[0:1], 0, v9
	v_or_b32_sdwa v60, v6, v62 dst_sel:DWORD dst_unused:UNUSED_PAD src0_sel:DWORD src1_sel:WORD_0
	s_nop 0
	v_cndmask_b32_e64 v9, 0, v61, s[0:1]
	v_add_u32_e32 v7, v9, v7
	v_mov_b32_e32 v9, v62
; %bb.166:
	s_or_b64 exec, exec, s[56:57]
	v_mov_b32_dpp v60, v60 row_bcast:31 row_mask:0xf bank_mask:0xf
	v_and_b32_e32 v62, 1, v9
	v_and_b32_e32 v60, 1, v60
	v_cmp_eq_u32_e64 s[0:1], 1, v62
	v_mov_b32_e32 v62, 0
	v_cmp_eq_u16_sdwa s[56:57], v9, v62 src0_sel:BYTE_0 src1_sel:DWORD
	v_cndmask_b32_e64 v60, v60, 1, s[0:1]
	v_cmp_lt_u32_e64 s[0:1], 31, v8
	v_mov_b32_dpp v61, v7 row_bcast:31 row_mask:0xf bank_mask:0xf
	s_movk_i32 s58, 0xff
	v_cndmask_b32_e64 v9, v9, v60, s[0:1]
	s_and_b64 s[0:1], s[0:1], s[56:57]
	v_cndmask_b32_e64 v60, 0, v61, s[0:1]
	v_add_u32_e32 v7, v60, v7
	v_add_u32_e32 v60, -1, v8
	v_and_b32_e32 v61, 64, v8
	v_cmp_lt_i32_e64 s[0:1], v60, v61
	v_and_or_b32 v6, v9, s58, v6
	s_nop 0
	v_cndmask_b32_e64 v8, v60, v8, s[0:1]
	v_lshlrev_b32_e32 v8, 2, v8
	ds_bpermute_b32 v7, v8, v7
	ds_bpermute_b32 v6, v8, v6
	v_cmp_eq_u16_sdwa s[0:1], v3, v62 src0_sel:BYTE_0 src1_sel:DWORD
	; wave barrier
	s_waitcnt lgkmcnt(1)
	s_nop 0
	v_cndmask_b32_e64 v3, 0, v7, s[0:1]
	v_add_u32_e32 v2, v3, v2
	s_waitcnt lgkmcnt(0)
	v_and_b32_e32 v3, 1, v6
	v_cmp_eq_u32_e64 s[0:1], 1, v5
	v_cndmask_b32_e64 v5, v2, v64, s[52:53]
	s_nop 0
	v_cndmask_b32_e64 v3, v3, 1, s[0:1]
	v_cndmask_b32_e64 v6, v3, v65, s[52:53]
	ds_write_b32 v4, v5
	ds_write_b8 v4, v6 offset:4
	; wave barrier
	ds_read_u8 v7, v4 offset:12
	ds_read2_b32 v[2:3], v4 offset0:2 offset1:4
	ds_read_u8 v8, v4 offset:20
	ds_read_b32 v9, v4 offset:24
	ds_read_u8 v60, v4 offset:28
	s_waitcnt lgkmcnt(4)
	v_cmp_eq_u16_e64 s[0:1], 0, v7
	s_nop 1
	v_cndmask_b32_e64 v5, 0, v5, s[0:1]
	s_waitcnt lgkmcnt(3)
	v_add_u32_e32 v2, v5, v2
	v_and_b32_e32 v5, 1, v7
	v_cmp_eq_u32_e64 s[0:1], 1, v5
	s_nop 1
	v_cndmask_b32_e64 v5, v6, 1, s[0:1]
	s_waitcnt lgkmcnt(2)
	v_cmp_eq_u16_e64 s[0:1], 0, v8
	ds_write_b8 v4, v5 offset:12
	s_nop 0
	v_cndmask_b32_e64 v6, 0, v2, s[0:1]
	v_add_u32_e32 v3, v6, v3
	v_and_b32_e32 v6, 1, v8
	v_cmp_eq_u32_e64 s[0:1], 1, v6
	s_nop 1
	v_cndmask_b32_e64 v5, v5, 1, s[0:1]
	s_waitcnt lgkmcnt(1)
	v_cmp_eq_u16_e64 s[0:1], 0, v60
	ds_write2_b32 v4, v2, v3 offset0:2 offset1:4
	ds_write_b8 v4, v5 offset:20
	v_cndmask_b32_e64 v2, 0, v3, s[0:1]
	v_and_b32_e32 v3, 1, v60
	v_add_u32_e32 v2, v2, v9
	v_cmp_eq_u32_e64 s[0:1], 1, v3
	s_nop 1
	v_cndmask_b32_e64 v3, v5, 1, s[0:1]
	ds_write_b32 v4, v2 offset:24
	ds_write_b8 v4, v3 offset:28
.LBB490_167:
	s_or_b64 exec, exec, s[50:51]
	s_waitcnt lgkmcnt(0)
	s_barrier
	s_and_saveexec_b64 s[0:1], s[4:5]
	s_cbranch_execz .LBB490_169
; %bb.168:
	v_add_u32_e32 v2, -1, v0
	v_lshrrev_b32_e32 v3, 5, v2
	v_add_lshl_u32 v2, v3, v2, 3
	ds_read_b32 v64, v2
	ds_read_u8 v65, v2 offset:4
.LBB490_169:
	s_or_b64 exec, exec, s[0:1]
	s_and_saveexec_b64 s[56:57], vcc
	s_cbranch_execz .LBB490_188
; %bb.170:
	v_mov_b32_e32 v5, 0
	ds_read_b64 v[2:3], v5 offset:2096
	v_mbcnt_lo_u32_b32 v4, -1, 0
	v_mbcnt_hi_u32_b32 v75, -1, v4
	s_mov_b32 s59, 0
	v_cmp_eq_u32_e64 s[50:51], 0, v75
	s_waitcnt lgkmcnt(0)
	v_readfirstlane_b32 s68, v3
	s_and_saveexec_b64 s[0:1], s[50:51]
	s_cbranch_execz .LBB490_172
; %bb.171:
	s_add_i32 s58, s67, 64
	s_lshl_b64 s[60:61], s[58:59], 4
	s_add_u32 s60, s64, s60
	s_addc_u32 s61, s65, s61
	s_and_b32 s77, s68, 0xff000000
	s_mov_b32 s76, s59
	s_and_b32 s79, s68, 0xff0000
	s_mov_b32 s78, s59
	s_or_b64 s[76:77], s[78:79], s[76:77]
	s_and_b32 s79, s68, 0xff00
	s_or_b64 s[76:77], s[76:77], s[78:79]
	s_and_b32 s79, s68, 0xff
	s_or_b64 s[58:59], s[76:77], s[78:79]
	v_mov_b32_e32 v3, s59
	v_mov_b32_e32 v4, 1
	v_mov_b64_e32 v[6:7], s[60:61]
	;;#ASMSTART
	global_store_dwordx4 v[6:7], v[2:5] off sc1	
s_waitcnt vmcnt(0)
	;;#ASMEND
.LBB490_172:
	s_or_b64 exec, exec, s[0:1]
	v_xad_u32 v60, v75, -1, s67
	v_add_u32_e32 v4, 64, v60
	v_lshl_add_u64 v[62:63], v[4:5], 4, s[64:65]
	;;#ASMSTART
	global_load_dwordx4 v[6:9], v[62:63] off sc1	
s_waitcnt vmcnt(0)
	;;#ASMEND
	s_nop 0
	v_and_b32_e32 v3, 0xff0000, v6
	v_and_b32_e32 v4, 0xff000000, v6
	;; [unrolled: 1-line block ×3, first 2 shown]
	v_or_b32_sdwa v3, v6, v3 dst_sel:DWORD dst_unused:UNUSED_PAD src0_sel:WORD_0 src1_sel:DWORD
	v_or3_b32 v7, 0, 0, v7
	v_or3_b32 v6, v3, v4, 0
	v_cmp_eq_u16_sdwa s[58:59], v8, v5 src0_sel:BYTE_0 src1_sel:DWORD
	s_and_saveexec_b64 s[0:1], s[58:59]
	s_cbranch_execz .LBB490_176
; %bb.173:
	s_mov_b64 s[58:59], 0
	v_mov_b32_e32 v3, 0
.LBB490_174:                            ; =>This Inner Loop Header: Depth=1
	;;#ASMSTART
	global_load_dwordx4 v[6:9], v[62:63] off sc1	
s_waitcnt vmcnt(0)
	;;#ASMEND
	s_nop 0
	v_cmp_ne_u16_sdwa s[60:61], v8, v3 src0_sel:BYTE_0 src1_sel:DWORD
	s_or_b64 s[58:59], s[60:61], s[58:59]
	s_andn2_b64 exec, exec, s[58:59]
	s_cbranch_execnz .LBB490_174
; %bb.175:
	s_or_b64 exec, exec, s[58:59]
	v_and_b32_e32 v7, 0xff, v7
.LBB490_176:
	s_or_b64 exec, exec, s[0:1]
	v_mov_b32_e32 v3, 2
	v_cmp_eq_u16_sdwa s[0:1], v8, v3 src0_sel:BYTE_0 src1_sel:DWORD
	v_lshlrev_b64 v[4:5], v75, -1
	v_and_b32_e32 v66, 63, v75
	v_and_b32_e32 v9, s1, v5
	v_or_b32_e32 v9, 0x80000000, v9
	v_and_b32_e32 v61, s0, v4
	v_ffbl_b32_e32 v9, v9
	v_add_u32_e32 v9, 32, v9
	v_ffbl_b32_e32 v61, v61
	v_cmp_ne_u32_e32 vcc, 63, v66
	v_min_u32_e32 v9, v61, v9
	s_mov_b32 s58, 0
	v_addc_co_u32_e32 v61, vcc, 0, v75, vcc
	v_lshlrev_b32_e32 v67, 2, v61
	ds_bpermute_b32 v61, v67, v7
	ds_bpermute_b32 v62, v67, v6
	v_and_b32_e32 v63, 1, v7
	s_mov_b32 s59, 1
	v_cmp_eq_u32_e32 vcc, 1, v63
	s_waitcnt lgkmcnt(1)
	v_and_b32_e32 v61, 1, v61
	v_cmp_lt_u32_e64 s[0:1], v66, v9
	v_cndmask_b32_e64 v61, v61, 1, vcc
	v_cmp_gt_u64_e32 vcc, s[58:59], v[6:7]
	s_and_b64 vcc, s[0:1], vcc
	v_and_b32_e32 v63, 0xffff, v61
	v_cndmask_b32_e64 v70, v7, v61, s[0:1]
	s_waitcnt lgkmcnt(0)
	v_cndmask_b32_e32 v61, 0, v62, vcc
	v_cmp_gt_u32_e32 vcc, 62, v66
	v_cndmask_b32_e64 v7, v7, v63, s[0:1]
	v_add_u32_e32 v6, v61, v6
	v_cndmask_b32_e64 v62, 0, 1, vcc
	v_lshlrev_b32_e32 v62, 1, v62
	v_add_lshl_u32 v68, v62, v75, 2
	ds_bpermute_b32 v62, v68, v7
	ds_bpermute_b32 v63, v68, v6
	v_and_b32_e32 v61, 1, v70
	v_cmp_eq_u32_e32 vcc, 1, v61
	v_mov_b32_e32 v61, 0
	s_waitcnt lgkmcnt(1)
	v_and_b32_e32 v62, 1, v62
	v_add_u32_e32 v69, 2, v66
	v_cndmask_b32_e64 v62, v62, 1, vcc
	v_cmp_eq_u16_sdwa vcc, v70, v61 src0_sel:BYTE_0 src1_sel:DWORD
	v_and_b32_e32 v71, 0xffff, v62
	v_add_u32_e32 v79, 32, v66
	s_waitcnt lgkmcnt(0)
	v_cndmask_b32_e32 v63, 0, v63, vcc
	v_cmp_gt_u32_e32 vcc, v69, v9
	s_nop 1
	v_cndmask_b32_e32 v62, v62, v70, vcc
	v_cndmask_b32_e64 v63, v63, 0, vcc
	v_cndmask_b32_e32 v7, v71, v7, vcc
	v_cmp_gt_u32_e32 vcc, 60, v66
	v_add_u32_e32 v6, v63, v6
	v_and_b32_e32 v73, 1, v62
	v_cndmask_b32_e64 v70, 0, 1, vcc
	v_lshlrev_b32_e32 v70, 2, v70
	v_add_lshl_u32 v70, v70, v75, 2
	ds_bpermute_b32 v72, v70, v7
	ds_bpermute_b32 v63, v70, v6
	v_cmp_eq_u32_e32 vcc, 1, v73
	v_add_u32_e32 v71, 4, v66
	s_waitcnt lgkmcnt(1)
	v_and_b32_e32 v72, 1, v72
	v_cndmask_b32_e64 v72, v72, 1, vcc
	v_cmp_eq_u16_sdwa vcc, v62, v61 src0_sel:BYTE_0 src1_sel:DWORD
	v_and_b32_e32 v73, 0xffff, v72
	s_waitcnt lgkmcnt(0)
	v_cndmask_b32_e32 v63, 0, v63, vcc
	v_cmp_gt_u32_e32 vcc, v71, v9
	s_nop 1
	v_cndmask_b32_e32 v62, v72, v62, vcc
	v_cndmask_b32_e64 v63, v63, 0, vcc
	v_cndmask_b32_e32 v7, v73, v7, vcc
	v_cmp_gt_u32_e32 vcc, 56, v66
	v_add_u32_e32 v6, v63, v6
	v_and_b32_e32 v76, 1, v62
	v_cndmask_b32_e64 v72, 0, 1, vcc
	v_lshlrev_b32_e32 v72, 3, v72
	v_add_lshl_u32 v72, v72, v75, 2
	ds_bpermute_b32 v74, v72, v7
	ds_bpermute_b32 v63, v72, v6
	v_cmp_eq_u32_e32 vcc, 1, v76
	v_add_u32_e32 v73, 8, v66
	s_waitcnt lgkmcnt(1)
	v_and_b32_e32 v74, 1, v74
	v_cndmask_b32_e64 v74, v74, 1, vcc
	v_cmp_eq_u16_sdwa vcc, v62, v61 src0_sel:BYTE_0 src1_sel:DWORD
	v_and_b32_e32 v76, 0xffff, v74
	;; [unrolled: 22-line block ×3, first 2 shown]
	s_waitcnt lgkmcnt(0)
	v_cndmask_b32_e32 v63, 0, v63, vcc
	v_cmp_gt_u32_e32 vcc, v76, v9
	s_nop 1
	v_cndmask_b32_e32 v62, v77, v62, vcc
	v_cndmask_b32_e64 v63, v63, 0, vcc
	v_cndmask_b32_e32 v7, v78, v7, vcc
	v_cmp_gt_u32_e32 vcc, 32, v66
	v_add_u32_e32 v6, v63, v6
	s_nop 0
	v_cndmask_b32_e64 v77, 0, 1, vcc
	v_lshlrev_b32_e32 v77, 5, v77
	v_add_lshl_u32 v78, v77, v75, 2
	ds_bpermute_b32 v7, v78, v7
	ds_bpermute_b32 v63, v78, v6
	v_and_b32_e32 v75, 1, v62
	v_cmp_eq_u32_e32 vcc, 1, v75
	s_waitcnt lgkmcnt(1)
	v_and_b32_e32 v7, 1, v7
	v_cndmask_b32_e64 v7, v7, 1, vcc
	v_cmp_eq_u16_sdwa vcc, v62, v61 src0_sel:BYTE_0 src1_sel:DWORD
	s_waitcnt lgkmcnt(0)
	s_nop 0
	v_cndmask_b32_e32 v63, 0, v63, vcc
	v_cmp_gt_u32_e32 vcc, v79, v9
	s_nop 1
	v_cndmask_b32_e64 v9, v63, 0, vcc
	v_cndmask_b32_e32 v7, v7, v62, vcc
	v_add_u32_e32 v6, v9, v6
	s_branch .LBB490_178
.LBB490_177:                            ;   in Loop: Header=BB490_178 Depth=1
	s_or_b64 exec, exec, s[0:1]
	v_cmp_eq_u16_sdwa s[0:1], v8, v3 src0_sel:BYTE_0 src1_sel:DWORD
	ds_bpermute_b32 v63, v67, v7
	v_and_b32_e32 v80, 1, v7
	v_and_b32_e32 v9, s1, v5
	v_or_b32_e32 v9, 0x80000000, v9
	v_and_b32_e32 v62, s0, v4
	v_ffbl_b32_e32 v9, v9
	v_add_u32_e32 v9, 32, v9
	v_ffbl_b32_e32 v62, v62
	v_min_u32_e32 v9, v62, v9
	ds_bpermute_b32 v62, v67, v6
	s_waitcnt lgkmcnt(1)
	v_and_b32_e32 v63, 1, v63
	v_cmp_eq_u32_e32 vcc, 1, v80
	v_cmp_lt_u32_e64 s[0:1], v66, v9
	v_subrev_u32_e32 v60, 64, v60
	v_cndmask_b32_e64 v63, v63, 1, vcc
	v_cmp_gt_u64_e32 vcc, s[58:59], v[6:7]
	v_and_b32_e32 v80, 0xffff, v63
	v_cndmask_b32_e64 v63, v7, v63, s[0:1]
	v_cndmask_b32_e64 v7, v7, v80, s[0:1]
	s_and_b64 vcc, s[0:1], vcc
	ds_bpermute_b32 v80, v68, v7
	s_waitcnt lgkmcnt(1)
	v_cndmask_b32_e32 v62, 0, v62, vcc
	v_add_u32_e32 v6, v62, v6
	ds_bpermute_b32 v62, v68, v6
	v_and_b32_e32 v81, 1, v63
	s_waitcnt lgkmcnt(1)
	v_and_b32_e32 v80, 1, v80
	v_cmp_eq_u32_e32 vcc, 1, v81
	s_nop 1
	v_cndmask_b32_e64 v80, v80, 1, vcc
	v_cmp_eq_u16_sdwa vcc, v63, v61 src0_sel:BYTE_0 src1_sel:DWORD
	v_and_b32_e32 v81, 0xffff, v80
	s_waitcnt lgkmcnt(0)
	v_cndmask_b32_e32 v62, 0, v62, vcc
	v_cmp_gt_u32_e32 vcc, v69, v9
	s_nop 1
	v_cndmask_b32_e32 v7, v81, v7, vcc
	v_cndmask_b32_e32 v63, v80, v63, vcc
	ds_bpermute_b32 v80, v70, v7
	v_cndmask_b32_e64 v62, v62, 0, vcc
	v_add_u32_e32 v6, v62, v6
	ds_bpermute_b32 v62, v70, v6
	v_and_b32_e32 v81, 1, v63
	s_waitcnt lgkmcnt(1)
	v_and_b32_e32 v80, 1, v80
	v_cmp_eq_u32_e32 vcc, 1, v81
	s_nop 1
	v_cndmask_b32_e64 v80, v80, 1, vcc
	v_cmp_eq_u16_sdwa vcc, v63, v61 src0_sel:BYTE_0 src1_sel:DWORD
	v_and_b32_e32 v81, 0xffff, v80
	s_waitcnt lgkmcnt(0)
	v_cndmask_b32_e32 v62, 0, v62, vcc
	v_cmp_gt_u32_e32 vcc, v71, v9
	s_nop 1
	v_cndmask_b32_e32 v7, v81, v7, vcc
	v_cndmask_b32_e32 v63, v80, v63, vcc
	ds_bpermute_b32 v80, v72, v7
	v_cndmask_b32_e64 v62, v62, 0, vcc
	;; [unrolled: 18-line block ×3, first 2 shown]
	v_add_u32_e32 v6, v62, v6
	ds_bpermute_b32 v62, v74, v6
	v_and_b32_e32 v81, 1, v63
	s_waitcnt lgkmcnt(1)
	v_and_b32_e32 v80, 1, v80
	v_cmp_eq_u32_e32 vcc, 1, v81
	s_nop 1
	v_cndmask_b32_e64 v80, v80, 1, vcc
	v_cmp_eq_u16_sdwa vcc, v63, v61 src0_sel:BYTE_0 src1_sel:DWORD
	v_and_b32_e32 v81, 0xffff, v80
	s_waitcnt lgkmcnt(0)
	v_cndmask_b32_e32 v62, 0, v62, vcc
	v_cmp_gt_u32_e32 vcc, v76, v9
	s_nop 1
	v_cndmask_b32_e64 v62, v62, 0, vcc
	v_cndmask_b32_e32 v7, v81, v7, vcc
	ds_bpermute_b32 v7, v78, v7
	v_add_u32_e32 v6, v62, v6
	ds_bpermute_b32 v62, v78, v6
	v_cndmask_b32_e32 v63, v80, v63, vcc
	v_and_b32_e32 v80, 1, v63
	v_cmp_eq_u32_e32 vcc, 1, v80
	s_waitcnt lgkmcnt(1)
	s_nop 0
	v_cndmask_b32_e64 v7, v7, 1, vcc
	v_cmp_eq_u16_sdwa vcc, v63, v61 src0_sel:BYTE_0 src1_sel:DWORD
	s_waitcnt lgkmcnt(0)
	s_nop 0
	v_cndmask_b32_e32 v62, 0, v62, vcc
	v_cmp_gt_u32_e32 vcc, v79, v9
	s_nop 1
	v_cndmask_b32_e64 v9, v62, 0, vcc
	v_cndmask_b32_e32 v7, v7, v63, vcc
	v_add_u32_e32 v6, v9, v6
	v_cmp_eq_u16_sdwa vcc, v75, v61 src0_sel:BYTE_0 src1_sel:DWORD
	v_and_b32_e32 v9, 1, v75
	v_and_b32_e32 v7, 1, v7
	v_cndmask_b32_e32 v6, 0, v6, vcc
	v_cmp_eq_u32_e32 vcc, 1, v9
	v_add_u32_e32 v6, v6, v77
	s_nop 0
	v_cndmask_b32_e64 v7, v7, 1, vcc
.LBB490_178:                            ; =>This Loop Header: Depth=1
                                        ;     Child Loop BB490_181 Depth 2
	v_cmp_ne_u16_sdwa s[0:1], v8, v3 src0_sel:BYTE_0 src1_sel:DWORD
	v_mov_b32_e32 v75, v7
	v_mov_b32_e32 v77, v6
	v_cndmask_b32_e64 v7, 0, 1, s[0:1]
	;;#ASMSTART
	;;#ASMEND
	s_nop 0
	v_cmp_ne_u32_e32 vcc, 0, v7
	s_cmp_lg_u64 vcc, exec
	s_cbranch_scc1 .LBB490_183
; %bb.179:                              ;   in Loop: Header=BB490_178 Depth=1
	v_lshl_add_u64 v[62:63], v[60:61], 4, s[64:65]
	;;#ASMSTART
	global_load_dwordx4 v[6:9], v[62:63] off sc1	
s_waitcnt vmcnt(0)
	;;#ASMEND
	s_nop 0
	v_and_b32_e32 v9, 0xff0000, v6
	v_and_b32_e32 v80, 0xff000000, v6
	;; [unrolled: 1-line block ×3, first 2 shown]
	v_or_b32_sdwa v6, v6, v9 dst_sel:DWORD dst_unused:UNUSED_PAD src0_sel:WORD_0 src1_sel:DWORD
	v_or3_b32 v7, 0, 0, v7
	v_or3_b32 v6, v6, v80, 0
	v_cmp_eq_u16_sdwa s[60:61], v8, v61 src0_sel:BYTE_0 src1_sel:DWORD
	s_and_saveexec_b64 s[0:1], s[60:61]
	s_cbranch_execz .LBB490_177
; %bb.180:                              ;   in Loop: Header=BB490_178 Depth=1
	s_mov_b64 s[60:61], 0
.LBB490_181:                            ;   Parent Loop BB490_178 Depth=1
                                        ; =>  This Inner Loop Header: Depth=2
	;;#ASMSTART
	global_load_dwordx4 v[6:9], v[62:63] off sc1	
s_waitcnt vmcnt(0)
	;;#ASMEND
	s_nop 0
	v_cmp_ne_u16_sdwa s[76:77], v8, v61 src0_sel:BYTE_0 src1_sel:DWORD
	s_or_b64 s[60:61], s[76:77], s[60:61]
	s_andn2_b64 exec, exec, s[60:61]
	s_cbranch_execnz .LBB490_181
; %bb.182:                              ;   in Loop: Header=BB490_178 Depth=1
	s_or_b64 exec, exec, s[60:61]
	v_and_b32_e32 v7, 0xff, v7
	s_branch .LBB490_177
.LBB490_183:                            ;   in Loop: Header=BB490_178 Depth=1
                                        ; implicit-def: $vgpr7
                                        ; implicit-def: $vgpr6
                                        ; implicit-def: $vgpr8
	s_cbranch_execz .LBB490_178
; %bb.184:
	s_and_saveexec_b64 s[0:1], s[50:51]
	s_cbranch_execz .LBB490_186
; %bb.185:
	s_and_b32 s50, s68, 0xff
	s_cmp_eq_u32 s50, 0
	s_cselect_b64 vcc, -1, 0
	s_bitcmp1_b32 s68, 0
	s_mov_b32 s51, 0
	s_cselect_b64 s[58:59], -1, 0
	s_add_i32 s50, s67, 64
	s_lshl_b64 s[50:51], s[50:51], 4
	v_cndmask_b32_e32 v3, 0, v77, vcc
	s_add_u32 s50, s64, s50
	v_add_u32_e32 v2, v3, v2
	v_and_b32_e32 v3, 1, v75
	s_addc_u32 s51, s65, s51
	v_mov_b32_e32 v5, 0
	v_cndmask_b32_e64 v3, v3, 1, s[58:59]
	v_mov_b32_e32 v4, 2
	v_mov_b64_e32 v[6:7], s[50:51]
	;;#ASMSTART
	global_store_dwordx4 v[6:7], v[2:5] off sc1	
s_waitcnt vmcnt(0)
	;;#ASMEND
.LBB490_186:
	s_or_b64 exec, exec, s[0:1]
	s_and_b64 exec, exec, s[52:53]
	s_cbranch_execz .LBB490_188
; %bb.187:
	v_mov_b32_e32 v2, 0
	ds_write_b32 v2, v77
	ds_write_b8 v2, v75 offset:4
.LBB490_188:
	s_or_b64 exec, exec, s[56:57]
	v_mov_b32_e32 v2, 0
	s_waitcnt lgkmcnt(0)
	s_barrier
	ds_read_b32 v3, v2
	v_cmp_eq_u16_sdwa vcc, v65, v2 src0_sel:BYTE_0 src1_sel:DWORD
	s_waitcnt lgkmcnt(0)
	s_nop 0
	v_cndmask_b32_e32 v4, 0, v3, vcc
	v_add_u32_e32 v4, v4, v64
	v_cndmask_b32_e64 v60, v4, v3, s[52:53]
	v_and_b32_e32 v3, 0xff, v13
	v_cmp_eq_u64_e32 vcc, 0, v[2:3]
	s_nop 1
	v_cndmask_b32_e32 v2, 0, v60, vcc
	v_add_u32_e32 v61, v2, v12
	v_cndmask_b32_e64 v2, 0, v61, s[6:7]
	v_add_u32_e32 v62, v2, v14
	v_cndmask_b32_e64 v2, 0, v62, s[8:9]
	;; [unrolled: 2-line block ×21, first 2 shown]
	v_add_u32_e32 v82, v2, v54
	s_branch .LBB490_209
.LBB490_189:
                                        ; implicit-def: $vgpr81
                                        ; implicit-def: $vgpr80
                                        ; implicit-def: $vgpr79
                                        ; implicit-def: $vgpr78
                                        ; implicit-def: $vgpr77
                                        ; implicit-def: $vgpr76
                                        ; implicit-def: $vgpr75
                                        ; implicit-def: $vgpr74
                                        ; implicit-def: $vgpr73
                                        ; implicit-def: $vgpr72
                                        ; implicit-def: $vgpr71
                                        ; implicit-def: $vgpr70
                                        ; implicit-def: $vgpr69
                                        ; implicit-def: $vgpr68
                                        ; implicit-def: $vgpr67
                                        ; implicit-def: $vgpr66
                                        ; implicit-def: $vgpr65
                                        ; implicit-def: $vgpr64
                                        ; implicit-def: $vgpr63
                                        ; implicit-def: $vgpr62
                                        ; implicit-def: $vgpr61
                                        ; implicit-def: $vgpr60
                                        ; implicit-def: $vgpr82
	s_cbranch_execz .LBB490_209
; %bb.190:
	s_cmp_lg_u64 s[72:73], 0
	s_cselect_b32 s7, s71, 0
	s_cselect_b32 s6, s70, 0
	s_mov_b32 s0, 0
	s_cmp_eq_u64 s[6:7], 0
	v_mov_b32_e32 v4, s74
	s_cbranch_scc1 .LBB490_192
; %bb.191:
	v_mov_b32_e32 v2, 0
	global_load_dword v4, v2, s[6:7]
.LBB490_192:
	s_mov_b32 s1, 1
	v_cmp_gt_u64_e32 vcc, s[0:1], v[14:15]
	v_cmp_gt_u64_e64 s[6:7], s[0:1], v[16:17]
	v_cmp_gt_u64_e64 s[8:9], s[0:1], v[18:19]
	v_cndmask_b32_e32 v2, 0, v12, vcc
	v_add_u32_e32 v2, v2, v14
	v_cndmask_b32_e64 v2, 0, v2, s[6:7]
	v_add_u32_e32 v2, v2, v16
	v_cndmask_b32_e64 v2, 0, v2, s[8:9]
	v_add_u32_e32 v2, v2, v18
	v_cmp_gt_u64_e64 s[10:11], s[0:1], v[20:21]
	v_cmp_gt_u64_e64 s[12:13], s[0:1], v[22:23]
	v_cmp_gt_u64_e64 s[14:15], s[0:1], v[24:25]
	v_cndmask_b32_e64 v2, 0, v2, s[10:11]
	v_add_u32_e32 v2, v2, v20
	v_cndmask_b32_e64 v2, 0, v2, s[12:13]
	v_add_u32_e32 v2, v2, v22
	v_cndmask_b32_e64 v2, 0, v2, s[14:15]
	v_add_u32_e32 v2, v2, v24
	v_cmp_gt_u64_e64 s[16:17], s[0:1], v[26:27]
	v_cmp_gt_u64_e64 s[18:19], s[0:1], v[28:29]
	v_cmp_gt_u64_e64 s[20:21], s[0:1], v[30:31]
	v_cndmask_b32_e64 v2, 0, v2, s[16:17]
	;; [unrolled: 9-line block ×6, first 2 shown]
	v_add_u32_e32 v2, v2, v50
	v_cndmask_b32_e64 v2, 0, v2, s[44:45]
	v_add_u32_e32 v2, v2, v52
	v_cndmask_b32_e64 v2, 0, v2, s[46:47]
	v_add_u32_e32 v2, v2, v54
	v_cmp_gt_u64_e64 s[0:1], s[0:1], v[58:59]
	v_add_lshl_u32 v1, v1, v0, 3
	s_nop 0
	v_cndmask_b32_e64 v2, 0, v2, s[0:1]
	v_add_u32_e32 v5, v2, v58
	v_or3_b32 v2, v57, v53, v51
	v_or3_b32 v2, v2, v49, v47
	;; [unrolled: 1-line block ×10, first 2 shown]
	v_and_b32_e32 v2, 1, v2
	v_cmp_eq_u32_e64 s[0:1], 1, v2
	s_nop 1
	v_cndmask_b32_e64 v6, v13, 1, s[0:1]
	v_cmp_gt_u32_e64 s[0:1], 64, v0
	ds_write_b32 v1, v5
	ds_write_b8 v1, v6 offset:4
	s_waitcnt lgkmcnt(0)
	s_barrier
	s_and_saveexec_b64 s[48:49], s[0:1]
	s_cbranch_execz .LBB490_204
; %bb.193:
	v_lshrrev_b32_e32 v1, 3, v0
	v_add_lshl_u32 v1, v1, v56, 3
	ds_read2_b32 v[8:9], v1 offset0:2 offset1:4
	ds_read_b64 v[2:3], v1
	ds_read_u8 v15, v1 offset:12
	ds_read_u8 v17, v1 offset:20
	ds_read_b32 v19, v1 offset:24
	ds_read_u8 v21, v1 offset:28
	v_mov_b32_e32 v23, 0
	s_waitcnt lgkmcnt(3)
	v_cmp_eq_u16_sdwa s[0:1], v15, v23 src0_sel:BYTE_0 src1_sel:DWORD
	v_and_b32_e32 v7, 1, v3
	s_nop 0
	v_cndmask_b32_e64 v25, 0, v2, s[0:1]
	v_add_u32_e32 v8, v25, v8
	s_waitcnt lgkmcnt(2)
	v_cmp_eq_u16_sdwa s[0:1], v17, v23 src0_sel:BYTE_0 src1_sel:DWORD
	s_nop 1
	v_cndmask_b32_e64 v8, 0, v8, s[0:1]
	v_add_u32_e32 v8, v8, v9
	s_waitcnt lgkmcnt(0)
	v_cmp_eq_u16_e64 s[0:1], 0, v21
	s_nop 1
	v_cndmask_b32_e64 v8, 0, v8, s[0:1]
	v_add_u32_e32 v9, v8, v19
	v_or_b32_e32 v8, v21, v17
	v_or_b32_e32 v8, v8, v15
	v_and_b32_e32 v8, 1, v8
	v_cmp_eq_u32_e64 s[0:1], 1, v8
	v_mbcnt_lo_u32_b32 v15, -1, 0
	v_and_b32_e32 v8, 0xffffff00, v3
	v_cndmask_b32_e64 v17, v7, 1, s[0:1]
	v_mbcnt_hi_u32_b32 v15, -1, v15
	v_and_b32_e32 v21, 15, v15
	v_or_b32_sdwa v19, v8, v17 dst_sel:DWORD dst_unused:UNUSED_PAD src0_sel:DWORD src1_sel:WORD_0
	v_mov_b32_dpp v23, v9 row_shr:1 row_mask:0xf bank_mask:0xf
	v_cmp_ne_u32_e64 s[0:1], 0, v21
	v_mov_b32_dpp v25, v19 row_shr:1 row_mask:0xf bank_mask:0xf
	s_and_saveexec_b64 s[50:51], s[0:1]
; %bb.194:
	v_and_b32_e32 v19, 1, v17
	v_and_b32_e32 v25, 1, v25
	v_cmp_eq_u32_e64 s[0:1], 1, v19
	s_nop 1
	v_cndmask_b32_e64 v25, v25, 1, s[0:1]
	v_cmp_eq_u16_e64 s[0:1], 0, v17
	v_or_b32_sdwa v19, v8, v25 dst_sel:DWORD dst_unused:UNUSED_PAD src0_sel:DWORD src1_sel:WORD_0
	s_nop 0
	v_cndmask_b32_e64 v17, 0, v23, s[0:1]
	v_add_u32_e32 v9, v17, v9
	v_mov_b32_e32 v17, v25
; %bb.195:
	s_or_b64 exec, exec, s[50:51]
	v_mov_b32_dpp v23, v9 row_shr:2 row_mask:0xf bank_mask:0xf
	v_mov_b32_dpp v25, v19 row_shr:2 row_mask:0xf bank_mask:0xf
	v_cmp_lt_u32_e64 s[0:1], 1, v21
	s_and_saveexec_b64 s[50:51], s[0:1]
; %bb.196:
	v_and_b32_e32 v19, 1, v17
	v_and_b32_e32 v25, 1, v25
	v_cmp_eq_u32_e64 s[0:1], 1, v19
	s_nop 1
	v_cndmask_b32_e64 v25, v25, 1, s[0:1]
	v_cmp_eq_u16_e64 s[0:1], 0, v17
	v_or_b32_sdwa v19, v8, v25 dst_sel:DWORD dst_unused:UNUSED_PAD src0_sel:DWORD src1_sel:WORD_0
	s_nop 0
	v_cndmask_b32_e64 v17, 0, v23, s[0:1]
	v_add_u32_e32 v9, v17, v9
	v_mov_b32_e32 v17, v25
; %bb.197:
	s_or_b64 exec, exec, s[50:51]
	v_mov_b32_dpp v23, v9 row_shr:4 row_mask:0xf bank_mask:0xf
	v_mov_b32_dpp v25, v19 row_shr:4 row_mask:0xf bank_mask:0xf
	v_cmp_lt_u32_e64 s[0:1], 3, v21
	;; [unrolled: 18-line block ×3, first 2 shown]
	s_and_saveexec_b64 s[50:51], s[0:1]
; %bb.200:
	v_and_b32_e32 v19, 1, v17
	v_and_b32_e32 v21, 1, v25
	v_cmp_eq_u32_e64 s[0:1], 1, v19
	s_nop 1
	v_cndmask_b32_e64 v21, v21, 1, s[0:1]
	v_cmp_eq_u16_e64 s[0:1], 0, v17
	v_or_b32_sdwa v19, v8, v21 dst_sel:DWORD dst_unused:UNUSED_PAD src0_sel:DWORD src1_sel:WORD_0
	s_nop 0
	v_cndmask_b32_e64 v17, 0, v23, s[0:1]
	v_add_u32_e32 v9, v17, v9
	v_mov_b32_e32 v17, v21
; %bb.201:
	s_or_b64 exec, exec, s[50:51]
	v_and_b32_e32 v25, 16, v15
	v_mov_b32_dpp v21, v9 row_bcast:15 row_mask:0xf bank_mask:0xf
	v_mov_b32_dpp v23, v19 row_bcast:15 row_mask:0xf bank_mask:0xf
	v_cmp_ne_u32_e64 s[0:1], 0, v25
	s_and_saveexec_b64 s[50:51], s[0:1]
; %bb.202:
	v_and_b32_e32 v19, 1, v17
	v_and_b32_e32 v23, 1, v23
	v_cmp_eq_u32_e64 s[0:1], 1, v19
	s_nop 1
	v_cndmask_b32_e64 v23, v23, 1, s[0:1]
	v_cmp_eq_u16_e64 s[0:1], 0, v17
	v_or_b32_sdwa v19, v8, v23 dst_sel:DWORD dst_unused:UNUSED_PAD src0_sel:DWORD src1_sel:WORD_0
	s_nop 0
	v_cndmask_b32_e64 v17, 0, v21, s[0:1]
	v_add_u32_e32 v9, v17, v9
	v_mov_b32_e32 v17, v23
; %bb.203:
	s_or_b64 exec, exec, s[50:51]
	v_mov_b32_dpp v19, v19 row_bcast:31 row_mask:0xf bank_mask:0xf
	v_and_b32_e32 v23, 1, v17
	v_and_b32_e32 v19, 1, v19
	v_cmp_eq_u32_e64 s[0:1], 1, v23
	v_mov_b32_e32 v23, 0
	v_cmp_eq_u16_sdwa s[50:51], v17, v23 src0_sel:BYTE_0 src1_sel:DWORD
	v_cndmask_b32_e64 v19, v19, 1, s[0:1]
	v_cmp_lt_u32_e64 s[0:1], 31, v15
	v_mov_b32_dpp v21, v9 row_bcast:31 row_mask:0xf bank_mask:0xf
	s_movk_i32 s56, 0xff
	v_cndmask_b32_e64 v17, v17, v19, s[0:1]
	s_and_b64 s[0:1], s[0:1], s[50:51]
	v_cndmask_b32_e64 v19, 0, v21, s[0:1]
	v_add_u32_e32 v9, v19, v9
	v_add_u32_e32 v19, -1, v15
	v_and_b32_e32 v21, 64, v15
	v_cmp_lt_i32_e64 s[0:1], v19, v21
	v_and_or_b32 v8, v17, s56, v8
	s_nop 0
	v_cndmask_b32_e64 v15, v19, v15, s[0:1]
	v_lshlrev_b32_e32 v15, 2, v15
	ds_bpermute_b32 v9, v15, v9
	ds_bpermute_b32 v8, v15, v8
	v_cmp_eq_u16_sdwa s[0:1], v3, v23 src0_sel:BYTE_0 src1_sel:DWORD
	; wave barrier
	s_waitcnt lgkmcnt(1)
	s_nop 0
	v_cndmask_b32_e64 v3, 0, v9, s[0:1]
	v_add_u32_e32 v2, v3, v2
	s_waitcnt lgkmcnt(0)
	v_and_b32_e32 v3, 1, v8
	v_cmp_eq_u32_e64 s[0:1], 1, v7
	v_cndmask_b32_e64 v5, v2, v5, s[52:53]
	s_nop 0
	v_cndmask_b32_e64 v3, v3, 1, s[0:1]
	v_cndmask_b32_e64 v6, v3, v6, s[52:53]
	ds_write_b32 v1, v5
	ds_write_b8 v1, v6 offset:4
	; wave barrier
	ds_read_u8 v7, v1 offset:12
	ds_read2_b32 v[2:3], v1 offset0:2 offset1:4
	ds_read_u8 v8, v1 offset:20
	ds_read_b32 v9, v1 offset:24
	ds_read_u8 v15, v1 offset:28
	s_waitcnt lgkmcnt(4)
	v_cmp_eq_u16_e64 s[0:1], 0, v7
	s_nop 1
	v_cndmask_b32_e64 v5, 0, v5, s[0:1]
	s_waitcnt lgkmcnt(3)
	v_add_u32_e32 v2, v5, v2
	v_and_b32_e32 v5, 1, v7
	v_cmp_eq_u32_e64 s[0:1], 1, v5
	s_nop 1
	v_cndmask_b32_e64 v5, v6, 1, s[0:1]
	s_waitcnt lgkmcnt(2)
	v_cmp_eq_u16_e64 s[0:1], 0, v8
	ds_write_b8 v1, v5 offset:12
	s_nop 0
	v_cndmask_b32_e64 v6, 0, v2, s[0:1]
	v_add_u32_e32 v3, v6, v3
	v_and_b32_e32 v6, 1, v8
	v_cmp_eq_u32_e64 s[0:1], 1, v6
	s_nop 1
	v_cndmask_b32_e64 v5, v5, 1, s[0:1]
	s_waitcnt lgkmcnt(1)
	v_cmp_eq_u16_e64 s[0:1], 0, v15
	ds_write2_b32 v1, v2, v3 offset0:2 offset1:4
	ds_write_b8 v1, v5 offset:20
	v_cndmask_b32_e64 v2, 0, v3, s[0:1]
	v_and_b32_e32 v3, 1, v15
	v_add_u32_e32 v2, v2, v9
	v_cmp_eq_u32_e64 s[0:1], 1, v3
	s_nop 1
	v_cndmask_b32_e64 v3, v5, 1, s[0:1]
	ds_write_b32 v1, v2 offset:24
	ds_write_b8 v1, v3 offset:28
.LBB490_204:
	s_or_b64 exec, exec, s[48:49]
	s_waitcnt vmcnt(0)
	v_mov_b32_e32 v60, v4
	s_waitcnt lgkmcnt(0)
	s_barrier
	s_and_saveexec_b64 s[48:49], s[4:5]
	s_cbranch_execz .LBB490_206
; %bb.205:
	v_add_u32_e32 v1, -1, v0
	v_lshrrev_b32_e32 v2, 5, v1
	v_add_lshl_u32 v1, v2, v1, 3
	ds_read_u8 v2, v1 offset:4
	ds_read_b32 v1, v1
	s_waitcnt lgkmcnt(1)
	v_cmp_eq_u16_e64 s[0:1], 0, v2
	s_nop 1
	v_cndmask_b32_e64 v2, 0, v4, s[0:1]
	s_waitcnt lgkmcnt(0)
	v_add_u32_e32 v60, v2, v1
.LBB490_206:
	s_or_b64 exec, exec, s[48:49]
	v_and_b32_e32 v3, 0xff, v13
	v_mov_b32_e32 v2, 0
	v_cmp_eq_u64_e64 s[0:1], 0, v[2:3]
	s_nop 1
	v_cndmask_b32_e64 v1, 0, v60, s[0:1]
	v_add_u32_e32 v61, v1, v12
	v_cndmask_b32_e32 v1, 0, v61, vcc
	v_add_u32_e32 v62, v1, v14
	v_cndmask_b32_e64 v1, 0, v62, s[6:7]
	v_add_u32_e32 v63, v1, v16
	v_cndmask_b32_e64 v1, 0, v63, s[8:9]
	;; [unrolled: 2-line block ×20, first 2 shown]
	s_and_saveexec_b64 s[0:1], s[52:53]
	s_cbranch_execz .LBB490_208
; %bb.207:
	ds_read_u8 v3, v2 offset:2100
	ds_read_b32 v5, v2 offset:2096
	s_add_u32 s4, s64, 0x400
	s_addc_u32 s5, s65, 0
	v_mov_b32_e32 v6, 2
	s_waitcnt lgkmcnt(1)
	v_cmp_eq_u16_e32 vcc, 0, v3
	v_mov_b32_e32 v7, v2
	s_nop 0
	v_cndmask_b32_e32 v4, 0, v4, vcc
	s_waitcnt lgkmcnt(0)
	v_add_u32_e32 v4, v4, v5
	v_and_b32_e32 v5, 0xffff, v3
	v_mov_b64_e32 v[2:3], s[4:5]
	;;#ASMSTART
	global_store_dwordx4 v[2:3], v[4:7] off sc1	
s_waitcnt vmcnt(0)
	;;#ASMEND
.LBB490_208:
	s_or_b64 exec, exec, s[0:1]
	v_add_u32_e32 v82, v1, v54
.LBB490_209:
	s_add_u32 s0, s62, s54
	s_addc_u32 s1, s63, s55
	v_lshl_add_u64 v[2:3], s[0:1], 0, v[10:11]
	s_and_b64 vcc, exec, s[2:3]
	s_cbranch_vccz .LBB490_255
; %bb.210:
	s_movk_i32 s0, 0x5c
	v_mul_i32_i24_e32 v28, 0xffffffa8, v0
	v_mul_u32_u24_e32 v1, 0x5c, v0
	v_mad_u32_u24 v4, v0, s0, v28
	s_barrier
	ds_write2_b32 v1, v60, v61 offset1:1
	ds_write2_b32 v1, v62, v63 offset0:2 offset1:3
	ds_write2_b32 v1, v64, v65 offset0:4 offset1:5
	;; [unrolled: 1-line block ×10, first 2 shown]
	ds_write_b32 v1, v82 offset:88
	s_waitcnt lgkmcnt(0)
	s_barrier
	ds_read2st64_b32 v[26:27], v4 offset0:4 offset1:8
	ds_read2st64_b32 v[24:25], v4 offset0:12 offset1:16
	;; [unrolled: 1-line block ×11, first 2 shown]
	s_add_i32 s33, s33, s66
	v_mov_b32_e32 v57, 0
	v_lshl_add_u64 v[6:7], v[2:3], 0, v[56:57]
	v_cmp_gt_u32_e32 vcc, s33, v0
	s_and_saveexec_b64 s[0:1], vcc
	s_cbranch_execz .LBB490_212
; %bb.211:
	v_add_u32_e32 v1, v1, v28
	ds_read_b32 v1, v1
	s_waitcnt lgkmcnt(0)
	flat_store_dword v[6:7], v1
.LBB490_212:
	s_or_b64 exec, exec, s[0:1]
	v_or_b32_e32 v1, 0x100, v0
	v_cmp_gt_u32_e32 vcc, s33, v1
	s_and_saveexec_b64 s[0:1], vcc
	s_cbranch_execz .LBB490_214
; %bb.213:
	s_waitcnt lgkmcnt(0)
	flat_store_dword v[6:7], v26 offset:1024
.LBB490_214:
	s_or_b64 exec, exec, s[0:1]
	v_or_b32_e32 v1, 0x200, v0
	v_cmp_gt_u32_e32 vcc, s33, v1
	s_and_saveexec_b64 s[0:1], vcc
	s_cbranch_execz .LBB490_216
; %bb.215:
	s_waitcnt lgkmcnt(0)
	flat_store_dword v[6:7], v27 offset:2048
.LBB490_216:
	;; [unrolled: 9-line block ×3, first 2 shown]
	s_or_b64 exec, exec, s[0:1]
	v_or_b32_e32 v1, 0x400, v0
	v_cmp_gt_u32_e32 vcc, s33, v1
	s_and_saveexec_b64 s[0:1], vcc
	s_cbranch_execz .LBB490_220
; %bb.219:
	s_waitcnt lgkmcnt(0)
	v_add_co_u32_e32 v26, vcc, 0x1000, v6
	s_nop 1
	v_addc_co_u32_e32 v27, vcc, 0, v7, vcc
	flat_store_dword v[26:27], v25
.LBB490_220:
	s_or_b64 exec, exec, s[0:1]
	v_or_b32_e32 v1, 0x500, v0
	v_cmp_gt_u32_e32 vcc, s33, v1
	s_and_saveexec_b64 s[0:1], vcc
	s_cbranch_execz .LBB490_222
; %bb.221:
	s_waitcnt lgkmcnt(0)
	v_add_co_u32_e32 v24, vcc, 0x1000, v6
	s_nop 1
	v_addc_co_u32_e32 v25, vcc, 0, v7, vcc
	flat_store_dword v[24:25], v22 offset:1024
.LBB490_222:
	s_or_b64 exec, exec, s[0:1]
	v_or_b32_e32 v1, 0x600, v0
	v_cmp_gt_u32_e32 vcc, s33, v1
	s_and_saveexec_b64 s[0:1], vcc
	s_cbranch_execz .LBB490_224
; %bb.223:
	s_waitcnt lgkmcnt(0)
	v_add_co_u32_e32 v24, vcc, 0x1000, v6
	s_nop 1
	v_addc_co_u32_e32 v25, vcc, 0, v7, vcc
	flat_store_dword v[24:25], v23 offset:2048
.LBB490_224:
	s_or_b64 exec, exec, s[0:1]
	v_or_b32_e32 v1, 0x700, v0
	v_cmp_gt_u32_e32 vcc, s33, v1
	s_and_saveexec_b64 s[0:1], vcc
	s_cbranch_execz .LBB490_226
; %bb.225:
	s_waitcnt lgkmcnt(0)
	v_add_co_u32_e32 v22, vcc, 0x1000, v6
	s_nop 1
	v_addc_co_u32_e32 v23, vcc, 0, v7, vcc
	flat_store_dword v[22:23], v20 offset:3072
.LBB490_226:
	s_or_b64 exec, exec, s[0:1]
	v_or_b32_e32 v1, 0x800, v0
	v_cmp_gt_u32_e32 vcc, s33, v1
	s_and_saveexec_b64 s[0:1], vcc
	s_cbranch_execz .LBB490_228
; %bb.227:
	s_waitcnt lgkmcnt(0)
	v_add_co_u32_e32 v22, vcc, 0x2000, v6
	s_nop 1
	v_addc_co_u32_e32 v23, vcc, 0, v7, vcc
	flat_store_dword v[22:23], v21
.LBB490_228:
	s_or_b64 exec, exec, s[0:1]
	v_or_b32_e32 v1, 0x900, v0
	v_cmp_gt_u32_e32 vcc, s33, v1
	s_and_saveexec_b64 s[0:1], vcc
	s_cbranch_execz .LBB490_230
; %bb.229:
	s_waitcnt lgkmcnt(0)
	v_add_co_u32_e32 v20, vcc, 0x2000, v6
	s_nop 1
	v_addc_co_u32_e32 v21, vcc, 0, v7, vcc
	flat_store_dword v[20:21], v18 offset:1024
.LBB490_230:
	s_or_b64 exec, exec, s[0:1]
	v_or_b32_e32 v1, 0xa00, v0
	v_cmp_gt_u32_e32 vcc, s33, v1
	s_and_saveexec_b64 s[0:1], vcc
	s_cbranch_execz .LBB490_232
; %bb.231:
	s_waitcnt lgkmcnt(0)
	v_add_co_u32_e32 v20, vcc, 0x2000, v6
	s_nop 1
	v_addc_co_u32_e32 v21, vcc, 0, v7, vcc
	flat_store_dword v[20:21], v19 offset:2048
.LBB490_232:
	s_or_b64 exec, exec, s[0:1]
	v_or_b32_e32 v1, 0xb00, v0
	v_cmp_gt_u32_e32 vcc, s33, v1
	s_and_saveexec_b64 s[0:1], vcc
	s_cbranch_execz .LBB490_234
; %bb.233:
	s_waitcnt lgkmcnt(0)
	v_add_co_u32_e32 v18, vcc, 0x2000, v6
	s_nop 1
	v_addc_co_u32_e32 v19, vcc, 0, v7, vcc
	flat_store_dword v[18:19], v16 offset:3072
.LBB490_234:
	s_or_b64 exec, exec, s[0:1]
	v_or_b32_e32 v1, 0xc00, v0
	v_cmp_gt_u32_e32 vcc, s33, v1
	s_and_saveexec_b64 s[0:1], vcc
	s_cbranch_execz .LBB490_236
; %bb.235:
	s_waitcnt lgkmcnt(0)
	v_add_co_u32_e32 v18, vcc, 0x3000, v6
	s_nop 1
	v_addc_co_u32_e32 v19, vcc, 0, v7, vcc
	flat_store_dword v[18:19], v17
.LBB490_236:
	s_or_b64 exec, exec, s[0:1]
	v_or_b32_e32 v1, 0xd00, v0
	v_cmp_gt_u32_e32 vcc, s33, v1
	s_and_saveexec_b64 s[0:1], vcc
	s_cbranch_execz .LBB490_238
; %bb.237:
	s_waitcnt lgkmcnt(0)
	v_add_co_u32_e32 v16, vcc, 0x3000, v6
	s_nop 1
	v_addc_co_u32_e32 v17, vcc, 0, v7, vcc
	flat_store_dword v[16:17], v14 offset:1024
.LBB490_238:
	s_or_b64 exec, exec, s[0:1]
	v_or_b32_e32 v1, 0xe00, v0
	v_cmp_gt_u32_e32 vcc, s33, v1
	s_and_saveexec_b64 s[0:1], vcc
	s_cbranch_execz .LBB490_240
; %bb.239:
	s_waitcnt lgkmcnt(0)
	v_add_co_u32_e32 v16, vcc, 0x3000, v6
	s_nop 1
	v_addc_co_u32_e32 v17, vcc, 0, v7, vcc
	flat_store_dword v[16:17], v15 offset:2048
.LBB490_240:
	s_or_b64 exec, exec, s[0:1]
	v_or_b32_e32 v1, 0xf00, v0
	v_cmp_gt_u32_e32 vcc, s33, v1
	s_and_saveexec_b64 s[0:1], vcc
	s_cbranch_execz .LBB490_242
; %bb.241:
	s_waitcnt lgkmcnt(0)
	v_add_co_u32_e32 v14, vcc, 0x3000, v6
	s_nop 1
	v_addc_co_u32_e32 v15, vcc, 0, v7, vcc
	flat_store_dword v[14:15], v12 offset:3072
.LBB490_242:
	s_or_b64 exec, exec, s[0:1]
	v_or_b32_e32 v1, 0x1000, v0
	v_cmp_gt_u32_e32 vcc, s33, v1
	s_and_saveexec_b64 s[0:1], vcc
	s_cbranch_execz .LBB490_244
; %bb.243:
	s_waitcnt lgkmcnt(0)
	v_add_co_u32_e32 v14, vcc, 0x4000, v6
	s_nop 1
	v_addc_co_u32_e32 v15, vcc, 0, v7, vcc
	flat_store_dword v[14:15], v13
.LBB490_244:
	s_or_b64 exec, exec, s[0:1]
	v_or_b32_e32 v1, 0x1100, v0
	v_cmp_gt_u32_e32 vcc, s33, v1
	s_and_saveexec_b64 s[0:1], vcc
	s_cbranch_execz .LBB490_246
; %bb.245:
	s_waitcnt lgkmcnt(0)
	v_add_co_u32_e32 v12, vcc, 0x4000, v6
	s_nop 1
	v_addc_co_u32_e32 v13, vcc, 0, v7, vcc
	flat_store_dword v[12:13], v10 offset:1024
.LBB490_246:
	s_or_b64 exec, exec, s[0:1]
	v_or_b32_e32 v1, 0x1200, v0
	v_cmp_gt_u32_e32 vcc, s33, v1
	s_and_saveexec_b64 s[0:1], vcc
	s_cbranch_execz .LBB490_248
; %bb.247:
	s_waitcnt lgkmcnt(0)
	v_add_co_u32_e32 v12, vcc, 0x4000, v6
	s_nop 1
	v_addc_co_u32_e32 v13, vcc, 0, v7, vcc
	flat_store_dword v[12:13], v11 offset:2048
.LBB490_248:
	s_or_b64 exec, exec, s[0:1]
	v_or_b32_e32 v1, 0x1300, v0
	v_cmp_gt_u32_e32 vcc, s33, v1
	s_and_saveexec_b64 s[0:1], vcc
	s_cbranch_execz .LBB490_250
; %bb.249:
	s_waitcnt lgkmcnt(0)
	v_add_co_u32_e32 v10, vcc, 0x4000, v6
	s_nop 1
	v_addc_co_u32_e32 v11, vcc, 0, v7, vcc
	flat_store_dword v[10:11], v8 offset:3072
.LBB490_250:
	s_or_b64 exec, exec, s[0:1]
	v_or_b32_e32 v1, 0x1400, v0
	v_cmp_gt_u32_e32 vcc, s33, v1
	s_and_saveexec_b64 s[0:1], vcc
	s_cbranch_execz .LBB490_252
; %bb.251:
	s_waitcnt lgkmcnt(0)
	v_add_co_u32_e32 v10, vcc, 0x5000, v6
	s_nop 1
	v_addc_co_u32_e32 v11, vcc, 0, v7, vcc
	flat_store_dword v[10:11], v9
.LBB490_252:
	s_or_b64 exec, exec, s[0:1]
	v_or_b32_e32 v1, 0x1500, v0
	v_cmp_gt_u32_e32 vcc, s33, v1
	s_and_saveexec_b64 s[0:1], vcc
	s_cbranch_execz .LBB490_254
; %bb.253:
	v_add_co_u32_e32 v6, vcc, 0x5000, v6
	s_nop 1
	v_addc_co_u32_e32 v7, vcc, 0, v7, vcc
	s_waitcnt lgkmcnt(0)
	flat_store_dword v[6:7], v4 offset:1024
.LBB490_254:
	s_or_b64 exec, exec, s[0:1]
	s_waitcnt lgkmcnt(0)
	v_or_b32_e32 v4, 0x1600, v0
	v_mov_b32_e32 v1, v57
	v_cmp_gt_u32_e64 s[0:1], s33, v4
	s_branch .LBB490_257
.LBB490_255:
	s_mov_b64 s[0:1], 0
                                        ; implicit-def: $vgpr5
	s_cbranch_execz .LBB490_257
; %bb.256:
	v_mul_u32_u24_e32 v1, 0x5c, v0
	s_barrier
	s_movk_i32 s2, 0x5c
	ds_write2_b32 v1, v60, v61 offset1:1
	ds_write2_b32 v1, v62, v63 offset0:2 offset1:3
	ds_write2_b32 v1, v64, v65 offset0:4 offset1:5
	ds_write2_b32 v1, v66, v67 offset0:6 offset1:7
	ds_write2_b32 v1, v68, v69 offset0:8 offset1:9
	ds_write2_b32 v1, v70, v71 offset0:10 offset1:11
	ds_write2_b32 v1, v72, v73 offset0:12 offset1:13
	ds_write2_b32 v1, v74, v75 offset0:14 offset1:15
	ds_write2_b32 v1, v76, v77 offset0:16 offset1:17
	ds_write2_b32 v1, v78, v79 offset0:18 offset1:19
	ds_write2_b32 v1, v80, v81 offset0:20 offset1:21
	ds_write_b32 v1, v82 offset:88
	v_mov_b32_e32 v1, 0
	v_mul_i32_i24_e32 v4, 0xffffffa8, v0
	v_mad_u32_u24 v4, v0, s2, v4
	v_mov_b32_e32 v57, v1
	s_waitcnt lgkmcnt(0)
	s_barrier
	ds_read2st64_b32 v[6:7], v4 offset1:4
	ds_read2st64_b32 v[8:9], v4 offset0:8 offset1:12
	ds_read2st64_b32 v[10:11], v4 offset0:16 offset1:20
	;; [unrolled: 1-line block ×10, first 2 shown]
	ds_read_b32 v5, v4 offset:22528
	v_lshl_add_u64 v[28:29], v[2:3], 0, v[56:57]
	s_movk_i32 s2, 0x1000
	s_waitcnt lgkmcnt(0)
	flat_store_dword v[28:29], v6
	flat_store_dword v[28:29], v7 offset:1024
	flat_store_dword v[28:29], v8 offset:2048
	;; [unrolled: 1-line block ×3, first 2 shown]
	v_add_co_u32_e32 v6, vcc, s2, v28
	s_movk_i32 s2, 0x2000
	s_nop 0
	v_addc_co_u32_e32 v7, vcc, 0, v29, vcc
	flat_store_dword v[6:7], v10
	flat_store_dword v[6:7], v11 offset:1024
	flat_store_dword v[6:7], v12 offset:2048
	;; [unrolled: 1-line block ×3, first 2 shown]
	v_add_co_u32_e32 v6, vcc, s2, v28
	s_movk_i32 s2, 0x3000
	s_nop 0
	v_addc_co_u32_e32 v7, vcc, 0, v29, vcc
	flat_store_dword v[6:7], v14
	flat_store_dword v[6:7], v15 offset:1024
	flat_store_dword v[6:7], v16 offset:2048
	;; [unrolled: 1-line block ×3, first 2 shown]
	v_add_co_u32_e32 v6, vcc, s2, v28
	s_or_b64 s[0:1], s[0:1], exec
	s_nop 0
	v_addc_co_u32_e32 v7, vcc, 0, v29, vcc
	flat_store_dword v[6:7], v18
	flat_store_dword v[6:7], v19 offset:1024
	flat_store_dword v[6:7], v20 offset:2048
	;; [unrolled: 1-line block ×3, first 2 shown]
	v_add_co_u32_e32 v6, vcc, 0x4000, v28
	s_nop 1
	v_addc_co_u32_e32 v7, vcc, 0, v29, vcc
	flat_store_dword v[6:7], v22
	flat_store_dword v[6:7], v23 offset:1024
	flat_store_dword v[6:7], v24 offset:2048
	;; [unrolled: 1-line block ×3, first 2 shown]
	v_add_co_u32_e32 v6, vcc, 0x5000, v28
	s_nop 1
	v_addc_co_u32_e32 v7, vcc, 0, v29, vcc
	flat_store_dword v[6:7], v26
	flat_store_dword v[6:7], v27 offset:1024
.LBB490_257:
	s_and_saveexec_b64 s[2:3], s[0:1]
	s_cbranch_execz .LBB490_259
; %bb.258:
	v_lshl_add_u64 v[0:1], v[0:1], 2, v[2:3]
	v_add_co_u32_e32 v0, vcc, 0x5000, v0
	s_nop 1
	v_addc_co_u32_e32 v1, vcc, 0, v1, vcc
	flat_store_dword v[0:1], v5 offset:2048
	s_endpgm
.LBB490_259:
	s_endpgm
	.section	.rodata,"a",@progbits
	.p2align	6, 0x0
	.amdhsa_kernel _ZN7rocprim17ROCPRIM_400000_NS6detail17trampoline_kernelINS0_14default_configENS1_27scan_by_key_config_selectorIiiEEZZNS1_16scan_by_key_implILNS1_25lookback_scan_determinismE0ELb1ES3_N6thrust23THRUST_200600_302600_NS6detail15normal_iteratorINS9_10device_ptrIiEEEESE_SE_iNS9_4plusIvEENS9_8equal_toIvEEiEE10hipError_tPvRmT2_T3_T4_T5_mT6_T7_P12ihipStream_tbENKUlT_T0_E_clISt17integral_constantIbLb0EESY_IbLb1EEEEDaSU_SV_EUlSU_E_NS1_11comp_targetILNS1_3genE5ELNS1_11target_archE942ELNS1_3gpuE9ELNS1_3repE0EEENS1_30default_config_static_selectorELNS0_4arch9wavefront6targetE1EEEvT1_
		.amdhsa_group_segment_fixed_size 25600
		.amdhsa_private_segment_fixed_size 0
		.amdhsa_kernarg_size 112
		.amdhsa_user_sgpr_count 2
		.amdhsa_user_sgpr_dispatch_ptr 0
		.amdhsa_user_sgpr_queue_ptr 0
		.amdhsa_user_sgpr_kernarg_segment_ptr 1
		.amdhsa_user_sgpr_dispatch_id 0
		.amdhsa_user_sgpr_kernarg_preload_length 0
		.amdhsa_user_sgpr_kernarg_preload_offset 0
		.amdhsa_user_sgpr_private_segment_size 0
		.amdhsa_uses_dynamic_stack 0
		.amdhsa_enable_private_segment 0
		.amdhsa_system_sgpr_workgroup_id_x 1
		.amdhsa_system_sgpr_workgroup_id_y 0
		.amdhsa_system_sgpr_workgroup_id_z 0
		.amdhsa_system_sgpr_workgroup_info 0
		.amdhsa_system_vgpr_workitem_id 0
		.amdhsa_next_free_vgpr 83
		.amdhsa_next_free_sgpr 80
		.amdhsa_accum_offset 84
		.amdhsa_reserve_vcc 1
		.amdhsa_float_round_mode_32 0
		.amdhsa_float_round_mode_16_64 0
		.amdhsa_float_denorm_mode_32 3
		.amdhsa_float_denorm_mode_16_64 3
		.amdhsa_dx10_clamp 1
		.amdhsa_ieee_mode 1
		.amdhsa_fp16_overflow 0
		.amdhsa_tg_split 0
		.amdhsa_exception_fp_ieee_invalid_op 0
		.amdhsa_exception_fp_denorm_src 0
		.amdhsa_exception_fp_ieee_div_zero 0
		.amdhsa_exception_fp_ieee_overflow 0
		.amdhsa_exception_fp_ieee_underflow 0
		.amdhsa_exception_fp_ieee_inexact 0
		.amdhsa_exception_int_div_zero 0
	.end_amdhsa_kernel
	.section	.text._ZN7rocprim17ROCPRIM_400000_NS6detail17trampoline_kernelINS0_14default_configENS1_27scan_by_key_config_selectorIiiEEZZNS1_16scan_by_key_implILNS1_25lookback_scan_determinismE0ELb1ES3_N6thrust23THRUST_200600_302600_NS6detail15normal_iteratorINS9_10device_ptrIiEEEESE_SE_iNS9_4plusIvEENS9_8equal_toIvEEiEE10hipError_tPvRmT2_T3_T4_T5_mT6_T7_P12ihipStream_tbENKUlT_T0_E_clISt17integral_constantIbLb0EESY_IbLb1EEEEDaSU_SV_EUlSU_E_NS1_11comp_targetILNS1_3genE5ELNS1_11target_archE942ELNS1_3gpuE9ELNS1_3repE0EEENS1_30default_config_static_selectorELNS0_4arch9wavefront6targetE1EEEvT1_,"axG",@progbits,_ZN7rocprim17ROCPRIM_400000_NS6detail17trampoline_kernelINS0_14default_configENS1_27scan_by_key_config_selectorIiiEEZZNS1_16scan_by_key_implILNS1_25lookback_scan_determinismE0ELb1ES3_N6thrust23THRUST_200600_302600_NS6detail15normal_iteratorINS9_10device_ptrIiEEEESE_SE_iNS9_4plusIvEENS9_8equal_toIvEEiEE10hipError_tPvRmT2_T3_T4_T5_mT6_T7_P12ihipStream_tbENKUlT_T0_E_clISt17integral_constantIbLb0EESY_IbLb1EEEEDaSU_SV_EUlSU_E_NS1_11comp_targetILNS1_3genE5ELNS1_11target_archE942ELNS1_3gpuE9ELNS1_3repE0EEENS1_30default_config_static_selectorELNS0_4arch9wavefront6targetE1EEEvT1_,comdat
.Lfunc_end490:
	.size	_ZN7rocprim17ROCPRIM_400000_NS6detail17trampoline_kernelINS0_14default_configENS1_27scan_by_key_config_selectorIiiEEZZNS1_16scan_by_key_implILNS1_25lookback_scan_determinismE0ELb1ES3_N6thrust23THRUST_200600_302600_NS6detail15normal_iteratorINS9_10device_ptrIiEEEESE_SE_iNS9_4plusIvEENS9_8equal_toIvEEiEE10hipError_tPvRmT2_T3_T4_T5_mT6_T7_P12ihipStream_tbENKUlT_T0_E_clISt17integral_constantIbLb0EESY_IbLb1EEEEDaSU_SV_EUlSU_E_NS1_11comp_targetILNS1_3genE5ELNS1_11target_archE942ELNS1_3gpuE9ELNS1_3repE0EEENS1_30default_config_static_selectorELNS0_4arch9wavefront6targetE1EEEvT1_, .Lfunc_end490-_ZN7rocprim17ROCPRIM_400000_NS6detail17trampoline_kernelINS0_14default_configENS1_27scan_by_key_config_selectorIiiEEZZNS1_16scan_by_key_implILNS1_25lookback_scan_determinismE0ELb1ES3_N6thrust23THRUST_200600_302600_NS6detail15normal_iteratorINS9_10device_ptrIiEEEESE_SE_iNS9_4plusIvEENS9_8equal_toIvEEiEE10hipError_tPvRmT2_T3_T4_T5_mT6_T7_P12ihipStream_tbENKUlT_T0_E_clISt17integral_constantIbLb0EESY_IbLb1EEEEDaSU_SV_EUlSU_E_NS1_11comp_targetILNS1_3genE5ELNS1_11target_archE942ELNS1_3gpuE9ELNS1_3repE0EEENS1_30default_config_static_selectorELNS0_4arch9wavefront6targetE1EEEvT1_
                                        ; -- End function
	.section	.AMDGPU.csdata,"",@progbits
; Kernel info:
; codeLenInByte = 15768
; NumSgprs: 86
; NumVgprs: 83
; NumAgprs: 0
; TotalNumVgprs: 83
; ScratchSize: 0
; MemoryBound: 0
; FloatMode: 240
; IeeeMode: 1
; LDSByteSize: 25600 bytes/workgroup (compile time only)
; SGPRBlocks: 10
; VGPRBlocks: 10
; NumSGPRsForWavesPerEU: 86
; NumVGPRsForWavesPerEU: 83
; AccumOffset: 84
; Occupancy: 2
; WaveLimiterHint : 1
; COMPUTE_PGM_RSRC2:SCRATCH_EN: 0
; COMPUTE_PGM_RSRC2:USER_SGPR: 2
; COMPUTE_PGM_RSRC2:TRAP_HANDLER: 0
; COMPUTE_PGM_RSRC2:TGID_X_EN: 1
; COMPUTE_PGM_RSRC2:TGID_Y_EN: 0
; COMPUTE_PGM_RSRC2:TGID_Z_EN: 0
; COMPUTE_PGM_RSRC2:TIDIG_COMP_CNT: 0
; COMPUTE_PGM_RSRC3_GFX90A:ACCUM_OFFSET: 20
; COMPUTE_PGM_RSRC3_GFX90A:TG_SPLIT: 0
	.section	.text._ZN7rocprim17ROCPRIM_400000_NS6detail17trampoline_kernelINS0_14default_configENS1_27scan_by_key_config_selectorIiiEEZZNS1_16scan_by_key_implILNS1_25lookback_scan_determinismE0ELb1ES3_N6thrust23THRUST_200600_302600_NS6detail15normal_iteratorINS9_10device_ptrIiEEEESE_SE_iNS9_4plusIvEENS9_8equal_toIvEEiEE10hipError_tPvRmT2_T3_T4_T5_mT6_T7_P12ihipStream_tbENKUlT_T0_E_clISt17integral_constantIbLb0EESY_IbLb1EEEEDaSU_SV_EUlSU_E_NS1_11comp_targetILNS1_3genE4ELNS1_11target_archE910ELNS1_3gpuE8ELNS1_3repE0EEENS1_30default_config_static_selectorELNS0_4arch9wavefront6targetE1EEEvT1_,"axG",@progbits,_ZN7rocprim17ROCPRIM_400000_NS6detail17trampoline_kernelINS0_14default_configENS1_27scan_by_key_config_selectorIiiEEZZNS1_16scan_by_key_implILNS1_25lookback_scan_determinismE0ELb1ES3_N6thrust23THRUST_200600_302600_NS6detail15normal_iteratorINS9_10device_ptrIiEEEESE_SE_iNS9_4plusIvEENS9_8equal_toIvEEiEE10hipError_tPvRmT2_T3_T4_T5_mT6_T7_P12ihipStream_tbENKUlT_T0_E_clISt17integral_constantIbLb0EESY_IbLb1EEEEDaSU_SV_EUlSU_E_NS1_11comp_targetILNS1_3genE4ELNS1_11target_archE910ELNS1_3gpuE8ELNS1_3repE0EEENS1_30default_config_static_selectorELNS0_4arch9wavefront6targetE1EEEvT1_,comdat
	.protected	_ZN7rocprim17ROCPRIM_400000_NS6detail17trampoline_kernelINS0_14default_configENS1_27scan_by_key_config_selectorIiiEEZZNS1_16scan_by_key_implILNS1_25lookback_scan_determinismE0ELb1ES3_N6thrust23THRUST_200600_302600_NS6detail15normal_iteratorINS9_10device_ptrIiEEEESE_SE_iNS9_4plusIvEENS9_8equal_toIvEEiEE10hipError_tPvRmT2_T3_T4_T5_mT6_T7_P12ihipStream_tbENKUlT_T0_E_clISt17integral_constantIbLb0EESY_IbLb1EEEEDaSU_SV_EUlSU_E_NS1_11comp_targetILNS1_3genE4ELNS1_11target_archE910ELNS1_3gpuE8ELNS1_3repE0EEENS1_30default_config_static_selectorELNS0_4arch9wavefront6targetE1EEEvT1_ ; -- Begin function _ZN7rocprim17ROCPRIM_400000_NS6detail17trampoline_kernelINS0_14default_configENS1_27scan_by_key_config_selectorIiiEEZZNS1_16scan_by_key_implILNS1_25lookback_scan_determinismE0ELb1ES3_N6thrust23THRUST_200600_302600_NS6detail15normal_iteratorINS9_10device_ptrIiEEEESE_SE_iNS9_4plusIvEENS9_8equal_toIvEEiEE10hipError_tPvRmT2_T3_T4_T5_mT6_T7_P12ihipStream_tbENKUlT_T0_E_clISt17integral_constantIbLb0EESY_IbLb1EEEEDaSU_SV_EUlSU_E_NS1_11comp_targetILNS1_3genE4ELNS1_11target_archE910ELNS1_3gpuE8ELNS1_3repE0EEENS1_30default_config_static_selectorELNS0_4arch9wavefront6targetE1EEEvT1_
	.globl	_ZN7rocprim17ROCPRIM_400000_NS6detail17trampoline_kernelINS0_14default_configENS1_27scan_by_key_config_selectorIiiEEZZNS1_16scan_by_key_implILNS1_25lookback_scan_determinismE0ELb1ES3_N6thrust23THRUST_200600_302600_NS6detail15normal_iteratorINS9_10device_ptrIiEEEESE_SE_iNS9_4plusIvEENS9_8equal_toIvEEiEE10hipError_tPvRmT2_T3_T4_T5_mT6_T7_P12ihipStream_tbENKUlT_T0_E_clISt17integral_constantIbLb0EESY_IbLb1EEEEDaSU_SV_EUlSU_E_NS1_11comp_targetILNS1_3genE4ELNS1_11target_archE910ELNS1_3gpuE8ELNS1_3repE0EEENS1_30default_config_static_selectorELNS0_4arch9wavefront6targetE1EEEvT1_
	.p2align	8
	.type	_ZN7rocprim17ROCPRIM_400000_NS6detail17trampoline_kernelINS0_14default_configENS1_27scan_by_key_config_selectorIiiEEZZNS1_16scan_by_key_implILNS1_25lookback_scan_determinismE0ELb1ES3_N6thrust23THRUST_200600_302600_NS6detail15normal_iteratorINS9_10device_ptrIiEEEESE_SE_iNS9_4plusIvEENS9_8equal_toIvEEiEE10hipError_tPvRmT2_T3_T4_T5_mT6_T7_P12ihipStream_tbENKUlT_T0_E_clISt17integral_constantIbLb0EESY_IbLb1EEEEDaSU_SV_EUlSU_E_NS1_11comp_targetILNS1_3genE4ELNS1_11target_archE910ELNS1_3gpuE8ELNS1_3repE0EEENS1_30default_config_static_selectorELNS0_4arch9wavefront6targetE1EEEvT1_,@function
_ZN7rocprim17ROCPRIM_400000_NS6detail17trampoline_kernelINS0_14default_configENS1_27scan_by_key_config_selectorIiiEEZZNS1_16scan_by_key_implILNS1_25lookback_scan_determinismE0ELb1ES3_N6thrust23THRUST_200600_302600_NS6detail15normal_iteratorINS9_10device_ptrIiEEEESE_SE_iNS9_4plusIvEENS9_8equal_toIvEEiEE10hipError_tPvRmT2_T3_T4_T5_mT6_T7_P12ihipStream_tbENKUlT_T0_E_clISt17integral_constantIbLb0EESY_IbLb1EEEEDaSU_SV_EUlSU_E_NS1_11comp_targetILNS1_3genE4ELNS1_11target_archE910ELNS1_3gpuE8ELNS1_3repE0EEENS1_30default_config_static_selectorELNS0_4arch9wavefront6targetE1EEEvT1_: ; @_ZN7rocprim17ROCPRIM_400000_NS6detail17trampoline_kernelINS0_14default_configENS1_27scan_by_key_config_selectorIiiEEZZNS1_16scan_by_key_implILNS1_25lookback_scan_determinismE0ELb1ES3_N6thrust23THRUST_200600_302600_NS6detail15normal_iteratorINS9_10device_ptrIiEEEESE_SE_iNS9_4plusIvEENS9_8equal_toIvEEiEE10hipError_tPvRmT2_T3_T4_T5_mT6_T7_P12ihipStream_tbENKUlT_T0_E_clISt17integral_constantIbLb0EESY_IbLb1EEEEDaSU_SV_EUlSU_E_NS1_11comp_targetILNS1_3genE4ELNS1_11target_archE910ELNS1_3gpuE8ELNS1_3repE0EEENS1_30default_config_static_selectorELNS0_4arch9wavefront6targetE1EEEvT1_
; %bb.0:
	.section	.rodata,"a",@progbits
	.p2align	6, 0x0
	.amdhsa_kernel _ZN7rocprim17ROCPRIM_400000_NS6detail17trampoline_kernelINS0_14default_configENS1_27scan_by_key_config_selectorIiiEEZZNS1_16scan_by_key_implILNS1_25lookback_scan_determinismE0ELb1ES3_N6thrust23THRUST_200600_302600_NS6detail15normal_iteratorINS9_10device_ptrIiEEEESE_SE_iNS9_4plusIvEENS9_8equal_toIvEEiEE10hipError_tPvRmT2_T3_T4_T5_mT6_T7_P12ihipStream_tbENKUlT_T0_E_clISt17integral_constantIbLb0EESY_IbLb1EEEEDaSU_SV_EUlSU_E_NS1_11comp_targetILNS1_3genE4ELNS1_11target_archE910ELNS1_3gpuE8ELNS1_3repE0EEENS1_30default_config_static_selectorELNS0_4arch9wavefront6targetE1EEEvT1_
		.amdhsa_group_segment_fixed_size 0
		.amdhsa_private_segment_fixed_size 0
		.amdhsa_kernarg_size 112
		.amdhsa_user_sgpr_count 2
		.amdhsa_user_sgpr_dispatch_ptr 0
		.amdhsa_user_sgpr_queue_ptr 0
		.amdhsa_user_sgpr_kernarg_segment_ptr 1
		.amdhsa_user_sgpr_dispatch_id 0
		.amdhsa_user_sgpr_kernarg_preload_length 0
		.amdhsa_user_sgpr_kernarg_preload_offset 0
		.amdhsa_user_sgpr_private_segment_size 0
		.amdhsa_uses_dynamic_stack 0
		.amdhsa_enable_private_segment 0
		.amdhsa_system_sgpr_workgroup_id_x 1
		.amdhsa_system_sgpr_workgroup_id_y 0
		.amdhsa_system_sgpr_workgroup_id_z 0
		.amdhsa_system_sgpr_workgroup_info 0
		.amdhsa_system_vgpr_workitem_id 0
		.amdhsa_next_free_vgpr 1
		.amdhsa_next_free_sgpr 0
		.amdhsa_accum_offset 4
		.amdhsa_reserve_vcc 0
		.amdhsa_float_round_mode_32 0
		.amdhsa_float_round_mode_16_64 0
		.amdhsa_float_denorm_mode_32 3
		.amdhsa_float_denorm_mode_16_64 3
		.amdhsa_dx10_clamp 1
		.amdhsa_ieee_mode 1
		.amdhsa_fp16_overflow 0
		.amdhsa_tg_split 0
		.amdhsa_exception_fp_ieee_invalid_op 0
		.amdhsa_exception_fp_denorm_src 0
		.amdhsa_exception_fp_ieee_div_zero 0
		.amdhsa_exception_fp_ieee_overflow 0
		.amdhsa_exception_fp_ieee_underflow 0
		.amdhsa_exception_fp_ieee_inexact 0
		.amdhsa_exception_int_div_zero 0
	.end_amdhsa_kernel
	.section	.text._ZN7rocprim17ROCPRIM_400000_NS6detail17trampoline_kernelINS0_14default_configENS1_27scan_by_key_config_selectorIiiEEZZNS1_16scan_by_key_implILNS1_25lookback_scan_determinismE0ELb1ES3_N6thrust23THRUST_200600_302600_NS6detail15normal_iteratorINS9_10device_ptrIiEEEESE_SE_iNS9_4plusIvEENS9_8equal_toIvEEiEE10hipError_tPvRmT2_T3_T4_T5_mT6_T7_P12ihipStream_tbENKUlT_T0_E_clISt17integral_constantIbLb0EESY_IbLb1EEEEDaSU_SV_EUlSU_E_NS1_11comp_targetILNS1_3genE4ELNS1_11target_archE910ELNS1_3gpuE8ELNS1_3repE0EEENS1_30default_config_static_selectorELNS0_4arch9wavefront6targetE1EEEvT1_,"axG",@progbits,_ZN7rocprim17ROCPRIM_400000_NS6detail17trampoline_kernelINS0_14default_configENS1_27scan_by_key_config_selectorIiiEEZZNS1_16scan_by_key_implILNS1_25lookback_scan_determinismE0ELb1ES3_N6thrust23THRUST_200600_302600_NS6detail15normal_iteratorINS9_10device_ptrIiEEEESE_SE_iNS9_4plusIvEENS9_8equal_toIvEEiEE10hipError_tPvRmT2_T3_T4_T5_mT6_T7_P12ihipStream_tbENKUlT_T0_E_clISt17integral_constantIbLb0EESY_IbLb1EEEEDaSU_SV_EUlSU_E_NS1_11comp_targetILNS1_3genE4ELNS1_11target_archE910ELNS1_3gpuE8ELNS1_3repE0EEENS1_30default_config_static_selectorELNS0_4arch9wavefront6targetE1EEEvT1_,comdat
.Lfunc_end491:
	.size	_ZN7rocprim17ROCPRIM_400000_NS6detail17trampoline_kernelINS0_14default_configENS1_27scan_by_key_config_selectorIiiEEZZNS1_16scan_by_key_implILNS1_25lookback_scan_determinismE0ELb1ES3_N6thrust23THRUST_200600_302600_NS6detail15normal_iteratorINS9_10device_ptrIiEEEESE_SE_iNS9_4plusIvEENS9_8equal_toIvEEiEE10hipError_tPvRmT2_T3_T4_T5_mT6_T7_P12ihipStream_tbENKUlT_T0_E_clISt17integral_constantIbLb0EESY_IbLb1EEEEDaSU_SV_EUlSU_E_NS1_11comp_targetILNS1_3genE4ELNS1_11target_archE910ELNS1_3gpuE8ELNS1_3repE0EEENS1_30default_config_static_selectorELNS0_4arch9wavefront6targetE1EEEvT1_, .Lfunc_end491-_ZN7rocprim17ROCPRIM_400000_NS6detail17trampoline_kernelINS0_14default_configENS1_27scan_by_key_config_selectorIiiEEZZNS1_16scan_by_key_implILNS1_25lookback_scan_determinismE0ELb1ES3_N6thrust23THRUST_200600_302600_NS6detail15normal_iteratorINS9_10device_ptrIiEEEESE_SE_iNS9_4plusIvEENS9_8equal_toIvEEiEE10hipError_tPvRmT2_T3_T4_T5_mT6_T7_P12ihipStream_tbENKUlT_T0_E_clISt17integral_constantIbLb0EESY_IbLb1EEEEDaSU_SV_EUlSU_E_NS1_11comp_targetILNS1_3genE4ELNS1_11target_archE910ELNS1_3gpuE8ELNS1_3repE0EEENS1_30default_config_static_selectorELNS0_4arch9wavefront6targetE1EEEvT1_
                                        ; -- End function
	.section	.AMDGPU.csdata,"",@progbits
; Kernel info:
; codeLenInByte = 0
; NumSgprs: 6
; NumVgprs: 0
; NumAgprs: 0
; TotalNumVgprs: 0
; ScratchSize: 0
; MemoryBound: 0
; FloatMode: 240
; IeeeMode: 1
; LDSByteSize: 0 bytes/workgroup (compile time only)
; SGPRBlocks: 0
; VGPRBlocks: 0
; NumSGPRsForWavesPerEU: 6
; NumVGPRsForWavesPerEU: 1
; AccumOffset: 4
; Occupancy: 8
; WaveLimiterHint : 0
; COMPUTE_PGM_RSRC2:SCRATCH_EN: 0
; COMPUTE_PGM_RSRC2:USER_SGPR: 2
; COMPUTE_PGM_RSRC2:TRAP_HANDLER: 0
; COMPUTE_PGM_RSRC2:TGID_X_EN: 1
; COMPUTE_PGM_RSRC2:TGID_Y_EN: 0
; COMPUTE_PGM_RSRC2:TGID_Z_EN: 0
; COMPUTE_PGM_RSRC2:TIDIG_COMP_CNT: 0
; COMPUTE_PGM_RSRC3_GFX90A:ACCUM_OFFSET: 0
; COMPUTE_PGM_RSRC3_GFX90A:TG_SPLIT: 0
	.section	.text._ZN7rocprim17ROCPRIM_400000_NS6detail17trampoline_kernelINS0_14default_configENS1_27scan_by_key_config_selectorIiiEEZZNS1_16scan_by_key_implILNS1_25lookback_scan_determinismE0ELb1ES3_N6thrust23THRUST_200600_302600_NS6detail15normal_iteratorINS9_10device_ptrIiEEEESE_SE_iNS9_4plusIvEENS9_8equal_toIvEEiEE10hipError_tPvRmT2_T3_T4_T5_mT6_T7_P12ihipStream_tbENKUlT_T0_E_clISt17integral_constantIbLb0EESY_IbLb1EEEEDaSU_SV_EUlSU_E_NS1_11comp_targetILNS1_3genE3ELNS1_11target_archE908ELNS1_3gpuE7ELNS1_3repE0EEENS1_30default_config_static_selectorELNS0_4arch9wavefront6targetE1EEEvT1_,"axG",@progbits,_ZN7rocprim17ROCPRIM_400000_NS6detail17trampoline_kernelINS0_14default_configENS1_27scan_by_key_config_selectorIiiEEZZNS1_16scan_by_key_implILNS1_25lookback_scan_determinismE0ELb1ES3_N6thrust23THRUST_200600_302600_NS6detail15normal_iteratorINS9_10device_ptrIiEEEESE_SE_iNS9_4plusIvEENS9_8equal_toIvEEiEE10hipError_tPvRmT2_T3_T4_T5_mT6_T7_P12ihipStream_tbENKUlT_T0_E_clISt17integral_constantIbLb0EESY_IbLb1EEEEDaSU_SV_EUlSU_E_NS1_11comp_targetILNS1_3genE3ELNS1_11target_archE908ELNS1_3gpuE7ELNS1_3repE0EEENS1_30default_config_static_selectorELNS0_4arch9wavefront6targetE1EEEvT1_,comdat
	.protected	_ZN7rocprim17ROCPRIM_400000_NS6detail17trampoline_kernelINS0_14default_configENS1_27scan_by_key_config_selectorIiiEEZZNS1_16scan_by_key_implILNS1_25lookback_scan_determinismE0ELb1ES3_N6thrust23THRUST_200600_302600_NS6detail15normal_iteratorINS9_10device_ptrIiEEEESE_SE_iNS9_4plusIvEENS9_8equal_toIvEEiEE10hipError_tPvRmT2_T3_T4_T5_mT6_T7_P12ihipStream_tbENKUlT_T0_E_clISt17integral_constantIbLb0EESY_IbLb1EEEEDaSU_SV_EUlSU_E_NS1_11comp_targetILNS1_3genE3ELNS1_11target_archE908ELNS1_3gpuE7ELNS1_3repE0EEENS1_30default_config_static_selectorELNS0_4arch9wavefront6targetE1EEEvT1_ ; -- Begin function _ZN7rocprim17ROCPRIM_400000_NS6detail17trampoline_kernelINS0_14default_configENS1_27scan_by_key_config_selectorIiiEEZZNS1_16scan_by_key_implILNS1_25lookback_scan_determinismE0ELb1ES3_N6thrust23THRUST_200600_302600_NS6detail15normal_iteratorINS9_10device_ptrIiEEEESE_SE_iNS9_4plusIvEENS9_8equal_toIvEEiEE10hipError_tPvRmT2_T3_T4_T5_mT6_T7_P12ihipStream_tbENKUlT_T0_E_clISt17integral_constantIbLb0EESY_IbLb1EEEEDaSU_SV_EUlSU_E_NS1_11comp_targetILNS1_3genE3ELNS1_11target_archE908ELNS1_3gpuE7ELNS1_3repE0EEENS1_30default_config_static_selectorELNS0_4arch9wavefront6targetE1EEEvT1_
	.globl	_ZN7rocprim17ROCPRIM_400000_NS6detail17trampoline_kernelINS0_14default_configENS1_27scan_by_key_config_selectorIiiEEZZNS1_16scan_by_key_implILNS1_25lookback_scan_determinismE0ELb1ES3_N6thrust23THRUST_200600_302600_NS6detail15normal_iteratorINS9_10device_ptrIiEEEESE_SE_iNS9_4plusIvEENS9_8equal_toIvEEiEE10hipError_tPvRmT2_T3_T4_T5_mT6_T7_P12ihipStream_tbENKUlT_T0_E_clISt17integral_constantIbLb0EESY_IbLb1EEEEDaSU_SV_EUlSU_E_NS1_11comp_targetILNS1_3genE3ELNS1_11target_archE908ELNS1_3gpuE7ELNS1_3repE0EEENS1_30default_config_static_selectorELNS0_4arch9wavefront6targetE1EEEvT1_
	.p2align	8
	.type	_ZN7rocprim17ROCPRIM_400000_NS6detail17trampoline_kernelINS0_14default_configENS1_27scan_by_key_config_selectorIiiEEZZNS1_16scan_by_key_implILNS1_25lookback_scan_determinismE0ELb1ES3_N6thrust23THRUST_200600_302600_NS6detail15normal_iteratorINS9_10device_ptrIiEEEESE_SE_iNS9_4plusIvEENS9_8equal_toIvEEiEE10hipError_tPvRmT2_T3_T4_T5_mT6_T7_P12ihipStream_tbENKUlT_T0_E_clISt17integral_constantIbLb0EESY_IbLb1EEEEDaSU_SV_EUlSU_E_NS1_11comp_targetILNS1_3genE3ELNS1_11target_archE908ELNS1_3gpuE7ELNS1_3repE0EEENS1_30default_config_static_selectorELNS0_4arch9wavefront6targetE1EEEvT1_,@function
_ZN7rocprim17ROCPRIM_400000_NS6detail17trampoline_kernelINS0_14default_configENS1_27scan_by_key_config_selectorIiiEEZZNS1_16scan_by_key_implILNS1_25lookback_scan_determinismE0ELb1ES3_N6thrust23THRUST_200600_302600_NS6detail15normal_iteratorINS9_10device_ptrIiEEEESE_SE_iNS9_4plusIvEENS9_8equal_toIvEEiEE10hipError_tPvRmT2_T3_T4_T5_mT6_T7_P12ihipStream_tbENKUlT_T0_E_clISt17integral_constantIbLb0EESY_IbLb1EEEEDaSU_SV_EUlSU_E_NS1_11comp_targetILNS1_3genE3ELNS1_11target_archE908ELNS1_3gpuE7ELNS1_3repE0EEENS1_30default_config_static_selectorELNS0_4arch9wavefront6targetE1EEEvT1_: ; @_ZN7rocprim17ROCPRIM_400000_NS6detail17trampoline_kernelINS0_14default_configENS1_27scan_by_key_config_selectorIiiEEZZNS1_16scan_by_key_implILNS1_25lookback_scan_determinismE0ELb1ES3_N6thrust23THRUST_200600_302600_NS6detail15normal_iteratorINS9_10device_ptrIiEEEESE_SE_iNS9_4plusIvEENS9_8equal_toIvEEiEE10hipError_tPvRmT2_T3_T4_T5_mT6_T7_P12ihipStream_tbENKUlT_T0_E_clISt17integral_constantIbLb0EESY_IbLb1EEEEDaSU_SV_EUlSU_E_NS1_11comp_targetILNS1_3genE3ELNS1_11target_archE908ELNS1_3gpuE7ELNS1_3repE0EEENS1_30default_config_static_selectorELNS0_4arch9wavefront6targetE1EEEvT1_
; %bb.0:
	.section	.rodata,"a",@progbits
	.p2align	6, 0x0
	.amdhsa_kernel _ZN7rocprim17ROCPRIM_400000_NS6detail17trampoline_kernelINS0_14default_configENS1_27scan_by_key_config_selectorIiiEEZZNS1_16scan_by_key_implILNS1_25lookback_scan_determinismE0ELb1ES3_N6thrust23THRUST_200600_302600_NS6detail15normal_iteratorINS9_10device_ptrIiEEEESE_SE_iNS9_4plusIvEENS9_8equal_toIvEEiEE10hipError_tPvRmT2_T3_T4_T5_mT6_T7_P12ihipStream_tbENKUlT_T0_E_clISt17integral_constantIbLb0EESY_IbLb1EEEEDaSU_SV_EUlSU_E_NS1_11comp_targetILNS1_3genE3ELNS1_11target_archE908ELNS1_3gpuE7ELNS1_3repE0EEENS1_30default_config_static_selectorELNS0_4arch9wavefront6targetE1EEEvT1_
		.amdhsa_group_segment_fixed_size 0
		.amdhsa_private_segment_fixed_size 0
		.amdhsa_kernarg_size 112
		.amdhsa_user_sgpr_count 2
		.amdhsa_user_sgpr_dispatch_ptr 0
		.amdhsa_user_sgpr_queue_ptr 0
		.amdhsa_user_sgpr_kernarg_segment_ptr 1
		.amdhsa_user_sgpr_dispatch_id 0
		.amdhsa_user_sgpr_kernarg_preload_length 0
		.amdhsa_user_sgpr_kernarg_preload_offset 0
		.amdhsa_user_sgpr_private_segment_size 0
		.amdhsa_uses_dynamic_stack 0
		.amdhsa_enable_private_segment 0
		.amdhsa_system_sgpr_workgroup_id_x 1
		.amdhsa_system_sgpr_workgroup_id_y 0
		.amdhsa_system_sgpr_workgroup_id_z 0
		.amdhsa_system_sgpr_workgroup_info 0
		.amdhsa_system_vgpr_workitem_id 0
		.amdhsa_next_free_vgpr 1
		.amdhsa_next_free_sgpr 0
		.amdhsa_accum_offset 4
		.amdhsa_reserve_vcc 0
		.amdhsa_float_round_mode_32 0
		.amdhsa_float_round_mode_16_64 0
		.amdhsa_float_denorm_mode_32 3
		.amdhsa_float_denorm_mode_16_64 3
		.amdhsa_dx10_clamp 1
		.amdhsa_ieee_mode 1
		.amdhsa_fp16_overflow 0
		.amdhsa_tg_split 0
		.amdhsa_exception_fp_ieee_invalid_op 0
		.amdhsa_exception_fp_denorm_src 0
		.amdhsa_exception_fp_ieee_div_zero 0
		.amdhsa_exception_fp_ieee_overflow 0
		.amdhsa_exception_fp_ieee_underflow 0
		.amdhsa_exception_fp_ieee_inexact 0
		.amdhsa_exception_int_div_zero 0
	.end_amdhsa_kernel
	.section	.text._ZN7rocprim17ROCPRIM_400000_NS6detail17trampoline_kernelINS0_14default_configENS1_27scan_by_key_config_selectorIiiEEZZNS1_16scan_by_key_implILNS1_25lookback_scan_determinismE0ELb1ES3_N6thrust23THRUST_200600_302600_NS6detail15normal_iteratorINS9_10device_ptrIiEEEESE_SE_iNS9_4plusIvEENS9_8equal_toIvEEiEE10hipError_tPvRmT2_T3_T4_T5_mT6_T7_P12ihipStream_tbENKUlT_T0_E_clISt17integral_constantIbLb0EESY_IbLb1EEEEDaSU_SV_EUlSU_E_NS1_11comp_targetILNS1_3genE3ELNS1_11target_archE908ELNS1_3gpuE7ELNS1_3repE0EEENS1_30default_config_static_selectorELNS0_4arch9wavefront6targetE1EEEvT1_,"axG",@progbits,_ZN7rocprim17ROCPRIM_400000_NS6detail17trampoline_kernelINS0_14default_configENS1_27scan_by_key_config_selectorIiiEEZZNS1_16scan_by_key_implILNS1_25lookback_scan_determinismE0ELb1ES3_N6thrust23THRUST_200600_302600_NS6detail15normal_iteratorINS9_10device_ptrIiEEEESE_SE_iNS9_4plusIvEENS9_8equal_toIvEEiEE10hipError_tPvRmT2_T3_T4_T5_mT6_T7_P12ihipStream_tbENKUlT_T0_E_clISt17integral_constantIbLb0EESY_IbLb1EEEEDaSU_SV_EUlSU_E_NS1_11comp_targetILNS1_3genE3ELNS1_11target_archE908ELNS1_3gpuE7ELNS1_3repE0EEENS1_30default_config_static_selectorELNS0_4arch9wavefront6targetE1EEEvT1_,comdat
.Lfunc_end492:
	.size	_ZN7rocprim17ROCPRIM_400000_NS6detail17trampoline_kernelINS0_14default_configENS1_27scan_by_key_config_selectorIiiEEZZNS1_16scan_by_key_implILNS1_25lookback_scan_determinismE0ELb1ES3_N6thrust23THRUST_200600_302600_NS6detail15normal_iteratorINS9_10device_ptrIiEEEESE_SE_iNS9_4plusIvEENS9_8equal_toIvEEiEE10hipError_tPvRmT2_T3_T4_T5_mT6_T7_P12ihipStream_tbENKUlT_T0_E_clISt17integral_constantIbLb0EESY_IbLb1EEEEDaSU_SV_EUlSU_E_NS1_11comp_targetILNS1_3genE3ELNS1_11target_archE908ELNS1_3gpuE7ELNS1_3repE0EEENS1_30default_config_static_selectorELNS0_4arch9wavefront6targetE1EEEvT1_, .Lfunc_end492-_ZN7rocprim17ROCPRIM_400000_NS6detail17trampoline_kernelINS0_14default_configENS1_27scan_by_key_config_selectorIiiEEZZNS1_16scan_by_key_implILNS1_25lookback_scan_determinismE0ELb1ES3_N6thrust23THRUST_200600_302600_NS6detail15normal_iteratorINS9_10device_ptrIiEEEESE_SE_iNS9_4plusIvEENS9_8equal_toIvEEiEE10hipError_tPvRmT2_T3_T4_T5_mT6_T7_P12ihipStream_tbENKUlT_T0_E_clISt17integral_constantIbLb0EESY_IbLb1EEEEDaSU_SV_EUlSU_E_NS1_11comp_targetILNS1_3genE3ELNS1_11target_archE908ELNS1_3gpuE7ELNS1_3repE0EEENS1_30default_config_static_selectorELNS0_4arch9wavefront6targetE1EEEvT1_
                                        ; -- End function
	.section	.AMDGPU.csdata,"",@progbits
; Kernel info:
; codeLenInByte = 0
; NumSgprs: 6
; NumVgprs: 0
; NumAgprs: 0
; TotalNumVgprs: 0
; ScratchSize: 0
; MemoryBound: 0
; FloatMode: 240
; IeeeMode: 1
; LDSByteSize: 0 bytes/workgroup (compile time only)
; SGPRBlocks: 0
; VGPRBlocks: 0
; NumSGPRsForWavesPerEU: 6
; NumVGPRsForWavesPerEU: 1
; AccumOffset: 4
; Occupancy: 8
; WaveLimiterHint : 0
; COMPUTE_PGM_RSRC2:SCRATCH_EN: 0
; COMPUTE_PGM_RSRC2:USER_SGPR: 2
; COMPUTE_PGM_RSRC2:TRAP_HANDLER: 0
; COMPUTE_PGM_RSRC2:TGID_X_EN: 1
; COMPUTE_PGM_RSRC2:TGID_Y_EN: 0
; COMPUTE_PGM_RSRC2:TGID_Z_EN: 0
; COMPUTE_PGM_RSRC2:TIDIG_COMP_CNT: 0
; COMPUTE_PGM_RSRC3_GFX90A:ACCUM_OFFSET: 0
; COMPUTE_PGM_RSRC3_GFX90A:TG_SPLIT: 0
	.section	.text._ZN7rocprim17ROCPRIM_400000_NS6detail17trampoline_kernelINS0_14default_configENS1_27scan_by_key_config_selectorIiiEEZZNS1_16scan_by_key_implILNS1_25lookback_scan_determinismE0ELb1ES3_N6thrust23THRUST_200600_302600_NS6detail15normal_iteratorINS9_10device_ptrIiEEEESE_SE_iNS9_4plusIvEENS9_8equal_toIvEEiEE10hipError_tPvRmT2_T3_T4_T5_mT6_T7_P12ihipStream_tbENKUlT_T0_E_clISt17integral_constantIbLb0EESY_IbLb1EEEEDaSU_SV_EUlSU_E_NS1_11comp_targetILNS1_3genE2ELNS1_11target_archE906ELNS1_3gpuE6ELNS1_3repE0EEENS1_30default_config_static_selectorELNS0_4arch9wavefront6targetE1EEEvT1_,"axG",@progbits,_ZN7rocprim17ROCPRIM_400000_NS6detail17trampoline_kernelINS0_14default_configENS1_27scan_by_key_config_selectorIiiEEZZNS1_16scan_by_key_implILNS1_25lookback_scan_determinismE0ELb1ES3_N6thrust23THRUST_200600_302600_NS6detail15normal_iteratorINS9_10device_ptrIiEEEESE_SE_iNS9_4plusIvEENS9_8equal_toIvEEiEE10hipError_tPvRmT2_T3_T4_T5_mT6_T7_P12ihipStream_tbENKUlT_T0_E_clISt17integral_constantIbLb0EESY_IbLb1EEEEDaSU_SV_EUlSU_E_NS1_11comp_targetILNS1_3genE2ELNS1_11target_archE906ELNS1_3gpuE6ELNS1_3repE0EEENS1_30default_config_static_selectorELNS0_4arch9wavefront6targetE1EEEvT1_,comdat
	.protected	_ZN7rocprim17ROCPRIM_400000_NS6detail17trampoline_kernelINS0_14default_configENS1_27scan_by_key_config_selectorIiiEEZZNS1_16scan_by_key_implILNS1_25lookback_scan_determinismE0ELb1ES3_N6thrust23THRUST_200600_302600_NS6detail15normal_iteratorINS9_10device_ptrIiEEEESE_SE_iNS9_4plusIvEENS9_8equal_toIvEEiEE10hipError_tPvRmT2_T3_T4_T5_mT6_T7_P12ihipStream_tbENKUlT_T0_E_clISt17integral_constantIbLb0EESY_IbLb1EEEEDaSU_SV_EUlSU_E_NS1_11comp_targetILNS1_3genE2ELNS1_11target_archE906ELNS1_3gpuE6ELNS1_3repE0EEENS1_30default_config_static_selectorELNS0_4arch9wavefront6targetE1EEEvT1_ ; -- Begin function _ZN7rocprim17ROCPRIM_400000_NS6detail17trampoline_kernelINS0_14default_configENS1_27scan_by_key_config_selectorIiiEEZZNS1_16scan_by_key_implILNS1_25lookback_scan_determinismE0ELb1ES3_N6thrust23THRUST_200600_302600_NS6detail15normal_iteratorINS9_10device_ptrIiEEEESE_SE_iNS9_4plusIvEENS9_8equal_toIvEEiEE10hipError_tPvRmT2_T3_T4_T5_mT6_T7_P12ihipStream_tbENKUlT_T0_E_clISt17integral_constantIbLb0EESY_IbLb1EEEEDaSU_SV_EUlSU_E_NS1_11comp_targetILNS1_3genE2ELNS1_11target_archE906ELNS1_3gpuE6ELNS1_3repE0EEENS1_30default_config_static_selectorELNS0_4arch9wavefront6targetE1EEEvT1_
	.globl	_ZN7rocprim17ROCPRIM_400000_NS6detail17trampoline_kernelINS0_14default_configENS1_27scan_by_key_config_selectorIiiEEZZNS1_16scan_by_key_implILNS1_25lookback_scan_determinismE0ELb1ES3_N6thrust23THRUST_200600_302600_NS6detail15normal_iteratorINS9_10device_ptrIiEEEESE_SE_iNS9_4plusIvEENS9_8equal_toIvEEiEE10hipError_tPvRmT2_T3_T4_T5_mT6_T7_P12ihipStream_tbENKUlT_T0_E_clISt17integral_constantIbLb0EESY_IbLb1EEEEDaSU_SV_EUlSU_E_NS1_11comp_targetILNS1_3genE2ELNS1_11target_archE906ELNS1_3gpuE6ELNS1_3repE0EEENS1_30default_config_static_selectorELNS0_4arch9wavefront6targetE1EEEvT1_
	.p2align	8
	.type	_ZN7rocprim17ROCPRIM_400000_NS6detail17trampoline_kernelINS0_14default_configENS1_27scan_by_key_config_selectorIiiEEZZNS1_16scan_by_key_implILNS1_25lookback_scan_determinismE0ELb1ES3_N6thrust23THRUST_200600_302600_NS6detail15normal_iteratorINS9_10device_ptrIiEEEESE_SE_iNS9_4plusIvEENS9_8equal_toIvEEiEE10hipError_tPvRmT2_T3_T4_T5_mT6_T7_P12ihipStream_tbENKUlT_T0_E_clISt17integral_constantIbLb0EESY_IbLb1EEEEDaSU_SV_EUlSU_E_NS1_11comp_targetILNS1_3genE2ELNS1_11target_archE906ELNS1_3gpuE6ELNS1_3repE0EEENS1_30default_config_static_selectorELNS0_4arch9wavefront6targetE1EEEvT1_,@function
_ZN7rocprim17ROCPRIM_400000_NS6detail17trampoline_kernelINS0_14default_configENS1_27scan_by_key_config_selectorIiiEEZZNS1_16scan_by_key_implILNS1_25lookback_scan_determinismE0ELb1ES3_N6thrust23THRUST_200600_302600_NS6detail15normal_iteratorINS9_10device_ptrIiEEEESE_SE_iNS9_4plusIvEENS9_8equal_toIvEEiEE10hipError_tPvRmT2_T3_T4_T5_mT6_T7_P12ihipStream_tbENKUlT_T0_E_clISt17integral_constantIbLb0EESY_IbLb1EEEEDaSU_SV_EUlSU_E_NS1_11comp_targetILNS1_3genE2ELNS1_11target_archE906ELNS1_3gpuE6ELNS1_3repE0EEENS1_30default_config_static_selectorELNS0_4arch9wavefront6targetE1EEEvT1_: ; @_ZN7rocprim17ROCPRIM_400000_NS6detail17trampoline_kernelINS0_14default_configENS1_27scan_by_key_config_selectorIiiEEZZNS1_16scan_by_key_implILNS1_25lookback_scan_determinismE0ELb1ES3_N6thrust23THRUST_200600_302600_NS6detail15normal_iteratorINS9_10device_ptrIiEEEESE_SE_iNS9_4plusIvEENS9_8equal_toIvEEiEE10hipError_tPvRmT2_T3_T4_T5_mT6_T7_P12ihipStream_tbENKUlT_T0_E_clISt17integral_constantIbLb0EESY_IbLb1EEEEDaSU_SV_EUlSU_E_NS1_11comp_targetILNS1_3genE2ELNS1_11target_archE906ELNS1_3gpuE6ELNS1_3repE0EEENS1_30default_config_static_selectorELNS0_4arch9wavefront6targetE1EEEvT1_
; %bb.0:
	.section	.rodata,"a",@progbits
	.p2align	6, 0x0
	.amdhsa_kernel _ZN7rocprim17ROCPRIM_400000_NS6detail17trampoline_kernelINS0_14default_configENS1_27scan_by_key_config_selectorIiiEEZZNS1_16scan_by_key_implILNS1_25lookback_scan_determinismE0ELb1ES3_N6thrust23THRUST_200600_302600_NS6detail15normal_iteratorINS9_10device_ptrIiEEEESE_SE_iNS9_4plusIvEENS9_8equal_toIvEEiEE10hipError_tPvRmT2_T3_T4_T5_mT6_T7_P12ihipStream_tbENKUlT_T0_E_clISt17integral_constantIbLb0EESY_IbLb1EEEEDaSU_SV_EUlSU_E_NS1_11comp_targetILNS1_3genE2ELNS1_11target_archE906ELNS1_3gpuE6ELNS1_3repE0EEENS1_30default_config_static_selectorELNS0_4arch9wavefront6targetE1EEEvT1_
		.amdhsa_group_segment_fixed_size 0
		.amdhsa_private_segment_fixed_size 0
		.amdhsa_kernarg_size 112
		.amdhsa_user_sgpr_count 2
		.amdhsa_user_sgpr_dispatch_ptr 0
		.amdhsa_user_sgpr_queue_ptr 0
		.amdhsa_user_sgpr_kernarg_segment_ptr 1
		.amdhsa_user_sgpr_dispatch_id 0
		.amdhsa_user_sgpr_kernarg_preload_length 0
		.amdhsa_user_sgpr_kernarg_preload_offset 0
		.amdhsa_user_sgpr_private_segment_size 0
		.amdhsa_uses_dynamic_stack 0
		.amdhsa_enable_private_segment 0
		.amdhsa_system_sgpr_workgroup_id_x 1
		.amdhsa_system_sgpr_workgroup_id_y 0
		.amdhsa_system_sgpr_workgroup_id_z 0
		.amdhsa_system_sgpr_workgroup_info 0
		.amdhsa_system_vgpr_workitem_id 0
		.amdhsa_next_free_vgpr 1
		.amdhsa_next_free_sgpr 0
		.amdhsa_accum_offset 4
		.amdhsa_reserve_vcc 0
		.amdhsa_float_round_mode_32 0
		.amdhsa_float_round_mode_16_64 0
		.amdhsa_float_denorm_mode_32 3
		.amdhsa_float_denorm_mode_16_64 3
		.amdhsa_dx10_clamp 1
		.amdhsa_ieee_mode 1
		.amdhsa_fp16_overflow 0
		.amdhsa_tg_split 0
		.amdhsa_exception_fp_ieee_invalid_op 0
		.amdhsa_exception_fp_denorm_src 0
		.amdhsa_exception_fp_ieee_div_zero 0
		.amdhsa_exception_fp_ieee_overflow 0
		.amdhsa_exception_fp_ieee_underflow 0
		.amdhsa_exception_fp_ieee_inexact 0
		.amdhsa_exception_int_div_zero 0
	.end_amdhsa_kernel
	.section	.text._ZN7rocprim17ROCPRIM_400000_NS6detail17trampoline_kernelINS0_14default_configENS1_27scan_by_key_config_selectorIiiEEZZNS1_16scan_by_key_implILNS1_25lookback_scan_determinismE0ELb1ES3_N6thrust23THRUST_200600_302600_NS6detail15normal_iteratorINS9_10device_ptrIiEEEESE_SE_iNS9_4plusIvEENS9_8equal_toIvEEiEE10hipError_tPvRmT2_T3_T4_T5_mT6_T7_P12ihipStream_tbENKUlT_T0_E_clISt17integral_constantIbLb0EESY_IbLb1EEEEDaSU_SV_EUlSU_E_NS1_11comp_targetILNS1_3genE2ELNS1_11target_archE906ELNS1_3gpuE6ELNS1_3repE0EEENS1_30default_config_static_selectorELNS0_4arch9wavefront6targetE1EEEvT1_,"axG",@progbits,_ZN7rocprim17ROCPRIM_400000_NS6detail17trampoline_kernelINS0_14default_configENS1_27scan_by_key_config_selectorIiiEEZZNS1_16scan_by_key_implILNS1_25lookback_scan_determinismE0ELb1ES3_N6thrust23THRUST_200600_302600_NS6detail15normal_iteratorINS9_10device_ptrIiEEEESE_SE_iNS9_4plusIvEENS9_8equal_toIvEEiEE10hipError_tPvRmT2_T3_T4_T5_mT6_T7_P12ihipStream_tbENKUlT_T0_E_clISt17integral_constantIbLb0EESY_IbLb1EEEEDaSU_SV_EUlSU_E_NS1_11comp_targetILNS1_3genE2ELNS1_11target_archE906ELNS1_3gpuE6ELNS1_3repE0EEENS1_30default_config_static_selectorELNS0_4arch9wavefront6targetE1EEEvT1_,comdat
.Lfunc_end493:
	.size	_ZN7rocprim17ROCPRIM_400000_NS6detail17trampoline_kernelINS0_14default_configENS1_27scan_by_key_config_selectorIiiEEZZNS1_16scan_by_key_implILNS1_25lookback_scan_determinismE0ELb1ES3_N6thrust23THRUST_200600_302600_NS6detail15normal_iteratorINS9_10device_ptrIiEEEESE_SE_iNS9_4plusIvEENS9_8equal_toIvEEiEE10hipError_tPvRmT2_T3_T4_T5_mT6_T7_P12ihipStream_tbENKUlT_T0_E_clISt17integral_constantIbLb0EESY_IbLb1EEEEDaSU_SV_EUlSU_E_NS1_11comp_targetILNS1_3genE2ELNS1_11target_archE906ELNS1_3gpuE6ELNS1_3repE0EEENS1_30default_config_static_selectorELNS0_4arch9wavefront6targetE1EEEvT1_, .Lfunc_end493-_ZN7rocprim17ROCPRIM_400000_NS6detail17trampoline_kernelINS0_14default_configENS1_27scan_by_key_config_selectorIiiEEZZNS1_16scan_by_key_implILNS1_25lookback_scan_determinismE0ELb1ES3_N6thrust23THRUST_200600_302600_NS6detail15normal_iteratorINS9_10device_ptrIiEEEESE_SE_iNS9_4plusIvEENS9_8equal_toIvEEiEE10hipError_tPvRmT2_T3_T4_T5_mT6_T7_P12ihipStream_tbENKUlT_T0_E_clISt17integral_constantIbLb0EESY_IbLb1EEEEDaSU_SV_EUlSU_E_NS1_11comp_targetILNS1_3genE2ELNS1_11target_archE906ELNS1_3gpuE6ELNS1_3repE0EEENS1_30default_config_static_selectorELNS0_4arch9wavefront6targetE1EEEvT1_
                                        ; -- End function
	.section	.AMDGPU.csdata,"",@progbits
; Kernel info:
; codeLenInByte = 0
; NumSgprs: 6
; NumVgprs: 0
; NumAgprs: 0
; TotalNumVgprs: 0
; ScratchSize: 0
; MemoryBound: 0
; FloatMode: 240
; IeeeMode: 1
; LDSByteSize: 0 bytes/workgroup (compile time only)
; SGPRBlocks: 0
; VGPRBlocks: 0
; NumSGPRsForWavesPerEU: 6
; NumVGPRsForWavesPerEU: 1
; AccumOffset: 4
; Occupancy: 8
; WaveLimiterHint : 0
; COMPUTE_PGM_RSRC2:SCRATCH_EN: 0
; COMPUTE_PGM_RSRC2:USER_SGPR: 2
; COMPUTE_PGM_RSRC2:TRAP_HANDLER: 0
; COMPUTE_PGM_RSRC2:TGID_X_EN: 1
; COMPUTE_PGM_RSRC2:TGID_Y_EN: 0
; COMPUTE_PGM_RSRC2:TGID_Z_EN: 0
; COMPUTE_PGM_RSRC2:TIDIG_COMP_CNT: 0
; COMPUTE_PGM_RSRC3_GFX90A:ACCUM_OFFSET: 0
; COMPUTE_PGM_RSRC3_GFX90A:TG_SPLIT: 0
	.section	.text._ZN7rocprim17ROCPRIM_400000_NS6detail17trampoline_kernelINS0_14default_configENS1_27scan_by_key_config_selectorIiiEEZZNS1_16scan_by_key_implILNS1_25lookback_scan_determinismE0ELb1ES3_N6thrust23THRUST_200600_302600_NS6detail15normal_iteratorINS9_10device_ptrIiEEEESE_SE_iNS9_4plusIvEENS9_8equal_toIvEEiEE10hipError_tPvRmT2_T3_T4_T5_mT6_T7_P12ihipStream_tbENKUlT_T0_E_clISt17integral_constantIbLb0EESY_IbLb1EEEEDaSU_SV_EUlSU_E_NS1_11comp_targetILNS1_3genE10ELNS1_11target_archE1200ELNS1_3gpuE4ELNS1_3repE0EEENS1_30default_config_static_selectorELNS0_4arch9wavefront6targetE1EEEvT1_,"axG",@progbits,_ZN7rocprim17ROCPRIM_400000_NS6detail17trampoline_kernelINS0_14default_configENS1_27scan_by_key_config_selectorIiiEEZZNS1_16scan_by_key_implILNS1_25lookback_scan_determinismE0ELb1ES3_N6thrust23THRUST_200600_302600_NS6detail15normal_iteratorINS9_10device_ptrIiEEEESE_SE_iNS9_4plusIvEENS9_8equal_toIvEEiEE10hipError_tPvRmT2_T3_T4_T5_mT6_T7_P12ihipStream_tbENKUlT_T0_E_clISt17integral_constantIbLb0EESY_IbLb1EEEEDaSU_SV_EUlSU_E_NS1_11comp_targetILNS1_3genE10ELNS1_11target_archE1200ELNS1_3gpuE4ELNS1_3repE0EEENS1_30default_config_static_selectorELNS0_4arch9wavefront6targetE1EEEvT1_,comdat
	.protected	_ZN7rocprim17ROCPRIM_400000_NS6detail17trampoline_kernelINS0_14default_configENS1_27scan_by_key_config_selectorIiiEEZZNS1_16scan_by_key_implILNS1_25lookback_scan_determinismE0ELb1ES3_N6thrust23THRUST_200600_302600_NS6detail15normal_iteratorINS9_10device_ptrIiEEEESE_SE_iNS9_4plusIvEENS9_8equal_toIvEEiEE10hipError_tPvRmT2_T3_T4_T5_mT6_T7_P12ihipStream_tbENKUlT_T0_E_clISt17integral_constantIbLb0EESY_IbLb1EEEEDaSU_SV_EUlSU_E_NS1_11comp_targetILNS1_3genE10ELNS1_11target_archE1200ELNS1_3gpuE4ELNS1_3repE0EEENS1_30default_config_static_selectorELNS0_4arch9wavefront6targetE1EEEvT1_ ; -- Begin function _ZN7rocprim17ROCPRIM_400000_NS6detail17trampoline_kernelINS0_14default_configENS1_27scan_by_key_config_selectorIiiEEZZNS1_16scan_by_key_implILNS1_25lookback_scan_determinismE0ELb1ES3_N6thrust23THRUST_200600_302600_NS6detail15normal_iteratorINS9_10device_ptrIiEEEESE_SE_iNS9_4plusIvEENS9_8equal_toIvEEiEE10hipError_tPvRmT2_T3_T4_T5_mT6_T7_P12ihipStream_tbENKUlT_T0_E_clISt17integral_constantIbLb0EESY_IbLb1EEEEDaSU_SV_EUlSU_E_NS1_11comp_targetILNS1_3genE10ELNS1_11target_archE1200ELNS1_3gpuE4ELNS1_3repE0EEENS1_30default_config_static_selectorELNS0_4arch9wavefront6targetE1EEEvT1_
	.globl	_ZN7rocprim17ROCPRIM_400000_NS6detail17trampoline_kernelINS0_14default_configENS1_27scan_by_key_config_selectorIiiEEZZNS1_16scan_by_key_implILNS1_25lookback_scan_determinismE0ELb1ES3_N6thrust23THRUST_200600_302600_NS6detail15normal_iteratorINS9_10device_ptrIiEEEESE_SE_iNS9_4plusIvEENS9_8equal_toIvEEiEE10hipError_tPvRmT2_T3_T4_T5_mT6_T7_P12ihipStream_tbENKUlT_T0_E_clISt17integral_constantIbLb0EESY_IbLb1EEEEDaSU_SV_EUlSU_E_NS1_11comp_targetILNS1_3genE10ELNS1_11target_archE1200ELNS1_3gpuE4ELNS1_3repE0EEENS1_30default_config_static_selectorELNS0_4arch9wavefront6targetE1EEEvT1_
	.p2align	8
	.type	_ZN7rocprim17ROCPRIM_400000_NS6detail17trampoline_kernelINS0_14default_configENS1_27scan_by_key_config_selectorIiiEEZZNS1_16scan_by_key_implILNS1_25lookback_scan_determinismE0ELb1ES3_N6thrust23THRUST_200600_302600_NS6detail15normal_iteratorINS9_10device_ptrIiEEEESE_SE_iNS9_4plusIvEENS9_8equal_toIvEEiEE10hipError_tPvRmT2_T3_T4_T5_mT6_T7_P12ihipStream_tbENKUlT_T0_E_clISt17integral_constantIbLb0EESY_IbLb1EEEEDaSU_SV_EUlSU_E_NS1_11comp_targetILNS1_3genE10ELNS1_11target_archE1200ELNS1_3gpuE4ELNS1_3repE0EEENS1_30default_config_static_selectorELNS0_4arch9wavefront6targetE1EEEvT1_,@function
_ZN7rocprim17ROCPRIM_400000_NS6detail17trampoline_kernelINS0_14default_configENS1_27scan_by_key_config_selectorIiiEEZZNS1_16scan_by_key_implILNS1_25lookback_scan_determinismE0ELb1ES3_N6thrust23THRUST_200600_302600_NS6detail15normal_iteratorINS9_10device_ptrIiEEEESE_SE_iNS9_4plusIvEENS9_8equal_toIvEEiEE10hipError_tPvRmT2_T3_T4_T5_mT6_T7_P12ihipStream_tbENKUlT_T0_E_clISt17integral_constantIbLb0EESY_IbLb1EEEEDaSU_SV_EUlSU_E_NS1_11comp_targetILNS1_3genE10ELNS1_11target_archE1200ELNS1_3gpuE4ELNS1_3repE0EEENS1_30default_config_static_selectorELNS0_4arch9wavefront6targetE1EEEvT1_: ; @_ZN7rocprim17ROCPRIM_400000_NS6detail17trampoline_kernelINS0_14default_configENS1_27scan_by_key_config_selectorIiiEEZZNS1_16scan_by_key_implILNS1_25lookback_scan_determinismE0ELb1ES3_N6thrust23THRUST_200600_302600_NS6detail15normal_iteratorINS9_10device_ptrIiEEEESE_SE_iNS9_4plusIvEENS9_8equal_toIvEEiEE10hipError_tPvRmT2_T3_T4_T5_mT6_T7_P12ihipStream_tbENKUlT_T0_E_clISt17integral_constantIbLb0EESY_IbLb1EEEEDaSU_SV_EUlSU_E_NS1_11comp_targetILNS1_3genE10ELNS1_11target_archE1200ELNS1_3gpuE4ELNS1_3repE0EEENS1_30default_config_static_selectorELNS0_4arch9wavefront6targetE1EEEvT1_
; %bb.0:
	.section	.rodata,"a",@progbits
	.p2align	6, 0x0
	.amdhsa_kernel _ZN7rocprim17ROCPRIM_400000_NS6detail17trampoline_kernelINS0_14default_configENS1_27scan_by_key_config_selectorIiiEEZZNS1_16scan_by_key_implILNS1_25lookback_scan_determinismE0ELb1ES3_N6thrust23THRUST_200600_302600_NS6detail15normal_iteratorINS9_10device_ptrIiEEEESE_SE_iNS9_4plusIvEENS9_8equal_toIvEEiEE10hipError_tPvRmT2_T3_T4_T5_mT6_T7_P12ihipStream_tbENKUlT_T0_E_clISt17integral_constantIbLb0EESY_IbLb1EEEEDaSU_SV_EUlSU_E_NS1_11comp_targetILNS1_3genE10ELNS1_11target_archE1200ELNS1_3gpuE4ELNS1_3repE0EEENS1_30default_config_static_selectorELNS0_4arch9wavefront6targetE1EEEvT1_
		.amdhsa_group_segment_fixed_size 0
		.amdhsa_private_segment_fixed_size 0
		.amdhsa_kernarg_size 112
		.amdhsa_user_sgpr_count 2
		.amdhsa_user_sgpr_dispatch_ptr 0
		.amdhsa_user_sgpr_queue_ptr 0
		.amdhsa_user_sgpr_kernarg_segment_ptr 1
		.amdhsa_user_sgpr_dispatch_id 0
		.amdhsa_user_sgpr_kernarg_preload_length 0
		.amdhsa_user_sgpr_kernarg_preload_offset 0
		.amdhsa_user_sgpr_private_segment_size 0
		.amdhsa_uses_dynamic_stack 0
		.amdhsa_enable_private_segment 0
		.amdhsa_system_sgpr_workgroup_id_x 1
		.amdhsa_system_sgpr_workgroup_id_y 0
		.amdhsa_system_sgpr_workgroup_id_z 0
		.amdhsa_system_sgpr_workgroup_info 0
		.amdhsa_system_vgpr_workitem_id 0
		.amdhsa_next_free_vgpr 1
		.amdhsa_next_free_sgpr 0
		.amdhsa_accum_offset 4
		.amdhsa_reserve_vcc 0
		.amdhsa_float_round_mode_32 0
		.amdhsa_float_round_mode_16_64 0
		.amdhsa_float_denorm_mode_32 3
		.amdhsa_float_denorm_mode_16_64 3
		.amdhsa_dx10_clamp 1
		.amdhsa_ieee_mode 1
		.amdhsa_fp16_overflow 0
		.amdhsa_tg_split 0
		.amdhsa_exception_fp_ieee_invalid_op 0
		.amdhsa_exception_fp_denorm_src 0
		.amdhsa_exception_fp_ieee_div_zero 0
		.amdhsa_exception_fp_ieee_overflow 0
		.amdhsa_exception_fp_ieee_underflow 0
		.amdhsa_exception_fp_ieee_inexact 0
		.amdhsa_exception_int_div_zero 0
	.end_amdhsa_kernel
	.section	.text._ZN7rocprim17ROCPRIM_400000_NS6detail17trampoline_kernelINS0_14default_configENS1_27scan_by_key_config_selectorIiiEEZZNS1_16scan_by_key_implILNS1_25lookback_scan_determinismE0ELb1ES3_N6thrust23THRUST_200600_302600_NS6detail15normal_iteratorINS9_10device_ptrIiEEEESE_SE_iNS9_4plusIvEENS9_8equal_toIvEEiEE10hipError_tPvRmT2_T3_T4_T5_mT6_T7_P12ihipStream_tbENKUlT_T0_E_clISt17integral_constantIbLb0EESY_IbLb1EEEEDaSU_SV_EUlSU_E_NS1_11comp_targetILNS1_3genE10ELNS1_11target_archE1200ELNS1_3gpuE4ELNS1_3repE0EEENS1_30default_config_static_selectorELNS0_4arch9wavefront6targetE1EEEvT1_,"axG",@progbits,_ZN7rocprim17ROCPRIM_400000_NS6detail17trampoline_kernelINS0_14default_configENS1_27scan_by_key_config_selectorIiiEEZZNS1_16scan_by_key_implILNS1_25lookback_scan_determinismE0ELb1ES3_N6thrust23THRUST_200600_302600_NS6detail15normal_iteratorINS9_10device_ptrIiEEEESE_SE_iNS9_4plusIvEENS9_8equal_toIvEEiEE10hipError_tPvRmT2_T3_T4_T5_mT6_T7_P12ihipStream_tbENKUlT_T0_E_clISt17integral_constantIbLb0EESY_IbLb1EEEEDaSU_SV_EUlSU_E_NS1_11comp_targetILNS1_3genE10ELNS1_11target_archE1200ELNS1_3gpuE4ELNS1_3repE0EEENS1_30default_config_static_selectorELNS0_4arch9wavefront6targetE1EEEvT1_,comdat
.Lfunc_end494:
	.size	_ZN7rocprim17ROCPRIM_400000_NS6detail17trampoline_kernelINS0_14default_configENS1_27scan_by_key_config_selectorIiiEEZZNS1_16scan_by_key_implILNS1_25lookback_scan_determinismE0ELb1ES3_N6thrust23THRUST_200600_302600_NS6detail15normal_iteratorINS9_10device_ptrIiEEEESE_SE_iNS9_4plusIvEENS9_8equal_toIvEEiEE10hipError_tPvRmT2_T3_T4_T5_mT6_T7_P12ihipStream_tbENKUlT_T0_E_clISt17integral_constantIbLb0EESY_IbLb1EEEEDaSU_SV_EUlSU_E_NS1_11comp_targetILNS1_3genE10ELNS1_11target_archE1200ELNS1_3gpuE4ELNS1_3repE0EEENS1_30default_config_static_selectorELNS0_4arch9wavefront6targetE1EEEvT1_, .Lfunc_end494-_ZN7rocprim17ROCPRIM_400000_NS6detail17trampoline_kernelINS0_14default_configENS1_27scan_by_key_config_selectorIiiEEZZNS1_16scan_by_key_implILNS1_25lookback_scan_determinismE0ELb1ES3_N6thrust23THRUST_200600_302600_NS6detail15normal_iteratorINS9_10device_ptrIiEEEESE_SE_iNS9_4plusIvEENS9_8equal_toIvEEiEE10hipError_tPvRmT2_T3_T4_T5_mT6_T7_P12ihipStream_tbENKUlT_T0_E_clISt17integral_constantIbLb0EESY_IbLb1EEEEDaSU_SV_EUlSU_E_NS1_11comp_targetILNS1_3genE10ELNS1_11target_archE1200ELNS1_3gpuE4ELNS1_3repE0EEENS1_30default_config_static_selectorELNS0_4arch9wavefront6targetE1EEEvT1_
                                        ; -- End function
	.section	.AMDGPU.csdata,"",@progbits
; Kernel info:
; codeLenInByte = 0
; NumSgprs: 6
; NumVgprs: 0
; NumAgprs: 0
; TotalNumVgprs: 0
; ScratchSize: 0
; MemoryBound: 0
; FloatMode: 240
; IeeeMode: 1
; LDSByteSize: 0 bytes/workgroup (compile time only)
; SGPRBlocks: 0
; VGPRBlocks: 0
; NumSGPRsForWavesPerEU: 6
; NumVGPRsForWavesPerEU: 1
; AccumOffset: 4
; Occupancy: 8
; WaveLimiterHint : 0
; COMPUTE_PGM_RSRC2:SCRATCH_EN: 0
; COMPUTE_PGM_RSRC2:USER_SGPR: 2
; COMPUTE_PGM_RSRC2:TRAP_HANDLER: 0
; COMPUTE_PGM_RSRC2:TGID_X_EN: 1
; COMPUTE_PGM_RSRC2:TGID_Y_EN: 0
; COMPUTE_PGM_RSRC2:TGID_Z_EN: 0
; COMPUTE_PGM_RSRC2:TIDIG_COMP_CNT: 0
; COMPUTE_PGM_RSRC3_GFX90A:ACCUM_OFFSET: 0
; COMPUTE_PGM_RSRC3_GFX90A:TG_SPLIT: 0
	.section	.text._ZN7rocprim17ROCPRIM_400000_NS6detail17trampoline_kernelINS0_14default_configENS1_27scan_by_key_config_selectorIiiEEZZNS1_16scan_by_key_implILNS1_25lookback_scan_determinismE0ELb1ES3_N6thrust23THRUST_200600_302600_NS6detail15normal_iteratorINS9_10device_ptrIiEEEESE_SE_iNS9_4plusIvEENS9_8equal_toIvEEiEE10hipError_tPvRmT2_T3_T4_T5_mT6_T7_P12ihipStream_tbENKUlT_T0_E_clISt17integral_constantIbLb0EESY_IbLb1EEEEDaSU_SV_EUlSU_E_NS1_11comp_targetILNS1_3genE9ELNS1_11target_archE1100ELNS1_3gpuE3ELNS1_3repE0EEENS1_30default_config_static_selectorELNS0_4arch9wavefront6targetE1EEEvT1_,"axG",@progbits,_ZN7rocprim17ROCPRIM_400000_NS6detail17trampoline_kernelINS0_14default_configENS1_27scan_by_key_config_selectorIiiEEZZNS1_16scan_by_key_implILNS1_25lookback_scan_determinismE0ELb1ES3_N6thrust23THRUST_200600_302600_NS6detail15normal_iteratorINS9_10device_ptrIiEEEESE_SE_iNS9_4plusIvEENS9_8equal_toIvEEiEE10hipError_tPvRmT2_T3_T4_T5_mT6_T7_P12ihipStream_tbENKUlT_T0_E_clISt17integral_constantIbLb0EESY_IbLb1EEEEDaSU_SV_EUlSU_E_NS1_11comp_targetILNS1_3genE9ELNS1_11target_archE1100ELNS1_3gpuE3ELNS1_3repE0EEENS1_30default_config_static_selectorELNS0_4arch9wavefront6targetE1EEEvT1_,comdat
	.protected	_ZN7rocprim17ROCPRIM_400000_NS6detail17trampoline_kernelINS0_14default_configENS1_27scan_by_key_config_selectorIiiEEZZNS1_16scan_by_key_implILNS1_25lookback_scan_determinismE0ELb1ES3_N6thrust23THRUST_200600_302600_NS6detail15normal_iteratorINS9_10device_ptrIiEEEESE_SE_iNS9_4plusIvEENS9_8equal_toIvEEiEE10hipError_tPvRmT2_T3_T4_T5_mT6_T7_P12ihipStream_tbENKUlT_T0_E_clISt17integral_constantIbLb0EESY_IbLb1EEEEDaSU_SV_EUlSU_E_NS1_11comp_targetILNS1_3genE9ELNS1_11target_archE1100ELNS1_3gpuE3ELNS1_3repE0EEENS1_30default_config_static_selectorELNS0_4arch9wavefront6targetE1EEEvT1_ ; -- Begin function _ZN7rocprim17ROCPRIM_400000_NS6detail17trampoline_kernelINS0_14default_configENS1_27scan_by_key_config_selectorIiiEEZZNS1_16scan_by_key_implILNS1_25lookback_scan_determinismE0ELb1ES3_N6thrust23THRUST_200600_302600_NS6detail15normal_iteratorINS9_10device_ptrIiEEEESE_SE_iNS9_4plusIvEENS9_8equal_toIvEEiEE10hipError_tPvRmT2_T3_T4_T5_mT6_T7_P12ihipStream_tbENKUlT_T0_E_clISt17integral_constantIbLb0EESY_IbLb1EEEEDaSU_SV_EUlSU_E_NS1_11comp_targetILNS1_3genE9ELNS1_11target_archE1100ELNS1_3gpuE3ELNS1_3repE0EEENS1_30default_config_static_selectorELNS0_4arch9wavefront6targetE1EEEvT1_
	.globl	_ZN7rocprim17ROCPRIM_400000_NS6detail17trampoline_kernelINS0_14default_configENS1_27scan_by_key_config_selectorIiiEEZZNS1_16scan_by_key_implILNS1_25lookback_scan_determinismE0ELb1ES3_N6thrust23THRUST_200600_302600_NS6detail15normal_iteratorINS9_10device_ptrIiEEEESE_SE_iNS9_4plusIvEENS9_8equal_toIvEEiEE10hipError_tPvRmT2_T3_T4_T5_mT6_T7_P12ihipStream_tbENKUlT_T0_E_clISt17integral_constantIbLb0EESY_IbLb1EEEEDaSU_SV_EUlSU_E_NS1_11comp_targetILNS1_3genE9ELNS1_11target_archE1100ELNS1_3gpuE3ELNS1_3repE0EEENS1_30default_config_static_selectorELNS0_4arch9wavefront6targetE1EEEvT1_
	.p2align	8
	.type	_ZN7rocprim17ROCPRIM_400000_NS6detail17trampoline_kernelINS0_14default_configENS1_27scan_by_key_config_selectorIiiEEZZNS1_16scan_by_key_implILNS1_25lookback_scan_determinismE0ELb1ES3_N6thrust23THRUST_200600_302600_NS6detail15normal_iteratorINS9_10device_ptrIiEEEESE_SE_iNS9_4plusIvEENS9_8equal_toIvEEiEE10hipError_tPvRmT2_T3_T4_T5_mT6_T7_P12ihipStream_tbENKUlT_T0_E_clISt17integral_constantIbLb0EESY_IbLb1EEEEDaSU_SV_EUlSU_E_NS1_11comp_targetILNS1_3genE9ELNS1_11target_archE1100ELNS1_3gpuE3ELNS1_3repE0EEENS1_30default_config_static_selectorELNS0_4arch9wavefront6targetE1EEEvT1_,@function
_ZN7rocprim17ROCPRIM_400000_NS6detail17trampoline_kernelINS0_14default_configENS1_27scan_by_key_config_selectorIiiEEZZNS1_16scan_by_key_implILNS1_25lookback_scan_determinismE0ELb1ES3_N6thrust23THRUST_200600_302600_NS6detail15normal_iteratorINS9_10device_ptrIiEEEESE_SE_iNS9_4plusIvEENS9_8equal_toIvEEiEE10hipError_tPvRmT2_T3_T4_T5_mT6_T7_P12ihipStream_tbENKUlT_T0_E_clISt17integral_constantIbLb0EESY_IbLb1EEEEDaSU_SV_EUlSU_E_NS1_11comp_targetILNS1_3genE9ELNS1_11target_archE1100ELNS1_3gpuE3ELNS1_3repE0EEENS1_30default_config_static_selectorELNS0_4arch9wavefront6targetE1EEEvT1_: ; @_ZN7rocprim17ROCPRIM_400000_NS6detail17trampoline_kernelINS0_14default_configENS1_27scan_by_key_config_selectorIiiEEZZNS1_16scan_by_key_implILNS1_25lookback_scan_determinismE0ELb1ES3_N6thrust23THRUST_200600_302600_NS6detail15normal_iteratorINS9_10device_ptrIiEEEESE_SE_iNS9_4plusIvEENS9_8equal_toIvEEiEE10hipError_tPvRmT2_T3_T4_T5_mT6_T7_P12ihipStream_tbENKUlT_T0_E_clISt17integral_constantIbLb0EESY_IbLb1EEEEDaSU_SV_EUlSU_E_NS1_11comp_targetILNS1_3genE9ELNS1_11target_archE1100ELNS1_3gpuE3ELNS1_3repE0EEENS1_30default_config_static_selectorELNS0_4arch9wavefront6targetE1EEEvT1_
; %bb.0:
	.section	.rodata,"a",@progbits
	.p2align	6, 0x0
	.amdhsa_kernel _ZN7rocprim17ROCPRIM_400000_NS6detail17trampoline_kernelINS0_14default_configENS1_27scan_by_key_config_selectorIiiEEZZNS1_16scan_by_key_implILNS1_25lookback_scan_determinismE0ELb1ES3_N6thrust23THRUST_200600_302600_NS6detail15normal_iteratorINS9_10device_ptrIiEEEESE_SE_iNS9_4plusIvEENS9_8equal_toIvEEiEE10hipError_tPvRmT2_T3_T4_T5_mT6_T7_P12ihipStream_tbENKUlT_T0_E_clISt17integral_constantIbLb0EESY_IbLb1EEEEDaSU_SV_EUlSU_E_NS1_11comp_targetILNS1_3genE9ELNS1_11target_archE1100ELNS1_3gpuE3ELNS1_3repE0EEENS1_30default_config_static_selectorELNS0_4arch9wavefront6targetE1EEEvT1_
		.amdhsa_group_segment_fixed_size 0
		.amdhsa_private_segment_fixed_size 0
		.amdhsa_kernarg_size 112
		.amdhsa_user_sgpr_count 2
		.amdhsa_user_sgpr_dispatch_ptr 0
		.amdhsa_user_sgpr_queue_ptr 0
		.amdhsa_user_sgpr_kernarg_segment_ptr 1
		.amdhsa_user_sgpr_dispatch_id 0
		.amdhsa_user_sgpr_kernarg_preload_length 0
		.amdhsa_user_sgpr_kernarg_preload_offset 0
		.amdhsa_user_sgpr_private_segment_size 0
		.amdhsa_uses_dynamic_stack 0
		.amdhsa_enable_private_segment 0
		.amdhsa_system_sgpr_workgroup_id_x 1
		.amdhsa_system_sgpr_workgroup_id_y 0
		.amdhsa_system_sgpr_workgroup_id_z 0
		.amdhsa_system_sgpr_workgroup_info 0
		.amdhsa_system_vgpr_workitem_id 0
		.amdhsa_next_free_vgpr 1
		.amdhsa_next_free_sgpr 0
		.amdhsa_accum_offset 4
		.amdhsa_reserve_vcc 0
		.amdhsa_float_round_mode_32 0
		.amdhsa_float_round_mode_16_64 0
		.amdhsa_float_denorm_mode_32 3
		.amdhsa_float_denorm_mode_16_64 3
		.amdhsa_dx10_clamp 1
		.amdhsa_ieee_mode 1
		.amdhsa_fp16_overflow 0
		.amdhsa_tg_split 0
		.amdhsa_exception_fp_ieee_invalid_op 0
		.amdhsa_exception_fp_denorm_src 0
		.amdhsa_exception_fp_ieee_div_zero 0
		.amdhsa_exception_fp_ieee_overflow 0
		.amdhsa_exception_fp_ieee_underflow 0
		.amdhsa_exception_fp_ieee_inexact 0
		.amdhsa_exception_int_div_zero 0
	.end_amdhsa_kernel
	.section	.text._ZN7rocprim17ROCPRIM_400000_NS6detail17trampoline_kernelINS0_14default_configENS1_27scan_by_key_config_selectorIiiEEZZNS1_16scan_by_key_implILNS1_25lookback_scan_determinismE0ELb1ES3_N6thrust23THRUST_200600_302600_NS6detail15normal_iteratorINS9_10device_ptrIiEEEESE_SE_iNS9_4plusIvEENS9_8equal_toIvEEiEE10hipError_tPvRmT2_T3_T4_T5_mT6_T7_P12ihipStream_tbENKUlT_T0_E_clISt17integral_constantIbLb0EESY_IbLb1EEEEDaSU_SV_EUlSU_E_NS1_11comp_targetILNS1_3genE9ELNS1_11target_archE1100ELNS1_3gpuE3ELNS1_3repE0EEENS1_30default_config_static_selectorELNS0_4arch9wavefront6targetE1EEEvT1_,"axG",@progbits,_ZN7rocprim17ROCPRIM_400000_NS6detail17trampoline_kernelINS0_14default_configENS1_27scan_by_key_config_selectorIiiEEZZNS1_16scan_by_key_implILNS1_25lookback_scan_determinismE0ELb1ES3_N6thrust23THRUST_200600_302600_NS6detail15normal_iteratorINS9_10device_ptrIiEEEESE_SE_iNS9_4plusIvEENS9_8equal_toIvEEiEE10hipError_tPvRmT2_T3_T4_T5_mT6_T7_P12ihipStream_tbENKUlT_T0_E_clISt17integral_constantIbLb0EESY_IbLb1EEEEDaSU_SV_EUlSU_E_NS1_11comp_targetILNS1_3genE9ELNS1_11target_archE1100ELNS1_3gpuE3ELNS1_3repE0EEENS1_30default_config_static_selectorELNS0_4arch9wavefront6targetE1EEEvT1_,comdat
.Lfunc_end495:
	.size	_ZN7rocprim17ROCPRIM_400000_NS6detail17trampoline_kernelINS0_14default_configENS1_27scan_by_key_config_selectorIiiEEZZNS1_16scan_by_key_implILNS1_25lookback_scan_determinismE0ELb1ES3_N6thrust23THRUST_200600_302600_NS6detail15normal_iteratorINS9_10device_ptrIiEEEESE_SE_iNS9_4plusIvEENS9_8equal_toIvEEiEE10hipError_tPvRmT2_T3_T4_T5_mT6_T7_P12ihipStream_tbENKUlT_T0_E_clISt17integral_constantIbLb0EESY_IbLb1EEEEDaSU_SV_EUlSU_E_NS1_11comp_targetILNS1_3genE9ELNS1_11target_archE1100ELNS1_3gpuE3ELNS1_3repE0EEENS1_30default_config_static_selectorELNS0_4arch9wavefront6targetE1EEEvT1_, .Lfunc_end495-_ZN7rocprim17ROCPRIM_400000_NS6detail17trampoline_kernelINS0_14default_configENS1_27scan_by_key_config_selectorIiiEEZZNS1_16scan_by_key_implILNS1_25lookback_scan_determinismE0ELb1ES3_N6thrust23THRUST_200600_302600_NS6detail15normal_iteratorINS9_10device_ptrIiEEEESE_SE_iNS9_4plusIvEENS9_8equal_toIvEEiEE10hipError_tPvRmT2_T3_T4_T5_mT6_T7_P12ihipStream_tbENKUlT_T0_E_clISt17integral_constantIbLb0EESY_IbLb1EEEEDaSU_SV_EUlSU_E_NS1_11comp_targetILNS1_3genE9ELNS1_11target_archE1100ELNS1_3gpuE3ELNS1_3repE0EEENS1_30default_config_static_selectorELNS0_4arch9wavefront6targetE1EEEvT1_
                                        ; -- End function
	.section	.AMDGPU.csdata,"",@progbits
; Kernel info:
; codeLenInByte = 0
; NumSgprs: 6
; NumVgprs: 0
; NumAgprs: 0
; TotalNumVgprs: 0
; ScratchSize: 0
; MemoryBound: 0
; FloatMode: 240
; IeeeMode: 1
; LDSByteSize: 0 bytes/workgroup (compile time only)
; SGPRBlocks: 0
; VGPRBlocks: 0
; NumSGPRsForWavesPerEU: 6
; NumVGPRsForWavesPerEU: 1
; AccumOffset: 4
; Occupancy: 8
; WaveLimiterHint : 0
; COMPUTE_PGM_RSRC2:SCRATCH_EN: 0
; COMPUTE_PGM_RSRC2:USER_SGPR: 2
; COMPUTE_PGM_RSRC2:TRAP_HANDLER: 0
; COMPUTE_PGM_RSRC2:TGID_X_EN: 1
; COMPUTE_PGM_RSRC2:TGID_Y_EN: 0
; COMPUTE_PGM_RSRC2:TGID_Z_EN: 0
; COMPUTE_PGM_RSRC2:TIDIG_COMP_CNT: 0
; COMPUTE_PGM_RSRC3_GFX90A:ACCUM_OFFSET: 0
; COMPUTE_PGM_RSRC3_GFX90A:TG_SPLIT: 0
	.section	.text._ZN7rocprim17ROCPRIM_400000_NS6detail17trampoline_kernelINS0_14default_configENS1_27scan_by_key_config_selectorIiiEEZZNS1_16scan_by_key_implILNS1_25lookback_scan_determinismE0ELb1ES3_N6thrust23THRUST_200600_302600_NS6detail15normal_iteratorINS9_10device_ptrIiEEEESE_SE_iNS9_4plusIvEENS9_8equal_toIvEEiEE10hipError_tPvRmT2_T3_T4_T5_mT6_T7_P12ihipStream_tbENKUlT_T0_E_clISt17integral_constantIbLb0EESY_IbLb1EEEEDaSU_SV_EUlSU_E_NS1_11comp_targetILNS1_3genE8ELNS1_11target_archE1030ELNS1_3gpuE2ELNS1_3repE0EEENS1_30default_config_static_selectorELNS0_4arch9wavefront6targetE1EEEvT1_,"axG",@progbits,_ZN7rocprim17ROCPRIM_400000_NS6detail17trampoline_kernelINS0_14default_configENS1_27scan_by_key_config_selectorIiiEEZZNS1_16scan_by_key_implILNS1_25lookback_scan_determinismE0ELb1ES3_N6thrust23THRUST_200600_302600_NS6detail15normal_iteratorINS9_10device_ptrIiEEEESE_SE_iNS9_4plusIvEENS9_8equal_toIvEEiEE10hipError_tPvRmT2_T3_T4_T5_mT6_T7_P12ihipStream_tbENKUlT_T0_E_clISt17integral_constantIbLb0EESY_IbLb1EEEEDaSU_SV_EUlSU_E_NS1_11comp_targetILNS1_3genE8ELNS1_11target_archE1030ELNS1_3gpuE2ELNS1_3repE0EEENS1_30default_config_static_selectorELNS0_4arch9wavefront6targetE1EEEvT1_,comdat
	.protected	_ZN7rocprim17ROCPRIM_400000_NS6detail17trampoline_kernelINS0_14default_configENS1_27scan_by_key_config_selectorIiiEEZZNS1_16scan_by_key_implILNS1_25lookback_scan_determinismE0ELb1ES3_N6thrust23THRUST_200600_302600_NS6detail15normal_iteratorINS9_10device_ptrIiEEEESE_SE_iNS9_4plusIvEENS9_8equal_toIvEEiEE10hipError_tPvRmT2_T3_T4_T5_mT6_T7_P12ihipStream_tbENKUlT_T0_E_clISt17integral_constantIbLb0EESY_IbLb1EEEEDaSU_SV_EUlSU_E_NS1_11comp_targetILNS1_3genE8ELNS1_11target_archE1030ELNS1_3gpuE2ELNS1_3repE0EEENS1_30default_config_static_selectorELNS0_4arch9wavefront6targetE1EEEvT1_ ; -- Begin function _ZN7rocprim17ROCPRIM_400000_NS6detail17trampoline_kernelINS0_14default_configENS1_27scan_by_key_config_selectorIiiEEZZNS1_16scan_by_key_implILNS1_25lookback_scan_determinismE0ELb1ES3_N6thrust23THRUST_200600_302600_NS6detail15normal_iteratorINS9_10device_ptrIiEEEESE_SE_iNS9_4plusIvEENS9_8equal_toIvEEiEE10hipError_tPvRmT2_T3_T4_T5_mT6_T7_P12ihipStream_tbENKUlT_T0_E_clISt17integral_constantIbLb0EESY_IbLb1EEEEDaSU_SV_EUlSU_E_NS1_11comp_targetILNS1_3genE8ELNS1_11target_archE1030ELNS1_3gpuE2ELNS1_3repE0EEENS1_30default_config_static_selectorELNS0_4arch9wavefront6targetE1EEEvT1_
	.globl	_ZN7rocprim17ROCPRIM_400000_NS6detail17trampoline_kernelINS0_14default_configENS1_27scan_by_key_config_selectorIiiEEZZNS1_16scan_by_key_implILNS1_25lookback_scan_determinismE0ELb1ES3_N6thrust23THRUST_200600_302600_NS6detail15normal_iteratorINS9_10device_ptrIiEEEESE_SE_iNS9_4plusIvEENS9_8equal_toIvEEiEE10hipError_tPvRmT2_T3_T4_T5_mT6_T7_P12ihipStream_tbENKUlT_T0_E_clISt17integral_constantIbLb0EESY_IbLb1EEEEDaSU_SV_EUlSU_E_NS1_11comp_targetILNS1_3genE8ELNS1_11target_archE1030ELNS1_3gpuE2ELNS1_3repE0EEENS1_30default_config_static_selectorELNS0_4arch9wavefront6targetE1EEEvT1_
	.p2align	8
	.type	_ZN7rocprim17ROCPRIM_400000_NS6detail17trampoline_kernelINS0_14default_configENS1_27scan_by_key_config_selectorIiiEEZZNS1_16scan_by_key_implILNS1_25lookback_scan_determinismE0ELb1ES3_N6thrust23THRUST_200600_302600_NS6detail15normal_iteratorINS9_10device_ptrIiEEEESE_SE_iNS9_4plusIvEENS9_8equal_toIvEEiEE10hipError_tPvRmT2_T3_T4_T5_mT6_T7_P12ihipStream_tbENKUlT_T0_E_clISt17integral_constantIbLb0EESY_IbLb1EEEEDaSU_SV_EUlSU_E_NS1_11comp_targetILNS1_3genE8ELNS1_11target_archE1030ELNS1_3gpuE2ELNS1_3repE0EEENS1_30default_config_static_selectorELNS0_4arch9wavefront6targetE1EEEvT1_,@function
_ZN7rocprim17ROCPRIM_400000_NS6detail17trampoline_kernelINS0_14default_configENS1_27scan_by_key_config_selectorIiiEEZZNS1_16scan_by_key_implILNS1_25lookback_scan_determinismE0ELb1ES3_N6thrust23THRUST_200600_302600_NS6detail15normal_iteratorINS9_10device_ptrIiEEEESE_SE_iNS9_4plusIvEENS9_8equal_toIvEEiEE10hipError_tPvRmT2_T3_T4_T5_mT6_T7_P12ihipStream_tbENKUlT_T0_E_clISt17integral_constantIbLb0EESY_IbLb1EEEEDaSU_SV_EUlSU_E_NS1_11comp_targetILNS1_3genE8ELNS1_11target_archE1030ELNS1_3gpuE2ELNS1_3repE0EEENS1_30default_config_static_selectorELNS0_4arch9wavefront6targetE1EEEvT1_: ; @_ZN7rocprim17ROCPRIM_400000_NS6detail17trampoline_kernelINS0_14default_configENS1_27scan_by_key_config_selectorIiiEEZZNS1_16scan_by_key_implILNS1_25lookback_scan_determinismE0ELb1ES3_N6thrust23THRUST_200600_302600_NS6detail15normal_iteratorINS9_10device_ptrIiEEEESE_SE_iNS9_4plusIvEENS9_8equal_toIvEEiEE10hipError_tPvRmT2_T3_T4_T5_mT6_T7_P12ihipStream_tbENKUlT_T0_E_clISt17integral_constantIbLb0EESY_IbLb1EEEEDaSU_SV_EUlSU_E_NS1_11comp_targetILNS1_3genE8ELNS1_11target_archE1030ELNS1_3gpuE2ELNS1_3repE0EEENS1_30default_config_static_selectorELNS0_4arch9wavefront6targetE1EEEvT1_
; %bb.0:
	.section	.rodata,"a",@progbits
	.p2align	6, 0x0
	.amdhsa_kernel _ZN7rocprim17ROCPRIM_400000_NS6detail17trampoline_kernelINS0_14default_configENS1_27scan_by_key_config_selectorIiiEEZZNS1_16scan_by_key_implILNS1_25lookback_scan_determinismE0ELb1ES3_N6thrust23THRUST_200600_302600_NS6detail15normal_iteratorINS9_10device_ptrIiEEEESE_SE_iNS9_4plusIvEENS9_8equal_toIvEEiEE10hipError_tPvRmT2_T3_T4_T5_mT6_T7_P12ihipStream_tbENKUlT_T0_E_clISt17integral_constantIbLb0EESY_IbLb1EEEEDaSU_SV_EUlSU_E_NS1_11comp_targetILNS1_3genE8ELNS1_11target_archE1030ELNS1_3gpuE2ELNS1_3repE0EEENS1_30default_config_static_selectorELNS0_4arch9wavefront6targetE1EEEvT1_
		.amdhsa_group_segment_fixed_size 0
		.amdhsa_private_segment_fixed_size 0
		.amdhsa_kernarg_size 112
		.amdhsa_user_sgpr_count 2
		.amdhsa_user_sgpr_dispatch_ptr 0
		.amdhsa_user_sgpr_queue_ptr 0
		.amdhsa_user_sgpr_kernarg_segment_ptr 1
		.amdhsa_user_sgpr_dispatch_id 0
		.amdhsa_user_sgpr_kernarg_preload_length 0
		.amdhsa_user_sgpr_kernarg_preload_offset 0
		.amdhsa_user_sgpr_private_segment_size 0
		.amdhsa_uses_dynamic_stack 0
		.amdhsa_enable_private_segment 0
		.amdhsa_system_sgpr_workgroup_id_x 1
		.amdhsa_system_sgpr_workgroup_id_y 0
		.amdhsa_system_sgpr_workgroup_id_z 0
		.amdhsa_system_sgpr_workgroup_info 0
		.amdhsa_system_vgpr_workitem_id 0
		.amdhsa_next_free_vgpr 1
		.amdhsa_next_free_sgpr 0
		.amdhsa_accum_offset 4
		.amdhsa_reserve_vcc 0
		.amdhsa_float_round_mode_32 0
		.amdhsa_float_round_mode_16_64 0
		.amdhsa_float_denorm_mode_32 3
		.amdhsa_float_denorm_mode_16_64 3
		.amdhsa_dx10_clamp 1
		.amdhsa_ieee_mode 1
		.amdhsa_fp16_overflow 0
		.amdhsa_tg_split 0
		.amdhsa_exception_fp_ieee_invalid_op 0
		.amdhsa_exception_fp_denorm_src 0
		.amdhsa_exception_fp_ieee_div_zero 0
		.amdhsa_exception_fp_ieee_overflow 0
		.amdhsa_exception_fp_ieee_underflow 0
		.amdhsa_exception_fp_ieee_inexact 0
		.amdhsa_exception_int_div_zero 0
	.end_amdhsa_kernel
	.section	.text._ZN7rocprim17ROCPRIM_400000_NS6detail17trampoline_kernelINS0_14default_configENS1_27scan_by_key_config_selectorIiiEEZZNS1_16scan_by_key_implILNS1_25lookback_scan_determinismE0ELb1ES3_N6thrust23THRUST_200600_302600_NS6detail15normal_iteratorINS9_10device_ptrIiEEEESE_SE_iNS9_4plusIvEENS9_8equal_toIvEEiEE10hipError_tPvRmT2_T3_T4_T5_mT6_T7_P12ihipStream_tbENKUlT_T0_E_clISt17integral_constantIbLb0EESY_IbLb1EEEEDaSU_SV_EUlSU_E_NS1_11comp_targetILNS1_3genE8ELNS1_11target_archE1030ELNS1_3gpuE2ELNS1_3repE0EEENS1_30default_config_static_selectorELNS0_4arch9wavefront6targetE1EEEvT1_,"axG",@progbits,_ZN7rocprim17ROCPRIM_400000_NS6detail17trampoline_kernelINS0_14default_configENS1_27scan_by_key_config_selectorIiiEEZZNS1_16scan_by_key_implILNS1_25lookback_scan_determinismE0ELb1ES3_N6thrust23THRUST_200600_302600_NS6detail15normal_iteratorINS9_10device_ptrIiEEEESE_SE_iNS9_4plusIvEENS9_8equal_toIvEEiEE10hipError_tPvRmT2_T3_T4_T5_mT6_T7_P12ihipStream_tbENKUlT_T0_E_clISt17integral_constantIbLb0EESY_IbLb1EEEEDaSU_SV_EUlSU_E_NS1_11comp_targetILNS1_3genE8ELNS1_11target_archE1030ELNS1_3gpuE2ELNS1_3repE0EEENS1_30default_config_static_selectorELNS0_4arch9wavefront6targetE1EEEvT1_,comdat
.Lfunc_end496:
	.size	_ZN7rocprim17ROCPRIM_400000_NS6detail17trampoline_kernelINS0_14default_configENS1_27scan_by_key_config_selectorIiiEEZZNS1_16scan_by_key_implILNS1_25lookback_scan_determinismE0ELb1ES3_N6thrust23THRUST_200600_302600_NS6detail15normal_iteratorINS9_10device_ptrIiEEEESE_SE_iNS9_4plusIvEENS9_8equal_toIvEEiEE10hipError_tPvRmT2_T3_T4_T5_mT6_T7_P12ihipStream_tbENKUlT_T0_E_clISt17integral_constantIbLb0EESY_IbLb1EEEEDaSU_SV_EUlSU_E_NS1_11comp_targetILNS1_3genE8ELNS1_11target_archE1030ELNS1_3gpuE2ELNS1_3repE0EEENS1_30default_config_static_selectorELNS0_4arch9wavefront6targetE1EEEvT1_, .Lfunc_end496-_ZN7rocprim17ROCPRIM_400000_NS6detail17trampoline_kernelINS0_14default_configENS1_27scan_by_key_config_selectorIiiEEZZNS1_16scan_by_key_implILNS1_25lookback_scan_determinismE0ELb1ES3_N6thrust23THRUST_200600_302600_NS6detail15normal_iteratorINS9_10device_ptrIiEEEESE_SE_iNS9_4plusIvEENS9_8equal_toIvEEiEE10hipError_tPvRmT2_T3_T4_T5_mT6_T7_P12ihipStream_tbENKUlT_T0_E_clISt17integral_constantIbLb0EESY_IbLb1EEEEDaSU_SV_EUlSU_E_NS1_11comp_targetILNS1_3genE8ELNS1_11target_archE1030ELNS1_3gpuE2ELNS1_3repE0EEENS1_30default_config_static_selectorELNS0_4arch9wavefront6targetE1EEEvT1_
                                        ; -- End function
	.section	.AMDGPU.csdata,"",@progbits
; Kernel info:
; codeLenInByte = 0
; NumSgprs: 6
; NumVgprs: 0
; NumAgprs: 0
; TotalNumVgprs: 0
; ScratchSize: 0
; MemoryBound: 0
; FloatMode: 240
; IeeeMode: 1
; LDSByteSize: 0 bytes/workgroup (compile time only)
; SGPRBlocks: 0
; VGPRBlocks: 0
; NumSGPRsForWavesPerEU: 6
; NumVGPRsForWavesPerEU: 1
; AccumOffset: 4
; Occupancy: 8
; WaveLimiterHint : 0
; COMPUTE_PGM_RSRC2:SCRATCH_EN: 0
; COMPUTE_PGM_RSRC2:USER_SGPR: 2
; COMPUTE_PGM_RSRC2:TRAP_HANDLER: 0
; COMPUTE_PGM_RSRC2:TGID_X_EN: 1
; COMPUTE_PGM_RSRC2:TGID_Y_EN: 0
; COMPUTE_PGM_RSRC2:TGID_Z_EN: 0
; COMPUTE_PGM_RSRC2:TIDIG_COMP_CNT: 0
; COMPUTE_PGM_RSRC3_GFX90A:ACCUM_OFFSET: 0
; COMPUTE_PGM_RSRC3_GFX90A:TG_SPLIT: 0
	.section	.text._ZN7rocprim17ROCPRIM_400000_NS6detail17trampoline_kernelINS0_14default_configENS1_27scan_by_key_config_selectorIiiEEZZNS1_16scan_by_key_implILNS1_25lookback_scan_determinismE0ELb1ES3_N6thrust23THRUST_200600_302600_NS6detail15normal_iteratorINS9_10device_ptrIiEEEESE_SE_iNS9_10multipliesIiEENS9_8equal_toIiEEiEE10hipError_tPvRmT2_T3_T4_T5_mT6_T7_P12ihipStream_tbENKUlT_T0_E_clISt17integral_constantIbLb0EESZ_EEDaSU_SV_EUlSU_E_NS1_11comp_targetILNS1_3genE0ELNS1_11target_archE4294967295ELNS1_3gpuE0ELNS1_3repE0EEENS1_30default_config_static_selectorELNS0_4arch9wavefront6targetE1EEEvT1_,"axG",@progbits,_ZN7rocprim17ROCPRIM_400000_NS6detail17trampoline_kernelINS0_14default_configENS1_27scan_by_key_config_selectorIiiEEZZNS1_16scan_by_key_implILNS1_25lookback_scan_determinismE0ELb1ES3_N6thrust23THRUST_200600_302600_NS6detail15normal_iteratorINS9_10device_ptrIiEEEESE_SE_iNS9_10multipliesIiEENS9_8equal_toIiEEiEE10hipError_tPvRmT2_T3_T4_T5_mT6_T7_P12ihipStream_tbENKUlT_T0_E_clISt17integral_constantIbLb0EESZ_EEDaSU_SV_EUlSU_E_NS1_11comp_targetILNS1_3genE0ELNS1_11target_archE4294967295ELNS1_3gpuE0ELNS1_3repE0EEENS1_30default_config_static_selectorELNS0_4arch9wavefront6targetE1EEEvT1_,comdat
	.protected	_ZN7rocprim17ROCPRIM_400000_NS6detail17trampoline_kernelINS0_14default_configENS1_27scan_by_key_config_selectorIiiEEZZNS1_16scan_by_key_implILNS1_25lookback_scan_determinismE0ELb1ES3_N6thrust23THRUST_200600_302600_NS6detail15normal_iteratorINS9_10device_ptrIiEEEESE_SE_iNS9_10multipliesIiEENS9_8equal_toIiEEiEE10hipError_tPvRmT2_T3_T4_T5_mT6_T7_P12ihipStream_tbENKUlT_T0_E_clISt17integral_constantIbLb0EESZ_EEDaSU_SV_EUlSU_E_NS1_11comp_targetILNS1_3genE0ELNS1_11target_archE4294967295ELNS1_3gpuE0ELNS1_3repE0EEENS1_30default_config_static_selectorELNS0_4arch9wavefront6targetE1EEEvT1_ ; -- Begin function _ZN7rocprim17ROCPRIM_400000_NS6detail17trampoline_kernelINS0_14default_configENS1_27scan_by_key_config_selectorIiiEEZZNS1_16scan_by_key_implILNS1_25lookback_scan_determinismE0ELb1ES3_N6thrust23THRUST_200600_302600_NS6detail15normal_iteratorINS9_10device_ptrIiEEEESE_SE_iNS9_10multipliesIiEENS9_8equal_toIiEEiEE10hipError_tPvRmT2_T3_T4_T5_mT6_T7_P12ihipStream_tbENKUlT_T0_E_clISt17integral_constantIbLb0EESZ_EEDaSU_SV_EUlSU_E_NS1_11comp_targetILNS1_3genE0ELNS1_11target_archE4294967295ELNS1_3gpuE0ELNS1_3repE0EEENS1_30default_config_static_selectorELNS0_4arch9wavefront6targetE1EEEvT1_
	.globl	_ZN7rocprim17ROCPRIM_400000_NS6detail17trampoline_kernelINS0_14default_configENS1_27scan_by_key_config_selectorIiiEEZZNS1_16scan_by_key_implILNS1_25lookback_scan_determinismE0ELb1ES3_N6thrust23THRUST_200600_302600_NS6detail15normal_iteratorINS9_10device_ptrIiEEEESE_SE_iNS9_10multipliesIiEENS9_8equal_toIiEEiEE10hipError_tPvRmT2_T3_T4_T5_mT6_T7_P12ihipStream_tbENKUlT_T0_E_clISt17integral_constantIbLb0EESZ_EEDaSU_SV_EUlSU_E_NS1_11comp_targetILNS1_3genE0ELNS1_11target_archE4294967295ELNS1_3gpuE0ELNS1_3repE0EEENS1_30default_config_static_selectorELNS0_4arch9wavefront6targetE1EEEvT1_
	.p2align	8
	.type	_ZN7rocprim17ROCPRIM_400000_NS6detail17trampoline_kernelINS0_14default_configENS1_27scan_by_key_config_selectorIiiEEZZNS1_16scan_by_key_implILNS1_25lookback_scan_determinismE0ELb1ES3_N6thrust23THRUST_200600_302600_NS6detail15normal_iteratorINS9_10device_ptrIiEEEESE_SE_iNS9_10multipliesIiEENS9_8equal_toIiEEiEE10hipError_tPvRmT2_T3_T4_T5_mT6_T7_P12ihipStream_tbENKUlT_T0_E_clISt17integral_constantIbLb0EESZ_EEDaSU_SV_EUlSU_E_NS1_11comp_targetILNS1_3genE0ELNS1_11target_archE4294967295ELNS1_3gpuE0ELNS1_3repE0EEENS1_30default_config_static_selectorELNS0_4arch9wavefront6targetE1EEEvT1_,@function
_ZN7rocprim17ROCPRIM_400000_NS6detail17trampoline_kernelINS0_14default_configENS1_27scan_by_key_config_selectorIiiEEZZNS1_16scan_by_key_implILNS1_25lookback_scan_determinismE0ELb1ES3_N6thrust23THRUST_200600_302600_NS6detail15normal_iteratorINS9_10device_ptrIiEEEESE_SE_iNS9_10multipliesIiEENS9_8equal_toIiEEiEE10hipError_tPvRmT2_T3_T4_T5_mT6_T7_P12ihipStream_tbENKUlT_T0_E_clISt17integral_constantIbLb0EESZ_EEDaSU_SV_EUlSU_E_NS1_11comp_targetILNS1_3genE0ELNS1_11target_archE4294967295ELNS1_3gpuE0ELNS1_3repE0EEENS1_30default_config_static_selectorELNS0_4arch9wavefront6targetE1EEEvT1_: ; @_ZN7rocprim17ROCPRIM_400000_NS6detail17trampoline_kernelINS0_14default_configENS1_27scan_by_key_config_selectorIiiEEZZNS1_16scan_by_key_implILNS1_25lookback_scan_determinismE0ELb1ES3_N6thrust23THRUST_200600_302600_NS6detail15normal_iteratorINS9_10device_ptrIiEEEESE_SE_iNS9_10multipliesIiEENS9_8equal_toIiEEiEE10hipError_tPvRmT2_T3_T4_T5_mT6_T7_P12ihipStream_tbENKUlT_T0_E_clISt17integral_constantIbLb0EESZ_EEDaSU_SV_EUlSU_E_NS1_11comp_targetILNS1_3genE0ELNS1_11target_archE4294967295ELNS1_3gpuE0ELNS1_3repE0EEENS1_30default_config_static_selectorELNS0_4arch9wavefront6targetE1EEEvT1_
; %bb.0:
	.section	.rodata,"a",@progbits
	.p2align	6, 0x0
	.amdhsa_kernel _ZN7rocprim17ROCPRIM_400000_NS6detail17trampoline_kernelINS0_14default_configENS1_27scan_by_key_config_selectorIiiEEZZNS1_16scan_by_key_implILNS1_25lookback_scan_determinismE0ELb1ES3_N6thrust23THRUST_200600_302600_NS6detail15normal_iteratorINS9_10device_ptrIiEEEESE_SE_iNS9_10multipliesIiEENS9_8equal_toIiEEiEE10hipError_tPvRmT2_T3_T4_T5_mT6_T7_P12ihipStream_tbENKUlT_T0_E_clISt17integral_constantIbLb0EESZ_EEDaSU_SV_EUlSU_E_NS1_11comp_targetILNS1_3genE0ELNS1_11target_archE4294967295ELNS1_3gpuE0ELNS1_3repE0EEENS1_30default_config_static_selectorELNS0_4arch9wavefront6targetE1EEEvT1_
		.amdhsa_group_segment_fixed_size 0
		.amdhsa_private_segment_fixed_size 0
		.amdhsa_kernarg_size 112
		.amdhsa_user_sgpr_count 2
		.amdhsa_user_sgpr_dispatch_ptr 0
		.amdhsa_user_sgpr_queue_ptr 0
		.amdhsa_user_sgpr_kernarg_segment_ptr 1
		.amdhsa_user_sgpr_dispatch_id 0
		.amdhsa_user_sgpr_kernarg_preload_length 0
		.amdhsa_user_sgpr_kernarg_preload_offset 0
		.amdhsa_user_sgpr_private_segment_size 0
		.amdhsa_uses_dynamic_stack 0
		.amdhsa_enable_private_segment 0
		.amdhsa_system_sgpr_workgroup_id_x 1
		.amdhsa_system_sgpr_workgroup_id_y 0
		.amdhsa_system_sgpr_workgroup_id_z 0
		.amdhsa_system_sgpr_workgroup_info 0
		.amdhsa_system_vgpr_workitem_id 0
		.amdhsa_next_free_vgpr 1
		.amdhsa_next_free_sgpr 0
		.amdhsa_accum_offset 4
		.amdhsa_reserve_vcc 0
		.amdhsa_float_round_mode_32 0
		.amdhsa_float_round_mode_16_64 0
		.amdhsa_float_denorm_mode_32 3
		.amdhsa_float_denorm_mode_16_64 3
		.amdhsa_dx10_clamp 1
		.amdhsa_ieee_mode 1
		.amdhsa_fp16_overflow 0
		.amdhsa_tg_split 0
		.amdhsa_exception_fp_ieee_invalid_op 0
		.amdhsa_exception_fp_denorm_src 0
		.amdhsa_exception_fp_ieee_div_zero 0
		.amdhsa_exception_fp_ieee_overflow 0
		.amdhsa_exception_fp_ieee_underflow 0
		.amdhsa_exception_fp_ieee_inexact 0
		.amdhsa_exception_int_div_zero 0
	.end_amdhsa_kernel
	.section	.text._ZN7rocprim17ROCPRIM_400000_NS6detail17trampoline_kernelINS0_14default_configENS1_27scan_by_key_config_selectorIiiEEZZNS1_16scan_by_key_implILNS1_25lookback_scan_determinismE0ELb1ES3_N6thrust23THRUST_200600_302600_NS6detail15normal_iteratorINS9_10device_ptrIiEEEESE_SE_iNS9_10multipliesIiEENS9_8equal_toIiEEiEE10hipError_tPvRmT2_T3_T4_T5_mT6_T7_P12ihipStream_tbENKUlT_T0_E_clISt17integral_constantIbLb0EESZ_EEDaSU_SV_EUlSU_E_NS1_11comp_targetILNS1_3genE0ELNS1_11target_archE4294967295ELNS1_3gpuE0ELNS1_3repE0EEENS1_30default_config_static_selectorELNS0_4arch9wavefront6targetE1EEEvT1_,"axG",@progbits,_ZN7rocprim17ROCPRIM_400000_NS6detail17trampoline_kernelINS0_14default_configENS1_27scan_by_key_config_selectorIiiEEZZNS1_16scan_by_key_implILNS1_25lookback_scan_determinismE0ELb1ES3_N6thrust23THRUST_200600_302600_NS6detail15normal_iteratorINS9_10device_ptrIiEEEESE_SE_iNS9_10multipliesIiEENS9_8equal_toIiEEiEE10hipError_tPvRmT2_T3_T4_T5_mT6_T7_P12ihipStream_tbENKUlT_T0_E_clISt17integral_constantIbLb0EESZ_EEDaSU_SV_EUlSU_E_NS1_11comp_targetILNS1_3genE0ELNS1_11target_archE4294967295ELNS1_3gpuE0ELNS1_3repE0EEENS1_30default_config_static_selectorELNS0_4arch9wavefront6targetE1EEEvT1_,comdat
.Lfunc_end497:
	.size	_ZN7rocprim17ROCPRIM_400000_NS6detail17trampoline_kernelINS0_14default_configENS1_27scan_by_key_config_selectorIiiEEZZNS1_16scan_by_key_implILNS1_25lookback_scan_determinismE0ELb1ES3_N6thrust23THRUST_200600_302600_NS6detail15normal_iteratorINS9_10device_ptrIiEEEESE_SE_iNS9_10multipliesIiEENS9_8equal_toIiEEiEE10hipError_tPvRmT2_T3_T4_T5_mT6_T7_P12ihipStream_tbENKUlT_T0_E_clISt17integral_constantIbLb0EESZ_EEDaSU_SV_EUlSU_E_NS1_11comp_targetILNS1_3genE0ELNS1_11target_archE4294967295ELNS1_3gpuE0ELNS1_3repE0EEENS1_30default_config_static_selectorELNS0_4arch9wavefront6targetE1EEEvT1_, .Lfunc_end497-_ZN7rocprim17ROCPRIM_400000_NS6detail17trampoline_kernelINS0_14default_configENS1_27scan_by_key_config_selectorIiiEEZZNS1_16scan_by_key_implILNS1_25lookback_scan_determinismE0ELb1ES3_N6thrust23THRUST_200600_302600_NS6detail15normal_iteratorINS9_10device_ptrIiEEEESE_SE_iNS9_10multipliesIiEENS9_8equal_toIiEEiEE10hipError_tPvRmT2_T3_T4_T5_mT6_T7_P12ihipStream_tbENKUlT_T0_E_clISt17integral_constantIbLb0EESZ_EEDaSU_SV_EUlSU_E_NS1_11comp_targetILNS1_3genE0ELNS1_11target_archE4294967295ELNS1_3gpuE0ELNS1_3repE0EEENS1_30default_config_static_selectorELNS0_4arch9wavefront6targetE1EEEvT1_
                                        ; -- End function
	.section	.AMDGPU.csdata,"",@progbits
; Kernel info:
; codeLenInByte = 0
; NumSgprs: 6
; NumVgprs: 0
; NumAgprs: 0
; TotalNumVgprs: 0
; ScratchSize: 0
; MemoryBound: 0
; FloatMode: 240
; IeeeMode: 1
; LDSByteSize: 0 bytes/workgroup (compile time only)
; SGPRBlocks: 0
; VGPRBlocks: 0
; NumSGPRsForWavesPerEU: 6
; NumVGPRsForWavesPerEU: 1
; AccumOffset: 4
; Occupancy: 8
; WaveLimiterHint : 0
; COMPUTE_PGM_RSRC2:SCRATCH_EN: 0
; COMPUTE_PGM_RSRC2:USER_SGPR: 2
; COMPUTE_PGM_RSRC2:TRAP_HANDLER: 0
; COMPUTE_PGM_RSRC2:TGID_X_EN: 1
; COMPUTE_PGM_RSRC2:TGID_Y_EN: 0
; COMPUTE_PGM_RSRC2:TGID_Z_EN: 0
; COMPUTE_PGM_RSRC2:TIDIG_COMP_CNT: 0
; COMPUTE_PGM_RSRC3_GFX90A:ACCUM_OFFSET: 0
; COMPUTE_PGM_RSRC3_GFX90A:TG_SPLIT: 0
	.section	.text._ZN7rocprim17ROCPRIM_400000_NS6detail17trampoline_kernelINS0_14default_configENS1_27scan_by_key_config_selectorIiiEEZZNS1_16scan_by_key_implILNS1_25lookback_scan_determinismE0ELb1ES3_N6thrust23THRUST_200600_302600_NS6detail15normal_iteratorINS9_10device_ptrIiEEEESE_SE_iNS9_10multipliesIiEENS9_8equal_toIiEEiEE10hipError_tPvRmT2_T3_T4_T5_mT6_T7_P12ihipStream_tbENKUlT_T0_E_clISt17integral_constantIbLb0EESZ_EEDaSU_SV_EUlSU_E_NS1_11comp_targetILNS1_3genE10ELNS1_11target_archE1201ELNS1_3gpuE5ELNS1_3repE0EEENS1_30default_config_static_selectorELNS0_4arch9wavefront6targetE1EEEvT1_,"axG",@progbits,_ZN7rocprim17ROCPRIM_400000_NS6detail17trampoline_kernelINS0_14default_configENS1_27scan_by_key_config_selectorIiiEEZZNS1_16scan_by_key_implILNS1_25lookback_scan_determinismE0ELb1ES3_N6thrust23THRUST_200600_302600_NS6detail15normal_iteratorINS9_10device_ptrIiEEEESE_SE_iNS9_10multipliesIiEENS9_8equal_toIiEEiEE10hipError_tPvRmT2_T3_T4_T5_mT6_T7_P12ihipStream_tbENKUlT_T0_E_clISt17integral_constantIbLb0EESZ_EEDaSU_SV_EUlSU_E_NS1_11comp_targetILNS1_3genE10ELNS1_11target_archE1201ELNS1_3gpuE5ELNS1_3repE0EEENS1_30default_config_static_selectorELNS0_4arch9wavefront6targetE1EEEvT1_,comdat
	.protected	_ZN7rocprim17ROCPRIM_400000_NS6detail17trampoline_kernelINS0_14default_configENS1_27scan_by_key_config_selectorIiiEEZZNS1_16scan_by_key_implILNS1_25lookback_scan_determinismE0ELb1ES3_N6thrust23THRUST_200600_302600_NS6detail15normal_iteratorINS9_10device_ptrIiEEEESE_SE_iNS9_10multipliesIiEENS9_8equal_toIiEEiEE10hipError_tPvRmT2_T3_T4_T5_mT6_T7_P12ihipStream_tbENKUlT_T0_E_clISt17integral_constantIbLb0EESZ_EEDaSU_SV_EUlSU_E_NS1_11comp_targetILNS1_3genE10ELNS1_11target_archE1201ELNS1_3gpuE5ELNS1_3repE0EEENS1_30default_config_static_selectorELNS0_4arch9wavefront6targetE1EEEvT1_ ; -- Begin function _ZN7rocprim17ROCPRIM_400000_NS6detail17trampoline_kernelINS0_14default_configENS1_27scan_by_key_config_selectorIiiEEZZNS1_16scan_by_key_implILNS1_25lookback_scan_determinismE0ELb1ES3_N6thrust23THRUST_200600_302600_NS6detail15normal_iteratorINS9_10device_ptrIiEEEESE_SE_iNS9_10multipliesIiEENS9_8equal_toIiEEiEE10hipError_tPvRmT2_T3_T4_T5_mT6_T7_P12ihipStream_tbENKUlT_T0_E_clISt17integral_constantIbLb0EESZ_EEDaSU_SV_EUlSU_E_NS1_11comp_targetILNS1_3genE10ELNS1_11target_archE1201ELNS1_3gpuE5ELNS1_3repE0EEENS1_30default_config_static_selectorELNS0_4arch9wavefront6targetE1EEEvT1_
	.globl	_ZN7rocprim17ROCPRIM_400000_NS6detail17trampoline_kernelINS0_14default_configENS1_27scan_by_key_config_selectorIiiEEZZNS1_16scan_by_key_implILNS1_25lookback_scan_determinismE0ELb1ES3_N6thrust23THRUST_200600_302600_NS6detail15normal_iteratorINS9_10device_ptrIiEEEESE_SE_iNS9_10multipliesIiEENS9_8equal_toIiEEiEE10hipError_tPvRmT2_T3_T4_T5_mT6_T7_P12ihipStream_tbENKUlT_T0_E_clISt17integral_constantIbLb0EESZ_EEDaSU_SV_EUlSU_E_NS1_11comp_targetILNS1_3genE10ELNS1_11target_archE1201ELNS1_3gpuE5ELNS1_3repE0EEENS1_30default_config_static_selectorELNS0_4arch9wavefront6targetE1EEEvT1_
	.p2align	8
	.type	_ZN7rocprim17ROCPRIM_400000_NS6detail17trampoline_kernelINS0_14default_configENS1_27scan_by_key_config_selectorIiiEEZZNS1_16scan_by_key_implILNS1_25lookback_scan_determinismE0ELb1ES3_N6thrust23THRUST_200600_302600_NS6detail15normal_iteratorINS9_10device_ptrIiEEEESE_SE_iNS9_10multipliesIiEENS9_8equal_toIiEEiEE10hipError_tPvRmT2_T3_T4_T5_mT6_T7_P12ihipStream_tbENKUlT_T0_E_clISt17integral_constantIbLb0EESZ_EEDaSU_SV_EUlSU_E_NS1_11comp_targetILNS1_3genE10ELNS1_11target_archE1201ELNS1_3gpuE5ELNS1_3repE0EEENS1_30default_config_static_selectorELNS0_4arch9wavefront6targetE1EEEvT1_,@function
_ZN7rocprim17ROCPRIM_400000_NS6detail17trampoline_kernelINS0_14default_configENS1_27scan_by_key_config_selectorIiiEEZZNS1_16scan_by_key_implILNS1_25lookback_scan_determinismE0ELb1ES3_N6thrust23THRUST_200600_302600_NS6detail15normal_iteratorINS9_10device_ptrIiEEEESE_SE_iNS9_10multipliesIiEENS9_8equal_toIiEEiEE10hipError_tPvRmT2_T3_T4_T5_mT6_T7_P12ihipStream_tbENKUlT_T0_E_clISt17integral_constantIbLb0EESZ_EEDaSU_SV_EUlSU_E_NS1_11comp_targetILNS1_3genE10ELNS1_11target_archE1201ELNS1_3gpuE5ELNS1_3repE0EEENS1_30default_config_static_selectorELNS0_4arch9wavefront6targetE1EEEvT1_: ; @_ZN7rocprim17ROCPRIM_400000_NS6detail17trampoline_kernelINS0_14default_configENS1_27scan_by_key_config_selectorIiiEEZZNS1_16scan_by_key_implILNS1_25lookback_scan_determinismE0ELb1ES3_N6thrust23THRUST_200600_302600_NS6detail15normal_iteratorINS9_10device_ptrIiEEEESE_SE_iNS9_10multipliesIiEENS9_8equal_toIiEEiEE10hipError_tPvRmT2_T3_T4_T5_mT6_T7_P12ihipStream_tbENKUlT_T0_E_clISt17integral_constantIbLb0EESZ_EEDaSU_SV_EUlSU_E_NS1_11comp_targetILNS1_3genE10ELNS1_11target_archE1201ELNS1_3gpuE5ELNS1_3repE0EEENS1_30default_config_static_selectorELNS0_4arch9wavefront6targetE1EEEvT1_
; %bb.0:
	.section	.rodata,"a",@progbits
	.p2align	6, 0x0
	.amdhsa_kernel _ZN7rocprim17ROCPRIM_400000_NS6detail17trampoline_kernelINS0_14default_configENS1_27scan_by_key_config_selectorIiiEEZZNS1_16scan_by_key_implILNS1_25lookback_scan_determinismE0ELb1ES3_N6thrust23THRUST_200600_302600_NS6detail15normal_iteratorINS9_10device_ptrIiEEEESE_SE_iNS9_10multipliesIiEENS9_8equal_toIiEEiEE10hipError_tPvRmT2_T3_T4_T5_mT6_T7_P12ihipStream_tbENKUlT_T0_E_clISt17integral_constantIbLb0EESZ_EEDaSU_SV_EUlSU_E_NS1_11comp_targetILNS1_3genE10ELNS1_11target_archE1201ELNS1_3gpuE5ELNS1_3repE0EEENS1_30default_config_static_selectorELNS0_4arch9wavefront6targetE1EEEvT1_
		.amdhsa_group_segment_fixed_size 0
		.amdhsa_private_segment_fixed_size 0
		.amdhsa_kernarg_size 112
		.amdhsa_user_sgpr_count 2
		.amdhsa_user_sgpr_dispatch_ptr 0
		.amdhsa_user_sgpr_queue_ptr 0
		.amdhsa_user_sgpr_kernarg_segment_ptr 1
		.amdhsa_user_sgpr_dispatch_id 0
		.amdhsa_user_sgpr_kernarg_preload_length 0
		.amdhsa_user_sgpr_kernarg_preload_offset 0
		.amdhsa_user_sgpr_private_segment_size 0
		.amdhsa_uses_dynamic_stack 0
		.amdhsa_enable_private_segment 0
		.amdhsa_system_sgpr_workgroup_id_x 1
		.amdhsa_system_sgpr_workgroup_id_y 0
		.amdhsa_system_sgpr_workgroup_id_z 0
		.amdhsa_system_sgpr_workgroup_info 0
		.amdhsa_system_vgpr_workitem_id 0
		.amdhsa_next_free_vgpr 1
		.amdhsa_next_free_sgpr 0
		.amdhsa_accum_offset 4
		.amdhsa_reserve_vcc 0
		.amdhsa_float_round_mode_32 0
		.amdhsa_float_round_mode_16_64 0
		.amdhsa_float_denorm_mode_32 3
		.amdhsa_float_denorm_mode_16_64 3
		.amdhsa_dx10_clamp 1
		.amdhsa_ieee_mode 1
		.amdhsa_fp16_overflow 0
		.amdhsa_tg_split 0
		.amdhsa_exception_fp_ieee_invalid_op 0
		.amdhsa_exception_fp_denorm_src 0
		.amdhsa_exception_fp_ieee_div_zero 0
		.amdhsa_exception_fp_ieee_overflow 0
		.amdhsa_exception_fp_ieee_underflow 0
		.amdhsa_exception_fp_ieee_inexact 0
		.amdhsa_exception_int_div_zero 0
	.end_amdhsa_kernel
	.section	.text._ZN7rocprim17ROCPRIM_400000_NS6detail17trampoline_kernelINS0_14default_configENS1_27scan_by_key_config_selectorIiiEEZZNS1_16scan_by_key_implILNS1_25lookback_scan_determinismE0ELb1ES3_N6thrust23THRUST_200600_302600_NS6detail15normal_iteratorINS9_10device_ptrIiEEEESE_SE_iNS9_10multipliesIiEENS9_8equal_toIiEEiEE10hipError_tPvRmT2_T3_T4_T5_mT6_T7_P12ihipStream_tbENKUlT_T0_E_clISt17integral_constantIbLb0EESZ_EEDaSU_SV_EUlSU_E_NS1_11comp_targetILNS1_3genE10ELNS1_11target_archE1201ELNS1_3gpuE5ELNS1_3repE0EEENS1_30default_config_static_selectorELNS0_4arch9wavefront6targetE1EEEvT1_,"axG",@progbits,_ZN7rocprim17ROCPRIM_400000_NS6detail17trampoline_kernelINS0_14default_configENS1_27scan_by_key_config_selectorIiiEEZZNS1_16scan_by_key_implILNS1_25lookback_scan_determinismE0ELb1ES3_N6thrust23THRUST_200600_302600_NS6detail15normal_iteratorINS9_10device_ptrIiEEEESE_SE_iNS9_10multipliesIiEENS9_8equal_toIiEEiEE10hipError_tPvRmT2_T3_T4_T5_mT6_T7_P12ihipStream_tbENKUlT_T0_E_clISt17integral_constantIbLb0EESZ_EEDaSU_SV_EUlSU_E_NS1_11comp_targetILNS1_3genE10ELNS1_11target_archE1201ELNS1_3gpuE5ELNS1_3repE0EEENS1_30default_config_static_selectorELNS0_4arch9wavefront6targetE1EEEvT1_,comdat
.Lfunc_end498:
	.size	_ZN7rocprim17ROCPRIM_400000_NS6detail17trampoline_kernelINS0_14default_configENS1_27scan_by_key_config_selectorIiiEEZZNS1_16scan_by_key_implILNS1_25lookback_scan_determinismE0ELb1ES3_N6thrust23THRUST_200600_302600_NS6detail15normal_iteratorINS9_10device_ptrIiEEEESE_SE_iNS9_10multipliesIiEENS9_8equal_toIiEEiEE10hipError_tPvRmT2_T3_T4_T5_mT6_T7_P12ihipStream_tbENKUlT_T0_E_clISt17integral_constantIbLb0EESZ_EEDaSU_SV_EUlSU_E_NS1_11comp_targetILNS1_3genE10ELNS1_11target_archE1201ELNS1_3gpuE5ELNS1_3repE0EEENS1_30default_config_static_selectorELNS0_4arch9wavefront6targetE1EEEvT1_, .Lfunc_end498-_ZN7rocprim17ROCPRIM_400000_NS6detail17trampoline_kernelINS0_14default_configENS1_27scan_by_key_config_selectorIiiEEZZNS1_16scan_by_key_implILNS1_25lookback_scan_determinismE0ELb1ES3_N6thrust23THRUST_200600_302600_NS6detail15normal_iteratorINS9_10device_ptrIiEEEESE_SE_iNS9_10multipliesIiEENS9_8equal_toIiEEiEE10hipError_tPvRmT2_T3_T4_T5_mT6_T7_P12ihipStream_tbENKUlT_T0_E_clISt17integral_constantIbLb0EESZ_EEDaSU_SV_EUlSU_E_NS1_11comp_targetILNS1_3genE10ELNS1_11target_archE1201ELNS1_3gpuE5ELNS1_3repE0EEENS1_30default_config_static_selectorELNS0_4arch9wavefront6targetE1EEEvT1_
                                        ; -- End function
	.section	.AMDGPU.csdata,"",@progbits
; Kernel info:
; codeLenInByte = 0
; NumSgprs: 6
; NumVgprs: 0
; NumAgprs: 0
; TotalNumVgprs: 0
; ScratchSize: 0
; MemoryBound: 0
; FloatMode: 240
; IeeeMode: 1
; LDSByteSize: 0 bytes/workgroup (compile time only)
; SGPRBlocks: 0
; VGPRBlocks: 0
; NumSGPRsForWavesPerEU: 6
; NumVGPRsForWavesPerEU: 1
; AccumOffset: 4
; Occupancy: 8
; WaveLimiterHint : 0
; COMPUTE_PGM_RSRC2:SCRATCH_EN: 0
; COMPUTE_PGM_RSRC2:USER_SGPR: 2
; COMPUTE_PGM_RSRC2:TRAP_HANDLER: 0
; COMPUTE_PGM_RSRC2:TGID_X_EN: 1
; COMPUTE_PGM_RSRC2:TGID_Y_EN: 0
; COMPUTE_PGM_RSRC2:TGID_Z_EN: 0
; COMPUTE_PGM_RSRC2:TIDIG_COMP_CNT: 0
; COMPUTE_PGM_RSRC3_GFX90A:ACCUM_OFFSET: 0
; COMPUTE_PGM_RSRC3_GFX90A:TG_SPLIT: 0
	.section	.text._ZN7rocprim17ROCPRIM_400000_NS6detail17trampoline_kernelINS0_14default_configENS1_27scan_by_key_config_selectorIiiEEZZNS1_16scan_by_key_implILNS1_25lookback_scan_determinismE0ELb1ES3_N6thrust23THRUST_200600_302600_NS6detail15normal_iteratorINS9_10device_ptrIiEEEESE_SE_iNS9_10multipliesIiEENS9_8equal_toIiEEiEE10hipError_tPvRmT2_T3_T4_T5_mT6_T7_P12ihipStream_tbENKUlT_T0_E_clISt17integral_constantIbLb0EESZ_EEDaSU_SV_EUlSU_E_NS1_11comp_targetILNS1_3genE5ELNS1_11target_archE942ELNS1_3gpuE9ELNS1_3repE0EEENS1_30default_config_static_selectorELNS0_4arch9wavefront6targetE1EEEvT1_,"axG",@progbits,_ZN7rocprim17ROCPRIM_400000_NS6detail17trampoline_kernelINS0_14default_configENS1_27scan_by_key_config_selectorIiiEEZZNS1_16scan_by_key_implILNS1_25lookback_scan_determinismE0ELb1ES3_N6thrust23THRUST_200600_302600_NS6detail15normal_iteratorINS9_10device_ptrIiEEEESE_SE_iNS9_10multipliesIiEENS9_8equal_toIiEEiEE10hipError_tPvRmT2_T3_T4_T5_mT6_T7_P12ihipStream_tbENKUlT_T0_E_clISt17integral_constantIbLb0EESZ_EEDaSU_SV_EUlSU_E_NS1_11comp_targetILNS1_3genE5ELNS1_11target_archE942ELNS1_3gpuE9ELNS1_3repE0EEENS1_30default_config_static_selectorELNS0_4arch9wavefront6targetE1EEEvT1_,comdat
	.protected	_ZN7rocprim17ROCPRIM_400000_NS6detail17trampoline_kernelINS0_14default_configENS1_27scan_by_key_config_selectorIiiEEZZNS1_16scan_by_key_implILNS1_25lookback_scan_determinismE0ELb1ES3_N6thrust23THRUST_200600_302600_NS6detail15normal_iteratorINS9_10device_ptrIiEEEESE_SE_iNS9_10multipliesIiEENS9_8equal_toIiEEiEE10hipError_tPvRmT2_T3_T4_T5_mT6_T7_P12ihipStream_tbENKUlT_T0_E_clISt17integral_constantIbLb0EESZ_EEDaSU_SV_EUlSU_E_NS1_11comp_targetILNS1_3genE5ELNS1_11target_archE942ELNS1_3gpuE9ELNS1_3repE0EEENS1_30default_config_static_selectorELNS0_4arch9wavefront6targetE1EEEvT1_ ; -- Begin function _ZN7rocprim17ROCPRIM_400000_NS6detail17trampoline_kernelINS0_14default_configENS1_27scan_by_key_config_selectorIiiEEZZNS1_16scan_by_key_implILNS1_25lookback_scan_determinismE0ELb1ES3_N6thrust23THRUST_200600_302600_NS6detail15normal_iteratorINS9_10device_ptrIiEEEESE_SE_iNS9_10multipliesIiEENS9_8equal_toIiEEiEE10hipError_tPvRmT2_T3_T4_T5_mT6_T7_P12ihipStream_tbENKUlT_T0_E_clISt17integral_constantIbLb0EESZ_EEDaSU_SV_EUlSU_E_NS1_11comp_targetILNS1_3genE5ELNS1_11target_archE942ELNS1_3gpuE9ELNS1_3repE0EEENS1_30default_config_static_selectorELNS0_4arch9wavefront6targetE1EEEvT1_
	.globl	_ZN7rocprim17ROCPRIM_400000_NS6detail17trampoline_kernelINS0_14default_configENS1_27scan_by_key_config_selectorIiiEEZZNS1_16scan_by_key_implILNS1_25lookback_scan_determinismE0ELb1ES3_N6thrust23THRUST_200600_302600_NS6detail15normal_iteratorINS9_10device_ptrIiEEEESE_SE_iNS9_10multipliesIiEENS9_8equal_toIiEEiEE10hipError_tPvRmT2_T3_T4_T5_mT6_T7_P12ihipStream_tbENKUlT_T0_E_clISt17integral_constantIbLb0EESZ_EEDaSU_SV_EUlSU_E_NS1_11comp_targetILNS1_3genE5ELNS1_11target_archE942ELNS1_3gpuE9ELNS1_3repE0EEENS1_30default_config_static_selectorELNS0_4arch9wavefront6targetE1EEEvT1_
	.p2align	8
	.type	_ZN7rocprim17ROCPRIM_400000_NS6detail17trampoline_kernelINS0_14default_configENS1_27scan_by_key_config_selectorIiiEEZZNS1_16scan_by_key_implILNS1_25lookback_scan_determinismE0ELb1ES3_N6thrust23THRUST_200600_302600_NS6detail15normal_iteratorINS9_10device_ptrIiEEEESE_SE_iNS9_10multipliesIiEENS9_8equal_toIiEEiEE10hipError_tPvRmT2_T3_T4_T5_mT6_T7_P12ihipStream_tbENKUlT_T0_E_clISt17integral_constantIbLb0EESZ_EEDaSU_SV_EUlSU_E_NS1_11comp_targetILNS1_3genE5ELNS1_11target_archE942ELNS1_3gpuE9ELNS1_3repE0EEENS1_30default_config_static_selectorELNS0_4arch9wavefront6targetE1EEEvT1_,@function
_ZN7rocprim17ROCPRIM_400000_NS6detail17trampoline_kernelINS0_14default_configENS1_27scan_by_key_config_selectorIiiEEZZNS1_16scan_by_key_implILNS1_25lookback_scan_determinismE0ELb1ES3_N6thrust23THRUST_200600_302600_NS6detail15normal_iteratorINS9_10device_ptrIiEEEESE_SE_iNS9_10multipliesIiEENS9_8equal_toIiEEiEE10hipError_tPvRmT2_T3_T4_T5_mT6_T7_P12ihipStream_tbENKUlT_T0_E_clISt17integral_constantIbLb0EESZ_EEDaSU_SV_EUlSU_E_NS1_11comp_targetILNS1_3genE5ELNS1_11target_archE942ELNS1_3gpuE9ELNS1_3repE0EEENS1_30default_config_static_selectorELNS0_4arch9wavefront6targetE1EEEvT1_: ; @_ZN7rocprim17ROCPRIM_400000_NS6detail17trampoline_kernelINS0_14default_configENS1_27scan_by_key_config_selectorIiiEEZZNS1_16scan_by_key_implILNS1_25lookback_scan_determinismE0ELb1ES3_N6thrust23THRUST_200600_302600_NS6detail15normal_iteratorINS9_10device_ptrIiEEEESE_SE_iNS9_10multipliesIiEENS9_8equal_toIiEEiEE10hipError_tPvRmT2_T3_T4_T5_mT6_T7_P12ihipStream_tbENKUlT_T0_E_clISt17integral_constantIbLb0EESZ_EEDaSU_SV_EUlSU_E_NS1_11comp_targetILNS1_3genE5ELNS1_11target_archE942ELNS1_3gpuE9ELNS1_3repE0EEENS1_30default_config_static_selectorELNS0_4arch9wavefront6targetE1EEEvT1_
; %bb.0:
	s_load_dwordx8 s[48:55], s[0:1], 0x0
	s_load_dword s76, s[0:1], 0x20
	s_load_dwordx4 s[56:59], s[0:1], 0x28
	s_load_dwordx2 s[66:67], s[0:1], 0x38
	s_load_dword s3, s[0:1], 0x40
	s_load_dwordx4 s[60:63], s[0:1], 0x48
	s_waitcnt lgkmcnt(0)
	s_lshl_b64 s[64:65], s[50:51], 2
	s_add_u32 s4, s48, s64
	s_addc_u32 s5, s49, s65
	s_add_u32 s6, s52, s64
	s_mul_i32 s0, s67, s3
	s_mul_hi_u32 s1, s66, s3
	s_addc_u32 s7, s53, s65
	s_add_i32 s8, s1, s0
	s_mul_i32 s0, s2, 0x1700
	s_mov_b32 s1, 0
	s_lshl_b64 s[52:53], s[0:1], 2
	s_add_u32 s70, s4, s52
	s_addc_u32 s71, s5, s53
	s_add_u32 s68, s6, s52
	s_mul_i32 s3, s66, s3
	s_addc_u32 s69, s7, s53
	s_add_u32 s0, s3, s2
	s_addc_u32 s1, s8, 0
	s_add_u32 s6, s60, -1
	s_addc_u32 s7, s61, -1
	v_mov_b64_e32 v[2:3], s[6:7]
	v_cmp_ge_u64_e64 s[0:1], s[0:1], v[2:3]
	s_mov_b64 s[4:5], -1
	s_and_b64 vcc, exec, s[0:1]
	s_mul_i32 s33, s6, 0xffffe900
	s_barrier
	s_cbranch_vccz .LBB499_71
; %bb.1:
	v_mov_b64_e32 v[2:3], s[70:71]
	flat_load_dword v1, v[2:3]
	s_add_i32 s3, s33, s58
	v_cmp_gt_u32_e32 vcc, s3, v0
	s_waitcnt vmcnt(0) lgkmcnt(0)
	v_mov_b32_e32 v4, v1
	s_and_saveexec_b64 s[4:5], vcc
	s_cbranch_execz .LBB499_3
; %bb.2:
	v_lshlrev_b32_e32 v2, 2, v0
	v_mov_b32_e32 v3, 0
	v_lshl_add_u64 v[2:3], s[70:71], 0, v[2:3]
	flat_load_dword v4, v[2:3]
.LBB499_3:
	s_or_b64 exec, exec, s[4:5]
	v_or_b32_e32 v2, 0x100, v0
	v_cmp_gt_u32_e64 s[48:49], s3, v2
	v_mov_b32_e32 v5, v1
	s_and_saveexec_b64 s[4:5], s[48:49]
	s_cbranch_execz .LBB499_5
; %bb.4:
	v_lshlrev_b32_e32 v2, 2, v0
	v_mov_b32_e32 v3, 0
	v_lshl_add_u64 v[2:3], s[70:71], 0, v[2:3]
	flat_load_dword v5, v[2:3] offset:1024
.LBB499_5:
	s_or_b64 exec, exec, s[4:5]
	v_or_b32_e32 v2, 0x200, v0
	v_cmp_gt_u32_e64 s[4:5], s3, v2
	v_mov_b32_e32 v6, v1
	s_and_saveexec_b64 s[6:7], s[4:5]
	s_cbranch_execz .LBB499_7
; %bb.6:
	v_lshlrev_b32_e32 v2, 2, v0
	v_mov_b32_e32 v3, 0
	v_lshl_add_u64 v[2:3], s[70:71], 0, v[2:3]
	flat_load_dword v6, v[2:3] offset:2048
.LBB499_7:
	;; [unrolled: 12-line block ×3, first 2 shown]
	s_or_b64 exec, exec, s[8:9]
	v_or_b32_e32 v2, 0x400, v0
	v_cmp_gt_u32_e64 s[8:9], s3, v2
	v_lshlrev_b32_e32 v2, 2, v2
	v_mov_b32_e32 v3, v1
	s_and_saveexec_b64 s[10:11], s[8:9]
	s_cbranch_execz .LBB499_11
; %bb.10:
	v_mov_b32_e32 v3, 0
	v_lshl_add_u64 v[8:9], s[70:71], 0, v[2:3]
	flat_load_dword v3, v[8:9]
.LBB499_11:
	s_or_b64 exec, exec, s[10:11]
	v_or_b32_e32 v8, 0x500, v0
	v_cmp_gt_u32_e64 s[10:11], s3, v8
	v_lshlrev_b32_e32 v10, 2, v8
	v_mov_b32_e32 v8, v1
	s_and_saveexec_b64 s[12:13], s[10:11]
	s_cbranch_execz .LBB499_13
; %bb.12:
	v_mov_b32_e32 v11, 0
	v_lshl_add_u64 v[8:9], s[70:71], 0, v[10:11]
	flat_load_dword v8, v[8:9]
.LBB499_13:
	;; [unrolled: 12-line block ×18, first 2 shown]
	s_or_b64 exec, exec, s[46:47]
	v_or_b32_e32 v41, 0x1600, v0
	v_cmp_gt_u32_e64 s[46:47], s3, v41
	v_lshlrev_b32_e32 v44, 2, v41
	s_and_saveexec_b64 s[50:51], s[46:47]
	s_cbranch_execz .LBB499_47
; %bb.46:
	v_mov_b32_e32 v45, 0
	v_lshl_add_u64 v[46:47], s[70:71], 0, v[44:45]
	flat_load_dword v1, v[46:47]
.LBB499_47:
	s_or_b64 exec, exec, s[50:51]
	v_lshlrev_b32_e32 v46, 2, v0
	s_waitcnt vmcnt(0) lgkmcnt(0)
	ds_write2st64_b32 v46, v4, v5 offset1:4
	ds_write2st64_b32 v46, v6, v7 offset0:8 offset1:12
	ds_write2st64_b32 v46, v3, v8 offset0:16 offset1:20
	;; [unrolled: 1-line block ×10, first 2 shown]
	ds_write_b32 v46, v1 offset:22528
	v_mov_b64_e32 v[4:5], s[70:71]
	s_waitcnt lgkmcnt(0)
	s_barrier
	flat_load_dword v1, v[4:5]
	s_movk_i32 s50, 0x58
	v_mad_u32_u24 v70, v0, s50, v46
	s_movk_i32 s50, 0xffa8
	v_mad_i32_i24 v3, v0, s50, v70
	s_movk_i32 s50, 0xff
	v_cmp_ne_u32_e64 s[50:51], s50, v0
	ds_read_b32 v72, v70
	ds_read2_b32 v[68:69], v70 offset0:1 offset1:2
	ds_read2_b32 v[66:67], v70 offset0:3 offset1:4
	;; [unrolled: 1-line block ×11, first 2 shown]
	s_waitcnt lgkmcnt(0)
	ds_write_b32 v3, v72 offset:24576
	s_waitcnt lgkmcnt(0)
	s_barrier
	s_and_saveexec_b64 s[60:61], s[50:51]
	s_cbranch_execz .LBB499_49
; %bb.48:
	s_waitcnt vmcnt(0)
	ds_read_b32 v1, v46 offset:24580
.LBB499_49:
	s_or_b64 exec, exec, s[60:61]
	v_mov_b32_e32 v47, 0
	s_waitcnt lgkmcnt(0)
	s_barrier
	s_waitcnt lgkmcnt(0)
                                        ; implicit-def: $vgpr48
	s_and_saveexec_b64 s[50:51], vcc
	s_cbranch_execz .LBB499_72
; %bb.50:
	v_lshl_add_u64 v[48:49], s[68:69], 0, v[46:47]
	flat_load_dword v48, v[48:49]
	s_or_b64 exec, exec, s[50:51]
                                        ; implicit-def: $vgpr49
	s_and_saveexec_b64 s[50:51], s[48:49]
	s_cbranch_execnz .LBB499_73
.LBB499_51:
	s_or_b64 exec, exec, s[50:51]
                                        ; implicit-def: $vgpr50
	s_and_saveexec_b64 s[48:49], s[4:5]
	s_cbranch_execz .LBB499_74
.LBB499_52:
	v_mov_b32_e32 v47, 0
	v_lshl_add_u64 v[50:51], s[68:69], 0, v[46:47]
	flat_load_dword v50, v[50:51] offset:2048
	s_or_b64 exec, exec, s[48:49]
                                        ; implicit-def: $vgpr47
	s_and_saveexec_b64 s[4:5], s[6:7]
	s_cbranch_execnz .LBB499_75
.LBB499_53:
	s_or_b64 exec, exec, s[4:5]
                                        ; implicit-def: $vgpr3
	s_and_saveexec_b64 s[4:5], s[8:9]
	s_cbranch_execz .LBB499_76
.LBB499_54:
	v_mov_b32_e32 v3, 0
	v_lshl_add_u64 v[2:3], s[68:69], 0, v[2:3]
	flat_load_dword v3, v[2:3]
	s_or_b64 exec, exec, s[4:5]
                                        ; implicit-def: $vgpr2
	s_and_saveexec_b64 s[4:5], s[10:11]
	s_cbranch_execnz .LBB499_77
.LBB499_55:
	s_or_b64 exec, exec, s[4:5]
                                        ; implicit-def: $vgpr10
	s_and_saveexec_b64 s[4:5], s[12:13]
	s_cbranch_execz .LBB499_78
.LBB499_56:
	v_mov_b32_e32 v13, 0
	v_lshl_add_u64 v[10:11], s[68:69], 0, v[12:13]
	flat_load_dword v10, v[10:11]
	s_or_b64 exec, exec, s[4:5]
                                        ; implicit-def: $vgpr11
	s_and_saveexec_b64 s[4:5], s[14:15]
	s_cbranch_execnz .LBB499_79
.LBB499_57:
	s_or_b64 exec, exec, s[4:5]
                                        ; implicit-def: $vgpr12
	s_and_saveexec_b64 s[4:5], s[16:17]
	s_cbranch_execz .LBB499_80
.LBB499_58:
	v_mov_b32_e32 v17, 0
	v_lshl_add_u64 v[12:13], s[68:69], 0, v[16:17]
	flat_load_dword v12, v[12:13]
	s_or_b64 exec, exec, s[4:5]
                                        ; implicit-def: $vgpr13
	s_and_saveexec_b64 s[4:5], s[18:19]
	s_cbranch_execnz .LBB499_81
.LBB499_59:
	s_or_b64 exec, exec, s[4:5]
                                        ; implicit-def: $vgpr14
	s_and_saveexec_b64 s[4:5], s[20:21]
	s_cbranch_execz .LBB499_82
.LBB499_60:
	v_mov_b32_e32 v21, 0
	v_lshl_add_u64 v[14:15], s[68:69], 0, v[20:21]
	flat_load_dword v14, v[14:15]
	s_or_b64 exec, exec, s[4:5]
                                        ; implicit-def: $vgpr15
	s_and_saveexec_b64 s[4:5], s[22:23]
	s_cbranch_execnz .LBB499_83
.LBB499_61:
	s_or_b64 exec, exec, s[4:5]
                                        ; implicit-def: $vgpr16
	s_and_saveexec_b64 s[4:5], s[24:25]
	s_cbranch_execz .LBB499_84
.LBB499_62:
	v_mov_b32_e32 v25, 0
	v_lshl_add_u64 v[16:17], s[68:69], 0, v[24:25]
	flat_load_dword v16, v[16:17]
	s_or_b64 exec, exec, s[4:5]
                                        ; implicit-def: $vgpr17
	s_and_saveexec_b64 s[4:5], s[26:27]
	s_cbranch_execnz .LBB499_85
.LBB499_63:
	s_or_b64 exec, exec, s[4:5]
                                        ; implicit-def: $vgpr18
	s_and_saveexec_b64 s[4:5], s[28:29]
	s_cbranch_execz .LBB499_86
.LBB499_64:
	v_mov_b32_e32 v29, 0
	v_lshl_add_u64 v[18:19], s[68:69], 0, v[28:29]
	flat_load_dword v18, v[18:19]
	s_or_b64 exec, exec, s[4:5]
                                        ; implicit-def: $vgpr19
	s_and_saveexec_b64 s[4:5], s[30:31]
	s_cbranch_execnz .LBB499_87
.LBB499_65:
	s_or_b64 exec, exec, s[4:5]
                                        ; implicit-def: $vgpr20
	s_and_saveexec_b64 s[4:5], s[34:35]
	s_cbranch_execz .LBB499_88
.LBB499_66:
	v_mov_b32_e32 v33, 0
	v_lshl_add_u64 v[20:21], s[68:69], 0, v[32:33]
	flat_load_dword v20, v[20:21]
	s_or_b64 exec, exec, s[4:5]
                                        ; implicit-def: $vgpr21
	s_and_saveexec_b64 s[4:5], s[36:37]
	s_cbranch_execnz .LBB499_89
.LBB499_67:
	s_or_b64 exec, exec, s[4:5]
                                        ; implicit-def: $vgpr22
	s_and_saveexec_b64 s[4:5], s[38:39]
	s_cbranch_execz .LBB499_90
.LBB499_68:
	v_mov_b32_e32 v37, 0
	v_lshl_add_u64 v[22:23], s[68:69], 0, v[36:37]
	flat_load_dword v22, v[22:23]
	s_or_b64 exec, exec, s[4:5]
                                        ; implicit-def: $vgpr23
	s_and_saveexec_b64 s[4:5], s[40:41]
	s_cbranch_execnz .LBB499_91
.LBB499_69:
	s_or_b64 exec, exec, s[4:5]
                                        ; implicit-def: $vgpr24
	s_and_saveexec_b64 s[4:5], s[42:43]
	s_cbranch_execz .LBB499_92
.LBB499_70:
	v_mov_b32_e32 v41, 0
	v_lshl_add_u64 v[24:25], s[68:69], 0, v[40:41]
	flat_load_dword v24, v[24:25]
	s_or_b64 exec, exec, s[4:5]
                                        ; implicit-def: $vgpr25
	s_and_saveexec_b64 s[4:5], s[44:45]
	s_cbranch_execz .LBB499_94
	s_branch .LBB499_93
.LBB499_71:
	s_mov_b64 s[10:11], 0
                                        ; implicit-def: $sgpr8_sgpr9
                                        ; implicit-def: $vgpr2
                                        ; implicit-def: $vgpr10_vgpr11
                                        ; implicit-def: $vgpr12_vgpr13
                                        ; implicit-def: $vgpr14_vgpr15
                                        ; implicit-def: $vgpr16_vgpr17
                                        ; implicit-def: $vgpr18_vgpr19
                                        ; implicit-def: $vgpr20_vgpr21
                                        ; implicit-def: $vgpr22_vgpr23
                                        ; implicit-def: $vgpr24_vgpr25
                                        ; implicit-def: $vgpr26_vgpr27
                                        ; implicit-def: $vgpr28_vgpr29
                                        ; implicit-def: $vgpr30_vgpr31
                                        ; implicit-def: $vgpr32_vgpr33
                                        ; implicit-def: $vgpr34_vgpr35
                                        ; implicit-def: $vgpr36_vgpr37
                                        ; implicit-def: $vgpr38_vgpr39
                                        ; implicit-def: $vgpr40_vgpr41
                                        ; implicit-def: $vgpr42_vgpr43
                                        ; implicit-def: $vgpr44_vgpr45
                                        ; implicit-def: $vgpr46_vgpr47
                                        ; implicit-def: $vgpr48_vgpr49
                                        ; implicit-def: $vgpr50_vgpr51
                                        ; implicit-def: $vgpr52_vgpr53
                                        ; implicit-def: $sgpr6_sgpr7
	s_and_b64 vcc, exec, s[4:5]
	v_lshlrev_b32_e32 v54, 2, v0
	s_cbranch_vccz .LBB499_148
	s_branch .LBB499_143
.LBB499_72:
	s_or_b64 exec, exec, s[50:51]
                                        ; implicit-def: $vgpr49
	s_and_saveexec_b64 s[50:51], s[48:49]
	s_cbranch_execz .LBB499_51
.LBB499_73:
	v_mov_b32_e32 v47, 0
	v_lshl_add_u64 v[50:51], s[68:69], 0, v[46:47]
	flat_load_dword v49, v[50:51] offset:1024
	s_or_b64 exec, exec, s[50:51]
                                        ; implicit-def: $vgpr50
	s_and_saveexec_b64 s[48:49], s[4:5]
	s_cbranch_execnz .LBB499_52
.LBB499_74:
	s_or_b64 exec, exec, s[48:49]
                                        ; implicit-def: $vgpr47
	s_and_saveexec_b64 s[4:5], s[6:7]
	s_cbranch_execz .LBB499_53
.LBB499_75:
	v_mov_b32_e32 v47, 0
	v_lshl_add_u64 v[52:53], s[68:69], 0, v[46:47]
	flat_load_dword v47, v[52:53] offset:3072
	s_or_b64 exec, exec, s[4:5]
                                        ; implicit-def: $vgpr3
	s_and_saveexec_b64 s[4:5], s[8:9]
	s_cbranch_execnz .LBB499_54
.LBB499_76:
	s_or_b64 exec, exec, s[4:5]
                                        ; implicit-def: $vgpr2
	s_and_saveexec_b64 s[4:5], s[10:11]
	s_cbranch_execz .LBB499_55
.LBB499_77:
	v_mov_b32_e32 v11, 0
	v_lshl_add_u64 v[10:11], s[68:69], 0, v[10:11]
	flat_load_dword v2, v[10:11]
	s_or_b64 exec, exec, s[4:5]
                                        ; implicit-def: $vgpr10
	s_and_saveexec_b64 s[4:5], s[12:13]
	s_cbranch_execnz .LBB499_56
.LBB499_78:
	s_or_b64 exec, exec, s[4:5]
                                        ; implicit-def: $vgpr11
	s_and_saveexec_b64 s[4:5], s[14:15]
	s_cbranch_execz .LBB499_57
.LBB499_79:
	v_mov_b32_e32 v15, 0
	v_lshl_add_u64 v[12:13], s[68:69], 0, v[14:15]
	flat_load_dword v11, v[12:13]
	s_or_b64 exec, exec, s[4:5]
                                        ; implicit-def: $vgpr12
	s_and_saveexec_b64 s[4:5], s[16:17]
	s_cbranch_execnz .LBB499_58
.LBB499_80:
	s_or_b64 exec, exec, s[4:5]
                                        ; implicit-def: $vgpr13
	s_and_saveexec_b64 s[4:5], s[18:19]
	s_cbranch_execz .LBB499_59
.LBB499_81:
	v_mov_b32_e32 v19, 0
	v_lshl_add_u64 v[14:15], s[68:69], 0, v[18:19]
	flat_load_dword v13, v[14:15]
	s_or_b64 exec, exec, s[4:5]
                                        ; implicit-def: $vgpr14
	s_and_saveexec_b64 s[4:5], s[20:21]
	s_cbranch_execnz .LBB499_60
.LBB499_82:
	s_or_b64 exec, exec, s[4:5]
                                        ; implicit-def: $vgpr15
	s_and_saveexec_b64 s[4:5], s[22:23]
	s_cbranch_execz .LBB499_61
.LBB499_83:
	v_mov_b32_e32 v23, 0
	v_lshl_add_u64 v[16:17], s[68:69], 0, v[22:23]
	flat_load_dword v15, v[16:17]
	s_or_b64 exec, exec, s[4:5]
                                        ; implicit-def: $vgpr16
	s_and_saveexec_b64 s[4:5], s[24:25]
	s_cbranch_execnz .LBB499_62
.LBB499_84:
	s_or_b64 exec, exec, s[4:5]
                                        ; implicit-def: $vgpr17
	s_and_saveexec_b64 s[4:5], s[26:27]
	s_cbranch_execz .LBB499_63
.LBB499_85:
	v_mov_b32_e32 v27, 0
	v_lshl_add_u64 v[18:19], s[68:69], 0, v[26:27]
	flat_load_dword v17, v[18:19]
	s_or_b64 exec, exec, s[4:5]
                                        ; implicit-def: $vgpr18
	s_and_saveexec_b64 s[4:5], s[28:29]
	s_cbranch_execnz .LBB499_64
.LBB499_86:
	s_or_b64 exec, exec, s[4:5]
                                        ; implicit-def: $vgpr19
	s_and_saveexec_b64 s[4:5], s[30:31]
	s_cbranch_execz .LBB499_65
.LBB499_87:
	v_mov_b32_e32 v31, 0
	v_lshl_add_u64 v[20:21], s[68:69], 0, v[30:31]
	flat_load_dword v19, v[20:21]
	s_or_b64 exec, exec, s[4:5]
                                        ; implicit-def: $vgpr20
	s_and_saveexec_b64 s[4:5], s[34:35]
	s_cbranch_execnz .LBB499_66
.LBB499_88:
	s_or_b64 exec, exec, s[4:5]
                                        ; implicit-def: $vgpr21
	s_and_saveexec_b64 s[4:5], s[36:37]
	s_cbranch_execz .LBB499_67
.LBB499_89:
	v_mov_b32_e32 v35, 0
	v_lshl_add_u64 v[22:23], s[68:69], 0, v[34:35]
	flat_load_dword v21, v[22:23]
	s_or_b64 exec, exec, s[4:5]
                                        ; implicit-def: $vgpr22
	s_and_saveexec_b64 s[4:5], s[38:39]
	s_cbranch_execnz .LBB499_68
.LBB499_90:
	s_or_b64 exec, exec, s[4:5]
                                        ; implicit-def: $vgpr23
	s_and_saveexec_b64 s[4:5], s[40:41]
	s_cbranch_execz .LBB499_69
.LBB499_91:
	v_mov_b32_e32 v39, 0
	v_lshl_add_u64 v[24:25], s[68:69], 0, v[38:39]
	flat_load_dword v23, v[24:25]
	s_or_b64 exec, exec, s[4:5]
                                        ; implicit-def: $vgpr24
	s_and_saveexec_b64 s[4:5], s[42:43]
	s_cbranch_execnz .LBB499_70
.LBB499_92:
	s_or_b64 exec, exec, s[4:5]
                                        ; implicit-def: $vgpr25
	s_and_saveexec_b64 s[4:5], s[44:45]
	s_cbranch_execz .LBB499_94
.LBB499_93:
	v_mov_b32_e32 v43, 0
	v_lshl_add_u64 v[26:27], s[68:69], 0, v[42:43]
	flat_load_dword v25, v[26:27]
.LBB499_94:
	s_or_b64 exec, exec, s[4:5]
	v_mul_u32_u24_e32 v71, 23, v0
                                        ; implicit-def: $vgpr26
	s_and_saveexec_b64 s[4:5], s[46:47]
	s_cbranch_execz .LBB499_96
; %bb.95:
	v_mov_b32_e32 v45, 0
	v_lshl_add_u64 v[26:27], s[68:69], 0, v[44:45]
	flat_load_dword v26, v[26:27]
.LBB499_96:
	s_or_b64 exec, exec, s[4:5]
	s_waitcnt vmcnt(0) lgkmcnt(0)
	ds_write2st64_b32 v46, v48, v49 offset1:4
	ds_write2st64_b32 v46, v50, v47 offset0:8 offset1:12
	ds_write2st64_b32 v46, v3, v2 offset0:16 offset1:20
	ds_write2st64_b32 v46, v10, v11 offset0:24 offset1:28
	ds_write2st64_b32 v46, v12, v13 offset0:32 offset1:36
	ds_write2st64_b32 v46, v14, v15 offset0:40 offset1:44
	ds_write2st64_b32 v46, v16, v17 offset0:48 offset1:52
	ds_write2st64_b32 v46, v18, v19 offset0:56 offset1:60
	ds_write2st64_b32 v46, v20, v21 offset0:64 offset1:68
	ds_write2st64_b32 v46, v22, v23 offset0:72 offset1:76
	ds_write2st64_b32 v46, v24, v25 offset0:80 offset1:84
	ds_write_b32 v46, v26 offset:22528
	v_mov_b64_e32 v[10:11], 0
	v_cmp_gt_u32_e32 vcc, s3, v71
	s_mov_b64 s[10:11], 0
	s_mov_b64 s[4:5], 0
	v_mov_b64_e32 v[12:13], v[10:11]
	v_mov_b64_e32 v[14:15], v[10:11]
	;; [unrolled: 1-line block ×21, first 2 shown]
	s_waitcnt lgkmcnt(0)
	s_barrier
	s_waitcnt lgkmcnt(0)
                                        ; implicit-def: $sgpr8_sgpr9
                                        ; implicit-def: $vgpr2
	s_and_saveexec_b64 s[6:7], vcc
	s_cbranch_execz .LBB499_142
; %bb.97:
	ds_read_b32 v2, v70
	v_mov_b32_e32 v10, s76
	v_cmp_eq_u32_e32 vcc, v72, v68
	v_add_u32_e32 v3, 1, v71
	v_mov_b64_e32 v[12:13], 0
	s_waitcnt lgkmcnt(0)
	v_cndmask_b32_e32 v10, v10, v2, vcc
	v_cmp_ne_u32_e32 vcc, v72, v68
	s_mov_b64 s[12:13], 0
	v_mov_b64_e32 v[14:15], v[12:13]
	v_cndmask_b32_e64 v11, 0, 1, vcc
	v_cmp_gt_u32_e32 vcc, s3, v3
	v_mov_b64_e32 v[16:17], v[12:13]
	v_mov_b64_e32 v[18:19], v[12:13]
	v_mov_b64_e32 v[20:21], v[12:13]
	v_mov_b64_e32 v[22:23], v[12:13]
	v_mov_b64_e32 v[24:25], v[12:13]
	v_mov_b64_e32 v[26:27], v[12:13]
	v_mov_b64_e32 v[28:29], v[12:13]
	v_mov_b64_e32 v[30:31], v[12:13]
	v_mov_b64_e32 v[32:33], v[12:13]
	v_mov_b64_e32 v[34:35], v[12:13]
	v_mov_b64_e32 v[36:37], v[12:13]
	v_mov_b64_e32 v[38:39], v[12:13]
	v_mov_b64_e32 v[40:41], v[12:13]
	v_mov_b64_e32 v[42:43], v[12:13]
	v_mov_b64_e32 v[44:45], v[12:13]
	v_mov_b64_e32 v[46:47], v[12:13]
	v_mov_b64_e32 v[48:49], v[12:13]
	v_mov_b64_e32 v[50:51], v[12:13]
	v_mov_b64_e32 v[52:53], v[12:13]
                                        ; implicit-def: $sgpr14_sgpr15
                                        ; implicit-def: $vgpr2
	s_and_saveexec_b64 s[8:9], vcc
	s_cbranch_execz .LBB499_141
; %bb.98:
	ds_read2_b32 v[2:3], v70 offset0:1 offset1:2
	v_mov_b32_e32 v12, s76
	v_cmp_eq_u32_e32 vcc, v68, v69
	v_add_u32_e32 v14, 2, v71
	s_mov_b64 s[14:15], 0
	s_waitcnt lgkmcnt(0)
	v_cndmask_b32_e32 v12, v12, v2, vcc
	v_cmp_ne_u32_e32 vcc, v68, v69
                                        ; implicit-def: $sgpr16_sgpr17
                                        ; implicit-def: $vgpr2
	s_nop 1
	v_cndmask_b32_e64 v13, 0, 1, vcc
	v_cmp_gt_u32_e32 vcc, s3, v14
	v_mov_b64_e32 v[14:15], 0
	v_mov_b64_e32 v[16:17], v[14:15]
	;; [unrolled: 1-line block ×20, first 2 shown]
	s_and_saveexec_b64 s[10:11], vcc
	s_cbranch_execz .LBB499_140
; %bb.99:
	v_mov_b32_e32 v14, s76
	v_cmp_eq_u32_e32 vcc, v69, v66
	v_add_u32_e32 v2, 3, v71
	v_mov_b64_e32 v[16:17], 0
	v_cndmask_b32_e32 v14, v14, v3, vcc
	v_cmp_ne_u32_e32 vcc, v69, v66
	s_mov_b64 s[16:17], 0
	v_mov_b64_e32 v[18:19], v[16:17]
	v_cndmask_b32_e64 v15, 0, 1, vcc
	v_cmp_gt_u32_e32 vcc, s3, v2
	v_mov_b64_e32 v[20:21], v[16:17]
	v_mov_b64_e32 v[22:23], v[16:17]
	;; [unrolled: 1-line block ×17, first 2 shown]
                                        ; implicit-def: $sgpr18_sgpr19
                                        ; implicit-def: $vgpr2
	s_and_saveexec_b64 s[12:13], vcc
	s_cbranch_execz .LBB499_139
; %bb.100:
	ds_read2_b32 v[2:3], v70 offset0:3 offset1:4
	v_mov_b32_e32 v16, s76
	v_cmp_eq_u32_e32 vcc, v66, v67
	v_add_u32_e32 v18, 4, v71
	s_mov_b64 s[18:19], 0
	s_waitcnt lgkmcnt(0)
	v_cndmask_b32_e32 v16, v16, v2, vcc
	v_cmp_ne_u32_e32 vcc, v66, v67
                                        ; implicit-def: $sgpr20_sgpr21
                                        ; implicit-def: $vgpr2
	s_nop 1
	v_cndmask_b32_e64 v17, 0, 1, vcc
	v_cmp_gt_u32_e32 vcc, s3, v18
	v_mov_b64_e32 v[18:19], 0
	v_mov_b64_e32 v[20:21], v[18:19]
	;; [unrolled: 1-line block ×18, first 2 shown]
	s_and_saveexec_b64 s[14:15], vcc
	s_cbranch_execz .LBB499_138
; %bb.101:
	v_mov_b32_e32 v18, s76
	v_cmp_eq_u32_e32 vcc, v67, v64
	v_add_u32_e32 v2, 5, v71
	v_mov_b64_e32 v[20:21], 0
	v_cndmask_b32_e32 v18, v18, v3, vcc
	v_cmp_ne_u32_e32 vcc, v67, v64
	s_mov_b64 s[20:21], 0
	v_mov_b64_e32 v[22:23], v[20:21]
	v_cndmask_b32_e64 v19, 0, 1, vcc
	v_cmp_gt_u32_e32 vcc, s3, v2
	v_mov_b64_e32 v[24:25], v[20:21]
	v_mov_b64_e32 v[26:27], v[20:21]
	;; [unrolled: 1-line block ×15, first 2 shown]
                                        ; implicit-def: $sgpr22_sgpr23
                                        ; implicit-def: $vgpr2
	s_and_saveexec_b64 s[16:17], vcc
	s_cbranch_execz .LBB499_137
; %bb.102:
	ds_read2_b32 v[2:3], v70 offset0:5 offset1:6
	v_mov_b32_e32 v20, s76
	v_cmp_eq_u32_e32 vcc, v64, v65
	v_add_u32_e32 v22, 6, v71
	s_mov_b64 s[22:23], 0
	s_waitcnt lgkmcnt(0)
	v_cndmask_b32_e32 v20, v20, v2, vcc
	v_cmp_ne_u32_e32 vcc, v64, v65
                                        ; implicit-def: $sgpr24_sgpr25
                                        ; implicit-def: $vgpr2
	s_nop 1
	v_cndmask_b32_e64 v21, 0, 1, vcc
	v_cmp_gt_u32_e32 vcc, s3, v22
	v_mov_b64_e32 v[22:23], 0
	v_mov_b64_e32 v[24:25], v[22:23]
	v_mov_b64_e32 v[26:27], v[22:23]
	v_mov_b64_e32 v[28:29], v[22:23]
	v_mov_b64_e32 v[30:31], v[22:23]
	v_mov_b64_e32 v[32:33], v[22:23]
	v_mov_b64_e32 v[34:35], v[22:23]
	v_mov_b64_e32 v[36:37], v[22:23]
	v_mov_b64_e32 v[38:39], v[22:23]
	v_mov_b64_e32 v[40:41], v[22:23]
	v_mov_b64_e32 v[42:43], v[22:23]
	v_mov_b64_e32 v[44:45], v[22:23]
	v_mov_b64_e32 v[46:47], v[22:23]
	v_mov_b64_e32 v[48:49], v[22:23]
	v_mov_b64_e32 v[50:51], v[22:23]
	v_mov_b64_e32 v[52:53], v[22:23]
	s_and_saveexec_b64 s[18:19], vcc
	s_cbranch_execz .LBB499_136
; %bb.103:
	v_mov_b32_e32 v22, s76
	v_cmp_eq_u32_e32 vcc, v65, v62
	v_add_u32_e32 v2, 7, v71
	v_mov_b64_e32 v[24:25], 0
	v_cndmask_b32_e32 v22, v22, v3, vcc
	v_cmp_ne_u32_e32 vcc, v65, v62
	s_mov_b64 s[24:25], 0
	v_mov_b64_e32 v[26:27], v[24:25]
	v_cndmask_b32_e64 v23, 0, 1, vcc
	v_cmp_gt_u32_e32 vcc, s3, v2
	v_mov_b64_e32 v[28:29], v[24:25]
	v_mov_b64_e32 v[30:31], v[24:25]
	;; [unrolled: 1-line block ×13, first 2 shown]
                                        ; implicit-def: $sgpr26_sgpr27
                                        ; implicit-def: $vgpr2
	s_and_saveexec_b64 s[20:21], vcc
	s_cbranch_execz .LBB499_135
; %bb.104:
	ds_read2_b32 v[2:3], v70 offset0:7 offset1:8
	v_mov_b32_e32 v24, s76
	v_cmp_eq_u32_e32 vcc, v62, v63
	v_add_u32_e32 v26, 8, v71
	s_mov_b64 s[26:27], 0
	s_waitcnt lgkmcnt(0)
	v_cndmask_b32_e32 v24, v24, v2, vcc
	v_cmp_ne_u32_e32 vcc, v62, v63
                                        ; implicit-def: $sgpr28_sgpr29
                                        ; implicit-def: $vgpr2
	s_nop 1
	v_cndmask_b32_e64 v25, 0, 1, vcc
	v_cmp_gt_u32_e32 vcc, s3, v26
	v_mov_b64_e32 v[26:27], 0
	v_mov_b64_e32 v[28:29], v[26:27]
	;; [unrolled: 1-line block ×14, first 2 shown]
	s_and_saveexec_b64 s[22:23], vcc
	s_cbranch_execz .LBB499_134
; %bb.105:
	v_mov_b32_e32 v26, s76
	v_cmp_eq_u32_e32 vcc, v63, v60
	v_add_u32_e32 v2, 9, v71
	v_mov_b64_e32 v[28:29], 0
	v_cndmask_b32_e32 v26, v26, v3, vcc
	v_cmp_ne_u32_e32 vcc, v63, v60
	s_mov_b64 s[28:29], 0
	v_mov_b64_e32 v[30:31], v[28:29]
	v_cndmask_b32_e64 v27, 0, 1, vcc
	v_cmp_gt_u32_e32 vcc, s3, v2
	v_mov_b64_e32 v[32:33], v[28:29]
	v_mov_b64_e32 v[34:35], v[28:29]
	;; [unrolled: 1-line block ×11, first 2 shown]
                                        ; implicit-def: $sgpr30_sgpr31
                                        ; implicit-def: $vgpr2
	s_and_saveexec_b64 s[24:25], vcc
	s_cbranch_execz .LBB499_133
; %bb.106:
	ds_read2_b32 v[2:3], v70 offset0:9 offset1:10
	v_mov_b32_e32 v28, s76
	v_cmp_eq_u32_e32 vcc, v60, v61
	v_add_u32_e32 v30, 10, v71
	s_mov_b64 s[30:31], 0
	s_waitcnt lgkmcnt(0)
	v_cndmask_b32_e32 v28, v28, v2, vcc
	v_cmp_ne_u32_e32 vcc, v60, v61
                                        ; implicit-def: $sgpr34_sgpr35
                                        ; implicit-def: $vgpr2
	s_nop 1
	v_cndmask_b32_e64 v29, 0, 1, vcc
	v_cmp_gt_u32_e32 vcc, s3, v30
	v_mov_b64_e32 v[30:31], 0
	v_mov_b64_e32 v[32:33], v[30:31]
	;; [unrolled: 1-line block ×12, first 2 shown]
	s_and_saveexec_b64 s[26:27], vcc
	s_cbranch_execz .LBB499_132
; %bb.107:
	v_mov_b32_e32 v30, s76
	v_cmp_eq_u32_e32 vcc, v61, v58
	v_add_u32_e32 v2, 11, v71
	v_mov_b64_e32 v[32:33], 0
	v_cndmask_b32_e32 v30, v30, v3, vcc
	v_cmp_ne_u32_e32 vcc, v61, v58
	s_mov_b64 s[34:35], 0
	v_mov_b64_e32 v[34:35], v[32:33]
	v_cndmask_b32_e64 v31, 0, 1, vcc
	v_cmp_gt_u32_e32 vcc, s3, v2
	v_mov_b64_e32 v[36:37], v[32:33]
	v_mov_b64_e32 v[38:39], v[32:33]
	;; [unrolled: 1-line block ×9, first 2 shown]
                                        ; implicit-def: $sgpr36_sgpr37
                                        ; implicit-def: $vgpr2
	s_and_saveexec_b64 s[28:29], vcc
	s_cbranch_execz .LBB499_131
; %bb.108:
	ds_read2_b32 v[2:3], v70 offset0:11 offset1:12
	v_mov_b32_e32 v32, s76
	v_cmp_eq_u32_e32 vcc, v58, v59
	v_add_u32_e32 v34, 12, v71
	s_mov_b64 s[36:37], 0
	s_waitcnt lgkmcnt(0)
	v_cndmask_b32_e32 v32, v32, v2, vcc
	v_cmp_ne_u32_e32 vcc, v58, v59
                                        ; implicit-def: $sgpr38_sgpr39
                                        ; implicit-def: $vgpr2
	s_nop 1
	v_cndmask_b32_e64 v33, 0, 1, vcc
	v_cmp_gt_u32_e32 vcc, s3, v34
	v_mov_b64_e32 v[34:35], 0
	v_mov_b64_e32 v[36:37], v[34:35]
	;; [unrolled: 1-line block ×10, first 2 shown]
	s_and_saveexec_b64 s[30:31], vcc
	s_cbranch_execz .LBB499_130
; %bb.109:
	v_mov_b32_e32 v34, s76
	v_cmp_eq_u32_e32 vcc, v59, v56
	v_add_u32_e32 v2, 13, v71
	v_mov_b64_e32 v[36:37], 0
	v_cndmask_b32_e32 v34, v34, v3, vcc
	v_cmp_ne_u32_e32 vcc, v59, v56
	s_mov_b64 s[38:39], 0
	v_mov_b64_e32 v[38:39], v[36:37]
	v_cndmask_b32_e64 v35, 0, 1, vcc
	v_cmp_gt_u32_e32 vcc, s3, v2
	v_mov_b64_e32 v[40:41], v[36:37]
	v_mov_b64_e32 v[42:43], v[36:37]
	;; [unrolled: 1-line block ×7, first 2 shown]
                                        ; implicit-def: $sgpr40_sgpr41
                                        ; implicit-def: $vgpr2
	s_and_saveexec_b64 s[34:35], vcc
	s_cbranch_execz .LBB499_129
; %bb.110:
	ds_read2_b32 v[2:3], v70 offset0:13 offset1:14
	v_mov_b32_e32 v36, s76
	v_cmp_eq_u32_e32 vcc, v56, v57
	v_add_u32_e32 v38, 14, v71
	s_mov_b64 s[40:41], 0
	s_waitcnt lgkmcnt(0)
	v_cndmask_b32_e32 v36, v36, v2, vcc
	v_cmp_ne_u32_e32 vcc, v56, v57
                                        ; implicit-def: $sgpr42_sgpr43
                                        ; implicit-def: $vgpr2
	s_nop 1
	v_cndmask_b32_e64 v37, 0, 1, vcc
	v_cmp_gt_u32_e32 vcc, s3, v38
	v_mov_b64_e32 v[38:39], 0
	v_mov_b64_e32 v[40:41], v[38:39]
	;; [unrolled: 1-line block ×8, first 2 shown]
	s_and_saveexec_b64 s[36:37], vcc
	s_cbranch_execz .LBB499_128
; %bb.111:
	v_mov_b32_e32 v38, s76
	v_cmp_eq_u32_e32 vcc, v57, v54
	v_add_u32_e32 v2, 15, v71
	v_mov_b64_e32 v[40:41], 0
	v_cndmask_b32_e32 v38, v38, v3, vcc
	v_cmp_ne_u32_e32 vcc, v57, v54
	s_mov_b64 s[42:43], 0
	v_mov_b64_e32 v[42:43], v[40:41]
	v_cndmask_b32_e64 v39, 0, 1, vcc
	v_cmp_gt_u32_e32 vcc, s3, v2
	v_mov_b64_e32 v[44:45], v[40:41]
	v_mov_b64_e32 v[46:47], v[40:41]
	;; [unrolled: 1-line block ×5, first 2 shown]
                                        ; implicit-def: $sgpr44_sgpr45
                                        ; implicit-def: $vgpr2
	s_and_saveexec_b64 s[38:39], vcc
	s_cbranch_execz .LBB499_127
; %bb.112:
	ds_read2_b32 v[2:3], v70 offset0:15 offset1:16
	v_mov_b32_e32 v40, s76
	v_cmp_eq_u32_e32 vcc, v54, v55
	v_add_u32_e32 v42, 16, v71
	s_mov_b64 s[44:45], 0
	s_waitcnt lgkmcnt(0)
	v_cndmask_b32_e32 v40, v40, v2, vcc
	v_cmp_ne_u32_e32 vcc, v54, v55
                                        ; implicit-def: $sgpr46_sgpr47
                                        ; implicit-def: $vgpr2
	s_nop 1
	v_cndmask_b32_e64 v41, 0, 1, vcc
	v_cmp_gt_u32_e32 vcc, s3, v42
	v_mov_b64_e32 v[42:43], 0
	v_mov_b64_e32 v[44:45], v[42:43]
	;; [unrolled: 1-line block ×6, first 2 shown]
	s_and_saveexec_b64 s[40:41], vcc
	s_cbranch_execz .LBB499_126
; %bb.113:
	v_mov_b32_e32 v42, s76
	v_cmp_eq_u32_e32 vcc, v55, v8
	v_add_u32_e32 v2, 17, v71
	v_mov_b64_e32 v[44:45], 0
	v_cndmask_b32_e32 v42, v42, v3, vcc
	v_cmp_ne_u32_e32 vcc, v55, v8
	s_mov_b64 s[46:47], 0
	v_mov_b64_e32 v[46:47], v[44:45]
	v_cndmask_b32_e64 v43, 0, 1, vcc
	v_cmp_gt_u32_e32 vcc, s3, v2
	v_mov_b64_e32 v[48:49], v[44:45]
	v_mov_b64_e32 v[50:51], v[44:45]
	;; [unrolled: 1-line block ×3, first 2 shown]
                                        ; implicit-def: $sgpr48_sgpr49
                                        ; implicit-def: $vgpr2
	s_and_saveexec_b64 s[42:43], vcc
	s_cbranch_execz .LBB499_125
; %bb.114:
	ds_read2_b32 v[2:3], v70 offset0:17 offset1:18
	v_mov_b32_e32 v44, s76
	v_cmp_eq_u32_e32 vcc, v8, v9
	v_add_u32_e32 v46, 18, v71
	s_mov_b64 s[48:49], 0
	s_waitcnt lgkmcnt(0)
	v_cndmask_b32_e32 v44, v44, v2, vcc
	v_cmp_ne_u32_e32 vcc, v8, v9
                                        ; implicit-def: $sgpr50_sgpr51
                                        ; implicit-def: $vgpr2
	s_nop 1
	v_cndmask_b32_e64 v45, 0, 1, vcc
	v_cmp_gt_u32_e32 vcc, s3, v46
	v_mov_b64_e32 v[46:47], 0
	v_mov_b64_e32 v[48:49], v[46:47]
	;; [unrolled: 1-line block ×4, first 2 shown]
	s_and_saveexec_b64 s[44:45], vcc
	s_cbranch_execz .LBB499_124
; %bb.115:
	v_mov_b32_e32 v8, s76
	v_cmp_eq_u32_e32 vcc, v9, v6
	v_add_u32_e32 v2, 19, v71
	v_mov_b64_e32 v[48:49], 0
	v_cndmask_b32_e32 v46, v8, v3, vcc
	v_cmp_ne_u32_e32 vcc, v9, v6
	s_mov_b64 s[50:51], 0
	v_mov_b64_e32 v[50:51], v[48:49]
	v_cndmask_b32_e64 v47, 0, 1, vcc
	v_cmp_gt_u32_e32 vcc, s3, v2
	v_mov_b64_e32 v[52:53], v[48:49]
                                        ; implicit-def: $sgpr60_sgpr61
                                        ; implicit-def: $vgpr2
	s_and_saveexec_b64 s[46:47], vcc
	s_cbranch_execz .LBB499_123
; %bb.116:
	ds_read2_b32 v[2:3], v70 offset0:19 offset1:20
	v_mov_b32_e32 v9, s76
	v_cmp_eq_u32_e32 vcc, v6, v7
	v_add_u32_e32 v8, 20, v71
	v_mov_b64_e32 v[50:51], 0
	s_waitcnt lgkmcnt(0)
	v_cndmask_b32_e32 v48, v9, v2, vcc
	v_cmp_ne_u32_e32 vcc, v6, v7
	s_mov_b64 s[60:61], 0
	v_mov_b64_e32 v[52:53], v[50:51]
	v_cndmask_b32_e64 v49, 0, 1, vcc
	v_cmp_gt_u32_e32 vcc, s3, v8
                                        ; implicit-def: $sgpr72_sgpr73
                                        ; implicit-def: $vgpr2
	s_and_saveexec_b64 s[48:49], vcc
	s_cbranch_execz .LBB499_122
; %bb.117:
	v_mov_b32_e32 v6, s76
	v_cmp_eq_u32_e32 vcc, v7, v4
	v_add_u32_e32 v2, 21, v71
	v_mov_b64_e32 v[52:53], 0
	v_cndmask_b32_e32 v50, v6, v3, vcc
	v_cmp_ne_u32_e32 vcc, v7, v4
                                        ; implicit-def: $sgpr72_sgpr73
	s_nop 1
	v_cndmask_b32_e64 v51, 0, 1, vcc
	v_cmp_gt_u32_e32 vcc, s3, v2
                                        ; implicit-def: $vgpr2
	s_and_saveexec_b64 s[50:51], vcc
	s_cbranch_execz .LBB499_121
; %bb.118:
	ds_read2_b32 v[2:3], v70 offset0:21 offset1:22
	v_mov_b32_e32 v7, s76
	v_cmp_eq_u32_e32 vcc, v4, v5
	v_add_u32_e32 v6, 22, v71
                                        ; implicit-def: $sgpr72_sgpr73
	s_waitcnt lgkmcnt(0)
	v_cndmask_b32_e32 v52, v7, v2, vcc
	v_cmp_ne_u32_e32 vcc, v4, v5
                                        ; implicit-def: $vgpr2
	s_nop 1
	v_cndmask_b32_e64 v53, 0, 1, vcc
	v_cmp_gt_u32_e32 vcc, s3, v6
	s_and_saveexec_b64 s[74:75], vcc
	s_xor_b64 s[74:75], exec, s[74:75]
; %bb.119:
	v_mov_b32_e32 v2, s76
	v_cmp_ne_u32_e32 vcc, v5, v1
	s_mov_b64 s[60:61], exec
	s_and_b64 s[72:73], vcc, exec
	v_cndmask_b32_e32 v2, v3, v2, vcc
; %bb.120:
	s_or_b64 exec, exec, s[74:75]
	s_and_b64 s[72:73], s[72:73], exec
	s_and_b64 s[60:61], s[60:61], exec
.LBB499_121:
	s_or_b64 exec, exec, s[50:51]
	s_and_b64 s[72:73], s[72:73], exec
	s_and_b64 s[50:51], s[60:61], exec
.LBB499_122:
	s_or_b64 exec, exec, s[48:49]
	s_and_b64 s[60:61], s[72:73], exec
	s_and_b64 s[48:49], s[50:51], exec
.LBB499_123:
	s_or_b64 exec, exec, s[46:47]
	s_and_b64 s[50:51], s[60:61], exec
	s_and_b64 s[46:47], s[48:49], exec
.LBB499_124:
	s_or_b64 exec, exec, s[44:45]
	s_and_b64 s[48:49], s[50:51], exec
	s_and_b64 s[44:45], s[46:47], exec
.LBB499_125:
	s_or_b64 exec, exec, s[42:43]
	s_and_b64 s[46:47], s[48:49], exec
	s_and_b64 s[42:43], s[44:45], exec
.LBB499_126:
	s_or_b64 exec, exec, s[40:41]
	s_and_b64 s[44:45], s[46:47], exec
	s_and_b64 s[40:41], s[42:43], exec
.LBB499_127:
	s_or_b64 exec, exec, s[38:39]
	s_and_b64 s[42:43], s[44:45], exec
	s_and_b64 s[38:39], s[40:41], exec
.LBB499_128:
	s_or_b64 exec, exec, s[36:37]
	s_and_b64 s[40:41], s[42:43], exec
	s_and_b64 s[36:37], s[38:39], exec
.LBB499_129:
	s_or_b64 exec, exec, s[34:35]
	s_and_b64 s[38:39], s[40:41], exec
	s_and_b64 s[34:35], s[36:37], exec
.LBB499_130:
	s_or_b64 exec, exec, s[30:31]
	s_and_b64 s[36:37], s[38:39], exec
	s_and_b64 s[30:31], s[34:35], exec
.LBB499_131:
	s_or_b64 exec, exec, s[28:29]
	s_and_b64 s[34:35], s[36:37], exec
	s_and_b64 s[28:29], s[30:31], exec
.LBB499_132:
	s_or_b64 exec, exec, s[26:27]
	s_and_b64 s[30:31], s[34:35], exec
	s_and_b64 s[26:27], s[28:29], exec
.LBB499_133:
	s_or_b64 exec, exec, s[24:25]
	s_and_b64 s[28:29], s[30:31], exec
	s_and_b64 s[24:25], s[26:27], exec
.LBB499_134:
	s_or_b64 exec, exec, s[22:23]
	s_and_b64 s[26:27], s[28:29], exec
	s_and_b64 s[22:23], s[24:25], exec
.LBB499_135:
	s_or_b64 exec, exec, s[20:21]
	s_and_b64 s[24:25], s[26:27], exec
	s_and_b64 s[20:21], s[22:23], exec
.LBB499_136:
	s_or_b64 exec, exec, s[18:19]
	s_and_b64 s[22:23], s[24:25], exec
	s_and_b64 s[18:19], s[20:21], exec
.LBB499_137:
	s_or_b64 exec, exec, s[16:17]
	s_and_b64 s[20:21], s[22:23], exec
	s_and_b64 s[16:17], s[18:19], exec
.LBB499_138:
	s_or_b64 exec, exec, s[14:15]
	s_and_b64 s[18:19], s[20:21], exec
	s_and_b64 s[14:15], s[16:17], exec
.LBB499_139:
	s_or_b64 exec, exec, s[12:13]
	s_and_b64 s[16:17], s[18:19], exec
	s_and_b64 s[12:13], s[14:15], exec
.LBB499_140:
	s_or_b64 exec, exec, s[10:11]
	s_and_b64 s[14:15], s[16:17], exec
	s_and_b64 s[10:11], s[12:13], exec
.LBB499_141:
	s_or_b64 exec, exec, s[8:9]
	s_and_b64 s[8:9], s[14:15], exec
	s_and_b64 s[10:11], s[10:11], exec
.LBB499_142:
	s_or_b64 exec, exec, s[6:7]
	s_mov_b64 s[6:7], 0
	s_and_b64 vcc, exec, s[4:5]
	v_lshlrev_b32_e32 v54, 2, v0
	s_cbranch_vccz .LBB499_148
.LBB499_143:
	v_mov_b32_e32 v55, 0
	v_lshl_add_u64 v[2:3], s[70:71], 0, v[54:55]
	v_add_co_u32_e32 v4, vcc, 0x1000, v2
	s_movk_i32 s6, 0x58
	s_nop 0
	v_addc_co_u32_e32 v5, vcc, 0, v3, vcc
	flat_load_dword v1, v[2:3]
	flat_load_dword v8, v[2:3] offset:1024
	flat_load_dword v9, v[2:3] offset:2048
	;; [unrolled: 1-line block ×3, first 2 shown]
	flat_load_dword v11, v[4:5]
	flat_load_dword v12, v[4:5] offset:1024
	flat_load_dword v13, v[4:5] offset:2048
	;; [unrolled: 1-line block ×3, first 2 shown]
	v_add_co_u32_e32 v4, vcc, 0x2000, v2
	s_movk_i32 s10, 0x1000
	s_nop 0
	v_addc_co_u32_e32 v5, vcc, 0, v3, vcc
	v_add_co_u32_e32 v6, vcc, 0x3000, v2
	s_mov_b32 s4, 0
	s_nop 0
	v_addc_co_u32_e32 v7, vcc, 0, v3, vcc
	flat_load_dword v15, v[4:5]
	flat_load_dword v16, v[4:5] offset:1024
	flat_load_dword v17, v[4:5] offset:2048
	;; [unrolled: 1-line block ×3, first 2 shown]
	flat_load_dword v19, v[6:7]
	flat_load_dword v20, v[6:7] offset:1024
	flat_load_dword v21, v[6:7] offset:2048
	flat_load_dword v22, v[6:7] offset:3072
	v_add_co_u32_e32 v4, vcc, 0x4000, v2
	s_movk_i32 s9, 0x2000
	s_nop 0
	v_addc_co_u32_e32 v5, vcc, 0, v3, vcc
	v_add_co_u32_e32 v2, vcc, 0x5000, v2
	s_movk_i32 s8, 0x3000
	s_nop 0
	v_addc_co_u32_e32 v3, vcc, 0, v3, vcc
	flat_load_dword v6, v[4:5]
	flat_load_dword v7, v[4:5] offset:1024
	flat_load_dword v23, v[4:5] offset:2048
	;; [unrolled: 1-line block ×3, first 2 shown]
	flat_load_dword v25, v[2:3]
	flat_load_dword v26, v[2:3] offset:1024
	flat_load_dword v27, v[2:3] offset:2048
	v_mov_b32_e32 v2, s70
	v_mov_b32_e32 v3, s71
	v_add_co_u32_e32 v2, vcc, 0x5000, v2
	s_movk_i32 s5, 0x4000
	s_nop 0
	v_addc_co_u32_e32 v3, vcc, 0, v3, vcc
	s_movk_i32 s3, 0x5000
	s_waitcnt vmcnt(0) lgkmcnt(0)
	ds_write2st64_b32 v54, v1, v8 offset1:4
	ds_write2st64_b32 v54, v9, v10 offset0:8 offset1:12
	ds_write2st64_b32 v54, v11, v12 offset0:16 offset1:20
	;; [unrolled: 1-line block ×10, first 2 shown]
	ds_write_b32 v54, v27 offset:22528
	s_waitcnt lgkmcnt(0)
	s_barrier
	flat_load_dword v1, v[2:3] offset:3072
	v_mad_u32_u24 v12, v0, s6, v54
	s_movk_i32 s6, 0xffa8
	v_mad_i32_i24 v11, v0, s6, v12
	s_movk_i32 s6, 0xff
	v_cmp_ne_u32_e32 vcc, s6, v0
	ds_read_b32 v10, v12
	ds_read2_b32 v[14:15], v12 offset0:1 offset1:2
	ds_read2_b32 v[18:19], v12 offset0:3 offset1:4
	;; [unrolled: 1-line block ×11, first 2 shown]
	s_waitcnt lgkmcnt(0)
	ds_write_b32 v11, v10 offset:24576
	s_waitcnt lgkmcnt(0)
	s_barrier
	s_and_saveexec_b64 s[6:7], vcc
	s_cbranch_execz .LBB499_145
; %bb.144:
	s_waitcnt vmcnt(0)
	ds_read_b32 v1, v54 offset:24580
.LBB499_145:
	s_or_b64 exec, exec, s[6:7]
	v_lshl_add_u64 v[16:17], s[68:69], 0, v[54:55]
	v_add_co_u32_e32 v20, vcc, s10, v16
	s_waitcnt lgkmcnt(0)
	s_nop 0
	v_addc_co_u32_e32 v21, vcc, 0, v17, vcc
	s_barrier
	flat_load_dword v11, v[16:17]
	flat_load_dword v13, v[16:17] offset:1024
	flat_load_dword v28, v[16:17] offset:2048
	;; [unrolled: 1-line block ×3, first 2 shown]
	flat_load_dword v32, v[20:21]
	flat_load_dword v33, v[20:21] offset:1024
	flat_load_dword v36, v[20:21] offset:2048
	;; [unrolled: 1-line block ×3, first 2 shown]
	v_add_co_u32_e32 v20, vcc, s9, v16
	s_nop 1
	v_addc_co_u32_e32 v21, vcc, 0, v17, vcc
	v_add_co_u32_e32 v24, vcc, s8, v16
	s_nop 1
	v_addc_co_u32_e32 v25, vcc, 0, v17, vcc
	flat_load_dword v40, v[20:21]
	flat_load_dword v41, v[20:21] offset:1024
	flat_load_dword v42, v[20:21] offset:2048
	;; [unrolled: 1-line block ×3, first 2 shown]
	flat_load_dword v44, v[24:25]
	flat_load_dword v45, v[24:25] offset:1024
	flat_load_dword v46, v[24:25] offset:2048
	;; [unrolled: 1-line block ×3, first 2 shown]
	v_add_co_u32_e32 v20, vcc, s5, v16
	s_mov_b32 s5, 1
	s_nop 0
	v_addc_co_u32_e32 v21, vcc, 0, v17, vcc
	v_add_co_u32_e32 v16, vcc, s3, v16
	s_nop 1
	v_addc_co_u32_e32 v17, vcc, 0, v17, vcc
	flat_load_dword v24, v[20:21]
	flat_load_dword v25, v[20:21] offset:1024
	flat_load_dword v48, v[20:21] offset:2048
	;; [unrolled: 1-line block ×3, first 2 shown]
	flat_load_dword v50, v[16:17]
	flat_load_dword v51, v[16:17] offset:1024
	flat_load_dword v52, v[16:17] offset:2048
	v_cmp_eq_u32_e32 vcc, v10, v14
	s_waitcnt vmcnt(0) lgkmcnt(0)
	ds_write2st64_b32 v54, v11, v13 offset1:4
	ds_write2st64_b32 v54, v28, v29 offset0:8 offset1:12
	ds_write2st64_b32 v54, v32, v33 offset0:16 offset1:20
	;; [unrolled: 1-line block ×10, first 2 shown]
	ds_write_b32 v54, v52 offset:22528
	s_waitcnt lgkmcnt(0)
	s_barrier
	ds_read2_b32 v[16:17], v12 offset0:1 offset1:2
	ds_read2_b32 v[20:21], v12 offset0:3 offset1:4
	;; [unrolled: 1-line block ×11, first 2 shown]
	v_mov_b64_e32 v[10:11], s[4:5]
	v_mov_b32_e32 v13, s76
	s_and_saveexec_b64 s[4:5], vcc
	s_cbranch_execz .LBB499_147
; %bb.146:
	ds_read_b32 v13, v12
	v_mov_b64_e32 v[10:11], 0
.LBB499_147:
	s_or_b64 exec, exec, s[4:5]
	v_mov_b32_e32 v55, s76
	v_cmp_eq_u32_e32 vcc, v14, v15
	s_waitcnt lgkmcnt(0)
	v_or_b32_e32 v10, v10, v13
	v_cmp_ne_u32_e64 s[8:9], v3, v1
	v_cndmask_b32_e32 v12, v55, v16, vcc
	v_cmp_ne_u32_e32 vcc, v14, v15
	s_mov_b64 s[10:11], -1
                                        ; implicit-def: $sgpr6_sgpr7
	s_nop 0
	v_cndmask_b32_e64 v13, 0, 1, vcc
	v_cmp_eq_u32_e32 vcc, v15, v18
	s_nop 1
	v_cndmask_b32_e32 v14, v55, v17, vcc
	v_cmp_ne_u32_e32 vcc, v15, v18
	s_nop 1
	v_cndmask_b32_e64 v15, 0, 1, vcc
	v_cmp_eq_u32_e32 vcc, v18, v19
	s_nop 1
	v_cndmask_b32_e32 v16, v55, v20, vcc
	v_cmp_ne_u32_e32 vcc, v18, v19
	;; [unrolled: 6-line block ×20, first 2 shown]
	v_cndmask_b32_e64 v2, v57, v55, s[8:9]
	s_nop 0
	v_cndmask_b32_e64 v53, 0, 1, vcc
.LBB499_148:
	v_mov_b64_e32 v[56:57], s[6:7]
	s_and_saveexec_b64 s[4:5], s[10:11]
; %bb.149:
	v_cndmask_b32_e64 v3, 0, 1, s[8:9]
	v_mov_b64_e32 v[56:57], v[2:3]
; %bb.150:
	s_or_b64 exec, exec, s[4:5]
	s_mov_b32 s46, 0
	s_cmp_lg_u32 s2, 0
	v_or_b32_e32 v55, v57, v53
	v_lshrrev_b32_e32 v1, 5, v0
	v_cmp_gt_u32_e32 vcc, 64, v0
	s_barrier
	s_cbranch_scc0 .LBB499_211
; %bb.151:
	s_mov_b32 s47, 1
	v_cmp_gt_u64_e64 s[50:51], s[46:47], v[12:13]
	v_cmp_gt_u64_e64 s[4:5], s[46:47], v[14:15]
	v_cmp_gt_u64_e64 s[6:7], s[46:47], v[16:17]
	v_cndmask_b32_e64 v2, 1, v10, s[50:51]
	v_mul_lo_u32 v2, v2, v12
	v_cndmask_b32_e64 v2, 1, v2, s[4:5]
	v_mul_lo_u32 v2, v2, v14
	v_cndmask_b32_e64 v2, 1, v2, s[6:7]
	v_mul_lo_u32 v2, v2, v16
	v_cmp_gt_u64_e64 s[8:9], s[46:47], v[18:19]
	v_cmp_gt_u64_e64 s[10:11], s[46:47], v[20:21]
	v_cmp_gt_u64_e64 s[12:13], s[46:47], v[22:23]
	v_cndmask_b32_e64 v2, 1, v2, s[8:9]
	v_mul_lo_u32 v2, v2, v18
	v_cndmask_b32_e64 v2, 1, v2, s[10:11]
	v_mul_lo_u32 v2, v2, v20
	v_cndmask_b32_e64 v2, 1, v2, s[12:13]
	v_mul_lo_u32 v2, v2, v22
	;; [unrolled: 9-line block ×7, first 2 shown]
	v_cmp_gt_u64_e64 s[46:47], s[46:47], v[56:57]
	s_nop 1
	v_cndmask_b32_e64 v2, 1, v2, s[46:47]
	v_mul_lo_u32 v62, v2, v56
	v_or3_b32 v2, v55, v51, v49
	v_or3_b32 v2, v2, v47, v45
	v_or3_b32 v2, v2, v43, v41
	v_or3_b32 v2, v2, v39, v37
	v_or3_b32 v2, v2, v35, v33
	v_or3_b32 v2, v2, v31, v29
	v_or3_b32 v2, v2, v27, v25
	v_or3_b32 v2, v2, v23, v21
	v_or3_b32 v2, v2, v19, v17
	v_or3_b32 v2, v2, v15, v13
	v_and_b32_e32 v2, 1, v2
	v_cmp_eq_u32_e64 s[46:47], 1, v2
	v_add_lshl_u32 v2, v1, v0, 3
	s_nop 0
	v_cndmask_b32_e64 v63, v11, 1, s[46:47]
	ds_write_b32 v2, v62
	ds_write_b8 v2, v63 offset:4
	s_waitcnt lgkmcnt(0)
	s_barrier
	s_and_saveexec_b64 s[48:49], vcc
	s_cbranch_execz .LBB499_165
; %bb.152:
	v_lshrrev_b32_e32 v2, 3, v0
	v_add_lshl_u32 v4, v2, v54, 3
	ds_read2_b32 v[6:7], v4 offset0:2 offset1:4
	ds_read_b64 v[2:3], v4
	ds_read_u8 v8, v4 offset:12
	ds_read_u8 v9, v4 offset:20
	ds_read_b32 v58, v4 offset:24
	ds_read_u8 v59, v4 offset:28
	v_mov_b32_e32 v60, 0
	s_waitcnt lgkmcnt(3)
	v_cmp_eq_u16_sdwa s[46:47], v8, v60 src0_sel:BYTE_0 src1_sel:DWORD
	v_and_b32_e32 v5, 1, v3
	s_nop 0
	v_cndmask_b32_e64 v61, 1, v2, s[46:47]
	v_mul_lo_u32 v6, v61, v6
	s_waitcnt lgkmcnt(2)
	v_cmp_eq_u16_sdwa s[46:47], v9, v60 src0_sel:BYTE_0 src1_sel:DWORD
	s_nop 1
	v_cndmask_b32_e64 v6, 1, v6, s[46:47]
	v_mul_lo_u32 v6, v6, v7
	s_waitcnt lgkmcnt(0)
	v_or_b32_e32 v7, v59, v9
	v_or_b32_e32 v7, v7, v8
	v_cmp_eq_u16_e64 s[46:47], 0, v59
	v_and_b32_e32 v7, 1, v7
	v_mbcnt_lo_u32_b32 v8, -1, 0
	v_cndmask_b32_e64 v6, 1, v6, s[46:47]
	v_cmp_eq_u32_e64 s[46:47], 1, v7
	v_and_b32_e32 v7, 0xffffff00, v3
	v_mbcnt_hi_u32_b32 v8, -1, v8
	v_cndmask_b32_e64 v9, v5, 1, s[46:47]
	v_mul_lo_u32 v6, v6, v58
	v_and_b32_e32 v59, 15, v8
	v_or_b32_sdwa v58, v7, v9 dst_sel:DWORD dst_unused:UNUSED_PAD src0_sel:DWORD src1_sel:WORD_0
	v_mov_b32_dpp v61, v6 row_shr:1 row_mask:0xf bank_mask:0xf
	v_cmp_ne_u32_e64 s[46:47], 0, v59
	v_mov_b32_dpp v60, v58 row_shr:1 row_mask:0xf bank_mask:0xf
	s_and_saveexec_b64 s[60:61], s[46:47]
; %bb.153:
	v_cmp_eq_u16_e64 s[46:47], 0, v9
	v_and_b32_e32 v9, 1, v9
	s_nop 0
	v_cndmask_b32_e64 v58, 1, v61, s[46:47]
	v_mul_lo_u32 v6, v58, v6
	v_and_b32_e32 v58, 1, v60
	v_cmp_eq_u32_e64 s[46:47], 1, v9
	s_nop 1
	v_cndmask_b32_e64 v9, v58, 1, s[46:47]
	v_or_b32_sdwa v58, v7, v9 dst_sel:DWORD dst_unused:UNUSED_PAD src0_sel:DWORD src1_sel:WORD_0
; %bb.154:
	s_or_b64 exec, exec, s[60:61]
	v_mov_b32_dpp v61, v6 row_shr:2 row_mask:0xf bank_mask:0xf
	v_mov_b32_dpp v60, v58 row_shr:2 row_mask:0xf bank_mask:0xf
	v_cmp_lt_u32_e64 s[46:47], 1, v59
	s_and_saveexec_b64 s[60:61], s[46:47]
; %bb.155:
	v_cmp_eq_u16_e64 s[46:47], 0, v9
	v_and_b32_e32 v9, 1, v9
	s_nop 0
	v_cndmask_b32_e64 v58, 1, v61, s[46:47]
	v_mul_lo_u32 v6, v58, v6
	v_and_b32_e32 v58, 1, v60
	v_cmp_eq_u32_e64 s[46:47], 1, v9
	s_nop 1
	v_cndmask_b32_e64 v9, v58, 1, s[46:47]
	v_or_b32_sdwa v58, v7, v9 dst_sel:DWORD dst_unused:UNUSED_PAD src0_sel:DWORD src1_sel:WORD_0
; %bb.156:
	s_or_b64 exec, exec, s[60:61]
	v_mov_b32_dpp v61, v6 row_shr:4 row_mask:0xf bank_mask:0xf
	v_mov_b32_dpp v60, v58 row_shr:4 row_mask:0xf bank_mask:0xf
	v_cmp_lt_u32_e64 s[46:47], 3, v59
	;; [unrolled: 17-line block ×3, first 2 shown]
	s_and_saveexec_b64 s[60:61], s[46:47]
; %bb.159:
	v_cmp_eq_u16_e64 s[46:47], 0, v9
	v_and_b32_e32 v9, 1, v9
	s_nop 0
	v_cndmask_b32_e64 v58, 1, v61, s[46:47]
	v_mul_lo_u32 v6, v58, v6
	v_and_b32_e32 v58, 1, v60
	v_cmp_eq_u32_e64 s[46:47], 1, v9
	s_nop 1
	v_cndmask_b32_e64 v9, v58, 1, s[46:47]
	v_or_b32_sdwa v58, v7, v9 dst_sel:DWORD dst_unused:UNUSED_PAD src0_sel:DWORD src1_sel:WORD_0
; %bb.160:
	s_or_b64 exec, exec, s[60:61]
	v_and_b32_e32 v61, 16, v8
	v_mov_b32_dpp v60, v6 row_bcast:15 row_mask:0xf bank_mask:0xf
	v_mov_b32_dpp v59, v58 row_bcast:15 row_mask:0xf bank_mask:0xf
	v_cmp_ne_u32_e64 s[46:47], 0, v61
	s_and_saveexec_b64 s[60:61], s[46:47]
; %bb.161:
	v_cmp_eq_u16_e64 s[46:47], 0, v9
	v_and_b32_e32 v9, 1, v9
	s_nop 0
	v_cndmask_b32_e64 v58, 1, v60, s[46:47]
	v_mul_lo_u32 v6, v58, v6
	v_and_b32_e32 v58, 1, v59
	v_cmp_eq_u32_e64 s[46:47], 1, v9
	s_nop 1
	v_cndmask_b32_e64 v9, v58, 1, s[46:47]
	v_or_b32_sdwa v58, v7, v9 dst_sel:DWORD dst_unused:UNUSED_PAD src0_sel:DWORD src1_sel:WORD_0
; %bb.162:
	s_or_b64 exec, exec, s[60:61]
	v_mov_b32_dpp v59, v6 row_bcast:31 row_mask:0xf bank_mask:0xf
	v_mov_b32_dpp v58, v58 row_bcast:31 row_mask:0xf bank_mask:0xf
	v_cmp_lt_u32_e64 s[46:47], 31, v8
	s_and_saveexec_b64 s[60:61], s[46:47]
; %bb.163:
	v_cmp_eq_u16_e64 s[46:47], 0, v9
	v_and_b32_e32 v9, 1, v9
	v_and_b32_e32 v58, 1, v58
	v_cndmask_b32_e64 v59, 1, v59, s[46:47]
	v_cmp_eq_u32_e64 s[46:47], 1, v9
	v_mul_lo_u32 v6, v59, v6
	s_nop 0
	v_cndmask_b32_e64 v9, v58, 1, s[46:47]
; %bb.164:
	s_or_b64 exec, exec, s[60:61]
	v_add_u32_e32 v58, -1, v8
	v_and_b32_e32 v59, 64, v8
	v_cmp_lt_i32_e64 s[46:47], v58, v59
	v_or_b32_sdwa v7, v7, v9 dst_sel:DWORD dst_unused:UNUSED_PAD src0_sel:DWORD src1_sel:WORD_0
	s_nop 0
	v_cndmask_b32_e64 v8, v58, v8, s[46:47]
	v_lshlrev_b32_e32 v8, 2, v8
	ds_bpermute_b32 v6, v8, v6
	ds_bpermute_b32 v7, v8, v7
	v_mov_b32_e32 v8, 0
	v_cmp_eq_u16_sdwa s[46:47], v3, v8 src0_sel:BYTE_0 src1_sel:DWORD
	; wave barrier
	s_waitcnt lgkmcnt(1)
	s_nop 0
	v_cndmask_b32_e64 v3, 1, v6, s[46:47]
	v_mul_lo_u32 v2, v3, v2
	s_waitcnt lgkmcnt(0)
	v_and_b32_e32 v3, 1, v7
	v_cmp_eq_u32_e64 s[46:47], 1, v5
	s_nop 1
	v_cndmask_b32_e64 v3, v3, 1, s[46:47]
	v_cmp_eq_u32_e64 s[46:47], 0, v0
	s_nop 1
	v_cndmask_b32_e64 v5, v2, v62, s[46:47]
	v_cndmask_b32_e64 v6, v3, v63, s[46:47]
	ds_write_b32 v4, v5
	ds_write_b8 v4, v6 offset:4
	; wave barrier
	ds_read_u8 v7, v4 offset:12
	ds_read2_b32 v[2:3], v4 offset0:2 offset1:4
	ds_read_u8 v8, v4 offset:20
	ds_read_b32 v9, v4 offset:24
	ds_read_u8 v58, v4 offset:28
	s_waitcnt lgkmcnt(4)
	v_cmp_eq_u16_e64 s[46:47], 0, v7
	s_nop 1
	v_cndmask_b32_e64 v5, 1, v5, s[46:47]
	s_waitcnt lgkmcnt(3)
	v_mul_lo_u32 v2, v5, v2
	v_and_b32_e32 v5, 1, v7
	v_cmp_eq_u32_e64 s[46:47], 1, v5
	s_nop 1
	v_cndmask_b32_e64 v5, v6, 1, s[46:47]
	s_waitcnt lgkmcnt(2)
	v_cmp_eq_u16_e64 s[46:47], 0, v8
	ds_write_b8 v4, v5 offset:12
	s_nop 0
	v_cndmask_b32_e64 v6, 1, v2, s[46:47]
	v_mul_lo_u32 v3, v6, v3
	v_and_b32_e32 v6, 1, v8
	v_cmp_eq_u32_e64 s[46:47], 1, v6
	s_nop 1
	v_cndmask_b32_e64 v5, v5, 1, s[46:47]
	s_waitcnt lgkmcnt(1)
	v_cmp_eq_u16_e64 s[46:47], 0, v58
	ds_write2_b32 v4, v2, v3 offset0:2 offset1:4
	ds_write_b8 v4, v5 offset:20
	v_cndmask_b32_e64 v2, 1, v3, s[46:47]
	v_and_b32_e32 v3, 1, v58
	v_mul_lo_u32 v2, v2, v9
	v_cmp_eq_u32_e64 s[46:47], 1, v3
	s_nop 1
	v_cndmask_b32_e64 v3, v5, 1, s[46:47]
	ds_write_b32 v4, v2 offset:24
	ds_write_b8 v4, v3 offset:28
.LBB499_165:
	s_or_b64 exec, exec, s[48:49]
	v_cmp_eq_u32_e64 s[46:47], 0, v0
	v_cmp_ne_u32_e64 s[48:49], 0, v0
	s_waitcnt lgkmcnt(0)
	s_barrier
	s_and_saveexec_b64 s[60:61], s[48:49]
	s_cbranch_execz .LBB499_167
; %bb.166:
	v_add_u32_e32 v2, -1, v0
	v_lshrrev_b32_e32 v3, 5, v2
	v_add_lshl_u32 v2, v3, v2, 3
	ds_read_b32 v62, v2
	ds_read_u8 v63, v2 offset:4
.LBB499_167:
	s_or_b64 exec, exec, s[60:61]
	s_and_saveexec_b64 s[60:61], vcc
	s_cbranch_execz .LBB499_210
; %bb.168:
	v_mov_b32_e32 v5, 0
	ds_read_b64 v[2:3], v5 offset:2096
	v_mbcnt_lo_u32_b32 v4, -1, 0
	v_mbcnt_hi_u32_b32 v59, -1, v4
	s_mov_b32 s71, 0
	v_cmp_eq_u32_e64 s[48:49], 0, v59
	s_waitcnt lgkmcnt(0)
	v_readfirstlane_b32 s3, v3
	s_and_saveexec_b64 s[68:69], s[48:49]
	s_cbranch_execz .LBB499_170
; %bb.169:
	s_add_i32 s70, s2, 64
	s_lshl_b64 s[72:73], s[70:71], 4
	s_add_u32 s72, s56, s72
	s_addc_u32 s73, s57, s73
	s_and_b32 s75, s3, 0xff000000
	s_mov_b32 s74, s71
	s_and_b32 s79, s3, 0xff0000
	s_mov_b32 s78, s71
	s_or_b64 s[74:75], s[78:79], s[74:75]
	s_and_b32 s79, s3, 0xff00
	s_or_b64 s[74:75], s[74:75], s[78:79]
	s_and_b32 s79, s3, 0xff
	s_or_b64 s[70:71], s[74:75], s[78:79]
	v_mov_b32_e32 v3, s71
	v_mov_b32_e32 v4, 1
	v_mov_b64_e32 v[6:7], s[72:73]
	;;#ASMSTART
	global_store_dwordx4 v[6:7], v[2:5] off sc1	
s_waitcnt vmcnt(0)
	;;#ASMEND
.LBB499_170:
	s_or_b64 exec, exec, s[68:69]
	v_xad_u32 v58, v59, -1, s2
	v_add_u32_e32 v4, 64, v58
	v_lshl_add_u64 v[60:61], v[4:5], 4, s[56:57]
	;;#ASMSTART
	global_load_dwordx4 v[6:9], v[60:61] off sc1	
s_waitcnt vmcnt(0)
	;;#ASMEND
	s_nop 0
	v_and_b32_e32 v3, 0xff0000, v6
	v_and_b32_e32 v4, 0xff000000, v6
	;; [unrolled: 1-line block ×3, first 2 shown]
	v_or_b32_sdwa v3, v6, v3 dst_sel:DWORD dst_unused:UNUSED_PAD src0_sel:WORD_0 src1_sel:DWORD
	v_or3_b32 v7, 0, 0, v7
	v_or3_b32 v6, v3, v4, 0
	v_cmp_eq_u16_sdwa s[70:71], v8, v5 src0_sel:BYTE_0 src1_sel:DWORD
	s_and_saveexec_b64 s[68:69], s[70:71]
	s_cbranch_execz .LBB499_174
; %bb.171:
	s_mov_b64 s[70:71], 0
	v_mov_b32_e32 v3, 0
.LBB499_172:                            ; =>This Inner Loop Header: Depth=1
	;;#ASMSTART
	global_load_dwordx4 v[6:9], v[60:61] off sc1	
s_waitcnt vmcnt(0)
	;;#ASMEND
	s_nop 0
	v_cmp_ne_u16_sdwa s[72:73], v8, v3 src0_sel:BYTE_0 src1_sel:DWORD
	s_or_b64 s[70:71], s[72:73], s[70:71]
	s_andn2_b64 exec, exec, s[70:71]
	s_cbranch_execnz .LBB499_172
; %bb.173:
	s_or_b64 exec, exec, s[70:71]
	v_and_b32_e32 v7, 0xff, v7
.LBB499_174:
	s_or_b64 exec, exec, s[68:69]
	v_mov_b32_e32 v3, 2
	v_cmp_eq_u16_sdwa s[68:69], v8, v3 src0_sel:BYTE_0 src1_sel:DWORD
	v_lshlrev_b64 v[4:5], v59, -1
	s_mov_b32 s70, 0
	v_and_b32_e32 v3, s69, v5
	v_or_b32_e32 v3, 0x80000000, v3
	v_ffbl_b32_e32 v3, v3
	v_add_u32_e32 v60, 32, v3
	v_and_b32_e32 v3, 63, v59
	v_cmp_ne_u32_e32 vcc, 63, v3
	v_and_b32_e32 v9, s68, v4
	v_ffbl_b32_e32 v9, v9
	v_addc_co_u32_e32 v61, vcc, 0, v59, vcc
	v_lshlrev_b32_e32 v64, 2, v61
	ds_bpermute_b32 v65, v64, v6
	ds_bpermute_b32 v61, v64, v7
	v_min_u32_e32 v9, v9, v60
	v_cmp_lt_u32_e32 vcc, v3, v9
	v_mov_b32_e32 v60, v7
	s_and_saveexec_b64 s[68:69], vcc
	s_cbranch_execz .LBB499_176
; %bb.175:
	s_mov_b32 s71, 1
	v_cmp_gt_u64_e32 vcc, s[70:71], v[6:7]
	v_and_b32_e32 v7, 1, v7
	s_waitcnt lgkmcnt(1)
	v_cndmask_b32_e32 v60, 1, v65, vcc
	v_mul_lo_u32 v6, v60, v6
	s_waitcnt lgkmcnt(0)
	v_and_b32_e32 v60, 1, v61
	v_cmp_eq_u32_e32 vcc, 1, v7
	s_nop 1
	v_cndmask_b32_e64 v7, v60, 1, vcc
	v_and_b32_e32 v60, 0xffff, v7
.LBB499_176:
	s_or_b64 exec, exec, s[68:69]
	v_cmp_gt_u32_e32 vcc, 62, v3
	v_add_u32_e32 v66, 2, v3
	s_waitcnt lgkmcnt(0)
	v_cndmask_b32_e64 v61, 0, 1, vcc
	v_lshlrev_b32_e32 v61, 1, v61
	v_add_lshl_u32 v65, v61, v59, 2
	ds_bpermute_b32 v67, v65, v6
	ds_bpermute_b32 v61, v65, v60
	v_cmp_le_u32_e32 vcc, v66, v9
	s_and_saveexec_b64 s[68:69], vcc
	s_cbranch_execz .LBB499_178
; %bb.177:
	v_cmp_eq_u16_e32 vcc, 0, v7
	v_and_b32_e32 v7, 1, v7
	s_waitcnt lgkmcnt(1)
	v_cndmask_b32_e32 v60, 1, v67, vcc
	v_mul_lo_u32 v6, v60, v6
	s_waitcnt lgkmcnt(0)
	v_and_b32_e32 v60, 1, v61
	v_cmp_eq_u32_e32 vcc, 1, v7
	s_nop 1
	v_cndmask_b32_e64 v7, v60, 1, vcc
	v_and_b32_e32 v60, 0xffff, v7
.LBB499_178:
	s_or_b64 exec, exec, s[68:69]
	v_cmp_gt_u32_e32 vcc, 60, v3
	v_add_u32_e32 v68, 4, v3
	s_waitcnt lgkmcnt(0)
	v_cndmask_b32_e64 v61, 0, 1, vcc
	v_lshlrev_b32_e32 v61, 2, v61
	v_add_lshl_u32 v67, v61, v59, 2
	ds_bpermute_b32 v69, v67, v6
	ds_bpermute_b32 v61, v67, v60
	v_cmp_le_u32_e32 vcc, v68, v9
	s_and_saveexec_b64 s[68:69], vcc
	s_cbranch_execz .LBB499_180
; %bb.179:
	v_cmp_eq_u16_e32 vcc, 0, v7
	v_and_b32_e32 v7, 1, v7
	s_waitcnt lgkmcnt(1)
	v_cndmask_b32_e32 v60, 1, v69, vcc
	v_mul_lo_u32 v6, v60, v6
	s_waitcnt lgkmcnt(0)
	v_and_b32_e32 v60, 1, v61
	v_cmp_eq_u32_e32 vcc, 1, v7
	s_nop 1
	v_cndmask_b32_e64 v7, v60, 1, vcc
	v_and_b32_e32 v60, 0xffff, v7
.LBB499_180:
	;; [unrolled: 25-line block ×4, first 2 shown]
	s_or_b64 exec, exec, s[68:69]
	v_cmp_gt_u32_e32 vcc, 32, v3
	v_add_u32_e32 v75, 32, v3
	s_waitcnt lgkmcnt(0)
	v_cndmask_b32_e64 v61, 0, 1, vcc
	v_lshlrev_b32_e32 v61, 5, v61
	v_add_lshl_u32 v74, v61, v59, 2
	ds_bpermute_b32 v61, v74, v6
	ds_bpermute_b32 v59, v74, v60
	v_cmp_le_u32_e32 vcc, v75, v9
	s_and_saveexec_b64 s[68:69], vcc
	s_cbranch_execz .LBB499_186
; %bb.185:
	v_cmp_eq_u16_e32 vcc, 0, v7
	v_and_b32_e32 v7, 1, v7
	s_waitcnt lgkmcnt(1)
	v_cndmask_b32_e32 v9, 1, v61, vcc
	v_mul_lo_u32 v6, v9, v6
	s_waitcnt lgkmcnt(0)
	v_and_b32_e32 v9, 1, v59
	v_cmp_eq_u32_e32 vcc, 1, v7
	s_nop 1
	v_cndmask_b32_e64 v7, v9, 1, vcc
.LBB499_186:
	s_or_b64 exec, exec, s[68:69]
	s_mov_b32 s68, 0
	s_mov_b32 s69, 1
	s_waitcnt lgkmcnt(0)
	v_mov_b32_e32 v59, 0
	v_mov_b32_e32 v77, 2
	s_branch .LBB499_188
.LBB499_187:                            ;   in Loop: Header=BB499_188 Depth=1
	s_or_b64 exec, exec, s[70:71]
	v_cmp_eq_u16_sdwa vcc, v73, v59 src0_sel:BYTE_0 src1_sel:DWORD
	v_and_b32_e32 v9, 1, v73
	v_and_b32_e32 v7, 1, v7
	v_cndmask_b32_e32 v6, 1, v6, vcc
	v_cmp_eq_u32_e32 vcc, 1, v9
	v_subrev_u32_e32 v58, 64, v58
	v_mul_lo_u32 v6, v6, v76
	v_cndmask_b32_e64 v7, v7, 1, vcc
.LBB499_188:                            ; =>This Loop Header: Depth=1
                                        ;     Child Loop BB499_191 Depth 2
	v_cmp_ne_u16_sdwa s[70:71], v8, v77 src0_sel:BYTE_0 src1_sel:DWORD
	v_mov_b32_e32 v73, v7
	v_mov_b32_e32 v76, v6
	v_cndmask_b32_e64 v7, 0, 1, s[70:71]
	;;#ASMSTART
	;;#ASMEND
	s_nop 0
	v_cmp_ne_u32_e32 vcc, 0, v7
	s_cmp_lg_u64 vcc, exec
	s_cbranch_scc1 .LBB499_205
; %bb.189:                              ;   in Loop: Header=BB499_188 Depth=1
	s_waitcnt lgkmcnt(0)
	v_lshl_add_u64 v[60:61], v[58:59], 4, s[56:57]
	;;#ASMSTART
	global_load_dwordx4 v[6:9], v[60:61] off sc1	
s_waitcnt vmcnt(0)
	;;#ASMEND
	s_nop 0
	v_and_b32_e32 v9, 0xff0000, v6
	v_and_b32_e32 v78, 0xff000000, v6
	;; [unrolled: 1-line block ×3, first 2 shown]
	v_or_b32_sdwa v6, v6, v9 dst_sel:DWORD dst_unused:UNUSED_PAD src0_sel:WORD_0 src1_sel:DWORD
	v_or3_b32 v7, 0, 0, v7
	v_or3_b32 v6, v6, v78, 0
	v_cmp_eq_u16_sdwa s[72:73], v8, v59 src0_sel:BYTE_0 src1_sel:DWORD
	s_and_saveexec_b64 s[70:71], s[72:73]
	s_cbranch_execz .LBB499_193
; %bb.190:                              ;   in Loop: Header=BB499_188 Depth=1
	s_mov_b64 s[72:73], 0
.LBB499_191:                            ;   Parent Loop BB499_188 Depth=1
                                        ; =>  This Inner Loop Header: Depth=2
	;;#ASMSTART
	global_load_dwordx4 v[6:9], v[60:61] off sc1	
s_waitcnt vmcnt(0)
	;;#ASMEND
	s_nop 0
	v_cmp_ne_u16_sdwa s[74:75], v8, v59 src0_sel:BYTE_0 src1_sel:DWORD
	s_or_b64 s[72:73], s[74:75], s[72:73]
	s_andn2_b64 exec, exec, s[72:73]
	s_cbranch_execnz .LBB499_191
; %bb.192:                              ;   in Loop: Header=BB499_188 Depth=1
	s_or_b64 exec, exec, s[72:73]
	v_and_b32_e32 v7, 0xff, v7
.LBB499_193:                            ;   in Loop: Header=BB499_188 Depth=1
	s_or_b64 exec, exec, s[70:71]
	v_cmp_eq_u16_sdwa s[70:71], v8, v77 src0_sel:BYTE_0 src1_sel:DWORD
	ds_bpermute_b32 v78, v64, v6
	ds_bpermute_b32 v61, v64, v7
	v_and_b32_e32 v9, s71, v5
	v_or_b32_e32 v9, 0x80000000, v9
	v_and_b32_e32 v60, s70, v4
	v_ffbl_b32_e32 v9, v9
	v_add_u32_e32 v9, 32, v9
	v_ffbl_b32_e32 v60, v60
	v_min_u32_e32 v9, v60, v9
	v_cmp_lt_u32_e32 vcc, v3, v9
	v_mov_b32_e32 v60, v7
	s_and_saveexec_b64 s[70:71], vcc
	s_cbranch_execz .LBB499_195
; %bb.194:                              ;   in Loop: Header=BB499_188 Depth=1
	v_cmp_gt_u64_e32 vcc, s[68:69], v[6:7]
	v_and_b32_e32 v7, 1, v7
	s_waitcnt lgkmcnt(1)
	v_cndmask_b32_e32 v60, 1, v78, vcc
	v_mul_lo_u32 v6, v60, v6
	s_waitcnt lgkmcnt(0)
	v_and_b32_e32 v60, 1, v61
	v_cmp_eq_u32_e32 vcc, 1, v7
	s_nop 1
	v_cndmask_b32_e64 v7, v60, 1, vcc
	v_and_b32_e32 v60, 0xffff, v7
.LBB499_195:                            ;   in Loop: Header=BB499_188 Depth=1
	s_or_b64 exec, exec, s[70:71]
	s_waitcnt lgkmcnt(1)
	ds_bpermute_b32 v78, v65, v6
	s_waitcnt lgkmcnt(1)
	ds_bpermute_b32 v61, v65, v60
	v_cmp_le_u32_e32 vcc, v66, v9
	s_and_saveexec_b64 s[70:71], vcc
	s_cbranch_execz .LBB499_197
; %bb.196:                              ;   in Loop: Header=BB499_188 Depth=1
	v_cmp_eq_u16_e32 vcc, 0, v7
	v_and_b32_e32 v7, 1, v7
	s_waitcnt lgkmcnt(1)
	v_cndmask_b32_e32 v60, 1, v78, vcc
	v_mul_lo_u32 v6, v60, v6
	s_waitcnt lgkmcnt(0)
	v_and_b32_e32 v60, 1, v61
	v_cmp_eq_u32_e32 vcc, 1, v7
	s_nop 1
	v_cndmask_b32_e64 v7, v60, 1, vcc
	v_and_b32_e32 v60, 0xffff, v7
.LBB499_197:                            ;   in Loop: Header=BB499_188 Depth=1
	s_or_b64 exec, exec, s[70:71]
	s_waitcnt lgkmcnt(1)
	ds_bpermute_b32 v78, v67, v6
	s_waitcnt lgkmcnt(1)
	ds_bpermute_b32 v61, v67, v60
	v_cmp_le_u32_e32 vcc, v68, v9
	s_and_saveexec_b64 s[70:71], vcc
	s_cbranch_execz .LBB499_199
; %bb.198:                              ;   in Loop: Header=BB499_188 Depth=1
	v_cmp_eq_u16_e32 vcc, 0, v7
	v_and_b32_e32 v7, 1, v7
	s_waitcnt lgkmcnt(1)
	v_cndmask_b32_e32 v60, 1, v78, vcc
	v_mul_lo_u32 v6, v60, v6
	s_waitcnt lgkmcnt(0)
	v_and_b32_e32 v60, 1, v61
	v_cmp_eq_u32_e32 vcc, 1, v7
	s_nop 1
	v_cndmask_b32_e64 v7, v60, 1, vcc
	v_and_b32_e32 v60, 0xffff, v7
.LBB499_199:                            ;   in Loop: Header=BB499_188 Depth=1
	s_or_b64 exec, exec, s[70:71]
	s_waitcnt lgkmcnt(1)
	ds_bpermute_b32 v78, v69, v6
	s_waitcnt lgkmcnt(1)
	ds_bpermute_b32 v61, v69, v60
	v_cmp_le_u32_e32 vcc, v70, v9
	s_and_saveexec_b64 s[70:71], vcc
	s_cbranch_execz .LBB499_201
; %bb.200:                              ;   in Loop: Header=BB499_188 Depth=1
	v_cmp_eq_u16_e32 vcc, 0, v7
	v_and_b32_e32 v7, 1, v7
	s_waitcnt lgkmcnt(1)
	v_cndmask_b32_e32 v60, 1, v78, vcc
	v_mul_lo_u32 v6, v60, v6
	s_waitcnt lgkmcnt(0)
	v_and_b32_e32 v60, 1, v61
	v_cmp_eq_u32_e32 vcc, 1, v7
	s_nop 1
	v_cndmask_b32_e64 v7, v60, 1, vcc
	v_and_b32_e32 v60, 0xffff, v7
.LBB499_201:                            ;   in Loop: Header=BB499_188 Depth=1
	s_or_b64 exec, exec, s[70:71]
	s_waitcnt lgkmcnt(1)
	ds_bpermute_b32 v78, v71, v6
	s_waitcnt lgkmcnt(1)
	ds_bpermute_b32 v61, v71, v60
	v_cmp_le_u32_e32 vcc, v72, v9
	s_and_saveexec_b64 s[70:71], vcc
	s_cbranch_execz .LBB499_203
; %bb.202:                              ;   in Loop: Header=BB499_188 Depth=1
	v_cmp_eq_u16_e32 vcc, 0, v7
	v_and_b32_e32 v7, 1, v7
	s_waitcnt lgkmcnt(1)
	v_cndmask_b32_e32 v60, 1, v78, vcc
	v_mul_lo_u32 v6, v60, v6
	s_waitcnt lgkmcnt(0)
	v_and_b32_e32 v60, 1, v61
	v_cmp_eq_u32_e32 vcc, 1, v7
	s_nop 1
	v_cndmask_b32_e64 v7, v60, 1, vcc
	v_and_b32_e32 v60, 0xffff, v7
.LBB499_203:                            ;   in Loop: Header=BB499_188 Depth=1
	s_or_b64 exec, exec, s[70:71]
	s_waitcnt lgkmcnt(0)
	ds_bpermute_b32 v61, v74, v6
	ds_bpermute_b32 v60, v74, v60
	v_cmp_le_u32_e32 vcc, v75, v9
	s_and_saveexec_b64 s[70:71], vcc
	s_cbranch_execz .LBB499_187
; %bb.204:                              ;   in Loop: Header=BB499_188 Depth=1
	v_cmp_eq_u16_e32 vcc, 0, v7
	v_and_b32_e32 v7, 1, v7
	s_waitcnt lgkmcnt(1)
	v_cndmask_b32_e32 v9, 1, v61, vcc
	v_cmp_eq_u32_e32 vcc, 1, v7
	v_mul_lo_u32 v6, v9, v6
	s_waitcnt lgkmcnt(0)
	v_cndmask_b32_e64 v7, v60, 1, vcc
	s_branch .LBB499_187
.LBB499_205:                            ;   in Loop: Header=BB499_188 Depth=1
                                        ; implicit-def: $vgpr7
	s_cbranch_execz .LBB499_188
; %bb.206:
	s_and_saveexec_b64 s[68:69], s[48:49]
	s_cbranch_execz .LBB499_208
; %bb.207:
	s_and_b32 s48, s3, 0xff
	s_cmp_eq_u32 s48, 0
	s_cselect_b64 vcc, -1, 0
	s_bitcmp1_b32 s3, 0
	s_mov_b32 s49, 0
	s_cselect_b64 s[70:71], -1, 0
	s_add_i32 s48, s2, 64
	s_lshl_b64 s[2:3], s[48:49], 4
	v_cndmask_b32_e32 v3, 1, v76, vcc
	s_add_u32 s2, s56, s2
	v_mul_lo_u32 v2, v3, v2
	v_and_b32_e32 v3, 1, v73
	s_addc_u32 s3, s57, s3
	v_cndmask_b32_e64 v3, v3, 1, s[70:71]
	v_mov_b32_e32 v4, 2
	v_mov_b32_e32 v5, 0
	v_mov_b64_e32 v[6:7], s[2:3]
	;;#ASMSTART
	global_store_dwordx4 v[6:7], v[2:5] off sc1	
s_waitcnt vmcnt(0)
	;;#ASMEND
.LBB499_208:
	s_or_b64 exec, exec, s[68:69]
	s_and_b64 exec, exec, s[46:47]
	s_cbranch_execz .LBB499_210
; %bb.209:
	v_mov_b32_e32 v2, 0
	ds_write_b32 v2, v76
	ds_write_b8 v2, v73 offset:4
.LBB499_210:
	s_or_b64 exec, exec, s[60:61]
	v_mov_b32_e32 v2, 0
	s_waitcnt lgkmcnt(0)
	s_barrier
	ds_read_b32 v3, v2
	v_cmp_eq_u16_sdwa vcc, v63, v2 src0_sel:BYTE_0 src1_sel:DWORD
	s_waitcnt lgkmcnt(0)
	s_nop 0
	v_cndmask_b32_e32 v4, 1, v3, vcc
	v_mul_lo_u32 v4, v4, v62
	v_cndmask_b32_e64 v58, v4, v3, s[46:47]
	v_and_b32_e32 v3, 0xff, v11
	v_cmp_eq_u64_e32 vcc, 0, v[2:3]
	s_nop 1
	v_cndmask_b32_e32 v2, 1, v58, vcc
	v_mul_lo_u32 v59, v2, v10
	v_cndmask_b32_e64 v2, 1, v59, s[50:51]
	v_mul_lo_u32 v60, v2, v12
	v_cndmask_b32_e64 v2, 1, v60, s[4:5]
	;; [unrolled: 2-line block ×21, first 2 shown]
	v_mul_lo_u32 v80, v2, v52
	s_branch .LBB499_233
.LBB499_211:
                                        ; implicit-def: $vgpr79
                                        ; implicit-def: $vgpr78
                                        ; implicit-def: $vgpr77
                                        ; implicit-def: $vgpr76
                                        ; implicit-def: $vgpr75
                                        ; implicit-def: $vgpr74
                                        ; implicit-def: $vgpr73
                                        ; implicit-def: $vgpr72
                                        ; implicit-def: $vgpr71
                                        ; implicit-def: $vgpr70
                                        ; implicit-def: $vgpr69
                                        ; implicit-def: $vgpr68
                                        ; implicit-def: $vgpr67
                                        ; implicit-def: $vgpr66
                                        ; implicit-def: $vgpr65
                                        ; implicit-def: $vgpr64
                                        ; implicit-def: $vgpr63
                                        ; implicit-def: $vgpr62
                                        ; implicit-def: $vgpr61
                                        ; implicit-def: $vgpr60
                                        ; implicit-def: $vgpr59
                                        ; implicit-def: $vgpr58
                                        ; implicit-def: $vgpr80
	s_cbranch_execz .LBB499_233
; %bb.212:
	s_cmp_lg_u64 s[66:67], 0
	s_cselect_b32 s3, s63, 0
	s_cselect_b32 s2, s62, 0
	s_mov_b32 s44, 0
	s_cmp_eq_u64 s[2:3], 0
	v_mov_b32_e32 v4, s76
	s_cbranch_scc1 .LBB499_214
; %bb.213:
	v_mov_b32_e32 v2, 0
	global_load_dword v4, v2, s[2:3]
.LBB499_214:
	s_mov_b32 s45, 1
	v_cmp_gt_u64_e32 vcc, s[44:45], v[12:13]
	v_cmp_gt_u64_e64 s[2:3], s[44:45], v[14:15]
	v_cmp_gt_u64_e64 s[4:5], s[44:45], v[16:17]
	v_cndmask_b32_e32 v2, 1, v10, vcc
	v_mul_lo_u32 v2, v2, v12
	v_cndmask_b32_e64 v2, 1, v2, s[2:3]
	v_mul_lo_u32 v2, v2, v14
	v_cndmask_b32_e64 v2, 1, v2, s[4:5]
	v_mul_lo_u32 v2, v2, v16
	v_cmp_gt_u64_e64 s[6:7], s[44:45], v[18:19]
	v_cmp_gt_u64_e64 s[8:9], s[44:45], v[20:21]
	v_cmp_gt_u64_e64 s[10:11], s[44:45], v[22:23]
	v_cndmask_b32_e64 v2, 1, v2, s[6:7]
	v_mul_lo_u32 v2, v2, v18
	v_cndmask_b32_e64 v2, 1, v2, s[8:9]
	v_mul_lo_u32 v2, v2, v20
	v_cndmask_b32_e64 v2, 1, v2, s[10:11]
	v_mul_lo_u32 v2, v2, v22
	v_cmp_gt_u64_e64 s[12:13], s[44:45], v[24:25]
	v_cmp_gt_u64_e64 s[14:15], s[44:45], v[26:27]
	v_cmp_gt_u64_e64 s[16:17], s[44:45], v[28:29]
	v_cndmask_b32_e64 v2, 1, v2, s[12:13]
	;; [unrolled: 9-line block ×6, first 2 shown]
	v_mul_lo_u32 v2, v2, v48
	v_cndmask_b32_e64 v2, 1, v2, s[40:41]
	v_mul_lo_u32 v2, v2, v50
	v_cndmask_b32_e64 v2, 1, v2, s[42:43]
	v_mul_lo_u32 v2, v2, v52
	v_cmp_gt_u64_e64 s[44:45], s[44:45], v[56:57]
	v_add_lshl_u32 v1, v1, v0, 3
	s_nop 0
	v_cndmask_b32_e64 v2, 1, v2, s[44:45]
	v_mul_lo_u32 v5, v2, v56
	v_or3_b32 v2, v55, v51, v49
	v_or3_b32 v2, v2, v47, v45
	;; [unrolled: 1-line block ×10, first 2 shown]
	v_and_b32_e32 v2, 1, v2
	v_cmp_eq_u32_e64 s[44:45], 1, v2
	s_nop 1
	v_cndmask_b32_e64 v6, v11, 1, s[44:45]
	v_cmp_gt_u32_e64 s[44:45], 64, v0
	ds_write_b32 v1, v5
	ds_write_b8 v1, v6 offset:4
	s_waitcnt lgkmcnt(0)
	s_barrier
	s_and_saveexec_b64 s[46:47], s[44:45]
	s_cbranch_execz .LBB499_228
; %bb.215:
	v_lshrrev_b32_e32 v1, 3, v0
	v_add_lshl_u32 v1, v1, v54, 3
	ds_read2_b32 v[8:9], v1 offset0:2 offset1:4
	ds_read_b64 v[2:3], v1
	ds_read_u8 v13, v1 offset:12
	ds_read_u8 v15, v1 offset:20
	ds_read_b32 v17, v1 offset:24
	ds_read_u8 v19, v1 offset:28
	v_mov_b32_e32 v21, 0
	s_waitcnt lgkmcnt(3)
	v_cmp_eq_u16_sdwa s[44:45], v13, v21 src0_sel:BYTE_0 src1_sel:DWORD
	v_and_b32_e32 v7, 1, v3
	s_nop 0
	v_cndmask_b32_e64 v23, 1, v2, s[44:45]
	v_mul_lo_u32 v8, v23, v8
	s_waitcnt lgkmcnt(2)
	v_cmp_eq_u16_sdwa s[44:45], v15, v21 src0_sel:BYTE_0 src1_sel:DWORD
	s_nop 1
	v_cndmask_b32_e64 v8, 1, v8, s[44:45]
	v_mul_lo_u32 v8, v8, v9
	s_waitcnt lgkmcnt(0)
	v_or_b32_e32 v9, v19, v15
	v_or_b32_e32 v9, v9, v13
	v_cmp_eq_u16_e64 s[44:45], 0, v19
	v_and_b32_e32 v9, 1, v9
	v_mbcnt_lo_u32_b32 v13, -1, 0
	v_cndmask_b32_e64 v8, 1, v8, s[44:45]
	v_cmp_eq_u32_e64 s[44:45], 1, v9
	v_and_b32_e32 v9, 0xffffff00, v3
	v_mbcnt_hi_u32_b32 v13, -1, v13
	v_cndmask_b32_e64 v15, v7, 1, s[44:45]
	v_mul_lo_u32 v8, v8, v17
	v_and_b32_e32 v19, 15, v13
	v_or_b32_sdwa v17, v9, v15 dst_sel:DWORD dst_unused:UNUSED_PAD src0_sel:DWORD src1_sel:WORD_0
	v_mov_b32_dpp v23, v8 row_shr:1 row_mask:0xf bank_mask:0xf
	v_cmp_ne_u32_e64 s[44:45], 0, v19
	v_mov_b32_dpp v21, v17 row_shr:1 row_mask:0xf bank_mask:0xf
	s_and_saveexec_b64 s[48:49], s[44:45]
; %bb.216:
	v_cmp_eq_u16_e64 s[44:45], 0, v15
	v_and_b32_e32 v15, 1, v15
	s_nop 0
	v_cndmask_b32_e64 v17, 1, v23, s[44:45]
	v_mul_lo_u32 v8, v17, v8
	v_and_b32_e32 v17, 1, v21
	v_cmp_eq_u32_e64 s[44:45], 1, v15
	s_nop 1
	v_cndmask_b32_e64 v15, v17, 1, s[44:45]
	v_or_b32_sdwa v17, v9, v15 dst_sel:DWORD dst_unused:UNUSED_PAD src0_sel:DWORD src1_sel:WORD_0
; %bb.217:
	s_or_b64 exec, exec, s[48:49]
	v_mov_b32_dpp v23, v8 row_shr:2 row_mask:0xf bank_mask:0xf
	v_mov_b32_dpp v21, v17 row_shr:2 row_mask:0xf bank_mask:0xf
	v_cmp_lt_u32_e64 s[44:45], 1, v19
	s_and_saveexec_b64 s[48:49], s[44:45]
; %bb.218:
	v_cmp_eq_u16_e64 s[44:45], 0, v15
	v_and_b32_e32 v15, 1, v15
	s_nop 0
	v_cndmask_b32_e64 v17, 1, v23, s[44:45]
	v_mul_lo_u32 v8, v17, v8
	v_and_b32_e32 v17, 1, v21
	v_cmp_eq_u32_e64 s[44:45], 1, v15
	s_nop 1
	v_cndmask_b32_e64 v15, v17, 1, s[44:45]
	v_or_b32_sdwa v17, v9, v15 dst_sel:DWORD dst_unused:UNUSED_PAD src0_sel:DWORD src1_sel:WORD_0
; %bb.219:
	s_or_b64 exec, exec, s[48:49]
	v_mov_b32_dpp v23, v8 row_shr:4 row_mask:0xf bank_mask:0xf
	v_mov_b32_dpp v21, v17 row_shr:4 row_mask:0xf bank_mask:0xf
	v_cmp_lt_u32_e64 s[44:45], 3, v19
	s_and_saveexec_b64 s[48:49], s[44:45]
; %bb.220:
	v_cmp_eq_u16_e64 s[44:45], 0, v15
	v_and_b32_e32 v15, 1, v15
	s_nop 0
	v_cndmask_b32_e64 v17, 1, v23, s[44:45]
	v_mul_lo_u32 v8, v17, v8
	v_and_b32_e32 v17, 1, v21
	v_cmp_eq_u32_e64 s[44:45], 1, v15
	s_nop 1
	v_cndmask_b32_e64 v15, v17, 1, s[44:45]
	v_or_b32_sdwa v17, v9, v15 dst_sel:DWORD dst_unused:UNUSED_PAD src0_sel:DWORD src1_sel:WORD_0
; %bb.221:
	s_or_b64 exec, exec, s[48:49]
	v_mov_b32_dpp v23, v8 row_shr:8 row_mask:0xf bank_mask:0xf
	v_mov_b32_dpp v21, v17 row_shr:8 row_mask:0xf bank_mask:0xf
	v_cmp_lt_u32_e64 s[44:45], 7, v19
	s_and_saveexec_b64 s[48:49], s[44:45]
; %bb.222:
	v_cmp_eq_u16_e64 s[44:45], 0, v15
	v_and_b32_e32 v15, 1, v15
	s_nop 0
	v_cndmask_b32_e64 v17, 1, v23, s[44:45]
	v_mul_lo_u32 v8, v17, v8
	v_and_b32_e32 v17, 1, v21
	v_cmp_eq_u32_e64 s[44:45], 1, v15
	s_nop 1
	v_cndmask_b32_e64 v15, v17, 1, s[44:45]
	v_or_b32_sdwa v17, v9, v15 dst_sel:DWORD dst_unused:UNUSED_PAD src0_sel:DWORD src1_sel:WORD_0
; %bb.223:
	s_or_b64 exec, exec, s[48:49]
	v_and_b32_e32 v23, 16, v13
	v_mov_b32_dpp v21, v8 row_bcast:15 row_mask:0xf bank_mask:0xf
	v_mov_b32_dpp v19, v17 row_bcast:15 row_mask:0xf bank_mask:0xf
	v_cmp_ne_u32_e64 s[44:45], 0, v23
	s_and_saveexec_b64 s[48:49], s[44:45]
; %bb.224:
	v_cmp_eq_u16_e64 s[44:45], 0, v15
	v_and_b32_e32 v15, 1, v15
	s_nop 0
	v_cndmask_b32_e64 v17, 1, v21, s[44:45]
	v_mul_lo_u32 v8, v17, v8
	v_and_b32_e32 v17, 1, v19
	v_cmp_eq_u32_e64 s[44:45], 1, v15
	s_nop 1
	v_cndmask_b32_e64 v15, v17, 1, s[44:45]
	v_or_b32_sdwa v17, v9, v15 dst_sel:DWORD dst_unused:UNUSED_PAD src0_sel:DWORD src1_sel:WORD_0
; %bb.225:
	s_or_b64 exec, exec, s[48:49]
	v_mov_b32_dpp v19, v8 row_bcast:31 row_mask:0xf bank_mask:0xf
	v_mov_b32_dpp v17, v17 row_bcast:31 row_mask:0xf bank_mask:0xf
	v_cmp_lt_u32_e64 s[44:45], 31, v13
	s_and_saveexec_b64 s[48:49], s[44:45]
; %bb.226:
	v_cmp_eq_u16_e64 s[44:45], 0, v15
	v_and_b32_e32 v15, 1, v15
	v_and_b32_e32 v17, 1, v17
	v_cndmask_b32_e64 v19, 1, v19, s[44:45]
	v_cmp_eq_u32_e64 s[44:45], 1, v15
	v_mul_lo_u32 v8, v19, v8
	s_nop 0
	v_cndmask_b32_e64 v15, v17, 1, s[44:45]
; %bb.227:
	s_or_b64 exec, exec, s[48:49]
	v_add_u32_e32 v17, -1, v13
	v_and_b32_e32 v19, 64, v13
	v_cmp_lt_i32_e64 s[44:45], v17, v19
	v_or_b32_sdwa v9, v9, v15 dst_sel:DWORD dst_unused:UNUSED_PAD src0_sel:DWORD src1_sel:WORD_0
	s_nop 0
	v_cndmask_b32_e64 v13, v17, v13, s[44:45]
	v_lshlrev_b32_e32 v13, 2, v13
	ds_bpermute_b32 v8, v13, v8
	ds_bpermute_b32 v9, v13, v9
	v_mov_b32_e32 v13, 0
	v_cmp_eq_u16_sdwa s[44:45], v3, v13 src0_sel:BYTE_0 src1_sel:DWORD
	; wave barrier
	s_waitcnt lgkmcnt(1)
	s_nop 0
	v_cndmask_b32_e64 v3, 1, v8, s[44:45]
	v_mul_lo_u32 v2, v3, v2
	s_waitcnt lgkmcnt(0)
	v_and_b32_e32 v3, 1, v9
	v_cmp_eq_u32_e64 s[44:45], 1, v7
	s_nop 1
	v_cndmask_b32_e64 v3, v3, 1, s[44:45]
	v_cmp_eq_u32_e64 s[44:45], 0, v0
	s_nop 1
	v_cndmask_b32_e64 v5, v2, v5, s[44:45]
	v_cndmask_b32_e64 v6, v3, v6, s[44:45]
	ds_write_b32 v1, v5
	ds_write_b8 v1, v6 offset:4
	; wave barrier
	ds_read_u8 v7, v1 offset:12
	ds_read2_b32 v[2:3], v1 offset0:2 offset1:4
	ds_read_u8 v8, v1 offset:20
	ds_read_b32 v9, v1 offset:24
	ds_read_u8 v13, v1 offset:28
	s_waitcnt lgkmcnt(4)
	v_cmp_eq_u16_e64 s[44:45], 0, v7
	s_nop 1
	v_cndmask_b32_e64 v5, 1, v5, s[44:45]
	s_waitcnt lgkmcnt(3)
	v_mul_lo_u32 v2, v5, v2
	v_and_b32_e32 v5, 1, v7
	v_cmp_eq_u32_e64 s[44:45], 1, v5
	s_nop 1
	v_cndmask_b32_e64 v5, v6, 1, s[44:45]
	s_waitcnt lgkmcnt(2)
	v_cmp_eq_u16_e64 s[44:45], 0, v8
	ds_write_b8 v1, v5 offset:12
	s_nop 0
	v_cndmask_b32_e64 v6, 1, v2, s[44:45]
	v_mul_lo_u32 v3, v6, v3
	v_and_b32_e32 v6, 1, v8
	v_cmp_eq_u32_e64 s[44:45], 1, v6
	s_nop 1
	v_cndmask_b32_e64 v5, v5, 1, s[44:45]
	s_waitcnt lgkmcnt(1)
	v_cmp_eq_u16_e64 s[44:45], 0, v13
	ds_write2_b32 v1, v2, v3 offset0:2 offset1:4
	ds_write_b8 v1, v5 offset:20
	v_cndmask_b32_e64 v2, 1, v3, s[44:45]
	v_and_b32_e32 v3, 1, v13
	v_mul_lo_u32 v2, v2, v9
	v_cmp_eq_u32_e64 s[44:45], 1, v3
	s_nop 1
	v_cndmask_b32_e64 v3, v5, 1, s[44:45]
	ds_write_b32 v1, v2 offset:24
	ds_write_b8 v1, v3 offset:28
.LBB499_228:
	s_or_b64 exec, exec, s[46:47]
	v_cmp_eq_u32_e64 s[44:45], 0, v0
	v_cmp_ne_u32_e64 s[46:47], 0, v0
	s_waitcnt vmcnt(0)
	v_mov_b32_e32 v58, v4
	s_waitcnt lgkmcnt(0)
	s_barrier
	s_and_saveexec_b64 s[48:49], s[46:47]
	s_cbranch_execz .LBB499_230
; %bb.229:
	v_add_u32_e32 v1, -1, v0
	v_lshrrev_b32_e32 v2, 5, v1
	v_add_lshl_u32 v1, v2, v1, 3
	ds_read_u8 v2, v1 offset:4
	ds_read_b32 v1, v1
	s_waitcnt lgkmcnt(1)
	v_cmp_eq_u16_e64 s[46:47], 0, v2
	s_nop 1
	v_cndmask_b32_e64 v2, 1, v4, s[46:47]
	s_waitcnt lgkmcnt(0)
	v_mul_lo_u32 v58, v2, v1
.LBB499_230:
	s_or_b64 exec, exec, s[48:49]
	v_and_b32_e32 v3, 0xff, v11
	v_mov_b32_e32 v2, 0
	v_cmp_eq_u64_e64 s[46:47], 0, v[2:3]
	s_nop 1
	v_cndmask_b32_e64 v1, 1, v58, s[46:47]
	v_mul_lo_u32 v59, v1, v10
	v_cndmask_b32_e32 v1, 1, v59, vcc
	v_mul_lo_u32 v60, v1, v12
	v_cndmask_b32_e64 v1, 1, v60, s[2:3]
	v_mul_lo_u32 v61, v1, v14
	v_cndmask_b32_e64 v1, 1, v61, s[4:5]
	;; [unrolled: 2-line block ×20, first 2 shown]
	s_and_saveexec_b64 s[2:3], s[44:45]
	s_cbranch_execz .LBB499_232
; %bb.231:
	ds_read_u8 v3, v2 offset:2100
	ds_read_b32 v5, v2 offset:2096
	s_add_u32 s4, s56, 0x400
	s_addc_u32 s5, s57, 0
	v_mov_b32_e32 v6, 2
	s_waitcnt lgkmcnt(1)
	v_cmp_eq_u16_e32 vcc, 0, v3
	v_mov_b32_e32 v7, v2
	s_nop 0
	v_cndmask_b32_e32 v4, 1, v4, vcc
	s_waitcnt lgkmcnt(0)
	v_mul_lo_u32 v4, v4, v5
	v_and_b32_e32 v5, 0xffff, v3
	v_mov_b64_e32 v[2:3], s[4:5]
	;;#ASMSTART
	global_store_dwordx4 v[2:3], v[4:7] off sc1	
s_waitcnt vmcnt(0)
	;;#ASMEND
.LBB499_232:
	s_or_b64 exec, exec, s[2:3]
	v_mul_lo_u32 v80, v1, v52
.LBB499_233:
	s_add_u32 s2, s54, s64
	s_addc_u32 s3, s55, s65
	s_add_u32 s2, s2, s52
	s_addc_u32 s3, s3, s53
	s_and_b64 vcc, exec, s[0:1]
	s_cbranch_vccz .LBB499_279
; %bb.234:
	s_movk_i32 s0, 0x5c
	v_mul_i32_i24_e32 v26, 0xffffffa8, v0
	v_mul_u32_u24_e32 v1, 0x5c, v0
	v_mad_u32_u24 v2, v0, s0, v26
	s_barrier
	ds_write2_b32 v1, v58, v59 offset1:1
	ds_write2_b32 v1, v60, v61 offset0:2 offset1:3
	ds_write2_b32 v1, v62, v63 offset0:4 offset1:5
	;; [unrolled: 1-line block ×10, first 2 shown]
	ds_write_b32 v1, v80 offset:88
	s_waitcnt lgkmcnt(0)
	s_barrier
	ds_read2st64_b32 v[24:25], v2 offset0:4 offset1:8
	ds_read2st64_b32 v[22:23], v2 offset0:12 offset1:16
	;; [unrolled: 1-line block ×11, first 2 shown]
	s_add_i32 s33, s33, s58
	v_mov_b32_e32 v55, 0
	v_lshl_add_u64 v[4:5], s[2:3], 0, v[54:55]
	v_cmp_gt_u32_e32 vcc, s33, v0
	s_and_saveexec_b64 s[0:1], vcc
	s_cbranch_execz .LBB499_236
; %bb.235:
	v_add_u32_e32 v1, v1, v26
	ds_read_b32 v1, v1
	s_waitcnt lgkmcnt(0)
	flat_store_dword v[4:5], v1
.LBB499_236:
	s_or_b64 exec, exec, s[0:1]
	v_or_b32_e32 v1, 0x100, v0
	v_cmp_gt_u32_e32 vcc, s33, v1
	s_and_saveexec_b64 s[0:1], vcc
	s_cbranch_execz .LBB499_238
; %bb.237:
	s_waitcnt lgkmcnt(0)
	flat_store_dword v[4:5], v24 offset:1024
.LBB499_238:
	s_or_b64 exec, exec, s[0:1]
	v_or_b32_e32 v1, 0x200, v0
	v_cmp_gt_u32_e32 vcc, s33, v1
	s_and_saveexec_b64 s[0:1], vcc
	s_cbranch_execz .LBB499_240
; %bb.239:
	s_waitcnt lgkmcnt(0)
	flat_store_dword v[4:5], v25 offset:2048
.LBB499_240:
	;; [unrolled: 9-line block ×3, first 2 shown]
	s_or_b64 exec, exec, s[0:1]
	v_or_b32_e32 v1, 0x400, v0
	v_cmp_gt_u32_e32 vcc, s33, v1
	s_and_saveexec_b64 s[0:1], vcc
	s_cbranch_execz .LBB499_244
; %bb.243:
	s_waitcnt lgkmcnt(0)
	v_add_co_u32_e32 v24, vcc, 0x1000, v4
	s_nop 1
	v_addc_co_u32_e32 v25, vcc, 0, v5, vcc
	flat_store_dword v[24:25], v23
.LBB499_244:
	s_or_b64 exec, exec, s[0:1]
	v_or_b32_e32 v1, 0x500, v0
	v_cmp_gt_u32_e32 vcc, s33, v1
	s_and_saveexec_b64 s[0:1], vcc
	s_cbranch_execz .LBB499_246
; %bb.245:
	s_waitcnt lgkmcnt(0)
	v_add_co_u32_e32 v22, vcc, 0x1000, v4
	s_nop 1
	v_addc_co_u32_e32 v23, vcc, 0, v5, vcc
	flat_store_dword v[22:23], v20 offset:1024
.LBB499_246:
	s_or_b64 exec, exec, s[0:1]
	v_or_b32_e32 v1, 0x600, v0
	v_cmp_gt_u32_e32 vcc, s33, v1
	s_and_saveexec_b64 s[0:1], vcc
	s_cbranch_execz .LBB499_248
; %bb.247:
	s_waitcnt lgkmcnt(0)
	v_add_co_u32_e32 v22, vcc, 0x1000, v4
	s_nop 1
	v_addc_co_u32_e32 v23, vcc, 0, v5, vcc
	flat_store_dword v[22:23], v21 offset:2048
.LBB499_248:
	s_or_b64 exec, exec, s[0:1]
	v_or_b32_e32 v1, 0x700, v0
	v_cmp_gt_u32_e32 vcc, s33, v1
	s_and_saveexec_b64 s[0:1], vcc
	s_cbranch_execz .LBB499_250
; %bb.249:
	s_waitcnt lgkmcnt(0)
	v_add_co_u32_e32 v20, vcc, 0x1000, v4
	s_nop 1
	v_addc_co_u32_e32 v21, vcc, 0, v5, vcc
	flat_store_dword v[20:21], v18 offset:3072
.LBB499_250:
	s_or_b64 exec, exec, s[0:1]
	v_or_b32_e32 v1, 0x800, v0
	v_cmp_gt_u32_e32 vcc, s33, v1
	s_and_saveexec_b64 s[0:1], vcc
	s_cbranch_execz .LBB499_252
; %bb.251:
	s_waitcnt lgkmcnt(0)
	v_add_co_u32_e32 v20, vcc, 0x2000, v4
	s_nop 1
	v_addc_co_u32_e32 v21, vcc, 0, v5, vcc
	flat_store_dword v[20:21], v19
.LBB499_252:
	s_or_b64 exec, exec, s[0:1]
	v_or_b32_e32 v1, 0x900, v0
	v_cmp_gt_u32_e32 vcc, s33, v1
	s_and_saveexec_b64 s[0:1], vcc
	s_cbranch_execz .LBB499_254
; %bb.253:
	s_waitcnt lgkmcnt(0)
	v_add_co_u32_e32 v18, vcc, 0x2000, v4
	s_nop 1
	v_addc_co_u32_e32 v19, vcc, 0, v5, vcc
	flat_store_dword v[18:19], v16 offset:1024
.LBB499_254:
	s_or_b64 exec, exec, s[0:1]
	v_or_b32_e32 v1, 0xa00, v0
	v_cmp_gt_u32_e32 vcc, s33, v1
	s_and_saveexec_b64 s[0:1], vcc
	s_cbranch_execz .LBB499_256
; %bb.255:
	s_waitcnt lgkmcnt(0)
	v_add_co_u32_e32 v18, vcc, 0x2000, v4
	s_nop 1
	v_addc_co_u32_e32 v19, vcc, 0, v5, vcc
	flat_store_dword v[18:19], v17 offset:2048
.LBB499_256:
	s_or_b64 exec, exec, s[0:1]
	v_or_b32_e32 v1, 0xb00, v0
	v_cmp_gt_u32_e32 vcc, s33, v1
	s_and_saveexec_b64 s[0:1], vcc
	s_cbranch_execz .LBB499_258
; %bb.257:
	s_waitcnt lgkmcnt(0)
	v_add_co_u32_e32 v16, vcc, 0x2000, v4
	s_nop 1
	v_addc_co_u32_e32 v17, vcc, 0, v5, vcc
	flat_store_dword v[16:17], v14 offset:3072
.LBB499_258:
	;; [unrolled: 48-line block ×4, first 2 shown]
	s_or_b64 exec, exec, s[0:1]
	v_or_b32_e32 v1, 0x1400, v0
	v_cmp_gt_u32_e32 vcc, s33, v1
	s_and_saveexec_b64 s[0:1], vcc
	s_cbranch_execz .LBB499_276
; %bb.275:
	s_waitcnt lgkmcnt(0)
	v_add_co_u32_e32 v8, vcc, 0x5000, v4
	s_nop 1
	v_addc_co_u32_e32 v9, vcc, 0, v5, vcc
	flat_store_dword v[8:9], v7
.LBB499_276:
	s_or_b64 exec, exec, s[0:1]
	v_or_b32_e32 v1, 0x1500, v0
	v_cmp_gt_u32_e32 vcc, s33, v1
	s_and_saveexec_b64 s[0:1], vcc
	s_cbranch_execz .LBB499_278
; %bb.277:
	v_add_co_u32_e32 v4, vcc, 0x5000, v4
	s_nop 1
	v_addc_co_u32_e32 v5, vcc, 0, v5, vcc
	s_waitcnt lgkmcnt(0)
	flat_store_dword v[4:5], v2 offset:1024
.LBB499_278:
	s_or_b64 exec, exec, s[0:1]
	s_waitcnt lgkmcnt(0)
	v_or_b32_e32 v2, 0x1600, v0
	v_mov_b32_e32 v1, v55
	v_cmp_gt_u32_e64 s[0:1], s33, v2
	s_branch .LBB499_281
.LBB499_279:
	s_mov_b64 s[0:1], 0
                                        ; implicit-def: $vgpr3
	s_cbranch_execz .LBB499_281
; %bb.280:
	v_mul_u32_u24_e32 v1, 0x5c, v0
	s_barrier
	s_movk_i32 s4, 0x5c
	ds_write2_b32 v1, v58, v59 offset1:1
	ds_write2_b32 v1, v60, v61 offset0:2 offset1:3
	ds_write2_b32 v1, v62, v63 offset0:4 offset1:5
	;; [unrolled: 1-line block ×10, first 2 shown]
	ds_write_b32 v1, v80 offset:88
	v_mov_b32_e32 v1, 0
	v_mul_i32_i24_e32 v2, 0xffffffa8, v0
	v_mad_u32_u24 v2, v0, s4, v2
	v_mov_b32_e32 v55, v1
	s_waitcnt lgkmcnt(0)
	s_barrier
	ds_read2st64_b32 v[4:5], v2 offset1:4
	ds_read2st64_b32 v[6:7], v2 offset0:8 offset1:12
	ds_read2st64_b32 v[8:9], v2 offset0:16 offset1:20
	;; [unrolled: 1-line block ×10, first 2 shown]
	ds_read_b32 v3, v2 offset:22528
	v_lshl_add_u64 v[26:27], s[2:3], 0, v[54:55]
	s_movk_i32 s4, 0x1000
	s_waitcnt lgkmcnt(0)
	flat_store_dword v[26:27], v4
	flat_store_dword v[26:27], v5 offset:1024
	flat_store_dword v[26:27], v6 offset:2048
	flat_store_dword v[26:27], v7 offset:3072
	v_add_co_u32_e32 v4, vcc, s4, v26
	s_movk_i32 s4, 0x2000
	s_nop 0
	v_addc_co_u32_e32 v5, vcc, 0, v27, vcc
	flat_store_dword v[4:5], v8
	flat_store_dword v[4:5], v9 offset:1024
	flat_store_dword v[4:5], v10 offset:2048
	;; [unrolled: 1-line block ×3, first 2 shown]
	v_add_co_u32_e32 v4, vcc, s4, v26
	s_movk_i32 s4, 0x3000
	s_nop 0
	v_addc_co_u32_e32 v5, vcc, 0, v27, vcc
	flat_store_dword v[4:5], v12
	flat_store_dword v[4:5], v13 offset:1024
	flat_store_dword v[4:5], v14 offset:2048
	;; [unrolled: 1-line block ×3, first 2 shown]
	v_add_co_u32_e32 v4, vcc, s4, v26
	s_or_b64 s[0:1], s[0:1], exec
	s_nop 0
	v_addc_co_u32_e32 v5, vcc, 0, v27, vcc
	flat_store_dword v[4:5], v16
	flat_store_dword v[4:5], v17 offset:1024
	flat_store_dword v[4:5], v18 offset:2048
	;; [unrolled: 1-line block ×3, first 2 shown]
	v_add_co_u32_e32 v4, vcc, 0x4000, v26
	s_nop 1
	v_addc_co_u32_e32 v5, vcc, 0, v27, vcc
	flat_store_dword v[4:5], v20
	flat_store_dword v[4:5], v21 offset:1024
	flat_store_dword v[4:5], v22 offset:2048
	;; [unrolled: 1-line block ×3, first 2 shown]
	v_add_co_u32_e32 v4, vcc, 0x5000, v26
	s_nop 1
	v_addc_co_u32_e32 v5, vcc, 0, v27, vcc
	flat_store_dword v[4:5], v24
	flat_store_dword v[4:5], v25 offset:1024
.LBB499_281:
	s_and_saveexec_b64 s[4:5], s[0:1]
	s_cbranch_execz .LBB499_283
; %bb.282:
	v_lshl_add_u64 v[0:1], v[0:1], 2, s[2:3]
	v_add_co_u32_e32 v0, vcc, 0x5000, v0
	s_nop 1
	v_addc_co_u32_e32 v1, vcc, 0, v1, vcc
	flat_store_dword v[0:1], v3 offset:2048
	s_endpgm
.LBB499_283:
	s_endpgm
	.section	.rodata,"a",@progbits
	.p2align	6, 0x0
	.amdhsa_kernel _ZN7rocprim17ROCPRIM_400000_NS6detail17trampoline_kernelINS0_14default_configENS1_27scan_by_key_config_selectorIiiEEZZNS1_16scan_by_key_implILNS1_25lookback_scan_determinismE0ELb1ES3_N6thrust23THRUST_200600_302600_NS6detail15normal_iteratorINS9_10device_ptrIiEEEESE_SE_iNS9_10multipliesIiEENS9_8equal_toIiEEiEE10hipError_tPvRmT2_T3_T4_T5_mT6_T7_P12ihipStream_tbENKUlT_T0_E_clISt17integral_constantIbLb0EESZ_EEDaSU_SV_EUlSU_E_NS1_11comp_targetILNS1_3genE5ELNS1_11target_archE942ELNS1_3gpuE9ELNS1_3repE0EEENS1_30default_config_static_selectorELNS0_4arch9wavefront6targetE1EEEvT1_
		.amdhsa_group_segment_fixed_size 25600
		.amdhsa_private_segment_fixed_size 0
		.amdhsa_kernarg_size 112
		.amdhsa_user_sgpr_count 2
		.amdhsa_user_sgpr_dispatch_ptr 0
		.amdhsa_user_sgpr_queue_ptr 0
		.amdhsa_user_sgpr_kernarg_segment_ptr 1
		.amdhsa_user_sgpr_dispatch_id 0
		.amdhsa_user_sgpr_kernarg_preload_length 0
		.amdhsa_user_sgpr_kernarg_preload_offset 0
		.amdhsa_user_sgpr_private_segment_size 0
		.amdhsa_uses_dynamic_stack 0
		.amdhsa_enable_private_segment 0
		.amdhsa_system_sgpr_workgroup_id_x 1
		.amdhsa_system_sgpr_workgroup_id_y 0
		.amdhsa_system_sgpr_workgroup_id_z 0
		.amdhsa_system_sgpr_workgroup_info 0
		.amdhsa_system_vgpr_workitem_id 0
		.amdhsa_next_free_vgpr 81
		.amdhsa_next_free_sgpr 80
		.amdhsa_accum_offset 84
		.amdhsa_reserve_vcc 1
		.amdhsa_float_round_mode_32 0
		.amdhsa_float_round_mode_16_64 0
		.amdhsa_float_denorm_mode_32 3
		.amdhsa_float_denorm_mode_16_64 3
		.amdhsa_dx10_clamp 1
		.amdhsa_ieee_mode 1
		.amdhsa_fp16_overflow 0
		.amdhsa_tg_split 0
		.amdhsa_exception_fp_ieee_invalid_op 0
		.amdhsa_exception_fp_denorm_src 0
		.amdhsa_exception_fp_ieee_div_zero 0
		.amdhsa_exception_fp_ieee_overflow 0
		.amdhsa_exception_fp_ieee_underflow 0
		.amdhsa_exception_fp_ieee_inexact 0
		.amdhsa_exception_int_div_zero 0
	.end_amdhsa_kernel
	.section	.text._ZN7rocprim17ROCPRIM_400000_NS6detail17trampoline_kernelINS0_14default_configENS1_27scan_by_key_config_selectorIiiEEZZNS1_16scan_by_key_implILNS1_25lookback_scan_determinismE0ELb1ES3_N6thrust23THRUST_200600_302600_NS6detail15normal_iteratorINS9_10device_ptrIiEEEESE_SE_iNS9_10multipliesIiEENS9_8equal_toIiEEiEE10hipError_tPvRmT2_T3_T4_T5_mT6_T7_P12ihipStream_tbENKUlT_T0_E_clISt17integral_constantIbLb0EESZ_EEDaSU_SV_EUlSU_E_NS1_11comp_targetILNS1_3genE5ELNS1_11target_archE942ELNS1_3gpuE9ELNS1_3repE0EEENS1_30default_config_static_selectorELNS0_4arch9wavefront6targetE1EEEvT1_,"axG",@progbits,_ZN7rocprim17ROCPRIM_400000_NS6detail17trampoline_kernelINS0_14default_configENS1_27scan_by_key_config_selectorIiiEEZZNS1_16scan_by_key_implILNS1_25lookback_scan_determinismE0ELb1ES3_N6thrust23THRUST_200600_302600_NS6detail15normal_iteratorINS9_10device_ptrIiEEEESE_SE_iNS9_10multipliesIiEENS9_8equal_toIiEEiEE10hipError_tPvRmT2_T3_T4_T5_mT6_T7_P12ihipStream_tbENKUlT_T0_E_clISt17integral_constantIbLb0EESZ_EEDaSU_SV_EUlSU_E_NS1_11comp_targetILNS1_3genE5ELNS1_11target_archE942ELNS1_3gpuE9ELNS1_3repE0EEENS1_30default_config_static_selectorELNS0_4arch9wavefront6targetE1EEEvT1_,comdat
.Lfunc_end499:
	.size	_ZN7rocprim17ROCPRIM_400000_NS6detail17trampoline_kernelINS0_14default_configENS1_27scan_by_key_config_selectorIiiEEZZNS1_16scan_by_key_implILNS1_25lookback_scan_determinismE0ELb1ES3_N6thrust23THRUST_200600_302600_NS6detail15normal_iteratorINS9_10device_ptrIiEEEESE_SE_iNS9_10multipliesIiEENS9_8equal_toIiEEiEE10hipError_tPvRmT2_T3_T4_T5_mT6_T7_P12ihipStream_tbENKUlT_T0_E_clISt17integral_constantIbLb0EESZ_EEDaSU_SV_EUlSU_E_NS1_11comp_targetILNS1_3genE5ELNS1_11target_archE942ELNS1_3gpuE9ELNS1_3repE0EEENS1_30default_config_static_selectorELNS0_4arch9wavefront6targetE1EEEvT1_, .Lfunc_end499-_ZN7rocprim17ROCPRIM_400000_NS6detail17trampoline_kernelINS0_14default_configENS1_27scan_by_key_config_selectorIiiEEZZNS1_16scan_by_key_implILNS1_25lookback_scan_determinismE0ELb1ES3_N6thrust23THRUST_200600_302600_NS6detail15normal_iteratorINS9_10device_ptrIiEEEESE_SE_iNS9_10multipliesIiEENS9_8equal_toIiEEiEE10hipError_tPvRmT2_T3_T4_T5_mT6_T7_P12ihipStream_tbENKUlT_T0_E_clISt17integral_constantIbLb0EESZ_EEDaSU_SV_EUlSU_E_NS1_11comp_targetILNS1_3genE5ELNS1_11target_archE942ELNS1_3gpuE9ELNS1_3repE0EEENS1_30default_config_static_selectorELNS0_4arch9wavefront6targetE1EEEvT1_
                                        ; -- End function
	.section	.AMDGPU.csdata,"",@progbits
; Kernel info:
; codeLenInByte = 16104
; NumSgprs: 86
; NumVgprs: 81
; NumAgprs: 0
; TotalNumVgprs: 81
; ScratchSize: 0
; MemoryBound: 0
; FloatMode: 240
; IeeeMode: 1
; LDSByteSize: 25600 bytes/workgroup (compile time only)
; SGPRBlocks: 10
; VGPRBlocks: 10
; NumSGPRsForWavesPerEU: 86
; NumVGPRsForWavesPerEU: 81
; AccumOffset: 84
; Occupancy: 2
; WaveLimiterHint : 1
; COMPUTE_PGM_RSRC2:SCRATCH_EN: 0
; COMPUTE_PGM_RSRC2:USER_SGPR: 2
; COMPUTE_PGM_RSRC2:TRAP_HANDLER: 0
; COMPUTE_PGM_RSRC2:TGID_X_EN: 1
; COMPUTE_PGM_RSRC2:TGID_Y_EN: 0
; COMPUTE_PGM_RSRC2:TGID_Z_EN: 0
; COMPUTE_PGM_RSRC2:TIDIG_COMP_CNT: 0
; COMPUTE_PGM_RSRC3_GFX90A:ACCUM_OFFSET: 20
; COMPUTE_PGM_RSRC3_GFX90A:TG_SPLIT: 0
	.section	.text._ZN7rocprim17ROCPRIM_400000_NS6detail17trampoline_kernelINS0_14default_configENS1_27scan_by_key_config_selectorIiiEEZZNS1_16scan_by_key_implILNS1_25lookback_scan_determinismE0ELb1ES3_N6thrust23THRUST_200600_302600_NS6detail15normal_iteratorINS9_10device_ptrIiEEEESE_SE_iNS9_10multipliesIiEENS9_8equal_toIiEEiEE10hipError_tPvRmT2_T3_T4_T5_mT6_T7_P12ihipStream_tbENKUlT_T0_E_clISt17integral_constantIbLb0EESZ_EEDaSU_SV_EUlSU_E_NS1_11comp_targetILNS1_3genE4ELNS1_11target_archE910ELNS1_3gpuE8ELNS1_3repE0EEENS1_30default_config_static_selectorELNS0_4arch9wavefront6targetE1EEEvT1_,"axG",@progbits,_ZN7rocprim17ROCPRIM_400000_NS6detail17trampoline_kernelINS0_14default_configENS1_27scan_by_key_config_selectorIiiEEZZNS1_16scan_by_key_implILNS1_25lookback_scan_determinismE0ELb1ES3_N6thrust23THRUST_200600_302600_NS6detail15normal_iteratorINS9_10device_ptrIiEEEESE_SE_iNS9_10multipliesIiEENS9_8equal_toIiEEiEE10hipError_tPvRmT2_T3_T4_T5_mT6_T7_P12ihipStream_tbENKUlT_T0_E_clISt17integral_constantIbLb0EESZ_EEDaSU_SV_EUlSU_E_NS1_11comp_targetILNS1_3genE4ELNS1_11target_archE910ELNS1_3gpuE8ELNS1_3repE0EEENS1_30default_config_static_selectorELNS0_4arch9wavefront6targetE1EEEvT1_,comdat
	.protected	_ZN7rocprim17ROCPRIM_400000_NS6detail17trampoline_kernelINS0_14default_configENS1_27scan_by_key_config_selectorIiiEEZZNS1_16scan_by_key_implILNS1_25lookback_scan_determinismE0ELb1ES3_N6thrust23THRUST_200600_302600_NS6detail15normal_iteratorINS9_10device_ptrIiEEEESE_SE_iNS9_10multipliesIiEENS9_8equal_toIiEEiEE10hipError_tPvRmT2_T3_T4_T5_mT6_T7_P12ihipStream_tbENKUlT_T0_E_clISt17integral_constantIbLb0EESZ_EEDaSU_SV_EUlSU_E_NS1_11comp_targetILNS1_3genE4ELNS1_11target_archE910ELNS1_3gpuE8ELNS1_3repE0EEENS1_30default_config_static_selectorELNS0_4arch9wavefront6targetE1EEEvT1_ ; -- Begin function _ZN7rocprim17ROCPRIM_400000_NS6detail17trampoline_kernelINS0_14default_configENS1_27scan_by_key_config_selectorIiiEEZZNS1_16scan_by_key_implILNS1_25lookback_scan_determinismE0ELb1ES3_N6thrust23THRUST_200600_302600_NS6detail15normal_iteratorINS9_10device_ptrIiEEEESE_SE_iNS9_10multipliesIiEENS9_8equal_toIiEEiEE10hipError_tPvRmT2_T3_T4_T5_mT6_T7_P12ihipStream_tbENKUlT_T0_E_clISt17integral_constantIbLb0EESZ_EEDaSU_SV_EUlSU_E_NS1_11comp_targetILNS1_3genE4ELNS1_11target_archE910ELNS1_3gpuE8ELNS1_3repE0EEENS1_30default_config_static_selectorELNS0_4arch9wavefront6targetE1EEEvT1_
	.globl	_ZN7rocprim17ROCPRIM_400000_NS6detail17trampoline_kernelINS0_14default_configENS1_27scan_by_key_config_selectorIiiEEZZNS1_16scan_by_key_implILNS1_25lookback_scan_determinismE0ELb1ES3_N6thrust23THRUST_200600_302600_NS6detail15normal_iteratorINS9_10device_ptrIiEEEESE_SE_iNS9_10multipliesIiEENS9_8equal_toIiEEiEE10hipError_tPvRmT2_T3_T4_T5_mT6_T7_P12ihipStream_tbENKUlT_T0_E_clISt17integral_constantIbLb0EESZ_EEDaSU_SV_EUlSU_E_NS1_11comp_targetILNS1_3genE4ELNS1_11target_archE910ELNS1_3gpuE8ELNS1_3repE0EEENS1_30default_config_static_selectorELNS0_4arch9wavefront6targetE1EEEvT1_
	.p2align	8
	.type	_ZN7rocprim17ROCPRIM_400000_NS6detail17trampoline_kernelINS0_14default_configENS1_27scan_by_key_config_selectorIiiEEZZNS1_16scan_by_key_implILNS1_25lookback_scan_determinismE0ELb1ES3_N6thrust23THRUST_200600_302600_NS6detail15normal_iteratorINS9_10device_ptrIiEEEESE_SE_iNS9_10multipliesIiEENS9_8equal_toIiEEiEE10hipError_tPvRmT2_T3_T4_T5_mT6_T7_P12ihipStream_tbENKUlT_T0_E_clISt17integral_constantIbLb0EESZ_EEDaSU_SV_EUlSU_E_NS1_11comp_targetILNS1_3genE4ELNS1_11target_archE910ELNS1_3gpuE8ELNS1_3repE0EEENS1_30default_config_static_selectorELNS0_4arch9wavefront6targetE1EEEvT1_,@function
_ZN7rocprim17ROCPRIM_400000_NS6detail17trampoline_kernelINS0_14default_configENS1_27scan_by_key_config_selectorIiiEEZZNS1_16scan_by_key_implILNS1_25lookback_scan_determinismE0ELb1ES3_N6thrust23THRUST_200600_302600_NS6detail15normal_iteratorINS9_10device_ptrIiEEEESE_SE_iNS9_10multipliesIiEENS9_8equal_toIiEEiEE10hipError_tPvRmT2_T3_T4_T5_mT6_T7_P12ihipStream_tbENKUlT_T0_E_clISt17integral_constantIbLb0EESZ_EEDaSU_SV_EUlSU_E_NS1_11comp_targetILNS1_3genE4ELNS1_11target_archE910ELNS1_3gpuE8ELNS1_3repE0EEENS1_30default_config_static_selectorELNS0_4arch9wavefront6targetE1EEEvT1_: ; @_ZN7rocprim17ROCPRIM_400000_NS6detail17trampoline_kernelINS0_14default_configENS1_27scan_by_key_config_selectorIiiEEZZNS1_16scan_by_key_implILNS1_25lookback_scan_determinismE0ELb1ES3_N6thrust23THRUST_200600_302600_NS6detail15normal_iteratorINS9_10device_ptrIiEEEESE_SE_iNS9_10multipliesIiEENS9_8equal_toIiEEiEE10hipError_tPvRmT2_T3_T4_T5_mT6_T7_P12ihipStream_tbENKUlT_T0_E_clISt17integral_constantIbLb0EESZ_EEDaSU_SV_EUlSU_E_NS1_11comp_targetILNS1_3genE4ELNS1_11target_archE910ELNS1_3gpuE8ELNS1_3repE0EEENS1_30default_config_static_selectorELNS0_4arch9wavefront6targetE1EEEvT1_
; %bb.0:
	.section	.rodata,"a",@progbits
	.p2align	6, 0x0
	.amdhsa_kernel _ZN7rocprim17ROCPRIM_400000_NS6detail17trampoline_kernelINS0_14default_configENS1_27scan_by_key_config_selectorIiiEEZZNS1_16scan_by_key_implILNS1_25lookback_scan_determinismE0ELb1ES3_N6thrust23THRUST_200600_302600_NS6detail15normal_iteratorINS9_10device_ptrIiEEEESE_SE_iNS9_10multipliesIiEENS9_8equal_toIiEEiEE10hipError_tPvRmT2_T3_T4_T5_mT6_T7_P12ihipStream_tbENKUlT_T0_E_clISt17integral_constantIbLb0EESZ_EEDaSU_SV_EUlSU_E_NS1_11comp_targetILNS1_3genE4ELNS1_11target_archE910ELNS1_3gpuE8ELNS1_3repE0EEENS1_30default_config_static_selectorELNS0_4arch9wavefront6targetE1EEEvT1_
		.amdhsa_group_segment_fixed_size 0
		.amdhsa_private_segment_fixed_size 0
		.amdhsa_kernarg_size 112
		.amdhsa_user_sgpr_count 2
		.amdhsa_user_sgpr_dispatch_ptr 0
		.amdhsa_user_sgpr_queue_ptr 0
		.amdhsa_user_sgpr_kernarg_segment_ptr 1
		.amdhsa_user_sgpr_dispatch_id 0
		.amdhsa_user_sgpr_kernarg_preload_length 0
		.amdhsa_user_sgpr_kernarg_preload_offset 0
		.amdhsa_user_sgpr_private_segment_size 0
		.amdhsa_uses_dynamic_stack 0
		.amdhsa_enable_private_segment 0
		.amdhsa_system_sgpr_workgroup_id_x 1
		.amdhsa_system_sgpr_workgroup_id_y 0
		.amdhsa_system_sgpr_workgroup_id_z 0
		.amdhsa_system_sgpr_workgroup_info 0
		.amdhsa_system_vgpr_workitem_id 0
		.amdhsa_next_free_vgpr 1
		.amdhsa_next_free_sgpr 0
		.amdhsa_accum_offset 4
		.amdhsa_reserve_vcc 0
		.amdhsa_float_round_mode_32 0
		.amdhsa_float_round_mode_16_64 0
		.amdhsa_float_denorm_mode_32 3
		.amdhsa_float_denorm_mode_16_64 3
		.amdhsa_dx10_clamp 1
		.amdhsa_ieee_mode 1
		.amdhsa_fp16_overflow 0
		.amdhsa_tg_split 0
		.amdhsa_exception_fp_ieee_invalid_op 0
		.amdhsa_exception_fp_denorm_src 0
		.amdhsa_exception_fp_ieee_div_zero 0
		.amdhsa_exception_fp_ieee_overflow 0
		.amdhsa_exception_fp_ieee_underflow 0
		.amdhsa_exception_fp_ieee_inexact 0
		.amdhsa_exception_int_div_zero 0
	.end_amdhsa_kernel
	.section	.text._ZN7rocprim17ROCPRIM_400000_NS6detail17trampoline_kernelINS0_14default_configENS1_27scan_by_key_config_selectorIiiEEZZNS1_16scan_by_key_implILNS1_25lookback_scan_determinismE0ELb1ES3_N6thrust23THRUST_200600_302600_NS6detail15normal_iteratorINS9_10device_ptrIiEEEESE_SE_iNS9_10multipliesIiEENS9_8equal_toIiEEiEE10hipError_tPvRmT2_T3_T4_T5_mT6_T7_P12ihipStream_tbENKUlT_T0_E_clISt17integral_constantIbLb0EESZ_EEDaSU_SV_EUlSU_E_NS1_11comp_targetILNS1_3genE4ELNS1_11target_archE910ELNS1_3gpuE8ELNS1_3repE0EEENS1_30default_config_static_selectorELNS0_4arch9wavefront6targetE1EEEvT1_,"axG",@progbits,_ZN7rocprim17ROCPRIM_400000_NS6detail17trampoline_kernelINS0_14default_configENS1_27scan_by_key_config_selectorIiiEEZZNS1_16scan_by_key_implILNS1_25lookback_scan_determinismE0ELb1ES3_N6thrust23THRUST_200600_302600_NS6detail15normal_iteratorINS9_10device_ptrIiEEEESE_SE_iNS9_10multipliesIiEENS9_8equal_toIiEEiEE10hipError_tPvRmT2_T3_T4_T5_mT6_T7_P12ihipStream_tbENKUlT_T0_E_clISt17integral_constantIbLb0EESZ_EEDaSU_SV_EUlSU_E_NS1_11comp_targetILNS1_3genE4ELNS1_11target_archE910ELNS1_3gpuE8ELNS1_3repE0EEENS1_30default_config_static_selectorELNS0_4arch9wavefront6targetE1EEEvT1_,comdat
.Lfunc_end500:
	.size	_ZN7rocprim17ROCPRIM_400000_NS6detail17trampoline_kernelINS0_14default_configENS1_27scan_by_key_config_selectorIiiEEZZNS1_16scan_by_key_implILNS1_25lookback_scan_determinismE0ELb1ES3_N6thrust23THRUST_200600_302600_NS6detail15normal_iteratorINS9_10device_ptrIiEEEESE_SE_iNS9_10multipliesIiEENS9_8equal_toIiEEiEE10hipError_tPvRmT2_T3_T4_T5_mT6_T7_P12ihipStream_tbENKUlT_T0_E_clISt17integral_constantIbLb0EESZ_EEDaSU_SV_EUlSU_E_NS1_11comp_targetILNS1_3genE4ELNS1_11target_archE910ELNS1_3gpuE8ELNS1_3repE0EEENS1_30default_config_static_selectorELNS0_4arch9wavefront6targetE1EEEvT1_, .Lfunc_end500-_ZN7rocprim17ROCPRIM_400000_NS6detail17trampoline_kernelINS0_14default_configENS1_27scan_by_key_config_selectorIiiEEZZNS1_16scan_by_key_implILNS1_25lookback_scan_determinismE0ELb1ES3_N6thrust23THRUST_200600_302600_NS6detail15normal_iteratorINS9_10device_ptrIiEEEESE_SE_iNS9_10multipliesIiEENS9_8equal_toIiEEiEE10hipError_tPvRmT2_T3_T4_T5_mT6_T7_P12ihipStream_tbENKUlT_T0_E_clISt17integral_constantIbLb0EESZ_EEDaSU_SV_EUlSU_E_NS1_11comp_targetILNS1_3genE4ELNS1_11target_archE910ELNS1_3gpuE8ELNS1_3repE0EEENS1_30default_config_static_selectorELNS0_4arch9wavefront6targetE1EEEvT1_
                                        ; -- End function
	.section	.AMDGPU.csdata,"",@progbits
; Kernel info:
; codeLenInByte = 0
; NumSgprs: 6
; NumVgprs: 0
; NumAgprs: 0
; TotalNumVgprs: 0
; ScratchSize: 0
; MemoryBound: 0
; FloatMode: 240
; IeeeMode: 1
; LDSByteSize: 0 bytes/workgroup (compile time only)
; SGPRBlocks: 0
; VGPRBlocks: 0
; NumSGPRsForWavesPerEU: 6
; NumVGPRsForWavesPerEU: 1
; AccumOffset: 4
; Occupancy: 8
; WaveLimiterHint : 0
; COMPUTE_PGM_RSRC2:SCRATCH_EN: 0
; COMPUTE_PGM_RSRC2:USER_SGPR: 2
; COMPUTE_PGM_RSRC2:TRAP_HANDLER: 0
; COMPUTE_PGM_RSRC2:TGID_X_EN: 1
; COMPUTE_PGM_RSRC2:TGID_Y_EN: 0
; COMPUTE_PGM_RSRC2:TGID_Z_EN: 0
; COMPUTE_PGM_RSRC2:TIDIG_COMP_CNT: 0
; COMPUTE_PGM_RSRC3_GFX90A:ACCUM_OFFSET: 0
; COMPUTE_PGM_RSRC3_GFX90A:TG_SPLIT: 0
	.section	.text._ZN7rocprim17ROCPRIM_400000_NS6detail17trampoline_kernelINS0_14default_configENS1_27scan_by_key_config_selectorIiiEEZZNS1_16scan_by_key_implILNS1_25lookback_scan_determinismE0ELb1ES3_N6thrust23THRUST_200600_302600_NS6detail15normal_iteratorINS9_10device_ptrIiEEEESE_SE_iNS9_10multipliesIiEENS9_8equal_toIiEEiEE10hipError_tPvRmT2_T3_T4_T5_mT6_T7_P12ihipStream_tbENKUlT_T0_E_clISt17integral_constantIbLb0EESZ_EEDaSU_SV_EUlSU_E_NS1_11comp_targetILNS1_3genE3ELNS1_11target_archE908ELNS1_3gpuE7ELNS1_3repE0EEENS1_30default_config_static_selectorELNS0_4arch9wavefront6targetE1EEEvT1_,"axG",@progbits,_ZN7rocprim17ROCPRIM_400000_NS6detail17trampoline_kernelINS0_14default_configENS1_27scan_by_key_config_selectorIiiEEZZNS1_16scan_by_key_implILNS1_25lookback_scan_determinismE0ELb1ES3_N6thrust23THRUST_200600_302600_NS6detail15normal_iteratorINS9_10device_ptrIiEEEESE_SE_iNS9_10multipliesIiEENS9_8equal_toIiEEiEE10hipError_tPvRmT2_T3_T4_T5_mT6_T7_P12ihipStream_tbENKUlT_T0_E_clISt17integral_constantIbLb0EESZ_EEDaSU_SV_EUlSU_E_NS1_11comp_targetILNS1_3genE3ELNS1_11target_archE908ELNS1_3gpuE7ELNS1_3repE0EEENS1_30default_config_static_selectorELNS0_4arch9wavefront6targetE1EEEvT1_,comdat
	.protected	_ZN7rocprim17ROCPRIM_400000_NS6detail17trampoline_kernelINS0_14default_configENS1_27scan_by_key_config_selectorIiiEEZZNS1_16scan_by_key_implILNS1_25lookback_scan_determinismE0ELb1ES3_N6thrust23THRUST_200600_302600_NS6detail15normal_iteratorINS9_10device_ptrIiEEEESE_SE_iNS9_10multipliesIiEENS9_8equal_toIiEEiEE10hipError_tPvRmT2_T3_T4_T5_mT6_T7_P12ihipStream_tbENKUlT_T0_E_clISt17integral_constantIbLb0EESZ_EEDaSU_SV_EUlSU_E_NS1_11comp_targetILNS1_3genE3ELNS1_11target_archE908ELNS1_3gpuE7ELNS1_3repE0EEENS1_30default_config_static_selectorELNS0_4arch9wavefront6targetE1EEEvT1_ ; -- Begin function _ZN7rocprim17ROCPRIM_400000_NS6detail17trampoline_kernelINS0_14default_configENS1_27scan_by_key_config_selectorIiiEEZZNS1_16scan_by_key_implILNS1_25lookback_scan_determinismE0ELb1ES3_N6thrust23THRUST_200600_302600_NS6detail15normal_iteratorINS9_10device_ptrIiEEEESE_SE_iNS9_10multipliesIiEENS9_8equal_toIiEEiEE10hipError_tPvRmT2_T3_T4_T5_mT6_T7_P12ihipStream_tbENKUlT_T0_E_clISt17integral_constantIbLb0EESZ_EEDaSU_SV_EUlSU_E_NS1_11comp_targetILNS1_3genE3ELNS1_11target_archE908ELNS1_3gpuE7ELNS1_3repE0EEENS1_30default_config_static_selectorELNS0_4arch9wavefront6targetE1EEEvT1_
	.globl	_ZN7rocprim17ROCPRIM_400000_NS6detail17trampoline_kernelINS0_14default_configENS1_27scan_by_key_config_selectorIiiEEZZNS1_16scan_by_key_implILNS1_25lookback_scan_determinismE0ELb1ES3_N6thrust23THRUST_200600_302600_NS6detail15normal_iteratorINS9_10device_ptrIiEEEESE_SE_iNS9_10multipliesIiEENS9_8equal_toIiEEiEE10hipError_tPvRmT2_T3_T4_T5_mT6_T7_P12ihipStream_tbENKUlT_T0_E_clISt17integral_constantIbLb0EESZ_EEDaSU_SV_EUlSU_E_NS1_11comp_targetILNS1_3genE3ELNS1_11target_archE908ELNS1_3gpuE7ELNS1_3repE0EEENS1_30default_config_static_selectorELNS0_4arch9wavefront6targetE1EEEvT1_
	.p2align	8
	.type	_ZN7rocprim17ROCPRIM_400000_NS6detail17trampoline_kernelINS0_14default_configENS1_27scan_by_key_config_selectorIiiEEZZNS1_16scan_by_key_implILNS1_25lookback_scan_determinismE0ELb1ES3_N6thrust23THRUST_200600_302600_NS6detail15normal_iteratorINS9_10device_ptrIiEEEESE_SE_iNS9_10multipliesIiEENS9_8equal_toIiEEiEE10hipError_tPvRmT2_T3_T4_T5_mT6_T7_P12ihipStream_tbENKUlT_T0_E_clISt17integral_constantIbLb0EESZ_EEDaSU_SV_EUlSU_E_NS1_11comp_targetILNS1_3genE3ELNS1_11target_archE908ELNS1_3gpuE7ELNS1_3repE0EEENS1_30default_config_static_selectorELNS0_4arch9wavefront6targetE1EEEvT1_,@function
_ZN7rocprim17ROCPRIM_400000_NS6detail17trampoline_kernelINS0_14default_configENS1_27scan_by_key_config_selectorIiiEEZZNS1_16scan_by_key_implILNS1_25lookback_scan_determinismE0ELb1ES3_N6thrust23THRUST_200600_302600_NS6detail15normal_iteratorINS9_10device_ptrIiEEEESE_SE_iNS9_10multipliesIiEENS9_8equal_toIiEEiEE10hipError_tPvRmT2_T3_T4_T5_mT6_T7_P12ihipStream_tbENKUlT_T0_E_clISt17integral_constantIbLb0EESZ_EEDaSU_SV_EUlSU_E_NS1_11comp_targetILNS1_3genE3ELNS1_11target_archE908ELNS1_3gpuE7ELNS1_3repE0EEENS1_30default_config_static_selectorELNS0_4arch9wavefront6targetE1EEEvT1_: ; @_ZN7rocprim17ROCPRIM_400000_NS6detail17trampoline_kernelINS0_14default_configENS1_27scan_by_key_config_selectorIiiEEZZNS1_16scan_by_key_implILNS1_25lookback_scan_determinismE0ELb1ES3_N6thrust23THRUST_200600_302600_NS6detail15normal_iteratorINS9_10device_ptrIiEEEESE_SE_iNS9_10multipliesIiEENS9_8equal_toIiEEiEE10hipError_tPvRmT2_T3_T4_T5_mT6_T7_P12ihipStream_tbENKUlT_T0_E_clISt17integral_constantIbLb0EESZ_EEDaSU_SV_EUlSU_E_NS1_11comp_targetILNS1_3genE3ELNS1_11target_archE908ELNS1_3gpuE7ELNS1_3repE0EEENS1_30default_config_static_selectorELNS0_4arch9wavefront6targetE1EEEvT1_
; %bb.0:
	.section	.rodata,"a",@progbits
	.p2align	6, 0x0
	.amdhsa_kernel _ZN7rocprim17ROCPRIM_400000_NS6detail17trampoline_kernelINS0_14default_configENS1_27scan_by_key_config_selectorIiiEEZZNS1_16scan_by_key_implILNS1_25lookback_scan_determinismE0ELb1ES3_N6thrust23THRUST_200600_302600_NS6detail15normal_iteratorINS9_10device_ptrIiEEEESE_SE_iNS9_10multipliesIiEENS9_8equal_toIiEEiEE10hipError_tPvRmT2_T3_T4_T5_mT6_T7_P12ihipStream_tbENKUlT_T0_E_clISt17integral_constantIbLb0EESZ_EEDaSU_SV_EUlSU_E_NS1_11comp_targetILNS1_3genE3ELNS1_11target_archE908ELNS1_3gpuE7ELNS1_3repE0EEENS1_30default_config_static_selectorELNS0_4arch9wavefront6targetE1EEEvT1_
		.amdhsa_group_segment_fixed_size 0
		.amdhsa_private_segment_fixed_size 0
		.amdhsa_kernarg_size 112
		.amdhsa_user_sgpr_count 2
		.amdhsa_user_sgpr_dispatch_ptr 0
		.amdhsa_user_sgpr_queue_ptr 0
		.amdhsa_user_sgpr_kernarg_segment_ptr 1
		.amdhsa_user_sgpr_dispatch_id 0
		.amdhsa_user_sgpr_kernarg_preload_length 0
		.amdhsa_user_sgpr_kernarg_preload_offset 0
		.amdhsa_user_sgpr_private_segment_size 0
		.amdhsa_uses_dynamic_stack 0
		.amdhsa_enable_private_segment 0
		.amdhsa_system_sgpr_workgroup_id_x 1
		.amdhsa_system_sgpr_workgroup_id_y 0
		.amdhsa_system_sgpr_workgroup_id_z 0
		.amdhsa_system_sgpr_workgroup_info 0
		.amdhsa_system_vgpr_workitem_id 0
		.amdhsa_next_free_vgpr 1
		.amdhsa_next_free_sgpr 0
		.amdhsa_accum_offset 4
		.amdhsa_reserve_vcc 0
		.amdhsa_float_round_mode_32 0
		.amdhsa_float_round_mode_16_64 0
		.amdhsa_float_denorm_mode_32 3
		.amdhsa_float_denorm_mode_16_64 3
		.amdhsa_dx10_clamp 1
		.amdhsa_ieee_mode 1
		.amdhsa_fp16_overflow 0
		.amdhsa_tg_split 0
		.amdhsa_exception_fp_ieee_invalid_op 0
		.amdhsa_exception_fp_denorm_src 0
		.amdhsa_exception_fp_ieee_div_zero 0
		.amdhsa_exception_fp_ieee_overflow 0
		.amdhsa_exception_fp_ieee_underflow 0
		.amdhsa_exception_fp_ieee_inexact 0
		.amdhsa_exception_int_div_zero 0
	.end_amdhsa_kernel
	.section	.text._ZN7rocprim17ROCPRIM_400000_NS6detail17trampoline_kernelINS0_14default_configENS1_27scan_by_key_config_selectorIiiEEZZNS1_16scan_by_key_implILNS1_25lookback_scan_determinismE0ELb1ES3_N6thrust23THRUST_200600_302600_NS6detail15normal_iteratorINS9_10device_ptrIiEEEESE_SE_iNS9_10multipliesIiEENS9_8equal_toIiEEiEE10hipError_tPvRmT2_T3_T4_T5_mT6_T7_P12ihipStream_tbENKUlT_T0_E_clISt17integral_constantIbLb0EESZ_EEDaSU_SV_EUlSU_E_NS1_11comp_targetILNS1_3genE3ELNS1_11target_archE908ELNS1_3gpuE7ELNS1_3repE0EEENS1_30default_config_static_selectorELNS0_4arch9wavefront6targetE1EEEvT1_,"axG",@progbits,_ZN7rocprim17ROCPRIM_400000_NS6detail17trampoline_kernelINS0_14default_configENS1_27scan_by_key_config_selectorIiiEEZZNS1_16scan_by_key_implILNS1_25lookback_scan_determinismE0ELb1ES3_N6thrust23THRUST_200600_302600_NS6detail15normal_iteratorINS9_10device_ptrIiEEEESE_SE_iNS9_10multipliesIiEENS9_8equal_toIiEEiEE10hipError_tPvRmT2_T3_T4_T5_mT6_T7_P12ihipStream_tbENKUlT_T0_E_clISt17integral_constantIbLb0EESZ_EEDaSU_SV_EUlSU_E_NS1_11comp_targetILNS1_3genE3ELNS1_11target_archE908ELNS1_3gpuE7ELNS1_3repE0EEENS1_30default_config_static_selectorELNS0_4arch9wavefront6targetE1EEEvT1_,comdat
.Lfunc_end501:
	.size	_ZN7rocprim17ROCPRIM_400000_NS6detail17trampoline_kernelINS0_14default_configENS1_27scan_by_key_config_selectorIiiEEZZNS1_16scan_by_key_implILNS1_25lookback_scan_determinismE0ELb1ES3_N6thrust23THRUST_200600_302600_NS6detail15normal_iteratorINS9_10device_ptrIiEEEESE_SE_iNS9_10multipliesIiEENS9_8equal_toIiEEiEE10hipError_tPvRmT2_T3_T4_T5_mT6_T7_P12ihipStream_tbENKUlT_T0_E_clISt17integral_constantIbLb0EESZ_EEDaSU_SV_EUlSU_E_NS1_11comp_targetILNS1_3genE3ELNS1_11target_archE908ELNS1_3gpuE7ELNS1_3repE0EEENS1_30default_config_static_selectorELNS0_4arch9wavefront6targetE1EEEvT1_, .Lfunc_end501-_ZN7rocprim17ROCPRIM_400000_NS6detail17trampoline_kernelINS0_14default_configENS1_27scan_by_key_config_selectorIiiEEZZNS1_16scan_by_key_implILNS1_25lookback_scan_determinismE0ELb1ES3_N6thrust23THRUST_200600_302600_NS6detail15normal_iteratorINS9_10device_ptrIiEEEESE_SE_iNS9_10multipliesIiEENS9_8equal_toIiEEiEE10hipError_tPvRmT2_T3_T4_T5_mT6_T7_P12ihipStream_tbENKUlT_T0_E_clISt17integral_constantIbLb0EESZ_EEDaSU_SV_EUlSU_E_NS1_11comp_targetILNS1_3genE3ELNS1_11target_archE908ELNS1_3gpuE7ELNS1_3repE0EEENS1_30default_config_static_selectorELNS0_4arch9wavefront6targetE1EEEvT1_
                                        ; -- End function
	.section	.AMDGPU.csdata,"",@progbits
; Kernel info:
; codeLenInByte = 0
; NumSgprs: 6
; NumVgprs: 0
; NumAgprs: 0
; TotalNumVgprs: 0
; ScratchSize: 0
; MemoryBound: 0
; FloatMode: 240
; IeeeMode: 1
; LDSByteSize: 0 bytes/workgroup (compile time only)
; SGPRBlocks: 0
; VGPRBlocks: 0
; NumSGPRsForWavesPerEU: 6
; NumVGPRsForWavesPerEU: 1
; AccumOffset: 4
; Occupancy: 8
; WaveLimiterHint : 0
; COMPUTE_PGM_RSRC2:SCRATCH_EN: 0
; COMPUTE_PGM_RSRC2:USER_SGPR: 2
; COMPUTE_PGM_RSRC2:TRAP_HANDLER: 0
; COMPUTE_PGM_RSRC2:TGID_X_EN: 1
; COMPUTE_PGM_RSRC2:TGID_Y_EN: 0
; COMPUTE_PGM_RSRC2:TGID_Z_EN: 0
; COMPUTE_PGM_RSRC2:TIDIG_COMP_CNT: 0
; COMPUTE_PGM_RSRC3_GFX90A:ACCUM_OFFSET: 0
; COMPUTE_PGM_RSRC3_GFX90A:TG_SPLIT: 0
	.section	.text._ZN7rocprim17ROCPRIM_400000_NS6detail17trampoline_kernelINS0_14default_configENS1_27scan_by_key_config_selectorIiiEEZZNS1_16scan_by_key_implILNS1_25lookback_scan_determinismE0ELb1ES3_N6thrust23THRUST_200600_302600_NS6detail15normal_iteratorINS9_10device_ptrIiEEEESE_SE_iNS9_10multipliesIiEENS9_8equal_toIiEEiEE10hipError_tPvRmT2_T3_T4_T5_mT6_T7_P12ihipStream_tbENKUlT_T0_E_clISt17integral_constantIbLb0EESZ_EEDaSU_SV_EUlSU_E_NS1_11comp_targetILNS1_3genE2ELNS1_11target_archE906ELNS1_3gpuE6ELNS1_3repE0EEENS1_30default_config_static_selectorELNS0_4arch9wavefront6targetE1EEEvT1_,"axG",@progbits,_ZN7rocprim17ROCPRIM_400000_NS6detail17trampoline_kernelINS0_14default_configENS1_27scan_by_key_config_selectorIiiEEZZNS1_16scan_by_key_implILNS1_25lookback_scan_determinismE0ELb1ES3_N6thrust23THRUST_200600_302600_NS6detail15normal_iteratorINS9_10device_ptrIiEEEESE_SE_iNS9_10multipliesIiEENS9_8equal_toIiEEiEE10hipError_tPvRmT2_T3_T4_T5_mT6_T7_P12ihipStream_tbENKUlT_T0_E_clISt17integral_constantIbLb0EESZ_EEDaSU_SV_EUlSU_E_NS1_11comp_targetILNS1_3genE2ELNS1_11target_archE906ELNS1_3gpuE6ELNS1_3repE0EEENS1_30default_config_static_selectorELNS0_4arch9wavefront6targetE1EEEvT1_,comdat
	.protected	_ZN7rocprim17ROCPRIM_400000_NS6detail17trampoline_kernelINS0_14default_configENS1_27scan_by_key_config_selectorIiiEEZZNS1_16scan_by_key_implILNS1_25lookback_scan_determinismE0ELb1ES3_N6thrust23THRUST_200600_302600_NS6detail15normal_iteratorINS9_10device_ptrIiEEEESE_SE_iNS9_10multipliesIiEENS9_8equal_toIiEEiEE10hipError_tPvRmT2_T3_T4_T5_mT6_T7_P12ihipStream_tbENKUlT_T0_E_clISt17integral_constantIbLb0EESZ_EEDaSU_SV_EUlSU_E_NS1_11comp_targetILNS1_3genE2ELNS1_11target_archE906ELNS1_3gpuE6ELNS1_3repE0EEENS1_30default_config_static_selectorELNS0_4arch9wavefront6targetE1EEEvT1_ ; -- Begin function _ZN7rocprim17ROCPRIM_400000_NS6detail17trampoline_kernelINS0_14default_configENS1_27scan_by_key_config_selectorIiiEEZZNS1_16scan_by_key_implILNS1_25lookback_scan_determinismE0ELb1ES3_N6thrust23THRUST_200600_302600_NS6detail15normal_iteratorINS9_10device_ptrIiEEEESE_SE_iNS9_10multipliesIiEENS9_8equal_toIiEEiEE10hipError_tPvRmT2_T3_T4_T5_mT6_T7_P12ihipStream_tbENKUlT_T0_E_clISt17integral_constantIbLb0EESZ_EEDaSU_SV_EUlSU_E_NS1_11comp_targetILNS1_3genE2ELNS1_11target_archE906ELNS1_3gpuE6ELNS1_3repE0EEENS1_30default_config_static_selectorELNS0_4arch9wavefront6targetE1EEEvT1_
	.globl	_ZN7rocprim17ROCPRIM_400000_NS6detail17trampoline_kernelINS0_14default_configENS1_27scan_by_key_config_selectorIiiEEZZNS1_16scan_by_key_implILNS1_25lookback_scan_determinismE0ELb1ES3_N6thrust23THRUST_200600_302600_NS6detail15normal_iteratorINS9_10device_ptrIiEEEESE_SE_iNS9_10multipliesIiEENS9_8equal_toIiEEiEE10hipError_tPvRmT2_T3_T4_T5_mT6_T7_P12ihipStream_tbENKUlT_T0_E_clISt17integral_constantIbLb0EESZ_EEDaSU_SV_EUlSU_E_NS1_11comp_targetILNS1_3genE2ELNS1_11target_archE906ELNS1_3gpuE6ELNS1_3repE0EEENS1_30default_config_static_selectorELNS0_4arch9wavefront6targetE1EEEvT1_
	.p2align	8
	.type	_ZN7rocprim17ROCPRIM_400000_NS6detail17trampoline_kernelINS0_14default_configENS1_27scan_by_key_config_selectorIiiEEZZNS1_16scan_by_key_implILNS1_25lookback_scan_determinismE0ELb1ES3_N6thrust23THRUST_200600_302600_NS6detail15normal_iteratorINS9_10device_ptrIiEEEESE_SE_iNS9_10multipliesIiEENS9_8equal_toIiEEiEE10hipError_tPvRmT2_T3_T4_T5_mT6_T7_P12ihipStream_tbENKUlT_T0_E_clISt17integral_constantIbLb0EESZ_EEDaSU_SV_EUlSU_E_NS1_11comp_targetILNS1_3genE2ELNS1_11target_archE906ELNS1_3gpuE6ELNS1_3repE0EEENS1_30default_config_static_selectorELNS0_4arch9wavefront6targetE1EEEvT1_,@function
_ZN7rocprim17ROCPRIM_400000_NS6detail17trampoline_kernelINS0_14default_configENS1_27scan_by_key_config_selectorIiiEEZZNS1_16scan_by_key_implILNS1_25lookback_scan_determinismE0ELb1ES3_N6thrust23THRUST_200600_302600_NS6detail15normal_iteratorINS9_10device_ptrIiEEEESE_SE_iNS9_10multipliesIiEENS9_8equal_toIiEEiEE10hipError_tPvRmT2_T3_T4_T5_mT6_T7_P12ihipStream_tbENKUlT_T0_E_clISt17integral_constantIbLb0EESZ_EEDaSU_SV_EUlSU_E_NS1_11comp_targetILNS1_3genE2ELNS1_11target_archE906ELNS1_3gpuE6ELNS1_3repE0EEENS1_30default_config_static_selectorELNS0_4arch9wavefront6targetE1EEEvT1_: ; @_ZN7rocprim17ROCPRIM_400000_NS6detail17trampoline_kernelINS0_14default_configENS1_27scan_by_key_config_selectorIiiEEZZNS1_16scan_by_key_implILNS1_25lookback_scan_determinismE0ELb1ES3_N6thrust23THRUST_200600_302600_NS6detail15normal_iteratorINS9_10device_ptrIiEEEESE_SE_iNS9_10multipliesIiEENS9_8equal_toIiEEiEE10hipError_tPvRmT2_T3_T4_T5_mT6_T7_P12ihipStream_tbENKUlT_T0_E_clISt17integral_constantIbLb0EESZ_EEDaSU_SV_EUlSU_E_NS1_11comp_targetILNS1_3genE2ELNS1_11target_archE906ELNS1_3gpuE6ELNS1_3repE0EEENS1_30default_config_static_selectorELNS0_4arch9wavefront6targetE1EEEvT1_
; %bb.0:
	.section	.rodata,"a",@progbits
	.p2align	6, 0x0
	.amdhsa_kernel _ZN7rocprim17ROCPRIM_400000_NS6detail17trampoline_kernelINS0_14default_configENS1_27scan_by_key_config_selectorIiiEEZZNS1_16scan_by_key_implILNS1_25lookback_scan_determinismE0ELb1ES3_N6thrust23THRUST_200600_302600_NS6detail15normal_iteratorINS9_10device_ptrIiEEEESE_SE_iNS9_10multipliesIiEENS9_8equal_toIiEEiEE10hipError_tPvRmT2_T3_T4_T5_mT6_T7_P12ihipStream_tbENKUlT_T0_E_clISt17integral_constantIbLb0EESZ_EEDaSU_SV_EUlSU_E_NS1_11comp_targetILNS1_3genE2ELNS1_11target_archE906ELNS1_3gpuE6ELNS1_3repE0EEENS1_30default_config_static_selectorELNS0_4arch9wavefront6targetE1EEEvT1_
		.amdhsa_group_segment_fixed_size 0
		.amdhsa_private_segment_fixed_size 0
		.amdhsa_kernarg_size 112
		.amdhsa_user_sgpr_count 2
		.amdhsa_user_sgpr_dispatch_ptr 0
		.amdhsa_user_sgpr_queue_ptr 0
		.amdhsa_user_sgpr_kernarg_segment_ptr 1
		.amdhsa_user_sgpr_dispatch_id 0
		.amdhsa_user_sgpr_kernarg_preload_length 0
		.amdhsa_user_sgpr_kernarg_preload_offset 0
		.amdhsa_user_sgpr_private_segment_size 0
		.amdhsa_uses_dynamic_stack 0
		.amdhsa_enable_private_segment 0
		.amdhsa_system_sgpr_workgroup_id_x 1
		.amdhsa_system_sgpr_workgroup_id_y 0
		.amdhsa_system_sgpr_workgroup_id_z 0
		.amdhsa_system_sgpr_workgroup_info 0
		.amdhsa_system_vgpr_workitem_id 0
		.amdhsa_next_free_vgpr 1
		.amdhsa_next_free_sgpr 0
		.amdhsa_accum_offset 4
		.amdhsa_reserve_vcc 0
		.amdhsa_float_round_mode_32 0
		.amdhsa_float_round_mode_16_64 0
		.amdhsa_float_denorm_mode_32 3
		.amdhsa_float_denorm_mode_16_64 3
		.amdhsa_dx10_clamp 1
		.amdhsa_ieee_mode 1
		.amdhsa_fp16_overflow 0
		.amdhsa_tg_split 0
		.amdhsa_exception_fp_ieee_invalid_op 0
		.amdhsa_exception_fp_denorm_src 0
		.amdhsa_exception_fp_ieee_div_zero 0
		.amdhsa_exception_fp_ieee_overflow 0
		.amdhsa_exception_fp_ieee_underflow 0
		.amdhsa_exception_fp_ieee_inexact 0
		.amdhsa_exception_int_div_zero 0
	.end_amdhsa_kernel
	.section	.text._ZN7rocprim17ROCPRIM_400000_NS6detail17trampoline_kernelINS0_14default_configENS1_27scan_by_key_config_selectorIiiEEZZNS1_16scan_by_key_implILNS1_25lookback_scan_determinismE0ELb1ES3_N6thrust23THRUST_200600_302600_NS6detail15normal_iteratorINS9_10device_ptrIiEEEESE_SE_iNS9_10multipliesIiEENS9_8equal_toIiEEiEE10hipError_tPvRmT2_T3_T4_T5_mT6_T7_P12ihipStream_tbENKUlT_T0_E_clISt17integral_constantIbLb0EESZ_EEDaSU_SV_EUlSU_E_NS1_11comp_targetILNS1_3genE2ELNS1_11target_archE906ELNS1_3gpuE6ELNS1_3repE0EEENS1_30default_config_static_selectorELNS0_4arch9wavefront6targetE1EEEvT1_,"axG",@progbits,_ZN7rocprim17ROCPRIM_400000_NS6detail17trampoline_kernelINS0_14default_configENS1_27scan_by_key_config_selectorIiiEEZZNS1_16scan_by_key_implILNS1_25lookback_scan_determinismE0ELb1ES3_N6thrust23THRUST_200600_302600_NS6detail15normal_iteratorINS9_10device_ptrIiEEEESE_SE_iNS9_10multipliesIiEENS9_8equal_toIiEEiEE10hipError_tPvRmT2_T3_T4_T5_mT6_T7_P12ihipStream_tbENKUlT_T0_E_clISt17integral_constantIbLb0EESZ_EEDaSU_SV_EUlSU_E_NS1_11comp_targetILNS1_3genE2ELNS1_11target_archE906ELNS1_3gpuE6ELNS1_3repE0EEENS1_30default_config_static_selectorELNS0_4arch9wavefront6targetE1EEEvT1_,comdat
.Lfunc_end502:
	.size	_ZN7rocprim17ROCPRIM_400000_NS6detail17trampoline_kernelINS0_14default_configENS1_27scan_by_key_config_selectorIiiEEZZNS1_16scan_by_key_implILNS1_25lookback_scan_determinismE0ELb1ES3_N6thrust23THRUST_200600_302600_NS6detail15normal_iteratorINS9_10device_ptrIiEEEESE_SE_iNS9_10multipliesIiEENS9_8equal_toIiEEiEE10hipError_tPvRmT2_T3_T4_T5_mT6_T7_P12ihipStream_tbENKUlT_T0_E_clISt17integral_constantIbLb0EESZ_EEDaSU_SV_EUlSU_E_NS1_11comp_targetILNS1_3genE2ELNS1_11target_archE906ELNS1_3gpuE6ELNS1_3repE0EEENS1_30default_config_static_selectorELNS0_4arch9wavefront6targetE1EEEvT1_, .Lfunc_end502-_ZN7rocprim17ROCPRIM_400000_NS6detail17trampoline_kernelINS0_14default_configENS1_27scan_by_key_config_selectorIiiEEZZNS1_16scan_by_key_implILNS1_25lookback_scan_determinismE0ELb1ES3_N6thrust23THRUST_200600_302600_NS6detail15normal_iteratorINS9_10device_ptrIiEEEESE_SE_iNS9_10multipliesIiEENS9_8equal_toIiEEiEE10hipError_tPvRmT2_T3_T4_T5_mT6_T7_P12ihipStream_tbENKUlT_T0_E_clISt17integral_constantIbLb0EESZ_EEDaSU_SV_EUlSU_E_NS1_11comp_targetILNS1_3genE2ELNS1_11target_archE906ELNS1_3gpuE6ELNS1_3repE0EEENS1_30default_config_static_selectorELNS0_4arch9wavefront6targetE1EEEvT1_
                                        ; -- End function
	.section	.AMDGPU.csdata,"",@progbits
; Kernel info:
; codeLenInByte = 0
; NumSgprs: 6
; NumVgprs: 0
; NumAgprs: 0
; TotalNumVgprs: 0
; ScratchSize: 0
; MemoryBound: 0
; FloatMode: 240
; IeeeMode: 1
; LDSByteSize: 0 bytes/workgroup (compile time only)
; SGPRBlocks: 0
; VGPRBlocks: 0
; NumSGPRsForWavesPerEU: 6
; NumVGPRsForWavesPerEU: 1
; AccumOffset: 4
; Occupancy: 8
; WaveLimiterHint : 0
; COMPUTE_PGM_RSRC2:SCRATCH_EN: 0
; COMPUTE_PGM_RSRC2:USER_SGPR: 2
; COMPUTE_PGM_RSRC2:TRAP_HANDLER: 0
; COMPUTE_PGM_RSRC2:TGID_X_EN: 1
; COMPUTE_PGM_RSRC2:TGID_Y_EN: 0
; COMPUTE_PGM_RSRC2:TGID_Z_EN: 0
; COMPUTE_PGM_RSRC2:TIDIG_COMP_CNT: 0
; COMPUTE_PGM_RSRC3_GFX90A:ACCUM_OFFSET: 0
; COMPUTE_PGM_RSRC3_GFX90A:TG_SPLIT: 0
	.section	.text._ZN7rocprim17ROCPRIM_400000_NS6detail17trampoline_kernelINS0_14default_configENS1_27scan_by_key_config_selectorIiiEEZZNS1_16scan_by_key_implILNS1_25lookback_scan_determinismE0ELb1ES3_N6thrust23THRUST_200600_302600_NS6detail15normal_iteratorINS9_10device_ptrIiEEEESE_SE_iNS9_10multipliesIiEENS9_8equal_toIiEEiEE10hipError_tPvRmT2_T3_T4_T5_mT6_T7_P12ihipStream_tbENKUlT_T0_E_clISt17integral_constantIbLb0EESZ_EEDaSU_SV_EUlSU_E_NS1_11comp_targetILNS1_3genE10ELNS1_11target_archE1200ELNS1_3gpuE4ELNS1_3repE0EEENS1_30default_config_static_selectorELNS0_4arch9wavefront6targetE1EEEvT1_,"axG",@progbits,_ZN7rocprim17ROCPRIM_400000_NS6detail17trampoline_kernelINS0_14default_configENS1_27scan_by_key_config_selectorIiiEEZZNS1_16scan_by_key_implILNS1_25lookback_scan_determinismE0ELb1ES3_N6thrust23THRUST_200600_302600_NS6detail15normal_iteratorINS9_10device_ptrIiEEEESE_SE_iNS9_10multipliesIiEENS9_8equal_toIiEEiEE10hipError_tPvRmT2_T3_T4_T5_mT6_T7_P12ihipStream_tbENKUlT_T0_E_clISt17integral_constantIbLb0EESZ_EEDaSU_SV_EUlSU_E_NS1_11comp_targetILNS1_3genE10ELNS1_11target_archE1200ELNS1_3gpuE4ELNS1_3repE0EEENS1_30default_config_static_selectorELNS0_4arch9wavefront6targetE1EEEvT1_,comdat
	.protected	_ZN7rocprim17ROCPRIM_400000_NS6detail17trampoline_kernelINS0_14default_configENS1_27scan_by_key_config_selectorIiiEEZZNS1_16scan_by_key_implILNS1_25lookback_scan_determinismE0ELb1ES3_N6thrust23THRUST_200600_302600_NS6detail15normal_iteratorINS9_10device_ptrIiEEEESE_SE_iNS9_10multipliesIiEENS9_8equal_toIiEEiEE10hipError_tPvRmT2_T3_T4_T5_mT6_T7_P12ihipStream_tbENKUlT_T0_E_clISt17integral_constantIbLb0EESZ_EEDaSU_SV_EUlSU_E_NS1_11comp_targetILNS1_3genE10ELNS1_11target_archE1200ELNS1_3gpuE4ELNS1_3repE0EEENS1_30default_config_static_selectorELNS0_4arch9wavefront6targetE1EEEvT1_ ; -- Begin function _ZN7rocprim17ROCPRIM_400000_NS6detail17trampoline_kernelINS0_14default_configENS1_27scan_by_key_config_selectorIiiEEZZNS1_16scan_by_key_implILNS1_25lookback_scan_determinismE0ELb1ES3_N6thrust23THRUST_200600_302600_NS6detail15normal_iteratorINS9_10device_ptrIiEEEESE_SE_iNS9_10multipliesIiEENS9_8equal_toIiEEiEE10hipError_tPvRmT2_T3_T4_T5_mT6_T7_P12ihipStream_tbENKUlT_T0_E_clISt17integral_constantIbLb0EESZ_EEDaSU_SV_EUlSU_E_NS1_11comp_targetILNS1_3genE10ELNS1_11target_archE1200ELNS1_3gpuE4ELNS1_3repE0EEENS1_30default_config_static_selectorELNS0_4arch9wavefront6targetE1EEEvT1_
	.globl	_ZN7rocprim17ROCPRIM_400000_NS6detail17trampoline_kernelINS0_14default_configENS1_27scan_by_key_config_selectorIiiEEZZNS1_16scan_by_key_implILNS1_25lookback_scan_determinismE0ELb1ES3_N6thrust23THRUST_200600_302600_NS6detail15normal_iteratorINS9_10device_ptrIiEEEESE_SE_iNS9_10multipliesIiEENS9_8equal_toIiEEiEE10hipError_tPvRmT2_T3_T4_T5_mT6_T7_P12ihipStream_tbENKUlT_T0_E_clISt17integral_constantIbLb0EESZ_EEDaSU_SV_EUlSU_E_NS1_11comp_targetILNS1_3genE10ELNS1_11target_archE1200ELNS1_3gpuE4ELNS1_3repE0EEENS1_30default_config_static_selectorELNS0_4arch9wavefront6targetE1EEEvT1_
	.p2align	8
	.type	_ZN7rocprim17ROCPRIM_400000_NS6detail17trampoline_kernelINS0_14default_configENS1_27scan_by_key_config_selectorIiiEEZZNS1_16scan_by_key_implILNS1_25lookback_scan_determinismE0ELb1ES3_N6thrust23THRUST_200600_302600_NS6detail15normal_iteratorINS9_10device_ptrIiEEEESE_SE_iNS9_10multipliesIiEENS9_8equal_toIiEEiEE10hipError_tPvRmT2_T3_T4_T5_mT6_T7_P12ihipStream_tbENKUlT_T0_E_clISt17integral_constantIbLb0EESZ_EEDaSU_SV_EUlSU_E_NS1_11comp_targetILNS1_3genE10ELNS1_11target_archE1200ELNS1_3gpuE4ELNS1_3repE0EEENS1_30default_config_static_selectorELNS0_4arch9wavefront6targetE1EEEvT1_,@function
_ZN7rocprim17ROCPRIM_400000_NS6detail17trampoline_kernelINS0_14default_configENS1_27scan_by_key_config_selectorIiiEEZZNS1_16scan_by_key_implILNS1_25lookback_scan_determinismE0ELb1ES3_N6thrust23THRUST_200600_302600_NS6detail15normal_iteratorINS9_10device_ptrIiEEEESE_SE_iNS9_10multipliesIiEENS9_8equal_toIiEEiEE10hipError_tPvRmT2_T3_T4_T5_mT6_T7_P12ihipStream_tbENKUlT_T0_E_clISt17integral_constantIbLb0EESZ_EEDaSU_SV_EUlSU_E_NS1_11comp_targetILNS1_3genE10ELNS1_11target_archE1200ELNS1_3gpuE4ELNS1_3repE0EEENS1_30default_config_static_selectorELNS0_4arch9wavefront6targetE1EEEvT1_: ; @_ZN7rocprim17ROCPRIM_400000_NS6detail17trampoline_kernelINS0_14default_configENS1_27scan_by_key_config_selectorIiiEEZZNS1_16scan_by_key_implILNS1_25lookback_scan_determinismE0ELb1ES3_N6thrust23THRUST_200600_302600_NS6detail15normal_iteratorINS9_10device_ptrIiEEEESE_SE_iNS9_10multipliesIiEENS9_8equal_toIiEEiEE10hipError_tPvRmT2_T3_T4_T5_mT6_T7_P12ihipStream_tbENKUlT_T0_E_clISt17integral_constantIbLb0EESZ_EEDaSU_SV_EUlSU_E_NS1_11comp_targetILNS1_3genE10ELNS1_11target_archE1200ELNS1_3gpuE4ELNS1_3repE0EEENS1_30default_config_static_selectorELNS0_4arch9wavefront6targetE1EEEvT1_
; %bb.0:
	.section	.rodata,"a",@progbits
	.p2align	6, 0x0
	.amdhsa_kernel _ZN7rocprim17ROCPRIM_400000_NS6detail17trampoline_kernelINS0_14default_configENS1_27scan_by_key_config_selectorIiiEEZZNS1_16scan_by_key_implILNS1_25lookback_scan_determinismE0ELb1ES3_N6thrust23THRUST_200600_302600_NS6detail15normal_iteratorINS9_10device_ptrIiEEEESE_SE_iNS9_10multipliesIiEENS9_8equal_toIiEEiEE10hipError_tPvRmT2_T3_T4_T5_mT6_T7_P12ihipStream_tbENKUlT_T0_E_clISt17integral_constantIbLb0EESZ_EEDaSU_SV_EUlSU_E_NS1_11comp_targetILNS1_3genE10ELNS1_11target_archE1200ELNS1_3gpuE4ELNS1_3repE0EEENS1_30default_config_static_selectorELNS0_4arch9wavefront6targetE1EEEvT1_
		.amdhsa_group_segment_fixed_size 0
		.amdhsa_private_segment_fixed_size 0
		.amdhsa_kernarg_size 112
		.amdhsa_user_sgpr_count 2
		.amdhsa_user_sgpr_dispatch_ptr 0
		.amdhsa_user_sgpr_queue_ptr 0
		.amdhsa_user_sgpr_kernarg_segment_ptr 1
		.amdhsa_user_sgpr_dispatch_id 0
		.amdhsa_user_sgpr_kernarg_preload_length 0
		.amdhsa_user_sgpr_kernarg_preload_offset 0
		.amdhsa_user_sgpr_private_segment_size 0
		.amdhsa_uses_dynamic_stack 0
		.amdhsa_enable_private_segment 0
		.amdhsa_system_sgpr_workgroup_id_x 1
		.amdhsa_system_sgpr_workgroup_id_y 0
		.amdhsa_system_sgpr_workgroup_id_z 0
		.amdhsa_system_sgpr_workgroup_info 0
		.amdhsa_system_vgpr_workitem_id 0
		.amdhsa_next_free_vgpr 1
		.amdhsa_next_free_sgpr 0
		.amdhsa_accum_offset 4
		.amdhsa_reserve_vcc 0
		.amdhsa_float_round_mode_32 0
		.amdhsa_float_round_mode_16_64 0
		.amdhsa_float_denorm_mode_32 3
		.amdhsa_float_denorm_mode_16_64 3
		.amdhsa_dx10_clamp 1
		.amdhsa_ieee_mode 1
		.amdhsa_fp16_overflow 0
		.amdhsa_tg_split 0
		.amdhsa_exception_fp_ieee_invalid_op 0
		.amdhsa_exception_fp_denorm_src 0
		.amdhsa_exception_fp_ieee_div_zero 0
		.amdhsa_exception_fp_ieee_overflow 0
		.amdhsa_exception_fp_ieee_underflow 0
		.amdhsa_exception_fp_ieee_inexact 0
		.amdhsa_exception_int_div_zero 0
	.end_amdhsa_kernel
	.section	.text._ZN7rocprim17ROCPRIM_400000_NS6detail17trampoline_kernelINS0_14default_configENS1_27scan_by_key_config_selectorIiiEEZZNS1_16scan_by_key_implILNS1_25lookback_scan_determinismE0ELb1ES3_N6thrust23THRUST_200600_302600_NS6detail15normal_iteratorINS9_10device_ptrIiEEEESE_SE_iNS9_10multipliesIiEENS9_8equal_toIiEEiEE10hipError_tPvRmT2_T3_T4_T5_mT6_T7_P12ihipStream_tbENKUlT_T0_E_clISt17integral_constantIbLb0EESZ_EEDaSU_SV_EUlSU_E_NS1_11comp_targetILNS1_3genE10ELNS1_11target_archE1200ELNS1_3gpuE4ELNS1_3repE0EEENS1_30default_config_static_selectorELNS0_4arch9wavefront6targetE1EEEvT1_,"axG",@progbits,_ZN7rocprim17ROCPRIM_400000_NS6detail17trampoline_kernelINS0_14default_configENS1_27scan_by_key_config_selectorIiiEEZZNS1_16scan_by_key_implILNS1_25lookback_scan_determinismE0ELb1ES3_N6thrust23THRUST_200600_302600_NS6detail15normal_iteratorINS9_10device_ptrIiEEEESE_SE_iNS9_10multipliesIiEENS9_8equal_toIiEEiEE10hipError_tPvRmT2_T3_T4_T5_mT6_T7_P12ihipStream_tbENKUlT_T0_E_clISt17integral_constantIbLb0EESZ_EEDaSU_SV_EUlSU_E_NS1_11comp_targetILNS1_3genE10ELNS1_11target_archE1200ELNS1_3gpuE4ELNS1_3repE0EEENS1_30default_config_static_selectorELNS0_4arch9wavefront6targetE1EEEvT1_,comdat
.Lfunc_end503:
	.size	_ZN7rocprim17ROCPRIM_400000_NS6detail17trampoline_kernelINS0_14default_configENS1_27scan_by_key_config_selectorIiiEEZZNS1_16scan_by_key_implILNS1_25lookback_scan_determinismE0ELb1ES3_N6thrust23THRUST_200600_302600_NS6detail15normal_iteratorINS9_10device_ptrIiEEEESE_SE_iNS9_10multipliesIiEENS9_8equal_toIiEEiEE10hipError_tPvRmT2_T3_T4_T5_mT6_T7_P12ihipStream_tbENKUlT_T0_E_clISt17integral_constantIbLb0EESZ_EEDaSU_SV_EUlSU_E_NS1_11comp_targetILNS1_3genE10ELNS1_11target_archE1200ELNS1_3gpuE4ELNS1_3repE0EEENS1_30default_config_static_selectorELNS0_4arch9wavefront6targetE1EEEvT1_, .Lfunc_end503-_ZN7rocprim17ROCPRIM_400000_NS6detail17trampoline_kernelINS0_14default_configENS1_27scan_by_key_config_selectorIiiEEZZNS1_16scan_by_key_implILNS1_25lookback_scan_determinismE0ELb1ES3_N6thrust23THRUST_200600_302600_NS6detail15normal_iteratorINS9_10device_ptrIiEEEESE_SE_iNS9_10multipliesIiEENS9_8equal_toIiEEiEE10hipError_tPvRmT2_T3_T4_T5_mT6_T7_P12ihipStream_tbENKUlT_T0_E_clISt17integral_constantIbLb0EESZ_EEDaSU_SV_EUlSU_E_NS1_11comp_targetILNS1_3genE10ELNS1_11target_archE1200ELNS1_3gpuE4ELNS1_3repE0EEENS1_30default_config_static_selectorELNS0_4arch9wavefront6targetE1EEEvT1_
                                        ; -- End function
	.section	.AMDGPU.csdata,"",@progbits
; Kernel info:
; codeLenInByte = 0
; NumSgprs: 6
; NumVgprs: 0
; NumAgprs: 0
; TotalNumVgprs: 0
; ScratchSize: 0
; MemoryBound: 0
; FloatMode: 240
; IeeeMode: 1
; LDSByteSize: 0 bytes/workgroup (compile time only)
; SGPRBlocks: 0
; VGPRBlocks: 0
; NumSGPRsForWavesPerEU: 6
; NumVGPRsForWavesPerEU: 1
; AccumOffset: 4
; Occupancy: 8
; WaveLimiterHint : 0
; COMPUTE_PGM_RSRC2:SCRATCH_EN: 0
; COMPUTE_PGM_RSRC2:USER_SGPR: 2
; COMPUTE_PGM_RSRC2:TRAP_HANDLER: 0
; COMPUTE_PGM_RSRC2:TGID_X_EN: 1
; COMPUTE_PGM_RSRC2:TGID_Y_EN: 0
; COMPUTE_PGM_RSRC2:TGID_Z_EN: 0
; COMPUTE_PGM_RSRC2:TIDIG_COMP_CNT: 0
; COMPUTE_PGM_RSRC3_GFX90A:ACCUM_OFFSET: 0
; COMPUTE_PGM_RSRC3_GFX90A:TG_SPLIT: 0
	.section	.text._ZN7rocprim17ROCPRIM_400000_NS6detail17trampoline_kernelINS0_14default_configENS1_27scan_by_key_config_selectorIiiEEZZNS1_16scan_by_key_implILNS1_25lookback_scan_determinismE0ELb1ES3_N6thrust23THRUST_200600_302600_NS6detail15normal_iteratorINS9_10device_ptrIiEEEESE_SE_iNS9_10multipliesIiEENS9_8equal_toIiEEiEE10hipError_tPvRmT2_T3_T4_T5_mT6_T7_P12ihipStream_tbENKUlT_T0_E_clISt17integral_constantIbLb0EESZ_EEDaSU_SV_EUlSU_E_NS1_11comp_targetILNS1_3genE9ELNS1_11target_archE1100ELNS1_3gpuE3ELNS1_3repE0EEENS1_30default_config_static_selectorELNS0_4arch9wavefront6targetE1EEEvT1_,"axG",@progbits,_ZN7rocprim17ROCPRIM_400000_NS6detail17trampoline_kernelINS0_14default_configENS1_27scan_by_key_config_selectorIiiEEZZNS1_16scan_by_key_implILNS1_25lookback_scan_determinismE0ELb1ES3_N6thrust23THRUST_200600_302600_NS6detail15normal_iteratorINS9_10device_ptrIiEEEESE_SE_iNS9_10multipliesIiEENS9_8equal_toIiEEiEE10hipError_tPvRmT2_T3_T4_T5_mT6_T7_P12ihipStream_tbENKUlT_T0_E_clISt17integral_constantIbLb0EESZ_EEDaSU_SV_EUlSU_E_NS1_11comp_targetILNS1_3genE9ELNS1_11target_archE1100ELNS1_3gpuE3ELNS1_3repE0EEENS1_30default_config_static_selectorELNS0_4arch9wavefront6targetE1EEEvT1_,comdat
	.protected	_ZN7rocprim17ROCPRIM_400000_NS6detail17trampoline_kernelINS0_14default_configENS1_27scan_by_key_config_selectorIiiEEZZNS1_16scan_by_key_implILNS1_25lookback_scan_determinismE0ELb1ES3_N6thrust23THRUST_200600_302600_NS6detail15normal_iteratorINS9_10device_ptrIiEEEESE_SE_iNS9_10multipliesIiEENS9_8equal_toIiEEiEE10hipError_tPvRmT2_T3_T4_T5_mT6_T7_P12ihipStream_tbENKUlT_T0_E_clISt17integral_constantIbLb0EESZ_EEDaSU_SV_EUlSU_E_NS1_11comp_targetILNS1_3genE9ELNS1_11target_archE1100ELNS1_3gpuE3ELNS1_3repE0EEENS1_30default_config_static_selectorELNS0_4arch9wavefront6targetE1EEEvT1_ ; -- Begin function _ZN7rocprim17ROCPRIM_400000_NS6detail17trampoline_kernelINS0_14default_configENS1_27scan_by_key_config_selectorIiiEEZZNS1_16scan_by_key_implILNS1_25lookback_scan_determinismE0ELb1ES3_N6thrust23THRUST_200600_302600_NS6detail15normal_iteratorINS9_10device_ptrIiEEEESE_SE_iNS9_10multipliesIiEENS9_8equal_toIiEEiEE10hipError_tPvRmT2_T3_T4_T5_mT6_T7_P12ihipStream_tbENKUlT_T0_E_clISt17integral_constantIbLb0EESZ_EEDaSU_SV_EUlSU_E_NS1_11comp_targetILNS1_3genE9ELNS1_11target_archE1100ELNS1_3gpuE3ELNS1_3repE0EEENS1_30default_config_static_selectorELNS0_4arch9wavefront6targetE1EEEvT1_
	.globl	_ZN7rocprim17ROCPRIM_400000_NS6detail17trampoline_kernelINS0_14default_configENS1_27scan_by_key_config_selectorIiiEEZZNS1_16scan_by_key_implILNS1_25lookback_scan_determinismE0ELb1ES3_N6thrust23THRUST_200600_302600_NS6detail15normal_iteratorINS9_10device_ptrIiEEEESE_SE_iNS9_10multipliesIiEENS9_8equal_toIiEEiEE10hipError_tPvRmT2_T3_T4_T5_mT6_T7_P12ihipStream_tbENKUlT_T0_E_clISt17integral_constantIbLb0EESZ_EEDaSU_SV_EUlSU_E_NS1_11comp_targetILNS1_3genE9ELNS1_11target_archE1100ELNS1_3gpuE3ELNS1_3repE0EEENS1_30default_config_static_selectorELNS0_4arch9wavefront6targetE1EEEvT1_
	.p2align	8
	.type	_ZN7rocprim17ROCPRIM_400000_NS6detail17trampoline_kernelINS0_14default_configENS1_27scan_by_key_config_selectorIiiEEZZNS1_16scan_by_key_implILNS1_25lookback_scan_determinismE0ELb1ES3_N6thrust23THRUST_200600_302600_NS6detail15normal_iteratorINS9_10device_ptrIiEEEESE_SE_iNS9_10multipliesIiEENS9_8equal_toIiEEiEE10hipError_tPvRmT2_T3_T4_T5_mT6_T7_P12ihipStream_tbENKUlT_T0_E_clISt17integral_constantIbLb0EESZ_EEDaSU_SV_EUlSU_E_NS1_11comp_targetILNS1_3genE9ELNS1_11target_archE1100ELNS1_3gpuE3ELNS1_3repE0EEENS1_30default_config_static_selectorELNS0_4arch9wavefront6targetE1EEEvT1_,@function
_ZN7rocprim17ROCPRIM_400000_NS6detail17trampoline_kernelINS0_14default_configENS1_27scan_by_key_config_selectorIiiEEZZNS1_16scan_by_key_implILNS1_25lookback_scan_determinismE0ELb1ES3_N6thrust23THRUST_200600_302600_NS6detail15normal_iteratorINS9_10device_ptrIiEEEESE_SE_iNS9_10multipliesIiEENS9_8equal_toIiEEiEE10hipError_tPvRmT2_T3_T4_T5_mT6_T7_P12ihipStream_tbENKUlT_T0_E_clISt17integral_constantIbLb0EESZ_EEDaSU_SV_EUlSU_E_NS1_11comp_targetILNS1_3genE9ELNS1_11target_archE1100ELNS1_3gpuE3ELNS1_3repE0EEENS1_30default_config_static_selectorELNS0_4arch9wavefront6targetE1EEEvT1_: ; @_ZN7rocprim17ROCPRIM_400000_NS6detail17trampoline_kernelINS0_14default_configENS1_27scan_by_key_config_selectorIiiEEZZNS1_16scan_by_key_implILNS1_25lookback_scan_determinismE0ELb1ES3_N6thrust23THRUST_200600_302600_NS6detail15normal_iteratorINS9_10device_ptrIiEEEESE_SE_iNS9_10multipliesIiEENS9_8equal_toIiEEiEE10hipError_tPvRmT2_T3_T4_T5_mT6_T7_P12ihipStream_tbENKUlT_T0_E_clISt17integral_constantIbLb0EESZ_EEDaSU_SV_EUlSU_E_NS1_11comp_targetILNS1_3genE9ELNS1_11target_archE1100ELNS1_3gpuE3ELNS1_3repE0EEENS1_30default_config_static_selectorELNS0_4arch9wavefront6targetE1EEEvT1_
; %bb.0:
	.section	.rodata,"a",@progbits
	.p2align	6, 0x0
	.amdhsa_kernel _ZN7rocprim17ROCPRIM_400000_NS6detail17trampoline_kernelINS0_14default_configENS1_27scan_by_key_config_selectorIiiEEZZNS1_16scan_by_key_implILNS1_25lookback_scan_determinismE0ELb1ES3_N6thrust23THRUST_200600_302600_NS6detail15normal_iteratorINS9_10device_ptrIiEEEESE_SE_iNS9_10multipliesIiEENS9_8equal_toIiEEiEE10hipError_tPvRmT2_T3_T4_T5_mT6_T7_P12ihipStream_tbENKUlT_T0_E_clISt17integral_constantIbLb0EESZ_EEDaSU_SV_EUlSU_E_NS1_11comp_targetILNS1_3genE9ELNS1_11target_archE1100ELNS1_3gpuE3ELNS1_3repE0EEENS1_30default_config_static_selectorELNS0_4arch9wavefront6targetE1EEEvT1_
		.amdhsa_group_segment_fixed_size 0
		.amdhsa_private_segment_fixed_size 0
		.amdhsa_kernarg_size 112
		.amdhsa_user_sgpr_count 2
		.amdhsa_user_sgpr_dispatch_ptr 0
		.amdhsa_user_sgpr_queue_ptr 0
		.amdhsa_user_sgpr_kernarg_segment_ptr 1
		.amdhsa_user_sgpr_dispatch_id 0
		.amdhsa_user_sgpr_kernarg_preload_length 0
		.amdhsa_user_sgpr_kernarg_preload_offset 0
		.amdhsa_user_sgpr_private_segment_size 0
		.amdhsa_uses_dynamic_stack 0
		.amdhsa_enable_private_segment 0
		.amdhsa_system_sgpr_workgroup_id_x 1
		.amdhsa_system_sgpr_workgroup_id_y 0
		.amdhsa_system_sgpr_workgroup_id_z 0
		.amdhsa_system_sgpr_workgroup_info 0
		.amdhsa_system_vgpr_workitem_id 0
		.amdhsa_next_free_vgpr 1
		.amdhsa_next_free_sgpr 0
		.amdhsa_accum_offset 4
		.amdhsa_reserve_vcc 0
		.amdhsa_float_round_mode_32 0
		.amdhsa_float_round_mode_16_64 0
		.amdhsa_float_denorm_mode_32 3
		.amdhsa_float_denorm_mode_16_64 3
		.amdhsa_dx10_clamp 1
		.amdhsa_ieee_mode 1
		.amdhsa_fp16_overflow 0
		.amdhsa_tg_split 0
		.amdhsa_exception_fp_ieee_invalid_op 0
		.amdhsa_exception_fp_denorm_src 0
		.amdhsa_exception_fp_ieee_div_zero 0
		.amdhsa_exception_fp_ieee_overflow 0
		.amdhsa_exception_fp_ieee_underflow 0
		.amdhsa_exception_fp_ieee_inexact 0
		.amdhsa_exception_int_div_zero 0
	.end_amdhsa_kernel
	.section	.text._ZN7rocprim17ROCPRIM_400000_NS6detail17trampoline_kernelINS0_14default_configENS1_27scan_by_key_config_selectorIiiEEZZNS1_16scan_by_key_implILNS1_25lookback_scan_determinismE0ELb1ES3_N6thrust23THRUST_200600_302600_NS6detail15normal_iteratorINS9_10device_ptrIiEEEESE_SE_iNS9_10multipliesIiEENS9_8equal_toIiEEiEE10hipError_tPvRmT2_T3_T4_T5_mT6_T7_P12ihipStream_tbENKUlT_T0_E_clISt17integral_constantIbLb0EESZ_EEDaSU_SV_EUlSU_E_NS1_11comp_targetILNS1_3genE9ELNS1_11target_archE1100ELNS1_3gpuE3ELNS1_3repE0EEENS1_30default_config_static_selectorELNS0_4arch9wavefront6targetE1EEEvT1_,"axG",@progbits,_ZN7rocprim17ROCPRIM_400000_NS6detail17trampoline_kernelINS0_14default_configENS1_27scan_by_key_config_selectorIiiEEZZNS1_16scan_by_key_implILNS1_25lookback_scan_determinismE0ELb1ES3_N6thrust23THRUST_200600_302600_NS6detail15normal_iteratorINS9_10device_ptrIiEEEESE_SE_iNS9_10multipliesIiEENS9_8equal_toIiEEiEE10hipError_tPvRmT2_T3_T4_T5_mT6_T7_P12ihipStream_tbENKUlT_T0_E_clISt17integral_constantIbLb0EESZ_EEDaSU_SV_EUlSU_E_NS1_11comp_targetILNS1_3genE9ELNS1_11target_archE1100ELNS1_3gpuE3ELNS1_3repE0EEENS1_30default_config_static_selectorELNS0_4arch9wavefront6targetE1EEEvT1_,comdat
.Lfunc_end504:
	.size	_ZN7rocprim17ROCPRIM_400000_NS6detail17trampoline_kernelINS0_14default_configENS1_27scan_by_key_config_selectorIiiEEZZNS1_16scan_by_key_implILNS1_25lookback_scan_determinismE0ELb1ES3_N6thrust23THRUST_200600_302600_NS6detail15normal_iteratorINS9_10device_ptrIiEEEESE_SE_iNS9_10multipliesIiEENS9_8equal_toIiEEiEE10hipError_tPvRmT2_T3_T4_T5_mT6_T7_P12ihipStream_tbENKUlT_T0_E_clISt17integral_constantIbLb0EESZ_EEDaSU_SV_EUlSU_E_NS1_11comp_targetILNS1_3genE9ELNS1_11target_archE1100ELNS1_3gpuE3ELNS1_3repE0EEENS1_30default_config_static_selectorELNS0_4arch9wavefront6targetE1EEEvT1_, .Lfunc_end504-_ZN7rocprim17ROCPRIM_400000_NS6detail17trampoline_kernelINS0_14default_configENS1_27scan_by_key_config_selectorIiiEEZZNS1_16scan_by_key_implILNS1_25lookback_scan_determinismE0ELb1ES3_N6thrust23THRUST_200600_302600_NS6detail15normal_iteratorINS9_10device_ptrIiEEEESE_SE_iNS9_10multipliesIiEENS9_8equal_toIiEEiEE10hipError_tPvRmT2_T3_T4_T5_mT6_T7_P12ihipStream_tbENKUlT_T0_E_clISt17integral_constantIbLb0EESZ_EEDaSU_SV_EUlSU_E_NS1_11comp_targetILNS1_3genE9ELNS1_11target_archE1100ELNS1_3gpuE3ELNS1_3repE0EEENS1_30default_config_static_selectorELNS0_4arch9wavefront6targetE1EEEvT1_
                                        ; -- End function
	.section	.AMDGPU.csdata,"",@progbits
; Kernel info:
; codeLenInByte = 0
; NumSgprs: 6
; NumVgprs: 0
; NumAgprs: 0
; TotalNumVgprs: 0
; ScratchSize: 0
; MemoryBound: 0
; FloatMode: 240
; IeeeMode: 1
; LDSByteSize: 0 bytes/workgroup (compile time only)
; SGPRBlocks: 0
; VGPRBlocks: 0
; NumSGPRsForWavesPerEU: 6
; NumVGPRsForWavesPerEU: 1
; AccumOffset: 4
; Occupancy: 8
; WaveLimiterHint : 0
; COMPUTE_PGM_RSRC2:SCRATCH_EN: 0
; COMPUTE_PGM_RSRC2:USER_SGPR: 2
; COMPUTE_PGM_RSRC2:TRAP_HANDLER: 0
; COMPUTE_PGM_RSRC2:TGID_X_EN: 1
; COMPUTE_PGM_RSRC2:TGID_Y_EN: 0
; COMPUTE_PGM_RSRC2:TGID_Z_EN: 0
; COMPUTE_PGM_RSRC2:TIDIG_COMP_CNT: 0
; COMPUTE_PGM_RSRC3_GFX90A:ACCUM_OFFSET: 0
; COMPUTE_PGM_RSRC3_GFX90A:TG_SPLIT: 0
	.section	.text._ZN7rocprim17ROCPRIM_400000_NS6detail17trampoline_kernelINS0_14default_configENS1_27scan_by_key_config_selectorIiiEEZZNS1_16scan_by_key_implILNS1_25lookback_scan_determinismE0ELb1ES3_N6thrust23THRUST_200600_302600_NS6detail15normal_iteratorINS9_10device_ptrIiEEEESE_SE_iNS9_10multipliesIiEENS9_8equal_toIiEEiEE10hipError_tPvRmT2_T3_T4_T5_mT6_T7_P12ihipStream_tbENKUlT_T0_E_clISt17integral_constantIbLb0EESZ_EEDaSU_SV_EUlSU_E_NS1_11comp_targetILNS1_3genE8ELNS1_11target_archE1030ELNS1_3gpuE2ELNS1_3repE0EEENS1_30default_config_static_selectorELNS0_4arch9wavefront6targetE1EEEvT1_,"axG",@progbits,_ZN7rocprim17ROCPRIM_400000_NS6detail17trampoline_kernelINS0_14default_configENS1_27scan_by_key_config_selectorIiiEEZZNS1_16scan_by_key_implILNS1_25lookback_scan_determinismE0ELb1ES3_N6thrust23THRUST_200600_302600_NS6detail15normal_iteratorINS9_10device_ptrIiEEEESE_SE_iNS9_10multipliesIiEENS9_8equal_toIiEEiEE10hipError_tPvRmT2_T3_T4_T5_mT6_T7_P12ihipStream_tbENKUlT_T0_E_clISt17integral_constantIbLb0EESZ_EEDaSU_SV_EUlSU_E_NS1_11comp_targetILNS1_3genE8ELNS1_11target_archE1030ELNS1_3gpuE2ELNS1_3repE0EEENS1_30default_config_static_selectorELNS0_4arch9wavefront6targetE1EEEvT1_,comdat
	.protected	_ZN7rocprim17ROCPRIM_400000_NS6detail17trampoline_kernelINS0_14default_configENS1_27scan_by_key_config_selectorIiiEEZZNS1_16scan_by_key_implILNS1_25lookback_scan_determinismE0ELb1ES3_N6thrust23THRUST_200600_302600_NS6detail15normal_iteratorINS9_10device_ptrIiEEEESE_SE_iNS9_10multipliesIiEENS9_8equal_toIiEEiEE10hipError_tPvRmT2_T3_T4_T5_mT6_T7_P12ihipStream_tbENKUlT_T0_E_clISt17integral_constantIbLb0EESZ_EEDaSU_SV_EUlSU_E_NS1_11comp_targetILNS1_3genE8ELNS1_11target_archE1030ELNS1_3gpuE2ELNS1_3repE0EEENS1_30default_config_static_selectorELNS0_4arch9wavefront6targetE1EEEvT1_ ; -- Begin function _ZN7rocprim17ROCPRIM_400000_NS6detail17trampoline_kernelINS0_14default_configENS1_27scan_by_key_config_selectorIiiEEZZNS1_16scan_by_key_implILNS1_25lookback_scan_determinismE0ELb1ES3_N6thrust23THRUST_200600_302600_NS6detail15normal_iteratorINS9_10device_ptrIiEEEESE_SE_iNS9_10multipliesIiEENS9_8equal_toIiEEiEE10hipError_tPvRmT2_T3_T4_T5_mT6_T7_P12ihipStream_tbENKUlT_T0_E_clISt17integral_constantIbLb0EESZ_EEDaSU_SV_EUlSU_E_NS1_11comp_targetILNS1_3genE8ELNS1_11target_archE1030ELNS1_3gpuE2ELNS1_3repE0EEENS1_30default_config_static_selectorELNS0_4arch9wavefront6targetE1EEEvT1_
	.globl	_ZN7rocprim17ROCPRIM_400000_NS6detail17trampoline_kernelINS0_14default_configENS1_27scan_by_key_config_selectorIiiEEZZNS1_16scan_by_key_implILNS1_25lookback_scan_determinismE0ELb1ES3_N6thrust23THRUST_200600_302600_NS6detail15normal_iteratorINS9_10device_ptrIiEEEESE_SE_iNS9_10multipliesIiEENS9_8equal_toIiEEiEE10hipError_tPvRmT2_T3_T4_T5_mT6_T7_P12ihipStream_tbENKUlT_T0_E_clISt17integral_constantIbLb0EESZ_EEDaSU_SV_EUlSU_E_NS1_11comp_targetILNS1_3genE8ELNS1_11target_archE1030ELNS1_3gpuE2ELNS1_3repE0EEENS1_30default_config_static_selectorELNS0_4arch9wavefront6targetE1EEEvT1_
	.p2align	8
	.type	_ZN7rocprim17ROCPRIM_400000_NS6detail17trampoline_kernelINS0_14default_configENS1_27scan_by_key_config_selectorIiiEEZZNS1_16scan_by_key_implILNS1_25lookback_scan_determinismE0ELb1ES3_N6thrust23THRUST_200600_302600_NS6detail15normal_iteratorINS9_10device_ptrIiEEEESE_SE_iNS9_10multipliesIiEENS9_8equal_toIiEEiEE10hipError_tPvRmT2_T3_T4_T5_mT6_T7_P12ihipStream_tbENKUlT_T0_E_clISt17integral_constantIbLb0EESZ_EEDaSU_SV_EUlSU_E_NS1_11comp_targetILNS1_3genE8ELNS1_11target_archE1030ELNS1_3gpuE2ELNS1_3repE0EEENS1_30default_config_static_selectorELNS0_4arch9wavefront6targetE1EEEvT1_,@function
_ZN7rocprim17ROCPRIM_400000_NS6detail17trampoline_kernelINS0_14default_configENS1_27scan_by_key_config_selectorIiiEEZZNS1_16scan_by_key_implILNS1_25lookback_scan_determinismE0ELb1ES3_N6thrust23THRUST_200600_302600_NS6detail15normal_iteratorINS9_10device_ptrIiEEEESE_SE_iNS9_10multipliesIiEENS9_8equal_toIiEEiEE10hipError_tPvRmT2_T3_T4_T5_mT6_T7_P12ihipStream_tbENKUlT_T0_E_clISt17integral_constantIbLb0EESZ_EEDaSU_SV_EUlSU_E_NS1_11comp_targetILNS1_3genE8ELNS1_11target_archE1030ELNS1_3gpuE2ELNS1_3repE0EEENS1_30default_config_static_selectorELNS0_4arch9wavefront6targetE1EEEvT1_: ; @_ZN7rocprim17ROCPRIM_400000_NS6detail17trampoline_kernelINS0_14default_configENS1_27scan_by_key_config_selectorIiiEEZZNS1_16scan_by_key_implILNS1_25lookback_scan_determinismE0ELb1ES3_N6thrust23THRUST_200600_302600_NS6detail15normal_iteratorINS9_10device_ptrIiEEEESE_SE_iNS9_10multipliesIiEENS9_8equal_toIiEEiEE10hipError_tPvRmT2_T3_T4_T5_mT6_T7_P12ihipStream_tbENKUlT_T0_E_clISt17integral_constantIbLb0EESZ_EEDaSU_SV_EUlSU_E_NS1_11comp_targetILNS1_3genE8ELNS1_11target_archE1030ELNS1_3gpuE2ELNS1_3repE0EEENS1_30default_config_static_selectorELNS0_4arch9wavefront6targetE1EEEvT1_
; %bb.0:
	.section	.rodata,"a",@progbits
	.p2align	6, 0x0
	.amdhsa_kernel _ZN7rocprim17ROCPRIM_400000_NS6detail17trampoline_kernelINS0_14default_configENS1_27scan_by_key_config_selectorIiiEEZZNS1_16scan_by_key_implILNS1_25lookback_scan_determinismE0ELb1ES3_N6thrust23THRUST_200600_302600_NS6detail15normal_iteratorINS9_10device_ptrIiEEEESE_SE_iNS9_10multipliesIiEENS9_8equal_toIiEEiEE10hipError_tPvRmT2_T3_T4_T5_mT6_T7_P12ihipStream_tbENKUlT_T0_E_clISt17integral_constantIbLb0EESZ_EEDaSU_SV_EUlSU_E_NS1_11comp_targetILNS1_3genE8ELNS1_11target_archE1030ELNS1_3gpuE2ELNS1_3repE0EEENS1_30default_config_static_selectorELNS0_4arch9wavefront6targetE1EEEvT1_
		.amdhsa_group_segment_fixed_size 0
		.amdhsa_private_segment_fixed_size 0
		.amdhsa_kernarg_size 112
		.amdhsa_user_sgpr_count 2
		.amdhsa_user_sgpr_dispatch_ptr 0
		.amdhsa_user_sgpr_queue_ptr 0
		.amdhsa_user_sgpr_kernarg_segment_ptr 1
		.amdhsa_user_sgpr_dispatch_id 0
		.amdhsa_user_sgpr_kernarg_preload_length 0
		.amdhsa_user_sgpr_kernarg_preload_offset 0
		.amdhsa_user_sgpr_private_segment_size 0
		.amdhsa_uses_dynamic_stack 0
		.amdhsa_enable_private_segment 0
		.amdhsa_system_sgpr_workgroup_id_x 1
		.amdhsa_system_sgpr_workgroup_id_y 0
		.amdhsa_system_sgpr_workgroup_id_z 0
		.amdhsa_system_sgpr_workgroup_info 0
		.amdhsa_system_vgpr_workitem_id 0
		.amdhsa_next_free_vgpr 1
		.amdhsa_next_free_sgpr 0
		.amdhsa_accum_offset 4
		.amdhsa_reserve_vcc 0
		.amdhsa_float_round_mode_32 0
		.amdhsa_float_round_mode_16_64 0
		.amdhsa_float_denorm_mode_32 3
		.amdhsa_float_denorm_mode_16_64 3
		.amdhsa_dx10_clamp 1
		.amdhsa_ieee_mode 1
		.amdhsa_fp16_overflow 0
		.amdhsa_tg_split 0
		.amdhsa_exception_fp_ieee_invalid_op 0
		.amdhsa_exception_fp_denorm_src 0
		.amdhsa_exception_fp_ieee_div_zero 0
		.amdhsa_exception_fp_ieee_overflow 0
		.amdhsa_exception_fp_ieee_underflow 0
		.amdhsa_exception_fp_ieee_inexact 0
		.amdhsa_exception_int_div_zero 0
	.end_amdhsa_kernel
	.section	.text._ZN7rocprim17ROCPRIM_400000_NS6detail17trampoline_kernelINS0_14default_configENS1_27scan_by_key_config_selectorIiiEEZZNS1_16scan_by_key_implILNS1_25lookback_scan_determinismE0ELb1ES3_N6thrust23THRUST_200600_302600_NS6detail15normal_iteratorINS9_10device_ptrIiEEEESE_SE_iNS9_10multipliesIiEENS9_8equal_toIiEEiEE10hipError_tPvRmT2_T3_T4_T5_mT6_T7_P12ihipStream_tbENKUlT_T0_E_clISt17integral_constantIbLb0EESZ_EEDaSU_SV_EUlSU_E_NS1_11comp_targetILNS1_3genE8ELNS1_11target_archE1030ELNS1_3gpuE2ELNS1_3repE0EEENS1_30default_config_static_selectorELNS0_4arch9wavefront6targetE1EEEvT1_,"axG",@progbits,_ZN7rocprim17ROCPRIM_400000_NS6detail17trampoline_kernelINS0_14default_configENS1_27scan_by_key_config_selectorIiiEEZZNS1_16scan_by_key_implILNS1_25lookback_scan_determinismE0ELb1ES3_N6thrust23THRUST_200600_302600_NS6detail15normal_iteratorINS9_10device_ptrIiEEEESE_SE_iNS9_10multipliesIiEENS9_8equal_toIiEEiEE10hipError_tPvRmT2_T3_T4_T5_mT6_T7_P12ihipStream_tbENKUlT_T0_E_clISt17integral_constantIbLb0EESZ_EEDaSU_SV_EUlSU_E_NS1_11comp_targetILNS1_3genE8ELNS1_11target_archE1030ELNS1_3gpuE2ELNS1_3repE0EEENS1_30default_config_static_selectorELNS0_4arch9wavefront6targetE1EEEvT1_,comdat
.Lfunc_end505:
	.size	_ZN7rocprim17ROCPRIM_400000_NS6detail17trampoline_kernelINS0_14default_configENS1_27scan_by_key_config_selectorIiiEEZZNS1_16scan_by_key_implILNS1_25lookback_scan_determinismE0ELb1ES3_N6thrust23THRUST_200600_302600_NS6detail15normal_iteratorINS9_10device_ptrIiEEEESE_SE_iNS9_10multipliesIiEENS9_8equal_toIiEEiEE10hipError_tPvRmT2_T3_T4_T5_mT6_T7_P12ihipStream_tbENKUlT_T0_E_clISt17integral_constantIbLb0EESZ_EEDaSU_SV_EUlSU_E_NS1_11comp_targetILNS1_3genE8ELNS1_11target_archE1030ELNS1_3gpuE2ELNS1_3repE0EEENS1_30default_config_static_selectorELNS0_4arch9wavefront6targetE1EEEvT1_, .Lfunc_end505-_ZN7rocprim17ROCPRIM_400000_NS6detail17trampoline_kernelINS0_14default_configENS1_27scan_by_key_config_selectorIiiEEZZNS1_16scan_by_key_implILNS1_25lookback_scan_determinismE0ELb1ES3_N6thrust23THRUST_200600_302600_NS6detail15normal_iteratorINS9_10device_ptrIiEEEESE_SE_iNS9_10multipliesIiEENS9_8equal_toIiEEiEE10hipError_tPvRmT2_T3_T4_T5_mT6_T7_P12ihipStream_tbENKUlT_T0_E_clISt17integral_constantIbLb0EESZ_EEDaSU_SV_EUlSU_E_NS1_11comp_targetILNS1_3genE8ELNS1_11target_archE1030ELNS1_3gpuE2ELNS1_3repE0EEENS1_30default_config_static_selectorELNS0_4arch9wavefront6targetE1EEEvT1_
                                        ; -- End function
	.section	.AMDGPU.csdata,"",@progbits
; Kernel info:
; codeLenInByte = 0
; NumSgprs: 6
; NumVgprs: 0
; NumAgprs: 0
; TotalNumVgprs: 0
; ScratchSize: 0
; MemoryBound: 0
; FloatMode: 240
; IeeeMode: 1
; LDSByteSize: 0 bytes/workgroup (compile time only)
; SGPRBlocks: 0
; VGPRBlocks: 0
; NumSGPRsForWavesPerEU: 6
; NumVGPRsForWavesPerEU: 1
; AccumOffset: 4
; Occupancy: 8
; WaveLimiterHint : 0
; COMPUTE_PGM_RSRC2:SCRATCH_EN: 0
; COMPUTE_PGM_RSRC2:USER_SGPR: 2
; COMPUTE_PGM_RSRC2:TRAP_HANDLER: 0
; COMPUTE_PGM_RSRC2:TGID_X_EN: 1
; COMPUTE_PGM_RSRC2:TGID_Y_EN: 0
; COMPUTE_PGM_RSRC2:TGID_Z_EN: 0
; COMPUTE_PGM_RSRC2:TIDIG_COMP_CNT: 0
; COMPUTE_PGM_RSRC3_GFX90A:ACCUM_OFFSET: 0
; COMPUTE_PGM_RSRC3_GFX90A:TG_SPLIT: 0
	.section	.text._ZN7rocprim17ROCPRIM_400000_NS6detail17trampoline_kernelINS0_14default_configENS1_27scan_by_key_config_selectorIiiEEZZNS1_16scan_by_key_implILNS1_25lookback_scan_determinismE0ELb1ES3_N6thrust23THRUST_200600_302600_NS6detail15normal_iteratorINS9_10device_ptrIiEEEESE_SE_iNS9_10multipliesIiEENS9_8equal_toIiEEiEE10hipError_tPvRmT2_T3_T4_T5_mT6_T7_P12ihipStream_tbENKUlT_T0_E_clISt17integral_constantIbLb1EESZ_EEDaSU_SV_EUlSU_E_NS1_11comp_targetILNS1_3genE0ELNS1_11target_archE4294967295ELNS1_3gpuE0ELNS1_3repE0EEENS1_30default_config_static_selectorELNS0_4arch9wavefront6targetE1EEEvT1_,"axG",@progbits,_ZN7rocprim17ROCPRIM_400000_NS6detail17trampoline_kernelINS0_14default_configENS1_27scan_by_key_config_selectorIiiEEZZNS1_16scan_by_key_implILNS1_25lookback_scan_determinismE0ELb1ES3_N6thrust23THRUST_200600_302600_NS6detail15normal_iteratorINS9_10device_ptrIiEEEESE_SE_iNS9_10multipliesIiEENS9_8equal_toIiEEiEE10hipError_tPvRmT2_T3_T4_T5_mT6_T7_P12ihipStream_tbENKUlT_T0_E_clISt17integral_constantIbLb1EESZ_EEDaSU_SV_EUlSU_E_NS1_11comp_targetILNS1_3genE0ELNS1_11target_archE4294967295ELNS1_3gpuE0ELNS1_3repE0EEENS1_30default_config_static_selectorELNS0_4arch9wavefront6targetE1EEEvT1_,comdat
	.protected	_ZN7rocprim17ROCPRIM_400000_NS6detail17trampoline_kernelINS0_14default_configENS1_27scan_by_key_config_selectorIiiEEZZNS1_16scan_by_key_implILNS1_25lookback_scan_determinismE0ELb1ES3_N6thrust23THRUST_200600_302600_NS6detail15normal_iteratorINS9_10device_ptrIiEEEESE_SE_iNS9_10multipliesIiEENS9_8equal_toIiEEiEE10hipError_tPvRmT2_T3_T4_T5_mT6_T7_P12ihipStream_tbENKUlT_T0_E_clISt17integral_constantIbLb1EESZ_EEDaSU_SV_EUlSU_E_NS1_11comp_targetILNS1_3genE0ELNS1_11target_archE4294967295ELNS1_3gpuE0ELNS1_3repE0EEENS1_30default_config_static_selectorELNS0_4arch9wavefront6targetE1EEEvT1_ ; -- Begin function _ZN7rocprim17ROCPRIM_400000_NS6detail17trampoline_kernelINS0_14default_configENS1_27scan_by_key_config_selectorIiiEEZZNS1_16scan_by_key_implILNS1_25lookback_scan_determinismE0ELb1ES3_N6thrust23THRUST_200600_302600_NS6detail15normal_iteratorINS9_10device_ptrIiEEEESE_SE_iNS9_10multipliesIiEENS9_8equal_toIiEEiEE10hipError_tPvRmT2_T3_T4_T5_mT6_T7_P12ihipStream_tbENKUlT_T0_E_clISt17integral_constantIbLb1EESZ_EEDaSU_SV_EUlSU_E_NS1_11comp_targetILNS1_3genE0ELNS1_11target_archE4294967295ELNS1_3gpuE0ELNS1_3repE0EEENS1_30default_config_static_selectorELNS0_4arch9wavefront6targetE1EEEvT1_
	.globl	_ZN7rocprim17ROCPRIM_400000_NS6detail17trampoline_kernelINS0_14default_configENS1_27scan_by_key_config_selectorIiiEEZZNS1_16scan_by_key_implILNS1_25lookback_scan_determinismE0ELb1ES3_N6thrust23THRUST_200600_302600_NS6detail15normal_iteratorINS9_10device_ptrIiEEEESE_SE_iNS9_10multipliesIiEENS9_8equal_toIiEEiEE10hipError_tPvRmT2_T3_T4_T5_mT6_T7_P12ihipStream_tbENKUlT_T0_E_clISt17integral_constantIbLb1EESZ_EEDaSU_SV_EUlSU_E_NS1_11comp_targetILNS1_3genE0ELNS1_11target_archE4294967295ELNS1_3gpuE0ELNS1_3repE0EEENS1_30default_config_static_selectorELNS0_4arch9wavefront6targetE1EEEvT1_
	.p2align	8
	.type	_ZN7rocprim17ROCPRIM_400000_NS6detail17trampoline_kernelINS0_14default_configENS1_27scan_by_key_config_selectorIiiEEZZNS1_16scan_by_key_implILNS1_25lookback_scan_determinismE0ELb1ES3_N6thrust23THRUST_200600_302600_NS6detail15normal_iteratorINS9_10device_ptrIiEEEESE_SE_iNS9_10multipliesIiEENS9_8equal_toIiEEiEE10hipError_tPvRmT2_T3_T4_T5_mT6_T7_P12ihipStream_tbENKUlT_T0_E_clISt17integral_constantIbLb1EESZ_EEDaSU_SV_EUlSU_E_NS1_11comp_targetILNS1_3genE0ELNS1_11target_archE4294967295ELNS1_3gpuE0ELNS1_3repE0EEENS1_30default_config_static_selectorELNS0_4arch9wavefront6targetE1EEEvT1_,@function
_ZN7rocprim17ROCPRIM_400000_NS6detail17trampoline_kernelINS0_14default_configENS1_27scan_by_key_config_selectorIiiEEZZNS1_16scan_by_key_implILNS1_25lookback_scan_determinismE0ELb1ES3_N6thrust23THRUST_200600_302600_NS6detail15normal_iteratorINS9_10device_ptrIiEEEESE_SE_iNS9_10multipliesIiEENS9_8equal_toIiEEiEE10hipError_tPvRmT2_T3_T4_T5_mT6_T7_P12ihipStream_tbENKUlT_T0_E_clISt17integral_constantIbLb1EESZ_EEDaSU_SV_EUlSU_E_NS1_11comp_targetILNS1_3genE0ELNS1_11target_archE4294967295ELNS1_3gpuE0ELNS1_3repE0EEENS1_30default_config_static_selectorELNS0_4arch9wavefront6targetE1EEEvT1_: ; @_ZN7rocprim17ROCPRIM_400000_NS6detail17trampoline_kernelINS0_14default_configENS1_27scan_by_key_config_selectorIiiEEZZNS1_16scan_by_key_implILNS1_25lookback_scan_determinismE0ELb1ES3_N6thrust23THRUST_200600_302600_NS6detail15normal_iteratorINS9_10device_ptrIiEEEESE_SE_iNS9_10multipliesIiEENS9_8equal_toIiEEiEE10hipError_tPvRmT2_T3_T4_T5_mT6_T7_P12ihipStream_tbENKUlT_T0_E_clISt17integral_constantIbLb1EESZ_EEDaSU_SV_EUlSU_E_NS1_11comp_targetILNS1_3genE0ELNS1_11target_archE4294967295ELNS1_3gpuE0ELNS1_3repE0EEENS1_30default_config_static_selectorELNS0_4arch9wavefront6targetE1EEEvT1_
; %bb.0:
	.section	.rodata,"a",@progbits
	.p2align	6, 0x0
	.amdhsa_kernel _ZN7rocprim17ROCPRIM_400000_NS6detail17trampoline_kernelINS0_14default_configENS1_27scan_by_key_config_selectorIiiEEZZNS1_16scan_by_key_implILNS1_25lookback_scan_determinismE0ELb1ES3_N6thrust23THRUST_200600_302600_NS6detail15normal_iteratorINS9_10device_ptrIiEEEESE_SE_iNS9_10multipliesIiEENS9_8equal_toIiEEiEE10hipError_tPvRmT2_T3_T4_T5_mT6_T7_P12ihipStream_tbENKUlT_T0_E_clISt17integral_constantIbLb1EESZ_EEDaSU_SV_EUlSU_E_NS1_11comp_targetILNS1_3genE0ELNS1_11target_archE4294967295ELNS1_3gpuE0ELNS1_3repE0EEENS1_30default_config_static_selectorELNS0_4arch9wavefront6targetE1EEEvT1_
		.amdhsa_group_segment_fixed_size 0
		.amdhsa_private_segment_fixed_size 0
		.amdhsa_kernarg_size 112
		.amdhsa_user_sgpr_count 2
		.amdhsa_user_sgpr_dispatch_ptr 0
		.amdhsa_user_sgpr_queue_ptr 0
		.amdhsa_user_sgpr_kernarg_segment_ptr 1
		.amdhsa_user_sgpr_dispatch_id 0
		.amdhsa_user_sgpr_kernarg_preload_length 0
		.amdhsa_user_sgpr_kernarg_preload_offset 0
		.amdhsa_user_sgpr_private_segment_size 0
		.amdhsa_uses_dynamic_stack 0
		.amdhsa_enable_private_segment 0
		.amdhsa_system_sgpr_workgroup_id_x 1
		.amdhsa_system_sgpr_workgroup_id_y 0
		.amdhsa_system_sgpr_workgroup_id_z 0
		.amdhsa_system_sgpr_workgroup_info 0
		.amdhsa_system_vgpr_workitem_id 0
		.amdhsa_next_free_vgpr 1
		.amdhsa_next_free_sgpr 0
		.amdhsa_accum_offset 4
		.amdhsa_reserve_vcc 0
		.amdhsa_float_round_mode_32 0
		.amdhsa_float_round_mode_16_64 0
		.amdhsa_float_denorm_mode_32 3
		.amdhsa_float_denorm_mode_16_64 3
		.amdhsa_dx10_clamp 1
		.amdhsa_ieee_mode 1
		.amdhsa_fp16_overflow 0
		.amdhsa_tg_split 0
		.amdhsa_exception_fp_ieee_invalid_op 0
		.amdhsa_exception_fp_denorm_src 0
		.amdhsa_exception_fp_ieee_div_zero 0
		.amdhsa_exception_fp_ieee_overflow 0
		.amdhsa_exception_fp_ieee_underflow 0
		.amdhsa_exception_fp_ieee_inexact 0
		.amdhsa_exception_int_div_zero 0
	.end_amdhsa_kernel
	.section	.text._ZN7rocprim17ROCPRIM_400000_NS6detail17trampoline_kernelINS0_14default_configENS1_27scan_by_key_config_selectorIiiEEZZNS1_16scan_by_key_implILNS1_25lookback_scan_determinismE0ELb1ES3_N6thrust23THRUST_200600_302600_NS6detail15normal_iteratorINS9_10device_ptrIiEEEESE_SE_iNS9_10multipliesIiEENS9_8equal_toIiEEiEE10hipError_tPvRmT2_T3_T4_T5_mT6_T7_P12ihipStream_tbENKUlT_T0_E_clISt17integral_constantIbLb1EESZ_EEDaSU_SV_EUlSU_E_NS1_11comp_targetILNS1_3genE0ELNS1_11target_archE4294967295ELNS1_3gpuE0ELNS1_3repE0EEENS1_30default_config_static_selectorELNS0_4arch9wavefront6targetE1EEEvT1_,"axG",@progbits,_ZN7rocprim17ROCPRIM_400000_NS6detail17trampoline_kernelINS0_14default_configENS1_27scan_by_key_config_selectorIiiEEZZNS1_16scan_by_key_implILNS1_25lookback_scan_determinismE0ELb1ES3_N6thrust23THRUST_200600_302600_NS6detail15normal_iteratorINS9_10device_ptrIiEEEESE_SE_iNS9_10multipliesIiEENS9_8equal_toIiEEiEE10hipError_tPvRmT2_T3_T4_T5_mT6_T7_P12ihipStream_tbENKUlT_T0_E_clISt17integral_constantIbLb1EESZ_EEDaSU_SV_EUlSU_E_NS1_11comp_targetILNS1_3genE0ELNS1_11target_archE4294967295ELNS1_3gpuE0ELNS1_3repE0EEENS1_30default_config_static_selectorELNS0_4arch9wavefront6targetE1EEEvT1_,comdat
.Lfunc_end506:
	.size	_ZN7rocprim17ROCPRIM_400000_NS6detail17trampoline_kernelINS0_14default_configENS1_27scan_by_key_config_selectorIiiEEZZNS1_16scan_by_key_implILNS1_25lookback_scan_determinismE0ELb1ES3_N6thrust23THRUST_200600_302600_NS6detail15normal_iteratorINS9_10device_ptrIiEEEESE_SE_iNS9_10multipliesIiEENS9_8equal_toIiEEiEE10hipError_tPvRmT2_T3_T4_T5_mT6_T7_P12ihipStream_tbENKUlT_T0_E_clISt17integral_constantIbLb1EESZ_EEDaSU_SV_EUlSU_E_NS1_11comp_targetILNS1_3genE0ELNS1_11target_archE4294967295ELNS1_3gpuE0ELNS1_3repE0EEENS1_30default_config_static_selectorELNS0_4arch9wavefront6targetE1EEEvT1_, .Lfunc_end506-_ZN7rocprim17ROCPRIM_400000_NS6detail17trampoline_kernelINS0_14default_configENS1_27scan_by_key_config_selectorIiiEEZZNS1_16scan_by_key_implILNS1_25lookback_scan_determinismE0ELb1ES3_N6thrust23THRUST_200600_302600_NS6detail15normal_iteratorINS9_10device_ptrIiEEEESE_SE_iNS9_10multipliesIiEENS9_8equal_toIiEEiEE10hipError_tPvRmT2_T3_T4_T5_mT6_T7_P12ihipStream_tbENKUlT_T0_E_clISt17integral_constantIbLb1EESZ_EEDaSU_SV_EUlSU_E_NS1_11comp_targetILNS1_3genE0ELNS1_11target_archE4294967295ELNS1_3gpuE0ELNS1_3repE0EEENS1_30default_config_static_selectorELNS0_4arch9wavefront6targetE1EEEvT1_
                                        ; -- End function
	.section	.AMDGPU.csdata,"",@progbits
; Kernel info:
; codeLenInByte = 0
; NumSgprs: 6
; NumVgprs: 0
; NumAgprs: 0
; TotalNumVgprs: 0
; ScratchSize: 0
; MemoryBound: 0
; FloatMode: 240
; IeeeMode: 1
; LDSByteSize: 0 bytes/workgroup (compile time only)
; SGPRBlocks: 0
; VGPRBlocks: 0
; NumSGPRsForWavesPerEU: 6
; NumVGPRsForWavesPerEU: 1
; AccumOffset: 4
; Occupancy: 8
; WaveLimiterHint : 0
; COMPUTE_PGM_RSRC2:SCRATCH_EN: 0
; COMPUTE_PGM_RSRC2:USER_SGPR: 2
; COMPUTE_PGM_RSRC2:TRAP_HANDLER: 0
; COMPUTE_PGM_RSRC2:TGID_X_EN: 1
; COMPUTE_PGM_RSRC2:TGID_Y_EN: 0
; COMPUTE_PGM_RSRC2:TGID_Z_EN: 0
; COMPUTE_PGM_RSRC2:TIDIG_COMP_CNT: 0
; COMPUTE_PGM_RSRC3_GFX90A:ACCUM_OFFSET: 0
; COMPUTE_PGM_RSRC3_GFX90A:TG_SPLIT: 0
	.section	.text._ZN7rocprim17ROCPRIM_400000_NS6detail17trampoline_kernelINS0_14default_configENS1_27scan_by_key_config_selectorIiiEEZZNS1_16scan_by_key_implILNS1_25lookback_scan_determinismE0ELb1ES3_N6thrust23THRUST_200600_302600_NS6detail15normal_iteratorINS9_10device_ptrIiEEEESE_SE_iNS9_10multipliesIiEENS9_8equal_toIiEEiEE10hipError_tPvRmT2_T3_T4_T5_mT6_T7_P12ihipStream_tbENKUlT_T0_E_clISt17integral_constantIbLb1EESZ_EEDaSU_SV_EUlSU_E_NS1_11comp_targetILNS1_3genE10ELNS1_11target_archE1201ELNS1_3gpuE5ELNS1_3repE0EEENS1_30default_config_static_selectorELNS0_4arch9wavefront6targetE1EEEvT1_,"axG",@progbits,_ZN7rocprim17ROCPRIM_400000_NS6detail17trampoline_kernelINS0_14default_configENS1_27scan_by_key_config_selectorIiiEEZZNS1_16scan_by_key_implILNS1_25lookback_scan_determinismE0ELb1ES3_N6thrust23THRUST_200600_302600_NS6detail15normal_iteratorINS9_10device_ptrIiEEEESE_SE_iNS9_10multipliesIiEENS9_8equal_toIiEEiEE10hipError_tPvRmT2_T3_T4_T5_mT6_T7_P12ihipStream_tbENKUlT_T0_E_clISt17integral_constantIbLb1EESZ_EEDaSU_SV_EUlSU_E_NS1_11comp_targetILNS1_3genE10ELNS1_11target_archE1201ELNS1_3gpuE5ELNS1_3repE0EEENS1_30default_config_static_selectorELNS0_4arch9wavefront6targetE1EEEvT1_,comdat
	.protected	_ZN7rocprim17ROCPRIM_400000_NS6detail17trampoline_kernelINS0_14default_configENS1_27scan_by_key_config_selectorIiiEEZZNS1_16scan_by_key_implILNS1_25lookback_scan_determinismE0ELb1ES3_N6thrust23THRUST_200600_302600_NS6detail15normal_iteratorINS9_10device_ptrIiEEEESE_SE_iNS9_10multipliesIiEENS9_8equal_toIiEEiEE10hipError_tPvRmT2_T3_T4_T5_mT6_T7_P12ihipStream_tbENKUlT_T0_E_clISt17integral_constantIbLb1EESZ_EEDaSU_SV_EUlSU_E_NS1_11comp_targetILNS1_3genE10ELNS1_11target_archE1201ELNS1_3gpuE5ELNS1_3repE0EEENS1_30default_config_static_selectorELNS0_4arch9wavefront6targetE1EEEvT1_ ; -- Begin function _ZN7rocprim17ROCPRIM_400000_NS6detail17trampoline_kernelINS0_14default_configENS1_27scan_by_key_config_selectorIiiEEZZNS1_16scan_by_key_implILNS1_25lookback_scan_determinismE0ELb1ES3_N6thrust23THRUST_200600_302600_NS6detail15normal_iteratorINS9_10device_ptrIiEEEESE_SE_iNS9_10multipliesIiEENS9_8equal_toIiEEiEE10hipError_tPvRmT2_T3_T4_T5_mT6_T7_P12ihipStream_tbENKUlT_T0_E_clISt17integral_constantIbLb1EESZ_EEDaSU_SV_EUlSU_E_NS1_11comp_targetILNS1_3genE10ELNS1_11target_archE1201ELNS1_3gpuE5ELNS1_3repE0EEENS1_30default_config_static_selectorELNS0_4arch9wavefront6targetE1EEEvT1_
	.globl	_ZN7rocprim17ROCPRIM_400000_NS6detail17trampoline_kernelINS0_14default_configENS1_27scan_by_key_config_selectorIiiEEZZNS1_16scan_by_key_implILNS1_25lookback_scan_determinismE0ELb1ES3_N6thrust23THRUST_200600_302600_NS6detail15normal_iteratorINS9_10device_ptrIiEEEESE_SE_iNS9_10multipliesIiEENS9_8equal_toIiEEiEE10hipError_tPvRmT2_T3_T4_T5_mT6_T7_P12ihipStream_tbENKUlT_T0_E_clISt17integral_constantIbLb1EESZ_EEDaSU_SV_EUlSU_E_NS1_11comp_targetILNS1_3genE10ELNS1_11target_archE1201ELNS1_3gpuE5ELNS1_3repE0EEENS1_30default_config_static_selectorELNS0_4arch9wavefront6targetE1EEEvT1_
	.p2align	8
	.type	_ZN7rocprim17ROCPRIM_400000_NS6detail17trampoline_kernelINS0_14default_configENS1_27scan_by_key_config_selectorIiiEEZZNS1_16scan_by_key_implILNS1_25lookback_scan_determinismE0ELb1ES3_N6thrust23THRUST_200600_302600_NS6detail15normal_iteratorINS9_10device_ptrIiEEEESE_SE_iNS9_10multipliesIiEENS9_8equal_toIiEEiEE10hipError_tPvRmT2_T3_T4_T5_mT6_T7_P12ihipStream_tbENKUlT_T0_E_clISt17integral_constantIbLb1EESZ_EEDaSU_SV_EUlSU_E_NS1_11comp_targetILNS1_3genE10ELNS1_11target_archE1201ELNS1_3gpuE5ELNS1_3repE0EEENS1_30default_config_static_selectorELNS0_4arch9wavefront6targetE1EEEvT1_,@function
_ZN7rocprim17ROCPRIM_400000_NS6detail17trampoline_kernelINS0_14default_configENS1_27scan_by_key_config_selectorIiiEEZZNS1_16scan_by_key_implILNS1_25lookback_scan_determinismE0ELb1ES3_N6thrust23THRUST_200600_302600_NS6detail15normal_iteratorINS9_10device_ptrIiEEEESE_SE_iNS9_10multipliesIiEENS9_8equal_toIiEEiEE10hipError_tPvRmT2_T3_T4_T5_mT6_T7_P12ihipStream_tbENKUlT_T0_E_clISt17integral_constantIbLb1EESZ_EEDaSU_SV_EUlSU_E_NS1_11comp_targetILNS1_3genE10ELNS1_11target_archE1201ELNS1_3gpuE5ELNS1_3repE0EEENS1_30default_config_static_selectorELNS0_4arch9wavefront6targetE1EEEvT1_: ; @_ZN7rocprim17ROCPRIM_400000_NS6detail17trampoline_kernelINS0_14default_configENS1_27scan_by_key_config_selectorIiiEEZZNS1_16scan_by_key_implILNS1_25lookback_scan_determinismE0ELb1ES3_N6thrust23THRUST_200600_302600_NS6detail15normal_iteratorINS9_10device_ptrIiEEEESE_SE_iNS9_10multipliesIiEENS9_8equal_toIiEEiEE10hipError_tPvRmT2_T3_T4_T5_mT6_T7_P12ihipStream_tbENKUlT_T0_E_clISt17integral_constantIbLb1EESZ_EEDaSU_SV_EUlSU_E_NS1_11comp_targetILNS1_3genE10ELNS1_11target_archE1201ELNS1_3gpuE5ELNS1_3repE0EEENS1_30default_config_static_selectorELNS0_4arch9wavefront6targetE1EEEvT1_
; %bb.0:
	.section	.rodata,"a",@progbits
	.p2align	6, 0x0
	.amdhsa_kernel _ZN7rocprim17ROCPRIM_400000_NS6detail17trampoline_kernelINS0_14default_configENS1_27scan_by_key_config_selectorIiiEEZZNS1_16scan_by_key_implILNS1_25lookback_scan_determinismE0ELb1ES3_N6thrust23THRUST_200600_302600_NS6detail15normal_iteratorINS9_10device_ptrIiEEEESE_SE_iNS9_10multipliesIiEENS9_8equal_toIiEEiEE10hipError_tPvRmT2_T3_T4_T5_mT6_T7_P12ihipStream_tbENKUlT_T0_E_clISt17integral_constantIbLb1EESZ_EEDaSU_SV_EUlSU_E_NS1_11comp_targetILNS1_3genE10ELNS1_11target_archE1201ELNS1_3gpuE5ELNS1_3repE0EEENS1_30default_config_static_selectorELNS0_4arch9wavefront6targetE1EEEvT1_
		.amdhsa_group_segment_fixed_size 0
		.amdhsa_private_segment_fixed_size 0
		.amdhsa_kernarg_size 112
		.amdhsa_user_sgpr_count 2
		.amdhsa_user_sgpr_dispatch_ptr 0
		.amdhsa_user_sgpr_queue_ptr 0
		.amdhsa_user_sgpr_kernarg_segment_ptr 1
		.amdhsa_user_sgpr_dispatch_id 0
		.amdhsa_user_sgpr_kernarg_preload_length 0
		.amdhsa_user_sgpr_kernarg_preload_offset 0
		.amdhsa_user_sgpr_private_segment_size 0
		.amdhsa_uses_dynamic_stack 0
		.amdhsa_enable_private_segment 0
		.amdhsa_system_sgpr_workgroup_id_x 1
		.amdhsa_system_sgpr_workgroup_id_y 0
		.amdhsa_system_sgpr_workgroup_id_z 0
		.amdhsa_system_sgpr_workgroup_info 0
		.amdhsa_system_vgpr_workitem_id 0
		.amdhsa_next_free_vgpr 1
		.amdhsa_next_free_sgpr 0
		.amdhsa_accum_offset 4
		.amdhsa_reserve_vcc 0
		.amdhsa_float_round_mode_32 0
		.amdhsa_float_round_mode_16_64 0
		.amdhsa_float_denorm_mode_32 3
		.amdhsa_float_denorm_mode_16_64 3
		.amdhsa_dx10_clamp 1
		.amdhsa_ieee_mode 1
		.amdhsa_fp16_overflow 0
		.amdhsa_tg_split 0
		.amdhsa_exception_fp_ieee_invalid_op 0
		.amdhsa_exception_fp_denorm_src 0
		.amdhsa_exception_fp_ieee_div_zero 0
		.amdhsa_exception_fp_ieee_overflow 0
		.amdhsa_exception_fp_ieee_underflow 0
		.amdhsa_exception_fp_ieee_inexact 0
		.amdhsa_exception_int_div_zero 0
	.end_amdhsa_kernel
	.section	.text._ZN7rocprim17ROCPRIM_400000_NS6detail17trampoline_kernelINS0_14default_configENS1_27scan_by_key_config_selectorIiiEEZZNS1_16scan_by_key_implILNS1_25lookback_scan_determinismE0ELb1ES3_N6thrust23THRUST_200600_302600_NS6detail15normal_iteratorINS9_10device_ptrIiEEEESE_SE_iNS9_10multipliesIiEENS9_8equal_toIiEEiEE10hipError_tPvRmT2_T3_T4_T5_mT6_T7_P12ihipStream_tbENKUlT_T0_E_clISt17integral_constantIbLb1EESZ_EEDaSU_SV_EUlSU_E_NS1_11comp_targetILNS1_3genE10ELNS1_11target_archE1201ELNS1_3gpuE5ELNS1_3repE0EEENS1_30default_config_static_selectorELNS0_4arch9wavefront6targetE1EEEvT1_,"axG",@progbits,_ZN7rocprim17ROCPRIM_400000_NS6detail17trampoline_kernelINS0_14default_configENS1_27scan_by_key_config_selectorIiiEEZZNS1_16scan_by_key_implILNS1_25lookback_scan_determinismE0ELb1ES3_N6thrust23THRUST_200600_302600_NS6detail15normal_iteratorINS9_10device_ptrIiEEEESE_SE_iNS9_10multipliesIiEENS9_8equal_toIiEEiEE10hipError_tPvRmT2_T3_T4_T5_mT6_T7_P12ihipStream_tbENKUlT_T0_E_clISt17integral_constantIbLb1EESZ_EEDaSU_SV_EUlSU_E_NS1_11comp_targetILNS1_3genE10ELNS1_11target_archE1201ELNS1_3gpuE5ELNS1_3repE0EEENS1_30default_config_static_selectorELNS0_4arch9wavefront6targetE1EEEvT1_,comdat
.Lfunc_end507:
	.size	_ZN7rocprim17ROCPRIM_400000_NS6detail17trampoline_kernelINS0_14default_configENS1_27scan_by_key_config_selectorIiiEEZZNS1_16scan_by_key_implILNS1_25lookback_scan_determinismE0ELb1ES3_N6thrust23THRUST_200600_302600_NS6detail15normal_iteratorINS9_10device_ptrIiEEEESE_SE_iNS9_10multipliesIiEENS9_8equal_toIiEEiEE10hipError_tPvRmT2_T3_T4_T5_mT6_T7_P12ihipStream_tbENKUlT_T0_E_clISt17integral_constantIbLb1EESZ_EEDaSU_SV_EUlSU_E_NS1_11comp_targetILNS1_3genE10ELNS1_11target_archE1201ELNS1_3gpuE5ELNS1_3repE0EEENS1_30default_config_static_selectorELNS0_4arch9wavefront6targetE1EEEvT1_, .Lfunc_end507-_ZN7rocprim17ROCPRIM_400000_NS6detail17trampoline_kernelINS0_14default_configENS1_27scan_by_key_config_selectorIiiEEZZNS1_16scan_by_key_implILNS1_25lookback_scan_determinismE0ELb1ES3_N6thrust23THRUST_200600_302600_NS6detail15normal_iteratorINS9_10device_ptrIiEEEESE_SE_iNS9_10multipliesIiEENS9_8equal_toIiEEiEE10hipError_tPvRmT2_T3_T4_T5_mT6_T7_P12ihipStream_tbENKUlT_T0_E_clISt17integral_constantIbLb1EESZ_EEDaSU_SV_EUlSU_E_NS1_11comp_targetILNS1_3genE10ELNS1_11target_archE1201ELNS1_3gpuE5ELNS1_3repE0EEENS1_30default_config_static_selectorELNS0_4arch9wavefront6targetE1EEEvT1_
                                        ; -- End function
	.section	.AMDGPU.csdata,"",@progbits
; Kernel info:
; codeLenInByte = 0
; NumSgprs: 6
; NumVgprs: 0
; NumAgprs: 0
; TotalNumVgprs: 0
; ScratchSize: 0
; MemoryBound: 0
; FloatMode: 240
; IeeeMode: 1
; LDSByteSize: 0 bytes/workgroup (compile time only)
; SGPRBlocks: 0
; VGPRBlocks: 0
; NumSGPRsForWavesPerEU: 6
; NumVGPRsForWavesPerEU: 1
; AccumOffset: 4
; Occupancy: 8
; WaveLimiterHint : 0
; COMPUTE_PGM_RSRC2:SCRATCH_EN: 0
; COMPUTE_PGM_RSRC2:USER_SGPR: 2
; COMPUTE_PGM_RSRC2:TRAP_HANDLER: 0
; COMPUTE_PGM_RSRC2:TGID_X_EN: 1
; COMPUTE_PGM_RSRC2:TGID_Y_EN: 0
; COMPUTE_PGM_RSRC2:TGID_Z_EN: 0
; COMPUTE_PGM_RSRC2:TIDIG_COMP_CNT: 0
; COMPUTE_PGM_RSRC3_GFX90A:ACCUM_OFFSET: 0
; COMPUTE_PGM_RSRC3_GFX90A:TG_SPLIT: 0
	.section	.text._ZN7rocprim17ROCPRIM_400000_NS6detail17trampoline_kernelINS0_14default_configENS1_27scan_by_key_config_selectorIiiEEZZNS1_16scan_by_key_implILNS1_25lookback_scan_determinismE0ELb1ES3_N6thrust23THRUST_200600_302600_NS6detail15normal_iteratorINS9_10device_ptrIiEEEESE_SE_iNS9_10multipliesIiEENS9_8equal_toIiEEiEE10hipError_tPvRmT2_T3_T4_T5_mT6_T7_P12ihipStream_tbENKUlT_T0_E_clISt17integral_constantIbLb1EESZ_EEDaSU_SV_EUlSU_E_NS1_11comp_targetILNS1_3genE5ELNS1_11target_archE942ELNS1_3gpuE9ELNS1_3repE0EEENS1_30default_config_static_selectorELNS0_4arch9wavefront6targetE1EEEvT1_,"axG",@progbits,_ZN7rocprim17ROCPRIM_400000_NS6detail17trampoline_kernelINS0_14default_configENS1_27scan_by_key_config_selectorIiiEEZZNS1_16scan_by_key_implILNS1_25lookback_scan_determinismE0ELb1ES3_N6thrust23THRUST_200600_302600_NS6detail15normal_iteratorINS9_10device_ptrIiEEEESE_SE_iNS9_10multipliesIiEENS9_8equal_toIiEEiEE10hipError_tPvRmT2_T3_T4_T5_mT6_T7_P12ihipStream_tbENKUlT_T0_E_clISt17integral_constantIbLb1EESZ_EEDaSU_SV_EUlSU_E_NS1_11comp_targetILNS1_3genE5ELNS1_11target_archE942ELNS1_3gpuE9ELNS1_3repE0EEENS1_30default_config_static_selectorELNS0_4arch9wavefront6targetE1EEEvT1_,comdat
	.protected	_ZN7rocprim17ROCPRIM_400000_NS6detail17trampoline_kernelINS0_14default_configENS1_27scan_by_key_config_selectorIiiEEZZNS1_16scan_by_key_implILNS1_25lookback_scan_determinismE0ELb1ES3_N6thrust23THRUST_200600_302600_NS6detail15normal_iteratorINS9_10device_ptrIiEEEESE_SE_iNS9_10multipliesIiEENS9_8equal_toIiEEiEE10hipError_tPvRmT2_T3_T4_T5_mT6_T7_P12ihipStream_tbENKUlT_T0_E_clISt17integral_constantIbLb1EESZ_EEDaSU_SV_EUlSU_E_NS1_11comp_targetILNS1_3genE5ELNS1_11target_archE942ELNS1_3gpuE9ELNS1_3repE0EEENS1_30default_config_static_selectorELNS0_4arch9wavefront6targetE1EEEvT1_ ; -- Begin function _ZN7rocprim17ROCPRIM_400000_NS6detail17trampoline_kernelINS0_14default_configENS1_27scan_by_key_config_selectorIiiEEZZNS1_16scan_by_key_implILNS1_25lookback_scan_determinismE0ELb1ES3_N6thrust23THRUST_200600_302600_NS6detail15normal_iteratorINS9_10device_ptrIiEEEESE_SE_iNS9_10multipliesIiEENS9_8equal_toIiEEiEE10hipError_tPvRmT2_T3_T4_T5_mT6_T7_P12ihipStream_tbENKUlT_T0_E_clISt17integral_constantIbLb1EESZ_EEDaSU_SV_EUlSU_E_NS1_11comp_targetILNS1_3genE5ELNS1_11target_archE942ELNS1_3gpuE9ELNS1_3repE0EEENS1_30default_config_static_selectorELNS0_4arch9wavefront6targetE1EEEvT1_
	.globl	_ZN7rocprim17ROCPRIM_400000_NS6detail17trampoline_kernelINS0_14default_configENS1_27scan_by_key_config_selectorIiiEEZZNS1_16scan_by_key_implILNS1_25lookback_scan_determinismE0ELb1ES3_N6thrust23THRUST_200600_302600_NS6detail15normal_iteratorINS9_10device_ptrIiEEEESE_SE_iNS9_10multipliesIiEENS9_8equal_toIiEEiEE10hipError_tPvRmT2_T3_T4_T5_mT6_T7_P12ihipStream_tbENKUlT_T0_E_clISt17integral_constantIbLb1EESZ_EEDaSU_SV_EUlSU_E_NS1_11comp_targetILNS1_3genE5ELNS1_11target_archE942ELNS1_3gpuE9ELNS1_3repE0EEENS1_30default_config_static_selectorELNS0_4arch9wavefront6targetE1EEEvT1_
	.p2align	8
	.type	_ZN7rocprim17ROCPRIM_400000_NS6detail17trampoline_kernelINS0_14default_configENS1_27scan_by_key_config_selectorIiiEEZZNS1_16scan_by_key_implILNS1_25lookback_scan_determinismE0ELb1ES3_N6thrust23THRUST_200600_302600_NS6detail15normal_iteratorINS9_10device_ptrIiEEEESE_SE_iNS9_10multipliesIiEENS9_8equal_toIiEEiEE10hipError_tPvRmT2_T3_T4_T5_mT6_T7_P12ihipStream_tbENKUlT_T0_E_clISt17integral_constantIbLb1EESZ_EEDaSU_SV_EUlSU_E_NS1_11comp_targetILNS1_3genE5ELNS1_11target_archE942ELNS1_3gpuE9ELNS1_3repE0EEENS1_30default_config_static_selectorELNS0_4arch9wavefront6targetE1EEEvT1_,@function
_ZN7rocprim17ROCPRIM_400000_NS6detail17trampoline_kernelINS0_14default_configENS1_27scan_by_key_config_selectorIiiEEZZNS1_16scan_by_key_implILNS1_25lookback_scan_determinismE0ELb1ES3_N6thrust23THRUST_200600_302600_NS6detail15normal_iteratorINS9_10device_ptrIiEEEESE_SE_iNS9_10multipliesIiEENS9_8equal_toIiEEiEE10hipError_tPvRmT2_T3_T4_T5_mT6_T7_P12ihipStream_tbENKUlT_T0_E_clISt17integral_constantIbLb1EESZ_EEDaSU_SV_EUlSU_E_NS1_11comp_targetILNS1_3genE5ELNS1_11target_archE942ELNS1_3gpuE9ELNS1_3repE0EEENS1_30default_config_static_selectorELNS0_4arch9wavefront6targetE1EEEvT1_: ; @_ZN7rocprim17ROCPRIM_400000_NS6detail17trampoline_kernelINS0_14default_configENS1_27scan_by_key_config_selectorIiiEEZZNS1_16scan_by_key_implILNS1_25lookback_scan_determinismE0ELb1ES3_N6thrust23THRUST_200600_302600_NS6detail15normal_iteratorINS9_10device_ptrIiEEEESE_SE_iNS9_10multipliesIiEENS9_8equal_toIiEEiEE10hipError_tPvRmT2_T3_T4_T5_mT6_T7_P12ihipStream_tbENKUlT_T0_E_clISt17integral_constantIbLb1EESZ_EEDaSU_SV_EUlSU_E_NS1_11comp_targetILNS1_3genE5ELNS1_11target_archE942ELNS1_3gpuE9ELNS1_3repE0EEENS1_30default_config_static_selectorELNS0_4arch9wavefront6targetE1EEEvT1_
; %bb.0:
	s_load_dword s74, s[0:1], 0x20
	s_load_dwordx4 s[64:67], s[0:1], 0x28
	s_load_dwordx2 s[72:73], s[0:1], 0x38
	v_cmp_ne_u32_e64 s[4:5], 0, v0
	v_cmp_eq_u32_e64 s[52:53], 0, v0
	s_and_saveexec_b64 s[2:3], s[52:53]
	s_cbranch_execz .LBB508_4
; %bb.1:
	s_mov_b64 s[8:9], exec
	v_mbcnt_lo_u32_b32 v1, s8, 0
	v_mbcnt_hi_u32_b32 v1, s9, v1
	v_cmp_eq_u32_e32 vcc, 0, v1
                                        ; implicit-def: $vgpr2
	s_and_saveexec_b64 s[6:7], vcc
	s_cbranch_execz .LBB508_3
; %bb.2:
	s_load_dwordx2 s[10:11], s[0:1], 0x68
	s_bcnt1_i32_b64 s8, s[8:9]
	v_mov_b32_e32 v2, 0
	v_mov_b32_e32 v3, s8
	s_waitcnt lgkmcnt(0)
	global_atomic_add v2, v2, v3, s[10:11] sc0
.LBB508_3:
	s_or_b64 exec, exec, s[6:7]
	s_waitcnt vmcnt(0)
	v_readfirstlane_b32 s6, v2
	v_mov_b32_e32 v2, 0
	s_nop 0
	v_add_u32_e32 v1, s6, v1
	ds_write_b32 v2, v1
.LBB508_4:
	s_or_b64 exec, exec, s[2:3]
	s_load_dwordx8 s[56:63], s[0:1], 0x0
	s_load_dword s2, s[0:1], 0x40
	s_load_dwordx4 s[68:71], s[0:1], 0x48
	v_mov_b32_e32 v7, 0
	s_waitcnt lgkmcnt(0)
	s_lshl_b64 s[54:55], s[58:59], 2
	s_barrier
	ds_read_b32 v6, v7
	s_add_u32 s0, s56, s54
	s_addc_u32 s1, s57, s55
	s_add_u32 s6, s60, s54
	s_mul_i32 s3, s73, s2
	s_mul_hi_u32 s8, s72, s2
	s_addc_u32 s7, s61, s55
	s_add_i32 s3, s8, s3
	s_movk_i32 s8, 0x1700
	s_waitcnt lgkmcnt(0)
	v_mul_lo_u32 v2, v6, s8
	v_mov_b32_e32 v3, v7
	v_lshlrev_b64 v[10:11], 2, v[2:3]
	s_mul_i32 s2, s72, s2
	v_lshl_add_u64 v[2:3], s[6:7], 0, v[10:11]
	s_add_u32 s6, s68, -1
	v_readfirstlane_b32 s67, v6
	v_lshl_add_u64 v[6:7], s[2:3], 0, v[6:7]
	s_addc_u32 s7, s69, -1
	v_cmp_le_u64_e64 s[2:3], s[6:7], v[6:7]
	v_lshl_add_u64 v[4:5], s[0:1], 0, v[10:11]
	s_mov_b64 s[0:1], -1
	s_and_b64 vcc, exec, s[2:3]
	s_mul_i32 s33, s6, 0xffffe900
	s_barrier
	s_barrier
	s_cbranch_vccz .LBB508_75
; %bb.5:
	flat_load_dword v1, v[4:5]
	s_add_i32 s60, s33, s66
	v_cmp_gt_u32_e32 vcc, s60, v0
	s_waitcnt vmcnt(0) lgkmcnt(0)
	v_mov_b32_e32 v7, v1
	s_and_saveexec_b64 s[0:1], vcc
	s_cbranch_execz .LBB508_7
; %bb.6:
	v_lshlrev_b32_e32 v6, 2, v0
	v_mov_b32_e32 v7, 0
	v_lshl_add_u64 v[6:7], v[4:5], 0, v[6:7]
	flat_load_dword v7, v[6:7]
.LBB508_7:
	s_or_b64 exec, exec, s[0:1]
	v_or_b32_e32 v6, 0x100, v0
	v_cmp_gt_u32_e64 s[6:7], s60, v6
	v_mov_b32_e32 v8, v1
	s_and_saveexec_b64 s[0:1], s[6:7]
	s_cbranch_execz .LBB508_9
; %bb.8:
	v_lshlrev_b32_e32 v8, 2, v0
	v_mov_b32_e32 v9, 0
	v_lshl_add_u64 v[8:9], v[4:5], 0, v[8:9]
	flat_load_dword v8, v[8:9] offset:1024
.LBB508_9:
	s_or_b64 exec, exec, s[0:1]
	v_or_b32_e32 v6, 0x200, v0
	v_cmp_gt_u32_e64 s[8:9], s60, v6
	v_mov_b32_e32 v9, v1
	s_and_saveexec_b64 s[0:1], s[8:9]
	s_cbranch_execz .LBB508_11
; %bb.10:
	v_lshlrev_b32_e32 v12, 2, v0
	v_mov_b32_e32 v13, 0
	v_lshl_add_u64 v[12:13], v[4:5], 0, v[12:13]
	flat_load_dword v9, v[12:13] offset:2048
.LBB508_11:
	;; [unrolled: 12-line block ×3, first 2 shown]
	s_or_b64 exec, exec, s[0:1]
	v_or_b32_e32 v12, 0x400, v0
	v_cmp_gt_u32_e64 s[12:13], s60, v12
	v_mov_b32_e32 v32, v1
	s_and_saveexec_b64 s[0:1], s[12:13]
	s_cbranch_execz .LBB508_15
; %bb.14:
	v_lshlrev_b32_e32 v14, 2, v12
	v_mov_b32_e32 v15, 0
	v_lshl_add_u64 v[14:15], v[4:5], 0, v[14:15]
	flat_load_dword v32, v[14:15]
.LBB508_15:
	s_or_b64 exec, exec, s[0:1]
	v_or_b32_e32 v13, 0x500, v0
	v_cmp_gt_u32_e64 s[14:15], s60, v13
	v_mov_b32_e32 v33, v1
	s_and_saveexec_b64 s[0:1], s[14:15]
	s_cbranch_execz .LBB508_17
; %bb.16:
	v_lshlrev_b32_e32 v14, 2, v13
	v_mov_b32_e32 v15, 0
	v_lshl_add_u64 v[14:15], v[4:5], 0, v[14:15]
	flat_load_dword v33, v[14:15]
.LBB508_17:
	;; [unrolled: 12-line block ×18, first 2 shown]
	s_or_b64 exec, exec, s[0:1]
	v_or_b32_e32 v30, 0x1600, v0
	v_cmp_gt_u32_e64 s[50:51], s60, v30
	s_and_saveexec_b64 s[0:1], s[50:51]
	s_cbranch_execz .LBB508_51
; %bb.50:
	v_lshlrev_b32_e32 v50, 2, v30
	v_mov_b32_e32 v51, 0
	v_lshl_add_u64 v[50:51], v[4:5], 0, v[50:51]
	flat_load_dword v1, v[50:51]
.LBB508_51:
	s_or_b64 exec, exec, s[0:1]
	v_lshlrev_b32_e32 v6, 2, v0
	s_waitcnt vmcnt(0) lgkmcnt(0)
	ds_write2st64_b32 v6, v7, v8 offset1:4
	ds_write2st64_b32 v6, v9, v31 offset0:8 offset1:12
	ds_write2st64_b32 v6, v32, v33 offset0:16 offset1:20
	;; [unrolled: 1-line block ×10, first 2 shown]
	ds_write_b32 v6, v1 offset:22528
	s_waitcnt lgkmcnt(0)
	s_barrier
	flat_load_dword v1, v[4:5]
	s_movk_i32 s0, 0x58
	v_mad_u32_u24 v76, v0, s0, v6
	s_movk_i32 s0, 0xffa8
	v_mad_i32_i24 v7, v0, s0, v76
	s_movk_i32 s0, 0xff
	v_cmp_ne_u32_e64 s[0:1], s0, v0
	ds_read_b32 v78, v76
	ds_read2_b32 v[74:75], v76 offset0:1 offset1:2
	ds_read2_b32 v[72:73], v76 offset0:3 offset1:4
	;; [unrolled: 1-line block ×11, first 2 shown]
	s_waitcnt lgkmcnt(0)
	ds_write_b32 v7, v78 offset:24576
	s_waitcnt lgkmcnt(0)
	s_barrier
	s_and_saveexec_b64 s[56:57], s[0:1]
	s_cbranch_execz .LBB508_53
; %bb.52:
	s_waitcnt vmcnt(0)
	ds_read_b32 v1, v6 offset:24580
.LBB508_53:
	s_or_b64 exec, exec, s[56:57]
	v_mov_b32_e32 v7, 0
	s_waitcnt lgkmcnt(0)
	s_barrier
	s_waitcnt lgkmcnt(0)
                                        ; implicit-def: $vgpr31
	s_and_saveexec_b64 s[0:1], vcc
	s_cbranch_execz .LBB508_76
; %bb.54:
	v_lshl_add_u64 v[32:33], v[2:3], 0, v[6:7]
	flat_load_dword v31, v[32:33]
	s_or_b64 exec, exec, s[0:1]
                                        ; implicit-def: $vgpr32
	s_and_saveexec_b64 s[0:1], s[6:7]
	s_cbranch_execnz .LBB508_77
.LBB508_55:
	s_or_b64 exec, exec, s[0:1]
                                        ; implicit-def: $vgpr33
	s_and_saveexec_b64 s[0:1], s[8:9]
	s_cbranch_execz .LBB508_78
.LBB508_56:
	v_mov_b32_e32 v7, 0
	v_lshl_add_u64 v[34:35], v[2:3], 0, v[6:7]
	flat_load_dword v33, v[34:35] offset:2048
	s_or_b64 exec, exec, s[0:1]
                                        ; implicit-def: $vgpr7
	s_and_saveexec_b64 s[0:1], s[10:11]
	s_cbranch_execnz .LBB508_79
.LBB508_57:
	s_or_b64 exec, exec, s[0:1]
                                        ; implicit-def: $vgpr34
	s_and_saveexec_b64 s[0:1], s[12:13]
	s_cbranch_execz .LBB508_80
.LBB508_58:
	v_lshlrev_b32_e32 v34, 2, v12
	v_mov_b32_e32 v35, 0
	v_lshl_add_u64 v[34:35], v[2:3], 0, v[34:35]
	flat_load_dword v34, v[34:35]
	s_or_b64 exec, exec, s[0:1]
                                        ; implicit-def: $vgpr12
	s_and_saveexec_b64 s[0:1], s[14:15]
	s_cbranch_execnz .LBB508_81
.LBB508_59:
	s_or_b64 exec, exec, s[0:1]
                                        ; implicit-def: $vgpr13
	s_and_saveexec_b64 s[0:1], s[16:17]
	s_cbranch_execz .LBB508_82
.LBB508_60:
	v_lshlrev_b32_e32 v36, 2, v14
	v_mov_b32_e32 v37, 0
	v_lshl_add_u64 v[36:37], v[2:3], 0, v[36:37]
	flat_load_dword v13, v[36:37]
	s_or_b64 exec, exec, s[0:1]
                                        ; implicit-def: $vgpr14
	s_and_saveexec_b64 s[0:1], s[18:19]
	s_cbranch_execnz .LBB508_83
.LBB508_61:
	s_or_b64 exec, exec, s[0:1]
                                        ; implicit-def: $vgpr15
	s_and_saveexec_b64 s[0:1], s[20:21]
	s_cbranch_execz .LBB508_84
.LBB508_62:
	v_lshlrev_b32_e32 v36, 2, v16
	v_mov_b32_e32 v37, 0
	v_lshl_add_u64 v[36:37], v[2:3], 0, v[36:37]
	flat_load_dword v15, v[36:37]
	s_or_b64 exec, exec, s[0:1]
                                        ; implicit-def: $vgpr16
	s_and_saveexec_b64 s[0:1], s[22:23]
	s_cbranch_execnz .LBB508_85
.LBB508_63:
	s_or_b64 exec, exec, s[0:1]
                                        ; implicit-def: $vgpr17
	s_and_saveexec_b64 s[0:1], s[24:25]
	s_cbranch_execz .LBB508_86
.LBB508_64:
	v_lshlrev_b32_e32 v36, 2, v18
	v_mov_b32_e32 v37, 0
	v_lshl_add_u64 v[36:37], v[2:3], 0, v[36:37]
	flat_load_dword v17, v[36:37]
	s_or_b64 exec, exec, s[0:1]
                                        ; implicit-def: $vgpr18
	s_and_saveexec_b64 s[0:1], s[26:27]
	s_cbranch_execnz .LBB508_87
.LBB508_65:
	s_or_b64 exec, exec, s[0:1]
                                        ; implicit-def: $vgpr19
	s_and_saveexec_b64 s[0:1], s[28:29]
	s_cbranch_execz .LBB508_88
.LBB508_66:
	v_lshlrev_b32_e32 v36, 2, v20
	v_mov_b32_e32 v37, 0
	v_lshl_add_u64 v[36:37], v[2:3], 0, v[36:37]
	flat_load_dword v19, v[36:37]
	s_or_b64 exec, exec, s[0:1]
                                        ; implicit-def: $vgpr20
	s_and_saveexec_b64 s[0:1], s[30:31]
	s_cbranch_execnz .LBB508_89
.LBB508_67:
	s_or_b64 exec, exec, s[0:1]
                                        ; implicit-def: $vgpr21
	s_and_saveexec_b64 s[0:1], s[34:35]
	s_cbranch_execz .LBB508_90
.LBB508_68:
	v_lshlrev_b32_e32 v36, 2, v22
	v_mov_b32_e32 v37, 0
	v_lshl_add_u64 v[36:37], v[2:3], 0, v[36:37]
	flat_load_dword v21, v[36:37]
	s_or_b64 exec, exec, s[0:1]
                                        ; implicit-def: $vgpr22
	s_and_saveexec_b64 s[0:1], s[36:37]
	s_cbranch_execnz .LBB508_91
.LBB508_69:
	s_or_b64 exec, exec, s[0:1]
                                        ; implicit-def: $vgpr23
	s_and_saveexec_b64 s[0:1], s[38:39]
	s_cbranch_execz .LBB508_92
.LBB508_70:
	v_lshlrev_b32_e32 v36, 2, v24
	v_mov_b32_e32 v37, 0
	v_lshl_add_u64 v[36:37], v[2:3], 0, v[36:37]
	flat_load_dword v23, v[36:37]
	s_or_b64 exec, exec, s[0:1]
                                        ; implicit-def: $vgpr24
	s_and_saveexec_b64 s[0:1], s[40:41]
	s_cbranch_execnz .LBB508_93
.LBB508_71:
	s_or_b64 exec, exec, s[0:1]
                                        ; implicit-def: $vgpr25
	s_and_saveexec_b64 s[0:1], s[42:43]
	s_cbranch_execz .LBB508_94
.LBB508_72:
	v_lshlrev_b32_e32 v36, 2, v26
	v_mov_b32_e32 v37, 0
	v_lshl_add_u64 v[36:37], v[2:3], 0, v[36:37]
	flat_load_dword v25, v[36:37]
	s_or_b64 exec, exec, s[0:1]
                                        ; implicit-def: $vgpr26
	s_and_saveexec_b64 s[0:1], s[44:45]
	s_cbranch_execnz .LBB508_95
.LBB508_73:
	s_or_b64 exec, exec, s[0:1]
                                        ; implicit-def: $vgpr27
	s_and_saveexec_b64 s[0:1], s[46:47]
	s_cbranch_execz .LBB508_96
.LBB508_74:
	v_lshlrev_b32_e32 v36, 2, v28
	v_mov_b32_e32 v37, 0
	v_lshl_add_u64 v[36:37], v[2:3], 0, v[36:37]
	flat_load_dword v27, v[36:37]
	s_or_b64 exec, exec, s[0:1]
                                        ; implicit-def: $vgpr28
	s_and_saveexec_b64 s[0:1], s[48:49]
	s_cbranch_execz .LBB508_98
	s_branch .LBB508_97
.LBB508_75:
	s_mov_b64 s[10:11], 0
                                        ; implicit-def: $sgpr8_sgpr9
                                        ; implicit-def: $vgpr6
                                        ; implicit-def: $vgpr12_vgpr13
                                        ; implicit-def: $vgpr14_vgpr15
                                        ; implicit-def: $vgpr16_vgpr17
                                        ; implicit-def: $vgpr18_vgpr19
                                        ; implicit-def: $vgpr20_vgpr21
                                        ; implicit-def: $vgpr22_vgpr23
                                        ; implicit-def: $vgpr24_vgpr25
                                        ; implicit-def: $vgpr26_vgpr27
                                        ; implicit-def: $vgpr28_vgpr29
                                        ; implicit-def: $vgpr30_vgpr31
                                        ; implicit-def: $vgpr32_vgpr33
                                        ; implicit-def: $vgpr34_vgpr35
                                        ; implicit-def: $vgpr36_vgpr37
                                        ; implicit-def: $vgpr38_vgpr39
                                        ; implicit-def: $vgpr40_vgpr41
                                        ; implicit-def: $vgpr42_vgpr43
                                        ; implicit-def: $vgpr44_vgpr45
                                        ; implicit-def: $vgpr46_vgpr47
                                        ; implicit-def: $vgpr48_vgpr49
                                        ; implicit-def: $vgpr50_vgpr51
                                        ; implicit-def: $vgpr52_vgpr53
                                        ; implicit-def: $vgpr54_vgpr55
                                        ; implicit-def: $sgpr6_sgpr7
	s_and_b64 vcc, exec, s[0:1]
	v_lshlrev_b32_e32 v56, 2, v0
	s_cbranch_vccz .LBB508_152
	s_branch .LBB508_147
.LBB508_76:
	s_or_b64 exec, exec, s[0:1]
                                        ; implicit-def: $vgpr32
	s_and_saveexec_b64 s[0:1], s[6:7]
	s_cbranch_execz .LBB508_55
.LBB508_77:
	v_mov_b32_e32 v7, 0
	v_lshl_add_u64 v[32:33], v[2:3], 0, v[6:7]
	flat_load_dword v32, v[32:33] offset:1024
	s_or_b64 exec, exec, s[0:1]
                                        ; implicit-def: $vgpr33
	s_and_saveexec_b64 s[0:1], s[8:9]
	s_cbranch_execnz .LBB508_56
.LBB508_78:
	s_or_b64 exec, exec, s[0:1]
                                        ; implicit-def: $vgpr7
	s_and_saveexec_b64 s[0:1], s[10:11]
	s_cbranch_execz .LBB508_57
.LBB508_79:
	v_mov_b32_e32 v7, 0
	v_lshl_add_u64 v[34:35], v[2:3], 0, v[6:7]
	flat_load_dword v7, v[34:35] offset:3072
	s_or_b64 exec, exec, s[0:1]
                                        ; implicit-def: $vgpr34
	s_and_saveexec_b64 s[0:1], s[12:13]
	s_cbranch_execnz .LBB508_58
.LBB508_80:
	s_or_b64 exec, exec, s[0:1]
                                        ; implicit-def: $vgpr12
	s_and_saveexec_b64 s[0:1], s[14:15]
	s_cbranch_execz .LBB508_59
.LBB508_81:
	v_lshlrev_b32_e32 v12, 2, v13
	v_mov_b32_e32 v13, 0
	v_lshl_add_u64 v[12:13], v[2:3], 0, v[12:13]
	flat_load_dword v12, v[12:13]
	s_or_b64 exec, exec, s[0:1]
                                        ; implicit-def: $vgpr13
	s_and_saveexec_b64 s[0:1], s[16:17]
	s_cbranch_execnz .LBB508_60
.LBB508_82:
	s_or_b64 exec, exec, s[0:1]
                                        ; implicit-def: $vgpr14
	s_and_saveexec_b64 s[0:1], s[18:19]
	s_cbranch_execz .LBB508_61
.LBB508_83:
	v_lshlrev_b32_e32 v14, 2, v15
	v_mov_b32_e32 v15, 0
	v_lshl_add_u64 v[14:15], v[2:3], 0, v[14:15]
	flat_load_dword v14, v[14:15]
	s_or_b64 exec, exec, s[0:1]
                                        ; implicit-def: $vgpr15
	s_and_saveexec_b64 s[0:1], s[20:21]
	s_cbranch_execnz .LBB508_62
.LBB508_84:
	s_or_b64 exec, exec, s[0:1]
                                        ; implicit-def: $vgpr16
	s_and_saveexec_b64 s[0:1], s[22:23]
	s_cbranch_execz .LBB508_63
.LBB508_85:
	v_lshlrev_b32_e32 v16, 2, v17
	v_mov_b32_e32 v17, 0
	v_lshl_add_u64 v[16:17], v[2:3], 0, v[16:17]
	flat_load_dword v16, v[16:17]
	s_or_b64 exec, exec, s[0:1]
                                        ; implicit-def: $vgpr17
	s_and_saveexec_b64 s[0:1], s[24:25]
	s_cbranch_execnz .LBB508_64
.LBB508_86:
	s_or_b64 exec, exec, s[0:1]
                                        ; implicit-def: $vgpr18
	s_and_saveexec_b64 s[0:1], s[26:27]
	s_cbranch_execz .LBB508_65
.LBB508_87:
	v_lshlrev_b32_e32 v18, 2, v19
	v_mov_b32_e32 v19, 0
	v_lshl_add_u64 v[18:19], v[2:3], 0, v[18:19]
	flat_load_dword v18, v[18:19]
	s_or_b64 exec, exec, s[0:1]
                                        ; implicit-def: $vgpr19
	s_and_saveexec_b64 s[0:1], s[28:29]
	s_cbranch_execnz .LBB508_66
.LBB508_88:
	s_or_b64 exec, exec, s[0:1]
                                        ; implicit-def: $vgpr20
	s_and_saveexec_b64 s[0:1], s[30:31]
	s_cbranch_execz .LBB508_67
.LBB508_89:
	v_lshlrev_b32_e32 v20, 2, v21
	v_mov_b32_e32 v21, 0
	v_lshl_add_u64 v[20:21], v[2:3], 0, v[20:21]
	flat_load_dword v20, v[20:21]
	s_or_b64 exec, exec, s[0:1]
                                        ; implicit-def: $vgpr21
	s_and_saveexec_b64 s[0:1], s[34:35]
	s_cbranch_execnz .LBB508_68
.LBB508_90:
	s_or_b64 exec, exec, s[0:1]
                                        ; implicit-def: $vgpr22
	s_and_saveexec_b64 s[0:1], s[36:37]
	s_cbranch_execz .LBB508_69
.LBB508_91:
	v_lshlrev_b32_e32 v22, 2, v23
	v_mov_b32_e32 v23, 0
	v_lshl_add_u64 v[22:23], v[2:3], 0, v[22:23]
	flat_load_dword v22, v[22:23]
	s_or_b64 exec, exec, s[0:1]
                                        ; implicit-def: $vgpr23
	s_and_saveexec_b64 s[0:1], s[38:39]
	s_cbranch_execnz .LBB508_70
.LBB508_92:
	s_or_b64 exec, exec, s[0:1]
                                        ; implicit-def: $vgpr24
	s_and_saveexec_b64 s[0:1], s[40:41]
	s_cbranch_execz .LBB508_71
.LBB508_93:
	v_lshlrev_b32_e32 v24, 2, v25
	v_mov_b32_e32 v25, 0
	v_lshl_add_u64 v[24:25], v[2:3], 0, v[24:25]
	flat_load_dword v24, v[24:25]
	s_or_b64 exec, exec, s[0:1]
                                        ; implicit-def: $vgpr25
	s_and_saveexec_b64 s[0:1], s[42:43]
	s_cbranch_execnz .LBB508_72
.LBB508_94:
	s_or_b64 exec, exec, s[0:1]
                                        ; implicit-def: $vgpr26
	s_and_saveexec_b64 s[0:1], s[44:45]
	s_cbranch_execz .LBB508_73
.LBB508_95:
	v_lshlrev_b32_e32 v26, 2, v27
	v_mov_b32_e32 v27, 0
	v_lshl_add_u64 v[26:27], v[2:3], 0, v[26:27]
	flat_load_dword v26, v[26:27]
	s_or_b64 exec, exec, s[0:1]
                                        ; implicit-def: $vgpr27
	s_and_saveexec_b64 s[0:1], s[46:47]
	s_cbranch_execnz .LBB508_74
.LBB508_96:
	s_or_b64 exec, exec, s[0:1]
                                        ; implicit-def: $vgpr28
	s_and_saveexec_b64 s[0:1], s[48:49]
	s_cbranch_execz .LBB508_98
.LBB508_97:
	v_lshlrev_b32_e32 v28, 2, v29
	v_mov_b32_e32 v29, 0
	v_lshl_add_u64 v[28:29], v[2:3], 0, v[28:29]
	flat_load_dword v28, v[28:29]
.LBB508_98:
	s_or_b64 exec, exec, s[0:1]
	v_mul_u32_u24_e32 v77, 23, v0
                                        ; implicit-def: $vgpr29
	s_and_saveexec_b64 s[0:1], s[50:51]
	s_cbranch_execz .LBB508_100
; %bb.99:
	v_lshlrev_b32_e32 v36, 2, v30
	v_mov_b32_e32 v37, 0
	v_lshl_add_u64 v[36:37], v[2:3], 0, v[36:37]
	flat_load_dword v29, v[36:37]
.LBB508_100:
	s_or_b64 exec, exec, s[0:1]
	s_waitcnt vmcnt(0) lgkmcnt(0)
	ds_write2st64_b32 v6, v31, v32 offset1:4
	ds_write2st64_b32 v6, v33, v7 offset0:8 offset1:12
	ds_write2st64_b32 v6, v34, v12 offset0:16 offset1:20
	;; [unrolled: 1-line block ×10, first 2 shown]
	ds_write_b32 v6, v29 offset:22528
	v_mov_b64_e32 v[12:13], 0
	v_cmp_gt_u32_e32 vcc, s60, v77
	s_mov_b64 s[10:11], 0
	s_mov_b64 s[0:1], 0
	v_mov_b64_e32 v[14:15], v[12:13]
	v_mov_b64_e32 v[16:17], v[12:13]
	;; [unrolled: 1-line block ×21, first 2 shown]
	s_waitcnt lgkmcnt(0)
	s_barrier
	s_waitcnt lgkmcnt(0)
                                        ; implicit-def: $sgpr8_sgpr9
                                        ; implicit-def: $vgpr6
	s_and_saveexec_b64 s[6:7], vcc
	s_cbranch_execz .LBB508_146
; %bb.101:
	ds_read_b32 v6, v76
	v_mov_b32_e32 v12, s74
	v_cmp_eq_u32_e32 vcc, v78, v74
	v_add_u32_e32 v7, 1, v77
	v_mov_b64_e32 v[14:15], 0
	s_waitcnt lgkmcnt(0)
	v_cndmask_b32_e32 v12, v12, v6, vcc
	v_cmp_ne_u32_e32 vcc, v78, v74
	s_mov_b64 s[12:13], 0
	v_mov_b64_e32 v[16:17], v[14:15]
	v_cndmask_b32_e64 v13, 0, 1, vcc
	v_cmp_gt_u32_e32 vcc, s60, v7
	v_mov_b64_e32 v[18:19], v[14:15]
	v_mov_b64_e32 v[20:21], v[14:15]
	;; [unrolled: 1-line block ×19, first 2 shown]
                                        ; implicit-def: $sgpr14_sgpr15
                                        ; implicit-def: $vgpr6
	s_and_saveexec_b64 s[8:9], vcc
	s_cbranch_execz .LBB508_145
; %bb.102:
	ds_read2_b32 v[6:7], v76 offset0:1 offset1:2
	v_mov_b32_e32 v14, s74
	v_cmp_eq_u32_e32 vcc, v74, v75
	v_add_u32_e32 v16, 2, v77
	s_mov_b64 s[14:15], 0
	s_waitcnt lgkmcnt(0)
	v_cndmask_b32_e32 v14, v14, v6, vcc
	v_cmp_ne_u32_e32 vcc, v74, v75
                                        ; implicit-def: $sgpr16_sgpr17
                                        ; implicit-def: $vgpr6
	s_nop 1
	v_cndmask_b32_e64 v15, 0, 1, vcc
	v_cmp_gt_u32_e32 vcc, s60, v16
	v_mov_b64_e32 v[16:17], 0
	v_mov_b64_e32 v[18:19], v[16:17]
	;; [unrolled: 1-line block ×20, first 2 shown]
	s_and_saveexec_b64 s[10:11], vcc
	s_cbranch_execz .LBB508_144
; %bb.103:
	v_mov_b32_e32 v16, s74
	v_cmp_eq_u32_e32 vcc, v75, v72
	v_add_u32_e32 v6, 3, v77
	v_mov_b64_e32 v[18:19], 0
	v_cndmask_b32_e32 v16, v16, v7, vcc
	v_cmp_ne_u32_e32 vcc, v75, v72
	s_mov_b64 s[16:17], 0
	v_mov_b64_e32 v[20:21], v[18:19]
	v_cndmask_b32_e64 v17, 0, 1, vcc
	v_cmp_gt_u32_e32 vcc, s60, v6
	v_mov_b64_e32 v[22:23], v[18:19]
	v_mov_b64_e32 v[24:25], v[18:19]
	;; [unrolled: 1-line block ×17, first 2 shown]
                                        ; implicit-def: $sgpr18_sgpr19
                                        ; implicit-def: $vgpr6
	s_and_saveexec_b64 s[12:13], vcc
	s_cbranch_execz .LBB508_143
; %bb.104:
	ds_read2_b32 v[6:7], v76 offset0:3 offset1:4
	v_mov_b32_e32 v18, s74
	v_cmp_eq_u32_e32 vcc, v72, v73
	v_add_u32_e32 v20, 4, v77
	s_mov_b64 s[18:19], 0
	s_waitcnt lgkmcnt(0)
	v_cndmask_b32_e32 v18, v18, v6, vcc
	v_cmp_ne_u32_e32 vcc, v72, v73
                                        ; implicit-def: $sgpr20_sgpr21
                                        ; implicit-def: $vgpr6
	s_nop 1
	v_cndmask_b32_e64 v19, 0, 1, vcc
	v_cmp_gt_u32_e32 vcc, s60, v20
	v_mov_b64_e32 v[20:21], 0
	v_mov_b64_e32 v[22:23], v[20:21]
	;; [unrolled: 1-line block ×18, first 2 shown]
	s_and_saveexec_b64 s[14:15], vcc
	s_cbranch_execz .LBB508_142
; %bb.105:
	v_mov_b32_e32 v20, s74
	v_cmp_eq_u32_e32 vcc, v73, v70
	v_add_u32_e32 v6, 5, v77
	v_mov_b64_e32 v[22:23], 0
	v_cndmask_b32_e32 v20, v20, v7, vcc
	v_cmp_ne_u32_e32 vcc, v73, v70
	s_mov_b64 s[20:21], 0
	v_mov_b64_e32 v[24:25], v[22:23]
	v_cndmask_b32_e64 v21, 0, 1, vcc
	v_cmp_gt_u32_e32 vcc, s60, v6
	v_mov_b64_e32 v[26:27], v[22:23]
	v_mov_b64_e32 v[28:29], v[22:23]
	;; [unrolled: 1-line block ×15, first 2 shown]
                                        ; implicit-def: $sgpr22_sgpr23
                                        ; implicit-def: $vgpr6
	s_and_saveexec_b64 s[16:17], vcc
	s_cbranch_execz .LBB508_141
; %bb.106:
	ds_read2_b32 v[6:7], v76 offset0:5 offset1:6
	v_mov_b32_e32 v22, s74
	v_cmp_eq_u32_e32 vcc, v70, v71
	v_add_u32_e32 v24, 6, v77
	s_mov_b64 s[22:23], 0
	s_waitcnt lgkmcnt(0)
	v_cndmask_b32_e32 v22, v22, v6, vcc
	v_cmp_ne_u32_e32 vcc, v70, v71
                                        ; implicit-def: $sgpr24_sgpr25
                                        ; implicit-def: $vgpr6
	s_nop 1
	v_cndmask_b32_e64 v23, 0, 1, vcc
	v_cmp_gt_u32_e32 vcc, s60, v24
	v_mov_b64_e32 v[24:25], 0
	v_mov_b64_e32 v[26:27], v[24:25]
	;; [unrolled: 1-line block ×16, first 2 shown]
	s_and_saveexec_b64 s[18:19], vcc
	s_cbranch_execz .LBB508_140
; %bb.107:
	v_mov_b32_e32 v24, s74
	v_cmp_eq_u32_e32 vcc, v71, v68
	v_add_u32_e32 v6, 7, v77
	v_mov_b64_e32 v[26:27], 0
	v_cndmask_b32_e32 v24, v24, v7, vcc
	v_cmp_ne_u32_e32 vcc, v71, v68
	s_mov_b64 s[24:25], 0
	v_mov_b64_e32 v[28:29], v[26:27]
	v_cndmask_b32_e64 v25, 0, 1, vcc
	v_cmp_gt_u32_e32 vcc, s60, v6
	v_mov_b64_e32 v[30:31], v[26:27]
	v_mov_b64_e32 v[32:33], v[26:27]
	;; [unrolled: 1-line block ×13, first 2 shown]
                                        ; implicit-def: $sgpr26_sgpr27
                                        ; implicit-def: $vgpr6
	s_and_saveexec_b64 s[20:21], vcc
	s_cbranch_execz .LBB508_139
; %bb.108:
	ds_read2_b32 v[6:7], v76 offset0:7 offset1:8
	v_mov_b32_e32 v26, s74
	v_cmp_eq_u32_e32 vcc, v68, v69
	v_add_u32_e32 v28, 8, v77
	s_mov_b64 s[26:27], 0
	s_waitcnt lgkmcnt(0)
	v_cndmask_b32_e32 v26, v26, v6, vcc
	v_cmp_ne_u32_e32 vcc, v68, v69
                                        ; implicit-def: $sgpr28_sgpr29
                                        ; implicit-def: $vgpr6
	s_nop 1
	v_cndmask_b32_e64 v27, 0, 1, vcc
	v_cmp_gt_u32_e32 vcc, s60, v28
	v_mov_b64_e32 v[28:29], 0
	v_mov_b64_e32 v[30:31], v[28:29]
	;; [unrolled: 1-line block ×14, first 2 shown]
	s_and_saveexec_b64 s[22:23], vcc
	s_cbranch_execz .LBB508_138
; %bb.109:
	v_mov_b32_e32 v28, s74
	v_cmp_eq_u32_e32 vcc, v69, v66
	v_add_u32_e32 v6, 9, v77
	v_mov_b64_e32 v[30:31], 0
	v_cndmask_b32_e32 v28, v28, v7, vcc
	v_cmp_ne_u32_e32 vcc, v69, v66
	s_mov_b64 s[28:29], 0
	v_mov_b64_e32 v[32:33], v[30:31]
	v_cndmask_b32_e64 v29, 0, 1, vcc
	v_cmp_gt_u32_e32 vcc, s60, v6
	v_mov_b64_e32 v[34:35], v[30:31]
	v_mov_b64_e32 v[36:37], v[30:31]
	;; [unrolled: 1-line block ×11, first 2 shown]
                                        ; implicit-def: $sgpr30_sgpr31
                                        ; implicit-def: $vgpr6
	s_and_saveexec_b64 s[24:25], vcc
	s_cbranch_execz .LBB508_137
; %bb.110:
	ds_read2_b32 v[6:7], v76 offset0:9 offset1:10
	v_mov_b32_e32 v30, s74
	v_cmp_eq_u32_e32 vcc, v66, v67
	v_add_u32_e32 v32, 10, v77
	s_mov_b64 s[30:31], 0
	s_waitcnt lgkmcnt(0)
	v_cndmask_b32_e32 v30, v30, v6, vcc
	v_cmp_ne_u32_e32 vcc, v66, v67
                                        ; implicit-def: $sgpr34_sgpr35
                                        ; implicit-def: $vgpr6
	s_nop 1
	v_cndmask_b32_e64 v31, 0, 1, vcc
	v_cmp_gt_u32_e32 vcc, s60, v32
	v_mov_b64_e32 v[32:33], 0
	v_mov_b64_e32 v[34:35], v[32:33]
	;; [unrolled: 1-line block ×12, first 2 shown]
	s_and_saveexec_b64 s[26:27], vcc
	s_cbranch_execz .LBB508_136
; %bb.111:
	v_mov_b32_e32 v32, s74
	v_cmp_eq_u32_e32 vcc, v67, v64
	v_add_u32_e32 v6, 11, v77
	v_mov_b64_e32 v[34:35], 0
	v_cndmask_b32_e32 v32, v32, v7, vcc
	v_cmp_ne_u32_e32 vcc, v67, v64
	s_mov_b64 s[34:35], 0
	v_mov_b64_e32 v[36:37], v[34:35]
	v_cndmask_b32_e64 v33, 0, 1, vcc
	v_cmp_gt_u32_e32 vcc, s60, v6
	v_mov_b64_e32 v[38:39], v[34:35]
	v_mov_b64_e32 v[40:41], v[34:35]
	;; [unrolled: 1-line block ×9, first 2 shown]
                                        ; implicit-def: $sgpr36_sgpr37
                                        ; implicit-def: $vgpr6
	s_and_saveexec_b64 s[28:29], vcc
	s_cbranch_execz .LBB508_135
; %bb.112:
	ds_read2_b32 v[6:7], v76 offset0:11 offset1:12
	v_mov_b32_e32 v34, s74
	v_cmp_eq_u32_e32 vcc, v64, v65
	v_add_u32_e32 v36, 12, v77
	s_mov_b64 s[36:37], 0
	s_waitcnt lgkmcnt(0)
	v_cndmask_b32_e32 v34, v34, v6, vcc
	v_cmp_ne_u32_e32 vcc, v64, v65
                                        ; implicit-def: $sgpr38_sgpr39
                                        ; implicit-def: $vgpr6
	s_nop 1
	v_cndmask_b32_e64 v35, 0, 1, vcc
	v_cmp_gt_u32_e32 vcc, s60, v36
	v_mov_b64_e32 v[36:37], 0
	v_mov_b64_e32 v[38:39], v[36:37]
	;; [unrolled: 1-line block ×10, first 2 shown]
	s_and_saveexec_b64 s[30:31], vcc
	s_cbranch_execz .LBB508_134
; %bb.113:
	v_mov_b32_e32 v36, s74
	v_cmp_eq_u32_e32 vcc, v65, v62
	v_add_u32_e32 v6, 13, v77
	v_mov_b64_e32 v[38:39], 0
	v_cndmask_b32_e32 v36, v36, v7, vcc
	v_cmp_ne_u32_e32 vcc, v65, v62
	s_mov_b64 s[38:39], 0
	v_mov_b64_e32 v[40:41], v[38:39]
	v_cndmask_b32_e64 v37, 0, 1, vcc
	v_cmp_gt_u32_e32 vcc, s60, v6
	v_mov_b64_e32 v[42:43], v[38:39]
	v_mov_b64_e32 v[44:45], v[38:39]
	;; [unrolled: 1-line block ×7, first 2 shown]
                                        ; implicit-def: $sgpr40_sgpr41
                                        ; implicit-def: $vgpr6
	s_and_saveexec_b64 s[34:35], vcc
	s_cbranch_execz .LBB508_133
; %bb.114:
	ds_read2_b32 v[6:7], v76 offset0:13 offset1:14
	v_mov_b32_e32 v38, s74
	v_cmp_eq_u32_e32 vcc, v62, v63
	v_add_u32_e32 v40, 14, v77
	s_mov_b64 s[40:41], 0
	s_waitcnt lgkmcnt(0)
	v_cndmask_b32_e32 v38, v38, v6, vcc
	v_cmp_ne_u32_e32 vcc, v62, v63
                                        ; implicit-def: $sgpr42_sgpr43
                                        ; implicit-def: $vgpr6
	s_nop 1
	v_cndmask_b32_e64 v39, 0, 1, vcc
	v_cmp_gt_u32_e32 vcc, s60, v40
	v_mov_b64_e32 v[40:41], 0
	v_mov_b64_e32 v[42:43], v[40:41]
	;; [unrolled: 1-line block ×8, first 2 shown]
	s_and_saveexec_b64 s[36:37], vcc
	s_cbranch_execz .LBB508_132
; %bb.115:
	v_mov_b32_e32 v40, s74
	v_cmp_eq_u32_e32 vcc, v63, v60
	v_add_u32_e32 v6, 15, v77
	v_mov_b64_e32 v[42:43], 0
	v_cndmask_b32_e32 v40, v40, v7, vcc
	v_cmp_ne_u32_e32 vcc, v63, v60
	s_mov_b64 s[42:43], 0
	v_mov_b64_e32 v[44:45], v[42:43]
	v_cndmask_b32_e64 v41, 0, 1, vcc
	v_cmp_gt_u32_e32 vcc, s60, v6
	v_mov_b64_e32 v[46:47], v[42:43]
	v_mov_b64_e32 v[48:49], v[42:43]
	;; [unrolled: 1-line block ×5, first 2 shown]
                                        ; implicit-def: $sgpr44_sgpr45
                                        ; implicit-def: $vgpr6
	s_and_saveexec_b64 s[38:39], vcc
	s_cbranch_execz .LBB508_131
; %bb.116:
	ds_read2_b32 v[6:7], v76 offset0:15 offset1:16
	v_mov_b32_e32 v42, s74
	v_cmp_eq_u32_e32 vcc, v60, v61
	v_add_u32_e32 v44, 16, v77
	s_mov_b64 s[44:45], 0
	s_waitcnt lgkmcnt(0)
	v_cndmask_b32_e32 v42, v42, v6, vcc
	v_cmp_ne_u32_e32 vcc, v60, v61
                                        ; implicit-def: $sgpr46_sgpr47
                                        ; implicit-def: $vgpr6
	s_nop 1
	v_cndmask_b32_e64 v43, 0, 1, vcc
	v_cmp_gt_u32_e32 vcc, s60, v44
	v_mov_b64_e32 v[44:45], 0
	v_mov_b64_e32 v[46:47], v[44:45]
	;; [unrolled: 1-line block ×6, first 2 shown]
	s_and_saveexec_b64 s[40:41], vcc
	s_cbranch_execz .LBB508_130
; %bb.117:
	v_mov_b32_e32 v44, s74
	v_cmp_eq_u32_e32 vcc, v61, v58
	v_add_u32_e32 v6, 17, v77
	v_mov_b64_e32 v[46:47], 0
	v_cndmask_b32_e32 v44, v44, v7, vcc
	v_cmp_ne_u32_e32 vcc, v61, v58
	s_mov_b64 s[46:47], 0
	v_mov_b64_e32 v[48:49], v[46:47]
	v_cndmask_b32_e64 v45, 0, 1, vcc
	v_cmp_gt_u32_e32 vcc, s60, v6
	v_mov_b64_e32 v[50:51], v[46:47]
	v_mov_b64_e32 v[52:53], v[46:47]
	;; [unrolled: 1-line block ×3, first 2 shown]
                                        ; implicit-def: $sgpr48_sgpr49
                                        ; implicit-def: $vgpr6
	s_and_saveexec_b64 s[42:43], vcc
	s_cbranch_execz .LBB508_129
; %bb.118:
	ds_read2_b32 v[6:7], v76 offset0:17 offset1:18
	v_mov_b32_e32 v46, s74
	v_cmp_eq_u32_e32 vcc, v58, v59
	v_add_u32_e32 v48, 18, v77
	s_mov_b64 s[48:49], 0
	s_waitcnt lgkmcnt(0)
	v_cndmask_b32_e32 v46, v46, v6, vcc
	v_cmp_ne_u32_e32 vcc, v58, v59
                                        ; implicit-def: $sgpr50_sgpr51
                                        ; implicit-def: $vgpr6
	s_nop 1
	v_cndmask_b32_e64 v47, 0, 1, vcc
	v_cmp_gt_u32_e32 vcc, s60, v48
	v_mov_b64_e32 v[48:49], 0
	v_mov_b64_e32 v[50:51], v[48:49]
	;; [unrolled: 1-line block ×4, first 2 shown]
	s_and_saveexec_b64 s[44:45], vcc
	s_cbranch_execz .LBB508_128
; %bb.119:
	v_mov_b32_e32 v48, s74
	v_cmp_eq_u32_e32 vcc, v59, v56
	v_add_u32_e32 v6, 19, v77
	v_mov_b64_e32 v[50:51], 0
	v_cndmask_b32_e32 v48, v48, v7, vcc
	v_cmp_ne_u32_e32 vcc, v59, v56
	s_mov_b64 s[50:51], 0
	v_mov_b64_e32 v[52:53], v[50:51]
	v_cndmask_b32_e64 v49, 0, 1, vcc
	v_cmp_gt_u32_e32 vcc, s60, v6
	v_mov_b64_e32 v[54:55], v[50:51]
                                        ; implicit-def: $sgpr56_sgpr57
                                        ; implicit-def: $vgpr6
	s_and_saveexec_b64 s[46:47], vcc
	s_cbranch_execz .LBB508_127
; %bb.120:
	ds_read2_b32 v[6:7], v76 offset0:19 offset1:20
	v_mov_b32_e32 v50, s74
	v_cmp_eq_u32_e32 vcc, v56, v57
	v_add_u32_e32 v52, 20, v77
	s_mov_b64 s[56:57], 0
	s_waitcnt lgkmcnt(0)
	v_cndmask_b32_e32 v50, v50, v6, vcc
	v_cmp_ne_u32_e32 vcc, v56, v57
                                        ; implicit-def: $sgpr58_sgpr59
                                        ; implicit-def: $vgpr6
	s_nop 1
	v_cndmask_b32_e64 v51, 0, 1, vcc
	v_cmp_gt_u32_e32 vcc, s60, v52
	v_mov_b64_e32 v[52:53], 0
	v_mov_b64_e32 v[54:55], v[52:53]
	s_and_saveexec_b64 s[48:49], vcc
	s_cbranch_execz .LBB508_126
; %bb.121:
	v_mov_b32_e32 v52, s74
	v_cmp_eq_u32_e32 vcc, v57, v8
	v_add_u32_e32 v6, 21, v77
	v_mov_b64_e32 v[54:55], 0
	v_cndmask_b32_e32 v52, v52, v7, vcc
	v_cmp_ne_u32_e32 vcc, v57, v8
                                        ; implicit-def: $sgpr58_sgpr59
	s_nop 1
	v_cndmask_b32_e64 v53, 0, 1, vcc
	v_cmp_gt_u32_e32 vcc, s60, v6
                                        ; implicit-def: $vgpr6
	s_and_saveexec_b64 s[50:51], vcc
	s_cbranch_execz .LBB508_125
; %bb.122:
	ds_read2_b32 v[6:7], v76 offset0:21 offset1:22
	v_mov_b32_e32 v54, s74
	v_cmp_eq_u32_e32 vcc, v8, v9
	v_add_u32_e32 v56, 22, v77
                                        ; implicit-def: $sgpr58_sgpr59
	s_waitcnt lgkmcnt(0)
	v_cndmask_b32_e32 v54, v54, v6, vcc
	v_cmp_ne_u32_e32 vcc, v8, v9
                                        ; implicit-def: $vgpr6
	s_nop 1
	v_cndmask_b32_e64 v55, 0, 1, vcc
	v_cmp_gt_u32_e32 vcc, s60, v56
	s_and_saveexec_b64 s[60:61], vcc
	s_xor_b64 s[60:61], exec, s[60:61]
; %bb.123:
	v_mov_b32_e32 v6, s74
	v_cmp_ne_u32_e32 vcc, v9, v1
	s_mov_b64 s[56:57], exec
	s_and_b64 s[58:59], vcc, exec
	v_cndmask_b32_e32 v6, v7, v6, vcc
; %bb.124:
	s_or_b64 exec, exec, s[60:61]
	s_and_b64 s[58:59], s[58:59], exec
	s_and_b64 s[56:57], s[56:57], exec
.LBB508_125:
	s_or_b64 exec, exec, s[50:51]
	s_and_b64 s[58:59], s[58:59], exec
	s_and_b64 s[50:51], s[56:57], exec
.LBB508_126:
	s_or_b64 exec, exec, s[48:49]
	s_and_b64 s[56:57], s[58:59], exec
	s_and_b64 s[48:49], s[50:51], exec
.LBB508_127:
	s_or_b64 exec, exec, s[46:47]
	s_and_b64 s[50:51], s[56:57], exec
	s_and_b64 s[46:47], s[48:49], exec
.LBB508_128:
	s_or_b64 exec, exec, s[44:45]
	s_and_b64 s[48:49], s[50:51], exec
	s_and_b64 s[44:45], s[46:47], exec
.LBB508_129:
	s_or_b64 exec, exec, s[42:43]
	s_and_b64 s[46:47], s[48:49], exec
	s_and_b64 s[42:43], s[44:45], exec
.LBB508_130:
	s_or_b64 exec, exec, s[40:41]
	s_and_b64 s[44:45], s[46:47], exec
	s_and_b64 s[40:41], s[42:43], exec
.LBB508_131:
	s_or_b64 exec, exec, s[38:39]
	s_and_b64 s[42:43], s[44:45], exec
	s_and_b64 s[38:39], s[40:41], exec
.LBB508_132:
	s_or_b64 exec, exec, s[36:37]
	s_and_b64 s[40:41], s[42:43], exec
	s_and_b64 s[36:37], s[38:39], exec
.LBB508_133:
	s_or_b64 exec, exec, s[34:35]
	s_and_b64 s[38:39], s[40:41], exec
	s_and_b64 s[34:35], s[36:37], exec
.LBB508_134:
	s_or_b64 exec, exec, s[30:31]
	s_and_b64 s[36:37], s[38:39], exec
	s_and_b64 s[30:31], s[34:35], exec
.LBB508_135:
	s_or_b64 exec, exec, s[28:29]
	s_and_b64 s[34:35], s[36:37], exec
	s_and_b64 s[28:29], s[30:31], exec
.LBB508_136:
	s_or_b64 exec, exec, s[26:27]
	s_and_b64 s[30:31], s[34:35], exec
	s_and_b64 s[26:27], s[28:29], exec
.LBB508_137:
	s_or_b64 exec, exec, s[24:25]
	s_and_b64 s[28:29], s[30:31], exec
	s_and_b64 s[24:25], s[26:27], exec
.LBB508_138:
	s_or_b64 exec, exec, s[22:23]
	s_and_b64 s[26:27], s[28:29], exec
	s_and_b64 s[22:23], s[24:25], exec
.LBB508_139:
	s_or_b64 exec, exec, s[20:21]
	s_and_b64 s[24:25], s[26:27], exec
	s_and_b64 s[20:21], s[22:23], exec
.LBB508_140:
	s_or_b64 exec, exec, s[18:19]
	s_and_b64 s[22:23], s[24:25], exec
	s_and_b64 s[18:19], s[20:21], exec
.LBB508_141:
	s_or_b64 exec, exec, s[16:17]
	s_and_b64 s[20:21], s[22:23], exec
	s_and_b64 s[16:17], s[18:19], exec
.LBB508_142:
	s_or_b64 exec, exec, s[14:15]
	s_and_b64 s[18:19], s[20:21], exec
	s_and_b64 s[14:15], s[16:17], exec
.LBB508_143:
	s_or_b64 exec, exec, s[12:13]
	s_and_b64 s[16:17], s[18:19], exec
	s_and_b64 s[12:13], s[14:15], exec
.LBB508_144:
	s_or_b64 exec, exec, s[10:11]
	s_and_b64 s[14:15], s[16:17], exec
	s_and_b64 s[10:11], s[12:13], exec
.LBB508_145:
	s_or_b64 exec, exec, s[8:9]
	s_and_b64 s[8:9], s[14:15], exec
	s_and_b64 s[10:11], s[10:11], exec
.LBB508_146:
	s_or_b64 exec, exec, s[6:7]
	s_mov_b64 s[6:7], 0
	s_and_b64 vcc, exec, s[0:1]
	v_lshlrev_b32_e32 v56, 2, v0
	s_cbranch_vccz .LBB508_152
.LBB508_147:
	v_mov_b32_e32 v57, 0
	v_lshl_add_u64 v[6:7], v[4:5], 0, v[56:57]
	v_add_co_u32_e32 v8, vcc, 0x1000, v6
	s_movk_i32 s6, 0x58
	s_nop 0
	v_addc_co_u32_e32 v9, vcc, 0, v7, vcc
	flat_load_dword v1, v[6:7]
	flat_load_dword v14, v[6:7] offset:1024
	flat_load_dword v15, v[6:7] offset:2048
	flat_load_dword v16, v[6:7] offset:3072
	flat_load_dword v17, v[8:9]
	flat_load_dword v18, v[8:9] offset:1024
	flat_load_dword v19, v[8:9] offset:2048
	flat_load_dword v20, v[8:9] offset:3072
	v_add_co_u32_e32 v8, vcc, 0x2000, v6
	s_movk_i32 s11, 0x1000
	s_nop 0
	v_addc_co_u32_e32 v9, vcc, 0, v7, vcc
	v_add_co_u32_e32 v12, vcc, 0x3000, v6
	s_mov_b32 s0, 0
	s_nop 0
	v_addc_co_u32_e32 v13, vcc, 0, v7, vcc
	flat_load_dword v21, v[8:9]
	flat_load_dword v22, v[8:9] offset:1024
	flat_load_dword v23, v[8:9] offset:2048
	;; [unrolled: 1-line block ×3, first 2 shown]
	flat_load_dword v25, v[12:13]
	flat_load_dword v26, v[12:13] offset:1024
	flat_load_dword v27, v[12:13] offset:2048
	;; [unrolled: 1-line block ×3, first 2 shown]
	v_add_co_u32_e32 v8, vcc, 0x4000, v6
	s_movk_i32 s10, 0x2000
	s_nop 0
	v_addc_co_u32_e32 v9, vcc, 0, v7, vcc
	v_add_co_u32_e32 v6, vcc, 0x5000, v6
	s_movk_i32 s9, 0x3000
	s_nop 0
	v_addc_co_u32_e32 v7, vcc, 0, v7, vcc
	flat_load_dword v12, v[8:9]
	flat_load_dword v13, v[8:9] offset:1024
	flat_load_dword v29, v[8:9] offset:2048
	;; [unrolled: 1-line block ×3, first 2 shown]
	flat_load_dword v31, v[6:7]
	flat_load_dword v32, v[6:7] offset:1024
	flat_load_dword v33, v[6:7] offset:2048
	v_add_co_u32_e32 v4, vcc, 0x5000, v4
	s_movk_i32 s8, 0x4000
	s_nop 0
	v_addc_co_u32_e32 v5, vcc, 0, v5, vcc
	s_movk_i32 s1, 0x5000
	s_waitcnt vmcnt(0) lgkmcnt(0)
	ds_write2st64_b32 v56, v1, v14 offset1:4
	ds_write2st64_b32 v56, v15, v16 offset0:8 offset1:12
	ds_write2st64_b32 v56, v17, v18 offset0:16 offset1:20
	;; [unrolled: 1-line block ×10, first 2 shown]
	ds_write_b32 v56, v33 offset:22528
	s_waitcnt lgkmcnt(0)
	s_barrier
	flat_load_dword v1, v[4:5] offset:3072
	v_mad_u32_u24 v14, v0, s6, v56
	s_movk_i32 s6, 0xffa8
	v_mad_i32_i24 v13, v0, s6, v14
	s_movk_i32 s6, 0xff
	v_cmp_ne_u32_e32 vcc, s6, v0
	ds_read_b32 v12, v14
	ds_read2_b32 v[16:17], v14 offset0:1 offset1:2
	ds_read2_b32 v[20:21], v14 offset0:3 offset1:4
	;; [unrolled: 1-line block ×11, first 2 shown]
	s_waitcnt lgkmcnt(0)
	ds_write_b32 v13, v12 offset:24576
	s_waitcnt lgkmcnt(0)
	s_barrier
	s_and_saveexec_b64 s[6:7], vcc
	s_cbranch_execz .LBB508_149
; %bb.148:
	s_waitcnt vmcnt(0)
	ds_read_b32 v1, v56 offset:24580
.LBB508_149:
	s_or_b64 exec, exec, s[6:7]
	v_lshl_add_u64 v[2:3], v[2:3], 0, v[56:57]
	v_add_co_u32_e32 v18, vcc, s11, v2
	s_waitcnt lgkmcnt(0)
	s_nop 0
	v_addc_co_u32_e32 v19, vcc, 0, v3, vcc
	s_barrier
	flat_load_dword v13, v[2:3]
	flat_load_dword v15, v[2:3] offset:1024
	flat_load_dword v26, v[2:3] offset:2048
	;; [unrolled: 1-line block ×3, first 2 shown]
	flat_load_dword v30, v[18:19]
	flat_load_dword v31, v[18:19] offset:1024
	flat_load_dword v34, v[18:19] offset:2048
	;; [unrolled: 1-line block ×3, first 2 shown]
	v_add_co_u32_e32 v18, vcc, s10, v2
	s_nop 1
	v_addc_co_u32_e32 v19, vcc, 0, v3, vcc
	v_add_co_u32_e32 v22, vcc, s9, v2
	s_nop 1
	v_addc_co_u32_e32 v23, vcc, 0, v3, vcc
	flat_load_dword v38, v[18:19]
	flat_load_dword v39, v[18:19] offset:1024
	flat_load_dword v42, v[18:19] offset:2048
	;; [unrolled: 1-line block ×3, first 2 shown]
	flat_load_dword v46, v[22:23]
	flat_load_dword v47, v[22:23] offset:1024
	flat_load_dword v48, v[22:23] offset:2048
	;; [unrolled: 1-line block ×3, first 2 shown]
	v_add_co_u32_e32 v18, vcc, s8, v2
	s_nop 1
	v_addc_co_u32_e32 v19, vcc, 0, v3, vcc
	v_add_co_u32_e32 v2, vcc, s1, v2
	s_mov_b32 s1, 1
	s_nop 0
	v_addc_co_u32_e32 v3, vcc, 0, v3, vcc
	flat_load_dword v22, v[18:19]
	flat_load_dword v23, v[18:19] offset:1024
	flat_load_dword v50, v[18:19] offset:2048
	;; [unrolled: 1-line block ×3, first 2 shown]
	flat_load_dword v52, v[2:3]
	flat_load_dword v53, v[2:3] offset:1024
	flat_load_dword v54, v[2:3] offset:2048
	v_cmp_eq_u32_e32 vcc, v12, v16
	s_waitcnt vmcnt(0) lgkmcnt(0)
	ds_write2st64_b32 v56, v13, v15 offset1:4
	ds_write2st64_b32 v56, v26, v27 offset0:8 offset1:12
	ds_write2st64_b32 v56, v30, v31 offset0:16 offset1:20
	;; [unrolled: 1-line block ×10, first 2 shown]
	ds_write_b32 v56, v54 offset:22528
	s_waitcnt lgkmcnt(0)
	s_barrier
	ds_read2_b32 v[18:19], v14 offset0:1 offset1:2
	ds_read2_b32 v[22:23], v14 offset0:3 offset1:4
	;; [unrolled: 1-line block ×11, first 2 shown]
	v_mov_b64_e32 v[12:13], s[0:1]
	v_mov_b32_e32 v15, s74
	s_and_saveexec_b64 s[0:1], vcc
	s_cbranch_execz .LBB508_151
; %bb.150:
	ds_read_b32 v15, v14
	v_mov_b64_e32 v[12:13], 0
.LBB508_151:
	s_or_b64 exec, exec, s[0:1]
	v_mov_b32_e32 v57, s74
	v_cmp_eq_u32_e32 vcc, v16, v17
	s_waitcnt lgkmcnt(0)
	v_or_b32_e32 v12, v12, v15
	v_cmp_ne_u32_e64 s[8:9], v5, v1
	v_cndmask_b32_e32 v14, v57, v18, vcc
	v_cmp_ne_u32_e32 vcc, v16, v17
	s_mov_b64 s[10:11], -1
                                        ; implicit-def: $sgpr6_sgpr7
	s_nop 0
	v_cndmask_b32_e64 v15, 0, 1, vcc
	v_cmp_eq_u32_e32 vcc, v17, v20
	s_nop 1
	v_cndmask_b32_e32 v16, v57, v19, vcc
	v_cmp_ne_u32_e32 vcc, v17, v20
	s_nop 1
	v_cndmask_b32_e64 v17, 0, 1, vcc
	v_cmp_eq_u32_e32 vcc, v20, v21
	s_nop 1
	v_cndmask_b32_e32 v18, v57, v22, vcc
	v_cmp_ne_u32_e32 vcc, v20, v21
	s_nop 1
	v_cndmask_b32_e64 v19, 0, 1, vcc
	v_cmp_eq_u32_e32 vcc, v21, v24
	s_nop 1
	v_cndmask_b32_e32 v20, v57, v23, vcc
	v_cmp_ne_u32_e32 vcc, v21, v24
	s_nop 1
	v_cndmask_b32_e64 v21, 0, 1, vcc
	v_cmp_eq_u32_e32 vcc, v24, v25
	s_nop 1
	v_cndmask_b32_e32 v22, v57, v26, vcc
	v_cmp_ne_u32_e32 vcc, v24, v25
	s_nop 1
	v_cndmask_b32_e64 v23, 0, 1, vcc
	v_cmp_eq_u32_e32 vcc, v25, v28
	s_nop 1
	v_cndmask_b32_e32 v24, v57, v27, vcc
	v_cmp_ne_u32_e32 vcc, v25, v28
	s_nop 1
	v_cndmask_b32_e64 v25, 0, 1, vcc
	v_cmp_eq_u32_e32 vcc, v28, v29
	s_nop 1
	v_cndmask_b32_e32 v26, v57, v30, vcc
	v_cmp_ne_u32_e32 vcc, v28, v29
	s_nop 1
	v_cndmask_b32_e64 v27, 0, 1, vcc
	v_cmp_eq_u32_e32 vcc, v29, v32
	s_nop 1
	v_cndmask_b32_e32 v28, v57, v31, vcc
	v_cmp_ne_u32_e32 vcc, v29, v32
	s_nop 1
	v_cndmask_b32_e64 v29, 0, 1, vcc
	v_cmp_eq_u32_e32 vcc, v32, v33
	s_nop 1
	v_cndmask_b32_e32 v30, v57, v34, vcc
	v_cmp_ne_u32_e32 vcc, v32, v33
	s_nop 1
	v_cndmask_b32_e64 v31, 0, 1, vcc
	v_cmp_eq_u32_e32 vcc, v33, v36
	s_nop 1
	v_cndmask_b32_e32 v32, v57, v35, vcc
	v_cmp_ne_u32_e32 vcc, v33, v36
	s_nop 1
	v_cndmask_b32_e64 v33, 0, 1, vcc
	v_cmp_eq_u32_e32 vcc, v36, v37
	s_nop 1
	v_cndmask_b32_e32 v34, v57, v38, vcc
	v_cmp_ne_u32_e32 vcc, v36, v37
	s_nop 1
	v_cndmask_b32_e64 v35, 0, 1, vcc
	v_cmp_eq_u32_e32 vcc, v37, v40
	s_nop 1
	v_cndmask_b32_e32 v36, v57, v39, vcc
	v_cmp_ne_u32_e32 vcc, v37, v40
	s_nop 1
	v_cndmask_b32_e64 v37, 0, 1, vcc
	v_cmp_eq_u32_e32 vcc, v40, v41
	s_nop 1
	v_cndmask_b32_e32 v38, v57, v42, vcc
	v_cmp_ne_u32_e32 vcc, v40, v41
	s_nop 1
	v_cndmask_b32_e64 v39, 0, 1, vcc
	v_cmp_eq_u32_e32 vcc, v41, v44
	s_nop 1
	v_cndmask_b32_e32 v40, v57, v43, vcc
	v_cmp_ne_u32_e32 vcc, v41, v44
	s_nop 1
	v_cndmask_b32_e64 v41, 0, 1, vcc
	v_cmp_eq_u32_e32 vcc, v44, v45
	s_nop 1
	v_cndmask_b32_e32 v42, v57, v46, vcc
	v_cmp_ne_u32_e32 vcc, v44, v45
	s_nop 1
	v_cndmask_b32_e64 v43, 0, 1, vcc
	v_cmp_eq_u32_e32 vcc, v45, v8
	s_nop 1
	v_cndmask_b32_e32 v44, v57, v47, vcc
	v_cmp_ne_u32_e32 vcc, v45, v8
	s_nop 1
	v_cndmask_b32_e64 v45, 0, 1, vcc
	v_cmp_eq_u32_e32 vcc, v8, v9
	s_nop 1
	v_cndmask_b32_e32 v46, v57, v48, vcc
	v_cmp_ne_u32_e32 vcc, v8, v9
	s_nop 1
	v_cndmask_b32_e64 v47, 0, 1, vcc
	v_cmp_eq_u32_e32 vcc, v9, v6
	s_nop 1
	v_cndmask_b32_e32 v48, v57, v49, vcc
	v_cmp_ne_u32_e32 vcc, v9, v6
	s_nop 1
	v_cndmask_b32_e64 v49, 0, 1, vcc
	v_cmp_eq_u32_e32 vcc, v6, v7
	s_nop 1
	v_cndmask_b32_e32 v50, v57, v52, vcc
	v_cmp_ne_u32_e32 vcc, v6, v7
	v_cndmask_b32_e64 v6, v3, v57, s[8:9]
	s_nop 0
	v_cndmask_b32_e64 v51, 0, 1, vcc
	v_cmp_eq_u32_e32 vcc, v7, v4
	s_nop 1
	v_cndmask_b32_e32 v52, v57, v53, vcc
	v_cmp_ne_u32_e32 vcc, v7, v4
	s_nop 1
	v_cndmask_b32_e64 v53, 0, 1, vcc
	v_cmp_eq_u32_e32 vcc, v4, v5
	s_nop 1
	v_cndmask_b32_e32 v54, v57, v2, vcc
	v_cmp_ne_u32_e32 vcc, v4, v5
	s_nop 1
	v_cndmask_b32_e64 v55, 0, 1, vcc
.LBB508_152:
	v_mov_b64_e32 v[58:59], s[6:7]
	s_and_saveexec_b64 s[0:1], s[10:11]
; %bb.153:
	v_cndmask_b32_e64 v7, 0, 1, s[8:9]
	v_mov_b64_e32 v[58:59], v[6:7]
; %bb.154:
	s_or_b64 exec, exec, s[0:1]
	s_mov_b32 s0, 0
	s_cmp_lg_u32 s67, 0
	v_or_b32_e32 v57, v59, v55
	v_lshrrev_b32_e32 v1, 5, v0
	v_cmp_gt_u32_e32 vcc, 64, v0
	s_barrier
	s_cbranch_scc0 .LBB508_219
; %bb.155:
	s_mov_b32 s1, 1
	v_cmp_gt_u64_e64 s[6:7], s[0:1], v[14:15]
	v_cmp_gt_u64_e64 s[8:9], s[0:1], v[16:17]
	v_cmp_gt_u64_e64 s[10:11], s[0:1], v[18:19]
	v_cndmask_b32_e64 v2, 1, v12, s[6:7]
	v_mul_lo_u32 v2, v2, v14
	v_cndmask_b32_e64 v2, 1, v2, s[8:9]
	v_mul_lo_u32 v2, v2, v16
	v_cndmask_b32_e64 v2, 1, v2, s[10:11]
	v_mul_lo_u32 v2, v2, v18
	v_cmp_gt_u64_e64 s[12:13], s[0:1], v[20:21]
	v_cmp_gt_u64_e64 s[14:15], s[0:1], v[22:23]
	v_cmp_gt_u64_e64 s[16:17], s[0:1], v[24:25]
	v_cndmask_b32_e64 v2, 1, v2, s[12:13]
	v_mul_lo_u32 v2, v2, v20
	v_cndmask_b32_e64 v2, 1, v2, s[14:15]
	v_mul_lo_u32 v2, v2, v22
	v_cndmask_b32_e64 v2, 1, v2, s[16:17]
	v_mul_lo_u32 v2, v2, v24
	;; [unrolled: 9-line block ×7, first 2 shown]
	v_cmp_gt_u64_e64 s[0:1], s[0:1], v[58:59]
	s_nop 1
	v_cndmask_b32_e64 v2, 1, v2, s[0:1]
	v_mul_lo_u32 v64, v2, v58
	v_or3_b32 v2, v57, v53, v51
	v_or3_b32 v2, v2, v49, v47
	;; [unrolled: 1-line block ×10, first 2 shown]
	v_and_b32_e32 v2, 1, v2
	v_cmp_eq_u32_e64 s[0:1], 1, v2
	v_add_lshl_u32 v2, v1, v0, 3
	s_nop 0
	v_cndmask_b32_e64 v65, v13, 1, s[0:1]
	ds_write_b32 v2, v64
	ds_write_b8 v2, v65 offset:4
	s_waitcnt lgkmcnt(0)
	s_barrier
	s_and_saveexec_b64 s[50:51], vcc
	s_cbranch_execz .LBB508_169
; %bb.156:
	v_lshrrev_b32_e32 v2, 3, v0
	v_add_lshl_u32 v4, v2, v56, 3
	ds_read2_b32 v[6:7], v4 offset0:2 offset1:4
	ds_read_b64 v[2:3], v4
	ds_read_u8 v8, v4 offset:12
	ds_read_u8 v9, v4 offset:20
	ds_read_b32 v60, v4 offset:24
	ds_read_u8 v61, v4 offset:28
	v_mov_b32_e32 v62, 0
	s_waitcnt lgkmcnt(3)
	v_cmp_eq_u16_sdwa s[0:1], v8, v62 src0_sel:BYTE_0 src1_sel:DWORD
	v_and_b32_e32 v5, 1, v3
	s_nop 0
	v_cndmask_b32_e64 v63, 1, v2, s[0:1]
	v_mul_lo_u32 v6, v63, v6
	s_waitcnt lgkmcnt(2)
	v_cmp_eq_u16_sdwa s[0:1], v9, v62 src0_sel:BYTE_0 src1_sel:DWORD
	s_nop 1
	v_cndmask_b32_e64 v6, 1, v6, s[0:1]
	v_mul_lo_u32 v6, v6, v7
	s_waitcnt lgkmcnt(0)
	v_or_b32_e32 v7, v61, v9
	v_or_b32_e32 v7, v7, v8
	v_cmp_eq_u16_e64 s[0:1], 0, v61
	v_and_b32_e32 v7, 1, v7
	v_mbcnt_lo_u32_b32 v8, -1, 0
	v_cndmask_b32_e64 v6, 1, v6, s[0:1]
	v_cmp_eq_u32_e64 s[0:1], 1, v7
	v_and_b32_e32 v7, 0xffffff00, v3
	v_mbcnt_hi_u32_b32 v8, -1, v8
	v_cndmask_b32_e64 v9, v5, 1, s[0:1]
	v_mul_lo_u32 v6, v6, v60
	v_and_b32_e32 v61, 15, v8
	v_or_b32_sdwa v60, v7, v9 dst_sel:DWORD dst_unused:UNUSED_PAD src0_sel:DWORD src1_sel:WORD_0
	v_mov_b32_dpp v63, v6 row_shr:1 row_mask:0xf bank_mask:0xf
	v_cmp_ne_u32_e64 s[0:1], 0, v61
	v_mov_b32_dpp v62, v60 row_shr:1 row_mask:0xf bank_mask:0xf
	s_and_saveexec_b64 s[56:57], s[0:1]
; %bb.157:
	v_cmp_eq_u16_e64 s[0:1], 0, v9
	v_and_b32_e32 v9, 1, v9
	s_nop 0
	v_cndmask_b32_e64 v60, 1, v63, s[0:1]
	v_mul_lo_u32 v6, v60, v6
	v_and_b32_e32 v60, 1, v62
	v_cmp_eq_u32_e64 s[0:1], 1, v9
	s_nop 1
	v_cndmask_b32_e64 v9, v60, 1, s[0:1]
	v_or_b32_sdwa v60, v7, v9 dst_sel:DWORD dst_unused:UNUSED_PAD src0_sel:DWORD src1_sel:WORD_0
; %bb.158:
	s_or_b64 exec, exec, s[56:57]
	v_mov_b32_dpp v63, v6 row_shr:2 row_mask:0xf bank_mask:0xf
	v_mov_b32_dpp v62, v60 row_shr:2 row_mask:0xf bank_mask:0xf
	v_cmp_lt_u32_e64 s[0:1], 1, v61
	s_and_saveexec_b64 s[56:57], s[0:1]
; %bb.159:
	v_cmp_eq_u16_e64 s[0:1], 0, v9
	v_and_b32_e32 v9, 1, v9
	s_nop 0
	v_cndmask_b32_e64 v60, 1, v63, s[0:1]
	v_mul_lo_u32 v6, v60, v6
	v_and_b32_e32 v60, 1, v62
	v_cmp_eq_u32_e64 s[0:1], 1, v9
	s_nop 1
	v_cndmask_b32_e64 v9, v60, 1, s[0:1]
	v_or_b32_sdwa v60, v7, v9 dst_sel:DWORD dst_unused:UNUSED_PAD src0_sel:DWORD src1_sel:WORD_0
; %bb.160:
	s_or_b64 exec, exec, s[56:57]
	v_mov_b32_dpp v63, v6 row_shr:4 row_mask:0xf bank_mask:0xf
	v_mov_b32_dpp v62, v60 row_shr:4 row_mask:0xf bank_mask:0xf
	v_cmp_lt_u32_e64 s[0:1], 3, v61
	;; [unrolled: 17-line block ×3, first 2 shown]
	s_and_saveexec_b64 s[56:57], s[0:1]
; %bb.163:
	v_cmp_eq_u16_e64 s[0:1], 0, v9
	v_and_b32_e32 v9, 1, v9
	s_nop 0
	v_cndmask_b32_e64 v60, 1, v63, s[0:1]
	v_mul_lo_u32 v6, v60, v6
	v_and_b32_e32 v60, 1, v62
	v_cmp_eq_u32_e64 s[0:1], 1, v9
	s_nop 1
	v_cndmask_b32_e64 v9, v60, 1, s[0:1]
	v_or_b32_sdwa v60, v7, v9 dst_sel:DWORD dst_unused:UNUSED_PAD src0_sel:DWORD src1_sel:WORD_0
; %bb.164:
	s_or_b64 exec, exec, s[56:57]
	v_and_b32_e32 v63, 16, v8
	v_mov_b32_dpp v62, v6 row_bcast:15 row_mask:0xf bank_mask:0xf
	v_mov_b32_dpp v61, v60 row_bcast:15 row_mask:0xf bank_mask:0xf
	v_cmp_ne_u32_e64 s[0:1], 0, v63
	s_and_saveexec_b64 s[56:57], s[0:1]
; %bb.165:
	v_cmp_eq_u16_e64 s[0:1], 0, v9
	v_and_b32_e32 v9, 1, v9
	s_nop 0
	v_cndmask_b32_e64 v60, 1, v62, s[0:1]
	v_mul_lo_u32 v6, v60, v6
	v_and_b32_e32 v60, 1, v61
	v_cmp_eq_u32_e64 s[0:1], 1, v9
	s_nop 1
	v_cndmask_b32_e64 v9, v60, 1, s[0:1]
	v_or_b32_sdwa v60, v7, v9 dst_sel:DWORD dst_unused:UNUSED_PAD src0_sel:DWORD src1_sel:WORD_0
; %bb.166:
	s_or_b64 exec, exec, s[56:57]
	v_mov_b32_dpp v61, v6 row_bcast:31 row_mask:0xf bank_mask:0xf
	v_mov_b32_dpp v60, v60 row_bcast:31 row_mask:0xf bank_mask:0xf
	v_cmp_lt_u32_e64 s[0:1], 31, v8
	s_and_saveexec_b64 s[56:57], s[0:1]
; %bb.167:
	v_cmp_eq_u16_e64 s[0:1], 0, v9
	v_and_b32_e32 v9, 1, v9
	v_and_b32_e32 v60, 1, v60
	v_cndmask_b32_e64 v61, 1, v61, s[0:1]
	v_cmp_eq_u32_e64 s[0:1], 1, v9
	v_mul_lo_u32 v6, v61, v6
	s_nop 0
	v_cndmask_b32_e64 v9, v60, 1, s[0:1]
; %bb.168:
	s_or_b64 exec, exec, s[56:57]
	v_add_u32_e32 v60, -1, v8
	v_and_b32_e32 v61, 64, v8
	v_cmp_lt_i32_e64 s[0:1], v60, v61
	v_or_b32_sdwa v7, v7, v9 dst_sel:DWORD dst_unused:UNUSED_PAD src0_sel:DWORD src1_sel:WORD_0
	s_nop 0
	v_cndmask_b32_e64 v8, v60, v8, s[0:1]
	v_lshlrev_b32_e32 v8, 2, v8
	ds_bpermute_b32 v6, v8, v6
	ds_bpermute_b32 v7, v8, v7
	v_mov_b32_e32 v8, 0
	v_cmp_eq_u16_sdwa s[0:1], v3, v8 src0_sel:BYTE_0 src1_sel:DWORD
	; wave barrier
	s_waitcnt lgkmcnt(1)
	s_nop 0
	v_cndmask_b32_e64 v3, 1, v6, s[0:1]
	v_mul_lo_u32 v2, v3, v2
	s_waitcnt lgkmcnt(0)
	v_and_b32_e32 v3, 1, v7
	v_cmp_eq_u32_e64 s[0:1], 1, v5
	v_cndmask_b32_e64 v5, v2, v64, s[52:53]
	s_nop 0
	v_cndmask_b32_e64 v3, v3, 1, s[0:1]
	v_cndmask_b32_e64 v6, v3, v65, s[52:53]
	ds_write_b32 v4, v5
	ds_write_b8 v4, v6 offset:4
	; wave barrier
	ds_read_u8 v7, v4 offset:12
	ds_read2_b32 v[2:3], v4 offset0:2 offset1:4
	ds_read_u8 v8, v4 offset:20
	ds_read_b32 v9, v4 offset:24
	ds_read_u8 v60, v4 offset:28
	s_waitcnt lgkmcnt(4)
	v_cmp_eq_u16_e64 s[0:1], 0, v7
	s_nop 1
	v_cndmask_b32_e64 v5, 1, v5, s[0:1]
	s_waitcnt lgkmcnt(3)
	v_mul_lo_u32 v2, v5, v2
	v_and_b32_e32 v5, 1, v7
	v_cmp_eq_u32_e64 s[0:1], 1, v5
	s_nop 1
	v_cndmask_b32_e64 v5, v6, 1, s[0:1]
	s_waitcnt lgkmcnt(2)
	v_cmp_eq_u16_e64 s[0:1], 0, v8
	ds_write_b8 v4, v5 offset:12
	s_nop 0
	v_cndmask_b32_e64 v6, 1, v2, s[0:1]
	v_mul_lo_u32 v3, v6, v3
	v_and_b32_e32 v6, 1, v8
	v_cmp_eq_u32_e64 s[0:1], 1, v6
	s_nop 1
	v_cndmask_b32_e64 v5, v5, 1, s[0:1]
	s_waitcnt lgkmcnt(1)
	v_cmp_eq_u16_e64 s[0:1], 0, v60
	ds_write2_b32 v4, v2, v3 offset0:2 offset1:4
	ds_write_b8 v4, v5 offset:20
	v_cndmask_b32_e64 v2, 1, v3, s[0:1]
	v_and_b32_e32 v3, 1, v60
	v_mul_lo_u32 v2, v2, v9
	v_cmp_eq_u32_e64 s[0:1], 1, v3
	s_nop 1
	v_cndmask_b32_e64 v3, v5, 1, s[0:1]
	ds_write_b32 v4, v2 offset:24
	ds_write_b8 v4, v3 offset:28
.LBB508_169:
	s_or_b64 exec, exec, s[50:51]
	s_waitcnt lgkmcnt(0)
	s_barrier
	s_and_saveexec_b64 s[0:1], s[4:5]
	s_cbranch_execz .LBB508_171
; %bb.170:
	v_add_u32_e32 v2, -1, v0
	v_lshrrev_b32_e32 v3, 5, v2
	v_add_lshl_u32 v2, v3, v2, 3
	ds_read_b32 v64, v2
	ds_read_u8 v65, v2 offset:4
.LBB508_171:
	s_or_b64 exec, exec, s[0:1]
	s_and_saveexec_b64 s[0:1], vcc
	s_cbranch_execz .LBB508_218
; %bb.172:
	v_mov_b32_e32 v5, 0
	ds_read_b64 v[2:3], v5 offset:2096
	v_mbcnt_lo_u32_b32 v4, -1, 0
	v_mbcnt_hi_u32_b32 v61, -1, v4
	s_mov_b32 s59, 0
	v_cmp_eq_u32_e64 s[50:51], 0, v61
	s_waitcnt lgkmcnt(0)
	v_readfirstlane_b32 s68, v3
	s_and_saveexec_b64 s[56:57], s[50:51]
	s_cbranch_execz .LBB508_174
; %bb.173:
	s_add_i32 s58, s67, 64
	s_lshl_b64 s[60:61], s[58:59], 4
	s_add_u32 s60, s64, s60
	s_addc_u32 s61, s65, s61
	s_and_b32 s77, s68, 0xff000000
	s_mov_b32 s76, s59
	s_and_b32 s79, s68, 0xff0000
	s_mov_b32 s78, s59
	s_or_b64 s[76:77], s[78:79], s[76:77]
	s_and_b32 s79, s68, 0xff00
	s_or_b64 s[76:77], s[76:77], s[78:79]
	s_and_b32 s79, s68, 0xff
	s_or_b64 s[58:59], s[76:77], s[78:79]
	v_mov_b32_e32 v3, s59
	v_mov_b32_e32 v4, 1
	v_mov_b64_e32 v[6:7], s[60:61]
	;;#ASMSTART
	global_store_dwordx4 v[6:7], v[2:5] off sc1	
s_waitcnt vmcnt(0)
	;;#ASMEND
.LBB508_174:
	s_or_b64 exec, exec, s[56:57]
	v_xad_u32 v60, v61, -1, s67
	v_add_u32_e32 v4, 64, v60
	v_lshl_add_u64 v[62:63], v[4:5], 4, s[64:65]
	;;#ASMSTART
	global_load_dwordx4 v[6:9], v[62:63] off sc1	
s_waitcnt vmcnt(0)
	;;#ASMEND
	s_nop 0
	v_and_b32_e32 v3, 0xff0000, v6
	v_and_b32_e32 v4, 0xff000000, v6
	;; [unrolled: 1-line block ×3, first 2 shown]
	v_or_b32_sdwa v3, v6, v3 dst_sel:DWORD dst_unused:UNUSED_PAD src0_sel:WORD_0 src1_sel:DWORD
	v_or3_b32 v7, 0, 0, v7
	v_or3_b32 v6, v3, v4, 0
	v_cmp_eq_u16_sdwa s[58:59], v8, v5 src0_sel:BYTE_0 src1_sel:DWORD
	s_and_saveexec_b64 s[56:57], s[58:59]
	s_cbranch_execz .LBB508_180
; %bb.175:
	s_mov_b32 s60, 1
	s_mov_b64 s[58:59], 0
	v_mov_b32_e32 v3, 0
.LBB508_176:                            ; =>This Loop Header: Depth=1
                                        ;     Child Loop BB508_177 Depth 2
	s_max_u32 s61, s60, 1
.LBB508_177:                            ;   Parent Loop BB508_176 Depth=1
                                        ; =>  This Inner Loop Header: Depth=2
	s_add_i32 s61, s61, -1
	s_cmp_eq_u32 s61, 0
	s_sleep 1
	s_cbranch_scc0 .LBB508_177
; %bb.178:                              ;   in Loop: Header=BB508_176 Depth=1
	s_cmp_lt_u32 s60, 32
	s_cselect_b64 s[76:77], -1, 0
	s_cmp_lg_u64 s[76:77], 0
	s_addc_u32 s60, s60, 0
	;;#ASMSTART
	global_load_dwordx4 v[6:9], v[62:63] off sc1	
s_waitcnt vmcnt(0)
	;;#ASMEND
	s_nop 0
	v_cmp_ne_u16_sdwa s[76:77], v8, v3 src0_sel:BYTE_0 src1_sel:DWORD
	s_or_b64 s[58:59], s[76:77], s[58:59]
	s_andn2_b64 exec, exec, s[58:59]
	s_cbranch_execnz .LBB508_176
; %bb.179:
	s_or_b64 exec, exec, s[58:59]
	v_and_b32_e32 v7, 0xff, v7
.LBB508_180:
	s_or_b64 exec, exec, s[56:57]
	v_mov_b32_e32 v3, 2
	v_cmp_eq_u16_sdwa s[56:57], v8, v3 src0_sel:BYTE_0 src1_sel:DWORD
	v_lshlrev_b64 v[4:5], v61, -1
	s_mov_b32 s58, 0
	v_and_b32_e32 v3, s57, v5
	v_or_b32_e32 v3, 0x80000000, v3
	v_ffbl_b32_e32 v3, v3
	v_add_u32_e32 v62, 32, v3
	v_and_b32_e32 v3, 63, v61
	v_cmp_ne_u32_e32 vcc, 63, v3
	v_and_b32_e32 v9, s56, v4
	v_ffbl_b32_e32 v9, v9
	v_addc_co_u32_e32 v63, vcc, 0, v61, vcc
	v_lshlrev_b32_e32 v66, 2, v63
	ds_bpermute_b32 v67, v66, v6
	ds_bpermute_b32 v63, v66, v7
	v_min_u32_e32 v9, v9, v62
	v_cmp_lt_u32_e32 vcc, v3, v9
	v_mov_b32_e32 v62, v7
	s_and_saveexec_b64 s[56:57], vcc
	s_cbranch_execz .LBB508_182
; %bb.181:
	s_mov_b32 s59, 1
	v_cmp_gt_u64_e32 vcc, s[58:59], v[6:7]
	v_and_b32_e32 v7, 1, v7
	s_waitcnt lgkmcnt(1)
	v_cndmask_b32_e32 v62, 1, v67, vcc
	v_mul_lo_u32 v6, v62, v6
	s_waitcnt lgkmcnt(0)
	v_and_b32_e32 v62, 1, v63
	v_cmp_eq_u32_e32 vcc, 1, v7
	s_nop 1
	v_cndmask_b32_e64 v7, v62, 1, vcc
	v_and_b32_e32 v62, 0xffff, v7
.LBB508_182:
	s_or_b64 exec, exec, s[56:57]
	v_cmp_gt_u32_e32 vcc, 62, v3
	v_add_u32_e32 v68, 2, v3
	s_waitcnt lgkmcnt(0)
	v_cndmask_b32_e64 v63, 0, 1, vcc
	v_lshlrev_b32_e32 v63, 1, v63
	v_add_lshl_u32 v67, v63, v61, 2
	ds_bpermute_b32 v69, v67, v6
	ds_bpermute_b32 v63, v67, v62
	v_cmp_le_u32_e32 vcc, v68, v9
	s_and_saveexec_b64 s[56:57], vcc
	s_cbranch_execz .LBB508_184
; %bb.183:
	v_cmp_eq_u16_e32 vcc, 0, v7
	v_and_b32_e32 v7, 1, v7
	s_waitcnt lgkmcnt(1)
	v_cndmask_b32_e32 v62, 1, v69, vcc
	v_mul_lo_u32 v6, v62, v6
	s_waitcnt lgkmcnt(0)
	v_and_b32_e32 v62, 1, v63
	v_cmp_eq_u32_e32 vcc, 1, v7
	s_nop 1
	v_cndmask_b32_e64 v7, v62, 1, vcc
	v_and_b32_e32 v62, 0xffff, v7
.LBB508_184:
	s_or_b64 exec, exec, s[56:57]
	v_cmp_gt_u32_e32 vcc, 60, v3
	v_add_u32_e32 v70, 4, v3
	s_waitcnt lgkmcnt(0)
	v_cndmask_b32_e64 v63, 0, 1, vcc
	v_lshlrev_b32_e32 v63, 2, v63
	v_add_lshl_u32 v69, v63, v61, 2
	ds_bpermute_b32 v71, v69, v6
	ds_bpermute_b32 v63, v69, v62
	v_cmp_le_u32_e32 vcc, v70, v9
	s_and_saveexec_b64 s[56:57], vcc
	s_cbranch_execz .LBB508_186
; %bb.185:
	v_cmp_eq_u16_e32 vcc, 0, v7
	v_and_b32_e32 v7, 1, v7
	s_waitcnt lgkmcnt(1)
	v_cndmask_b32_e32 v62, 1, v71, vcc
	v_mul_lo_u32 v6, v62, v6
	s_waitcnt lgkmcnt(0)
	v_and_b32_e32 v62, 1, v63
	v_cmp_eq_u32_e32 vcc, 1, v7
	s_nop 1
	v_cndmask_b32_e64 v7, v62, 1, vcc
	v_and_b32_e32 v62, 0xffff, v7
.LBB508_186:
	;; [unrolled: 25-line block ×4, first 2 shown]
	s_or_b64 exec, exec, s[56:57]
	v_cmp_gt_u32_e32 vcc, 32, v3
	v_add_u32_e32 v77, 32, v3
	s_waitcnt lgkmcnt(0)
	v_cndmask_b32_e64 v63, 0, 1, vcc
	v_lshlrev_b32_e32 v63, 5, v63
	v_add_lshl_u32 v76, v63, v61, 2
	ds_bpermute_b32 v63, v76, v6
	ds_bpermute_b32 v61, v76, v62
	v_cmp_le_u32_e32 vcc, v77, v9
	s_and_saveexec_b64 s[56:57], vcc
	s_cbranch_execz .LBB508_192
; %bb.191:
	v_cmp_eq_u16_e32 vcc, 0, v7
	v_and_b32_e32 v7, 1, v7
	s_waitcnt lgkmcnt(1)
	v_cndmask_b32_e32 v9, 1, v63, vcc
	v_mul_lo_u32 v6, v9, v6
	s_waitcnt lgkmcnt(0)
	v_and_b32_e32 v9, 1, v61
	v_cmp_eq_u32_e32 vcc, 1, v7
	s_nop 1
	v_cndmask_b32_e64 v7, v9, 1, vcc
.LBB508_192:
	s_or_b64 exec, exec, s[56:57]
	s_mov_b32 s56, 0
	s_mov_b32 s57, 1
	s_waitcnt lgkmcnt(0)
	v_mov_b32_e32 v61, 0
	v_mov_b32_e32 v79, 2
	s_branch .LBB508_194
.LBB508_193:                            ;   in Loop: Header=BB508_194 Depth=1
	s_or_b64 exec, exec, s[58:59]
	v_cmp_eq_u16_sdwa vcc, v75, v61 src0_sel:BYTE_0 src1_sel:DWORD
	v_and_b32_e32 v9, 1, v75
	v_and_b32_e32 v7, 1, v7
	v_cndmask_b32_e32 v6, 1, v6, vcc
	v_cmp_eq_u32_e32 vcc, 1, v9
	v_subrev_u32_e32 v60, 64, v60
	v_mul_lo_u32 v6, v6, v78
	v_cndmask_b32_e64 v7, v7, 1, vcc
.LBB508_194:                            ; =>This Loop Header: Depth=1
                                        ;     Child Loop BB508_197 Depth 2
                                        ;       Child Loop BB508_198 Depth 3
	v_cmp_ne_u16_sdwa s[58:59], v8, v79 src0_sel:BYTE_0 src1_sel:DWORD
	v_mov_b32_e32 v75, v7
	v_mov_b32_e32 v78, v6
	v_cndmask_b32_e64 v7, 0, 1, s[58:59]
	;;#ASMSTART
	;;#ASMEND
	s_nop 0
	v_cmp_ne_u32_e32 vcc, 0, v7
	s_cmp_lg_u64 vcc, exec
	s_cbranch_scc1 .LBB508_213
; %bb.195:                              ;   in Loop: Header=BB508_194 Depth=1
	s_waitcnt lgkmcnt(0)
	v_lshl_add_u64 v[62:63], v[60:61], 4, s[64:65]
	;;#ASMSTART
	global_load_dwordx4 v[6:9], v[62:63] off sc1	
s_waitcnt vmcnt(0)
	;;#ASMEND
	s_nop 0
	v_and_b32_e32 v9, 0xff0000, v6
	v_and_b32_e32 v80, 0xff000000, v6
	;; [unrolled: 1-line block ×3, first 2 shown]
	v_or_b32_sdwa v6, v6, v9 dst_sel:DWORD dst_unused:UNUSED_PAD src0_sel:WORD_0 src1_sel:DWORD
	v_or3_b32 v7, 0, 0, v7
	v_or3_b32 v6, v6, v80, 0
	v_cmp_eq_u16_sdwa s[60:61], v8, v61 src0_sel:BYTE_0 src1_sel:DWORD
	s_and_saveexec_b64 s[58:59], s[60:61]
	s_cbranch_execz .LBB508_201
; %bb.196:                              ;   in Loop: Header=BB508_194 Depth=1
	s_mov_b32 s69, 1
	s_mov_b64 s[60:61], 0
.LBB508_197:                            ;   Parent Loop BB508_194 Depth=1
                                        ; =>  This Loop Header: Depth=2
                                        ;       Child Loop BB508_198 Depth 3
	s_max_u32 s75, s69, 1
.LBB508_198:                            ;   Parent Loop BB508_194 Depth=1
                                        ;     Parent Loop BB508_197 Depth=2
                                        ; =>    This Inner Loop Header: Depth=3
	s_add_i32 s75, s75, -1
	s_cmp_eq_u32 s75, 0
	s_sleep 1
	s_cbranch_scc0 .LBB508_198
; %bb.199:                              ;   in Loop: Header=BB508_197 Depth=2
	s_cmp_lt_u32 s69, 32
	s_cselect_b64 s[76:77], -1, 0
	s_cmp_lg_u64 s[76:77], 0
	s_addc_u32 s69, s69, 0
	;;#ASMSTART
	global_load_dwordx4 v[6:9], v[62:63] off sc1	
s_waitcnt vmcnt(0)
	;;#ASMEND
	s_nop 0
	v_cmp_ne_u16_sdwa s[76:77], v8, v61 src0_sel:BYTE_0 src1_sel:DWORD
	s_or_b64 s[60:61], s[76:77], s[60:61]
	s_andn2_b64 exec, exec, s[60:61]
	s_cbranch_execnz .LBB508_197
; %bb.200:                              ;   in Loop: Header=BB508_194 Depth=1
	s_or_b64 exec, exec, s[60:61]
	v_and_b32_e32 v7, 0xff, v7
.LBB508_201:                            ;   in Loop: Header=BB508_194 Depth=1
	s_or_b64 exec, exec, s[58:59]
	v_cmp_eq_u16_sdwa s[58:59], v8, v79 src0_sel:BYTE_0 src1_sel:DWORD
	ds_bpermute_b32 v80, v66, v6
	ds_bpermute_b32 v63, v66, v7
	v_and_b32_e32 v9, s59, v5
	v_or_b32_e32 v9, 0x80000000, v9
	v_and_b32_e32 v62, s58, v4
	v_ffbl_b32_e32 v9, v9
	v_add_u32_e32 v9, 32, v9
	v_ffbl_b32_e32 v62, v62
	v_min_u32_e32 v9, v62, v9
	v_cmp_lt_u32_e32 vcc, v3, v9
	v_mov_b32_e32 v62, v7
	s_and_saveexec_b64 s[58:59], vcc
	s_cbranch_execz .LBB508_203
; %bb.202:                              ;   in Loop: Header=BB508_194 Depth=1
	v_cmp_gt_u64_e32 vcc, s[56:57], v[6:7]
	v_and_b32_e32 v7, 1, v7
	s_waitcnt lgkmcnt(1)
	v_cndmask_b32_e32 v62, 1, v80, vcc
	v_mul_lo_u32 v6, v62, v6
	s_waitcnt lgkmcnt(0)
	v_and_b32_e32 v62, 1, v63
	v_cmp_eq_u32_e32 vcc, 1, v7
	s_nop 1
	v_cndmask_b32_e64 v7, v62, 1, vcc
	v_and_b32_e32 v62, 0xffff, v7
.LBB508_203:                            ;   in Loop: Header=BB508_194 Depth=1
	s_or_b64 exec, exec, s[58:59]
	s_waitcnt lgkmcnt(1)
	ds_bpermute_b32 v80, v67, v6
	s_waitcnt lgkmcnt(1)
	ds_bpermute_b32 v63, v67, v62
	v_cmp_le_u32_e32 vcc, v68, v9
	s_and_saveexec_b64 s[58:59], vcc
	s_cbranch_execz .LBB508_205
; %bb.204:                              ;   in Loop: Header=BB508_194 Depth=1
	v_cmp_eq_u16_e32 vcc, 0, v7
	v_and_b32_e32 v7, 1, v7
	s_waitcnt lgkmcnt(1)
	v_cndmask_b32_e32 v62, 1, v80, vcc
	v_mul_lo_u32 v6, v62, v6
	s_waitcnt lgkmcnt(0)
	v_and_b32_e32 v62, 1, v63
	v_cmp_eq_u32_e32 vcc, 1, v7
	s_nop 1
	v_cndmask_b32_e64 v7, v62, 1, vcc
	v_and_b32_e32 v62, 0xffff, v7
.LBB508_205:                            ;   in Loop: Header=BB508_194 Depth=1
	s_or_b64 exec, exec, s[58:59]
	s_waitcnt lgkmcnt(1)
	ds_bpermute_b32 v80, v69, v6
	s_waitcnt lgkmcnt(1)
	ds_bpermute_b32 v63, v69, v62
	v_cmp_le_u32_e32 vcc, v70, v9
	s_and_saveexec_b64 s[58:59], vcc
	s_cbranch_execz .LBB508_207
; %bb.206:                              ;   in Loop: Header=BB508_194 Depth=1
	v_cmp_eq_u16_e32 vcc, 0, v7
	v_and_b32_e32 v7, 1, v7
	s_waitcnt lgkmcnt(1)
	v_cndmask_b32_e32 v62, 1, v80, vcc
	v_mul_lo_u32 v6, v62, v6
	s_waitcnt lgkmcnt(0)
	v_and_b32_e32 v62, 1, v63
	v_cmp_eq_u32_e32 vcc, 1, v7
	s_nop 1
	v_cndmask_b32_e64 v7, v62, 1, vcc
	v_and_b32_e32 v62, 0xffff, v7
.LBB508_207:                            ;   in Loop: Header=BB508_194 Depth=1
	;; [unrolled: 21-line block ×4, first 2 shown]
	s_or_b64 exec, exec, s[58:59]
	s_waitcnt lgkmcnt(0)
	ds_bpermute_b32 v63, v76, v6
	ds_bpermute_b32 v62, v76, v62
	v_cmp_le_u32_e32 vcc, v77, v9
	s_and_saveexec_b64 s[58:59], vcc
	s_cbranch_execz .LBB508_193
; %bb.212:                              ;   in Loop: Header=BB508_194 Depth=1
	v_cmp_eq_u16_e32 vcc, 0, v7
	v_and_b32_e32 v7, 1, v7
	s_waitcnt lgkmcnt(1)
	v_cndmask_b32_e32 v9, 1, v63, vcc
	v_cmp_eq_u32_e32 vcc, 1, v7
	v_mul_lo_u32 v6, v9, v6
	s_waitcnt lgkmcnt(0)
	v_cndmask_b32_e64 v7, v62, 1, vcc
	s_branch .LBB508_193
.LBB508_213:                            ;   in Loop: Header=BB508_194 Depth=1
                                        ; implicit-def: $vgpr7
	s_cbranch_execz .LBB508_194
; %bb.214:
	s_and_saveexec_b64 s[56:57], s[50:51]
	s_cbranch_execz .LBB508_216
; %bb.215:
	s_and_b32 s50, s68, 0xff
	s_cmp_eq_u32 s50, 0
	s_cselect_b64 vcc, -1, 0
	s_bitcmp1_b32 s68, 0
	s_mov_b32 s51, 0
	s_cselect_b64 s[58:59], -1, 0
	s_add_i32 s50, s67, 64
	s_lshl_b64 s[50:51], s[50:51], 4
	v_cndmask_b32_e32 v3, 1, v78, vcc
	s_add_u32 s50, s64, s50
	v_mul_lo_u32 v2, v3, v2
	v_and_b32_e32 v3, 1, v75
	s_addc_u32 s51, s65, s51
	v_cndmask_b32_e64 v3, v3, 1, s[58:59]
	v_mov_b32_e32 v4, 2
	v_mov_b32_e32 v5, 0
	v_mov_b64_e32 v[6:7], s[50:51]
	;;#ASMSTART
	global_store_dwordx4 v[6:7], v[2:5] off sc1	
s_waitcnt vmcnt(0)
	;;#ASMEND
.LBB508_216:
	s_or_b64 exec, exec, s[56:57]
	s_and_b64 exec, exec, s[52:53]
	s_cbranch_execz .LBB508_218
; %bb.217:
	v_mov_b32_e32 v2, 0
	ds_write_b32 v2, v78
	ds_write_b8 v2, v75 offset:4
.LBB508_218:
	s_or_b64 exec, exec, s[0:1]
	v_mov_b32_e32 v2, 0
	s_waitcnt lgkmcnt(0)
	s_barrier
	ds_read_b32 v3, v2
	v_cmp_eq_u16_sdwa vcc, v65, v2 src0_sel:BYTE_0 src1_sel:DWORD
	s_waitcnt lgkmcnt(0)
	s_nop 0
	v_cndmask_b32_e32 v4, 1, v3, vcc
	v_mul_lo_u32 v4, v4, v64
	v_cndmask_b32_e64 v60, v4, v3, s[52:53]
	v_and_b32_e32 v3, 0xff, v13
	v_cmp_eq_u64_e32 vcc, 0, v[2:3]
	s_nop 1
	v_cndmask_b32_e32 v2, 1, v60, vcc
	v_mul_lo_u32 v61, v2, v12
	v_cndmask_b32_e64 v2, 1, v61, s[6:7]
	v_mul_lo_u32 v62, v2, v14
	v_cndmask_b32_e64 v2, 1, v62, s[8:9]
	;; [unrolled: 2-line block ×21, first 2 shown]
	v_mul_lo_u32 v82, v2, v54
	s_branch .LBB508_241
.LBB508_219:
                                        ; implicit-def: $vgpr81
                                        ; implicit-def: $vgpr80
                                        ; implicit-def: $vgpr79
                                        ; implicit-def: $vgpr78
                                        ; implicit-def: $vgpr77
                                        ; implicit-def: $vgpr76
                                        ; implicit-def: $vgpr75
                                        ; implicit-def: $vgpr74
                                        ; implicit-def: $vgpr73
                                        ; implicit-def: $vgpr72
                                        ; implicit-def: $vgpr71
                                        ; implicit-def: $vgpr70
                                        ; implicit-def: $vgpr69
                                        ; implicit-def: $vgpr68
                                        ; implicit-def: $vgpr67
                                        ; implicit-def: $vgpr66
                                        ; implicit-def: $vgpr65
                                        ; implicit-def: $vgpr64
                                        ; implicit-def: $vgpr63
                                        ; implicit-def: $vgpr62
                                        ; implicit-def: $vgpr61
                                        ; implicit-def: $vgpr60
                                        ; implicit-def: $vgpr82
	s_cbranch_execz .LBB508_241
; %bb.220:
	s_cmp_lg_u64 s[72:73], 0
	s_cselect_b32 s7, s71, 0
	s_cselect_b32 s6, s70, 0
	s_mov_b32 s0, 0
	s_cmp_eq_u64 s[6:7], 0
	v_mov_b32_e32 v4, s74
	s_cbranch_scc1 .LBB508_222
; %bb.221:
	v_mov_b32_e32 v2, 0
	global_load_dword v4, v2, s[6:7]
.LBB508_222:
	s_mov_b32 s1, 1
	v_cmp_gt_u64_e32 vcc, s[0:1], v[14:15]
	v_cmp_gt_u64_e64 s[6:7], s[0:1], v[16:17]
	v_cmp_gt_u64_e64 s[8:9], s[0:1], v[18:19]
	v_cndmask_b32_e32 v2, 1, v12, vcc
	v_mul_lo_u32 v2, v2, v14
	v_cndmask_b32_e64 v2, 1, v2, s[6:7]
	v_mul_lo_u32 v2, v2, v16
	v_cndmask_b32_e64 v2, 1, v2, s[8:9]
	v_mul_lo_u32 v2, v2, v18
	v_cmp_gt_u64_e64 s[10:11], s[0:1], v[20:21]
	v_cmp_gt_u64_e64 s[12:13], s[0:1], v[22:23]
	v_cmp_gt_u64_e64 s[14:15], s[0:1], v[24:25]
	v_cndmask_b32_e64 v2, 1, v2, s[10:11]
	v_mul_lo_u32 v2, v2, v20
	v_cndmask_b32_e64 v2, 1, v2, s[12:13]
	v_mul_lo_u32 v2, v2, v22
	v_cndmask_b32_e64 v2, 1, v2, s[14:15]
	v_mul_lo_u32 v2, v2, v24
	v_cmp_gt_u64_e64 s[16:17], s[0:1], v[26:27]
	v_cmp_gt_u64_e64 s[18:19], s[0:1], v[28:29]
	v_cmp_gt_u64_e64 s[20:21], s[0:1], v[30:31]
	v_cndmask_b32_e64 v2, 1, v2, s[16:17]
	;; [unrolled: 9-line block ×6, first 2 shown]
	v_mul_lo_u32 v2, v2, v50
	v_cndmask_b32_e64 v2, 1, v2, s[44:45]
	v_mul_lo_u32 v2, v2, v52
	v_cndmask_b32_e64 v2, 1, v2, s[46:47]
	v_mul_lo_u32 v2, v2, v54
	v_cmp_gt_u64_e64 s[0:1], s[0:1], v[58:59]
	v_add_lshl_u32 v1, v1, v0, 3
	s_nop 0
	v_cndmask_b32_e64 v2, 1, v2, s[0:1]
	v_mul_lo_u32 v5, v2, v58
	v_or3_b32 v2, v57, v53, v51
	v_or3_b32 v2, v2, v49, v47
	;; [unrolled: 1-line block ×10, first 2 shown]
	v_and_b32_e32 v2, 1, v2
	v_cmp_eq_u32_e64 s[0:1], 1, v2
	s_nop 1
	v_cndmask_b32_e64 v6, v13, 1, s[0:1]
	v_cmp_gt_u32_e64 s[0:1], 64, v0
	ds_write_b32 v1, v5
	ds_write_b8 v1, v6 offset:4
	s_waitcnt lgkmcnt(0)
	s_barrier
	s_and_saveexec_b64 s[48:49], s[0:1]
	s_cbranch_execz .LBB508_236
; %bb.223:
	v_lshrrev_b32_e32 v1, 3, v0
	v_add_lshl_u32 v1, v1, v56, 3
	ds_read2_b32 v[8:9], v1 offset0:2 offset1:4
	ds_read_b64 v[2:3], v1
	ds_read_u8 v15, v1 offset:12
	ds_read_u8 v17, v1 offset:20
	ds_read_b32 v19, v1 offset:24
	ds_read_u8 v21, v1 offset:28
	v_mov_b32_e32 v23, 0
	s_waitcnt lgkmcnt(3)
	v_cmp_eq_u16_sdwa s[0:1], v15, v23 src0_sel:BYTE_0 src1_sel:DWORD
	v_and_b32_e32 v7, 1, v3
	s_nop 0
	v_cndmask_b32_e64 v25, 1, v2, s[0:1]
	v_mul_lo_u32 v8, v25, v8
	s_waitcnt lgkmcnt(2)
	v_cmp_eq_u16_sdwa s[0:1], v17, v23 src0_sel:BYTE_0 src1_sel:DWORD
	s_nop 1
	v_cndmask_b32_e64 v8, 1, v8, s[0:1]
	v_mul_lo_u32 v8, v8, v9
	s_waitcnt lgkmcnt(0)
	v_or_b32_e32 v9, v21, v17
	v_or_b32_e32 v9, v9, v15
	v_cmp_eq_u16_e64 s[0:1], 0, v21
	v_and_b32_e32 v9, 1, v9
	v_mbcnt_lo_u32_b32 v15, -1, 0
	v_cndmask_b32_e64 v8, 1, v8, s[0:1]
	v_cmp_eq_u32_e64 s[0:1], 1, v9
	v_and_b32_e32 v9, 0xffffff00, v3
	v_mbcnt_hi_u32_b32 v15, -1, v15
	v_cndmask_b32_e64 v17, v7, 1, s[0:1]
	v_mul_lo_u32 v8, v8, v19
	v_and_b32_e32 v21, 15, v15
	v_or_b32_sdwa v19, v9, v17 dst_sel:DWORD dst_unused:UNUSED_PAD src0_sel:DWORD src1_sel:WORD_0
	v_mov_b32_dpp v25, v8 row_shr:1 row_mask:0xf bank_mask:0xf
	v_cmp_ne_u32_e64 s[0:1], 0, v21
	v_mov_b32_dpp v23, v19 row_shr:1 row_mask:0xf bank_mask:0xf
	s_and_saveexec_b64 s[50:51], s[0:1]
; %bb.224:
	v_cmp_eq_u16_e64 s[0:1], 0, v17
	v_and_b32_e32 v17, 1, v17
	s_nop 0
	v_cndmask_b32_e64 v19, 1, v25, s[0:1]
	v_mul_lo_u32 v8, v19, v8
	v_and_b32_e32 v19, 1, v23
	v_cmp_eq_u32_e64 s[0:1], 1, v17
	s_nop 1
	v_cndmask_b32_e64 v17, v19, 1, s[0:1]
	v_or_b32_sdwa v19, v9, v17 dst_sel:DWORD dst_unused:UNUSED_PAD src0_sel:DWORD src1_sel:WORD_0
; %bb.225:
	s_or_b64 exec, exec, s[50:51]
	v_mov_b32_dpp v25, v8 row_shr:2 row_mask:0xf bank_mask:0xf
	v_mov_b32_dpp v23, v19 row_shr:2 row_mask:0xf bank_mask:0xf
	v_cmp_lt_u32_e64 s[0:1], 1, v21
	s_and_saveexec_b64 s[50:51], s[0:1]
; %bb.226:
	v_cmp_eq_u16_e64 s[0:1], 0, v17
	v_and_b32_e32 v17, 1, v17
	s_nop 0
	v_cndmask_b32_e64 v19, 1, v25, s[0:1]
	v_mul_lo_u32 v8, v19, v8
	v_and_b32_e32 v19, 1, v23
	v_cmp_eq_u32_e64 s[0:1], 1, v17
	s_nop 1
	v_cndmask_b32_e64 v17, v19, 1, s[0:1]
	v_or_b32_sdwa v19, v9, v17 dst_sel:DWORD dst_unused:UNUSED_PAD src0_sel:DWORD src1_sel:WORD_0
; %bb.227:
	s_or_b64 exec, exec, s[50:51]
	v_mov_b32_dpp v25, v8 row_shr:4 row_mask:0xf bank_mask:0xf
	v_mov_b32_dpp v23, v19 row_shr:4 row_mask:0xf bank_mask:0xf
	v_cmp_lt_u32_e64 s[0:1], 3, v21
	s_and_saveexec_b64 s[50:51], s[0:1]
; %bb.228:
	v_cmp_eq_u16_e64 s[0:1], 0, v17
	v_and_b32_e32 v17, 1, v17
	s_nop 0
	v_cndmask_b32_e64 v19, 1, v25, s[0:1]
	v_mul_lo_u32 v8, v19, v8
	v_and_b32_e32 v19, 1, v23
	v_cmp_eq_u32_e64 s[0:1], 1, v17
	s_nop 1
	v_cndmask_b32_e64 v17, v19, 1, s[0:1]
	v_or_b32_sdwa v19, v9, v17 dst_sel:DWORD dst_unused:UNUSED_PAD src0_sel:DWORD src1_sel:WORD_0
; %bb.229:
	s_or_b64 exec, exec, s[50:51]
	v_mov_b32_dpp v25, v8 row_shr:8 row_mask:0xf bank_mask:0xf
	v_mov_b32_dpp v23, v19 row_shr:8 row_mask:0xf bank_mask:0xf
	v_cmp_lt_u32_e64 s[0:1], 7, v21
	s_and_saveexec_b64 s[50:51], s[0:1]
; %bb.230:
	v_cmp_eq_u16_e64 s[0:1], 0, v17
	v_and_b32_e32 v17, 1, v17
	s_nop 0
	v_cndmask_b32_e64 v19, 1, v25, s[0:1]
	v_mul_lo_u32 v8, v19, v8
	v_and_b32_e32 v19, 1, v23
	v_cmp_eq_u32_e64 s[0:1], 1, v17
	s_nop 1
	v_cndmask_b32_e64 v17, v19, 1, s[0:1]
	v_or_b32_sdwa v19, v9, v17 dst_sel:DWORD dst_unused:UNUSED_PAD src0_sel:DWORD src1_sel:WORD_0
; %bb.231:
	s_or_b64 exec, exec, s[50:51]
	v_and_b32_e32 v25, 16, v15
	v_mov_b32_dpp v23, v8 row_bcast:15 row_mask:0xf bank_mask:0xf
	v_mov_b32_dpp v21, v19 row_bcast:15 row_mask:0xf bank_mask:0xf
	v_cmp_ne_u32_e64 s[0:1], 0, v25
	s_and_saveexec_b64 s[50:51], s[0:1]
; %bb.232:
	v_cmp_eq_u16_e64 s[0:1], 0, v17
	v_and_b32_e32 v17, 1, v17
	s_nop 0
	v_cndmask_b32_e64 v19, 1, v23, s[0:1]
	v_mul_lo_u32 v8, v19, v8
	v_and_b32_e32 v19, 1, v21
	v_cmp_eq_u32_e64 s[0:1], 1, v17
	s_nop 1
	v_cndmask_b32_e64 v17, v19, 1, s[0:1]
	v_or_b32_sdwa v19, v9, v17 dst_sel:DWORD dst_unused:UNUSED_PAD src0_sel:DWORD src1_sel:WORD_0
; %bb.233:
	s_or_b64 exec, exec, s[50:51]
	v_mov_b32_dpp v21, v8 row_bcast:31 row_mask:0xf bank_mask:0xf
	v_mov_b32_dpp v19, v19 row_bcast:31 row_mask:0xf bank_mask:0xf
	v_cmp_lt_u32_e64 s[0:1], 31, v15
	s_and_saveexec_b64 s[50:51], s[0:1]
; %bb.234:
	v_cmp_eq_u16_e64 s[0:1], 0, v17
	v_and_b32_e32 v17, 1, v17
	v_and_b32_e32 v19, 1, v19
	v_cndmask_b32_e64 v21, 1, v21, s[0:1]
	v_cmp_eq_u32_e64 s[0:1], 1, v17
	v_mul_lo_u32 v8, v21, v8
	s_nop 0
	v_cndmask_b32_e64 v17, v19, 1, s[0:1]
; %bb.235:
	s_or_b64 exec, exec, s[50:51]
	v_add_u32_e32 v19, -1, v15
	v_and_b32_e32 v21, 64, v15
	v_cmp_lt_i32_e64 s[0:1], v19, v21
	v_or_b32_sdwa v9, v9, v17 dst_sel:DWORD dst_unused:UNUSED_PAD src0_sel:DWORD src1_sel:WORD_0
	s_nop 0
	v_cndmask_b32_e64 v15, v19, v15, s[0:1]
	v_lshlrev_b32_e32 v15, 2, v15
	ds_bpermute_b32 v8, v15, v8
	ds_bpermute_b32 v9, v15, v9
	v_mov_b32_e32 v15, 0
	v_cmp_eq_u16_sdwa s[0:1], v3, v15 src0_sel:BYTE_0 src1_sel:DWORD
	; wave barrier
	s_waitcnt lgkmcnt(1)
	s_nop 0
	v_cndmask_b32_e64 v3, 1, v8, s[0:1]
	v_mul_lo_u32 v2, v3, v2
	s_waitcnt lgkmcnt(0)
	v_and_b32_e32 v3, 1, v9
	v_cmp_eq_u32_e64 s[0:1], 1, v7
	v_cndmask_b32_e64 v5, v2, v5, s[52:53]
	s_nop 0
	v_cndmask_b32_e64 v3, v3, 1, s[0:1]
	v_cndmask_b32_e64 v6, v3, v6, s[52:53]
	ds_write_b32 v1, v5
	ds_write_b8 v1, v6 offset:4
	; wave barrier
	ds_read_u8 v7, v1 offset:12
	ds_read2_b32 v[2:3], v1 offset0:2 offset1:4
	ds_read_u8 v8, v1 offset:20
	ds_read_b32 v9, v1 offset:24
	ds_read_u8 v15, v1 offset:28
	s_waitcnt lgkmcnt(4)
	v_cmp_eq_u16_e64 s[0:1], 0, v7
	s_nop 1
	v_cndmask_b32_e64 v5, 1, v5, s[0:1]
	s_waitcnt lgkmcnt(3)
	v_mul_lo_u32 v2, v5, v2
	v_and_b32_e32 v5, 1, v7
	v_cmp_eq_u32_e64 s[0:1], 1, v5
	s_nop 1
	v_cndmask_b32_e64 v5, v6, 1, s[0:1]
	s_waitcnt lgkmcnt(2)
	v_cmp_eq_u16_e64 s[0:1], 0, v8
	ds_write_b8 v1, v5 offset:12
	s_nop 0
	v_cndmask_b32_e64 v6, 1, v2, s[0:1]
	v_mul_lo_u32 v3, v6, v3
	v_and_b32_e32 v6, 1, v8
	v_cmp_eq_u32_e64 s[0:1], 1, v6
	s_nop 1
	v_cndmask_b32_e64 v5, v5, 1, s[0:1]
	s_waitcnt lgkmcnt(1)
	v_cmp_eq_u16_e64 s[0:1], 0, v15
	ds_write2_b32 v1, v2, v3 offset0:2 offset1:4
	ds_write_b8 v1, v5 offset:20
	v_cndmask_b32_e64 v2, 1, v3, s[0:1]
	v_and_b32_e32 v3, 1, v15
	v_mul_lo_u32 v2, v2, v9
	v_cmp_eq_u32_e64 s[0:1], 1, v3
	s_nop 1
	v_cndmask_b32_e64 v3, v5, 1, s[0:1]
	ds_write_b32 v1, v2 offset:24
	ds_write_b8 v1, v3 offset:28
.LBB508_236:
	s_or_b64 exec, exec, s[48:49]
	s_waitcnt vmcnt(0)
	v_mov_b32_e32 v60, v4
	s_waitcnt lgkmcnt(0)
	s_barrier
	s_and_saveexec_b64 s[48:49], s[4:5]
	s_cbranch_execz .LBB508_238
; %bb.237:
	v_add_u32_e32 v1, -1, v0
	v_lshrrev_b32_e32 v2, 5, v1
	v_add_lshl_u32 v1, v2, v1, 3
	ds_read_u8 v2, v1 offset:4
	ds_read_b32 v1, v1
	s_waitcnt lgkmcnt(1)
	v_cmp_eq_u16_e64 s[0:1], 0, v2
	s_nop 1
	v_cndmask_b32_e64 v2, 1, v4, s[0:1]
	s_waitcnt lgkmcnt(0)
	v_mul_lo_u32 v60, v2, v1
.LBB508_238:
	s_or_b64 exec, exec, s[48:49]
	v_and_b32_e32 v3, 0xff, v13
	v_mov_b32_e32 v2, 0
	v_cmp_eq_u64_e64 s[0:1], 0, v[2:3]
	s_nop 1
	v_cndmask_b32_e64 v1, 1, v60, s[0:1]
	v_mul_lo_u32 v61, v1, v12
	v_cndmask_b32_e32 v1, 1, v61, vcc
	v_mul_lo_u32 v62, v1, v14
	v_cndmask_b32_e64 v1, 1, v62, s[6:7]
	v_mul_lo_u32 v63, v1, v16
	v_cndmask_b32_e64 v1, 1, v63, s[8:9]
	;; [unrolled: 2-line block ×20, first 2 shown]
	s_and_saveexec_b64 s[0:1], s[52:53]
	s_cbranch_execz .LBB508_240
; %bb.239:
	ds_read_u8 v3, v2 offset:2100
	ds_read_b32 v5, v2 offset:2096
	s_add_u32 s4, s64, 0x400
	s_addc_u32 s5, s65, 0
	v_mov_b32_e32 v6, 2
	s_waitcnt lgkmcnt(1)
	v_cmp_eq_u16_e32 vcc, 0, v3
	v_mov_b32_e32 v7, v2
	s_nop 0
	v_cndmask_b32_e32 v4, 1, v4, vcc
	s_waitcnt lgkmcnt(0)
	v_mul_lo_u32 v4, v4, v5
	v_and_b32_e32 v5, 0xffff, v3
	v_mov_b64_e32 v[2:3], s[4:5]
	;;#ASMSTART
	global_store_dwordx4 v[2:3], v[4:7] off sc1	
s_waitcnt vmcnt(0)
	;;#ASMEND
.LBB508_240:
	s_or_b64 exec, exec, s[0:1]
	v_mul_lo_u32 v82, v1, v54
.LBB508_241:
	s_add_u32 s0, s62, s54
	s_addc_u32 s1, s63, s55
	v_lshl_add_u64 v[2:3], s[0:1], 0, v[10:11]
	s_and_b64 vcc, exec, s[2:3]
	s_cbranch_vccz .LBB508_287
; %bb.242:
	s_movk_i32 s0, 0x5c
	v_mul_i32_i24_e32 v28, 0xffffffa8, v0
	v_mul_u32_u24_e32 v1, 0x5c, v0
	v_mad_u32_u24 v4, v0, s0, v28
	s_barrier
	ds_write2_b32 v1, v60, v61 offset1:1
	ds_write2_b32 v1, v62, v63 offset0:2 offset1:3
	ds_write2_b32 v1, v64, v65 offset0:4 offset1:5
	;; [unrolled: 1-line block ×10, first 2 shown]
	ds_write_b32 v1, v82 offset:88
	s_waitcnt lgkmcnt(0)
	s_barrier
	ds_read2st64_b32 v[26:27], v4 offset0:4 offset1:8
	ds_read2st64_b32 v[24:25], v4 offset0:12 offset1:16
	;; [unrolled: 1-line block ×11, first 2 shown]
	s_add_i32 s33, s33, s66
	v_mov_b32_e32 v57, 0
	v_lshl_add_u64 v[6:7], v[2:3], 0, v[56:57]
	v_cmp_gt_u32_e32 vcc, s33, v0
	s_and_saveexec_b64 s[0:1], vcc
	s_cbranch_execz .LBB508_244
; %bb.243:
	v_add_u32_e32 v1, v1, v28
	ds_read_b32 v1, v1
	s_waitcnt lgkmcnt(0)
	flat_store_dword v[6:7], v1
.LBB508_244:
	s_or_b64 exec, exec, s[0:1]
	v_or_b32_e32 v1, 0x100, v0
	v_cmp_gt_u32_e32 vcc, s33, v1
	s_and_saveexec_b64 s[0:1], vcc
	s_cbranch_execz .LBB508_246
; %bb.245:
	s_waitcnt lgkmcnt(0)
	flat_store_dword v[6:7], v26 offset:1024
.LBB508_246:
	s_or_b64 exec, exec, s[0:1]
	v_or_b32_e32 v1, 0x200, v0
	v_cmp_gt_u32_e32 vcc, s33, v1
	s_and_saveexec_b64 s[0:1], vcc
	s_cbranch_execz .LBB508_248
; %bb.247:
	s_waitcnt lgkmcnt(0)
	flat_store_dword v[6:7], v27 offset:2048
.LBB508_248:
	;; [unrolled: 9-line block ×3, first 2 shown]
	s_or_b64 exec, exec, s[0:1]
	v_or_b32_e32 v1, 0x400, v0
	v_cmp_gt_u32_e32 vcc, s33, v1
	s_and_saveexec_b64 s[0:1], vcc
	s_cbranch_execz .LBB508_252
; %bb.251:
	s_waitcnt lgkmcnt(0)
	v_add_co_u32_e32 v26, vcc, 0x1000, v6
	s_nop 1
	v_addc_co_u32_e32 v27, vcc, 0, v7, vcc
	flat_store_dword v[26:27], v25
.LBB508_252:
	s_or_b64 exec, exec, s[0:1]
	v_or_b32_e32 v1, 0x500, v0
	v_cmp_gt_u32_e32 vcc, s33, v1
	s_and_saveexec_b64 s[0:1], vcc
	s_cbranch_execz .LBB508_254
; %bb.253:
	s_waitcnt lgkmcnt(0)
	v_add_co_u32_e32 v24, vcc, 0x1000, v6
	s_nop 1
	v_addc_co_u32_e32 v25, vcc, 0, v7, vcc
	flat_store_dword v[24:25], v22 offset:1024
.LBB508_254:
	s_or_b64 exec, exec, s[0:1]
	v_or_b32_e32 v1, 0x600, v0
	v_cmp_gt_u32_e32 vcc, s33, v1
	s_and_saveexec_b64 s[0:1], vcc
	s_cbranch_execz .LBB508_256
; %bb.255:
	s_waitcnt lgkmcnt(0)
	v_add_co_u32_e32 v24, vcc, 0x1000, v6
	s_nop 1
	v_addc_co_u32_e32 v25, vcc, 0, v7, vcc
	flat_store_dword v[24:25], v23 offset:2048
.LBB508_256:
	s_or_b64 exec, exec, s[0:1]
	v_or_b32_e32 v1, 0x700, v0
	v_cmp_gt_u32_e32 vcc, s33, v1
	s_and_saveexec_b64 s[0:1], vcc
	s_cbranch_execz .LBB508_258
; %bb.257:
	s_waitcnt lgkmcnt(0)
	v_add_co_u32_e32 v22, vcc, 0x1000, v6
	s_nop 1
	v_addc_co_u32_e32 v23, vcc, 0, v7, vcc
	flat_store_dword v[22:23], v20 offset:3072
.LBB508_258:
	s_or_b64 exec, exec, s[0:1]
	v_or_b32_e32 v1, 0x800, v0
	v_cmp_gt_u32_e32 vcc, s33, v1
	s_and_saveexec_b64 s[0:1], vcc
	s_cbranch_execz .LBB508_260
; %bb.259:
	s_waitcnt lgkmcnt(0)
	v_add_co_u32_e32 v22, vcc, 0x2000, v6
	s_nop 1
	v_addc_co_u32_e32 v23, vcc, 0, v7, vcc
	flat_store_dword v[22:23], v21
.LBB508_260:
	s_or_b64 exec, exec, s[0:1]
	v_or_b32_e32 v1, 0x900, v0
	v_cmp_gt_u32_e32 vcc, s33, v1
	s_and_saveexec_b64 s[0:1], vcc
	s_cbranch_execz .LBB508_262
; %bb.261:
	s_waitcnt lgkmcnt(0)
	v_add_co_u32_e32 v20, vcc, 0x2000, v6
	s_nop 1
	v_addc_co_u32_e32 v21, vcc, 0, v7, vcc
	flat_store_dword v[20:21], v18 offset:1024
.LBB508_262:
	s_or_b64 exec, exec, s[0:1]
	v_or_b32_e32 v1, 0xa00, v0
	v_cmp_gt_u32_e32 vcc, s33, v1
	s_and_saveexec_b64 s[0:1], vcc
	s_cbranch_execz .LBB508_264
; %bb.263:
	s_waitcnt lgkmcnt(0)
	v_add_co_u32_e32 v20, vcc, 0x2000, v6
	s_nop 1
	v_addc_co_u32_e32 v21, vcc, 0, v7, vcc
	flat_store_dword v[20:21], v19 offset:2048
.LBB508_264:
	s_or_b64 exec, exec, s[0:1]
	v_or_b32_e32 v1, 0xb00, v0
	v_cmp_gt_u32_e32 vcc, s33, v1
	s_and_saveexec_b64 s[0:1], vcc
	s_cbranch_execz .LBB508_266
; %bb.265:
	s_waitcnt lgkmcnt(0)
	v_add_co_u32_e32 v18, vcc, 0x2000, v6
	s_nop 1
	v_addc_co_u32_e32 v19, vcc, 0, v7, vcc
	flat_store_dword v[18:19], v16 offset:3072
.LBB508_266:
	;; [unrolled: 48-line block ×4, first 2 shown]
	s_or_b64 exec, exec, s[0:1]
	v_or_b32_e32 v1, 0x1400, v0
	v_cmp_gt_u32_e32 vcc, s33, v1
	s_and_saveexec_b64 s[0:1], vcc
	s_cbranch_execz .LBB508_284
; %bb.283:
	s_waitcnt lgkmcnt(0)
	v_add_co_u32_e32 v10, vcc, 0x5000, v6
	s_nop 1
	v_addc_co_u32_e32 v11, vcc, 0, v7, vcc
	flat_store_dword v[10:11], v9
.LBB508_284:
	s_or_b64 exec, exec, s[0:1]
	v_or_b32_e32 v1, 0x1500, v0
	v_cmp_gt_u32_e32 vcc, s33, v1
	s_and_saveexec_b64 s[0:1], vcc
	s_cbranch_execz .LBB508_286
; %bb.285:
	v_add_co_u32_e32 v6, vcc, 0x5000, v6
	s_nop 1
	v_addc_co_u32_e32 v7, vcc, 0, v7, vcc
	s_waitcnt lgkmcnt(0)
	flat_store_dword v[6:7], v4 offset:1024
.LBB508_286:
	s_or_b64 exec, exec, s[0:1]
	s_waitcnt lgkmcnt(0)
	v_or_b32_e32 v4, 0x1600, v0
	v_mov_b32_e32 v1, v57
	v_cmp_gt_u32_e64 s[0:1], s33, v4
	s_branch .LBB508_289
.LBB508_287:
	s_mov_b64 s[0:1], 0
                                        ; implicit-def: $vgpr5
	s_cbranch_execz .LBB508_289
; %bb.288:
	v_mul_u32_u24_e32 v1, 0x5c, v0
	s_barrier
	s_movk_i32 s2, 0x5c
	ds_write2_b32 v1, v60, v61 offset1:1
	ds_write2_b32 v1, v62, v63 offset0:2 offset1:3
	ds_write2_b32 v1, v64, v65 offset0:4 offset1:5
	;; [unrolled: 1-line block ×10, first 2 shown]
	ds_write_b32 v1, v82 offset:88
	v_mov_b32_e32 v1, 0
	v_mul_i32_i24_e32 v4, 0xffffffa8, v0
	v_mad_u32_u24 v4, v0, s2, v4
	v_mov_b32_e32 v57, v1
	s_waitcnt lgkmcnt(0)
	s_barrier
	ds_read2st64_b32 v[6:7], v4 offset1:4
	ds_read2st64_b32 v[8:9], v4 offset0:8 offset1:12
	ds_read2st64_b32 v[10:11], v4 offset0:16 offset1:20
	ds_read2st64_b32 v[12:13], v4 offset0:24 offset1:28
	ds_read2st64_b32 v[14:15], v4 offset0:32 offset1:36
	ds_read2st64_b32 v[16:17], v4 offset0:40 offset1:44
	ds_read2st64_b32 v[18:19], v4 offset0:48 offset1:52
	ds_read2st64_b32 v[20:21], v4 offset0:56 offset1:60
	ds_read2st64_b32 v[22:23], v4 offset0:64 offset1:68
	ds_read2st64_b32 v[24:25], v4 offset0:72 offset1:76
	ds_read2st64_b32 v[26:27], v4 offset0:80 offset1:84
	ds_read_b32 v5, v4 offset:22528
	v_lshl_add_u64 v[28:29], v[2:3], 0, v[56:57]
	s_movk_i32 s2, 0x1000
	s_waitcnt lgkmcnt(0)
	flat_store_dword v[28:29], v6
	flat_store_dword v[28:29], v7 offset:1024
	flat_store_dword v[28:29], v8 offset:2048
	;; [unrolled: 1-line block ×3, first 2 shown]
	v_add_co_u32_e32 v6, vcc, s2, v28
	s_movk_i32 s2, 0x2000
	s_nop 0
	v_addc_co_u32_e32 v7, vcc, 0, v29, vcc
	flat_store_dword v[6:7], v10
	flat_store_dword v[6:7], v11 offset:1024
	flat_store_dword v[6:7], v12 offset:2048
	;; [unrolled: 1-line block ×3, first 2 shown]
	v_add_co_u32_e32 v6, vcc, s2, v28
	s_movk_i32 s2, 0x3000
	s_nop 0
	v_addc_co_u32_e32 v7, vcc, 0, v29, vcc
	flat_store_dword v[6:7], v14
	flat_store_dword v[6:7], v15 offset:1024
	flat_store_dword v[6:7], v16 offset:2048
	;; [unrolled: 1-line block ×3, first 2 shown]
	v_add_co_u32_e32 v6, vcc, s2, v28
	s_or_b64 s[0:1], s[0:1], exec
	s_nop 0
	v_addc_co_u32_e32 v7, vcc, 0, v29, vcc
	flat_store_dword v[6:7], v18
	flat_store_dword v[6:7], v19 offset:1024
	flat_store_dword v[6:7], v20 offset:2048
	;; [unrolled: 1-line block ×3, first 2 shown]
	v_add_co_u32_e32 v6, vcc, 0x4000, v28
	s_nop 1
	v_addc_co_u32_e32 v7, vcc, 0, v29, vcc
	flat_store_dword v[6:7], v22
	flat_store_dword v[6:7], v23 offset:1024
	flat_store_dword v[6:7], v24 offset:2048
	;; [unrolled: 1-line block ×3, first 2 shown]
	v_add_co_u32_e32 v6, vcc, 0x5000, v28
	s_nop 1
	v_addc_co_u32_e32 v7, vcc, 0, v29, vcc
	flat_store_dword v[6:7], v26
	flat_store_dword v[6:7], v27 offset:1024
.LBB508_289:
	s_and_saveexec_b64 s[2:3], s[0:1]
	s_cbranch_execz .LBB508_291
; %bb.290:
	v_lshl_add_u64 v[0:1], v[0:1], 2, v[2:3]
	v_add_co_u32_e32 v0, vcc, 0x5000, v0
	s_nop 1
	v_addc_co_u32_e32 v1, vcc, 0, v1, vcc
	flat_store_dword v[0:1], v5 offset:2048
	s_endpgm
.LBB508_291:
	s_endpgm
	.section	.rodata,"a",@progbits
	.p2align	6, 0x0
	.amdhsa_kernel _ZN7rocprim17ROCPRIM_400000_NS6detail17trampoline_kernelINS0_14default_configENS1_27scan_by_key_config_selectorIiiEEZZNS1_16scan_by_key_implILNS1_25lookback_scan_determinismE0ELb1ES3_N6thrust23THRUST_200600_302600_NS6detail15normal_iteratorINS9_10device_ptrIiEEEESE_SE_iNS9_10multipliesIiEENS9_8equal_toIiEEiEE10hipError_tPvRmT2_T3_T4_T5_mT6_T7_P12ihipStream_tbENKUlT_T0_E_clISt17integral_constantIbLb1EESZ_EEDaSU_SV_EUlSU_E_NS1_11comp_targetILNS1_3genE5ELNS1_11target_archE942ELNS1_3gpuE9ELNS1_3repE0EEENS1_30default_config_static_selectorELNS0_4arch9wavefront6targetE1EEEvT1_
		.amdhsa_group_segment_fixed_size 25600
		.amdhsa_private_segment_fixed_size 0
		.amdhsa_kernarg_size 112
		.amdhsa_user_sgpr_count 2
		.amdhsa_user_sgpr_dispatch_ptr 0
		.amdhsa_user_sgpr_queue_ptr 0
		.amdhsa_user_sgpr_kernarg_segment_ptr 1
		.amdhsa_user_sgpr_dispatch_id 0
		.amdhsa_user_sgpr_kernarg_preload_length 0
		.amdhsa_user_sgpr_kernarg_preload_offset 0
		.amdhsa_user_sgpr_private_segment_size 0
		.amdhsa_uses_dynamic_stack 0
		.amdhsa_enable_private_segment 0
		.amdhsa_system_sgpr_workgroup_id_x 1
		.amdhsa_system_sgpr_workgroup_id_y 0
		.amdhsa_system_sgpr_workgroup_id_z 0
		.amdhsa_system_sgpr_workgroup_info 0
		.amdhsa_system_vgpr_workitem_id 0
		.amdhsa_next_free_vgpr 83
		.amdhsa_next_free_sgpr 80
		.amdhsa_accum_offset 84
		.amdhsa_reserve_vcc 1
		.amdhsa_float_round_mode_32 0
		.amdhsa_float_round_mode_16_64 0
		.amdhsa_float_denorm_mode_32 3
		.amdhsa_float_denorm_mode_16_64 3
		.amdhsa_dx10_clamp 1
		.amdhsa_ieee_mode 1
		.amdhsa_fp16_overflow 0
		.amdhsa_tg_split 0
		.amdhsa_exception_fp_ieee_invalid_op 0
		.amdhsa_exception_fp_denorm_src 0
		.amdhsa_exception_fp_ieee_div_zero 0
		.amdhsa_exception_fp_ieee_overflow 0
		.amdhsa_exception_fp_ieee_underflow 0
		.amdhsa_exception_fp_ieee_inexact 0
		.amdhsa_exception_int_div_zero 0
	.end_amdhsa_kernel
	.section	.text._ZN7rocprim17ROCPRIM_400000_NS6detail17trampoline_kernelINS0_14default_configENS1_27scan_by_key_config_selectorIiiEEZZNS1_16scan_by_key_implILNS1_25lookback_scan_determinismE0ELb1ES3_N6thrust23THRUST_200600_302600_NS6detail15normal_iteratorINS9_10device_ptrIiEEEESE_SE_iNS9_10multipliesIiEENS9_8equal_toIiEEiEE10hipError_tPvRmT2_T3_T4_T5_mT6_T7_P12ihipStream_tbENKUlT_T0_E_clISt17integral_constantIbLb1EESZ_EEDaSU_SV_EUlSU_E_NS1_11comp_targetILNS1_3genE5ELNS1_11target_archE942ELNS1_3gpuE9ELNS1_3repE0EEENS1_30default_config_static_selectorELNS0_4arch9wavefront6targetE1EEEvT1_,"axG",@progbits,_ZN7rocprim17ROCPRIM_400000_NS6detail17trampoline_kernelINS0_14default_configENS1_27scan_by_key_config_selectorIiiEEZZNS1_16scan_by_key_implILNS1_25lookback_scan_determinismE0ELb1ES3_N6thrust23THRUST_200600_302600_NS6detail15normal_iteratorINS9_10device_ptrIiEEEESE_SE_iNS9_10multipliesIiEENS9_8equal_toIiEEiEE10hipError_tPvRmT2_T3_T4_T5_mT6_T7_P12ihipStream_tbENKUlT_T0_E_clISt17integral_constantIbLb1EESZ_EEDaSU_SV_EUlSU_E_NS1_11comp_targetILNS1_3genE5ELNS1_11target_archE942ELNS1_3gpuE9ELNS1_3repE0EEENS1_30default_config_static_selectorELNS0_4arch9wavefront6targetE1EEEvT1_,comdat
.Lfunc_end508:
	.size	_ZN7rocprim17ROCPRIM_400000_NS6detail17trampoline_kernelINS0_14default_configENS1_27scan_by_key_config_selectorIiiEEZZNS1_16scan_by_key_implILNS1_25lookback_scan_determinismE0ELb1ES3_N6thrust23THRUST_200600_302600_NS6detail15normal_iteratorINS9_10device_ptrIiEEEESE_SE_iNS9_10multipliesIiEENS9_8equal_toIiEEiEE10hipError_tPvRmT2_T3_T4_T5_mT6_T7_P12ihipStream_tbENKUlT_T0_E_clISt17integral_constantIbLb1EESZ_EEDaSU_SV_EUlSU_E_NS1_11comp_targetILNS1_3genE5ELNS1_11target_archE942ELNS1_3gpuE9ELNS1_3repE0EEENS1_30default_config_static_selectorELNS0_4arch9wavefront6targetE1EEEvT1_, .Lfunc_end508-_ZN7rocprim17ROCPRIM_400000_NS6detail17trampoline_kernelINS0_14default_configENS1_27scan_by_key_config_selectorIiiEEZZNS1_16scan_by_key_implILNS1_25lookback_scan_determinismE0ELb1ES3_N6thrust23THRUST_200600_302600_NS6detail15normal_iteratorINS9_10device_ptrIiEEEESE_SE_iNS9_10multipliesIiEENS9_8equal_toIiEEiEE10hipError_tPvRmT2_T3_T4_T5_mT6_T7_P12ihipStream_tbENKUlT_T0_E_clISt17integral_constantIbLb1EESZ_EEDaSU_SV_EUlSU_E_NS1_11comp_targetILNS1_3genE5ELNS1_11target_archE942ELNS1_3gpuE9ELNS1_3repE0EEENS1_30default_config_static_selectorELNS0_4arch9wavefront6targetE1EEEvT1_
                                        ; -- End function
	.section	.AMDGPU.csdata,"",@progbits
; Kernel info:
; codeLenInByte = 16348
; NumSgprs: 86
; NumVgprs: 83
; NumAgprs: 0
; TotalNumVgprs: 83
; ScratchSize: 0
; MemoryBound: 0
; FloatMode: 240
; IeeeMode: 1
; LDSByteSize: 25600 bytes/workgroup (compile time only)
; SGPRBlocks: 10
; VGPRBlocks: 10
; NumSGPRsForWavesPerEU: 86
; NumVGPRsForWavesPerEU: 83
; AccumOffset: 84
; Occupancy: 2
; WaveLimiterHint : 1
; COMPUTE_PGM_RSRC2:SCRATCH_EN: 0
; COMPUTE_PGM_RSRC2:USER_SGPR: 2
; COMPUTE_PGM_RSRC2:TRAP_HANDLER: 0
; COMPUTE_PGM_RSRC2:TGID_X_EN: 1
; COMPUTE_PGM_RSRC2:TGID_Y_EN: 0
; COMPUTE_PGM_RSRC2:TGID_Z_EN: 0
; COMPUTE_PGM_RSRC2:TIDIG_COMP_CNT: 0
; COMPUTE_PGM_RSRC3_GFX90A:ACCUM_OFFSET: 20
; COMPUTE_PGM_RSRC3_GFX90A:TG_SPLIT: 0
	.section	.text._ZN7rocprim17ROCPRIM_400000_NS6detail17trampoline_kernelINS0_14default_configENS1_27scan_by_key_config_selectorIiiEEZZNS1_16scan_by_key_implILNS1_25lookback_scan_determinismE0ELb1ES3_N6thrust23THRUST_200600_302600_NS6detail15normal_iteratorINS9_10device_ptrIiEEEESE_SE_iNS9_10multipliesIiEENS9_8equal_toIiEEiEE10hipError_tPvRmT2_T3_T4_T5_mT6_T7_P12ihipStream_tbENKUlT_T0_E_clISt17integral_constantIbLb1EESZ_EEDaSU_SV_EUlSU_E_NS1_11comp_targetILNS1_3genE4ELNS1_11target_archE910ELNS1_3gpuE8ELNS1_3repE0EEENS1_30default_config_static_selectorELNS0_4arch9wavefront6targetE1EEEvT1_,"axG",@progbits,_ZN7rocprim17ROCPRIM_400000_NS6detail17trampoline_kernelINS0_14default_configENS1_27scan_by_key_config_selectorIiiEEZZNS1_16scan_by_key_implILNS1_25lookback_scan_determinismE0ELb1ES3_N6thrust23THRUST_200600_302600_NS6detail15normal_iteratorINS9_10device_ptrIiEEEESE_SE_iNS9_10multipliesIiEENS9_8equal_toIiEEiEE10hipError_tPvRmT2_T3_T4_T5_mT6_T7_P12ihipStream_tbENKUlT_T0_E_clISt17integral_constantIbLb1EESZ_EEDaSU_SV_EUlSU_E_NS1_11comp_targetILNS1_3genE4ELNS1_11target_archE910ELNS1_3gpuE8ELNS1_3repE0EEENS1_30default_config_static_selectorELNS0_4arch9wavefront6targetE1EEEvT1_,comdat
	.protected	_ZN7rocprim17ROCPRIM_400000_NS6detail17trampoline_kernelINS0_14default_configENS1_27scan_by_key_config_selectorIiiEEZZNS1_16scan_by_key_implILNS1_25lookback_scan_determinismE0ELb1ES3_N6thrust23THRUST_200600_302600_NS6detail15normal_iteratorINS9_10device_ptrIiEEEESE_SE_iNS9_10multipliesIiEENS9_8equal_toIiEEiEE10hipError_tPvRmT2_T3_T4_T5_mT6_T7_P12ihipStream_tbENKUlT_T0_E_clISt17integral_constantIbLb1EESZ_EEDaSU_SV_EUlSU_E_NS1_11comp_targetILNS1_3genE4ELNS1_11target_archE910ELNS1_3gpuE8ELNS1_3repE0EEENS1_30default_config_static_selectorELNS0_4arch9wavefront6targetE1EEEvT1_ ; -- Begin function _ZN7rocprim17ROCPRIM_400000_NS6detail17trampoline_kernelINS0_14default_configENS1_27scan_by_key_config_selectorIiiEEZZNS1_16scan_by_key_implILNS1_25lookback_scan_determinismE0ELb1ES3_N6thrust23THRUST_200600_302600_NS6detail15normal_iteratorINS9_10device_ptrIiEEEESE_SE_iNS9_10multipliesIiEENS9_8equal_toIiEEiEE10hipError_tPvRmT2_T3_T4_T5_mT6_T7_P12ihipStream_tbENKUlT_T0_E_clISt17integral_constantIbLb1EESZ_EEDaSU_SV_EUlSU_E_NS1_11comp_targetILNS1_3genE4ELNS1_11target_archE910ELNS1_3gpuE8ELNS1_3repE0EEENS1_30default_config_static_selectorELNS0_4arch9wavefront6targetE1EEEvT1_
	.globl	_ZN7rocprim17ROCPRIM_400000_NS6detail17trampoline_kernelINS0_14default_configENS1_27scan_by_key_config_selectorIiiEEZZNS1_16scan_by_key_implILNS1_25lookback_scan_determinismE0ELb1ES3_N6thrust23THRUST_200600_302600_NS6detail15normal_iteratorINS9_10device_ptrIiEEEESE_SE_iNS9_10multipliesIiEENS9_8equal_toIiEEiEE10hipError_tPvRmT2_T3_T4_T5_mT6_T7_P12ihipStream_tbENKUlT_T0_E_clISt17integral_constantIbLb1EESZ_EEDaSU_SV_EUlSU_E_NS1_11comp_targetILNS1_3genE4ELNS1_11target_archE910ELNS1_3gpuE8ELNS1_3repE0EEENS1_30default_config_static_selectorELNS0_4arch9wavefront6targetE1EEEvT1_
	.p2align	8
	.type	_ZN7rocprim17ROCPRIM_400000_NS6detail17trampoline_kernelINS0_14default_configENS1_27scan_by_key_config_selectorIiiEEZZNS1_16scan_by_key_implILNS1_25lookback_scan_determinismE0ELb1ES3_N6thrust23THRUST_200600_302600_NS6detail15normal_iteratorINS9_10device_ptrIiEEEESE_SE_iNS9_10multipliesIiEENS9_8equal_toIiEEiEE10hipError_tPvRmT2_T3_T4_T5_mT6_T7_P12ihipStream_tbENKUlT_T0_E_clISt17integral_constantIbLb1EESZ_EEDaSU_SV_EUlSU_E_NS1_11comp_targetILNS1_3genE4ELNS1_11target_archE910ELNS1_3gpuE8ELNS1_3repE0EEENS1_30default_config_static_selectorELNS0_4arch9wavefront6targetE1EEEvT1_,@function
_ZN7rocprim17ROCPRIM_400000_NS6detail17trampoline_kernelINS0_14default_configENS1_27scan_by_key_config_selectorIiiEEZZNS1_16scan_by_key_implILNS1_25lookback_scan_determinismE0ELb1ES3_N6thrust23THRUST_200600_302600_NS6detail15normal_iteratorINS9_10device_ptrIiEEEESE_SE_iNS9_10multipliesIiEENS9_8equal_toIiEEiEE10hipError_tPvRmT2_T3_T4_T5_mT6_T7_P12ihipStream_tbENKUlT_T0_E_clISt17integral_constantIbLb1EESZ_EEDaSU_SV_EUlSU_E_NS1_11comp_targetILNS1_3genE4ELNS1_11target_archE910ELNS1_3gpuE8ELNS1_3repE0EEENS1_30default_config_static_selectorELNS0_4arch9wavefront6targetE1EEEvT1_: ; @_ZN7rocprim17ROCPRIM_400000_NS6detail17trampoline_kernelINS0_14default_configENS1_27scan_by_key_config_selectorIiiEEZZNS1_16scan_by_key_implILNS1_25lookback_scan_determinismE0ELb1ES3_N6thrust23THRUST_200600_302600_NS6detail15normal_iteratorINS9_10device_ptrIiEEEESE_SE_iNS9_10multipliesIiEENS9_8equal_toIiEEiEE10hipError_tPvRmT2_T3_T4_T5_mT6_T7_P12ihipStream_tbENKUlT_T0_E_clISt17integral_constantIbLb1EESZ_EEDaSU_SV_EUlSU_E_NS1_11comp_targetILNS1_3genE4ELNS1_11target_archE910ELNS1_3gpuE8ELNS1_3repE0EEENS1_30default_config_static_selectorELNS0_4arch9wavefront6targetE1EEEvT1_
; %bb.0:
	.section	.rodata,"a",@progbits
	.p2align	6, 0x0
	.amdhsa_kernel _ZN7rocprim17ROCPRIM_400000_NS6detail17trampoline_kernelINS0_14default_configENS1_27scan_by_key_config_selectorIiiEEZZNS1_16scan_by_key_implILNS1_25lookback_scan_determinismE0ELb1ES3_N6thrust23THRUST_200600_302600_NS6detail15normal_iteratorINS9_10device_ptrIiEEEESE_SE_iNS9_10multipliesIiEENS9_8equal_toIiEEiEE10hipError_tPvRmT2_T3_T4_T5_mT6_T7_P12ihipStream_tbENKUlT_T0_E_clISt17integral_constantIbLb1EESZ_EEDaSU_SV_EUlSU_E_NS1_11comp_targetILNS1_3genE4ELNS1_11target_archE910ELNS1_3gpuE8ELNS1_3repE0EEENS1_30default_config_static_selectorELNS0_4arch9wavefront6targetE1EEEvT1_
		.amdhsa_group_segment_fixed_size 0
		.amdhsa_private_segment_fixed_size 0
		.amdhsa_kernarg_size 112
		.amdhsa_user_sgpr_count 2
		.amdhsa_user_sgpr_dispatch_ptr 0
		.amdhsa_user_sgpr_queue_ptr 0
		.amdhsa_user_sgpr_kernarg_segment_ptr 1
		.amdhsa_user_sgpr_dispatch_id 0
		.amdhsa_user_sgpr_kernarg_preload_length 0
		.amdhsa_user_sgpr_kernarg_preload_offset 0
		.amdhsa_user_sgpr_private_segment_size 0
		.amdhsa_uses_dynamic_stack 0
		.amdhsa_enable_private_segment 0
		.amdhsa_system_sgpr_workgroup_id_x 1
		.amdhsa_system_sgpr_workgroup_id_y 0
		.amdhsa_system_sgpr_workgroup_id_z 0
		.amdhsa_system_sgpr_workgroup_info 0
		.amdhsa_system_vgpr_workitem_id 0
		.amdhsa_next_free_vgpr 1
		.amdhsa_next_free_sgpr 0
		.amdhsa_accum_offset 4
		.amdhsa_reserve_vcc 0
		.amdhsa_float_round_mode_32 0
		.amdhsa_float_round_mode_16_64 0
		.amdhsa_float_denorm_mode_32 3
		.amdhsa_float_denorm_mode_16_64 3
		.amdhsa_dx10_clamp 1
		.amdhsa_ieee_mode 1
		.amdhsa_fp16_overflow 0
		.amdhsa_tg_split 0
		.amdhsa_exception_fp_ieee_invalid_op 0
		.amdhsa_exception_fp_denorm_src 0
		.amdhsa_exception_fp_ieee_div_zero 0
		.amdhsa_exception_fp_ieee_overflow 0
		.amdhsa_exception_fp_ieee_underflow 0
		.amdhsa_exception_fp_ieee_inexact 0
		.amdhsa_exception_int_div_zero 0
	.end_amdhsa_kernel
	.section	.text._ZN7rocprim17ROCPRIM_400000_NS6detail17trampoline_kernelINS0_14default_configENS1_27scan_by_key_config_selectorIiiEEZZNS1_16scan_by_key_implILNS1_25lookback_scan_determinismE0ELb1ES3_N6thrust23THRUST_200600_302600_NS6detail15normal_iteratorINS9_10device_ptrIiEEEESE_SE_iNS9_10multipliesIiEENS9_8equal_toIiEEiEE10hipError_tPvRmT2_T3_T4_T5_mT6_T7_P12ihipStream_tbENKUlT_T0_E_clISt17integral_constantIbLb1EESZ_EEDaSU_SV_EUlSU_E_NS1_11comp_targetILNS1_3genE4ELNS1_11target_archE910ELNS1_3gpuE8ELNS1_3repE0EEENS1_30default_config_static_selectorELNS0_4arch9wavefront6targetE1EEEvT1_,"axG",@progbits,_ZN7rocprim17ROCPRIM_400000_NS6detail17trampoline_kernelINS0_14default_configENS1_27scan_by_key_config_selectorIiiEEZZNS1_16scan_by_key_implILNS1_25lookback_scan_determinismE0ELb1ES3_N6thrust23THRUST_200600_302600_NS6detail15normal_iteratorINS9_10device_ptrIiEEEESE_SE_iNS9_10multipliesIiEENS9_8equal_toIiEEiEE10hipError_tPvRmT2_T3_T4_T5_mT6_T7_P12ihipStream_tbENKUlT_T0_E_clISt17integral_constantIbLb1EESZ_EEDaSU_SV_EUlSU_E_NS1_11comp_targetILNS1_3genE4ELNS1_11target_archE910ELNS1_3gpuE8ELNS1_3repE0EEENS1_30default_config_static_selectorELNS0_4arch9wavefront6targetE1EEEvT1_,comdat
.Lfunc_end509:
	.size	_ZN7rocprim17ROCPRIM_400000_NS6detail17trampoline_kernelINS0_14default_configENS1_27scan_by_key_config_selectorIiiEEZZNS1_16scan_by_key_implILNS1_25lookback_scan_determinismE0ELb1ES3_N6thrust23THRUST_200600_302600_NS6detail15normal_iteratorINS9_10device_ptrIiEEEESE_SE_iNS9_10multipliesIiEENS9_8equal_toIiEEiEE10hipError_tPvRmT2_T3_T4_T5_mT6_T7_P12ihipStream_tbENKUlT_T0_E_clISt17integral_constantIbLb1EESZ_EEDaSU_SV_EUlSU_E_NS1_11comp_targetILNS1_3genE4ELNS1_11target_archE910ELNS1_3gpuE8ELNS1_3repE0EEENS1_30default_config_static_selectorELNS0_4arch9wavefront6targetE1EEEvT1_, .Lfunc_end509-_ZN7rocprim17ROCPRIM_400000_NS6detail17trampoline_kernelINS0_14default_configENS1_27scan_by_key_config_selectorIiiEEZZNS1_16scan_by_key_implILNS1_25lookback_scan_determinismE0ELb1ES3_N6thrust23THRUST_200600_302600_NS6detail15normal_iteratorINS9_10device_ptrIiEEEESE_SE_iNS9_10multipliesIiEENS9_8equal_toIiEEiEE10hipError_tPvRmT2_T3_T4_T5_mT6_T7_P12ihipStream_tbENKUlT_T0_E_clISt17integral_constantIbLb1EESZ_EEDaSU_SV_EUlSU_E_NS1_11comp_targetILNS1_3genE4ELNS1_11target_archE910ELNS1_3gpuE8ELNS1_3repE0EEENS1_30default_config_static_selectorELNS0_4arch9wavefront6targetE1EEEvT1_
                                        ; -- End function
	.section	.AMDGPU.csdata,"",@progbits
; Kernel info:
; codeLenInByte = 0
; NumSgprs: 6
; NumVgprs: 0
; NumAgprs: 0
; TotalNumVgprs: 0
; ScratchSize: 0
; MemoryBound: 0
; FloatMode: 240
; IeeeMode: 1
; LDSByteSize: 0 bytes/workgroup (compile time only)
; SGPRBlocks: 0
; VGPRBlocks: 0
; NumSGPRsForWavesPerEU: 6
; NumVGPRsForWavesPerEU: 1
; AccumOffset: 4
; Occupancy: 8
; WaveLimiterHint : 0
; COMPUTE_PGM_RSRC2:SCRATCH_EN: 0
; COMPUTE_PGM_RSRC2:USER_SGPR: 2
; COMPUTE_PGM_RSRC2:TRAP_HANDLER: 0
; COMPUTE_PGM_RSRC2:TGID_X_EN: 1
; COMPUTE_PGM_RSRC2:TGID_Y_EN: 0
; COMPUTE_PGM_RSRC2:TGID_Z_EN: 0
; COMPUTE_PGM_RSRC2:TIDIG_COMP_CNT: 0
; COMPUTE_PGM_RSRC3_GFX90A:ACCUM_OFFSET: 0
; COMPUTE_PGM_RSRC3_GFX90A:TG_SPLIT: 0
	.section	.text._ZN7rocprim17ROCPRIM_400000_NS6detail17trampoline_kernelINS0_14default_configENS1_27scan_by_key_config_selectorIiiEEZZNS1_16scan_by_key_implILNS1_25lookback_scan_determinismE0ELb1ES3_N6thrust23THRUST_200600_302600_NS6detail15normal_iteratorINS9_10device_ptrIiEEEESE_SE_iNS9_10multipliesIiEENS9_8equal_toIiEEiEE10hipError_tPvRmT2_T3_T4_T5_mT6_T7_P12ihipStream_tbENKUlT_T0_E_clISt17integral_constantIbLb1EESZ_EEDaSU_SV_EUlSU_E_NS1_11comp_targetILNS1_3genE3ELNS1_11target_archE908ELNS1_3gpuE7ELNS1_3repE0EEENS1_30default_config_static_selectorELNS0_4arch9wavefront6targetE1EEEvT1_,"axG",@progbits,_ZN7rocprim17ROCPRIM_400000_NS6detail17trampoline_kernelINS0_14default_configENS1_27scan_by_key_config_selectorIiiEEZZNS1_16scan_by_key_implILNS1_25lookback_scan_determinismE0ELb1ES3_N6thrust23THRUST_200600_302600_NS6detail15normal_iteratorINS9_10device_ptrIiEEEESE_SE_iNS9_10multipliesIiEENS9_8equal_toIiEEiEE10hipError_tPvRmT2_T3_T4_T5_mT6_T7_P12ihipStream_tbENKUlT_T0_E_clISt17integral_constantIbLb1EESZ_EEDaSU_SV_EUlSU_E_NS1_11comp_targetILNS1_3genE3ELNS1_11target_archE908ELNS1_3gpuE7ELNS1_3repE0EEENS1_30default_config_static_selectorELNS0_4arch9wavefront6targetE1EEEvT1_,comdat
	.protected	_ZN7rocprim17ROCPRIM_400000_NS6detail17trampoline_kernelINS0_14default_configENS1_27scan_by_key_config_selectorIiiEEZZNS1_16scan_by_key_implILNS1_25lookback_scan_determinismE0ELb1ES3_N6thrust23THRUST_200600_302600_NS6detail15normal_iteratorINS9_10device_ptrIiEEEESE_SE_iNS9_10multipliesIiEENS9_8equal_toIiEEiEE10hipError_tPvRmT2_T3_T4_T5_mT6_T7_P12ihipStream_tbENKUlT_T0_E_clISt17integral_constantIbLb1EESZ_EEDaSU_SV_EUlSU_E_NS1_11comp_targetILNS1_3genE3ELNS1_11target_archE908ELNS1_3gpuE7ELNS1_3repE0EEENS1_30default_config_static_selectorELNS0_4arch9wavefront6targetE1EEEvT1_ ; -- Begin function _ZN7rocprim17ROCPRIM_400000_NS6detail17trampoline_kernelINS0_14default_configENS1_27scan_by_key_config_selectorIiiEEZZNS1_16scan_by_key_implILNS1_25lookback_scan_determinismE0ELb1ES3_N6thrust23THRUST_200600_302600_NS6detail15normal_iteratorINS9_10device_ptrIiEEEESE_SE_iNS9_10multipliesIiEENS9_8equal_toIiEEiEE10hipError_tPvRmT2_T3_T4_T5_mT6_T7_P12ihipStream_tbENKUlT_T0_E_clISt17integral_constantIbLb1EESZ_EEDaSU_SV_EUlSU_E_NS1_11comp_targetILNS1_3genE3ELNS1_11target_archE908ELNS1_3gpuE7ELNS1_3repE0EEENS1_30default_config_static_selectorELNS0_4arch9wavefront6targetE1EEEvT1_
	.globl	_ZN7rocprim17ROCPRIM_400000_NS6detail17trampoline_kernelINS0_14default_configENS1_27scan_by_key_config_selectorIiiEEZZNS1_16scan_by_key_implILNS1_25lookback_scan_determinismE0ELb1ES3_N6thrust23THRUST_200600_302600_NS6detail15normal_iteratorINS9_10device_ptrIiEEEESE_SE_iNS9_10multipliesIiEENS9_8equal_toIiEEiEE10hipError_tPvRmT2_T3_T4_T5_mT6_T7_P12ihipStream_tbENKUlT_T0_E_clISt17integral_constantIbLb1EESZ_EEDaSU_SV_EUlSU_E_NS1_11comp_targetILNS1_3genE3ELNS1_11target_archE908ELNS1_3gpuE7ELNS1_3repE0EEENS1_30default_config_static_selectorELNS0_4arch9wavefront6targetE1EEEvT1_
	.p2align	8
	.type	_ZN7rocprim17ROCPRIM_400000_NS6detail17trampoline_kernelINS0_14default_configENS1_27scan_by_key_config_selectorIiiEEZZNS1_16scan_by_key_implILNS1_25lookback_scan_determinismE0ELb1ES3_N6thrust23THRUST_200600_302600_NS6detail15normal_iteratorINS9_10device_ptrIiEEEESE_SE_iNS9_10multipliesIiEENS9_8equal_toIiEEiEE10hipError_tPvRmT2_T3_T4_T5_mT6_T7_P12ihipStream_tbENKUlT_T0_E_clISt17integral_constantIbLb1EESZ_EEDaSU_SV_EUlSU_E_NS1_11comp_targetILNS1_3genE3ELNS1_11target_archE908ELNS1_3gpuE7ELNS1_3repE0EEENS1_30default_config_static_selectorELNS0_4arch9wavefront6targetE1EEEvT1_,@function
_ZN7rocprim17ROCPRIM_400000_NS6detail17trampoline_kernelINS0_14default_configENS1_27scan_by_key_config_selectorIiiEEZZNS1_16scan_by_key_implILNS1_25lookback_scan_determinismE0ELb1ES3_N6thrust23THRUST_200600_302600_NS6detail15normal_iteratorINS9_10device_ptrIiEEEESE_SE_iNS9_10multipliesIiEENS9_8equal_toIiEEiEE10hipError_tPvRmT2_T3_T4_T5_mT6_T7_P12ihipStream_tbENKUlT_T0_E_clISt17integral_constantIbLb1EESZ_EEDaSU_SV_EUlSU_E_NS1_11comp_targetILNS1_3genE3ELNS1_11target_archE908ELNS1_3gpuE7ELNS1_3repE0EEENS1_30default_config_static_selectorELNS0_4arch9wavefront6targetE1EEEvT1_: ; @_ZN7rocprim17ROCPRIM_400000_NS6detail17trampoline_kernelINS0_14default_configENS1_27scan_by_key_config_selectorIiiEEZZNS1_16scan_by_key_implILNS1_25lookback_scan_determinismE0ELb1ES3_N6thrust23THRUST_200600_302600_NS6detail15normal_iteratorINS9_10device_ptrIiEEEESE_SE_iNS9_10multipliesIiEENS9_8equal_toIiEEiEE10hipError_tPvRmT2_T3_T4_T5_mT6_T7_P12ihipStream_tbENKUlT_T0_E_clISt17integral_constantIbLb1EESZ_EEDaSU_SV_EUlSU_E_NS1_11comp_targetILNS1_3genE3ELNS1_11target_archE908ELNS1_3gpuE7ELNS1_3repE0EEENS1_30default_config_static_selectorELNS0_4arch9wavefront6targetE1EEEvT1_
; %bb.0:
	.section	.rodata,"a",@progbits
	.p2align	6, 0x0
	.amdhsa_kernel _ZN7rocprim17ROCPRIM_400000_NS6detail17trampoline_kernelINS0_14default_configENS1_27scan_by_key_config_selectorIiiEEZZNS1_16scan_by_key_implILNS1_25lookback_scan_determinismE0ELb1ES3_N6thrust23THRUST_200600_302600_NS6detail15normal_iteratorINS9_10device_ptrIiEEEESE_SE_iNS9_10multipliesIiEENS9_8equal_toIiEEiEE10hipError_tPvRmT2_T3_T4_T5_mT6_T7_P12ihipStream_tbENKUlT_T0_E_clISt17integral_constantIbLb1EESZ_EEDaSU_SV_EUlSU_E_NS1_11comp_targetILNS1_3genE3ELNS1_11target_archE908ELNS1_3gpuE7ELNS1_3repE0EEENS1_30default_config_static_selectorELNS0_4arch9wavefront6targetE1EEEvT1_
		.amdhsa_group_segment_fixed_size 0
		.amdhsa_private_segment_fixed_size 0
		.amdhsa_kernarg_size 112
		.amdhsa_user_sgpr_count 2
		.amdhsa_user_sgpr_dispatch_ptr 0
		.amdhsa_user_sgpr_queue_ptr 0
		.amdhsa_user_sgpr_kernarg_segment_ptr 1
		.amdhsa_user_sgpr_dispatch_id 0
		.amdhsa_user_sgpr_kernarg_preload_length 0
		.amdhsa_user_sgpr_kernarg_preload_offset 0
		.amdhsa_user_sgpr_private_segment_size 0
		.amdhsa_uses_dynamic_stack 0
		.amdhsa_enable_private_segment 0
		.amdhsa_system_sgpr_workgroup_id_x 1
		.amdhsa_system_sgpr_workgroup_id_y 0
		.amdhsa_system_sgpr_workgroup_id_z 0
		.amdhsa_system_sgpr_workgroup_info 0
		.amdhsa_system_vgpr_workitem_id 0
		.amdhsa_next_free_vgpr 1
		.amdhsa_next_free_sgpr 0
		.amdhsa_accum_offset 4
		.amdhsa_reserve_vcc 0
		.amdhsa_float_round_mode_32 0
		.amdhsa_float_round_mode_16_64 0
		.amdhsa_float_denorm_mode_32 3
		.amdhsa_float_denorm_mode_16_64 3
		.amdhsa_dx10_clamp 1
		.amdhsa_ieee_mode 1
		.amdhsa_fp16_overflow 0
		.amdhsa_tg_split 0
		.amdhsa_exception_fp_ieee_invalid_op 0
		.amdhsa_exception_fp_denorm_src 0
		.amdhsa_exception_fp_ieee_div_zero 0
		.amdhsa_exception_fp_ieee_overflow 0
		.amdhsa_exception_fp_ieee_underflow 0
		.amdhsa_exception_fp_ieee_inexact 0
		.amdhsa_exception_int_div_zero 0
	.end_amdhsa_kernel
	.section	.text._ZN7rocprim17ROCPRIM_400000_NS6detail17trampoline_kernelINS0_14default_configENS1_27scan_by_key_config_selectorIiiEEZZNS1_16scan_by_key_implILNS1_25lookback_scan_determinismE0ELb1ES3_N6thrust23THRUST_200600_302600_NS6detail15normal_iteratorINS9_10device_ptrIiEEEESE_SE_iNS9_10multipliesIiEENS9_8equal_toIiEEiEE10hipError_tPvRmT2_T3_T4_T5_mT6_T7_P12ihipStream_tbENKUlT_T0_E_clISt17integral_constantIbLb1EESZ_EEDaSU_SV_EUlSU_E_NS1_11comp_targetILNS1_3genE3ELNS1_11target_archE908ELNS1_3gpuE7ELNS1_3repE0EEENS1_30default_config_static_selectorELNS0_4arch9wavefront6targetE1EEEvT1_,"axG",@progbits,_ZN7rocprim17ROCPRIM_400000_NS6detail17trampoline_kernelINS0_14default_configENS1_27scan_by_key_config_selectorIiiEEZZNS1_16scan_by_key_implILNS1_25lookback_scan_determinismE0ELb1ES3_N6thrust23THRUST_200600_302600_NS6detail15normal_iteratorINS9_10device_ptrIiEEEESE_SE_iNS9_10multipliesIiEENS9_8equal_toIiEEiEE10hipError_tPvRmT2_T3_T4_T5_mT6_T7_P12ihipStream_tbENKUlT_T0_E_clISt17integral_constantIbLb1EESZ_EEDaSU_SV_EUlSU_E_NS1_11comp_targetILNS1_3genE3ELNS1_11target_archE908ELNS1_3gpuE7ELNS1_3repE0EEENS1_30default_config_static_selectorELNS0_4arch9wavefront6targetE1EEEvT1_,comdat
.Lfunc_end510:
	.size	_ZN7rocprim17ROCPRIM_400000_NS6detail17trampoline_kernelINS0_14default_configENS1_27scan_by_key_config_selectorIiiEEZZNS1_16scan_by_key_implILNS1_25lookback_scan_determinismE0ELb1ES3_N6thrust23THRUST_200600_302600_NS6detail15normal_iteratorINS9_10device_ptrIiEEEESE_SE_iNS9_10multipliesIiEENS9_8equal_toIiEEiEE10hipError_tPvRmT2_T3_T4_T5_mT6_T7_P12ihipStream_tbENKUlT_T0_E_clISt17integral_constantIbLb1EESZ_EEDaSU_SV_EUlSU_E_NS1_11comp_targetILNS1_3genE3ELNS1_11target_archE908ELNS1_3gpuE7ELNS1_3repE0EEENS1_30default_config_static_selectorELNS0_4arch9wavefront6targetE1EEEvT1_, .Lfunc_end510-_ZN7rocprim17ROCPRIM_400000_NS6detail17trampoline_kernelINS0_14default_configENS1_27scan_by_key_config_selectorIiiEEZZNS1_16scan_by_key_implILNS1_25lookback_scan_determinismE0ELb1ES3_N6thrust23THRUST_200600_302600_NS6detail15normal_iteratorINS9_10device_ptrIiEEEESE_SE_iNS9_10multipliesIiEENS9_8equal_toIiEEiEE10hipError_tPvRmT2_T3_T4_T5_mT6_T7_P12ihipStream_tbENKUlT_T0_E_clISt17integral_constantIbLb1EESZ_EEDaSU_SV_EUlSU_E_NS1_11comp_targetILNS1_3genE3ELNS1_11target_archE908ELNS1_3gpuE7ELNS1_3repE0EEENS1_30default_config_static_selectorELNS0_4arch9wavefront6targetE1EEEvT1_
                                        ; -- End function
	.section	.AMDGPU.csdata,"",@progbits
; Kernel info:
; codeLenInByte = 0
; NumSgprs: 6
; NumVgprs: 0
; NumAgprs: 0
; TotalNumVgprs: 0
; ScratchSize: 0
; MemoryBound: 0
; FloatMode: 240
; IeeeMode: 1
; LDSByteSize: 0 bytes/workgroup (compile time only)
; SGPRBlocks: 0
; VGPRBlocks: 0
; NumSGPRsForWavesPerEU: 6
; NumVGPRsForWavesPerEU: 1
; AccumOffset: 4
; Occupancy: 8
; WaveLimiterHint : 0
; COMPUTE_PGM_RSRC2:SCRATCH_EN: 0
; COMPUTE_PGM_RSRC2:USER_SGPR: 2
; COMPUTE_PGM_RSRC2:TRAP_HANDLER: 0
; COMPUTE_PGM_RSRC2:TGID_X_EN: 1
; COMPUTE_PGM_RSRC2:TGID_Y_EN: 0
; COMPUTE_PGM_RSRC2:TGID_Z_EN: 0
; COMPUTE_PGM_RSRC2:TIDIG_COMP_CNT: 0
; COMPUTE_PGM_RSRC3_GFX90A:ACCUM_OFFSET: 0
; COMPUTE_PGM_RSRC3_GFX90A:TG_SPLIT: 0
	.section	.text._ZN7rocprim17ROCPRIM_400000_NS6detail17trampoline_kernelINS0_14default_configENS1_27scan_by_key_config_selectorIiiEEZZNS1_16scan_by_key_implILNS1_25lookback_scan_determinismE0ELb1ES3_N6thrust23THRUST_200600_302600_NS6detail15normal_iteratorINS9_10device_ptrIiEEEESE_SE_iNS9_10multipliesIiEENS9_8equal_toIiEEiEE10hipError_tPvRmT2_T3_T4_T5_mT6_T7_P12ihipStream_tbENKUlT_T0_E_clISt17integral_constantIbLb1EESZ_EEDaSU_SV_EUlSU_E_NS1_11comp_targetILNS1_3genE2ELNS1_11target_archE906ELNS1_3gpuE6ELNS1_3repE0EEENS1_30default_config_static_selectorELNS0_4arch9wavefront6targetE1EEEvT1_,"axG",@progbits,_ZN7rocprim17ROCPRIM_400000_NS6detail17trampoline_kernelINS0_14default_configENS1_27scan_by_key_config_selectorIiiEEZZNS1_16scan_by_key_implILNS1_25lookback_scan_determinismE0ELb1ES3_N6thrust23THRUST_200600_302600_NS6detail15normal_iteratorINS9_10device_ptrIiEEEESE_SE_iNS9_10multipliesIiEENS9_8equal_toIiEEiEE10hipError_tPvRmT2_T3_T4_T5_mT6_T7_P12ihipStream_tbENKUlT_T0_E_clISt17integral_constantIbLb1EESZ_EEDaSU_SV_EUlSU_E_NS1_11comp_targetILNS1_3genE2ELNS1_11target_archE906ELNS1_3gpuE6ELNS1_3repE0EEENS1_30default_config_static_selectorELNS0_4arch9wavefront6targetE1EEEvT1_,comdat
	.protected	_ZN7rocprim17ROCPRIM_400000_NS6detail17trampoline_kernelINS0_14default_configENS1_27scan_by_key_config_selectorIiiEEZZNS1_16scan_by_key_implILNS1_25lookback_scan_determinismE0ELb1ES3_N6thrust23THRUST_200600_302600_NS6detail15normal_iteratorINS9_10device_ptrIiEEEESE_SE_iNS9_10multipliesIiEENS9_8equal_toIiEEiEE10hipError_tPvRmT2_T3_T4_T5_mT6_T7_P12ihipStream_tbENKUlT_T0_E_clISt17integral_constantIbLb1EESZ_EEDaSU_SV_EUlSU_E_NS1_11comp_targetILNS1_3genE2ELNS1_11target_archE906ELNS1_3gpuE6ELNS1_3repE0EEENS1_30default_config_static_selectorELNS0_4arch9wavefront6targetE1EEEvT1_ ; -- Begin function _ZN7rocprim17ROCPRIM_400000_NS6detail17trampoline_kernelINS0_14default_configENS1_27scan_by_key_config_selectorIiiEEZZNS1_16scan_by_key_implILNS1_25lookback_scan_determinismE0ELb1ES3_N6thrust23THRUST_200600_302600_NS6detail15normal_iteratorINS9_10device_ptrIiEEEESE_SE_iNS9_10multipliesIiEENS9_8equal_toIiEEiEE10hipError_tPvRmT2_T3_T4_T5_mT6_T7_P12ihipStream_tbENKUlT_T0_E_clISt17integral_constantIbLb1EESZ_EEDaSU_SV_EUlSU_E_NS1_11comp_targetILNS1_3genE2ELNS1_11target_archE906ELNS1_3gpuE6ELNS1_3repE0EEENS1_30default_config_static_selectorELNS0_4arch9wavefront6targetE1EEEvT1_
	.globl	_ZN7rocprim17ROCPRIM_400000_NS6detail17trampoline_kernelINS0_14default_configENS1_27scan_by_key_config_selectorIiiEEZZNS1_16scan_by_key_implILNS1_25lookback_scan_determinismE0ELb1ES3_N6thrust23THRUST_200600_302600_NS6detail15normal_iteratorINS9_10device_ptrIiEEEESE_SE_iNS9_10multipliesIiEENS9_8equal_toIiEEiEE10hipError_tPvRmT2_T3_T4_T5_mT6_T7_P12ihipStream_tbENKUlT_T0_E_clISt17integral_constantIbLb1EESZ_EEDaSU_SV_EUlSU_E_NS1_11comp_targetILNS1_3genE2ELNS1_11target_archE906ELNS1_3gpuE6ELNS1_3repE0EEENS1_30default_config_static_selectorELNS0_4arch9wavefront6targetE1EEEvT1_
	.p2align	8
	.type	_ZN7rocprim17ROCPRIM_400000_NS6detail17trampoline_kernelINS0_14default_configENS1_27scan_by_key_config_selectorIiiEEZZNS1_16scan_by_key_implILNS1_25lookback_scan_determinismE0ELb1ES3_N6thrust23THRUST_200600_302600_NS6detail15normal_iteratorINS9_10device_ptrIiEEEESE_SE_iNS9_10multipliesIiEENS9_8equal_toIiEEiEE10hipError_tPvRmT2_T3_T4_T5_mT6_T7_P12ihipStream_tbENKUlT_T0_E_clISt17integral_constantIbLb1EESZ_EEDaSU_SV_EUlSU_E_NS1_11comp_targetILNS1_3genE2ELNS1_11target_archE906ELNS1_3gpuE6ELNS1_3repE0EEENS1_30default_config_static_selectorELNS0_4arch9wavefront6targetE1EEEvT1_,@function
_ZN7rocprim17ROCPRIM_400000_NS6detail17trampoline_kernelINS0_14default_configENS1_27scan_by_key_config_selectorIiiEEZZNS1_16scan_by_key_implILNS1_25lookback_scan_determinismE0ELb1ES3_N6thrust23THRUST_200600_302600_NS6detail15normal_iteratorINS9_10device_ptrIiEEEESE_SE_iNS9_10multipliesIiEENS9_8equal_toIiEEiEE10hipError_tPvRmT2_T3_T4_T5_mT6_T7_P12ihipStream_tbENKUlT_T0_E_clISt17integral_constantIbLb1EESZ_EEDaSU_SV_EUlSU_E_NS1_11comp_targetILNS1_3genE2ELNS1_11target_archE906ELNS1_3gpuE6ELNS1_3repE0EEENS1_30default_config_static_selectorELNS0_4arch9wavefront6targetE1EEEvT1_: ; @_ZN7rocprim17ROCPRIM_400000_NS6detail17trampoline_kernelINS0_14default_configENS1_27scan_by_key_config_selectorIiiEEZZNS1_16scan_by_key_implILNS1_25lookback_scan_determinismE0ELb1ES3_N6thrust23THRUST_200600_302600_NS6detail15normal_iteratorINS9_10device_ptrIiEEEESE_SE_iNS9_10multipliesIiEENS9_8equal_toIiEEiEE10hipError_tPvRmT2_T3_T4_T5_mT6_T7_P12ihipStream_tbENKUlT_T0_E_clISt17integral_constantIbLb1EESZ_EEDaSU_SV_EUlSU_E_NS1_11comp_targetILNS1_3genE2ELNS1_11target_archE906ELNS1_3gpuE6ELNS1_3repE0EEENS1_30default_config_static_selectorELNS0_4arch9wavefront6targetE1EEEvT1_
; %bb.0:
	.section	.rodata,"a",@progbits
	.p2align	6, 0x0
	.amdhsa_kernel _ZN7rocprim17ROCPRIM_400000_NS6detail17trampoline_kernelINS0_14default_configENS1_27scan_by_key_config_selectorIiiEEZZNS1_16scan_by_key_implILNS1_25lookback_scan_determinismE0ELb1ES3_N6thrust23THRUST_200600_302600_NS6detail15normal_iteratorINS9_10device_ptrIiEEEESE_SE_iNS9_10multipliesIiEENS9_8equal_toIiEEiEE10hipError_tPvRmT2_T3_T4_T5_mT6_T7_P12ihipStream_tbENKUlT_T0_E_clISt17integral_constantIbLb1EESZ_EEDaSU_SV_EUlSU_E_NS1_11comp_targetILNS1_3genE2ELNS1_11target_archE906ELNS1_3gpuE6ELNS1_3repE0EEENS1_30default_config_static_selectorELNS0_4arch9wavefront6targetE1EEEvT1_
		.amdhsa_group_segment_fixed_size 0
		.amdhsa_private_segment_fixed_size 0
		.amdhsa_kernarg_size 112
		.amdhsa_user_sgpr_count 2
		.amdhsa_user_sgpr_dispatch_ptr 0
		.amdhsa_user_sgpr_queue_ptr 0
		.amdhsa_user_sgpr_kernarg_segment_ptr 1
		.amdhsa_user_sgpr_dispatch_id 0
		.amdhsa_user_sgpr_kernarg_preload_length 0
		.amdhsa_user_sgpr_kernarg_preload_offset 0
		.amdhsa_user_sgpr_private_segment_size 0
		.amdhsa_uses_dynamic_stack 0
		.amdhsa_enable_private_segment 0
		.amdhsa_system_sgpr_workgroup_id_x 1
		.amdhsa_system_sgpr_workgroup_id_y 0
		.amdhsa_system_sgpr_workgroup_id_z 0
		.amdhsa_system_sgpr_workgroup_info 0
		.amdhsa_system_vgpr_workitem_id 0
		.amdhsa_next_free_vgpr 1
		.amdhsa_next_free_sgpr 0
		.amdhsa_accum_offset 4
		.amdhsa_reserve_vcc 0
		.amdhsa_float_round_mode_32 0
		.amdhsa_float_round_mode_16_64 0
		.amdhsa_float_denorm_mode_32 3
		.amdhsa_float_denorm_mode_16_64 3
		.amdhsa_dx10_clamp 1
		.amdhsa_ieee_mode 1
		.amdhsa_fp16_overflow 0
		.amdhsa_tg_split 0
		.amdhsa_exception_fp_ieee_invalid_op 0
		.amdhsa_exception_fp_denorm_src 0
		.amdhsa_exception_fp_ieee_div_zero 0
		.amdhsa_exception_fp_ieee_overflow 0
		.amdhsa_exception_fp_ieee_underflow 0
		.amdhsa_exception_fp_ieee_inexact 0
		.amdhsa_exception_int_div_zero 0
	.end_amdhsa_kernel
	.section	.text._ZN7rocprim17ROCPRIM_400000_NS6detail17trampoline_kernelINS0_14default_configENS1_27scan_by_key_config_selectorIiiEEZZNS1_16scan_by_key_implILNS1_25lookback_scan_determinismE0ELb1ES3_N6thrust23THRUST_200600_302600_NS6detail15normal_iteratorINS9_10device_ptrIiEEEESE_SE_iNS9_10multipliesIiEENS9_8equal_toIiEEiEE10hipError_tPvRmT2_T3_T4_T5_mT6_T7_P12ihipStream_tbENKUlT_T0_E_clISt17integral_constantIbLb1EESZ_EEDaSU_SV_EUlSU_E_NS1_11comp_targetILNS1_3genE2ELNS1_11target_archE906ELNS1_3gpuE6ELNS1_3repE0EEENS1_30default_config_static_selectorELNS0_4arch9wavefront6targetE1EEEvT1_,"axG",@progbits,_ZN7rocprim17ROCPRIM_400000_NS6detail17trampoline_kernelINS0_14default_configENS1_27scan_by_key_config_selectorIiiEEZZNS1_16scan_by_key_implILNS1_25lookback_scan_determinismE0ELb1ES3_N6thrust23THRUST_200600_302600_NS6detail15normal_iteratorINS9_10device_ptrIiEEEESE_SE_iNS9_10multipliesIiEENS9_8equal_toIiEEiEE10hipError_tPvRmT2_T3_T4_T5_mT6_T7_P12ihipStream_tbENKUlT_T0_E_clISt17integral_constantIbLb1EESZ_EEDaSU_SV_EUlSU_E_NS1_11comp_targetILNS1_3genE2ELNS1_11target_archE906ELNS1_3gpuE6ELNS1_3repE0EEENS1_30default_config_static_selectorELNS0_4arch9wavefront6targetE1EEEvT1_,comdat
.Lfunc_end511:
	.size	_ZN7rocprim17ROCPRIM_400000_NS6detail17trampoline_kernelINS0_14default_configENS1_27scan_by_key_config_selectorIiiEEZZNS1_16scan_by_key_implILNS1_25lookback_scan_determinismE0ELb1ES3_N6thrust23THRUST_200600_302600_NS6detail15normal_iteratorINS9_10device_ptrIiEEEESE_SE_iNS9_10multipliesIiEENS9_8equal_toIiEEiEE10hipError_tPvRmT2_T3_T4_T5_mT6_T7_P12ihipStream_tbENKUlT_T0_E_clISt17integral_constantIbLb1EESZ_EEDaSU_SV_EUlSU_E_NS1_11comp_targetILNS1_3genE2ELNS1_11target_archE906ELNS1_3gpuE6ELNS1_3repE0EEENS1_30default_config_static_selectorELNS0_4arch9wavefront6targetE1EEEvT1_, .Lfunc_end511-_ZN7rocprim17ROCPRIM_400000_NS6detail17trampoline_kernelINS0_14default_configENS1_27scan_by_key_config_selectorIiiEEZZNS1_16scan_by_key_implILNS1_25lookback_scan_determinismE0ELb1ES3_N6thrust23THRUST_200600_302600_NS6detail15normal_iteratorINS9_10device_ptrIiEEEESE_SE_iNS9_10multipliesIiEENS9_8equal_toIiEEiEE10hipError_tPvRmT2_T3_T4_T5_mT6_T7_P12ihipStream_tbENKUlT_T0_E_clISt17integral_constantIbLb1EESZ_EEDaSU_SV_EUlSU_E_NS1_11comp_targetILNS1_3genE2ELNS1_11target_archE906ELNS1_3gpuE6ELNS1_3repE0EEENS1_30default_config_static_selectorELNS0_4arch9wavefront6targetE1EEEvT1_
                                        ; -- End function
	.section	.AMDGPU.csdata,"",@progbits
; Kernel info:
; codeLenInByte = 0
; NumSgprs: 6
; NumVgprs: 0
; NumAgprs: 0
; TotalNumVgprs: 0
; ScratchSize: 0
; MemoryBound: 0
; FloatMode: 240
; IeeeMode: 1
; LDSByteSize: 0 bytes/workgroup (compile time only)
; SGPRBlocks: 0
; VGPRBlocks: 0
; NumSGPRsForWavesPerEU: 6
; NumVGPRsForWavesPerEU: 1
; AccumOffset: 4
; Occupancy: 8
; WaveLimiterHint : 0
; COMPUTE_PGM_RSRC2:SCRATCH_EN: 0
; COMPUTE_PGM_RSRC2:USER_SGPR: 2
; COMPUTE_PGM_RSRC2:TRAP_HANDLER: 0
; COMPUTE_PGM_RSRC2:TGID_X_EN: 1
; COMPUTE_PGM_RSRC2:TGID_Y_EN: 0
; COMPUTE_PGM_RSRC2:TGID_Z_EN: 0
; COMPUTE_PGM_RSRC2:TIDIG_COMP_CNT: 0
; COMPUTE_PGM_RSRC3_GFX90A:ACCUM_OFFSET: 0
; COMPUTE_PGM_RSRC3_GFX90A:TG_SPLIT: 0
	.section	.text._ZN7rocprim17ROCPRIM_400000_NS6detail17trampoline_kernelINS0_14default_configENS1_27scan_by_key_config_selectorIiiEEZZNS1_16scan_by_key_implILNS1_25lookback_scan_determinismE0ELb1ES3_N6thrust23THRUST_200600_302600_NS6detail15normal_iteratorINS9_10device_ptrIiEEEESE_SE_iNS9_10multipliesIiEENS9_8equal_toIiEEiEE10hipError_tPvRmT2_T3_T4_T5_mT6_T7_P12ihipStream_tbENKUlT_T0_E_clISt17integral_constantIbLb1EESZ_EEDaSU_SV_EUlSU_E_NS1_11comp_targetILNS1_3genE10ELNS1_11target_archE1200ELNS1_3gpuE4ELNS1_3repE0EEENS1_30default_config_static_selectorELNS0_4arch9wavefront6targetE1EEEvT1_,"axG",@progbits,_ZN7rocprim17ROCPRIM_400000_NS6detail17trampoline_kernelINS0_14default_configENS1_27scan_by_key_config_selectorIiiEEZZNS1_16scan_by_key_implILNS1_25lookback_scan_determinismE0ELb1ES3_N6thrust23THRUST_200600_302600_NS6detail15normal_iteratorINS9_10device_ptrIiEEEESE_SE_iNS9_10multipliesIiEENS9_8equal_toIiEEiEE10hipError_tPvRmT2_T3_T4_T5_mT6_T7_P12ihipStream_tbENKUlT_T0_E_clISt17integral_constantIbLb1EESZ_EEDaSU_SV_EUlSU_E_NS1_11comp_targetILNS1_3genE10ELNS1_11target_archE1200ELNS1_3gpuE4ELNS1_3repE0EEENS1_30default_config_static_selectorELNS0_4arch9wavefront6targetE1EEEvT1_,comdat
	.protected	_ZN7rocprim17ROCPRIM_400000_NS6detail17trampoline_kernelINS0_14default_configENS1_27scan_by_key_config_selectorIiiEEZZNS1_16scan_by_key_implILNS1_25lookback_scan_determinismE0ELb1ES3_N6thrust23THRUST_200600_302600_NS6detail15normal_iteratorINS9_10device_ptrIiEEEESE_SE_iNS9_10multipliesIiEENS9_8equal_toIiEEiEE10hipError_tPvRmT2_T3_T4_T5_mT6_T7_P12ihipStream_tbENKUlT_T0_E_clISt17integral_constantIbLb1EESZ_EEDaSU_SV_EUlSU_E_NS1_11comp_targetILNS1_3genE10ELNS1_11target_archE1200ELNS1_3gpuE4ELNS1_3repE0EEENS1_30default_config_static_selectorELNS0_4arch9wavefront6targetE1EEEvT1_ ; -- Begin function _ZN7rocprim17ROCPRIM_400000_NS6detail17trampoline_kernelINS0_14default_configENS1_27scan_by_key_config_selectorIiiEEZZNS1_16scan_by_key_implILNS1_25lookback_scan_determinismE0ELb1ES3_N6thrust23THRUST_200600_302600_NS6detail15normal_iteratorINS9_10device_ptrIiEEEESE_SE_iNS9_10multipliesIiEENS9_8equal_toIiEEiEE10hipError_tPvRmT2_T3_T4_T5_mT6_T7_P12ihipStream_tbENKUlT_T0_E_clISt17integral_constantIbLb1EESZ_EEDaSU_SV_EUlSU_E_NS1_11comp_targetILNS1_3genE10ELNS1_11target_archE1200ELNS1_3gpuE4ELNS1_3repE0EEENS1_30default_config_static_selectorELNS0_4arch9wavefront6targetE1EEEvT1_
	.globl	_ZN7rocprim17ROCPRIM_400000_NS6detail17trampoline_kernelINS0_14default_configENS1_27scan_by_key_config_selectorIiiEEZZNS1_16scan_by_key_implILNS1_25lookback_scan_determinismE0ELb1ES3_N6thrust23THRUST_200600_302600_NS6detail15normal_iteratorINS9_10device_ptrIiEEEESE_SE_iNS9_10multipliesIiEENS9_8equal_toIiEEiEE10hipError_tPvRmT2_T3_T4_T5_mT6_T7_P12ihipStream_tbENKUlT_T0_E_clISt17integral_constantIbLb1EESZ_EEDaSU_SV_EUlSU_E_NS1_11comp_targetILNS1_3genE10ELNS1_11target_archE1200ELNS1_3gpuE4ELNS1_3repE0EEENS1_30default_config_static_selectorELNS0_4arch9wavefront6targetE1EEEvT1_
	.p2align	8
	.type	_ZN7rocprim17ROCPRIM_400000_NS6detail17trampoline_kernelINS0_14default_configENS1_27scan_by_key_config_selectorIiiEEZZNS1_16scan_by_key_implILNS1_25lookback_scan_determinismE0ELb1ES3_N6thrust23THRUST_200600_302600_NS6detail15normal_iteratorINS9_10device_ptrIiEEEESE_SE_iNS9_10multipliesIiEENS9_8equal_toIiEEiEE10hipError_tPvRmT2_T3_T4_T5_mT6_T7_P12ihipStream_tbENKUlT_T0_E_clISt17integral_constantIbLb1EESZ_EEDaSU_SV_EUlSU_E_NS1_11comp_targetILNS1_3genE10ELNS1_11target_archE1200ELNS1_3gpuE4ELNS1_3repE0EEENS1_30default_config_static_selectorELNS0_4arch9wavefront6targetE1EEEvT1_,@function
_ZN7rocprim17ROCPRIM_400000_NS6detail17trampoline_kernelINS0_14default_configENS1_27scan_by_key_config_selectorIiiEEZZNS1_16scan_by_key_implILNS1_25lookback_scan_determinismE0ELb1ES3_N6thrust23THRUST_200600_302600_NS6detail15normal_iteratorINS9_10device_ptrIiEEEESE_SE_iNS9_10multipliesIiEENS9_8equal_toIiEEiEE10hipError_tPvRmT2_T3_T4_T5_mT6_T7_P12ihipStream_tbENKUlT_T0_E_clISt17integral_constantIbLb1EESZ_EEDaSU_SV_EUlSU_E_NS1_11comp_targetILNS1_3genE10ELNS1_11target_archE1200ELNS1_3gpuE4ELNS1_3repE0EEENS1_30default_config_static_selectorELNS0_4arch9wavefront6targetE1EEEvT1_: ; @_ZN7rocprim17ROCPRIM_400000_NS6detail17trampoline_kernelINS0_14default_configENS1_27scan_by_key_config_selectorIiiEEZZNS1_16scan_by_key_implILNS1_25lookback_scan_determinismE0ELb1ES3_N6thrust23THRUST_200600_302600_NS6detail15normal_iteratorINS9_10device_ptrIiEEEESE_SE_iNS9_10multipliesIiEENS9_8equal_toIiEEiEE10hipError_tPvRmT2_T3_T4_T5_mT6_T7_P12ihipStream_tbENKUlT_T0_E_clISt17integral_constantIbLb1EESZ_EEDaSU_SV_EUlSU_E_NS1_11comp_targetILNS1_3genE10ELNS1_11target_archE1200ELNS1_3gpuE4ELNS1_3repE0EEENS1_30default_config_static_selectorELNS0_4arch9wavefront6targetE1EEEvT1_
; %bb.0:
	.section	.rodata,"a",@progbits
	.p2align	6, 0x0
	.amdhsa_kernel _ZN7rocprim17ROCPRIM_400000_NS6detail17trampoline_kernelINS0_14default_configENS1_27scan_by_key_config_selectorIiiEEZZNS1_16scan_by_key_implILNS1_25lookback_scan_determinismE0ELb1ES3_N6thrust23THRUST_200600_302600_NS6detail15normal_iteratorINS9_10device_ptrIiEEEESE_SE_iNS9_10multipliesIiEENS9_8equal_toIiEEiEE10hipError_tPvRmT2_T3_T4_T5_mT6_T7_P12ihipStream_tbENKUlT_T0_E_clISt17integral_constantIbLb1EESZ_EEDaSU_SV_EUlSU_E_NS1_11comp_targetILNS1_3genE10ELNS1_11target_archE1200ELNS1_3gpuE4ELNS1_3repE0EEENS1_30default_config_static_selectorELNS0_4arch9wavefront6targetE1EEEvT1_
		.amdhsa_group_segment_fixed_size 0
		.amdhsa_private_segment_fixed_size 0
		.amdhsa_kernarg_size 112
		.amdhsa_user_sgpr_count 2
		.amdhsa_user_sgpr_dispatch_ptr 0
		.amdhsa_user_sgpr_queue_ptr 0
		.amdhsa_user_sgpr_kernarg_segment_ptr 1
		.amdhsa_user_sgpr_dispatch_id 0
		.amdhsa_user_sgpr_kernarg_preload_length 0
		.amdhsa_user_sgpr_kernarg_preload_offset 0
		.amdhsa_user_sgpr_private_segment_size 0
		.amdhsa_uses_dynamic_stack 0
		.amdhsa_enable_private_segment 0
		.amdhsa_system_sgpr_workgroup_id_x 1
		.amdhsa_system_sgpr_workgroup_id_y 0
		.amdhsa_system_sgpr_workgroup_id_z 0
		.amdhsa_system_sgpr_workgroup_info 0
		.amdhsa_system_vgpr_workitem_id 0
		.amdhsa_next_free_vgpr 1
		.amdhsa_next_free_sgpr 0
		.amdhsa_accum_offset 4
		.amdhsa_reserve_vcc 0
		.amdhsa_float_round_mode_32 0
		.amdhsa_float_round_mode_16_64 0
		.amdhsa_float_denorm_mode_32 3
		.amdhsa_float_denorm_mode_16_64 3
		.amdhsa_dx10_clamp 1
		.amdhsa_ieee_mode 1
		.amdhsa_fp16_overflow 0
		.amdhsa_tg_split 0
		.amdhsa_exception_fp_ieee_invalid_op 0
		.amdhsa_exception_fp_denorm_src 0
		.amdhsa_exception_fp_ieee_div_zero 0
		.amdhsa_exception_fp_ieee_overflow 0
		.amdhsa_exception_fp_ieee_underflow 0
		.amdhsa_exception_fp_ieee_inexact 0
		.amdhsa_exception_int_div_zero 0
	.end_amdhsa_kernel
	.section	.text._ZN7rocprim17ROCPRIM_400000_NS6detail17trampoline_kernelINS0_14default_configENS1_27scan_by_key_config_selectorIiiEEZZNS1_16scan_by_key_implILNS1_25lookback_scan_determinismE0ELb1ES3_N6thrust23THRUST_200600_302600_NS6detail15normal_iteratorINS9_10device_ptrIiEEEESE_SE_iNS9_10multipliesIiEENS9_8equal_toIiEEiEE10hipError_tPvRmT2_T3_T4_T5_mT6_T7_P12ihipStream_tbENKUlT_T0_E_clISt17integral_constantIbLb1EESZ_EEDaSU_SV_EUlSU_E_NS1_11comp_targetILNS1_3genE10ELNS1_11target_archE1200ELNS1_3gpuE4ELNS1_3repE0EEENS1_30default_config_static_selectorELNS0_4arch9wavefront6targetE1EEEvT1_,"axG",@progbits,_ZN7rocprim17ROCPRIM_400000_NS6detail17trampoline_kernelINS0_14default_configENS1_27scan_by_key_config_selectorIiiEEZZNS1_16scan_by_key_implILNS1_25lookback_scan_determinismE0ELb1ES3_N6thrust23THRUST_200600_302600_NS6detail15normal_iteratorINS9_10device_ptrIiEEEESE_SE_iNS9_10multipliesIiEENS9_8equal_toIiEEiEE10hipError_tPvRmT2_T3_T4_T5_mT6_T7_P12ihipStream_tbENKUlT_T0_E_clISt17integral_constantIbLb1EESZ_EEDaSU_SV_EUlSU_E_NS1_11comp_targetILNS1_3genE10ELNS1_11target_archE1200ELNS1_3gpuE4ELNS1_3repE0EEENS1_30default_config_static_selectorELNS0_4arch9wavefront6targetE1EEEvT1_,comdat
.Lfunc_end512:
	.size	_ZN7rocprim17ROCPRIM_400000_NS6detail17trampoline_kernelINS0_14default_configENS1_27scan_by_key_config_selectorIiiEEZZNS1_16scan_by_key_implILNS1_25lookback_scan_determinismE0ELb1ES3_N6thrust23THRUST_200600_302600_NS6detail15normal_iteratorINS9_10device_ptrIiEEEESE_SE_iNS9_10multipliesIiEENS9_8equal_toIiEEiEE10hipError_tPvRmT2_T3_T4_T5_mT6_T7_P12ihipStream_tbENKUlT_T0_E_clISt17integral_constantIbLb1EESZ_EEDaSU_SV_EUlSU_E_NS1_11comp_targetILNS1_3genE10ELNS1_11target_archE1200ELNS1_3gpuE4ELNS1_3repE0EEENS1_30default_config_static_selectorELNS0_4arch9wavefront6targetE1EEEvT1_, .Lfunc_end512-_ZN7rocprim17ROCPRIM_400000_NS6detail17trampoline_kernelINS0_14default_configENS1_27scan_by_key_config_selectorIiiEEZZNS1_16scan_by_key_implILNS1_25lookback_scan_determinismE0ELb1ES3_N6thrust23THRUST_200600_302600_NS6detail15normal_iteratorINS9_10device_ptrIiEEEESE_SE_iNS9_10multipliesIiEENS9_8equal_toIiEEiEE10hipError_tPvRmT2_T3_T4_T5_mT6_T7_P12ihipStream_tbENKUlT_T0_E_clISt17integral_constantIbLb1EESZ_EEDaSU_SV_EUlSU_E_NS1_11comp_targetILNS1_3genE10ELNS1_11target_archE1200ELNS1_3gpuE4ELNS1_3repE0EEENS1_30default_config_static_selectorELNS0_4arch9wavefront6targetE1EEEvT1_
                                        ; -- End function
	.section	.AMDGPU.csdata,"",@progbits
; Kernel info:
; codeLenInByte = 0
; NumSgprs: 6
; NumVgprs: 0
; NumAgprs: 0
; TotalNumVgprs: 0
; ScratchSize: 0
; MemoryBound: 0
; FloatMode: 240
; IeeeMode: 1
; LDSByteSize: 0 bytes/workgroup (compile time only)
; SGPRBlocks: 0
; VGPRBlocks: 0
; NumSGPRsForWavesPerEU: 6
; NumVGPRsForWavesPerEU: 1
; AccumOffset: 4
; Occupancy: 8
; WaveLimiterHint : 0
; COMPUTE_PGM_RSRC2:SCRATCH_EN: 0
; COMPUTE_PGM_RSRC2:USER_SGPR: 2
; COMPUTE_PGM_RSRC2:TRAP_HANDLER: 0
; COMPUTE_PGM_RSRC2:TGID_X_EN: 1
; COMPUTE_PGM_RSRC2:TGID_Y_EN: 0
; COMPUTE_PGM_RSRC2:TGID_Z_EN: 0
; COMPUTE_PGM_RSRC2:TIDIG_COMP_CNT: 0
; COMPUTE_PGM_RSRC3_GFX90A:ACCUM_OFFSET: 0
; COMPUTE_PGM_RSRC3_GFX90A:TG_SPLIT: 0
	.section	.text._ZN7rocprim17ROCPRIM_400000_NS6detail17trampoline_kernelINS0_14default_configENS1_27scan_by_key_config_selectorIiiEEZZNS1_16scan_by_key_implILNS1_25lookback_scan_determinismE0ELb1ES3_N6thrust23THRUST_200600_302600_NS6detail15normal_iteratorINS9_10device_ptrIiEEEESE_SE_iNS9_10multipliesIiEENS9_8equal_toIiEEiEE10hipError_tPvRmT2_T3_T4_T5_mT6_T7_P12ihipStream_tbENKUlT_T0_E_clISt17integral_constantIbLb1EESZ_EEDaSU_SV_EUlSU_E_NS1_11comp_targetILNS1_3genE9ELNS1_11target_archE1100ELNS1_3gpuE3ELNS1_3repE0EEENS1_30default_config_static_selectorELNS0_4arch9wavefront6targetE1EEEvT1_,"axG",@progbits,_ZN7rocprim17ROCPRIM_400000_NS6detail17trampoline_kernelINS0_14default_configENS1_27scan_by_key_config_selectorIiiEEZZNS1_16scan_by_key_implILNS1_25lookback_scan_determinismE0ELb1ES3_N6thrust23THRUST_200600_302600_NS6detail15normal_iteratorINS9_10device_ptrIiEEEESE_SE_iNS9_10multipliesIiEENS9_8equal_toIiEEiEE10hipError_tPvRmT2_T3_T4_T5_mT6_T7_P12ihipStream_tbENKUlT_T0_E_clISt17integral_constantIbLb1EESZ_EEDaSU_SV_EUlSU_E_NS1_11comp_targetILNS1_3genE9ELNS1_11target_archE1100ELNS1_3gpuE3ELNS1_3repE0EEENS1_30default_config_static_selectorELNS0_4arch9wavefront6targetE1EEEvT1_,comdat
	.protected	_ZN7rocprim17ROCPRIM_400000_NS6detail17trampoline_kernelINS0_14default_configENS1_27scan_by_key_config_selectorIiiEEZZNS1_16scan_by_key_implILNS1_25lookback_scan_determinismE0ELb1ES3_N6thrust23THRUST_200600_302600_NS6detail15normal_iteratorINS9_10device_ptrIiEEEESE_SE_iNS9_10multipliesIiEENS9_8equal_toIiEEiEE10hipError_tPvRmT2_T3_T4_T5_mT6_T7_P12ihipStream_tbENKUlT_T0_E_clISt17integral_constantIbLb1EESZ_EEDaSU_SV_EUlSU_E_NS1_11comp_targetILNS1_3genE9ELNS1_11target_archE1100ELNS1_3gpuE3ELNS1_3repE0EEENS1_30default_config_static_selectorELNS0_4arch9wavefront6targetE1EEEvT1_ ; -- Begin function _ZN7rocprim17ROCPRIM_400000_NS6detail17trampoline_kernelINS0_14default_configENS1_27scan_by_key_config_selectorIiiEEZZNS1_16scan_by_key_implILNS1_25lookback_scan_determinismE0ELb1ES3_N6thrust23THRUST_200600_302600_NS6detail15normal_iteratorINS9_10device_ptrIiEEEESE_SE_iNS9_10multipliesIiEENS9_8equal_toIiEEiEE10hipError_tPvRmT2_T3_T4_T5_mT6_T7_P12ihipStream_tbENKUlT_T0_E_clISt17integral_constantIbLb1EESZ_EEDaSU_SV_EUlSU_E_NS1_11comp_targetILNS1_3genE9ELNS1_11target_archE1100ELNS1_3gpuE3ELNS1_3repE0EEENS1_30default_config_static_selectorELNS0_4arch9wavefront6targetE1EEEvT1_
	.globl	_ZN7rocprim17ROCPRIM_400000_NS6detail17trampoline_kernelINS0_14default_configENS1_27scan_by_key_config_selectorIiiEEZZNS1_16scan_by_key_implILNS1_25lookback_scan_determinismE0ELb1ES3_N6thrust23THRUST_200600_302600_NS6detail15normal_iteratorINS9_10device_ptrIiEEEESE_SE_iNS9_10multipliesIiEENS9_8equal_toIiEEiEE10hipError_tPvRmT2_T3_T4_T5_mT6_T7_P12ihipStream_tbENKUlT_T0_E_clISt17integral_constantIbLb1EESZ_EEDaSU_SV_EUlSU_E_NS1_11comp_targetILNS1_3genE9ELNS1_11target_archE1100ELNS1_3gpuE3ELNS1_3repE0EEENS1_30default_config_static_selectorELNS0_4arch9wavefront6targetE1EEEvT1_
	.p2align	8
	.type	_ZN7rocprim17ROCPRIM_400000_NS6detail17trampoline_kernelINS0_14default_configENS1_27scan_by_key_config_selectorIiiEEZZNS1_16scan_by_key_implILNS1_25lookback_scan_determinismE0ELb1ES3_N6thrust23THRUST_200600_302600_NS6detail15normal_iteratorINS9_10device_ptrIiEEEESE_SE_iNS9_10multipliesIiEENS9_8equal_toIiEEiEE10hipError_tPvRmT2_T3_T4_T5_mT6_T7_P12ihipStream_tbENKUlT_T0_E_clISt17integral_constantIbLb1EESZ_EEDaSU_SV_EUlSU_E_NS1_11comp_targetILNS1_3genE9ELNS1_11target_archE1100ELNS1_3gpuE3ELNS1_3repE0EEENS1_30default_config_static_selectorELNS0_4arch9wavefront6targetE1EEEvT1_,@function
_ZN7rocprim17ROCPRIM_400000_NS6detail17trampoline_kernelINS0_14default_configENS1_27scan_by_key_config_selectorIiiEEZZNS1_16scan_by_key_implILNS1_25lookback_scan_determinismE0ELb1ES3_N6thrust23THRUST_200600_302600_NS6detail15normal_iteratorINS9_10device_ptrIiEEEESE_SE_iNS9_10multipliesIiEENS9_8equal_toIiEEiEE10hipError_tPvRmT2_T3_T4_T5_mT6_T7_P12ihipStream_tbENKUlT_T0_E_clISt17integral_constantIbLb1EESZ_EEDaSU_SV_EUlSU_E_NS1_11comp_targetILNS1_3genE9ELNS1_11target_archE1100ELNS1_3gpuE3ELNS1_3repE0EEENS1_30default_config_static_selectorELNS0_4arch9wavefront6targetE1EEEvT1_: ; @_ZN7rocprim17ROCPRIM_400000_NS6detail17trampoline_kernelINS0_14default_configENS1_27scan_by_key_config_selectorIiiEEZZNS1_16scan_by_key_implILNS1_25lookback_scan_determinismE0ELb1ES3_N6thrust23THRUST_200600_302600_NS6detail15normal_iteratorINS9_10device_ptrIiEEEESE_SE_iNS9_10multipliesIiEENS9_8equal_toIiEEiEE10hipError_tPvRmT2_T3_T4_T5_mT6_T7_P12ihipStream_tbENKUlT_T0_E_clISt17integral_constantIbLb1EESZ_EEDaSU_SV_EUlSU_E_NS1_11comp_targetILNS1_3genE9ELNS1_11target_archE1100ELNS1_3gpuE3ELNS1_3repE0EEENS1_30default_config_static_selectorELNS0_4arch9wavefront6targetE1EEEvT1_
; %bb.0:
	.section	.rodata,"a",@progbits
	.p2align	6, 0x0
	.amdhsa_kernel _ZN7rocprim17ROCPRIM_400000_NS6detail17trampoline_kernelINS0_14default_configENS1_27scan_by_key_config_selectorIiiEEZZNS1_16scan_by_key_implILNS1_25lookback_scan_determinismE0ELb1ES3_N6thrust23THRUST_200600_302600_NS6detail15normal_iteratorINS9_10device_ptrIiEEEESE_SE_iNS9_10multipliesIiEENS9_8equal_toIiEEiEE10hipError_tPvRmT2_T3_T4_T5_mT6_T7_P12ihipStream_tbENKUlT_T0_E_clISt17integral_constantIbLb1EESZ_EEDaSU_SV_EUlSU_E_NS1_11comp_targetILNS1_3genE9ELNS1_11target_archE1100ELNS1_3gpuE3ELNS1_3repE0EEENS1_30default_config_static_selectorELNS0_4arch9wavefront6targetE1EEEvT1_
		.amdhsa_group_segment_fixed_size 0
		.amdhsa_private_segment_fixed_size 0
		.amdhsa_kernarg_size 112
		.amdhsa_user_sgpr_count 2
		.amdhsa_user_sgpr_dispatch_ptr 0
		.amdhsa_user_sgpr_queue_ptr 0
		.amdhsa_user_sgpr_kernarg_segment_ptr 1
		.amdhsa_user_sgpr_dispatch_id 0
		.amdhsa_user_sgpr_kernarg_preload_length 0
		.amdhsa_user_sgpr_kernarg_preload_offset 0
		.amdhsa_user_sgpr_private_segment_size 0
		.amdhsa_uses_dynamic_stack 0
		.amdhsa_enable_private_segment 0
		.amdhsa_system_sgpr_workgroup_id_x 1
		.amdhsa_system_sgpr_workgroup_id_y 0
		.amdhsa_system_sgpr_workgroup_id_z 0
		.amdhsa_system_sgpr_workgroup_info 0
		.amdhsa_system_vgpr_workitem_id 0
		.amdhsa_next_free_vgpr 1
		.amdhsa_next_free_sgpr 0
		.amdhsa_accum_offset 4
		.amdhsa_reserve_vcc 0
		.amdhsa_float_round_mode_32 0
		.amdhsa_float_round_mode_16_64 0
		.amdhsa_float_denorm_mode_32 3
		.amdhsa_float_denorm_mode_16_64 3
		.amdhsa_dx10_clamp 1
		.amdhsa_ieee_mode 1
		.amdhsa_fp16_overflow 0
		.amdhsa_tg_split 0
		.amdhsa_exception_fp_ieee_invalid_op 0
		.amdhsa_exception_fp_denorm_src 0
		.amdhsa_exception_fp_ieee_div_zero 0
		.amdhsa_exception_fp_ieee_overflow 0
		.amdhsa_exception_fp_ieee_underflow 0
		.amdhsa_exception_fp_ieee_inexact 0
		.amdhsa_exception_int_div_zero 0
	.end_amdhsa_kernel
	.section	.text._ZN7rocprim17ROCPRIM_400000_NS6detail17trampoline_kernelINS0_14default_configENS1_27scan_by_key_config_selectorIiiEEZZNS1_16scan_by_key_implILNS1_25lookback_scan_determinismE0ELb1ES3_N6thrust23THRUST_200600_302600_NS6detail15normal_iteratorINS9_10device_ptrIiEEEESE_SE_iNS9_10multipliesIiEENS9_8equal_toIiEEiEE10hipError_tPvRmT2_T3_T4_T5_mT6_T7_P12ihipStream_tbENKUlT_T0_E_clISt17integral_constantIbLb1EESZ_EEDaSU_SV_EUlSU_E_NS1_11comp_targetILNS1_3genE9ELNS1_11target_archE1100ELNS1_3gpuE3ELNS1_3repE0EEENS1_30default_config_static_selectorELNS0_4arch9wavefront6targetE1EEEvT1_,"axG",@progbits,_ZN7rocprim17ROCPRIM_400000_NS6detail17trampoline_kernelINS0_14default_configENS1_27scan_by_key_config_selectorIiiEEZZNS1_16scan_by_key_implILNS1_25lookback_scan_determinismE0ELb1ES3_N6thrust23THRUST_200600_302600_NS6detail15normal_iteratorINS9_10device_ptrIiEEEESE_SE_iNS9_10multipliesIiEENS9_8equal_toIiEEiEE10hipError_tPvRmT2_T3_T4_T5_mT6_T7_P12ihipStream_tbENKUlT_T0_E_clISt17integral_constantIbLb1EESZ_EEDaSU_SV_EUlSU_E_NS1_11comp_targetILNS1_3genE9ELNS1_11target_archE1100ELNS1_3gpuE3ELNS1_3repE0EEENS1_30default_config_static_selectorELNS0_4arch9wavefront6targetE1EEEvT1_,comdat
.Lfunc_end513:
	.size	_ZN7rocprim17ROCPRIM_400000_NS6detail17trampoline_kernelINS0_14default_configENS1_27scan_by_key_config_selectorIiiEEZZNS1_16scan_by_key_implILNS1_25lookback_scan_determinismE0ELb1ES3_N6thrust23THRUST_200600_302600_NS6detail15normal_iteratorINS9_10device_ptrIiEEEESE_SE_iNS9_10multipliesIiEENS9_8equal_toIiEEiEE10hipError_tPvRmT2_T3_T4_T5_mT6_T7_P12ihipStream_tbENKUlT_T0_E_clISt17integral_constantIbLb1EESZ_EEDaSU_SV_EUlSU_E_NS1_11comp_targetILNS1_3genE9ELNS1_11target_archE1100ELNS1_3gpuE3ELNS1_3repE0EEENS1_30default_config_static_selectorELNS0_4arch9wavefront6targetE1EEEvT1_, .Lfunc_end513-_ZN7rocprim17ROCPRIM_400000_NS6detail17trampoline_kernelINS0_14default_configENS1_27scan_by_key_config_selectorIiiEEZZNS1_16scan_by_key_implILNS1_25lookback_scan_determinismE0ELb1ES3_N6thrust23THRUST_200600_302600_NS6detail15normal_iteratorINS9_10device_ptrIiEEEESE_SE_iNS9_10multipliesIiEENS9_8equal_toIiEEiEE10hipError_tPvRmT2_T3_T4_T5_mT6_T7_P12ihipStream_tbENKUlT_T0_E_clISt17integral_constantIbLb1EESZ_EEDaSU_SV_EUlSU_E_NS1_11comp_targetILNS1_3genE9ELNS1_11target_archE1100ELNS1_3gpuE3ELNS1_3repE0EEENS1_30default_config_static_selectorELNS0_4arch9wavefront6targetE1EEEvT1_
                                        ; -- End function
	.section	.AMDGPU.csdata,"",@progbits
; Kernel info:
; codeLenInByte = 0
; NumSgprs: 6
; NumVgprs: 0
; NumAgprs: 0
; TotalNumVgprs: 0
; ScratchSize: 0
; MemoryBound: 0
; FloatMode: 240
; IeeeMode: 1
; LDSByteSize: 0 bytes/workgroup (compile time only)
; SGPRBlocks: 0
; VGPRBlocks: 0
; NumSGPRsForWavesPerEU: 6
; NumVGPRsForWavesPerEU: 1
; AccumOffset: 4
; Occupancy: 8
; WaveLimiterHint : 0
; COMPUTE_PGM_RSRC2:SCRATCH_EN: 0
; COMPUTE_PGM_RSRC2:USER_SGPR: 2
; COMPUTE_PGM_RSRC2:TRAP_HANDLER: 0
; COMPUTE_PGM_RSRC2:TGID_X_EN: 1
; COMPUTE_PGM_RSRC2:TGID_Y_EN: 0
; COMPUTE_PGM_RSRC2:TGID_Z_EN: 0
; COMPUTE_PGM_RSRC2:TIDIG_COMP_CNT: 0
; COMPUTE_PGM_RSRC3_GFX90A:ACCUM_OFFSET: 0
; COMPUTE_PGM_RSRC3_GFX90A:TG_SPLIT: 0
	.section	.text._ZN7rocprim17ROCPRIM_400000_NS6detail17trampoline_kernelINS0_14default_configENS1_27scan_by_key_config_selectorIiiEEZZNS1_16scan_by_key_implILNS1_25lookback_scan_determinismE0ELb1ES3_N6thrust23THRUST_200600_302600_NS6detail15normal_iteratorINS9_10device_ptrIiEEEESE_SE_iNS9_10multipliesIiEENS9_8equal_toIiEEiEE10hipError_tPvRmT2_T3_T4_T5_mT6_T7_P12ihipStream_tbENKUlT_T0_E_clISt17integral_constantIbLb1EESZ_EEDaSU_SV_EUlSU_E_NS1_11comp_targetILNS1_3genE8ELNS1_11target_archE1030ELNS1_3gpuE2ELNS1_3repE0EEENS1_30default_config_static_selectorELNS0_4arch9wavefront6targetE1EEEvT1_,"axG",@progbits,_ZN7rocprim17ROCPRIM_400000_NS6detail17trampoline_kernelINS0_14default_configENS1_27scan_by_key_config_selectorIiiEEZZNS1_16scan_by_key_implILNS1_25lookback_scan_determinismE0ELb1ES3_N6thrust23THRUST_200600_302600_NS6detail15normal_iteratorINS9_10device_ptrIiEEEESE_SE_iNS9_10multipliesIiEENS9_8equal_toIiEEiEE10hipError_tPvRmT2_T3_T4_T5_mT6_T7_P12ihipStream_tbENKUlT_T0_E_clISt17integral_constantIbLb1EESZ_EEDaSU_SV_EUlSU_E_NS1_11comp_targetILNS1_3genE8ELNS1_11target_archE1030ELNS1_3gpuE2ELNS1_3repE0EEENS1_30default_config_static_selectorELNS0_4arch9wavefront6targetE1EEEvT1_,comdat
	.protected	_ZN7rocprim17ROCPRIM_400000_NS6detail17trampoline_kernelINS0_14default_configENS1_27scan_by_key_config_selectorIiiEEZZNS1_16scan_by_key_implILNS1_25lookback_scan_determinismE0ELb1ES3_N6thrust23THRUST_200600_302600_NS6detail15normal_iteratorINS9_10device_ptrIiEEEESE_SE_iNS9_10multipliesIiEENS9_8equal_toIiEEiEE10hipError_tPvRmT2_T3_T4_T5_mT6_T7_P12ihipStream_tbENKUlT_T0_E_clISt17integral_constantIbLb1EESZ_EEDaSU_SV_EUlSU_E_NS1_11comp_targetILNS1_3genE8ELNS1_11target_archE1030ELNS1_3gpuE2ELNS1_3repE0EEENS1_30default_config_static_selectorELNS0_4arch9wavefront6targetE1EEEvT1_ ; -- Begin function _ZN7rocprim17ROCPRIM_400000_NS6detail17trampoline_kernelINS0_14default_configENS1_27scan_by_key_config_selectorIiiEEZZNS1_16scan_by_key_implILNS1_25lookback_scan_determinismE0ELb1ES3_N6thrust23THRUST_200600_302600_NS6detail15normal_iteratorINS9_10device_ptrIiEEEESE_SE_iNS9_10multipliesIiEENS9_8equal_toIiEEiEE10hipError_tPvRmT2_T3_T4_T5_mT6_T7_P12ihipStream_tbENKUlT_T0_E_clISt17integral_constantIbLb1EESZ_EEDaSU_SV_EUlSU_E_NS1_11comp_targetILNS1_3genE8ELNS1_11target_archE1030ELNS1_3gpuE2ELNS1_3repE0EEENS1_30default_config_static_selectorELNS0_4arch9wavefront6targetE1EEEvT1_
	.globl	_ZN7rocprim17ROCPRIM_400000_NS6detail17trampoline_kernelINS0_14default_configENS1_27scan_by_key_config_selectorIiiEEZZNS1_16scan_by_key_implILNS1_25lookback_scan_determinismE0ELb1ES3_N6thrust23THRUST_200600_302600_NS6detail15normal_iteratorINS9_10device_ptrIiEEEESE_SE_iNS9_10multipliesIiEENS9_8equal_toIiEEiEE10hipError_tPvRmT2_T3_T4_T5_mT6_T7_P12ihipStream_tbENKUlT_T0_E_clISt17integral_constantIbLb1EESZ_EEDaSU_SV_EUlSU_E_NS1_11comp_targetILNS1_3genE8ELNS1_11target_archE1030ELNS1_3gpuE2ELNS1_3repE0EEENS1_30default_config_static_selectorELNS0_4arch9wavefront6targetE1EEEvT1_
	.p2align	8
	.type	_ZN7rocprim17ROCPRIM_400000_NS6detail17trampoline_kernelINS0_14default_configENS1_27scan_by_key_config_selectorIiiEEZZNS1_16scan_by_key_implILNS1_25lookback_scan_determinismE0ELb1ES3_N6thrust23THRUST_200600_302600_NS6detail15normal_iteratorINS9_10device_ptrIiEEEESE_SE_iNS9_10multipliesIiEENS9_8equal_toIiEEiEE10hipError_tPvRmT2_T3_T4_T5_mT6_T7_P12ihipStream_tbENKUlT_T0_E_clISt17integral_constantIbLb1EESZ_EEDaSU_SV_EUlSU_E_NS1_11comp_targetILNS1_3genE8ELNS1_11target_archE1030ELNS1_3gpuE2ELNS1_3repE0EEENS1_30default_config_static_selectorELNS0_4arch9wavefront6targetE1EEEvT1_,@function
_ZN7rocprim17ROCPRIM_400000_NS6detail17trampoline_kernelINS0_14default_configENS1_27scan_by_key_config_selectorIiiEEZZNS1_16scan_by_key_implILNS1_25lookback_scan_determinismE0ELb1ES3_N6thrust23THRUST_200600_302600_NS6detail15normal_iteratorINS9_10device_ptrIiEEEESE_SE_iNS9_10multipliesIiEENS9_8equal_toIiEEiEE10hipError_tPvRmT2_T3_T4_T5_mT6_T7_P12ihipStream_tbENKUlT_T0_E_clISt17integral_constantIbLb1EESZ_EEDaSU_SV_EUlSU_E_NS1_11comp_targetILNS1_3genE8ELNS1_11target_archE1030ELNS1_3gpuE2ELNS1_3repE0EEENS1_30default_config_static_selectorELNS0_4arch9wavefront6targetE1EEEvT1_: ; @_ZN7rocprim17ROCPRIM_400000_NS6detail17trampoline_kernelINS0_14default_configENS1_27scan_by_key_config_selectorIiiEEZZNS1_16scan_by_key_implILNS1_25lookback_scan_determinismE0ELb1ES3_N6thrust23THRUST_200600_302600_NS6detail15normal_iteratorINS9_10device_ptrIiEEEESE_SE_iNS9_10multipliesIiEENS9_8equal_toIiEEiEE10hipError_tPvRmT2_T3_T4_T5_mT6_T7_P12ihipStream_tbENKUlT_T0_E_clISt17integral_constantIbLb1EESZ_EEDaSU_SV_EUlSU_E_NS1_11comp_targetILNS1_3genE8ELNS1_11target_archE1030ELNS1_3gpuE2ELNS1_3repE0EEENS1_30default_config_static_selectorELNS0_4arch9wavefront6targetE1EEEvT1_
; %bb.0:
	.section	.rodata,"a",@progbits
	.p2align	6, 0x0
	.amdhsa_kernel _ZN7rocprim17ROCPRIM_400000_NS6detail17trampoline_kernelINS0_14default_configENS1_27scan_by_key_config_selectorIiiEEZZNS1_16scan_by_key_implILNS1_25lookback_scan_determinismE0ELb1ES3_N6thrust23THRUST_200600_302600_NS6detail15normal_iteratorINS9_10device_ptrIiEEEESE_SE_iNS9_10multipliesIiEENS9_8equal_toIiEEiEE10hipError_tPvRmT2_T3_T4_T5_mT6_T7_P12ihipStream_tbENKUlT_T0_E_clISt17integral_constantIbLb1EESZ_EEDaSU_SV_EUlSU_E_NS1_11comp_targetILNS1_3genE8ELNS1_11target_archE1030ELNS1_3gpuE2ELNS1_3repE0EEENS1_30default_config_static_selectorELNS0_4arch9wavefront6targetE1EEEvT1_
		.amdhsa_group_segment_fixed_size 0
		.amdhsa_private_segment_fixed_size 0
		.amdhsa_kernarg_size 112
		.amdhsa_user_sgpr_count 2
		.amdhsa_user_sgpr_dispatch_ptr 0
		.amdhsa_user_sgpr_queue_ptr 0
		.amdhsa_user_sgpr_kernarg_segment_ptr 1
		.amdhsa_user_sgpr_dispatch_id 0
		.amdhsa_user_sgpr_kernarg_preload_length 0
		.amdhsa_user_sgpr_kernarg_preload_offset 0
		.amdhsa_user_sgpr_private_segment_size 0
		.amdhsa_uses_dynamic_stack 0
		.amdhsa_enable_private_segment 0
		.amdhsa_system_sgpr_workgroup_id_x 1
		.amdhsa_system_sgpr_workgroup_id_y 0
		.amdhsa_system_sgpr_workgroup_id_z 0
		.amdhsa_system_sgpr_workgroup_info 0
		.amdhsa_system_vgpr_workitem_id 0
		.amdhsa_next_free_vgpr 1
		.amdhsa_next_free_sgpr 0
		.amdhsa_accum_offset 4
		.amdhsa_reserve_vcc 0
		.amdhsa_float_round_mode_32 0
		.amdhsa_float_round_mode_16_64 0
		.amdhsa_float_denorm_mode_32 3
		.amdhsa_float_denorm_mode_16_64 3
		.amdhsa_dx10_clamp 1
		.amdhsa_ieee_mode 1
		.amdhsa_fp16_overflow 0
		.amdhsa_tg_split 0
		.amdhsa_exception_fp_ieee_invalid_op 0
		.amdhsa_exception_fp_denorm_src 0
		.amdhsa_exception_fp_ieee_div_zero 0
		.amdhsa_exception_fp_ieee_overflow 0
		.amdhsa_exception_fp_ieee_underflow 0
		.amdhsa_exception_fp_ieee_inexact 0
		.amdhsa_exception_int_div_zero 0
	.end_amdhsa_kernel
	.section	.text._ZN7rocprim17ROCPRIM_400000_NS6detail17trampoline_kernelINS0_14default_configENS1_27scan_by_key_config_selectorIiiEEZZNS1_16scan_by_key_implILNS1_25lookback_scan_determinismE0ELb1ES3_N6thrust23THRUST_200600_302600_NS6detail15normal_iteratorINS9_10device_ptrIiEEEESE_SE_iNS9_10multipliesIiEENS9_8equal_toIiEEiEE10hipError_tPvRmT2_T3_T4_T5_mT6_T7_P12ihipStream_tbENKUlT_T0_E_clISt17integral_constantIbLb1EESZ_EEDaSU_SV_EUlSU_E_NS1_11comp_targetILNS1_3genE8ELNS1_11target_archE1030ELNS1_3gpuE2ELNS1_3repE0EEENS1_30default_config_static_selectorELNS0_4arch9wavefront6targetE1EEEvT1_,"axG",@progbits,_ZN7rocprim17ROCPRIM_400000_NS6detail17trampoline_kernelINS0_14default_configENS1_27scan_by_key_config_selectorIiiEEZZNS1_16scan_by_key_implILNS1_25lookback_scan_determinismE0ELb1ES3_N6thrust23THRUST_200600_302600_NS6detail15normal_iteratorINS9_10device_ptrIiEEEESE_SE_iNS9_10multipliesIiEENS9_8equal_toIiEEiEE10hipError_tPvRmT2_T3_T4_T5_mT6_T7_P12ihipStream_tbENKUlT_T0_E_clISt17integral_constantIbLb1EESZ_EEDaSU_SV_EUlSU_E_NS1_11comp_targetILNS1_3genE8ELNS1_11target_archE1030ELNS1_3gpuE2ELNS1_3repE0EEENS1_30default_config_static_selectorELNS0_4arch9wavefront6targetE1EEEvT1_,comdat
.Lfunc_end514:
	.size	_ZN7rocprim17ROCPRIM_400000_NS6detail17trampoline_kernelINS0_14default_configENS1_27scan_by_key_config_selectorIiiEEZZNS1_16scan_by_key_implILNS1_25lookback_scan_determinismE0ELb1ES3_N6thrust23THRUST_200600_302600_NS6detail15normal_iteratorINS9_10device_ptrIiEEEESE_SE_iNS9_10multipliesIiEENS9_8equal_toIiEEiEE10hipError_tPvRmT2_T3_T4_T5_mT6_T7_P12ihipStream_tbENKUlT_T0_E_clISt17integral_constantIbLb1EESZ_EEDaSU_SV_EUlSU_E_NS1_11comp_targetILNS1_3genE8ELNS1_11target_archE1030ELNS1_3gpuE2ELNS1_3repE0EEENS1_30default_config_static_selectorELNS0_4arch9wavefront6targetE1EEEvT1_, .Lfunc_end514-_ZN7rocprim17ROCPRIM_400000_NS6detail17trampoline_kernelINS0_14default_configENS1_27scan_by_key_config_selectorIiiEEZZNS1_16scan_by_key_implILNS1_25lookback_scan_determinismE0ELb1ES3_N6thrust23THRUST_200600_302600_NS6detail15normal_iteratorINS9_10device_ptrIiEEEESE_SE_iNS9_10multipliesIiEENS9_8equal_toIiEEiEE10hipError_tPvRmT2_T3_T4_T5_mT6_T7_P12ihipStream_tbENKUlT_T0_E_clISt17integral_constantIbLb1EESZ_EEDaSU_SV_EUlSU_E_NS1_11comp_targetILNS1_3genE8ELNS1_11target_archE1030ELNS1_3gpuE2ELNS1_3repE0EEENS1_30default_config_static_selectorELNS0_4arch9wavefront6targetE1EEEvT1_
                                        ; -- End function
	.section	.AMDGPU.csdata,"",@progbits
; Kernel info:
; codeLenInByte = 0
; NumSgprs: 6
; NumVgprs: 0
; NumAgprs: 0
; TotalNumVgprs: 0
; ScratchSize: 0
; MemoryBound: 0
; FloatMode: 240
; IeeeMode: 1
; LDSByteSize: 0 bytes/workgroup (compile time only)
; SGPRBlocks: 0
; VGPRBlocks: 0
; NumSGPRsForWavesPerEU: 6
; NumVGPRsForWavesPerEU: 1
; AccumOffset: 4
; Occupancy: 8
; WaveLimiterHint : 0
; COMPUTE_PGM_RSRC2:SCRATCH_EN: 0
; COMPUTE_PGM_RSRC2:USER_SGPR: 2
; COMPUTE_PGM_RSRC2:TRAP_HANDLER: 0
; COMPUTE_PGM_RSRC2:TGID_X_EN: 1
; COMPUTE_PGM_RSRC2:TGID_Y_EN: 0
; COMPUTE_PGM_RSRC2:TGID_Z_EN: 0
; COMPUTE_PGM_RSRC2:TIDIG_COMP_CNT: 0
; COMPUTE_PGM_RSRC3_GFX90A:ACCUM_OFFSET: 0
; COMPUTE_PGM_RSRC3_GFX90A:TG_SPLIT: 0
	.section	.text._ZN7rocprim17ROCPRIM_400000_NS6detail17trampoline_kernelINS0_14default_configENS1_27scan_by_key_config_selectorIiiEEZZNS1_16scan_by_key_implILNS1_25lookback_scan_determinismE0ELb1ES3_N6thrust23THRUST_200600_302600_NS6detail15normal_iteratorINS9_10device_ptrIiEEEESE_SE_iNS9_10multipliesIiEENS9_8equal_toIiEEiEE10hipError_tPvRmT2_T3_T4_T5_mT6_T7_P12ihipStream_tbENKUlT_T0_E_clISt17integral_constantIbLb1EESY_IbLb0EEEEDaSU_SV_EUlSU_E_NS1_11comp_targetILNS1_3genE0ELNS1_11target_archE4294967295ELNS1_3gpuE0ELNS1_3repE0EEENS1_30default_config_static_selectorELNS0_4arch9wavefront6targetE1EEEvT1_,"axG",@progbits,_ZN7rocprim17ROCPRIM_400000_NS6detail17trampoline_kernelINS0_14default_configENS1_27scan_by_key_config_selectorIiiEEZZNS1_16scan_by_key_implILNS1_25lookback_scan_determinismE0ELb1ES3_N6thrust23THRUST_200600_302600_NS6detail15normal_iteratorINS9_10device_ptrIiEEEESE_SE_iNS9_10multipliesIiEENS9_8equal_toIiEEiEE10hipError_tPvRmT2_T3_T4_T5_mT6_T7_P12ihipStream_tbENKUlT_T0_E_clISt17integral_constantIbLb1EESY_IbLb0EEEEDaSU_SV_EUlSU_E_NS1_11comp_targetILNS1_3genE0ELNS1_11target_archE4294967295ELNS1_3gpuE0ELNS1_3repE0EEENS1_30default_config_static_selectorELNS0_4arch9wavefront6targetE1EEEvT1_,comdat
	.protected	_ZN7rocprim17ROCPRIM_400000_NS6detail17trampoline_kernelINS0_14default_configENS1_27scan_by_key_config_selectorIiiEEZZNS1_16scan_by_key_implILNS1_25lookback_scan_determinismE0ELb1ES3_N6thrust23THRUST_200600_302600_NS6detail15normal_iteratorINS9_10device_ptrIiEEEESE_SE_iNS9_10multipliesIiEENS9_8equal_toIiEEiEE10hipError_tPvRmT2_T3_T4_T5_mT6_T7_P12ihipStream_tbENKUlT_T0_E_clISt17integral_constantIbLb1EESY_IbLb0EEEEDaSU_SV_EUlSU_E_NS1_11comp_targetILNS1_3genE0ELNS1_11target_archE4294967295ELNS1_3gpuE0ELNS1_3repE0EEENS1_30default_config_static_selectorELNS0_4arch9wavefront6targetE1EEEvT1_ ; -- Begin function _ZN7rocprim17ROCPRIM_400000_NS6detail17trampoline_kernelINS0_14default_configENS1_27scan_by_key_config_selectorIiiEEZZNS1_16scan_by_key_implILNS1_25lookback_scan_determinismE0ELb1ES3_N6thrust23THRUST_200600_302600_NS6detail15normal_iteratorINS9_10device_ptrIiEEEESE_SE_iNS9_10multipliesIiEENS9_8equal_toIiEEiEE10hipError_tPvRmT2_T3_T4_T5_mT6_T7_P12ihipStream_tbENKUlT_T0_E_clISt17integral_constantIbLb1EESY_IbLb0EEEEDaSU_SV_EUlSU_E_NS1_11comp_targetILNS1_3genE0ELNS1_11target_archE4294967295ELNS1_3gpuE0ELNS1_3repE0EEENS1_30default_config_static_selectorELNS0_4arch9wavefront6targetE1EEEvT1_
	.globl	_ZN7rocprim17ROCPRIM_400000_NS6detail17trampoline_kernelINS0_14default_configENS1_27scan_by_key_config_selectorIiiEEZZNS1_16scan_by_key_implILNS1_25lookback_scan_determinismE0ELb1ES3_N6thrust23THRUST_200600_302600_NS6detail15normal_iteratorINS9_10device_ptrIiEEEESE_SE_iNS9_10multipliesIiEENS9_8equal_toIiEEiEE10hipError_tPvRmT2_T3_T4_T5_mT6_T7_P12ihipStream_tbENKUlT_T0_E_clISt17integral_constantIbLb1EESY_IbLb0EEEEDaSU_SV_EUlSU_E_NS1_11comp_targetILNS1_3genE0ELNS1_11target_archE4294967295ELNS1_3gpuE0ELNS1_3repE0EEENS1_30default_config_static_selectorELNS0_4arch9wavefront6targetE1EEEvT1_
	.p2align	8
	.type	_ZN7rocprim17ROCPRIM_400000_NS6detail17trampoline_kernelINS0_14default_configENS1_27scan_by_key_config_selectorIiiEEZZNS1_16scan_by_key_implILNS1_25lookback_scan_determinismE0ELb1ES3_N6thrust23THRUST_200600_302600_NS6detail15normal_iteratorINS9_10device_ptrIiEEEESE_SE_iNS9_10multipliesIiEENS9_8equal_toIiEEiEE10hipError_tPvRmT2_T3_T4_T5_mT6_T7_P12ihipStream_tbENKUlT_T0_E_clISt17integral_constantIbLb1EESY_IbLb0EEEEDaSU_SV_EUlSU_E_NS1_11comp_targetILNS1_3genE0ELNS1_11target_archE4294967295ELNS1_3gpuE0ELNS1_3repE0EEENS1_30default_config_static_selectorELNS0_4arch9wavefront6targetE1EEEvT1_,@function
_ZN7rocprim17ROCPRIM_400000_NS6detail17trampoline_kernelINS0_14default_configENS1_27scan_by_key_config_selectorIiiEEZZNS1_16scan_by_key_implILNS1_25lookback_scan_determinismE0ELb1ES3_N6thrust23THRUST_200600_302600_NS6detail15normal_iteratorINS9_10device_ptrIiEEEESE_SE_iNS9_10multipliesIiEENS9_8equal_toIiEEiEE10hipError_tPvRmT2_T3_T4_T5_mT6_T7_P12ihipStream_tbENKUlT_T0_E_clISt17integral_constantIbLb1EESY_IbLb0EEEEDaSU_SV_EUlSU_E_NS1_11comp_targetILNS1_3genE0ELNS1_11target_archE4294967295ELNS1_3gpuE0ELNS1_3repE0EEENS1_30default_config_static_selectorELNS0_4arch9wavefront6targetE1EEEvT1_: ; @_ZN7rocprim17ROCPRIM_400000_NS6detail17trampoline_kernelINS0_14default_configENS1_27scan_by_key_config_selectorIiiEEZZNS1_16scan_by_key_implILNS1_25lookback_scan_determinismE0ELb1ES3_N6thrust23THRUST_200600_302600_NS6detail15normal_iteratorINS9_10device_ptrIiEEEESE_SE_iNS9_10multipliesIiEENS9_8equal_toIiEEiEE10hipError_tPvRmT2_T3_T4_T5_mT6_T7_P12ihipStream_tbENKUlT_T0_E_clISt17integral_constantIbLb1EESY_IbLb0EEEEDaSU_SV_EUlSU_E_NS1_11comp_targetILNS1_3genE0ELNS1_11target_archE4294967295ELNS1_3gpuE0ELNS1_3repE0EEENS1_30default_config_static_selectorELNS0_4arch9wavefront6targetE1EEEvT1_
; %bb.0:
	.section	.rodata,"a",@progbits
	.p2align	6, 0x0
	.amdhsa_kernel _ZN7rocprim17ROCPRIM_400000_NS6detail17trampoline_kernelINS0_14default_configENS1_27scan_by_key_config_selectorIiiEEZZNS1_16scan_by_key_implILNS1_25lookback_scan_determinismE0ELb1ES3_N6thrust23THRUST_200600_302600_NS6detail15normal_iteratorINS9_10device_ptrIiEEEESE_SE_iNS9_10multipliesIiEENS9_8equal_toIiEEiEE10hipError_tPvRmT2_T3_T4_T5_mT6_T7_P12ihipStream_tbENKUlT_T0_E_clISt17integral_constantIbLb1EESY_IbLb0EEEEDaSU_SV_EUlSU_E_NS1_11comp_targetILNS1_3genE0ELNS1_11target_archE4294967295ELNS1_3gpuE0ELNS1_3repE0EEENS1_30default_config_static_selectorELNS0_4arch9wavefront6targetE1EEEvT1_
		.amdhsa_group_segment_fixed_size 0
		.amdhsa_private_segment_fixed_size 0
		.amdhsa_kernarg_size 112
		.amdhsa_user_sgpr_count 2
		.amdhsa_user_sgpr_dispatch_ptr 0
		.amdhsa_user_sgpr_queue_ptr 0
		.amdhsa_user_sgpr_kernarg_segment_ptr 1
		.amdhsa_user_sgpr_dispatch_id 0
		.amdhsa_user_sgpr_kernarg_preload_length 0
		.amdhsa_user_sgpr_kernarg_preload_offset 0
		.amdhsa_user_sgpr_private_segment_size 0
		.amdhsa_uses_dynamic_stack 0
		.amdhsa_enable_private_segment 0
		.amdhsa_system_sgpr_workgroup_id_x 1
		.amdhsa_system_sgpr_workgroup_id_y 0
		.amdhsa_system_sgpr_workgroup_id_z 0
		.amdhsa_system_sgpr_workgroup_info 0
		.amdhsa_system_vgpr_workitem_id 0
		.amdhsa_next_free_vgpr 1
		.amdhsa_next_free_sgpr 0
		.amdhsa_accum_offset 4
		.amdhsa_reserve_vcc 0
		.amdhsa_float_round_mode_32 0
		.amdhsa_float_round_mode_16_64 0
		.amdhsa_float_denorm_mode_32 3
		.amdhsa_float_denorm_mode_16_64 3
		.amdhsa_dx10_clamp 1
		.amdhsa_ieee_mode 1
		.amdhsa_fp16_overflow 0
		.amdhsa_tg_split 0
		.amdhsa_exception_fp_ieee_invalid_op 0
		.amdhsa_exception_fp_denorm_src 0
		.amdhsa_exception_fp_ieee_div_zero 0
		.amdhsa_exception_fp_ieee_overflow 0
		.amdhsa_exception_fp_ieee_underflow 0
		.amdhsa_exception_fp_ieee_inexact 0
		.amdhsa_exception_int_div_zero 0
	.end_amdhsa_kernel
	.section	.text._ZN7rocprim17ROCPRIM_400000_NS6detail17trampoline_kernelINS0_14default_configENS1_27scan_by_key_config_selectorIiiEEZZNS1_16scan_by_key_implILNS1_25lookback_scan_determinismE0ELb1ES3_N6thrust23THRUST_200600_302600_NS6detail15normal_iteratorINS9_10device_ptrIiEEEESE_SE_iNS9_10multipliesIiEENS9_8equal_toIiEEiEE10hipError_tPvRmT2_T3_T4_T5_mT6_T7_P12ihipStream_tbENKUlT_T0_E_clISt17integral_constantIbLb1EESY_IbLb0EEEEDaSU_SV_EUlSU_E_NS1_11comp_targetILNS1_3genE0ELNS1_11target_archE4294967295ELNS1_3gpuE0ELNS1_3repE0EEENS1_30default_config_static_selectorELNS0_4arch9wavefront6targetE1EEEvT1_,"axG",@progbits,_ZN7rocprim17ROCPRIM_400000_NS6detail17trampoline_kernelINS0_14default_configENS1_27scan_by_key_config_selectorIiiEEZZNS1_16scan_by_key_implILNS1_25lookback_scan_determinismE0ELb1ES3_N6thrust23THRUST_200600_302600_NS6detail15normal_iteratorINS9_10device_ptrIiEEEESE_SE_iNS9_10multipliesIiEENS9_8equal_toIiEEiEE10hipError_tPvRmT2_T3_T4_T5_mT6_T7_P12ihipStream_tbENKUlT_T0_E_clISt17integral_constantIbLb1EESY_IbLb0EEEEDaSU_SV_EUlSU_E_NS1_11comp_targetILNS1_3genE0ELNS1_11target_archE4294967295ELNS1_3gpuE0ELNS1_3repE0EEENS1_30default_config_static_selectorELNS0_4arch9wavefront6targetE1EEEvT1_,comdat
.Lfunc_end515:
	.size	_ZN7rocprim17ROCPRIM_400000_NS6detail17trampoline_kernelINS0_14default_configENS1_27scan_by_key_config_selectorIiiEEZZNS1_16scan_by_key_implILNS1_25lookback_scan_determinismE0ELb1ES3_N6thrust23THRUST_200600_302600_NS6detail15normal_iteratorINS9_10device_ptrIiEEEESE_SE_iNS9_10multipliesIiEENS9_8equal_toIiEEiEE10hipError_tPvRmT2_T3_T4_T5_mT6_T7_P12ihipStream_tbENKUlT_T0_E_clISt17integral_constantIbLb1EESY_IbLb0EEEEDaSU_SV_EUlSU_E_NS1_11comp_targetILNS1_3genE0ELNS1_11target_archE4294967295ELNS1_3gpuE0ELNS1_3repE0EEENS1_30default_config_static_selectorELNS0_4arch9wavefront6targetE1EEEvT1_, .Lfunc_end515-_ZN7rocprim17ROCPRIM_400000_NS6detail17trampoline_kernelINS0_14default_configENS1_27scan_by_key_config_selectorIiiEEZZNS1_16scan_by_key_implILNS1_25lookback_scan_determinismE0ELb1ES3_N6thrust23THRUST_200600_302600_NS6detail15normal_iteratorINS9_10device_ptrIiEEEESE_SE_iNS9_10multipliesIiEENS9_8equal_toIiEEiEE10hipError_tPvRmT2_T3_T4_T5_mT6_T7_P12ihipStream_tbENKUlT_T0_E_clISt17integral_constantIbLb1EESY_IbLb0EEEEDaSU_SV_EUlSU_E_NS1_11comp_targetILNS1_3genE0ELNS1_11target_archE4294967295ELNS1_3gpuE0ELNS1_3repE0EEENS1_30default_config_static_selectorELNS0_4arch9wavefront6targetE1EEEvT1_
                                        ; -- End function
	.section	.AMDGPU.csdata,"",@progbits
; Kernel info:
; codeLenInByte = 0
; NumSgprs: 6
; NumVgprs: 0
; NumAgprs: 0
; TotalNumVgprs: 0
; ScratchSize: 0
; MemoryBound: 0
; FloatMode: 240
; IeeeMode: 1
; LDSByteSize: 0 bytes/workgroup (compile time only)
; SGPRBlocks: 0
; VGPRBlocks: 0
; NumSGPRsForWavesPerEU: 6
; NumVGPRsForWavesPerEU: 1
; AccumOffset: 4
; Occupancy: 8
; WaveLimiterHint : 0
; COMPUTE_PGM_RSRC2:SCRATCH_EN: 0
; COMPUTE_PGM_RSRC2:USER_SGPR: 2
; COMPUTE_PGM_RSRC2:TRAP_HANDLER: 0
; COMPUTE_PGM_RSRC2:TGID_X_EN: 1
; COMPUTE_PGM_RSRC2:TGID_Y_EN: 0
; COMPUTE_PGM_RSRC2:TGID_Z_EN: 0
; COMPUTE_PGM_RSRC2:TIDIG_COMP_CNT: 0
; COMPUTE_PGM_RSRC3_GFX90A:ACCUM_OFFSET: 0
; COMPUTE_PGM_RSRC3_GFX90A:TG_SPLIT: 0
	.section	.text._ZN7rocprim17ROCPRIM_400000_NS6detail17trampoline_kernelINS0_14default_configENS1_27scan_by_key_config_selectorIiiEEZZNS1_16scan_by_key_implILNS1_25lookback_scan_determinismE0ELb1ES3_N6thrust23THRUST_200600_302600_NS6detail15normal_iteratorINS9_10device_ptrIiEEEESE_SE_iNS9_10multipliesIiEENS9_8equal_toIiEEiEE10hipError_tPvRmT2_T3_T4_T5_mT6_T7_P12ihipStream_tbENKUlT_T0_E_clISt17integral_constantIbLb1EESY_IbLb0EEEEDaSU_SV_EUlSU_E_NS1_11comp_targetILNS1_3genE10ELNS1_11target_archE1201ELNS1_3gpuE5ELNS1_3repE0EEENS1_30default_config_static_selectorELNS0_4arch9wavefront6targetE1EEEvT1_,"axG",@progbits,_ZN7rocprim17ROCPRIM_400000_NS6detail17trampoline_kernelINS0_14default_configENS1_27scan_by_key_config_selectorIiiEEZZNS1_16scan_by_key_implILNS1_25lookback_scan_determinismE0ELb1ES3_N6thrust23THRUST_200600_302600_NS6detail15normal_iteratorINS9_10device_ptrIiEEEESE_SE_iNS9_10multipliesIiEENS9_8equal_toIiEEiEE10hipError_tPvRmT2_T3_T4_T5_mT6_T7_P12ihipStream_tbENKUlT_T0_E_clISt17integral_constantIbLb1EESY_IbLb0EEEEDaSU_SV_EUlSU_E_NS1_11comp_targetILNS1_3genE10ELNS1_11target_archE1201ELNS1_3gpuE5ELNS1_3repE0EEENS1_30default_config_static_selectorELNS0_4arch9wavefront6targetE1EEEvT1_,comdat
	.protected	_ZN7rocprim17ROCPRIM_400000_NS6detail17trampoline_kernelINS0_14default_configENS1_27scan_by_key_config_selectorIiiEEZZNS1_16scan_by_key_implILNS1_25lookback_scan_determinismE0ELb1ES3_N6thrust23THRUST_200600_302600_NS6detail15normal_iteratorINS9_10device_ptrIiEEEESE_SE_iNS9_10multipliesIiEENS9_8equal_toIiEEiEE10hipError_tPvRmT2_T3_T4_T5_mT6_T7_P12ihipStream_tbENKUlT_T0_E_clISt17integral_constantIbLb1EESY_IbLb0EEEEDaSU_SV_EUlSU_E_NS1_11comp_targetILNS1_3genE10ELNS1_11target_archE1201ELNS1_3gpuE5ELNS1_3repE0EEENS1_30default_config_static_selectorELNS0_4arch9wavefront6targetE1EEEvT1_ ; -- Begin function _ZN7rocprim17ROCPRIM_400000_NS6detail17trampoline_kernelINS0_14default_configENS1_27scan_by_key_config_selectorIiiEEZZNS1_16scan_by_key_implILNS1_25lookback_scan_determinismE0ELb1ES3_N6thrust23THRUST_200600_302600_NS6detail15normal_iteratorINS9_10device_ptrIiEEEESE_SE_iNS9_10multipliesIiEENS9_8equal_toIiEEiEE10hipError_tPvRmT2_T3_T4_T5_mT6_T7_P12ihipStream_tbENKUlT_T0_E_clISt17integral_constantIbLb1EESY_IbLb0EEEEDaSU_SV_EUlSU_E_NS1_11comp_targetILNS1_3genE10ELNS1_11target_archE1201ELNS1_3gpuE5ELNS1_3repE0EEENS1_30default_config_static_selectorELNS0_4arch9wavefront6targetE1EEEvT1_
	.globl	_ZN7rocprim17ROCPRIM_400000_NS6detail17trampoline_kernelINS0_14default_configENS1_27scan_by_key_config_selectorIiiEEZZNS1_16scan_by_key_implILNS1_25lookback_scan_determinismE0ELb1ES3_N6thrust23THRUST_200600_302600_NS6detail15normal_iteratorINS9_10device_ptrIiEEEESE_SE_iNS9_10multipliesIiEENS9_8equal_toIiEEiEE10hipError_tPvRmT2_T3_T4_T5_mT6_T7_P12ihipStream_tbENKUlT_T0_E_clISt17integral_constantIbLb1EESY_IbLb0EEEEDaSU_SV_EUlSU_E_NS1_11comp_targetILNS1_3genE10ELNS1_11target_archE1201ELNS1_3gpuE5ELNS1_3repE0EEENS1_30default_config_static_selectorELNS0_4arch9wavefront6targetE1EEEvT1_
	.p2align	8
	.type	_ZN7rocprim17ROCPRIM_400000_NS6detail17trampoline_kernelINS0_14default_configENS1_27scan_by_key_config_selectorIiiEEZZNS1_16scan_by_key_implILNS1_25lookback_scan_determinismE0ELb1ES3_N6thrust23THRUST_200600_302600_NS6detail15normal_iteratorINS9_10device_ptrIiEEEESE_SE_iNS9_10multipliesIiEENS9_8equal_toIiEEiEE10hipError_tPvRmT2_T3_T4_T5_mT6_T7_P12ihipStream_tbENKUlT_T0_E_clISt17integral_constantIbLb1EESY_IbLb0EEEEDaSU_SV_EUlSU_E_NS1_11comp_targetILNS1_3genE10ELNS1_11target_archE1201ELNS1_3gpuE5ELNS1_3repE0EEENS1_30default_config_static_selectorELNS0_4arch9wavefront6targetE1EEEvT1_,@function
_ZN7rocprim17ROCPRIM_400000_NS6detail17trampoline_kernelINS0_14default_configENS1_27scan_by_key_config_selectorIiiEEZZNS1_16scan_by_key_implILNS1_25lookback_scan_determinismE0ELb1ES3_N6thrust23THRUST_200600_302600_NS6detail15normal_iteratorINS9_10device_ptrIiEEEESE_SE_iNS9_10multipliesIiEENS9_8equal_toIiEEiEE10hipError_tPvRmT2_T3_T4_T5_mT6_T7_P12ihipStream_tbENKUlT_T0_E_clISt17integral_constantIbLb1EESY_IbLb0EEEEDaSU_SV_EUlSU_E_NS1_11comp_targetILNS1_3genE10ELNS1_11target_archE1201ELNS1_3gpuE5ELNS1_3repE0EEENS1_30default_config_static_selectorELNS0_4arch9wavefront6targetE1EEEvT1_: ; @_ZN7rocprim17ROCPRIM_400000_NS6detail17trampoline_kernelINS0_14default_configENS1_27scan_by_key_config_selectorIiiEEZZNS1_16scan_by_key_implILNS1_25lookback_scan_determinismE0ELb1ES3_N6thrust23THRUST_200600_302600_NS6detail15normal_iteratorINS9_10device_ptrIiEEEESE_SE_iNS9_10multipliesIiEENS9_8equal_toIiEEiEE10hipError_tPvRmT2_T3_T4_T5_mT6_T7_P12ihipStream_tbENKUlT_T0_E_clISt17integral_constantIbLb1EESY_IbLb0EEEEDaSU_SV_EUlSU_E_NS1_11comp_targetILNS1_3genE10ELNS1_11target_archE1201ELNS1_3gpuE5ELNS1_3repE0EEENS1_30default_config_static_selectorELNS0_4arch9wavefront6targetE1EEEvT1_
; %bb.0:
	.section	.rodata,"a",@progbits
	.p2align	6, 0x0
	.amdhsa_kernel _ZN7rocprim17ROCPRIM_400000_NS6detail17trampoline_kernelINS0_14default_configENS1_27scan_by_key_config_selectorIiiEEZZNS1_16scan_by_key_implILNS1_25lookback_scan_determinismE0ELb1ES3_N6thrust23THRUST_200600_302600_NS6detail15normal_iteratorINS9_10device_ptrIiEEEESE_SE_iNS9_10multipliesIiEENS9_8equal_toIiEEiEE10hipError_tPvRmT2_T3_T4_T5_mT6_T7_P12ihipStream_tbENKUlT_T0_E_clISt17integral_constantIbLb1EESY_IbLb0EEEEDaSU_SV_EUlSU_E_NS1_11comp_targetILNS1_3genE10ELNS1_11target_archE1201ELNS1_3gpuE5ELNS1_3repE0EEENS1_30default_config_static_selectorELNS0_4arch9wavefront6targetE1EEEvT1_
		.amdhsa_group_segment_fixed_size 0
		.amdhsa_private_segment_fixed_size 0
		.amdhsa_kernarg_size 112
		.amdhsa_user_sgpr_count 2
		.amdhsa_user_sgpr_dispatch_ptr 0
		.amdhsa_user_sgpr_queue_ptr 0
		.amdhsa_user_sgpr_kernarg_segment_ptr 1
		.amdhsa_user_sgpr_dispatch_id 0
		.amdhsa_user_sgpr_kernarg_preload_length 0
		.amdhsa_user_sgpr_kernarg_preload_offset 0
		.amdhsa_user_sgpr_private_segment_size 0
		.amdhsa_uses_dynamic_stack 0
		.amdhsa_enable_private_segment 0
		.amdhsa_system_sgpr_workgroup_id_x 1
		.amdhsa_system_sgpr_workgroup_id_y 0
		.amdhsa_system_sgpr_workgroup_id_z 0
		.amdhsa_system_sgpr_workgroup_info 0
		.amdhsa_system_vgpr_workitem_id 0
		.amdhsa_next_free_vgpr 1
		.amdhsa_next_free_sgpr 0
		.amdhsa_accum_offset 4
		.amdhsa_reserve_vcc 0
		.amdhsa_float_round_mode_32 0
		.amdhsa_float_round_mode_16_64 0
		.amdhsa_float_denorm_mode_32 3
		.amdhsa_float_denorm_mode_16_64 3
		.amdhsa_dx10_clamp 1
		.amdhsa_ieee_mode 1
		.amdhsa_fp16_overflow 0
		.amdhsa_tg_split 0
		.amdhsa_exception_fp_ieee_invalid_op 0
		.amdhsa_exception_fp_denorm_src 0
		.amdhsa_exception_fp_ieee_div_zero 0
		.amdhsa_exception_fp_ieee_overflow 0
		.amdhsa_exception_fp_ieee_underflow 0
		.amdhsa_exception_fp_ieee_inexact 0
		.amdhsa_exception_int_div_zero 0
	.end_amdhsa_kernel
	.section	.text._ZN7rocprim17ROCPRIM_400000_NS6detail17trampoline_kernelINS0_14default_configENS1_27scan_by_key_config_selectorIiiEEZZNS1_16scan_by_key_implILNS1_25lookback_scan_determinismE0ELb1ES3_N6thrust23THRUST_200600_302600_NS6detail15normal_iteratorINS9_10device_ptrIiEEEESE_SE_iNS9_10multipliesIiEENS9_8equal_toIiEEiEE10hipError_tPvRmT2_T3_T4_T5_mT6_T7_P12ihipStream_tbENKUlT_T0_E_clISt17integral_constantIbLb1EESY_IbLb0EEEEDaSU_SV_EUlSU_E_NS1_11comp_targetILNS1_3genE10ELNS1_11target_archE1201ELNS1_3gpuE5ELNS1_3repE0EEENS1_30default_config_static_selectorELNS0_4arch9wavefront6targetE1EEEvT1_,"axG",@progbits,_ZN7rocprim17ROCPRIM_400000_NS6detail17trampoline_kernelINS0_14default_configENS1_27scan_by_key_config_selectorIiiEEZZNS1_16scan_by_key_implILNS1_25lookback_scan_determinismE0ELb1ES3_N6thrust23THRUST_200600_302600_NS6detail15normal_iteratorINS9_10device_ptrIiEEEESE_SE_iNS9_10multipliesIiEENS9_8equal_toIiEEiEE10hipError_tPvRmT2_T3_T4_T5_mT6_T7_P12ihipStream_tbENKUlT_T0_E_clISt17integral_constantIbLb1EESY_IbLb0EEEEDaSU_SV_EUlSU_E_NS1_11comp_targetILNS1_3genE10ELNS1_11target_archE1201ELNS1_3gpuE5ELNS1_3repE0EEENS1_30default_config_static_selectorELNS0_4arch9wavefront6targetE1EEEvT1_,comdat
.Lfunc_end516:
	.size	_ZN7rocprim17ROCPRIM_400000_NS6detail17trampoline_kernelINS0_14default_configENS1_27scan_by_key_config_selectorIiiEEZZNS1_16scan_by_key_implILNS1_25lookback_scan_determinismE0ELb1ES3_N6thrust23THRUST_200600_302600_NS6detail15normal_iteratorINS9_10device_ptrIiEEEESE_SE_iNS9_10multipliesIiEENS9_8equal_toIiEEiEE10hipError_tPvRmT2_T3_T4_T5_mT6_T7_P12ihipStream_tbENKUlT_T0_E_clISt17integral_constantIbLb1EESY_IbLb0EEEEDaSU_SV_EUlSU_E_NS1_11comp_targetILNS1_3genE10ELNS1_11target_archE1201ELNS1_3gpuE5ELNS1_3repE0EEENS1_30default_config_static_selectorELNS0_4arch9wavefront6targetE1EEEvT1_, .Lfunc_end516-_ZN7rocprim17ROCPRIM_400000_NS6detail17trampoline_kernelINS0_14default_configENS1_27scan_by_key_config_selectorIiiEEZZNS1_16scan_by_key_implILNS1_25lookback_scan_determinismE0ELb1ES3_N6thrust23THRUST_200600_302600_NS6detail15normal_iteratorINS9_10device_ptrIiEEEESE_SE_iNS9_10multipliesIiEENS9_8equal_toIiEEiEE10hipError_tPvRmT2_T3_T4_T5_mT6_T7_P12ihipStream_tbENKUlT_T0_E_clISt17integral_constantIbLb1EESY_IbLb0EEEEDaSU_SV_EUlSU_E_NS1_11comp_targetILNS1_3genE10ELNS1_11target_archE1201ELNS1_3gpuE5ELNS1_3repE0EEENS1_30default_config_static_selectorELNS0_4arch9wavefront6targetE1EEEvT1_
                                        ; -- End function
	.section	.AMDGPU.csdata,"",@progbits
; Kernel info:
; codeLenInByte = 0
; NumSgprs: 6
; NumVgprs: 0
; NumAgprs: 0
; TotalNumVgprs: 0
; ScratchSize: 0
; MemoryBound: 0
; FloatMode: 240
; IeeeMode: 1
; LDSByteSize: 0 bytes/workgroup (compile time only)
; SGPRBlocks: 0
; VGPRBlocks: 0
; NumSGPRsForWavesPerEU: 6
; NumVGPRsForWavesPerEU: 1
; AccumOffset: 4
; Occupancy: 8
; WaveLimiterHint : 0
; COMPUTE_PGM_RSRC2:SCRATCH_EN: 0
; COMPUTE_PGM_RSRC2:USER_SGPR: 2
; COMPUTE_PGM_RSRC2:TRAP_HANDLER: 0
; COMPUTE_PGM_RSRC2:TGID_X_EN: 1
; COMPUTE_PGM_RSRC2:TGID_Y_EN: 0
; COMPUTE_PGM_RSRC2:TGID_Z_EN: 0
; COMPUTE_PGM_RSRC2:TIDIG_COMP_CNT: 0
; COMPUTE_PGM_RSRC3_GFX90A:ACCUM_OFFSET: 0
; COMPUTE_PGM_RSRC3_GFX90A:TG_SPLIT: 0
	.section	.text._ZN7rocprim17ROCPRIM_400000_NS6detail17trampoline_kernelINS0_14default_configENS1_27scan_by_key_config_selectorIiiEEZZNS1_16scan_by_key_implILNS1_25lookback_scan_determinismE0ELb1ES3_N6thrust23THRUST_200600_302600_NS6detail15normal_iteratorINS9_10device_ptrIiEEEESE_SE_iNS9_10multipliesIiEENS9_8equal_toIiEEiEE10hipError_tPvRmT2_T3_T4_T5_mT6_T7_P12ihipStream_tbENKUlT_T0_E_clISt17integral_constantIbLb1EESY_IbLb0EEEEDaSU_SV_EUlSU_E_NS1_11comp_targetILNS1_3genE5ELNS1_11target_archE942ELNS1_3gpuE9ELNS1_3repE0EEENS1_30default_config_static_selectorELNS0_4arch9wavefront6targetE1EEEvT1_,"axG",@progbits,_ZN7rocprim17ROCPRIM_400000_NS6detail17trampoline_kernelINS0_14default_configENS1_27scan_by_key_config_selectorIiiEEZZNS1_16scan_by_key_implILNS1_25lookback_scan_determinismE0ELb1ES3_N6thrust23THRUST_200600_302600_NS6detail15normal_iteratorINS9_10device_ptrIiEEEESE_SE_iNS9_10multipliesIiEENS9_8equal_toIiEEiEE10hipError_tPvRmT2_T3_T4_T5_mT6_T7_P12ihipStream_tbENKUlT_T0_E_clISt17integral_constantIbLb1EESY_IbLb0EEEEDaSU_SV_EUlSU_E_NS1_11comp_targetILNS1_3genE5ELNS1_11target_archE942ELNS1_3gpuE9ELNS1_3repE0EEENS1_30default_config_static_selectorELNS0_4arch9wavefront6targetE1EEEvT1_,comdat
	.protected	_ZN7rocprim17ROCPRIM_400000_NS6detail17trampoline_kernelINS0_14default_configENS1_27scan_by_key_config_selectorIiiEEZZNS1_16scan_by_key_implILNS1_25lookback_scan_determinismE0ELb1ES3_N6thrust23THRUST_200600_302600_NS6detail15normal_iteratorINS9_10device_ptrIiEEEESE_SE_iNS9_10multipliesIiEENS9_8equal_toIiEEiEE10hipError_tPvRmT2_T3_T4_T5_mT6_T7_P12ihipStream_tbENKUlT_T0_E_clISt17integral_constantIbLb1EESY_IbLb0EEEEDaSU_SV_EUlSU_E_NS1_11comp_targetILNS1_3genE5ELNS1_11target_archE942ELNS1_3gpuE9ELNS1_3repE0EEENS1_30default_config_static_selectorELNS0_4arch9wavefront6targetE1EEEvT1_ ; -- Begin function _ZN7rocprim17ROCPRIM_400000_NS6detail17trampoline_kernelINS0_14default_configENS1_27scan_by_key_config_selectorIiiEEZZNS1_16scan_by_key_implILNS1_25lookback_scan_determinismE0ELb1ES3_N6thrust23THRUST_200600_302600_NS6detail15normal_iteratorINS9_10device_ptrIiEEEESE_SE_iNS9_10multipliesIiEENS9_8equal_toIiEEiEE10hipError_tPvRmT2_T3_T4_T5_mT6_T7_P12ihipStream_tbENKUlT_T0_E_clISt17integral_constantIbLb1EESY_IbLb0EEEEDaSU_SV_EUlSU_E_NS1_11comp_targetILNS1_3genE5ELNS1_11target_archE942ELNS1_3gpuE9ELNS1_3repE0EEENS1_30default_config_static_selectorELNS0_4arch9wavefront6targetE1EEEvT1_
	.globl	_ZN7rocprim17ROCPRIM_400000_NS6detail17trampoline_kernelINS0_14default_configENS1_27scan_by_key_config_selectorIiiEEZZNS1_16scan_by_key_implILNS1_25lookback_scan_determinismE0ELb1ES3_N6thrust23THRUST_200600_302600_NS6detail15normal_iteratorINS9_10device_ptrIiEEEESE_SE_iNS9_10multipliesIiEENS9_8equal_toIiEEiEE10hipError_tPvRmT2_T3_T4_T5_mT6_T7_P12ihipStream_tbENKUlT_T0_E_clISt17integral_constantIbLb1EESY_IbLb0EEEEDaSU_SV_EUlSU_E_NS1_11comp_targetILNS1_3genE5ELNS1_11target_archE942ELNS1_3gpuE9ELNS1_3repE0EEENS1_30default_config_static_selectorELNS0_4arch9wavefront6targetE1EEEvT1_
	.p2align	8
	.type	_ZN7rocprim17ROCPRIM_400000_NS6detail17trampoline_kernelINS0_14default_configENS1_27scan_by_key_config_selectorIiiEEZZNS1_16scan_by_key_implILNS1_25lookback_scan_determinismE0ELb1ES3_N6thrust23THRUST_200600_302600_NS6detail15normal_iteratorINS9_10device_ptrIiEEEESE_SE_iNS9_10multipliesIiEENS9_8equal_toIiEEiEE10hipError_tPvRmT2_T3_T4_T5_mT6_T7_P12ihipStream_tbENKUlT_T0_E_clISt17integral_constantIbLb1EESY_IbLb0EEEEDaSU_SV_EUlSU_E_NS1_11comp_targetILNS1_3genE5ELNS1_11target_archE942ELNS1_3gpuE9ELNS1_3repE0EEENS1_30default_config_static_selectorELNS0_4arch9wavefront6targetE1EEEvT1_,@function
_ZN7rocprim17ROCPRIM_400000_NS6detail17trampoline_kernelINS0_14default_configENS1_27scan_by_key_config_selectorIiiEEZZNS1_16scan_by_key_implILNS1_25lookback_scan_determinismE0ELb1ES3_N6thrust23THRUST_200600_302600_NS6detail15normal_iteratorINS9_10device_ptrIiEEEESE_SE_iNS9_10multipliesIiEENS9_8equal_toIiEEiEE10hipError_tPvRmT2_T3_T4_T5_mT6_T7_P12ihipStream_tbENKUlT_T0_E_clISt17integral_constantIbLb1EESY_IbLb0EEEEDaSU_SV_EUlSU_E_NS1_11comp_targetILNS1_3genE5ELNS1_11target_archE942ELNS1_3gpuE9ELNS1_3repE0EEENS1_30default_config_static_selectorELNS0_4arch9wavefront6targetE1EEEvT1_: ; @_ZN7rocprim17ROCPRIM_400000_NS6detail17trampoline_kernelINS0_14default_configENS1_27scan_by_key_config_selectorIiiEEZZNS1_16scan_by_key_implILNS1_25lookback_scan_determinismE0ELb1ES3_N6thrust23THRUST_200600_302600_NS6detail15normal_iteratorINS9_10device_ptrIiEEEESE_SE_iNS9_10multipliesIiEENS9_8equal_toIiEEiEE10hipError_tPvRmT2_T3_T4_T5_mT6_T7_P12ihipStream_tbENKUlT_T0_E_clISt17integral_constantIbLb1EESY_IbLb0EEEEDaSU_SV_EUlSU_E_NS1_11comp_targetILNS1_3genE5ELNS1_11target_archE942ELNS1_3gpuE9ELNS1_3repE0EEENS1_30default_config_static_selectorELNS0_4arch9wavefront6targetE1EEEvT1_
; %bb.0:
	s_load_dwordx8 s[48:55], s[0:1], 0x0
	s_load_dword s76, s[0:1], 0x20
	s_load_dwordx4 s[56:59], s[0:1], 0x28
	s_load_dwordx2 s[66:67], s[0:1], 0x38
	s_load_dword s3, s[0:1], 0x40
	s_load_dwordx4 s[60:63], s[0:1], 0x48
	s_waitcnt lgkmcnt(0)
	s_lshl_b64 s[64:65], s[50:51], 2
	s_add_u32 s4, s48, s64
	s_addc_u32 s5, s49, s65
	s_add_u32 s6, s52, s64
	s_mul_i32 s0, s67, s3
	s_mul_hi_u32 s1, s66, s3
	s_addc_u32 s7, s53, s65
	s_add_i32 s8, s1, s0
	s_mul_i32 s0, s2, 0x1700
	s_mov_b32 s1, 0
	s_lshl_b64 s[52:53], s[0:1], 2
	s_add_u32 s70, s4, s52
	s_addc_u32 s71, s5, s53
	s_add_u32 s68, s6, s52
	s_mul_i32 s3, s66, s3
	s_addc_u32 s69, s7, s53
	s_add_u32 s0, s3, s2
	s_addc_u32 s1, s8, 0
	s_add_u32 s6, s60, -1
	s_addc_u32 s7, s61, -1
	v_mov_b64_e32 v[2:3], s[6:7]
	v_cmp_ge_u64_e64 s[0:1], s[0:1], v[2:3]
	s_mov_b64 s[4:5], -1
	s_and_b64 vcc, exec, s[0:1]
	s_mul_i32 s33, s6, 0xffffe900
	s_barrier
	s_cbranch_vccz .LBB517_71
; %bb.1:
	v_mov_b64_e32 v[2:3], s[70:71]
	flat_load_dword v1, v[2:3]
	s_add_i32 s3, s33, s58
	v_cmp_gt_u32_e32 vcc, s3, v0
	s_waitcnt vmcnt(0) lgkmcnt(0)
	v_mov_b32_e32 v3, v1
	s_and_saveexec_b64 s[4:5], vcc
	s_cbranch_execz .LBB517_3
; %bb.2:
	v_lshlrev_b32_e32 v2, 2, v0
	v_mov_b32_e32 v3, 0
	v_lshl_add_u64 v[2:3], s[70:71], 0, v[2:3]
	flat_load_dword v3, v[2:3]
.LBB517_3:
	s_or_b64 exec, exec, s[4:5]
	v_or_b32_e32 v2, 0x100, v0
	v_cmp_gt_u32_e64 s[48:49], s3, v2
	v_mov_b32_e32 v4, v1
	s_and_saveexec_b64 s[4:5], s[48:49]
	s_cbranch_execz .LBB517_5
; %bb.4:
	v_lshlrev_b32_e32 v4, 2, v0
	v_mov_b32_e32 v5, 0
	v_lshl_add_u64 v[4:5], s[70:71], 0, v[4:5]
	flat_load_dword v4, v[4:5] offset:1024
.LBB517_5:
	s_or_b64 exec, exec, s[4:5]
	v_or_b32_e32 v2, 0x200, v0
	v_cmp_gt_u32_e64 s[4:5], s3, v2
	v_mov_b32_e32 v5, v1
	s_and_saveexec_b64 s[6:7], s[4:5]
	s_cbranch_execz .LBB517_7
; %bb.6:
	v_lshlrev_b32_e32 v6, 2, v0
	v_mov_b32_e32 v7, 0
	v_lshl_add_u64 v[6:7], s[70:71], 0, v[6:7]
	flat_load_dword v5, v[6:7] offset:2048
.LBB517_7:
	;; [unrolled: 12-line block ×3, first 2 shown]
	s_or_b64 exec, exec, s[8:9]
	v_or_b32_e32 v10, 0x400, v0
	v_cmp_gt_u32_e64 s[8:9], s3, v10
	v_mov_b32_e32 v7, v1
	s_and_saveexec_b64 s[10:11], s[8:9]
	s_cbranch_execz .LBB517_11
; %bb.10:
	v_lshlrev_b32_e32 v8, 2, v10
	v_mov_b32_e32 v9, 0
	v_lshl_add_u64 v[8:9], s[70:71], 0, v[8:9]
	flat_load_dword v7, v[8:9]
.LBB517_11:
	s_or_b64 exec, exec, s[10:11]
	v_or_b32_e32 v11, 0x500, v0
	v_cmp_gt_u32_e64 s[10:11], s3, v11
	v_mov_b32_e32 v8, v1
	s_and_saveexec_b64 s[12:13], s[10:11]
	s_cbranch_execz .LBB517_13
; %bb.12:
	v_lshlrev_b32_e32 v8, 2, v11
	v_mov_b32_e32 v9, 0
	v_lshl_add_u64 v[8:9], s[70:71], 0, v[8:9]
	flat_load_dword v8, v[8:9]
.LBB517_13:
	s_or_b64 exec, exec, s[12:13]
	v_or_b32_e32 v12, 0x600, v0
	v_cmp_gt_u32_e64 s[12:13], s3, v12
	v_mov_b32_e32 v9, v1
	s_and_saveexec_b64 s[14:15], s[12:13]
	s_cbranch_execz .LBB517_15
; %bb.14:
	v_lshlrev_b32_e32 v14, 2, v12
	v_mov_b32_e32 v15, 0
	v_lshl_add_u64 v[14:15], s[70:71], 0, v[14:15]
	flat_load_dword v9, v[14:15]
.LBB517_15:
	s_or_b64 exec, exec, s[14:15]
	v_or_b32_e32 v13, 0x700, v0
	v_cmp_gt_u32_e64 s[14:15], s3, v13
	v_mov_b32_e32 v29, v1
	s_and_saveexec_b64 s[16:17], s[14:15]
	s_cbranch_execz .LBB517_17
; %bb.16:
	v_lshlrev_b32_e32 v14, 2, v13
	v_mov_b32_e32 v15, 0
	v_lshl_add_u64 v[14:15], s[70:71], 0, v[14:15]
	flat_load_dword v29, v[14:15]
.LBB517_17:
	s_or_b64 exec, exec, s[16:17]
	v_or_b32_e32 v14, 0x800, v0
	v_cmp_gt_u32_e64 s[16:17], s3, v14
	v_mov_b32_e32 v30, v1
	s_and_saveexec_b64 s[18:19], s[16:17]
	s_cbranch_execz .LBB517_19
; %bb.18:
	v_lshlrev_b32_e32 v16, 2, v14
	v_mov_b32_e32 v17, 0
	v_lshl_add_u64 v[16:17], s[70:71], 0, v[16:17]
	flat_load_dword v30, v[16:17]
.LBB517_19:
	s_or_b64 exec, exec, s[18:19]
	v_or_b32_e32 v15, 0x900, v0
	v_cmp_gt_u32_e64 s[18:19], s3, v15
	v_mov_b32_e32 v31, v1
	s_and_saveexec_b64 s[20:21], s[18:19]
	s_cbranch_execz .LBB517_21
; %bb.20:
	v_lshlrev_b32_e32 v16, 2, v15
	v_mov_b32_e32 v17, 0
	v_lshl_add_u64 v[16:17], s[70:71], 0, v[16:17]
	flat_load_dword v31, v[16:17]
.LBB517_21:
	s_or_b64 exec, exec, s[20:21]
	v_or_b32_e32 v16, 0xa00, v0
	v_cmp_gt_u32_e64 s[20:21], s3, v16
	v_mov_b32_e32 v32, v1
	s_and_saveexec_b64 s[22:23], s[20:21]
	s_cbranch_execz .LBB517_23
; %bb.22:
	v_lshlrev_b32_e32 v18, 2, v16
	v_mov_b32_e32 v19, 0
	v_lshl_add_u64 v[18:19], s[70:71], 0, v[18:19]
	flat_load_dword v32, v[18:19]
.LBB517_23:
	s_or_b64 exec, exec, s[22:23]
	v_or_b32_e32 v17, 0xb00, v0
	v_cmp_gt_u32_e64 s[22:23], s3, v17
	v_mov_b32_e32 v33, v1
	s_and_saveexec_b64 s[24:25], s[22:23]
	s_cbranch_execz .LBB517_25
; %bb.24:
	v_lshlrev_b32_e32 v18, 2, v17
	v_mov_b32_e32 v19, 0
	v_lshl_add_u64 v[18:19], s[70:71], 0, v[18:19]
	flat_load_dword v33, v[18:19]
.LBB517_25:
	s_or_b64 exec, exec, s[24:25]
	v_or_b32_e32 v18, 0xc00, v0
	v_cmp_gt_u32_e64 s[24:25], s3, v18
	v_mov_b32_e32 v34, v1
	s_and_saveexec_b64 s[26:27], s[24:25]
	s_cbranch_execz .LBB517_27
; %bb.26:
	v_lshlrev_b32_e32 v20, 2, v18
	v_mov_b32_e32 v21, 0
	v_lshl_add_u64 v[20:21], s[70:71], 0, v[20:21]
	flat_load_dword v34, v[20:21]
.LBB517_27:
	s_or_b64 exec, exec, s[26:27]
	v_or_b32_e32 v19, 0xd00, v0
	v_cmp_gt_u32_e64 s[26:27], s3, v19
	v_mov_b32_e32 v35, v1
	s_and_saveexec_b64 s[28:29], s[26:27]
	s_cbranch_execz .LBB517_29
; %bb.28:
	v_lshlrev_b32_e32 v20, 2, v19
	v_mov_b32_e32 v21, 0
	v_lshl_add_u64 v[20:21], s[70:71], 0, v[20:21]
	flat_load_dword v35, v[20:21]
.LBB517_29:
	s_or_b64 exec, exec, s[28:29]
	v_or_b32_e32 v20, 0xe00, v0
	v_cmp_gt_u32_e64 s[28:29], s3, v20
	v_mov_b32_e32 v36, v1
	s_and_saveexec_b64 s[30:31], s[28:29]
	s_cbranch_execz .LBB517_31
; %bb.30:
	v_lshlrev_b32_e32 v22, 2, v20
	v_mov_b32_e32 v23, 0
	v_lshl_add_u64 v[22:23], s[70:71], 0, v[22:23]
	flat_load_dword v36, v[22:23]
.LBB517_31:
	s_or_b64 exec, exec, s[30:31]
	v_or_b32_e32 v21, 0xf00, v0
	v_cmp_gt_u32_e64 s[30:31], s3, v21
	v_mov_b32_e32 v37, v1
	s_and_saveexec_b64 s[34:35], s[30:31]
	s_cbranch_execz .LBB517_33
; %bb.32:
	v_lshlrev_b32_e32 v22, 2, v21
	v_mov_b32_e32 v23, 0
	v_lshl_add_u64 v[22:23], s[70:71], 0, v[22:23]
	flat_load_dword v37, v[22:23]
.LBB517_33:
	s_or_b64 exec, exec, s[34:35]
	v_or_b32_e32 v22, 0x1000, v0
	v_cmp_gt_u32_e64 s[34:35], s3, v22
	v_mov_b32_e32 v38, v1
	s_and_saveexec_b64 s[36:37], s[34:35]
	s_cbranch_execz .LBB517_35
; %bb.34:
	v_lshlrev_b32_e32 v24, 2, v22
	v_mov_b32_e32 v25, 0
	v_lshl_add_u64 v[24:25], s[70:71], 0, v[24:25]
	flat_load_dword v38, v[24:25]
.LBB517_35:
	s_or_b64 exec, exec, s[36:37]
	v_or_b32_e32 v23, 0x1100, v0
	v_cmp_gt_u32_e64 s[36:37], s3, v23
	v_mov_b32_e32 v39, v1
	s_and_saveexec_b64 s[38:39], s[36:37]
	s_cbranch_execz .LBB517_37
; %bb.36:
	v_lshlrev_b32_e32 v24, 2, v23
	v_mov_b32_e32 v25, 0
	v_lshl_add_u64 v[24:25], s[70:71], 0, v[24:25]
	flat_load_dword v39, v[24:25]
.LBB517_37:
	s_or_b64 exec, exec, s[38:39]
	v_or_b32_e32 v24, 0x1200, v0
	v_cmp_gt_u32_e64 s[38:39], s3, v24
	v_mov_b32_e32 v40, v1
	s_and_saveexec_b64 s[40:41], s[38:39]
	s_cbranch_execz .LBB517_39
; %bb.38:
	v_lshlrev_b32_e32 v26, 2, v24
	v_mov_b32_e32 v27, 0
	v_lshl_add_u64 v[26:27], s[70:71], 0, v[26:27]
	flat_load_dword v40, v[26:27]
.LBB517_39:
	s_or_b64 exec, exec, s[40:41]
	v_or_b32_e32 v25, 0x1300, v0
	v_cmp_gt_u32_e64 s[40:41], s3, v25
	v_mov_b32_e32 v41, v1
	s_and_saveexec_b64 s[42:43], s[40:41]
	s_cbranch_execz .LBB517_41
; %bb.40:
	v_lshlrev_b32_e32 v26, 2, v25
	v_mov_b32_e32 v27, 0
	v_lshl_add_u64 v[26:27], s[70:71], 0, v[26:27]
	flat_load_dword v41, v[26:27]
.LBB517_41:
	s_or_b64 exec, exec, s[42:43]
	v_or_b32_e32 v26, 0x1400, v0
	v_cmp_gt_u32_e64 s[42:43], s3, v26
	v_mov_b32_e32 v42, v1
	s_and_saveexec_b64 s[44:45], s[42:43]
	s_cbranch_execz .LBB517_43
; %bb.42:
	v_lshlrev_b32_e32 v42, 2, v26
	v_mov_b32_e32 v43, 0
	v_lshl_add_u64 v[42:43], s[70:71], 0, v[42:43]
	flat_load_dword v42, v[42:43]
.LBB517_43:
	s_or_b64 exec, exec, s[44:45]
	v_or_b32_e32 v27, 0x1500, v0
	v_cmp_gt_u32_e64 s[44:45], s3, v27
	v_mov_b32_e32 v43, v1
	s_and_saveexec_b64 s[46:47], s[44:45]
	s_cbranch_execz .LBB517_45
; %bb.44:
	v_lshlrev_b32_e32 v44, 2, v27
	v_mov_b32_e32 v45, 0
	v_lshl_add_u64 v[44:45], s[70:71], 0, v[44:45]
	flat_load_dword v43, v[44:45]
.LBB517_45:
	s_or_b64 exec, exec, s[46:47]
	v_or_b32_e32 v28, 0x1600, v0
	v_cmp_gt_u32_e64 s[46:47], s3, v28
	s_and_saveexec_b64 s[50:51], s[46:47]
	s_cbranch_execz .LBB517_47
; %bb.46:
	v_lshlrev_b32_e32 v44, 2, v28
	v_mov_b32_e32 v45, 0
	v_lshl_add_u64 v[44:45], s[70:71], 0, v[44:45]
	flat_load_dword v1, v[44:45]
.LBB517_47:
	s_or_b64 exec, exec, s[50:51]
	v_lshlrev_b32_e32 v2, 2, v0
	s_waitcnt vmcnt(0) lgkmcnt(0)
	ds_write2st64_b32 v2, v3, v4 offset1:4
	ds_write2st64_b32 v2, v5, v6 offset0:8 offset1:12
	ds_write2st64_b32 v2, v7, v8 offset0:16 offset1:20
	;; [unrolled: 1-line block ×10, first 2 shown]
	ds_write_b32 v2, v1 offset:22528
	v_mov_b64_e32 v[4:5], s[70:71]
	s_waitcnt lgkmcnt(0)
	s_barrier
	flat_load_dword v1, v[4:5]
	s_movk_i32 s50, 0x58
	v_mad_u32_u24 v70, v0, s50, v2
	s_movk_i32 s50, 0xffa8
	v_mad_i32_i24 v3, v0, s50, v70
	s_movk_i32 s50, 0xff
	v_cmp_ne_u32_e64 s[50:51], s50, v0
	ds_read_b32 v72, v70
	ds_read2_b32 v[68:69], v70 offset0:1 offset1:2
	ds_read2_b32 v[66:67], v70 offset0:3 offset1:4
	;; [unrolled: 1-line block ×11, first 2 shown]
	s_waitcnt lgkmcnt(0)
	ds_write_b32 v3, v72 offset:24576
	s_waitcnt lgkmcnt(0)
	s_barrier
	s_and_saveexec_b64 s[60:61], s[50:51]
	s_cbranch_execz .LBB517_49
; %bb.48:
	s_waitcnt vmcnt(0)
	ds_read_b32 v1, v2 offset:24580
.LBB517_49:
	s_or_b64 exec, exec, s[60:61]
	v_mov_b32_e32 v3, 0
	s_waitcnt lgkmcnt(0)
	s_barrier
	s_waitcnt lgkmcnt(0)
                                        ; implicit-def: $vgpr29
	s_and_saveexec_b64 s[50:51], vcc
	s_cbranch_execz .LBB517_72
; %bb.50:
	v_lshl_add_u64 v[30:31], s[68:69], 0, v[2:3]
	flat_load_dword v29, v[30:31]
	s_or_b64 exec, exec, s[50:51]
                                        ; implicit-def: $vgpr30
	s_and_saveexec_b64 s[50:51], s[48:49]
	s_cbranch_execnz .LBB517_73
.LBB517_51:
	s_or_b64 exec, exec, s[50:51]
                                        ; implicit-def: $vgpr31
	s_and_saveexec_b64 s[48:49], s[4:5]
	s_cbranch_execz .LBB517_74
.LBB517_52:
	v_mov_b32_e32 v3, 0
	v_lshl_add_u64 v[32:33], s[68:69], 0, v[2:3]
	flat_load_dword v31, v[32:33] offset:2048
	s_or_b64 exec, exec, s[48:49]
                                        ; implicit-def: $vgpr3
	s_and_saveexec_b64 s[4:5], s[6:7]
	s_cbranch_execnz .LBB517_75
.LBB517_53:
	s_or_b64 exec, exec, s[4:5]
                                        ; implicit-def: $vgpr32
	s_and_saveexec_b64 s[4:5], s[8:9]
	s_cbranch_execz .LBB517_76
.LBB517_54:
	v_lshlrev_b32_e32 v32, 2, v10
	v_mov_b32_e32 v33, 0
	v_lshl_add_u64 v[32:33], s[68:69], 0, v[32:33]
	flat_load_dword v32, v[32:33]
	s_or_b64 exec, exec, s[4:5]
                                        ; implicit-def: $vgpr10
	s_and_saveexec_b64 s[4:5], s[10:11]
	s_cbranch_execnz .LBB517_77
.LBB517_55:
	s_or_b64 exec, exec, s[4:5]
                                        ; implicit-def: $vgpr11
	s_and_saveexec_b64 s[4:5], s[12:13]
	s_cbranch_execz .LBB517_78
.LBB517_56:
	v_lshlrev_b32_e32 v34, 2, v12
	v_mov_b32_e32 v35, 0
	v_lshl_add_u64 v[34:35], s[68:69], 0, v[34:35]
	flat_load_dword v11, v[34:35]
	s_or_b64 exec, exec, s[4:5]
                                        ; implicit-def: $vgpr12
	s_and_saveexec_b64 s[4:5], s[14:15]
	s_cbranch_execnz .LBB517_79
.LBB517_57:
	s_or_b64 exec, exec, s[4:5]
                                        ; implicit-def: $vgpr13
	s_and_saveexec_b64 s[4:5], s[16:17]
	s_cbranch_execz .LBB517_80
.LBB517_58:
	v_lshlrev_b32_e32 v34, 2, v14
	v_mov_b32_e32 v35, 0
	v_lshl_add_u64 v[34:35], s[68:69], 0, v[34:35]
	flat_load_dword v13, v[34:35]
	s_or_b64 exec, exec, s[4:5]
                                        ; implicit-def: $vgpr14
	s_and_saveexec_b64 s[4:5], s[18:19]
	s_cbranch_execnz .LBB517_81
.LBB517_59:
	s_or_b64 exec, exec, s[4:5]
                                        ; implicit-def: $vgpr15
	s_and_saveexec_b64 s[4:5], s[20:21]
	s_cbranch_execz .LBB517_82
.LBB517_60:
	v_lshlrev_b32_e32 v34, 2, v16
	v_mov_b32_e32 v35, 0
	v_lshl_add_u64 v[34:35], s[68:69], 0, v[34:35]
	flat_load_dword v15, v[34:35]
	s_or_b64 exec, exec, s[4:5]
                                        ; implicit-def: $vgpr16
	s_and_saveexec_b64 s[4:5], s[22:23]
	s_cbranch_execnz .LBB517_83
.LBB517_61:
	s_or_b64 exec, exec, s[4:5]
                                        ; implicit-def: $vgpr17
	s_and_saveexec_b64 s[4:5], s[24:25]
	s_cbranch_execz .LBB517_84
.LBB517_62:
	v_lshlrev_b32_e32 v34, 2, v18
	v_mov_b32_e32 v35, 0
	v_lshl_add_u64 v[34:35], s[68:69], 0, v[34:35]
	flat_load_dword v17, v[34:35]
	s_or_b64 exec, exec, s[4:5]
                                        ; implicit-def: $vgpr18
	s_and_saveexec_b64 s[4:5], s[26:27]
	s_cbranch_execnz .LBB517_85
.LBB517_63:
	s_or_b64 exec, exec, s[4:5]
                                        ; implicit-def: $vgpr19
	s_and_saveexec_b64 s[4:5], s[28:29]
	s_cbranch_execz .LBB517_86
.LBB517_64:
	v_lshlrev_b32_e32 v34, 2, v20
	v_mov_b32_e32 v35, 0
	v_lshl_add_u64 v[34:35], s[68:69], 0, v[34:35]
	flat_load_dword v19, v[34:35]
	s_or_b64 exec, exec, s[4:5]
                                        ; implicit-def: $vgpr20
	s_and_saveexec_b64 s[4:5], s[30:31]
	s_cbranch_execnz .LBB517_87
.LBB517_65:
	s_or_b64 exec, exec, s[4:5]
                                        ; implicit-def: $vgpr21
	s_and_saveexec_b64 s[4:5], s[34:35]
	s_cbranch_execz .LBB517_88
.LBB517_66:
	v_lshlrev_b32_e32 v34, 2, v22
	v_mov_b32_e32 v35, 0
	v_lshl_add_u64 v[34:35], s[68:69], 0, v[34:35]
	flat_load_dword v21, v[34:35]
	s_or_b64 exec, exec, s[4:5]
                                        ; implicit-def: $vgpr22
	s_and_saveexec_b64 s[4:5], s[36:37]
	s_cbranch_execnz .LBB517_89
.LBB517_67:
	s_or_b64 exec, exec, s[4:5]
                                        ; implicit-def: $vgpr23
	s_and_saveexec_b64 s[4:5], s[38:39]
	s_cbranch_execz .LBB517_90
.LBB517_68:
	v_lshlrev_b32_e32 v34, 2, v24
	v_mov_b32_e32 v35, 0
	v_lshl_add_u64 v[34:35], s[68:69], 0, v[34:35]
	flat_load_dword v23, v[34:35]
	s_or_b64 exec, exec, s[4:5]
                                        ; implicit-def: $vgpr24
	s_and_saveexec_b64 s[4:5], s[40:41]
	s_cbranch_execnz .LBB517_91
.LBB517_69:
	s_or_b64 exec, exec, s[4:5]
                                        ; implicit-def: $vgpr25
	s_and_saveexec_b64 s[4:5], s[42:43]
	s_cbranch_execz .LBB517_92
.LBB517_70:
	v_lshlrev_b32_e32 v34, 2, v26
	v_mov_b32_e32 v35, 0
	v_lshl_add_u64 v[34:35], s[68:69], 0, v[34:35]
	flat_load_dword v25, v[34:35]
	s_or_b64 exec, exec, s[4:5]
                                        ; implicit-def: $vgpr26
	s_and_saveexec_b64 s[4:5], s[44:45]
	s_cbranch_execz .LBB517_94
	s_branch .LBB517_93
.LBB517_71:
	s_mov_b64 s[10:11], 0
                                        ; implicit-def: $sgpr8_sgpr9
                                        ; implicit-def: $vgpr2
                                        ; implicit-def: $vgpr10_vgpr11
                                        ; implicit-def: $vgpr12_vgpr13
                                        ; implicit-def: $vgpr14_vgpr15
                                        ; implicit-def: $vgpr16_vgpr17
                                        ; implicit-def: $vgpr18_vgpr19
                                        ; implicit-def: $vgpr20_vgpr21
                                        ; implicit-def: $vgpr22_vgpr23
                                        ; implicit-def: $vgpr24_vgpr25
                                        ; implicit-def: $vgpr26_vgpr27
                                        ; implicit-def: $vgpr28_vgpr29
                                        ; implicit-def: $vgpr30_vgpr31
                                        ; implicit-def: $vgpr32_vgpr33
                                        ; implicit-def: $vgpr34_vgpr35
                                        ; implicit-def: $vgpr36_vgpr37
                                        ; implicit-def: $vgpr38_vgpr39
                                        ; implicit-def: $vgpr40_vgpr41
                                        ; implicit-def: $vgpr42_vgpr43
                                        ; implicit-def: $vgpr44_vgpr45
                                        ; implicit-def: $vgpr46_vgpr47
                                        ; implicit-def: $vgpr48_vgpr49
                                        ; implicit-def: $vgpr50_vgpr51
                                        ; implicit-def: $vgpr52_vgpr53
                                        ; implicit-def: $sgpr6_sgpr7
	s_and_b64 vcc, exec, s[4:5]
	v_lshlrev_b32_e32 v54, 2, v0
	s_cbranch_vccz .LBB517_148
	s_branch .LBB517_143
.LBB517_72:
	s_or_b64 exec, exec, s[50:51]
                                        ; implicit-def: $vgpr30
	s_and_saveexec_b64 s[50:51], s[48:49]
	s_cbranch_execz .LBB517_51
.LBB517_73:
	v_mov_b32_e32 v3, 0
	v_lshl_add_u64 v[30:31], s[68:69], 0, v[2:3]
	flat_load_dword v30, v[30:31] offset:1024
	s_or_b64 exec, exec, s[50:51]
                                        ; implicit-def: $vgpr31
	s_and_saveexec_b64 s[48:49], s[4:5]
	s_cbranch_execnz .LBB517_52
.LBB517_74:
	s_or_b64 exec, exec, s[48:49]
                                        ; implicit-def: $vgpr3
	s_and_saveexec_b64 s[4:5], s[6:7]
	s_cbranch_execz .LBB517_53
.LBB517_75:
	v_mov_b32_e32 v3, 0
	v_lshl_add_u64 v[32:33], s[68:69], 0, v[2:3]
	flat_load_dword v3, v[32:33] offset:3072
	s_or_b64 exec, exec, s[4:5]
                                        ; implicit-def: $vgpr32
	s_and_saveexec_b64 s[4:5], s[8:9]
	s_cbranch_execnz .LBB517_54
.LBB517_76:
	s_or_b64 exec, exec, s[4:5]
                                        ; implicit-def: $vgpr10
	s_and_saveexec_b64 s[4:5], s[10:11]
	s_cbranch_execz .LBB517_55
.LBB517_77:
	v_lshlrev_b32_e32 v10, 2, v11
	v_mov_b32_e32 v11, 0
	v_lshl_add_u64 v[10:11], s[68:69], 0, v[10:11]
	flat_load_dword v10, v[10:11]
	s_or_b64 exec, exec, s[4:5]
                                        ; implicit-def: $vgpr11
	s_and_saveexec_b64 s[4:5], s[12:13]
	s_cbranch_execnz .LBB517_56
.LBB517_78:
	s_or_b64 exec, exec, s[4:5]
                                        ; implicit-def: $vgpr12
	s_and_saveexec_b64 s[4:5], s[14:15]
	s_cbranch_execz .LBB517_57
.LBB517_79:
	v_lshlrev_b32_e32 v12, 2, v13
	v_mov_b32_e32 v13, 0
	v_lshl_add_u64 v[12:13], s[68:69], 0, v[12:13]
	flat_load_dword v12, v[12:13]
	s_or_b64 exec, exec, s[4:5]
                                        ; implicit-def: $vgpr13
	s_and_saveexec_b64 s[4:5], s[16:17]
	s_cbranch_execnz .LBB517_58
.LBB517_80:
	s_or_b64 exec, exec, s[4:5]
                                        ; implicit-def: $vgpr14
	s_and_saveexec_b64 s[4:5], s[18:19]
	s_cbranch_execz .LBB517_59
.LBB517_81:
	v_lshlrev_b32_e32 v14, 2, v15
	v_mov_b32_e32 v15, 0
	v_lshl_add_u64 v[14:15], s[68:69], 0, v[14:15]
	flat_load_dword v14, v[14:15]
	s_or_b64 exec, exec, s[4:5]
                                        ; implicit-def: $vgpr15
	s_and_saveexec_b64 s[4:5], s[20:21]
	s_cbranch_execnz .LBB517_60
.LBB517_82:
	s_or_b64 exec, exec, s[4:5]
                                        ; implicit-def: $vgpr16
	s_and_saveexec_b64 s[4:5], s[22:23]
	s_cbranch_execz .LBB517_61
.LBB517_83:
	v_lshlrev_b32_e32 v16, 2, v17
	v_mov_b32_e32 v17, 0
	v_lshl_add_u64 v[16:17], s[68:69], 0, v[16:17]
	flat_load_dword v16, v[16:17]
	s_or_b64 exec, exec, s[4:5]
                                        ; implicit-def: $vgpr17
	s_and_saveexec_b64 s[4:5], s[24:25]
	s_cbranch_execnz .LBB517_62
.LBB517_84:
	s_or_b64 exec, exec, s[4:5]
                                        ; implicit-def: $vgpr18
	s_and_saveexec_b64 s[4:5], s[26:27]
	s_cbranch_execz .LBB517_63
.LBB517_85:
	v_lshlrev_b32_e32 v18, 2, v19
	v_mov_b32_e32 v19, 0
	v_lshl_add_u64 v[18:19], s[68:69], 0, v[18:19]
	flat_load_dword v18, v[18:19]
	s_or_b64 exec, exec, s[4:5]
                                        ; implicit-def: $vgpr19
	s_and_saveexec_b64 s[4:5], s[28:29]
	s_cbranch_execnz .LBB517_64
.LBB517_86:
	s_or_b64 exec, exec, s[4:5]
                                        ; implicit-def: $vgpr20
	s_and_saveexec_b64 s[4:5], s[30:31]
	s_cbranch_execz .LBB517_65
.LBB517_87:
	v_lshlrev_b32_e32 v20, 2, v21
	v_mov_b32_e32 v21, 0
	v_lshl_add_u64 v[20:21], s[68:69], 0, v[20:21]
	flat_load_dword v20, v[20:21]
	s_or_b64 exec, exec, s[4:5]
                                        ; implicit-def: $vgpr21
	s_and_saveexec_b64 s[4:5], s[34:35]
	s_cbranch_execnz .LBB517_66
.LBB517_88:
	s_or_b64 exec, exec, s[4:5]
                                        ; implicit-def: $vgpr22
	s_and_saveexec_b64 s[4:5], s[36:37]
	s_cbranch_execz .LBB517_67
.LBB517_89:
	v_lshlrev_b32_e32 v22, 2, v23
	v_mov_b32_e32 v23, 0
	v_lshl_add_u64 v[22:23], s[68:69], 0, v[22:23]
	flat_load_dword v22, v[22:23]
	s_or_b64 exec, exec, s[4:5]
                                        ; implicit-def: $vgpr23
	s_and_saveexec_b64 s[4:5], s[38:39]
	s_cbranch_execnz .LBB517_68
.LBB517_90:
	s_or_b64 exec, exec, s[4:5]
                                        ; implicit-def: $vgpr24
	s_and_saveexec_b64 s[4:5], s[40:41]
	s_cbranch_execz .LBB517_69
.LBB517_91:
	v_lshlrev_b32_e32 v24, 2, v25
	v_mov_b32_e32 v25, 0
	v_lshl_add_u64 v[24:25], s[68:69], 0, v[24:25]
	flat_load_dword v24, v[24:25]
	s_or_b64 exec, exec, s[4:5]
                                        ; implicit-def: $vgpr25
	s_and_saveexec_b64 s[4:5], s[42:43]
	s_cbranch_execnz .LBB517_70
.LBB517_92:
	s_or_b64 exec, exec, s[4:5]
                                        ; implicit-def: $vgpr26
	s_and_saveexec_b64 s[4:5], s[44:45]
	s_cbranch_execz .LBB517_94
.LBB517_93:
	v_lshlrev_b32_e32 v26, 2, v27
	v_mov_b32_e32 v27, 0
	v_lshl_add_u64 v[26:27], s[68:69], 0, v[26:27]
	flat_load_dword v26, v[26:27]
.LBB517_94:
	s_or_b64 exec, exec, s[4:5]
	v_mul_u32_u24_e32 v71, 23, v0
                                        ; implicit-def: $vgpr27
	s_and_saveexec_b64 s[4:5], s[46:47]
	s_cbranch_execz .LBB517_96
; %bb.95:
	v_lshlrev_b32_e32 v34, 2, v28
	v_mov_b32_e32 v35, 0
	v_lshl_add_u64 v[34:35], s[68:69], 0, v[34:35]
	flat_load_dword v27, v[34:35]
.LBB517_96:
	s_or_b64 exec, exec, s[4:5]
	s_waitcnt vmcnt(0) lgkmcnt(0)
	ds_write2st64_b32 v2, v29, v30 offset1:4
	ds_write2st64_b32 v2, v31, v3 offset0:8 offset1:12
	ds_write2st64_b32 v2, v32, v10 offset0:16 offset1:20
	ds_write2st64_b32 v2, v11, v12 offset0:24 offset1:28
	ds_write2st64_b32 v2, v13, v14 offset0:32 offset1:36
	ds_write2st64_b32 v2, v15, v16 offset0:40 offset1:44
	ds_write2st64_b32 v2, v17, v18 offset0:48 offset1:52
	ds_write2st64_b32 v2, v19, v20 offset0:56 offset1:60
	ds_write2st64_b32 v2, v21, v22 offset0:64 offset1:68
	ds_write2st64_b32 v2, v23, v24 offset0:72 offset1:76
	ds_write2st64_b32 v2, v25, v26 offset0:80 offset1:84
	ds_write_b32 v2, v27 offset:22528
	v_mov_b64_e32 v[10:11], 0
	v_cmp_gt_u32_e32 vcc, s3, v71
	s_mov_b64 s[10:11], 0
	s_mov_b64 s[4:5], 0
	v_mov_b64_e32 v[12:13], v[10:11]
	v_mov_b64_e32 v[14:15], v[10:11]
	;; [unrolled: 1-line block ×21, first 2 shown]
	s_waitcnt lgkmcnt(0)
	s_barrier
	s_waitcnt lgkmcnt(0)
                                        ; implicit-def: $sgpr8_sgpr9
                                        ; implicit-def: $vgpr2
	s_and_saveexec_b64 s[6:7], vcc
	s_cbranch_execz .LBB517_142
; %bb.97:
	ds_read_b32 v2, v70
	v_mov_b32_e32 v10, s76
	v_cmp_eq_u32_e32 vcc, v72, v68
	v_add_u32_e32 v3, 1, v71
	v_mov_b64_e32 v[12:13], 0
	s_waitcnt lgkmcnt(0)
	v_cndmask_b32_e32 v10, v10, v2, vcc
	v_cmp_ne_u32_e32 vcc, v72, v68
	s_mov_b64 s[12:13], 0
	v_mov_b64_e32 v[14:15], v[12:13]
	v_cndmask_b32_e64 v11, 0, 1, vcc
	v_cmp_gt_u32_e32 vcc, s3, v3
	v_mov_b64_e32 v[16:17], v[12:13]
	v_mov_b64_e32 v[18:19], v[12:13]
	;; [unrolled: 1-line block ×19, first 2 shown]
                                        ; implicit-def: $sgpr14_sgpr15
                                        ; implicit-def: $vgpr2
	s_and_saveexec_b64 s[8:9], vcc
	s_cbranch_execz .LBB517_141
; %bb.98:
	ds_read2_b32 v[2:3], v70 offset0:1 offset1:2
	v_mov_b32_e32 v12, s76
	v_cmp_eq_u32_e32 vcc, v68, v69
	v_add_u32_e32 v14, 2, v71
	s_mov_b64 s[14:15], 0
	s_waitcnt lgkmcnt(0)
	v_cndmask_b32_e32 v12, v12, v2, vcc
	v_cmp_ne_u32_e32 vcc, v68, v69
                                        ; implicit-def: $sgpr16_sgpr17
                                        ; implicit-def: $vgpr2
	s_nop 1
	v_cndmask_b32_e64 v13, 0, 1, vcc
	v_cmp_gt_u32_e32 vcc, s3, v14
	v_mov_b64_e32 v[14:15], 0
	v_mov_b64_e32 v[16:17], v[14:15]
	v_mov_b64_e32 v[18:19], v[14:15]
	v_mov_b64_e32 v[20:21], v[14:15]
	v_mov_b64_e32 v[22:23], v[14:15]
	v_mov_b64_e32 v[24:25], v[14:15]
	v_mov_b64_e32 v[26:27], v[14:15]
	v_mov_b64_e32 v[28:29], v[14:15]
	v_mov_b64_e32 v[30:31], v[14:15]
	v_mov_b64_e32 v[32:33], v[14:15]
	v_mov_b64_e32 v[34:35], v[14:15]
	v_mov_b64_e32 v[36:37], v[14:15]
	v_mov_b64_e32 v[38:39], v[14:15]
	v_mov_b64_e32 v[40:41], v[14:15]
	v_mov_b64_e32 v[42:43], v[14:15]
	v_mov_b64_e32 v[44:45], v[14:15]
	v_mov_b64_e32 v[46:47], v[14:15]
	v_mov_b64_e32 v[48:49], v[14:15]
	v_mov_b64_e32 v[50:51], v[14:15]
	v_mov_b64_e32 v[52:53], v[14:15]
	s_and_saveexec_b64 s[10:11], vcc
	s_cbranch_execz .LBB517_140
; %bb.99:
	v_mov_b32_e32 v14, s76
	v_cmp_eq_u32_e32 vcc, v69, v66
	v_add_u32_e32 v2, 3, v71
	v_mov_b64_e32 v[16:17], 0
	v_cndmask_b32_e32 v14, v14, v3, vcc
	v_cmp_ne_u32_e32 vcc, v69, v66
	s_mov_b64 s[16:17], 0
	v_mov_b64_e32 v[18:19], v[16:17]
	v_cndmask_b32_e64 v15, 0, 1, vcc
	v_cmp_gt_u32_e32 vcc, s3, v2
	v_mov_b64_e32 v[20:21], v[16:17]
	v_mov_b64_e32 v[22:23], v[16:17]
	;; [unrolled: 1-line block ×17, first 2 shown]
                                        ; implicit-def: $sgpr18_sgpr19
                                        ; implicit-def: $vgpr2
	s_and_saveexec_b64 s[12:13], vcc
	s_cbranch_execz .LBB517_139
; %bb.100:
	ds_read2_b32 v[2:3], v70 offset0:3 offset1:4
	v_mov_b32_e32 v16, s76
	v_cmp_eq_u32_e32 vcc, v66, v67
	v_add_u32_e32 v18, 4, v71
	s_mov_b64 s[18:19], 0
	s_waitcnt lgkmcnt(0)
	v_cndmask_b32_e32 v16, v16, v2, vcc
	v_cmp_ne_u32_e32 vcc, v66, v67
                                        ; implicit-def: $sgpr20_sgpr21
                                        ; implicit-def: $vgpr2
	s_nop 1
	v_cndmask_b32_e64 v17, 0, 1, vcc
	v_cmp_gt_u32_e32 vcc, s3, v18
	v_mov_b64_e32 v[18:19], 0
	v_mov_b64_e32 v[20:21], v[18:19]
	;; [unrolled: 1-line block ×18, first 2 shown]
	s_and_saveexec_b64 s[14:15], vcc
	s_cbranch_execz .LBB517_138
; %bb.101:
	v_mov_b32_e32 v18, s76
	v_cmp_eq_u32_e32 vcc, v67, v64
	v_add_u32_e32 v2, 5, v71
	v_mov_b64_e32 v[20:21], 0
	v_cndmask_b32_e32 v18, v18, v3, vcc
	v_cmp_ne_u32_e32 vcc, v67, v64
	s_mov_b64 s[20:21], 0
	v_mov_b64_e32 v[22:23], v[20:21]
	v_cndmask_b32_e64 v19, 0, 1, vcc
	v_cmp_gt_u32_e32 vcc, s3, v2
	v_mov_b64_e32 v[24:25], v[20:21]
	v_mov_b64_e32 v[26:27], v[20:21]
	;; [unrolled: 1-line block ×15, first 2 shown]
                                        ; implicit-def: $sgpr22_sgpr23
                                        ; implicit-def: $vgpr2
	s_and_saveexec_b64 s[16:17], vcc
	s_cbranch_execz .LBB517_137
; %bb.102:
	ds_read2_b32 v[2:3], v70 offset0:5 offset1:6
	v_mov_b32_e32 v20, s76
	v_cmp_eq_u32_e32 vcc, v64, v65
	v_add_u32_e32 v22, 6, v71
	s_mov_b64 s[22:23], 0
	s_waitcnt lgkmcnt(0)
	v_cndmask_b32_e32 v20, v20, v2, vcc
	v_cmp_ne_u32_e32 vcc, v64, v65
                                        ; implicit-def: $sgpr24_sgpr25
                                        ; implicit-def: $vgpr2
	s_nop 1
	v_cndmask_b32_e64 v21, 0, 1, vcc
	v_cmp_gt_u32_e32 vcc, s3, v22
	v_mov_b64_e32 v[22:23], 0
	v_mov_b64_e32 v[24:25], v[22:23]
	;; [unrolled: 1-line block ×16, first 2 shown]
	s_and_saveexec_b64 s[18:19], vcc
	s_cbranch_execz .LBB517_136
; %bb.103:
	v_mov_b32_e32 v22, s76
	v_cmp_eq_u32_e32 vcc, v65, v62
	v_add_u32_e32 v2, 7, v71
	v_mov_b64_e32 v[24:25], 0
	v_cndmask_b32_e32 v22, v22, v3, vcc
	v_cmp_ne_u32_e32 vcc, v65, v62
	s_mov_b64 s[24:25], 0
	v_mov_b64_e32 v[26:27], v[24:25]
	v_cndmask_b32_e64 v23, 0, 1, vcc
	v_cmp_gt_u32_e32 vcc, s3, v2
	v_mov_b64_e32 v[28:29], v[24:25]
	v_mov_b64_e32 v[30:31], v[24:25]
	;; [unrolled: 1-line block ×13, first 2 shown]
                                        ; implicit-def: $sgpr26_sgpr27
                                        ; implicit-def: $vgpr2
	s_and_saveexec_b64 s[20:21], vcc
	s_cbranch_execz .LBB517_135
; %bb.104:
	ds_read2_b32 v[2:3], v70 offset0:7 offset1:8
	v_mov_b32_e32 v24, s76
	v_cmp_eq_u32_e32 vcc, v62, v63
	v_add_u32_e32 v26, 8, v71
	s_mov_b64 s[26:27], 0
	s_waitcnt lgkmcnt(0)
	v_cndmask_b32_e32 v24, v24, v2, vcc
	v_cmp_ne_u32_e32 vcc, v62, v63
                                        ; implicit-def: $sgpr28_sgpr29
                                        ; implicit-def: $vgpr2
	s_nop 1
	v_cndmask_b32_e64 v25, 0, 1, vcc
	v_cmp_gt_u32_e32 vcc, s3, v26
	v_mov_b64_e32 v[26:27], 0
	v_mov_b64_e32 v[28:29], v[26:27]
	v_mov_b64_e32 v[30:31], v[26:27]
	v_mov_b64_e32 v[32:33], v[26:27]
	v_mov_b64_e32 v[34:35], v[26:27]
	v_mov_b64_e32 v[36:37], v[26:27]
	v_mov_b64_e32 v[38:39], v[26:27]
	v_mov_b64_e32 v[40:41], v[26:27]
	v_mov_b64_e32 v[42:43], v[26:27]
	v_mov_b64_e32 v[44:45], v[26:27]
	v_mov_b64_e32 v[46:47], v[26:27]
	v_mov_b64_e32 v[48:49], v[26:27]
	v_mov_b64_e32 v[50:51], v[26:27]
	v_mov_b64_e32 v[52:53], v[26:27]
	s_and_saveexec_b64 s[22:23], vcc
	s_cbranch_execz .LBB517_134
; %bb.105:
	v_mov_b32_e32 v26, s76
	v_cmp_eq_u32_e32 vcc, v63, v60
	v_add_u32_e32 v2, 9, v71
	v_mov_b64_e32 v[28:29], 0
	v_cndmask_b32_e32 v26, v26, v3, vcc
	v_cmp_ne_u32_e32 vcc, v63, v60
	s_mov_b64 s[28:29], 0
	v_mov_b64_e32 v[30:31], v[28:29]
	v_cndmask_b32_e64 v27, 0, 1, vcc
	v_cmp_gt_u32_e32 vcc, s3, v2
	v_mov_b64_e32 v[32:33], v[28:29]
	v_mov_b64_e32 v[34:35], v[28:29]
	;; [unrolled: 1-line block ×11, first 2 shown]
                                        ; implicit-def: $sgpr30_sgpr31
                                        ; implicit-def: $vgpr2
	s_and_saveexec_b64 s[24:25], vcc
	s_cbranch_execz .LBB517_133
; %bb.106:
	ds_read2_b32 v[2:3], v70 offset0:9 offset1:10
	v_mov_b32_e32 v28, s76
	v_cmp_eq_u32_e32 vcc, v60, v61
	v_add_u32_e32 v30, 10, v71
	s_mov_b64 s[30:31], 0
	s_waitcnt lgkmcnt(0)
	v_cndmask_b32_e32 v28, v28, v2, vcc
	v_cmp_ne_u32_e32 vcc, v60, v61
                                        ; implicit-def: $sgpr34_sgpr35
                                        ; implicit-def: $vgpr2
	s_nop 1
	v_cndmask_b32_e64 v29, 0, 1, vcc
	v_cmp_gt_u32_e32 vcc, s3, v30
	v_mov_b64_e32 v[30:31], 0
	v_mov_b64_e32 v[32:33], v[30:31]
	;; [unrolled: 1-line block ×12, first 2 shown]
	s_and_saveexec_b64 s[26:27], vcc
	s_cbranch_execz .LBB517_132
; %bb.107:
	v_mov_b32_e32 v30, s76
	v_cmp_eq_u32_e32 vcc, v61, v58
	v_add_u32_e32 v2, 11, v71
	v_mov_b64_e32 v[32:33], 0
	v_cndmask_b32_e32 v30, v30, v3, vcc
	v_cmp_ne_u32_e32 vcc, v61, v58
	s_mov_b64 s[34:35], 0
	v_mov_b64_e32 v[34:35], v[32:33]
	v_cndmask_b32_e64 v31, 0, 1, vcc
	v_cmp_gt_u32_e32 vcc, s3, v2
	v_mov_b64_e32 v[36:37], v[32:33]
	v_mov_b64_e32 v[38:39], v[32:33]
	;; [unrolled: 1-line block ×9, first 2 shown]
                                        ; implicit-def: $sgpr36_sgpr37
                                        ; implicit-def: $vgpr2
	s_and_saveexec_b64 s[28:29], vcc
	s_cbranch_execz .LBB517_131
; %bb.108:
	ds_read2_b32 v[2:3], v70 offset0:11 offset1:12
	v_mov_b32_e32 v32, s76
	v_cmp_eq_u32_e32 vcc, v58, v59
	v_add_u32_e32 v34, 12, v71
	s_mov_b64 s[36:37], 0
	s_waitcnt lgkmcnt(0)
	v_cndmask_b32_e32 v32, v32, v2, vcc
	v_cmp_ne_u32_e32 vcc, v58, v59
                                        ; implicit-def: $sgpr38_sgpr39
                                        ; implicit-def: $vgpr2
	s_nop 1
	v_cndmask_b32_e64 v33, 0, 1, vcc
	v_cmp_gt_u32_e32 vcc, s3, v34
	v_mov_b64_e32 v[34:35], 0
	v_mov_b64_e32 v[36:37], v[34:35]
	;; [unrolled: 1-line block ×10, first 2 shown]
	s_and_saveexec_b64 s[30:31], vcc
	s_cbranch_execz .LBB517_130
; %bb.109:
	v_mov_b32_e32 v34, s76
	v_cmp_eq_u32_e32 vcc, v59, v56
	v_add_u32_e32 v2, 13, v71
	v_mov_b64_e32 v[36:37], 0
	v_cndmask_b32_e32 v34, v34, v3, vcc
	v_cmp_ne_u32_e32 vcc, v59, v56
	s_mov_b64 s[38:39], 0
	v_mov_b64_e32 v[38:39], v[36:37]
	v_cndmask_b32_e64 v35, 0, 1, vcc
	v_cmp_gt_u32_e32 vcc, s3, v2
	v_mov_b64_e32 v[40:41], v[36:37]
	v_mov_b64_e32 v[42:43], v[36:37]
	v_mov_b64_e32 v[44:45], v[36:37]
	v_mov_b64_e32 v[46:47], v[36:37]
	v_mov_b64_e32 v[48:49], v[36:37]
	v_mov_b64_e32 v[50:51], v[36:37]
	v_mov_b64_e32 v[52:53], v[36:37]
                                        ; implicit-def: $sgpr40_sgpr41
                                        ; implicit-def: $vgpr2
	s_and_saveexec_b64 s[34:35], vcc
	s_cbranch_execz .LBB517_129
; %bb.110:
	ds_read2_b32 v[2:3], v70 offset0:13 offset1:14
	v_mov_b32_e32 v36, s76
	v_cmp_eq_u32_e32 vcc, v56, v57
	v_add_u32_e32 v38, 14, v71
	s_mov_b64 s[40:41], 0
	s_waitcnt lgkmcnt(0)
	v_cndmask_b32_e32 v36, v36, v2, vcc
	v_cmp_ne_u32_e32 vcc, v56, v57
                                        ; implicit-def: $sgpr42_sgpr43
                                        ; implicit-def: $vgpr2
	s_nop 1
	v_cndmask_b32_e64 v37, 0, 1, vcc
	v_cmp_gt_u32_e32 vcc, s3, v38
	v_mov_b64_e32 v[38:39], 0
	v_mov_b64_e32 v[40:41], v[38:39]
	;; [unrolled: 1-line block ×8, first 2 shown]
	s_and_saveexec_b64 s[36:37], vcc
	s_cbranch_execz .LBB517_128
; %bb.111:
	v_mov_b32_e32 v38, s76
	v_cmp_eq_u32_e32 vcc, v57, v54
	v_add_u32_e32 v2, 15, v71
	v_mov_b64_e32 v[40:41], 0
	v_cndmask_b32_e32 v38, v38, v3, vcc
	v_cmp_ne_u32_e32 vcc, v57, v54
	s_mov_b64 s[42:43], 0
	v_mov_b64_e32 v[42:43], v[40:41]
	v_cndmask_b32_e64 v39, 0, 1, vcc
	v_cmp_gt_u32_e32 vcc, s3, v2
	v_mov_b64_e32 v[44:45], v[40:41]
	v_mov_b64_e32 v[46:47], v[40:41]
	;; [unrolled: 1-line block ×5, first 2 shown]
                                        ; implicit-def: $sgpr44_sgpr45
                                        ; implicit-def: $vgpr2
	s_and_saveexec_b64 s[38:39], vcc
	s_cbranch_execz .LBB517_127
; %bb.112:
	ds_read2_b32 v[2:3], v70 offset0:15 offset1:16
	v_mov_b32_e32 v40, s76
	v_cmp_eq_u32_e32 vcc, v54, v55
	v_add_u32_e32 v42, 16, v71
	s_mov_b64 s[44:45], 0
	s_waitcnt lgkmcnt(0)
	v_cndmask_b32_e32 v40, v40, v2, vcc
	v_cmp_ne_u32_e32 vcc, v54, v55
                                        ; implicit-def: $sgpr46_sgpr47
                                        ; implicit-def: $vgpr2
	s_nop 1
	v_cndmask_b32_e64 v41, 0, 1, vcc
	v_cmp_gt_u32_e32 vcc, s3, v42
	v_mov_b64_e32 v[42:43], 0
	v_mov_b64_e32 v[44:45], v[42:43]
	;; [unrolled: 1-line block ×6, first 2 shown]
	s_and_saveexec_b64 s[40:41], vcc
	s_cbranch_execz .LBB517_126
; %bb.113:
	v_mov_b32_e32 v42, s76
	v_cmp_eq_u32_e32 vcc, v55, v8
	v_add_u32_e32 v2, 17, v71
	v_mov_b64_e32 v[44:45], 0
	v_cndmask_b32_e32 v42, v42, v3, vcc
	v_cmp_ne_u32_e32 vcc, v55, v8
	s_mov_b64 s[46:47], 0
	v_mov_b64_e32 v[46:47], v[44:45]
	v_cndmask_b32_e64 v43, 0, 1, vcc
	v_cmp_gt_u32_e32 vcc, s3, v2
	v_mov_b64_e32 v[48:49], v[44:45]
	v_mov_b64_e32 v[50:51], v[44:45]
	;; [unrolled: 1-line block ×3, first 2 shown]
                                        ; implicit-def: $sgpr48_sgpr49
                                        ; implicit-def: $vgpr2
	s_and_saveexec_b64 s[42:43], vcc
	s_cbranch_execz .LBB517_125
; %bb.114:
	ds_read2_b32 v[2:3], v70 offset0:17 offset1:18
	v_mov_b32_e32 v44, s76
	v_cmp_eq_u32_e32 vcc, v8, v9
	v_add_u32_e32 v46, 18, v71
	s_mov_b64 s[48:49], 0
	s_waitcnt lgkmcnt(0)
	v_cndmask_b32_e32 v44, v44, v2, vcc
	v_cmp_ne_u32_e32 vcc, v8, v9
                                        ; implicit-def: $sgpr50_sgpr51
                                        ; implicit-def: $vgpr2
	s_nop 1
	v_cndmask_b32_e64 v45, 0, 1, vcc
	v_cmp_gt_u32_e32 vcc, s3, v46
	v_mov_b64_e32 v[46:47], 0
	v_mov_b64_e32 v[48:49], v[46:47]
	;; [unrolled: 1-line block ×4, first 2 shown]
	s_and_saveexec_b64 s[44:45], vcc
	s_cbranch_execz .LBB517_124
; %bb.115:
	v_mov_b32_e32 v8, s76
	v_cmp_eq_u32_e32 vcc, v9, v6
	v_add_u32_e32 v2, 19, v71
	v_mov_b64_e32 v[48:49], 0
	v_cndmask_b32_e32 v46, v8, v3, vcc
	v_cmp_ne_u32_e32 vcc, v9, v6
	s_mov_b64 s[50:51], 0
	v_mov_b64_e32 v[50:51], v[48:49]
	v_cndmask_b32_e64 v47, 0, 1, vcc
	v_cmp_gt_u32_e32 vcc, s3, v2
	v_mov_b64_e32 v[52:53], v[48:49]
                                        ; implicit-def: $sgpr60_sgpr61
                                        ; implicit-def: $vgpr2
	s_and_saveexec_b64 s[46:47], vcc
	s_cbranch_execz .LBB517_123
; %bb.116:
	ds_read2_b32 v[2:3], v70 offset0:19 offset1:20
	v_mov_b32_e32 v9, s76
	v_cmp_eq_u32_e32 vcc, v6, v7
	v_add_u32_e32 v8, 20, v71
	v_mov_b64_e32 v[50:51], 0
	s_waitcnt lgkmcnt(0)
	v_cndmask_b32_e32 v48, v9, v2, vcc
	v_cmp_ne_u32_e32 vcc, v6, v7
	s_mov_b64 s[60:61], 0
	v_mov_b64_e32 v[52:53], v[50:51]
	v_cndmask_b32_e64 v49, 0, 1, vcc
	v_cmp_gt_u32_e32 vcc, s3, v8
                                        ; implicit-def: $sgpr72_sgpr73
                                        ; implicit-def: $vgpr2
	s_and_saveexec_b64 s[48:49], vcc
	s_cbranch_execz .LBB517_122
; %bb.117:
	v_mov_b32_e32 v6, s76
	v_cmp_eq_u32_e32 vcc, v7, v4
	v_add_u32_e32 v2, 21, v71
	v_mov_b64_e32 v[52:53], 0
	v_cndmask_b32_e32 v50, v6, v3, vcc
	v_cmp_ne_u32_e32 vcc, v7, v4
                                        ; implicit-def: $sgpr72_sgpr73
	s_nop 1
	v_cndmask_b32_e64 v51, 0, 1, vcc
	v_cmp_gt_u32_e32 vcc, s3, v2
                                        ; implicit-def: $vgpr2
	s_and_saveexec_b64 s[50:51], vcc
	s_cbranch_execz .LBB517_121
; %bb.118:
	ds_read2_b32 v[2:3], v70 offset0:21 offset1:22
	v_mov_b32_e32 v7, s76
	v_cmp_eq_u32_e32 vcc, v4, v5
	v_add_u32_e32 v6, 22, v71
                                        ; implicit-def: $sgpr72_sgpr73
	s_waitcnt lgkmcnt(0)
	v_cndmask_b32_e32 v52, v7, v2, vcc
	v_cmp_ne_u32_e32 vcc, v4, v5
                                        ; implicit-def: $vgpr2
	s_nop 1
	v_cndmask_b32_e64 v53, 0, 1, vcc
	v_cmp_gt_u32_e32 vcc, s3, v6
	s_and_saveexec_b64 s[74:75], vcc
	s_xor_b64 s[74:75], exec, s[74:75]
; %bb.119:
	v_mov_b32_e32 v2, s76
	v_cmp_ne_u32_e32 vcc, v5, v1
	s_mov_b64 s[60:61], exec
	s_and_b64 s[72:73], vcc, exec
	v_cndmask_b32_e32 v2, v3, v2, vcc
; %bb.120:
	s_or_b64 exec, exec, s[74:75]
	s_and_b64 s[72:73], s[72:73], exec
	s_and_b64 s[60:61], s[60:61], exec
.LBB517_121:
	s_or_b64 exec, exec, s[50:51]
	s_and_b64 s[72:73], s[72:73], exec
	s_and_b64 s[50:51], s[60:61], exec
.LBB517_122:
	s_or_b64 exec, exec, s[48:49]
	s_and_b64 s[60:61], s[72:73], exec
	s_and_b64 s[48:49], s[50:51], exec
.LBB517_123:
	s_or_b64 exec, exec, s[46:47]
	s_and_b64 s[50:51], s[60:61], exec
	s_and_b64 s[46:47], s[48:49], exec
.LBB517_124:
	s_or_b64 exec, exec, s[44:45]
	s_and_b64 s[48:49], s[50:51], exec
	s_and_b64 s[44:45], s[46:47], exec
.LBB517_125:
	s_or_b64 exec, exec, s[42:43]
	s_and_b64 s[46:47], s[48:49], exec
	s_and_b64 s[42:43], s[44:45], exec
.LBB517_126:
	s_or_b64 exec, exec, s[40:41]
	s_and_b64 s[44:45], s[46:47], exec
	s_and_b64 s[40:41], s[42:43], exec
.LBB517_127:
	s_or_b64 exec, exec, s[38:39]
	s_and_b64 s[42:43], s[44:45], exec
	s_and_b64 s[38:39], s[40:41], exec
.LBB517_128:
	s_or_b64 exec, exec, s[36:37]
	s_and_b64 s[40:41], s[42:43], exec
	s_and_b64 s[36:37], s[38:39], exec
.LBB517_129:
	s_or_b64 exec, exec, s[34:35]
	s_and_b64 s[38:39], s[40:41], exec
	s_and_b64 s[34:35], s[36:37], exec
.LBB517_130:
	s_or_b64 exec, exec, s[30:31]
	s_and_b64 s[36:37], s[38:39], exec
	s_and_b64 s[30:31], s[34:35], exec
.LBB517_131:
	s_or_b64 exec, exec, s[28:29]
	s_and_b64 s[34:35], s[36:37], exec
	s_and_b64 s[28:29], s[30:31], exec
.LBB517_132:
	s_or_b64 exec, exec, s[26:27]
	s_and_b64 s[30:31], s[34:35], exec
	s_and_b64 s[26:27], s[28:29], exec
.LBB517_133:
	s_or_b64 exec, exec, s[24:25]
	s_and_b64 s[28:29], s[30:31], exec
	s_and_b64 s[24:25], s[26:27], exec
.LBB517_134:
	s_or_b64 exec, exec, s[22:23]
	s_and_b64 s[26:27], s[28:29], exec
	s_and_b64 s[22:23], s[24:25], exec
.LBB517_135:
	s_or_b64 exec, exec, s[20:21]
	s_and_b64 s[24:25], s[26:27], exec
	s_and_b64 s[20:21], s[22:23], exec
.LBB517_136:
	s_or_b64 exec, exec, s[18:19]
	s_and_b64 s[22:23], s[24:25], exec
	s_and_b64 s[18:19], s[20:21], exec
.LBB517_137:
	s_or_b64 exec, exec, s[16:17]
	s_and_b64 s[20:21], s[22:23], exec
	s_and_b64 s[16:17], s[18:19], exec
.LBB517_138:
	s_or_b64 exec, exec, s[14:15]
	s_and_b64 s[18:19], s[20:21], exec
	s_and_b64 s[14:15], s[16:17], exec
.LBB517_139:
	s_or_b64 exec, exec, s[12:13]
	s_and_b64 s[16:17], s[18:19], exec
	s_and_b64 s[12:13], s[14:15], exec
.LBB517_140:
	s_or_b64 exec, exec, s[10:11]
	s_and_b64 s[14:15], s[16:17], exec
	s_and_b64 s[10:11], s[12:13], exec
.LBB517_141:
	s_or_b64 exec, exec, s[8:9]
	s_and_b64 s[8:9], s[14:15], exec
	s_and_b64 s[10:11], s[10:11], exec
.LBB517_142:
	s_or_b64 exec, exec, s[6:7]
	s_mov_b64 s[6:7], 0
	s_and_b64 vcc, exec, s[4:5]
	v_lshlrev_b32_e32 v54, 2, v0
	s_cbranch_vccz .LBB517_148
.LBB517_143:
	v_mov_b32_e32 v55, 0
	v_lshl_add_u64 v[2:3], s[70:71], 0, v[54:55]
	v_add_co_u32_e32 v4, vcc, 0x1000, v2
	s_movk_i32 s6, 0x58
	s_nop 0
	v_addc_co_u32_e32 v5, vcc, 0, v3, vcc
	flat_load_dword v1, v[2:3]
	flat_load_dword v8, v[2:3] offset:1024
	flat_load_dword v9, v[2:3] offset:2048
	;; [unrolled: 1-line block ×3, first 2 shown]
	flat_load_dword v11, v[4:5]
	flat_load_dword v12, v[4:5] offset:1024
	flat_load_dword v13, v[4:5] offset:2048
	;; [unrolled: 1-line block ×3, first 2 shown]
	v_add_co_u32_e32 v4, vcc, 0x2000, v2
	s_movk_i32 s10, 0x1000
	s_nop 0
	v_addc_co_u32_e32 v5, vcc, 0, v3, vcc
	v_add_co_u32_e32 v6, vcc, 0x3000, v2
	s_mov_b32 s4, 0
	s_nop 0
	v_addc_co_u32_e32 v7, vcc, 0, v3, vcc
	flat_load_dword v15, v[4:5]
	flat_load_dword v16, v[4:5] offset:1024
	flat_load_dword v17, v[4:5] offset:2048
	;; [unrolled: 1-line block ×3, first 2 shown]
	flat_load_dword v19, v[6:7]
	flat_load_dword v20, v[6:7] offset:1024
	flat_load_dword v21, v[6:7] offset:2048
	;; [unrolled: 1-line block ×3, first 2 shown]
	v_add_co_u32_e32 v4, vcc, 0x4000, v2
	s_movk_i32 s9, 0x2000
	s_nop 0
	v_addc_co_u32_e32 v5, vcc, 0, v3, vcc
	v_add_co_u32_e32 v2, vcc, 0x5000, v2
	s_movk_i32 s8, 0x3000
	s_nop 0
	v_addc_co_u32_e32 v3, vcc, 0, v3, vcc
	flat_load_dword v6, v[4:5]
	flat_load_dword v7, v[4:5] offset:1024
	flat_load_dword v23, v[4:5] offset:2048
	;; [unrolled: 1-line block ×3, first 2 shown]
	flat_load_dword v25, v[2:3]
	flat_load_dword v26, v[2:3] offset:1024
	flat_load_dword v27, v[2:3] offset:2048
	v_mov_b32_e32 v2, s70
	v_mov_b32_e32 v3, s71
	v_add_co_u32_e32 v2, vcc, 0x5000, v2
	s_movk_i32 s5, 0x4000
	s_nop 0
	v_addc_co_u32_e32 v3, vcc, 0, v3, vcc
	s_movk_i32 s3, 0x5000
	s_waitcnt vmcnt(0) lgkmcnt(0)
	ds_write2st64_b32 v54, v1, v8 offset1:4
	ds_write2st64_b32 v54, v9, v10 offset0:8 offset1:12
	ds_write2st64_b32 v54, v11, v12 offset0:16 offset1:20
	;; [unrolled: 1-line block ×10, first 2 shown]
	ds_write_b32 v54, v27 offset:22528
	s_waitcnt lgkmcnt(0)
	s_barrier
	flat_load_dword v1, v[2:3] offset:3072
	v_mad_u32_u24 v12, v0, s6, v54
	s_movk_i32 s6, 0xffa8
	v_mad_i32_i24 v11, v0, s6, v12
	s_movk_i32 s6, 0xff
	v_cmp_ne_u32_e32 vcc, s6, v0
	ds_read_b32 v10, v12
	ds_read2_b32 v[14:15], v12 offset0:1 offset1:2
	ds_read2_b32 v[18:19], v12 offset0:3 offset1:4
	;; [unrolled: 1-line block ×11, first 2 shown]
	s_waitcnt lgkmcnt(0)
	ds_write_b32 v11, v10 offset:24576
	s_waitcnt lgkmcnt(0)
	s_barrier
	s_and_saveexec_b64 s[6:7], vcc
	s_cbranch_execz .LBB517_145
; %bb.144:
	s_waitcnt vmcnt(0)
	ds_read_b32 v1, v54 offset:24580
.LBB517_145:
	s_or_b64 exec, exec, s[6:7]
	v_lshl_add_u64 v[16:17], s[68:69], 0, v[54:55]
	v_add_co_u32_e32 v20, vcc, s10, v16
	s_waitcnt lgkmcnt(0)
	s_nop 0
	v_addc_co_u32_e32 v21, vcc, 0, v17, vcc
	s_barrier
	flat_load_dword v11, v[16:17]
	flat_load_dword v13, v[16:17] offset:1024
	flat_load_dword v28, v[16:17] offset:2048
	;; [unrolled: 1-line block ×3, first 2 shown]
	flat_load_dword v32, v[20:21]
	flat_load_dword v33, v[20:21] offset:1024
	flat_load_dword v36, v[20:21] offset:2048
	;; [unrolled: 1-line block ×3, first 2 shown]
	v_add_co_u32_e32 v20, vcc, s9, v16
	s_nop 1
	v_addc_co_u32_e32 v21, vcc, 0, v17, vcc
	v_add_co_u32_e32 v24, vcc, s8, v16
	s_nop 1
	v_addc_co_u32_e32 v25, vcc, 0, v17, vcc
	flat_load_dword v40, v[20:21]
	flat_load_dword v41, v[20:21] offset:1024
	flat_load_dword v42, v[20:21] offset:2048
	;; [unrolled: 1-line block ×3, first 2 shown]
	flat_load_dword v44, v[24:25]
	flat_load_dword v45, v[24:25] offset:1024
	flat_load_dword v46, v[24:25] offset:2048
	;; [unrolled: 1-line block ×3, first 2 shown]
	v_add_co_u32_e32 v20, vcc, s5, v16
	s_mov_b32 s5, 1
	s_nop 0
	v_addc_co_u32_e32 v21, vcc, 0, v17, vcc
	v_add_co_u32_e32 v16, vcc, s3, v16
	s_nop 1
	v_addc_co_u32_e32 v17, vcc, 0, v17, vcc
	flat_load_dword v24, v[20:21]
	flat_load_dword v25, v[20:21] offset:1024
	flat_load_dword v48, v[20:21] offset:2048
	;; [unrolled: 1-line block ×3, first 2 shown]
	flat_load_dword v50, v[16:17]
	flat_load_dword v51, v[16:17] offset:1024
	flat_load_dword v52, v[16:17] offset:2048
	v_cmp_eq_u32_e32 vcc, v10, v14
	s_waitcnt vmcnt(0) lgkmcnt(0)
	ds_write2st64_b32 v54, v11, v13 offset1:4
	ds_write2st64_b32 v54, v28, v29 offset0:8 offset1:12
	ds_write2st64_b32 v54, v32, v33 offset0:16 offset1:20
	;; [unrolled: 1-line block ×10, first 2 shown]
	ds_write_b32 v54, v52 offset:22528
	s_waitcnt lgkmcnt(0)
	s_barrier
	ds_read2_b32 v[16:17], v12 offset0:1 offset1:2
	ds_read2_b32 v[20:21], v12 offset0:3 offset1:4
	;; [unrolled: 1-line block ×11, first 2 shown]
	v_mov_b64_e32 v[10:11], s[4:5]
	v_mov_b32_e32 v13, s76
	s_and_saveexec_b64 s[4:5], vcc
	s_cbranch_execz .LBB517_147
; %bb.146:
	ds_read_b32 v13, v12
	v_mov_b64_e32 v[10:11], 0
.LBB517_147:
	s_or_b64 exec, exec, s[4:5]
	v_mov_b32_e32 v55, s76
	v_cmp_eq_u32_e32 vcc, v14, v15
	s_waitcnt lgkmcnt(0)
	v_or_b32_e32 v10, v10, v13
	v_cmp_ne_u32_e64 s[8:9], v3, v1
	v_cndmask_b32_e32 v12, v55, v16, vcc
	v_cmp_ne_u32_e32 vcc, v14, v15
	s_mov_b64 s[10:11], -1
                                        ; implicit-def: $sgpr6_sgpr7
	s_nop 0
	v_cndmask_b32_e64 v13, 0, 1, vcc
	v_cmp_eq_u32_e32 vcc, v15, v18
	s_nop 1
	v_cndmask_b32_e32 v14, v55, v17, vcc
	v_cmp_ne_u32_e32 vcc, v15, v18
	s_nop 1
	v_cndmask_b32_e64 v15, 0, 1, vcc
	v_cmp_eq_u32_e32 vcc, v18, v19
	s_nop 1
	v_cndmask_b32_e32 v16, v55, v20, vcc
	v_cmp_ne_u32_e32 vcc, v18, v19
	;; [unrolled: 6-line block ×20, first 2 shown]
	v_cndmask_b32_e64 v2, v57, v55, s[8:9]
	s_nop 0
	v_cndmask_b32_e64 v53, 0, 1, vcc
.LBB517_148:
	v_mov_b64_e32 v[56:57], s[6:7]
	s_and_saveexec_b64 s[4:5], s[10:11]
; %bb.149:
	v_cndmask_b32_e64 v3, 0, 1, s[8:9]
	v_mov_b64_e32 v[56:57], v[2:3]
; %bb.150:
	s_or_b64 exec, exec, s[4:5]
	s_mov_b32 s46, 0
	s_cmp_lg_u32 s2, 0
	v_or_b32_e32 v55, v57, v53
	v_lshrrev_b32_e32 v1, 5, v0
	v_cmp_gt_u32_e32 vcc, 64, v0
	s_barrier
	s_cbranch_scc0 .LBB517_215
; %bb.151:
	s_mov_b32 s47, 1
	v_cmp_gt_u64_e64 s[50:51], s[46:47], v[12:13]
	v_cmp_gt_u64_e64 s[4:5], s[46:47], v[14:15]
	v_cmp_gt_u64_e64 s[6:7], s[46:47], v[16:17]
	v_cndmask_b32_e64 v2, 1, v10, s[50:51]
	v_mul_lo_u32 v2, v2, v12
	v_cndmask_b32_e64 v2, 1, v2, s[4:5]
	v_mul_lo_u32 v2, v2, v14
	v_cndmask_b32_e64 v2, 1, v2, s[6:7]
	v_mul_lo_u32 v2, v2, v16
	v_cmp_gt_u64_e64 s[8:9], s[46:47], v[18:19]
	v_cmp_gt_u64_e64 s[10:11], s[46:47], v[20:21]
	v_cmp_gt_u64_e64 s[12:13], s[46:47], v[22:23]
	v_cndmask_b32_e64 v2, 1, v2, s[8:9]
	v_mul_lo_u32 v2, v2, v18
	v_cndmask_b32_e64 v2, 1, v2, s[10:11]
	v_mul_lo_u32 v2, v2, v20
	v_cndmask_b32_e64 v2, 1, v2, s[12:13]
	v_mul_lo_u32 v2, v2, v22
	;; [unrolled: 9-line block ×7, first 2 shown]
	v_cmp_gt_u64_e64 s[46:47], s[46:47], v[56:57]
	s_nop 1
	v_cndmask_b32_e64 v2, 1, v2, s[46:47]
	v_mul_lo_u32 v62, v2, v56
	v_or3_b32 v2, v55, v51, v49
	v_or3_b32 v2, v2, v47, v45
	;; [unrolled: 1-line block ×10, first 2 shown]
	v_and_b32_e32 v2, 1, v2
	v_cmp_eq_u32_e64 s[46:47], 1, v2
	v_add_lshl_u32 v2, v1, v0, 3
	s_nop 0
	v_cndmask_b32_e64 v63, v11, 1, s[46:47]
	ds_write_b32 v2, v62
	ds_write_b8 v2, v63 offset:4
	s_waitcnt lgkmcnt(0)
	s_barrier
	s_and_saveexec_b64 s[48:49], vcc
	s_cbranch_execz .LBB517_165
; %bb.152:
	v_lshrrev_b32_e32 v2, 3, v0
	v_add_lshl_u32 v4, v2, v54, 3
	ds_read2_b32 v[6:7], v4 offset0:2 offset1:4
	ds_read_b64 v[2:3], v4
	ds_read_u8 v8, v4 offset:12
	ds_read_u8 v9, v4 offset:20
	ds_read_b32 v58, v4 offset:24
	ds_read_u8 v59, v4 offset:28
	v_mov_b32_e32 v60, 0
	s_waitcnt lgkmcnt(3)
	v_cmp_eq_u16_sdwa s[46:47], v8, v60 src0_sel:BYTE_0 src1_sel:DWORD
	v_and_b32_e32 v5, 1, v3
	s_nop 0
	v_cndmask_b32_e64 v61, 1, v2, s[46:47]
	v_mul_lo_u32 v6, v61, v6
	s_waitcnt lgkmcnt(2)
	v_cmp_eq_u16_sdwa s[46:47], v9, v60 src0_sel:BYTE_0 src1_sel:DWORD
	s_nop 1
	v_cndmask_b32_e64 v6, 1, v6, s[46:47]
	v_mul_lo_u32 v6, v6, v7
	s_waitcnt lgkmcnt(0)
	v_or_b32_e32 v7, v59, v9
	v_or_b32_e32 v7, v7, v8
	v_cmp_eq_u16_e64 s[46:47], 0, v59
	v_and_b32_e32 v7, 1, v7
	v_mbcnt_lo_u32_b32 v8, -1, 0
	v_cndmask_b32_e64 v6, 1, v6, s[46:47]
	v_cmp_eq_u32_e64 s[46:47], 1, v7
	v_and_b32_e32 v7, 0xffffff00, v3
	v_mbcnt_hi_u32_b32 v8, -1, v8
	v_cndmask_b32_e64 v9, v5, 1, s[46:47]
	v_mul_lo_u32 v6, v6, v58
	v_and_b32_e32 v59, 15, v8
	v_or_b32_sdwa v58, v7, v9 dst_sel:DWORD dst_unused:UNUSED_PAD src0_sel:DWORD src1_sel:WORD_0
	v_mov_b32_dpp v61, v6 row_shr:1 row_mask:0xf bank_mask:0xf
	v_cmp_ne_u32_e64 s[46:47], 0, v59
	v_mov_b32_dpp v60, v58 row_shr:1 row_mask:0xf bank_mask:0xf
	s_and_saveexec_b64 s[60:61], s[46:47]
; %bb.153:
	v_cmp_eq_u16_e64 s[46:47], 0, v9
	v_and_b32_e32 v9, 1, v9
	s_nop 0
	v_cndmask_b32_e64 v58, 1, v61, s[46:47]
	v_mul_lo_u32 v6, v58, v6
	v_and_b32_e32 v58, 1, v60
	v_cmp_eq_u32_e64 s[46:47], 1, v9
	s_nop 1
	v_cndmask_b32_e64 v9, v58, 1, s[46:47]
	v_or_b32_sdwa v58, v7, v9 dst_sel:DWORD dst_unused:UNUSED_PAD src0_sel:DWORD src1_sel:WORD_0
; %bb.154:
	s_or_b64 exec, exec, s[60:61]
	v_mov_b32_dpp v61, v6 row_shr:2 row_mask:0xf bank_mask:0xf
	v_mov_b32_dpp v60, v58 row_shr:2 row_mask:0xf bank_mask:0xf
	v_cmp_lt_u32_e64 s[46:47], 1, v59
	s_and_saveexec_b64 s[60:61], s[46:47]
; %bb.155:
	v_cmp_eq_u16_e64 s[46:47], 0, v9
	v_and_b32_e32 v9, 1, v9
	s_nop 0
	v_cndmask_b32_e64 v58, 1, v61, s[46:47]
	v_mul_lo_u32 v6, v58, v6
	v_and_b32_e32 v58, 1, v60
	v_cmp_eq_u32_e64 s[46:47], 1, v9
	s_nop 1
	v_cndmask_b32_e64 v9, v58, 1, s[46:47]
	v_or_b32_sdwa v58, v7, v9 dst_sel:DWORD dst_unused:UNUSED_PAD src0_sel:DWORD src1_sel:WORD_0
; %bb.156:
	s_or_b64 exec, exec, s[60:61]
	v_mov_b32_dpp v61, v6 row_shr:4 row_mask:0xf bank_mask:0xf
	v_mov_b32_dpp v60, v58 row_shr:4 row_mask:0xf bank_mask:0xf
	v_cmp_lt_u32_e64 s[46:47], 3, v59
	;; [unrolled: 17-line block ×3, first 2 shown]
	s_and_saveexec_b64 s[60:61], s[46:47]
; %bb.159:
	v_cmp_eq_u16_e64 s[46:47], 0, v9
	v_and_b32_e32 v9, 1, v9
	s_nop 0
	v_cndmask_b32_e64 v58, 1, v61, s[46:47]
	v_mul_lo_u32 v6, v58, v6
	v_and_b32_e32 v58, 1, v60
	v_cmp_eq_u32_e64 s[46:47], 1, v9
	s_nop 1
	v_cndmask_b32_e64 v9, v58, 1, s[46:47]
	v_or_b32_sdwa v58, v7, v9 dst_sel:DWORD dst_unused:UNUSED_PAD src0_sel:DWORD src1_sel:WORD_0
; %bb.160:
	s_or_b64 exec, exec, s[60:61]
	v_and_b32_e32 v61, 16, v8
	v_mov_b32_dpp v60, v6 row_bcast:15 row_mask:0xf bank_mask:0xf
	v_mov_b32_dpp v59, v58 row_bcast:15 row_mask:0xf bank_mask:0xf
	v_cmp_ne_u32_e64 s[46:47], 0, v61
	s_and_saveexec_b64 s[60:61], s[46:47]
; %bb.161:
	v_cmp_eq_u16_e64 s[46:47], 0, v9
	v_and_b32_e32 v9, 1, v9
	s_nop 0
	v_cndmask_b32_e64 v58, 1, v60, s[46:47]
	v_mul_lo_u32 v6, v58, v6
	v_and_b32_e32 v58, 1, v59
	v_cmp_eq_u32_e64 s[46:47], 1, v9
	s_nop 1
	v_cndmask_b32_e64 v9, v58, 1, s[46:47]
	v_or_b32_sdwa v58, v7, v9 dst_sel:DWORD dst_unused:UNUSED_PAD src0_sel:DWORD src1_sel:WORD_0
; %bb.162:
	s_or_b64 exec, exec, s[60:61]
	v_mov_b32_dpp v59, v6 row_bcast:31 row_mask:0xf bank_mask:0xf
	v_mov_b32_dpp v58, v58 row_bcast:31 row_mask:0xf bank_mask:0xf
	v_cmp_lt_u32_e64 s[46:47], 31, v8
	s_and_saveexec_b64 s[60:61], s[46:47]
; %bb.163:
	v_cmp_eq_u16_e64 s[46:47], 0, v9
	v_and_b32_e32 v9, 1, v9
	v_and_b32_e32 v58, 1, v58
	v_cndmask_b32_e64 v59, 1, v59, s[46:47]
	v_cmp_eq_u32_e64 s[46:47], 1, v9
	v_mul_lo_u32 v6, v59, v6
	s_nop 0
	v_cndmask_b32_e64 v9, v58, 1, s[46:47]
; %bb.164:
	s_or_b64 exec, exec, s[60:61]
	v_add_u32_e32 v58, -1, v8
	v_and_b32_e32 v59, 64, v8
	v_cmp_lt_i32_e64 s[46:47], v58, v59
	v_or_b32_sdwa v7, v7, v9 dst_sel:DWORD dst_unused:UNUSED_PAD src0_sel:DWORD src1_sel:WORD_0
	s_nop 0
	v_cndmask_b32_e64 v8, v58, v8, s[46:47]
	v_lshlrev_b32_e32 v8, 2, v8
	ds_bpermute_b32 v6, v8, v6
	ds_bpermute_b32 v7, v8, v7
	v_mov_b32_e32 v8, 0
	v_cmp_eq_u16_sdwa s[46:47], v3, v8 src0_sel:BYTE_0 src1_sel:DWORD
	; wave barrier
	s_waitcnt lgkmcnt(1)
	s_nop 0
	v_cndmask_b32_e64 v3, 1, v6, s[46:47]
	v_mul_lo_u32 v2, v3, v2
	s_waitcnt lgkmcnt(0)
	v_and_b32_e32 v3, 1, v7
	v_cmp_eq_u32_e64 s[46:47], 1, v5
	s_nop 1
	v_cndmask_b32_e64 v3, v3, 1, s[46:47]
	v_cmp_eq_u32_e64 s[46:47], 0, v0
	s_nop 1
	v_cndmask_b32_e64 v5, v2, v62, s[46:47]
	v_cndmask_b32_e64 v6, v3, v63, s[46:47]
	ds_write_b32 v4, v5
	ds_write_b8 v4, v6 offset:4
	; wave barrier
	ds_read_u8 v7, v4 offset:12
	ds_read2_b32 v[2:3], v4 offset0:2 offset1:4
	ds_read_u8 v8, v4 offset:20
	ds_read_b32 v9, v4 offset:24
	ds_read_u8 v58, v4 offset:28
	s_waitcnt lgkmcnt(4)
	v_cmp_eq_u16_e64 s[46:47], 0, v7
	s_nop 1
	v_cndmask_b32_e64 v5, 1, v5, s[46:47]
	s_waitcnt lgkmcnt(3)
	v_mul_lo_u32 v2, v5, v2
	v_and_b32_e32 v5, 1, v7
	v_cmp_eq_u32_e64 s[46:47], 1, v5
	s_nop 1
	v_cndmask_b32_e64 v5, v6, 1, s[46:47]
	s_waitcnt lgkmcnt(2)
	v_cmp_eq_u16_e64 s[46:47], 0, v8
	ds_write_b8 v4, v5 offset:12
	s_nop 0
	v_cndmask_b32_e64 v6, 1, v2, s[46:47]
	v_mul_lo_u32 v3, v6, v3
	v_and_b32_e32 v6, 1, v8
	v_cmp_eq_u32_e64 s[46:47], 1, v6
	s_nop 1
	v_cndmask_b32_e64 v5, v5, 1, s[46:47]
	s_waitcnt lgkmcnt(1)
	v_cmp_eq_u16_e64 s[46:47], 0, v58
	ds_write2_b32 v4, v2, v3 offset0:2 offset1:4
	ds_write_b8 v4, v5 offset:20
	v_cndmask_b32_e64 v2, 1, v3, s[46:47]
	v_and_b32_e32 v3, 1, v58
	v_mul_lo_u32 v2, v2, v9
	v_cmp_eq_u32_e64 s[46:47], 1, v3
	s_nop 1
	v_cndmask_b32_e64 v3, v5, 1, s[46:47]
	ds_write_b32 v4, v2 offset:24
	ds_write_b8 v4, v3 offset:28
.LBB517_165:
	s_or_b64 exec, exec, s[48:49]
	v_cmp_eq_u32_e64 s[46:47], 0, v0
	v_cmp_ne_u32_e64 s[48:49], 0, v0
	s_waitcnt lgkmcnt(0)
	s_barrier
	s_and_saveexec_b64 s[60:61], s[48:49]
	s_cbranch_execz .LBB517_167
; %bb.166:
	v_add_u32_e32 v2, -1, v0
	v_lshrrev_b32_e32 v3, 5, v2
	v_add_lshl_u32 v2, v3, v2, 3
	ds_read_b32 v62, v2
	ds_read_u8 v63, v2 offset:4
.LBB517_167:
	s_or_b64 exec, exec, s[60:61]
	s_and_saveexec_b64 s[60:61], vcc
	s_cbranch_execz .LBB517_214
; %bb.168:
	v_mov_b32_e32 v5, 0
	ds_read_b64 v[2:3], v5 offset:2096
	v_mbcnt_lo_u32_b32 v4, -1, 0
	v_mbcnt_hi_u32_b32 v59, -1, v4
	s_mov_b32 s71, 0
	v_cmp_eq_u32_e64 s[48:49], 0, v59
	s_waitcnt lgkmcnt(0)
	v_readfirstlane_b32 s3, v3
	s_and_saveexec_b64 s[68:69], s[48:49]
	s_cbranch_execz .LBB517_170
; %bb.169:
	s_add_i32 s70, s2, 64
	s_lshl_b64 s[72:73], s[70:71], 4
	s_add_u32 s72, s56, s72
	s_addc_u32 s73, s57, s73
	s_and_b32 s75, s3, 0xff000000
	s_mov_b32 s74, s71
	s_and_b32 s79, s3, 0xff0000
	s_mov_b32 s78, s71
	s_or_b64 s[74:75], s[78:79], s[74:75]
	s_and_b32 s79, s3, 0xff00
	s_or_b64 s[74:75], s[74:75], s[78:79]
	s_and_b32 s79, s3, 0xff
	s_or_b64 s[70:71], s[74:75], s[78:79]
	v_mov_b32_e32 v3, s71
	v_mov_b32_e32 v4, 1
	v_mov_b64_e32 v[6:7], s[72:73]
	;;#ASMSTART
	global_store_dwordx4 v[6:7], v[2:5] off sc1	
s_waitcnt vmcnt(0)
	;;#ASMEND
.LBB517_170:
	s_or_b64 exec, exec, s[68:69]
	v_xad_u32 v58, v59, -1, s2
	v_add_u32_e32 v4, 64, v58
	v_lshl_add_u64 v[60:61], v[4:5], 4, s[56:57]
	;;#ASMSTART
	global_load_dwordx4 v[6:9], v[60:61] off sc1	
s_waitcnt vmcnt(0)
	;;#ASMEND
	s_nop 0
	v_and_b32_e32 v3, 0xff0000, v6
	v_and_b32_e32 v4, 0xff000000, v6
	;; [unrolled: 1-line block ×3, first 2 shown]
	v_or_b32_sdwa v3, v6, v3 dst_sel:DWORD dst_unused:UNUSED_PAD src0_sel:WORD_0 src1_sel:DWORD
	v_or3_b32 v7, 0, 0, v7
	v_or3_b32 v6, v3, v4, 0
	v_cmp_eq_u16_sdwa s[70:71], v8, v5 src0_sel:BYTE_0 src1_sel:DWORD
	s_and_saveexec_b64 s[68:69], s[70:71]
	s_cbranch_execz .LBB517_176
; %bb.171:
	s_mov_b32 s59, 1
	s_mov_b64 s[70:71], 0
	v_mov_b32_e32 v3, 0
.LBB517_172:                            ; =>This Loop Header: Depth=1
                                        ;     Child Loop BB517_173 Depth 2
	s_max_u32 s72, s59, 1
.LBB517_173:                            ;   Parent Loop BB517_172 Depth=1
                                        ; =>  This Inner Loop Header: Depth=2
	s_add_i32 s72, s72, -1
	s_cmp_eq_u32 s72, 0
	s_sleep 1
	s_cbranch_scc0 .LBB517_173
; %bb.174:                              ;   in Loop: Header=BB517_172 Depth=1
	s_cmp_lt_u32 s59, 32
	s_cselect_b64 s[72:73], -1, 0
	s_cmp_lg_u64 s[72:73], 0
	s_addc_u32 s59, s59, 0
	;;#ASMSTART
	global_load_dwordx4 v[6:9], v[60:61] off sc1	
s_waitcnt vmcnt(0)
	;;#ASMEND
	s_nop 0
	v_cmp_ne_u16_sdwa s[72:73], v8, v3 src0_sel:BYTE_0 src1_sel:DWORD
	s_or_b64 s[70:71], s[72:73], s[70:71]
	s_andn2_b64 exec, exec, s[70:71]
	s_cbranch_execnz .LBB517_172
; %bb.175:
	s_or_b64 exec, exec, s[70:71]
	v_and_b32_e32 v7, 0xff, v7
.LBB517_176:
	s_or_b64 exec, exec, s[68:69]
	v_mov_b32_e32 v3, 2
	v_cmp_eq_u16_sdwa s[68:69], v8, v3 src0_sel:BYTE_0 src1_sel:DWORD
	v_lshlrev_b64 v[4:5], v59, -1
	s_mov_b32 s70, 0
	v_and_b32_e32 v3, s69, v5
	v_or_b32_e32 v3, 0x80000000, v3
	v_ffbl_b32_e32 v3, v3
	v_add_u32_e32 v60, 32, v3
	v_and_b32_e32 v3, 63, v59
	v_cmp_ne_u32_e32 vcc, 63, v3
	v_and_b32_e32 v9, s68, v4
	v_ffbl_b32_e32 v9, v9
	v_addc_co_u32_e32 v61, vcc, 0, v59, vcc
	v_lshlrev_b32_e32 v64, 2, v61
	ds_bpermute_b32 v65, v64, v6
	ds_bpermute_b32 v61, v64, v7
	v_min_u32_e32 v9, v9, v60
	v_cmp_lt_u32_e32 vcc, v3, v9
	v_mov_b32_e32 v60, v7
	s_and_saveexec_b64 s[68:69], vcc
	s_cbranch_execz .LBB517_178
; %bb.177:
	s_mov_b32 s71, 1
	v_cmp_gt_u64_e32 vcc, s[70:71], v[6:7]
	v_and_b32_e32 v7, 1, v7
	s_waitcnt lgkmcnt(1)
	v_cndmask_b32_e32 v60, 1, v65, vcc
	v_mul_lo_u32 v6, v60, v6
	s_waitcnt lgkmcnt(0)
	v_and_b32_e32 v60, 1, v61
	v_cmp_eq_u32_e32 vcc, 1, v7
	s_nop 1
	v_cndmask_b32_e64 v7, v60, 1, vcc
	v_and_b32_e32 v60, 0xffff, v7
.LBB517_178:
	s_or_b64 exec, exec, s[68:69]
	v_cmp_gt_u32_e32 vcc, 62, v3
	v_add_u32_e32 v66, 2, v3
	s_waitcnt lgkmcnt(0)
	v_cndmask_b32_e64 v61, 0, 1, vcc
	v_lshlrev_b32_e32 v61, 1, v61
	v_add_lshl_u32 v65, v61, v59, 2
	ds_bpermute_b32 v67, v65, v6
	ds_bpermute_b32 v61, v65, v60
	v_cmp_le_u32_e32 vcc, v66, v9
	s_and_saveexec_b64 s[68:69], vcc
	s_cbranch_execz .LBB517_180
; %bb.179:
	v_cmp_eq_u16_e32 vcc, 0, v7
	v_and_b32_e32 v7, 1, v7
	s_waitcnt lgkmcnt(1)
	v_cndmask_b32_e32 v60, 1, v67, vcc
	v_mul_lo_u32 v6, v60, v6
	s_waitcnt lgkmcnt(0)
	v_and_b32_e32 v60, 1, v61
	v_cmp_eq_u32_e32 vcc, 1, v7
	s_nop 1
	v_cndmask_b32_e64 v7, v60, 1, vcc
	v_and_b32_e32 v60, 0xffff, v7
.LBB517_180:
	s_or_b64 exec, exec, s[68:69]
	v_cmp_gt_u32_e32 vcc, 60, v3
	v_add_u32_e32 v68, 4, v3
	s_waitcnt lgkmcnt(0)
	v_cndmask_b32_e64 v61, 0, 1, vcc
	v_lshlrev_b32_e32 v61, 2, v61
	v_add_lshl_u32 v67, v61, v59, 2
	ds_bpermute_b32 v69, v67, v6
	ds_bpermute_b32 v61, v67, v60
	v_cmp_le_u32_e32 vcc, v68, v9
	s_and_saveexec_b64 s[68:69], vcc
	s_cbranch_execz .LBB517_182
; %bb.181:
	v_cmp_eq_u16_e32 vcc, 0, v7
	v_and_b32_e32 v7, 1, v7
	s_waitcnt lgkmcnt(1)
	v_cndmask_b32_e32 v60, 1, v69, vcc
	v_mul_lo_u32 v6, v60, v6
	s_waitcnt lgkmcnt(0)
	v_and_b32_e32 v60, 1, v61
	v_cmp_eq_u32_e32 vcc, 1, v7
	s_nop 1
	v_cndmask_b32_e64 v7, v60, 1, vcc
	v_and_b32_e32 v60, 0xffff, v7
.LBB517_182:
	;; [unrolled: 25-line block ×4, first 2 shown]
	s_or_b64 exec, exec, s[68:69]
	v_cmp_gt_u32_e32 vcc, 32, v3
	v_add_u32_e32 v75, 32, v3
	s_waitcnt lgkmcnt(0)
	v_cndmask_b32_e64 v61, 0, 1, vcc
	v_lshlrev_b32_e32 v61, 5, v61
	v_add_lshl_u32 v74, v61, v59, 2
	ds_bpermute_b32 v61, v74, v6
	ds_bpermute_b32 v59, v74, v60
	v_cmp_le_u32_e32 vcc, v75, v9
	s_and_saveexec_b64 s[68:69], vcc
	s_cbranch_execz .LBB517_188
; %bb.187:
	v_cmp_eq_u16_e32 vcc, 0, v7
	v_and_b32_e32 v7, 1, v7
	s_waitcnt lgkmcnt(1)
	v_cndmask_b32_e32 v9, 1, v61, vcc
	v_mul_lo_u32 v6, v9, v6
	s_waitcnt lgkmcnt(0)
	v_and_b32_e32 v9, 1, v59
	v_cmp_eq_u32_e32 vcc, 1, v7
	s_nop 1
	v_cndmask_b32_e64 v7, v9, 1, vcc
.LBB517_188:
	s_or_b64 exec, exec, s[68:69]
	s_mov_b32 s68, 0
	s_mov_b32 s69, 1
	s_waitcnt lgkmcnt(0)
	v_mov_b32_e32 v59, 0
	v_mov_b32_e32 v77, 2
	s_branch .LBB517_190
.LBB517_189:                            ;   in Loop: Header=BB517_190 Depth=1
	s_or_b64 exec, exec, s[70:71]
	v_cmp_eq_u16_sdwa vcc, v73, v59 src0_sel:BYTE_0 src1_sel:DWORD
	v_and_b32_e32 v9, 1, v73
	v_and_b32_e32 v7, 1, v7
	v_cndmask_b32_e32 v6, 1, v6, vcc
	v_cmp_eq_u32_e32 vcc, 1, v9
	v_subrev_u32_e32 v58, 64, v58
	v_mul_lo_u32 v6, v6, v76
	v_cndmask_b32_e64 v7, v7, 1, vcc
.LBB517_190:                            ; =>This Loop Header: Depth=1
                                        ;     Child Loop BB517_193 Depth 2
                                        ;       Child Loop BB517_194 Depth 3
	v_cmp_ne_u16_sdwa s[70:71], v8, v77 src0_sel:BYTE_0 src1_sel:DWORD
	v_mov_b32_e32 v73, v7
	v_mov_b32_e32 v76, v6
	v_cndmask_b32_e64 v7, 0, 1, s[70:71]
	;;#ASMSTART
	;;#ASMEND
	s_nop 0
	v_cmp_ne_u32_e32 vcc, 0, v7
	s_cmp_lg_u64 vcc, exec
	s_cbranch_scc1 .LBB517_209
; %bb.191:                              ;   in Loop: Header=BB517_190 Depth=1
	s_waitcnt lgkmcnt(0)
	v_lshl_add_u64 v[60:61], v[58:59], 4, s[56:57]
	;;#ASMSTART
	global_load_dwordx4 v[6:9], v[60:61] off sc1	
s_waitcnt vmcnt(0)
	;;#ASMEND
	s_nop 0
	v_and_b32_e32 v9, 0xff0000, v6
	v_and_b32_e32 v78, 0xff000000, v6
	;; [unrolled: 1-line block ×3, first 2 shown]
	v_or_b32_sdwa v6, v6, v9 dst_sel:DWORD dst_unused:UNUSED_PAD src0_sel:WORD_0 src1_sel:DWORD
	v_or3_b32 v7, 0, 0, v7
	v_or3_b32 v6, v6, v78, 0
	v_cmp_eq_u16_sdwa s[72:73], v8, v59 src0_sel:BYTE_0 src1_sel:DWORD
	s_and_saveexec_b64 s[70:71], s[72:73]
	s_cbranch_execz .LBB517_197
; %bb.192:                              ;   in Loop: Header=BB517_190 Depth=1
	s_mov_b32 s59, 1
	s_mov_b64 s[72:73], 0
.LBB517_193:                            ;   Parent Loop BB517_190 Depth=1
                                        ; =>  This Loop Header: Depth=2
                                        ;       Child Loop BB517_194 Depth 3
	s_max_u32 s74, s59, 1
.LBB517_194:                            ;   Parent Loop BB517_190 Depth=1
                                        ;     Parent Loop BB517_193 Depth=2
                                        ; =>    This Inner Loop Header: Depth=3
	s_add_i32 s74, s74, -1
	s_cmp_eq_u32 s74, 0
	s_sleep 1
	s_cbranch_scc0 .LBB517_194
; %bb.195:                              ;   in Loop: Header=BB517_193 Depth=2
	s_cmp_lt_u32 s59, 32
	s_cselect_b64 s[74:75], -1, 0
	s_cmp_lg_u64 s[74:75], 0
	s_addc_u32 s59, s59, 0
	;;#ASMSTART
	global_load_dwordx4 v[6:9], v[60:61] off sc1	
s_waitcnt vmcnt(0)
	;;#ASMEND
	s_nop 0
	v_cmp_ne_u16_sdwa s[74:75], v8, v59 src0_sel:BYTE_0 src1_sel:DWORD
	s_or_b64 s[72:73], s[74:75], s[72:73]
	s_andn2_b64 exec, exec, s[72:73]
	s_cbranch_execnz .LBB517_193
; %bb.196:                              ;   in Loop: Header=BB517_190 Depth=1
	s_or_b64 exec, exec, s[72:73]
	v_and_b32_e32 v7, 0xff, v7
.LBB517_197:                            ;   in Loop: Header=BB517_190 Depth=1
	s_or_b64 exec, exec, s[70:71]
	v_cmp_eq_u16_sdwa s[70:71], v8, v77 src0_sel:BYTE_0 src1_sel:DWORD
	ds_bpermute_b32 v78, v64, v6
	ds_bpermute_b32 v61, v64, v7
	v_and_b32_e32 v9, s71, v5
	v_or_b32_e32 v9, 0x80000000, v9
	v_and_b32_e32 v60, s70, v4
	v_ffbl_b32_e32 v9, v9
	v_add_u32_e32 v9, 32, v9
	v_ffbl_b32_e32 v60, v60
	v_min_u32_e32 v9, v60, v9
	v_cmp_lt_u32_e32 vcc, v3, v9
	v_mov_b32_e32 v60, v7
	s_and_saveexec_b64 s[70:71], vcc
	s_cbranch_execz .LBB517_199
; %bb.198:                              ;   in Loop: Header=BB517_190 Depth=1
	v_cmp_gt_u64_e32 vcc, s[68:69], v[6:7]
	v_and_b32_e32 v7, 1, v7
	s_waitcnt lgkmcnt(1)
	v_cndmask_b32_e32 v60, 1, v78, vcc
	v_mul_lo_u32 v6, v60, v6
	s_waitcnt lgkmcnt(0)
	v_and_b32_e32 v60, 1, v61
	v_cmp_eq_u32_e32 vcc, 1, v7
	s_nop 1
	v_cndmask_b32_e64 v7, v60, 1, vcc
	v_and_b32_e32 v60, 0xffff, v7
.LBB517_199:                            ;   in Loop: Header=BB517_190 Depth=1
	s_or_b64 exec, exec, s[70:71]
	s_waitcnt lgkmcnt(1)
	ds_bpermute_b32 v78, v65, v6
	s_waitcnt lgkmcnt(1)
	ds_bpermute_b32 v61, v65, v60
	v_cmp_le_u32_e32 vcc, v66, v9
	s_and_saveexec_b64 s[70:71], vcc
	s_cbranch_execz .LBB517_201
; %bb.200:                              ;   in Loop: Header=BB517_190 Depth=1
	v_cmp_eq_u16_e32 vcc, 0, v7
	v_and_b32_e32 v7, 1, v7
	s_waitcnt lgkmcnt(1)
	v_cndmask_b32_e32 v60, 1, v78, vcc
	v_mul_lo_u32 v6, v60, v6
	s_waitcnt lgkmcnt(0)
	v_and_b32_e32 v60, 1, v61
	v_cmp_eq_u32_e32 vcc, 1, v7
	s_nop 1
	v_cndmask_b32_e64 v7, v60, 1, vcc
	v_and_b32_e32 v60, 0xffff, v7
.LBB517_201:                            ;   in Loop: Header=BB517_190 Depth=1
	s_or_b64 exec, exec, s[70:71]
	s_waitcnt lgkmcnt(1)
	ds_bpermute_b32 v78, v67, v6
	s_waitcnt lgkmcnt(1)
	ds_bpermute_b32 v61, v67, v60
	v_cmp_le_u32_e32 vcc, v68, v9
	s_and_saveexec_b64 s[70:71], vcc
	s_cbranch_execz .LBB517_203
; %bb.202:                              ;   in Loop: Header=BB517_190 Depth=1
	v_cmp_eq_u16_e32 vcc, 0, v7
	v_and_b32_e32 v7, 1, v7
	s_waitcnt lgkmcnt(1)
	v_cndmask_b32_e32 v60, 1, v78, vcc
	v_mul_lo_u32 v6, v60, v6
	s_waitcnt lgkmcnt(0)
	v_and_b32_e32 v60, 1, v61
	v_cmp_eq_u32_e32 vcc, 1, v7
	s_nop 1
	v_cndmask_b32_e64 v7, v60, 1, vcc
	v_and_b32_e32 v60, 0xffff, v7
.LBB517_203:                            ;   in Loop: Header=BB517_190 Depth=1
	;; [unrolled: 21-line block ×4, first 2 shown]
	s_or_b64 exec, exec, s[70:71]
	s_waitcnt lgkmcnt(0)
	ds_bpermute_b32 v61, v74, v6
	ds_bpermute_b32 v60, v74, v60
	v_cmp_le_u32_e32 vcc, v75, v9
	s_and_saveexec_b64 s[70:71], vcc
	s_cbranch_execz .LBB517_189
; %bb.208:                              ;   in Loop: Header=BB517_190 Depth=1
	v_cmp_eq_u16_e32 vcc, 0, v7
	v_and_b32_e32 v7, 1, v7
	s_waitcnt lgkmcnt(1)
	v_cndmask_b32_e32 v9, 1, v61, vcc
	v_cmp_eq_u32_e32 vcc, 1, v7
	v_mul_lo_u32 v6, v9, v6
	s_waitcnt lgkmcnt(0)
	v_cndmask_b32_e64 v7, v60, 1, vcc
	s_branch .LBB517_189
.LBB517_209:                            ;   in Loop: Header=BB517_190 Depth=1
                                        ; implicit-def: $vgpr7
	s_cbranch_execz .LBB517_190
; %bb.210:
	s_and_saveexec_b64 s[68:69], s[48:49]
	s_cbranch_execz .LBB517_212
; %bb.211:
	s_and_b32 s48, s3, 0xff
	s_cmp_eq_u32 s48, 0
	s_cselect_b64 vcc, -1, 0
	s_bitcmp1_b32 s3, 0
	s_mov_b32 s49, 0
	s_cselect_b64 s[70:71], -1, 0
	s_add_i32 s48, s2, 64
	s_lshl_b64 s[2:3], s[48:49], 4
	v_cndmask_b32_e32 v3, 1, v76, vcc
	s_add_u32 s2, s56, s2
	v_mul_lo_u32 v2, v3, v2
	v_and_b32_e32 v3, 1, v73
	s_addc_u32 s3, s57, s3
	v_cndmask_b32_e64 v3, v3, 1, s[70:71]
	v_mov_b32_e32 v4, 2
	v_mov_b32_e32 v5, 0
	v_mov_b64_e32 v[6:7], s[2:3]
	;;#ASMSTART
	global_store_dwordx4 v[6:7], v[2:5] off sc1	
s_waitcnt vmcnt(0)
	;;#ASMEND
.LBB517_212:
	s_or_b64 exec, exec, s[68:69]
	s_and_b64 exec, exec, s[46:47]
	s_cbranch_execz .LBB517_214
; %bb.213:
	v_mov_b32_e32 v2, 0
	ds_write_b32 v2, v76
	ds_write_b8 v2, v73 offset:4
.LBB517_214:
	s_or_b64 exec, exec, s[60:61]
	v_mov_b32_e32 v2, 0
	s_waitcnt lgkmcnt(0)
	s_barrier
	ds_read_b32 v3, v2
	v_cmp_eq_u16_sdwa vcc, v63, v2 src0_sel:BYTE_0 src1_sel:DWORD
	s_waitcnt lgkmcnt(0)
	s_nop 0
	v_cndmask_b32_e32 v4, 1, v3, vcc
	v_mul_lo_u32 v4, v4, v62
	v_cndmask_b32_e64 v58, v4, v3, s[46:47]
	v_and_b32_e32 v3, 0xff, v11
	v_cmp_eq_u64_e32 vcc, 0, v[2:3]
	s_nop 1
	v_cndmask_b32_e32 v2, 1, v58, vcc
	v_mul_lo_u32 v59, v2, v10
	v_cndmask_b32_e64 v2, 1, v59, s[50:51]
	v_mul_lo_u32 v60, v2, v12
	v_cndmask_b32_e64 v2, 1, v60, s[4:5]
	;; [unrolled: 2-line block ×21, first 2 shown]
	v_mul_lo_u32 v80, v2, v52
	s_branch .LBB517_237
.LBB517_215:
                                        ; implicit-def: $vgpr79
                                        ; implicit-def: $vgpr78
                                        ; implicit-def: $vgpr77
                                        ; implicit-def: $vgpr76
                                        ; implicit-def: $vgpr75
                                        ; implicit-def: $vgpr74
                                        ; implicit-def: $vgpr73
                                        ; implicit-def: $vgpr72
                                        ; implicit-def: $vgpr71
                                        ; implicit-def: $vgpr70
                                        ; implicit-def: $vgpr69
                                        ; implicit-def: $vgpr68
                                        ; implicit-def: $vgpr67
                                        ; implicit-def: $vgpr66
                                        ; implicit-def: $vgpr65
                                        ; implicit-def: $vgpr64
                                        ; implicit-def: $vgpr63
                                        ; implicit-def: $vgpr62
                                        ; implicit-def: $vgpr61
                                        ; implicit-def: $vgpr60
                                        ; implicit-def: $vgpr59
                                        ; implicit-def: $vgpr58
                                        ; implicit-def: $vgpr80
	s_cbranch_execz .LBB517_237
; %bb.216:
	s_cmp_lg_u64 s[66:67], 0
	s_cselect_b32 s3, s63, 0
	s_cselect_b32 s2, s62, 0
	s_mov_b32 s44, 0
	s_cmp_eq_u64 s[2:3], 0
	v_mov_b32_e32 v4, s76
	s_cbranch_scc1 .LBB517_218
; %bb.217:
	v_mov_b32_e32 v2, 0
	global_load_dword v4, v2, s[2:3]
.LBB517_218:
	s_mov_b32 s45, 1
	v_cmp_gt_u64_e32 vcc, s[44:45], v[12:13]
	v_cmp_gt_u64_e64 s[2:3], s[44:45], v[14:15]
	v_cmp_gt_u64_e64 s[4:5], s[44:45], v[16:17]
	v_cndmask_b32_e32 v2, 1, v10, vcc
	v_mul_lo_u32 v2, v2, v12
	v_cndmask_b32_e64 v2, 1, v2, s[2:3]
	v_mul_lo_u32 v2, v2, v14
	v_cndmask_b32_e64 v2, 1, v2, s[4:5]
	v_mul_lo_u32 v2, v2, v16
	v_cmp_gt_u64_e64 s[6:7], s[44:45], v[18:19]
	v_cmp_gt_u64_e64 s[8:9], s[44:45], v[20:21]
	v_cmp_gt_u64_e64 s[10:11], s[44:45], v[22:23]
	v_cndmask_b32_e64 v2, 1, v2, s[6:7]
	v_mul_lo_u32 v2, v2, v18
	v_cndmask_b32_e64 v2, 1, v2, s[8:9]
	v_mul_lo_u32 v2, v2, v20
	v_cndmask_b32_e64 v2, 1, v2, s[10:11]
	v_mul_lo_u32 v2, v2, v22
	v_cmp_gt_u64_e64 s[12:13], s[44:45], v[24:25]
	v_cmp_gt_u64_e64 s[14:15], s[44:45], v[26:27]
	v_cmp_gt_u64_e64 s[16:17], s[44:45], v[28:29]
	v_cndmask_b32_e64 v2, 1, v2, s[12:13]
	;; [unrolled: 9-line block ×6, first 2 shown]
	v_mul_lo_u32 v2, v2, v48
	v_cndmask_b32_e64 v2, 1, v2, s[40:41]
	v_mul_lo_u32 v2, v2, v50
	v_cndmask_b32_e64 v2, 1, v2, s[42:43]
	v_mul_lo_u32 v2, v2, v52
	v_cmp_gt_u64_e64 s[44:45], s[44:45], v[56:57]
	v_add_lshl_u32 v1, v1, v0, 3
	s_nop 0
	v_cndmask_b32_e64 v2, 1, v2, s[44:45]
	v_mul_lo_u32 v5, v2, v56
	v_or3_b32 v2, v55, v51, v49
	v_or3_b32 v2, v2, v47, v45
	;; [unrolled: 1-line block ×10, first 2 shown]
	v_and_b32_e32 v2, 1, v2
	v_cmp_eq_u32_e64 s[44:45], 1, v2
	s_nop 1
	v_cndmask_b32_e64 v6, v11, 1, s[44:45]
	v_cmp_gt_u32_e64 s[44:45], 64, v0
	ds_write_b32 v1, v5
	ds_write_b8 v1, v6 offset:4
	s_waitcnt lgkmcnt(0)
	s_barrier
	s_and_saveexec_b64 s[46:47], s[44:45]
	s_cbranch_execz .LBB517_232
; %bb.219:
	v_lshrrev_b32_e32 v1, 3, v0
	v_add_lshl_u32 v1, v1, v54, 3
	ds_read2_b32 v[8:9], v1 offset0:2 offset1:4
	ds_read_b64 v[2:3], v1
	ds_read_u8 v13, v1 offset:12
	ds_read_u8 v15, v1 offset:20
	ds_read_b32 v17, v1 offset:24
	ds_read_u8 v19, v1 offset:28
	v_mov_b32_e32 v21, 0
	s_waitcnt lgkmcnt(3)
	v_cmp_eq_u16_sdwa s[44:45], v13, v21 src0_sel:BYTE_0 src1_sel:DWORD
	v_and_b32_e32 v7, 1, v3
	s_nop 0
	v_cndmask_b32_e64 v23, 1, v2, s[44:45]
	v_mul_lo_u32 v8, v23, v8
	s_waitcnt lgkmcnt(2)
	v_cmp_eq_u16_sdwa s[44:45], v15, v21 src0_sel:BYTE_0 src1_sel:DWORD
	s_nop 1
	v_cndmask_b32_e64 v8, 1, v8, s[44:45]
	v_mul_lo_u32 v8, v8, v9
	s_waitcnt lgkmcnt(0)
	v_or_b32_e32 v9, v19, v15
	v_or_b32_e32 v9, v9, v13
	v_cmp_eq_u16_e64 s[44:45], 0, v19
	v_and_b32_e32 v9, 1, v9
	v_mbcnt_lo_u32_b32 v13, -1, 0
	v_cndmask_b32_e64 v8, 1, v8, s[44:45]
	v_cmp_eq_u32_e64 s[44:45], 1, v9
	v_and_b32_e32 v9, 0xffffff00, v3
	v_mbcnt_hi_u32_b32 v13, -1, v13
	v_cndmask_b32_e64 v15, v7, 1, s[44:45]
	v_mul_lo_u32 v8, v8, v17
	v_and_b32_e32 v19, 15, v13
	v_or_b32_sdwa v17, v9, v15 dst_sel:DWORD dst_unused:UNUSED_PAD src0_sel:DWORD src1_sel:WORD_0
	v_mov_b32_dpp v23, v8 row_shr:1 row_mask:0xf bank_mask:0xf
	v_cmp_ne_u32_e64 s[44:45], 0, v19
	v_mov_b32_dpp v21, v17 row_shr:1 row_mask:0xf bank_mask:0xf
	s_and_saveexec_b64 s[48:49], s[44:45]
; %bb.220:
	v_cmp_eq_u16_e64 s[44:45], 0, v15
	v_and_b32_e32 v15, 1, v15
	s_nop 0
	v_cndmask_b32_e64 v17, 1, v23, s[44:45]
	v_mul_lo_u32 v8, v17, v8
	v_and_b32_e32 v17, 1, v21
	v_cmp_eq_u32_e64 s[44:45], 1, v15
	s_nop 1
	v_cndmask_b32_e64 v15, v17, 1, s[44:45]
	v_or_b32_sdwa v17, v9, v15 dst_sel:DWORD dst_unused:UNUSED_PAD src0_sel:DWORD src1_sel:WORD_0
; %bb.221:
	s_or_b64 exec, exec, s[48:49]
	v_mov_b32_dpp v23, v8 row_shr:2 row_mask:0xf bank_mask:0xf
	v_mov_b32_dpp v21, v17 row_shr:2 row_mask:0xf bank_mask:0xf
	v_cmp_lt_u32_e64 s[44:45], 1, v19
	s_and_saveexec_b64 s[48:49], s[44:45]
; %bb.222:
	v_cmp_eq_u16_e64 s[44:45], 0, v15
	v_and_b32_e32 v15, 1, v15
	s_nop 0
	v_cndmask_b32_e64 v17, 1, v23, s[44:45]
	v_mul_lo_u32 v8, v17, v8
	v_and_b32_e32 v17, 1, v21
	v_cmp_eq_u32_e64 s[44:45], 1, v15
	s_nop 1
	v_cndmask_b32_e64 v15, v17, 1, s[44:45]
	v_or_b32_sdwa v17, v9, v15 dst_sel:DWORD dst_unused:UNUSED_PAD src0_sel:DWORD src1_sel:WORD_0
; %bb.223:
	s_or_b64 exec, exec, s[48:49]
	v_mov_b32_dpp v23, v8 row_shr:4 row_mask:0xf bank_mask:0xf
	v_mov_b32_dpp v21, v17 row_shr:4 row_mask:0xf bank_mask:0xf
	v_cmp_lt_u32_e64 s[44:45], 3, v19
	;; [unrolled: 17-line block ×3, first 2 shown]
	s_and_saveexec_b64 s[48:49], s[44:45]
; %bb.226:
	v_cmp_eq_u16_e64 s[44:45], 0, v15
	v_and_b32_e32 v15, 1, v15
	s_nop 0
	v_cndmask_b32_e64 v17, 1, v23, s[44:45]
	v_mul_lo_u32 v8, v17, v8
	v_and_b32_e32 v17, 1, v21
	v_cmp_eq_u32_e64 s[44:45], 1, v15
	s_nop 1
	v_cndmask_b32_e64 v15, v17, 1, s[44:45]
	v_or_b32_sdwa v17, v9, v15 dst_sel:DWORD dst_unused:UNUSED_PAD src0_sel:DWORD src1_sel:WORD_0
; %bb.227:
	s_or_b64 exec, exec, s[48:49]
	v_and_b32_e32 v23, 16, v13
	v_mov_b32_dpp v21, v8 row_bcast:15 row_mask:0xf bank_mask:0xf
	v_mov_b32_dpp v19, v17 row_bcast:15 row_mask:0xf bank_mask:0xf
	v_cmp_ne_u32_e64 s[44:45], 0, v23
	s_and_saveexec_b64 s[48:49], s[44:45]
; %bb.228:
	v_cmp_eq_u16_e64 s[44:45], 0, v15
	v_and_b32_e32 v15, 1, v15
	s_nop 0
	v_cndmask_b32_e64 v17, 1, v21, s[44:45]
	v_mul_lo_u32 v8, v17, v8
	v_and_b32_e32 v17, 1, v19
	v_cmp_eq_u32_e64 s[44:45], 1, v15
	s_nop 1
	v_cndmask_b32_e64 v15, v17, 1, s[44:45]
	v_or_b32_sdwa v17, v9, v15 dst_sel:DWORD dst_unused:UNUSED_PAD src0_sel:DWORD src1_sel:WORD_0
; %bb.229:
	s_or_b64 exec, exec, s[48:49]
	v_mov_b32_dpp v19, v8 row_bcast:31 row_mask:0xf bank_mask:0xf
	v_mov_b32_dpp v17, v17 row_bcast:31 row_mask:0xf bank_mask:0xf
	v_cmp_lt_u32_e64 s[44:45], 31, v13
	s_and_saveexec_b64 s[48:49], s[44:45]
; %bb.230:
	v_cmp_eq_u16_e64 s[44:45], 0, v15
	v_and_b32_e32 v15, 1, v15
	v_and_b32_e32 v17, 1, v17
	v_cndmask_b32_e64 v19, 1, v19, s[44:45]
	v_cmp_eq_u32_e64 s[44:45], 1, v15
	v_mul_lo_u32 v8, v19, v8
	s_nop 0
	v_cndmask_b32_e64 v15, v17, 1, s[44:45]
; %bb.231:
	s_or_b64 exec, exec, s[48:49]
	v_add_u32_e32 v17, -1, v13
	v_and_b32_e32 v19, 64, v13
	v_cmp_lt_i32_e64 s[44:45], v17, v19
	v_or_b32_sdwa v9, v9, v15 dst_sel:DWORD dst_unused:UNUSED_PAD src0_sel:DWORD src1_sel:WORD_0
	s_nop 0
	v_cndmask_b32_e64 v13, v17, v13, s[44:45]
	v_lshlrev_b32_e32 v13, 2, v13
	ds_bpermute_b32 v8, v13, v8
	ds_bpermute_b32 v9, v13, v9
	v_mov_b32_e32 v13, 0
	v_cmp_eq_u16_sdwa s[44:45], v3, v13 src0_sel:BYTE_0 src1_sel:DWORD
	; wave barrier
	s_waitcnt lgkmcnt(1)
	s_nop 0
	v_cndmask_b32_e64 v3, 1, v8, s[44:45]
	v_mul_lo_u32 v2, v3, v2
	s_waitcnt lgkmcnt(0)
	v_and_b32_e32 v3, 1, v9
	v_cmp_eq_u32_e64 s[44:45], 1, v7
	s_nop 1
	v_cndmask_b32_e64 v3, v3, 1, s[44:45]
	v_cmp_eq_u32_e64 s[44:45], 0, v0
	s_nop 1
	v_cndmask_b32_e64 v5, v2, v5, s[44:45]
	v_cndmask_b32_e64 v6, v3, v6, s[44:45]
	ds_write_b32 v1, v5
	ds_write_b8 v1, v6 offset:4
	; wave barrier
	ds_read_u8 v7, v1 offset:12
	ds_read2_b32 v[2:3], v1 offset0:2 offset1:4
	ds_read_u8 v8, v1 offset:20
	ds_read_b32 v9, v1 offset:24
	ds_read_u8 v13, v1 offset:28
	s_waitcnt lgkmcnt(4)
	v_cmp_eq_u16_e64 s[44:45], 0, v7
	s_nop 1
	v_cndmask_b32_e64 v5, 1, v5, s[44:45]
	s_waitcnt lgkmcnt(3)
	v_mul_lo_u32 v2, v5, v2
	v_and_b32_e32 v5, 1, v7
	v_cmp_eq_u32_e64 s[44:45], 1, v5
	s_nop 1
	v_cndmask_b32_e64 v5, v6, 1, s[44:45]
	s_waitcnt lgkmcnt(2)
	v_cmp_eq_u16_e64 s[44:45], 0, v8
	ds_write_b8 v1, v5 offset:12
	s_nop 0
	v_cndmask_b32_e64 v6, 1, v2, s[44:45]
	v_mul_lo_u32 v3, v6, v3
	v_and_b32_e32 v6, 1, v8
	v_cmp_eq_u32_e64 s[44:45], 1, v6
	s_nop 1
	v_cndmask_b32_e64 v5, v5, 1, s[44:45]
	s_waitcnt lgkmcnt(1)
	v_cmp_eq_u16_e64 s[44:45], 0, v13
	ds_write2_b32 v1, v2, v3 offset0:2 offset1:4
	ds_write_b8 v1, v5 offset:20
	v_cndmask_b32_e64 v2, 1, v3, s[44:45]
	v_and_b32_e32 v3, 1, v13
	v_mul_lo_u32 v2, v2, v9
	v_cmp_eq_u32_e64 s[44:45], 1, v3
	s_nop 1
	v_cndmask_b32_e64 v3, v5, 1, s[44:45]
	ds_write_b32 v1, v2 offset:24
	ds_write_b8 v1, v3 offset:28
.LBB517_232:
	s_or_b64 exec, exec, s[46:47]
	v_cmp_eq_u32_e64 s[44:45], 0, v0
	v_cmp_ne_u32_e64 s[46:47], 0, v0
	s_waitcnt vmcnt(0)
	v_mov_b32_e32 v58, v4
	s_waitcnt lgkmcnt(0)
	s_barrier
	s_and_saveexec_b64 s[48:49], s[46:47]
	s_cbranch_execz .LBB517_234
; %bb.233:
	v_add_u32_e32 v1, -1, v0
	v_lshrrev_b32_e32 v2, 5, v1
	v_add_lshl_u32 v1, v2, v1, 3
	ds_read_u8 v2, v1 offset:4
	ds_read_b32 v1, v1
	s_waitcnt lgkmcnt(1)
	v_cmp_eq_u16_e64 s[46:47], 0, v2
	s_nop 1
	v_cndmask_b32_e64 v2, 1, v4, s[46:47]
	s_waitcnt lgkmcnt(0)
	v_mul_lo_u32 v58, v2, v1
.LBB517_234:
	s_or_b64 exec, exec, s[48:49]
	v_and_b32_e32 v3, 0xff, v11
	v_mov_b32_e32 v2, 0
	v_cmp_eq_u64_e64 s[46:47], 0, v[2:3]
	s_nop 1
	v_cndmask_b32_e64 v1, 1, v58, s[46:47]
	v_mul_lo_u32 v59, v1, v10
	v_cndmask_b32_e32 v1, 1, v59, vcc
	v_mul_lo_u32 v60, v1, v12
	v_cndmask_b32_e64 v1, 1, v60, s[2:3]
	v_mul_lo_u32 v61, v1, v14
	v_cndmask_b32_e64 v1, 1, v61, s[4:5]
	;; [unrolled: 2-line block ×20, first 2 shown]
	s_and_saveexec_b64 s[2:3], s[44:45]
	s_cbranch_execz .LBB517_236
; %bb.235:
	ds_read_u8 v3, v2 offset:2100
	ds_read_b32 v5, v2 offset:2096
	s_add_u32 s4, s56, 0x400
	s_addc_u32 s5, s57, 0
	v_mov_b32_e32 v6, 2
	s_waitcnt lgkmcnt(1)
	v_cmp_eq_u16_e32 vcc, 0, v3
	v_mov_b32_e32 v7, v2
	s_nop 0
	v_cndmask_b32_e32 v4, 1, v4, vcc
	s_waitcnt lgkmcnt(0)
	v_mul_lo_u32 v4, v4, v5
	v_and_b32_e32 v5, 0xffff, v3
	v_mov_b64_e32 v[2:3], s[4:5]
	;;#ASMSTART
	global_store_dwordx4 v[2:3], v[4:7] off sc1	
s_waitcnt vmcnt(0)
	;;#ASMEND
.LBB517_236:
	s_or_b64 exec, exec, s[2:3]
	v_mul_lo_u32 v80, v1, v52
.LBB517_237:
	s_add_u32 s2, s54, s64
	s_addc_u32 s3, s55, s65
	s_add_u32 s2, s2, s52
	s_addc_u32 s3, s3, s53
	s_and_b64 vcc, exec, s[0:1]
	s_cbranch_vccz .LBB517_283
; %bb.238:
	s_movk_i32 s0, 0x5c
	v_mul_i32_i24_e32 v26, 0xffffffa8, v0
	v_mul_u32_u24_e32 v1, 0x5c, v0
	v_mad_u32_u24 v2, v0, s0, v26
	s_barrier
	ds_write2_b32 v1, v58, v59 offset1:1
	ds_write2_b32 v1, v60, v61 offset0:2 offset1:3
	ds_write2_b32 v1, v62, v63 offset0:4 offset1:5
	;; [unrolled: 1-line block ×10, first 2 shown]
	ds_write_b32 v1, v80 offset:88
	s_waitcnt lgkmcnt(0)
	s_barrier
	ds_read2st64_b32 v[24:25], v2 offset0:4 offset1:8
	ds_read2st64_b32 v[22:23], v2 offset0:12 offset1:16
	;; [unrolled: 1-line block ×11, first 2 shown]
	s_add_i32 s33, s33, s58
	v_mov_b32_e32 v55, 0
	v_lshl_add_u64 v[4:5], s[2:3], 0, v[54:55]
	v_cmp_gt_u32_e32 vcc, s33, v0
	s_and_saveexec_b64 s[0:1], vcc
	s_cbranch_execz .LBB517_240
; %bb.239:
	v_add_u32_e32 v1, v1, v26
	ds_read_b32 v1, v1
	s_waitcnt lgkmcnt(0)
	flat_store_dword v[4:5], v1
.LBB517_240:
	s_or_b64 exec, exec, s[0:1]
	v_or_b32_e32 v1, 0x100, v0
	v_cmp_gt_u32_e32 vcc, s33, v1
	s_and_saveexec_b64 s[0:1], vcc
	s_cbranch_execz .LBB517_242
; %bb.241:
	s_waitcnt lgkmcnt(0)
	flat_store_dword v[4:5], v24 offset:1024
.LBB517_242:
	s_or_b64 exec, exec, s[0:1]
	v_or_b32_e32 v1, 0x200, v0
	v_cmp_gt_u32_e32 vcc, s33, v1
	s_and_saveexec_b64 s[0:1], vcc
	s_cbranch_execz .LBB517_244
; %bb.243:
	s_waitcnt lgkmcnt(0)
	flat_store_dword v[4:5], v25 offset:2048
.LBB517_244:
	;; [unrolled: 9-line block ×3, first 2 shown]
	s_or_b64 exec, exec, s[0:1]
	v_or_b32_e32 v1, 0x400, v0
	v_cmp_gt_u32_e32 vcc, s33, v1
	s_and_saveexec_b64 s[0:1], vcc
	s_cbranch_execz .LBB517_248
; %bb.247:
	s_waitcnt lgkmcnt(0)
	v_add_co_u32_e32 v24, vcc, 0x1000, v4
	s_nop 1
	v_addc_co_u32_e32 v25, vcc, 0, v5, vcc
	flat_store_dword v[24:25], v23
.LBB517_248:
	s_or_b64 exec, exec, s[0:1]
	v_or_b32_e32 v1, 0x500, v0
	v_cmp_gt_u32_e32 vcc, s33, v1
	s_and_saveexec_b64 s[0:1], vcc
	s_cbranch_execz .LBB517_250
; %bb.249:
	s_waitcnt lgkmcnt(0)
	v_add_co_u32_e32 v22, vcc, 0x1000, v4
	s_nop 1
	v_addc_co_u32_e32 v23, vcc, 0, v5, vcc
	flat_store_dword v[22:23], v20 offset:1024
.LBB517_250:
	s_or_b64 exec, exec, s[0:1]
	v_or_b32_e32 v1, 0x600, v0
	v_cmp_gt_u32_e32 vcc, s33, v1
	s_and_saveexec_b64 s[0:1], vcc
	s_cbranch_execz .LBB517_252
; %bb.251:
	s_waitcnt lgkmcnt(0)
	v_add_co_u32_e32 v22, vcc, 0x1000, v4
	s_nop 1
	v_addc_co_u32_e32 v23, vcc, 0, v5, vcc
	flat_store_dword v[22:23], v21 offset:2048
.LBB517_252:
	s_or_b64 exec, exec, s[0:1]
	v_or_b32_e32 v1, 0x700, v0
	v_cmp_gt_u32_e32 vcc, s33, v1
	s_and_saveexec_b64 s[0:1], vcc
	s_cbranch_execz .LBB517_254
; %bb.253:
	s_waitcnt lgkmcnt(0)
	v_add_co_u32_e32 v20, vcc, 0x1000, v4
	s_nop 1
	v_addc_co_u32_e32 v21, vcc, 0, v5, vcc
	flat_store_dword v[20:21], v18 offset:3072
.LBB517_254:
	s_or_b64 exec, exec, s[0:1]
	v_or_b32_e32 v1, 0x800, v0
	v_cmp_gt_u32_e32 vcc, s33, v1
	s_and_saveexec_b64 s[0:1], vcc
	s_cbranch_execz .LBB517_256
; %bb.255:
	s_waitcnt lgkmcnt(0)
	v_add_co_u32_e32 v20, vcc, 0x2000, v4
	s_nop 1
	v_addc_co_u32_e32 v21, vcc, 0, v5, vcc
	flat_store_dword v[20:21], v19
.LBB517_256:
	s_or_b64 exec, exec, s[0:1]
	v_or_b32_e32 v1, 0x900, v0
	v_cmp_gt_u32_e32 vcc, s33, v1
	s_and_saveexec_b64 s[0:1], vcc
	s_cbranch_execz .LBB517_258
; %bb.257:
	s_waitcnt lgkmcnt(0)
	v_add_co_u32_e32 v18, vcc, 0x2000, v4
	s_nop 1
	v_addc_co_u32_e32 v19, vcc, 0, v5, vcc
	flat_store_dword v[18:19], v16 offset:1024
.LBB517_258:
	s_or_b64 exec, exec, s[0:1]
	v_or_b32_e32 v1, 0xa00, v0
	v_cmp_gt_u32_e32 vcc, s33, v1
	s_and_saveexec_b64 s[0:1], vcc
	s_cbranch_execz .LBB517_260
; %bb.259:
	s_waitcnt lgkmcnt(0)
	v_add_co_u32_e32 v18, vcc, 0x2000, v4
	s_nop 1
	v_addc_co_u32_e32 v19, vcc, 0, v5, vcc
	flat_store_dword v[18:19], v17 offset:2048
.LBB517_260:
	s_or_b64 exec, exec, s[0:1]
	v_or_b32_e32 v1, 0xb00, v0
	v_cmp_gt_u32_e32 vcc, s33, v1
	s_and_saveexec_b64 s[0:1], vcc
	s_cbranch_execz .LBB517_262
; %bb.261:
	s_waitcnt lgkmcnt(0)
	v_add_co_u32_e32 v16, vcc, 0x2000, v4
	s_nop 1
	v_addc_co_u32_e32 v17, vcc, 0, v5, vcc
	flat_store_dword v[16:17], v14 offset:3072
.LBB517_262:
	;; [unrolled: 48-line block ×4, first 2 shown]
	s_or_b64 exec, exec, s[0:1]
	v_or_b32_e32 v1, 0x1400, v0
	v_cmp_gt_u32_e32 vcc, s33, v1
	s_and_saveexec_b64 s[0:1], vcc
	s_cbranch_execz .LBB517_280
; %bb.279:
	s_waitcnt lgkmcnt(0)
	v_add_co_u32_e32 v8, vcc, 0x5000, v4
	s_nop 1
	v_addc_co_u32_e32 v9, vcc, 0, v5, vcc
	flat_store_dword v[8:9], v7
.LBB517_280:
	s_or_b64 exec, exec, s[0:1]
	v_or_b32_e32 v1, 0x1500, v0
	v_cmp_gt_u32_e32 vcc, s33, v1
	s_and_saveexec_b64 s[0:1], vcc
	s_cbranch_execz .LBB517_282
; %bb.281:
	v_add_co_u32_e32 v4, vcc, 0x5000, v4
	s_nop 1
	v_addc_co_u32_e32 v5, vcc, 0, v5, vcc
	s_waitcnt lgkmcnt(0)
	flat_store_dword v[4:5], v2 offset:1024
.LBB517_282:
	s_or_b64 exec, exec, s[0:1]
	s_waitcnt lgkmcnt(0)
	v_or_b32_e32 v2, 0x1600, v0
	v_mov_b32_e32 v1, v55
	v_cmp_gt_u32_e64 s[0:1], s33, v2
	s_branch .LBB517_285
.LBB517_283:
	s_mov_b64 s[0:1], 0
                                        ; implicit-def: $vgpr3
	s_cbranch_execz .LBB517_285
; %bb.284:
	v_mul_u32_u24_e32 v1, 0x5c, v0
	s_barrier
	s_movk_i32 s4, 0x5c
	ds_write2_b32 v1, v58, v59 offset1:1
	ds_write2_b32 v1, v60, v61 offset0:2 offset1:3
	ds_write2_b32 v1, v62, v63 offset0:4 offset1:5
	;; [unrolled: 1-line block ×10, first 2 shown]
	ds_write_b32 v1, v80 offset:88
	v_mov_b32_e32 v1, 0
	v_mul_i32_i24_e32 v2, 0xffffffa8, v0
	v_mad_u32_u24 v2, v0, s4, v2
	v_mov_b32_e32 v55, v1
	s_waitcnt lgkmcnt(0)
	s_barrier
	ds_read2st64_b32 v[4:5], v2 offset1:4
	ds_read2st64_b32 v[6:7], v2 offset0:8 offset1:12
	ds_read2st64_b32 v[8:9], v2 offset0:16 offset1:20
	;; [unrolled: 1-line block ×10, first 2 shown]
	ds_read_b32 v3, v2 offset:22528
	v_lshl_add_u64 v[26:27], s[2:3], 0, v[54:55]
	s_movk_i32 s4, 0x1000
	s_waitcnt lgkmcnt(0)
	flat_store_dword v[26:27], v4
	flat_store_dword v[26:27], v5 offset:1024
	flat_store_dword v[26:27], v6 offset:2048
	;; [unrolled: 1-line block ×3, first 2 shown]
	v_add_co_u32_e32 v4, vcc, s4, v26
	s_movk_i32 s4, 0x2000
	s_nop 0
	v_addc_co_u32_e32 v5, vcc, 0, v27, vcc
	flat_store_dword v[4:5], v8
	flat_store_dword v[4:5], v9 offset:1024
	flat_store_dword v[4:5], v10 offset:2048
	;; [unrolled: 1-line block ×3, first 2 shown]
	v_add_co_u32_e32 v4, vcc, s4, v26
	s_movk_i32 s4, 0x3000
	s_nop 0
	v_addc_co_u32_e32 v5, vcc, 0, v27, vcc
	flat_store_dword v[4:5], v12
	flat_store_dword v[4:5], v13 offset:1024
	flat_store_dword v[4:5], v14 offset:2048
	;; [unrolled: 1-line block ×3, first 2 shown]
	v_add_co_u32_e32 v4, vcc, s4, v26
	s_or_b64 s[0:1], s[0:1], exec
	s_nop 0
	v_addc_co_u32_e32 v5, vcc, 0, v27, vcc
	flat_store_dword v[4:5], v16
	flat_store_dword v[4:5], v17 offset:1024
	flat_store_dword v[4:5], v18 offset:2048
	;; [unrolled: 1-line block ×3, first 2 shown]
	v_add_co_u32_e32 v4, vcc, 0x4000, v26
	s_nop 1
	v_addc_co_u32_e32 v5, vcc, 0, v27, vcc
	flat_store_dword v[4:5], v20
	flat_store_dword v[4:5], v21 offset:1024
	flat_store_dword v[4:5], v22 offset:2048
	;; [unrolled: 1-line block ×3, first 2 shown]
	v_add_co_u32_e32 v4, vcc, 0x5000, v26
	s_nop 1
	v_addc_co_u32_e32 v5, vcc, 0, v27, vcc
	flat_store_dword v[4:5], v24
	flat_store_dword v[4:5], v25 offset:1024
.LBB517_285:
	s_and_saveexec_b64 s[4:5], s[0:1]
	s_cbranch_execz .LBB517_287
; %bb.286:
	v_lshl_add_u64 v[0:1], v[0:1], 2, s[2:3]
	v_add_co_u32_e32 v0, vcc, 0x5000, v0
	s_nop 1
	v_addc_co_u32_e32 v1, vcc, 0, v1, vcc
	flat_store_dword v[0:1], v3 offset:2048
	s_endpgm
.LBB517_287:
	s_endpgm
	.section	.rodata,"a",@progbits
	.p2align	6, 0x0
	.amdhsa_kernel _ZN7rocprim17ROCPRIM_400000_NS6detail17trampoline_kernelINS0_14default_configENS1_27scan_by_key_config_selectorIiiEEZZNS1_16scan_by_key_implILNS1_25lookback_scan_determinismE0ELb1ES3_N6thrust23THRUST_200600_302600_NS6detail15normal_iteratorINS9_10device_ptrIiEEEESE_SE_iNS9_10multipliesIiEENS9_8equal_toIiEEiEE10hipError_tPvRmT2_T3_T4_T5_mT6_T7_P12ihipStream_tbENKUlT_T0_E_clISt17integral_constantIbLb1EESY_IbLb0EEEEDaSU_SV_EUlSU_E_NS1_11comp_targetILNS1_3genE5ELNS1_11target_archE942ELNS1_3gpuE9ELNS1_3repE0EEENS1_30default_config_static_selectorELNS0_4arch9wavefront6targetE1EEEvT1_
		.amdhsa_group_segment_fixed_size 25600
		.amdhsa_private_segment_fixed_size 0
		.amdhsa_kernarg_size 112
		.amdhsa_user_sgpr_count 2
		.amdhsa_user_sgpr_dispatch_ptr 0
		.amdhsa_user_sgpr_queue_ptr 0
		.amdhsa_user_sgpr_kernarg_segment_ptr 1
		.amdhsa_user_sgpr_dispatch_id 0
		.amdhsa_user_sgpr_kernarg_preload_length 0
		.amdhsa_user_sgpr_kernarg_preload_offset 0
		.amdhsa_user_sgpr_private_segment_size 0
		.amdhsa_uses_dynamic_stack 0
		.amdhsa_enable_private_segment 0
		.amdhsa_system_sgpr_workgroup_id_x 1
		.amdhsa_system_sgpr_workgroup_id_y 0
		.amdhsa_system_sgpr_workgroup_id_z 0
		.amdhsa_system_sgpr_workgroup_info 0
		.amdhsa_system_vgpr_workitem_id 0
		.amdhsa_next_free_vgpr 81
		.amdhsa_next_free_sgpr 80
		.amdhsa_accum_offset 84
		.amdhsa_reserve_vcc 1
		.amdhsa_float_round_mode_32 0
		.amdhsa_float_round_mode_16_64 0
		.amdhsa_float_denorm_mode_32 3
		.amdhsa_float_denorm_mode_16_64 3
		.amdhsa_dx10_clamp 1
		.amdhsa_ieee_mode 1
		.amdhsa_fp16_overflow 0
		.amdhsa_tg_split 0
		.amdhsa_exception_fp_ieee_invalid_op 0
		.amdhsa_exception_fp_denorm_src 0
		.amdhsa_exception_fp_ieee_div_zero 0
		.amdhsa_exception_fp_ieee_overflow 0
		.amdhsa_exception_fp_ieee_underflow 0
		.amdhsa_exception_fp_ieee_inexact 0
		.amdhsa_exception_int_div_zero 0
	.end_amdhsa_kernel
	.section	.text._ZN7rocprim17ROCPRIM_400000_NS6detail17trampoline_kernelINS0_14default_configENS1_27scan_by_key_config_selectorIiiEEZZNS1_16scan_by_key_implILNS1_25lookback_scan_determinismE0ELb1ES3_N6thrust23THRUST_200600_302600_NS6detail15normal_iteratorINS9_10device_ptrIiEEEESE_SE_iNS9_10multipliesIiEENS9_8equal_toIiEEiEE10hipError_tPvRmT2_T3_T4_T5_mT6_T7_P12ihipStream_tbENKUlT_T0_E_clISt17integral_constantIbLb1EESY_IbLb0EEEEDaSU_SV_EUlSU_E_NS1_11comp_targetILNS1_3genE5ELNS1_11target_archE942ELNS1_3gpuE9ELNS1_3repE0EEENS1_30default_config_static_selectorELNS0_4arch9wavefront6targetE1EEEvT1_,"axG",@progbits,_ZN7rocprim17ROCPRIM_400000_NS6detail17trampoline_kernelINS0_14default_configENS1_27scan_by_key_config_selectorIiiEEZZNS1_16scan_by_key_implILNS1_25lookback_scan_determinismE0ELb1ES3_N6thrust23THRUST_200600_302600_NS6detail15normal_iteratorINS9_10device_ptrIiEEEESE_SE_iNS9_10multipliesIiEENS9_8equal_toIiEEiEE10hipError_tPvRmT2_T3_T4_T5_mT6_T7_P12ihipStream_tbENKUlT_T0_E_clISt17integral_constantIbLb1EESY_IbLb0EEEEDaSU_SV_EUlSU_E_NS1_11comp_targetILNS1_3genE5ELNS1_11target_archE942ELNS1_3gpuE9ELNS1_3repE0EEENS1_30default_config_static_selectorELNS0_4arch9wavefront6targetE1EEEvT1_,comdat
.Lfunc_end517:
	.size	_ZN7rocprim17ROCPRIM_400000_NS6detail17trampoline_kernelINS0_14default_configENS1_27scan_by_key_config_selectorIiiEEZZNS1_16scan_by_key_implILNS1_25lookback_scan_determinismE0ELb1ES3_N6thrust23THRUST_200600_302600_NS6detail15normal_iteratorINS9_10device_ptrIiEEEESE_SE_iNS9_10multipliesIiEENS9_8equal_toIiEEiEE10hipError_tPvRmT2_T3_T4_T5_mT6_T7_P12ihipStream_tbENKUlT_T0_E_clISt17integral_constantIbLb1EESY_IbLb0EEEEDaSU_SV_EUlSU_E_NS1_11comp_targetILNS1_3genE5ELNS1_11target_archE942ELNS1_3gpuE9ELNS1_3repE0EEENS1_30default_config_static_selectorELNS0_4arch9wavefront6targetE1EEEvT1_, .Lfunc_end517-_ZN7rocprim17ROCPRIM_400000_NS6detail17trampoline_kernelINS0_14default_configENS1_27scan_by_key_config_selectorIiiEEZZNS1_16scan_by_key_implILNS1_25lookback_scan_determinismE0ELb1ES3_N6thrust23THRUST_200600_302600_NS6detail15normal_iteratorINS9_10device_ptrIiEEEESE_SE_iNS9_10multipliesIiEENS9_8equal_toIiEEiEE10hipError_tPvRmT2_T3_T4_T5_mT6_T7_P12ihipStream_tbENKUlT_T0_E_clISt17integral_constantIbLb1EESY_IbLb0EEEEDaSU_SV_EUlSU_E_NS1_11comp_targetILNS1_3genE5ELNS1_11target_archE942ELNS1_3gpuE9ELNS1_3repE0EEENS1_30default_config_static_selectorELNS0_4arch9wavefront6targetE1EEEvT1_
                                        ; -- End function
	.section	.AMDGPU.csdata,"",@progbits
; Kernel info:
; codeLenInByte = 16260
; NumSgprs: 86
; NumVgprs: 81
; NumAgprs: 0
; TotalNumVgprs: 81
; ScratchSize: 0
; MemoryBound: 0
; FloatMode: 240
; IeeeMode: 1
; LDSByteSize: 25600 bytes/workgroup (compile time only)
; SGPRBlocks: 10
; VGPRBlocks: 10
; NumSGPRsForWavesPerEU: 86
; NumVGPRsForWavesPerEU: 81
; AccumOffset: 84
; Occupancy: 2
; WaveLimiterHint : 1
; COMPUTE_PGM_RSRC2:SCRATCH_EN: 0
; COMPUTE_PGM_RSRC2:USER_SGPR: 2
; COMPUTE_PGM_RSRC2:TRAP_HANDLER: 0
; COMPUTE_PGM_RSRC2:TGID_X_EN: 1
; COMPUTE_PGM_RSRC2:TGID_Y_EN: 0
; COMPUTE_PGM_RSRC2:TGID_Z_EN: 0
; COMPUTE_PGM_RSRC2:TIDIG_COMP_CNT: 0
; COMPUTE_PGM_RSRC3_GFX90A:ACCUM_OFFSET: 20
; COMPUTE_PGM_RSRC3_GFX90A:TG_SPLIT: 0
	.section	.text._ZN7rocprim17ROCPRIM_400000_NS6detail17trampoline_kernelINS0_14default_configENS1_27scan_by_key_config_selectorIiiEEZZNS1_16scan_by_key_implILNS1_25lookback_scan_determinismE0ELb1ES3_N6thrust23THRUST_200600_302600_NS6detail15normal_iteratorINS9_10device_ptrIiEEEESE_SE_iNS9_10multipliesIiEENS9_8equal_toIiEEiEE10hipError_tPvRmT2_T3_T4_T5_mT6_T7_P12ihipStream_tbENKUlT_T0_E_clISt17integral_constantIbLb1EESY_IbLb0EEEEDaSU_SV_EUlSU_E_NS1_11comp_targetILNS1_3genE4ELNS1_11target_archE910ELNS1_3gpuE8ELNS1_3repE0EEENS1_30default_config_static_selectorELNS0_4arch9wavefront6targetE1EEEvT1_,"axG",@progbits,_ZN7rocprim17ROCPRIM_400000_NS6detail17trampoline_kernelINS0_14default_configENS1_27scan_by_key_config_selectorIiiEEZZNS1_16scan_by_key_implILNS1_25lookback_scan_determinismE0ELb1ES3_N6thrust23THRUST_200600_302600_NS6detail15normal_iteratorINS9_10device_ptrIiEEEESE_SE_iNS9_10multipliesIiEENS9_8equal_toIiEEiEE10hipError_tPvRmT2_T3_T4_T5_mT6_T7_P12ihipStream_tbENKUlT_T0_E_clISt17integral_constantIbLb1EESY_IbLb0EEEEDaSU_SV_EUlSU_E_NS1_11comp_targetILNS1_3genE4ELNS1_11target_archE910ELNS1_3gpuE8ELNS1_3repE0EEENS1_30default_config_static_selectorELNS0_4arch9wavefront6targetE1EEEvT1_,comdat
	.protected	_ZN7rocprim17ROCPRIM_400000_NS6detail17trampoline_kernelINS0_14default_configENS1_27scan_by_key_config_selectorIiiEEZZNS1_16scan_by_key_implILNS1_25lookback_scan_determinismE0ELb1ES3_N6thrust23THRUST_200600_302600_NS6detail15normal_iteratorINS9_10device_ptrIiEEEESE_SE_iNS9_10multipliesIiEENS9_8equal_toIiEEiEE10hipError_tPvRmT2_T3_T4_T5_mT6_T7_P12ihipStream_tbENKUlT_T0_E_clISt17integral_constantIbLb1EESY_IbLb0EEEEDaSU_SV_EUlSU_E_NS1_11comp_targetILNS1_3genE4ELNS1_11target_archE910ELNS1_3gpuE8ELNS1_3repE0EEENS1_30default_config_static_selectorELNS0_4arch9wavefront6targetE1EEEvT1_ ; -- Begin function _ZN7rocprim17ROCPRIM_400000_NS6detail17trampoline_kernelINS0_14default_configENS1_27scan_by_key_config_selectorIiiEEZZNS1_16scan_by_key_implILNS1_25lookback_scan_determinismE0ELb1ES3_N6thrust23THRUST_200600_302600_NS6detail15normal_iteratorINS9_10device_ptrIiEEEESE_SE_iNS9_10multipliesIiEENS9_8equal_toIiEEiEE10hipError_tPvRmT2_T3_T4_T5_mT6_T7_P12ihipStream_tbENKUlT_T0_E_clISt17integral_constantIbLb1EESY_IbLb0EEEEDaSU_SV_EUlSU_E_NS1_11comp_targetILNS1_3genE4ELNS1_11target_archE910ELNS1_3gpuE8ELNS1_3repE0EEENS1_30default_config_static_selectorELNS0_4arch9wavefront6targetE1EEEvT1_
	.globl	_ZN7rocprim17ROCPRIM_400000_NS6detail17trampoline_kernelINS0_14default_configENS1_27scan_by_key_config_selectorIiiEEZZNS1_16scan_by_key_implILNS1_25lookback_scan_determinismE0ELb1ES3_N6thrust23THRUST_200600_302600_NS6detail15normal_iteratorINS9_10device_ptrIiEEEESE_SE_iNS9_10multipliesIiEENS9_8equal_toIiEEiEE10hipError_tPvRmT2_T3_T4_T5_mT6_T7_P12ihipStream_tbENKUlT_T0_E_clISt17integral_constantIbLb1EESY_IbLb0EEEEDaSU_SV_EUlSU_E_NS1_11comp_targetILNS1_3genE4ELNS1_11target_archE910ELNS1_3gpuE8ELNS1_3repE0EEENS1_30default_config_static_selectorELNS0_4arch9wavefront6targetE1EEEvT1_
	.p2align	8
	.type	_ZN7rocprim17ROCPRIM_400000_NS6detail17trampoline_kernelINS0_14default_configENS1_27scan_by_key_config_selectorIiiEEZZNS1_16scan_by_key_implILNS1_25lookback_scan_determinismE0ELb1ES3_N6thrust23THRUST_200600_302600_NS6detail15normal_iteratorINS9_10device_ptrIiEEEESE_SE_iNS9_10multipliesIiEENS9_8equal_toIiEEiEE10hipError_tPvRmT2_T3_T4_T5_mT6_T7_P12ihipStream_tbENKUlT_T0_E_clISt17integral_constantIbLb1EESY_IbLb0EEEEDaSU_SV_EUlSU_E_NS1_11comp_targetILNS1_3genE4ELNS1_11target_archE910ELNS1_3gpuE8ELNS1_3repE0EEENS1_30default_config_static_selectorELNS0_4arch9wavefront6targetE1EEEvT1_,@function
_ZN7rocprim17ROCPRIM_400000_NS6detail17trampoline_kernelINS0_14default_configENS1_27scan_by_key_config_selectorIiiEEZZNS1_16scan_by_key_implILNS1_25lookback_scan_determinismE0ELb1ES3_N6thrust23THRUST_200600_302600_NS6detail15normal_iteratorINS9_10device_ptrIiEEEESE_SE_iNS9_10multipliesIiEENS9_8equal_toIiEEiEE10hipError_tPvRmT2_T3_T4_T5_mT6_T7_P12ihipStream_tbENKUlT_T0_E_clISt17integral_constantIbLb1EESY_IbLb0EEEEDaSU_SV_EUlSU_E_NS1_11comp_targetILNS1_3genE4ELNS1_11target_archE910ELNS1_3gpuE8ELNS1_3repE0EEENS1_30default_config_static_selectorELNS0_4arch9wavefront6targetE1EEEvT1_: ; @_ZN7rocprim17ROCPRIM_400000_NS6detail17trampoline_kernelINS0_14default_configENS1_27scan_by_key_config_selectorIiiEEZZNS1_16scan_by_key_implILNS1_25lookback_scan_determinismE0ELb1ES3_N6thrust23THRUST_200600_302600_NS6detail15normal_iteratorINS9_10device_ptrIiEEEESE_SE_iNS9_10multipliesIiEENS9_8equal_toIiEEiEE10hipError_tPvRmT2_T3_T4_T5_mT6_T7_P12ihipStream_tbENKUlT_T0_E_clISt17integral_constantIbLb1EESY_IbLb0EEEEDaSU_SV_EUlSU_E_NS1_11comp_targetILNS1_3genE4ELNS1_11target_archE910ELNS1_3gpuE8ELNS1_3repE0EEENS1_30default_config_static_selectorELNS0_4arch9wavefront6targetE1EEEvT1_
; %bb.0:
	.section	.rodata,"a",@progbits
	.p2align	6, 0x0
	.amdhsa_kernel _ZN7rocprim17ROCPRIM_400000_NS6detail17trampoline_kernelINS0_14default_configENS1_27scan_by_key_config_selectorIiiEEZZNS1_16scan_by_key_implILNS1_25lookback_scan_determinismE0ELb1ES3_N6thrust23THRUST_200600_302600_NS6detail15normal_iteratorINS9_10device_ptrIiEEEESE_SE_iNS9_10multipliesIiEENS9_8equal_toIiEEiEE10hipError_tPvRmT2_T3_T4_T5_mT6_T7_P12ihipStream_tbENKUlT_T0_E_clISt17integral_constantIbLb1EESY_IbLb0EEEEDaSU_SV_EUlSU_E_NS1_11comp_targetILNS1_3genE4ELNS1_11target_archE910ELNS1_3gpuE8ELNS1_3repE0EEENS1_30default_config_static_selectorELNS0_4arch9wavefront6targetE1EEEvT1_
		.amdhsa_group_segment_fixed_size 0
		.amdhsa_private_segment_fixed_size 0
		.amdhsa_kernarg_size 112
		.amdhsa_user_sgpr_count 2
		.amdhsa_user_sgpr_dispatch_ptr 0
		.amdhsa_user_sgpr_queue_ptr 0
		.amdhsa_user_sgpr_kernarg_segment_ptr 1
		.amdhsa_user_sgpr_dispatch_id 0
		.amdhsa_user_sgpr_kernarg_preload_length 0
		.amdhsa_user_sgpr_kernarg_preload_offset 0
		.amdhsa_user_sgpr_private_segment_size 0
		.amdhsa_uses_dynamic_stack 0
		.amdhsa_enable_private_segment 0
		.amdhsa_system_sgpr_workgroup_id_x 1
		.amdhsa_system_sgpr_workgroup_id_y 0
		.amdhsa_system_sgpr_workgroup_id_z 0
		.amdhsa_system_sgpr_workgroup_info 0
		.amdhsa_system_vgpr_workitem_id 0
		.amdhsa_next_free_vgpr 1
		.amdhsa_next_free_sgpr 0
		.amdhsa_accum_offset 4
		.amdhsa_reserve_vcc 0
		.amdhsa_float_round_mode_32 0
		.amdhsa_float_round_mode_16_64 0
		.amdhsa_float_denorm_mode_32 3
		.amdhsa_float_denorm_mode_16_64 3
		.amdhsa_dx10_clamp 1
		.amdhsa_ieee_mode 1
		.amdhsa_fp16_overflow 0
		.amdhsa_tg_split 0
		.amdhsa_exception_fp_ieee_invalid_op 0
		.amdhsa_exception_fp_denorm_src 0
		.amdhsa_exception_fp_ieee_div_zero 0
		.amdhsa_exception_fp_ieee_overflow 0
		.amdhsa_exception_fp_ieee_underflow 0
		.amdhsa_exception_fp_ieee_inexact 0
		.amdhsa_exception_int_div_zero 0
	.end_amdhsa_kernel
	.section	.text._ZN7rocprim17ROCPRIM_400000_NS6detail17trampoline_kernelINS0_14default_configENS1_27scan_by_key_config_selectorIiiEEZZNS1_16scan_by_key_implILNS1_25lookback_scan_determinismE0ELb1ES3_N6thrust23THRUST_200600_302600_NS6detail15normal_iteratorINS9_10device_ptrIiEEEESE_SE_iNS9_10multipliesIiEENS9_8equal_toIiEEiEE10hipError_tPvRmT2_T3_T4_T5_mT6_T7_P12ihipStream_tbENKUlT_T0_E_clISt17integral_constantIbLb1EESY_IbLb0EEEEDaSU_SV_EUlSU_E_NS1_11comp_targetILNS1_3genE4ELNS1_11target_archE910ELNS1_3gpuE8ELNS1_3repE0EEENS1_30default_config_static_selectorELNS0_4arch9wavefront6targetE1EEEvT1_,"axG",@progbits,_ZN7rocprim17ROCPRIM_400000_NS6detail17trampoline_kernelINS0_14default_configENS1_27scan_by_key_config_selectorIiiEEZZNS1_16scan_by_key_implILNS1_25lookback_scan_determinismE0ELb1ES3_N6thrust23THRUST_200600_302600_NS6detail15normal_iteratorINS9_10device_ptrIiEEEESE_SE_iNS9_10multipliesIiEENS9_8equal_toIiEEiEE10hipError_tPvRmT2_T3_T4_T5_mT6_T7_P12ihipStream_tbENKUlT_T0_E_clISt17integral_constantIbLb1EESY_IbLb0EEEEDaSU_SV_EUlSU_E_NS1_11comp_targetILNS1_3genE4ELNS1_11target_archE910ELNS1_3gpuE8ELNS1_3repE0EEENS1_30default_config_static_selectorELNS0_4arch9wavefront6targetE1EEEvT1_,comdat
.Lfunc_end518:
	.size	_ZN7rocprim17ROCPRIM_400000_NS6detail17trampoline_kernelINS0_14default_configENS1_27scan_by_key_config_selectorIiiEEZZNS1_16scan_by_key_implILNS1_25lookback_scan_determinismE0ELb1ES3_N6thrust23THRUST_200600_302600_NS6detail15normal_iteratorINS9_10device_ptrIiEEEESE_SE_iNS9_10multipliesIiEENS9_8equal_toIiEEiEE10hipError_tPvRmT2_T3_T4_T5_mT6_T7_P12ihipStream_tbENKUlT_T0_E_clISt17integral_constantIbLb1EESY_IbLb0EEEEDaSU_SV_EUlSU_E_NS1_11comp_targetILNS1_3genE4ELNS1_11target_archE910ELNS1_3gpuE8ELNS1_3repE0EEENS1_30default_config_static_selectorELNS0_4arch9wavefront6targetE1EEEvT1_, .Lfunc_end518-_ZN7rocprim17ROCPRIM_400000_NS6detail17trampoline_kernelINS0_14default_configENS1_27scan_by_key_config_selectorIiiEEZZNS1_16scan_by_key_implILNS1_25lookback_scan_determinismE0ELb1ES3_N6thrust23THRUST_200600_302600_NS6detail15normal_iteratorINS9_10device_ptrIiEEEESE_SE_iNS9_10multipliesIiEENS9_8equal_toIiEEiEE10hipError_tPvRmT2_T3_T4_T5_mT6_T7_P12ihipStream_tbENKUlT_T0_E_clISt17integral_constantIbLb1EESY_IbLb0EEEEDaSU_SV_EUlSU_E_NS1_11comp_targetILNS1_3genE4ELNS1_11target_archE910ELNS1_3gpuE8ELNS1_3repE0EEENS1_30default_config_static_selectorELNS0_4arch9wavefront6targetE1EEEvT1_
                                        ; -- End function
	.section	.AMDGPU.csdata,"",@progbits
; Kernel info:
; codeLenInByte = 0
; NumSgprs: 6
; NumVgprs: 0
; NumAgprs: 0
; TotalNumVgprs: 0
; ScratchSize: 0
; MemoryBound: 0
; FloatMode: 240
; IeeeMode: 1
; LDSByteSize: 0 bytes/workgroup (compile time only)
; SGPRBlocks: 0
; VGPRBlocks: 0
; NumSGPRsForWavesPerEU: 6
; NumVGPRsForWavesPerEU: 1
; AccumOffset: 4
; Occupancy: 8
; WaveLimiterHint : 0
; COMPUTE_PGM_RSRC2:SCRATCH_EN: 0
; COMPUTE_PGM_RSRC2:USER_SGPR: 2
; COMPUTE_PGM_RSRC2:TRAP_HANDLER: 0
; COMPUTE_PGM_RSRC2:TGID_X_EN: 1
; COMPUTE_PGM_RSRC2:TGID_Y_EN: 0
; COMPUTE_PGM_RSRC2:TGID_Z_EN: 0
; COMPUTE_PGM_RSRC2:TIDIG_COMP_CNT: 0
; COMPUTE_PGM_RSRC3_GFX90A:ACCUM_OFFSET: 0
; COMPUTE_PGM_RSRC3_GFX90A:TG_SPLIT: 0
	.section	.text._ZN7rocprim17ROCPRIM_400000_NS6detail17trampoline_kernelINS0_14default_configENS1_27scan_by_key_config_selectorIiiEEZZNS1_16scan_by_key_implILNS1_25lookback_scan_determinismE0ELb1ES3_N6thrust23THRUST_200600_302600_NS6detail15normal_iteratorINS9_10device_ptrIiEEEESE_SE_iNS9_10multipliesIiEENS9_8equal_toIiEEiEE10hipError_tPvRmT2_T3_T4_T5_mT6_T7_P12ihipStream_tbENKUlT_T0_E_clISt17integral_constantIbLb1EESY_IbLb0EEEEDaSU_SV_EUlSU_E_NS1_11comp_targetILNS1_3genE3ELNS1_11target_archE908ELNS1_3gpuE7ELNS1_3repE0EEENS1_30default_config_static_selectorELNS0_4arch9wavefront6targetE1EEEvT1_,"axG",@progbits,_ZN7rocprim17ROCPRIM_400000_NS6detail17trampoline_kernelINS0_14default_configENS1_27scan_by_key_config_selectorIiiEEZZNS1_16scan_by_key_implILNS1_25lookback_scan_determinismE0ELb1ES3_N6thrust23THRUST_200600_302600_NS6detail15normal_iteratorINS9_10device_ptrIiEEEESE_SE_iNS9_10multipliesIiEENS9_8equal_toIiEEiEE10hipError_tPvRmT2_T3_T4_T5_mT6_T7_P12ihipStream_tbENKUlT_T0_E_clISt17integral_constantIbLb1EESY_IbLb0EEEEDaSU_SV_EUlSU_E_NS1_11comp_targetILNS1_3genE3ELNS1_11target_archE908ELNS1_3gpuE7ELNS1_3repE0EEENS1_30default_config_static_selectorELNS0_4arch9wavefront6targetE1EEEvT1_,comdat
	.protected	_ZN7rocprim17ROCPRIM_400000_NS6detail17trampoline_kernelINS0_14default_configENS1_27scan_by_key_config_selectorIiiEEZZNS1_16scan_by_key_implILNS1_25lookback_scan_determinismE0ELb1ES3_N6thrust23THRUST_200600_302600_NS6detail15normal_iteratorINS9_10device_ptrIiEEEESE_SE_iNS9_10multipliesIiEENS9_8equal_toIiEEiEE10hipError_tPvRmT2_T3_T4_T5_mT6_T7_P12ihipStream_tbENKUlT_T0_E_clISt17integral_constantIbLb1EESY_IbLb0EEEEDaSU_SV_EUlSU_E_NS1_11comp_targetILNS1_3genE3ELNS1_11target_archE908ELNS1_3gpuE7ELNS1_3repE0EEENS1_30default_config_static_selectorELNS0_4arch9wavefront6targetE1EEEvT1_ ; -- Begin function _ZN7rocprim17ROCPRIM_400000_NS6detail17trampoline_kernelINS0_14default_configENS1_27scan_by_key_config_selectorIiiEEZZNS1_16scan_by_key_implILNS1_25lookback_scan_determinismE0ELb1ES3_N6thrust23THRUST_200600_302600_NS6detail15normal_iteratorINS9_10device_ptrIiEEEESE_SE_iNS9_10multipliesIiEENS9_8equal_toIiEEiEE10hipError_tPvRmT2_T3_T4_T5_mT6_T7_P12ihipStream_tbENKUlT_T0_E_clISt17integral_constantIbLb1EESY_IbLb0EEEEDaSU_SV_EUlSU_E_NS1_11comp_targetILNS1_3genE3ELNS1_11target_archE908ELNS1_3gpuE7ELNS1_3repE0EEENS1_30default_config_static_selectorELNS0_4arch9wavefront6targetE1EEEvT1_
	.globl	_ZN7rocprim17ROCPRIM_400000_NS6detail17trampoline_kernelINS0_14default_configENS1_27scan_by_key_config_selectorIiiEEZZNS1_16scan_by_key_implILNS1_25lookback_scan_determinismE0ELb1ES3_N6thrust23THRUST_200600_302600_NS6detail15normal_iteratorINS9_10device_ptrIiEEEESE_SE_iNS9_10multipliesIiEENS9_8equal_toIiEEiEE10hipError_tPvRmT2_T3_T4_T5_mT6_T7_P12ihipStream_tbENKUlT_T0_E_clISt17integral_constantIbLb1EESY_IbLb0EEEEDaSU_SV_EUlSU_E_NS1_11comp_targetILNS1_3genE3ELNS1_11target_archE908ELNS1_3gpuE7ELNS1_3repE0EEENS1_30default_config_static_selectorELNS0_4arch9wavefront6targetE1EEEvT1_
	.p2align	8
	.type	_ZN7rocprim17ROCPRIM_400000_NS6detail17trampoline_kernelINS0_14default_configENS1_27scan_by_key_config_selectorIiiEEZZNS1_16scan_by_key_implILNS1_25lookback_scan_determinismE0ELb1ES3_N6thrust23THRUST_200600_302600_NS6detail15normal_iteratorINS9_10device_ptrIiEEEESE_SE_iNS9_10multipliesIiEENS9_8equal_toIiEEiEE10hipError_tPvRmT2_T3_T4_T5_mT6_T7_P12ihipStream_tbENKUlT_T0_E_clISt17integral_constantIbLb1EESY_IbLb0EEEEDaSU_SV_EUlSU_E_NS1_11comp_targetILNS1_3genE3ELNS1_11target_archE908ELNS1_3gpuE7ELNS1_3repE0EEENS1_30default_config_static_selectorELNS0_4arch9wavefront6targetE1EEEvT1_,@function
_ZN7rocprim17ROCPRIM_400000_NS6detail17trampoline_kernelINS0_14default_configENS1_27scan_by_key_config_selectorIiiEEZZNS1_16scan_by_key_implILNS1_25lookback_scan_determinismE0ELb1ES3_N6thrust23THRUST_200600_302600_NS6detail15normal_iteratorINS9_10device_ptrIiEEEESE_SE_iNS9_10multipliesIiEENS9_8equal_toIiEEiEE10hipError_tPvRmT2_T3_T4_T5_mT6_T7_P12ihipStream_tbENKUlT_T0_E_clISt17integral_constantIbLb1EESY_IbLb0EEEEDaSU_SV_EUlSU_E_NS1_11comp_targetILNS1_3genE3ELNS1_11target_archE908ELNS1_3gpuE7ELNS1_3repE0EEENS1_30default_config_static_selectorELNS0_4arch9wavefront6targetE1EEEvT1_: ; @_ZN7rocprim17ROCPRIM_400000_NS6detail17trampoline_kernelINS0_14default_configENS1_27scan_by_key_config_selectorIiiEEZZNS1_16scan_by_key_implILNS1_25lookback_scan_determinismE0ELb1ES3_N6thrust23THRUST_200600_302600_NS6detail15normal_iteratorINS9_10device_ptrIiEEEESE_SE_iNS9_10multipliesIiEENS9_8equal_toIiEEiEE10hipError_tPvRmT2_T3_T4_T5_mT6_T7_P12ihipStream_tbENKUlT_T0_E_clISt17integral_constantIbLb1EESY_IbLb0EEEEDaSU_SV_EUlSU_E_NS1_11comp_targetILNS1_3genE3ELNS1_11target_archE908ELNS1_3gpuE7ELNS1_3repE0EEENS1_30default_config_static_selectorELNS0_4arch9wavefront6targetE1EEEvT1_
; %bb.0:
	.section	.rodata,"a",@progbits
	.p2align	6, 0x0
	.amdhsa_kernel _ZN7rocprim17ROCPRIM_400000_NS6detail17trampoline_kernelINS0_14default_configENS1_27scan_by_key_config_selectorIiiEEZZNS1_16scan_by_key_implILNS1_25lookback_scan_determinismE0ELb1ES3_N6thrust23THRUST_200600_302600_NS6detail15normal_iteratorINS9_10device_ptrIiEEEESE_SE_iNS9_10multipliesIiEENS9_8equal_toIiEEiEE10hipError_tPvRmT2_T3_T4_T5_mT6_T7_P12ihipStream_tbENKUlT_T0_E_clISt17integral_constantIbLb1EESY_IbLb0EEEEDaSU_SV_EUlSU_E_NS1_11comp_targetILNS1_3genE3ELNS1_11target_archE908ELNS1_3gpuE7ELNS1_3repE0EEENS1_30default_config_static_selectorELNS0_4arch9wavefront6targetE1EEEvT1_
		.amdhsa_group_segment_fixed_size 0
		.amdhsa_private_segment_fixed_size 0
		.amdhsa_kernarg_size 112
		.amdhsa_user_sgpr_count 2
		.amdhsa_user_sgpr_dispatch_ptr 0
		.amdhsa_user_sgpr_queue_ptr 0
		.amdhsa_user_sgpr_kernarg_segment_ptr 1
		.amdhsa_user_sgpr_dispatch_id 0
		.amdhsa_user_sgpr_kernarg_preload_length 0
		.amdhsa_user_sgpr_kernarg_preload_offset 0
		.amdhsa_user_sgpr_private_segment_size 0
		.amdhsa_uses_dynamic_stack 0
		.amdhsa_enable_private_segment 0
		.amdhsa_system_sgpr_workgroup_id_x 1
		.amdhsa_system_sgpr_workgroup_id_y 0
		.amdhsa_system_sgpr_workgroup_id_z 0
		.amdhsa_system_sgpr_workgroup_info 0
		.amdhsa_system_vgpr_workitem_id 0
		.amdhsa_next_free_vgpr 1
		.amdhsa_next_free_sgpr 0
		.amdhsa_accum_offset 4
		.amdhsa_reserve_vcc 0
		.amdhsa_float_round_mode_32 0
		.amdhsa_float_round_mode_16_64 0
		.amdhsa_float_denorm_mode_32 3
		.amdhsa_float_denorm_mode_16_64 3
		.amdhsa_dx10_clamp 1
		.amdhsa_ieee_mode 1
		.amdhsa_fp16_overflow 0
		.amdhsa_tg_split 0
		.amdhsa_exception_fp_ieee_invalid_op 0
		.amdhsa_exception_fp_denorm_src 0
		.amdhsa_exception_fp_ieee_div_zero 0
		.amdhsa_exception_fp_ieee_overflow 0
		.amdhsa_exception_fp_ieee_underflow 0
		.amdhsa_exception_fp_ieee_inexact 0
		.amdhsa_exception_int_div_zero 0
	.end_amdhsa_kernel
	.section	.text._ZN7rocprim17ROCPRIM_400000_NS6detail17trampoline_kernelINS0_14default_configENS1_27scan_by_key_config_selectorIiiEEZZNS1_16scan_by_key_implILNS1_25lookback_scan_determinismE0ELb1ES3_N6thrust23THRUST_200600_302600_NS6detail15normal_iteratorINS9_10device_ptrIiEEEESE_SE_iNS9_10multipliesIiEENS9_8equal_toIiEEiEE10hipError_tPvRmT2_T3_T4_T5_mT6_T7_P12ihipStream_tbENKUlT_T0_E_clISt17integral_constantIbLb1EESY_IbLb0EEEEDaSU_SV_EUlSU_E_NS1_11comp_targetILNS1_3genE3ELNS1_11target_archE908ELNS1_3gpuE7ELNS1_3repE0EEENS1_30default_config_static_selectorELNS0_4arch9wavefront6targetE1EEEvT1_,"axG",@progbits,_ZN7rocprim17ROCPRIM_400000_NS6detail17trampoline_kernelINS0_14default_configENS1_27scan_by_key_config_selectorIiiEEZZNS1_16scan_by_key_implILNS1_25lookback_scan_determinismE0ELb1ES3_N6thrust23THRUST_200600_302600_NS6detail15normal_iteratorINS9_10device_ptrIiEEEESE_SE_iNS9_10multipliesIiEENS9_8equal_toIiEEiEE10hipError_tPvRmT2_T3_T4_T5_mT6_T7_P12ihipStream_tbENKUlT_T0_E_clISt17integral_constantIbLb1EESY_IbLb0EEEEDaSU_SV_EUlSU_E_NS1_11comp_targetILNS1_3genE3ELNS1_11target_archE908ELNS1_3gpuE7ELNS1_3repE0EEENS1_30default_config_static_selectorELNS0_4arch9wavefront6targetE1EEEvT1_,comdat
.Lfunc_end519:
	.size	_ZN7rocprim17ROCPRIM_400000_NS6detail17trampoline_kernelINS0_14default_configENS1_27scan_by_key_config_selectorIiiEEZZNS1_16scan_by_key_implILNS1_25lookback_scan_determinismE0ELb1ES3_N6thrust23THRUST_200600_302600_NS6detail15normal_iteratorINS9_10device_ptrIiEEEESE_SE_iNS9_10multipliesIiEENS9_8equal_toIiEEiEE10hipError_tPvRmT2_T3_T4_T5_mT6_T7_P12ihipStream_tbENKUlT_T0_E_clISt17integral_constantIbLb1EESY_IbLb0EEEEDaSU_SV_EUlSU_E_NS1_11comp_targetILNS1_3genE3ELNS1_11target_archE908ELNS1_3gpuE7ELNS1_3repE0EEENS1_30default_config_static_selectorELNS0_4arch9wavefront6targetE1EEEvT1_, .Lfunc_end519-_ZN7rocprim17ROCPRIM_400000_NS6detail17trampoline_kernelINS0_14default_configENS1_27scan_by_key_config_selectorIiiEEZZNS1_16scan_by_key_implILNS1_25lookback_scan_determinismE0ELb1ES3_N6thrust23THRUST_200600_302600_NS6detail15normal_iteratorINS9_10device_ptrIiEEEESE_SE_iNS9_10multipliesIiEENS9_8equal_toIiEEiEE10hipError_tPvRmT2_T3_T4_T5_mT6_T7_P12ihipStream_tbENKUlT_T0_E_clISt17integral_constantIbLb1EESY_IbLb0EEEEDaSU_SV_EUlSU_E_NS1_11comp_targetILNS1_3genE3ELNS1_11target_archE908ELNS1_3gpuE7ELNS1_3repE0EEENS1_30default_config_static_selectorELNS0_4arch9wavefront6targetE1EEEvT1_
                                        ; -- End function
	.section	.AMDGPU.csdata,"",@progbits
; Kernel info:
; codeLenInByte = 0
; NumSgprs: 6
; NumVgprs: 0
; NumAgprs: 0
; TotalNumVgprs: 0
; ScratchSize: 0
; MemoryBound: 0
; FloatMode: 240
; IeeeMode: 1
; LDSByteSize: 0 bytes/workgroup (compile time only)
; SGPRBlocks: 0
; VGPRBlocks: 0
; NumSGPRsForWavesPerEU: 6
; NumVGPRsForWavesPerEU: 1
; AccumOffset: 4
; Occupancy: 8
; WaveLimiterHint : 0
; COMPUTE_PGM_RSRC2:SCRATCH_EN: 0
; COMPUTE_PGM_RSRC2:USER_SGPR: 2
; COMPUTE_PGM_RSRC2:TRAP_HANDLER: 0
; COMPUTE_PGM_RSRC2:TGID_X_EN: 1
; COMPUTE_PGM_RSRC2:TGID_Y_EN: 0
; COMPUTE_PGM_RSRC2:TGID_Z_EN: 0
; COMPUTE_PGM_RSRC2:TIDIG_COMP_CNT: 0
; COMPUTE_PGM_RSRC3_GFX90A:ACCUM_OFFSET: 0
; COMPUTE_PGM_RSRC3_GFX90A:TG_SPLIT: 0
	.section	.text._ZN7rocprim17ROCPRIM_400000_NS6detail17trampoline_kernelINS0_14default_configENS1_27scan_by_key_config_selectorIiiEEZZNS1_16scan_by_key_implILNS1_25lookback_scan_determinismE0ELb1ES3_N6thrust23THRUST_200600_302600_NS6detail15normal_iteratorINS9_10device_ptrIiEEEESE_SE_iNS9_10multipliesIiEENS9_8equal_toIiEEiEE10hipError_tPvRmT2_T3_T4_T5_mT6_T7_P12ihipStream_tbENKUlT_T0_E_clISt17integral_constantIbLb1EESY_IbLb0EEEEDaSU_SV_EUlSU_E_NS1_11comp_targetILNS1_3genE2ELNS1_11target_archE906ELNS1_3gpuE6ELNS1_3repE0EEENS1_30default_config_static_selectorELNS0_4arch9wavefront6targetE1EEEvT1_,"axG",@progbits,_ZN7rocprim17ROCPRIM_400000_NS6detail17trampoline_kernelINS0_14default_configENS1_27scan_by_key_config_selectorIiiEEZZNS1_16scan_by_key_implILNS1_25lookback_scan_determinismE0ELb1ES3_N6thrust23THRUST_200600_302600_NS6detail15normal_iteratorINS9_10device_ptrIiEEEESE_SE_iNS9_10multipliesIiEENS9_8equal_toIiEEiEE10hipError_tPvRmT2_T3_T4_T5_mT6_T7_P12ihipStream_tbENKUlT_T0_E_clISt17integral_constantIbLb1EESY_IbLb0EEEEDaSU_SV_EUlSU_E_NS1_11comp_targetILNS1_3genE2ELNS1_11target_archE906ELNS1_3gpuE6ELNS1_3repE0EEENS1_30default_config_static_selectorELNS0_4arch9wavefront6targetE1EEEvT1_,comdat
	.protected	_ZN7rocprim17ROCPRIM_400000_NS6detail17trampoline_kernelINS0_14default_configENS1_27scan_by_key_config_selectorIiiEEZZNS1_16scan_by_key_implILNS1_25lookback_scan_determinismE0ELb1ES3_N6thrust23THRUST_200600_302600_NS6detail15normal_iteratorINS9_10device_ptrIiEEEESE_SE_iNS9_10multipliesIiEENS9_8equal_toIiEEiEE10hipError_tPvRmT2_T3_T4_T5_mT6_T7_P12ihipStream_tbENKUlT_T0_E_clISt17integral_constantIbLb1EESY_IbLb0EEEEDaSU_SV_EUlSU_E_NS1_11comp_targetILNS1_3genE2ELNS1_11target_archE906ELNS1_3gpuE6ELNS1_3repE0EEENS1_30default_config_static_selectorELNS0_4arch9wavefront6targetE1EEEvT1_ ; -- Begin function _ZN7rocprim17ROCPRIM_400000_NS6detail17trampoline_kernelINS0_14default_configENS1_27scan_by_key_config_selectorIiiEEZZNS1_16scan_by_key_implILNS1_25lookback_scan_determinismE0ELb1ES3_N6thrust23THRUST_200600_302600_NS6detail15normal_iteratorINS9_10device_ptrIiEEEESE_SE_iNS9_10multipliesIiEENS9_8equal_toIiEEiEE10hipError_tPvRmT2_T3_T4_T5_mT6_T7_P12ihipStream_tbENKUlT_T0_E_clISt17integral_constantIbLb1EESY_IbLb0EEEEDaSU_SV_EUlSU_E_NS1_11comp_targetILNS1_3genE2ELNS1_11target_archE906ELNS1_3gpuE6ELNS1_3repE0EEENS1_30default_config_static_selectorELNS0_4arch9wavefront6targetE1EEEvT1_
	.globl	_ZN7rocprim17ROCPRIM_400000_NS6detail17trampoline_kernelINS0_14default_configENS1_27scan_by_key_config_selectorIiiEEZZNS1_16scan_by_key_implILNS1_25lookback_scan_determinismE0ELb1ES3_N6thrust23THRUST_200600_302600_NS6detail15normal_iteratorINS9_10device_ptrIiEEEESE_SE_iNS9_10multipliesIiEENS9_8equal_toIiEEiEE10hipError_tPvRmT2_T3_T4_T5_mT6_T7_P12ihipStream_tbENKUlT_T0_E_clISt17integral_constantIbLb1EESY_IbLb0EEEEDaSU_SV_EUlSU_E_NS1_11comp_targetILNS1_3genE2ELNS1_11target_archE906ELNS1_3gpuE6ELNS1_3repE0EEENS1_30default_config_static_selectorELNS0_4arch9wavefront6targetE1EEEvT1_
	.p2align	8
	.type	_ZN7rocprim17ROCPRIM_400000_NS6detail17trampoline_kernelINS0_14default_configENS1_27scan_by_key_config_selectorIiiEEZZNS1_16scan_by_key_implILNS1_25lookback_scan_determinismE0ELb1ES3_N6thrust23THRUST_200600_302600_NS6detail15normal_iteratorINS9_10device_ptrIiEEEESE_SE_iNS9_10multipliesIiEENS9_8equal_toIiEEiEE10hipError_tPvRmT2_T3_T4_T5_mT6_T7_P12ihipStream_tbENKUlT_T0_E_clISt17integral_constantIbLb1EESY_IbLb0EEEEDaSU_SV_EUlSU_E_NS1_11comp_targetILNS1_3genE2ELNS1_11target_archE906ELNS1_3gpuE6ELNS1_3repE0EEENS1_30default_config_static_selectorELNS0_4arch9wavefront6targetE1EEEvT1_,@function
_ZN7rocprim17ROCPRIM_400000_NS6detail17trampoline_kernelINS0_14default_configENS1_27scan_by_key_config_selectorIiiEEZZNS1_16scan_by_key_implILNS1_25lookback_scan_determinismE0ELb1ES3_N6thrust23THRUST_200600_302600_NS6detail15normal_iteratorINS9_10device_ptrIiEEEESE_SE_iNS9_10multipliesIiEENS9_8equal_toIiEEiEE10hipError_tPvRmT2_T3_T4_T5_mT6_T7_P12ihipStream_tbENKUlT_T0_E_clISt17integral_constantIbLb1EESY_IbLb0EEEEDaSU_SV_EUlSU_E_NS1_11comp_targetILNS1_3genE2ELNS1_11target_archE906ELNS1_3gpuE6ELNS1_3repE0EEENS1_30default_config_static_selectorELNS0_4arch9wavefront6targetE1EEEvT1_: ; @_ZN7rocprim17ROCPRIM_400000_NS6detail17trampoline_kernelINS0_14default_configENS1_27scan_by_key_config_selectorIiiEEZZNS1_16scan_by_key_implILNS1_25lookback_scan_determinismE0ELb1ES3_N6thrust23THRUST_200600_302600_NS6detail15normal_iteratorINS9_10device_ptrIiEEEESE_SE_iNS9_10multipliesIiEENS9_8equal_toIiEEiEE10hipError_tPvRmT2_T3_T4_T5_mT6_T7_P12ihipStream_tbENKUlT_T0_E_clISt17integral_constantIbLb1EESY_IbLb0EEEEDaSU_SV_EUlSU_E_NS1_11comp_targetILNS1_3genE2ELNS1_11target_archE906ELNS1_3gpuE6ELNS1_3repE0EEENS1_30default_config_static_selectorELNS0_4arch9wavefront6targetE1EEEvT1_
; %bb.0:
	.section	.rodata,"a",@progbits
	.p2align	6, 0x0
	.amdhsa_kernel _ZN7rocprim17ROCPRIM_400000_NS6detail17trampoline_kernelINS0_14default_configENS1_27scan_by_key_config_selectorIiiEEZZNS1_16scan_by_key_implILNS1_25lookback_scan_determinismE0ELb1ES3_N6thrust23THRUST_200600_302600_NS6detail15normal_iteratorINS9_10device_ptrIiEEEESE_SE_iNS9_10multipliesIiEENS9_8equal_toIiEEiEE10hipError_tPvRmT2_T3_T4_T5_mT6_T7_P12ihipStream_tbENKUlT_T0_E_clISt17integral_constantIbLb1EESY_IbLb0EEEEDaSU_SV_EUlSU_E_NS1_11comp_targetILNS1_3genE2ELNS1_11target_archE906ELNS1_3gpuE6ELNS1_3repE0EEENS1_30default_config_static_selectorELNS0_4arch9wavefront6targetE1EEEvT1_
		.amdhsa_group_segment_fixed_size 0
		.amdhsa_private_segment_fixed_size 0
		.amdhsa_kernarg_size 112
		.amdhsa_user_sgpr_count 2
		.amdhsa_user_sgpr_dispatch_ptr 0
		.amdhsa_user_sgpr_queue_ptr 0
		.amdhsa_user_sgpr_kernarg_segment_ptr 1
		.amdhsa_user_sgpr_dispatch_id 0
		.amdhsa_user_sgpr_kernarg_preload_length 0
		.amdhsa_user_sgpr_kernarg_preload_offset 0
		.amdhsa_user_sgpr_private_segment_size 0
		.amdhsa_uses_dynamic_stack 0
		.amdhsa_enable_private_segment 0
		.amdhsa_system_sgpr_workgroup_id_x 1
		.amdhsa_system_sgpr_workgroup_id_y 0
		.amdhsa_system_sgpr_workgroup_id_z 0
		.amdhsa_system_sgpr_workgroup_info 0
		.amdhsa_system_vgpr_workitem_id 0
		.amdhsa_next_free_vgpr 1
		.amdhsa_next_free_sgpr 0
		.amdhsa_accum_offset 4
		.amdhsa_reserve_vcc 0
		.amdhsa_float_round_mode_32 0
		.amdhsa_float_round_mode_16_64 0
		.amdhsa_float_denorm_mode_32 3
		.amdhsa_float_denorm_mode_16_64 3
		.amdhsa_dx10_clamp 1
		.amdhsa_ieee_mode 1
		.amdhsa_fp16_overflow 0
		.amdhsa_tg_split 0
		.amdhsa_exception_fp_ieee_invalid_op 0
		.amdhsa_exception_fp_denorm_src 0
		.amdhsa_exception_fp_ieee_div_zero 0
		.amdhsa_exception_fp_ieee_overflow 0
		.amdhsa_exception_fp_ieee_underflow 0
		.amdhsa_exception_fp_ieee_inexact 0
		.amdhsa_exception_int_div_zero 0
	.end_amdhsa_kernel
	.section	.text._ZN7rocprim17ROCPRIM_400000_NS6detail17trampoline_kernelINS0_14default_configENS1_27scan_by_key_config_selectorIiiEEZZNS1_16scan_by_key_implILNS1_25lookback_scan_determinismE0ELb1ES3_N6thrust23THRUST_200600_302600_NS6detail15normal_iteratorINS9_10device_ptrIiEEEESE_SE_iNS9_10multipliesIiEENS9_8equal_toIiEEiEE10hipError_tPvRmT2_T3_T4_T5_mT6_T7_P12ihipStream_tbENKUlT_T0_E_clISt17integral_constantIbLb1EESY_IbLb0EEEEDaSU_SV_EUlSU_E_NS1_11comp_targetILNS1_3genE2ELNS1_11target_archE906ELNS1_3gpuE6ELNS1_3repE0EEENS1_30default_config_static_selectorELNS0_4arch9wavefront6targetE1EEEvT1_,"axG",@progbits,_ZN7rocprim17ROCPRIM_400000_NS6detail17trampoline_kernelINS0_14default_configENS1_27scan_by_key_config_selectorIiiEEZZNS1_16scan_by_key_implILNS1_25lookback_scan_determinismE0ELb1ES3_N6thrust23THRUST_200600_302600_NS6detail15normal_iteratorINS9_10device_ptrIiEEEESE_SE_iNS9_10multipliesIiEENS9_8equal_toIiEEiEE10hipError_tPvRmT2_T3_T4_T5_mT6_T7_P12ihipStream_tbENKUlT_T0_E_clISt17integral_constantIbLb1EESY_IbLb0EEEEDaSU_SV_EUlSU_E_NS1_11comp_targetILNS1_3genE2ELNS1_11target_archE906ELNS1_3gpuE6ELNS1_3repE0EEENS1_30default_config_static_selectorELNS0_4arch9wavefront6targetE1EEEvT1_,comdat
.Lfunc_end520:
	.size	_ZN7rocprim17ROCPRIM_400000_NS6detail17trampoline_kernelINS0_14default_configENS1_27scan_by_key_config_selectorIiiEEZZNS1_16scan_by_key_implILNS1_25lookback_scan_determinismE0ELb1ES3_N6thrust23THRUST_200600_302600_NS6detail15normal_iteratorINS9_10device_ptrIiEEEESE_SE_iNS9_10multipliesIiEENS9_8equal_toIiEEiEE10hipError_tPvRmT2_T3_T4_T5_mT6_T7_P12ihipStream_tbENKUlT_T0_E_clISt17integral_constantIbLb1EESY_IbLb0EEEEDaSU_SV_EUlSU_E_NS1_11comp_targetILNS1_3genE2ELNS1_11target_archE906ELNS1_3gpuE6ELNS1_3repE0EEENS1_30default_config_static_selectorELNS0_4arch9wavefront6targetE1EEEvT1_, .Lfunc_end520-_ZN7rocprim17ROCPRIM_400000_NS6detail17trampoline_kernelINS0_14default_configENS1_27scan_by_key_config_selectorIiiEEZZNS1_16scan_by_key_implILNS1_25lookback_scan_determinismE0ELb1ES3_N6thrust23THRUST_200600_302600_NS6detail15normal_iteratorINS9_10device_ptrIiEEEESE_SE_iNS9_10multipliesIiEENS9_8equal_toIiEEiEE10hipError_tPvRmT2_T3_T4_T5_mT6_T7_P12ihipStream_tbENKUlT_T0_E_clISt17integral_constantIbLb1EESY_IbLb0EEEEDaSU_SV_EUlSU_E_NS1_11comp_targetILNS1_3genE2ELNS1_11target_archE906ELNS1_3gpuE6ELNS1_3repE0EEENS1_30default_config_static_selectorELNS0_4arch9wavefront6targetE1EEEvT1_
                                        ; -- End function
	.section	.AMDGPU.csdata,"",@progbits
; Kernel info:
; codeLenInByte = 0
; NumSgprs: 6
; NumVgprs: 0
; NumAgprs: 0
; TotalNumVgprs: 0
; ScratchSize: 0
; MemoryBound: 0
; FloatMode: 240
; IeeeMode: 1
; LDSByteSize: 0 bytes/workgroup (compile time only)
; SGPRBlocks: 0
; VGPRBlocks: 0
; NumSGPRsForWavesPerEU: 6
; NumVGPRsForWavesPerEU: 1
; AccumOffset: 4
; Occupancy: 8
; WaveLimiterHint : 0
; COMPUTE_PGM_RSRC2:SCRATCH_EN: 0
; COMPUTE_PGM_RSRC2:USER_SGPR: 2
; COMPUTE_PGM_RSRC2:TRAP_HANDLER: 0
; COMPUTE_PGM_RSRC2:TGID_X_EN: 1
; COMPUTE_PGM_RSRC2:TGID_Y_EN: 0
; COMPUTE_PGM_RSRC2:TGID_Z_EN: 0
; COMPUTE_PGM_RSRC2:TIDIG_COMP_CNT: 0
; COMPUTE_PGM_RSRC3_GFX90A:ACCUM_OFFSET: 0
; COMPUTE_PGM_RSRC3_GFX90A:TG_SPLIT: 0
	.section	.text._ZN7rocprim17ROCPRIM_400000_NS6detail17trampoline_kernelINS0_14default_configENS1_27scan_by_key_config_selectorIiiEEZZNS1_16scan_by_key_implILNS1_25lookback_scan_determinismE0ELb1ES3_N6thrust23THRUST_200600_302600_NS6detail15normal_iteratorINS9_10device_ptrIiEEEESE_SE_iNS9_10multipliesIiEENS9_8equal_toIiEEiEE10hipError_tPvRmT2_T3_T4_T5_mT6_T7_P12ihipStream_tbENKUlT_T0_E_clISt17integral_constantIbLb1EESY_IbLb0EEEEDaSU_SV_EUlSU_E_NS1_11comp_targetILNS1_3genE10ELNS1_11target_archE1200ELNS1_3gpuE4ELNS1_3repE0EEENS1_30default_config_static_selectorELNS0_4arch9wavefront6targetE1EEEvT1_,"axG",@progbits,_ZN7rocprim17ROCPRIM_400000_NS6detail17trampoline_kernelINS0_14default_configENS1_27scan_by_key_config_selectorIiiEEZZNS1_16scan_by_key_implILNS1_25lookback_scan_determinismE0ELb1ES3_N6thrust23THRUST_200600_302600_NS6detail15normal_iteratorINS9_10device_ptrIiEEEESE_SE_iNS9_10multipliesIiEENS9_8equal_toIiEEiEE10hipError_tPvRmT2_T3_T4_T5_mT6_T7_P12ihipStream_tbENKUlT_T0_E_clISt17integral_constantIbLb1EESY_IbLb0EEEEDaSU_SV_EUlSU_E_NS1_11comp_targetILNS1_3genE10ELNS1_11target_archE1200ELNS1_3gpuE4ELNS1_3repE0EEENS1_30default_config_static_selectorELNS0_4arch9wavefront6targetE1EEEvT1_,comdat
	.protected	_ZN7rocprim17ROCPRIM_400000_NS6detail17trampoline_kernelINS0_14default_configENS1_27scan_by_key_config_selectorIiiEEZZNS1_16scan_by_key_implILNS1_25lookback_scan_determinismE0ELb1ES3_N6thrust23THRUST_200600_302600_NS6detail15normal_iteratorINS9_10device_ptrIiEEEESE_SE_iNS9_10multipliesIiEENS9_8equal_toIiEEiEE10hipError_tPvRmT2_T3_T4_T5_mT6_T7_P12ihipStream_tbENKUlT_T0_E_clISt17integral_constantIbLb1EESY_IbLb0EEEEDaSU_SV_EUlSU_E_NS1_11comp_targetILNS1_3genE10ELNS1_11target_archE1200ELNS1_3gpuE4ELNS1_3repE0EEENS1_30default_config_static_selectorELNS0_4arch9wavefront6targetE1EEEvT1_ ; -- Begin function _ZN7rocprim17ROCPRIM_400000_NS6detail17trampoline_kernelINS0_14default_configENS1_27scan_by_key_config_selectorIiiEEZZNS1_16scan_by_key_implILNS1_25lookback_scan_determinismE0ELb1ES3_N6thrust23THRUST_200600_302600_NS6detail15normal_iteratorINS9_10device_ptrIiEEEESE_SE_iNS9_10multipliesIiEENS9_8equal_toIiEEiEE10hipError_tPvRmT2_T3_T4_T5_mT6_T7_P12ihipStream_tbENKUlT_T0_E_clISt17integral_constantIbLb1EESY_IbLb0EEEEDaSU_SV_EUlSU_E_NS1_11comp_targetILNS1_3genE10ELNS1_11target_archE1200ELNS1_3gpuE4ELNS1_3repE0EEENS1_30default_config_static_selectorELNS0_4arch9wavefront6targetE1EEEvT1_
	.globl	_ZN7rocprim17ROCPRIM_400000_NS6detail17trampoline_kernelINS0_14default_configENS1_27scan_by_key_config_selectorIiiEEZZNS1_16scan_by_key_implILNS1_25lookback_scan_determinismE0ELb1ES3_N6thrust23THRUST_200600_302600_NS6detail15normal_iteratorINS9_10device_ptrIiEEEESE_SE_iNS9_10multipliesIiEENS9_8equal_toIiEEiEE10hipError_tPvRmT2_T3_T4_T5_mT6_T7_P12ihipStream_tbENKUlT_T0_E_clISt17integral_constantIbLb1EESY_IbLb0EEEEDaSU_SV_EUlSU_E_NS1_11comp_targetILNS1_3genE10ELNS1_11target_archE1200ELNS1_3gpuE4ELNS1_3repE0EEENS1_30default_config_static_selectorELNS0_4arch9wavefront6targetE1EEEvT1_
	.p2align	8
	.type	_ZN7rocprim17ROCPRIM_400000_NS6detail17trampoline_kernelINS0_14default_configENS1_27scan_by_key_config_selectorIiiEEZZNS1_16scan_by_key_implILNS1_25lookback_scan_determinismE0ELb1ES3_N6thrust23THRUST_200600_302600_NS6detail15normal_iteratorINS9_10device_ptrIiEEEESE_SE_iNS9_10multipliesIiEENS9_8equal_toIiEEiEE10hipError_tPvRmT2_T3_T4_T5_mT6_T7_P12ihipStream_tbENKUlT_T0_E_clISt17integral_constantIbLb1EESY_IbLb0EEEEDaSU_SV_EUlSU_E_NS1_11comp_targetILNS1_3genE10ELNS1_11target_archE1200ELNS1_3gpuE4ELNS1_3repE0EEENS1_30default_config_static_selectorELNS0_4arch9wavefront6targetE1EEEvT1_,@function
_ZN7rocprim17ROCPRIM_400000_NS6detail17trampoline_kernelINS0_14default_configENS1_27scan_by_key_config_selectorIiiEEZZNS1_16scan_by_key_implILNS1_25lookback_scan_determinismE0ELb1ES3_N6thrust23THRUST_200600_302600_NS6detail15normal_iteratorINS9_10device_ptrIiEEEESE_SE_iNS9_10multipliesIiEENS9_8equal_toIiEEiEE10hipError_tPvRmT2_T3_T4_T5_mT6_T7_P12ihipStream_tbENKUlT_T0_E_clISt17integral_constantIbLb1EESY_IbLb0EEEEDaSU_SV_EUlSU_E_NS1_11comp_targetILNS1_3genE10ELNS1_11target_archE1200ELNS1_3gpuE4ELNS1_3repE0EEENS1_30default_config_static_selectorELNS0_4arch9wavefront6targetE1EEEvT1_: ; @_ZN7rocprim17ROCPRIM_400000_NS6detail17trampoline_kernelINS0_14default_configENS1_27scan_by_key_config_selectorIiiEEZZNS1_16scan_by_key_implILNS1_25lookback_scan_determinismE0ELb1ES3_N6thrust23THRUST_200600_302600_NS6detail15normal_iteratorINS9_10device_ptrIiEEEESE_SE_iNS9_10multipliesIiEENS9_8equal_toIiEEiEE10hipError_tPvRmT2_T3_T4_T5_mT6_T7_P12ihipStream_tbENKUlT_T0_E_clISt17integral_constantIbLb1EESY_IbLb0EEEEDaSU_SV_EUlSU_E_NS1_11comp_targetILNS1_3genE10ELNS1_11target_archE1200ELNS1_3gpuE4ELNS1_3repE0EEENS1_30default_config_static_selectorELNS0_4arch9wavefront6targetE1EEEvT1_
; %bb.0:
	.section	.rodata,"a",@progbits
	.p2align	6, 0x0
	.amdhsa_kernel _ZN7rocprim17ROCPRIM_400000_NS6detail17trampoline_kernelINS0_14default_configENS1_27scan_by_key_config_selectorIiiEEZZNS1_16scan_by_key_implILNS1_25lookback_scan_determinismE0ELb1ES3_N6thrust23THRUST_200600_302600_NS6detail15normal_iteratorINS9_10device_ptrIiEEEESE_SE_iNS9_10multipliesIiEENS9_8equal_toIiEEiEE10hipError_tPvRmT2_T3_T4_T5_mT6_T7_P12ihipStream_tbENKUlT_T0_E_clISt17integral_constantIbLb1EESY_IbLb0EEEEDaSU_SV_EUlSU_E_NS1_11comp_targetILNS1_3genE10ELNS1_11target_archE1200ELNS1_3gpuE4ELNS1_3repE0EEENS1_30default_config_static_selectorELNS0_4arch9wavefront6targetE1EEEvT1_
		.amdhsa_group_segment_fixed_size 0
		.amdhsa_private_segment_fixed_size 0
		.amdhsa_kernarg_size 112
		.amdhsa_user_sgpr_count 2
		.amdhsa_user_sgpr_dispatch_ptr 0
		.amdhsa_user_sgpr_queue_ptr 0
		.amdhsa_user_sgpr_kernarg_segment_ptr 1
		.amdhsa_user_sgpr_dispatch_id 0
		.amdhsa_user_sgpr_kernarg_preload_length 0
		.amdhsa_user_sgpr_kernarg_preload_offset 0
		.amdhsa_user_sgpr_private_segment_size 0
		.amdhsa_uses_dynamic_stack 0
		.amdhsa_enable_private_segment 0
		.amdhsa_system_sgpr_workgroup_id_x 1
		.amdhsa_system_sgpr_workgroup_id_y 0
		.amdhsa_system_sgpr_workgroup_id_z 0
		.amdhsa_system_sgpr_workgroup_info 0
		.amdhsa_system_vgpr_workitem_id 0
		.amdhsa_next_free_vgpr 1
		.amdhsa_next_free_sgpr 0
		.amdhsa_accum_offset 4
		.amdhsa_reserve_vcc 0
		.amdhsa_float_round_mode_32 0
		.amdhsa_float_round_mode_16_64 0
		.amdhsa_float_denorm_mode_32 3
		.amdhsa_float_denorm_mode_16_64 3
		.amdhsa_dx10_clamp 1
		.amdhsa_ieee_mode 1
		.amdhsa_fp16_overflow 0
		.amdhsa_tg_split 0
		.amdhsa_exception_fp_ieee_invalid_op 0
		.amdhsa_exception_fp_denorm_src 0
		.amdhsa_exception_fp_ieee_div_zero 0
		.amdhsa_exception_fp_ieee_overflow 0
		.amdhsa_exception_fp_ieee_underflow 0
		.amdhsa_exception_fp_ieee_inexact 0
		.amdhsa_exception_int_div_zero 0
	.end_amdhsa_kernel
	.section	.text._ZN7rocprim17ROCPRIM_400000_NS6detail17trampoline_kernelINS0_14default_configENS1_27scan_by_key_config_selectorIiiEEZZNS1_16scan_by_key_implILNS1_25lookback_scan_determinismE0ELb1ES3_N6thrust23THRUST_200600_302600_NS6detail15normal_iteratorINS9_10device_ptrIiEEEESE_SE_iNS9_10multipliesIiEENS9_8equal_toIiEEiEE10hipError_tPvRmT2_T3_T4_T5_mT6_T7_P12ihipStream_tbENKUlT_T0_E_clISt17integral_constantIbLb1EESY_IbLb0EEEEDaSU_SV_EUlSU_E_NS1_11comp_targetILNS1_3genE10ELNS1_11target_archE1200ELNS1_3gpuE4ELNS1_3repE0EEENS1_30default_config_static_selectorELNS0_4arch9wavefront6targetE1EEEvT1_,"axG",@progbits,_ZN7rocprim17ROCPRIM_400000_NS6detail17trampoline_kernelINS0_14default_configENS1_27scan_by_key_config_selectorIiiEEZZNS1_16scan_by_key_implILNS1_25lookback_scan_determinismE0ELb1ES3_N6thrust23THRUST_200600_302600_NS6detail15normal_iteratorINS9_10device_ptrIiEEEESE_SE_iNS9_10multipliesIiEENS9_8equal_toIiEEiEE10hipError_tPvRmT2_T3_T4_T5_mT6_T7_P12ihipStream_tbENKUlT_T0_E_clISt17integral_constantIbLb1EESY_IbLb0EEEEDaSU_SV_EUlSU_E_NS1_11comp_targetILNS1_3genE10ELNS1_11target_archE1200ELNS1_3gpuE4ELNS1_3repE0EEENS1_30default_config_static_selectorELNS0_4arch9wavefront6targetE1EEEvT1_,comdat
.Lfunc_end521:
	.size	_ZN7rocprim17ROCPRIM_400000_NS6detail17trampoline_kernelINS0_14default_configENS1_27scan_by_key_config_selectorIiiEEZZNS1_16scan_by_key_implILNS1_25lookback_scan_determinismE0ELb1ES3_N6thrust23THRUST_200600_302600_NS6detail15normal_iteratorINS9_10device_ptrIiEEEESE_SE_iNS9_10multipliesIiEENS9_8equal_toIiEEiEE10hipError_tPvRmT2_T3_T4_T5_mT6_T7_P12ihipStream_tbENKUlT_T0_E_clISt17integral_constantIbLb1EESY_IbLb0EEEEDaSU_SV_EUlSU_E_NS1_11comp_targetILNS1_3genE10ELNS1_11target_archE1200ELNS1_3gpuE4ELNS1_3repE0EEENS1_30default_config_static_selectorELNS0_4arch9wavefront6targetE1EEEvT1_, .Lfunc_end521-_ZN7rocprim17ROCPRIM_400000_NS6detail17trampoline_kernelINS0_14default_configENS1_27scan_by_key_config_selectorIiiEEZZNS1_16scan_by_key_implILNS1_25lookback_scan_determinismE0ELb1ES3_N6thrust23THRUST_200600_302600_NS6detail15normal_iteratorINS9_10device_ptrIiEEEESE_SE_iNS9_10multipliesIiEENS9_8equal_toIiEEiEE10hipError_tPvRmT2_T3_T4_T5_mT6_T7_P12ihipStream_tbENKUlT_T0_E_clISt17integral_constantIbLb1EESY_IbLb0EEEEDaSU_SV_EUlSU_E_NS1_11comp_targetILNS1_3genE10ELNS1_11target_archE1200ELNS1_3gpuE4ELNS1_3repE0EEENS1_30default_config_static_selectorELNS0_4arch9wavefront6targetE1EEEvT1_
                                        ; -- End function
	.section	.AMDGPU.csdata,"",@progbits
; Kernel info:
; codeLenInByte = 0
; NumSgprs: 6
; NumVgprs: 0
; NumAgprs: 0
; TotalNumVgprs: 0
; ScratchSize: 0
; MemoryBound: 0
; FloatMode: 240
; IeeeMode: 1
; LDSByteSize: 0 bytes/workgroup (compile time only)
; SGPRBlocks: 0
; VGPRBlocks: 0
; NumSGPRsForWavesPerEU: 6
; NumVGPRsForWavesPerEU: 1
; AccumOffset: 4
; Occupancy: 8
; WaveLimiterHint : 0
; COMPUTE_PGM_RSRC2:SCRATCH_EN: 0
; COMPUTE_PGM_RSRC2:USER_SGPR: 2
; COMPUTE_PGM_RSRC2:TRAP_HANDLER: 0
; COMPUTE_PGM_RSRC2:TGID_X_EN: 1
; COMPUTE_PGM_RSRC2:TGID_Y_EN: 0
; COMPUTE_PGM_RSRC2:TGID_Z_EN: 0
; COMPUTE_PGM_RSRC2:TIDIG_COMP_CNT: 0
; COMPUTE_PGM_RSRC3_GFX90A:ACCUM_OFFSET: 0
; COMPUTE_PGM_RSRC3_GFX90A:TG_SPLIT: 0
	.section	.text._ZN7rocprim17ROCPRIM_400000_NS6detail17trampoline_kernelINS0_14default_configENS1_27scan_by_key_config_selectorIiiEEZZNS1_16scan_by_key_implILNS1_25lookback_scan_determinismE0ELb1ES3_N6thrust23THRUST_200600_302600_NS6detail15normal_iteratorINS9_10device_ptrIiEEEESE_SE_iNS9_10multipliesIiEENS9_8equal_toIiEEiEE10hipError_tPvRmT2_T3_T4_T5_mT6_T7_P12ihipStream_tbENKUlT_T0_E_clISt17integral_constantIbLb1EESY_IbLb0EEEEDaSU_SV_EUlSU_E_NS1_11comp_targetILNS1_3genE9ELNS1_11target_archE1100ELNS1_3gpuE3ELNS1_3repE0EEENS1_30default_config_static_selectorELNS0_4arch9wavefront6targetE1EEEvT1_,"axG",@progbits,_ZN7rocprim17ROCPRIM_400000_NS6detail17trampoline_kernelINS0_14default_configENS1_27scan_by_key_config_selectorIiiEEZZNS1_16scan_by_key_implILNS1_25lookback_scan_determinismE0ELb1ES3_N6thrust23THRUST_200600_302600_NS6detail15normal_iteratorINS9_10device_ptrIiEEEESE_SE_iNS9_10multipliesIiEENS9_8equal_toIiEEiEE10hipError_tPvRmT2_T3_T4_T5_mT6_T7_P12ihipStream_tbENKUlT_T0_E_clISt17integral_constantIbLb1EESY_IbLb0EEEEDaSU_SV_EUlSU_E_NS1_11comp_targetILNS1_3genE9ELNS1_11target_archE1100ELNS1_3gpuE3ELNS1_3repE0EEENS1_30default_config_static_selectorELNS0_4arch9wavefront6targetE1EEEvT1_,comdat
	.protected	_ZN7rocprim17ROCPRIM_400000_NS6detail17trampoline_kernelINS0_14default_configENS1_27scan_by_key_config_selectorIiiEEZZNS1_16scan_by_key_implILNS1_25lookback_scan_determinismE0ELb1ES3_N6thrust23THRUST_200600_302600_NS6detail15normal_iteratorINS9_10device_ptrIiEEEESE_SE_iNS9_10multipliesIiEENS9_8equal_toIiEEiEE10hipError_tPvRmT2_T3_T4_T5_mT6_T7_P12ihipStream_tbENKUlT_T0_E_clISt17integral_constantIbLb1EESY_IbLb0EEEEDaSU_SV_EUlSU_E_NS1_11comp_targetILNS1_3genE9ELNS1_11target_archE1100ELNS1_3gpuE3ELNS1_3repE0EEENS1_30default_config_static_selectorELNS0_4arch9wavefront6targetE1EEEvT1_ ; -- Begin function _ZN7rocprim17ROCPRIM_400000_NS6detail17trampoline_kernelINS0_14default_configENS1_27scan_by_key_config_selectorIiiEEZZNS1_16scan_by_key_implILNS1_25lookback_scan_determinismE0ELb1ES3_N6thrust23THRUST_200600_302600_NS6detail15normal_iteratorINS9_10device_ptrIiEEEESE_SE_iNS9_10multipliesIiEENS9_8equal_toIiEEiEE10hipError_tPvRmT2_T3_T4_T5_mT6_T7_P12ihipStream_tbENKUlT_T0_E_clISt17integral_constantIbLb1EESY_IbLb0EEEEDaSU_SV_EUlSU_E_NS1_11comp_targetILNS1_3genE9ELNS1_11target_archE1100ELNS1_3gpuE3ELNS1_3repE0EEENS1_30default_config_static_selectorELNS0_4arch9wavefront6targetE1EEEvT1_
	.globl	_ZN7rocprim17ROCPRIM_400000_NS6detail17trampoline_kernelINS0_14default_configENS1_27scan_by_key_config_selectorIiiEEZZNS1_16scan_by_key_implILNS1_25lookback_scan_determinismE0ELb1ES3_N6thrust23THRUST_200600_302600_NS6detail15normal_iteratorINS9_10device_ptrIiEEEESE_SE_iNS9_10multipliesIiEENS9_8equal_toIiEEiEE10hipError_tPvRmT2_T3_T4_T5_mT6_T7_P12ihipStream_tbENKUlT_T0_E_clISt17integral_constantIbLb1EESY_IbLb0EEEEDaSU_SV_EUlSU_E_NS1_11comp_targetILNS1_3genE9ELNS1_11target_archE1100ELNS1_3gpuE3ELNS1_3repE0EEENS1_30default_config_static_selectorELNS0_4arch9wavefront6targetE1EEEvT1_
	.p2align	8
	.type	_ZN7rocprim17ROCPRIM_400000_NS6detail17trampoline_kernelINS0_14default_configENS1_27scan_by_key_config_selectorIiiEEZZNS1_16scan_by_key_implILNS1_25lookback_scan_determinismE0ELb1ES3_N6thrust23THRUST_200600_302600_NS6detail15normal_iteratorINS9_10device_ptrIiEEEESE_SE_iNS9_10multipliesIiEENS9_8equal_toIiEEiEE10hipError_tPvRmT2_T3_T4_T5_mT6_T7_P12ihipStream_tbENKUlT_T0_E_clISt17integral_constantIbLb1EESY_IbLb0EEEEDaSU_SV_EUlSU_E_NS1_11comp_targetILNS1_3genE9ELNS1_11target_archE1100ELNS1_3gpuE3ELNS1_3repE0EEENS1_30default_config_static_selectorELNS0_4arch9wavefront6targetE1EEEvT1_,@function
_ZN7rocprim17ROCPRIM_400000_NS6detail17trampoline_kernelINS0_14default_configENS1_27scan_by_key_config_selectorIiiEEZZNS1_16scan_by_key_implILNS1_25lookback_scan_determinismE0ELb1ES3_N6thrust23THRUST_200600_302600_NS6detail15normal_iteratorINS9_10device_ptrIiEEEESE_SE_iNS9_10multipliesIiEENS9_8equal_toIiEEiEE10hipError_tPvRmT2_T3_T4_T5_mT6_T7_P12ihipStream_tbENKUlT_T0_E_clISt17integral_constantIbLb1EESY_IbLb0EEEEDaSU_SV_EUlSU_E_NS1_11comp_targetILNS1_3genE9ELNS1_11target_archE1100ELNS1_3gpuE3ELNS1_3repE0EEENS1_30default_config_static_selectorELNS0_4arch9wavefront6targetE1EEEvT1_: ; @_ZN7rocprim17ROCPRIM_400000_NS6detail17trampoline_kernelINS0_14default_configENS1_27scan_by_key_config_selectorIiiEEZZNS1_16scan_by_key_implILNS1_25lookback_scan_determinismE0ELb1ES3_N6thrust23THRUST_200600_302600_NS6detail15normal_iteratorINS9_10device_ptrIiEEEESE_SE_iNS9_10multipliesIiEENS9_8equal_toIiEEiEE10hipError_tPvRmT2_T3_T4_T5_mT6_T7_P12ihipStream_tbENKUlT_T0_E_clISt17integral_constantIbLb1EESY_IbLb0EEEEDaSU_SV_EUlSU_E_NS1_11comp_targetILNS1_3genE9ELNS1_11target_archE1100ELNS1_3gpuE3ELNS1_3repE0EEENS1_30default_config_static_selectorELNS0_4arch9wavefront6targetE1EEEvT1_
; %bb.0:
	.section	.rodata,"a",@progbits
	.p2align	6, 0x0
	.amdhsa_kernel _ZN7rocprim17ROCPRIM_400000_NS6detail17trampoline_kernelINS0_14default_configENS1_27scan_by_key_config_selectorIiiEEZZNS1_16scan_by_key_implILNS1_25lookback_scan_determinismE0ELb1ES3_N6thrust23THRUST_200600_302600_NS6detail15normal_iteratorINS9_10device_ptrIiEEEESE_SE_iNS9_10multipliesIiEENS9_8equal_toIiEEiEE10hipError_tPvRmT2_T3_T4_T5_mT6_T7_P12ihipStream_tbENKUlT_T0_E_clISt17integral_constantIbLb1EESY_IbLb0EEEEDaSU_SV_EUlSU_E_NS1_11comp_targetILNS1_3genE9ELNS1_11target_archE1100ELNS1_3gpuE3ELNS1_3repE0EEENS1_30default_config_static_selectorELNS0_4arch9wavefront6targetE1EEEvT1_
		.amdhsa_group_segment_fixed_size 0
		.amdhsa_private_segment_fixed_size 0
		.amdhsa_kernarg_size 112
		.amdhsa_user_sgpr_count 2
		.amdhsa_user_sgpr_dispatch_ptr 0
		.amdhsa_user_sgpr_queue_ptr 0
		.amdhsa_user_sgpr_kernarg_segment_ptr 1
		.amdhsa_user_sgpr_dispatch_id 0
		.amdhsa_user_sgpr_kernarg_preload_length 0
		.amdhsa_user_sgpr_kernarg_preload_offset 0
		.amdhsa_user_sgpr_private_segment_size 0
		.amdhsa_uses_dynamic_stack 0
		.amdhsa_enable_private_segment 0
		.amdhsa_system_sgpr_workgroup_id_x 1
		.amdhsa_system_sgpr_workgroup_id_y 0
		.amdhsa_system_sgpr_workgroup_id_z 0
		.amdhsa_system_sgpr_workgroup_info 0
		.amdhsa_system_vgpr_workitem_id 0
		.amdhsa_next_free_vgpr 1
		.amdhsa_next_free_sgpr 0
		.amdhsa_accum_offset 4
		.amdhsa_reserve_vcc 0
		.amdhsa_float_round_mode_32 0
		.amdhsa_float_round_mode_16_64 0
		.amdhsa_float_denorm_mode_32 3
		.amdhsa_float_denorm_mode_16_64 3
		.amdhsa_dx10_clamp 1
		.amdhsa_ieee_mode 1
		.amdhsa_fp16_overflow 0
		.amdhsa_tg_split 0
		.amdhsa_exception_fp_ieee_invalid_op 0
		.amdhsa_exception_fp_denorm_src 0
		.amdhsa_exception_fp_ieee_div_zero 0
		.amdhsa_exception_fp_ieee_overflow 0
		.amdhsa_exception_fp_ieee_underflow 0
		.amdhsa_exception_fp_ieee_inexact 0
		.amdhsa_exception_int_div_zero 0
	.end_amdhsa_kernel
	.section	.text._ZN7rocprim17ROCPRIM_400000_NS6detail17trampoline_kernelINS0_14default_configENS1_27scan_by_key_config_selectorIiiEEZZNS1_16scan_by_key_implILNS1_25lookback_scan_determinismE0ELb1ES3_N6thrust23THRUST_200600_302600_NS6detail15normal_iteratorINS9_10device_ptrIiEEEESE_SE_iNS9_10multipliesIiEENS9_8equal_toIiEEiEE10hipError_tPvRmT2_T3_T4_T5_mT6_T7_P12ihipStream_tbENKUlT_T0_E_clISt17integral_constantIbLb1EESY_IbLb0EEEEDaSU_SV_EUlSU_E_NS1_11comp_targetILNS1_3genE9ELNS1_11target_archE1100ELNS1_3gpuE3ELNS1_3repE0EEENS1_30default_config_static_selectorELNS0_4arch9wavefront6targetE1EEEvT1_,"axG",@progbits,_ZN7rocprim17ROCPRIM_400000_NS6detail17trampoline_kernelINS0_14default_configENS1_27scan_by_key_config_selectorIiiEEZZNS1_16scan_by_key_implILNS1_25lookback_scan_determinismE0ELb1ES3_N6thrust23THRUST_200600_302600_NS6detail15normal_iteratorINS9_10device_ptrIiEEEESE_SE_iNS9_10multipliesIiEENS9_8equal_toIiEEiEE10hipError_tPvRmT2_T3_T4_T5_mT6_T7_P12ihipStream_tbENKUlT_T0_E_clISt17integral_constantIbLb1EESY_IbLb0EEEEDaSU_SV_EUlSU_E_NS1_11comp_targetILNS1_3genE9ELNS1_11target_archE1100ELNS1_3gpuE3ELNS1_3repE0EEENS1_30default_config_static_selectorELNS0_4arch9wavefront6targetE1EEEvT1_,comdat
.Lfunc_end522:
	.size	_ZN7rocprim17ROCPRIM_400000_NS6detail17trampoline_kernelINS0_14default_configENS1_27scan_by_key_config_selectorIiiEEZZNS1_16scan_by_key_implILNS1_25lookback_scan_determinismE0ELb1ES3_N6thrust23THRUST_200600_302600_NS6detail15normal_iteratorINS9_10device_ptrIiEEEESE_SE_iNS9_10multipliesIiEENS9_8equal_toIiEEiEE10hipError_tPvRmT2_T3_T4_T5_mT6_T7_P12ihipStream_tbENKUlT_T0_E_clISt17integral_constantIbLb1EESY_IbLb0EEEEDaSU_SV_EUlSU_E_NS1_11comp_targetILNS1_3genE9ELNS1_11target_archE1100ELNS1_3gpuE3ELNS1_3repE0EEENS1_30default_config_static_selectorELNS0_4arch9wavefront6targetE1EEEvT1_, .Lfunc_end522-_ZN7rocprim17ROCPRIM_400000_NS6detail17trampoline_kernelINS0_14default_configENS1_27scan_by_key_config_selectorIiiEEZZNS1_16scan_by_key_implILNS1_25lookback_scan_determinismE0ELb1ES3_N6thrust23THRUST_200600_302600_NS6detail15normal_iteratorINS9_10device_ptrIiEEEESE_SE_iNS9_10multipliesIiEENS9_8equal_toIiEEiEE10hipError_tPvRmT2_T3_T4_T5_mT6_T7_P12ihipStream_tbENKUlT_T0_E_clISt17integral_constantIbLb1EESY_IbLb0EEEEDaSU_SV_EUlSU_E_NS1_11comp_targetILNS1_3genE9ELNS1_11target_archE1100ELNS1_3gpuE3ELNS1_3repE0EEENS1_30default_config_static_selectorELNS0_4arch9wavefront6targetE1EEEvT1_
                                        ; -- End function
	.section	.AMDGPU.csdata,"",@progbits
; Kernel info:
; codeLenInByte = 0
; NumSgprs: 6
; NumVgprs: 0
; NumAgprs: 0
; TotalNumVgprs: 0
; ScratchSize: 0
; MemoryBound: 0
; FloatMode: 240
; IeeeMode: 1
; LDSByteSize: 0 bytes/workgroup (compile time only)
; SGPRBlocks: 0
; VGPRBlocks: 0
; NumSGPRsForWavesPerEU: 6
; NumVGPRsForWavesPerEU: 1
; AccumOffset: 4
; Occupancy: 8
; WaveLimiterHint : 0
; COMPUTE_PGM_RSRC2:SCRATCH_EN: 0
; COMPUTE_PGM_RSRC2:USER_SGPR: 2
; COMPUTE_PGM_RSRC2:TRAP_HANDLER: 0
; COMPUTE_PGM_RSRC2:TGID_X_EN: 1
; COMPUTE_PGM_RSRC2:TGID_Y_EN: 0
; COMPUTE_PGM_RSRC2:TGID_Z_EN: 0
; COMPUTE_PGM_RSRC2:TIDIG_COMP_CNT: 0
; COMPUTE_PGM_RSRC3_GFX90A:ACCUM_OFFSET: 0
; COMPUTE_PGM_RSRC3_GFX90A:TG_SPLIT: 0
	.section	.text._ZN7rocprim17ROCPRIM_400000_NS6detail17trampoline_kernelINS0_14default_configENS1_27scan_by_key_config_selectorIiiEEZZNS1_16scan_by_key_implILNS1_25lookback_scan_determinismE0ELb1ES3_N6thrust23THRUST_200600_302600_NS6detail15normal_iteratorINS9_10device_ptrIiEEEESE_SE_iNS9_10multipliesIiEENS9_8equal_toIiEEiEE10hipError_tPvRmT2_T3_T4_T5_mT6_T7_P12ihipStream_tbENKUlT_T0_E_clISt17integral_constantIbLb1EESY_IbLb0EEEEDaSU_SV_EUlSU_E_NS1_11comp_targetILNS1_3genE8ELNS1_11target_archE1030ELNS1_3gpuE2ELNS1_3repE0EEENS1_30default_config_static_selectorELNS0_4arch9wavefront6targetE1EEEvT1_,"axG",@progbits,_ZN7rocprim17ROCPRIM_400000_NS6detail17trampoline_kernelINS0_14default_configENS1_27scan_by_key_config_selectorIiiEEZZNS1_16scan_by_key_implILNS1_25lookback_scan_determinismE0ELb1ES3_N6thrust23THRUST_200600_302600_NS6detail15normal_iteratorINS9_10device_ptrIiEEEESE_SE_iNS9_10multipliesIiEENS9_8equal_toIiEEiEE10hipError_tPvRmT2_T3_T4_T5_mT6_T7_P12ihipStream_tbENKUlT_T0_E_clISt17integral_constantIbLb1EESY_IbLb0EEEEDaSU_SV_EUlSU_E_NS1_11comp_targetILNS1_3genE8ELNS1_11target_archE1030ELNS1_3gpuE2ELNS1_3repE0EEENS1_30default_config_static_selectorELNS0_4arch9wavefront6targetE1EEEvT1_,comdat
	.protected	_ZN7rocprim17ROCPRIM_400000_NS6detail17trampoline_kernelINS0_14default_configENS1_27scan_by_key_config_selectorIiiEEZZNS1_16scan_by_key_implILNS1_25lookback_scan_determinismE0ELb1ES3_N6thrust23THRUST_200600_302600_NS6detail15normal_iteratorINS9_10device_ptrIiEEEESE_SE_iNS9_10multipliesIiEENS9_8equal_toIiEEiEE10hipError_tPvRmT2_T3_T4_T5_mT6_T7_P12ihipStream_tbENKUlT_T0_E_clISt17integral_constantIbLb1EESY_IbLb0EEEEDaSU_SV_EUlSU_E_NS1_11comp_targetILNS1_3genE8ELNS1_11target_archE1030ELNS1_3gpuE2ELNS1_3repE0EEENS1_30default_config_static_selectorELNS0_4arch9wavefront6targetE1EEEvT1_ ; -- Begin function _ZN7rocprim17ROCPRIM_400000_NS6detail17trampoline_kernelINS0_14default_configENS1_27scan_by_key_config_selectorIiiEEZZNS1_16scan_by_key_implILNS1_25lookback_scan_determinismE0ELb1ES3_N6thrust23THRUST_200600_302600_NS6detail15normal_iteratorINS9_10device_ptrIiEEEESE_SE_iNS9_10multipliesIiEENS9_8equal_toIiEEiEE10hipError_tPvRmT2_T3_T4_T5_mT6_T7_P12ihipStream_tbENKUlT_T0_E_clISt17integral_constantIbLb1EESY_IbLb0EEEEDaSU_SV_EUlSU_E_NS1_11comp_targetILNS1_3genE8ELNS1_11target_archE1030ELNS1_3gpuE2ELNS1_3repE0EEENS1_30default_config_static_selectorELNS0_4arch9wavefront6targetE1EEEvT1_
	.globl	_ZN7rocprim17ROCPRIM_400000_NS6detail17trampoline_kernelINS0_14default_configENS1_27scan_by_key_config_selectorIiiEEZZNS1_16scan_by_key_implILNS1_25lookback_scan_determinismE0ELb1ES3_N6thrust23THRUST_200600_302600_NS6detail15normal_iteratorINS9_10device_ptrIiEEEESE_SE_iNS9_10multipliesIiEENS9_8equal_toIiEEiEE10hipError_tPvRmT2_T3_T4_T5_mT6_T7_P12ihipStream_tbENKUlT_T0_E_clISt17integral_constantIbLb1EESY_IbLb0EEEEDaSU_SV_EUlSU_E_NS1_11comp_targetILNS1_3genE8ELNS1_11target_archE1030ELNS1_3gpuE2ELNS1_3repE0EEENS1_30default_config_static_selectorELNS0_4arch9wavefront6targetE1EEEvT1_
	.p2align	8
	.type	_ZN7rocprim17ROCPRIM_400000_NS6detail17trampoline_kernelINS0_14default_configENS1_27scan_by_key_config_selectorIiiEEZZNS1_16scan_by_key_implILNS1_25lookback_scan_determinismE0ELb1ES3_N6thrust23THRUST_200600_302600_NS6detail15normal_iteratorINS9_10device_ptrIiEEEESE_SE_iNS9_10multipliesIiEENS9_8equal_toIiEEiEE10hipError_tPvRmT2_T3_T4_T5_mT6_T7_P12ihipStream_tbENKUlT_T0_E_clISt17integral_constantIbLb1EESY_IbLb0EEEEDaSU_SV_EUlSU_E_NS1_11comp_targetILNS1_3genE8ELNS1_11target_archE1030ELNS1_3gpuE2ELNS1_3repE0EEENS1_30default_config_static_selectorELNS0_4arch9wavefront6targetE1EEEvT1_,@function
_ZN7rocprim17ROCPRIM_400000_NS6detail17trampoline_kernelINS0_14default_configENS1_27scan_by_key_config_selectorIiiEEZZNS1_16scan_by_key_implILNS1_25lookback_scan_determinismE0ELb1ES3_N6thrust23THRUST_200600_302600_NS6detail15normal_iteratorINS9_10device_ptrIiEEEESE_SE_iNS9_10multipliesIiEENS9_8equal_toIiEEiEE10hipError_tPvRmT2_T3_T4_T5_mT6_T7_P12ihipStream_tbENKUlT_T0_E_clISt17integral_constantIbLb1EESY_IbLb0EEEEDaSU_SV_EUlSU_E_NS1_11comp_targetILNS1_3genE8ELNS1_11target_archE1030ELNS1_3gpuE2ELNS1_3repE0EEENS1_30default_config_static_selectorELNS0_4arch9wavefront6targetE1EEEvT1_: ; @_ZN7rocprim17ROCPRIM_400000_NS6detail17trampoline_kernelINS0_14default_configENS1_27scan_by_key_config_selectorIiiEEZZNS1_16scan_by_key_implILNS1_25lookback_scan_determinismE0ELb1ES3_N6thrust23THRUST_200600_302600_NS6detail15normal_iteratorINS9_10device_ptrIiEEEESE_SE_iNS9_10multipliesIiEENS9_8equal_toIiEEiEE10hipError_tPvRmT2_T3_T4_T5_mT6_T7_P12ihipStream_tbENKUlT_T0_E_clISt17integral_constantIbLb1EESY_IbLb0EEEEDaSU_SV_EUlSU_E_NS1_11comp_targetILNS1_3genE8ELNS1_11target_archE1030ELNS1_3gpuE2ELNS1_3repE0EEENS1_30default_config_static_selectorELNS0_4arch9wavefront6targetE1EEEvT1_
; %bb.0:
	.section	.rodata,"a",@progbits
	.p2align	6, 0x0
	.amdhsa_kernel _ZN7rocprim17ROCPRIM_400000_NS6detail17trampoline_kernelINS0_14default_configENS1_27scan_by_key_config_selectorIiiEEZZNS1_16scan_by_key_implILNS1_25lookback_scan_determinismE0ELb1ES3_N6thrust23THRUST_200600_302600_NS6detail15normal_iteratorINS9_10device_ptrIiEEEESE_SE_iNS9_10multipliesIiEENS9_8equal_toIiEEiEE10hipError_tPvRmT2_T3_T4_T5_mT6_T7_P12ihipStream_tbENKUlT_T0_E_clISt17integral_constantIbLb1EESY_IbLb0EEEEDaSU_SV_EUlSU_E_NS1_11comp_targetILNS1_3genE8ELNS1_11target_archE1030ELNS1_3gpuE2ELNS1_3repE0EEENS1_30default_config_static_selectorELNS0_4arch9wavefront6targetE1EEEvT1_
		.amdhsa_group_segment_fixed_size 0
		.amdhsa_private_segment_fixed_size 0
		.amdhsa_kernarg_size 112
		.amdhsa_user_sgpr_count 2
		.amdhsa_user_sgpr_dispatch_ptr 0
		.amdhsa_user_sgpr_queue_ptr 0
		.amdhsa_user_sgpr_kernarg_segment_ptr 1
		.amdhsa_user_sgpr_dispatch_id 0
		.amdhsa_user_sgpr_kernarg_preload_length 0
		.amdhsa_user_sgpr_kernarg_preload_offset 0
		.amdhsa_user_sgpr_private_segment_size 0
		.amdhsa_uses_dynamic_stack 0
		.amdhsa_enable_private_segment 0
		.amdhsa_system_sgpr_workgroup_id_x 1
		.amdhsa_system_sgpr_workgroup_id_y 0
		.amdhsa_system_sgpr_workgroup_id_z 0
		.amdhsa_system_sgpr_workgroup_info 0
		.amdhsa_system_vgpr_workitem_id 0
		.amdhsa_next_free_vgpr 1
		.amdhsa_next_free_sgpr 0
		.amdhsa_accum_offset 4
		.amdhsa_reserve_vcc 0
		.amdhsa_float_round_mode_32 0
		.amdhsa_float_round_mode_16_64 0
		.amdhsa_float_denorm_mode_32 3
		.amdhsa_float_denorm_mode_16_64 3
		.amdhsa_dx10_clamp 1
		.amdhsa_ieee_mode 1
		.amdhsa_fp16_overflow 0
		.amdhsa_tg_split 0
		.amdhsa_exception_fp_ieee_invalid_op 0
		.amdhsa_exception_fp_denorm_src 0
		.amdhsa_exception_fp_ieee_div_zero 0
		.amdhsa_exception_fp_ieee_overflow 0
		.amdhsa_exception_fp_ieee_underflow 0
		.amdhsa_exception_fp_ieee_inexact 0
		.amdhsa_exception_int_div_zero 0
	.end_amdhsa_kernel
	.section	.text._ZN7rocprim17ROCPRIM_400000_NS6detail17trampoline_kernelINS0_14default_configENS1_27scan_by_key_config_selectorIiiEEZZNS1_16scan_by_key_implILNS1_25lookback_scan_determinismE0ELb1ES3_N6thrust23THRUST_200600_302600_NS6detail15normal_iteratorINS9_10device_ptrIiEEEESE_SE_iNS9_10multipliesIiEENS9_8equal_toIiEEiEE10hipError_tPvRmT2_T3_T4_T5_mT6_T7_P12ihipStream_tbENKUlT_T0_E_clISt17integral_constantIbLb1EESY_IbLb0EEEEDaSU_SV_EUlSU_E_NS1_11comp_targetILNS1_3genE8ELNS1_11target_archE1030ELNS1_3gpuE2ELNS1_3repE0EEENS1_30default_config_static_selectorELNS0_4arch9wavefront6targetE1EEEvT1_,"axG",@progbits,_ZN7rocprim17ROCPRIM_400000_NS6detail17trampoline_kernelINS0_14default_configENS1_27scan_by_key_config_selectorIiiEEZZNS1_16scan_by_key_implILNS1_25lookback_scan_determinismE0ELb1ES3_N6thrust23THRUST_200600_302600_NS6detail15normal_iteratorINS9_10device_ptrIiEEEESE_SE_iNS9_10multipliesIiEENS9_8equal_toIiEEiEE10hipError_tPvRmT2_T3_T4_T5_mT6_T7_P12ihipStream_tbENKUlT_T0_E_clISt17integral_constantIbLb1EESY_IbLb0EEEEDaSU_SV_EUlSU_E_NS1_11comp_targetILNS1_3genE8ELNS1_11target_archE1030ELNS1_3gpuE2ELNS1_3repE0EEENS1_30default_config_static_selectorELNS0_4arch9wavefront6targetE1EEEvT1_,comdat
.Lfunc_end523:
	.size	_ZN7rocprim17ROCPRIM_400000_NS6detail17trampoline_kernelINS0_14default_configENS1_27scan_by_key_config_selectorIiiEEZZNS1_16scan_by_key_implILNS1_25lookback_scan_determinismE0ELb1ES3_N6thrust23THRUST_200600_302600_NS6detail15normal_iteratorINS9_10device_ptrIiEEEESE_SE_iNS9_10multipliesIiEENS9_8equal_toIiEEiEE10hipError_tPvRmT2_T3_T4_T5_mT6_T7_P12ihipStream_tbENKUlT_T0_E_clISt17integral_constantIbLb1EESY_IbLb0EEEEDaSU_SV_EUlSU_E_NS1_11comp_targetILNS1_3genE8ELNS1_11target_archE1030ELNS1_3gpuE2ELNS1_3repE0EEENS1_30default_config_static_selectorELNS0_4arch9wavefront6targetE1EEEvT1_, .Lfunc_end523-_ZN7rocprim17ROCPRIM_400000_NS6detail17trampoline_kernelINS0_14default_configENS1_27scan_by_key_config_selectorIiiEEZZNS1_16scan_by_key_implILNS1_25lookback_scan_determinismE0ELb1ES3_N6thrust23THRUST_200600_302600_NS6detail15normal_iteratorINS9_10device_ptrIiEEEESE_SE_iNS9_10multipliesIiEENS9_8equal_toIiEEiEE10hipError_tPvRmT2_T3_T4_T5_mT6_T7_P12ihipStream_tbENKUlT_T0_E_clISt17integral_constantIbLb1EESY_IbLb0EEEEDaSU_SV_EUlSU_E_NS1_11comp_targetILNS1_3genE8ELNS1_11target_archE1030ELNS1_3gpuE2ELNS1_3repE0EEENS1_30default_config_static_selectorELNS0_4arch9wavefront6targetE1EEEvT1_
                                        ; -- End function
	.section	.AMDGPU.csdata,"",@progbits
; Kernel info:
; codeLenInByte = 0
; NumSgprs: 6
; NumVgprs: 0
; NumAgprs: 0
; TotalNumVgprs: 0
; ScratchSize: 0
; MemoryBound: 0
; FloatMode: 240
; IeeeMode: 1
; LDSByteSize: 0 bytes/workgroup (compile time only)
; SGPRBlocks: 0
; VGPRBlocks: 0
; NumSGPRsForWavesPerEU: 6
; NumVGPRsForWavesPerEU: 1
; AccumOffset: 4
; Occupancy: 8
; WaveLimiterHint : 0
; COMPUTE_PGM_RSRC2:SCRATCH_EN: 0
; COMPUTE_PGM_RSRC2:USER_SGPR: 2
; COMPUTE_PGM_RSRC2:TRAP_HANDLER: 0
; COMPUTE_PGM_RSRC2:TGID_X_EN: 1
; COMPUTE_PGM_RSRC2:TGID_Y_EN: 0
; COMPUTE_PGM_RSRC2:TGID_Z_EN: 0
; COMPUTE_PGM_RSRC2:TIDIG_COMP_CNT: 0
; COMPUTE_PGM_RSRC3_GFX90A:ACCUM_OFFSET: 0
; COMPUTE_PGM_RSRC3_GFX90A:TG_SPLIT: 0
	.section	.text._ZN7rocprim17ROCPRIM_400000_NS6detail17trampoline_kernelINS0_14default_configENS1_27scan_by_key_config_selectorIiiEEZZNS1_16scan_by_key_implILNS1_25lookback_scan_determinismE0ELb1ES3_N6thrust23THRUST_200600_302600_NS6detail15normal_iteratorINS9_10device_ptrIiEEEESE_SE_iNS9_10multipliesIiEENS9_8equal_toIiEEiEE10hipError_tPvRmT2_T3_T4_T5_mT6_T7_P12ihipStream_tbENKUlT_T0_E_clISt17integral_constantIbLb0EESY_IbLb1EEEEDaSU_SV_EUlSU_E_NS1_11comp_targetILNS1_3genE0ELNS1_11target_archE4294967295ELNS1_3gpuE0ELNS1_3repE0EEENS1_30default_config_static_selectorELNS0_4arch9wavefront6targetE1EEEvT1_,"axG",@progbits,_ZN7rocprim17ROCPRIM_400000_NS6detail17trampoline_kernelINS0_14default_configENS1_27scan_by_key_config_selectorIiiEEZZNS1_16scan_by_key_implILNS1_25lookback_scan_determinismE0ELb1ES3_N6thrust23THRUST_200600_302600_NS6detail15normal_iteratorINS9_10device_ptrIiEEEESE_SE_iNS9_10multipliesIiEENS9_8equal_toIiEEiEE10hipError_tPvRmT2_T3_T4_T5_mT6_T7_P12ihipStream_tbENKUlT_T0_E_clISt17integral_constantIbLb0EESY_IbLb1EEEEDaSU_SV_EUlSU_E_NS1_11comp_targetILNS1_3genE0ELNS1_11target_archE4294967295ELNS1_3gpuE0ELNS1_3repE0EEENS1_30default_config_static_selectorELNS0_4arch9wavefront6targetE1EEEvT1_,comdat
	.protected	_ZN7rocprim17ROCPRIM_400000_NS6detail17trampoline_kernelINS0_14default_configENS1_27scan_by_key_config_selectorIiiEEZZNS1_16scan_by_key_implILNS1_25lookback_scan_determinismE0ELb1ES3_N6thrust23THRUST_200600_302600_NS6detail15normal_iteratorINS9_10device_ptrIiEEEESE_SE_iNS9_10multipliesIiEENS9_8equal_toIiEEiEE10hipError_tPvRmT2_T3_T4_T5_mT6_T7_P12ihipStream_tbENKUlT_T0_E_clISt17integral_constantIbLb0EESY_IbLb1EEEEDaSU_SV_EUlSU_E_NS1_11comp_targetILNS1_3genE0ELNS1_11target_archE4294967295ELNS1_3gpuE0ELNS1_3repE0EEENS1_30default_config_static_selectorELNS0_4arch9wavefront6targetE1EEEvT1_ ; -- Begin function _ZN7rocprim17ROCPRIM_400000_NS6detail17trampoline_kernelINS0_14default_configENS1_27scan_by_key_config_selectorIiiEEZZNS1_16scan_by_key_implILNS1_25lookback_scan_determinismE0ELb1ES3_N6thrust23THRUST_200600_302600_NS6detail15normal_iteratorINS9_10device_ptrIiEEEESE_SE_iNS9_10multipliesIiEENS9_8equal_toIiEEiEE10hipError_tPvRmT2_T3_T4_T5_mT6_T7_P12ihipStream_tbENKUlT_T0_E_clISt17integral_constantIbLb0EESY_IbLb1EEEEDaSU_SV_EUlSU_E_NS1_11comp_targetILNS1_3genE0ELNS1_11target_archE4294967295ELNS1_3gpuE0ELNS1_3repE0EEENS1_30default_config_static_selectorELNS0_4arch9wavefront6targetE1EEEvT1_
	.globl	_ZN7rocprim17ROCPRIM_400000_NS6detail17trampoline_kernelINS0_14default_configENS1_27scan_by_key_config_selectorIiiEEZZNS1_16scan_by_key_implILNS1_25lookback_scan_determinismE0ELb1ES3_N6thrust23THRUST_200600_302600_NS6detail15normal_iteratorINS9_10device_ptrIiEEEESE_SE_iNS9_10multipliesIiEENS9_8equal_toIiEEiEE10hipError_tPvRmT2_T3_T4_T5_mT6_T7_P12ihipStream_tbENKUlT_T0_E_clISt17integral_constantIbLb0EESY_IbLb1EEEEDaSU_SV_EUlSU_E_NS1_11comp_targetILNS1_3genE0ELNS1_11target_archE4294967295ELNS1_3gpuE0ELNS1_3repE0EEENS1_30default_config_static_selectorELNS0_4arch9wavefront6targetE1EEEvT1_
	.p2align	8
	.type	_ZN7rocprim17ROCPRIM_400000_NS6detail17trampoline_kernelINS0_14default_configENS1_27scan_by_key_config_selectorIiiEEZZNS1_16scan_by_key_implILNS1_25lookback_scan_determinismE0ELb1ES3_N6thrust23THRUST_200600_302600_NS6detail15normal_iteratorINS9_10device_ptrIiEEEESE_SE_iNS9_10multipliesIiEENS9_8equal_toIiEEiEE10hipError_tPvRmT2_T3_T4_T5_mT6_T7_P12ihipStream_tbENKUlT_T0_E_clISt17integral_constantIbLb0EESY_IbLb1EEEEDaSU_SV_EUlSU_E_NS1_11comp_targetILNS1_3genE0ELNS1_11target_archE4294967295ELNS1_3gpuE0ELNS1_3repE0EEENS1_30default_config_static_selectorELNS0_4arch9wavefront6targetE1EEEvT1_,@function
_ZN7rocprim17ROCPRIM_400000_NS6detail17trampoline_kernelINS0_14default_configENS1_27scan_by_key_config_selectorIiiEEZZNS1_16scan_by_key_implILNS1_25lookback_scan_determinismE0ELb1ES3_N6thrust23THRUST_200600_302600_NS6detail15normal_iteratorINS9_10device_ptrIiEEEESE_SE_iNS9_10multipliesIiEENS9_8equal_toIiEEiEE10hipError_tPvRmT2_T3_T4_T5_mT6_T7_P12ihipStream_tbENKUlT_T0_E_clISt17integral_constantIbLb0EESY_IbLb1EEEEDaSU_SV_EUlSU_E_NS1_11comp_targetILNS1_3genE0ELNS1_11target_archE4294967295ELNS1_3gpuE0ELNS1_3repE0EEENS1_30default_config_static_selectorELNS0_4arch9wavefront6targetE1EEEvT1_: ; @_ZN7rocprim17ROCPRIM_400000_NS6detail17trampoline_kernelINS0_14default_configENS1_27scan_by_key_config_selectorIiiEEZZNS1_16scan_by_key_implILNS1_25lookback_scan_determinismE0ELb1ES3_N6thrust23THRUST_200600_302600_NS6detail15normal_iteratorINS9_10device_ptrIiEEEESE_SE_iNS9_10multipliesIiEENS9_8equal_toIiEEiEE10hipError_tPvRmT2_T3_T4_T5_mT6_T7_P12ihipStream_tbENKUlT_T0_E_clISt17integral_constantIbLb0EESY_IbLb1EEEEDaSU_SV_EUlSU_E_NS1_11comp_targetILNS1_3genE0ELNS1_11target_archE4294967295ELNS1_3gpuE0ELNS1_3repE0EEENS1_30default_config_static_selectorELNS0_4arch9wavefront6targetE1EEEvT1_
; %bb.0:
	.section	.rodata,"a",@progbits
	.p2align	6, 0x0
	.amdhsa_kernel _ZN7rocprim17ROCPRIM_400000_NS6detail17trampoline_kernelINS0_14default_configENS1_27scan_by_key_config_selectorIiiEEZZNS1_16scan_by_key_implILNS1_25lookback_scan_determinismE0ELb1ES3_N6thrust23THRUST_200600_302600_NS6detail15normal_iteratorINS9_10device_ptrIiEEEESE_SE_iNS9_10multipliesIiEENS9_8equal_toIiEEiEE10hipError_tPvRmT2_T3_T4_T5_mT6_T7_P12ihipStream_tbENKUlT_T0_E_clISt17integral_constantIbLb0EESY_IbLb1EEEEDaSU_SV_EUlSU_E_NS1_11comp_targetILNS1_3genE0ELNS1_11target_archE4294967295ELNS1_3gpuE0ELNS1_3repE0EEENS1_30default_config_static_selectorELNS0_4arch9wavefront6targetE1EEEvT1_
		.amdhsa_group_segment_fixed_size 0
		.amdhsa_private_segment_fixed_size 0
		.amdhsa_kernarg_size 112
		.amdhsa_user_sgpr_count 2
		.amdhsa_user_sgpr_dispatch_ptr 0
		.amdhsa_user_sgpr_queue_ptr 0
		.amdhsa_user_sgpr_kernarg_segment_ptr 1
		.amdhsa_user_sgpr_dispatch_id 0
		.amdhsa_user_sgpr_kernarg_preload_length 0
		.amdhsa_user_sgpr_kernarg_preload_offset 0
		.amdhsa_user_sgpr_private_segment_size 0
		.amdhsa_uses_dynamic_stack 0
		.amdhsa_enable_private_segment 0
		.amdhsa_system_sgpr_workgroup_id_x 1
		.amdhsa_system_sgpr_workgroup_id_y 0
		.amdhsa_system_sgpr_workgroup_id_z 0
		.amdhsa_system_sgpr_workgroup_info 0
		.amdhsa_system_vgpr_workitem_id 0
		.amdhsa_next_free_vgpr 1
		.amdhsa_next_free_sgpr 0
		.amdhsa_accum_offset 4
		.amdhsa_reserve_vcc 0
		.amdhsa_float_round_mode_32 0
		.amdhsa_float_round_mode_16_64 0
		.amdhsa_float_denorm_mode_32 3
		.amdhsa_float_denorm_mode_16_64 3
		.amdhsa_dx10_clamp 1
		.amdhsa_ieee_mode 1
		.amdhsa_fp16_overflow 0
		.amdhsa_tg_split 0
		.amdhsa_exception_fp_ieee_invalid_op 0
		.amdhsa_exception_fp_denorm_src 0
		.amdhsa_exception_fp_ieee_div_zero 0
		.amdhsa_exception_fp_ieee_overflow 0
		.amdhsa_exception_fp_ieee_underflow 0
		.amdhsa_exception_fp_ieee_inexact 0
		.amdhsa_exception_int_div_zero 0
	.end_amdhsa_kernel
	.section	.text._ZN7rocprim17ROCPRIM_400000_NS6detail17trampoline_kernelINS0_14default_configENS1_27scan_by_key_config_selectorIiiEEZZNS1_16scan_by_key_implILNS1_25lookback_scan_determinismE0ELb1ES3_N6thrust23THRUST_200600_302600_NS6detail15normal_iteratorINS9_10device_ptrIiEEEESE_SE_iNS9_10multipliesIiEENS9_8equal_toIiEEiEE10hipError_tPvRmT2_T3_T4_T5_mT6_T7_P12ihipStream_tbENKUlT_T0_E_clISt17integral_constantIbLb0EESY_IbLb1EEEEDaSU_SV_EUlSU_E_NS1_11comp_targetILNS1_3genE0ELNS1_11target_archE4294967295ELNS1_3gpuE0ELNS1_3repE0EEENS1_30default_config_static_selectorELNS0_4arch9wavefront6targetE1EEEvT1_,"axG",@progbits,_ZN7rocprim17ROCPRIM_400000_NS6detail17trampoline_kernelINS0_14default_configENS1_27scan_by_key_config_selectorIiiEEZZNS1_16scan_by_key_implILNS1_25lookback_scan_determinismE0ELb1ES3_N6thrust23THRUST_200600_302600_NS6detail15normal_iteratorINS9_10device_ptrIiEEEESE_SE_iNS9_10multipliesIiEENS9_8equal_toIiEEiEE10hipError_tPvRmT2_T3_T4_T5_mT6_T7_P12ihipStream_tbENKUlT_T0_E_clISt17integral_constantIbLb0EESY_IbLb1EEEEDaSU_SV_EUlSU_E_NS1_11comp_targetILNS1_3genE0ELNS1_11target_archE4294967295ELNS1_3gpuE0ELNS1_3repE0EEENS1_30default_config_static_selectorELNS0_4arch9wavefront6targetE1EEEvT1_,comdat
.Lfunc_end524:
	.size	_ZN7rocprim17ROCPRIM_400000_NS6detail17trampoline_kernelINS0_14default_configENS1_27scan_by_key_config_selectorIiiEEZZNS1_16scan_by_key_implILNS1_25lookback_scan_determinismE0ELb1ES3_N6thrust23THRUST_200600_302600_NS6detail15normal_iteratorINS9_10device_ptrIiEEEESE_SE_iNS9_10multipliesIiEENS9_8equal_toIiEEiEE10hipError_tPvRmT2_T3_T4_T5_mT6_T7_P12ihipStream_tbENKUlT_T0_E_clISt17integral_constantIbLb0EESY_IbLb1EEEEDaSU_SV_EUlSU_E_NS1_11comp_targetILNS1_3genE0ELNS1_11target_archE4294967295ELNS1_3gpuE0ELNS1_3repE0EEENS1_30default_config_static_selectorELNS0_4arch9wavefront6targetE1EEEvT1_, .Lfunc_end524-_ZN7rocprim17ROCPRIM_400000_NS6detail17trampoline_kernelINS0_14default_configENS1_27scan_by_key_config_selectorIiiEEZZNS1_16scan_by_key_implILNS1_25lookback_scan_determinismE0ELb1ES3_N6thrust23THRUST_200600_302600_NS6detail15normal_iteratorINS9_10device_ptrIiEEEESE_SE_iNS9_10multipliesIiEENS9_8equal_toIiEEiEE10hipError_tPvRmT2_T3_T4_T5_mT6_T7_P12ihipStream_tbENKUlT_T0_E_clISt17integral_constantIbLb0EESY_IbLb1EEEEDaSU_SV_EUlSU_E_NS1_11comp_targetILNS1_3genE0ELNS1_11target_archE4294967295ELNS1_3gpuE0ELNS1_3repE0EEENS1_30default_config_static_selectorELNS0_4arch9wavefront6targetE1EEEvT1_
                                        ; -- End function
	.section	.AMDGPU.csdata,"",@progbits
; Kernel info:
; codeLenInByte = 0
; NumSgprs: 6
; NumVgprs: 0
; NumAgprs: 0
; TotalNumVgprs: 0
; ScratchSize: 0
; MemoryBound: 0
; FloatMode: 240
; IeeeMode: 1
; LDSByteSize: 0 bytes/workgroup (compile time only)
; SGPRBlocks: 0
; VGPRBlocks: 0
; NumSGPRsForWavesPerEU: 6
; NumVGPRsForWavesPerEU: 1
; AccumOffset: 4
; Occupancy: 8
; WaveLimiterHint : 0
; COMPUTE_PGM_RSRC2:SCRATCH_EN: 0
; COMPUTE_PGM_RSRC2:USER_SGPR: 2
; COMPUTE_PGM_RSRC2:TRAP_HANDLER: 0
; COMPUTE_PGM_RSRC2:TGID_X_EN: 1
; COMPUTE_PGM_RSRC2:TGID_Y_EN: 0
; COMPUTE_PGM_RSRC2:TGID_Z_EN: 0
; COMPUTE_PGM_RSRC2:TIDIG_COMP_CNT: 0
; COMPUTE_PGM_RSRC3_GFX90A:ACCUM_OFFSET: 0
; COMPUTE_PGM_RSRC3_GFX90A:TG_SPLIT: 0
	.section	.text._ZN7rocprim17ROCPRIM_400000_NS6detail17trampoline_kernelINS0_14default_configENS1_27scan_by_key_config_selectorIiiEEZZNS1_16scan_by_key_implILNS1_25lookback_scan_determinismE0ELb1ES3_N6thrust23THRUST_200600_302600_NS6detail15normal_iteratorINS9_10device_ptrIiEEEESE_SE_iNS9_10multipliesIiEENS9_8equal_toIiEEiEE10hipError_tPvRmT2_T3_T4_T5_mT6_T7_P12ihipStream_tbENKUlT_T0_E_clISt17integral_constantIbLb0EESY_IbLb1EEEEDaSU_SV_EUlSU_E_NS1_11comp_targetILNS1_3genE10ELNS1_11target_archE1201ELNS1_3gpuE5ELNS1_3repE0EEENS1_30default_config_static_selectorELNS0_4arch9wavefront6targetE1EEEvT1_,"axG",@progbits,_ZN7rocprim17ROCPRIM_400000_NS6detail17trampoline_kernelINS0_14default_configENS1_27scan_by_key_config_selectorIiiEEZZNS1_16scan_by_key_implILNS1_25lookback_scan_determinismE0ELb1ES3_N6thrust23THRUST_200600_302600_NS6detail15normal_iteratorINS9_10device_ptrIiEEEESE_SE_iNS9_10multipliesIiEENS9_8equal_toIiEEiEE10hipError_tPvRmT2_T3_T4_T5_mT6_T7_P12ihipStream_tbENKUlT_T0_E_clISt17integral_constantIbLb0EESY_IbLb1EEEEDaSU_SV_EUlSU_E_NS1_11comp_targetILNS1_3genE10ELNS1_11target_archE1201ELNS1_3gpuE5ELNS1_3repE0EEENS1_30default_config_static_selectorELNS0_4arch9wavefront6targetE1EEEvT1_,comdat
	.protected	_ZN7rocprim17ROCPRIM_400000_NS6detail17trampoline_kernelINS0_14default_configENS1_27scan_by_key_config_selectorIiiEEZZNS1_16scan_by_key_implILNS1_25lookback_scan_determinismE0ELb1ES3_N6thrust23THRUST_200600_302600_NS6detail15normal_iteratorINS9_10device_ptrIiEEEESE_SE_iNS9_10multipliesIiEENS9_8equal_toIiEEiEE10hipError_tPvRmT2_T3_T4_T5_mT6_T7_P12ihipStream_tbENKUlT_T0_E_clISt17integral_constantIbLb0EESY_IbLb1EEEEDaSU_SV_EUlSU_E_NS1_11comp_targetILNS1_3genE10ELNS1_11target_archE1201ELNS1_3gpuE5ELNS1_3repE0EEENS1_30default_config_static_selectorELNS0_4arch9wavefront6targetE1EEEvT1_ ; -- Begin function _ZN7rocprim17ROCPRIM_400000_NS6detail17trampoline_kernelINS0_14default_configENS1_27scan_by_key_config_selectorIiiEEZZNS1_16scan_by_key_implILNS1_25lookback_scan_determinismE0ELb1ES3_N6thrust23THRUST_200600_302600_NS6detail15normal_iteratorINS9_10device_ptrIiEEEESE_SE_iNS9_10multipliesIiEENS9_8equal_toIiEEiEE10hipError_tPvRmT2_T3_T4_T5_mT6_T7_P12ihipStream_tbENKUlT_T0_E_clISt17integral_constantIbLb0EESY_IbLb1EEEEDaSU_SV_EUlSU_E_NS1_11comp_targetILNS1_3genE10ELNS1_11target_archE1201ELNS1_3gpuE5ELNS1_3repE0EEENS1_30default_config_static_selectorELNS0_4arch9wavefront6targetE1EEEvT1_
	.globl	_ZN7rocprim17ROCPRIM_400000_NS6detail17trampoline_kernelINS0_14default_configENS1_27scan_by_key_config_selectorIiiEEZZNS1_16scan_by_key_implILNS1_25lookback_scan_determinismE0ELb1ES3_N6thrust23THRUST_200600_302600_NS6detail15normal_iteratorINS9_10device_ptrIiEEEESE_SE_iNS9_10multipliesIiEENS9_8equal_toIiEEiEE10hipError_tPvRmT2_T3_T4_T5_mT6_T7_P12ihipStream_tbENKUlT_T0_E_clISt17integral_constantIbLb0EESY_IbLb1EEEEDaSU_SV_EUlSU_E_NS1_11comp_targetILNS1_3genE10ELNS1_11target_archE1201ELNS1_3gpuE5ELNS1_3repE0EEENS1_30default_config_static_selectorELNS0_4arch9wavefront6targetE1EEEvT1_
	.p2align	8
	.type	_ZN7rocprim17ROCPRIM_400000_NS6detail17trampoline_kernelINS0_14default_configENS1_27scan_by_key_config_selectorIiiEEZZNS1_16scan_by_key_implILNS1_25lookback_scan_determinismE0ELb1ES3_N6thrust23THRUST_200600_302600_NS6detail15normal_iteratorINS9_10device_ptrIiEEEESE_SE_iNS9_10multipliesIiEENS9_8equal_toIiEEiEE10hipError_tPvRmT2_T3_T4_T5_mT6_T7_P12ihipStream_tbENKUlT_T0_E_clISt17integral_constantIbLb0EESY_IbLb1EEEEDaSU_SV_EUlSU_E_NS1_11comp_targetILNS1_3genE10ELNS1_11target_archE1201ELNS1_3gpuE5ELNS1_3repE0EEENS1_30default_config_static_selectorELNS0_4arch9wavefront6targetE1EEEvT1_,@function
_ZN7rocprim17ROCPRIM_400000_NS6detail17trampoline_kernelINS0_14default_configENS1_27scan_by_key_config_selectorIiiEEZZNS1_16scan_by_key_implILNS1_25lookback_scan_determinismE0ELb1ES3_N6thrust23THRUST_200600_302600_NS6detail15normal_iteratorINS9_10device_ptrIiEEEESE_SE_iNS9_10multipliesIiEENS9_8equal_toIiEEiEE10hipError_tPvRmT2_T3_T4_T5_mT6_T7_P12ihipStream_tbENKUlT_T0_E_clISt17integral_constantIbLb0EESY_IbLb1EEEEDaSU_SV_EUlSU_E_NS1_11comp_targetILNS1_3genE10ELNS1_11target_archE1201ELNS1_3gpuE5ELNS1_3repE0EEENS1_30default_config_static_selectorELNS0_4arch9wavefront6targetE1EEEvT1_: ; @_ZN7rocprim17ROCPRIM_400000_NS6detail17trampoline_kernelINS0_14default_configENS1_27scan_by_key_config_selectorIiiEEZZNS1_16scan_by_key_implILNS1_25lookback_scan_determinismE0ELb1ES3_N6thrust23THRUST_200600_302600_NS6detail15normal_iteratorINS9_10device_ptrIiEEEESE_SE_iNS9_10multipliesIiEENS9_8equal_toIiEEiEE10hipError_tPvRmT2_T3_T4_T5_mT6_T7_P12ihipStream_tbENKUlT_T0_E_clISt17integral_constantIbLb0EESY_IbLb1EEEEDaSU_SV_EUlSU_E_NS1_11comp_targetILNS1_3genE10ELNS1_11target_archE1201ELNS1_3gpuE5ELNS1_3repE0EEENS1_30default_config_static_selectorELNS0_4arch9wavefront6targetE1EEEvT1_
; %bb.0:
	.section	.rodata,"a",@progbits
	.p2align	6, 0x0
	.amdhsa_kernel _ZN7rocprim17ROCPRIM_400000_NS6detail17trampoline_kernelINS0_14default_configENS1_27scan_by_key_config_selectorIiiEEZZNS1_16scan_by_key_implILNS1_25lookback_scan_determinismE0ELb1ES3_N6thrust23THRUST_200600_302600_NS6detail15normal_iteratorINS9_10device_ptrIiEEEESE_SE_iNS9_10multipliesIiEENS9_8equal_toIiEEiEE10hipError_tPvRmT2_T3_T4_T5_mT6_T7_P12ihipStream_tbENKUlT_T0_E_clISt17integral_constantIbLb0EESY_IbLb1EEEEDaSU_SV_EUlSU_E_NS1_11comp_targetILNS1_3genE10ELNS1_11target_archE1201ELNS1_3gpuE5ELNS1_3repE0EEENS1_30default_config_static_selectorELNS0_4arch9wavefront6targetE1EEEvT1_
		.amdhsa_group_segment_fixed_size 0
		.amdhsa_private_segment_fixed_size 0
		.amdhsa_kernarg_size 112
		.amdhsa_user_sgpr_count 2
		.amdhsa_user_sgpr_dispatch_ptr 0
		.amdhsa_user_sgpr_queue_ptr 0
		.amdhsa_user_sgpr_kernarg_segment_ptr 1
		.amdhsa_user_sgpr_dispatch_id 0
		.amdhsa_user_sgpr_kernarg_preload_length 0
		.amdhsa_user_sgpr_kernarg_preload_offset 0
		.amdhsa_user_sgpr_private_segment_size 0
		.amdhsa_uses_dynamic_stack 0
		.amdhsa_enable_private_segment 0
		.amdhsa_system_sgpr_workgroup_id_x 1
		.amdhsa_system_sgpr_workgroup_id_y 0
		.amdhsa_system_sgpr_workgroup_id_z 0
		.amdhsa_system_sgpr_workgroup_info 0
		.amdhsa_system_vgpr_workitem_id 0
		.amdhsa_next_free_vgpr 1
		.amdhsa_next_free_sgpr 0
		.amdhsa_accum_offset 4
		.amdhsa_reserve_vcc 0
		.amdhsa_float_round_mode_32 0
		.amdhsa_float_round_mode_16_64 0
		.amdhsa_float_denorm_mode_32 3
		.amdhsa_float_denorm_mode_16_64 3
		.amdhsa_dx10_clamp 1
		.amdhsa_ieee_mode 1
		.amdhsa_fp16_overflow 0
		.amdhsa_tg_split 0
		.amdhsa_exception_fp_ieee_invalid_op 0
		.amdhsa_exception_fp_denorm_src 0
		.amdhsa_exception_fp_ieee_div_zero 0
		.amdhsa_exception_fp_ieee_overflow 0
		.amdhsa_exception_fp_ieee_underflow 0
		.amdhsa_exception_fp_ieee_inexact 0
		.amdhsa_exception_int_div_zero 0
	.end_amdhsa_kernel
	.section	.text._ZN7rocprim17ROCPRIM_400000_NS6detail17trampoline_kernelINS0_14default_configENS1_27scan_by_key_config_selectorIiiEEZZNS1_16scan_by_key_implILNS1_25lookback_scan_determinismE0ELb1ES3_N6thrust23THRUST_200600_302600_NS6detail15normal_iteratorINS9_10device_ptrIiEEEESE_SE_iNS9_10multipliesIiEENS9_8equal_toIiEEiEE10hipError_tPvRmT2_T3_T4_T5_mT6_T7_P12ihipStream_tbENKUlT_T0_E_clISt17integral_constantIbLb0EESY_IbLb1EEEEDaSU_SV_EUlSU_E_NS1_11comp_targetILNS1_3genE10ELNS1_11target_archE1201ELNS1_3gpuE5ELNS1_3repE0EEENS1_30default_config_static_selectorELNS0_4arch9wavefront6targetE1EEEvT1_,"axG",@progbits,_ZN7rocprim17ROCPRIM_400000_NS6detail17trampoline_kernelINS0_14default_configENS1_27scan_by_key_config_selectorIiiEEZZNS1_16scan_by_key_implILNS1_25lookback_scan_determinismE0ELb1ES3_N6thrust23THRUST_200600_302600_NS6detail15normal_iteratorINS9_10device_ptrIiEEEESE_SE_iNS9_10multipliesIiEENS9_8equal_toIiEEiEE10hipError_tPvRmT2_T3_T4_T5_mT6_T7_P12ihipStream_tbENKUlT_T0_E_clISt17integral_constantIbLb0EESY_IbLb1EEEEDaSU_SV_EUlSU_E_NS1_11comp_targetILNS1_3genE10ELNS1_11target_archE1201ELNS1_3gpuE5ELNS1_3repE0EEENS1_30default_config_static_selectorELNS0_4arch9wavefront6targetE1EEEvT1_,comdat
.Lfunc_end525:
	.size	_ZN7rocprim17ROCPRIM_400000_NS6detail17trampoline_kernelINS0_14default_configENS1_27scan_by_key_config_selectorIiiEEZZNS1_16scan_by_key_implILNS1_25lookback_scan_determinismE0ELb1ES3_N6thrust23THRUST_200600_302600_NS6detail15normal_iteratorINS9_10device_ptrIiEEEESE_SE_iNS9_10multipliesIiEENS9_8equal_toIiEEiEE10hipError_tPvRmT2_T3_T4_T5_mT6_T7_P12ihipStream_tbENKUlT_T0_E_clISt17integral_constantIbLb0EESY_IbLb1EEEEDaSU_SV_EUlSU_E_NS1_11comp_targetILNS1_3genE10ELNS1_11target_archE1201ELNS1_3gpuE5ELNS1_3repE0EEENS1_30default_config_static_selectorELNS0_4arch9wavefront6targetE1EEEvT1_, .Lfunc_end525-_ZN7rocprim17ROCPRIM_400000_NS6detail17trampoline_kernelINS0_14default_configENS1_27scan_by_key_config_selectorIiiEEZZNS1_16scan_by_key_implILNS1_25lookback_scan_determinismE0ELb1ES3_N6thrust23THRUST_200600_302600_NS6detail15normal_iteratorINS9_10device_ptrIiEEEESE_SE_iNS9_10multipliesIiEENS9_8equal_toIiEEiEE10hipError_tPvRmT2_T3_T4_T5_mT6_T7_P12ihipStream_tbENKUlT_T0_E_clISt17integral_constantIbLb0EESY_IbLb1EEEEDaSU_SV_EUlSU_E_NS1_11comp_targetILNS1_3genE10ELNS1_11target_archE1201ELNS1_3gpuE5ELNS1_3repE0EEENS1_30default_config_static_selectorELNS0_4arch9wavefront6targetE1EEEvT1_
                                        ; -- End function
	.section	.AMDGPU.csdata,"",@progbits
; Kernel info:
; codeLenInByte = 0
; NumSgprs: 6
; NumVgprs: 0
; NumAgprs: 0
; TotalNumVgprs: 0
; ScratchSize: 0
; MemoryBound: 0
; FloatMode: 240
; IeeeMode: 1
; LDSByteSize: 0 bytes/workgroup (compile time only)
; SGPRBlocks: 0
; VGPRBlocks: 0
; NumSGPRsForWavesPerEU: 6
; NumVGPRsForWavesPerEU: 1
; AccumOffset: 4
; Occupancy: 8
; WaveLimiterHint : 0
; COMPUTE_PGM_RSRC2:SCRATCH_EN: 0
; COMPUTE_PGM_RSRC2:USER_SGPR: 2
; COMPUTE_PGM_RSRC2:TRAP_HANDLER: 0
; COMPUTE_PGM_RSRC2:TGID_X_EN: 1
; COMPUTE_PGM_RSRC2:TGID_Y_EN: 0
; COMPUTE_PGM_RSRC2:TGID_Z_EN: 0
; COMPUTE_PGM_RSRC2:TIDIG_COMP_CNT: 0
; COMPUTE_PGM_RSRC3_GFX90A:ACCUM_OFFSET: 0
; COMPUTE_PGM_RSRC3_GFX90A:TG_SPLIT: 0
	.section	.text._ZN7rocprim17ROCPRIM_400000_NS6detail17trampoline_kernelINS0_14default_configENS1_27scan_by_key_config_selectorIiiEEZZNS1_16scan_by_key_implILNS1_25lookback_scan_determinismE0ELb1ES3_N6thrust23THRUST_200600_302600_NS6detail15normal_iteratorINS9_10device_ptrIiEEEESE_SE_iNS9_10multipliesIiEENS9_8equal_toIiEEiEE10hipError_tPvRmT2_T3_T4_T5_mT6_T7_P12ihipStream_tbENKUlT_T0_E_clISt17integral_constantIbLb0EESY_IbLb1EEEEDaSU_SV_EUlSU_E_NS1_11comp_targetILNS1_3genE5ELNS1_11target_archE942ELNS1_3gpuE9ELNS1_3repE0EEENS1_30default_config_static_selectorELNS0_4arch9wavefront6targetE1EEEvT1_,"axG",@progbits,_ZN7rocprim17ROCPRIM_400000_NS6detail17trampoline_kernelINS0_14default_configENS1_27scan_by_key_config_selectorIiiEEZZNS1_16scan_by_key_implILNS1_25lookback_scan_determinismE0ELb1ES3_N6thrust23THRUST_200600_302600_NS6detail15normal_iteratorINS9_10device_ptrIiEEEESE_SE_iNS9_10multipliesIiEENS9_8equal_toIiEEiEE10hipError_tPvRmT2_T3_T4_T5_mT6_T7_P12ihipStream_tbENKUlT_T0_E_clISt17integral_constantIbLb0EESY_IbLb1EEEEDaSU_SV_EUlSU_E_NS1_11comp_targetILNS1_3genE5ELNS1_11target_archE942ELNS1_3gpuE9ELNS1_3repE0EEENS1_30default_config_static_selectorELNS0_4arch9wavefront6targetE1EEEvT1_,comdat
	.protected	_ZN7rocprim17ROCPRIM_400000_NS6detail17trampoline_kernelINS0_14default_configENS1_27scan_by_key_config_selectorIiiEEZZNS1_16scan_by_key_implILNS1_25lookback_scan_determinismE0ELb1ES3_N6thrust23THRUST_200600_302600_NS6detail15normal_iteratorINS9_10device_ptrIiEEEESE_SE_iNS9_10multipliesIiEENS9_8equal_toIiEEiEE10hipError_tPvRmT2_T3_T4_T5_mT6_T7_P12ihipStream_tbENKUlT_T0_E_clISt17integral_constantIbLb0EESY_IbLb1EEEEDaSU_SV_EUlSU_E_NS1_11comp_targetILNS1_3genE5ELNS1_11target_archE942ELNS1_3gpuE9ELNS1_3repE0EEENS1_30default_config_static_selectorELNS0_4arch9wavefront6targetE1EEEvT1_ ; -- Begin function _ZN7rocprim17ROCPRIM_400000_NS6detail17trampoline_kernelINS0_14default_configENS1_27scan_by_key_config_selectorIiiEEZZNS1_16scan_by_key_implILNS1_25lookback_scan_determinismE0ELb1ES3_N6thrust23THRUST_200600_302600_NS6detail15normal_iteratorINS9_10device_ptrIiEEEESE_SE_iNS9_10multipliesIiEENS9_8equal_toIiEEiEE10hipError_tPvRmT2_T3_T4_T5_mT6_T7_P12ihipStream_tbENKUlT_T0_E_clISt17integral_constantIbLb0EESY_IbLb1EEEEDaSU_SV_EUlSU_E_NS1_11comp_targetILNS1_3genE5ELNS1_11target_archE942ELNS1_3gpuE9ELNS1_3repE0EEENS1_30default_config_static_selectorELNS0_4arch9wavefront6targetE1EEEvT1_
	.globl	_ZN7rocprim17ROCPRIM_400000_NS6detail17trampoline_kernelINS0_14default_configENS1_27scan_by_key_config_selectorIiiEEZZNS1_16scan_by_key_implILNS1_25lookback_scan_determinismE0ELb1ES3_N6thrust23THRUST_200600_302600_NS6detail15normal_iteratorINS9_10device_ptrIiEEEESE_SE_iNS9_10multipliesIiEENS9_8equal_toIiEEiEE10hipError_tPvRmT2_T3_T4_T5_mT6_T7_P12ihipStream_tbENKUlT_T0_E_clISt17integral_constantIbLb0EESY_IbLb1EEEEDaSU_SV_EUlSU_E_NS1_11comp_targetILNS1_3genE5ELNS1_11target_archE942ELNS1_3gpuE9ELNS1_3repE0EEENS1_30default_config_static_selectorELNS0_4arch9wavefront6targetE1EEEvT1_
	.p2align	8
	.type	_ZN7rocprim17ROCPRIM_400000_NS6detail17trampoline_kernelINS0_14default_configENS1_27scan_by_key_config_selectorIiiEEZZNS1_16scan_by_key_implILNS1_25lookback_scan_determinismE0ELb1ES3_N6thrust23THRUST_200600_302600_NS6detail15normal_iteratorINS9_10device_ptrIiEEEESE_SE_iNS9_10multipliesIiEENS9_8equal_toIiEEiEE10hipError_tPvRmT2_T3_T4_T5_mT6_T7_P12ihipStream_tbENKUlT_T0_E_clISt17integral_constantIbLb0EESY_IbLb1EEEEDaSU_SV_EUlSU_E_NS1_11comp_targetILNS1_3genE5ELNS1_11target_archE942ELNS1_3gpuE9ELNS1_3repE0EEENS1_30default_config_static_selectorELNS0_4arch9wavefront6targetE1EEEvT1_,@function
_ZN7rocprim17ROCPRIM_400000_NS6detail17trampoline_kernelINS0_14default_configENS1_27scan_by_key_config_selectorIiiEEZZNS1_16scan_by_key_implILNS1_25lookback_scan_determinismE0ELb1ES3_N6thrust23THRUST_200600_302600_NS6detail15normal_iteratorINS9_10device_ptrIiEEEESE_SE_iNS9_10multipliesIiEENS9_8equal_toIiEEiEE10hipError_tPvRmT2_T3_T4_T5_mT6_T7_P12ihipStream_tbENKUlT_T0_E_clISt17integral_constantIbLb0EESY_IbLb1EEEEDaSU_SV_EUlSU_E_NS1_11comp_targetILNS1_3genE5ELNS1_11target_archE942ELNS1_3gpuE9ELNS1_3repE0EEENS1_30default_config_static_selectorELNS0_4arch9wavefront6targetE1EEEvT1_: ; @_ZN7rocprim17ROCPRIM_400000_NS6detail17trampoline_kernelINS0_14default_configENS1_27scan_by_key_config_selectorIiiEEZZNS1_16scan_by_key_implILNS1_25lookback_scan_determinismE0ELb1ES3_N6thrust23THRUST_200600_302600_NS6detail15normal_iteratorINS9_10device_ptrIiEEEESE_SE_iNS9_10multipliesIiEENS9_8equal_toIiEEiEE10hipError_tPvRmT2_T3_T4_T5_mT6_T7_P12ihipStream_tbENKUlT_T0_E_clISt17integral_constantIbLb0EESY_IbLb1EEEEDaSU_SV_EUlSU_E_NS1_11comp_targetILNS1_3genE5ELNS1_11target_archE942ELNS1_3gpuE9ELNS1_3repE0EEENS1_30default_config_static_selectorELNS0_4arch9wavefront6targetE1EEEvT1_
; %bb.0:
	s_load_dword s74, s[0:1], 0x20
	s_load_dwordx4 s[64:67], s[0:1], 0x28
	s_load_dwordx2 s[72:73], s[0:1], 0x38
	v_cmp_ne_u32_e64 s[4:5], 0, v0
	v_cmp_eq_u32_e64 s[52:53], 0, v0
	s_and_saveexec_b64 s[2:3], s[52:53]
	s_cbranch_execz .LBB526_4
; %bb.1:
	s_mov_b64 s[8:9], exec
	v_mbcnt_lo_u32_b32 v1, s8, 0
	v_mbcnt_hi_u32_b32 v1, s9, v1
	v_cmp_eq_u32_e32 vcc, 0, v1
                                        ; implicit-def: $vgpr2
	s_and_saveexec_b64 s[6:7], vcc
	s_cbranch_execz .LBB526_3
; %bb.2:
	s_load_dwordx2 s[10:11], s[0:1], 0x68
	s_bcnt1_i32_b64 s8, s[8:9]
	v_mov_b32_e32 v2, 0
	v_mov_b32_e32 v3, s8
	s_waitcnt lgkmcnt(0)
	global_atomic_add v2, v2, v3, s[10:11] sc0
.LBB526_3:
	s_or_b64 exec, exec, s[6:7]
	s_waitcnt vmcnt(0)
	v_readfirstlane_b32 s6, v2
	v_mov_b32_e32 v2, 0
	s_nop 0
	v_add_u32_e32 v1, s6, v1
	ds_write_b32 v2, v1
.LBB526_4:
	s_or_b64 exec, exec, s[2:3]
	s_load_dwordx8 s[56:63], s[0:1], 0x0
	s_load_dword s2, s[0:1], 0x40
	s_load_dwordx4 s[68:71], s[0:1], 0x48
	v_mov_b32_e32 v7, 0
	s_waitcnt lgkmcnt(0)
	s_lshl_b64 s[54:55], s[58:59], 2
	s_barrier
	ds_read_b32 v6, v7
	s_add_u32 s0, s56, s54
	s_addc_u32 s1, s57, s55
	s_add_u32 s6, s60, s54
	s_mul_i32 s3, s73, s2
	s_mul_hi_u32 s8, s72, s2
	s_addc_u32 s7, s61, s55
	s_add_i32 s3, s8, s3
	s_movk_i32 s8, 0x1700
	s_waitcnt lgkmcnt(0)
	v_mul_lo_u32 v2, v6, s8
	v_mov_b32_e32 v3, v7
	v_lshlrev_b64 v[10:11], 2, v[2:3]
	s_mul_i32 s2, s72, s2
	v_lshl_add_u64 v[2:3], s[6:7], 0, v[10:11]
	s_add_u32 s6, s68, -1
	v_readfirstlane_b32 s67, v6
	v_lshl_add_u64 v[6:7], s[2:3], 0, v[6:7]
	s_addc_u32 s7, s69, -1
	v_cmp_le_u64_e64 s[2:3], s[6:7], v[6:7]
	v_lshl_add_u64 v[4:5], s[0:1], 0, v[10:11]
	s_mov_b64 s[0:1], -1
	s_and_b64 vcc, exec, s[2:3]
	s_mul_i32 s33, s6, 0xffffe900
	s_barrier
	s_barrier
	s_cbranch_vccz .LBB526_75
; %bb.5:
	flat_load_dword v1, v[4:5]
	s_add_i32 s60, s33, s66
	v_cmp_gt_u32_e32 vcc, s60, v0
	s_waitcnt vmcnt(0) lgkmcnt(0)
	v_mov_b32_e32 v8, v1
	s_and_saveexec_b64 s[0:1], vcc
	s_cbranch_execz .LBB526_7
; %bb.6:
	v_lshlrev_b32_e32 v6, 2, v0
	v_mov_b32_e32 v7, 0
	v_lshl_add_u64 v[6:7], v[4:5], 0, v[6:7]
	flat_load_dword v8, v[6:7]
.LBB526_7:
	s_or_b64 exec, exec, s[0:1]
	v_or_b32_e32 v6, 0x100, v0
	v_cmp_gt_u32_e64 s[6:7], s60, v6
	v_mov_b32_e32 v9, v1
	s_and_saveexec_b64 s[0:1], s[6:7]
	s_cbranch_execz .LBB526_9
; %bb.8:
	v_lshlrev_b32_e32 v6, 2, v0
	v_mov_b32_e32 v7, 0
	v_lshl_add_u64 v[6:7], v[4:5], 0, v[6:7]
	flat_load_dword v9, v[6:7] offset:1024
.LBB526_9:
	s_or_b64 exec, exec, s[0:1]
	v_or_b32_e32 v6, 0x200, v0
	v_cmp_gt_u32_e64 s[8:9], s60, v6
	v_mov_b32_e32 v49, v1
	s_and_saveexec_b64 s[0:1], s[8:9]
	s_cbranch_execz .LBB526_11
; %bb.10:
	v_lshlrev_b32_e32 v6, 2, v0
	v_mov_b32_e32 v7, 0
	v_lshl_add_u64 v[6:7], v[4:5], 0, v[6:7]
	flat_load_dword v49, v[6:7] offset:2048
.LBB526_11:
	;; [unrolled: 12-line block ×3, first 2 shown]
	s_or_b64 exec, exec, s[0:1]
	v_or_b32_e32 v6, 0x400, v0
	v_cmp_gt_u32_e64 s[12:13], s60, v6
	v_lshlrev_b32_e32 v6, 2, v6
	v_mov_b32_e32 v7, v1
	s_and_saveexec_b64 s[0:1], s[12:13]
	s_cbranch_execz .LBB526_15
; %bb.14:
	v_mov_b32_e32 v7, 0
	v_lshl_add_u64 v[12:13], v[4:5], 0, v[6:7]
	flat_load_dword v7, v[12:13]
.LBB526_15:
	s_or_b64 exec, exec, s[0:1]
	v_or_b32_e32 v12, 0x500, v0
	v_cmp_gt_u32_e64 s[14:15], s60, v12
	v_lshlrev_b32_e32 v12, 2, v12
	v_mov_b32_e32 v13, v1
	s_and_saveexec_b64 s[0:1], s[14:15]
	s_cbranch_execz .LBB526_17
; %bb.16:
	v_mov_b32_e32 v13, 0
	v_lshl_add_u64 v[14:15], v[4:5], 0, v[12:13]
	flat_load_dword v13, v[14:15]
.LBB526_17:
	;; [unrolled: 12-line block ×18, first 2 shown]
	s_or_b64 exec, exec, s[0:1]
	v_or_b32_e32 v46, 0x1600, v0
	v_cmp_gt_u32_e64 s[50:51], s60, v46
	v_lshlrev_b32_e32 v46, 2, v46
	s_and_saveexec_b64 s[0:1], s[50:51]
	s_cbranch_execz .LBB526_51
; %bb.50:
	v_mov_b32_e32 v47, 0
	v_lshl_add_u64 v[52:53], v[4:5], 0, v[46:47]
	flat_load_dword v1, v[52:53]
.LBB526_51:
	s_or_b64 exec, exec, s[0:1]
	v_lshlrev_b32_e32 v48, 2, v0
	s_waitcnt vmcnt(0) lgkmcnt(0)
	ds_write2st64_b32 v48, v8, v9 offset1:4
	ds_write2st64_b32 v48, v49, v50 offset0:8 offset1:12
	ds_write2st64_b32 v48, v7, v13 offset0:16 offset1:20
	;; [unrolled: 1-line block ×10, first 2 shown]
	ds_write_b32 v48, v1 offset:22528
	s_waitcnt lgkmcnt(0)
	s_barrier
	flat_load_dword v1, v[4:5]
	s_movk_i32 s0, 0x58
	v_mad_u32_u24 v76, v0, s0, v48
	s_movk_i32 s0, 0xffa8
	v_mad_i32_i24 v7, v0, s0, v76
	s_movk_i32 s0, 0xff
	v_cmp_ne_u32_e64 s[0:1], s0, v0
	ds_read_b32 v78, v76
	ds_read2_b32 v[74:75], v76 offset0:1 offset1:2
	ds_read2_b32 v[72:73], v76 offset0:3 offset1:4
	;; [unrolled: 1-line block ×11, first 2 shown]
	s_waitcnt lgkmcnt(0)
	ds_write_b32 v7, v78 offset:24576
	s_waitcnt lgkmcnt(0)
	s_barrier
	s_and_saveexec_b64 s[56:57], s[0:1]
	s_cbranch_execz .LBB526_53
; %bb.52:
	s_waitcnt vmcnt(0)
	ds_read_b32 v1, v48 offset:24580
.LBB526_53:
	s_or_b64 exec, exec, s[56:57]
	v_mov_b32_e32 v49, 0
	s_waitcnt lgkmcnt(0)
	s_barrier
	s_waitcnt lgkmcnt(0)
                                        ; implicit-def: $vgpr50
	s_and_saveexec_b64 s[0:1], vcc
	s_cbranch_execz .LBB526_76
; %bb.54:
	v_lshl_add_u64 v[50:51], v[2:3], 0, v[48:49]
	flat_load_dword v50, v[50:51]
	s_or_b64 exec, exec, s[0:1]
                                        ; implicit-def: $vgpr51
	s_and_saveexec_b64 s[0:1], s[6:7]
	s_cbranch_execnz .LBB526_77
.LBB526_55:
	s_or_b64 exec, exec, s[0:1]
                                        ; implicit-def: $vgpr52
	s_and_saveexec_b64 s[0:1], s[8:9]
	s_cbranch_execz .LBB526_78
.LBB526_56:
	v_mov_b32_e32 v49, 0
	v_lshl_add_u64 v[52:53], v[2:3], 0, v[48:49]
	flat_load_dword v52, v[52:53] offset:2048
	s_or_b64 exec, exec, s[0:1]
                                        ; implicit-def: $vgpr49
	s_and_saveexec_b64 s[0:1], s[10:11]
	s_cbranch_execnz .LBB526_79
.LBB526_57:
	s_or_b64 exec, exec, s[0:1]
                                        ; implicit-def: $vgpr7
	s_and_saveexec_b64 s[0:1], s[12:13]
	s_cbranch_execz .LBB526_80
.LBB526_58:
	v_mov_b32_e32 v7, 0
	v_lshl_add_u64 v[6:7], v[2:3], 0, v[6:7]
	flat_load_dword v7, v[6:7]
	s_or_b64 exec, exec, s[0:1]
                                        ; implicit-def: $vgpr6
	s_and_saveexec_b64 s[0:1], s[14:15]
	s_cbranch_execnz .LBB526_81
.LBB526_59:
	s_or_b64 exec, exec, s[0:1]
                                        ; implicit-def: $vgpr12
	s_and_saveexec_b64 s[0:1], s[16:17]
	s_cbranch_execz .LBB526_82
.LBB526_60:
	v_mov_b32_e32 v15, 0
	v_lshl_add_u64 v[12:13], v[2:3], 0, v[14:15]
	flat_load_dword v12, v[12:13]
	s_or_b64 exec, exec, s[0:1]
                                        ; implicit-def: $vgpr13
	s_and_saveexec_b64 s[0:1], s[18:19]
	s_cbranch_execnz .LBB526_83
.LBB526_61:
	s_or_b64 exec, exec, s[0:1]
                                        ; implicit-def: $vgpr14
	s_and_saveexec_b64 s[0:1], s[20:21]
	s_cbranch_execz .LBB526_84
.LBB526_62:
	v_mov_b32_e32 v19, 0
	v_lshl_add_u64 v[14:15], v[2:3], 0, v[18:19]
	flat_load_dword v14, v[14:15]
	s_or_b64 exec, exec, s[0:1]
                                        ; implicit-def: $vgpr15
	s_and_saveexec_b64 s[0:1], s[22:23]
	s_cbranch_execnz .LBB526_85
.LBB526_63:
	s_or_b64 exec, exec, s[0:1]
                                        ; implicit-def: $vgpr16
	s_and_saveexec_b64 s[0:1], s[24:25]
	s_cbranch_execz .LBB526_86
.LBB526_64:
	v_mov_b32_e32 v23, 0
	v_lshl_add_u64 v[16:17], v[2:3], 0, v[22:23]
	flat_load_dword v16, v[16:17]
	s_or_b64 exec, exec, s[0:1]
                                        ; implicit-def: $vgpr17
	s_and_saveexec_b64 s[0:1], s[26:27]
	s_cbranch_execnz .LBB526_87
.LBB526_65:
	s_or_b64 exec, exec, s[0:1]
                                        ; implicit-def: $vgpr18
	s_and_saveexec_b64 s[0:1], s[28:29]
	s_cbranch_execz .LBB526_88
.LBB526_66:
	v_mov_b32_e32 v27, 0
	v_lshl_add_u64 v[18:19], v[2:3], 0, v[26:27]
	flat_load_dword v18, v[18:19]
	s_or_b64 exec, exec, s[0:1]
                                        ; implicit-def: $vgpr19
	s_and_saveexec_b64 s[0:1], s[30:31]
	s_cbranch_execnz .LBB526_89
.LBB526_67:
	s_or_b64 exec, exec, s[0:1]
                                        ; implicit-def: $vgpr20
	s_and_saveexec_b64 s[0:1], s[34:35]
	s_cbranch_execz .LBB526_90
.LBB526_68:
	v_mov_b32_e32 v31, 0
	v_lshl_add_u64 v[20:21], v[2:3], 0, v[30:31]
	flat_load_dword v20, v[20:21]
	s_or_b64 exec, exec, s[0:1]
                                        ; implicit-def: $vgpr21
	s_and_saveexec_b64 s[0:1], s[36:37]
	s_cbranch_execnz .LBB526_91
.LBB526_69:
	s_or_b64 exec, exec, s[0:1]
                                        ; implicit-def: $vgpr22
	s_and_saveexec_b64 s[0:1], s[38:39]
	s_cbranch_execz .LBB526_92
.LBB526_70:
	v_mov_b32_e32 v35, 0
	v_lshl_add_u64 v[22:23], v[2:3], 0, v[34:35]
	flat_load_dword v22, v[22:23]
	s_or_b64 exec, exec, s[0:1]
                                        ; implicit-def: $vgpr23
	s_and_saveexec_b64 s[0:1], s[40:41]
	s_cbranch_execnz .LBB526_93
.LBB526_71:
	s_or_b64 exec, exec, s[0:1]
                                        ; implicit-def: $vgpr24
	s_and_saveexec_b64 s[0:1], s[42:43]
	s_cbranch_execz .LBB526_94
.LBB526_72:
	v_mov_b32_e32 v39, 0
	v_lshl_add_u64 v[24:25], v[2:3], 0, v[38:39]
	flat_load_dword v24, v[24:25]
	s_or_b64 exec, exec, s[0:1]
                                        ; implicit-def: $vgpr25
	s_and_saveexec_b64 s[0:1], s[44:45]
	s_cbranch_execnz .LBB526_95
.LBB526_73:
	s_or_b64 exec, exec, s[0:1]
                                        ; implicit-def: $vgpr26
	s_and_saveexec_b64 s[0:1], s[46:47]
	s_cbranch_execz .LBB526_96
.LBB526_74:
	v_mov_b32_e32 v43, 0
	v_lshl_add_u64 v[26:27], v[2:3], 0, v[42:43]
	flat_load_dword v26, v[26:27]
	s_or_b64 exec, exec, s[0:1]
                                        ; implicit-def: $vgpr27
	s_and_saveexec_b64 s[0:1], s[48:49]
	s_cbranch_execz .LBB526_98
	s_branch .LBB526_97
.LBB526_75:
	s_mov_b64 s[10:11], 0
                                        ; implicit-def: $sgpr8_sgpr9
                                        ; implicit-def: $vgpr6
                                        ; implicit-def: $vgpr12_vgpr13
                                        ; implicit-def: $vgpr14_vgpr15
                                        ; implicit-def: $vgpr16_vgpr17
                                        ; implicit-def: $vgpr18_vgpr19
                                        ; implicit-def: $vgpr20_vgpr21
                                        ; implicit-def: $vgpr22_vgpr23
                                        ; implicit-def: $vgpr24_vgpr25
                                        ; implicit-def: $vgpr26_vgpr27
                                        ; implicit-def: $vgpr28_vgpr29
                                        ; implicit-def: $vgpr30_vgpr31
                                        ; implicit-def: $vgpr32_vgpr33
                                        ; implicit-def: $vgpr34_vgpr35
                                        ; implicit-def: $vgpr36_vgpr37
                                        ; implicit-def: $vgpr38_vgpr39
                                        ; implicit-def: $vgpr40_vgpr41
                                        ; implicit-def: $vgpr42_vgpr43
                                        ; implicit-def: $vgpr44_vgpr45
                                        ; implicit-def: $vgpr46_vgpr47
                                        ; implicit-def: $vgpr48_vgpr49
                                        ; implicit-def: $vgpr50_vgpr51
                                        ; implicit-def: $vgpr52_vgpr53
                                        ; implicit-def: $vgpr54_vgpr55
                                        ; implicit-def: $sgpr6_sgpr7
	s_and_b64 vcc, exec, s[0:1]
	v_lshlrev_b32_e32 v56, 2, v0
	s_cbranch_vccz .LBB526_152
	s_branch .LBB526_147
.LBB526_76:
	s_or_b64 exec, exec, s[0:1]
                                        ; implicit-def: $vgpr51
	s_and_saveexec_b64 s[0:1], s[6:7]
	s_cbranch_execz .LBB526_55
.LBB526_77:
	v_mov_b32_e32 v49, 0
	v_lshl_add_u64 v[52:53], v[2:3], 0, v[48:49]
	flat_load_dword v51, v[52:53] offset:1024
	s_or_b64 exec, exec, s[0:1]
                                        ; implicit-def: $vgpr52
	s_and_saveexec_b64 s[0:1], s[8:9]
	s_cbranch_execnz .LBB526_56
.LBB526_78:
	s_or_b64 exec, exec, s[0:1]
                                        ; implicit-def: $vgpr49
	s_and_saveexec_b64 s[0:1], s[10:11]
	s_cbranch_execz .LBB526_57
.LBB526_79:
	v_mov_b32_e32 v49, 0
	v_lshl_add_u64 v[54:55], v[2:3], 0, v[48:49]
	flat_load_dword v49, v[54:55] offset:3072
	s_or_b64 exec, exec, s[0:1]
                                        ; implicit-def: $vgpr7
	s_and_saveexec_b64 s[0:1], s[12:13]
	s_cbranch_execnz .LBB526_58
.LBB526_80:
	s_or_b64 exec, exec, s[0:1]
                                        ; implicit-def: $vgpr6
	s_and_saveexec_b64 s[0:1], s[14:15]
	s_cbranch_execz .LBB526_59
.LBB526_81:
	v_mov_b32_e32 v13, 0
	v_lshl_add_u64 v[12:13], v[2:3], 0, v[12:13]
	flat_load_dword v6, v[12:13]
	s_or_b64 exec, exec, s[0:1]
                                        ; implicit-def: $vgpr12
	s_and_saveexec_b64 s[0:1], s[16:17]
	s_cbranch_execnz .LBB526_60
.LBB526_82:
	s_or_b64 exec, exec, s[0:1]
                                        ; implicit-def: $vgpr13
	s_and_saveexec_b64 s[0:1], s[18:19]
	s_cbranch_execz .LBB526_61
.LBB526_83:
	v_mov_b32_e32 v17, 0
	v_lshl_add_u64 v[14:15], v[2:3], 0, v[16:17]
	flat_load_dword v13, v[14:15]
	s_or_b64 exec, exec, s[0:1]
                                        ; implicit-def: $vgpr14
	s_and_saveexec_b64 s[0:1], s[20:21]
	s_cbranch_execnz .LBB526_62
.LBB526_84:
	s_or_b64 exec, exec, s[0:1]
                                        ; implicit-def: $vgpr15
	s_and_saveexec_b64 s[0:1], s[22:23]
	s_cbranch_execz .LBB526_63
.LBB526_85:
	v_mov_b32_e32 v21, 0
	v_lshl_add_u64 v[16:17], v[2:3], 0, v[20:21]
	flat_load_dword v15, v[16:17]
	s_or_b64 exec, exec, s[0:1]
                                        ; implicit-def: $vgpr16
	s_and_saveexec_b64 s[0:1], s[24:25]
	s_cbranch_execnz .LBB526_64
.LBB526_86:
	s_or_b64 exec, exec, s[0:1]
                                        ; implicit-def: $vgpr17
	s_and_saveexec_b64 s[0:1], s[26:27]
	s_cbranch_execz .LBB526_65
.LBB526_87:
	v_mov_b32_e32 v25, 0
	v_lshl_add_u64 v[18:19], v[2:3], 0, v[24:25]
	flat_load_dword v17, v[18:19]
	s_or_b64 exec, exec, s[0:1]
                                        ; implicit-def: $vgpr18
	s_and_saveexec_b64 s[0:1], s[28:29]
	s_cbranch_execnz .LBB526_66
.LBB526_88:
	s_or_b64 exec, exec, s[0:1]
                                        ; implicit-def: $vgpr19
	s_and_saveexec_b64 s[0:1], s[30:31]
	s_cbranch_execz .LBB526_67
.LBB526_89:
	v_mov_b32_e32 v29, 0
	v_lshl_add_u64 v[20:21], v[2:3], 0, v[28:29]
	flat_load_dword v19, v[20:21]
	s_or_b64 exec, exec, s[0:1]
                                        ; implicit-def: $vgpr20
	s_and_saveexec_b64 s[0:1], s[34:35]
	s_cbranch_execnz .LBB526_68
.LBB526_90:
	s_or_b64 exec, exec, s[0:1]
                                        ; implicit-def: $vgpr21
	s_and_saveexec_b64 s[0:1], s[36:37]
	s_cbranch_execz .LBB526_69
.LBB526_91:
	v_mov_b32_e32 v33, 0
	v_lshl_add_u64 v[22:23], v[2:3], 0, v[32:33]
	flat_load_dword v21, v[22:23]
	s_or_b64 exec, exec, s[0:1]
                                        ; implicit-def: $vgpr22
	s_and_saveexec_b64 s[0:1], s[38:39]
	s_cbranch_execnz .LBB526_70
.LBB526_92:
	s_or_b64 exec, exec, s[0:1]
                                        ; implicit-def: $vgpr23
	s_and_saveexec_b64 s[0:1], s[40:41]
	s_cbranch_execz .LBB526_71
.LBB526_93:
	v_mov_b32_e32 v37, 0
	v_lshl_add_u64 v[24:25], v[2:3], 0, v[36:37]
	flat_load_dword v23, v[24:25]
	s_or_b64 exec, exec, s[0:1]
                                        ; implicit-def: $vgpr24
	s_and_saveexec_b64 s[0:1], s[42:43]
	s_cbranch_execnz .LBB526_72
.LBB526_94:
	s_or_b64 exec, exec, s[0:1]
                                        ; implicit-def: $vgpr25
	s_and_saveexec_b64 s[0:1], s[44:45]
	s_cbranch_execz .LBB526_73
.LBB526_95:
	v_mov_b32_e32 v41, 0
	v_lshl_add_u64 v[26:27], v[2:3], 0, v[40:41]
	flat_load_dword v25, v[26:27]
	s_or_b64 exec, exec, s[0:1]
                                        ; implicit-def: $vgpr26
	s_and_saveexec_b64 s[0:1], s[46:47]
	s_cbranch_execnz .LBB526_74
.LBB526_96:
	s_or_b64 exec, exec, s[0:1]
                                        ; implicit-def: $vgpr27
	s_and_saveexec_b64 s[0:1], s[48:49]
	s_cbranch_execz .LBB526_98
.LBB526_97:
	v_mov_b32_e32 v45, 0
	v_lshl_add_u64 v[28:29], v[2:3], 0, v[44:45]
	flat_load_dword v27, v[28:29]
.LBB526_98:
	s_or_b64 exec, exec, s[0:1]
	v_mul_u32_u24_e32 v77, 23, v0
                                        ; implicit-def: $vgpr28
	s_and_saveexec_b64 s[0:1], s[50:51]
	s_cbranch_execz .LBB526_100
; %bb.99:
	v_mov_b32_e32 v47, 0
	v_lshl_add_u64 v[28:29], v[2:3], 0, v[46:47]
	flat_load_dword v28, v[28:29]
.LBB526_100:
	s_or_b64 exec, exec, s[0:1]
	s_waitcnt vmcnt(0) lgkmcnt(0)
	ds_write2st64_b32 v48, v50, v51 offset1:4
	ds_write2st64_b32 v48, v52, v49 offset0:8 offset1:12
	ds_write2st64_b32 v48, v7, v6 offset0:16 offset1:20
	;; [unrolled: 1-line block ×10, first 2 shown]
	ds_write_b32 v48, v28 offset:22528
	v_mov_b64_e32 v[12:13], 0
	v_cmp_gt_u32_e32 vcc, s60, v77
	s_mov_b64 s[10:11], 0
	s_mov_b64 s[0:1], 0
	v_mov_b64_e32 v[14:15], v[12:13]
	v_mov_b64_e32 v[16:17], v[12:13]
	v_mov_b64_e32 v[18:19], v[12:13]
	v_mov_b64_e32 v[20:21], v[12:13]
	v_mov_b64_e32 v[22:23], v[12:13]
	v_mov_b64_e32 v[24:25], v[12:13]
	v_mov_b64_e32 v[26:27], v[12:13]
	v_mov_b64_e32 v[28:29], v[12:13]
	v_mov_b64_e32 v[30:31], v[12:13]
	v_mov_b64_e32 v[32:33], v[12:13]
	v_mov_b64_e32 v[34:35], v[12:13]
	v_mov_b64_e32 v[36:37], v[12:13]
	v_mov_b64_e32 v[38:39], v[12:13]
	v_mov_b64_e32 v[40:41], v[12:13]
	v_mov_b64_e32 v[42:43], v[12:13]
	v_mov_b64_e32 v[44:45], v[12:13]
	v_mov_b64_e32 v[46:47], v[12:13]
	v_mov_b64_e32 v[48:49], v[12:13]
	v_mov_b64_e32 v[50:51], v[12:13]
	v_mov_b64_e32 v[52:53], v[12:13]
	v_mov_b64_e32 v[54:55], v[12:13]
	s_waitcnt lgkmcnt(0)
	s_barrier
	s_waitcnt lgkmcnt(0)
                                        ; implicit-def: $sgpr8_sgpr9
                                        ; implicit-def: $vgpr6
	s_and_saveexec_b64 s[6:7], vcc
	s_cbranch_execz .LBB526_146
; %bb.101:
	ds_read_b32 v6, v76
	v_mov_b32_e32 v12, s74
	v_cmp_eq_u32_e32 vcc, v78, v74
	v_add_u32_e32 v7, 1, v77
	v_mov_b64_e32 v[14:15], 0
	s_waitcnt lgkmcnt(0)
	v_cndmask_b32_e32 v12, v12, v6, vcc
	v_cmp_ne_u32_e32 vcc, v78, v74
	s_mov_b64 s[12:13], 0
	v_mov_b64_e32 v[16:17], v[14:15]
	v_cndmask_b32_e64 v13, 0, 1, vcc
	v_cmp_gt_u32_e32 vcc, s60, v7
	v_mov_b64_e32 v[18:19], v[14:15]
	v_mov_b64_e32 v[20:21], v[14:15]
	;; [unrolled: 1-line block ×19, first 2 shown]
                                        ; implicit-def: $sgpr14_sgpr15
                                        ; implicit-def: $vgpr6
	s_and_saveexec_b64 s[8:9], vcc
	s_cbranch_execz .LBB526_145
; %bb.102:
	ds_read2_b32 v[6:7], v76 offset0:1 offset1:2
	v_mov_b32_e32 v14, s74
	v_cmp_eq_u32_e32 vcc, v74, v75
	v_add_u32_e32 v16, 2, v77
	s_mov_b64 s[14:15], 0
	s_waitcnt lgkmcnt(0)
	v_cndmask_b32_e32 v14, v14, v6, vcc
	v_cmp_ne_u32_e32 vcc, v74, v75
                                        ; implicit-def: $sgpr16_sgpr17
                                        ; implicit-def: $vgpr6
	s_nop 1
	v_cndmask_b32_e64 v15, 0, 1, vcc
	v_cmp_gt_u32_e32 vcc, s60, v16
	v_mov_b64_e32 v[16:17], 0
	v_mov_b64_e32 v[18:19], v[16:17]
	;; [unrolled: 1-line block ×20, first 2 shown]
	s_and_saveexec_b64 s[10:11], vcc
	s_cbranch_execz .LBB526_144
; %bb.103:
	v_mov_b32_e32 v16, s74
	v_cmp_eq_u32_e32 vcc, v75, v72
	v_add_u32_e32 v6, 3, v77
	v_mov_b64_e32 v[18:19], 0
	v_cndmask_b32_e32 v16, v16, v7, vcc
	v_cmp_ne_u32_e32 vcc, v75, v72
	s_mov_b64 s[16:17], 0
	v_mov_b64_e32 v[20:21], v[18:19]
	v_cndmask_b32_e64 v17, 0, 1, vcc
	v_cmp_gt_u32_e32 vcc, s60, v6
	v_mov_b64_e32 v[22:23], v[18:19]
	v_mov_b64_e32 v[24:25], v[18:19]
	;; [unrolled: 1-line block ×17, first 2 shown]
                                        ; implicit-def: $sgpr18_sgpr19
                                        ; implicit-def: $vgpr6
	s_and_saveexec_b64 s[12:13], vcc
	s_cbranch_execz .LBB526_143
; %bb.104:
	ds_read2_b32 v[6:7], v76 offset0:3 offset1:4
	v_mov_b32_e32 v18, s74
	v_cmp_eq_u32_e32 vcc, v72, v73
	v_add_u32_e32 v20, 4, v77
	s_mov_b64 s[18:19], 0
	s_waitcnt lgkmcnt(0)
	v_cndmask_b32_e32 v18, v18, v6, vcc
	v_cmp_ne_u32_e32 vcc, v72, v73
                                        ; implicit-def: $sgpr20_sgpr21
                                        ; implicit-def: $vgpr6
	s_nop 1
	v_cndmask_b32_e64 v19, 0, 1, vcc
	v_cmp_gt_u32_e32 vcc, s60, v20
	v_mov_b64_e32 v[20:21], 0
	v_mov_b64_e32 v[22:23], v[20:21]
	;; [unrolled: 1-line block ×18, first 2 shown]
	s_and_saveexec_b64 s[14:15], vcc
	s_cbranch_execz .LBB526_142
; %bb.105:
	v_mov_b32_e32 v20, s74
	v_cmp_eq_u32_e32 vcc, v73, v70
	v_add_u32_e32 v6, 5, v77
	v_mov_b64_e32 v[22:23], 0
	v_cndmask_b32_e32 v20, v20, v7, vcc
	v_cmp_ne_u32_e32 vcc, v73, v70
	s_mov_b64 s[20:21], 0
	v_mov_b64_e32 v[24:25], v[22:23]
	v_cndmask_b32_e64 v21, 0, 1, vcc
	v_cmp_gt_u32_e32 vcc, s60, v6
	v_mov_b64_e32 v[26:27], v[22:23]
	v_mov_b64_e32 v[28:29], v[22:23]
	;; [unrolled: 1-line block ×15, first 2 shown]
                                        ; implicit-def: $sgpr22_sgpr23
                                        ; implicit-def: $vgpr6
	s_and_saveexec_b64 s[16:17], vcc
	s_cbranch_execz .LBB526_141
; %bb.106:
	ds_read2_b32 v[6:7], v76 offset0:5 offset1:6
	v_mov_b32_e32 v22, s74
	v_cmp_eq_u32_e32 vcc, v70, v71
	v_add_u32_e32 v24, 6, v77
	s_mov_b64 s[22:23], 0
	s_waitcnt lgkmcnt(0)
	v_cndmask_b32_e32 v22, v22, v6, vcc
	v_cmp_ne_u32_e32 vcc, v70, v71
                                        ; implicit-def: $sgpr24_sgpr25
                                        ; implicit-def: $vgpr6
	s_nop 1
	v_cndmask_b32_e64 v23, 0, 1, vcc
	v_cmp_gt_u32_e32 vcc, s60, v24
	v_mov_b64_e32 v[24:25], 0
	v_mov_b64_e32 v[26:27], v[24:25]
	;; [unrolled: 1-line block ×16, first 2 shown]
	s_and_saveexec_b64 s[18:19], vcc
	s_cbranch_execz .LBB526_140
; %bb.107:
	v_mov_b32_e32 v24, s74
	v_cmp_eq_u32_e32 vcc, v71, v68
	v_add_u32_e32 v6, 7, v77
	v_mov_b64_e32 v[26:27], 0
	v_cndmask_b32_e32 v24, v24, v7, vcc
	v_cmp_ne_u32_e32 vcc, v71, v68
	s_mov_b64 s[24:25], 0
	v_mov_b64_e32 v[28:29], v[26:27]
	v_cndmask_b32_e64 v25, 0, 1, vcc
	v_cmp_gt_u32_e32 vcc, s60, v6
	v_mov_b64_e32 v[30:31], v[26:27]
	v_mov_b64_e32 v[32:33], v[26:27]
	;; [unrolled: 1-line block ×13, first 2 shown]
                                        ; implicit-def: $sgpr26_sgpr27
                                        ; implicit-def: $vgpr6
	s_and_saveexec_b64 s[20:21], vcc
	s_cbranch_execz .LBB526_139
; %bb.108:
	ds_read2_b32 v[6:7], v76 offset0:7 offset1:8
	v_mov_b32_e32 v26, s74
	v_cmp_eq_u32_e32 vcc, v68, v69
	v_add_u32_e32 v28, 8, v77
	s_mov_b64 s[26:27], 0
	s_waitcnt lgkmcnt(0)
	v_cndmask_b32_e32 v26, v26, v6, vcc
	v_cmp_ne_u32_e32 vcc, v68, v69
                                        ; implicit-def: $sgpr28_sgpr29
                                        ; implicit-def: $vgpr6
	s_nop 1
	v_cndmask_b32_e64 v27, 0, 1, vcc
	v_cmp_gt_u32_e32 vcc, s60, v28
	v_mov_b64_e32 v[28:29], 0
	v_mov_b64_e32 v[30:31], v[28:29]
	;; [unrolled: 1-line block ×14, first 2 shown]
	s_and_saveexec_b64 s[22:23], vcc
	s_cbranch_execz .LBB526_138
; %bb.109:
	v_mov_b32_e32 v28, s74
	v_cmp_eq_u32_e32 vcc, v69, v66
	v_add_u32_e32 v6, 9, v77
	v_mov_b64_e32 v[30:31], 0
	v_cndmask_b32_e32 v28, v28, v7, vcc
	v_cmp_ne_u32_e32 vcc, v69, v66
	s_mov_b64 s[28:29], 0
	v_mov_b64_e32 v[32:33], v[30:31]
	v_cndmask_b32_e64 v29, 0, 1, vcc
	v_cmp_gt_u32_e32 vcc, s60, v6
	v_mov_b64_e32 v[34:35], v[30:31]
	v_mov_b64_e32 v[36:37], v[30:31]
	;; [unrolled: 1-line block ×11, first 2 shown]
                                        ; implicit-def: $sgpr30_sgpr31
                                        ; implicit-def: $vgpr6
	s_and_saveexec_b64 s[24:25], vcc
	s_cbranch_execz .LBB526_137
; %bb.110:
	ds_read2_b32 v[6:7], v76 offset0:9 offset1:10
	v_mov_b32_e32 v30, s74
	v_cmp_eq_u32_e32 vcc, v66, v67
	v_add_u32_e32 v32, 10, v77
	s_mov_b64 s[30:31], 0
	s_waitcnt lgkmcnt(0)
	v_cndmask_b32_e32 v30, v30, v6, vcc
	v_cmp_ne_u32_e32 vcc, v66, v67
                                        ; implicit-def: $sgpr34_sgpr35
                                        ; implicit-def: $vgpr6
	s_nop 1
	v_cndmask_b32_e64 v31, 0, 1, vcc
	v_cmp_gt_u32_e32 vcc, s60, v32
	v_mov_b64_e32 v[32:33], 0
	v_mov_b64_e32 v[34:35], v[32:33]
	;; [unrolled: 1-line block ×12, first 2 shown]
	s_and_saveexec_b64 s[26:27], vcc
	s_cbranch_execz .LBB526_136
; %bb.111:
	v_mov_b32_e32 v32, s74
	v_cmp_eq_u32_e32 vcc, v67, v64
	v_add_u32_e32 v6, 11, v77
	v_mov_b64_e32 v[34:35], 0
	v_cndmask_b32_e32 v32, v32, v7, vcc
	v_cmp_ne_u32_e32 vcc, v67, v64
	s_mov_b64 s[34:35], 0
	v_mov_b64_e32 v[36:37], v[34:35]
	v_cndmask_b32_e64 v33, 0, 1, vcc
	v_cmp_gt_u32_e32 vcc, s60, v6
	v_mov_b64_e32 v[38:39], v[34:35]
	v_mov_b64_e32 v[40:41], v[34:35]
	;; [unrolled: 1-line block ×9, first 2 shown]
                                        ; implicit-def: $sgpr36_sgpr37
                                        ; implicit-def: $vgpr6
	s_and_saveexec_b64 s[28:29], vcc
	s_cbranch_execz .LBB526_135
; %bb.112:
	ds_read2_b32 v[6:7], v76 offset0:11 offset1:12
	v_mov_b32_e32 v34, s74
	v_cmp_eq_u32_e32 vcc, v64, v65
	v_add_u32_e32 v36, 12, v77
	s_mov_b64 s[36:37], 0
	s_waitcnt lgkmcnt(0)
	v_cndmask_b32_e32 v34, v34, v6, vcc
	v_cmp_ne_u32_e32 vcc, v64, v65
                                        ; implicit-def: $sgpr38_sgpr39
                                        ; implicit-def: $vgpr6
	s_nop 1
	v_cndmask_b32_e64 v35, 0, 1, vcc
	v_cmp_gt_u32_e32 vcc, s60, v36
	v_mov_b64_e32 v[36:37], 0
	v_mov_b64_e32 v[38:39], v[36:37]
	;; [unrolled: 1-line block ×10, first 2 shown]
	s_and_saveexec_b64 s[30:31], vcc
	s_cbranch_execz .LBB526_134
; %bb.113:
	v_mov_b32_e32 v36, s74
	v_cmp_eq_u32_e32 vcc, v65, v62
	v_add_u32_e32 v6, 13, v77
	v_mov_b64_e32 v[38:39], 0
	v_cndmask_b32_e32 v36, v36, v7, vcc
	v_cmp_ne_u32_e32 vcc, v65, v62
	s_mov_b64 s[38:39], 0
	v_mov_b64_e32 v[40:41], v[38:39]
	v_cndmask_b32_e64 v37, 0, 1, vcc
	v_cmp_gt_u32_e32 vcc, s60, v6
	v_mov_b64_e32 v[42:43], v[38:39]
	v_mov_b64_e32 v[44:45], v[38:39]
	;; [unrolled: 1-line block ×7, first 2 shown]
                                        ; implicit-def: $sgpr40_sgpr41
                                        ; implicit-def: $vgpr6
	s_and_saveexec_b64 s[34:35], vcc
	s_cbranch_execz .LBB526_133
; %bb.114:
	ds_read2_b32 v[6:7], v76 offset0:13 offset1:14
	v_mov_b32_e32 v38, s74
	v_cmp_eq_u32_e32 vcc, v62, v63
	v_add_u32_e32 v40, 14, v77
	s_mov_b64 s[40:41], 0
	s_waitcnt lgkmcnt(0)
	v_cndmask_b32_e32 v38, v38, v6, vcc
	v_cmp_ne_u32_e32 vcc, v62, v63
                                        ; implicit-def: $sgpr42_sgpr43
                                        ; implicit-def: $vgpr6
	s_nop 1
	v_cndmask_b32_e64 v39, 0, 1, vcc
	v_cmp_gt_u32_e32 vcc, s60, v40
	v_mov_b64_e32 v[40:41], 0
	v_mov_b64_e32 v[42:43], v[40:41]
	;; [unrolled: 1-line block ×8, first 2 shown]
	s_and_saveexec_b64 s[36:37], vcc
	s_cbranch_execz .LBB526_132
; %bb.115:
	v_mov_b32_e32 v40, s74
	v_cmp_eq_u32_e32 vcc, v63, v60
	v_add_u32_e32 v6, 15, v77
	v_mov_b64_e32 v[42:43], 0
	v_cndmask_b32_e32 v40, v40, v7, vcc
	v_cmp_ne_u32_e32 vcc, v63, v60
	s_mov_b64 s[42:43], 0
	v_mov_b64_e32 v[44:45], v[42:43]
	v_cndmask_b32_e64 v41, 0, 1, vcc
	v_cmp_gt_u32_e32 vcc, s60, v6
	v_mov_b64_e32 v[46:47], v[42:43]
	v_mov_b64_e32 v[48:49], v[42:43]
	;; [unrolled: 1-line block ×5, first 2 shown]
                                        ; implicit-def: $sgpr44_sgpr45
                                        ; implicit-def: $vgpr6
	s_and_saveexec_b64 s[38:39], vcc
	s_cbranch_execz .LBB526_131
; %bb.116:
	ds_read2_b32 v[6:7], v76 offset0:15 offset1:16
	v_mov_b32_e32 v42, s74
	v_cmp_eq_u32_e32 vcc, v60, v61
	v_add_u32_e32 v44, 16, v77
	s_mov_b64 s[44:45], 0
	s_waitcnt lgkmcnt(0)
	v_cndmask_b32_e32 v42, v42, v6, vcc
	v_cmp_ne_u32_e32 vcc, v60, v61
                                        ; implicit-def: $sgpr46_sgpr47
                                        ; implicit-def: $vgpr6
	s_nop 1
	v_cndmask_b32_e64 v43, 0, 1, vcc
	v_cmp_gt_u32_e32 vcc, s60, v44
	v_mov_b64_e32 v[44:45], 0
	v_mov_b64_e32 v[46:47], v[44:45]
	;; [unrolled: 1-line block ×6, first 2 shown]
	s_and_saveexec_b64 s[40:41], vcc
	s_cbranch_execz .LBB526_130
; %bb.117:
	v_mov_b32_e32 v44, s74
	v_cmp_eq_u32_e32 vcc, v61, v58
	v_add_u32_e32 v6, 17, v77
	v_mov_b64_e32 v[46:47], 0
	v_cndmask_b32_e32 v44, v44, v7, vcc
	v_cmp_ne_u32_e32 vcc, v61, v58
	s_mov_b64 s[46:47], 0
	v_mov_b64_e32 v[48:49], v[46:47]
	v_cndmask_b32_e64 v45, 0, 1, vcc
	v_cmp_gt_u32_e32 vcc, s60, v6
	v_mov_b64_e32 v[50:51], v[46:47]
	v_mov_b64_e32 v[52:53], v[46:47]
	;; [unrolled: 1-line block ×3, first 2 shown]
                                        ; implicit-def: $sgpr48_sgpr49
                                        ; implicit-def: $vgpr6
	s_and_saveexec_b64 s[42:43], vcc
	s_cbranch_execz .LBB526_129
; %bb.118:
	ds_read2_b32 v[6:7], v76 offset0:17 offset1:18
	v_mov_b32_e32 v46, s74
	v_cmp_eq_u32_e32 vcc, v58, v59
	v_add_u32_e32 v48, 18, v77
	s_mov_b64 s[48:49], 0
	s_waitcnt lgkmcnt(0)
	v_cndmask_b32_e32 v46, v46, v6, vcc
	v_cmp_ne_u32_e32 vcc, v58, v59
                                        ; implicit-def: $sgpr50_sgpr51
                                        ; implicit-def: $vgpr6
	s_nop 1
	v_cndmask_b32_e64 v47, 0, 1, vcc
	v_cmp_gt_u32_e32 vcc, s60, v48
	v_mov_b64_e32 v[48:49], 0
	v_mov_b64_e32 v[50:51], v[48:49]
	;; [unrolled: 1-line block ×4, first 2 shown]
	s_and_saveexec_b64 s[44:45], vcc
	s_cbranch_execz .LBB526_128
; %bb.119:
	v_mov_b32_e32 v48, s74
	v_cmp_eq_u32_e32 vcc, v59, v56
	v_add_u32_e32 v6, 19, v77
	v_mov_b64_e32 v[50:51], 0
	v_cndmask_b32_e32 v48, v48, v7, vcc
	v_cmp_ne_u32_e32 vcc, v59, v56
	s_mov_b64 s[50:51], 0
	v_mov_b64_e32 v[52:53], v[50:51]
	v_cndmask_b32_e64 v49, 0, 1, vcc
	v_cmp_gt_u32_e32 vcc, s60, v6
	v_mov_b64_e32 v[54:55], v[50:51]
                                        ; implicit-def: $sgpr56_sgpr57
                                        ; implicit-def: $vgpr6
	s_and_saveexec_b64 s[46:47], vcc
	s_cbranch_execz .LBB526_127
; %bb.120:
	ds_read2_b32 v[6:7], v76 offset0:19 offset1:20
	v_mov_b32_e32 v50, s74
	v_cmp_eq_u32_e32 vcc, v56, v57
	v_add_u32_e32 v52, 20, v77
	s_mov_b64 s[56:57], 0
	s_waitcnt lgkmcnt(0)
	v_cndmask_b32_e32 v50, v50, v6, vcc
	v_cmp_ne_u32_e32 vcc, v56, v57
                                        ; implicit-def: $sgpr58_sgpr59
                                        ; implicit-def: $vgpr6
	s_nop 1
	v_cndmask_b32_e64 v51, 0, 1, vcc
	v_cmp_gt_u32_e32 vcc, s60, v52
	v_mov_b64_e32 v[52:53], 0
	v_mov_b64_e32 v[54:55], v[52:53]
	s_and_saveexec_b64 s[48:49], vcc
	s_cbranch_execz .LBB526_126
; %bb.121:
	v_mov_b32_e32 v52, s74
	v_cmp_eq_u32_e32 vcc, v57, v8
	v_add_u32_e32 v6, 21, v77
	v_mov_b64_e32 v[54:55], 0
	v_cndmask_b32_e32 v52, v52, v7, vcc
	v_cmp_ne_u32_e32 vcc, v57, v8
                                        ; implicit-def: $sgpr58_sgpr59
	s_nop 1
	v_cndmask_b32_e64 v53, 0, 1, vcc
	v_cmp_gt_u32_e32 vcc, s60, v6
                                        ; implicit-def: $vgpr6
	s_and_saveexec_b64 s[50:51], vcc
	s_cbranch_execz .LBB526_125
; %bb.122:
	ds_read2_b32 v[6:7], v76 offset0:21 offset1:22
	v_mov_b32_e32 v54, s74
	v_cmp_eq_u32_e32 vcc, v8, v9
	v_add_u32_e32 v56, 22, v77
                                        ; implicit-def: $sgpr58_sgpr59
	s_waitcnt lgkmcnt(0)
	v_cndmask_b32_e32 v54, v54, v6, vcc
	v_cmp_ne_u32_e32 vcc, v8, v9
                                        ; implicit-def: $vgpr6
	s_nop 1
	v_cndmask_b32_e64 v55, 0, 1, vcc
	v_cmp_gt_u32_e32 vcc, s60, v56
	s_and_saveexec_b64 s[60:61], vcc
	s_xor_b64 s[60:61], exec, s[60:61]
; %bb.123:
	v_mov_b32_e32 v6, s74
	v_cmp_ne_u32_e32 vcc, v9, v1
	s_mov_b64 s[56:57], exec
	s_and_b64 s[58:59], vcc, exec
	v_cndmask_b32_e32 v6, v7, v6, vcc
; %bb.124:
	s_or_b64 exec, exec, s[60:61]
	s_and_b64 s[58:59], s[58:59], exec
	s_and_b64 s[56:57], s[56:57], exec
.LBB526_125:
	s_or_b64 exec, exec, s[50:51]
	s_and_b64 s[58:59], s[58:59], exec
	s_and_b64 s[50:51], s[56:57], exec
.LBB526_126:
	s_or_b64 exec, exec, s[48:49]
	s_and_b64 s[56:57], s[58:59], exec
	s_and_b64 s[48:49], s[50:51], exec
.LBB526_127:
	s_or_b64 exec, exec, s[46:47]
	s_and_b64 s[50:51], s[56:57], exec
	s_and_b64 s[46:47], s[48:49], exec
.LBB526_128:
	s_or_b64 exec, exec, s[44:45]
	s_and_b64 s[48:49], s[50:51], exec
	s_and_b64 s[44:45], s[46:47], exec
.LBB526_129:
	s_or_b64 exec, exec, s[42:43]
	s_and_b64 s[46:47], s[48:49], exec
	s_and_b64 s[42:43], s[44:45], exec
.LBB526_130:
	s_or_b64 exec, exec, s[40:41]
	s_and_b64 s[44:45], s[46:47], exec
	s_and_b64 s[40:41], s[42:43], exec
.LBB526_131:
	s_or_b64 exec, exec, s[38:39]
	s_and_b64 s[42:43], s[44:45], exec
	s_and_b64 s[38:39], s[40:41], exec
.LBB526_132:
	s_or_b64 exec, exec, s[36:37]
	s_and_b64 s[40:41], s[42:43], exec
	s_and_b64 s[36:37], s[38:39], exec
.LBB526_133:
	s_or_b64 exec, exec, s[34:35]
	s_and_b64 s[38:39], s[40:41], exec
	s_and_b64 s[34:35], s[36:37], exec
.LBB526_134:
	s_or_b64 exec, exec, s[30:31]
	s_and_b64 s[36:37], s[38:39], exec
	s_and_b64 s[30:31], s[34:35], exec
.LBB526_135:
	s_or_b64 exec, exec, s[28:29]
	s_and_b64 s[34:35], s[36:37], exec
	s_and_b64 s[28:29], s[30:31], exec
.LBB526_136:
	s_or_b64 exec, exec, s[26:27]
	s_and_b64 s[30:31], s[34:35], exec
	s_and_b64 s[26:27], s[28:29], exec
.LBB526_137:
	s_or_b64 exec, exec, s[24:25]
	s_and_b64 s[28:29], s[30:31], exec
	s_and_b64 s[24:25], s[26:27], exec
.LBB526_138:
	s_or_b64 exec, exec, s[22:23]
	s_and_b64 s[26:27], s[28:29], exec
	s_and_b64 s[22:23], s[24:25], exec
.LBB526_139:
	s_or_b64 exec, exec, s[20:21]
	s_and_b64 s[24:25], s[26:27], exec
	s_and_b64 s[20:21], s[22:23], exec
.LBB526_140:
	s_or_b64 exec, exec, s[18:19]
	s_and_b64 s[22:23], s[24:25], exec
	s_and_b64 s[18:19], s[20:21], exec
.LBB526_141:
	s_or_b64 exec, exec, s[16:17]
	s_and_b64 s[20:21], s[22:23], exec
	s_and_b64 s[16:17], s[18:19], exec
.LBB526_142:
	s_or_b64 exec, exec, s[14:15]
	s_and_b64 s[18:19], s[20:21], exec
	s_and_b64 s[14:15], s[16:17], exec
.LBB526_143:
	s_or_b64 exec, exec, s[12:13]
	s_and_b64 s[16:17], s[18:19], exec
	s_and_b64 s[12:13], s[14:15], exec
.LBB526_144:
	s_or_b64 exec, exec, s[10:11]
	s_and_b64 s[14:15], s[16:17], exec
	s_and_b64 s[10:11], s[12:13], exec
.LBB526_145:
	s_or_b64 exec, exec, s[8:9]
	s_and_b64 s[8:9], s[14:15], exec
	s_and_b64 s[10:11], s[10:11], exec
.LBB526_146:
	s_or_b64 exec, exec, s[6:7]
	s_mov_b64 s[6:7], 0
	s_and_b64 vcc, exec, s[0:1]
	v_lshlrev_b32_e32 v56, 2, v0
	s_cbranch_vccz .LBB526_152
.LBB526_147:
	v_mov_b32_e32 v57, 0
	v_lshl_add_u64 v[6:7], v[4:5], 0, v[56:57]
	v_add_co_u32_e32 v8, vcc, 0x1000, v6
	s_movk_i32 s6, 0x58
	s_nop 0
	v_addc_co_u32_e32 v9, vcc, 0, v7, vcc
	flat_load_dword v1, v[6:7]
	flat_load_dword v14, v[6:7] offset:1024
	flat_load_dword v15, v[6:7] offset:2048
	;; [unrolled: 1-line block ×3, first 2 shown]
	flat_load_dword v17, v[8:9]
	flat_load_dword v18, v[8:9] offset:1024
	flat_load_dword v19, v[8:9] offset:2048
	;; [unrolled: 1-line block ×3, first 2 shown]
	v_add_co_u32_e32 v8, vcc, 0x2000, v6
	s_movk_i32 s11, 0x1000
	s_nop 0
	v_addc_co_u32_e32 v9, vcc, 0, v7, vcc
	v_add_co_u32_e32 v12, vcc, 0x3000, v6
	s_mov_b32 s0, 0
	s_nop 0
	v_addc_co_u32_e32 v13, vcc, 0, v7, vcc
	flat_load_dword v21, v[8:9]
	flat_load_dword v22, v[8:9] offset:1024
	flat_load_dword v23, v[8:9] offset:2048
	flat_load_dword v24, v[8:9] offset:3072
	flat_load_dword v25, v[12:13]
	flat_load_dword v26, v[12:13] offset:1024
	flat_load_dword v27, v[12:13] offset:2048
	;; [unrolled: 1-line block ×3, first 2 shown]
	v_add_co_u32_e32 v8, vcc, 0x4000, v6
	s_movk_i32 s10, 0x2000
	s_nop 0
	v_addc_co_u32_e32 v9, vcc, 0, v7, vcc
	v_add_co_u32_e32 v6, vcc, 0x5000, v6
	s_movk_i32 s9, 0x3000
	s_nop 0
	v_addc_co_u32_e32 v7, vcc, 0, v7, vcc
	flat_load_dword v12, v[8:9]
	flat_load_dword v13, v[8:9] offset:1024
	flat_load_dword v29, v[8:9] offset:2048
	;; [unrolled: 1-line block ×3, first 2 shown]
	flat_load_dword v31, v[6:7]
	flat_load_dword v32, v[6:7] offset:1024
	flat_load_dword v33, v[6:7] offset:2048
	v_add_co_u32_e32 v4, vcc, 0x5000, v4
	s_movk_i32 s8, 0x4000
	s_nop 0
	v_addc_co_u32_e32 v5, vcc, 0, v5, vcc
	s_movk_i32 s1, 0x5000
	s_waitcnt vmcnt(0) lgkmcnt(0)
	ds_write2st64_b32 v56, v1, v14 offset1:4
	ds_write2st64_b32 v56, v15, v16 offset0:8 offset1:12
	ds_write2st64_b32 v56, v17, v18 offset0:16 offset1:20
	;; [unrolled: 1-line block ×10, first 2 shown]
	ds_write_b32 v56, v33 offset:22528
	s_waitcnt lgkmcnt(0)
	s_barrier
	flat_load_dword v1, v[4:5] offset:3072
	v_mad_u32_u24 v14, v0, s6, v56
	s_movk_i32 s6, 0xffa8
	v_mad_i32_i24 v13, v0, s6, v14
	s_movk_i32 s6, 0xff
	v_cmp_ne_u32_e32 vcc, s6, v0
	ds_read_b32 v12, v14
	ds_read2_b32 v[16:17], v14 offset0:1 offset1:2
	ds_read2_b32 v[20:21], v14 offset0:3 offset1:4
	;; [unrolled: 1-line block ×11, first 2 shown]
	s_waitcnt lgkmcnt(0)
	ds_write_b32 v13, v12 offset:24576
	s_waitcnt lgkmcnt(0)
	s_barrier
	s_and_saveexec_b64 s[6:7], vcc
	s_cbranch_execz .LBB526_149
; %bb.148:
	s_waitcnt vmcnt(0)
	ds_read_b32 v1, v56 offset:24580
.LBB526_149:
	s_or_b64 exec, exec, s[6:7]
	v_lshl_add_u64 v[2:3], v[2:3], 0, v[56:57]
	v_add_co_u32_e32 v18, vcc, s11, v2
	s_waitcnt lgkmcnt(0)
	s_nop 0
	v_addc_co_u32_e32 v19, vcc, 0, v3, vcc
	s_barrier
	flat_load_dword v13, v[2:3]
	flat_load_dword v15, v[2:3] offset:1024
	flat_load_dword v26, v[2:3] offset:2048
	;; [unrolled: 1-line block ×3, first 2 shown]
	flat_load_dword v30, v[18:19]
	flat_load_dword v31, v[18:19] offset:1024
	flat_load_dword v34, v[18:19] offset:2048
	;; [unrolled: 1-line block ×3, first 2 shown]
	v_add_co_u32_e32 v18, vcc, s10, v2
	s_nop 1
	v_addc_co_u32_e32 v19, vcc, 0, v3, vcc
	v_add_co_u32_e32 v22, vcc, s9, v2
	s_nop 1
	v_addc_co_u32_e32 v23, vcc, 0, v3, vcc
	flat_load_dword v38, v[18:19]
	flat_load_dword v39, v[18:19] offset:1024
	flat_load_dword v42, v[18:19] offset:2048
	;; [unrolled: 1-line block ×3, first 2 shown]
	flat_load_dword v46, v[22:23]
	flat_load_dword v47, v[22:23] offset:1024
	flat_load_dword v48, v[22:23] offset:2048
	;; [unrolled: 1-line block ×3, first 2 shown]
	v_add_co_u32_e32 v18, vcc, s8, v2
	s_nop 1
	v_addc_co_u32_e32 v19, vcc, 0, v3, vcc
	v_add_co_u32_e32 v2, vcc, s1, v2
	s_mov_b32 s1, 1
	s_nop 0
	v_addc_co_u32_e32 v3, vcc, 0, v3, vcc
	flat_load_dword v22, v[18:19]
	flat_load_dword v23, v[18:19] offset:1024
	flat_load_dword v50, v[18:19] offset:2048
	;; [unrolled: 1-line block ×3, first 2 shown]
	flat_load_dword v52, v[2:3]
	flat_load_dword v53, v[2:3] offset:1024
	flat_load_dword v54, v[2:3] offset:2048
	v_cmp_eq_u32_e32 vcc, v12, v16
	s_waitcnt vmcnt(0) lgkmcnt(0)
	ds_write2st64_b32 v56, v13, v15 offset1:4
	ds_write2st64_b32 v56, v26, v27 offset0:8 offset1:12
	ds_write2st64_b32 v56, v30, v31 offset0:16 offset1:20
	;; [unrolled: 1-line block ×10, first 2 shown]
	ds_write_b32 v56, v54 offset:22528
	s_waitcnt lgkmcnt(0)
	s_barrier
	ds_read2_b32 v[18:19], v14 offset0:1 offset1:2
	ds_read2_b32 v[22:23], v14 offset0:3 offset1:4
	;; [unrolled: 1-line block ×11, first 2 shown]
	v_mov_b64_e32 v[12:13], s[0:1]
	v_mov_b32_e32 v15, s74
	s_and_saveexec_b64 s[0:1], vcc
	s_cbranch_execz .LBB526_151
; %bb.150:
	ds_read_b32 v15, v14
	v_mov_b64_e32 v[12:13], 0
.LBB526_151:
	s_or_b64 exec, exec, s[0:1]
	v_mov_b32_e32 v57, s74
	v_cmp_eq_u32_e32 vcc, v16, v17
	s_waitcnt lgkmcnt(0)
	v_or_b32_e32 v12, v12, v15
	v_cmp_ne_u32_e64 s[8:9], v5, v1
	v_cndmask_b32_e32 v14, v57, v18, vcc
	v_cmp_ne_u32_e32 vcc, v16, v17
	s_mov_b64 s[10:11], -1
                                        ; implicit-def: $sgpr6_sgpr7
	s_nop 0
	v_cndmask_b32_e64 v15, 0, 1, vcc
	v_cmp_eq_u32_e32 vcc, v17, v20
	s_nop 1
	v_cndmask_b32_e32 v16, v57, v19, vcc
	v_cmp_ne_u32_e32 vcc, v17, v20
	s_nop 1
	v_cndmask_b32_e64 v17, 0, 1, vcc
	v_cmp_eq_u32_e32 vcc, v20, v21
	s_nop 1
	v_cndmask_b32_e32 v18, v57, v22, vcc
	v_cmp_ne_u32_e32 vcc, v20, v21
	;; [unrolled: 6-line block ×18, first 2 shown]
	v_cndmask_b32_e64 v6, v3, v57, s[8:9]
	s_nop 0
	v_cndmask_b32_e64 v51, 0, 1, vcc
	v_cmp_eq_u32_e32 vcc, v7, v4
	s_nop 1
	v_cndmask_b32_e32 v52, v57, v53, vcc
	v_cmp_ne_u32_e32 vcc, v7, v4
	s_nop 1
	v_cndmask_b32_e64 v53, 0, 1, vcc
	v_cmp_eq_u32_e32 vcc, v4, v5
	s_nop 1
	v_cndmask_b32_e32 v54, v57, v2, vcc
	v_cmp_ne_u32_e32 vcc, v4, v5
	s_nop 1
	v_cndmask_b32_e64 v55, 0, 1, vcc
.LBB526_152:
	v_mov_b64_e32 v[58:59], s[6:7]
	s_and_saveexec_b64 s[0:1], s[10:11]
; %bb.153:
	v_cndmask_b32_e64 v7, 0, 1, s[8:9]
	v_mov_b64_e32 v[58:59], v[6:7]
; %bb.154:
	s_or_b64 exec, exec, s[0:1]
	s_mov_b32 s0, 0
	s_cmp_lg_u32 s67, 0
	v_or_b32_e32 v57, v59, v55
	v_lshrrev_b32_e32 v1, 5, v0
	v_cmp_gt_u32_e32 vcc, 64, v0
	s_barrier
	s_cbranch_scc0 .LBB526_215
; %bb.155:
	s_mov_b32 s1, 1
	v_cmp_gt_u64_e64 s[6:7], s[0:1], v[14:15]
	v_cmp_gt_u64_e64 s[8:9], s[0:1], v[16:17]
	v_cmp_gt_u64_e64 s[10:11], s[0:1], v[18:19]
	v_cndmask_b32_e64 v2, 1, v12, s[6:7]
	v_mul_lo_u32 v2, v2, v14
	v_cndmask_b32_e64 v2, 1, v2, s[8:9]
	v_mul_lo_u32 v2, v2, v16
	v_cndmask_b32_e64 v2, 1, v2, s[10:11]
	v_mul_lo_u32 v2, v2, v18
	v_cmp_gt_u64_e64 s[12:13], s[0:1], v[20:21]
	v_cmp_gt_u64_e64 s[14:15], s[0:1], v[22:23]
	v_cmp_gt_u64_e64 s[16:17], s[0:1], v[24:25]
	v_cndmask_b32_e64 v2, 1, v2, s[12:13]
	v_mul_lo_u32 v2, v2, v20
	v_cndmask_b32_e64 v2, 1, v2, s[14:15]
	v_mul_lo_u32 v2, v2, v22
	v_cndmask_b32_e64 v2, 1, v2, s[16:17]
	v_mul_lo_u32 v2, v2, v24
	;; [unrolled: 9-line block ×7, first 2 shown]
	v_cmp_gt_u64_e64 s[0:1], s[0:1], v[58:59]
	s_nop 1
	v_cndmask_b32_e64 v2, 1, v2, s[0:1]
	v_mul_lo_u32 v64, v2, v58
	v_or3_b32 v2, v57, v53, v51
	v_or3_b32 v2, v2, v49, v47
	;; [unrolled: 1-line block ×10, first 2 shown]
	v_and_b32_e32 v2, 1, v2
	v_cmp_eq_u32_e64 s[0:1], 1, v2
	v_add_lshl_u32 v2, v1, v0, 3
	s_nop 0
	v_cndmask_b32_e64 v65, v13, 1, s[0:1]
	ds_write_b32 v2, v64
	ds_write_b8 v2, v65 offset:4
	s_waitcnt lgkmcnt(0)
	s_barrier
	s_and_saveexec_b64 s[50:51], vcc
	s_cbranch_execz .LBB526_169
; %bb.156:
	v_lshrrev_b32_e32 v2, 3, v0
	v_add_lshl_u32 v4, v2, v56, 3
	ds_read2_b32 v[6:7], v4 offset0:2 offset1:4
	ds_read_b64 v[2:3], v4
	ds_read_u8 v8, v4 offset:12
	ds_read_u8 v9, v4 offset:20
	ds_read_b32 v60, v4 offset:24
	ds_read_u8 v61, v4 offset:28
	v_mov_b32_e32 v62, 0
	s_waitcnt lgkmcnt(3)
	v_cmp_eq_u16_sdwa s[0:1], v8, v62 src0_sel:BYTE_0 src1_sel:DWORD
	v_and_b32_e32 v5, 1, v3
	s_nop 0
	v_cndmask_b32_e64 v63, 1, v2, s[0:1]
	v_mul_lo_u32 v6, v63, v6
	s_waitcnt lgkmcnt(2)
	v_cmp_eq_u16_sdwa s[0:1], v9, v62 src0_sel:BYTE_0 src1_sel:DWORD
	s_nop 1
	v_cndmask_b32_e64 v6, 1, v6, s[0:1]
	v_mul_lo_u32 v6, v6, v7
	s_waitcnt lgkmcnt(0)
	v_or_b32_e32 v7, v61, v9
	v_or_b32_e32 v7, v7, v8
	v_cmp_eq_u16_e64 s[0:1], 0, v61
	v_and_b32_e32 v7, 1, v7
	v_mbcnt_lo_u32_b32 v8, -1, 0
	v_cndmask_b32_e64 v6, 1, v6, s[0:1]
	v_cmp_eq_u32_e64 s[0:1], 1, v7
	v_and_b32_e32 v7, 0xffffff00, v3
	v_mbcnt_hi_u32_b32 v8, -1, v8
	v_cndmask_b32_e64 v9, v5, 1, s[0:1]
	v_mul_lo_u32 v6, v6, v60
	v_and_b32_e32 v61, 15, v8
	v_or_b32_sdwa v60, v7, v9 dst_sel:DWORD dst_unused:UNUSED_PAD src0_sel:DWORD src1_sel:WORD_0
	v_mov_b32_dpp v63, v6 row_shr:1 row_mask:0xf bank_mask:0xf
	v_cmp_ne_u32_e64 s[0:1], 0, v61
	v_mov_b32_dpp v62, v60 row_shr:1 row_mask:0xf bank_mask:0xf
	s_and_saveexec_b64 s[56:57], s[0:1]
; %bb.157:
	v_cmp_eq_u16_e64 s[0:1], 0, v9
	v_and_b32_e32 v9, 1, v9
	s_nop 0
	v_cndmask_b32_e64 v60, 1, v63, s[0:1]
	v_mul_lo_u32 v6, v60, v6
	v_and_b32_e32 v60, 1, v62
	v_cmp_eq_u32_e64 s[0:1], 1, v9
	s_nop 1
	v_cndmask_b32_e64 v9, v60, 1, s[0:1]
	v_or_b32_sdwa v60, v7, v9 dst_sel:DWORD dst_unused:UNUSED_PAD src0_sel:DWORD src1_sel:WORD_0
; %bb.158:
	s_or_b64 exec, exec, s[56:57]
	v_mov_b32_dpp v63, v6 row_shr:2 row_mask:0xf bank_mask:0xf
	v_mov_b32_dpp v62, v60 row_shr:2 row_mask:0xf bank_mask:0xf
	v_cmp_lt_u32_e64 s[0:1], 1, v61
	s_and_saveexec_b64 s[56:57], s[0:1]
; %bb.159:
	v_cmp_eq_u16_e64 s[0:1], 0, v9
	v_and_b32_e32 v9, 1, v9
	s_nop 0
	v_cndmask_b32_e64 v60, 1, v63, s[0:1]
	v_mul_lo_u32 v6, v60, v6
	v_and_b32_e32 v60, 1, v62
	v_cmp_eq_u32_e64 s[0:1], 1, v9
	s_nop 1
	v_cndmask_b32_e64 v9, v60, 1, s[0:1]
	v_or_b32_sdwa v60, v7, v9 dst_sel:DWORD dst_unused:UNUSED_PAD src0_sel:DWORD src1_sel:WORD_0
; %bb.160:
	s_or_b64 exec, exec, s[56:57]
	v_mov_b32_dpp v63, v6 row_shr:4 row_mask:0xf bank_mask:0xf
	v_mov_b32_dpp v62, v60 row_shr:4 row_mask:0xf bank_mask:0xf
	v_cmp_lt_u32_e64 s[0:1], 3, v61
	;; [unrolled: 17-line block ×3, first 2 shown]
	s_and_saveexec_b64 s[56:57], s[0:1]
; %bb.163:
	v_cmp_eq_u16_e64 s[0:1], 0, v9
	v_and_b32_e32 v9, 1, v9
	s_nop 0
	v_cndmask_b32_e64 v60, 1, v63, s[0:1]
	v_mul_lo_u32 v6, v60, v6
	v_and_b32_e32 v60, 1, v62
	v_cmp_eq_u32_e64 s[0:1], 1, v9
	s_nop 1
	v_cndmask_b32_e64 v9, v60, 1, s[0:1]
	v_or_b32_sdwa v60, v7, v9 dst_sel:DWORD dst_unused:UNUSED_PAD src0_sel:DWORD src1_sel:WORD_0
; %bb.164:
	s_or_b64 exec, exec, s[56:57]
	v_and_b32_e32 v63, 16, v8
	v_mov_b32_dpp v62, v6 row_bcast:15 row_mask:0xf bank_mask:0xf
	v_mov_b32_dpp v61, v60 row_bcast:15 row_mask:0xf bank_mask:0xf
	v_cmp_ne_u32_e64 s[0:1], 0, v63
	s_and_saveexec_b64 s[56:57], s[0:1]
; %bb.165:
	v_cmp_eq_u16_e64 s[0:1], 0, v9
	v_and_b32_e32 v9, 1, v9
	s_nop 0
	v_cndmask_b32_e64 v60, 1, v62, s[0:1]
	v_mul_lo_u32 v6, v60, v6
	v_and_b32_e32 v60, 1, v61
	v_cmp_eq_u32_e64 s[0:1], 1, v9
	s_nop 1
	v_cndmask_b32_e64 v9, v60, 1, s[0:1]
	v_or_b32_sdwa v60, v7, v9 dst_sel:DWORD dst_unused:UNUSED_PAD src0_sel:DWORD src1_sel:WORD_0
; %bb.166:
	s_or_b64 exec, exec, s[56:57]
	v_mov_b32_dpp v61, v6 row_bcast:31 row_mask:0xf bank_mask:0xf
	v_mov_b32_dpp v60, v60 row_bcast:31 row_mask:0xf bank_mask:0xf
	v_cmp_lt_u32_e64 s[0:1], 31, v8
	s_and_saveexec_b64 s[56:57], s[0:1]
; %bb.167:
	v_cmp_eq_u16_e64 s[0:1], 0, v9
	v_and_b32_e32 v9, 1, v9
	v_and_b32_e32 v60, 1, v60
	v_cndmask_b32_e64 v61, 1, v61, s[0:1]
	v_cmp_eq_u32_e64 s[0:1], 1, v9
	v_mul_lo_u32 v6, v61, v6
	s_nop 0
	v_cndmask_b32_e64 v9, v60, 1, s[0:1]
; %bb.168:
	s_or_b64 exec, exec, s[56:57]
	v_add_u32_e32 v60, -1, v8
	v_and_b32_e32 v61, 64, v8
	v_cmp_lt_i32_e64 s[0:1], v60, v61
	v_or_b32_sdwa v7, v7, v9 dst_sel:DWORD dst_unused:UNUSED_PAD src0_sel:DWORD src1_sel:WORD_0
	s_nop 0
	v_cndmask_b32_e64 v8, v60, v8, s[0:1]
	v_lshlrev_b32_e32 v8, 2, v8
	ds_bpermute_b32 v6, v8, v6
	ds_bpermute_b32 v7, v8, v7
	v_mov_b32_e32 v8, 0
	v_cmp_eq_u16_sdwa s[0:1], v3, v8 src0_sel:BYTE_0 src1_sel:DWORD
	; wave barrier
	s_waitcnt lgkmcnt(1)
	s_nop 0
	v_cndmask_b32_e64 v3, 1, v6, s[0:1]
	v_mul_lo_u32 v2, v3, v2
	s_waitcnt lgkmcnt(0)
	v_and_b32_e32 v3, 1, v7
	v_cmp_eq_u32_e64 s[0:1], 1, v5
	v_cndmask_b32_e64 v5, v2, v64, s[52:53]
	s_nop 0
	v_cndmask_b32_e64 v3, v3, 1, s[0:1]
	v_cndmask_b32_e64 v6, v3, v65, s[52:53]
	ds_write_b32 v4, v5
	ds_write_b8 v4, v6 offset:4
	; wave barrier
	ds_read_u8 v7, v4 offset:12
	ds_read2_b32 v[2:3], v4 offset0:2 offset1:4
	ds_read_u8 v8, v4 offset:20
	ds_read_b32 v9, v4 offset:24
	ds_read_u8 v60, v4 offset:28
	s_waitcnt lgkmcnt(4)
	v_cmp_eq_u16_e64 s[0:1], 0, v7
	s_nop 1
	v_cndmask_b32_e64 v5, 1, v5, s[0:1]
	s_waitcnt lgkmcnt(3)
	v_mul_lo_u32 v2, v5, v2
	v_and_b32_e32 v5, 1, v7
	v_cmp_eq_u32_e64 s[0:1], 1, v5
	s_nop 1
	v_cndmask_b32_e64 v5, v6, 1, s[0:1]
	s_waitcnt lgkmcnt(2)
	v_cmp_eq_u16_e64 s[0:1], 0, v8
	ds_write_b8 v4, v5 offset:12
	s_nop 0
	v_cndmask_b32_e64 v6, 1, v2, s[0:1]
	v_mul_lo_u32 v3, v6, v3
	v_and_b32_e32 v6, 1, v8
	v_cmp_eq_u32_e64 s[0:1], 1, v6
	s_nop 1
	v_cndmask_b32_e64 v5, v5, 1, s[0:1]
	s_waitcnt lgkmcnt(1)
	v_cmp_eq_u16_e64 s[0:1], 0, v60
	ds_write2_b32 v4, v2, v3 offset0:2 offset1:4
	ds_write_b8 v4, v5 offset:20
	v_cndmask_b32_e64 v2, 1, v3, s[0:1]
	v_and_b32_e32 v3, 1, v60
	v_mul_lo_u32 v2, v2, v9
	v_cmp_eq_u32_e64 s[0:1], 1, v3
	s_nop 1
	v_cndmask_b32_e64 v3, v5, 1, s[0:1]
	ds_write_b32 v4, v2 offset:24
	ds_write_b8 v4, v3 offset:28
.LBB526_169:
	s_or_b64 exec, exec, s[50:51]
	s_waitcnt lgkmcnt(0)
	s_barrier
	s_and_saveexec_b64 s[0:1], s[4:5]
	s_cbranch_execz .LBB526_171
; %bb.170:
	v_add_u32_e32 v2, -1, v0
	v_lshrrev_b32_e32 v3, 5, v2
	v_add_lshl_u32 v2, v3, v2, 3
	ds_read_b32 v64, v2
	ds_read_u8 v65, v2 offset:4
.LBB526_171:
	s_or_b64 exec, exec, s[0:1]
	s_and_saveexec_b64 s[0:1], vcc
	s_cbranch_execz .LBB526_214
; %bb.172:
	v_mov_b32_e32 v5, 0
	ds_read_b64 v[2:3], v5 offset:2096
	v_mbcnt_lo_u32_b32 v4, -1, 0
	v_mbcnt_hi_u32_b32 v61, -1, v4
	s_mov_b32 s59, 0
	v_cmp_eq_u32_e64 s[50:51], 0, v61
	s_waitcnt lgkmcnt(0)
	v_readfirstlane_b32 s68, v3
	s_and_saveexec_b64 s[56:57], s[50:51]
	s_cbranch_execz .LBB526_174
; %bb.173:
	s_add_i32 s58, s67, 64
	s_lshl_b64 s[60:61], s[58:59], 4
	s_add_u32 s60, s64, s60
	s_addc_u32 s61, s65, s61
	s_and_b32 s77, s68, 0xff000000
	s_mov_b32 s76, s59
	s_and_b32 s79, s68, 0xff0000
	s_mov_b32 s78, s59
	s_or_b64 s[76:77], s[78:79], s[76:77]
	s_and_b32 s79, s68, 0xff00
	s_or_b64 s[76:77], s[76:77], s[78:79]
	s_and_b32 s79, s68, 0xff
	s_or_b64 s[58:59], s[76:77], s[78:79]
	v_mov_b32_e32 v3, s59
	v_mov_b32_e32 v4, 1
	v_mov_b64_e32 v[6:7], s[60:61]
	;;#ASMSTART
	global_store_dwordx4 v[6:7], v[2:5] off sc1	
s_waitcnt vmcnt(0)
	;;#ASMEND
.LBB526_174:
	s_or_b64 exec, exec, s[56:57]
	v_xad_u32 v60, v61, -1, s67
	v_add_u32_e32 v4, 64, v60
	v_lshl_add_u64 v[62:63], v[4:5], 4, s[64:65]
	;;#ASMSTART
	global_load_dwordx4 v[6:9], v[62:63] off sc1	
s_waitcnt vmcnt(0)
	;;#ASMEND
	s_nop 0
	v_and_b32_e32 v3, 0xff0000, v6
	v_and_b32_e32 v4, 0xff000000, v6
	;; [unrolled: 1-line block ×3, first 2 shown]
	v_or_b32_sdwa v3, v6, v3 dst_sel:DWORD dst_unused:UNUSED_PAD src0_sel:WORD_0 src1_sel:DWORD
	v_or3_b32 v7, 0, 0, v7
	v_or3_b32 v6, v3, v4, 0
	v_cmp_eq_u16_sdwa s[58:59], v8, v5 src0_sel:BYTE_0 src1_sel:DWORD
	s_and_saveexec_b64 s[56:57], s[58:59]
	s_cbranch_execz .LBB526_178
; %bb.175:
	s_mov_b64 s[58:59], 0
	v_mov_b32_e32 v3, 0
.LBB526_176:                            ; =>This Inner Loop Header: Depth=1
	;;#ASMSTART
	global_load_dwordx4 v[6:9], v[62:63] off sc1	
s_waitcnt vmcnt(0)
	;;#ASMEND
	s_nop 0
	v_cmp_ne_u16_sdwa s[60:61], v8, v3 src0_sel:BYTE_0 src1_sel:DWORD
	s_or_b64 s[58:59], s[60:61], s[58:59]
	s_andn2_b64 exec, exec, s[58:59]
	s_cbranch_execnz .LBB526_176
; %bb.177:
	s_or_b64 exec, exec, s[58:59]
	v_and_b32_e32 v7, 0xff, v7
.LBB526_178:
	s_or_b64 exec, exec, s[56:57]
	v_mov_b32_e32 v3, 2
	v_cmp_eq_u16_sdwa s[56:57], v8, v3 src0_sel:BYTE_0 src1_sel:DWORD
	v_lshlrev_b64 v[4:5], v61, -1
	s_mov_b32 s58, 0
	v_and_b32_e32 v3, s57, v5
	v_or_b32_e32 v3, 0x80000000, v3
	v_ffbl_b32_e32 v3, v3
	v_add_u32_e32 v62, 32, v3
	v_and_b32_e32 v3, 63, v61
	v_cmp_ne_u32_e32 vcc, 63, v3
	v_and_b32_e32 v9, s56, v4
	v_ffbl_b32_e32 v9, v9
	v_addc_co_u32_e32 v63, vcc, 0, v61, vcc
	v_lshlrev_b32_e32 v66, 2, v63
	ds_bpermute_b32 v67, v66, v6
	ds_bpermute_b32 v63, v66, v7
	v_min_u32_e32 v9, v9, v62
	v_cmp_lt_u32_e32 vcc, v3, v9
	v_mov_b32_e32 v62, v7
	s_and_saveexec_b64 s[56:57], vcc
	s_cbranch_execz .LBB526_180
; %bb.179:
	s_mov_b32 s59, 1
	v_cmp_gt_u64_e32 vcc, s[58:59], v[6:7]
	v_and_b32_e32 v7, 1, v7
	s_waitcnt lgkmcnt(1)
	v_cndmask_b32_e32 v62, 1, v67, vcc
	v_mul_lo_u32 v6, v62, v6
	s_waitcnt lgkmcnt(0)
	v_and_b32_e32 v62, 1, v63
	v_cmp_eq_u32_e32 vcc, 1, v7
	s_nop 1
	v_cndmask_b32_e64 v7, v62, 1, vcc
	v_and_b32_e32 v62, 0xffff, v7
.LBB526_180:
	s_or_b64 exec, exec, s[56:57]
	v_cmp_gt_u32_e32 vcc, 62, v3
	v_add_u32_e32 v68, 2, v3
	s_waitcnt lgkmcnt(0)
	v_cndmask_b32_e64 v63, 0, 1, vcc
	v_lshlrev_b32_e32 v63, 1, v63
	v_add_lshl_u32 v67, v63, v61, 2
	ds_bpermute_b32 v69, v67, v6
	ds_bpermute_b32 v63, v67, v62
	v_cmp_le_u32_e32 vcc, v68, v9
	s_and_saveexec_b64 s[56:57], vcc
	s_cbranch_execz .LBB526_182
; %bb.181:
	v_cmp_eq_u16_e32 vcc, 0, v7
	v_and_b32_e32 v7, 1, v7
	s_waitcnt lgkmcnt(1)
	v_cndmask_b32_e32 v62, 1, v69, vcc
	v_mul_lo_u32 v6, v62, v6
	s_waitcnt lgkmcnt(0)
	v_and_b32_e32 v62, 1, v63
	v_cmp_eq_u32_e32 vcc, 1, v7
	s_nop 1
	v_cndmask_b32_e64 v7, v62, 1, vcc
	v_and_b32_e32 v62, 0xffff, v7
.LBB526_182:
	s_or_b64 exec, exec, s[56:57]
	v_cmp_gt_u32_e32 vcc, 60, v3
	v_add_u32_e32 v70, 4, v3
	s_waitcnt lgkmcnt(0)
	v_cndmask_b32_e64 v63, 0, 1, vcc
	v_lshlrev_b32_e32 v63, 2, v63
	v_add_lshl_u32 v69, v63, v61, 2
	ds_bpermute_b32 v71, v69, v6
	ds_bpermute_b32 v63, v69, v62
	v_cmp_le_u32_e32 vcc, v70, v9
	s_and_saveexec_b64 s[56:57], vcc
	s_cbranch_execz .LBB526_184
; %bb.183:
	v_cmp_eq_u16_e32 vcc, 0, v7
	v_and_b32_e32 v7, 1, v7
	s_waitcnt lgkmcnt(1)
	v_cndmask_b32_e32 v62, 1, v71, vcc
	v_mul_lo_u32 v6, v62, v6
	s_waitcnt lgkmcnt(0)
	v_and_b32_e32 v62, 1, v63
	v_cmp_eq_u32_e32 vcc, 1, v7
	s_nop 1
	v_cndmask_b32_e64 v7, v62, 1, vcc
	v_and_b32_e32 v62, 0xffff, v7
.LBB526_184:
	;; [unrolled: 25-line block ×4, first 2 shown]
	s_or_b64 exec, exec, s[56:57]
	v_cmp_gt_u32_e32 vcc, 32, v3
	v_add_u32_e32 v77, 32, v3
	s_waitcnt lgkmcnt(0)
	v_cndmask_b32_e64 v63, 0, 1, vcc
	v_lshlrev_b32_e32 v63, 5, v63
	v_add_lshl_u32 v76, v63, v61, 2
	ds_bpermute_b32 v63, v76, v6
	ds_bpermute_b32 v61, v76, v62
	v_cmp_le_u32_e32 vcc, v77, v9
	s_and_saveexec_b64 s[56:57], vcc
	s_cbranch_execz .LBB526_190
; %bb.189:
	v_cmp_eq_u16_e32 vcc, 0, v7
	v_and_b32_e32 v7, 1, v7
	s_waitcnt lgkmcnt(1)
	v_cndmask_b32_e32 v9, 1, v63, vcc
	v_mul_lo_u32 v6, v9, v6
	s_waitcnt lgkmcnt(0)
	v_and_b32_e32 v9, 1, v61
	v_cmp_eq_u32_e32 vcc, 1, v7
	s_nop 1
	v_cndmask_b32_e64 v7, v9, 1, vcc
.LBB526_190:
	s_or_b64 exec, exec, s[56:57]
	s_mov_b32 s56, 0
	s_mov_b32 s57, 1
	s_waitcnt lgkmcnt(0)
	v_mov_b32_e32 v61, 0
	v_mov_b32_e32 v79, 2
	s_branch .LBB526_192
.LBB526_191:                            ;   in Loop: Header=BB526_192 Depth=1
	s_or_b64 exec, exec, s[58:59]
	v_cmp_eq_u16_sdwa vcc, v75, v61 src0_sel:BYTE_0 src1_sel:DWORD
	v_and_b32_e32 v9, 1, v75
	v_and_b32_e32 v7, 1, v7
	v_cndmask_b32_e32 v6, 1, v6, vcc
	v_cmp_eq_u32_e32 vcc, 1, v9
	v_subrev_u32_e32 v60, 64, v60
	v_mul_lo_u32 v6, v6, v78
	v_cndmask_b32_e64 v7, v7, 1, vcc
.LBB526_192:                            ; =>This Loop Header: Depth=1
                                        ;     Child Loop BB526_195 Depth 2
	v_cmp_ne_u16_sdwa s[58:59], v8, v79 src0_sel:BYTE_0 src1_sel:DWORD
	v_mov_b32_e32 v75, v7
	v_mov_b32_e32 v78, v6
	v_cndmask_b32_e64 v7, 0, 1, s[58:59]
	;;#ASMSTART
	;;#ASMEND
	s_nop 0
	v_cmp_ne_u32_e32 vcc, 0, v7
	s_cmp_lg_u64 vcc, exec
	s_cbranch_scc1 .LBB526_209
; %bb.193:                              ;   in Loop: Header=BB526_192 Depth=1
	s_waitcnt lgkmcnt(0)
	v_lshl_add_u64 v[62:63], v[60:61], 4, s[64:65]
	;;#ASMSTART
	global_load_dwordx4 v[6:9], v[62:63] off sc1	
s_waitcnt vmcnt(0)
	;;#ASMEND
	s_nop 0
	v_and_b32_e32 v9, 0xff0000, v6
	v_and_b32_e32 v80, 0xff000000, v6
	;; [unrolled: 1-line block ×3, first 2 shown]
	v_or_b32_sdwa v6, v6, v9 dst_sel:DWORD dst_unused:UNUSED_PAD src0_sel:WORD_0 src1_sel:DWORD
	v_or3_b32 v7, 0, 0, v7
	v_or3_b32 v6, v6, v80, 0
	v_cmp_eq_u16_sdwa s[60:61], v8, v61 src0_sel:BYTE_0 src1_sel:DWORD
	s_and_saveexec_b64 s[58:59], s[60:61]
	s_cbranch_execz .LBB526_197
; %bb.194:                              ;   in Loop: Header=BB526_192 Depth=1
	s_mov_b64 s[60:61], 0
.LBB526_195:                            ;   Parent Loop BB526_192 Depth=1
                                        ; =>  This Inner Loop Header: Depth=2
	;;#ASMSTART
	global_load_dwordx4 v[6:9], v[62:63] off sc1	
s_waitcnt vmcnt(0)
	;;#ASMEND
	s_nop 0
	v_cmp_ne_u16_sdwa s[76:77], v8, v61 src0_sel:BYTE_0 src1_sel:DWORD
	s_or_b64 s[60:61], s[76:77], s[60:61]
	s_andn2_b64 exec, exec, s[60:61]
	s_cbranch_execnz .LBB526_195
; %bb.196:                              ;   in Loop: Header=BB526_192 Depth=1
	s_or_b64 exec, exec, s[60:61]
	v_and_b32_e32 v7, 0xff, v7
.LBB526_197:                            ;   in Loop: Header=BB526_192 Depth=1
	s_or_b64 exec, exec, s[58:59]
	v_cmp_eq_u16_sdwa s[58:59], v8, v79 src0_sel:BYTE_0 src1_sel:DWORD
	ds_bpermute_b32 v80, v66, v6
	ds_bpermute_b32 v63, v66, v7
	v_and_b32_e32 v9, s59, v5
	v_or_b32_e32 v9, 0x80000000, v9
	v_and_b32_e32 v62, s58, v4
	v_ffbl_b32_e32 v9, v9
	v_add_u32_e32 v9, 32, v9
	v_ffbl_b32_e32 v62, v62
	v_min_u32_e32 v9, v62, v9
	v_cmp_lt_u32_e32 vcc, v3, v9
	v_mov_b32_e32 v62, v7
	s_and_saveexec_b64 s[58:59], vcc
	s_cbranch_execz .LBB526_199
; %bb.198:                              ;   in Loop: Header=BB526_192 Depth=1
	v_cmp_gt_u64_e32 vcc, s[56:57], v[6:7]
	v_and_b32_e32 v7, 1, v7
	s_waitcnt lgkmcnt(1)
	v_cndmask_b32_e32 v62, 1, v80, vcc
	v_mul_lo_u32 v6, v62, v6
	s_waitcnt lgkmcnt(0)
	v_and_b32_e32 v62, 1, v63
	v_cmp_eq_u32_e32 vcc, 1, v7
	s_nop 1
	v_cndmask_b32_e64 v7, v62, 1, vcc
	v_and_b32_e32 v62, 0xffff, v7
.LBB526_199:                            ;   in Loop: Header=BB526_192 Depth=1
	s_or_b64 exec, exec, s[58:59]
	s_waitcnt lgkmcnt(1)
	ds_bpermute_b32 v80, v67, v6
	s_waitcnt lgkmcnt(1)
	ds_bpermute_b32 v63, v67, v62
	v_cmp_le_u32_e32 vcc, v68, v9
	s_and_saveexec_b64 s[58:59], vcc
	s_cbranch_execz .LBB526_201
; %bb.200:                              ;   in Loop: Header=BB526_192 Depth=1
	v_cmp_eq_u16_e32 vcc, 0, v7
	v_and_b32_e32 v7, 1, v7
	s_waitcnt lgkmcnt(1)
	v_cndmask_b32_e32 v62, 1, v80, vcc
	v_mul_lo_u32 v6, v62, v6
	s_waitcnt lgkmcnt(0)
	v_and_b32_e32 v62, 1, v63
	v_cmp_eq_u32_e32 vcc, 1, v7
	s_nop 1
	v_cndmask_b32_e64 v7, v62, 1, vcc
	v_and_b32_e32 v62, 0xffff, v7
.LBB526_201:                            ;   in Loop: Header=BB526_192 Depth=1
	s_or_b64 exec, exec, s[58:59]
	s_waitcnt lgkmcnt(1)
	ds_bpermute_b32 v80, v69, v6
	s_waitcnt lgkmcnt(1)
	ds_bpermute_b32 v63, v69, v62
	v_cmp_le_u32_e32 vcc, v70, v9
	s_and_saveexec_b64 s[58:59], vcc
	s_cbranch_execz .LBB526_203
; %bb.202:                              ;   in Loop: Header=BB526_192 Depth=1
	v_cmp_eq_u16_e32 vcc, 0, v7
	v_and_b32_e32 v7, 1, v7
	s_waitcnt lgkmcnt(1)
	v_cndmask_b32_e32 v62, 1, v80, vcc
	v_mul_lo_u32 v6, v62, v6
	s_waitcnt lgkmcnt(0)
	v_and_b32_e32 v62, 1, v63
	v_cmp_eq_u32_e32 vcc, 1, v7
	s_nop 1
	v_cndmask_b32_e64 v7, v62, 1, vcc
	v_and_b32_e32 v62, 0xffff, v7
.LBB526_203:                            ;   in Loop: Header=BB526_192 Depth=1
	;; [unrolled: 21-line block ×4, first 2 shown]
	s_or_b64 exec, exec, s[58:59]
	s_waitcnt lgkmcnt(0)
	ds_bpermute_b32 v63, v76, v6
	ds_bpermute_b32 v62, v76, v62
	v_cmp_le_u32_e32 vcc, v77, v9
	s_and_saveexec_b64 s[58:59], vcc
	s_cbranch_execz .LBB526_191
; %bb.208:                              ;   in Loop: Header=BB526_192 Depth=1
	v_cmp_eq_u16_e32 vcc, 0, v7
	v_and_b32_e32 v7, 1, v7
	s_waitcnt lgkmcnt(1)
	v_cndmask_b32_e32 v9, 1, v63, vcc
	v_cmp_eq_u32_e32 vcc, 1, v7
	v_mul_lo_u32 v6, v9, v6
	s_waitcnt lgkmcnt(0)
	v_cndmask_b32_e64 v7, v62, 1, vcc
	s_branch .LBB526_191
.LBB526_209:                            ;   in Loop: Header=BB526_192 Depth=1
                                        ; implicit-def: $vgpr7
	s_cbranch_execz .LBB526_192
; %bb.210:
	s_and_saveexec_b64 s[56:57], s[50:51]
	s_cbranch_execz .LBB526_212
; %bb.211:
	s_and_b32 s50, s68, 0xff
	s_cmp_eq_u32 s50, 0
	s_cselect_b64 vcc, -1, 0
	s_bitcmp1_b32 s68, 0
	s_mov_b32 s51, 0
	s_cselect_b64 s[58:59], -1, 0
	s_add_i32 s50, s67, 64
	s_lshl_b64 s[50:51], s[50:51], 4
	v_cndmask_b32_e32 v3, 1, v78, vcc
	s_add_u32 s50, s64, s50
	v_mul_lo_u32 v2, v3, v2
	v_and_b32_e32 v3, 1, v75
	s_addc_u32 s51, s65, s51
	v_cndmask_b32_e64 v3, v3, 1, s[58:59]
	v_mov_b32_e32 v4, 2
	v_mov_b32_e32 v5, 0
	v_mov_b64_e32 v[6:7], s[50:51]
	;;#ASMSTART
	global_store_dwordx4 v[6:7], v[2:5] off sc1	
s_waitcnt vmcnt(0)
	;;#ASMEND
.LBB526_212:
	s_or_b64 exec, exec, s[56:57]
	s_and_b64 exec, exec, s[52:53]
	s_cbranch_execz .LBB526_214
; %bb.213:
	v_mov_b32_e32 v2, 0
	ds_write_b32 v2, v78
	ds_write_b8 v2, v75 offset:4
.LBB526_214:
	s_or_b64 exec, exec, s[0:1]
	v_mov_b32_e32 v2, 0
	s_waitcnt lgkmcnt(0)
	s_barrier
	ds_read_b32 v3, v2
	v_cmp_eq_u16_sdwa vcc, v65, v2 src0_sel:BYTE_0 src1_sel:DWORD
	s_waitcnt lgkmcnt(0)
	s_nop 0
	v_cndmask_b32_e32 v4, 1, v3, vcc
	v_mul_lo_u32 v4, v4, v64
	v_cndmask_b32_e64 v60, v4, v3, s[52:53]
	v_and_b32_e32 v3, 0xff, v13
	v_cmp_eq_u64_e32 vcc, 0, v[2:3]
	s_nop 1
	v_cndmask_b32_e32 v2, 1, v60, vcc
	v_mul_lo_u32 v61, v2, v12
	v_cndmask_b32_e64 v2, 1, v61, s[6:7]
	v_mul_lo_u32 v62, v2, v14
	v_cndmask_b32_e64 v2, 1, v62, s[8:9]
	;; [unrolled: 2-line block ×21, first 2 shown]
	v_mul_lo_u32 v82, v2, v54
	s_branch .LBB526_237
.LBB526_215:
                                        ; implicit-def: $vgpr81
                                        ; implicit-def: $vgpr80
                                        ; implicit-def: $vgpr79
                                        ; implicit-def: $vgpr78
                                        ; implicit-def: $vgpr77
                                        ; implicit-def: $vgpr76
                                        ; implicit-def: $vgpr75
                                        ; implicit-def: $vgpr74
                                        ; implicit-def: $vgpr73
                                        ; implicit-def: $vgpr72
                                        ; implicit-def: $vgpr71
                                        ; implicit-def: $vgpr70
                                        ; implicit-def: $vgpr69
                                        ; implicit-def: $vgpr68
                                        ; implicit-def: $vgpr67
                                        ; implicit-def: $vgpr66
                                        ; implicit-def: $vgpr65
                                        ; implicit-def: $vgpr64
                                        ; implicit-def: $vgpr63
                                        ; implicit-def: $vgpr62
                                        ; implicit-def: $vgpr61
                                        ; implicit-def: $vgpr60
                                        ; implicit-def: $vgpr82
	s_cbranch_execz .LBB526_237
; %bb.216:
	s_cmp_lg_u64 s[72:73], 0
	s_cselect_b32 s7, s71, 0
	s_cselect_b32 s6, s70, 0
	s_mov_b32 s0, 0
	s_cmp_eq_u64 s[6:7], 0
	v_mov_b32_e32 v4, s74
	s_cbranch_scc1 .LBB526_218
; %bb.217:
	v_mov_b32_e32 v2, 0
	global_load_dword v4, v2, s[6:7]
.LBB526_218:
	s_mov_b32 s1, 1
	v_cmp_gt_u64_e32 vcc, s[0:1], v[14:15]
	v_cmp_gt_u64_e64 s[6:7], s[0:1], v[16:17]
	v_cmp_gt_u64_e64 s[8:9], s[0:1], v[18:19]
	v_cndmask_b32_e32 v2, 1, v12, vcc
	v_mul_lo_u32 v2, v2, v14
	v_cndmask_b32_e64 v2, 1, v2, s[6:7]
	v_mul_lo_u32 v2, v2, v16
	v_cndmask_b32_e64 v2, 1, v2, s[8:9]
	v_mul_lo_u32 v2, v2, v18
	v_cmp_gt_u64_e64 s[10:11], s[0:1], v[20:21]
	v_cmp_gt_u64_e64 s[12:13], s[0:1], v[22:23]
	v_cmp_gt_u64_e64 s[14:15], s[0:1], v[24:25]
	v_cndmask_b32_e64 v2, 1, v2, s[10:11]
	v_mul_lo_u32 v2, v2, v20
	v_cndmask_b32_e64 v2, 1, v2, s[12:13]
	v_mul_lo_u32 v2, v2, v22
	v_cndmask_b32_e64 v2, 1, v2, s[14:15]
	v_mul_lo_u32 v2, v2, v24
	v_cmp_gt_u64_e64 s[16:17], s[0:1], v[26:27]
	v_cmp_gt_u64_e64 s[18:19], s[0:1], v[28:29]
	v_cmp_gt_u64_e64 s[20:21], s[0:1], v[30:31]
	v_cndmask_b32_e64 v2, 1, v2, s[16:17]
	;; [unrolled: 9-line block ×6, first 2 shown]
	v_mul_lo_u32 v2, v2, v50
	v_cndmask_b32_e64 v2, 1, v2, s[44:45]
	v_mul_lo_u32 v2, v2, v52
	v_cndmask_b32_e64 v2, 1, v2, s[46:47]
	v_mul_lo_u32 v2, v2, v54
	v_cmp_gt_u64_e64 s[0:1], s[0:1], v[58:59]
	v_add_lshl_u32 v1, v1, v0, 3
	s_nop 0
	v_cndmask_b32_e64 v2, 1, v2, s[0:1]
	v_mul_lo_u32 v5, v2, v58
	v_or3_b32 v2, v57, v53, v51
	v_or3_b32 v2, v2, v49, v47
	;; [unrolled: 1-line block ×10, first 2 shown]
	v_and_b32_e32 v2, 1, v2
	v_cmp_eq_u32_e64 s[0:1], 1, v2
	s_nop 1
	v_cndmask_b32_e64 v6, v13, 1, s[0:1]
	v_cmp_gt_u32_e64 s[0:1], 64, v0
	ds_write_b32 v1, v5
	ds_write_b8 v1, v6 offset:4
	s_waitcnt lgkmcnt(0)
	s_barrier
	s_and_saveexec_b64 s[48:49], s[0:1]
	s_cbranch_execz .LBB526_232
; %bb.219:
	v_lshrrev_b32_e32 v1, 3, v0
	v_add_lshl_u32 v1, v1, v56, 3
	ds_read2_b32 v[8:9], v1 offset0:2 offset1:4
	ds_read_b64 v[2:3], v1
	ds_read_u8 v15, v1 offset:12
	ds_read_u8 v17, v1 offset:20
	ds_read_b32 v19, v1 offset:24
	ds_read_u8 v21, v1 offset:28
	v_mov_b32_e32 v23, 0
	s_waitcnt lgkmcnt(3)
	v_cmp_eq_u16_sdwa s[0:1], v15, v23 src0_sel:BYTE_0 src1_sel:DWORD
	v_and_b32_e32 v7, 1, v3
	s_nop 0
	v_cndmask_b32_e64 v25, 1, v2, s[0:1]
	v_mul_lo_u32 v8, v25, v8
	s_waitcnt lgkmcnt(2)
	v_cmp_eq_u16_sdwa s[0:1], v17, v23 src0_sel:BYTE_0 src1_sel:DWORD
	s_nop 1
	v_cndmask_b32_e64 v8, 1, v8, s[0:1]
	v_mul_lo_u32 v8, v8, v9
	s_waitcnt lgkmcnt(0)
	v_or_b32_e32 v9, v21, v17
	v_or_b32_e32 v9, v9, v15
	v_cmp_eq_u16_e64 s[0:1], 0, v21
	v_and_b32_e32 v9, 1, v9
	v_mbcnt_lo_u32_b32 v15, -1, 0
	v_cndmask_b32_e64 v8, 1, v8, s[0:1]
	v_cmp_eq_u32_e64 s[0:1], 1, v9
	v_and_b32_e32 v9, 0xffffff00, v3
	v_mbcnt_hi_u32_b32 v15, -1, v15
	v_cndmask_b32_e64 v17, v7, 1, s[0:1]
	v_mul_lo_u32 v8, v8, v19
	v_and_b32_e32 v21, 15, v15
	v_or_b32_sdwa v19, v9, v17 dst_sel:DWORD dst_unused:UNUSED_PAD src0_sel:DWORD src1_sel:WORD_0
	v_mov_b32_dpp v25, v8 row_shr:1 row_mask:0xf bank_mask:0xf
	v_cmp_ne_u32_e64 s[0:1], 0, v21
	v_mov_b32_dpp v23, v19 row_shr:1 row_mask:0xf bank_mask:0xf
	s_and_saveexec_b64 s[50:51], s[0:1]
; %bb.220:
	v_cmp_eq_u16_e64 s[0:1], 0, v17
	v_and_b32_e32 v17, 1, v17
	s_nop 0
	v_cndmask_b32_e64 v19, 1, v25, s[0:1]
	v_mul_lo_u32 v8, v19, v8
	v_and_b32_e32 v19, 1, v23
	v_cmp_eq_u32_e64 s[0:1], 1, v17
	s_nop 1
	v_cndmask_b32_e64 v17, v19, 1, s[0:1]
	v_or_b32_sdwa v19, v9, v17 dst_sel:DWORD dst_unused:UNUSED_PAD src0_sel:DWORD src1_sel:WORD_0
; %bb.221:
	s_or_b64 exec, exec, s[50:51]
	v_mov_b32_dpp v25, v8 row_shr:2 row_mask:0xf bank_mask:0xf
	v_mov_b32_dpp v23, v19 row_shr:2 row_mask:0xf bank_mask:0xf
	v_cmp_lt_u32_e64 s[0:1], 1, v21
	s_and_saveexec_b64 s[50:51], s[0:1]
; %bb.222:
	v_cmp_eq_u16_e64 s[0:1], 0, v17
	v_and_b32_e32 v17, 1, v17
	s_nop 0
	v_cndmask_b32_e64 v19, 1, v25, s[0:1]
	v_mul_lo_u32 v8, v19, v8
	v_and_b32_e32 v19, 1, v23
	v_cmp_eq_u32_e64 s[0:1], 1, v17
	s_nop 1
	v_cndmask_b32_e64 v17, v19, 1, s[0:1]
	v_or_b32_sdwa v19, v9, v17 dst_sel:DWORD dst_unused:UNUSED_PAD src0_sel:DWORD src1_sel:WORD_0
; %bb.223:
	s_or_b64 exec, exec, s[50:51]
	v_mov_b32_dpp v25, v8 row_shr:4 row_mask:0xf bank_mask:0xf
	v_mov_b32_dpp v23, v19 row_shr:4 row_mask:0xf bank_mask:0xf
	v_cmp_lt_u32_e64 s[0:1], 3, v21
	;; [unrolled: 17-line block ×3, first 2 shown]
	s_and_saveexec_b64 s[50:51], s[0:1]
; %bb.226:
	v_cmp_eq_u16_e64 s[0:1], 0, v17
	v_and_b32_e32 v17, 1, v17
	s_nop 0
	v_cndmask_b32_e64 v19, 1, v25, s[0:1]
	v_mul_lo_u32 v8, v19, v8
	v_and_b32_e32 v19, 1, v23
	v_cmp_eq_u32_e64 s[0:1], 1, v17
	s_nop 1
	v_cndmask_b32_e64 v17, v19, 1, s[0:1]
	v_or_b32_sdwa v19, v9, v17 dst_sel:DWORD dst_unused:UNUSED_PAD src0_sel:DWORD src1_sel:WORD_0
; %bb.227:
	s_or_b64 exec, exec, s[50:51]
	v_and_b32_e32 v25, 16, v15
	v_mov_b32_dpp v23, v8 row_bcast:15 row_mask:0xf bank_mask:0xf
	v_mov_b32_dpp v21, v19 row_bcast:15 row_mask:0xf bank_mask:0xf
	v_cmp_ne_u32_e64 s[0:1], 0, v25
	s_and_saveexec_b64 s[50:51], s[0:1]
; %bb.228:
	v_cmp_eq_u16_e64 s[0:1], 0, v17
	v_and_b32_e32 v17, 1, v17
	s_nop 0
	v_cndmask_b32_e64 v19, 1, v23, s[0:1]
	v_mul_lo_u32 v8, v19, v8
	v_and_b32_e32 v19, 1, v21
	v_cmp_eq_u32_e64 s[0:1], 1, v17
	s_nop 1
	v_cndmask_b32_e64 v17, v19, 1, s[0:1]
	v_or_b32_sdwa v19, v9, v17 dst_sel:DWORD dst_unused:UNUSED_PAD src0_sel:DWORD src1_sel:WORD_0
; %bb.229:
	s_or_b64 exec, exec, s[50:51]
	v_mov_b32_dpp v21, v8 row_bcast:31 row_mask:0xf bank_mask:0xf
	v_mov_b32_dpp v19, v19 row_bcast:31 row_mask:0xf bank_mask:0xf
	v_cmp_lt_u32_e64 s[0:1], 31, v15
	s_and_saveexec_b64 s[50:51], s[0:1]
; %bb.230:
	v_cmp_eq_u16_e64 s[0:1], 0, v17
	v_and_b32_e32 v17, 1, v17
	v_and_b32_e32 v19, 1, v19
	v_cndmask_b32_e64 v21, 1, v21, s[0:1]
	v_cmp_eq_u32_e64 s[0:1], 1, v17
	v_mul_lo_u32 v8, v21, v8
	s_nop 0
	v_cndmask_b32_e64 v17, v19, 1, s[0:1]
; %bb.231:
	s_or_b64 exec, exec, s[50:51]
	v_add_u32_e32 v19, -1, v15
	v_and_b32_e32 v21, 64, v15
	v_cmp_lt_i32_e64 s[0:1], v19, v21
	v_or_b32_sdwa v9, v9, v17 dst_sel:DWORD dst_unused:UNUSED_PAD src0_sel:DWORD src1_sel:WORD_0
	s_nop 0
	v_cndmask_b32_e64 v15, v19, v15, s[0:1]
	v_lshlrev_b32_e32 v15, 2, v15
	ds_bpermute_b32 v8, v15, v8
	ds_bpermute_b32 v9, v15, v9
	v_mov_b32_e32 v15, 0
	v_cmp_eq_u16_sdwa s[0:1], v3, v15 src0_sel:BYTE_0 src1_sel:DWORD
	; wave barrier
	s_waitcnt lgkmcnt(1)
	s_nop 0
	v_cndmask_b32_e64 v3, 1, v8, s[0:1]
	v_mul_lo_u32 v2, v3, v2
	s_waitcnt lgkmcnt(0)
	v_and_b32_e32 v3, 1, v9
	v_cmp_eq_u32_e64 s[0:1], 1, v7
	v_cndmask_b32_e64 v5, v2, v5, s[52:53]
	s_nop 0
	v_cndmask_b32_e64 v3, v3, 1, s[0:1]
	v_cndmask_b32_e64 v6, v3, v6, s[52:53]
	ds_write_b32 v1, v5
	ds_write_b8 v1, v6 offset:4
	; wave barrier
	ds_read_u8 v7, v1 offset:12
	ds_read2_b32 v[2:3], v1 offset0:2 offset1:4
	ds_read_u8 v8, v1 offset:20
	ds_read_b32 v9, v1 offset:24
	ds_read_u8 v15, v1 offset:28
	s_waitcnt lgkmcnt(4)
	v_cmp_eq_u16_e64 s[0:1], 0, v7
	s_nop 1
	v_cndmask_b32_e64 v5, 1, v5, s[0:1]
	s_waitcnt lgkmcnt(3)
	v_mul_lo_u32 v2, v5, v2
	v_and_b32_e32 v5, 1, v7
	v_cmp_eq_u32_e64 s[0:1], 1, v5
	s_nop 1
	v_cndmask_b32_e64 v5, v6, 1, s[0:1]
	s_waitcnt lgkmcnt(2)
	v_cmp_eq_u16_e64 s[0:1], 0, v8
	ds_write_b8 v1, v5 offset:12
	s_nop 0
	v_cndmask_b32_e64 v6, 1, v2, s[0:1]
	v_mul_lo_u32 v3, v6, v3
	v_and_b32_e32 v6, 1, v8
	v_cmp_eq_u32_e64 s[0:1], 1, v6
	s_nop 1
	v_cndmask_b32_e64 v5, v5, 1, s[0:1]
	s_waitcnt lgkmcnt(1)
	v_cmp_eq_u16_e64 s[0:1], 0, v15
	ds_write2_b32 v1, v2, v3 offset0:2 offset1:4
	ds_write_b8 v1, v5 offset:20
	v_cndmask_b32_e64 v2, 1, v3, s[0:1]
	v_and_b32_e32 v3, 1, v15
	v_mul_lo_u32 v2, v2, v9
	v_cmp_eq_u32_e64 s[0:1], 1, v3
	s_nop 1
	v_cndmask_b32_e64 v3, v5, 1, s[0:1]
	ds_write_b32 v1, v2 offset:24
	ds_write_b8 v1, v3 offset:28
.LBB526_232:
	s_or_b64 exec, exec, s[48:49]
	s_waitcnt vmcnt(0)
	v_mov_b32_e32 v60, v4
	s_waitcnt lgkmcnt(0)
	s_barrier
	s_and_saveexec_b64 s[48:49], s[4:5]
	s_cbranch_execz .LBB526_234
; %bb.233:
	v_add_u32_e32 v1, -1, v0
	v_lshrrev_b32_e32 v2, 5, v1
	v_add_lshl_u32 v1, v2, v1, 3
	ds_read_u8 v2, v1 offset:4
	ds_read_b32 v1, v1
	s_waitcnt lgkmcnt(1)
	v_cmp_eq_u16_e64 s[0:1], 0, v2
	s_nop 1
	v_cndmask_b32_e64 v2, 1, v4, s[0:1]
	s_waitcnt lgkmcnt(0)
	v_mul_lo_u32 v60, v2, v1
.LBB526_234:
	s_or_b64 exec, exec, s[48:49]
	v_and_b32_e32 v3, 0xff, v13
	v_mov_b32_e32 v2, 0
	v_cmp_eq_u64_e64 s[0:1], 0, v[2:3]
	s_nop 1
	v_cndmask_b32_e64 v1, 1, v60, s[0:1]
	v_mul_lo_u32 v61, v1, v12
	v_cndmask_b32_e32 v1, 1, v61, vcc
	v_mul_lo_u32 v62, v1, v14
	v_cndmask_b32_e64 v1, 1, v62, s[6:7]
	v_mul_lo_u32 v63, v1, v16
	v_cndmask_b32_e64 v1, 1, v63, s[8:9]
	v_mul_lo_u32 v64, v1, v18
	v_cndmask_b32_e64 v1, 1, v64, s[10:11]
	v_mul_lo_u32 v65, v1, v20
	v_cndmask_b32_e64 v1, 1, v65, s[12:13]
	v_mul_lo_u32 v66, v1, v22
	v_cndmask_b32_e64 v1, 1, v66, s[14:15]
	v_mul_lo_u32 v67, v1, v24
	v_cndmask_b32_e64 v1, 1, v67, s[16:17]
	v_mul_lo_u32 v68, v1, v26
	v_cndmask_b32_e64 v1, 1, v68, s[18:19]
	v_mul_lo_u32 v69, v1, v28
	v_cndmask_b32_e64 v1, 1, v69, s[20:21]
	v_mul_lo_u32 v70, v1, v30
	v_cndmask_b32_e64 v1, 1, v70, s[22:23]
	v_mul_lo_u32 v71, v1, v32
	v_cndmask_b32_e64 v1, 1, v71, s[24:25]
	v_mul_lo_u32 v72, v1, v34
	v_cndmask_b32_e64 v1, 1, v72, s[26:27]
	v_mul_lo_u32 v73, v1, v36
	v_cndmask_b32_e64 v1, 1, v73, s[28:29]
	v_mul_lo_u32 v74, v1, v38
	v_cndmask_b32_e64 v1, 1, v74, s[30:31]
	v_mul_lo_u32 v75, v1, v40
	v_cndmask_b32_e64 v1, 1, v75, s[34:35]
	v_mul_lo_u32 v76, v1, v42
	v_cndmask_b32_e64 v1, 1, v76, s[36:37]
	v_mul_lo_u32 v77, v1, v44
	v_cndmask_b32_e64 v1, 1, v77, s[38:39]
	v_mul_lo_u32 v78, v1, v46
	v_cndmask_b32_e64 v1, 1, v78, s[40:41]
	v_mul_lo_u32 v79, v1, v48
	v_cndmask_b32_e64 v1, 1, v79, s[42:43]
	v_mul_lo_u32 v80, v1, v50
	v_cndmask_b32_e64 v1, 1, v80, s[44:45]
	v_mul_lo_u32 v81, v1, v52
	v_cndmask_b32_e64 v1, 1, v81, s[46:47]
	s_and_saveexec_b64 s[0:1], s[52:53]
	s_cbranch_execz .LBB526_236
; %bb.235:
	ds_read_u8 v3, v2 offset:2100
	ds_read_b32 v5, v2 offset:2096
	s_add_u32 s4, s64, 0x400
	s_addc_u32 s5, s65, 0
	v_mov_b32_e32 v6, 2
	s_waitcnt lgkmcnt(1)
	v_cmp_eq_u16_e32 vcc, 0, v3
	v_mov_b32_e32 v7, v2
	s_nop 0
	v_cndmask_b32_e32 v4, 1, v4, vcc
	s_waitcnt lgkmcnt(0)
	v_mul_lo_u32 v4, v4, v5
	v_and_b32_e32 v5, 0xffff, v3
	v_mov_b64_e32 v[2:3], s[4:5]
	;;#ASMSTART
	global_store_dwordx4 v[2:3], v[4:7] off sc1	
s_waitcnt vmcnt(0)
	;;#ASMEND
.LBB526_236:
	s_or_b64 exec, exec, s[0:1]
	v_mul_lo_u32 v82, v1, v54
.LBB526_237:
	s_add_u32 s0, s62, s54
	s_addc_u32 s1, s63, s55
	v_lshl_add_u64 v[2:3], s[0:1], 0, v[10:11]
	s_and_b64 vcc, exec, s[2:3]
	s_cbranch_vccz .LBB526_283
; %bb.238:
	s_movk_i32 s0, 0x5c
	v_mul_i32_i24_e32 v28, 0xffffffa8, v0
	v_mul_u32_u24_e32 v1, 0x5c, v0
	v_mad_u32_u24 v4, v0, s0, v28
	s_barrier
	ds_write2_b32 v1, v60, v61 offset1:1
	ds_write2_b32 v1, v62, v63 offset0:2 offset1:3
	ds_write2_b32 v1, v64, v65 offset0:4 offset1:5
	;; [unrolled: 1-line block ×10, first 2 shown]
	ds_write_b32 v1, v82 offset:88
	s_waitcnt lgkmcnt(0)
	s_barrier
	ds_read2st64_b32 v[26:27], v4 offset0:4 offset1:8
	ds_read2st64_b32 v[24:25], v4 offset0:12 offset1:16
	;; [unrolled: 1-line block ×11, first 2 shown]
	s_add_i32 s33, s33, s66
	v_mov_b32_e32 v57, 0
	v_lshl_add_u64 v[6:7], v[2:3], 0, v[56:57]
	v_cmp_gt_u32_e32 vcc, s33, v0
	s_and_saveexec_b64 s[0:1], vcc
	s_cbranch_execz .LBB526_240
; %bb.239:
	v_add_u32_e32 v1, v1, v28
	ds_read_b32 v1, v1
	s_waitcnt lgkmcnt(0)
	flat_store_dword v[6:7], v1
.LBB526_240:
	s_or_b64 exec, exec, s[0:1]
	v_or_b32_e32 v1, 0x100, v0
	v_cmp_gt_u32_e32 vcc, s33, v1
	s_and_saveexec_b64 s[0:1], vcc
	s_cbranch_execz .LBB526_242
; %bb.241:
	s_waitcnt lgkmcnt(0)
	flat_store_dword v[6:7], v26 offset:1024
.LBB526_242:
	s_or_b64 exec, exec, s[0:1]
	v_or_b32_e32 v1, 0x200, v0
	v_cmp_gt_u32_e32 vcc, s33, v1
	s_and_saveexec_b64 s[0:1], vcc
	s_cbranch_execz .LBB526_244
; %bb.243:
	s_waitcnt lgkmcnt(0)
	flat_store_dword v[6:7], v27 offset:2048
.LBB526_244:
	s_or_b64 exec, exec, s[0:1]
	v_or_b32_e32 v1, 0x300, v0
	v_cmp_gt_u32_e32 vcc, s33, v1
	s_and_saveexec_b64 s[0:1], vcc
	s_cbranch_execz .LBB526_246
; %bb.245:
	s_waitcnt lgkmcnt(0)
	flat_store_dword v[6:7], v24 offset:3072
.LBB526_246:
	s_or_b64 exec, exec, s[0:1]
	v_or_b32_e32 v1, 0x400, v0
	v_cmp_gt_u32_e32 vcc, s33, v1
	s_and_saveexec_b64 s[0:1], vcc
	s_cbranch_execz .LBB526_248
; %bb.247:
	s_waitcnt lgkmcnt(0)
	v_add_co_u32_e32 v26, vcc, 0x1000, v6
	s_nop 1
	v_addc_co_u32_e32 v27, vcc, 0, v7, vcc
	flat_store_dword v[26:27], v25
.LBB526_248:
	s_or_b64 exec, exec, s[0:1]
	v_or_b32_e32 v1, 0x500, v0
	v_cmp_gt_u32_e32 vcc, s33, v1
	s_and_saveexec_b64 s[0:1], vcc
	s_cbranch_execz .LBB526_250
; %bb.249:
	s_waitcnt lgkmcnt(0)
	v_add_co_u32_e32 v24, vcc, 0x1000, v6
	s_nop 1
	v_addc_co_u32_e32 v25, vcc, 0, v7, vcc
	flat_store_dword v[24:25], v22 offset:1024
.LBB526_250:
	s_or_b64 exec, exec, s[0:1]
	v_or_b32_e32 v1, 0x600, v0
	v_cmp_gt_u32_e32 vcc, s33, v1
	s_and_saveexec_b64 s[0:1], vcc
	s_cbranch_execz .LBB526_252
; %bb.251:
	s_waitcnt lgkmcnt(0)
	v_add_co_u32_e32 v24, vcc, 0x1000, v6
	s_nop 1
	v_addc_co_u32_e32 v25, vcc, 0, v7, vcc
	flat_store_dword v[24:25], v23 offset:2048
.LBB526_252:
	s_or_b64 exec, exec, s[0:1]
	v_or_b32_e32 v1, 0x700, v0
	v_cmp_gt_u32_e32 vcc, s33, v1
	s_and_saveexec_b64 s[0:1], vcc
	s_cbranch_execz .LBB526_254
; %bb.253:
	s_waitcnt lgkmcnt(0)
	v_add_co_u32_e32 v22, vcc, 0x1000, v6
	s_nop 1
	v_addc_co_u32_e32 v23, vcc, 0, v7, vcc
	flat_store_dword v[22:23], v20 offset:3072
.LBB526_254:
	s_or_b64 exec, exec, s[0:1]
	v_or_b32_e32 v1, 0x800, v0
	v_cmp_gt_u32_e32 vcc, s33, v1
	s_and_saveexec_b64 s[0:1], vcc
	s_cbranch_execz .LBB526_256
; %bb.255:
	s_waitcnt lgkmcnt(0)
	v_add_co_u32_e32 v22, vcc, 0x2000, v6
	s_nop 1
	v_addc_co_u32_e32 v23, vcc, 0, v7, vcc
	flat_store_dword v[22:23], v21
.LBB526_256:
	s_or_b64 exec, exec, s[0:1]
	v_or_b32_e32 v1, 0x900, v0
	v_cmp_gt_u32_e32 vcc, s33, v1
	s_and_saveexec_b64 s[0:1], vcc
	s_cbranch_execz .LBB526_258
; %bb.257:
	s_waitcnt lgkmcnt(0)
	v_add_co_u32_e32 v20, vcc, 0x2000, v6
	s_nop 1
	v_addc_co_u32_e32 v21, vcc, 0, v7, vcc
	flat_store_dword v[20:21], v18 offset:1024
.LBB526_258:
	s_or_b64 exec, exec, s[0:1]
	v_or_b32_e32 v1, 0xa00, v0
	v_cmp_gt_u32_e32 vcc, s33, v1
	s_and_saveexec_b64 s[0:1], vcc
	s_cbranch_execz .LBB526_260
; %bb.259:
	s_waitcnt lgkmcnt(0)
	v_add_co_u32_e32 v20, vcc, 0x2000, v6
	s_nop 1
	v_addc_co_u32_e32 v21, vcc, 0, v7, vcc
	flat_store_dword v[20:21], v19 offset:2048
.LBB526_260:
	s_or_b64 exec, exec, s[0:1]
	v_or_b32_e32 v1, 0xb00, v0
	v_cmp_gt_u32_e32 vcc, s33, v1
	s_and_saveexec_b64 s[0:1], vcc
	s_cbranch_execz .LBB526_262
; %bb.261:
	s_waitcnt lgkmcnt(0)
	v_add_co_u32_e32 v18, vcc, 0x2000, v6
	s_nop 1
	v_addc_co_u32_e32 v19, vcc, 0, v7, vcc
	flat_store_dword v[18:19], v16 offset:3072
.LBB526_262:
	;; [unrolled: 48-line block ×4, first 2 shown]
	s_or_b64 exec, exec, s[0:1]
	v_or_b32_e32 v1, 0x1400, v0
	v_cmp_gt_u32_e32 vcc, s33, v1
	s_and_saveexec_b64 s[0:1], vcc
	s_cbranch_execz .LBB526_280
; %bb.279:
	s_waitcnt lgkmcnt(0)
	v_add_co_u32_e32 v10, vcc, 0x5000, v6
	s_nop 1
	v_addc_co_u32_e32 v11, vcc, 0, v7, vcc
	flat_store_dword v[10:11], v9
.LBB526_280:
	s_or_b64 exec, exec, s[0:1]
	v_or_b32_e32 v1, 0x1500, v0
	v_cmp_gt_u32_e32 vcc, s33, v1
	s_and_saveexec_b64 s[0:1], vcc
	s_cbranch_execz .LBB526_282
; %bb.281:
	v_add_co_u32_e32 v6, vcc, 0x5000, v6
	s_nop 1
	v_addc_co_u32_e32 v7, vcc, 0, v7, vcc
	s_waitcnt lgkmcnt(0)
	flat_store_dword v[6:7], v4 offset:1024
.LBB526_282:
	s_or_b64 exec, exec, s[0:1]
	s_waitcnt lgkmcnt(0)
	v_or_b32_e32 v4, 0x1600, v0
	v_mov_b32_e32 v1, v57
	v_cmp_gt_u32_e64 s[0:1], s33, v4
	s_branch .LBB526_285
.LBB526_283:
	s_mov_b64 s[0:1], 0
                                        ; implicit-def: $vgpr5
	s_cbranch_execz .LBB526_285
; %bb.284:
	v_mul_u32_u24_e32 v1, 0x5c, v0
	s_barrier
	s_movk_i32 s2, 0x5c
	ds_write2_b32 v1, v60, v61 offset1:1
	ds_write2_b32 v1, v62, v63 offset0:2 offset1:3
	ds_write2_b32 v1, v64, v65 offset0:4 offset1:5
	;; [unrolled: 1-line block ×10, first 2 shown]
	ds_write_b32 v1, v82 offset:88
	v_mov_b32_e32 v1, 0
	v_mul_i32_i24_e32 v4, 0xffffffa8, v0
	v_mad_u32_u24 v4, v0, s2, v4
	v_mov_b32_e32 v57, v1
	s_waitcnt lgkmcnt(0)
	s_barrier
	ds_read2st64_b32 v[6:7], v4 offset1:4
	ds_read2st64_b32 v[8:9], v4 offset0:8 offset1:12
	ds_read2st64_b32 v[10:11], v4 offset0:16 offset1:20
	;; [unrolled: 1-line block ×10, first 2 shown]
	ds_read_b32 v5, v4 offset:22528
	v_lshl_add_u64 v[28:29], v[2:3], 0, v[56:57]
	s_movk_i32 s2, 0x1000
	s_waitcnt lgkmcnt(0)
	flat_store_dword v[28:29], v6
	flat_store_dword v[28:29], v7 offset:1024
	flat_store_dword v[28:29], v8 offset:2048
	;; [unrolled: 1-line block ×3, first 2 shown]
	v_add_co_u32_e32 v6, vcc, s2, v28
	s_movk_i32 s2, 0x2000
	s_nop 0
	v_addc_co_u32_e32 v7, vcc, 0, v29, vcc
	flat_store_dword v[6:7], v10
	flat_store_dword v[6:7], v11 offset:1024
	flat_store_dword v[6:7], v12 offset:2048
	;; [unrolled: 1-line block ×3, first 2 shown]
	v_add_co_u32_e32 v6, vcc, s2, v28
	s_movk_i32 s2, 0x3000
	s_nop 0
	v_addc_co_u32_e32 v7, vcc, 0, v29, vcc
	flat_store_dword v[6:7], v14
	flat_store_dword v[6:7], v15 offset:1024
	flat_store_dword v[6:7], v16 offset:2048
	;; [unrolled: 1-line block ×3, first 2 shown]
	v_add_co_u32_e32 v6, vcc, s2, v28
	s_or_b64 s[0:1], s[0:1], exec
	s_nop 0
	v_addc_co_u32_e32 v7, vcc, 0, v29, vcc
	flat_store_dword v[6:7], v18
	flat_store_dword v[6:7], v19 offset:1024
	flat_store_dword v[6:7], v20 offset:2048
	;; [unrolled: 1-line block ×3, first 2 shown]
	v_add_co_u32_e32 v6, vcc, 0x4000, v28
	s_nop 1
	v_addc_co_u32_e32 v7, vcc, 0, v29, vcc
	flat_store_dword v[6:7], v22
	flat_store_dword v[6:7], v23 offset:1024
	flat_store_dword v[6:7], v24 offset:2048
	;; [unrolled: 1-line block ×3, first 2 shown]
	v_add_co_u32_e32 v6, vcc, 0x5000, v28
	s_nop 1
	v_addc_co_u32_e32 v7, vcc, 0, v29, vcc
	flat_store_dword v[6:7], v26
	flat_store_dword v[6:7], v27 offset:1024
.LBB526_285:
	s_and_saveexec_b64 s[2:3], s[0:1]
	s_cbranch_execz .LBB526_287
; %bb.286:
	v_lshl_add_u64 v[0:1], v[0:1], 2, v[2:3]
	v_add_co_u32_e32 v0, vcc, 0x5000, v0
	s_nop 1
	v_addc_co_u32_e32 v1, vcc, 0, v1, vcc
	flat_store_dword v[0:1], v5 offset:2048
	s_endpgm
.LBB526_287:
	s_endpgm
	.section	.rodata,"a",@progbits
	.p2align	6, 0x0
	.amdhsa_kernel _ZN7rocprim17ROCPRIM_400000_NS6detail17trampoline_kernelINS0_14default_configENS1_27scan_by_key_config_selectorIiiEEZZNS1_16scan_by_key_implILNS1_25lookback_scan_determinismE0ELb1ES3_N6thrust23THRUST_200600_302600_NS6detail15normal_iteratorINS9_10device_ptrIiEEEESE_SE_iNS9_10multipliesIiEENS9_8equal_toIiEEiEE10hipError_tPvRmT2_T3_T4_T5_mT6_T7_P12ihipStream_tbENKUlT_T0_E_clISt17integral_constantIbLb0EESY_IbLb1EEEEDaSU_SV_EUlSU_E_NS1_11comp_targetILNS1_3genE5ELNS1_11target_archE942ELNS1_3gpuE9ELNS1_3repE0EEENS1_30default_config_static_selectorELNS0_4arch9wavefront6targetE1EEEvT1_
		.amdhsa_group_segment_fixed_size 25600
		.amdhsa_private_segment_fixed_size 0
		.amdhsa_kernarg_size 112
		.amdhsa_user_sgpr_count 2
		.amdhsa_user_sgpr_dispatch_ptr 0
		.amdhsa_user_sgpr_queue_ptr 0
		.amdhsa_user_sgpr_kernarg_segment_ptr 1
		.amdhsa_user_sgpr_dispatch_id 0
		.amdhsa_user_sgpr_kernarg_preload_length 0
		.amdhsa_user_sgpr_kernarg_preload_offset 0
		.amdhsa_user_sgpr_private_segment_size 0
		.amdhsa_uses_dynamic_stack 0
		.amdhsa_enable_private_segment 0
		.amdhsa_system_sgpr_workgroup_id_x 1
		.amdhsa_system_sgpr_workgroup_id_y 0
		.amdhsa_system_sgpr_workgroup_id_z 0
		.amdhsa_system_sgpr_workgroup_info 0
		.amdhsa_system_vgpr_workitem_id 0
		.amdhsa_next_free_vgpr 83
		.amdhsa_next_free_sgpr 80
		.amdhsa_accum_offset 84
		.amdhsa_reserve_vcc 1
		.amdhsa_float_round_mode_32 0
		.amdhsa_float_round_mode_16_64 0
		.amdhsa_float_denorm_mode_32 3
		.amdhsa_float_denorm_mode_16_64 3
		.amdhsa_dx10_clamp 1
		.amdhsa_ieee_mode 1
		.amdhsa_fp16_overflow 0
		.amdhsa_tg_split 0
		.amdhsa_exception_fp_ieee_invalid_op 0
		.amdhsa_exception_fp_denorm_src 0
		.amdhsa_exception_fp_ieee_div_zero 0
		.amdhsa_exception_fp_ieee_overflow 0
		.amdhsa_exception_fp_ieee_underflow 0
		.amdhsa_exception_fp_ieee_inexact 0
		.amdhsa_exception_int_div_zero 0
	.end_amdhsa_kernel
	.section	.text._ZN7rocprim17ROCPRIM_400000_NS6detail17trampoline_kernelINS0_14default_configENS1_27scan_by_key_config_selectorIiiEEZZNS1_16scan_by_key_implILNS1_25lookback_scan_determinismE0ELb1ES3_N6thrust23THRUST_200600_302600_NS6detail15normal_iteratorINS9_10device_ptrIiEEEESE_SE_iNS9_10multipliesIiEENS9_8equal_toIiEEiEE10hipError_tPvRmT2_T3_T4_T5_mT6_T7_P12ihipStream_tbENKUlT_T0_E_clISt17integral_constantIbLb0EESY_IbLb1EEEEDaSU_SV_EUlSU_E_NS1_11comp_targetILNS1_3genE5ELNS1_11target_archE942ELNS1_3gpuE9ELNS1_3repE0EEENS1_30default_config_static_selectorELNS0_4arch9wavefront6targetE1EEEvT1_,"axG",@progbits,_ZN7rocprim17ROCPRIM_400000_NS6detail17trampoline_kernelINS0_14default_configENS1_27scan_by_key_config_selectorIiiEEZZNS1_16scan_by_key_implILNS1_25lookback_scan_determinismE0ELb1ES3_N6thrust23THRUST_200600_302600_NS6detail15normal_iteratorINS9_10device_ptrIiEEEESE_SE_iNS9_10multipliesIiEENS9_8equal_toIiEEiEE10hipError_tPvRmT2_T3_T4_T5_mT6_T7_P12ihipStream_tbENKUlT_T0_E_clISt17integral_constantIbLb0EESY_IbLb1EEEEDaSU_SV_EUlSU_E_NS1_11comp_targetILNS1_3genE5ELNS1_11target_archE942ELNS1_3gpuE9ELNS1_3repE0EEENS1_30default_config_static_selectorELNS0_4arch9wavefront6targetE1EEEvT1_,comdat
.Lfunc_end526:
	.size	_ZN7rocprim17ROCPRIM_400000_NS6detail17trampoline_kernelINS0_14default_configENS1_27scan_by_key_config_selectorIiiEEZZNS1_16scan_by_key_implILNS1_25lookback_scan_determinismE0ELb1ES3_N6thrust23THRUST_200600_302600_NS6detail15normal_iteratorINS9_10device_ptrIiEEEESE_SE_iNS9_10multipliesIiEENS9_8equal_toIiEEiEE10hipError_tPvRmT2_T3_T4_T5_mT6_T7_P12ihipStream_tbENKUlT_T0_E_clISt17integral_constantIbLb0EESY_IbLb1EEEEDaSU_SV_EUlSU_E_NS1_11comp_targetILNS1_3genE5ELNS1_11target_archE942ELNS1_3gpuE9ELNS1_3repE0EEENS1_30default_config_static_selectorELNS0_4arch9wavefront6targetE1EEEvT1_, .Lfunc_end526-_ZN7rocprim17ROCPRIM_400000_NS6detail17trampoline_kernelINS0_14default_configENS1_27scan_by_key_config_selectorIiiEEZZNS1_16scan_by_key_implILNS1_25lookback_scan_determinismE0ELb1ES3_N6thrust23THRUST_200600_302600_NS6detail15normal_iteratorINS9_10device_ptrIiEEEESE_SE_iNS9_10multipliesIiEENS9_8equal_toIiEEiEE10hipError_tPvRmT2_T3_T4_T5_mT6_T7_P12ihipStream_tbENKUlT_T0_E_clISt17integral_constantIbLb0EESY_IbLb1EEEEDaSU_SV_EUlSU_E_NS1_11comp_targetILNS1_3genE5ELNS1_11target_archE942ELNS1_3gpuE9ELNS1_3repE0EEENS1_30default_config_static_selectorELNS0_4arch9wavefront6targetE1EEEvT1_
                                        ; -- End function
	.section	.AMDGPU.csdata,"",@progbits
; Kernel info:
; codeLenInByte = 16192
; NumSgprs: 86
; NumVgprs: 83
; NumAgprs: 0
; TotalNumVgprs: 83
; ScratchSize: 0
; MemoryBound: 0
; FloatMode: 240
; IeeeMode: 1
; LDSByteSize: 25600 bytes/workgroup (compile time only)
; SGPRBlocks: 10
; VGPRBlocks: 10
; NumSGPRsForWavesPerEU: 86
; NumVGPRsForWavesPerEU: 83
; AccumOffset: 84
; Occupancy: 2
; WaveLimiterHint : 1
; COMPUTE_PGM_RSRC2:SCRATCH_EN: 0
; COMPUTE_PGM_RSRC2:USER_SGPR: 2
; COMPUTE_PGM_RSRC2:TRAP_HANDLER: 0
; COMPUTE_PGM_RSRC2:TGID_X_EN: 1
; COMPUTE_PGM_RSRC2:TGID_Y_EN: 0
; COMPUTE_PGM_RSRC2:TGID_Z_EN: 0
; COMPUTE_PGM_RSRC2:TIDIG_COMP_CNT: 0
; COMPUTE_PGM_RSRC3_GFX90A:ACCUM_OFFSET: 20
; COMPUTE_PGM_RSRC3_GFX90A:TG_SPLIT: 0
	.section	.text._ZN7rocprim17ROCPRIM_400000_NS6detail17trampoline_kernelINS0_14default_configENS1_27scan_by_key_config_selectorIiiEEZZNS1_16scan_by_key_implILNS1_25lookback_scan_determinismE0ELb1ES3_N6thrust23THRUST_200600_302600_NS6detail15normal_iteratorINS9_10device_ptrIiEEEESE_SE_iNS9_10multipliesIiEENS9_8equal_toIiEEiEE10hipError_tPvRmT2_T3_T4_T5_mT6_T7_P12ihipStream_tbENKUlT_T0_E_clISt17integral_constantIbLb0EESY_IbLb1EEEEDaSU_SV_EUlSU_E_NS1_11comp_targetILNS1_3genE4ELNS1_11target_archE910ELNS1_3gpuE8ELNS1_3repE0EEENS1_30default_config_static_selectorELNS0_4arch9wavefront6targetE1EEEvT1_,"axG",@progbits,_ZN7rocprim17ROCPRIM_400000_NS6detail17trampoline_kernelINS0_14default_configENS1_27scan_by_key_config_selectorIiiEEZZNS1_16scan_by_key_implILNS1_25lookback_scan_determinismE0ELb1ES3_N6thrust23THRUST_200600_302600_NS6detail15normal_iteratorINS9_10device_ptrIiEEEESE_SE_iNS9_10multipliesIiEENS9_8equal_toIiEEiEE10hipError_tPvRmT2_T3_T4_T5_mT6_T7_P12ihipStream_tbENKUlT_T0_E_clISt17integral_constantIbLb0EESY_IbLb1EEEEDaSU_SV_EUlSU_E_NS1_11comp_targetILNS1_3genE4ELNS1_11target_archE910ELNS1_3gpuE8ELNS1_3repE0EEENS1_30default_config_static_selectorELNS0_4arch9wavefront6targetE1EEEvT1_,comdat
	.protected	_ZN7rocprim17ROCPRIM_400000_NS6detail17trampoline_kernelINS0_14default_configENS1_27scan_by_key_config_selectorIiiEEZZNS1_16scan_by_key_implILNS1_25lookback_scan_determinismE0ELb1ES3_N6thrust23THRUST_200600_302600_NS6detail15normal_iteratorINS9_10device_ptrIiEEEESE_SE_iNS9_10multipliesIiEENS9_8equal_toIiEEiEE10hipError_tPvRmT2_T3_T4_T5_mT6_T7_P12ihipStream_tbENKUlT_T0_E_clISt17integral_constantIbLb0EESY_IbLb1EEEEDaSU_SV_EUlSU_E_NS1_11comp_targetILNS1_3genE4ELNS1_11target_archE910ELNS1_3gpuE8ELNS1_3repE0EEENS1_30default_config_static_selectorELNS0_4arch9wavefront6targetE1EEEvT1_ ; -- Begin function _ZN7rocprim17ROCPRIM_400000_NS6detail17trampoline_kernelINS0_14default_configENS1_27scan_by_key_config_selectorIiiEEZZNS1_16scan_by_key_implILNS1_25lookback_scan_determinismE0ELb1ES3_N6thrust23THRUST_200600_302600_NS6detail15normal_iteratorINS9_10device_ptrIiEEEESE_SE_iNS9_10multipliesIiEENS9_8equal_toIiEEiEE10hipError_tPvRmT2_T3_T4_T5_mT6_T7_P12ihipStream_tbENKUlT_T0_E_clISt17integral_constantIbLb0EESY_IbLb1EEEEDaSU_SV_EUlSU_E_NS1_11comp_targetILNS1_3genE4ELNS1_11target_archE910ELNS1_3gpuE8ELNS1_3repE0EEENS1_30default_config_static_selectorELNS0_4arch9wavefront6targetE1EEEvT1_
	.globl	_ZN7rocprim17ROCPRIM_400000_NS6detail17trampoline_kernelINS0_14default_configENS1_27scan_by_key_config_selectorIiiEEZZNS1_16scan_by_key_implILNS1_25lookback_scan_determinismE0ELb1ES3_N6thrust23THRUST_200600_302600_NS6detail15normal_iteratorINS9_10device_ptrIiEEEESE_SE_iNS9_10multipliesIiEENS9_8equal_toIiEEiEE10hipError_tPvRmT2_T3_T4_T5_mT6_T7_P12ihipStream_tbENKUlT_T0_E_clISt17integral_constantIbLb0EESY_IbLb1EEEEDaSU_SV_EUlSU_E_NS1_11comp_targetILNS1_3genE4ELNS1_11target_archE910ELNS1_3gpuE8ELNS1_3repE0EEENS1_30default_config_static_selectorELNS0_4arch9wavefront6targetE1EEEvT1_
	.p2align	8
	.type	_ZN7rocprim17ROCPRIM_400000_NS6detail17trampoline_kernelINS0_14default_configENS1_27scan_by_key_config_selectorIiiEEZZNS1_16scan_by_key_implILNS1_25lookback_scan_determinismE0ELb1ES3_N6thrust23THRUST_200600_302600_NS6detail15normal_iteratorINS9_10device_ptrIiEEEESE_SE_iNS9_10multipliesIiEENS9_8equal_toIiEEiEE10hipError_tPvRmT2_T3_T4_T5_mT6_T7_P12ihipStream_tbENKUlT_T0_E_clISt17integral_constantIbLb0EESY_IbLb1EEEEDaSU_SV_EUlSU_E_NS1_11comp_targetILNS1_3genE4ELNS1_11target_archE910ELNS1_3gpuE8ELNS1_3repE0EEENS1_30default_config_static_selectorELNS0_4arch9wavefront6targetE1EEEvT1_,@function
_ZN7rocprim17ROCPRIM_400000_NS6detail17trampoline_kernelINS0_14default_configENS1_27scan_by_key_config_selectorIiiEEZZNS1_16scan_by_key_implILNS1_25lookback_scan_determinismE0ELb1ES3_N6thrust23THRUST_200600_302600_NS6detail15normal_iteratorINS9_10device_ptrIiEEEESE_SE_iNS9_10multipliesIiEENS9_8equal_toIiEEiEE10hipError_tPvRmT2_T3_T4_T5_mT6_T7_P12ihipStream_tbENKUlT_T0_E_clISt17integral_constantIbLb0EESY_IbLb1EEEEDaSU_SV_EUlSU_E_NS1_11comp_targetILNS1_3genE4ELNS1_11target_archE910ELNS1_3gpuE8ELNS1_3repE0EEENS1_30default_config_static_selectorELNS0_4arch9wavefront6targetE1EEEvT1_: ; @_ZN7rocprim17ROCPRIM_400000_NS6detail17trampoline_kernelINS0_14default_configENS1_27scan_by_key_config_selectorIiiEEZZNS1_16scan_by_key_implILNS1_25lookback_scan_determinismE0ELb1ES3_N6thrust23THRUST_200600_302600_NS6detail15normal_iteratorINS9_10device_ptrIiEEEESE_SE_iNS9_10multipliesIiEENS9_8equal_toIiEEiEE10hipError_tPvRmT2_T3_T4_T5_mT6_T7_P12ihipStream_tbENKUlT_T0_E_clISt17integral_constantIbLb0EESY_IbLb1EEEEDaSU_SV_EUlSU_E_NS1_11comp_targetILNS1_3genE4ELNS1_11target_archE910ELNS1_3gpuE8ELNS1_3repE0EEENS1_30default_config_static_selectorELNS0_4arch9wavefront6targetE1EEEvT1_
; %bb.0:
	.section	.rodata,"a",@progbits
	.p2align	6, 0x0
	.amdhsa_kernel _ZN7rocprim17ROCPRIM_400000_NS6detail17trampoline_kernelINS0_14default_configENS1_27scan_by_key_config_selectorIiiEEZZNS1_16scan_by_key_implILNS1_25lookback_scan_determinismE0ELb1ES3_N6thrust23THRUST_200600_302600_NS6detail15normal_iteratorINS9_10device_ptrIiEEEESE_SE_iNS9_10multipliesIiEENS9_8equal_toIiEEiEE10hipError_tPvRmT2_T3_T4_T5_mT6_T7_P12ihipStream_tbENKUlT_T0_E_clISt17integral_constantIbLb0EESY_IbLb1EEEEDaSU_SV_EUlSU_E_NS1_11comp_targetILNS1_3genE4ELNS1_11target_archE910ELNS1_3gpuE8ELNS1_3repE0EEENS1_30default_config_static_selectorELNS0_4arch9wavefront6targetE1EEEvT1_
		.amdhsa_group_segment_fixed_size 0
		.amdhsa_private_segment_fixed_size 0
		.amdhsa_kernarg_size 112
		.amdhsa_user_sgpr_count 2
		.amdhsa_user_sgpr_dispatch_ptr 0
		.amdhsa_user_sgpr_queue_ptr 0
		.amdhsa_user_sgpr_kernarg_segment_ptr 1
		.amdhsa_user_sgpr_dispatch_id 0
		.amdhsa_user_sgpr_kernarg_preload_length 0
		.amdhsa_user_sgpr_kernarg_preload_offset 0
		.amdhsa_user_sgpr_private_segment_size 0
		.amdhsa_uses_dynamic_stack 0
		.amdhsa_enable_private_segment 0
		.amdhsa_system_sgpr_workgroup_id_x 1
		.amdhsa_system_sgpr_workgroup_id_y 0
		.amdhsa_system_sgpr_workgroup_id_z 0
		.amdhsa_system_sgpr_workgroup_info 0
		.amdhsa_system_vgpr_workitem_id 0
		.amdhsa_next_free_vgpr 1
		.amdhsa_next_free_sgpr 0
		.amdhsa_accum_offset 4
		.amdhsa_reserve_vcc 0
		.amdhsa_float_round_mode_32 0
		.amdhsa_float_round_mode_16_64 0
		.amdhsa_float_denorm_mode_32 3
		.amdhsa_float_denorm_mode_16_64 3
		.amdhsa_dx10_clamp 1
		.amdhsa_ieee_mode 1
		.amdhsa_fp16_overflow 0
		.amdhsa_tg_split 0
		.amdhsa_exception_fp_ieee_invalid_op 0
		.amdhsa_exception_fp_denorm_src 0
		.amdhsa_exception_fp_ieee_div_zero 0
		.amdhsa_exception_fp_ieee_overflow 0
		.amdhsa_exception_fp_ieee_underflow 0
		.amdhsa_exception_fp_ieee_inexact 0
		.amdhsa_exception_int_div_zero 0
	.end_amdhsa_kernel
	.section	.text._ZN7rocprim17ROCPRIM_400000_NS6detail17trampoline_kernelINS0_14default_configENS1_27scan_by_key_config_selectorIiiEEZZNS1_16scan_by_key_implILNS1_25lookback_scan_determinismE0ELb1ES3_N6thrust23THRUST_200600_302600_NS6detail15normal_iteratorINS9_10device_ptrIiEEEESE_SE_iNS9_10multipliesIiEENS9_8equal_toIiEEiEE10hipError_tPvRmT2_T3_T4_T5_mT6_T7_P12ihipStream_tbENKUlT_T0_E_clISt17integral_constantIbLb0EESY_IbLb1EEEEDaSU_SV_EUlSU_E_NS1_11comp_targetILNS1_3genE4ELNS1_11target_archE910ELNS1_3gpuE8ELNS1_3repE0EEENS1_30default_config_static_selectorELNS0_4arch9wavefront6targetE1EEEvT1_,"axG",@progbits,_ZN7rocprim17ROCPRIM_400000_NS6detail17trampoline_kernelINS0_14default_configENS1_27scan_by_key_config_selectorIiiEEZZNS1_16scan_by_key_implILNS1_25lookback_scan_determinismE0ELb1ES3_N6thrust23THRUST_200600_302600_NS6detail15normal_iteratorINS9_10device_ptrIiEEEESE_SE_iNS9_10multipliesIiEENS9_8equal_toIiEEiEE10hipError_tPvRmT2_T3_T4_T5_mT6_T7_P12ihipStream_tbENKUlT_T0_E_clISt17integral_constantIbLb0EESY_IbLb1EEEEDaSU_SV_EUlSU_E_NS1_11comp_targetILNS1_3genE4ELNS1_11target_archE910ELNS1_3gpuE8ELNS1_3repE0EEENS1_30default_config_static_selectorELNS0_4arch9wavefront6targetE1EEEvT1_,comdat
.Lfunc_end527:
	.size	_ZN7rocprim17ROCPRIM_400000_NS6detail17trampoline_kernelINS0_14default_configENS1_27scan_by_key_config_selectorIiiEEZZNS1_16scan_by_key_implILNS1_25lookback_scan_determinismE0ELb1ES3_N6thrust23THRUST_200600_302600_NS6detail15normal_iteratorINS9_10device_ptrIiEEEESE_SE_iNS9_10multipliesIiEENS9_8equal_toIiEEiEE10hipError_tPvRmT2_T3_T4_T5_mT6_T7_P12ihipStream_tbENKUlT_T0_E_clISt17integral_constantIbLb0EESY_IbLb1EEEEDaSU_SV_EUlSU_E_NS1_11comp_targetILNS1_3genE4ELNS1_11target_archE910ELNS1_3gpuE8ELNS1_3repE0EEENS1_30default_config_static_selectorELNS0_4arch9wavefront6targetE1EEEvT1_, .Lfunc_end527-_ZN7rocprim17ROCPRIM_400000_NS6detail17trampoline_kernelINS0_14default_configENS1_27scan_by_key_config_selectorIiiEEZZNS1_16scan_by_key_implILNS1_25lookback_scan_determinismE0ELb1ES3_N6thrust23THRUST_200600_302600_NS6detail15normal_iteratorINS9_10device_ptrIiEEEESE_SE_iNS9_10multipliesIiEENS9_8equal_toIiEEiEE10hipError_tPvRmT2_T3_T4_T5_mT6_T7_P12ihipStream_tbENKUlT_T0_E_clISt17integral_constantIbLb0EESY_IbLb1EEEEDaSU_SV_EUlSU_E_NS1_11comp_targetILNS1_3genE4ELNS1_11target_archE910ELNS1_3gpuE8ELNS1_3repE0EEENS1_30default_config_static_selectorELNS0_4arch9wavefront6targetE1EEEvT1_
                                        ; -- End function
	.section	.AMDGPU.csdata,"",@progbits
; Kernel info:
; codeLenInByte = 0
; NumSgprs: 6
; NumVgprs: 0
; NumAgprs: 0
; TotalNumVgprs: 0
; ScratchSize: 0
; MemoryBound: 0
; FloatMode: 240
; IeeeMode: 1
; LDSByteSize: 0 bytes/workgroup (compile time only)
; SGPRBlocks: 0
; VGPRBlocks: 0
; NumSGPRsForWavesPerEU: 6
; NumVGPRsForWavesPerEU: 1
; AccumOffset: 4
; Occupancy: 8
; WaveLimiterHint : 0
; COMPUTE_PGM_RSRC2:SCRATCH_EN: 0
; COMPUTE_PGM_RSRC2:USER_SGPR: 2
; COMPUTE_PGM_RSRC2:TRAP_HANDLER: 0
; COMPUTE_PGM_RSRC2:TGID_X_EN: 1
; COMPUTE_PGM_RSRC2:TGID_Y_EN: 0
; COMPUTE_PGM_RSRC2:TGID_Z_EN: 0
; COMPUTE_PGM_RSRC2:TIDIG_COMP_CNT: 0
; COMPUTE_PGM_RSRC3_GFX90A:ACCUM_OFFSET: 0
; COMPUTE_PGM_RSRC3_GFX90A:TG_SPLIT: 0
	.section	.text._ZN7rocprim17ROCPRIM_400000_NS6detail17trampoline_kernelINS0_14default_configENS1_27scan_by_key_config_selectorIiiEEZZNS1_16scan_by_key_implILNS1_25lookback_scan_determinismE0ELb1ES3_N6thrust23THRUST_200600_302600_NS6detail15normal_iteratorINS9_10device_ptrIiEEEESE_SE_iNS9_10multipliesIiEENS9_8equal_toIiEEiEE10hipError_tPvRmT2_T3_T4_T5_mT6_T7_P12ihipStream_tbENKUlT_T0_E_clISt17integral_constantIbLb0EESY_IbLb1EEEEDaSU_SV_EUlSU_E_NS1_11comp_targetILNS1_3genE3ELNS1_11target_archE908ELNS1_3gpuE7ELNS1_3repE0EEENS1_30default_config_static_selectorELNS0_4arch9wavefront6targetE1EEEvT1_,"axG",@progbits,_ZN7rocprim17ROCPRIM_400000_NS6detail17trampoline_kernelINS0_14default_configENS1_27scan_by_key_config_selectorIiiEEZZNS1_16scan_by_key_implILNS1_25lookback_scan_determinismE0ELb1ES3_N6thrust23THRUST_200600_302600_NS6detail15normal_iteratorINS9_10device_ptrIiEEEESE_SE_iNS9_10multipliesIiEENS9_8equal_toIiEEiEE10hipError_tPvRmT2_T3_T4_T5_mT6_T7_P12ihipStream_tbENKUlT_T0_E_clISt17integral_constantIbLb0EESY_IbLb1EEEEDaSU_SV_EUlSU_E_NS1_11comp_targetILNS1_3genE3ELNS1_11target_archE908ELNS1_3gpuE7ELNS1_3repE0EEENS1_30default_config_static_selectorELNS0_4arch9wavefront6targetE1EEEvT1_,comdat
	.protected	_ZN7rocprim17ROCPRIM_400000_NS6detail17trampoline_kernelINS0_14default_configENS1_27scan_by_key_config_selectorIiiEEZZNS1_16scan_by_key_implILNS1_25lookback_scan_determinismE0ELb1ES3_N6thrust23THRUST_200600_302600_NS6detail15normal_iteratorINS9_10device_ptrIiEEEESE_SE_iNS9_10multipliesIiEENS9_8equal_toIiEEiEE10hipError_tPvRmT2_T3_T4_T5_mT6_T7_P12ihipStream_tbENKUlT_T0_E_clISt17integral_constantIbLb0EESY_IbLb1EEEEDaSU_SV_EUlSU_E_NS1_11comp_targetILNS1_3genE3ELNS1_11target_archE908ELNS1_3gpuE7ELNS1_3repE0EEENS1_30default_config_static_selectorELNS0_4arch9wavefront6targetE1EEEvT1_ ; -- Begin function _ZN7rocprim17ROCPRIM_400000_NS6detail17trampoline_kernelINS0_14default_configENS1_27scan_by_key_config_selectorIiiEEZZNS1_16scan_by_key_implILNS1_25lookback_scan_determinismE0ELb1ES3_N6thrust23THRUST_200600_302600_NS6detail15normal_iteratorINS9_10device_ptrIiEEEESE_SE_iNS9_10multipliesIiEENS9_8equal_toIiEEiEE10hipError_tPvRmT2_T3_T4_T5_mT6_T7_P12ihipStream_tbENKUlT_T0_E_clISt17integral_constantIbLb0EESY_IbLb1EEEEDaSU_SV_EUlSU_E_NS1_11comp_targetILNS1_3genE3ELNS1_11target_archE908ELNS1_3gpuE7ELNS1_3repE0EEENS1_30default_config_static_selectorELNS0_4arch9wavefront6targetE1EEEvT1_
	.globl	_ZN7rocprim17ROCPRIM_400000_NS6detail17trampoline_kernelINS0_14default_configENS1_27scan_by_key_config_selectorIiiEEZZNS1_16scan_by_key_implILNS1_25lookback_scan_determinismE0ELb1ES3_N6thrust23THRUST_200600_302600_NS6detail15normal_iteratorINS9_10device_ptrIiEEEESE_SE_iNS9_10multipliesIiEENS9_8equal_toIiEEiEE10hipError_tPvRmT2_T3_T4_T5_mT6_T7_P12ihipStream_tbENKUlT_T0_E_clISt17integral_constantIbLb0EESY_IbLb1EEEEDaSU_SV_EUlSU_E_NS1_11comp_targetILNS1_3genE3ELNS1_11target_archE908ELNS1_3gpuE7ELNS1_3repE0EEENS1_30default_config_static_selectorELNS0_4arch9wavefront6targetE1EEEvT1_
	.p2align	8
	.type	_ZN7rocprim17ROCPRIM_400000_NS6detail17trampoline_kernelINS0_14default_configENS1_27scan_by_key_config_selectorIiiEEZZNS1_16scan_by_key_implILNS1_25lookback_scan_determinismE0ELb1ES3_N6thrust23THRUST_200600_302600_NS6detail15normal_iteratorINS9_10device_ptrIiEEEESE_SE_iNS9_10multipliesIiEENS9_8equal_toIiEEiEE10hipError_tPvRmT2_T3_T4_T5_mT6_T7_P12ihipStream_tbENKUlT_T0_E_clISt17integral_constantIbLb0EESY_IbLb1EEEEDaSU_SV_EUlSU_E_NS1_11comp_targetILNS1_3genE3ELNS1_11target_archE908ELNS1_3gpuE7ELNS1_3repE0EEENS1_30default_config_static_selectorELNS0_4arch9wavefront6targetE1EEEvT1_,@function
_ZN7rocprim17ROCPRIM_400000_NS6detail17trampoline_kernelINS0_14default_configENS1_27scan_by_key_config_selectorIiiEEZZNS1_16scan_by_key_implILNS1_25lookback_scan_determinismE0ELb1ES3_N6thrust23THRUST_200600_302600_NS6detail15normal_iteratorINS9_10device_ptrIiEEEESE_SE_iNS9_10multipliesIiEENS9_8equal_toIiEEiEE10hipError_tPvRmT2_T3_T4_T5_mT6_T7_P12ihipStream_tbENKUlT_T0_E_clISt17integral_constantIbLb0EESY_IbLb1EEEEDaSU_SV_EUlSU_E_NS1_11comp_targetILNS1_3genE3ELNS1_11target_archE908ELNS1_3gpuE7ELNS1_3repE0EEENS1_30default_config_static_selectorELNS0_4arch9wavefront6targetE1EEEvT1_: ; @_ZN7rocprim17ROCPRIM_400000_NS6detail17trampoline_kernelINS0_14default_configENS1_27scan_by_key_config_selectorIiiEEZZNS1_16scan_by_key_implILNS1_25lookback_scan_determinismE0ELb1ES3_N6thrust23THRUST_200600_302600_NS6detail15normal_iteratorINS9_10device_ptrIiEEEESE_SE_iNS9_10multipliesIiEENS9_8equal_toIiEEiEE10hipError_tPvRmT2_T3_T4_T5_mT6_T7_P12ihipStream_tbENKUlT_T0_E_clISt17integral_constantIbLb0EESY_IbLb1EEEEDaSU_SV_EUlSU_E_NS1_11comp_targetILNS1_3genE3ELNS1_11target_archE908ELNS1_3gpuE7ELNS1_3repE0EEENS1_30default_config_static_selectorELNS0_4arch9wavefront6targetE1EEEvT1_
; %bb.0:
	.section	.rodata,"a",@progbits
	.p2align	6, 0x0
	.amdhsa_kernel _ZN7rocprim17ROCPRIM_400000_NS6detail17trampoline_kernelINS0_14default_configENS1_27scan_by_key_config_selectorIiiEEZZNS1_16scan_by_key_implILNS1_25lookback_scan_determinismE0ELb1ES3_N6thrust23THRUST_200600_302600_NS6detail15normal_iteratorINS9_10device_ptrIiEEEESE_SE_iNS9_10multipliesIiEENS9_8equal_toIiEEiEE10hipError_tPvRmT2_T3_T4_T5_mT6_T7_P12ihipStream_tbENKUlT_T0_E_clISt17integral_constantIbLb0EESY_IbLb1EEEEDaSU_SV_EUlSU_E_NS1_11comp_targetILNS1_3genE3ELNS1_11target_archE908ELNS1_3gpuE7ELNS1_3repE0EEENS1_30default_config_static_selectorELNS0_4arch9wavefront6targetE1EEEvT1_
		.amdhsa_group_segment_fixed_size 0
		.amdhsa_private_segment_fixed_size 0
		.amdhsa_kernarg_size 112
		.amdhsa_user_sgpr_count 2
		.amdhsa_user_sgpr_dispatch_ptr 0
		.amdhsa_user_sgpr_queue_ptr 0
		.amdhsa_user_sgpr_kernarg_segment_ptr 1
		.amdhsa_user_sgpr_dispatch_id 0
		.amdhsa_user_sgpr_kernarg_preload_length 0
		.amdhsa_user_sgpr_kernarg_preload_offset 0
		.amdhsa_user_sgpr_private_segment_size 0
		.amdhsa_uses_dynamic_stack 0
		.amdhsa_enable_private_segment 0
		.amdhsa_system_sgpr_workgroup_id_x 1
		.amdhsa_system_sgpr_workgroup_id_y 0
		.amdhsa_system_sgpr_workgroup_id_z 0
		.amdhsa_system_sgpr_workgroup_info 0
		.amdhsa_system_vgpr_workitem_id 0
		.amdhsa_next_free_vgpr 1
		.amdhsa_next_free_sgpr 0
		.amdhsa_accum_offset 4
		.amdhsa_reserve_vcc 0
		.amdhsa_float_round_mode_32 0
		.amdhsa_float_round_mode_16_64 0
		.amdhsa_float_denorm_mode_32 3
		.amdhsa_float_denorm_mode_16_64 3
		.amdhsa_dx10_clamp 1
		.amdhsa_ieee_mode 1
		.amdhsa_fp16_overflow 0
		.amdhsa_tg_split 0
		.amdhsa_exception_fp_ieee_invalid_op 0
		.amdhsa_exception_fp_denorm_src 0
		.amdhsa_exception_fp_ieee_div_zero 0
		.amdhsa_exception_fp_ieee_overflow 0
		.amdhsa_exception_fp_ieee_underflow 0
		.amdhsa_exception_fp_ieee_inexact 0
		.amdhsa_exception_int_div_zero 0
	.end_amdhsa_kernel
	.section	.text._ZN7rocprim17ROCPRIM_400000_NS6detail17trampoline_kernelINS0_14default_configENS1_27scan_by_key_config_selectorIiiEEZZNS1_16scan_by_key_implILNS1_25lookback_scan_determinismE0ELb1ES3_N6thrust23THRUST_200600_302600_NS6detail15normal_iteratorINS9_10device_ptrIiEEEESE_SE_iNS9_10multipliesIiEENS9_8equal_toIiEEiEE10hipError_tPvRmT2_T3_T4_T5_mT6_T7_P12ihipStream_tbENKUlT_T0_E_clISt17integral_constantIbLb0EESY_IbLb1EEEEDaSU_SV_EUlSU_E_NS1_11comp_targetILNS1_3genE3ELNS1_11target_archE908ELNS1_3gpuE7ELNS1_3repE0EEENS1_30default_config_static_selectorELNS0_4arch9wavefront6targetE1EEEvT1_,"axG",@progbits,_ZN7rocprim17ROCPRIM_400000_NS6detail17trampoline_kernelINS0_14default_configENS1_27scan_by_key_config_selectorIiiEEZZNS1_16scan_by_key_implILNS1_25lookback_scan_determinismE0ELb1ES3_N6thrust23THRUST_200600_302600_NS6detail15normal_iteratorINS9_10device_ptrIiEEEESE_SE_iNS9_10multipliesIiEENS9_8equal_toIiEEiEE10hipError_tPvRmT2_T3_T4_T5_mT6_T7_P12ihipStream_tbENKUlT_T0_E_clISt17integral_constantIbLb0EESY_IbLb1EEEEDaSU_SV_EUlSU_E_NS1_11comp_targetILNS1_3genE3ELNS1_11target_archE908ELNS1_3gpuE7ELNS1_3repE0EEENS1_30default_config_static_selectorELNS0_4arch9wavefront6targetE1EEEvT1_,comdat
.Lfunc_end528:
	.size	_ZN7rocprim17ROCPRIM_400000_NS6detail17trampoline_kernelINS0_14default_configENS1_27scan_by_key_config_selectorIiiEEZZNS1_16scan_by_key_implILNS1_25lookback_scan_determinismE0ELb1ES3_N6thrust23THRUST_200600_302600_NS6detail15normal_iteratorINS9_10device_ptrIiEEEESE_SE_iNS9_10multipliesIiEENS9_8equal_toIiEEiEE10hipError_tPvRmT2_T3_T4_T5_mT6_T7_P12ihipStream_tbENKUlT_T0_E_clISt17integral_constantIbLb0EESY_IbLb1EEEEDaSU_SV_EUlSU_E_NS1_11comp_targetILNS1_3genE3ELNS1_11target_archE908ELNS1_3gpuE7ELNS1_3repE0EEENS1_30default_config_static_selectorELNS0_4arch9wavefront6targetE1EEEvT1_, .Lfunc_end528-_ZN7rocprim17ROCPRIM_400000_NS6detail17trampoline_kernelINS0_14default_configENS1_27scan_by_key_config_selectorIiiEEZZNS1_16scan_by_key_implILNS1_25lookback_scan_determinismE0ELb1ES3_N6thrust23THRUST_200600_302600_NS6detail15normal_iteratorINS9_10device_ptrIiEEEESE_SE_iNS9_10multipliesIiEENS9_8equal_toIiEEiEE10hipError_tPvRmT2_T3_T4_T5_mT6_T7_P12ihipStream_tbENKUlT_T0_E_clISt17integral_constantIbLb0EESY_IbLb1EEEEDaSU_SV_EUlSU_E_NS1_11comp_targetILNS1_3genE3ELNS1_11target_archE908ELNS1_3gpuE7ELNS1_3repE0EEENS1_30default_config_static_selectorELNS0_4arch9wavefront6targetE1EEEvT1_
                                        ; -- End function
	.section	.AMDGPU.csdata,"",@progbits
; Kernel info:
; codeLenInByte = 0
; NumSgprs: 6
; NumVgprs: 0
; NumAgprs: 0
; TotalNumVgprs: 0
; ScratchSize: 0
; MemoryBound: 0
; FloatMode: 240
; IeeeMode: 1
; LDSByteSize: 0 bytes/workgroup (compile time only)
; SGPRBlocks: 0
; VGPRBlocks: 0
; NumSGPRsForWavesPerEU: 6
; NumVGPRsForWavesPerEU: 1
; AccumOffset: 4
; Occupancy: 8
; WaveLimiterHint : 0
; COMPUTE_PGM_RSRC2:SCRATCH_EN: 0
; COMPUTE_PGM_RSRC2:USER_SGPR: 2
; COMPUTE_PGM_RSRC2:TRAP_HANDLER: 0
; COMPUTE_PGM_RSRC2:TGID_X_EN: 1
; COMPUTE_PGM_RSRC2:TGID_Y_EN: 0
; COMPUTE_PGM_RSRC2:TGID_Z_EN: 0
; COMPUTE_PGM_RSRC2:TIDIG_COMP_CNT: 0
; COMPUTE_PGM_RSRC3_GFX90A:ACCUM_OFFSET: 0
; COMPUTE_PGM_RSRC3_GFX90A:TG_SPLIT: 0
	.section	.text._ZN7rocprim17ROCPRIM_400000_NS6detail17trampoline_kernelINS0_14default_configENS1_27scan_by_key_config_selectorIiiEEZZNS1_16scan_by_key_implILNS1_25lookback_scan_determinismE0ELb1ES3_N6thrust23THRUST_200600_302600_NS6detail15normal_iteratorINS9_10device_ptrIiEEEESE_SE_iNS9_10multipliesIiEENS9_8equal_toIiEEiEE10hipError_tPvRmT2_T3_T4_T5_mT6_T7_P12ihipStream_tbENKUlT_T0_E_clISt17integral_constantIbLb0EESY_IbLb1EEEEDaSU_SV_EUlSU_E_NS1_11comp_targetILNS1_3genE2ELNS1_11target_archE906ELNS1_3gpuE6ELNS1_3repE0EEENS1_30default_config_static_selectorELNS0_4arch9wavefront6targetE1EEEvT1_,"axG",@progbits,_ZN7rocprim17ROCPRIM_400000_NS6detail17trampoline_kernelINS0_14default_configENS1_27scan_by_key_config_selectorIiiEEZZNS1_16scan_by_key_implILNS1_25lookback_scan_determinismE0ELb1ES3_N6thrust23THRUST_200600_302600_NS6detail15normal_iteratorINS9_10device_ptrIiEEEESE_SE_iNS9_10multipliesIiEENS9_8equal_toIiEEiEE10hipError_tPvRmT2_T3_T4_T5_mT6_T7_P12ihipStream_tbENKUlT_T0_E_clISt17integral_constantIbLb0EESY_IbLb1EEEEDaSU_SV_EUlSU_E_NS1_11comp_targetILNS1_3genE2ELNS1_11target_archE906ELNS1_3gpuE6ELNS1_3repE0EEENS1_30default_config_static_selectorELNS0_4arch9wavefront6targetE1EEEvT1_,comdat
	.protected	_ZN7rocprim17ROCPRIM_400000_NS6detail17trampoline_kernelINS0_14default_configENS1_27scan_by_key_config_selectorIiiEEZZNS1_16scan_by_key_implILNS1_25lookback_scan_determinismE0ELb1ES3_N6thrust23THRUST_200600_302600_NS6detail15normal_iteratorINS9_10device_ptrIiEEEESE_SE_iNS9_10multipliesIiEENS9_8equal_toIiEEiEE10hipError_tPvRmT2_T3_T4_T5_mT6_T7_P12ihipStream_tbENKUlT_T0_E_clISt17integral_constantIbLb0EESY_IbLb1EEEEDaSU_SV_EUlSU_E_NS1_11comp_targetILNS1_3genE2ELNS1_11target_archE906ELNS1_3gpuE6ELNS1_3repE0EEENS1_30default_config_static_selectorELNS0_4arch9wavefront6targetE1EEEvT1_ ; -- Begin function _ZN7rocprim17ROCPRIM_400000_NS6detail17trampoline_kernelINS0_14default_configENS1_27scan_by_key_config_selectorIiiEEZZNS1_16scan_by_key_implILNS1_25lookback_scan_determinismE0ELb1ES3_N6thrust23THRUST_200600_302600_NS6detail15normal_iteratorINS9_10device_ptrIiEEEESE_SE_iNS9_10multipliesIiEENS9_8equal_toIiEEiEE10hipError_tPvRmT2_T3_T4_T5_mT6_T7_P12ihipStream_tbENKUlT_T0_E_clISt17integral_constantIbLb0EESY_IbLb1EEEEDaSU_SV_EUlSU_E_NS1_11comp_targetILNS1_3genE2ELNS1_11target_archE906ELNS1_3gpuE6ELNS1_3repE0EEENS1_30default_config_static_selectorELNS0_4arch9wavefront6targetE1EEEvT1_
	.globl	_ZN7rocprim17ROCPRIM_400000_NS6detail17trampoline_kernelINS0_14default_configENS1_27scan_by_key_config_selectorIiiEEZZNS1_16scan_by_key_implILNS1_25lookback_scan_determinismE0ELb1ES3_N6thrust23THRUST_200600_302600_NS6detail15normal_iteratorINS9_10device_ptrIiEEEESE_SE_iNS9_10multipliesIiEENS9_8equal_toIiEEiEE10hipError_tPvRmT2_T3_T4_T5_mT6_T7_P12ihipStream_tbENKUlT_T0_E_clISt17integral_constantIbLb0EESY_IbLb1EEEEDaSU_SV_EUlSU_E_NS1_11comp_targetILNS1_3genE2ELNS1_11target_archE906ELNS1_3gpuE6ELNS1_3repE0EEENS1_30default_config_static_selectorELNS0_4arch9wavefront6targetE1EEEvT1_
	.p2align	8
	.type	_ZN7rocprim17ROCPRIM_400000_NS6detail17trampoline_kernelINS0_14default_configENS1_27scan_by_key_config_selectorIiiEEZZNS1_16scan_by_key_implILNS1_25lookback_scan_determinismE0ELb1ES3_N6thrust23THRUST_200600_302600_NS6detail15normal_iteratorINS9_10device_ptrIiEEEESE_SE_iNS9_10multipliesIiEENS9_8equal_toIiEEiEE10hipError_tPvRmT2_T3_T4_T5_mT6_T7_P12ihipStream_tbENKUlT_T0_E_clISt17integral_constantIbLb0EESY_IbLb1EEEEDaSU_SV_EUlSU_E_NS1_11comp_targetILNS1_3genE2ELNS1_11target_archE906ELNS1_3gpuE6ELNS1_3repE0EEENS1_30default_config_static_selectorELNS0_4arch9wavefront6targetE1EEEvT1_,@function
_ZN7rocprim17ROCPRIM_400000_NS6detail17trampoline_kernelINS0_14default_configENS1_27scan_by_key_config_selectorIiiEEZZNS1_16scan_by_key_implILNS1_25lookback_scan_determinismE0ELb1ES3_N6thrust23THRUST_200600_302600_NS6detail15normal_iteratorINS9_10device_ptrIiEEEESE_SE_iNS9_10multipliesIiEENS9_8equal_toIiEEiEE10hipError_tPvRmT2_T3_T4_T5_mT6_T7_P12ihipStream_tbENKUlT_T0_E_clISt17integral_constantIbLb0EESY_IbLb1EEEEDaSU_SV_EUlSU_E_NS1_11comp_targetILNS1_3genE2ELNS1_11target_archE906ELNS1_3gpuE6ELNS1_3repE0EEENS1_30default_config_static_selectorELNS0_4arch9wavefront6targetE1EEEvT1_: ; @_ZN7rocprim17ROCPRIM_400000_NS6detail17trampoline_kernelINS0_14default_configENS1_27scan_by_key_config_selectorIiiEEZZNS1_16scan_by_key_implILNS1_25lookback_scan_determinismE0ELb1ES3_N6thrust23THRUST_200600_302600_NS6detail15normal_iteratorINS9_10device_ptrIiEEEESE_SE_iNS9_10multipliesIiEENS9_8equal_toIiEEiEE10hipError_tPvRmT2_T3_T4_T5_mT6_T7_P12ihipStream_tbENKUlT_T0_E_clISt17integral_constantIbLb0EESY_IbLb1EEEEDaSU_SV_EUlSU_E_NS1_11comp_targetILNS1_3genE2ELNS1_11target_archE906ELNS1_3gpuE6ELNS1_3repE0EEENS1_30default_config_static_selectorELNS0_4arch9wavefront6targetE1EEEvT1_
; %bb.0:
	.section	.rodata,"a",@progbits
	.p2align	6, 0x0
	.amdhsa_kernel _ZN7rocprim17ROCPRIM_400000_NS6detail17trampoline_kernelINS0_14default_configENS1_27scan_by_key_config_selectorIiiEEZZNS1_16scan_by_key_implILNS1_25lookback_scan_determinismE0ELb1ES3_N6thrust23THRUST_200600_302600_NS6detail15normal_iteratorINS9_10device_ptrIiEEEESE_SE_iNS9_10multipliesIiEENS9_8equal_toIiEEiEE10hipError_tPvRmT2_T3_T4_T5_mT6_T7_P12ihipStream_tbENKUlT_T0_E_clISt17integral_constantIbLb0EESY_IbLb1EEEEDaSU_SV_EUlSU_E_NS1_11comp_targetILNS1_3genE2ELNS1_11target_archE906ELNS1_3gpuE6ELNS1_3repE0EEENS1_30default_config_static_selectorELNS0_4arch9wavefront6targetE1EEEvT1_
		.amdhsa_group_segment_fixed_size 0
		.amdhsa_private_segment_fixed_size 0
		.amdhsa_kernarg_size 112
		.amdhsa_user_sgpr_count 2
		.amdhsa_user_sgpr_dispatch_ptr 0
		.amdhsa_user_sgpr_queue_ptr 0
		.amdhsa_user_sgpr_kernarg_segment_ptr 1
		.amdhsa_user_sgpr_dispatch_id 0
		.amdhsa_user_sgpr_kernarg_preload_length 0
		.amdhsa_user_sgpr_kernarg_preload_offset 0
		.amdhsa_user_sgpr_private_segment_size 0
		.amdhsa_uses_dynamic_stack 0
		.amdhsa_enable_private_segment 0
		.amdhsa_system_sgpr_workgroup_id_x 1
		.amdhsa_system_sgpr_workgroup_id_y 0
		.amdhsa_system_sgpr_workgroup_id_z 0
		.amdhsa_system_sgpr_workgroup_info 0
		.amdhsa_system_vgpr_workitem_id 0
		.amdhsa_next_free_vgpr 1
		.amdhsa_next_free_sgpr 0
		.amdhsa_accum_offset 4
		.amdhsa_reserve_vcc 0
		.amdhsa_float_round_mode_32 0
		.amdhsa_float_round_mode_16_64 0
		.amdhsa_float_denorm_mode_32 3
		.amdhsa_float_denorm_mode_16_64 3
		.amdhsa_dx10_clamp 1
		.amdhsa_ieee_mode 1
		.amdhsa_fp16_overflow 0
		.amdhsa_tg_split 0
		.amdhsa_exception_fp_ieee_invalid_op 0
		.amdhsa_exception_fp_denorm_src 0
		.amdhsa_exception_fp_ieee_div_zero 0
		.amdhsa_exception_fp_ieee_overflow 0
		.amdhsa_exception_fp_ieee_underflow 0
		.amdhsa_exception_fp_ieee_inexact 0
		.amdhsa_exception_int_div_zero 0
	.end_amdhsa_kernel
	.section	.text._ZN7rocprim17ROCPRIM_400000_NS6detail17trampoline_kernelINS0_14default_configENS1_27scan_by_key_config_selectorIiiEEZZNS1_16scan_by_key_implILNS1_25lookback_scan_determinismE0ELb1ES3_N6thrust23THRUST_200600_302600_NS6detail15normal_iteratorINS9_10device_ptrIiEEEESE_SE_iNS9_10multipliesIiEENS9_8equal_toIiEEiEE10hipError_tPvRmT2_T3_T4_T5_mT6_T7_P12ihipStream_tbENKUlT_T0_E_clISt17integral_constantIbLb0EESY_IbLb1EEEEDaSU_SV_EUlSU_E_NS1_11comp_targetILNS1_3genE2ELNS1_11target_archE906ELNS1_3gpuE6ELNS1_3repE0EEENS1_30default_config_static_selectorELNS0_4arch9wavefront6targetE1EEEvT1_,"axG",@progbits,_ZN7rocprim17ROCPRIM_400000_NS6detail17trampoline_kernelINS0_14default_configENS1_27scan_by_key_config_selectorIiiEEZZNS1_16scan_by_key_implILNS1_25lookback_scan_determinismE0ELb1ES3_N6thrust23THRUST_200600_302600_NS6detail15normal_iteratorINS9_10device_ptrIiEEEESE_SE_iNS9_10multipliesIiEENS9_8equal_toIiEEiEE10hipError_tPvRmT2_T3_T4_T5_mT6_T7_P12ihipStream_tbENKUlT_T0_E_clISt17integral_constantIbLb0EESY_IbLb1EEEEDaSU_SV_EUlSU_E_NS1_11comp_targetILNS1_3genE2ELNS1_11target_archE906ELNS1_3gpuE6ELNS1_3repE0EEENS1_30default_config_static_selectorELNS0_4arch9wavefront6targetE1EEEvT1_,comdat
.Lfunc_end529:
	.size	_ZN7rocprim17ROCPRIM_400000_NS6detail17trampoline_kernelINS0_14default_configENS1_27scan_by_key_config_selectorIiiEEZZNS1_16scan_by_key_implILNS1_25lookback_scan_determinismE0ELb1ES3_N6thrust23THRUST_200600_302600_NS6detail15normal_iteratorINS9_10device_ptrIiEEEESE_SE_iNS9_10multipliesIiEENS9_8equal_toIiEEiEE10hipError_tPvRmT2_T3_T4_T5_mT6_T7_P12ihipStream_tbENKUlT_T0_E_clISt17integral_constantIbLb0EESY_IbLb1EEEEDaSU_SV_EUlSU_E_NS1_11comp_targetILNS1_3genE2ELNS1_11target_archE906ELNS1_3gpuE6ELNS1_3repE0EEENS1_30default_config_static_selectorELNS0_4arch9wavefront6targetE1EEEvT1_, .Lfunc_end529-_ZN7rocprim17ROCPRIM_400000_NS6detail17trampoline_kernelINS0_14default_configENS1_27scan_by_key_config_selectorIiiEEZZNS1_16scan_by_key_implILNS1_25lookback_scan_determinismE0ELb1ES3_N6thrust23THRUST_200600_302600_NS6detail15normal_iteratorINS9_10device_ptrIiEEEESE_SE_iNS9_10multipliesIiEENS9_8equal_toIiEEiEE10hipError_tPvRmT2_T3_T4_T5_mT6_T7_P12ihipStream_tbENKUlT_T0_E_clISt17integral_constantIbLb0EESY_IbLb1EEEEDaSU_SV_EUlSU_E_NS1_11comp_targetILNS1_3genE2ELNS1_11target_archE906ELNS1_3gpuE6ELNS1_3repE0EEENS1_30default_config_static_selectorELNS0_4arch9wavefront6targetE1EEEvT1_
                                        ; -- End function
	.section	.AMDGPU.csdata,"",@progbits
; Kernel info:
; codeLenInByte = 0
; NumSgprs: 6
; NumVgprs: 0
; NumAgprs: 0
; TotalNumVgprs: 0
; ScratchSize: 0
; MemoryBound: 0
; FloatMode: 240
; IeeeMode: 1
; LDSByteSize: 0 bytes/workgroup (compile time only)
; SGPRBlocks: 0
; VGPRBlocks: 0
; NumSGPRsForWavesPerEU: 6
; NumVGPRsForWavesPerEU: 1
; AccumOffset: 4
; Occupancy: 8
; WaveLimiterHint : 0
; COMPUTE_PGM_RSRC2:SCRATCH_EN: 0
; COMPUTE_PGM_RSRC2:USER_SGPR: 2
; COMPUTE_PGM_RSRC2:TRAP_HANDLER: 0
; COMPUTE_PGM_RSRC2:TGID_X_EN: 1
; COMPUTE_PGM_RSRC2:TGID_Y_EN: 0
; COMPUTE_PGM_RSRC2:TGID_Z_EN: 0
; COMPUTE_PGM_RSRC2:TIDIG_COMP_CNT: 0
; COMPUTE_PGM_RSRC3_GFX90A:ACCUM_OFFSET: 0
; COMPUTE_PGM_RSRC3_GFX90A:TG_SPLIT: 0
	.section	.text._ZN7rocprim17ROCPRIM_400000_NS6detail17trampoline_kernelINS0_14default_configENS1_27scan_by_key_config_selectorIiiEEZZNS1_16scan_by_key_implILNS1_25lookback_scan_determinismE0ELb1ES3_N6thrust23THRUST_200600_302600_NS6detail15normal_iteratorINS9_10device_ptrIiEEEESE_SE_iNS9_10multipliesIiEENS9_8equal_toIiEEiEE10hipError_tPvRmT2_T3_T4_T5_mT6_T7_P12ihipStream_tbENKUlT_T0_E_clISt17integral_constantIbLb0EESY_IbLb1EEEEDaSU_SV_EUlSU_E_NS1_11comp_targetILNS1_3genE10ELNS1_11target_archE1200ELNS1_3gpuE4ELNS1_3repE0EEENS1_30default_config_static_selectorELNS0_4arch9wavefront6targetE1EEEvT1_,"axG",@progbits,_ZN7rocprim17ROCPRIM_400000_NS6detail17trampoline_kernelINS0_14default_configENS1_27scan_by_key_config_selectorIiiEEZZNS1_16scan_by_key_implILNS1_25lookback_scan_determinismE0ELb1ES3_N6thrust23THRUST_200600_302600_NS6detail15normal_iteratorINS9_10device_ptrIiEEEESE_SE_iNS9_10multipliesIiEENS9_8equal_toIiEEiEE10hipError_tPvRmT2_T3_T4_T5_mT6_T7_P12ihipStream_tbENKUlT_T0_E_clISt17integral_constantIbLb0EESY_IbLb1EEEEDaSU_SV_EUlSU_E_NS1_11comp_targetILNS1_3genE10ELNS1_11target_archE1200ELNS1_3gpuE4ELNS1_3repE0EEENS1_30default_config_static_selectorELNS0_4arch9wavefront6targetE1EEEvT1_,comdat
	.protected	_ZN7rocprim17ROCPRIM_400000_NS6detail17trampoline_kernelINS0_14default_configENS1_27scan_by_key_config_selectorIiiEEZZNS1_16scan_by_key_implILNS1_25lookback_scan_determinismE0ELb1ES3_N6thrust23THRUST_200600_302600_NS6detail15normal_iteratorINS9_10device_ptrIiEEEESE_SE_iNS9_10multipliesIiEENS9_8equal_toIiEEiEE10hipError_tPvRmT2_T3_T4_T5_mT6_T7_P12ihipStream_tbENKUlT_T0_E_clISt17integral_constantIbLb0EESY_IbLb1EEEEDaSU_SV_EUlSU_E_NS1_11comp_targetILNS1_3genE10ELNS1_11target_archE1200ELNS1_3gpuE4ELNS1_3repE0EEENS1_30default_config_static_selectorELNS0_4arch9wavefront6targetE1EEEvT1_ ; -- Begin function _ZN7rocprim17ROCPRIM_400000_NS6detail17trampoline_kernelINS0_14default_configENS1_27scan_by_key_config_selectorIiiEEZZNS1_16scan_by_key_implILNS1_25lookback_scan_determinismE0ELb1ES3_N6thrust23THRUST_200600_302600_NS6detail15normal_iteratorINS9_10device_ptrIiEEEESE_SE_iNS9_10multipliesIiEENS9_8equal_toIiEEiEE10hipError_tPvRmT2_T3_T4_T5_mT6_T7_P12ihipStream_tbENKUlT_T0_E_clISt17integral_constantIbLb0EESY_IbLb1EEEEDaSU_SV_EUlSU_E_NS1_11comp_targetILNS1_3genE10ELNS1_11target_archE1200ELNS1_3gpuE4ELNS1_3repE0EEENS1_30default_config_static_selectorELNS0_4arch9wavefront6targetE1EEEvT1_
	.globl	_ZN7rocprim17ROCPRIM_400000_NS6detail17trampoline_kernelINS0_14default_configENS1_27scan_by_key_config_selectorIiiEEZZNS1_16scan_by_key_implILNS1_25lookback_scan_determinismE0ELb1ES3_N6thrust23THRUST_200600_302600_NS6detail15normal_iteratorINS9_10device_ptrIiEEEESE_SE_iNS9_10multipliesIiEENS9_8equal_toIiEEiEE10hipError_tPvRmT2_T3_T4_T5_mT6_T7_P12ihipStream_tbENKUlT_T0_E_clISt17integral_constantIbLb0EESY_IbLb1EEEEDaSU_SV_EUlSU_E_NS1_11comp_targetILNS1_3genE10ELNS1_11target_archE1200ELNS1_3gpuE4ELNS1_3repE0EEENS1_30default_config_static_selectorELNS0_4arch9wavefront6targetE1EEEvT1_
	.p2align	8
	.type	_ZN7rocprim17ROCPRIM_400000_NS6detail17trampoline_kernelINS0_14default_configENS1_27scan_by_key_config_selectorIiiEEZZNS1_16scan_by_key_implILNS1_25lookback_scan_determinismE0ELb1ES3_N6thrust23THRUST_200600_302600_NS6detail15normal_iteratorINS9_10device_ptrIiEEEESE_SE_iNS9_10multipliesIiEENS9_8equal_toIiEEiEE10hipError_tPvRmT2_T3_T4_T5_mT6_T7_P12ihipStream_tbENKUlT_T0_E_clISt17integral_constantIbLb0EESY_IbLb1EEEEDaSU_SV_EUlSU_E_NS1_11comp_targetILNS1_3genE10ELNS1_11target_archE1200ELNS1_3gpuE4ELNS1_3repE0EEENS1_30default_config_static_selectorELNS0_4arch9wavefront6targetE1EEEvT1_,@function
_ZN7rocprim17ROCPRIM_400000_NS6detail17trampoline_kernelINS0_14default_configENS1_27scan_by_key_config_selectorIiiEEZZNS1_16scan_by_key_implILNS1_25lookback_scan_determinismE0ELb1ES3_N6thrust23THRUST_200600_302600_NS6detail15normal_iteratorINS9_10device_ptrIiEEEESE_SE_iNS9_10multipliesIiEENS9_8equal_toIiEEiEE10hipError_tPvRmT2_T3_T4_T5_mT6_T7_P12ihipStream_tbENKUlT_T0_E_clISt17integral_constantIbLb0EESY_IbLb1EEEEDaSU_SV_EUlSU_E_NS1_11comp_targetILNS1_3genE10ELNS1_11target_archE1200ELNS1_3gpuE4ELNS1_3repE0EEENS1_30default_config_static_selectorELNS0_4arch9wavefront6targetE1EEEvT1_: ; @_ZN7rocprim17ROCPRIM_400000_NS6detail17trampoline_kernelINS0_14default_configENS1_27scan_by_key_config_selectorIiiEEZZNS1_16scan_by_key_implILNS1_25lookback_scan_determinismE0ELb1ES3_N6thrust23THRUST_200600_302600_NS6detail15normal_iteratorINS9_10device_ptrIiEEEESE_SE_iNS9_10multipliesIiEENS9_8equal_toIiEEiEE10hipError_tPvRmT2_T3_T4_T5_mT6_T7_P12ihipStream_tbENKUlT_T0_E_clISt17integral_constantIbLb0EESY_IbLb1EEEEDaSU_SV_EUlSU_E_NS1_11comp_targetILNS1_3genE10ELNS1_11target_archE1200ELNS1_3gpuE4ELNS1_3repE0EEENS1_30default_config_static_selectorELNS0_4arch9wavefront6targetE1EEEvT1_
; %bb.0:
	.section	.rodata,"a",@progbits
	.p2align	6, 0x0
	.amdhsa_kernel _ZN7rocprim17ROCPRIM_400000_NS6detail17trampoline_kernelINS0_14default_configENS1_27scan_by_key_config_selectorIiiEEZZNS1_16scan_by_key_implILNS1_25lookback_scan_determinismE0ELb1ES3_N6thrust23THRUST_200600_302600_NS6detail15normal_iteratorINS9_10device_ptrIiEEEESE_SE_iNS9_10multipliesIiEENS9_8equal_toIiEEiEE10hipError_tPvRmT2_T3_T4_T5_mT6_T7_P12ihipStream_tbENKUlT_T0_E_clISt17integral_constantIbLb0EESY_IbLb1EEEEDaSU_SV_EUlSU_E_NS1_11comp_targetILNS1_3genE10ELNS1_11target_archE1200ELNS1_3gpuE4ELNS1_3repE0EEENS1_30default_config_static_selectorELNS0_4arch9wavefront6targetE1EEEvT1_
		.amdhsa_group_segment_fixed_size 0
		.amdhsa_private_segment_fixed_size 0
		.amdhsa_kernarg_size 112
		.amdhsa_user_sgpr_count 2
		.amdhsa_user_sgpr_dispatch_ptr 0
		.amdhsa_user_sgpr_queue_ptr 0
		.amdhsa_user_sgpr_kernarg_segment_ptr 1
		.amdhsa_user_sgpr_dispatch_id 0
		.amdhsa_user_sgpr_kernarg_preload_length 0
		.amdhsa_user_sgpr_kernarg_preload_offset 0
		.amdhsa_user_sgpr_private_segment_size 0
		.amdhsa_uses_dynamic_stack 0
		.amdhsa_enable_private_segment 0
		.amdhsa_system_sgpr_workgroup_id_x 1
		.amdhsa_system_sgpr_workgroup_id_y 0
		.amdhsa_system_sgpr_workgroup_id_z 0
		.amdhsa_system_sgpr_workgroup_info 0
		.amdhsa_system_vgpr_workitem_id 0
		.amdhsa_next_free_vgpr 1
		.amdhsa_next_free_sgpr 0
		.amdhsa_accum_offset 4
		.amdhsa_reserve_vcc 0
		.amdhsa_float_round_mode_32 0
		.amdhsa_float_round_mode_16_64 0
		.amdhsa_float_denorm_mode_32 3
		.amdhsa_float_denorm_mode_16_64 3
		.amdhsa_dx10_clamp 1
		.amdhsa_ieee_mode 1
		.amdhsa_fp16_overflow 0
		.amdhsa_tg_split 0
		.amdhsa_exception_fp_ieee_invalid_op 0
		.amdhsa_exception_fp_denorm_src 0
		.amdhsa_exception_fp_ieee_div_zero 0
		.amdhsa_exception_fp_ieee_overflow 0
		.amdhsa_exception_fp_ieee_underflow 0
		.amdhsa_exception_fp_ieee_inexact 0
		.amdhsa_exception_int_div_zero 0
	.end_amdhsa_kernel
	.section	.text._ZN7rocprim17ROCPRIM_400000_NS6detail17trampoline_kernelINS0_14default_configENS1_27scan_by_key_config_selectorIiiEEZZNS1_16scan_by_key_implILNS1_25lookback_scan_determinismE0ELb1ES3_N6thrust23THRUST_200600_302600_NS6detail15normal_iteratorINS9_10device_ptrIiEEEESE_SE_iNS9_10multipliesIiEENS9_8equal_toIiEEiEE10hipError_tPvRmT2_T3_T4_T5_mT6_T7_P12ihipStream_tbENKUlT_T0_E_clISt17integral_constantIbLb0EESY_IbLb1EEEEDaSU_SV_EUlSU_E_NS1_11comp_targetILNS1_3genE10ELNS1_11target_archE1200ELNS1_3gpuE4ELNS1_3repE0EEENS1_30default_config_static_selectorELNS0_4arch9wavefront6targetE1EEEvT1_,"axG",@progbits,_ZN7rocprim17ROCPRIM_400000_NS6detail17trampoline_kernelINS0_14default_configENS1_27scan_by_key_config_selectorIiiEEZZNS1_16scan_by_key_implILNS1_25lookback_scan_determinismE0ELb1ES3_N6thrust23THRUST_200600_302600_NS6detail15normal_iteratorINS9_10device_ptrIiEEEESE_SE_iNS9_10multipliesIiEENS9_8equal_toIiEEiEE10hipError_tPvRmT2_T3_T4_T5_mT6_T7_P12ihipStream_tbENKUlT_T0_E_clISt17integral_constantIbLb0EESY_IbLb1EEEEDaSU_SV_EUlSU_E_NS1_11comp_targetILNS1_3genE10ELNS1_11target_archE1200ELNS1_3gpuE4ELNS1_3repE0EEENS1_30default_config_static_selectorELNS0_4arch9wavefront6targetE1EEEvT1_,comdat
.Lfunc_end530:
	.size	_ZN7rocprim17ROCPRIM_400000_NS6detail17trampoline_kernelINS0_14default_configENS1_27scan_by_key_config_selectorIiiEEZZNS1_16scan_by_key_implILNS1_25lookback_scan_determinismE0ELb1ES3_N6thrust23THRUST_200600_302600_NS6detail15normal_iteratorINS9_10device_ptrIiEEEESE_SE_iNS9_10multipliesIiEENS9_8equal_toIiEEiEE10hipError_tPvRmT2_T3_T4_T5_mT6_T7_P12ihipStream_tbENKUlT_T0_E_clISt17integral_constantIbLb0EESY_IbLb1EEEEDaSU_SV_EUlSU_E_NS1_11comp_targetILNS1_3genE10ELNS1_11target_archE1200ELNS1_3gpuE4ELNS1_3repE0EEENS1_30default_config_static_selectorELNS0_4arch9wavefront6targetE1EEEvT1_, .Lfunc_end530-_ZN7rocprim17ROCPRIM_400000_NS6detail17trampoline_kernelINS0_14default_configENS1_27scan_by_key_config_selectorIiiEEZZNS1_16scan_by_key_implILNS1_25lookback_scan_determinismE0ELb1ES3_N6thrust23THRUST_200600_302600_NS6detail15normal_iteratorINS9_10device_ptrIiEEEESE_SE_iNS9_10multipliesIiEENS9_8equal_toIiEEiEE10hipError_tPvRmT2_T3_T4_T5_mT6_T7_P12ihipStream_tbENKUlT_T0_E_clISt17integral_constantIbLb0EESY_IbLb1EEEEDaSU_SV_EUlSU_E_NS1_11comp_targetILNS1_3genE10ELNS1_11target_archE1200ELNS1_3gpuE4ELNS1_3repE0EEENS1_30default_config_static_selectorELNS0_4arch9wavefront6targetE1EEEvT1_
                                        ; -- End function
	.section	.AMDGPU.csdata,"",@progbits
; Kernel info:
; codeLenInByte = 0
; NumSgprs: 6
; NumVgprs: 0
; NumAgprs: 0
; TotalNumVgprs: 0
; ScratchSize: 0
; MemoryBound: 0
; FloatMode: 240
; IeeeMode: 1
; LDSByteSize: 0 bytes/workgroup (compile time only)
; SGPRBlocks: 0
; VGPRBlocks: 0
; NumSGPRsForWavesPerEU: 6
; NumVGPRsForWavesPerEU: 1
; AccumOffset: 4
; Occupancy: 8
; WaveLimiterHint : 0
; COMPUTE_PGM_RSRC2:SCRATCH_EN: 0
; COMPUTE_PGM_RSRC2:USER_SGPR: 2
; COMPUTE_PGM_RSRC2:TRAP_HANDLER: 0
; COMPUTE_PGM_RSRC2:TGID_X_EN: 1
; COMPUTE_PGM_RSRC2:TGID_Y_EN: 0
; COMPUTE_PGM_RSRC2:TGID_Z_EN: 0
; COMPUTE_PGM_RSRC2:TIDIG_COMP_CNT: 0
; COMPUTE_PGM_RSRC3_GFX90A:ACCUM_OFFSET: 0
; COMPUTE_PGM_RSRC3_GFX90A:TG_SPLIT: 0
	.section	.text._ZN7rocprim17ROCPRIM_400000_NS6detail17trampoline_kernelINS0_14default_configENS1_27scan_by_key_config_selectorIiiEEZZNS1_16scan_by_key_implILNS1_25lookback_scan_determinismE0ELb1ES3_N6thrust23THRUST_200600_302600_NS6detail15normal_iteratorINS9_10device_ptrIiEEEESE_SE_iNS9_10multipliesIiEENS9_8equal_toIiEEiEE10hipError_tPvRmT2_T3_T4_T5_mT6_T7_P12ihipStream_tbENKUlT_T0_E_clISt17integral_constantIbLb0EESY_IbLb1EEEEDaSU_SV_EUlSU_E_NS1_11comp_targetILNS1_3genE9ELNS1_11target_archE1100ELNS1_3gpuE3ELNS1_3repE0EEENS1_30default_config_static_selectorELNS0_4arch9wavefront6targetE1EEEvT1_,"axG",@progbits,_ZN7rocprim17ROCPRIM_400000_NS6detail17trampoline_kernelINS0_14default_configENS1_27scan_by_key_config_selectorIiiEEZZNS1_16scan_by_key_implILNS1_25lookback_scan_determinismE0ELb1ES3_N6thrust23THRUST_200600_302600_NS6detail15normal_iteratorINS9_10device_ptrIiEEEESE_SE_iNS9_10multipliesIiEENS9_8equal_toIiEEiEE10hipError_tPvRmT2_T3_T4_T5_mT6_T7_P12ihipStream_tbENKUlT_T0_E_clISt17integral_constantIbLb0EESY_IbLb1EEEEDaSU_SV_EUlSU_E_NS1_11comp_targetILNS1_3genE9ELNS1_11target_archE1100ELNS1_3gpuE3ELNS1_3repE0EEENS1_30default_config_static_selectorELNS0_4arch9wavefront6targetE1EEEvT1_,comdat
	.protected	_ZN7rocprim17ROCPRIM_400000_NS6detail17trampoline_kernelINS0_14default_configENS1_27scan_by_key_config_selectorIiiEEZZNS1_16scan_by_key_implILNS1_25lookback_scan_determinismE0ELb1ES3_N6thrust23THRUST_200600_302600_NS6detail15normal_iteratorINS9_10device_ptrIiEEEESE_SE_iNS9_10multipliesIiEENS9_8equal_toIiEEiEE10hipError_tPvRmT2_T3_T4_T5_mT6_T7_P12ihipStream_tbENKUlT_T0_E_clISt17integral_constantIbLb0EESY_IbLb1EEEEDaSU_SV_EUlSU_E_NS1_11comp_targetILNS1_3genE9ELNS1_11target_archE1100ELNS1_3gpuE3ELNS1_3repE0EEENS1_30default_config_static_selectorELNS0_4arch9wavefront6targetE1EEEvT1_ ; -- Begin function _ZN7rocprim17ROCPRIM_400000_NS6detail17trampoline_kernelINS0_14default_configENS1_27scan_by_key_config_selectorIiiEEZZNS1_16scan_by_key_implILNS1_25lookback_scan_determinismE0ELb1ES3_N6thrust23THRUST_200600_302600_NS6detail15normal_iteratorINS9_10device_ptrIiEEEESE_SE_iNS9_10multipliesIiEENS9_8equal_toIiEEiEE10hipError_tPvRmT2_T3_T4_T5_mT6_T7_P12ihipStream_tbENKUlT_T0_E_clISt17integral_constantIbLb0EESY_IbLb1EEEEDaSU_SV_EUlSU_E_NS1_11comp_targetILNS1_3genE9ELNS1_11target_archE1100ELNS1_3gpuE3ELNS1_3repE0EEENS1_30default_config_static_selectorELNS0_4arch9wavefront6targetE1EEEvT1_
	.globl	_ZN7rocprim17ROCPRIM_400000_NS6detail17trampoline_kernelINS0_14default_configENS1_27scan_by_key_config_selectorIiiEEZZNS1_16scan_by_key_implILNS1_25lookback_scan_determinismE0ELb1ES3_N6thrust23THRUST_200600_302600_NS6detail15normal_iteratorINS9_10device_ptrIiEEEESE_SE_iNS9_10multipliesIiEENS9_8equal_toIiEEiEE10hipError_tPvRmT2_T3_T4_T5_mT6_T7_P12ihipStream_tbENKUlT_T0_E_clISt17integral_constantIbLb0EESY_IbLb1EEEEDaSU_SV_EUlSU_E_NS1_11comp_targetILNS1_3genE9ELNS1_11target_archE1100ELNS1_3gpuE3ELNS1_3repE0EEENS1_30default_config_static_selectorELNS0_4arch9wavefront6targetE1EEEvT1_
	.p2align	8
	.type	_ZN7rocprim17ROCPRIM_400000_NS6detail17trampoline_kernelINS0_14default_configENS1_27scan_by_key_config_selectorIiiEEZZNS1_16scan_by_key_implILNS1_25lookback_scan_determinismE0ELb1ES3_N6thrust23THRUST_200600_302600_NS6detail15normal_iteratorINS9_10device_ptrIiEEEESE_SE_iNS9_10multipliesIiEENS9_8equal_toIiEEiEE10hipError_tPvRmT2_T3_T4_T5_mT6_T7_P12ihipStream_tbENKUlT_T0_E_clISt17integral_constantIbLb0EESY_IbLb1EEEEDaSU_SV_EUlSU_E_NS1_11comp_targetILNS1_3genE9ELNS1_11target_archE1100ELNS1_3gpuE3ELNS1_3repE0EEENS1_30default_config_static_selectorELNS0_4arch9wavefront6targetE1EEEvT1_,@function
_ZN7rocprim17ROCPRIM_400000_NS6detail17trampoline_kernelINS0_14default_configENS1_27scan_by_key_config_selectorIiiEEZZNS1_16scan_by_key_implILNS1_25lookback_scan_determinismE0ELb1ES3_N6thrust23THRUST_200600_302600_NS6detail15normal_iteratorINS9_10device_ptrIiEEEESE_SE_iNS9_10multipliesIiEENS9_8equal_toIiEEiEE10hipError_tPvRmT2_T3_T4_T5_mT6_T7_P12ihipStream_tbENKUlT_T0_E_clISt17integral_constantIbLb0EESY_IbLb1EEEEDaSU_SV_EUlSU_E_NS1_11comp_targetILNS1_3genE9ELNS1_11target_archE1100ELNS1_3gpuE3ELNS1_3repE0EEENS1_30default_config_static_selectorELNS0_4arch9wavefront6targetE1EEEvT1_: ; @_ZN7rocprim17ROCPRIM_400000_NS6detail17trampoline_kernelINS0_14default_configENS1_27scan_by_key_config_selectorIiiEEZZNS1_16scan_by_key_implILNS1_25lookback_scan_determinismE0ELb1ES3_N6thrust23THRUST_200600_302600_NS6detail15normal_iteratorINS9_10device_ptrIiEEEESE_SE_iNS9_10multipliesIiEENS9_8equal_toIiEEiEE10hipError_tPvRmT2_T3_T4_T5_mT6_T7_P12ihipStream_tbENKUlT_T0_E_clISt17integral_constantIbLb0EESY_IbLb1EEEEDaSU_SV_EUlSU_E_NS1_11comp_targetILNS1_3genE9ELNS1_11target_archE1100ELNS1_3gpuE3ELNS1_3repE0EEENS1_30default_config_static_selectorELNS0_4arch9wavefront6targetE1EEEvT1_
; %bb.0:
	.section	.rodata,"a",@progbits
	.p2align	6, 0x0
	.amdhsa_kernel _ZN7rocprim17ROCPRIM_400000_NS6detail17trampoline_kernelINS0_14default_configENS1_27scan_by_key_config_selectorIiiEEZZNS1_16scan_by_key_implILNS1_25lookback_scan_determinismE0ELb1ES3_N6thrust23THRUST_200600_302600_NS6detail15normal_iteratorINS9_10device_ptrIiEEEESE_SE_iNS9_10multipliesIiEENS9_8equal_toIiEEiEE10hipError_tPvRmT2_T3_T4_T5_mT6_T7_P12ihipStream_tbENKUlT_T0_E_clISt17integral_constantIbLb0EESY_IbLb1EEEEDaSU_SV_EUlSU_E_NS1_11comp_targetILNS1_3genE9ELNS1_11target_archE1100ELNS1_3gpuE3ELNS1_3repE0EEENS1_30default_config_static_selectorELNS0_4arch9wavefront6targetE1EEEvT1_
		.amdhsa_group_segment_fixed_size 0
		.amdhsa_private_segment_fixed_size 0
		.amdhsa_kernarg_size 112
		.amdhsa_user_sgpr_count 2
		.amdhsa_user_sgpr_dispatch_ptr 0
		.amdhsa_user_sgpr_queue_ptr 0
		.amdhsa_user_sgpr_kernarg_segment_ptr 1
		.amdhsa_user_sgpr_dispatch_id 0
		.amdhsa_user_sgpr_kernarg_preload_length 0
		.amdhsa_user_sgpr_kernarg_preload_offset 0
		.amdhsa_user_sgpr_private_segment_size 0
		.amdhsa_uses_dynamic_stack 0
		.amdhsa_enable_private_segment 0
		.amdhsa_system_sgpr_workgroup_id_x 1
		.amdhsa_system_sgpr_workgroup_id_y 0
		.amdhsa_system_sgpr_workgroup_id_z 0
		.amdhsa_system_sgpr_workgroup_info 0
		.amdhsa_system_vgpr_workitem_id 0
		.amdhsa_next_free_vgpr 1
		.amdhsa_next_free_sgpr 0
		.amdhsa_accum_offset 4
		.amdhsa_reserve_vcc 0
		.amdhsa_float_round_mode_32 0
		.amdhsa_float_round_mode_16_64 0
		.amdhsa_float_denorm_mode_32 3
		.amdhsa_float_denorm_mode_16_64 3
		.amdhsa_dx10_clamp 1
		.amdhsa_ieee_mode 1
		.amdhsa_fp16_overflow 0
		.amdhsa_tg_split 0
		.amdhsa_exception_fp_ieee_invalid_op 0
		.amdhsa_exception_fp_denorm_src 0
		.amdhsa_exception_fp_ieee_div_zero 0
		.amdhsa_exception_fp_ieee_overflow 0
		.amdhsa_exception_fp_ieee_underflow 0
		.amdhsa_exception_fp_ieee_inexact 0
		.amdhsa_exception_int_div_zero 0
	.end_amdhsa_kernel
	.section	.text._ZN7rocprim17ROCPRIM_400000_NS6detail17trampoline_kernelINS0_14default_configENS1_27scan_by_key_config_selectorIiiEEZZNS1_16scan_by_key_implILNS1_25lookback_scan_determinismE0ELb1ES3_N6thrust23THRUST_200600_302600_NS6detail15normal_iteratorINS9_10device_ptrIiEEEESE_SE_iNS9_10multipliesIiEENS9_8equal_toIiEEiEE10hipError_tPvRmT2_T3_T4_T5_mT6_T7_P12ihipStream_tbENKUlT_T0_E_clISt17integral_constantIbLb0EESY_IbLb1EEEEDaSU_SV_EUlSU_E_NS1_11comp_targetILNS1_3genE9ELNS1_11target_archE1100ELNS1_3gpuE3ELNS1_3repE0EEENS1_30default_config_static_selectorELNS0_4arch9wavefront6targetE1EEEvT1_,"axG",@progbits,_ZN7rocprim17ROCPRIM_400000_NS6detail17trampoline_kernelINS0_14default_configENS1_27scan_by_key_config_selectorIiiEEZZNS1_16scan_by_key_implILNS1_25lookback_scan_determinismE0ELb1ES3_N6thrust23THRUST_200600_302600_NS6detail15normal_iteratorINS9_10device_ptrIiEEEESE_SE_iNS9_10multipliesIiEENS9_8equal_toIiEEiEE10hipError_tPvRmT2_T3_T4_T5_mT6_T7_P12ihipStream_tbENKUlT_T0_E_clISt17integral_constantIbLb0EESY_IbLb1EEEEDaSU_SV_EUlSU_E_NS1_11comp_targetILNS1_3genE9ELNS1_11target_archE1100ELNS1_3gpuE3ELNS1_3repE0EEENS1_30default_config_static_selectorELNS0_4arch9wavefront6targetE1EEEvT1_,comdat
.Lfunc_end531:
	.size	_ZN7rocprim17ROCPRIM_400000_NS6detail17trampoline_kernelINS0_14default_configENS1_27scan_by_key_config_selectorIiiEEZZNS1_16scan_by_key_implILNS1_25lookback_scan_determinismE0ELb1ES3_N6thrust23THRUST_200600_302600_NS6detail15normal_iteratorINS9_10device_ptrIiEEEESE_SE_iNS9_10multipliesIiEENS9_8equal_toIiEEiEE10hipError_tPvRmT2_T3_T4_T5_mT6_T7_P12ihipStream_tbENKUlT_T0_E_clISt17integral_constantIbLb0EESY_IbLb1EEEEDaSU_SV_EUlSU_E_NS1_11comp_targetILNS1_3genE9ELNS1_11target_archE1100ELNS1_3gpuE3ELNS1_3repE0EEENS1_30default_config_static_selectorELNS0_4arch9wavefront6targetE1EEEvT1_, .Lfunc_end531-_ZN7rocprim17ROCPRIM_400000_NS6detail17trampoline_kernelINS0_14default_configENS1_27scan_by_key_config_selectorIiiEEZZNS1_16scan_by_key_implILNS1_25lookback_scan_determinismE0ELb1ES3_N6thrust23THRUST_200600_302600_NS6detail15normal_iteratorINS9_10device_ptrIiEEEESE_SE_iNS9_10multipliesIiEENS9_8equal_toIiEEiEE10hipError_tPvRmT2_T3_T4_T5_mT6_T7_P12ihipStream_tbENKUlT_T0_E_clISt17integral_constantIbLb0EESY_IbLb1EEEEDaSU_SV_EUlSU_E_NS1_11comp_targetILNS1_3genE9ELNS1_11target_archE1100ELNS1_3gpuE3ELNS1_3repE0EEENS1_30default_config_static_selectorELNS0_4arch9wavefront6targetE1EEEvT1_
                                        ; -- End function
	.section	.AMDGPU.csdata,"",@progbits
; Kernel info:
; codeLenInByte = 0
; NumSgprs: 6
; NumVgprs: 0
; NumAgprs: 0
; TotalNumVgprs: 0
; ScratchSize: 0
; MemoryBound: 0
; FloatMode: 240
; IeeeMode: 1
; LDSByteSize: 0 bytes/workgroup (compile time only)
; SGPRBlocks: 0
; VGPRBlocks: 0
; NumSGPRsForWavesPerEU: 6
; NumVGPRsForWavesPerEU: 1
; AccumOffset: 4
; Occupancy: 8
; WaveLimiterHint : 0
; COMPUTE_PGM_RSRC2:SCRATCH_EN: 0
; COMPUTE_PGM_RSRC2:USER_SGPR: 2
; COMPUTE_PGM_RSRC2:TRAP_HANDLER: 0
; COMPUTE_PGM_RSRC2:TGID_X_EN: 1
; COMPUTE_PGM_RSRC2:TGID_Y_EN: 0
; COMPUTE_PGM_RSRC2:TGID_Z_EN: 0
; COMPUTE_PGM_RSRC2:TIDIG_COMP_CNT: 0
; COMPUTE_PGM_RSRC3_GFX90A:ACCUM_OFFSET: 0
; COMPUTE_PGM_RSRC3_GFX90A:TG_SPLIT: 0
	.section	.text._ZN7rocprim17ROCPRIM_400000_NS6detail17trampoline_kernelINS0_14default_configENS1_27scan_by_key_config_selectorIiiEEZZNS1_16scan_by_key_implILNS1_25lookback_scan_determinismE0ELb1ES3_N6thrust23THRUST_200600_302600_NS6detail15normal_iteratorINS9_10device_ptrIiEEEESE_SE_iNS9_10multipliesIiEENS9_8equal_toIiEEiEE10hipError_tPvRmT2_T3_T4_T5_mT6_T7_P12ihipStream_tbENKUlT_T0_E_clISt17integral_constantIbLb0EESY_IbLb1EEEEDaSU_SV_EUlSU_E_NS1_11comp_targetILNS1_3genE8ELNS1_11target_archE1030ELNS1_3gpuE2ELNS1_3repE0EEENS1_30default_config_static_selectorELNS0_4arch9wavefront6targetE1EEEvT1_,"axG",@progbits,_ZN7rocprim17ROCPRIM_400000_NS6detail17trampoline_kernelINS0_14default_configENS1_27scan_by_key_config_selectorIiiEEZZNS1_16scan_by_key_implILNS1_25lookback_scan_determinismE0ELb1ES3_N6thrust23THRUST_200600_302600_NS6detail15normal_iteratorINS9_10device_ptrIiEEEESE_SE_iNS9_10multipliesIiEENS9_8equal_toIiEEiEE10hipError_tPvRmT2_T3_T4_T5_mT6_T7_P12ihipStream_tbENKUlT_T0_E_clISt17integral_constantIbLb0EESY_IbLb1EEEEDaSU_SV_EUlSU_E_NS1_11comp_targetILNS1_3genE8ELNS1_11target_archE1030ELNS1_3gpuE2ELNS1_3repE0EEENS1_30default_config_static_selectorELNS0_4arch9wavefront6targetE1EEEvT1_,comdat
	.protected	_ZN7rocprim17ROCPRIM_400000_NS6detail17trampoline_kernelINS0_14default_configENS1_27scan_by_key_config_selectorIiiEEZZNS1_16scan_by_key_implILNS1_25lookback_scan_determinismE0ELb1ES3_N6thrust23THRUST_200600_302600_NS6detail15normal_iteratorINS9_10device_ptrIiEEEESE_SE_iNS9_10multipliesIiEENS9_8equal_toIiEEiEE10hipError_tPvRmT2_T3_T4_T5_mT6_T7_P12ihipStream_tbENKUlT_T0_E_clISt17integral_constantIbLb0EESY_IbLb1EEEEDaSU_SV_EUlSU_E_NS1_11comp_targetILNS1_3genE8ELNS1_11target_archE1030ELNS1_3gpuE2ELNS1_3repE0EEENS1_30default_config_static_selectorELNS0_4arch9wavefront6targetE1EEEvT1_ ; -- Begin function _ZN7rocprim17ROCPRIM_400000_NS6detail17trampoline_kernelINS0_14default_configENS1_27scan_by_key_config_selectorIiiEEZZNS1_16scan_by_key_implILNS1_25lookback_scan_determinismE0ELb1ES3_N6thrust23THRUST_200600_302600_NS6detail15normal_iteratorINS9_10device_ptrIiEEEESE_SE_iNS9_10multipliesIiEENS9_8equal_toIiEEiEE10hipError_tPvRmT2_T3_T4_T5_mT6_T7_P12ihipStream_tbENKUlT_T0_E_clISt17integral_constantIbLb0EESY_IbLb1EEEEDaSU_SV_EUlSU_E_NS1_11comp_targetILNS1_3genE8ELNS1_11target_archE1030ELNS1_3gpuE2ELNS1_3repE0EEENS1_30default_config_static_selectorELNS0_4arch9wavefront6targetE1EEEvT1_
	.globl	_ZN7rocprim17ROCPRIM_400000_NS6detail17trampoline_kernelINS0_14default_configENS1_27scan_by_key_config_selectorIiiEEZZNS1_16scan_by_key_implILNS1_25lookback_scan_determinismE0ELb1ES3_N6thrust23THRUST_200600_302600_NS6detail15normal_iteratorINS9_10device_ptrIiEEEESE_SE_iNS9_10multipliesIiEENS9_8equal_toIiEEiEE10hipError_tPvRmT2_T3_T4_T5_mT6_T7_P12ihipStream_tbENKUlT_T0_E_clISt17integral_constantIbLb0EESY_IbLb1EEEEDaSU_SV_EUlSU_E_NS1_11comp_targetILNS1_3genE8ELNS1_11target_archE1030ELNS1_3gpuE2ELNS1_3repE0EEENS1_30default_config_static_selectorELNS0_4arch9wavefront6targetE1EEEvT1_
	.p2align	8
	.type	_ZN7rocprim17ROCPRIM_400000_NS6detail17trampoline_kernelINS0_14default_configENS1_27scan_by_key_config_selectorIiiEEZZNS1_16scan_by_key_implILNS1_25lookback_scan_determinismE0ELb1ES3_N6thrust23THRUST_200600_302600_NS6detail15normal_iteratorINS9_10device_ptrIiEEEESE_SE_iNS9_10multipliesIiEENS9_8equal_toIiEEiEE10hipError_tPvRmT2_T3_T4_T5_mT6_T7_P12ihipStream_tbENKUlT_T0_E_clISt17integral_constantIbLb0EESY_IbLb1EEEEDaSU_SV_EUlSU_E_NS1_11comp_targetILNS1_3genE8ELNS1_11target_archE1030ELNS1_3gpuE2ELNS1_3repE0EEENS1_30default_config_static_selectorELNS0_4arch9wavefront6targetE1EEEvT1_,@function
_ZN7rocprim17ROCPRIM_400000_NS6detail17trampoline_kernelINS0_14default_configENS1_27scan_by_key_config_selectorIiiEEZZNS1_16scan_by_key_implILNS1_25lookback_scan_determinismE0ELb1ES3_N6thrust23THRUST_200600_302600_NS6detail15normal_iteratorINS9_10device_ptrIiEEEESE_SE_iNS9_10multipliesIiEENS9_8equal_toIiEEiEE10hipError_tPvRmT2_T3_T4_T5_mT6_T7_P12ihipStream_tbENKUlT_T0_E_clISt17integral_constantIbLb0EESY_IbLb1EEEEDaSU_SV_EUlSU_E_NS1_11comp_targetILNS1_3genE8ELNS1_11target_archE1030ELNS1_3gpuE2ELNS1_3repE0EEENS1_30default_config_static_selectorELNS0_4arch9wavefront6targetE1EEEvT1_: ; @_ZN7rocprim17ROCPRIM_400000_NS6detail17trampoline_kernelINS0_14default_configENS1_27scan_by_key_config_selectorIiiEEZZNS1_16scan_by_key_implILNS1_25lookback_scan_determinismE0ELb1ES3_N6thrust23THRUST_200600_302600_NS6detail15normal_iteratorINS9_10device_ptrIiEEEESE_SE_iNS9_10multipliesIiEENS9_8equal_toIiEEiEE10hipError_tPvRmT2_T3_T4_T5_mT6_T7_P12ihipStream_tbENKUlT_T0_E_clISt17integral_constantIbLb0EESY_IbLb1EEEEDaSU_SV_EUlSU_E_NS1_11comp_targetILNS1_3genE8ELNS1_11target_archE1030ELNS1_3gpuE2ELNS1_3repE0EEENS1_30default_config_static_selectorELNS0_4arch9wavefront6targetE1EEEvT1_
; %bb.0:
	.section	.rodata,"a",@progbits
	.p2align	6, 0x0
	.amdhsa_kernel _ZN7rocprim17ROCPRIM_400000_NS6detail17trampoline_kernelINS0_14default_configENS1_27scan_by_key_config_selectorIiiEEZZNS1_16scan_by_key_implILNS1_25lookback_scan_determinismE0ELb1ES3_N6thrust23THRUST_200600_302600_NS6detail15normal_iteratorINS9_10device_ptrIiEEEESE_SE_iNS9_10multipliesIiEENS9_8equal_toIiEEiEE10hipError_tPvRmT2_T3_T4_T5_mT6_T7_P12ihipStream_tbENKUlT_T0_E_clISt17integral_constantIbLb0EESY_IbLb1EEEEDaSU_SV_EUlSU_E_NS1_11comp_targetILNS1_3genE8ELNS1_11target_archE1030ELNS1_3gpuE2ELNS1_3repE0EEENS1_30default_config_static_selectorELNS0_4arch9wavefront6targetE1EEEvT1_
		.amdhsa_group_segment_fixed_size 0
		.amdhsa_private_segment_fixed_size 0
		.amdhsa_kernarg_size 112
		.amdhsa_user_sgpr_count 2
		.amdhsa_user_sgpr_dispatch_ptr 0
		.amdhsa_user_sgpr_queue_ptr 0
		.amdhsa_user_sgpr_kernarg_segment_ptr 1
		.amdhsa_user_sgpr_dispatch_id 0
		.amdhsa_user_sgpr_kernarg_preload_length 0
		.amdhsa_user_sgpr_kernarg_preload_offset 0
		.amdhsa_user_sgpr_private_segment_size 0
		.amdhsa_uses_dynamic_stack 0
		.amdhsa_enable_private_segment 0
		.amdhsa_system_sgpr_workgroup_id_x 1
		.amdhsa_system_sgpr_workgroup_id_y 0
		.amdhsa_system_sgpr_workgroup_id_z 0
		.amdhsa_system_sgpr_workgroup_info 0
		.amdhsa_system_vgpr_workitem_id 0
		.amdhsa_next_free_vgpr 1
		.amdhsa_next_free_sgpr 0
		.amdhsa_accum_offset 4
		.amdhsa_reserve_vcc 0
		.amdhsa_float_round_mode_32 0
		.amdhsa_float_round_mode_16_64 0
		.amdhsa_float_denorm_mode_32 3
		.amdhsa_float_denorm_mode_16_64 3
		.amdhsa_dx10_clamp 1
		.amdhsa_ieee_mode 1
		.amdhsa_fp16_overflow 0
		.amdhsa_tg_split 0
		.amdhsa_exception_fp_ieee_invalid_op 0
		.amdhsa_exception_fp_denorm_src 0
		.amdhsa_exception_fp_ieee_div_zero 0
		.amdhsa_exception_fp_ieee_overflow 0
		.amdhsa_exception_fp_ieee_underflow 0
		.amdhsa_exception_fp_ieee_inexact 0
		.amdhsa_exception_int_div_zero 0
	.end_amdhsa_kernel
	.section	.text._ZN7rocprim17ROCPRIM_400000_NS6detail17trampoline_kernelINS0_14default_configENS1_27scan_by_key_config_selectorIiiEEZZNS1_16scan_by_key_implILNS1_25lookback_scan_determinismE0ELb1ES3_N6thrust23THRUST_200600_302600_NS6detail15normal_iteratorINS9_10device_ptrIiEEEESE_SE_iNS9_10multipliesIiEENS9_8equal_toIiEEiEE10hipError_tPvRmT2_T3_T4_T5_mT6_T7_P12ihipStream_tbENKUlT_T0_E_clISt17integral_constantIbLb0EESY_IbLb1EEEEDaSU_SV_EUlSU_E_NS1_11comp_targetILNS1_3genE8ELNS1_11target_archE1030ELNS1_3gpuE2ELNS1_3repE0EEENS1_30default_config_static_selectorELNS0_4arch9wavefront6targetE1EEEvT1_,"axG",@progbits,_ZN7rocprim17ROCPRIM_400000_NS6detail17trampoline_kernelINS0_14default_configENS1_27scan_by_key_config_selectorIiiEEZZNS1_16scan_by_key_implILNS1_25lookback_scan_determinismE0ELb1ES3_N6thrust23THRUST_200600_302600_NS6detail15normal_iteratorINS9_10device_ptrIiEEEESE_SE_iNS9_10multipliesIiEENS9_8equal_toIiEEiEE10hipError_tPvRmT2_T3_T4_T5_mT6_T7_P12ihipStream_tbENKUlT_T0_E_clISt17integral_constantIbLb0EESY_IbLb1EEEEDaSU_SV_EUlSU_E_NS1_11comp_targetILNS1_3genE8ELNS1_11target_archE1030ELNS1_3gpuE2ELNS1_3repE0EEENS1_30default_config_static_selectorELNS0_4arch9wavefront6targetE1EEEvT1_,comdat
.Lfunc_end532:
	.size	_ZN7rocprim17ROCPRIM_400000_NS6detail17trampoline_kernelINS0_14default_configENS1_27scan_by_key_config_selectorIiiEEZZNS1_16scan_by_key_implILNS1_25lookback_scan_determinismE0ELb1ES3_N6thrust23THRUST_200600_302600_NS6detail15normal_iteratorINS9_10device_ptrIiEEEESE_SE_iNS9_10multipliesIiEENS9_8equal_toIiEEiEE10hipError_tPvRmT2_T3_T4_T5_mT6_T7_P12ihipStream_tbENKUlT_T0_E_clISt17integral_constantIbLb0EESY_IbLb1EEEEDaSU_SV_EUlSU_E_NS1_11comp_targetILNS1_3genE8ELNS1_11target_archE1030ELNS1_3gpuE2ELNS1_3repE0EEENS1_30default_config_static_selectorELNS0_4arch9wavefront6targetE1EEEvT1_, .Lfunc_end532-_ZN7rocprim17ROCPRIM_400000_NS6detail17trampoline_kernelINS0_14default_configENS1_27scan_by_key_config_selectorIiiEEZZNS1_16scan_by_key_implILNS1_25lookback_scan_determinismE0ELb1ES3_N6thrust23THRUST_200600_302600_NS6detail15normal_iteratorINS9_10device_ptrIiEEEESE_SE_iNS9_10multipliesIiEENS9_8equal_toIiEEiEE10hipError_tPvRmT2_T3_T4_T5_mT6_T7_P12ihipStream_tbENKUlT_T0_E_clISt17integral_constantIbLb0EESY_IbLb1EEEEDaSU_SV_EUlSU_E_NS1_11comp_targetILNS1_3genE8ELNS1_11target_archE1030ELNS1_3gpuE2ELNS1_3repE0EEENS1_30default_config_static_selectorELNS0_4arch9wavefront6targetE1EEEvT1_
                                        ; -- End function
	.section	.AMDGPU.csdata,"",@progbits
; Kernel info:
; codeLenInByte = 0
; NumSgprs: 6
; NumVgprs: 0
; NumAgprs: 0
; TotalNumVgprs: 0
; ScratchSize: 0
; MemoryBound: 0
; FloatMode: 240
; IeeeMode: 1
; LDSByteSize: 0 bytes/workgroup (compile time only)
; SGPRBlocks: 0
; VGPRBlocks: 0
; NumSGPRsForWavesPerEU: 6
; NumVGPRsForWavesPerEU: 1
; AccumOffset: 4
; Occupancy: 8
; WaveLimiterHint : 0
; COMPUTE_PGM_RSRC2:SCRATCH_EN: 0
; COMPUTE_PGM_RSRC2:USER_SGPR: 2
; COMPUTE_PGM_RSRC2:TRAP_HANDLER: 0
; COMPUTE_PGM_RSRC2:TGID_X_EN: 1
; COMPUTE_PGM_RSRC2:TGID_Y_EN: 0
; COMPUTE_PGM_RSRC2:TGID_Z_EN: 0
; COMPUTE_PGM_RSRC2:TIDIG_COMP_CNT: 0
; COMPUTE_PGM_RSRC3_GFX90A:ACCUM_OFFSET: 0
; COMPUTE_PGM_RSRC3_GFX90A:TG_SPLIT: 0
	.section	.text._ZN7rocprim17ROCPRIM_400000_NS6detail17trampoline_kernelINS0_14default_configENS1_27scan_by_key_config_selectorIiiEEZZNS1_16scan_by_key_implILNS1_25lookback_scan_determinismE0ELb1ES3_N6thrust23THRUST_200600_302600_NS6detail15normal_iteratorINS9_10device_ptrIiEEEESE_SE_iNS9_4plusIvEENS9_8equal_toIiEEiEE10hipError_tPvRmT2_T3_T4_T5_mT6_T7_P12ihipStream_tbENKUlT_T0_E_clISt17integral_constantIbLb0EESZ_EEDaSU_SV_EUlSU_E_NS1_11comp_targetILNS1_3genE0ELNS1_11target_archE4294967295ELNS1_3gpuE0ELNS1_3repE0EEENS1_30default_config_static_selectorELNS0_4arch9wavefront6targetE1EEEvT1_,"axG",@progbits,_ZN7rocprim17ROCPRIM_400000_NS6detail17trampoline_kernelINS0_14default_configENS1_27scan_by_key_config_selectorIiiEEZZNS1_16scan_by_key_implILNS1_25lookback_scan_determinismE0ELb1ES3_N6thrust23THRUST_200600_302600_NS6detail15normal_iteratorINS9_10device_ptrIiEEEESE_SE_iNS9_4plusIvEENS9_8equal_toIiEEiEE10hipError_tPvRmT2_T3_T4_T5_mT6_T7_P12ihipStream_tbENKUlT_T0_E_clISt17integral_constantIbLb0EESZ_EEDaSU_SV_EUlSU_E_NS1_11comp_targetILNS1_3genE0ELNS1_11target_archE4294967295ELNS1_3gpuE0ELNS1_3repE0EEENS1_30default_config_static_selectorELNS0_4arch9wavefront6targetE1EEEvT1_,comdat
	.protected	_ZN7rocprim17ROCPRIM_400000_NS6detail17trampoline_kernelINS0_14default_configENS1_27scan_by_key_config_selectorIiiEEZZNS1_16scan_by_key_implILNS1_25lookback_scan_determinismE0ELb1ES3_N6thrust23THRUST_200600_302600_NS6detail15normal_iteratorINS9_10device_ptrIiEEEESE_SE_iNS9_4plusIvEENS9_8equal_toIiEEiEE10hipError_tPvRmT2_T3_T4_T5_mT6_T7_P12ihipStream_tbENKUlT_T0_E_clISt17integral_constantIbLb0EESZ_EEDaSU_SV_EUlSU_E_NS1_11comp_targetILNS1_3genE0ELNS1_11target_archE4294967295ELNS1_3gpuE0ELNS1_3repE0EEENS1_30default_config_static_selectorELNS0_4arch9wavefront6targetE1EEEvT1_ ; -- Begin function _ZN7rocprim17ROCPRIM_400000_NS6detail17trampoline_kernelINS0_14default_configENS1_27scan_by_key_config_selectorIiiEEZZNS1_16scan_by_key_implILNS1_25lookback_scan_determinismE0ELb1ES3_N6thrust23THRUST_200600_302600_NS6detail15normal_iteratorINS9_10device_ptrIiEEEESE_SE_iNS9_4plusIvEENS9_8equal_toIiEEiEE10hipError_tPvRmT2_T3_T4_T5_mT6_T7_P12ihipStream_tbENKUlT_T0_E_clISt17integral_constantIbLb0EESZ_EEDaSU_SV_EUlSU_E_NS1_11comp_targetILNS1_3genE0ELNS1_11target_archE4294967295ELNS1_3gpuE0ELNS1_3repE0EEENS1_30default_config_static_selectorELNS0_4arch9wavefront6targetE1EEEvT1_
	.globl	_ZN7rocprim17ROCPRIM_400000_NS6detail17trampoline_kernelINS0_14default_configENS1_27scan_by_key_config_selectorIiiEEZZNS1_16scan_by_key_implILNS1_25lookback_scan_determinismE0ELb1ES3_N6thrust23THRUST_200600_302600_NS6detail15normal_iteratorINS9_10device_ptrIiEEEESE_SE_iNS9_4plusIvEENS9_8equal_toIiEEiEE10hipError_tPvRmT2_T3_T4_T5_mT6_T7_P12ihipStream_tbENKUlT_T0_E_clISt17integral_constantIbLb0EESZ_EEDaSU_SV_EUlSU_E_NS1_11comp_targetILNS1_3genE0ELNS1_11target_archE4294967295ELNS1_3gpuE0ELNS1_3repE0EEENS1_30default_config_static_selectorELNS0_4arch9wavefront6targetE1EEEvT1_
	.p2align	8
	.type	_ZN7rocprim17ROCPRIM_400000_NS6detail17trampoline_kernelINS0_14default_configENS1_27scan_by_key_config_selectorIiiEEZZNS1_16scan_by_key_implILNS1_25lookback_scan_determinismE0ELb1ES3_N6thrust23THRUST_200600_302600_NS6detail15normal_iteratorINS9_10device_ptrIiEEEESE_SE_iNS9_4plusIvEENS9_8equal_toIiEEiEE10hipError_tPvRmT2_T3_T4_T5_mT6_T7_P12ihipStream_tbENKUlT_T0_E_clISt17integral_constantIbLb0EESZ_EEDaSU_SV_EUlSU_E_NS1_11comp_targetILNS1_3genE0ELNS1_11target_archE4294967295ELNS1_3gpuE0ELNS1_3repE0EEENS1_30default_config_static_selectorELNS0_4arch9wavefront6targetE1EEEvT1_,@function
_ZN7rocprim17ROCPRIM_400000_NS6detail17trampoline_kernelINS0_14default_configENS1_27scan_by_key_config_selectorIiiEEZZNS1_16scan_by_key_implILNS1_25lookback_scan_determinismE0ELb1ES3_N6thrust23THRUST_200600_302600_NS6detail15normal_iteratorINS9_10device_ptrIiEEEESE_SE_iNS9_4plusIvEENS9_8equal_toIiEEiEE10hipError_tPvRmT2_T3_T4_T5_mT6_T7_P12ihipStream_tbENKUlT_T0_E_clISt17integral_constantIbLb0EESZ_EEDaSU_SV_EUlSU_E_NS1_11comp_targetILNS1_3genE0ELNS1_11target_archE4294967295ELNS1_3gpuE0ELNS1_3repE0EEENS1_30default_config_static_selectorELNS0_4arch9wavefront6targetE1EEEvT1_: ; @_ZN7rocprim17ROCPRIM_400000_NS6detail17trampoline_kernelINS0_14default_configENS1_27scan_by_key_config_selectorIiiEEZZNS1_16scan_by_key_implILNS1_25lookback_scan_determinismE0ELb1ES3_N6thrust23THRUST_200600_302600_NS6detail15normal_iteratorINS9_10device_ptrIiEEEESE_SE_iNS9_4plusIvEENS9_8equal_toIiEEiEE10hipError_tPvRmT2_T3_T4_T5_mT6_T7_P12ihipStream_tbENKUlT_T0_E_clISt17integral_constantIbLb0EESZ_EEDaSU_SV_EUlSU_E_NS1_11comp_targetILNS1_3genE0ELNS1_11target_archE4294967295ELNS1_3gpuE0ELNS1_3repE0EEENS1_30default_config_static_selectorELNS0_4arch9wavefront6targetE1EEEvT1_
; %bb.0:
	.section	.rodata,"a",@progbits
	.p2align	6, 0x0
	.amdhsa_kernel _ZN7rocprim17ROCPRIM_400000_NS6detail17trampoline_kernelINS0_14default_configENS1_27scan_by_key_config_selectorIiiEEZZNS1_16scan_by_key_implILNS1_25lookback_scan_determinismE0ELb1ES3_N6thrust23THRUST_200600_302600_NS6detail15normal_iteratorINS9_10device_ptrIiEEEESE_SE_iNS9_4plusIvEENS9_8equal_toIiEEiEE10hipError_tPvRmT2_T3_T4_T5_mT6_T7_P12ihipStream_tbENKUlT_T0_E_clISt17integral_constantIbLb0EESZ_EEDaSU_SV_EUlSU_E_NS1_11comp_targetILNS1_3genE0ELNS1_11target_archE4294967295ELNS1_3gpuE0ELNS1_3repE0EEENS1_30default_config_static_selectorELNS0_4arch9wavefront6targetE1EEEvT1_
		.amdhsa_group_segment_fixed_size 0
		.amdhsa_private_segment_fixed_size 0
		.amdhsa_kernarg_size 112
		.amdhsa_user_sgpr_count 2
		.amdhsa_user_sgpr_dispatch_ptr 0
		.amdhsa_user_sgpr_queue_ptr 0
		.amdhsa_user_sgpr_kernarg_segment_ptr 1
		.amdhsa_user_sgpr_dispatch_id 0
		.amdhsa_user_sgpr_kernarg_preload_length 0
		.amdhsa_user_sgpr_kernarg_preload_offset 0
		.amdhsa_user_sgpr_private_segment_size 0
		.amdhsa_uses_dynamic_stack 0
		.amdhsa_enable_private_segment 0
		.amdhsa_system_sgpr_workgroup_id_x 1
		.amdhsa_system_sgpr_workgroup_id_y 0
		.amdhsa_system_sgpr_workgroup_id_z 0
		.amdhsa_system_sgpr_workgroup_info 0
		.amdhsa_system_vgpr_workitem_id 0
		.amdhsa_next_free_vgpr 1
		.amdhsa_next_free_sgpr 0
		.amdhsa_accum_offset 4
		.amdhsa_reserve_vcc 0
		.amdhsa_float_round_mode_32 0
		.amdhsa_float_round_mode_16_64 0
		.amdhsa_float_denorm_mode_32 3
		.amdhsa_float_denorm_mode_16_64 3
		.amdhsa_dx10_clamp 1
		.amdhsa_ieee_mode 1
		.amdhsa_fp16_overflow 0
		.amdhsa_tg_split 0
		.amdhsa_exception_fp_ieee_invalid_op 0
		.amdhsa_exception_fp_denorm_src 0
		.amdhsa_exception_fp_ieee_div_zero 0
		.amdhsa_exception_fp_ieee_overflow 0
		.amdhsa_exception_fp_ieee_underflow 0
		.amdhsa_exception_fp_ieee_inexact 0
		.amdhsa_exception_int_div_zero 0
	.end_amdhsa_kernel
	.section	.text._ZN7rocprim17ROCPRIM_400000_NS6detail17trampoline_kernelINS0_14default_configENS1_27scan_by_key_config_selectorIiiEEZZNS1_16scan_by_key_implILNS1_25lookback_scan_determinismE0ELb1ES3_N6thrust23THRUST_200600_302600_NS6detail15normal_iteratorINS9_10device_ptrIiEEEESE_SE_iNS9_4plusIvEENS9_8equal_toIiEEiEE10hipError_tPvRmT2_T3_T4_T5_mT6_T7_P12ihipStream_tbENKUlT_T0_E_clISt17integral_constantIbLb0EESZ_EEDaSU_SV_EUlSU_E_NS1_11comp_targetILNS1_3genE0ELNS1_11target_archE4294967295ELNS1_3gpuE0ELNS1_3repE0EEENS1_30default_config_static_selectorELNS0_4arch9wavefront6targetE1EEEvT1_,"axG",@progbits,_ZN7rocprim17ROCPRIM_400000_NS6detail17trampoline_kernelINS0_14default_configENS1_27scan_by_key_config_selectorIiiEEZZNS1_16scan_by_key_implILNS1_25lookback_scan_determinismE0ELb1ES3_N6thrust23THRUST_200600_302600_NS6detail15normal_iteratorINS9_10device_ptrIiEEEESE_SE_iNS9_4plusIvEENS9_8equal_toIiEEiEE10hipError_tPvRmT2_T3_T4_T5_mT6_T7_P12ihipStream_tbENKUlT_T0_E_clISt17integral_constantIbLb0EESZ_EEDaSU_SV_EUlSU_E_NS1_11comp_targetILNS1_3genE0ELNS1_11target_archE4294967295ELNS1_3gpuE0ELNS1_3repE0EEENS1_30default_config_static_selectorELNS0_4arch9wavefront6targetE1EEEvT1_,comdat
.Lfunc_end533:
	.size	_ZN7rocprim17ROCPRIM_400000_NS6detail17trampoline_kernelINS0_14default_configENS1_27scan_by_key_config_selectorIiiEEZZNS1_16scan_by_key_implILNS1_25lookback_scan_determinismE0ELb1ES3_N6thrust23THRUST_200600_302600_NS6detail15normal_iteratorINS9_10device_ptrIiEEEESE_SE_iNS9_4plusIvEENS9_8equal_toIiEEiEE10hipError_tPvRmT2_T3_T4_T5_mT6_T7_P12ihipStream_tbENKUlT_T0_E_clISt17integral_constantIbLb0EESZ_EEDaSU_SV_EUlSU_E_NS1_11comp_targetILNS1_3genE0ELNS1_11target_archE4294967295ELNS1_3gpuE0ELNS1_3repE0EEENS1_30default_config_static_selectorELNS0_4arch9wavefront6targetE1EEEvT1_, .Lfunc_end533-_ZN7rocprim17ROCPRIM_400000_NS6detail17trampoline_kernelINS0_14default_configENS1_27scan_by_key_config_selectorIiiEEZZNS1_16scan_by_key_implILNS1_25lookback_scan_determinismE0ELb1ES3_N6thrust23THRUST_200600_302600_NS6detail15normal_iteratorINS9_10device_ptrIiEEEESE_SE_iNS9_4plusIvEENS9_8equal_toIiEEiEE10hipError_tPvRmT2_T3_T4_T5_mT6_T7_P12ihipStream_tbENKUlT_T0_E_clISt17integral_constantIbLb0EESZ_EEDaSU_SV_EUlSU_E_NS1_11comp_targetILNS1_3genE0ELNS1_11target_archE4294967295ELNS1_3gpuE0ELNS1_3repE0EEENS1_30default_config_static_selectorELNS0_4arch9wavefront6targetE1EEEvT1_
                                        ; -- End function
	.section	.AMDGPU.csdata,"",@progbits
; Kernel info:
; codeLenInByte = 0
; NumSgprs: 6
; NumVgprs: 0
; NumAgprs: 0
; TotalNumVgprs: 0
; ScratchSize: 0
; MemoryBound: 0
; FloatMode: 240
; IeeeMode: 1
; LDSByteSize: 0 bytes/workgroup (compile time only)
; SGPRBlocks: 0
; VGPRBlocks: 0
; NumSGPRsForWavesPerEU: 6
; NumVGPRsForWavesPerEU: 1
; AccumOffset: 4
; Occupancy: 8
; WaveLimiterHint : 0
; COMPUTE_PGM_RSRC2:SCRATCH_EN: 0
; COMPUTE_PGM_RSRC2:USER_SGPR: 2
; COMPUTE_PGM_RSRC2:TRAP_HANDLER: 0
; COMPUTE_PGM_RSRC2:TGID_X_EN: 1
; COMPUTE_PGM_RSRC2:TGID_Y_EN: 0
; COMPUTE_PGM_RSRC2:TGID_Z_EN: 0
; COMPUTE_PGM_RSRC2:TIDIG_COMP_CNT: 0
; COMPUTE_PGM_RSRC3_GFX90A:ACCUM_OFFSET: 0
; COMPUTE_PGM_RSRC3_GFX90A:TG_SPLIT: 0
	.section	.text._ZN7rocprim17ROCPRIM_400000_NS6detail17trampoline_kernelINS0_14default_configENS1_27scan_by_key_config_selectorIiiEEZZNS1_16scan_by_key_implILNS1_25lookback_scan_determinismE0ELb1ES3_N6thrust23THRUST_200600_302600_NS6detail15normal_iteratorINS9_10device_ptrIiEEEESE_SE_iNS9_4plusIvEENS9_8equal_toIiEEiEE10hipError_tPvRmT2_T3_T4_T5_mT6_T7_P12ihipStream_tbENKUlT_T0_E_clISt17integral_constantIbLb0EESZ_EEDaSU_SV_EUlSU_E_NS1_11comp_targetILNS1_3genE10ELNS1_11target_archE1201ELNS1_3gpuE5ELNS1_3repE0EEENS1_30default_config_static_selectorELNS0_4arch9wavefront6targetE1EEEvT1_,"axG",@progbits,_ZN7rocprim17ROCPRIM_400000_NS6detail17trampoline_kernelINS0_14default_configENS1_27scan_by_key_config_selectorIiiEEZZNS1_16scan_by_key_implILNS1_25lookback_scan_determinismE0ELb1ES3_N6thrust23THRUST_200600_302600_NS6detail15normal_iteratorINS9_10device_ptrIiEEEESE_SE_iNS9_4plusIvEENS9_8equal_toIiEEiEE10hipError_tPvRmT2_T3_T4_T5_mT6_T7_P12ihipStream_tbENKUlT_T0_E_clISt17integral_constantIbLb0EESZ_EEDaSU_SV_EUlSU_E_NS1_11comp_targetILNS1_3genE10ELNS1_11target_archE1201ELNS1_3gpuE5ELNS1_3repE0EEENS1_30default_config_static_selectorELNS0_4arch9wavefront6targetE1EEEvT1_,comdat
	.protected	_ZN7rocprim17ROCPRIM_400000_NS6detail17trampoline_kernelINS0_14default_configENS1_27scan_by_key_config_selectorIiiEEZZNS1_16scan_by_key_implILNS1_25lookback_scan_determinismE0ELb1ES3_N6thrust23THRUST_200600_302600_NS6detail15normal_iteratorINS9_10device_ptrIiEEEESE_SE_iNS9_4plusIvEENS9_8equal_toIiEEiEE10hipError_tPvRmT2_T3_T4_T5_mT6_T7_P12ihipStream_tbENKUlT_T0_E_clISt17integral_constantIbLb0EESZ_EEDaSU_SV_EUlSU_E_NS1_11comp_targetILNS1_3genE10ELNS1_11target_archE1201ELNS1_3gpuE5ELNS1_3repE0EEENS1_30default_config_static_selectorELNS0_4arch9wavefront6targetE1EEEvT1_ ; -- Begin function _ZN7rocprim17ROCPRIM_400000_NS6detail17trampoline_kernelINS0_14default_configENS1_27scan_by_key_config_selectorIiiEEZZNS1_16scan_by_key_implILNS1_25lookback_scan_determinismE0ELb1ES3_N6thrust23THRUST_200600_302600_NS6detail15normal_iteratorINS9_10device_ptrIiEEEESE_SE_iNS9_4plusIvEENS9_8equal_toIiEEiEE10hipError_tPvRmT2_T3_T4_T5_mT6_T7_P12ihipStream_tbENKUlT_T0_E_clISt17integral_constantIbLb0EESZ_EEDaSU_SV_EUlSU_E_NS1_11comp_targetILNS1_3genE10ELNS1_11target_archE1201ELNS1_3gpuE5ELNS1_3repE0EEENS1_30default_config_static_selectorELNS0_4arch9wavefront6targetE1EEEvT1_
	.globl	_ZN7rocprim17ROCPRIM_400000_NS6detail17trampoline_kernelINS0_14default_configENS1_27scan_by_key_config_selectorIiiEEZZNS1_16scan_by_key_implILNS1_25lookback_scan_determinismE0ELb1ES3_N6thrust23THRUST_200600_302600_NS6detail15normal_iteratorINS9_10device_ptrIiEEEESE_SE_iNS9_4plusIvEENS9_8equal_toIiEEiEE10hipError_tPvRmT2_T3_T4_T5_mT6_T7_P12ihipStream_tbENKUlT_T0_E_clISt17integral_constantIbLb0EESZ_EEDaSU_SV_EUlSU_E_NS1_11comp_targetILNS1_3genE10ELNS1_11target_archE1201ELNS1_3gpuE5ELNS1_3repE0EEENS1_30default_config_static_selectorELNS0_4arch9wavefront6targetE1EEEvT1_
	.p2align	8
	.type	_ZN7rocprim17ROCPRIM_400000_NS6detail17trampoline_kernelINS0_14default_configENS1_27scan_by_key_config_selectorIiiEEZZNS1_16scan_by_key_implILNS1_25lookback_scan_determinismE0ELb1ES3_N6thrust23THRUST_200600_302600_NS6detail15normal_iteratorINS9_10device_ptrIiEEEESE_SE_iNS9_4plusIvEENS9_8equal_toIiEEiEE10hipError_tPvRmT2_T3_T4_T5_mT6_T7_P12ihipStream_tbENKUlT_T0_E_clISt17integral_constantIbLb0EESZ_EEDaSU_SV_EUlSU_E_NS1_11comp_targetILNS1_3genE10ELNS1_11target_archE1201ELNS1_3gpuE5ELNS1_3repE0EEENS1_30default_config_static_selectorELNS0_4arch9wavefront6targetE1EEEvT1_,@function
_ZN7rocprim17ROCPRIM_400000_NS6detail17trampoline_kernelINS0_14default_configENS1_27scan_by_key_config_selectorIiiEEZZNS1_16scan_by_key_implILNS1_25lookback_scan_determinismE0ELb1ES3_N6thrust23THRUST_200600_302600_NS6detail15normal_iteratorINS9_10device_ptrIiEEEESE_SE_iNS9_4plusIvEENS9_8equal_toIiEEiEE10hipError_tPvRmT2_T3_T4_T5_mT6_T7_P12ihipStream_tbENKUlT_T0_E_clISt17integral_constantIbLb0EESZ_EEDaSU_SV_EUlSU_E_NS1_11comp_targetILNS1_3genE10ELNS1_11target_archE1201ELNS1_3gpuE5ELNS1_3repE0EEENS1_30default_config_static_selectorELNS0_4arch9wavefront6targetE1EEEvT1_: ; @_ZN7rocprim17ROCPRIM_400000_NS6detail17trampoline_kernelINS0_14default_configENS1_27scan_by_key_config_selectorIiiEEZZNS1_16scan_by_key_implILNS1_25lookback_scan_determinismE0ELb1ES3_N6thrust23THRUST_200600_302600_NS6detail15normal_iteratorINS9_10device_ptrIiEEEESE_SE_iNS9_4plusIvEENS9_8equal_toIiEEiEE10hipError_tPvRmT2_T3_T4_T5_mT6_T7_P12ihipStream_tbENKUlT_T0_E_clISt17integral_constantIbLb0EESZ_EEDaSU_SV_EUlSU_E_NS1_11comp_targetILNS1_3genE10ELNS1_11target_archE1201ELNS1_3gpuE5ELNS1_3repE0EEENS1_30default_config_static_selectorELNS0_4arch9wavefront6targetE1EEEvT1_
; %bb.0:
	.section	.rodata,"a",@progbits
	.p2align	6, 0x0
	.amdhsa_kernel _ZN7rocprim17ROCPRIM_400000_NS6detail17trampoline_kernelINS0_14default_configENS1_27scan_by_key_config_selectorIiiEEZZNS1_16scan_by_key_implILNS1_25lookback_scan_determinismE0ELb1ES3_N6thrust23THRUST_200600_302600_NS6detail15normal_iteratorINS9_10device_ptrIiEEEESE_SE_iNS9_4plusIvEENS9_8equal_toIiEEiEE10hipError_tPvRmT2_T3_T4_T5_mT6_T7_P12ihipStream_tbENKUlT_T0_E_clISt17integral_constantIbLb0EESZ_EEDaSU_SV_EUlSU_E_NS1_11comp_targetILNS1_3genE10ELNS1_11target_archE1201ELNS1_3gpuE5ELNS1_3repE0EEENS1_30default_config_static_selectorELNS0_4arch9wavefront6targetE1EEEvT1_
		.amdhsa_group_segment_fixed_size 0
		.amdhsa_private_segment_fixed_size 0
		.amdhsa_kernarg_size 112
		.amdhsa_user_sgpr_count 2
		.amdhsa_user_sgpr_dispatch_ptr 0
		.amdhsa_user_sgpr_queue_ptr 0
		.amdhsa_user_sgpr_kernarg_segment_ptr 1
		.amdhsa_user_sgpr_dispatch_id 0
		.amdhsa_user_sgpr_kernarg_preload_length 0
		.amdhsa_user_sgpr_kernarg_preload_offset 0
		.amdhsa_user_sgpr_private_segment_size 0
		.amdhsa_uses_dynamic_stack 0
		.amdhsa_enable_private_segment 0
		.amdhsa_system_sgpr_workgroup_id_x 1
		.amdhsa_system_sgpr_workgroup_id_y 0
		.amdhsa_system_sgpr_workgroup_id_z 0
		.amdhsa_system_sgpr_workgroup_info 0
		.amdhsa_system_vgpr_workitem_id 0
		.amdhsa_next_free_vgpr 1
		.amdhsa_next_free_sgpr 0
		.amdhsa_accum_offset 4
		.amdhsa_reserve_vcc 0
		.amdhsa_float_round_mode_32 0
		.amdhsa_float_round_mode_16_64 0
		.amdhsa_float_denorm_mode_32 3
		.amdhsa_float_denorm_mode_16_64 3
		.amdhsa_dx10_clamp 1
		.amdhsa_ieee_mode 1
		.amdhsa_fp16_overflow 0
		.amdhsa_tg_split 0
		.amdhsa_exception_fp_ieee_invalid_op 0
		.amdhsa_exception_fp_denorm_src 0
		.amdhsa_exception_fp_ieee_div_zero 0
		.amdhsa_exception_fp_ieee_overflow 0
		.amdhsa_exception_fp_ieee_underflow 0
		.amdhsa_exception_fp_ieee_inexact 0
		.amdhsa_exception_int_div_zero 0
	.end_amdhsa_kernel
	.section	.text._ZN7rocprim17ROCPRIM_400000_NS6detail17trampoline_kernelINS0_14default_configENS1_27scan_by_key_config_selectorIiiEEZZNS1_16scan_by_key_implILNS1_25lookback_scan_determinismE0ELb1ES3_N6thrust23THRUST_200600_302600_NS6detail15normal_iteratorINS9_10device_ptrIiEEEESE_SE_iNS9_4plusIvEENS9_8equal_toIiEEiEE10hipError_tPvRmT2_T3_T4_T5_mT6_T7_P12ihipStream_tbENKUlT_T0_E_clISt17integral_constantIbLb0EESZ_EEDaSU_SV_EUlSU_E_NS1_11comp_targetILNS1_3genE10ELNS1_11target_archE1201ELNS1_3gpuE5ELNS1_3repE0EEENS1_30default_config_static_selectorELNS0_4arch9wavefront6targetE1EEEvT1_,"axG",@progbits,_ZN7rocprim17ROCPRIM_400000_NS6detail17trampoline_kernelINS0_14default_configENS1_27scan_by_key_config_selectorIiiEEZZNS1_16scan_by_key_implILNS1_25lookback_scan_determinismE0ELb1ES3_N6thrust23THRUST_200600_302600_NS6detail15normal_iteratorINS9_10device_ptrIiEEEESE_SE_iNS9_4plusIvEENS9_8equal_toIiEEiEE10hipError_tPvRmT2_T3_T4_T5_mT6_T7_P12ihipStream_tbENKUlT_T0_E_clISt17integral_constantIbLb0EESZ_EEDaSU_SV_EUlSU_E_NS1_11comp_targetILNS1_3genE10ELNS1_11target_archE1201ELNS1_3gpuE5ELNS1_3repE0EEENS1_30default_config_static_selectorELNS0_4arch9wavefront6targetE1EEEvT1_,comdat
.Lfunc_end534:
	.size	_ZN7rocprim17ROCPRIM_400000_NS6detail17trampoline_kernelINS0_14default_configENS1_27scan_by_key_config_selectorIiiEEZZNS1_16scan_by_key_implILNS1_25lookback_scan_determinismE0ELb1ES3_N6thrust23THRUST_200600_302600_NS6detail15normal_iteratorINS9_10device_ptrIiEEEESE_SE_iNS9_4plusIvEENS9_8equal_toIiEEiEE10hipError_tPvRmT2_T3_T4_T5_mT6_T7_P12ihipStream_tbENKUlT_T0_E_clISt17integral_constantIbLb0EESZ_EEDaSU_SV_EUlSU_E_NS1_11comp_targetILNS1_3genE10ELNS1_11target_archE1201ELNS1_3gpuE5ELNS1_3repE0EEENS1_30default_config_static_selectorELNS0_4arch9wavefront6targetE1EEEvT1_, .Lfunc_end534-_ZN7rocprim17ROCPRIM_400000_NS6detail17trampoline_kernelINS0_14default_configENS1_27scan_by_key_config_selectorIiiEEZZNS1_16scan_by_key_implILNS1_25lookback_scan_determinismE0ELb1ES3_N6thrust23THRUST_200600_302600_NS6detail15normal_iteratorINS9_10device_ptrIiEEEESE_SE_iNS9_4plusIvEENS9_8equal_toIiEEiEE10hipError_tPvRmT2_T3_T4_T5_mT6_T7_P12ihipStream_tbENKUlT_T0_E_clISt17integral_constantIbLb0EESZ_EEDaSU_SV_EUlSU_E_NS1_11comp_targetILNS1_3genE10ELNS1_11target_archE1201ELNS1_3gpuE5ELNS1_3repE0EEENS1_30default_config_static_selectorELNS0_4arch9wavefront6targetE1EEEvT1_
                                        ; -- End function
	.section	.AMDGPU.csdata,"",@progbits
; Kernel info:
; codeLenInByte = 0
; NumSgprs: 6
; NumVgprs: 0
; NumAgprs: 0
; TotalNumVgprs: 0
; ScratchSize: 0
; MemoryBound: 0
; FloatMode: 240
; IeeeMode: 1
; LDSByteSize: 0 bytes/workgroup (compile time only)
; SGPRBlocks: 0
; VGPRBlocks: 0
; NumSGPRsForWavesPerEU: 6
; NumVGPRsForWavesPerEU: 1
; AccumOffset: 4
; Occupancy: 8
; WaveLimiterHint : 0
; COMPUTE_PGM_RSRC2:SCRATCH_EN: 0
; COMPUTE_PGM_RSRC2:USER_SGPR: 2
; COMPUTE_PGM_RSRC2:TRAP_HANDLER: 0
; COMPUTE_PGM_RSRC2:TGID_X_EN: 1
; COMPUTE_PGM_RSRC2:TGID_Y_EN: 0
; COMPUTE_PGM_RSRC2:TGID_Z_EN: 0
; COMPUTE_PGM_RSRC2:TIDIG_COMP_CNT: 0
; COMPUTE_PGM_RSRC3_GFX90A:ACCUM_OFFSET: 0
; COMPUTE_PGM_RSRC3_GFX90A:TG_SPLIT: 0
	.section	.text._ZN7rocprim17ROCPRIM_400000_NS6detail17trampoline_kernelINS0_14default_configENS1_27scan_by_key_config_selectorIiiEEZZNS1_16scan_by_key_implILNS1_25lookback_scan_determinismE0ELb1ES3_N6thrust23THRUST_200600_302600_NS6detail15normal_iteratorINS9_10device_ptrIiEEEESE_SE_iNS9_4plusIvEENS9_8equal_toIiEEiEE10hipError_tPvRmT2_T3_T4_T5_mT6_T7_P12ihipStream_tbENKUlT_T0_E_clISt17integral_constantIbLb0EESZ_EEDaSU_SV_EUlSU_E_NS1_11comp_targetILNS1_3genE5ELNS1_11target_archE942ELNS1_3gpuE9ELNS1_3repE0EEENS1_30default_config_static_selectorELNS0_4arch9wavefront6targetE1EEEvT1_,"axG",@progbits,_ZN7rocprim17ROCPRIM_400000_NS6detail17trampoline_kernelINS0_14default_configENS1_27scan_by_key_config_selectorIiiEEZZNS1_16scan_by_key_implILNS1_25lookback_scan_determinismE0ELb1ES3_N6thrust23THRUST_200600_302600_NS6detail15normal_iteratorINS9_10device_ptrIiEEEESE_SE_iNS9_4plusIvEENS9_8equal_toIiEEiEE10hipError_tPvRmT2_T3_T4_T5_mT6_T7_P12ihipStream_tbENKUlT_T0_E_clISt17integral_constantIbLb0EESZ_EEDaSU_SV_EUlSU_E_NS1_11comp_targetILNS1_3genE5ELNS1_11target_archE942ELNS1_3gpuE9ELNS1_3repE0EEENS1_30default_config_static_selectorELNS0_4arch9wavefront6targetE1EEEvT1_,comdat
	.protected	_ZN7rocprim17ROCPRIM_400000_NS6detail17trampoline_kernelINS0_14default_configENS1_27scan_by_key_config_selectorIiiEEZZNS1_16scan_by_key_implILNS1_25lookback_scan_determinismE0ELb1ES3_N6thrust23THRUST_200600_302600_NS6detail15normal_iteratorINS9_10device_ptrIiEEEESE_SE_iNS9_4plusIvEENS9_8equal_toIiEEiEE10hipError_tPvRmT2_T3_T4_T5_mT6_T7_P12ihipStream_tbENKUlT_T0_E_clISt17integral_constantIbLb0EESZ_EEDaSU_SV_EUlSU_E_NS1_11comp_targetILNS1_3genE5ELNS1_11target_archE942ELNS1_3gpuE9ELNS1_3repE0EEENS1_30default_config_static_selectorELNS0_4arch9wavefront6targetE1EEEvT1_ ; -- Begin function _ZN7rocprim17ROCPRIM_400000_NS6detail17trampoline_kernelINS0_14default_configENS1_27scan_by_key_config_selectorIiiEEZZNS1_16scan_by_key_implILNS1_25lookback_scan_determinismE0ELb1ES3_N6thrust23THRUST_200600_302600_NS6detail15normal_iteratorINS9_10device_ptrIiEEEESE_SE_iNS9_4plusIvEENS9_8equal_toIiEEiEE10hipError_tPvRmT2_T3_T4_T5_mT6_T7_P12ihipStream_tbENKUlT_T0_E_clISt17integral_constantIbLb0EESZ_EEDaSU_SV_EUlSU_E_NS1_11comp_targetILNS1_3genE5ELNS1_11target_archE942ELNS1_3gpuE9ELNS1_3repE0EEENS1_30default_config_static_selectorELNS0_4arch9wavefront6targetE1EEEvT1_
	.globl	_ZN7rocprim17ROCPRIM_400000_NS6detail17trampoline_kernelINS0_14default_configENS1_27scan_by_key_config_selectorIiiEEZZNS1_16scan_by_key_implILNS1_25lookback_scan_determinismE0ELb1ES3_N6thrust23THRUST_200600_302600_NS6detail15normal_iteratorINS9_10device_ptrIiEEEESE_SE_iNS9_4plusIvEENS9_8equal_toIiEEiEE10hipError_tPvRmT2_T3_T4_T5_mT6_T7_P12ihipStream_tbENKUlT_T0_E_clISt17integral_constantIbLb0EESZ_EEDaSU_SV_EUlSU_E_NS1_11comp_targetILNS1_3genE5ELNS1_11target_archE942ELNS1_3gpuE9ELNS1_3repE0EEENS1_30default_config_static_selectorELNS0_4arch9wavefront6targetE1EEEvT1_
	.p2align	8
	.type	_ZN7rocprim17ROCPRIM_400000_NS6detail17trampoline_kernelINS0_14default_configENS1_27scan_by_key_config_selectorIiiEEZZNS1_16scan_by_key_implILNS1_25lookback_scan_determinismE0ELb1ES3_N6thrust23THRUST_200600_302600_NS6detail15normal_iteratorINS9_10device_ptrIiEEEESE_SE_iNS9_4plusIvEENS9_8equal_toIiEEiEE10hipError_tPvRmT2_T3_T4_T5_mT6_T7_P12ihipStream_tbENKUlT_T0_E_clISt17integral_constantIbLb0EESZ_EEDaSU_SV_EUlSU_E_NS1_11comp_targetILNS1_3genE5ELNS1_11target_archE942ELNS1_3gpuE9ELNS1_3repE0EEENS1_30default_config_static_selectorELNS0_4arch9wavefront6targetE1EEEvT1_,@function
_ZN7rocprim17ROCPRIM_400000_NS6detail17trampoline_kernelINS0_14default_configENS1_27scan_by_key_config_selectorIiiEEZZNS1_16scan_by_key_implILNS1_25lookback_scan_determinismE0ELb1ES3_N6thrust23THRUST_200600_302600_NS6detail15normal_iteratorINS9_10device_ptrIiEEEESE_SE_iNS9_4plusIvEENS9_8equal_toIiEEiEE10hipError_tPvRmT2_T3_T4_T5_mT6_T7_P12ihipStream_tbENKUlT_T0_E_clISt17integral_constantIbLb0EESZ_EEDaSU_SV_EUlSU_E_NS1_11comp_targetILNS1_3genE5ELNS1_11target_archE942ELNS1_3gpuE9ELNS1_3repE0EEENS1_30default_config_static_selectorELNS0_4arch9wavefront6targetE1EEEvT1_: ; @_ZN7rocprim17ROCPRIM_400000_NS6detail17trampoline_kernelINS0_14default_configENS1_27scan_by_key_config_selectorIiiEEZZNS1_16scan_by_key_implILNS1_25lookback_scan_determinismE0ELb1ES3_N6thrust23THRUST_200600_302600_NS6detail15normal_iteratorINS9_10device_ptrIiEEEESE_SE_iNS9_4plusIvEENS9_8equal_toIiEEiEE10hipError_tPvRmT2_T3_T4_T5_mT6_T7_P12ihipStream_tbENKUlT_T0_E_clISt17integral_constantIbLb0EESZ_EEDaSU_SV_EUlSU_E_NS1_11comp_targetILNS1_3genE5ELNS1_11target_archE942ELNS1_3gpuE9ELNS1_3repE0EEENS1_30default_config_static_selectorELNS0_4arch9wavefront6targetE1EEEvT1_
; %bb.0:
	s_load_dwordx8 s[48:55], s[0:1], 0x0
	s_load_dword s76, s[0:1], 0x20
	s_load_dwordx4 s[56:59], s[0:1], 0x28
	s_load_dwordx2 s[68:69], s[0:1], 0x38
	s_load_dword s3, s[0:1], 0x40
	s_load_dwordx4 s[60:63], s[0:1], 0x48
	s_waitcnt lgkmcnt(0)
	s_lshl_b64 s[64:65], s[50:51], 2
	s_add_u32 s4, s48, s64
	s_addc_u32 s5, s49, s65
	s_add_u32 s6, s52, s64
	s_mul_i32 s0, s69, s3
	s_mul_hi_u32 s1, s68, s3
	s_addc_u32 s7, s53, s65
	s_add_i32 s8, s1, s0
	s_mul_i32 s0, s2, 0x1700
	s_mov_b32 s1, 0
	s_lshl_b64 s[66:67], s[0:1], 2
	s_add_u32 s70, s4, s66
	s_addc_u32 s71, s5, s67
	s_add_u32 s52, s6, s66
	s_mul_i32 s3, s68, s3
	s_addc_u32 s53, s7, s67
	s_add_u32 s0, s3, s2
	s_addc_u32 s1, s8, 0
	s_add_u32 s6, s60, -1
	s_addc_u32 s7, s61, -1
	v_mov_b64_e32 v[2:3], s[6:7]
	v_cmp_ge_u64_e64 s[0:1], s[0:1], v[2:3]
	s_mov_b64 s[4:5], -1
	s_and_b64 vcc, exec, s[0:1]
	s_mul_i32 s33, s6, 0xffffe900
	s_barrier
	s_cbranch_vccz .LBB535_71
; %bb.1:
	v_mov_b64_e32 v[2:3], s[70:71]
	flat_load_dword v1, v[2:3]
	s_add_i32 s3, s33, s58
	v_cmp_gt_u32_e32 vcc, s3, v0
	s_waitcnt vmcnt(0) lgkmcnt(0)
	v_mov_b32_e32 v4, v1
	s_and_saveexec_b64 s[4:5], vcc
	s_cbranch_execz .LBB535_3
; %bb.2:
	v_lshlrev_b32_e32 v2, 2, v0
	v_mov_b32_e32 v3, 0
	v_lshl_add_u64 v[2:3], s[70:71], 0, v[2:3]
	flat_load_dword v4, v[2:3]
.LBB535_3:
	s_or_b64 exec, exec, s[4:5]
	v_or_b32_e32 v2, 0x100, v0
	v_cmp_gt_u32_e64 s[48:49], s3, v2
	v_mov_b32_e32 v5, v1
	s_and_saveexec_b64 s[4:5], s[48:49]
	s_cbranch_execz .LBB535_5
; %bb.4:
	v_lshlrev_b32_e32 v2, 2, v0
	v_mov_b32_e32 v3, 0
	v_lshl_add_u64 v[2:3], s[70:71], 0, v[2:3]
	flat_load_dword v5, v[2:3] offset:1024
.LBB535_5:
	s_or_b64 exec, exec, s[4:5]
	v_or_b32_e32 v2, 0x200, v0
	v_cmp_gt_u32_e64 s[4:5], s3, v2
	v_mov_b32_e32 v6, v1
	s_and_saveexec_b64 s[6:7], s[4:5]
	s_cbranch_execz .LBB535_7
; %bb.6:
	v_lshlrev_b32_e32 v2, 2, v0
	v_mov_b32_e32 v3, 0
	v_lshl_add_u64 v[2:3], s[70:71], 0, v[2:3]
	flat_load_dword v6, v[2:3] offset:2048
.LBB535_7:
	;; [unrolled: 12-line block ×3, first 2 shown]
	s_or_b64 exec, exec, s[8:9]
	v_or_b32_e32 v2, 0x400, v0
	v_cmp_gt_u32_e64 s[8:9], s3, v2
	v_lshlrev_b32_e32 v2, 2, v2
	v_mov_b32_e32 v3, v1
	s_and_saveexec_b64 s[10:11], s[8:9]
	s_cbranch_execz .LBB535_11
; %bb.10:
	v_mov_b32_e32 v3, 0
	v_lshl_add_u64 v[8:9], s[70:71], 0, v[2:3]
	flat_load_dword v3, v[8:9]
.LBB535_11:
	s_or_b64 exec, exec, s[10:11]
	v_or_b32_e32 v8, 0x500, v0
	v_cmp_gt_u32_e64 s[10:11], s3, v8
	v_lshlrev_b32_e32 v10, 2, v8
	v_mov_b32_e32 v8, v1
	s_and_saveexec_b64 s[12:13], s[10:11]
	s_cbranch_execz .LBB535_13
; %bb.12:
	v_mov_b32_e32 v11, 0
	v_lshl_add_u64 v[8:9], s[70:71], 0, v[10:11]
	flat_load_dword v8, v[8:9]
.LBB535_13:
	s_or_b64 exec, exec, s[12:13]
	v_or_b32_e32 v9, 0x600, v0
	v_cmp_gt_u32_e64 s[12:13], s3, v9
	v_lshlrev_b32_e32 v12, 2, v9
	v_mov_b32_e32 v9, v1
	s_and_saveexec_b64 s[14:15], s[12:13]
	s_cbranch_execz .LBB535_15
; %bb.14:
	v_mov_b32_e32 v13, 0
	v_lshl_add_u64 v[14:15], s[70:71], 0, v[12:13]
	flat_load_dword v9, v[14:15]
.LBB535_15:
	s_or_b64 exec, exec, s[14:15]
	v_or_b32_e32 v11, 0x700, v0
	v_cmp_gt_u32_e64 s[14:15], s3, v11
	v_lshlrev_b32_e32 v14, 2, v11
	v_mov_b32_e32 v11, v1
	s_and_saveexec_b64 s[16:17], s[14:15]
	s_cbranch_execz .LBB535_17
; %bb.16:
	v_mov_b32_e32 v15, 0
	v_lshl_add_u64 v[16:17], s[70:71], 0, v[14:15]
	flat_load_dword v11, v[16:17]
.LBB535_17:
	s_or_b64 exec, exec, s[16:17]
	v_or_b32_e32 v13, 0x800, v0
	v_cmp_gt_u32_e64 s[16:17], s3, v13
	v_lshlrev_b32_e32 v16, 2, v13
	v_mov_b32_e32 v13, v1
	s_and_saveexec_b64 s[18:19], s[16:17]
	s_cbranch_execz .LBB535_19
; %bb.18:
	v_mov_b32_e32 v17, 0
	v_lshl_add_u64 v[18:19], s[70:71], 0, v[16:17]
	flat_load_dword v13, v[18:19]
.LBB535_19:
	s_or_b64 exec, exec, s[18:19]
	v_or_b32_e32 v15, 0x900, v0
	v_cmp_gt_u32_e64 s[18:19], s3, v15
	v_lshlrev_b32_e32 v18, 2, v15
	v_mov_b32_e32 v15, v1
	s_and_saveexec_b64 s[20:21], s[18:19]
	s_cbranch_execz .LBB535_21
; %bb.20:
	v_mov_b32_e32 v19, 0
	v_lshl_add_u64 v[20:21], s[70:71], 0, v[18:19]
	flat_load_dword v15, v[20:21]
.LBB535_21:
	s_or_b64 exec, exec, s[20:21]
	v_or_b32_e32 v17, 0xa00, v0
	v_cmp_gt_u32_e64 s[20:21], s3, v17
	v_lshlrev_b32_e32 v20, 2, v17
	v_mov_b32_e32 v17, v1
	s_and_saveexec_b64 s[22:23], s[20:21]
	s_cbranch_execz .LBB535_23
; %bb.22:
	v_mov_b32_e32 v21, 0
	v_lshl_add_u64 v[22:23], s[70:71], 0, v[20:21]
	flat_load_dword v17, v[22:23]
.LBB535_23:
	s_or_b64 exec, exec, s[22:23]
	v_or_b32_e32 v19, 0xb00, v0
	v_cmp_gt_u32_e64 s[22:23], s3, v19
	v_lshlrev_b32_e32 v22, 2, v19
	v_mov_b32_e32 v19, v1
	s_and_saveexec_b64 s[24:25], s[22:23]
	s_cbranch_execz .LBB535_25
; %bb.24:
	v_mov_b32_e32 v23, 0
	v_lshl_add_u64 v[24:25], s[70:71], 0, v[22:23]
	flat_load_dword v19, v[24:25]
.LBB535_25:
	s_or_b64 exec, exec, s[24:25]
	v_or_b32_e32 v21, 0xc00, v0
	v_cmp_gt_u32_e64 s[24:25], s3, v21
	v_lshlrev_b32_e32 v24, 2, v21
	v_mov_b32_e32 v21, v1
	s_and_saveexec_b64 s[26:27], s[24:25]
	s_cbranch_execz .LBB535_27
; %bb.26:
	v_mov_b32_e32 v25, 0
	v_lshl_add_u64 v[26:27], s[70:71], 0, v[24:25]
	flat_load_dword v21, v[26:27]
.LBB535_27:
	s_or_b64 exec, exec, s[26:27]
	v_or_b32_e32 v23, 0xd00, v0
	v_cmp_gt_u32_e64 s[26:27], s3, v23
	v_lshlrev_b32_e32 v26, 2, v23
	v_mov_b32_e32 v23, v1
	s_and_saveexec_b64 s[28:29], s[26:27]
	s_cbranch_execz .LBB535_29
; %bb.28:
	v_mov_b32_e32 v27, 0
	v_lshl_add_u64 v[28:29], s[70:71], 0, v[26:27]
	flat_load_dword v23, v[28:29]
.LBB535_29:
	s_or_b64 exec, exec, s[28:29]
	v_or_b32_e32 v25, 0xe00, v0
	v_cmp_gt_u32_e64 s[28:29], s3, v25
	v_lshlrev_b32_e32 v28, 2, v25
	v_mov_b32_e32 v25, v1
	s_and_saveexec_b64 s[30:31], s[28:29]
	s_cbranch_execz .LBB535_31
; %bb.30:
	v_mov_b32_e32 v29, 0
	v_lshl_add_u64 v[30:31], s[70:71], 0, v[28:29]
	flat_load_dword v25, v[30:31]
.LBB535_31:
	s_or_b64 exec, exec, s[30:31]
	v_or_b32_e32 v27, 0xf00, v0
	v_cmp_gt_u32_e64 s[30:31], s3, v27
	v_lshlrev_b32_e32 v30, 2, v27
	v_mov_b32_e32 v27, v1
	s_and_saveexec_b64 s[34:35], s[30:31]
	s_cbranch_execz .LBB535_33
; %bb.32:
	v_mov_b32_e32 v31, 0
	v_lshl_add_u64 v[32:33], s[70:71], 0, v[30:31]
	flat_load_dword v27, v[32:33]
.LBB535_33:
	s_or_b64 exec, exec, s[34:35]
	v_or_b32_e32 v29, 0x1000, v0
	v_cmp_gt_u32_e64 s[34:35], s3, v29
	v_lshlrev_b32_e32 v32, 2, v29
	v_mov_b32_e32 v29, v1
	s_and_saveexec_b64 s[36:37], s[34:35]
	s_cbranch_execz .LBB535_35
; %bb.34:
	v_mov_b32_e32 v33, 0
	v_lshl_add_u64 v[34:35], s[70:71], 0, v[32:33]
	flat_load_dword v29, v[34:35]
.LBB535_35:
	s_or_b64 exec, exec, s[36:37]
	v_or_b32_e32 v31, 0x1100, v0
	v_cmp_gt_u32_e64 s[36:37], s3, v31
	v_lshlrev_b32_e32 v34, 2, v31
	v_mov_b32_e32 v31, v1
	s_and_saveexec_b64 s[38:39], s[36:37]
	s_cbranch_execz .LBB535_37
; %bb.36:
	v_mov_b32_e32 v35, 0
	v_lshl_add_u64 v[36:37], s[70:71], 0, v[34:35]
	flat_load_dword v31, v[36:37]
.LBB535_37:
	s_or_b64 exec, exec, s[38:39]
	v_or_b32_e32 v33, 0x1200, v0
	v_cmp_gt_u32_e64 s[38:39], s3, v33
	v_lshlrev_b32_e32 v36, 2, v33
	v_mov_b32_e32 v33, v1
	s_and_saveexec_b64 s[40:41], s[38:39]
	s_cbranch_execz .LBB535_39
; %bb.38:
	v_mov_b32_e32 v37, 0
	v_lshl_add_u64 v[38:39], s[70:71], 0, v[36:37]
	flat_load_dword v33, v[38:39]
.LBB535_39:
	s_or_b64 exec, exec, s[40:41]
	v_or_b32_e32 v35, 0x1300, v0
	v_cmp_gt_u32_e64 s[40:41], s3, v35
	v_lshlrev_b32_e32 v38, 2, v35
	v_mov_b32_e32 v35, v1
	s_and_saveexec_b64 s[42:43], s[40:41]
	s_cbranch_execz .LBB535_41
; %bb.40:
	v_mov_b32_e32 v39, 0
	v_lshl_add_u64 v[40:41], s[70:71], 0, v[38:39]
	flat_load_dword v35, v[40:41]
.LBB535_41:
	s_or_b64 exec, exec, s[42:43]
	v_or_b32_e32 v37, 0x1400, v0
	v_cmp_gt_u32_e64 s[42:43], s3, v37
	v_lshlrev_b32_e32 v40, 2, v37
	v_mov_b32_e32 v37, v1
	s_and_saveexec_b64 s[44:45], s[42:43]
	s_cbranch_execz .LBB535_43
; %bb.42:
	v_mov_b32_e32 v41, 0
	v_lshl_add_u64 v[42:43], s[70:71], 0, v[40:41]
	flat_load_dword v37, v[42:43]
.LBB535_43:
	s_or_b64 exec, exec, s[44:45]
	v_or_b32_e32 v39, 0x1500, v0
	v_cmp_gt_u32_e64 s[44:45], s3, v39
	v_lshlrev_b32_e32 v42, 2, v39
	v_mov_b32_e32 v39, v1
	s_and_saveexec_b64 s[46:47], s[44:45]
	s_cbranch_execz .LBB535_45
; %bb.44:
	v_mov_b32_e32 v43, 0
	v_lshl_add_u64 v[44:45], s[70:71], 0, v[42:43]
	flat_load_dword v39, v[44:45]
.LBB535_45:
	s_or_b64 exec, exec, s[46:47]
	v_or_b32_e32 v41, 0x1600, v0
	v_cmp_gt_u32_e64 s[46:47], s3, v41
	v_lshlrev_b32_e32 v44, 2, v41
	s_and_saveexec_b64 s[50:51], s[46:47]
	s_cbranch_execz .LBB535_47
; %bb.46:
	v_mov_b32_e32 v45, 0
	v_lshl_add_u64 v[46:47], s[70:71], 0, v[44:45]
	flat_load_dword v1, v[46:47]
.LBB535_47:
	s_or_b64 exec, exec, s[50:51]
	v_lshlrev_b32_e32 v46, 2, v0
	s_waitcnt vmcnt(0) lgkmcnt(0)
	ds_write2st64_b32 v46, v4, v5 offset1:4
	ds_write2st64_b32 v46, v6, v7 offset0:8 offset1:12
	ds_write2st64_b32 v46, v3, v8 offset0:16 offset1:20
	;; [unrolled: 1-line block ×10, first 2 shown]
	ds_write_b32 v46, v1 offset:22528
	v_mov_b64_e32 v[4:5], s[70:71]
	s_waitcnt lgkmcnt(0)
	s_barrier
	flat_load_dword v1, v[4:5]
	s_movk_i32 s50, 0x58
	v_mad_u32_u24 v70, v0, s50, v46
	s_movk_i32 s50, 0xffa8
	v_mad_i32_i24 v3, v0, s50, v70
	s_movk_i32 s50, 0xff
	v_cmp_ne_u32_e64 s[50:51], s50, v0
	ds_read_b32 v72, v70
	ds_read2_b32 v[68:69], v70 offset0:1 offset1:2
	ds_read2_b32 v[66:67], v70 offset0:3 offset1:4
	;; [unrolled: 1-line block ×11, first 2 shown]
	s_waitcnt lgkmcnt(0)
	ds_write_b32 v3, v72 offset:24576
	s_waitcnt lgkmcnt(0)
	s_barrier
	s_and_saveexec_b64 s[60:61], s[50:51]
	s_cbranch_execz .LBB535_49
; %bb.48:
	s_waitcnt vmcnt(0)
	ds_read_b32 v1, v46 offset:24580
.LBB535_49:
	s_or_b64 exec, exec, s[60:61]
	v_mov_b32_e32 v47, 0
	s_waitcnt lgkmcnt(0)
	s_barrier
	s_waitcnt lgkmcnt(0)
                                        ; implicit-def: $vgpr48
	s_and_saveexec_b64 s[50:51], vcc
	s_cbranch_execz .LBB535_72
; %bb.50:
	v_lshl_add_u64 v[48:49], s[52:53], 0, v[46:47]
	flat_load_dword v48, v[48:49]
	s_or_b64 exec, exec, s[50:51]
                                        ; implicit-def: $vgpr49
	s_and_saveexec_b64 s[50:51], s[48:49]
	s_cbranch_execnz .LBB535_73
.LBB535_51:
	s_or_b64 exec, exec, s[50:51]
                                        ; implicit-def: $vgpr50
	s_and_saveexec_b64 s[48:49], s[4:5]
	s_cbranch_execz .LBB535_74
.LBB535_52:
	v_mov_b32_e32 v47, 0
	v_lshl_add_u64 v[50:51], s[52:53], 0, v[46:47]
	flat_load_dword v50, v[50:51] offset:2048
	s_or_b64 exec, exec, s[48:49]
                                        ; implicit-def: $vgpr47
	s_and_saveexec_b64 s[4:5], s[6:7]
	s_cbranch_execnz .LBB535_75
.LBB535_53:
	s_or_b64 exec, exec, s[4:5]
                                        ; implicit-def: $vgpr3
	s_and_saveexec_b64 s[4:5], s[8:9]
	s_cbranch_execz .LBB535_76
.LBB535_54:
	v_mov_b32_e32 v3, 0
	v_lshl_add_u64 v[2:3], s[52:53], 0, v[2:3]
	flat_load_dword v3, v[2:3]
	s_or_b64 exec, exec, s[4:5]
                                        ; implicit-def: $vgpr2
	s_and_saveexec_b64 s[4:5], s[10:11]
	s_cbranch_execnz .LBB535_77
.LBB535_55:
	s_or_b64 exec, exec, s[4:5]
                                        ; implicit-def: $vgpr10
	s_and_saveexec_b64 s[4:5], s[12:13]
	s_cbranch_execz .LBB535_78
.LBB535_56:
	v_mov_b32_e32 v13, 0
	v_lshl_add_u64 v[10:11], s[52:53], 0, v[12:13]
	flat_load_dword v10, v[10:11]
	s_or_b64 exec, exec, s[4:5]
                                        ; implicit-def: $vgpr11
	s_and_saveexec_b64 s[4:5], s[14:15]
	s_cbranch_execnz .LBB535_79
.LBB535_57:
	s_or_b64 exec, exec, s[4:5]
                                        ; implicit-def: $vgpr12
	s_and_saveexec_b64 s[4:5], s[16:17]
	s_cbranch_execz .LBB535_80
.LBB535_58:
	v_mov_b32_e32 v17, 0
	v_lshl_add_u64 v[12:13], s[52:53], 0, v[16:17]
	flat_load_dword v12, v[12:13]
	s_or_b64 exec, exec, s[4:5]
                                        ; implicit-def: $vgpr13
	s_and_saveexec_b64 s[4:5], s[18:19]
	s_cbranch_execnz .LBB535_81
.LBB535_59:
	s_or_b64 exec, exec, s[4:5]
                                        ; implicit-def: $vgpr14
	s_and_saveexec_b64 s[4:5], s[20:21]
	s_cbranch_execz .LBB535_82
.LBB535_60:
	v_mov_b32_e32 v21, 0
	v_lshl_add_u64 v[14:15], s[52:53], 0, v[20:21]
	flat_load_dword v14, v[14:15]
	s_or_b64 exec, exec, s[4:5]
                                        ; implicit-def: $vgpr15
	s_and_saveexec_b64 s[4:5], s[22:23]
	s_cbranch_execnz .LBB535_83
.LBB535_61:
	s_or_b64 exec, exec, s[4:5]
                                        ; implicit-def: $vgpr16
	s_and_saveexec_b64 s[4:5], s[24:25]
	s_cbranch_execz .LBB535_84
.LBB535_62:
	v_mov_b32_e32 v25, 0
	v_lshl_add_u64 v[16:17], s[52:53], 0, v[24:25]
	flat_load_dword v16, v[16:17]
	s_or_b64 exec, exec, s[4:5]
                                        ; implicit-def: $vgpr17
	s_and_saveexec_b64 s[4:5], s[26:27]
	s_cbranch_execnz .LBB535_85
.LBB535_63:
	s_or_b64 exec, exec, s[4:5]
                                        ; implicit-def: $vgpr18
	s_and_saveexec_b64 s[4:5], s[28:29]
	s_cbranch_execz .LBB535_86
.LBB535_64:
	v_mov_b32_e32 v29, 0
	v_lshl_add_u64 v[18:19], s[52:53], 0, v[28:29]
	flat_load_dword v18, v[18:19]
	s_or_b64 exec, exec, s[4:5]
                                        ; implicit-def: $vgpr19
	s_and_saveexec_b64 s[4:5], s[30:31]
	s_cbranch_execnz .LBB535_87
.LBB535_65:
	s_or_b64 exec, exec, s[4:5]
                                        ; implicit-def: $vgpr20
	s_and_saveexec_b64 s[4:5], s[34:35]
	s_cbranch_execz .LBB535_88
.LBB535_66:
	v_mov_b32_e32 v33, 0
	v_lshl_add_u64 v[20:21], s[52:53], 0, v[32:33]
	flat_load_dword v20, v[20:21]
	s_or_b64 exec, exec, s[4:5]
                                        ; implicit-def: $vgpr21
	s_and_saveexec_b64 s[4:5], s[36:37]
	s_cbranch_execnz .LBB535_89
.LBB535_67:
	s_or_b64 exec, exec, s[4:5]
                                        ; implicit-def: $vgpr22
	s_and_saveexec_b64 s[4:5], s[38:39]
	s_cbranch_execz .LBB535_90
.LBB535_68:
	v_mov_b32_e32 v37, 0
	v_lshl_add_u64 v[22:23], s[52:53], 0, v[36:37]
	flat_load_dword v22, v[22:23]
	s_or_b64 exec, exec, s[4:5]
                                        ; implicit-def: $vgpr23
	s_and_saveexec_b64 s[4:5], s[40:41]
	s_cbranch_execnz .LBB535_91
.LBB535_69:
	s_or_b64 exec, exec, s[4:5]
                                        ; implicit-def: $vgpr24
	s_and_saveexec_b64 s[4:5], s[42:43]
	s_cbranch_execz .LBB535_92
.LBB535_70:
	v_mov_b32_e32 v41, 0
	v_lshl_add_u64 v[24:25], s[52:53], 0, v[40:41]
	flat_load_dword v24, v[24:25]
	s_or_b64 exec, exec, s[4:5]
                                        ; implicit-def: $vgpr25
	s_and_saveexec_b64 s[4:5], s[44:45]
	s_cbranch_execz .LBB535_94
	s_branch .LBB535_93
.LBB535_71:
	s_mov_b64 s[10:11], 0
                                        ; implicit-def: $sgpr8_sgpr9
                                        ; implicit-def: $vgpr2
                                        ; implicit-def: $vgpr10_vgpr11
                                        ; implicit-def: $vgpr12_vgpr13
                                        ; implicit-def: $vgpr14_vgpr15
                                        ; implicit-def: $vgpr16_vgpr17
                                        ; implicit-def: $vgpr18_vgpr19
                                        ; implicit-def: $vgpr20_vgpr21
                                        ; implicit-def: $vgpr22_vgpr23
                                        ; implicit-def: $vgpr24_vgpr25
                                        ; implicit-def: $vgpr26_vgpr27
                                        ; implicit-def: $vgpr28_vgpr29
                                        ; implicit-def: $vgpr30_vgpr31
                                        ; implicit-def: $vgpr32_vgpr33
                                        ; implicit-def: $vgpr34_vgpr35
                                        ; implicit-def: $vgpr36_vgpr37
                                        ; implicit-def: $vgpr38_vgpr39
                                        ; implicit-def: $vgpr40_vgpr41
                                        ; implicit-def: $vgpr42_vgpr43
                                        ; implicit-def: $vgpr44_vgpr45
                                        ; implicit-def: $vgpr46_vgpr47
                                        ; implicit-def: $vgpr48_vgpr49
                                        ; implicit-def: $vgpr50_vgpr51
                                        ; implicit-def: $vgpr52_vgpr53
                                        ; implicit-def: $sgpr6_sgpr7
	s_and_b64 vcc, exec, s[4:5]
	v_lshlrev_b32_e32 v54, 2, v0
	s_cbranch_vccz .LBB535_148
	s_branch .LBB535_143
.LBB535_72:
	s_or_b64 exec, exec, s[50:51]
                                        ; implicit-def: $vgpr49
	s_and_saveexec_b64 s[50:51], s[48:49]
	s_cbranch_execz .LBB535_51
.LBB535_73:
	v_mov_b32_e32 v47, 0
	v_lshl_add_u64 v[50:51], s[52:53], 0, v[46:47]
	flat_load_dword v49, v[50:51] offset:1024
	s_or_b64 exec, exec, s[50:51]
                                        ; implicit-def: $vgpr50
	s_and_saveexec_b64 s[48:49], s[4:5]
	s_cbranch_execnz .LBB535_52
.LBB535_74:
	s_or_b64 exec, exec, s[48:49]
                                        ; implicit-def: $vgpr47
	s_and_saveexec_b64 s[4:5], s[6:7]
	s_cbranch_execz .LBB535_53
.LBB535_75:
	v_mov_b32_e32 v47, 0
	v_lshl_add_u64 v[52:53], s[52:53], 0, v[46:47]
	flat_load_dword v47, v[52:53] offset:3072
	s_or_b64 exec, exec, s[4:5]
                                        ; implicit-def: $vgpr3
	s_and_saveexec_b64 s[4:5], s[8:9]
	s_cbranch_execnz .LBB535_54
.LBB535_76:
	s_or_b64 exec, exec, s[4:5]
                                        ; implicit-def: $vgpr2
	s_and_saveexec_b64 s[4:5], s[10:11]
	s_cbranch_execz .LBB535_55
.LBB535_77:
	v_mov_b32_e32 v11, 0
	v_lshl_add_u64 v[10:11], s[52:53], 0, v[10:11]
	flat_load_dword v2, v[10:11]
	s_or_b64 exec, exec, s[4:5]
                                        ; implicit-def: $vgpr10
	s_and_saveexec_b64 s[4:5], s[12:13]
	s_cbranch_execnz .LBB535_56
.LBB535_78:
	s_or_b64 exec, exec, s[4:5]
                                        ; implicit-def: $vgpr11
	s_and_saveexec_b64 s[4:5], s[14:15]
	s_cbranch_execz .LBB535_57
.LBB535_79:
	v_mov_b32_e32 v15, 0
	v_lshl_add_u64 v[12:13], s[52:53], 0, v[14:15]
	flat_load_dword v11, v[12:13]
	s_or_b64 exec, exec, s[4:5]
                                        ; implicit-def: $vgpr12
	s_and_saveexec_b64 s[4:5], s[16:17]
	s_cbranch_execnz .LBB535_58
.LBB535_80:
	s_or_b64 exec, exec, s[4:5]
                                        ; implicit-def: $vgpr13
	s_and_saveexec_b64 s[4:5], s[18:19]
	s_cbranch_execz .LBB535_59
.LBB535_81:
	v_mov_b32_e32 v19, 0
	v_lshl_add_u64 v[14:15], s[52:53], 0, v[18:19]
	flat_load_dword v13, v[14:15]
	s_or_b64 exec, exec, s[4:5]
                                        ; implicit-def: $vgpr14
	s_and_saveexec_b64 s[4:5], s[20:21]
	s_cbranch_execnz .LBB535_60
.LBB535_82:
	s_or_b64 exec, exec, s[4:5]
                                        ; implicit-def: $vgpr15
	s_and_saveexec_b64 s[4:5], s[22:23]
	s_cbranch_execz .LBB535_61
.LBB535_83:
	v_mov_b32_e32 v23, 0
	v_lshl_add_u64 v[16:17], s[52:53], 0, v[22:23]
	flat_load_dword v15, v[16:17]
	s_or_b64 exec, exec, s[4:5]
                                        ; implicit-def: $vgpr16
	s_and_saveexec_b64 s[4:5], s[24:25]
	s_cbranch_execnz .LBB535_62
.LBB535_84:
	s_or_b64 exec, exec, s[4:5]
                                        ; implicit-def: $vgpr17
	s_and_saveexec_b64 s[4:5], s[26:27]
	s_cbranch_execz .LBB535_63
.LBB535_85:
	v_mov_b32_e32 v27, 0
	v_lshl_add_u64 v[18:19], s[52:53], 0, v[26:27]
	flat_load_dword v17, v[18:19]
	s_or_b64 exec, exec, s[4:5]
                                        ; implicit-def: $vgpr18
	s_and_saveexec_b64 s[4:5], s[28:29]
	s_cbranch_execnz .LBB535_64
.LBB535_86:
	s_or_b64 exec, exec, s[4:5]
                                        ; implicit-def: $vgpr19
	s_and_saveexec_b64 s[4:5], s[30:31]
	s_cbranch_execz .LBB535_65
.LBB535_87:
	v_mov_b32_e32 v31, 0
	v_lshl_add_u64 v[20:21], s[52:53], 0, v[30:31]
	flat_load_dword v19, v[20:21]
	s_or_b64 exec, exec, s[4:5]
                                        ; implicit-def: $vgpr20
	s_and_saveexec_b64 s[4:5], s[34:35]
	s_cbranch_execnz .LBB535_66
.LBB535_88:
	s_or_b64 exec, exec, s[4:5]
                                        ; implicit-def: $vgpr21
	s_and_saveexec_b64 s[4:5], s[36:37]
	s_cbranch_execz .LBB535_67
.LBB535_89:
	v_mov_b32_e32 v35, 0
	v_lshl_add_u64 v[22:23], s[52:53], 0, v[34:35]
	flat_load_dword v21, v[22:23]
	s_or_b64 exec, exec, s[4:5]
                                        ; implicit-def: $vgpr22
	s_and_saveexec_b64 s[4:5], s[38:39]
	s_cbranch_execnz .LBB535_68
.LBB535_90:
	s_or_b64 exec, exec, s[4:5]
                                        ; implicit-def: $vgpr23
	s_and_saveexec_b64 s[4:5], s[40:41]
	s_cbranch_execz .LBB535_69
.LBB535_91:
	v_mov_b32_e32 v39, 0
	v_lshl_add_u64 v[24:25], s[52:53], 0, v[38:39]
	flat_load_dword v23, v[24:25]
	s_or_b64 exec, exec, s[4:5]
                                        ; implicit-def: $vgpr24
	s_and_saveexec_b64 s[4:5], s[42:43]
	s_cbranch_execnz .LBB535_70
.LBB535_92:
	s_or_b64 exec, exec, s[4:5]
                                        ; implicit-def: $vgpr25
	s_and_saveexec_b64 s[4:5], s[44:45]
	s_cbranch_execz .LBB535_94
.LBB535_93:
	v_mov_b32_e32 v43, 0
	v_lshl_add_u64 v[26:27], s[52:53], 0, v[42:43]
	flat_load_dword v25, v[26:27]
.LBB535_94:
	s_or_b64 exec, exec, s[4:5]
	v_mul_u32_u24_e32 v71, 23, v0
                                        ; implicit-def: $vgpr26
	s_and_saveexec_b64 s[4:5], s[46:47]
	s_cbranch_execz .LBB535_96
; %bb.95:
	v_mov_b32_e32 v45, 0
	v_lshl_add_u64 v[26:27], s[52:53], 0, v[44:45]
	flat_load_dword v26, v[26:27]
.LBB535_96:
	s_or_b64 exec, exec, s[4:5]
	s_waitcnt vmcnt(0) lgkmcnt(0)
	ds_write2st64_b32 v46, v48, v49 offset1:4
	ds_write2st64_b32 v46, v50, v47 offset0:8 offset1:12
	ds_write2st64_b32 v46, v3, v2 offset0:16 offset1:20
	ds_write2st64_b32 v46, v10, v11 offset0:24 offset1:28
	ds_write2st64_b32 v46, v12, v13 offset0:32 offset1:36
	ds_write2st64_b32 v46, v14, v15 offset0:40 offset1:44
	ds_write2st64_b32 v46, v16, v17 offset0:48 offset1:52
	ds_write2st64_b32 v46, v18, v19 offset0:56 offset1:60
	ds_write2st64_b32 v46, v20, v21 offset0:64 offset1:68
	ds_write2st64_b32 v46, v22, v23 offset0:72 offset1:76
	ds_write2st64_b32 v46, v24, v25 offset0:80 offset1:84
	ds_write_b32 v46, v26 offset:22528
	v_mov_b64_e32 v[10:11], 0
	v_cmp_gt_u32_e32 vcc, s3, v71
	s_mov_b64 s[10:11], 0
	s_mov_b64 s[4:5], 0
	v_mov_b64_e32 v[12:13], v[10:11]
	v_mov_b64_e32 v[14:15], v[10:11]
	;; [unrolled: 1-line block ×21, first 2 shown]
	s_waitcnt lgkmcnt(0)
	s_barrier
	s_waitcnt lgkmcnt(0)
                                        ; implicit-def: $sgpr8_sgpr9
                                        ; implicit-def: $vgpr2
	s_and_saveexec_b64 s[6:7], vcc
	s_cbranch_execz .LBB535_142
; %bb.97:
	ds_read_b32 v2, v70
	v_mov_b32_e32 v10, s76
	v_cmp_eq_u32_e32 vcc, v72, v68
	v_add_u32_e32 v3, 1, v71
	v_mov_b64_e32 v[12:13], 0
	s_waitcnt lgkmcnt(0)
	v_cndmask_b32_e32 v10, v10, v2, vcc
	v_cmp_ne_u32_e32 vcc, v72, v68
	s_mov_b64 s[12:13], 0
	v_mov_b64_e32 v[14:15], v[12:13]
	v_cndmask_b32_e64 v11, 0, 1, vcc
	v_cmp_gt_u32_e32 vcc, s3, v3
	v_mov_b64_e32 v[16:17], v[12:13]
	v_mov_b64_e32 v[18:19], v[12:13]
	;; [unrolled: 1-line block ×19, first 2 shown]
                                        ; implicit-def: $sgpr14_sgpr15
                                        ; implicit-def: $vgpr2
	s_and_saveexec_b64 s[8:9], vcc
	s_cbranch_execz .LBB535_141
; %bb.98:
	ds_read2_b32 v[2:3], v70 offset0:1 offset1:2
	v_mov_b32_e32 v12, s76
	v_cmp_eq_u32_e32 vcc, v68, v69
	v_add_u32_e32 v14, 2, v71
	s_mov_b64 s[14:15], 0
	s_waitcnt lgkmcnt(0)
	v_cndmask_b32_e32 v12, v12, v2, vcc
	v_cmp_ne_u32_e32 vcc, v68, v69
                                        ; implicit-def: $sgpr16_sgpr17
                                        ; implicit-def: $vgpr2
	s_nop 1
	v_cndmask_b32_e64 v13, 0, 1, vcc
	v_cmp_gt_u32_e32 vcc, s3, v14
	v_mov_b64_e32 v[14:15], 0
	v_mov_b64_e32 v[16:17], v[14:15]
	;; [unrolled: 1-line block ×20, first 2 shown]
	s_and_saveexec_b64 s[10:11], vcc
	s_cbranch_execz .LBB535_140
; %bb.99:
	v_mov_b32_e32 v14, s76
	v_cmp_eq_u32_e32 vcc, v69, v66
	v_add_u32_e32 v2, 3, v71
	v_mov_b64_e32 v[16:17], 0
	v_cndmask_b32_e32 v14, v14, v3, vcc
	v_cmp_ne_u32_e32 vcc, v69, v66
	s_mov_b64 s[16:17], 0
	v_mov_b64_e32 v[18:19], v[16:17]
	v_cndmask_b32_e64 v15, 0, 1, vcc
	v_cmp_gt_u32_e32 vcc, s3, v2
	v_mov_b64_e32 v[20:21], v[16:17]
	v_mov_b64_e32 v[22:23], v[16:17]
	;; [unrolled: 1-line block ×17, first 2 shown]
                                        ; implicit-def: $sgpr18_sgpr19
                                        ; implicit-def: $vgpr2
	s_and_saveexec_b64 s[12:13], vcc
	s_cbranch_execz .LBB535_139
; %bb.100:
	ds_read2_b32 v[2:3], v70 offset0:3 offset1:4
	v_mov_b32_e32 v16, s76
	v_cmp_eq_u32_e32 vcc, v66, v67
	v_add_u32_e32 v18, 4, v71
	s_mov_b64 s[18:19], 0
	s_waitcnt lgkmcnt(0)
	v_cndmask_b32_e32 v16, v16, v2, vcc
	v_cmp_ne_u32_e32 vcc, v66, v67
                                        ; implicit-def: $sgpr20_sgpr21
                                        ; implicit-def: $vgpr2
	s_nop 1
	v_cndmask_b32_e64 v17, 0, 1, vcc
	v_cmp_gt_u32_e32 vcc, s3, v18
	v_mov_b64_e32 v[18:19], 0
	v_mov_b64_e32 v[20:21], v[18:19]
	;; [unrolled: 1-line block ×18, first 2 shown]
	s_and_saveexec_b64 s[14:15], vcc
	s_cbranch_execz .LBB535_138
; %bb.101:
	v_mov_b32_e32 v18, s76
	v_cmp_eq_u32_e32 vcc, v67, v64
	v_add_u32_e32 v2, 5, v71
	v_mov_b64_e32 v[20:21], 0
	v_cndmask_b32_e32 v18, v18, v3, vcc
	v_cmp_ne_u32_e32 vcc, v67, v64
	s_mov_b64 s[20:21], 0
	v_mov_b64_e32 v[22:23], v[20:21]
	v_cndmask_b32_e64 v19, 0, 1, vcc
	v_cmp_gt_u32_e32 vcc, s3, v2
	v_mov_b64_e32 v[24:25], v[20:21]
	v_mov_b64_e32 v[26:27], v[20:21]
	;; [unrolled: 1-line block ×15, first 2 shown]
                                        ; implicit-def: $sgpr22_sgpr23
                                        ; implicit-def: $vgpr2
	s_and_saveexec_b64 s[16:17], vcc
	s_cbranch_execz .LBB535_137
; %bb.102:
	ds_read2_b32 v[2:3], v70 offset0:5 offset1:6
	v_mov_b32_e32 v20, s76
	v_cmp_eq_u32_e32 vcc, v64, v65
	v_add_u32_e32 v22, 6, v71
	s_mov_b64 s[22:23], 0
	s_waitcnt lgkmcnt(0)
	v_cndmask_b32_e32 v20, v20, v2, vcc
	v_cmp_ne_u32_e32 vcc, v64, v65
                                        ; implicit-def: $sgpr24_sgpr25
                                        ; implicit-def: $vgpr2
	s_nop 1
	v_cndmask_b32_e64 v21, 0, 1, vcc
	v_cmp_gt_u32_e32 vcc, s3, v22
	v_mov_b64_e32 v[22:23], 0
	v_mov_b64_e32 v[24:25], v[22:23]
	;; [unrolled: 1-line block ×16, first 2 shown]
	s_and_saveexec_b64 s[18:19], vcc
	s_cbranch_execz .LBB535_136
; %bb.103:
	v_mov_b32_e32 v22, s76
	v_cmp_eq_u32_e32 vcc, v65, v62
	v_add_u32_e32 v2, 7, v71
	v_mov_b64_e32 v[24:25], 0
	v_cndmask_b32_e32 v22, v22, v3, vcc
	v_cmp_ne_u32_e32 vcc, v65, v62
	s_mov_b64 s[24:25], 0
	v_mov_b64_e32 v[26:27], v[24:25]
	v_cndmask_b32_e64 v23, 0, 1, vcc
	v_cmp_gt_u32_e32 vcc, s3, v2
	v_mov_b64_e32 v[28:29], v[24:25]
	v_mov_b64_e32 v[30:31], v[24:25]
	;; [unrolled: 1-line block ×13, first 2 shown]
                                        ; implicit-def: $sgpr26_sgpr27
                                        ; implicit-def: $vgpr2
	s_and_saveexec_b64 s[20:21], vcc
	s_cbranch_execz .LBB535_135
; %bb.104:
	ds_read2_b32 v[2:3], v70 offset0:7 offset1:8
	v_mov_b32_e32 v24, s76
	v_cmp_eq_u32_e32 vcc, v62, v63
	v_add_u32_e32 v26, 8, v71
	s_mov_b64 s[26:27], 0
	s_waitcnt lgkmcnt(0)
	v_cndmask_b32_e32 v24, v24, v2, vcc
	v_cmp_ne_u32_e32 vcc, v62, v63
                                        ; implicit-def: $sgpr28_sgpr29
                                        ; implicit-def: $vgpr2
	s_nop 1
	v_cndmask_b32_e64 v25, 0, 1, vcc
	v_cmp_gt_u32_e32 vcc, s3, v26
	v_mov_b64_e32 v[26:27], 0
	v_mov_b64_e32 v[28:29], v[26:27]
	;; [unrolled: 1-line block ×14, first 2 shown]
	s_and_saveexec_b64 s[22:23], vcc
	s_cbranch_execz .LBB535_134
; %bb.105:
	v_mov_b32_e32 v26, s76
	v_cmp_eq_u32_e32 vcc, v63, v60
	v_add_u32_e32 v2, 9, v71
	v_mov_b64_e32 v[28:29], 0
	v_cndmask_b32_e32 v26, v26, v3, vcc
	v_cmp_ne_u32_e32 vcc, v63, v60
	s_mov_b64 s[28:29], 0
	v_mov_b64_e32 v[30:31], v[28:29]
	v_cndmask_b32_e64 v27, 0, 1, vcc
	v_cmp_gt_u32_e32 vcc, s3, v2
	v_mov_b64_e32 v[32:33], v[28:29]
	v_mov_b64_e32 v[34:35], v[28:29]
	;; [unrolled: 1-line block ×11, first 2 shown]
                                        ; implicit-def: $sgpr30_sgpr31
                                        ; implicit-def: $vgpr2
	s_and_saveexec_b64 s[24:25], vcc
	s_cbranch_execz .LBB535_133
; %bb.106:
	ds_read2_b32 v[2:3], v70 offset0:9 offset1:10
	v_mov_b32_e32 v28, s76
	v_cmp_eq_u32_e32 vcc, v60, v61
	v_add_u32_e32 v30, 10, v71
	s_mov_b64 s[30:31], 0
	s_waitcnt lgkmcnt(0)
	v_cndmask_b32_e32 v28, v28, v2, vcc
	v_cmp_ne_u32_e32 vcc, v60, v61
                                        ; implicit-def: $sgpr34_sgpr35
                                        ; implicit-def: $vgpr2
	s_nop 1
	v_cndmask_b32_e64 v29, 0, 1, vcc
	v_cmp_gt_u32_e32 vcc, s3, v30
	v_mov_b64_e32 v[30:31], 0
	v_mov_b64_e32 v[32:33], v[30:31]
	;; [unrolled: 1-line block ×12, first 2 shown]
	s_and_saveexec_b64 s[26:27], vcc
	s_cbranch_execz .LBB535_132
; %bb.107:
	v_mov_b32_e32 v30, s76
	v_cmp_eq_u32_e32 vcc, v61, v58
	v_add_u32_e32 v2, 11, v71
	v_mov_b64_e32 v[32:33], 0
	v_cndmask_b32_e32 v30, v30, v3, vcc
	v_cmp_ne_u32_e32 vcc, v61, v58
	s_mov_b64 s[34:35], 0
	v_mov_b64_e32 v[34:35], v[32:33]
	v_cndmask_b32_e64 v31, 0, 1, vcc
	v_cmp_gt_u32_e32 vcc, s3, v2
	v_mov_b64_e32 v[36:37], v[32:33]
	v_mov_b64_e32 v[38:39], v[32:33]
	;; [unrolled: 1-line block ×9, first 2 shown]
                                        ; implicit-def: $sgpr36_sgpr37
                                        ; implicit-def: $vgpr2
	s_and_saveexec_b64 s[28:29], vcc
	s_cbranch_execz .LBB535_131
; %bb.108:
	ds_read2_b32 v[2:3], v70 offset0:11 offset1:12
	v_mov_b32_e32 v32, s76
	v_cmp_eq_u32_e32 vcc, v58, v59
	v_add_u32_e32 v34, 12, v71
	s_mov_b64 s[36:37], 0
	s_waitcnt lgkmcnt(0)
	v_cndmask_b32_e32 v32, v32, v2, vcc
	v_cmp_ne_u32_e32 vcc, v58, v59
                                        ; implicit-def: $sgpr38_sgpr39
                                        ; implicit-def: $vgpr2
	s_nop 1
	v_cndmask_b32_e64 v33, 0, 1, vcc
	v_cmp_gt_u32_e32 vcc, s3, v34
	v_mov_b64_e32 v[34:35], 0
	v_mov_b64_e32 v[36:37], v[34:35]
	;; [unrolled: 1-line block ×10, first 2 shown]
	s_and_saveexec_b64 s[30:31], vcc
	s_cbranch_execz .LBB535_130
; %bb.109:
	v_mov_b32_e32 v34, s76
	v_cmp_eq_u32_e32 vcc, v59, v56
	v_add_u32_e32 v2, 13, v71
	v_mov_b64_e32 v[36:37], 0
	v_cndmask_b32_e32 v34, v34, v3, vcc
	v_cmp_ne_u32_e32 vcc, v59, v56
	s_mov_b64 s[38:39], 0
	v_mov_b64_e32 v[38:39], v[36:37]
	v_cndmask_b32_e64 v35, 0, 1, vcc
	v_cmp_gt_u32_e32 vcc, s3, v2
	v_mov_b64_e32 v[40:41], v[36:37]
	v_mov_b64_e32 v[42:43], v[36:37]
	;; [unrolled: 1-line block ×7, first 2 shown]
                                        ; implicit-def: $sgpr40_sgpr41
                                        ; implicit-def: $vgpr2
	s_and_saveexec_b64 s[34:35], vcc
	s_cbranch_execz .LBB535_129
; %bb.110:
	ds_read2_b32 v[2:3], v70 offset0:13 offset1:14
	v_mov_b32_e32 v36, s76
	v_cmp_eq_u32_e32 vcc, v56, v57
	v_add_u32_e32 v38, 14, v71
	s_mov_b64 s[40:41], 0
	s_waitcnt lgkmcnt(0)
	v_cndmask_b32_e32 v36, v36, v2, vcc
	v_cmp_ne_u32_e32 vcc, v56, v57
                                        ; implicit-def: $sgpr42_sgpr43
                                        ; implicit-def: $vgpr2
	s_nop 1
	v_cndmask_b32_e64 v37, 0, 1, vcc
	v_cmp_gt_u32_e32 vcc, s3, v38
	v_mov_b64_e32 v[38:39], 0
	v_mov_b64_e32 v[40:41], v[38:39]
	;; [unrolled: 1-line block ×8, first 2 shown]
	s_and_saveexec_b64 s[36:37], vcc
	s_cbranch_execz .LBB535_128
; %bb.111:
	v_mov_b32_e32 v38, s76
	v_cmp_eq_u32_e32 vcc, v57, v54
	v_add_u32_e32 v2, 15, v71
	v_mov_b64_e32 v[40:41], 0
	v_cndmask_b32_e32 v38, v38, v3, vcc
	v_cmp_ne_u32_e32 vcc, v57, v54
	s_mov_b64 s[42:43], 0
	v_mov_b64_e32 v[42:43], v[40:41]
	v_cndmask_b32_e64 v39, 0, 1, vcc
	v_cmp_gt_u32_e32 vcc, s3, v2
	v_mov_b64_e32 v[44:45], v[40:41]
	v_mov_b64_e32 v[46:47], v[40:41]
	;; [unrolled: 1-line block ×5, first 2 shown]
                                        ; implicit-def: $sgpr44_sgpr45
                                        ; implicit-def: $vgpr2
	s_and_saveexec_b64 s[38:39], vcc
	s_cbranch_execz .LBB535_127
; %bb.112:
	ds_read2_b32 v[2:3], v70 offset0:15 offset1:16
	v_mov_b32_e32 v40, s76
	v_cmp_eq_u32_e32 vcc, v54, v55
	v_add_u32_e32 v42, 16, v71
	s_mov_b64 s[44:45], 0
	s_waitcnt lgkmcnt(0)
	v_cndmask_b32_e32 v40, v40, v2, vcc
	v_cmp_ne_u32_e32 vcc, v54, v55
                                        ; implicit-def: $sgpr46_sgpr47
                                        ; implicit-def: $vgpr2
	s_nop 1
	v_cndmask_b32_e64 v41, 0, 1, vcc
	v_cmp_gt_u32_e32 vcc, s3, v42
	v_mov_b64_e32 v[42:43], 0
	v_mov_b64_e32 v[44:45], v[42:43]
	;; [unrolled: 1-line block ×6, first 2 shown]
	s_and_saveexec_b64 s[40:41], vcc
	s_cbranch_execz .LBB535_126
; %bb.113:
	v_mov_b32_e32 v42, s76
	v_cmp_eq_u32_e32 vcc, v55, v8
	v_add_u32_e32 v2, 17, v71
	v_mov_b64_e32 v[44:45], 0
	v_cndmask_b32_e32 v42, v42, v3, vcc
	v_cmp_ne_u32_e32 vcc, v55, v8
	s_mov_b64 s[46:47], 0
	v_mov_b64_e32 v[46:47], v[44:45]
	v_cndmask_b32_e64 v43, 0, 1, vcc
	v_cmp_gt_u32_e32 vcc, s3, v2
	v_mov_b64_e32 v[48:49], v[44:45]
	v_mov_b64_e32 v[50:51], v[44:45]
	;; [unrolled: 1-line block ×3, first 2 shown]
                                        ; implicit-def: $sgpr48_sgpr49
                                        ; implicit-def: $vgpr2
	s_and_saveexec_b64 s[42:43], vcc
	s_cbranch_execz .LBB535_125
; %bb.114:
	ds_read2_b32 v[2:3], v70 offset0:17 offset1:18
	v_mov_b32_e32 v44, s76
	v_cmp_eq_u32_e32 vcc, v8, v9
	v_add_u32_e32 v46, 18, v71
	s_mov_b64 s[48:49], 0
	s_waitcnt lgkmcnt(0)
	v_cndmask_b32_e32 v44, v44, v2, vcc
	v_cmp_ne_u32_e32 vcc, v8, v9
                                        ; implicit-def: $sgpr50_sgpr51
                                        ; implicit-def: $vgpr2
	s_nop 1
	v_cndmask_b32_e64 v45, 0, 1, vcc
	v_cmp_gt_u32_e32 vcc, s3, v46
	v_mov_b64_e32 v[46:47], 0
	v_mov_b64_e32 v[48:49], v[46:47]
	;; [unrolled: 1-line block ×4, first 2 shown]
	s_and_saveexec_b64 s[44:45], vcc
	s_cbranch_execz .LBB535_124
; %bb.115:
	v_mov_b32_e32 v8, s76
	v_cmp_eq_u32_e32 vcc, v9, v6
	v_add_u32_e32 v2, 19, v71
	v_mov_b64_e32 v[48:49], 0
	v_cndmask_b32_e32 v46, v8, v3, vcc
	v_cmp_ne_u32_e32 vcc, v9, v6
	s_mov_b64 s[50:51], 0
	v_mov_b64_e32 v[50:51], v[48:49]
	v_cndmask_b32_e64 v47, 0, 1, vcc
	v_cmp_gt_u32_e32 vcc, s3, v2
	v_mov_b64_e32 v[52:53], v[48:49]
                                        ; implicit-def: $sgpr60_sgpr61
                                        ; implicit-def: $vgpr2
	s_and_saveexec_b64 s[46:47], vcc
	s_cbranch_execz .LBB535_123
; %bb.116:
	ds_read2_b32 v[2:3], v70 offset0:19 offset1:20
	v_mov_b32_e32 v9, s76
	v_cmp_eq_u32_e32 vcc, v6, v7
	v_add_u32_e32 v8, 20, v71
	v_mov_b64_e32 v[50:51], 0
	s_waitcnt lgkmcnt(0)
	v_cndmask_b32_e32 v48, v9, v2, vcc
	v_cmp_ne_u32_e32 vcc, v6, v7
	s_mov_b64 s[60:61], 0
	v_mov_b64_e32 v[52:53], v[50:51]
	v_cndmask_b32_e64 v49, 0, 1, vcc
	v_cmp_gt_u32_e32 vcc, s3, v8
                                        ; implicit-def: $sgpr72_sgpr73
                                        ; implicit-def: $vgpr2
	s_and_saveexec_b64 s[48:49], vcc
	s_cbranch_execz .LBB535_122
; %bb.117:
	v_mov_b32_e32 v6, s76
	v_cmp_eq_u32_e32 vcc, v7, v4
	v_add_u32_e32 v2, 21, v71
	v_mov_b64_e32 v[52:53], 0
	v_cndmask_b32_e32 v50, v6, v3, vcc
	v_cmp_ne_u32_e32 vcc, v7, v4
                                        ; implicit-def: $sgpr72_sgpr73
	s_nop 1
	v_cndmask_b32_e64 v51, 0, 1, vcc
	v_cmp_gt_u32_e32 vcc, s3, v2
                                        ; implicit-def: $vgpr2
	s_and_saveexec_b64 s[50:51], vcc
	s_cbranch_execz .LBB535_121
; %bb.118:
	ds_read2_b32 v[2:3], v70 offset0:21 offset1:22
	v_mov_b32_e32 v7, s76
	v_cmp_eq_u32_e32 vcc, v4, v5
	v_add_u32_e32 v6, 22, v71
                                        ; implicit-def: $sgpr72_sgpr73
	s_waitcnt lgkmcnt(0)
	v_cndmask_b32_e32 v52, v7, v2, vcc
	v_cmp_ne_u32_e32 vcc, v4, v5
                                        ; implicit-def: $vgpr2
	s_nop 1
	v_cndmask_b32_e64 v53, 0, 1, vcc
	v_cmp_gt_u32_e32 vcc, s3, v6
	s_and_saveexec_b64 s[74:75], vcc
	s_xor_b64 s[74:75], exec, s[74:75]
; %bb.119:
	v_mov_b32_e32 v2, s76
	v_cmp_ne_u32_e32 vcc, v5, v1
	s_mov_b64 s[60:61], exec
	s_and_b64 s[72:73], vcc, exec
	v_cndmask_b32_e32 v2, v3, v2, vcc
; %bb.120:
	s_or_b64 exec, exec, s[74:75]
	s_and_b64 s[72:73], s[72:73], exec
	s_and_b64 s[60:61], s[60:61], exec
.LBB535_121:
	s_or_b64 exec, exec, s[50:51]
	s_and_b64 s[72:73], s[72:73], exec
	s_and_b64 s[50:51], s[60:61], exec
.LBB535_122:
	s_or_b64 exec, exec, s[48:49]
	s_and_b64 s[60:61], s[72:73], exec
	s_and_b64 s[48:49], s[50:51], exec
.LBB535_123:
	s_or_b64 exec, exec, s[46:47]
	s_and_b64 s[50:51], s[60:61], exec
	s_and_b64 s[46:47], s[48:49], exec
.LBB535_124:
	s_or_b64 exec, exec, s[44:45]
	s_and_b64 s[48:49], s[50:51], exec
	s_and_b64 s[44:45], s[46:47], exec
.LBB535_125:
	s_or_b64 exec, exec, s[42:43]
	s_and_b64 s[46:47], s[48:49], exec
	s_and_b64 s[42:43], s[44:45], exec
.LBB535_126:
	s_or_b64 exec, exec, s[40:41]
	s_and_b64 s[44:45], s[46:47], exec
	s_and_b64 s[40:41], s[42:43], exec
.LBB535_127:
	s_or_b64 exec, exec, s[38:39]
	s_and_b64 s[42:43], s[44:45], exec
	s_and_b64 s[38:39], s[40:41], exec
.LBB535_128:
	s_or_b64 exec, exec, s[36:37]
	s_and_b64 s[40:41], s[42:43], exec
	s_and_b64 s[36:37], s[38:39], exec
.LBB535_129:
	s_or_b64 exec, exec, s[34:35]
	s_and_b64 s[38:39], s[40:41], exec
	s_and_b64 s[34:35], s[36:37], exec
.LBB535_130:
	s_or_b64 exec, exec, s[30:31]
	s_and_b64 s[36:37], s[38:39], exec
	s_and_b64 s[30:31], s[34:35], exec
.LBB535_131:
	s_or_b64 exec, exec, s[28:29]
	s_and_b64 s[34:35], s[36:37], exec
	s_and_b64 s[28:29], s[30:31], exec
.LBB535_132:
	s_or_b64 exec, exec, s[26:27]
	s_and_b64 s[30:31], s[34:35], exec
	s_and_b64 s[26:27], s[28:29], exec
.LBB535_133:
	s_or_b64 exec, exec, s[24:25]
	s_and_b64 s[28:29], s[30:31], exec
	s_and_b64 s[24:25], s[26:27], exec
.LBB535_134:
	s_or_b64 exec, exec, s[22:23]
	s_and_b64 s[26:27], s[28:29], exec
	s_and_b64 s[22:23], s[24:25], exec
.LBB535_135:
	s_or_b64 exec, exec, s[20:21]
	s_and_b64 s[24:25], s[26:27], exec
	s_and_b64 s[20:21], s[22:23], exec
.LBB535_136:
	s_or_b64 exec, exec, s[18:19]
	s_and_b64 s[22:23], s[24:25], exec
	s_and_b64 s[18:19], s[20:21], exec
.LBB535_137:
	s_or_b64 exec, exec, s[16:17]
	s_and_b64 s[20:21], s[22:23], exec
	s_and_b64 s[16:17], s[18:19], exec
.LBB535_138:
	s_or_b64 exec, exec, s[14:15]
	s_and_b64 s[18:19], s[20:21], exec
	s_and_b64 s[14:15], s[16:17], exec
.LBB535_139:
	s_or_b64 exec, exec, s[12:13]
	s_and_b64 s[16:17], s[18:19], exec
	s_and_b64 s[12:13], s[14:15], exec
.LBB535_140:
	s_or_b64 exec, exec, s[10:11]
	s_and_b64 s[14:15], s[16:17], exec
	s_and_b64 s[10:11], s[12:13], exec
.LBB535_141:
	s_or_b64 exec, exec, s[8:9]
	s_and_b64 s[8:9], s[14:15], exec
	s_and_b64 s[10:11], s[10:11], exec
.LBB535_142:
	s_or_b64 exec, exec, s[6:7]
	s_mov_b64 s[6:7], 0
	s_and_b64 vcc, exec, s[4:5]
	v_lshlrev_b32_e32 v54, 2, v0
	s_cbranch_vccz .LBB535_148
.LBB535_143:
	v_mov_b32_e32 v55, 0
	v_lshl_add_u64 v[2:3], s[70:71], 0, v[54:55]
	v_add_co_u32_e32 v4, vcc, 0x1000, v2
	s_movk_i32 s6, 0x58
	s_nop 0
	v_addc_co_u32_e32 v5, vcc, 0, v3, vcc
	flat_load_dword v1, v[2:3]
	flat_load_dword v8, v[2:3] offset:1024
	flat_load_dword v9, v[2:3] offset:2048
	;; [unrolled: 1-line block ×3, first 2 shown]
	flat_load_dword v11, v[4:5]
	flat_load_dword v12, v[4:5] offset:1024
	flat_load_dword v13, v[4:5] offset:2048
	flat_load_dword v14, v[4:5] offset:3072
	v_add_co_u32_e32 v4, vcc, 0x2000, v2
	s_movk_i32 s10, 0x1000
	s_nop 0
	v_addc_co_u32_e32 v5, vcc, 0, v3, vcc
	v_add_co_u32_e32 v6, vcc, 0x3000, v2
	s_mov_b32 s4, 0
	s_nop 0
	v_addc_co_u32_e32 v7, vcc, 0, v3, vcc
	flat_load_dword v15, v[4:5]
	flat_load_dword v16, v[4:5] offset:1024
	flat_load_dword v17, v[4:5] offset:2048
	;; [unrolled: 1-line block ×3, first 2 shown]
	flat_load_dword v19, v[6:7]
	flat_load_dword v20, v[6:7] offset:1024
	flat_load_dword v21, v[6:7] offset:2048
	flat_load_dword v22, v[6:7] offset:3072
	v_add_co_u32_e32 v4, vcc, 0x4000, v2
	s_movk_i32 s9, 0x2000
	s_nop 0
	v_addc_co_u32_e32 v5, vcc, 0, v3, vcc
	v_add_co_u32_e32 v2, vcc, 0x5000, v2
	s_movk_i32 s8, 0x3000
	s_nop 0
	v_addc_co_u32_e32 v3, vcc, 0, v3, vcc
	flat_load_dword v6, v[4:5]
	flat_load_dword v7, v[4:5] offset:1024
	flat_load_dword v23, v[4:5] offset:2048
	;; [unrolled: 1-line block ×3, first 2 shown]
	flat_load_dword v25, v[2:3]
	flat_load_dword v26, v[2:3] offset:1024
	flat_load_dword v27, v[2:3] offset:2048
	v_mov_b32_e32 v2, s70
	v_mov_b32_e32 v3, s71
	v_add_co_u32_e32 v2, vcc, 0x5000, v2
	s_movk_i32 s5, 0x4000
	s_nop 0
	v_addc_co_u32_e32 v3, vcc, 0, v3, vcc
	s_movk_i32 s3, 0x5000
	s_waitcnt vmcnt(0) lgkmcnt(0)
	ds_write2st64_b32 v54, v1, v8 offset1:4
	ds_write2st64_b32 v54, v9, v10 offset0:8 offset1:12
	ds_write2st64_b32 v54, v11, v12 offset0:16 offset1:20
	;; [unrolled: 1-line block ×10, first 2 shown]
	ds_write_b32 v54, v27 offset:22528
	s_waitcnt lgkmcnt(0)
	s_barrier
	flat_load_dword v1, v[2:3] offset:3072
	v_mad_u32_u24 v12, v0, s6, v54
	s_movk_i32 s6, 0xffa8
	v_mad_i32_i24 v11, v0, s6, v12
	s_movk_i32 s6, 0xff
	v_cmp_ne_u32_e32 vcc, s6, v0
	ds_read_b32 v10, v12
	ds_read2_b32 v[14:15], v12 offset0:1 offset1:2
	ds_read2_b32 v[18:19], v12 offset0:3 offset1:4
	;; [unrolled: 1-line block ×11, first 2 shown]
	s_waitcnt lgkmcnt(0)
	ds_write_b32 v11, v10 offset:24576
	s_waitcnt lgkmcnt(0)
	s_barrier
	s_and_saveexec_b64 s[6:7], vcc
	s_cbranch_execz .LBB535_145
; %bb.144:
	s_waitcnt vmcnt(0)
	ds_read_b32 v1, v54 offset:24580
.LBB535_145:
	s_or_b64 exec, exec, s[6:7]
	v_lshl_add_u64 v[16:17], s[52:53], 0, v[54:55]
	v_add_co_u32_e32 v20, vcc, s10, v16
	s_waitcnt lgkmcnt(0)
	s_nop 0
	v_addc_co_u32_e32 v21, vcc, 0, v17, vcc
	s_barrier
	flat_load_dword v11, v[16:17]
	flat_load_dword v13, v[16:17] offset:1024
	flat_load_dword v28, v[16:17] offset:2048
	;; [unrolled: 1-line block ×3, first 2 shown]
	flat_load_dword v32, v[20:21]
	flat_load_dword v33, v[20:21] offset:1024
	flat_load_dword v36, v[20:21] offset:2048
	;; [unrolled: 1-line block ×3, first 2 shown]
	v_add_co_u32_e32 v20, vcc, s9, v16
	s_nop 1
	v_addc_co_u32_e32 v21, vcc, 0, v17, vcc
	v_add_co_u32_e32 v24, vcc, s8, v16
	s_nop 1
	v_addc_co_u32_e32 v25, vcc, 0, v17, vcc
	flat_load_dword v40, v[20:21]
	flat_load_dword v41, v[20:21] offset:1024
	flat_load_dword v42, v[20:21] offset:2048
	;; [unrolled: 1-line block ×3, first 2 shown]
	flat_load_dword v44, v[24:25]
	flat_load_dword v45, v[24:25] offset:1024
	flat_load_dword v46, v[24:25] offset:2048
	;; [unrolled: 1-line block ×3, first 2 shown]
	v_add_co_u32_e32 v20, vcc, s5, v16
	s_mov_b32 s5, 1
	s_nop 0
	v_addc_co_u32_e32 v21, vcc, 0, v17, vcc
	v_add_co_u32_e32 v16, vcc, s3, v16
	s_nop 1
	v_addc_co_u32_e32 v17, vcc, 0, v17, vcc
	flat_load_dword v24, v[20:21]
	flat_load_dword v25, v[20:21] offset:1024
	flat_load_dword v48, v[20:21] offset:2048
	;; [unrolled: 1-line block ×3, first 2 shown]
	flat_load_dword v50, v[16:17]
	flat_load_dword v51, v[16:17] offset:1024
	flat_load_dword v52, v[16:17] offset:2048
	v_cmp_eq_u32_e32 vcc, v10, v14
	s_waitcnt vmcnt(0) lgkmcnt(0)
	ds_write2st64_b32 v54, v11, v13 offset1:4
	ds_write2st64_b32 v54, v28, v29 offset0:8 offset1:12
	ds_write2st64_b32 v54, v32, v33 offset0:16 offset1:20
	;; [unrolled: 1-line block ×10, first 2 shown]
	ds_write_b32 v54, v52 offset:22528
	s_waitcnt lgkmcnt(0)
	s_barrier
	ds_read2_b32 v[16:17], v12 offset0:1 offset1:2
	ds_read2_b32 v[20:21], v12 offset0:3 offset1:4
	;; [unrolled: 1-line block ×11, first 2 shown]
	v_mov_b64_e32 v[10:11], s[4:5]
	v_mov_b32_e32 v13, s76
	s_and_saveexec_b64 s[4:5], vcc
	s_cbranch_execz .LBB535_147
; %bb.146:
	ds_read_b32 v13, v12
	v_mov_b64_e32 v[10:11], 0
.LBB535_147:
	s_or_b64 exec, exec, s[4:5]
	v_mov_b32_e32 v55, s76
	v_cmp_eq_u32_e32 vcc, v14, v15
	s_waitcnt lgkmcnt(0)
	v_or_b32_e32 v10, v10, v13
	v_cmp_ne_u32_e64 s[8:9], v3, v1
	v_cndmask_b32_e32 v12, v55, v16, vcc
	v_cmp_ne_u32_e32 vcc, v14, v15
	s_mov_b64 s[10:11], -1
                                        ; implicit-def: $sgpr6_sgpr7
	s_nop 0
	v_cndmask_b32_e64 v13, 0, 1, vcc
	v_cmp_eq_u32_e32 vcc, v15, v18
	s_nop 1
	v_cndmask_b32_e32 v14, v55, v17, vcc
	v_cmp_ne_u32_e32 vcc, v15, v18
	s_nop 1
	v_cndmask_b32_e64 v15, 0, 1, vcc
	v_cmp_eq_u32_e32 vcc, v18, v19
	s_nop 1
	v_cndmask_b32_e32 v16, v55, v20, vcc
	v_cmp_ne_u32_e32 vcc, v18, v19
	;; [unrolled: 6-line block ×20, first 2 shown]
	v_cndmask_b32_e64 v2, v57, v55, s[8:9]
	s_nop 0
	v_cndmask_b32_e64 v53, 0, 1, vcc
.LBB535_148:
	v_mov_b64_e32 v[56:57], s[6:7]
	s_and_saveexec_b64 s[4:5], s[10:11]
; %bb.149:
	v_cndmask_b32_e64 v3, 0, 1, s[8:9]
	v_mov_b64_e32 v[56:57], v[2:3]
; %bb.150:
	s_or_b64 exec, exec, s[4:5]
	s_mov_b32 s46, 0
	s_cmp_lg_u32 s2, 0
	v_or_b32_e32 v55, v57, v53
	v_lshrrev_b32_e32 v1, 5, v0
	v_cmp_gt_u32_e32 vcc, 64, v0
	s_barrier
	s_cbranch_scc0 .LBB535_185
; %bb.151:
	s_mov_b32 s47, 1
	v_cmp_gt_u64_e64 s[50:51], s[46:47], v[12:13]
	v_cmp_gt_u64_e64 s[4:5], s[46:47], v[14:15]
	v_cmp_gt_u64_e64 s[6:7], s[46:47], v[16:17]
	v_cndmask_b32_e64 v2, 0, v10, s[50:51]
	v_add_u32_e32 v2, v2, v12
	v_cndmask_b32_e64 v2, 0, v2, s[4:5]
	v_add_u32_e32 v2, v2, v14
	v_cndmask_b32_e64 v2, 0, v2, s[6:7]
	v_add_u32_e32 v2, v2, v16
	v_cmp_gt_u64_e64 s[8:9], s[46:47], v[18:19]
	v_cmp_gt_u64_e64 s[10:11], s[46:47], v[20:21]
	v_cmp_gt_u64_e64 s[12:13], s[46:47], v[22:23]
	v_cndmask_b32_e64 v2, 0, v2, s[8:9]
	v_add_u32_e32 v2, v2, v18
	v_cndmask_b32_e64 v2, 0, v2, s[10:11]
	v_add_u32_e32 v2, v2, v20
	v_cndmask_b32_e64 v2, 0, v2, s[12:13]
	v_add_u32_e32 v2, v2, v22
	;; [unrolled: 9-line block ×7, first 2 shown]
	v_cmp_gt_u64_e64 s[46:47], s[46:47], v[56:57]
	s_nop 1
	v_cndmask_b32_e64 v2, 0, v2, s[46:47]
	v_add_u32_e32 v62, v2, v56
	v_or3_b32 v2, v55, v51, v49
	v_or3_b32 v2, v2, v47, v45
	;; [unrolled: 1-line block ×10, first 2 shown]
	v_and_b32_e32 v2, 1, v2
	v_cmp_eq_u32_e64 s[46:47], 1, v2
	v_add_lshl_u32 v2, v1, v0, 3
	s_nop 0
	v_cndmask_b32_e64 v63, v11, 1, s[46:47]
	ds_write_b32 v2, v62
	ds_write_b8 v2, v63 offset:4
	s_waitcnt lgkmcnt(0)
	s_barrier
	s_and_saveexec_b64 s[48:49], vcc
	s_cbranch_execz .LBB535_163
; %bb.152:
	v_lshrrev_b32_e32 v2, 3, v0
	v_add_lshl_u32 v4, v2, v54, 3
	ds_read2_b32 v[6:7], v4 offset0:2 offset1:4
	ds_read_b64 v[2:3], v4
	ds_read_u8 v8, v4 offset:12
	ds_read_u8 v9, v4 offset:20
	ds_read_b32 v58, v4 offset:24
	ds_read_u8 v59, v4 offset:28
	v_mov_b32_e32 v60, 0
	s_waitcnt lgkmcnt(3)
	v_cmp_eq_u16_sdwa s[46:47], v8, v60 src0_sel:BYTE_0 src1_sel:DWORD
	v_and_b32_e32 v5, 1, v3
	s_nop 0
	v_cndmask_b32_e64 v61, 0, v2, s[46:47]
	v_add_u32_e32 v6, v61, v6
	s_waitcnt lgkmcnt(2)
	v_cmp_eq_u16_sdwa s[46:47], v9, v60 src0_sel:BYTE_0 src1_sel:DWORD
	s_nop 1
	v_cndmask_b32_e64 v6, 0, v6, s[46:47]
	v_add_u32_e32 v6, v6, v7
	s_waitcnt lgkmcnt(0)
	v_cmp_eq_u16_e64 s[46:47], 0, v59
	s_nop 1
	v_cndmask_b32_e64 v6, 0, v6, s[46:47]
	v_add_u32_e32 v7, v6, v58
	v_or_b32_e32 v6, v59, v9
	v_or_b32_e32 v6, v6, v8
	v_and_b32_e32 v6, 1, v6
	v_cmp_eq_u32_e64 s[46:47], 1, v6
	v_mbcnt_lo_u32_b32 v8, -1, 0
	v_and_b32_e32 v6, 0xffffff00, v3
	v_cndmask_b32_e64 v9, v5, 1, s[46:47]
	v_mbcnt_hi_u32_b32 v8, -1, v8
	v_and_b32_e32 v59, 15, v8
	v_or_b32_sdwa v58, v6, v9 dst_sel:DWORD dst_unused:UNUSED_PAD src0_sel:DWORD src1_sel:WORD_0
	v_mov_b32_dpp v60, v7 row_shr:1 row_mask:0xf bank_mask:0xf
	v_cmp_ne_u32_e64 s[46:47], 0, v59
	v_mov_b32_dpp v61, v58 row_shr:1 row_mask:0xf bank_mask:0xf
	s_and_saveexec_b64 s[52:53], s[46:47]
; %bb.153:
	v_and_b32_e32 v58, 1, v9
	v_and_b32_e32 v61, 1, v61
	v_cmp_eq_u32_e64 s[46:47], 1, v58
	s_nop 1
	v_cndmask_b32_e64 v61, v61, 1, s[46:47]
	v_cmp_eq_u16_e64 s[46:47], 0, v9
	v_or_b32_sdwa v58, v6, v61 dst_sel:DWORD dst_unused:UNUSED_PAD src0_sel:DWORD src1_sel:WORD_0
	s_nop 0
	v_cndmask_b32_e64 v9, 0, v60, s[46:47]
	v_add_u32_e32 v7, v9, v7
	v_mov_b32_e32 v9, v61
; %bb.154:
	s_or_b64 exec, exec, s[52:53]
	v_mov_b32_dpp v60, v7 row_shr:2 row_mask:0xf bank_mask:0xf
	v_mov_b32_dpp v61, v58 row_shr:2 row_mask:0xf bank_mask:0xf
	v_cmp_lt_u32_e64 s[46:47], 1, v59
	s_and_saveexec_b64 s[52:53], s[46:47]
; %bb.155:
	v_and_b32_e32 v58, 1, v9
	v_and_b32_e32 v61, 1, v61
	v_cmp_eq_u32_e64 s[46:47], 1, v58
	s_nop 1
	v_cndmask_b32_e64 v61, v61, 1, s[46:47]
	v_cmp_eq_u16_e64 s[46:47], 0, v9
	v_or_b32_sdwa v58, v6, v61 dst_sel:DWORD dst_unused:UNUSED_PAD src0_sel:DWORD src1_sel:WORD_0
	s_nop 0
	v_cndmask_b32_e64 v9, 0, v60, s[46:47]
	v_add_u32_e32 v7, v9, v7
	v_mov_b32_e32 v9, v61
; %bb.156:
	s_or_b64 exec, exec, s[52:53]
	v_mov_b32_dpp v60, v7 row_shr:4 row_mask:0xf bank_mask:0xf
	v_mov_b32_dpp v61, v58 row_shr:4 row_mask:0xf bank_mask:0xf
	v_cmp_lt_u32_e64 s[46:47], 3, v59
	;; [unrolled: 18-line block ×3, first 2 shown]
	s_and_saveexec_b64 s[52:53], s[46:47]
; %bb.159:
	v_and_b32_e32 v58, 1, v9
	v_and_b32_e32 v59, 1, v61
	v_cmp_eq_u32_e64 s[46:47], 1, v58
	s_nop 1
	v_cndmask_b32_e64 v59, v59, 1, s[46:47]
	v_cmp_eq_u16_e64 s[46:47], 0, v9
	v_or_b32_sdwa v58, v6, v59 dst_sel:DWORD dst_unused:UNUSED_PAD src0_sel:DWORD src1_sel:WORD_0
	s_nop 0
	v_cndmask_b32_e64 v9, 0, v60, s[46:47]
	v_add_u32_e32 v7, v9, v7
	v_mov_b32_e32 v9, v59
; %bb.160:
	s_or_b64 exec, exec, s[52:53]
	v_and_b32_e32 v61, 16, v8
	v_mov_b32_dpp v59, v7 row_bcast:15 row_mask:0xf bank_mask:0xf
	v_mov_b32_dpp v60, v58 row_bcast:15 row_mask:0xf bank_mask:0xf
	v_cmp_ne_u32_e64 s[46:47], 0, v61
	s_and_saveexec_b64 s[52:53], s[46:47]
; %bb.161:
	v_and_b32_e32 v58, 1, v9
	v_and_b32_e32 v60, 1, v60
	v_cmp_eq_u32_e64 s[46:47], 1, v58
	s_nop 1
	v_cndmask_b32_e64 v60, v60, 1, s[46:47]
	v_cmp_eq_u16_e64 s[46:47], 0, v9
	v_or_b32_sdwa v58, v6, v60 dst_sel:DWORD dst_unused:UNUSED_PAD src0_sel:DWORD src1_sel:WORD_0
	s_nop 0
	v_cndmask_b32_e64 v9, 0, v59, s[46:47]
	v_add_u32_e32 v7, v9, v7
	v_mov_b32_e32 v9, v60
; %bb.162:
	s_or_b64 exec, exec, s[52:53]
	v_mov_b32_dpp v58, v58 row_bcast:31 row_mask:0xf bank_mask:0xf
	v_and_b32_e32 v60, 1, v9
	v_and_b32_e32 v58, 1, v58
	v_cmp_eq_u32_e64 s[46:47], 1, v60
	v_mov_b32_e32 v60, 0
	v_cmp_eq_u16_sdwa s[52:53], v9, v60 src0_sel:BYTE_0 src1_sel:DWORD
	v_cndmask_b32_e64 v58, v58, 1, s[46:47]
	v_cmp_lt_u32_e64 s[46:47], 31, v8
	v_mov_b32_dpp v59, v7 row_bcast:31 row_mask:0xf bank_mask:0xf
	s_movk_i32 s3, 0xff
	v_cndmask_b32_e64 v9, v9, v58, s[46:47]
	s_and_b64 s[46:47], s[46:47], s[52:53]
	v_cndmask_b32_e64 v58, 0, v59, s[46:47]
	v_add_u32_e32 v7, v58, v7
	v_add_u32_e32 v58, -1, v8
	v_and_b32_e32 v59, 64, v8
	v_cmp_lt_i32_e64 s[46:47], v58, v59
	v_and_or_b32 v6, v9, s3, v6
	s_nop 0
	v_cndmask_b32_e64 v8, v58, v8, s[46:47]
	v_lshlrev_b32_e32 v8, 2, v8
	ds_bpermute_b32 v7, v8, v7
	ds_bpermute_b32 v6, v8, v6
	v_cmp_eq_u16_sdwa s[46:47], v3, v60 src0_sel:BYTE_0 src1_sel:DWORD
	; wave barrier
	s_waitcnt lgkmcnt(1)
	s_nop 0
	v_cndmask_b32_e64 v3, 0, v7, s[46:47]
	v_add_u32_e32 v2, v3, v2
	s_waitcnt lgkmcnt(0)
	v_and_b32_e32 v3, 1, v6
	v_cmp_eq_u32_e64 s[46:47], 1, v5
	s_nop 1
	v_cndmask_b32_e64 v3, v3, 1, s[46:47]
	v_cmp_eq_u32_e64 s[46:47], 0, v0
	s_nop 1
	v_cndmask_b32_e64 v5, v2, v62, s[46:47]
	v_cndmask_b32_e64 v6, v3, v63, s[46:47]
	ds_write_b32 v4, v5
	ds_write_b8 v4, v6 offset:4
	; wave barrier
	ds_read_u8 v7, v4 offset:12
	ds_read2_b32 v[2:3], v4 offset0:2 offset1:4
	ds_read_u8 v8, v4 offset:20
	ds_read_b32 v9, v4 offset:24
	ds_read_u8 v58, v4 offset:28
	s_waitcnt lgkmcnt(4)
	v_cmp_eq_u16_e64 s[46:47], 0, v7
	s_nop 1
	v_cndmask_b32_e64 v5, 0, v5, s[46:47]
	s_waitcnt lgkmcnt(3)
	v_add_u32_e32 v2, v5, v2
	v_and_b32_e32 v5, 1, v7
	v_cmp_eq_u32_e64 s[46:47], 1, v5
	s_nop 1
	v_cndmask_b32_e64 v5, v6, 1, s[46:47]
	s_waitcnt lgkmcnt(2)
	v_cmp_eq_u16_e64 s[46:47], 0, v8
	ds_write_b8 v4, v5 offset:12
	s_nop 0
	v_cndmask_b32_e64 v6, 0, v2, s[46:47]
	v_add_u32_e32 v3, v6, v3
	v_and_b32_e32 v6, 1, v8
	v_cmp_eq_u32_e64 s[46:47], 1, v6
	s_nop 1
	v_cndmask_b32_e64 v5, v5, 1, s[46:47]
	s_waitcnt lgkmcnt(1)
	v_cmp_eq_u16_e64 s[46:47], 0, v58
	ds_write2_b32 v4, v2, v3 offset0:2 offset1:4
	ds_write_b8 v4, v5 offset:20
	v_cndmask_b32_e64 v2, 0, v3, s[46:47]
	v_and_b32_e32 v3, 1, v58
	v_add_u32_e32 v2, v2, v9
	v_cmp_eq_u32_e64 s[46:47], 1, v3
	s_nop 1
	v_cndmask_b32_e64 v3, v5, 1, s[46:47]
	ds_write_b32 v4, v2 offset:24
	ds_write_b8 v4, v3 offset:28
.LBB535_163:
	s_or_b64 exec, exec, s[48:49]
	v_cmp_eq_u32_e64 s[46:47], 0, v0
	v_cmp_ne_u32_e64 s[48:49], 0, v0
	s_waitcnt lgkmcnt(0)
	s_barrier
	s_and_saveexec_b64 s[52:53], s[48:49]
	s_cbranch_execz .LBB535_165
; %bb.164:
	v_add_u32_e32 v2, -1, v0
	v_lshrrev_b32_e32 v3, 5, v2
	v_add_lshl_u32 v2, v3, v2, 3
	ds_read_b32 v62, v2
	ds_read_u8 v63, v2 offset:4
.LBB535_165:
	s_or_b64 exec, exec, s[52:53]
	s_and_saveexec_b64 s[60:61], vcc
	s_cbranch_execz .LBB535_184
; %bb.166:
	v_mov_b32_e32 v5, 0
	ds_read_b64 v[2:3], v5 offset:2096
	v_mbcnt_lo_u32_b32 v4, -1, 0
	v_mbcnt_hi_u32_b32 v73, -1, v4
	s_mov_b32 s71, 0
	v_cmp_eq_u32_e64 s[48:49], 0, v73
	s_waitcnt lgkmcnt(0)
	v_readfirstlane_b32 s3, v3
	s_and_saveexec_b64 s[52:53], s[48:49]
	s_cbranch_execz .LBB535_168
; %bb.167:
	s_add_i32 s70, s2, 64
	s_lshl_b64 s[72:73], s[70:71], 4
	s_add_u32 s72, s56, s72
	s_addc_u32 s73, s57, s73
	s_and_b32 s75, s3, 0xff000000
	s_mov_b32 s74, s71
	s_and_b32 s79, s3, 0xff0000
	s_mov_b32 s78, s71
	s_or_b64 s[74:75], s[78:79], s[74:75]
	s_and_b32 s79, s3, 0xff00
	s_or_b64 s[74:75], s[74:75], s[78:79]
	s_and_b32 s79, s3, 0xff
	s_or_b64 s[70:71], s[74:75], s[78:79]
	v_mov_b32_e32 v3, s71
	v_mov_b32_e32 v4, 1
	v_mov_b64_e32 v[6:7], s[72:73]
	;;#ASMSTART
	global_store_dwordx4 v[6:7], v[2:5] off sc1	
s_waitcnt vmcnt(0)
	;;#ASMEND
.LBB535_168:
	s_or_b64 exec, exec, s[52:53]
	v_xad_u32 v58, v73, -1, s2
	v_add_u32_e32 v4, 64, v58
	v_lshl_add_u64 v[60:61], v[4:5], 4, s[56:57]
	;;#ASMSTART
	global_load_dwordx4 v[6:9], v[60:61] off sc1	
s_waitcnt vmcnt(0)
	;;#ASMEND
	s_nop 0
	v_and_b32_e32 v3, 0xff0000, v6
	v_and_b32_e32 v4, 0xff000000, v6
	;; [unrolled: 1-line block ×3, first 2 shown]
	v_or_b32_sdwa v3, v6, v3 dst_sel:DWORD dst_unused:UNUSED_PAD src0_sel:WORD_0 src1_sel:DWORD
	v_or3_b32 v7, 0, 0, v7
	v_or3_b32 v6, v3, v4, 0
	v_cmp_eq_u16_sdwa s[70:71], v8, v5 src0_sel:BYTE_0 src1_sel:DWORD
	s_and_saveexec_b64 s[52:53], s[70:71]
	s_cbranch_execz .LBB535_172
; %bb.169:
	s_mov_b64 s[70:71], 0
	v_mov_b32_e32 v3, 0
.LBB535_170:                            ; =>This Inner Loop Header: Depth=1
	;;#ASMSTART
	global_load_dwordx4 v[6:9], v[60:61] off sc1	
s_waitcnt vmcnt(0)
	;;#ASMEND
	s_nop 0
	v_cmp_ne_u16_sdwa s[72:73], v8, v3 src0_sel:BYTE_0 src1_sel:DWORD
	s_or_b64 s[70:71], s[72:73], s[70:71]
	s_andn2_b64 exec, exec, s[70:71]
	s_cbranch_execnz .LBB535_170
; %bb.171:
	s_or_b64 exec, exec, s[70:71]
	v_and_b32_e32 v7, 0xff, v7
.LBB535_172:
	s_or_b64 exec, exec, s[52:53]
	v_mov_b32_e32 v3, 2
	v_cmp_eq_u16_sdwa s[52:53], v8, v3 src0_sel:BYTE_0 src1_sel:DWORD
	v_lshlrev_b64 v[4:5], v73, -1
	v_and_b32_e32 v64, 63, v73
	v_and_b32_e32 v9, s53, v5
	v_or_b32_e32 v9, 0x80000000, v9
	v_and_b32_e32 v59, s52, v4
	v_ffbl_b32_e32 v9, v9
	v_add_u32_e32 v9, 32, v9
	v_ffbl_b32_e32 v59, v59
	v_cmp_ne_u32_e32 vcc, 63, v64
	v_min_u32_e32 v9, v59, v9
	s_mov_b32 s70, 0
	v_addc_co_u32_e32 v59, vcc, 0, v73, vcc
	v_lshlrev_b32_e32 v65, 2, v59
	ds_bpermute_b32 v59, v65, v7
	ds_bpermute_b32 v60, v65, v6
	v_and_b32_e32 v61, 1, v7
	s_mov_b32 s71, 1
	v_cmp_eq_u32_e32 vcc, 1, v61
	s_waitcnt lgkmcnt(1)
	v_and_b32_e32 v59, 1, v59
	v_cmp_lt_u32_e64 s[52:53], v64, v9
	v_cndmask_b32_e64 v59, v59, 1, vcc
	v_cmp_gt_u64_e32 vcc, s[70:71], v[6:7]
	s_and_b64 vcc, s[52:53], vcc
	v_and_b32_e32 v61, 0xffff, v59
	v_cndmask_b32_e64 v68, v7, v59, s[52:53]
	s_waitcnt lgkmcnt(0)
	v_cndmask_b32_e32 v59, 0, v60, vcc
	v_cmp_gt_u32_e32 vcc, 62, v64
	v_cndmask_b32_e64 v7, v7, v61, s[52:53]
	v_add_u32_e32 v6, v59, v6
	v_cndmask_b32_e64 v60, 0, 1, vcc
	v_lshlrev_b32_e32 v60, 1, v60
	v_add_lshl_u32 v66, v60, v73, 2
	ds_bpermute_b32 v60, v66, v7
	ds_bpermute_b32 v61, v66, v6
	v_and_b32_e32 v59, 1, v68
	v_cmp_eq_u32_e32 vcc, 1, v59
	v_mov_b32_e32 v59, 0
	s_waitcnt lgkmcnt(1)
	v_and_b32_e32 v60, 1, v60
	v_add_u32_e32 v67, 2, v64
	v_cndmask_b32_e64 v60, v60, 1, vcc
	v_cmp_eq_u16_sdwa vcc, v68, v59 src0_sel:BYTE_0 src1_sel:DWORD
	v_and_b32_e32 v69, 0xffff, v60
	v_add_u32_e32 v77, 32, v64
	s_waitcnt lgkmcnt(0)
	v_cndmask_b32_e32 v61, 0, v61, vcc
	v_cmp_gt_u32_e32 vcc, v67, v9
	s_nop 1
	v_cndmask_b32_e32 v60, v60, v68, vcc
	v_cndmask_b32_e64 v61, v61, 0, vcc
	v_cndmask_b32_e32 v7, v69, v7, vcc
	v_cmp_gt_u32_e32 vcc, 60, v64
	v_add_u32_e32 v6, v61, v6
	v_and_b32_e32 v71, 1, v60
	v_cndmask_b32_e64 v68, 0, 1, vcc
	v_lshlrev_b32_e32 v68, 2, v68
	v_add_lshl_u32 v68, v68, v73, 2
	ds_bpermute_b32 v70, v68, v7
	ds_bpermute_b32 v61, v68, v6
	v_cmp_eq_u32_e32 vcc, 1, v71
	v_add_u32_e32 v69, 4, v64
	s_waitcnt lgkmcnt(1)
	v_and_b32_e32 v70, 1, v70
	v_cndmask_b32_e64 v70, v70, 1, vcc
	v_cmp_eq_u16_sdwa vcc, v60, v59 src0_sel:BYTE_0 src1_sel:DWORD
	v_and_b32_e32 v71, 0xffff, v70
	s_waitcnt lgkmcnt(0)
	v_cndmask_b32_e32 v61, 0, v61, vcc
	v_cmp_gt_u32_e32 vcc, v69, v9
	s_nop 1
	v_cndmask_b32_e32 v60, v70, v60, vcc
	v_cndmask_b32_e64 v61, v61, 0, vcc
	v_cndmask_b32_e32 v7, v71, v7, vcc
	v_cmp_gt_u32_e32 vcc, 56, v64
	v_add_u32_e32 v6, v61, v6
	v_and_b32_e32 v74, 1, v60
	v_cndmask_b32_e64 v70, 0, 1, vcc
	v_lshlrev_b32_e32 v70, 3, v70
	v_add_lshl_u32 v70, v70, v73, 2
	ds_bpermute_b32 v72, v70, v7
	ds_bpermute_b32 v61, v70, v6
	v_cmp_eq_u32_e32 vcc, 1, v74
	v_add_u32_e32 v71, 8, v64
	s_waitcnt lgkmcnt(1)
	v_and_b32_e32 v72, 1, v72
	v_cndmask_b32_e64 v72, v72, 1, vcc
	v_cmp_eq_u16_sdwa vcc, v60, v59 src0_sel:BYTE_0 src1_sel:DWORD
	v_and_b32_e32 v74, 0xffff, v72
	;; [unrolled: 22-line block ×3, first 2 shown]
	s_waitcnt lgkmcnt(0)
	v_cndmask_b32_e32 v61, 0, v61, vcc
	v_cmp_gt_u32_e32 vcc, v74, v9
	s_nop 1
	v_cndmask_b32_e32 v60, v75, v60, vcc
	v_cndmask_b32_e64 v61, v61, 0, vcc
	v_cndmask_b32_e32 v7, v76, v7, vcc
	v_cmp_gt_u32_e32 vcc, 32, v64
	v_add_u32_e32 v6, v61, v6
	s_nop 0
	v_cndmask_b32_e64 v75, 0, 1, vcc
	v_lshlrev_b32_e32 v75, 5, v75
	v_add_lshl_u32 v76, v75, v73, 2
	ds_bpermute_b32 v7, v76, v7
	ds_bpermute_b32 v61, v76, v6
	v_and_b32_e32 v73, 1, v60
	v_cmp_eq_u32_e32 vcc, 1, v73
	s_waitcnt lgkmcnt(1)
	v_and_b32_e32 v7, 1, v7
	v_cndmask_b32_e64 v7, v7, 1, vcc
	v_cmp_eq_u16_sdwa vcc, v60, v59 src0_sel:BYTE_0 src1_sel:DWORD
	s_waitcnt lgkmcnt(0)
	s_nop 0
	v_cndmask_b32_e32 v61, 0, v61, vcc
	v_cmp_gt_u32_e32 vcc, v77, v9
	s_nop 1
	v_cndmask_b32_e64 v9, v61, 0, vcc
	v_cndmask_b32_e32 v7, v7, v60, vcc
	v_add_u32_e32 v6, v9, v6
	s_branch .LBB535_174
.LBB535_173:                            ;   in Loop: Header=BB535_174 Depth=1
	s_or_b64 exec, exec, s[52:53]
	v_cmp_eq_u16_sdwa s[52:53], v8, v3 src0_sel:BYTE_0 src1_sel:DWORD
	ds_bpermute_b32 v61, v65, v7
	v_and_b32_e32 v78, 1, v7
	v_and_b32_e32 v9, s53, v5
	v_or_b32_e32 v9, 0x80000000, v9
	v_and_b32_e32 v60, s52, v4
	v_ffbl_b32_e32 v9, v9
	v_add_u32_e32 v9, 32, v9
	v_ffbl_b32_e32 v60, v60
	v_min_u32_e32 v9, v60, v9
	ds_bpermute_b32 v60, v65, v6
	s_waitcnt lgkmcnt(1)
	v_and_b32_e32 v61, 1, v61
	v_cmp_eq_u32_e32 vcc, 1, v78
	v_cmp_lt_u32_e64 s[52:53], v64, v9
	v_subrev_u32_e32 v58, 64, v58
	v_cndmask_b32_e64 v61, v61, 1, vcc
	v_cmp_gt_u64_e32 vcc, s[70:71], v[6:7]
	v_and_b32_e32 v78, 0xffff, v61
	v_cndmask_b32_e64 v61, v7, v61, s[52:53]
	v_cndmask_b32_e64 v7, v7, v78, s[52:53]
	s_and_b64 vcc, s[52:53], vcc
	ds_bpermute_b32 v78, v66, v7
	s_waitcnt lgkmcnt(1)
	v_cndmask_b32_e32 v60, 0, v60, vcc
	v_add_u32_e32 v6, v60, v6
	ds_bpermute_b32 v60, v66, v6
	v_and_b32_e32 v79, 1, v61
	s_waitcnt lgkmcnt(1)
	v_and_b32_e32 v78, 1, v78
	v_cmp_eq_u32_e32 vcc, 1, v79
	s_nop 1
	v_cndmask_b32_e64 v78, v78, 1, vcc
	v_cmp_eq_u16_sdwa vcc, v61, v59 src0_sel:BYTE_0 src1_sel:DWORD
	v_and_b32_e32 v79, 0xffff, v78
	s_waitcnt lgkmcnt(0)
	v_cndmask_b32_e32 v60, 0, v60, vcc
	v_cmp_gt_u32_e32 vcc, v67, v9
	s_nop 1
	v_cndmask_b32_e32 v7, v79, v7, vcc
	v_cndmask_b32_e32 v61, v78, v61, vcc
	ds_bpermute_b32 v78, v68, v7
	v_cndmask_b32_e64 v60, v60, 0, vcc
	v_add_u32_e32 v6, v60, v6
	ds_bpermute_b32 v60, v68, v6
	v_and_b32_e32 v79, 1, v61
	s_waitcnt lgkmcnt(1)
	v_and_b32_e32 v78, 1, v78
	v_cmp_eq_u32_e32 vcc, 1, v79
	s_nop 1
	v_cndmask_b32_e64 v78, v78, 1, vcc
	v_cmp_eq_u16_sdwa vcc, v61, v59 src0_sel:BYTE_0 src1_sel:DWORD
	v_and_b32_e32 v79, 0xffff, v78
	s_waitcnt lgkmcnt(0)
	v_cndmask_b32_e32 v60, 0, v60, vcc
	v_cmp_gt_u32_e32 vcc, v69, v9
	s_nop 1
	v_cndmask_b32_e32 v7, v79, v7, vcc
	v_cndmask_b32_e32 v61, v78, v61, vcc
	ds_bpermute_b32 v78, v70, v7
	v_cndmask_b32_e64 v60, v60, 0, vcc
	;; [unrolled: 18-line block ×3, first 2 shown]
	v_add_u32_e32 v6, v60, v6
	ds_bpermute_b32 v60, v72, v6
	v_and_b32_e32 v79, 1, v61
	s_waitcnt lgkmcnt(1)
	v_and_b32_e32 v78, 1, v78
	v_cmp_eq_u32_e32 vcc, 1, v79
	s_nop 1
	v_cndmask_b32_e64 v78, v78, 1, vcc
	v_cmp_eq_u16_sdwa vcc, v61, v59 src0_sel:BYTE_0 src1_sel:DWORD
	v_and_b32_e32 v79, 0xffff, v78
	s_waitcnt lgkmcnt(0)
	v_cndmask_b32_e32 v60, 0, v60, vcc
	v_cmp_gt_u32_e32 vcc, v74, v9
	s_nop 1
	v_cndmask_b32_e64 v60, v60, 0, vcc
	v_cndmask_b32_e32 v7, v79, v7, vcc
	ds_bpermute_b32 v7, v76, v7
	v_add_u32_e32 v6, v60, v6
	ds_bpermute_b32 v60, v76, v6
	v_cndmask_b32_e32 v61, v78, v61, vcc
	v_and_b32_e32 v78, 1, v61
	v_cmp_eq_u32_e32 vcc, 1, v78
	s_waitcnt lgkmcnt(1)
	s_nop 0
	v_cndmask_b32_e64 v7, v7, 1, vcc
	v_cmp_eq_u16_sdwa vcc, v61, v59 src0_sel:BYTE_0 src1_sel:DWORD
	s_waitcnt lgkmcnt(0)
	s_nop 0
	v_cndmask_b32_e32 v60, 0, v60, vcc
	v_cmp_gt_u32_e32 vcc, v77, v9
	s_nop 1
	v_cndmask_b32_e64 v9, v60, 0, vcc
	v_cndmask_b32_e32 v7, v7, v61, vcc
	v_add_u32_e32 v6, v9, v6
	v_cmp_eq_u16_sdwa vcc, v73, v59 src0_sel:BYTE_0 src1_sel:DWORD
	v_and_b32_e32 v9, 1, v73
	v_and_b32_e32 v7, 1, v7
	v_cndmask_b32_e32 v6, 0, v6, vcc
	v_cmp_eq_u32_e32 vcc, 1, v9
	v_add_u32_e32 v6, v6, v75
	s_nop 0
	v_cndmask_b32_e64 v7, v7, 1, vcc
.LBB535_174:                            ; =>This Loop Header: Depth=1
                                        ;     Child Loop BB535_177 Depth 2
	v_cmp_ne_u16_sdwa s[52:53], v8, v3 src0_sel:BYTE_0 src1_sel:DWORD
	v_mov_b32_e32 v73, v7
	v_mov_b32_e32 v75, v6
	v_cndmask_b32_e64 v7, 0, 1, s[52:53]
	;;#ASMSTART
	;;#ASMEND
	s_nop 0
	v_cmp_ne_u32_e32 vcc, 0, v7
	s_cmp_lg_u64 vcc, exec
	s_cbranch_scc1 .LBB535_179
; %bb.175:                              ;   in Loop: Header=BB535_174 Depth=1
	v_lshl_add_u64 v[60:61], v[58:59], 4, s[56:57]
	;;#ASMSTART
	global_load_dwordx4 v[6:9], v[60:61] off sc1	
s_waitcnt vmcnt(0)
	;;#ASMEND
	s_nop 0
	v_and_b32_e32 v9, 0xff0000, v6
	v_and_b32_e32 v78, 0xff000000, v6
	;; [unrolled: 1-line block ×3, first 2 shown]
	v_or_b32_sdwa v6, v6, v9 dst_sel:DWORD dst_unused:UNUSED_PAD src0_sel:WORD_0 src1_sel:DWORD
	v_or3_b32 v7, 0, 0, v7
	v_or3_b32 v6, v6, v78, 0
	v_cmp_eq_u16_sdwa s[72:73], v8, v59 src0_sel:BYTE_0 src1_sel:DWORD
	s_and_saveexec_b64 s[52:53], s[72:73]
	s_cbranch_execz .LBB535_173
; %bb.176:                              ;   in Loop: Header=BB535_174 Depth=1
	s_mov_b64 s[72:73], 0
.LBB535_177:                            ;   Parent Loop BB535_174 Depth=1
                                        ; =>  This Inner Loop Header: Depth=2
	;;#ASMSTART
	global_load_dwordx4 v[6:9], v[60:61] off sc1	
s_waitcnt vmcnt(0)
	;;#ASMEND
	s_nop 0
	v_cmp_ne_u16_sdwa s[74:75], v8, v59 src0_sel:BYTE_0 src1_sel:DWORD
	s_or_b64 s[72:73], s[74:75], s[72:73]
	s_andn2_b64 exec, exec, s[72:73]
	s_cbranch_execnz .LBB535_177
; %bb.178:                              ;   in Loop: Header=BB535_174 Depth=1
	s_or_b64 exec, exec, s[72:73]
	v_and_b32_e32 v7, 0xff, v7
	s_branch .LBB535_173
.LBB535_179:                            ;   in Loop: Header=BB535_174 Depth=1
                                        ; implicit-def: $vgpr7
                                        ; implicit-def: $vgpr6
                                        ; implicit-def: $vgpr8
	s_cbranch_execz .LBB535_174
; %bb.180:
	s_and_saveexec_b64 s[52:53], s[48:49]
	s_cbranch_execz .LBB535_182
; %bb.181:
	s_and_b32 s48, s3, 0xff
	s_cmp_eq_u32 s48, 0
	s_cselect_b64 vcc, -1, 0
	s_bitcmp1_b32 s3, 0
	s_mov_b32 s49, 0
	s_cselect_b64 s[70:71], -1, 0
	s_add_i32 s48, s2, 64
	s_lshl_b64 s[2:3], s[48:49], 4
	v_cndmask_b32_e32 v3, 0, v75, vcc
	s_add_u32 s2, s56, s2
	v_add_u32_e32 v2, v3, v2
	v_and_b32_e32 v3, 1, v73
	s_addc_u32 s3, s57, s3
	v_mov_b32_e32 v5, 0
	v_cndmask_b32_e64 v3, v3, 1, s[70:71]
	v_mov_b32_e32 v4, 2
	v_mov_b64_e32 v[6:7], s[2:3]
	;;#ASMSTART
	global_store_dwordx4 v[6:7], v[2:5] off sc1	
s_waitcnt vmcnt(0)
	;;#ASMEND
.LBB535_182:
	s_or_b64 exec, exec, s[52:53]
	s_and_b64 exec, exec, s[46:47]
	s_cbranch_execz .LBB535_184
; %bb.183:
	v_mov_b32_e32 v2, 0
	ds_write_b32 v2, v75
	ds_write_b8 v2, v73 offset:4
.LBB535_184:
	s_or_b64 exec, exec, s[60:61]
	v_mov_b32_e32 v2, 0
	s_waitcnt lgkmcnt(0)
	s_barrier
	ds_read_b32 v3, v2
	v_cmp_eq_u16_sdwa vcc, v63, v2 src0_sel:BYTE_0 src1_sel:DWORD
	s_waitcnt lgkmcnt(0)
	s_nop 0
	v_cndmask_b32_e32 v4, 0, v3, vcc
	v_add_u32_e32 v4, v4, v62
	v_cndmask_b32_e64 v58, v4, v3, s[46:47]
	v_and_b32_e32 v3, 0xff, v11
	v_cmp_eq_u64_e32 vcc, 0, v[2:3]
	s_nop 1
	v_cndmask_b32_e32 v2, 0, v58, vcc
	v_add_u32_e32 v59, v2, v10
	v_cndmask_b32_e64 v2, 0, v59, s[50:51]
	v_add_u32_e32 v60, v2, v12
	v_cndmask_b32_e64 v2, 0, v60, s[4:5]
	;; [unrolled: 2-line block ×21, first 2 shown]
	v_add_u32_e32 v80, v2, v52
	s_branch .LBB535_205
.LBB535_185:
                                        ; implicit-def: $vgpr79
                                        ; implicit-def: $vgpr78
                                        ; implicit-def: $vgpr77
                                        ; implicit-def: $vgpr76
                                        ; implicit-def: $vgpr75
                                        ; implicit-def: $vgpr74
                                        ; implicit-def: $vgpr73
                                        ; implicit-def: $vgpr72
                                        ; implicit-def: $vgpr71
                                        ; implicit-def: $vgpr70
                                        ; implicit-def: $vgpr69
                                        ; implicit-def: $vgpr68
                                        ; implicit-def: $vgpr67
                                        ; implicit-def: $vgpr66
                                        ; implicit-def: $vgpr65
                                        ; implicit-def: $vgpr64
                                        ; implicit-def: $vgpr63
                                        ; implicit-def: $vgpr62
                                        ; implicit-def: $vgpr61
                                        ; implicit-def: $vgpr60
                                        ; implicit-def: $vgpr59
                                        ; implicit-def: $vgpr58
                                        ; implicit-def: $vgpr80
	s_cbranch_execz .LBB535_205
; %bb.186:
	s_cmp_lg_u64 s[68:69], 0
	s_cselect_b32 s3, s63, 0
	s_cselect_b32 s2, s62, 0
	s_mov_b32 s44, 0
	s_cmp_eq_u64 s[2:3], 0
	v_mov_b32_e32 v4, s76
	s_cbranch_scc1 .LBB535_188
; %bb.187:
	v_mov_b32_e32 v2, 0
	global_load_dword v4, v2, s[2:3]
.LBB535_188:
	s_mov_b32 s45, 1
	v_cmp_gt_u64_e32 vcc, s[44:45], v[12:13]
	v_cmp_gt_u64_e64 s[2:3], s[44:45], v[14:15]
	v_cmp_gt_u64_e64 s[4:5], s[44:45], v[16:17]
	v_cndmask_b32_e32 v2, 0, v10, vcc
	v_add_u32_e32 v2, v2, v12
	v_cndmask_b32_e64 v2, 0, v2, s[2:3]
	v_add_u32_e32 v2, v2, v14
	v_cndmask_b32_e64 v2, 0, v2, s[4:5]
	v_add_u32_e32 v2, v2, v16
	v_cmp_gt_u64_e64 s[6:7], s[44:45], v[18:19]
	v_cmp_gt_u64_e64 s[8:9], s[44:45], v[20:21]
	v_cmp_gt_u64_e64 s[10:11], s[44:45], v[22:23]
	v_cndmask_b32_e64 v2, 0, v2, s[6:7]
	v_add_u32_e32 v2, v2, v18
	v_cndmask_b32_e64 v2, 0, v2, s[8:9]
	v_add_u32_e32 v2, v2, v20
	v_cndmask_b32_e64 v2, 0, v2, s[10:11]
	v_add_u32_e32 v2, v2, v22
	v_cmp_gt_u64_e64 s[12:13], s[44:45], v[24:25]
	v_cmp_gt_u64_e64 s[14:15], s[44:45], v[26:27]
	v_cmp_gt_u64_e64 s[16:17], s[44:45], v[28:29]
	v_cndmask_b32_e64 v2, 0, v2, s[12:13]
	;; [unrolled: 9-line block ×6, first 2 shown]
	v_add_u32_e32 v2, v2, v48
	v_cndmask_b32_e64 v2, 0, v2, s[40:41]
	v_add_u32_e32 v2, v2, v50
	v_cndmask_b32_e64 v2, 0, v2, s[42:43]
	v_add_u32_e32 v2, v2, v52
	v_cmp_gt_u64_e64 s[44:45], s[44:45], v[56:57]
	v_add_lshl_u32 v1, v1, v0, 3
	s_nop 0
	v_cndmask_b32_e64 v2, 0, v2, s[44:45]
	v_add_u32_e32 v5, v2, v56
	v_or3_b32 v2, v55, v51, v49
	v_or3_b32 v2, v2, v47, v45
	;; [unrolled: 1-line block ×10, first 2 shown]
	v_and_b32_e32 v2, 1, v2
	v_cmp_eq_u32_e64 s[44:45], 1, v2
	s_nop 1
	v_cndmask_b32_e64 v6, v11, 1, s[44:45]
	v_cmp_gt_u32_e64 s[44:45], 64, v0
	ds_write_b32 v1, v5
	ds_write_b8 v1, v6 offset:4
	s_waitcnt lgkmcnt(0)
	s_barrier
	s_and_saveexec_b64 s[46:47], s[44:45]
	s_cbranch_execz .LBB535_200
; %bb.189:
	v_lshrrev_b32_e32 v1, 3, v0
	v_add_lshl_u32 v1, v1, v54, 3
	ds_read2_b32 v[8:9], v1 offset0:2 offset1:4
	ds_read_b64 v[2:3], v1
	ds_read_u8 v13, v1 offset:12
	ds_read_u8 v15, v1 offset:20
	ds_read_b32 v17, v1 offset:24
	ds_read_u8 v19, v1 offset:28
	v_mov_b32_e32 v21, 0
	s_waitcnt lgkmcnt(3)
	v_cmp_eq_u16_sdwa s[44:45], v13, v21 src0_sel:BYTE_0 src1_sel:DWORD
	v_and_b32_e32 v7, 1, v3
	s_nop 0
	v_cndmask_b32_e64 v23, 0, v2, s[44:45]
	v_add_u32_e32 v8, v23, v8
	s_waitcnt lgkmcnt(2)
	v_cmp_eq_u16_sdwa s[44:45], v15, v21 src0_sel:BYTE_0 src1_sel:DWORD
	s_nop 1
	v_cndmask_b32_e64 v8, 0, v8, s[44:45]
	v_add_u32_e32 v8, v8, v9
	s_waitcnt lgkmcnt(0)
	v_cmp_eq_u16_e64 s[44:45], 0, v19
	s_nop 1
	v_cndmask_b32_e64 v8, 0, v8, s[44:45]
	v_add_u32_e32 v9, v8, v17
	v_or_b32_e32 v8, v19, v15
	v_or_b32_e32 v8, v8, v13
	v_and_b32_e32 v8, 1, v8
	v_cmp_eq_u32_e64 s[44:45], 1, v8
	v_mbcnt_lo_u32_b32 v13, -1, 0
	v_and_b32_e32 v8, 0xffffff00, v3
	v_cndmask_b32_e64 v15, v7, 1, s[44:45]
	v_mbcnt_hi_u32_b32 v13, -1, v13
	v_and_b32_e32 v19, 15, v13
	v_or_b32_sdwa v17, v8, v15 dst_sel:DWORD dst_unused:UNUSED_PAD src0_sel:DWORD src1_sel:WORD_0
	v_mov_b32_dpp v21, v9 row_shr:1 row_mask:0xf bank_mask:0xf
	v_cmp_ne_u32_e64 s[44:45], 0, v19
	v_mov_b32_dpp v23, v17 row_shr:1 row_mask:0xf bank_mask:0xf
	s_and_saveexec_b64 s[48:49], s[44:45]
; %bb.190:
	v_and_b32_e32 v17, 1, v15
	v_and_b32_e32 v23, 1, v23
	v_cmp_eq_u32_e64 s[44:45], 1, v17
	s_nop 1
	v_cndmask_b32_e64 v23, v23, 1, s[44:45]
	v_cmp_eq_u16_e64 s[44:45], 0, v15
	v_or_b32_sdwa v17, v8, v23 dst_sel:DWORD dst_unused:UNUSED_PAD src0_sel:DWORD src1_sel:WORD_0
	s_nop 0
	v_cndmask_b32_e64 v15, 0, v21, s[44:45]
	v_add_u32_e32 v9, v15, v9
	v_mov_b32_e32 v15, v23
; %bb.191:
	s_or_b64 exec, exec, s[48:49]
	v_mov_b32_dpp v21, v9 row_shr:2 row_mask:0xf bank_mask:0xf
	v_mov_b32_dpp v23, v17 row_shr:2 row_mask:0xf bank_mask:0xf
	v_cmp_lt_u32_e64 s[44:45], 1, v19
	s_and_saveexec_b64 s[48:49], s[44:45]
; %bb.192:
	v_and_b32_e32 v17, 1, v15
	v_and_b32_e32 v23, 1, v23
	v_cmp_eq_u32_e64 s[44:45], 1, v17
	s_nop 1
	v_cndmask_b32_e64 v23, v23, 1, s[44:45]
	v_cmp_eq_u16_e64 s[44:45], 0, v15
	v_or_b32_sdwa v17, v8, v23 dst_sel:DWORD dst_unused:UNUSED_PAD src0_sel:DWORD src1_sel:WORD_0
	s_nop 0
	v_cndmask_b32_e64 v15, 0, v21, s[44:45]
	v_add_u32_e32 v9, v15, v9
	v_mov_b32_e32 v15, v23
; %bb.193:
	s_or_b64 exec, exec, s[48:49]
	v_mov_b32_dpp v21, v9 row_shr:4 row_mask:0xf bank_mask:0xf
	v_mov_b32_dpp v23, v17 row_shr:4 row_mask:0xf bank_mask:0xf
	v_cmp_lt_u32_e64 s[44:45], 3, v19
	;; [unrolled: 18-line block ×3, first 2 shown]
	s_and_saveexec_b64 s[48:49], s[44:45]
; %bb.196:
	v_and_b32_e32 v17, 1, v15
	v_and_b32_e32 v19, 1, v23
	v_cmp_eq_u32_e64 s[44:45], 1, v17
	s_nop 1
	v_cndmask_b32_e64 v19, v19, 1, s[44:45]
	v_cmp_eq_u16_e64 s[44:45], 0, v15
	v_or_b32_sdwa v17, v8, v19 dst_sel:DWORD dst_unused:UNUSED_PAD src0_sel:DWORD src1_sel:WORD_0
	s_nop 0
	v_cndmask_b32_e64 v15, 0, v21, s[44:45]
	v_add_u32_e32 v9, v15, v9
	v_mov_b32_e32 v15, v19
; %bb.197:
	s_or_b64 exec, exec, s[48:49]
	v_and_b32_e32 v23, 16, v13
	v_mov_b32_dpp v19, v9 row_bcast:15 row_mask:0xf bank_mask:0xf
	v_mov_b32_dpp v21, v17 row_bcast:15 row_mask:0xf bank_mask:0xf
	v_cmp_ne_u32_e64 s[44:45], 0, v23
	s_and_saveexec_b64 s[48:49], s[44:45]
; %bb.198:
	v_and_b32_e32 v17, 1, v15
	v_and_b32_e32 v21, 1, v21
	v_cmp_eq_u32_e64 s[44:45], 1, v17
	s_nop 1
	v_cndmask_b32_e64 v21, v21, 1, s[44:45]
	v_cmp_eq_u16_e64 s[44:45], 0, v15
	v_or_b32_sdwa v17, v8, v21 dst_sel:DWORD dst_unused:UNUSED_PAD src0_sel:DWORD src1_sel:WORD_0
	s_nop 0
	v_cndmask_b32_e64 v15, 0, v19, s[44:45]
	v_add_u32_e32 v9, v15, v9
	v_mov_b32_e32 v15, v21
; %bb.199:
	s_or_b64 exec, exec, s[48:49]
	v_mov_b32_dpp v17, v17 row_bcast:31 row_mask:0xf bank_mask:0xf
	v_and_b32_e32 v21, 1, v15
	v_and_b32_e32 v17, 1, v17
	v_cmp_eq_u32_e64 s[44:45], 1, v21
	v_mov_b32_e32 v21, 0
	v_cmp_eq_u16_sdwa s[48:49], v15, v21 src0_sel:BYTE_0 src1_sel:DWORD
	v_cndmask_b32_e64 v17, v17, 1, s[44:45]
	v_cmp_lt_u32_e64 s[44:45], 31, v13
	v_mov_b32_dpp v19, v9 row_bcast:31 row_mask:0xf bank_mask:0xf
	s_movk_i32 s50, 0xff
	v_cndmask_b32_e64 v15, v15, v17, s[44:45]
	s_and_b64 s[44:45], s[44:45], s[48:49]
	v_cndmask_b32_e64 v17, 0, v19, s[44:45]
	v_add_u32_e32 v9, v17, v9
	v_add_u32_e32 v17, -1, v13
	v_and_b32_e32 v19, 64, v13
	v_cmp_lt_i32_e64 s[44:45], v17, v19
	v_and_or_b32 v8, v15, s50, v8
	s_nop 0
	v_cndmask_b32_e64 v13, v17, v13, s[44:45]
	v_lshlrev_b32_e32 v13, 2, v13
	ds_bpermute_b32 v9, v13, v9
	ds_bpermute_b32 v8, v13, v8
	v_cmp_eq_u16_sdwa s[44:45], v3, v21 src0_sel:BYTE_0 src1_sel:DWORD
	; wave barrier
	s_waitcnt lgkmcnt(1)
	s_nop 0
	v_cndmask_b32_e64 v3, 0, v9, s[44:45]
	v_add_u32_e32 v2, v3, v2
	s_waitcnt lgkmcnt(0)
	v_and_b32_e32 v3, 1, v8
	v_cmp_eq_u32_e64 s[44:45], 1, v7
	s_nop 1
	v_cndmask_b32_e64 v3, v3, 1, s[44:45]
	v_cmp_eq_u32_e64 s[44:45], 0, v0
	s_nop 1
	v_cndmask_b32_e64 v5, v2, v5, s[44:45]
	v_cndmask_b32_e64 v6, v3, v6, s[44:45]
	ds_write_b32 v1, v5
	ds_write_b8 v1, v6 offset:4
	; wave barrier
	ds_read_u8 v7, v1 offset:12
	ds_read2_b32 v[2:3], v1 offset0:2 offset1:4
	ds_read_u8 v8, v1 offset:20
	ds_read_b32 v9, v1 offset:24
	ds_read_u8 v13, v1 offset:28
	s_waitcnt lgkmcnt(4)
	v_cmp_eq_u16_e64 s[44:45], 0, v7
	s_nop 1
	v_cndmask_b32_e64 v5, 0, v5, s[44:45]
	s_waitcnt lgkmcnt(3)
	v_add_u32_e32 v2, v5, v2
	v_and_b32_e32 v5, 1, v7
	v_cmp_eq_u32_e64 s[44:45], 1, v5
	s_nop 1
	v_cndmask_b32_e64 v5, v6, 1, s[44:45]
	s_waitcnt lgkmcnt(2)
	v_cmp_eq_u16_e64 s[44:45], 0, v8
	ds_write_b8 v1, v5 offset:12
	s_nop 0
	v_cndmask_b32_e64 v6, 0, v2, s[44:45]
	v_add_u32_e32 v3, v6, v3
	v_and_b32_e32 v6, 1, v8
	v_cmp_eq_u32_e64 s[44:45], 1, v6
	s_nop 1
	v_cndmask_b32_e64 v5, v5, 1, s[44:45]
	s_waitcnt lgkmcnt(1)
	v_cmp_eq_u16_e64 s[44:45], 0, v13
	ds_write2_b32 v1, v2, v3 offset0:2 offset1:4
	ds_write_b8 v1, v5 offset:20
	v_cndmask_b32_e64 v2, 0, v3, s[44:45]
	v_and_b32_e32 v3, 1, v13
	v_add_u32_e32 v2, v2, v9
	v_cmp_eq_u32_e64 s[44:45], 1, v3
	s_nop 1
	v_cndmask_b32_e64 v3, v5, 1, s[44:45]
	ds_write_b32 v1, v2 offset:24
	ds_write_b8 v1, v3 offset:28
.LBB535_200:
	s_or_b64 exec, exec, s[46:47]
	v_cmp_eq_u32_e64 s[44:45], 0, v0
	v_cmp_ne_u32_e64 s[46:47], 0, v0
	s_waitcnt vmcnt(0)
	v_mov_b32_e32 v58, v4
	s_waitcnt lgkmcnt(0)
	s_barrier
	s_and_saveexec_b64 s[48:49], s[46:47]
	s_cbranch_execz .LBB535_202
; %bb.201:
	v_add_u32_e32 v1, -1, v0
	v_lshrrev_b32_e32 v2, 5, v1
	v_add_lshl_u32 v1, v2, v1, 3
	ds_read_u8 v2, v1 offset:4
	ds_read_b32 v1, v1
	s_waitcnt lgkmcnt(1)
	v_cmp_eq_u16_e64 s[46:47], 0, v2
	s_nop 1
	v_cndmask_b32_e64 v2, 0, v4, s[46:47]
	s_waitcnt lgkmcnt(0)
	v_add_u32_e32 v58, v2, v1
.LBB535_202:
	s_or_b64 exec, exec, s[48:49]
	v_and_b32_e32 v3, 0xff, v11
	v_mov_b32_e32 v2, 0
	v_cmp_eq_u64_e64 s[46:47], 0, v[2:3]
	s_nop 1
	v_cndmask_b32_e64 v1, 0, v58, s[46:47]
	v_add_u32_e32 v59, v1, v10
	v_cndmask_b32_e32 v1, 0, v59, vcc
	v_add_u32_e32 v60, v1, v12
	v_cndmask_b32_e64 v1, 0, v60, s[2:3]
	v_add_u32_e32 v61, v1, v14
	v_cndmask_b32_e64 v1, 0, v61, s[4:5]
	;; [unrolled: 2-line block ×20, first 2 shown]
	s_and_saveexec_b64 s[2:3], s[44:45]
	s_cbranch_execz .LBB535_204
; %bb.203:
	ds_read_u8 v3, v2 offset:2100
	ds_read_b32 v5, v2 offset:2096
	s_add_u32 s4, s56, 0x400
	s_addc_u32 s5, s57, 0
	v_mov_b32_e32 v6, 2
	s_waitcnt lgkmcnt(1)
	v_cmp_eq_u16_e32 vcc, 0, v3
	v_mov_b32_e32 v7, v2
	s_nop 0
	v_cndmask_b32_e32 v4, 0, v4, vcc
	s_waitcnt lgkmcnt(0)
	v_add_u32_e32 v4, v4, v5
	v_and_b32_e32 v5, 0xffff, v3
	v_mov_b64_e32 v[2:3], s[4:5]
	;;#ASMSTART
	global_store_dwordx4 v[2:3], v[4:7] off sc1	
s_waitcnt vmcnt(0)
	;;#ASMEND
.LBB535_204:
	s_or_b64 exec, exec, s[2:3]
	v_add_u32_e32 v80, v1, v52
.LBB535_205:
	s_add_u32 s2, s54, s64
	s_addc_u32 s3, s55, s65
	s_add_u32 s2, s2, s66
	s_addc_u32 s3, s3, s67
	s_and_b64 vcc, exec, s[0:1]
	s_cbranch_vccz .LBB535_251
; %bb.206:
	s_movk_i32 s0, 0x5c
	v_mul_i32_i24_e32 v26, 0xffffffa8, v0
	v_mul_u32_u24_e32 v1, 0x5c, v0
	v_mad_u32_u24 v2, v0, s0, v26
	s_barrier
	ds_write2_b32 v1, v58, v59 offset1:1
	ds_write2_b32 v1, v60, v61 offset0:2 offset1:3
	ds_write2_b32 v1, v62, v63 offset0:4 offset1:5
	;; [unrolled: 1-line block ×10, first 2 shown]
	ds_write_b32 v1, v80 offset:88
	s_waitcnt lgkmcnt(0)
	s_barrier
	ds_read2st64_b32 v[24:25], v2 offset0:4 offset1:8
	ds_read2st64_b32 v[22:23], v2 offset0:12 offset1:16
	;; [unrolled: 1-line block ×11, first 2 shown]
	s_add_i32 s33, s33, s58
	v_mov_b32_e32 v55, 0
	v_lshl_add_u64 v[4:5], s[2:3], 0, v[54:55]
	v_cmp_gt_u32_e32 vcc, s33, v0
	s_and_saveexec_b64 s[0:1], vcc
	s_cbranch_execz .LBB535_208
; %bb.207:
	v_add_u32_e32 v1, v1, v26
	ds_read_b32 v1, v1
	s_waitcnt lgkmcnt(0)
	flat_store_dword v[4:5], v1
.LBB535_208:
	s_or_b64 exec, exec, s[0:1]
	v_or_b32_e32 v1, 0x100, v0
	v_cmp_gt_u32_e32 vcc, s33, v1
	s_and_saveexec_b64 s[0:1], vcc
	s_cbranch_execz .LBB535_210
; %bb.209:
	s_waitcnt lgkmcnt(0)
	flat_store_dword v[4:5], v24 offset:1024
.LBB535_210:
	s_or_b64 exec, exec, s[0:1]
	v_or_b32_e32 v1, 0x200, v0
	v_cmp_gt_u32_e32 vcc, s33, v1
	s_and_saveexec_b64 s[0:1], vcc
	s_cbranch_execz .LBB535_212
; %bb.211:
	s_waitcnt lgkmcnt(0)
	flat_store_dword v[4:5], v25 offset:2048
.LBB535_212:
	;; [unrolled: 9-line block ×3, first 2 shown]
	s_or_b64 exec, exec, s[0:1]
	v_or_b32_e32 v1, 0x400, v0
	v_cmp_gt_u32_e32 vcc, s33, v1
	s_and_saveexec_b64 s[0:1], vcc
	s_cbranch_execz .LBB535_216
; %bb.215:
	s_waitcnt lgkmcnt(0)
	v_add_co_u32_e32 v24, vcc, 0x1000, v4
	s_nop 1
	v_addc_co_u32_e32 v25, vcc, 0, v5, vcc
	flat_store_dword v[24:25], v23
.LBB535_216:
	s_or_b64 exec, exec, s[0:1]
	v_or_b32_e32 v1, 0x500, v0
	v_cmp_gt_u32_e32 vcc, s33, v1
	s_and_saveexec_b64 s[0:1], vcc
	s_cbranch_execz .LBB535_218
; %bb.217:
	s_waitcnt lgkmcnt(0)
	v_add_co_u32_e32 v22, vcc, 0x1000, v4
	s_nop 1
	v_addc_co_u32_e32 v23, vcc, 0, v5, vcc
	flat_store_dword v[22:23], v20 offset:1024
.LBB535_218:
	s_or_b64 exec, exec, s[0:1]
	v_or_b32_e32 v1, 0x600, v0
	v_cmp_gt_u32_e32 vcc, s33, v1
	s_and_saveexec_b64 s[0:1], vcc
	s_cbranch_execz .LBB535_220
; %bb.219:
	s_waitcnt lgkmcnt(0)
	v_add_co_u32_e32 v22, vcc, 0x1000, v4
	s_nop 1
	v_addc_co_u32_e32 v23, vcc, 0, v5, vcc
	flat_store_dword v[22:23], v21 offset:2048
.LBB535_220:
	s_or_b64 exec, exec, s[0:1]
	v_or_b32_e32 v1, 0x700, v0
	v_cmp_gt_u32_e32 vcc, s33, v1
	s_and_saveexec_b64 s[0:1], vcc
	s_cbranch_execz .LBB535_222
; %bb.221:
	s_waitcnt lgkmcnt(0)
	v_add_co_u32_e32 v20, vcc, 0x1000, v4
	s_nop 1
	v_addc_co_u32_e32 v21, vcc, 0, v5, vcc
	flat_store_dword v[20:21], v18 offset:3072
.LBB535_222:
	s_or_b64 exec, exec, s[0:1]
	v_or_b32_e32 v1, 0x800, v0
	v_cmp_gt_u32_e32 vcc, s33, v1
	s_and_saveexec_b64 s[0:1], vcc
	s_cbranch_execz .LBB535_224
; %bb.223:
	s_waitcnt lgkmcnt(0)
	v_add_co_u32_e32 v20, vcc, 0x2000, v4
	s_nop 1
	v_addc_co_u32_e32 v21, vcc, 0, v5, vcc
	flat_store_dword v[20:21], v19
.LBB535_224:
	s_or_b64 exec, exec, s[0:1]
	v_or_b32_e32 v1, 0x900, v0
	v_cmp_gt_u32_e32 vcc, s33, v1
	s_and_saveexec_b64 s[0:1], vcc
	s_cbranch_execz .LBB535_226
; %bb.225:
	s_waitcnt lgkmcnt(0)
	v_add_co_u32_e32 v18, vcc, 0x2000, v4
	s_nop 1
	v_addc_co_u32_e32 v19, vcc, 0, v5, vcc
	flat_store_dword v[18:19], v16 offset:1024
.LBB535_226:
	s_or_b64 exec, exec, s[0:1]
	v_or_b32_e32 v1, 0xa00, v0
	v_cmp_gt_u32_e32 vcc, s33, v1
	s_and_saveexec_b64 s[0:1], vcc
	s_cbranch_execz .LBB535_228
; %bb.227:
	s_waitcnt lgkmcnt(0)
	v_add_co_u32_e32 v18, vcc, 0x2000, v4
	s_nop 1
	v_addc_co_u32_e32 v19, vcc, 0, v5, vcc
	flat_store_dword v[18:19], v17 offset:2048
.LBB535_228:
	s_or_b64 exec, exec, s[0:1]
	v_or_b32_e32 v1, 0xb00, v0
	v_cmp_gt_u32_e32 vcc, s33, v1
	s_and_saveexec_b64 s[0:1], vcc
	s_cbranch_execz .LBB535_230
; %bb.229:
	s_waitcnt lgkmcnt(0)
	v_add_co_u32_e32 v16, vcc, 0x2000, v4
	s_nop 1
	v_addc_co_u32_e32 v17, vcc, 0, v5, vcc
	flat_store_dword v[16:17], v14 offset:3072
.LBB535_230:
	;; [unrolled: 48-line block ×4, first 2 shown]
	s_or_b64 exec, exec, s[0:1]
	v_or_b32_e32 v1, 0x1400, v0
	v_cmp_gt_u32_e32 vcc, s33, v1
	s_and_saveexec_b64 s[0:1], vcc
	s_cbranch_execz .LBB535_248
; %bb.247:
	s_waitcnt lgkmcnt(0)
	v_add_co_u32_e32 v8, vcc, 0x5000, v4
	s_nop 1
	v_addc_co_u32_e32 v9, vcc, 0, v5, vcc
	flat_store_dword v[8:9], v7
.LBB535_248:
	s_or_b64 exec, exec, s[0:1]
	v_or_b32_e32 v1, 0x1500, v0
	v_cmp_gt_u32_e32 vcc, s33, v1
	s_and_saveexec_b64 s[0:1], vcc
	s_cbranch_execz .LBB535_250
; %bb.249:
	v_add_co_u32_e32 v4, vcc, 0x5000, v4
	s_nop 1
	v_addc_co_u32_e32 v5, vcc, 0, v5, vcc
	s_waitcnt lgkmcnt(0)
	flat_store_dword v[4:5], v2 offset:1024
.LBB535_250:
	s_or_b64 exec, exec, s[0:1]
	s_waitcnt lgkmcnt(0)
	v_or_b32_e32 v2, 0x1600, v0
	v_mov_b32_e32 v1, v55
	v_cmp_gt_u32_e64 s[0:1], s33, v2
	s_branch .LBB535_253
.LBB535_251:
	s_mov_b64 s[0:1], 0
                                        ; implicit-def: $vgpr3
	s_cbranch_execz .LBB535_253
; %bb.252:
	v_mul_u32_u24_e32 v1, 0x5c, v0
	s_barrier
	s_movk_i32 s4, 0x5c
	ds_write2_b32 v1, v58, v59 offset1:1
	ds_write2_b32 v1, v60, v61 offset0:2 offset1:3
	ds_write2_b32 v1, v62, v63 offset0:4 offset1:5
	;; [unrolled: 1-line block ×10, first 2 shown]
	ds_write_b32 v1, v80 offset:88
	v_mov_b32_e32 v1, 0
	v_mul_i32_i24_e32 v2, 0xffffffa8, v0
	v_mad_u32_u24 v2, v0, s4, v2
	v_mov_b32_e32 v55, v1
	s_waitcnt lgkmcnt(0)
	s_barrier
	ds_read2st64_b32 v[4:5], v2 offset1:4
	ds_read2st64_b32 v[6:7], v2 offset0:8 offset1:12
	ds_read2st64_b32 v[8:9], v2 offset0:16 offset1:20
	;; [unrolled: 1-line block ×10, first 2 shown]
	ds_read_b32 v3, v2 offset:22528
	v_lshl_add_u64 v[26:27], s[2:3], 0, v[54:55]
	s_movk_i32 s4, 0x1000
	s_waitcnt lgkmcnt(0)
	flat_store_dword v[26:27], v4
	flat_store_dword v[26:27], v5 offset:1024
	flat_store_dword v[26:27], v6 offset:2048
	;; [unrolled: 1-line block ×3, first 2 shown]
	v_add_co_u32_e32 v4, vcc, s4, v26
	s_movk_i32 s4, 0x2000
	s_nop 0
	v_addc_co_u32_e32 v5, vcc, 0, v27, vcc
	flat_store_dword v[4:5], v8
	flat_store_dword v[4:5], v9 offset:1024
	flat_store_dword v[4:5], v10 offset:2048
	;; [unrolled: 1-line block ×3, first 2 shown]
	v_add_co_u32_e32 v4, vcc, s4, v26
	s_movk_i32 s4, 0x3000
	s_nop 0
	v_addc_co_u32_e32 v5, vcc, 0, v27, vcc
	flat_store_dword v[4:5], v12
	flat_store_dword v[4:5], v13 offset:1024
	flat_store_dword v[4:5], v14 offset:2048
	;; [unrolled: 1-line block ×3, first 2 shown]
	v_add_co_u32_e32 v4, vcc, s4, v26
	s_or_b64 s[0:1], s[0:1], exec
	s_nop 0
	v_addc_co_u32_e32 v5, vcc, 0, v27, vcc
	flat_store_dword v[4:5], v16
	flat_store_dword v[4:5], v17 offset:1024
	flat_store_dword v[4:5], v18 offset:2048
	flat_store_dword v[4:5], v19 offset:3072
	v_add_co_u32_e32 v4, vcc, 0x4000, v26
	s_nop 1
	v_addc_co_u32_e32 v5, vcc, 0, v27, vcc
	flat_store_dword v[4:5], v20
	flat_store_dword v[4:5], v21 offset:1024
	flat_store_dword v[4:5], v22 offset:2048
	;; [unrolled: 1-line block ×3, first 2 shown]
	v_add_co_u32_e32 v4, vcc, 0x5000, v26
	s_nop 1
	v_addc_co_u32_e32 v5, vcc, 0, v27, vcc
	flat_store_dword v[4:5], v24
	flat_store_dword v[4:5], v25 offset:1024
.LBB535_253:
	s_and_saveexec_b64 s[4:5], s[0:1]
	s_cbranch_execz .LBB535_255
; %bb.254:
	v_lshl_add_u64 v[0:1], v[0:1], 2, s[2:3]
	v_add_co_u32_e32 v0, vcc, 0x5000, v0
	s_nop 1
	v_addc_co_u32_e32 v1, vcc, 0, v1, vcc
	flat_store_dword v[0:1], v3 offset:2048
	s_endpgm
.LBB535_255:
	s_endpgm
	.section	.rodata,"a",@progbits
	.p2align	6, 0x0
	.amdhsa_kernel _ZN7rocprim17ROCPRIM_400000_NS6detail17trampoline_kernelINS0_14default_configENS1_27scan_by_key_config_selectorIiiEEZZNS1_16scan_by_key_implILNS1_25lookback_scan_determinismE0ELb1ES3_N6thrust23THRUST_200600_302600_NS6detail15normal_iteratorINS9_10device_ptrIiEEEESE_SE_iNS9_4plusIvEENS9_8equal_toIiEEiEE10hipError_tPvRmT2_T3_T4_T5_mT6_T7_P12ihipStream_tbENKUlT_T0_E_clISt17integral_constantIbLb0EESZ_EEDaSU_SV_EUlSU_E_NS1_11comp_targetILNS1_3genE5ELNS1_11target_archE942ELNS1_3gpuE9ELNS1_3repE0EEENS1_30default_config_static_selectorELNS0_4arch9wavefront6targetE1EEEvT1_
		.amdhsa_group_segment_fixed_size 25600
		.amdhsa_private_segment_fixed_size 0
		.amdhsa_kernarg_size 112
		.amdhsa_user_sgpr_count 2
		.amdhsa_user_sgpr_dispatch_ptr 0
		.amdhsa_user_sgpr_queue_ptr 0
		.amdhsa_user_sgpr_kernarg_segment_ptr 1
		.amdhsa_user_sgpr_dispatch_id 0
		.amdhsa_user_sgpr_kernarg_preload_length 0
		.amdhsa_user_sgpr_kernarg_preload_offset 0
		.amdhsa_user_sgpr_private_segment_size 0
		.amdhsa_uses_dynamic_stack 0
		.amdhsa_enable_private_segment 0
		.amdhsa_system_sgpr_workgroup_id_x 1
		.amdhsa_system_sgpr_workgroup_id_y 0
		.amdhsa_system_sgpr_workgroup_id_z 0
		.amdhsa_system_sgpr_workgroup_info 0
		.amdhsa_system_vgpr_workitem_id 0
		.amdhsa_next_free_vgpr 81
		.amdhsa_next_free_sgpr 80
		.amdhsa_accum_offset 84
		.amdhsa_reserve_vcc 1
		.amdhsa_float_round_mode_32 0
		.amdhsa_float_round_mode_16_64 0
		.amdhsa_float_denorm_mode_32 3
		.amdhsa_float_denorm_mode_16_64 3
		.amdhsa_dx10_clamp 1
		.amdhsa_ieee_mode 1
		.amdhsa_fp16_overflow 0
		.amdhsa_tg_split 0
		.amdhsa_exception_fp_ieee_invalid_op 0
		.amdhsa_exception_fp_denorm_src 0
		.amdhsa_exception_fp_ieee_div_zero 0
		.amdhsa_exception_fp_ieee_overflow 0
		.amdhsa_exception_fp_ieee_underflow 0
		.amdhsa_exception_fp_ieee_inexact 0
		.amdhsa_exception_int_div_zero 0
	.end_amdhsa_kernel
	.section	.text._ZN7rocprim17ROCPRIM_400000_NS6detail17trampoline_kernelINS0_14default_configENS1_27scan_by_key_config_selectorIiiEEZZNS1_16scan_by_key_implILNS1_25lookback_scan_determinismE0ELb1ES3_N6thrust23THRUST_200600_302600_NS6detail15normal_iteratorINS9_10device_ptrIiEEEESE_SE_iNS9_4plusIvEENS9_8equal_toIiEEiEE10hipError_tPvRmT2_T3_T4_T5_mT6_T7_P12ihipStream_tbENKUlT_T0_E_clISt17integral_constantIbLb0EESZ_EEDaSU_SV_EUlSU_E_NS1_11comp_targetILNS1_3genE5ELNS1_11target_archE942ELNS1_3gpuE9ELNS1_3repE0EEENS1_30default_config_static_selectorELNS0_4arch9wavefront6targetE1EEEvT1_,"axG",@progbits,_ZN7rocprim17ROCPRIM_400000_NS6detail17trampoline_kernelINS0_14default_configENS1_27scan_by_key_config_selectorIiiEEZZNS1_16scan_by_key_implILNS1_25lookback_scan_determinismE0ELb1ES3_N6thrust23THRUST_200600_302600_NS6detail15normal_iteratorINS9_10device_ptrIiEEEESE_SE_iNS9_4plusIvEENS9_8equal_toIiEEiEE10hipError_tPvRmT2_T3_T4_T5_mT6_T7_P12ihipStream_tbENKUlT_T0_E_clISt17integral_constantIbLb0EESZ_EEDaSU_SV_EUlSU_E_NS1_11comp_targetILNS1_3genE5ELNS1_11target_archE942ELNS1_3gpuE9ELNS1_3repE0EEENS1_30default_config_static_selectorELNS0_4arch9wavefront6targetE1EEEvT1_,comdat
.Lfunc_end535:
	.size	_ZN7rocprim17ROCPRIM_400000_NS6detail17trampoline_kernelINS0_14default_configENS1_27scan_by_key_config_selectorIiiEEZZNS1_16scan_by_key_implILNS1_25lookback_scan_determinismE0ELb1ES3_N6thrust23THRUST_200600_302600_NS6detail15normal_iteratorINS9_10device_ptrIiEEEESE_SE_iNS9_4plusIvEENS9_8equal_toIiEEiEE10hipError_tPvRmT2_T3_T4_T5_mT6_T7_P12ihipStream_tbENKUlT_T0_E_clISt17integral_constantIbLb0EESZ_EEDaSU_SV_EUlSU_E_NS1_11comp_targetILNS1_3genE5ELNS1_11target_archE942ELNS1_3gpuE9ELNS1_3repE0EEENS1_30default_config_static_selectorELNS0_4arch9wavefront6targetE1EEEvT1_, .Lfunc_end535-_ZN7rocprim17ROCPRIM_400000_NS6detail17trampoline_kernelINS0_14default_configENS1_27scan_by_key_config_selectorIiiEEZZNS1_16scan_by_key_implILNS1_25lookback_scan_determinismE0ELb1ES3_N6thrust23THRUST_200600_302600_NS6detail15normal_iteratorINS9_10device_ptrIiEEEESE_SE_iNS9_4plusIvEENS9_8equal_toIiEEiEE10hipError_tPvRmT2_T3_T4_T5_mT6_T7_P12ihipStream_tbENKUlT_T0_E_clISt17integral_constantIbLb0EESZ_EEDaSU_SV_EUlSU_E_NS1_11comp_targetILNS1_3genE5ELNS1_11target_archE942ELNS1_3gpuE9ELNS1_3repE0EEENS1_30default_config_static_selectorELNS0_4arch9wavefront6targetE1EEEvT1_
                                        ; -- End function
	.section	.AMDGPU.csdata,"",@progbits
; Kernel info:
; codeLenInByte = 15680
; NumSgprs: 86
; NumVgprs: 81
; NumAgprs: 0
; TotalNumVgprs: 81
; ScratchSize: 0
; MemoryBound: 0
; FloatMode: 240
; IeeeMode: 1
; LDSByteSize: 25600 bytes/workgroup (compile time only)
; SGPRBlocks: 10
; VGPRBlocks: 10
; NumSGPRsForWavesPerEU: 86
; NumVGPRsForWavesPerEU: 81
; AccumOffset: 84
; Occupancy: 2
; WaveLimiterHint : 1
; COMPUTE_PGM_RSRC2:SCRATCH_EN: 0
; COMPUTE_PGM_RSRC2:USER_SGPR: 2
; COMPUTE_PGM_RSRC2:TRAP_HANDLER: 0
; COMPUTE_PGM_RSRC2:TGID_X_EN: 1
; COMPUTE_PGM_RSRC2:TGID_Y_EN: 0
; COMPUTE_PGM_RSRC2:TGID_Z_EN: 0
; COMPUTE_PGM_RSRC2:TIDIG_COMP_CNT: 0
; COMPUTE_PGM_RSRC3_GFX90A:ACCUM_OFFSET: 20
; COMPUTE_PGM_RSRC3_GFX90A:TG_SPLIT: 0
	.section	.text._ZN7rocprim17ROCPRIM_400000_NS6detail17trampoline_kernelINS0_14default_configENS1_27scan_by_key_config_selectorIiiEEZZNS1_16scan_by_key_implILNS1_25lookback_scan_determinismE0ELb1ES3_N6thrust23THRUST_200600_302600_NS6detail15normal_iteratorINS9_10device_ptrIiEEEESE_SE_iNS9_4plusIvEENS9_8equal_toIiEEiEE10hipError_tPvRmT2_T3_T4_T5_mT6_T7_P12ihipStream_tbENKUlT_T0_E_clISt17integral_constantIbLb0EESZ_EEDaSU_SV_EUlSU_E_NS1_11comp_targetILNS1_3genE4ELNS1_11target_archE910ELNS1_3gpuE8ELNS1_3repE0EEENS1_30default_config_static_selectorELNS0_4arch9wavefront6targetE1EEEvT1_,"axG",@progbits,_ZN7rocprim17ROCPRIM_400000_NS6detail17trampoline_kernelINS0_14default_configENS1_27scan_by_key_config_selectorIiiEEZZNS1_16scan_by_key_implILNS1_25lookback_scan_determinismE0ELb1ES3_N6thrust23THRUST_200600_302600_NS6detail15normal_iteratorINS9_10device_ptrIiEEEESE_SE_iNS9_4plusIvEENS9_8equal_toIiEEiEE10hipError_tPvRmT2_T3_T4_T5_mT6_T7_P12ihipStream_tbENKUlT_T0_E_clISt17integral_constantIbLb0EESZ_EEDaSU_SV_EUlSU_E_NS1_11comp_targetILNS1_3genE4ELNS1_11target_archE910ELNS1_3gpuE8ELNS1_3repE0EEENS1_30default_config_static_selectorELNS0_4arch9wavefront6targetE1EEEvT1_,comdat
	.protected	_ZN7rocprim17ROCPRIM_400000_NS6detail17trampoline_kernelINS0_14default_configENS1_27scan_by_key_config_selectorIiiEEZZNS1_16scan_by_key_implILNS1_25lookback_scan_determinismE0ELb1ES3_N6thrust23THRUST_200600_302600_NS6detail15normal_iteratorINS9_10device_ptrIiEEEESE_SE_iNS9_4plusIvEENS9_8equal_toIiEEiEE10hipError_tPvRmT2_T3_T4_T5_mT6_T7_P12ihipStream_tbENKUlT_T0_E_clISt17integral_constantIbLb0EESZ_EEDaSU_SV_EUlSU_E_NS1_11comp_targetILNS1_3genE4ELNS1_11target_archE910ELNS1_3gpuE8ELNS1_3repE0EEENS1_30default_config_static_selectorELNS0_4arch9wavefront6targetE1EEEvT1_ ; -- Begin function _ZN7rocprim17ROCPRIM_400000_NS6detail17trampoline_kernelINS0_14default_configENS1_27scan_by_key_config_selectorIiiEEZZNS1_16scan_by_key_implILNS1_25lookback_scan_determinismE0ELb1ES3_N6thrust23THRUST_200600_302600_NS6detail15normal_iteratorINS9_10device_ptrIiEEEESE_SE_iNS9_4plusIvEENS9_8equal_toIiEEiEE10hipError_tPvRmT2_T3_T4_T5_mT6_T7_P12ihipStream_tbENKUlT_T0_E_clISt17integral_constantIbLb0EESZ_EEDaSU_SV_EUlSU_E_NS1_11comp_targetILNS1_3genE4ELNS1_11target_archE910ELNS1_3gpuE8ELNS1_3repE0EEENS1_30default_config_static_selectorELNS0_4arch9wavefront6targetE1EEEvT1_
	.globl	_ZN7rocprim17ROCPRIM_400000_NS6detail17trampoline_kernelINS0_14default_configENS1_27scan_by_key_config_selectorIiiEEZZNS1_16scan_by_key_implILNS1_25lookback_scan_determinismE0ELb1ES3_N6thrust23THRUST_200600_302600_NS6detail15normal_iteratorINS9_10device_ptrIiEEEESE_SE_iNS9_4plusIvEENS9_8equal_toIiEEiEE10hipError_tPvRmT2_T3_T4_T5_mT6_T7_P12ihipStream_tbENKUlT_T0_E_clISt17integral_constantIbLb0EESZ_EEDaSU_SV_EUlSU_E_NS1_11comp_targetILNS1_3genE4ELNS1_11target_archE910ELNS1_3gpuE8ELNS1_3repE0EEENS1_30default_config_static_selectorELNS0_4arch9wavefront6targetE1EEEvT1_
	.p2align	8
	.type	_ZN7rocprim17ROCPRIM_400000_NS6detail17trampoline_kernelINS0_14default_configENS1_27scan_by_key_config_selectorIiiEEZZNS1_16scan_by_key_implILNS1_25lookback_scan_determinismE0ELb1ES3_N6thrust23THRUST_200600_302600_NS6detail15normal_iteratorINS9_10device_ptrIiEEEESE_SE_iNS9_4plusIvEENS9_8equal_toIiEEiEE10hipError_tPvRmT2_T3_T4_T5_mT6_T7_P12ihipStream_tbENKUlT_T0_E_clISt17integral_constantIbLb0EESZ_EEDaSU_SV_EUlSU_E_NS1_11comp_targetILNS1_3genE4ELNS1_11target_archE910ELNS1_3gpuE8ELNS1_3repE0EEENS1_30default_config_static_selectorELNS0_4arch9wavefront6targetE1EEEvT1_,@function
_ZN7rocprim17ROCPRIM_400000_NS6detail17trampoline_kernelINS0_14default_configENS1_27scan_by_key_config_selectorIiiEEZZNS1_16scan_by_key_implILNS1_25lookback_scan_determinismE0ELb1ES3_N6thrust23THRUST_200600_302600_NS6detail15normal_iteratorINS9_10device_ptrIiEEEESE_SE_iNS9_4plusIvEENS9_8equal_toIiEEiEE10hipError_tPvRmT2_T3_T4_T5_mT6_T7_P12ihipStream_tbENKUlT_T0_E_clISt17integral_constantIbLb0EESZ_EEDaSU_SV_EUlSU_E_NS1_11comp_targetILNS1_3genE4ELNS1_11target_archE910ELNS1_3gpuE8ELNS1_3repE0EEENS1_30default_config_static_selectorELNS0_4arch9wavefront6targetE1EEEvT1_: ; @_ZN7rocprim17ROCPRIM_400000_NS6detail17trampoline_kernelINS0_14default_configENS1_27scan_by_key_config_selectorIiiEEZZNS1_16scan_by_key_implILNS1_25lookback_scan_determinismE0ELb1ES3_N6thrust23THRUST_200600_302600_NS6detail15normal_iteratorINS9_10device_ptrIiEEEESE_SE_iNS9_4plusIvEENS9_8equal_toIiEEiEE10hipError_tPvRmT2_T3_T4_T5_mT6_T7_P12ihipStream_tbENKUlT_T0_E_clISt17integral_constantIbLb0EESZ_EEDaSU_SV_EUlSU_E_NS1_11comp_targetILNS1_3genE4ELNS1_11target_archE910ELNS1_3gpuE8ELNS1_3repE0EEENS1_30default_config_static_selectorELNS0_4arch9wavefront6targetE1EEEvT1_
; %bb.0:
	.section	.rodata,"a",@progbits
	.p2align	6, 0x0
	.amdhsa_kernel _ZN7rocprim17ROCPRIM_400000_NS6detail17trampoline_kernelINS0_14default_configENS1_27scan_by_key_config_selectorIiiEEZZNS1_16scan_by_key_implILNS1_25lookback_scan_determinismE0ELb1ES3_N6thrust23THRUST_200600_302600_NS6detail15normal_iteratorINS9_10device_ptrIiEEEESE_SE_iNS9_4plusIvEENS9_8equal_toIiEEiEE10hipError_tPvRmT2_T3_T4_T5_mT6_T7_P12ihipStream_tbENKUlT_T0_E_clISt17integral_constantIbLb0EESZ_EEDaSU_SV_EUlSU_E_NS1_11comp_targetILNS1_3genE4ELNS1_11target_archE910ELNS1_3gpuE8ELNS1_3repE0EEENS1_30default_config_static_selectorELNS0_4arch9wavefront6targetE1EEEvT1_
		.amdhsa_group_segment_fixed_size 0
		.amdhsa_private_segment_fixed_size 0
		.amdhsa_kernarg_size 112
		.amdhsa_user_sgpr_count 2
		.amdhsa_user_sgpr_dispatch_ptr 0
		.amdhsa_user_sgpr_queue_ptr 0
		.amdhsa_user_sgpr_kernarg_segment_ptr 1
		.amdhsa_user_sgpr_dispatch_id 0
		.amdhsa_user_sgpr_kernarg_preload_length 0
		.amdhsa_user_sgpr_kernarg_preload_offset 0
		.amdhsa_user_sgpr_private_segment_size 0
		.amdhsa_uses_dynamic_stack 0
		.amdhsa_enable_private_segment 0
		.amdhsa_system_sgpr_workgroup_id_x 1
		.amdhsa_system_sgpr_workgroup_id_y 0
		.amdhsa_system_sgpr_workgroup_id_z 0
		.amdhsa_system_sgpr_workgroup_info 0
		.amdhsa_system_vgpr_workitem_id 0
		.amdhsa_next_free_vgpr 1
		.amdhsa_next_free_sgpr 0
		.amdhsa_accum_offset 4
		.amdhsa_reserve_vcc 0
		.amdhsa_float_round_mode_32 0
		.amdhsa_float_round_mode_16_64 0
		.amdhsa_float_denorm_mode_32 3
		.amdhsa_float_denorm_mode_16_64 3
		.amdhsa_dx10_clamp 1
		.amdhsa_ieee_mode 1
		.amdhsa_fp16_overflow 0
		.amdhsa_tg_split 0
		.amdhsa_exception_fp_ieee_invalid_op 0
		.amdhsa_exception_fp_denorm_src 0
		.amdhsa_exception_fp_ieee_div_zero 0
		.amdhsa_exception_fp_ieee_overflow 0
		.amdhsa_exception_fp_ieee_underflow 0
		.amdhsa_exception_fp_ieee_inexact 0
		.amdhsa_exception_int_div_zero 0
	.end_amdhsa_kernel
	.section	.text._ZN7rocprim17ROCPRIM_400000_NS6detail17trampoline_kernelINS0_14default_configENS1_27scan_by_key_config_selectorIiiEEZZNS1_16scan_by_key_implILNS1_25lookback_scan_determinismE0ELb1ES3_N6thrust23THRUST_200600_302600_NS6detail15normal_iteratorINS9_10device_ptrIiEEEESE_SE_iNS9_4plusIvEENS9_8equal_toIiEEiEE10hipError_tPvRmT2_T3_T4_T5_mT6_T7_P12ihipStream_tbENKUlT_T0_E_clISt17integral_constantIbLb0EESZ_EEDaSU_SV_EUlSU_E_NS1_11comp_targetILNS1_3genE4ELNS1_11target_archE910ELNS1_3gpuE8ELNS1_3repE0EEENS1_30default_config_static_selectorELNS0_4arch9wavefront6targetE1EEEvT1_,"axG",@progbits,_ZN7rocprim17ROCPRIM_400000_NS6detail17trampoline_kernelINS0_14default_configENS1_27scan_by_key_config_selectorIiiEEZZNS1_16scan_by_key_implILNS1_25lookback_scan_determinismE0ELb1ES3_N6thrust23THRUST_200600_302600_NS6detail15normal_iteratorINS9_10device_ptrIiEEEESE_SE_iNS9_4plusIvEENS9_8equal_toIiEEiEE10hipError_tPvRmT2_T3_T4_T5_mT6_T7_P12ihipStream_tbENKUlT_T0_E_clISt17integral_constantIbLb0EESZ_EEDaSU_SV_EUlSU_E_NS1_11comp_targetILNS1_3genE4ELNS1_11target_archE910ELNS1_3gpuE8ELNS1_3repE0EEENS1_30default_config_static_selectorELNS0_4arch9wavefront6targetE1EEEvT1_,comdat
.Lfunc_end536:
	.size	_ZN7rocprim17ROCPRIM_400000_NS6detail17trampoline_kernelINS0_14default_configENS1_27scan_by_key_config_selectorIiiEEZZNS1_16scan_by_key_implILNS1_25lookback_scan_determinismE0ELb1ES3_N6thrust23THRUST_200600_302600_NS6detail15normal_iteratorINS9_10device_ptrIiEEEESE_SE_iNS9_4plusIvEENS9_8equal_toIiEEiEE10hipError_tPvRmT2_T3_T4_T5_mT6_T7_P12ihipStream_tbENKUlT_T0_E_clISt17integral_constantIbLb0EESZ_EEDaSU_SV_EUlSU_E_NS1_11comp_targetILNS1_3genE4ELNS1_11target_archE910ELNS1_3gpuE8ELNS1_3repE0EEENS1_30default_config_static_selectorELNS0_4arch9wavefront6targetE1EEEvT1_, .Lfunc_end536-_ZN7rocprim17ROCPRIM_400000_NS6detail17trampoline_kernelINS0_14default_configENS1_27scan_by_key_config_selectorIiiEEZZNS1_16scan_by_key_implILNS1_25lookback_scan_determinismE0ELb1ES3_N6thrust23THRUST_200600_302600_NS6detail15normal_iteratorINS9_10device_ptrIiEEEESE_SE_iNS9_4plusIvEENS9_8equal_toIiEEiEE10hipError_tPvRmT2_T3_T4_T5_mT6_T7_P12ihipStream_tbENKUlT_T0_E_clISt17integral_constantIbLb0EESZ_EEDaSU_SV_EUlSU_E_NS1_11comp_targetILNS1_3genE4ELNS1_11target_archE910ELNS1_3gpuE8ELNS1_3repE0EEENS1_30default_config_static_selectorELNS0_4arch9wavefront6targetE1EEEvT1_
                                        ; -- End function
	.section	.AMDGPU.csdata,"",@progbits
; Kernel info:
; codeLenInByte = 0
; NumSgprs: 6
; NumVgprs: 0
; NumAgprs: 0
; TotalNumVgprs: 0
; ScratchSize: 0
; MemoryBound: 0
; FloatMode: 240
; IeeeMode: 1
; LDSByteSize: 0 bytes/workgroup (compile time only)
; SGPRBlocks: 0
; VGPRBlocks: 0
; NumSGPRsForWavesPerEU: 6
; NumVGPRsForWavesPerEU: 1
; AccumOffset: 4
; Occupancy: 8
; WaveLimiterHint : 0
; COMPUTE_PGM_RSRC2:SCRATCH_EN: 0
; COMPUTE_PGM_RSRC2:USER_SGPR: 2
; COMPUTE_PGM_RSRC2:TRAP_HANDLER: 0
; COMPUTE_PGM_RSRC2:TGID_X_EN: 1
; COMPUTE_PGM_RSRC2:TGID_Y_EN: 0
; COMPUTE_PGM_RSRC2:TGID_Z_EN: 0
; COMPUTE_PGM_RSRC2:TIDIG_COMP_CNT: 0
; COMPUTE_PGM_RSRC3_GFX90A:ACCUM_OFFSET: 0
; COMPUTE_PGM_RSRC3_GFX90A:TG_SPLIT: 0
	.section	.text._ZN7rocprim17ROCPRIM_400000_NS6detail17trampoline_kernelINS0_14default_configENS1_27scan_by_key_config_selectorIiiEEZZNS1_16scan_by_key_implILNS1_25lookback_scan_determinismE0ELb1ES3_N6thrust23THRUST_200600_302600_NS6detail15normal_iteratorINS9_10device_ptrIiEEEESE_SE_iNS9_4plusIvEENS9_8equal_toIiEEiEE10hipError_tPvRmT2_T3_T4_T5_mT6_T7_P12ihipStream_tbENKUlT_T0_E_clISt17integral_constantIbLb0EESZ_EEDaSU_SV_EUlSU_E_NS1_11comp_targetILNS1_3genE3ELNS1_11target_archE908ELNS1_3gpuE7ELNS1_3repE0EEENS1_30default_config_static_selectorELNS0_4arch9wavefront6targetE1EEEvT1_,"axG",@progbits,_ZN7rocprim17ROCPRIM_400000_NS6detail17trampoline_kernelINS0_14default_configENS1_27scan_by_key_config_selectorIiiEEZZNS1_16scan_by_key_implILNS1_25lookback_scan_determinismE0ELb1ES3_N6thrust23THRUST_200600_302600_NS6detail15normal_iteratorINS9_10device_ptrIiEEEESE_SE_iNS9_4plusIvEENS9_8equal_toIiEEiEE10hipError_tPvRmT2_T3_T4_T5_mT6_T7_P12ihipStream_tbENKUlT_T0_E_clISt17integral_constantIbLb0EESZ_EEDaSU_SV_EUlSU_E_NS1_11comp_targetILNS1_3genE3ELNS1_11target_archE908ELNS1_3gpuE7ELNS1_3repE0EEENS1_30default_config_static_selectorELNS0_4arch9wavefront6targetE1EEEvT1_,comdat
	.protected	_ZN7rocprim17ROCPRIM_400000_NS6detail17trampoline_kernelINS0_14default_configENS1_27scan_by_key_config_selectorIiiEEZZNS1_16scan_by_key_implILNS1_25lookback_scan_determinismE0ELb1ES3_N6thrust23THRUST_200600_302600_NS6detail15normal_iteratorINS9_10device_ptrIiEEEESE_SE_iNS9_4plusIvEENS9_8equal_toIiEEiEE10hipError_tPvRmT2_T3_T4_T5_mT6_T7_P12ihipStream_tbENKUlT_T0_E_clISt17integral_constantIbLb0EESZ_EEDaSU_SV_EUlSU_E_NS1_11comp_targetILNS1_3genE3ELNS1_11target_archE908ELNS1_3gpuE7ELNS1_3repE0EEENS1_30default_config_static_selectorELNS0_4arch9wavefront6targetE1EEEvT1_ ; -- Begin function _ZN7rocprim17ROCPRIM_400000_NS6detail17trampoline_kernelINS0_14default_configENS1_27scan_by_key_config_selectorIiiEEZZNS1_16scan_by_key_implILNS1_25lookback_scan_determinismE0ELb1ES3_N6thrust23THRUST_200600_302600_NS6detail15normal_iteratorINS9_10device_ptrIiEEEESE_SE_iNS9_4plusIvEENS9_8equal_toIiEEiEE10hipError_tPvRmT2_T3_T4_T5_mT6_T7_P12ihipStream_tbENKUlT_T0_E_clISt17integral_constantIbLb0EESZ_EEDaSU_SV_EUlSU_E_NS1_11comp_targetILNS1_3genE3ELNS1_11target_archE908ELNS1_3gpuE7ELNS1_3repE0EEENS1_30default_config_static_selectorELNS0_4arch9wavefront6targetE1EEEvT1_
	.globl	_ZN7rocprim17ROCPRIM_400000_NS6detail17trampoline_kernelINS0_14default_configENS1_27scan_by_key_config_selectorIiiEEZZNS1_16scan_by_key_implILNS1_25lookback_scan_determinismE0ELb1ES3_N6thrust23THRUST_200600_302600_NS6detail15normal_iteratorINS9_10device_ptrIiEEEESE_SE_iNS9_4plusIvEENS9_8equal_toIiEEiEE10hipError_tPvRmT2_T3_T4_T5_mT6_T7_P12ihipStream_tbENKUlT_T0_E_clISt17integral_constantIbLb0EESZ_EEDaSU_SV_EUlSU_E_NS1_11comp_targetILNS1_3genE3ELNS1_11target_archE908ELNS1_3gpuE7ELNS1_3repE0EEENS1_30default_config_static_selectorELNS0_4arch9wavefront6targetE1EEEvT1_
	.p2align	8
	.type	_ZN7rocprim17ROCPRIM_400000_NS6detail17trampoline_kernelINS0_14default_configENS1_27scan_by_key_config_selectorIiiEEZZNS1_16scan_by_key_implILNS1_25lookback_scan_determinismE0ELb1ES3_N6thrust23THRUST_200600_302600_NS6detail15normal_iteratorINS9_10device_ptrIiEEEESE_SE_iNS9_4plusIvEENS9_8equal_toIiEEiEE10hipError_tPvRmT2_T3_T4_T5_mT6_T7_P12ihipStream_tbENKUlT_T0_E_clISt17integral_constantIbLb0EESZ_EEDaSU_SV_EUlSU_E_NS1_11comp_targetILNS1_3genE3ELNS1_11target_archE908ELNS1_3gpuE7ELNS1_3repE0EEENS1_30default_config_static_selectorELNS0_4arch9wavefront6targetE1EEEvT1_,@function
_ZN7rocprim17ROCPRIM_400000_NS6detail17trampoline_kernelINS0_14default_configENS1_27scan_by_key_config_selectorIiiEEZZNS1_16scan_by_key_implILNS1_25lookback_scan_determinismE0ELb1ES3_N6thrust23THRUST_200600_302600_NS6detail15normal_iteratorINS9_10device_ptrIiEEEESE_SE_iNS9_4plusIvEENS9_8equal_toIiEEiEE10hipError_tPvRmT2_T3_T4_T5_mT6_T7_P12ihipStream_tbENKUlT_T0_E_clISt17integral_constantIbLb0EESZ_EEDaSU_SV_EUlSU_E_NS1_11comp_targetILNS1_3genE3ELNS1_11target_archE908ELNS1_3gpuE7ELNS1_3repE0EEENS1_30default_config_static_selectorELNS0_4arch9wavefront6targetE1EEEvT1_: ; @_ZN7rocprim17ROCPRIM_400000_NS6detail17trampoline_kernelINS0_14default_configENS1_27scan_by_key_config_selectorIiiEEZZNS1_16scan_by_key_implILNS1_25lookback_scan_determinismE0ELb1ES3_N6thrust23THRUST_200600_302600_NS6detail15normal_iteratorINS9_10device_ptrIiEEEESE_SE_iNS9_4plusIvEENS9_8equal_toIiEEiEE10hipError_tPvRmT2_T3_T4_T5_mT6_T7_P12ihipStream_tbENKUlT_T0_E_clISt17integral_constantIbLb0EESZ_EEDaSU_SV_EUlSU_E_NS1_11comp_targetILNS1_3genE3ELNS1_11target_archE908ELNS1_3gpuE7ELNS1_3repE0EEENS1_30default_config_static_selectorELNS0_4arch9wavefront6targetE1EEEvT1_
; %bb.0:
	.section	.rodata,"a",@progbits
	.p2align	6, 0x0
	.amdhsa_kernel _ZN7rocprim17ROCPRIM_400000_NS6detail17trampoline_kernelINS0_14default_configENS1_27scan_by_key_config_selectorIiiEEZZNS1_16scan_by_key_implILNS1_25lookback_scan_determinismE0ELb1ES3_N6thrust23THRUST_200600_302600_NS6detail15normal_iteratorINS9_10device_ptrIiEEEESE_SE_iNS9_4plusIvEENS9_8equal_toIiEEiEE10hipError_tPvRmT2_T3_T4_T5_mT6_T7_P12ihipStream_tbENKUlT_T0_E_clISt17integral_constantIbLb0EESZ_EEDaSU_SV_EUlSU_E_NS1_11comp_targetILNS1_3genE3ELNS1_11target_archE908ELNS1_3gpuE7ELNS1_3repE0EEENS1_30default_config_static_selectorELNS0_4arch9wavefront6targetE1EEEvT1_
		.amdhsa_group_segment_fixed_size 0
		.amdhsa_private_segment_fixed_size 0
		.amdhsa_kernarg_size 112
		.amdhsa_user_sgpr_count 2
		.amdhsa_user_sgpr_dispatch_ptr 0
		.amdhsa_user_sgpr_queue_ptr 0
		.amdhsa_user_sgpr_kernarg_segment_ptr 1
		.amdhsa_user_sgpr_dispatch_id 0
		.amdhsa_user_sgpr_kernarg_preload_length 0
		.amdhsa_user_sgpr_kernarg_preload_offset 0
		.amdhsa_user_sgpr_private_segment_size 0
		.amdhsa_uses_dynamic_stack 0
		.amdhsa_enable_private_segment 0
		.amdhsa_system_sgpr_workgroup_id_x 1
		.amdhsa_system_sgpr_workgroup_id_y 0
		.amdhsa_system_sgpr_workgroup_id_z 0
		.amdhsa_system_sgpr_workgroup_info 0
		.amdhsa_system_vgpr_workitem_id 0
		.amdhsa_next_free_vgpr 1
		.amdhsa_next_free_sgpr 0
		.amdhsa_accum_offset 4
		.amdhsa_reserve_vcc 0
		.amdhsa_float_round_mode_32 0
		.amdhsa_float_round_mode_16_64 0
		.amdhsa_float_denorm_mode_32 3
		.amdhsa_float_denorm_mode_16_64 3
		.amdhsa_dx10_clamp 1
		.amdhsa_ieee_mode 1
		.amdhsa_fp16_overflow 0
		.amdhsa_tg_split 0
		.amdhsa_exception_fp_ieee_invalid_op 0
		.amdhsa_exception_fp_denorm_src 0
		.amdhsa_exception_fp_ieee_div_zero 0
		.amdhsa_exception_fp_ieee_overflow 0
		.amdhsa_exception_fp_ieee_underflow 0
		.amdhsa_exception_fp_ieee_inexact 0
		.amdhsa_exception_int_div_zero 0
	.end_amdhsa_kernel
	.section	.text._ZN7rocprim17ROCPRIM_400000_NS6detail17trampoline_kernelINS0_14default_configENS1_27scan_by_key_config_selectorIiiEEZZNS1_16scan_by_key_implILNS1_25lookback_scan_determinismE0ELb1ES3_N6thrust23THRUST_200600_302600_NS6detail15normal_iteratorINS9_10device_ptrIiEEEESE_SE_iNS9_4plusIvEENS9_8equal_toIiEEiEE10hipError_tPvRmT2_T3_T4_T5_mT6_T7_P12ihipStream_tbENKUlT_T0_E_clISt17integral_constantIbLb0EESZ_EEDaSU_SV_EUlSU_E_NS1_11comp_targetILNS1_3genE3ELNS1_11target_archE908ELNS1_3gpuE7ELNS1_3repE0EEENS1_30default_config_static_selectorELNS0_4arch9wavefront6targetE1EEEvT1_,"axG",@progbits,_ZN7rocprim17ROCPRIM_400000_NS6detail17trampoline_kernelINS0_14default_configENS1_27scan_by_key_config_selectorIiiEEZZNS1_16scan_by_key_implILNS1_25lookback_scan_determinismE0ELb1ES3_N6thrust23THRUST_200600_302600_NS6detail15normal_iteratorINS9_10device_ptrIiEEEESE_SE_iNS9_4plusIvEENS9_8equal_toIiEEiEE10hipError_tPvRmT2_T3_T4_T5_mT6_T7_P12ihipStream_tbENKUlT_T0_E_clISt17integral_constantIbLb0EESZ_EEDaSU_SV_EUlSU_E_NS1_11comp_targetILNS1_3genE3ELNS1_11target_archE908ELNS1_3gpuE7ELNS1_3repE0EEENS1_30default_config_static_selectorELNS0_4arch9wavefront6targetE1EEEvT1_,comdat
.Lfunc_end537:
	.size	_ZN7rocprim17ROCPRIM_400000_NS6detail17trampoline_kernelINS0_14default_configENS1_27scan_by_key_config_selectorIiiEEZZNS1_16scan_by_key_implILNS1_25lookback_scan_determinismE0ELb1ES3_N6thrust23THRUST_200600_302600_NS6detail15normal_iteratorINS9_10device_ptrIiEEEESE_SE_iNS9_4plusIvEENS9_8equal_toIiEEiEE10hipError_tPvRmT2_T3_T4_T5_mT6_T7_P12ihipStream_tbENKUlT_T0_E_clISt17integral_constantIbLb0EESZ_EEDaSU_SV_EUlSU_E_NS1_11comp_targetILNS1_3genE3ELNS1_11target_archE908ELNS1_3gpuE7ELNS1_3repE0EEENS1_30default_config_static_selectorELNS0_4arch9wavefront6targetE1EEEvT1_, .Lfunc_end537-_ZN7rocprim17ROCPRIM_400000_NS6detail17trampoline_kernelINS0_14default_configENS1_27scan_by_key_config_selectorIiiEEZZNS1_16scan_by_key_implILNS1_25lookback_scan_determinismE0ELb1ES3_N6thrust23THRUST_200600_302600_NS6detail15normal_iteratorINS9_10device_ptrIiEEEESE_SE_iNS9_4plusIvEENS9_8equal_toIiEEiEE10hipError_tPvRmT2_T3_T4_T5_mT6_T7_P12ihipStream_tbENKUlT_T0_E_clISt17integral_constantIbLb0EESZ_EEDaSU_SV_EUlSU_E_NS1_11comp_targetILNS1_3genE3ELNS1_11target_archE908ELNS1_3gpuE7ELNS1_3repE0EEENS1_30default_config_static_selectorELNS0_4arch9wavefront6targetE1EEEvT1_
                                        ; -- End function
	.section	.AMDGPU.csdata,"",@progbits
; Kernel info:
; codeLenInByte = 0
; NumSgprs: 6
; NumVgprs: 0
; NumAgprs: 0
; TotalNumVgprs: 0
; ScratchSize: 0
; MemoryBound: 0
; FloatMode: 240
; IeeeMode: 1
; LDSByteSize: 0 bytes/workgroup (compile time only)
; SGPRBlocks: 0
; VGPRBlocks: 0
; NumSGPRsForWavesPerEU: 6
; NumVGPRsForWavesPerEU: 1
; AccumOffset: 4
; Occupancy: 8
; WaveLimiterHint : 0
; COMPUTE_PGM_RSRC2:SCRATCH_EN: 0
; COMPUTE_PGM_RSRC2:USER_SGPR: 2
; COMPUTE_PGM_RSRC2:TRAP_HANDLER: 0
; COMPUTE_PGM_RSRC2:TGID_X_EN: 1
; COMPUTE_PGM_RSRC2:TGID_Y_EN: 0
; COMPUTE_PGM_RSRC2:TGID_Z_EN: 0
; COMPUTE_PGM_RSRC2:TIDIG_COMP_CNT: 0
; COMPUTE_PGM_RSRC3_GFX90A:ACCUM_OFFSET: 0
; COMPUTE_PGM_RSRC3_GFX90A:TG_SPLIT: 0
	.section	.text._ZN7rocprim17ROCPRIM_400000_NS6detail17trampoline_kernelINS0_14default_configENS1_27scan_by_key_config_selectorIiiEEZZNS1_16scan_by_key_implILNS1_25lookback_scan_determinismE0ELb1ES3_N6thrust23THRUST_200600_302600_NS6detail15normal_iteratorINS9_10device_ptrIiEEEESE_SE_iNS9_4plusIvEENS9_8equal_toIiEEiEE10hipError_tPvRmT2_T3_T4_T5_mT6_T7_P12ihipStream_tbENKUlT_T0_E_clISt17integral_constantIbLb0EESZ_EEDaSU_SV_EUlSU_E_NS1_11comp_targetILNS1_3genE2ELNS1_11target_archE906ELNS1_3gpuE6ELNS1_3repE0EEENS1_30default_config_static_selectorELNS0_4arch9wavefront6targetE1EEEvT1_,"axG",@progbits,_ZN7rocprim17ROCPRIM_400000_NS6detail17trampoline_kernelINS0_14default_configENS1_27scan_by_key_config_selectorIiiEEZZNS1_16scan_by_key_implILNS1_25lookback_scan_determinismE0ELb1ES3_N6thrust23THRUST_200600_302600_NS6detail15normal_iteratorINS9_10device_ptrIiEEEESE_SE_iNS9_4plusIvEENS9_8equal_toIiEEiEE10hipError_tPvRmT2_T3_T4_T5_mT6_T7_P12ihipStream_tbENKUlT_T0_E_clISt17integral_constantIbLb0EESZ_EEDaSU_SV_EUlSU_E_NS1_11comp_targetILNS1_3genE2ELNS1_11target_archE906ELNS1_3gpuE6ELNS1_3repE0EEENS1_30default_config_static_selectorELNS0_4arch9wavefront6targetE1EEEvT1_,comdat
	.protected	_ZN7rocprim17ROCPRIM_400000_NS6detail17trampoline_kernelINS0_14default_configENS1_27scan_by_key_config_selectorIiiEEZZNS1_16scan_by_key_implILNS1_25lookback_scan_determinismE0ELb1ES3_N6thrust23THRUST_200600_302600_NS6detail15normal_iteratorINS9_10device_ptrIiEEEESE_SE_iNS9_4plusIvEENS9_8equal_toIiEEiEE10hipError_tPvRmT2_T3_T4_T5_mT6_T7_P12ihipStream_tbENKUlT_T0_E_clISt17integral_constantIbLb0EESZ_EEDaSU_SV_EUlSU_E_NS1_11comp_targetILNS1_3genE2ELNS1_11target_archE906ELNS1_3gpuE6ELNS1_3repE0EEENS1_30default_config_static_selectorELNS0_4arch9wavefront6targetE1EEEvT1_ ; -- Begin function _ZN7rocprim17ROCPRIM_400000_NS6detail17trampoline_kernelINS0_14default_configENS1_27scan_by_key_config_selectorIiiEEZZNS1_16scan_by_key_implILNS1_25lookback_scan_determinismE0ELb1ES3_N6thrust23THRUST_200600_302600_NS6detail15normal_iteratorINS9_10device_ptrIiEEEESE_SE_iNS9_4plusIvEENS9_8equal_toIiEEiEE10hipError_tPvRmT2_T3_T4_T5_mT6_T7_P12ihipStream_tbENKUlT_T0_E_clISt17integral_constantIbLb0EESZ_EEDaSU_SV_EUlSU_E_NS1_11comp_targetILNS1_3genE2ELNS1_11target_archE906ELNS1_3gpuE6ELNS1_3repE0EEENS1_30default_config_static_selectorELNS0_4arch9wavefront6targetE1EEEvT1_
	.globl	_ZN7rocprim17ROCPRIM_400000_NS6detail17trampoline_kernelINS0_14default_configENS1_27scan_by_key_config_selectorIiiEEZZNS1_16scan_by_key_implILNS1_25lookback_scan_determinismE0ELb1ES3_N6thrust23THRUST_200600_302600_NS6detail15normal_iteratorINS9_10device_ptrIiEEEESE_SE_iNS9_4plusIvEENS9_8equal_toIiEEiEE10hipError_tPvRmT2_T3_T4_T5_mT6_T7_P12ihipStream_tbENKUlT_T0_E_clISt17integral_constantIbLb0EESZ_EEDaSU_SV_EUlSU_E_NS1_11comp_targetILNS1_3genE2ELNS1_11target_archE906ELNS1_3gpuE6ELNS1_3repE0EEENS1_30default_config_static_selectorELNS0_4arch9wavefront6targetE1EEEvT1_
	.p2align	8
	.type	_ZN7rocprim17ROCPRIM_400000_NS6detail17trampoline_kernelINS0_14default_configENS1_27scan_by_key_config_selectorIiiEEZZNS1_16scan_by_key_implILNS1_25lookback_scan_determinismE0ELb1ES3_N6thrust23THRUST_200600_302600_NS6detail15normal_iteratorINS9_10device_ptrIiEEEESE_SE_iNS9_4plusIvEENS9_8equal_toIiEEiEE10hipError_tPvRmT2_T3_T4_T5_mT6_T7_P12ihipStream_tbENKUlT_T0_E_clISt17integral_constantIbLb0EESZ_EEDaSU_SV_EUlSU_E_NS1_11comp_targetILNS1_3genE2ELNS1_11target_archE906ELNS1_3gpuE6ELNS1_3repE0EEENS1_30default_config_static_selectorELNS0_4arch9wavefront6targetE1EEEvT1_,@function
_ZN7rocprim17ROCPRIM_400000_NS6detail17trampoline_kernelINS0_14default_configENS1_27scan_by_key_config_selectorIiiEEZZNS1_16scan_by_key_implILNS1_25lookback_scan_determinismE0ELb1ES3_N6thrust23THRUST_200600_302600_NS6detail15normal_iteratorINS9_10device_ptrIiEEEESE_SE_iNS9_4plusIvEENS9_8equal_toIiEEiEE10hipError_tPvRmT2_T3_T4_T5_mT6_T7_P12ihipStream_tbENKUlT_T0_E_clISt17integral_constantIbLb0EESZ_EEDaSU_SV_EUlSU_E_NS1_11comp_targetILNS1_3genE2ELNS1_11target_archE906ELNS1_3gpuE6ELNS1_3repE0EEENS1_30default_config_static_selectorELNS0_4arch9wavefront6targetE1EEEvT1_: ; @_ZN7rocprim17ROCPRIM_400000_NS6detail17trampoline_kernelINS0_14default_configENS1_27scan_by_key_config_selectorIiiEEZZNS1_16scan_by_key_implILNS1_25lookback_scan_determinismE0ELb1ES3_N6thrust23THRUST_200600_302600_NS6detail15normal_iteratorINS9_10device_ptrIiEEEESE_SE_iNS9_4plusIvEENS9_8equal_toIiEEiEE10hipError_tPvRmT2_T3_T4_T5_mT6_T7_P12ihipStream_tbENKUlT_T0_E_clISt17integral_constantIbLb0EESZ_EEDaSU_SV_EUlSU_E_NS1_11comp_targetILNS1_3genE2ELNS1_11target_archE906ELNS1_3gpuE6ELNS1_3repE0EEENS1_30default_config_static_selectorELNS0_4arch9wavefront6targetE1EEEvT1_
; %bb.0:
	.section	.rodata,"a",@progbits
	.p2align	6, 0x0
	.amdhsa_kernel _ZN7rocprim17ROCPRIM_400000_NS6detail17trampoline_kernelINS0_14default_configENS1_27scan_by_key_config_selectorIiiEEZZNS1_16scan_by_key_implILNS1_25lookback_scan_determinismE0ELb1ES3_N6thrust23THRUST_200600_302600_NS6detail15normal_iteratorINS9_10device_ptrIiEEEESE_SE_iNS9_4plusIvEENS9_8equal_toIiEEiEE10hipError_tPvRmT2_T3_T4_T5_mT6_T7_P12ihipStream_tbENKUlT_T0_E_clISt17integral_constantIbLb0EESZ_EEDaSU_SV_EUlSU_E_NS1_11comp_targetILNS1_3genE2ELNS1_11target_archE906ELNS1_3gpuE6ELNS1_3repE0EEENS1_30default_config_static_selectorELNS0_4arch9wavefront6targetE1EEEvT1_
		.amdhsa_group_segment_fixed_size 0
		.amdhsa_private_segment_fixed_size 0
		.amdhsa_kernarg_size 112
		.amdhsa_user_sgpr_count 2
		.amdhsa_user_sgpr_dispatch_ptr 0
		.amdhsa_user_sgpr_queue_ptr 0
		.amdhsa_user_sgpr_kernarg_segment_ptr 1
		.amdhsa_user_sgpr_dispatch_id 0
		.amdhsa_user_sgpr_kernarg_preload_length 0
		.amdhsa_user_sgpr_kernarg_preload_offset 0
		.amdhsa_user_sgpr_private_segment_size 0
		.amdhsa_uses_dynamic_stack 0
		.amdhsa_enable_private_segment 0
		.amdhsa_system_sgpr_workgroup_id_x 1
		.amdhsa_system_sgpr_workgroup_id_y 0
		.amdhsa_system_sgpr_workgroup_id_z 0
		.amdhsa_system_sgpr_workgroup_info 0
		.amdhsa_system_vgpr_workitem_id 0
		.amdhsa_next_free_vgpr 1
		.amdhsa_next_free_sgpr 0
		.amdhsa_accum_offset 4
		.amdhsa_reserve_vcc 0
		.amdhsa_float_round_mode_32 0
		.amdhsa_float_round_mode_16_64 0
		.amdhsa_float_denorm_mode_32 3
		.amdhsa_float_denorm_mode_16_64 3
		.amdhsa_dx10_clamp 1
		.amdhsa_ieee_mode 1
		.amdhsa_fp16_overflow 0
		.amdhsa_tg_split 0
		.amdhsa_exception_fp_ieee_invalid_op 0
		.amdhsa_exception_fp_denorm_src 0
		.amdhsa_exception_fp_ieee_div_zero 0
		.amdhsa_exception_fp_ieee_overflow 0
		.amdhsa_exception_fp_ieee_underflow 0
		.amdhsa_exception_fp_ieee_inexact 0
		.amdhsa_exception_int_div_zero 0
	.end_amdhsa_kernel
	.section	.text._ZN7rocprim17ROCPRIM_400000_NS6detail17trampoline_kernelINS0_14default_configENS1_27scan_by_key_config_selectorIiiEEZZNS1_16scan_by_key_implILNS1_25lookback_scan_determinismE0ELb1ES3_N6thrust23THRUST_200600_302600_NS6detail15normal_iteratorINS9_10device_ptrIiEEEESE_SE_iNS9_4plusIvEENS9_8equal_toIiEEiEE10hipError_tPvRmT2_T3_T4_T5_mT6_T7_P12ihipStream_tbENKUlT_T0_E_clISt17integral_constantIbLb0EESZ_EEDaSU_SV_EUlSU_E_NS1_11comp_targetILNS1_3genE2ELNS1_11target_archE906ELNS1_3gpuE6ELNS1_3repE0EEENS1_30default_config_static_selectorELNS0_4arch9wavefront6targetE1EEEvT1_,"axG",@progbits,_ZN7rocprim17ROCPRIM_400000_NS6detail17trampoline_kernelINS0_14default_configENS1_27scan_by_key_config_selectorIiiEEZZNS1_16scan_by_key_implILNS1_25lookback_scan_determinismE0ELb1ES3_N6thrust23THRUST_200600_302600_NS6detail15normal_iteratorINS9_10device_ptrIiEEEESE_SE_iNS9_4plusIvEENS9_8equal_toIiEEiEE10hipError_tPvRmT2_T3_T4_T5_mT6_T7_P12ihipStream_tbENKUlT_T0_E_clISt17integral_constantIbLb0EESZ_EEDaSU_SV_EUlSU_E_NS1_11comp_targetILNS1_3genE2ELNS1_11target_archE906ELNS1_3gpuE6ELNS1_3repE0EEENS1_30default_config_static_selectorELNS0_4arch9wavefront6targetE1EEEvT1_,comdat
.Lfunc_end538:
	.size	_ZN7rocprim17ROCPRIM_400000_NS6detail17trampoline_kernelINS0_14default_configENS1_27scan_by_key_config_selectorIiiEEZZNS1_16scan_by_key_implILNS1_25lookback_scan_determinismE0ELb1ES3_N6thrust23THRUST_200600_302600_NS6detail15normal_iteratorINS9_10device_ptrIiEEEESE_SE_iNS9_4plusIvEENS9_8equal_toIiEEiEE10hipError_tPvRmT2_T3_T4_T5_mT6_T7_P12ihipStream_tbENKUlT_T0_E_clISt17integral_constantIbLb0EESZ_EEDaSU_SV_EUlSU_E_NS1_11comp_targetILNS1_3genE2ELNS1_11target_archE906ELNS1_3gpuE6ELNS1_3repE0EEENS1_30default_config_static_selectorELNS0_4arch9wavefront6targetE1EEEvT1_, .Lfunc_end538-_ZN7rocprim17ROCPRIM_400000_NS6detail17trampoline_kernelINS0_14default_configENS1_27scan_by_key_config_selectorIiiEEZZNS1_16scan_by_key_implILNS1_25lookback_scan_determinismE0ELb1ES3_N6thrust23THRUST_200600_302600_NS6detail15normal_iteratorINS9_10device_ptrIiEEEESE_SE_iNS9_4plusIvEENS9_8equal_toIiEEiEE10hipError_tPvRmT2_T3_T4_T5_mT6_T7_P12ihipStream_tbENKUlT_T0_E_clISt17integral_constantIbLb0EESZ_EEDaSU_SV_EUlSU_E_NS1_11comp_targetILNS1_3genE2ELNS1_11target_archE906ELNS1_3gpuE6ELNS1_3repE0EEENS1_30default_config_static_selectorELNS0_4arch9wavefront6targetE1EEEvT1_
                                        ; -- End function
	.section	.AMDGPU.csdata,"",@progbits
; Kernel info:
; codeLenInByte = 0
; NumSgprs: 6
; NumVgprs: 0
; NumAgprs: 0
; TotalNumVgprs: 0
; ScratchSize: 0
; MemoryBound: 0
; FloatMode: 240
; IeeeMode: 1
; LDSByteSize: 0 bytes/workgroup (compile time only)
; SGPRBlocks: 0
; VGPRBlocks: 0
; NumSGPRsForWavesPerEU: 6
; NumVGPRsForWavesPerEU: 1
; AccumOffset: 4
; Occupancy: 8
; WaveLimiterHint : 0
; COMPUTE_PGM_RSRC2:SCRATCH_EN: 0
; COMPUTE_PGM_RSRC2:USER_SGPR: 2
; COMPUTE_PGM_RSRC2:TRAP_HANDLER: 0
; COMPUTE_PGM_RSRC2:TGID_X_EN: 1
; COMPUTE_PGM_RSRC2:TGID_Y_EN: 0
; COMPUTE_PGM_RSRC2:TGID_Z_EN: 0
; COMPUTE_PGM_RSRC2:TIDIG_COMP_CNT: 0
; COMPUTE_PGM_RSRC3_GFX90A:ACCUM_OFFSET: 0
; COMPUTE_PGM_RSRC3_GFX90A:TG_SPLIT: 0
	.section	.text._ZN7rocprim17ROCPRIM_400000_NS6detail17trampoline_kernelINS0_14default_configENS1_27scan_by_key_config_selectorIiiEEZZNS1_16scan_by_key_implILNS1_25lookback_scan_determinismE0ELb1ES3_N6thrust23THRUST_200600_302600_NS6detail15normal_iteratorINS9_10device_ptrIiEEEESE_SE_iNS9_4plusIvEENS9_8equal_toIiEEiEE10hipError_tPvRmT2_T3_T4_T5_mT6_T7_P12ihipStream_tbENKUlT_T0_E_clISt17integral_constantIbLb0EESZ_EEDaSU_SV_EUlSU_E_NS1_11comp_targetILNS1_3genE10ELNS1_11target_archE1200ELNS1_3gpuE4ELNS1_3repE0EEENS1_30default_config_static_selectorELNS0_4arch9wavefront6targetE1EEEvT1_,"axG",@progbits,_ZN7rocprim17ROCPRIM_400000_NS6detail17trampoline_kernelINS0_14default_configENS1_27scan_by_key_config_selectorIiiEEZZNS1_16scan_by_key_implILNS1_25lookback_scan_determinismE0ELb1ES3_N6thrust23THRUST_200600_302600_NS6detail15normal_iteratorINS9_10device_ptrIiEEEESE_SE_iNS9_4plusIvEENS9_8equal_toIiEEiEE10hipError_tPvRmT2_T3_T4_T5_mT6_T7_P12ihipStream_tbENKUlT_T0_E_clISt17integral_constantIbLb0EESZ_EEDaSU_SV_EUlSU_E_NS1_11comp_targetILNS1_3genE10ELNS1_11target_archE1200ELNS1_3gpuE4ELNS1_3repE0EEENS1_30default_config_static_selectorELNS0_4arch9wavefront6targetE1EEEvT1_,comdat
	.protected	_ZN7rocprim17ROCPRIM_400000_NS6detail17trampoline_kernelINS0_14default_configENS1_27scan_by_key_config_selectorIiiEEZZNS1_16scan_by_key_implILNS1_25lookback_scan_determinismE0ELb1ES3_N6thrust23THRUST_200600_302600_NS6detail15normal_iteratorINS9_10device_ptrIiEEEESE_SE_iNS9_4plusIvEENS9_8equal_toIiEEiEE10hipError_tPvRmT2_T3_T4_T5_mT6_T7_P12ihipStream_tbENKUlT_T0_E_clISt17integral_constantIbLb0EESZ_EEDaSU_SV_EUlSU_E_NS1_11comp_targetILNS1_3genE10ELNS1_11target_archE1200ELNS1_3gpuE4ELNS1_3repE0EEENS1_30default_config_static_selectorELNS0_4arch9wavefront6targetE1EEEvT1_ ; -- Begin function _ZN7rocprim17ROCPRIM_400000_NS6detail17trampoline_kernelINS0_14default_configENS1_27scan_by_key_config_selectorIiiEEZZNS1_16scan_by_key_implILNS1_25lookback_scan_determinismE0ELb1ES3_N6thrust23THRUST_200600_302600_NS6detail15normal_iteratorINS9_10device_ptrIiEEEESE_SE_iNS9_4plusIvEENS9_8equal_toIiEEiEE10hipError_tPvRmT2_T3_T4_T5_mT6_T7_P12ihipStream_tbENKUlT_T0_E_clISt17integral_constantIbLb0EESZ_EEDaSU_SV_EUlSU_E_NS1_11comp_targetILNS1_3genE10ELNS1_11target_archE1200ELNS1_3gpuE4ELNS1_3repE0EEENS1_30default_config_static_selectorELNS0_4arch9wavefront6targetE1EEEvT1_
	.globl	_ZN7rocprim17ROCPRIM_400000_NS6detail17trampoline_kernelINS0_14default_configENS1_27scan_by_key_config_selectorIiiEEZZNS1_16scan_by_key_implILNS1_25lookback_scan_determinismE0ELb1ES3_N6thrust23THRUST_200600_302600_NS6detail15normal_iteratorINS9_10device_ptrIiEEEESE_SE_iNS9_4plusIvEENS9_8equal_toIiEEiEE10hipError_tPvRmT2_T3_T4_T5_mT6_T7_P12ihipStream_tbENKUlT_T0_E_clISt17integral_constantIbLb0EESZ_EEDaSU_SV_EUlSU_E_NS1_11comp_targetILNS1_3genE10ELNS1_11target_archE1200ELNS1_3gpuE4ELNS1_3repE0EEENS1_30default_config_static_selectorELNS0_4arch9wavefront6targetE1EEEvT1_
	.p2align	8
	.type	_ZN7rocprim17ROCPRIM_400000_NS6detail17trampoline_kernelINS0_14default_configENS1_27scan_by_key_config_selectorIiiEEZZNS1_16scan_by_key_implILNS1_25lookback_scan_determinismE0ELb1ES3_N6thrust23THRUST_200600_302600_NS6detail15normal_iteratorINS9_10device_ptrIiEEEESE_SE_iNS9_4plusIvEENS9_8equal_toIiEEiEE10hipError_tPvRmT2_T3_T4_T5_mT6_T7_P12ihipStream_tbENKUlT_T0_E_clISt17integral_constantIbLb0EESZ_EEDaSU_SV_EUlSU_E_NS1_11comp_targetILNS1_3genE10ELNS1_11target_archE1200ELNS1_3gpuE4ELNS1_3repE0EEENS1_30default_config_static_selectorELNS0_4arch9wavefront6targetE1EEEvT1_,@function
_ZN7rocprim17ROCPRIM_400000_NS6detail17trampoline_kernelINS0_14default_configENS1_27scan_by_key_config_selectorIiiEEZZNS1_16scan_by_key_implILNS1_25lookback_scan_determinismE0ELb1ES3_N6thrust23THRUST_200600_302600_NS6detail15normal_iteratorINS9_10device_ptrIiEEEESE_SE_iNS9_4plusIvEENS9_8equal_toIiEEiEE10hipError_tPvRmT2_T3_T4_T5_mT6_T7_P12ihipStream_tbENKUlT_T0_E_clISt17integral_constantIbLb0EESZ_EEDaSU_SV_EUlSU_E_NS1_11comp_targetILNS1_3genE10ELNS1_11target_archE1200ELNS1_3gpuE4ELNS1_3repE0EEENS1_30default_config_static_selectorELNS0_4arch9wavefront6targetE1EEEvT1_: ; @_ZN7rocprim17ROCPRIM_400000_NS6detail17trampoline_kernelINS0_14default_configENS1_27scan_by_key_config_selectorIiiEEZZNS1_16scan_by_key_implILNS1_25lookback_scan_determinismE0ELb1ES3_N6thrust23THRUST_200600_302600_NS6detail15normal_iteratorINS9_10device_ptrIiEEEESE_SE_iNS9_4plusIvEENS9_8equal_toIiEEiEE10hipError_tPvRmT2_T3_T4_T5_mT6_T7_P12ihipStream_tbENKUlT_T0_E_clISt17integral_constantIbLb0EESZ_EEDaSU_SV_EUlSU_E_NS1_11comp_targetILNS1_3genE10ELNS1_11target_archE1200ELNS1_3gpuE4ELNS1_3repE0EEENS1_30default_config_static_selectorELNS0_4arch9wavefront6targetE1EEEvT1_
; %bb.0:
	.section	.rodata,"a",@progbits
	.p2align	6, 0x0
	.amdhsa_kernel _ZN7rocprim17ROCPRIM_400000_NS6detail17trampoline_kernelINS0_14default_configENS1_27scan_by_key_config_selectorIiiEEZZNS1_16scan_by_key_implILNS1_25lookback_scan_determinismE0ELb1ES3_N6thrust23THRUST_200600_302600_NS6detail15normal_iteratorINS9_10device_ptrIiEEEESE_SE_iNS9_4plusIvEENS9_8equal_toIiEEiEE10hipError_tPvRmT2_T3_T4_T5_mT6_T7_P12ihipStream_tbENKUlT_T0_E_clISt17integral_constantIbLb0EESZ_EEDaSU_SV_EUlSU_E_NS1_11comp_targetILNS1_3genE10ELNS1_11target_archE1200ELNS1_3gpuE4ELNS1_3repE0EEENS1_30default_config_static_selectorELNS0_4arch9wavefront6targetE1EEEvT1_
		.amdhsa_group_segment_fixed_size 0
		.amdhsa_private_segment_fixed_size 0
		.amdhsa_kernarg_size 112
		.amdhsa_user_sgpr_count 2
		.amdhsa_user_sgpr_dispatch_ptr 0
		.amdhsa_user_sgpr_queue_ptr 0
		.amdhsa_user_sgpr_kernarg_segment_ptr 1
		.amdhsa_user_sgpr_dispatch_id 0
		.amdhsa_user_sgpr_kernarg_preload_length 0
		.amdhsa_user_sgpr_kernarg_preload_offset 0
		.amdhsa_user_sgpr_private_segment_size 0
		.amdhsa_uses_dynamic_stack 0
		.amdhsa_enable_private_segment 0
		.amdhsa_system_sgpr_workgroup_id_x 1
		.amdhsa_system_sgpr_workgroup_id_y 0
		.amdhsa_system_sgpr_workgroup_id_z 0
		.amdhsa_system_sgpr_workgroup_info 0
		.amdhsa_system_vgpr_workitem_id 0
		.amdhsa_next_free_vgpr 1
		.amdhsa_next_free_sgpr 0
		.amdhsa_accum_offset 4
		.amdhsa_reserve_vcc 0
		.amdhsa_float_round_mode_32 0
		.amdhsa_float_round_mode_16_64 0
		.amdhsa_float_denorm_mode_32 3
		.amdhsa_float_denorm_mode_16_64 3
		.amdhsa_dx10_clamp 1
		.amdhsa_ieee_mode 1
		.amdhsa_fp16_overflow 0
		.amdhsa_tg_split 0
		.amdhsa_exception_fp_ieee_invalid_op 0
		.amdhsa_exception_fp_denorm_src 0
		.amdhsa_exception_fp_ieee_div_zero 0
		.amdhsa_exception_fp_ieee_overflow 0
		.amdhsa_exception_fp_ieee_underflow 0
		.amdhsa_exception_fp_ieee_inexact 0
		.amdhsa_exception_int_div_zero 0
	.end_amdhsa_kernel
	.section	.text._ZN7rocprim17ROCPRIM_400000_NS6detail17trampoline_kernelINS0_14default_configENS1_27scan_by_key_config_selectorIiiEEZZNS1_16scan_by_key_implILNS1_25lookback_scan_determinismE0ELb1ES3_N6thrust23THRUST_200600_302600_NS6detail15normal_iteratorINS9_10device_ptrIiEEEESE_SE_iNS9_4plusIvEENS9_8equal_toIiEEiEE10hipError_tPvRmT2_T3_T4_T5_mT6_T7_P12ihipStream_tbENKUlT_T0_E_clISt17integral_constantIbLb0EESZ_EEDaSU_SV_EUlSU_E_NS1_11comp_targetILNS1_3genE10ELNS1_11target_archE1200ELNS1_3gpuE4ELNS1_3repE0EEENS1_30default_config_static_selectorELNS0_4arch9wavefront6targetE1EEEvT1_,"axG",@progbits,_ZN7rocprim17ROCPRIM_400000_NS6detail17trampoline_kernelINS0_14default_configENS1_27scan_by_key_config_selectorIiiEEZZNS1_16scan_by_key_implILNS1_25lookback_scan_determinismE0ELb1ES3_N6thrust23THRUST_200600_302600_NS6detail15normal_iteratorINS9_10device_ptrIiEEEESE_SE_iNS9_4plusIvEENS9_8equal_toIiEEiEE10hipError_tPvRmT2_T3_T4_T5_mT6_T7_P12ihipStream_tbENKUlT_T0_E_clISt17integral_constantIbLb0EESZ_EEDaSU_SV_EUlSU_E_NS1_11comp_targetILNS1_3genE10ELNS1_11target_archE1200ELNS1_3gpuE4ELNS1_3repE0EEENS1_30default_config_static_selectorELNS0_4arch9wavefront6targetE1EEEvT1_,comdat
.Lfunc_end539:
	.size	_ZN7rocprim17ROCPRIM_400000_NS6detail17trampoline_kernelINS0_14default_configENS1_27scan_by_key_config_selectorIiiEEZZNS1_16scan_by_key_implILNS1_25lookback_scan_determinismE0ELb1ES3_N6thrust23THRUST_200600_302600_NS6detail15normal_iteratorINS9_10device_ptrIiEEEESE_SE_iNS9_4plusIvEENS9_8equal_toIiEEiEE10hipError_tPvRmT2_T3_T4_T5_mT6_T7_P12ihipStream_tbENKUlT_T0_E_clISt17integral_constantIbLb0EESZ_EEDaSU_SV_EUlSU_E_NS1_11comp_targetILNS1_3genE10ELNS1_11target_archE1200ELNS1_3gpuE4ELNS1_3repE0EEENS1_30default_config_static_selectorELNS0_4arch9wavefront6targetE1EEEvT1_, .Lfunc_end539-_ZN7rocprim17ROCPRIM_400000_NS6detail17trampoline_kernelINS0_14default_configENS1_27scan_by_key_config_selectorIiiEEZZNS1_16scan_by_key_implILNS1_25lookback_scan_determinismE0ELb1ES3_N6thrust23THRUST_200600_302600_NS6detail15normal_iteratorINS9_10device_ptrIiEEEESE_SE_iNS9_4plusIvEENS9_8equal_toIiEEiEE10hipError_tPvRmT2_T3_T4_T5_mT6_T7_P12ihipStream_tbENKUlT_T0_E_clISt17integral_constantIbLb0EESZ_EEDaSU_SV_EUlSU_E_NS1_11comp_targetILNS1_3genE10ELNS1_11target_archE1200ELNS1_3gpuE4ELNS1_3repE0EEENS1_30default_config_static_selectorELNS0_4arch9wavefront6targetE1EEEvT1_
                                        ; -- End function
	.section	.AMDGPU.csdata,"",@progbits
; Kernel info:
; codeLenInByte = 0
; NumSgprs: 6
; NumVgprs: 0
; NumAgprs: 0
; TotalNumVgprs: 0
; ScratchSize: 0
; MemoryBound: 0
; FloatMode: 240
; IeeeMode: 1
; LDSByteSize: 0 bytes/workgroup (compile time only)
; SGPRBlocks: 0
; VGPRBlocks: 0
; NumSGPRsForWavesPerEU: 6
; NumVGPRsForWavesPerEU: 1
; AccumOffset: 4
; Occupancy: 8
; WaveLimiterHint : 0
; COMPUTE_PGM_RSRC2:SCRATCH_EN: 0
; COMPUTE_PGM_RSRC2:USER_SGPR: 2
; COMPUTE_PGM_RSRC2:TRAP_HANDLER: 0
; COMPUTE_PGM_RSRC2:TGID_X_EN: 1
; COMPUTE_PGM_RSRC2:TGID_Y_EN: 0
; COMPUTE_PGM_RSRC2:TGID_Z_EN: 0
; COMPUTE_PGM_RSRC2:TIDIG_COMP_CNT: 0
; COMPUTE_PGM_RSRC3_GFX90A:ACCUM_OFFSET: 0
; COMPUTE_PGM_RSRC3_GFX90A:TG_SPLIT: 0
	.section	.text._ZN7rocprim17ROCPRIM_400000_NS6detail17trampoline_kernelINS0_14default_configENS1_27scan_by_key_config_selectorIiiEEZZNS1_16scan_by_key_implILNS1_25lookback_scan_determinismE0ELb1ES3_N6thrust23THRUST_200600_302600_NS6detail15normal_iteratorINS9_10device_ptrIiEEEESE_SE_iNS9_4plusIvEENS9_8equal_toIiEEiEE10hipError_tPvRmT2_T3_T4_T5_mT6_T7_P12ihipStream_tbENKUlT_T0_E_clISt17integral_constantIbLb0EESZ_EEDaSU_SV_EUlSU_E_NS1_11comp_targetILNS1_3genE9ELNS1_11target_archE1100ELNS1_3gpuE3ELNS1_3repE0EEENS1_30default_config_static_selectorELNS0_4arch9wavefront6targetE1EEEvT1_,"axG",@progbits,_ZN7rocprim17ROCPRIM_400000_NS6detail17trampoline_kernelINS0_14default_configENS1_27scan_by_key_config_selectorIiiEEZZNS1_16scan_by_key_implILNS1_25lookback_scan_determinismE0ELb1ES3_N6thrust23THRUST_200600_302600_NS6detail15normal_iteratorINS9_10device_ptrIiEEEESE_SE_iNS9_4plusIvEENS9_8equal_toIiEEiEE10hipError_tPvRmT2_T3_T4_T5_mT6_T7_P12ihipStream_tbENKUlT_T0_E_clISt17integral_constantIbLb0EESZ_EEDaSU_SV_EUlSU_E_NS1_11comp_targetILNS1_3genE9ELNS1_11target_archE1100ELNS1_3gpuE3ELNS1_3repE0EEENS1_30default_config_static_selectorELNS0_4arch9wavefront6targetE1EEEvT1_,comdat
	.protected	_ZN7rocprim17ROCPRIM_400000_NS6detail17trampoline_kernelINS0_14default_configENS1_27scan_by_key_config_selectorIiiEEZZNS1_16scan_by_key_implILNS1_25lookback_scan_determinismE0ELb1ES3_N6thrust23THRUST_200600_302600_NS6detail15normal_iteratorINS9_10device_ptrIiEEEESE_SE_iNS9_4plusIvEENS9_8equal_toIiEEiEE10hipError_tPvRmT2_T3_T4_T5_mT6_T7_P12ihipStream_tbENKUlT_T0_E_clISt17integral_constantIbLb0EESZ_EEDaSU_SV_EUlSU_E_NS1_11comp_targetILNS1_3genE9ELNS1_11target_archE1100ELNS1_3gpuE3ELNS1_3repE0EEENS1_30default_config_static_selectorELNS0_4arch9wavefront6targetE1EEEvT1_ ; -- Begin function _ZN7rocprim17ROCPRIM_400000_NS6detail17trampoline_kernelINS0_14default_configENS1_27scan_by_key_config_selectorIiiEEZZNS1_16scan_by_key_implILNS1_25lookback_scan_determinismE0ELb1ES3_N6thrust23THRUST_200600_302600_NS6detail15normal_iteratorINS9_10device_ptrIiEEEESE_SE_iNS9_4plusIvEENS9_8equal_toIiEEiEE10hipError_tPvRmT2_T3_T4_T5_mT6_T7_P12ihipStream_tbENKUlT_T0_E_clISt17integral_constantIbLb0EESZ_EEDaSU_SV_EUlSU_E_NS1_11comp_targetILNS1_3genE9ELNS1_11target_archE1100ELNS1_3gpuE3ELNS1_3repE0EEENS1_30default_config_static_selectorELNS0_4arch9wavefront6targetE1EEEvT1_
	.globl	_ZN7rocprim17ROCPRIM_400000_NS6detail17trampoline_kernelINS0_14default_configENS1_27scan_by_key_config_selectorIiiEEZZNS1_16scan_by_key_implILNS1_25lookback_scan_determinismE0ELb1ES3_N6thrust23THRUST_200600_302600_NS6detail15normal_iteratorINS9_10device_ptrIiEEEESE_SE_iNS9_4plusIvEENS9_8equal_toIiEEiEE10hipError_tPvRmT2_T3_T4_T5_mT6_T7_P12ihipStream_tbENKUlT_T0_E_clISt17integral_constantIbLb0EESZ_EEDaSU_SV_EUlSU_E_NS1_11comp_targetILNS1_3genE9ELNS1_11target_archE1100ELNS1_3gpuE3ELNS1_3repE0EEENS1_30default_config_static_selectorELNS0_4arch9wavefront6targetE1EEEvT1_
	.p2align	8
	.type	_ZN7rocprim17ROCPRIM_400000_NS6detail17trampoline_kernelINS0_14default_configENS1_27scan_by_key_config_selectorIiiEEZZNS1_16scan_by_key_implILNS1_25lookback_scan_determinismE0ELb1ES3_N6thrust23THRUST_200600_302600_NS6detail15normal_iteratorINS9_10device_ptrIiEEEESE_SE_iNS9_4plusIvEENS9_8equal_toIiEEiEE10hipError_tPvRmT2_T3_T4_T5_mT6_T7_P12ihipStream_tbENKUlT_T0_E_clISt17integral_constantIbLb0EESZ_EEDaSU_SV_EUlSU_E_NS1_11comp_targetILNS1_3genE9ELNS1_11target_archE1100ELNS1_3gpuE3ELNS1_3repE0EEENS1_30default_config_static_selectorELNS0_4arch9wavefront6targetE1EEEvT1_,@function
_ZN7rocprim17ROCPRIM_400000_NS6detail17trampoline_kernelINS0_14default_configENS1_27scan_by_key_config_selectorIiiEEZZNS1_16scan_by_key_implILNS1_25lookback_scan_determinismE0ELb1ES3_N6thrust23THRUST_200600_302600_NS6detail15normal_iteratorINS9_10device_ptrIiEEEESE_SE_iNS9_4plusIvEENS9_8equal_toIiEEiEE10hipError_tPvRmT2_T3_T4_T5_mT6_T7_P12ihipStream_tbENKUlT_T0_E_clISt17integral_constantIbLb0EESZ_EEDaSU_SV_EUlSU_E_NS1_11comp_targetILNS1_3genE9ELNS1_11target_archE1100ELNS1_3gpuE3ELNS1_3repE0EEENS1_30default_config_static_selectorELNS0_4arch9wavefront6targetE1EEEvT1_: ; @_ZN7rocprim17ROCPRIM_400000_NS6detail17trampoline_kernelINS0_14default_configENS1_27scan_by_key_config_selectorIiiEEZZNS1_16scan_by_key_implILNS1_25lookback_scan_determinismE0ELb1ES3_N6thrust23THRUST_200600_302600_NS6detail15normal_iteratorINS9_10device_ptrIiEEEESE_SE_iNS9_4plusIvEENS9_8equal_toIiEEiEE10hipError_tPvRmT2_T3_T4_T5_mT6_T7_P12ihipStream_tbENKUlT_T0_E_clISt17integral_constantIbLb0EESZ_EEDaSU_SV_EUlSU_E_NS1_11comp_targetILNS1_3genE9ELNS1_11target_archE1100ELNS1_3gpuE3ELNS1_3repE0EEENS1_30default_config_static_selectorELNS0_4arch9wavefront6targetE1EEEvT1_
; %bb.0:
	.section	.rodata,"a",@progbits
	.p2align	6, 0x0
	.amdhsa_kernel _ZN7rocprim17ROCPRIM_400000_NS6detail17trampoline_kernelINS0_14default_configENS1_27scan_by_key_config_selectorIiiEEZZNS1_16scan_by_key_implILNS1_25lookback_scan_determinismE0ELb1ES3_N6thrust23THRUST_200600_302600_NS6detail15normal_iteratorINS9_10device_ptrIiEEEESE_SE_iNS9_4plusIvEENS9_8equal_toIiEEiEE10hipError_tPvRmT2_T3_T4_T5_mT6_T7_P12ihipStream_tbENKUlT_T0_E_clISt17integral_constantIbLb0EESZ_EEDaSU_SV_EUlSU_E_NS1_11comp_targetILNS1_3genE9ELNS1_11target_archE1100ELNS1_3gpuE3ELNS1_3repE0EEENS1_30default_config_static_selectorELNS0_4arch9wavefront6targetE1EEEvT1_
		.amdhsa_group_segment_fixed_size 0
		.amdhsa_private_segment_fixed_size 0
		.amdhsa_kernarg_size 112
		.amdhsa_user_sgpr_count 2
		.amdhsa_user_sgpr_dispatch_ptr 0
		.amdhsa_user_sgpr_queue_ptr 0
		.amdhsa_user_sgpr_kernarg_segment_ptr 1
		.amdhsa_user_sgpr_dispatch_id 0
		.amdhsa_user_sgpr_kernarg_preload_length 0
		.amdhsa_user_sgpr_kernarg_preload_offset 0
		.amdhsa_user_sgpr_private_segment_size 0
		.amdhsa_uses_dynamic_stack 0
		.amdhsa_enable_private_segment 0
		.amdhsa_system_sgpr_workgroup_id_x 1
		.amdhsa_system_sgpr_workgroup_id_y 0
		.amdhsa_system_sgpr_workgroup_id_z 0
		.amdhsa_system_sgpr_workgroup_info 0
		.amdhsa_system_vgpr_workitem_id 0
		.amdhsa_next_free_vgpr 1
		.amdhsa_next_free_sgpr 0
		.amdhsa_accum_offset 4
		.amdhsa_reserve_vcc 0
		.amdhsa_float_round_mode_32 0
		.amdhsa_float_round_mode_16_64 0
		.amdhsa_float_denorm_mode_32 3
		.amdhsa_float_denorm_mode_16_64 3
		.amdhsa_dx10_clamp 1
		.amdhsa_ieee_mode 1
		.amdhsa_fp16_overflow 0
		.amdhsa_tg_split 0
		.amdhsa_exception_fp_ieee_invalid_op 0
		.amdhsa_exception_fp_denorm_src 0
		.amdhsa_exception_fp_ieee_div_zero 0
		.amdhsa_exception_fp_ieee_overflow 0
		.amdhsa_exception_fp_ieee_underflow 0
		.amdhsa_exception_fp_ieee_inexact 0
		.amdhsa_exception_int_div_zero 0
	.end_amdhsa_kernel
	.section	.text._ZN7rocprim17ROCPRIM_400000_NS6detail17trampoline_kernelINS0_14default_configENS1_27scan_by_key_config_selectorIiiEEZZNS1_16scan_by_key_implILNS1_25lookback_scan_determinismE0ELb1ES3_N6thrust23THRUST_200600_302600_NS6detail15normal_iteratorINS9_10device_ptrIiEEEESE_SE_iNS9_4plusIvEENS9_8equal_toIiEEiEE10hipError_tPvRmT2_T3_T4_T5_mT6_T7_P12ihipStream_tbENKUlT_T0_E_clISt17integral_constantIbLb0EESZ_EEDaSU_SV_EUlSU_E_NS1_11comp_targetILNS1_3genE9ELNS1_11target_archE1100ELNS1_3gpuE3ELNS1_3repE0EEENS1_30default_config_static_selectorELNS0_4arch9wavefront6targetE1EEEvT1_,"axG",@progbits,_ZN7rocprim17ROCPRIM_400000_NS6detail17trampoline_kernelINS0_14default_configENS1_27scan_by_key_config_selectorIiiEEZZNS1_16scan_by_key_implILNS1_25lookback_scan_determinismE0ELb1ES3_N6thrust23THRUST_200600_302600_NS6detail15normal_iteratorINS9_10device_ptrIiEEEESE_SE_iNS9_4plusIvEENS9_8equal_toIiEEiEE10hipError_tPvRmT2_T3_T4_T5_mT6_T7_P12ihipStream_tbENKUlT_T0_E_clISt17integral_constantIbLb0EESZ_EEDaSU_SV_EUlSU_E_NS1_11comp_targetILNS1_3genE9ELNS1_11target_archE1100ELNS1_3gpuE3ELNS1_3repE0EEENS1_30default_config_static_selectorELNS0_4arch9wavefront6targetE1EEEvT1_,comdat
.Lfunc_end540:
	.size	_ZN7rocprim17ROCPRIM_400000_NS6detail17trampoline_kernelINS0_14default_configENS1_27scan_by_key_config_selectorIiiEEZZNS1_16scan_by_key_implILNS1_25lookback_scan_determinismE0ELb1ES3_N6thrust23THRUST_200600_302600_NS6detail15normal_iteratorINS9_10device_ptrIiEEEESE_SE_iNS9_4plusIvEENS9_8equal_toIiEEiEE10hipError_tPvRmT2_T3_T4_T5_mT6_T7_P12ihipStream_tbENKUlT_T0_E_clISt17integral_constantIbLb0EESZ_EEDaSU_SV_EUlSU_E_NS1_11comp_targetILNS1_3genE9ELNS1_11target_archE1100ELNS1_3gpuE3ELNS1_3repE0EEENS1_30default_config_static_selectorELNS0_4arch9wavefront6targetE1EEEvT1_, .Lfunc_end540-_ZN7rocprim17ROCPRIM_400000_NS6detail17trampoline_kernelINS0_14default_configENS1_27scan_by_key_config_selectorIiiEEZZNS1_16scan_by_key_implILNS1_25lookback_scan_determinismE0ELb1ES3_N6thrust23THRUST_200600_302600_NS6detail15normal_iteratorINS9_10device_ptrIiEEEESE_SE_iNS9_4plusIvEENS9_8equal_toIiEEiEE10hipError_tPvRmT2_T3_T4_T5_mT6_T7_P12ihipStream_tbENKUlT_T0_E_clISt17integral_constantIbLb0EESZ_EEDaSU_SV_EUlSU_E_NS1_11comp_targetILNS1_3genE9ELNS1_11target_archE1100ELNS1_3gpuE3ELNS1_3repE0EEENS1_30default_config_static_selectorELNS0_4arch9wavefront6targetE1EEEvT1_
                                        ; -- End function
	.section	.AMDGPU.csdata,"",@progbits
; Kernel info:
; codeLenInByte = 0
; NumSgprs: 6
; NumVgprs: 0
; NumAgprs: 0
; TotalNumVgprs: 0
; ScratchSize: 0
; MemoryBound: 0
; FloatMode: 240
; IeeeMode: 1
; LDSByteSize: 0 bytes/workgroup (compile time only)
; SGPRBlocks: 0
; VGPRBlocks: 0
; NumSGPRsForWavesPerEU: 6
; NumVGPRsForWavesPerEU: 1
; AccumOffset: 4
; Occupancy: 8
; WaveLimiterHint : 0
; COMPUTE_PGM_RSRC2:SCRATCH_EN: 0
; COMPUTE_PGM_RSRC2:USER_SGPR: 2
; COMPUTE_PGM_RSRC2:TRAP_HANDLER: 0
; COMPUTE_PGM_RSRC2:TGID_X_EN: 1
; COMPUTE_PGM_RSRC2:TGID_Y_EN: 0
; COMPUTE_PGM_RSRC2:TGID_Z_EN: 0
; COMPUTE_PGM_RSRC2:TIDIG_COMP_CNT: 0
; COMPUTE_PGM_RSRC3_GFX90A:ACCUM_OFFSET: 0
; COMPUTE_PGM_RSRC3_GFX90A:TG_SPLIT: 0
	.section	.text._ZN7rocprim17ROCPRIM_400000_NS6detail17trampoline_kernelINS0_14default_configENS1_27scan_by_key_config_selectorIiiEEZZNS1_16scan_by_key_implILNS1_25lookback_scan_determinismE0ELb1ES3_N6thrust23THRUST_200600_302600_NS6detail15normal_iteratorINS9_10device_ptrIiEEEESE_SE_iNS9_4plusIvEENS9_8equal_toIiEEiEE10hipError_tPvRmT2_T3_T4_T5_mT6_T7_P12ihipStream_tbENKUlT_T0_E_clISt17integral_constantIbLb0EESZ_EEDaSU_SV_EUlSU_E_NS1_11comp_targetILNS1_3genE8ELNS1_11target_archE1030ELNS1_3gpuE2ELNS1_3repE0EEENS1_30default_config_static_selectorELNS0_4arch9wavefront6targetE1EEEvT1_,"axG",@progbits,_ZN7rocprim17ROCPRIM_400000_NS6detail17trampoline_kernelINS0_14default_configENS1_27scan_by_key_config_selectorIiiEEZZNS1_16scan_by_key_implILNS1_25lookback_scan_determinismE0ELb1ES3_N6thrust23THRUST_200600_302600_NS6detail15normal_iteratorINS9_10device_ptrIiEEEESE_SE_iNS9_4plusIvEENS9_8equal_toIiEEiEE10hipError_tPvRmT2_T3_T4_T5_mT6_T7_P12ihipStream_tbENKUlT_T0_E_clISt17integral_constantIbLb0EESZ_EEDaSU_SV_EUlSU_E_NS1_11comp_targetILNS1_3genE8ELNS1_11target_archE1030ELNS1_3gpuE2ELNS1_3repE0EEENS1_30default_config_static_selectorELNS0_4arch9wavefront6targetE1EEEvT1_,comdat
	.protected	_ZN7rocprim17ROCPRIM_400000_NS6detail17trampoline_kernelINS0_14default_configENS1_27scan_by_key_config_selectorIiiEEZZNS1_16scan_by_key_implILNS1_25lookback_scan_determinismE0ELb1ES3_N6thrust23THRUST_200600_302600_NS6detail15normal_iteratorINS9_10device_ptrIiEEEESE_SE_iNS9_4plusIvEENS9_8equal_toIiEEiEE10hipError_tPvRmT2_T3_T4_T5_mT6_T7_P12ihipStream_tbENKUlT_T0_E_clISt17integral_constantIbLb0EESZ_EEDaSU_SV_EUlSU_E_NS1_11comp_targetILNS1_3genE8ELNS1_11target_archE1030ELNS1_3gpuE2ELNS1_3repE0EEENS1_30default_config_static_selectorELNS0_4arch9wavefront6targetE1EEEvT1_ ; -- Begin function _ZN7rocprim17ROCPRIM_400000_NS6detail17trampoline_kernelINS0_14default_configENS1_27scan_by_key_config_selectorIiiEEZZNS1_16scan_by_key_implILNS1_25lookback_scan_determinismE0ELb1ES3_N6thrust23THRUST_200600_302600_NS6detail15normal_iteratorINS9_10device_ptrIiEEEESE_SE_iNS9_4plusIvEENS9_8equal_toIiEEiEE10hipError_tPvRmT2_T3_T4_T5_mT6_T7_P12ihipStream_tbENKUlT_T0_E_clISt17integral_constantIbLb0EESZ_EEDaSU_SV_EUlSU_E_NS1_11comp_targetILNS1_3genE8ELNS1_11target_archE1030ELNS1_3gpuE2ELNS1_3repE0EEENS1_30default_config_static_selectorELNS0_4arch9wavefront6targetE1EEEvT1_
	.globl	_ZN7rocprim17ROCPRIM_400000_NS6detail17trampoline_kernelINS0_14default_configENS1_27scan_by_key_config_selectorIiiEEZZNS1_16scan_by_key_implILNS1_25lookback_scan_determinismE0ELb1ES3_N6thrust23THRUST_200600_302600_NS6detail15normal_iteratorINS9_10device_ptrIiEEEESE_SE_iNS9_4plusIvEENS9_8equal_toIiEEiEE10hipError_tPvRmT2_T3_T4_T5_mT6_T7_P12ihipStream_tbENKUlT_T0_E_clISt17integral_constantIbLb0EESZ_EEDaSU_SV_EUlSU_E_NS1_11comp_targetILNS1_3genE8ELNS1_11target_archE1030ELNS1_3gpuE2ELNS1_3repE0EEENS1_30default_config_static_selectorELNS0_4arch9wavefront6targetE1EEEvT1_
	.p2align	8
	.type	_ZN7rocprim17ROCPRIM_400000_NS6detail17trampoline_kernelINS0_14default_configENS1_27scan_by_key_config_selectorIiiEEZZNS1_16scan_by_key_implILNS1_25lookback_scan_determinismE0ELb1ES3_N6thrust23THRUST_200600_302600_NS6detail15normal_iteratorINS9_10device_ptrIiEEEESE_SE_iNS9_4plusIvEENS9_8equal_toIiEEiEE10hipError_tPvRmT2_T3_T4_T5_mT6_T7_P12ihipStream_tbENKUlT_T0_E_clISt17integral_constantIbLb0EESZ_EEDaSU_SV_EUlSU_E_NS1_11comp_targetILNS1_3genE8ELNS1_11target_archE1030ELNS1_3gpuE2ELNS1_3repE0EEENS1_30default_config_static_selectorELNS0_4arch9wavefront6targetE1EEEvT1_,@function
_ZN7rocprim17ROCPRIM_400000_NS6detail17trampoline_kernelINS0_14default_configENS1_27scan_by_key_config_selectorIiiEEZZNS1_16scan_by_key_implILNS1_25lookback_scan_determinismE0ELb1ES3_N6thrust23THRUST_200600_302600_NS6detail15normal_iteratorINS9_10device_ptrIiEEEESE_SE_iNS9_4plusIvEENS9_8equal_toIiEEiEE10hipError_tPvRmT2_T3_T4_T5_mT6_T7_P12ihipStream_tbENKUlT_T0_E_clISt17integral_constantIbLb0EESZ_EEDaSU_SV_EUlSU_E_NS1_11comp_targetILNS1_3genE8ELNS1_11target_archE1030ELNS1_3gpuE2ELNS1_3repE0EEENS1_30default_config_static_selectorELNS0_4arch9wavefront6targetE1EEEvT1_: ; @_ZN7rocprim17ROCPRIM_400000_NS6detail17trampoline_kernelINS0_14default_configENS1_27scan_by_key_config_selectorIiiEEZZNS1_16scan_by_key_implILNS1_25lookback_scan_determinismE0ELb1ES3_N6thrust23THRUST_200600_302600_NS6detail15normal_iteratorINS9_10device_ptrIiEEEESE_SE_iNS9_4plusIvEENS9_8equal_toIiEEiEE10hipError_tPvRmT2_T3_T4_T5_mT6_T7_P12ihipStream_tbENKUlT_T0_E_clISt17integral_constantIbLb0EESZ_EEDaSU_SV_EUlSU_E_NS1_11comp_targetILNS1_3genE8ELNS1_11target_archE1030ELNS1_3gpuE2ELNS1_3repE0EEENS1_30default_config_static_selectorELNS0_4arch9wavefront6targetE1EEEvT1_
; %bb.0:
	.section	.rodata,"a",@progbits
	.p2align	6, 0x0
	.amdhsa_kernel _ZN7rocprim17ROCPRIM_400000_NS6detail17trampoline_kernelINS0_14default_configENS1_27scan_by_key_config_selectorIiiEEZZNS1_16scan_by_key_implILNS1_25lookback_scan_determinismE0ELb1ES3_N6thrust23THRUST_200600_302600_NS6detail15normal_iteratorINS9_10device_ptrIiEEEESE_SE_iNS9_4plusIvEENS9_8equal_toIiEEiEE10hipError_tPvRmT2_T3_T4_T5_mT6_T7_P12ihipStream_tbENKUlT_T0_E_clISt17integral_constantIbLb0EESZ_EEDaSU_SV_EUlSU_E_NS1_11comp_targetILNS1_3genE8ELNS1_11target_archE1030ELNS1_3gpuE2ELNS1_3repE0EEENS1_30default_config_static_selectorELNS0_4arch9wavefront6targetE1EEEvT1_
		.amdhsa_group_segment_fixed_size 0
		.amdhsa_private_segment_fixed_size 0
		.amdhsa_kernarg_size 112
		.amdhsa_user_sgpr_count 2
		.amdhsa_user_sgpr_dispatch_ptr 0
		.amdhsa_user_sgpr_queue_ptr 0
		.amdhsa_user_sgpr_kernarg_segment_ptr 1
		.amdhsa_user_sgpr_dispatch_id 0
		.amdhsa_user_sgpr_kernarg_preload_length 0
		.amdhsa_user_sgpr_kernarg_preload_offset 0
		.amdhsa_user_sgpr_private_segment_size 0
		.amdhsa_uses_dynamic_stack 0
		.amdhsa_enable_private_segment 0
		.amdhsa_system_sgpr_workgroup_id_x 1
		.amdhsa_system_sgpr_workgroup_id_y 0
		.amdhsa_system_sgpr_workgroup_id_z 0
		.amdhsa_system_sgpr_workgroup_info 0
		.amdhsa_system_vgpr_workitem_id 0
		.amdhsa_next_free_vgpr 1
		.amdhsa_next_free_sgpr 0
		.amdhsa_accum_offset 4
		.amdhsa_reserve_vcc 0
		.amdhsa_float_round_mode_32 0
		.amdhsa_float_round_mode_16_64 0
		.amdhsa_float_denorm_mode_32 3
		.amdhsa_float_denorm_mode_16_64 3
		.amdhsa_dx10_clamp 1
		.amdhsa_ieee_mode 1
		.amdhsa_fp16_overflow 0
		.amdhsa_tg_split 0
		.amdhsa_exception_fp_ieee_invalid_op 0
		.amdhsa_exception_fp_denorm_src 0
		.amdhsa_exception_fp_ieee_div_zero 0
		.amdhsa_exception_fp_ieee_overflow 0
		.amdhsa_exception_fp_ieee_underflow 0
		.amdhsa_exception_fp_ieee_inexact 0
		.amdhsa_exception_int_div_zero 0
	.end_amdhsa_kernel
	.section	.text._ZN7rocprim17ROCPRIM_400000_NS6detail17trampoline_kernelINS0_14default_configENS1_27scan_by_key_config_selectorIiiEEZZNS1_16scan_by_key_implILNS1_25lookback_scan_determinismE0ELb1ES3_N6thrust23THRUST_200600_302600_NS6detail15normal_iteratorINS9_10device_ptrIiEEEESE_SE_iNS9_4plusIvEENS9_8equal_toIiEEiEE10hipError_tPvRmT2_T3_T4_T5_mT6_T7_P12ihipStream_tbENKUlT_T0_E_clISt17integral_constantIbLb0EESZ_EEDaSU_SV_EUlSU_E_NS1_11comp_targetILNS1_3genE8ELNS1_11target_archE1030ELNS1_3gpuE2ELNS1_3repE0EEENS1_30default_config_static_selectorELNS0_4arch9wavefront6targetE1EEEvT1_,"axG",@progbits,_ZN7rocprim17ROCPRIM_400000_NS6detail17trampoline_kernelINS0_14default_configENS1_27scan_by_key_config_selectorIiiEEZZNS1_16scan_by_key_implILNS1_25lookback_scan_determinismE0ELb1ES3_N6thrust23THRUST_200600_302600_NS6detail15normal_iteratorINS9_10device_ptrIiEEEESE_SE_iNS9_4plusIvEENS9_8equal_toIiEEiEE10hipError_tPvRmT2_T3_T4_T5_mT6_T7_P12ihipStream_tbENKUlT_T0_E_clISt17integral_constantIbLb0EESZ_EEDaSU_SV_EUlSU_E_NS1_11comp_targetILNS1_3genE8ELNS1_11target_archE1030ELNS1_3gpuE2ELNS1_3repE0EEENS1_30default_config_static_selectorELNS0_4arch9wavefront6targetE1EEEvT1_,comdat
.Lfunc_end541:
	.size	_ZN7rocprim17ROCPRIM_400000_NS6detail17trampoline_kernelINS0_14default_configENS1_27scan_by_key_config_selectorIiiEEZZNS1_16scan_by_key_implILNS1_25lookback_scan_determinismE0ELb1ES3_N6thrust23THRUST_200600_302600_NS6detail15normal_iteratorINS9_10device_ptrIiEEEESE_SE_iNS9_4plusIvEENS9_8equal_toIiEEiEE10hipError_tPvRmT2_T3_T4_T5_mT6_T7_P12ihipStream_tbENKUlT_T0_E_clISt17integral_constantIbLb0EESZ_EEDaSU_SV_EUlSU_E_NS1_11comp_targetILNS1_3genE8ELNS1_11target_archE1030ELNS1_3gpuE2ELNS1_3repE0EEENS1_30default_config_static_selectorELNS0_4arch9wavefront6targetE1EEEvT1_, .Lfunc_end541-_ZN7rocprim17ROCPRIM_400000_NS6detail17trampoline_kernelINS0_14default_configENS1_27scan_by_key_config_selectorIiiEEZZNS1_16scan_by_key_implILNS1_25lookback_scan_determinismE0ELb1ES3_N6thrust23THRUST_200600_302600_NS6detail15normal_iteratorINS9_10device_ptrIiEEEESE_SE_iNS9_4plusIvEENS9_8equal_toIiEEiEE10hipError_tPvRmT2_T3_T4_T5_mT6_T7_P12ihipStream_tbENKUlT_T0_E_clISt17integral_constantIbLb0EESZ_EEDaSU_SV_EUlSU_E_NS1_11comp_targetILNS1_3genE8ELNS1_11target_archE1030ELNS1_3gpuE2ELNS1_3repE0EEENS1_30default_config_static_selectorELNS0_4arch9wavefront6targetE1EEEvT1_
                                        ; -- End function
	.section	.AMDGPU.csdata,"",@progbits
; Kernel info:
; codeLenInByte = 0
; NumSgprs: 6
; NumVgprs: 0
; NumAgprs: 0
; TotalNumVgprs: 0
; ScratchSize: 0
; MemoryBound: 0
; FloatMode: 240
; IeeeMode: 1
; LDSByteSize: 0 bytes/workgroup (compile time only)
; SGPRBlocks: 0
; VGPRBlocks: 0
; NumSGPRsForWavesPerEU: 6
; NumVGPRsForWavesPerEU: 1
; AccumOffset: 4
; Occupancy: 8
; WaveLimiterHint : 0
; COMPUTE_PGM_RSRC2:SCRATCH_EN: 0
; COMPUTE_PGM_RSRC2:USER_SGPR: 2
; COMPUTE_PGM_RSRC2:TRAP_HANDLER: 0
; COMPUTE_PGM_RSRC2:TGID_X_EN: 1
; COMPUTE_PGM_RSRC2:TGID_Y_EN: 0
; COMPUTE_PGM_RSRC2:TGID_Z_EN: 0
; COMPUTE_PGM_RSRC2:TIDIG_COMP_CNT: 0
; COMPUTE_PGM_RSRC3_GFX90A:ACCUM_OFFSET: 0
; COMPUTE_PGM_RSRC3_GFX90A:TG_SPLIT: 0
	.section	.text._ZN7rocprim17ROCPRIM_400000_NS6detail17trampoline_kernelINS0_14default_configENS1_27scan_by_key_config_selectorIiiEEZZNS1_16scan_by_key_implILNS1_25lookback_scan_determinismE0ELb1ES3_N6thrust23THRUST_200600_302600_NS6detail15normal_iteratorINS9_10device_ptrIiEEEESE_SE_iNS9_4plusIvEENS9_8equal_toIiEEiEE10hipError_tPvRmT2_T3_T4_T5_mT6_T7_P12ihipStream_tbENKUlT_T0_E_clISt17integral_constantIbLb1EESZ_EEDaSU_SV_EUlSU_E_NS1_11comp_targetILNS1_3genE0ELNS1_11target_archE4294967295ELNS1_3gpuE0ELNS1_3repE0EEENS1_30default_config_static_selectorELNS0_4arch9wavefront6targetE1EEEvT1_,"axG",@progbits,_ZN7rocprim17ROCPRIM_400000_NS6detail17trampoline_kernelINS0_14default_configENS1_27scan_by_key_config_selectorIiiEEZZNS1_16scan_by_key_implILNS1_25lookback_scan_determinismE0ELb1ES3_N6thrust23THRUST_200600_302600_NS6detail15normal_iteratorINS9_10device_ptrIiEEEESE_SE_iNS9_4plusIvEENS9_8equal_toIiEEiEE10hipError_tPvRmT2_T3_T4_T5_mT6_T7_P12ihipStream_tbENKUlT_T0_E_clISt17integral_constantIbLb1EESZ_EEDaSU_SV_EUlSU_E_NS1_11comp_targetILNS1_3genE0ELNS1_11target_archE4294967295ELNS1_3gpuE0ELNS1_3repE0EEENS1_30default_config_static_selectorELNS0_4arch9wavefront6targetE1EEEvT1_,comdat
	.protected	_ZN7rocprim17ROCPRIM_400000_NS6detail17trampoline_kernelINS0_14default_configENS1_27scan_by_key_config_selectorIiiEEZZNS1_16scan_by_key_implILNS1_25lookback_scan_determinismE0ELb1ES3_N6thrust23THRUST_200600_302600_NS6detail15normal_iteratorINS9_10device_ptrIiEEEESE_SE_iNS9_4plusIvEENS9_8equal_toIiEEiEE10hipError_tPvRmT2_T3_T4_T5_mT6_T7_P12ihipStream_tbENKUlT_T0_E_clISt17integral_constantIbLb1EESZ_EEDaSU_SV_EUlSU_E_NS1_11comp_targetILNS1_3genE0ELNS1_11target_archE4294967295ELNS1_3gpuE0ELNS1_3repE0EEENS1_30default_config_static_selectorELNS0_4arch9wavefront6targetE1EEEvT1_ ; -- Begin function _ZN7rocprim17ROCPRIM_400000_NS6detail17trampoline_kernelINS0_14default_configENS1_27scan_by_key_config_selectorIiiEEZZNS1_16scan_by_key_implILNS1_25lookback_scan_determinismE0ELb1ES3_N6thrust23THRUST_200600_302600_NS6detail15normal_iteratorINS9_10device_ptrIiEEEESE_SE_iNS9_4plusIvEENS9_8equal_toIiEEiEE10hipError_tPvRmT2_T3_T4_T5_mT6_T7_P12ihipStream_tbENKUlT_T0_E_clISt17integral_constantIbLb1EESZ_EEDaSU_SV_EUlSU_E_NS1_11comp_targetILNS1_3genE0ELNS1_11target_archE4294967295ELNS1_3gpuE0ELNS1_3repE0EEENS1_30default_config_static_selectorELNS0_4arch9wavefront6targetE1EEEvT1_
	.globl	_ZN7rocprim17ROCPRIM_400000_NS6detail17trampoline_kernelINS0_14default_configENS1_27scan_by_key_config_selectorIiiEEZZNS1_16scan_by_key_implILNS1_25lookback_scan_determinismE0ELb1ES3_N6thrust23THRUST_200600_302600_NS6detail15normal_iteratorINS9_10device_ptrIiEEEESE_SE_iNS9_4plusIvEENS9_8equal_toIiEEiEE10hipError_tPvRmT2_T3_T4_T5_mT6_T7_P12ihipStream_tbENKUlT_T0_E_clISt17integral_constantIbLb1EESZ_EEDaSU_SV_EUlSU_E_NS1_11comp_targetILNS1_3genE0ELNS1_11target_archE4294967295ELNS1_3gpuE0ELNS1_3repE0EEENS1_30default_config_static_selectorELNS0_4arch9wavefront6targetE1EEEvT1_
	.p2align	8
	.type	_ZN7rocprim17ROCPRIM_400000_NS6detail17trampoline_kernelINS0_14default_configENS1_27scan_by_key_config_selectorIiiEEZZNS1_16scan_by_key_implILNS1_25lookback_scan_determinismE0ELb1ES3_N6thrust23THRUST_200600_302600_NS6detail15normal_iteratorINS9_10device_ptrIiEEEESE_SE_iNS9_4plusIvEENS9_8equal_toIiEEiEE10hipError_tPvRmT2_T3_T4_T5_mT6_T7_P12ihipStream_tbENKUlT_T0_E_clISt17integral_constantIbLb1EESZ_EEDaSU_SV_EUlSU_E_NS1_11comp_targetILNS1_3genE0ELNS1_11target_archE4294967295ELNS1_3gpuE0ELNS1_3repE0EEENS1_30default_config_static_selectorELNS0_4arch9wavefront6targetE1EEEvT1_,@function
_ZN7rocprim17ROCPRIM_400000_NS6detail17trampoline_kernelINS0_14default_configENS1_27scan_by_key_config_selectorIiiEEZZNS1_16scan_by_key_implILNS1_25lookback_scan_determinismE0ELb1ES3_N6thrust23THRUST_200600_302600_NS6detail15normal_iteratorINS9_10device_ptrIiEEEESE_SE_iNS9_4plusIvEENS9_8equal_toIiEEiEE10hipError_tPvRmT2_T3_T4_T5_mT6_T7_P12ihipStream_tbENKUlT_T0_E_clISt17integral_constantIbLb1EESZ_EEDaSU_SV_EUlSU_E_NS1_11comp_targetILNS1_3genE0ELNS1_11target_archE4294967295ELNS1_3gpuE0ELNS1_3repE0EEENS1_30default_config_static_selectorELNS0_4arch9wavefront6targetE1EEEvT1_: ; @_ZN7rocprim17ROCPRIM_400000_NS6detail17trampoline_kernelINS0_14default_configENS1_27scan_by_key_config_selectorIiiEEZZNS1_16scan_by_key_implILNS1_25lookback_scan_determinismE0ELb1ES3_N6thrust23THRUST_200600_302600_NS6detail15normal_iteratorINS9_10device_ptrIiEEEESE_SE_iNS9_4plusIvEENS9_8equal_toIiEEiEE10hipError_tPvRmT2_T3_T4_T5_mT6_T7_P12ihipStream_tbENKUlT_T0_E_clISt17integral_constantIbLb1EESZ_EEDaSU_SV_EUlSU_E_NS1_11comp_targetILNS1_3genE0ELNS1_11target_archE4294967295ELNS1_3gpuE0ELNS1_3repE0EEENS1_30default_config_static_selectorELNS0_4arch9wavefront6targetE1EEEvT1_
; %bb.0:
	.section	.rodata,"a",@progbits
	.p2align	6, 0x0
	.amdhsa_kernel _ZN7rocprim17ROCPRIM_400000_NS6detail17trampoline_kernelINS0_14default_configENS1_27scan_by_key_config_selectorIiiEEZZNS1_16scan_by_key_implILNS1_25lookback_scan_determinismE0ELb1ES3_N6thrust23THRUST_200600_302600_NS6detail15normal_iteratorINS9_10device_ptrIiEEEESE_SE_iNS9_4plusIvEENS9_8equal_toIiEEiEE10hipError_tPvRmT2_T3_T4_T5_mT6_T7_P12ihipStream_tbENKUlT_T0_E_clISt17integral_constantIbLb1EESZ_EEDaSU_SV_EUlSU_E_NS1_11comp_targetILNS1_3genE0ELNS1_11target_archE4294967295ELNS1_3gpuE0ELNS1_3repE0EEENS1_30default_config_static_selectorELNS0_4arch9wavefront6targetE1EEEvT1_
		.amdhsa_group_segment_fixed_size 0
		.amdhsa_private_segment_fixed_size 0
		.amdhsa_kernarg_size 112
		.amdhsa_user_sgpr_count 2
		.amdhsa_user_sgpr_dispatch_ptr 0
		.amdhsa_user_sgpr_queue_ptr 0
		.amdhsa_user_sgpr_kernarg_segment_ptr 1
		.amdhsa_user_sgpr_dispatch_id 0
		.amdhsa_user_sgpr_kernarg_preload_length 0
		.amdhsa_user_sgpr_kernarg_preload_offset 0
		.amdhsa_user_sgpr_private_segment_size 0
		.amdhsa_uses_dynamic_stack 0
		.amdhsa_enable_private_segment 0
		.amdhsa_system_sgpr_workgroup_id_x 1
		.amdhsa_system_sgpr_workgroup_id_y 0
		.amdhsa_system_sgpr_workgroup_id_z 0
		.amdhsa_system_sgpr_workgroup_info 0
		.amdhsa_system_vgpr_workitem_id 0
		.amdhsa_next_free_vgpr 1
		.amdhsa_next_free_sgpr 0
		.amdhsa_accum_offset 4
		.amdhsa_reserve_vcc 0
		.amdhsa_float_round_mode_32 0
		.amdhsa_float_round_mode_16_64 0
		.amdhsa_float_denorm_mode_32 3
		.amdhsa_float_denorm_mode_16_64 3
		.amdhsa_dx10_clamp 1
		.amdhsa_ieee_mode 1
		.amdhsa_fp16_overflow 0
		.amdhsa_tg_split 0
		.amdhsa_exception_fp_ieee_invalid_op 0
		.amdhsa_exception_fp_denorm_src 0
		.amdhsa_exception_fp_ieee_div_zero 0
		.amdhsa_exception_fp_ieee_overflow 0
		.amdhsa_exception_fp_ieee_underflow 0
		.amdhsa_exception_fp_ieee_inexact 0
		.amdhsa_exception_int_div_zero 0
	.end_amdhsa_kernel
	.section	.text._ZN7rocprim17ROCPRIM_400000_NS6detail17trampoline_kernelINS0_14default_configENS1_27scan_by_key_config_selectorIiiEEZZNS1_16scan_by_key_implILNS1_25lookback_scan_determinismE0ELb1ES3_N6thrust23THRUST_200600_302600_NS6detail15normal_iteratorINS9_10device_ptrIiEEEESE_SE_iNS9_4plusIvEENS9_8equal_toIiEEiEE10hipError_tPvRmT2_T3_T4_T5_mT6_T7_P12ihipStream_tbENKUlT_T0_E_clISt17integral_constantIbLb1EESZ_EEDaSU_SV_EUlSU_E_NS1_11comp_targetILNS1_3genE0ELNS1_11target_archE4294967295ELNS1_3gpuE0ELNS1_3repE0EEENS1_30default_config_static_selectorELNS0_4arch9wavefront6targetE1EEEvT1_,"axG",@progbits,_ZN7rocprim17ROCPRIM_400000_NS6detail17trampoline_kernelINS0_14default_configENS1_27scan_by_key_config_selectorIiiEEZZNS1_16scan_by_key_implILNS1_25lookback_scan_determinismE0ELb1ES3_N6thrust23THRUST_200600_302600_NS6detail15normal_iteratorINS9_10device_ptrIiEEEESE_SE_iNS9_4plusIvEENS9_8equal_toIiEEiEE10hipError_tPvRmT2_T3_T4_T5_mT6_T7_P12ihipStream_tbENKUlT_T0_E_clISt17integral_constantIbLb1EESZ_EEDaSU_SV_EUlSU_E_NS1_11comp_targetILNS1_3genE0ELNS1_11target_archE4294967295ELNS1_3gpuE0ELNS1_3repE0EEENS1_30default_config_static_selectorELNS0_4arch9wavefront6targetE1EEEvT1_,comdat
.Lfunc_end542:
	.size	_ZN7rocprim17ROCPRIM_400000_NS6detail17trampoline_kernelINS0_14default_configENS1_27scan_by_key_config_selectorIiiEEZZNS1_16scan_by_key_implILNS1_25lookback_scan_determinismE0ELb1ES3_N6thrust23THRUST_200600_302600_NS6detail15normal_iteratorINS9_10device_ptrIiEEEESE_SE_iNS9_4plusIvEENS9_8equal_toIiEEiEE10hipError_tPvRmT2_T3_T4_T5_mT6_T7_P12ihipStream_tbENKUlT_T0_E_clISt17integral_constantIbLb1EESZ_EEDaSU_SV_EUlSU_E_NS1_11comp_targetILNS1_3genE0ELNS1_11target_archE4294967295ELNS1_3gpuE0ELNS1_3repE0EEENS1_30default_config_static_selectorELNS0_4arch9wavefront6targetE1EEEvT1_, .Lfunc_end542-_ZN7rocprim17ROCPRIM_400000_NS6detail17trampoline_kernelINS0_14default_configENS1_27scan_by_key_config_selectorIiiEEZZNS1_16scan_by_key_implILNS1_25lookback_scan_determinismE0ELb1ES3_N6thrust23THRUST_200600_302600_NS6detail15normal_iteratorINS9_10device_ptrIiEEEESE_SE_iNS9_4plusIvEENS9_8equal_toIiEEiEE10hipError_tPvRmT2_T3_T4_T5_mT6_T7_P12ihipStream_tbENKUlT_T0_E_clISt17integral_constantIbLb1EESZ_EEDaSU_SV_EUlSU_E_NS1_11comp_targetILNS1_3genE0ELNS1_11target_archE4294967295ELNS1_3gpuE0ELNS1_3repE0EEENS1_30default_config_static_selectorELNS0_4arch9wavefront6targetE1EEEvT1_
                                        ; -- End function
	.section	.AMDGPU.csdata,"",@progbits
; Kernel info:
; codeLenInByte = 0
; NumSgprs: 6
; NumVgprs: 0
; NumAgprs: 0
; TotalNumVgprs: 0
; ScratchSize: 0
; MemoryBound: 0
; FloatMode: 240
; IeeeMode: 1
; LDSByteSize: 0 bytes/workgroup (compile time only)
; SGPRBlocks: 0
; VGPRBlocks: 0
; NumSGPRsForWavesPerEU: 6
; NumVGPRsForWavesPerEU: 1
; AccumOffset: 4
; Occupancy: 8
; WaveLimiterHint : 0
; COMPUTE_PGM_RSRC2:SCRATCH_EN: 0
; COMPUTE_PGM_RSRC2:USER_SGPR: 2
; COMPUTE_PGM_RSRC2:TRAP_HANDLER: 0
; COMPUTE_PGM_RSRC2:TGID_X_EN: 1
; COMPUTE_PGM_RSRC2:TGID_Y_EN: 0
; COMPUTE_PGM_RSRC2:TGID_Z_EN: 0
; COMPUTE_PGM_RSRC2:TIDIG_COMP_CNT: 0
; COMPUTE_PGM_RSRC3_GFX90A:ACCUM_OFFSET: 0
; COMPUTE_PGM_RSRC3_GFX90A:TG_SPLIT: 0
	.section	.text._ZN7rocprim17ROCPRIM_400000_NS6detail17trampoline_kernelINS0_14default_configENS1_27scan_by_key_config_selectorIiiEEZZNS1_16scan_by_key_implILNS1_25lookback_scan_determinismE0ELb1ES3_N6thrust23THRUST_200600_302600_NS6detail15normal_iteratorINS9_10device_ptrIiEEEESE_SE_iNS9_4plusIvEENS9_8equal_toIiEEiEE10hipError_tPvRmT2_T3_T4_T5_mT6_T7_P12ihipStream_tbENKUlT_T0_E_clISt17integral_constantIbLb1EESZ_EEDaSU_SV_EUlSU_E_NS1_11comp_targetILNS1_3genE10ELNS1_11target_archE1201ELNS1_3gpuE5ELNS1_3repE0EEENS1_30default_config_static_selectorELNS0_4arch9wavefront6targetE1EEEvT1_,"axG",@progbits,_ZN7rocprim17ROCPRIM_400000_NS6detail17trampoline_kernelINS0_14default_configENS1_27scan_by_key_config_selectorIiiEEZZNS1_16scan_by_key_implILNS1_25lookback_scan_determinismE0ELb1ES3_N6thrust23THRUST_200600_302600_NS6detail15normal_iteratorINS9_10device_ptrIiEEEESE_SE_iNS9_4plusIvEENS9_8equal_toIiEEiEE10hipError_tPvRmT2_T3_T4_T5_mT6_T7_P12ihipStream_tbENKUlT_T0_E_clISt17integral_constantIbLb1EESZ_EEDaSU_SV_EUlSU_E_NS1_11comp_targetILNS1_3genE10ELNS1_11target_archE1201ELNS1_3gpuE5ELNS1_3repE0EEENS1_30default_config_static_selectorELNS0_4arch9wavefront6targetE1EEEvT1_,comdat
	.protected	_ZN7rocprim17ROCPRIM_400000_NS6detail17trampoline_kernelINS0_14default_configENS1_27scan_by_key_config_selectorIiiEEZZNS1_16scan_by_key_implILNS1_25lookback_scan_determinismE0ELb1ES3_N6thrust23THRUST_200600_302600_NS6detail15normal_iteratorINS9_10device_ptrIiEEEESE_SE_iNS9_4plusIvEENS9_8equal_toIiEEiEE10hipError_tPvRmT2_T3_T4_T5_mT6_T7_P12ihipStream_tbENKUlT_T0_E_clISt17integral_constantIbLb1EESZ_EEDaSU_SV_EUlSU_E_NS1_11comp_targetILNS1_3genE10ELNS1_11target_archE1201ELNS1_3gpuE5ELNS1_3repE0EEENS1_30default_config_static_selectorELNS0_4arch9wavefront6targetE1EEEvT1_ ; -- Begin function _ZN7rocprim17ROCPRIM_400000_NS6detail17trampoline_kernelINS0_14default_configENS1_27scan_by_key_config_selectorIiiEEZZNS1_16scan_by_key_implILNS1_25lookback_scan_determinismE0ELb1ES3_N6thrust23THRUST_200600_302600_NS6detail15normal_iteratorINS9_10device_ptrIiEEEESE_SE_iNS9_4plusIvEENS9_8equal_toIiEEiEE10hipError_tPvRmT2_T3_T4_T5_mT6_T7_P12ihipStream_tbENKUlT_T0_E_clISt17integral_constantIbLb1EESZ_EEDaSU_SV_EUlSU_E_NS1_11comp_targetILNS1_3genE10ELNS1_11target_archE1201ELNS1_3gpuE5ELNS1_3repE0EEENS1_30default_config_static_selectorELNS0_4arch9wavefront6targetE1EEEvT1_
	.globl	_ZN7rocprim17ROCPRIM_400000_NS6detail17trampoline_kernelINS0_14default_configENS1_27scan_by_key_config_selectorIiiEEZZNS1_16scan_by_key_implILNS1_25lookback_scan_determinismE0ELb1ES3_N6thrust23THRUST_200600_302600_NS6detail15normal_iteratorINS9_10device_ptrIiEEEESE_SE_iNS9_4plusIvEENS9_8equal_toIiEEiEE10hipError_tPvRmT2_T3_T4_T5_mT6_T7_P12ihipStream_tbENKUlT_T0_E_clISt17integral_constantIbLb1EESZ_EEDaSU_SV_EUlSU_E_NS1_11comp_targetILNS1_3genE10ELNS1_11target_archE1201ELNS1_3gpuE5ELNS1_3repE0EEENS1_30default_config_static_selectorELNS0_4arch9wavefront6targetE1EEEvT1_
	.p2align	8
	.type	_ZN7rocprim17ROCPRIM_400000_NS6detail17trampoline_kernelINS0_14default_configENS1_27scan_by_key_config_selectorIiiEEZZNS1_16scan_by_key_implILNS1_25lookback_scan_determinismE0ELb1ES3_N6thrust23THRUST_200600_302600_NS6detail15normal_iteratorINS9_10device_ptrIiEEEESE_SE_iNS9_4plusIvEENS9_8equal_toIiEEiEE10hipError_tPvRmT2_T3_T4_T5_mT6_T7_P12ihipStream_tbENKUlT_T0_E_clISt17integral_constantIbLb1EESZ_EEDaSU_SV_EUlSU_E_NS1_11comp_targetILNS1_3genE10ELNS1_11target_archE1201ELNS1_3gpuE5ELNS1_3repE0EEENS1_30default_config_static_selectorELNS0_4arch9wavefront6targetE1EEEvT1_,@function
_ZN7rocprim17ROCPRIM_400000_NS6detail17trampoline_kernelINS0_14default_configENS1_27scan_by_key_config_selectorIiiEEZZNS1_16scan_by_key_implILNS1_25lookback_scan_determinismE0ELb1ES3_N6thrust23THRUST_200600_302600_NS6detail15normal_iteratorINS9_10device_ptrIiEEEESE_SE_iNS9_4plusIvEENS9_8equal_toIiEEiEE10hipError_tPvRmT2_T3_T4_T5_mT6_T7_P12ihipStream_tbENKUlT_T0_E_clISt17integral_constantIbLb1EESZ_EEDaSU_SV_EUlSU_E_NS1_11comp_targetILNS1_3genE10ELNS1_11target_archE1201ELNS1_3gpuE5ELNS1_3repE0EEENS1_30default_config_static_selectorELNS0_4arch9wavefront6targetE1EEEvT1_: ; @_ZN7rocprim17ROCPRIM_400000_NS6detail17trampoline_kernelINS0_14default_configENS1_27scan_by_key_config_selectorIiiEEZZNS1_16scan_by_key_implILNS1_25lookback_scan_determinismE0ELb1ES3_N6thrust23THRUST_200600_302600_NS6detail15normal_iteratorINS9_10device_ptrIiEEEESE_SE_iNS9_4plusIvEENS9_8equal_toIiEEiEE10hipError_tPvRmT2_T3_T4_T5_mT6_T7_P12ihipStream_tbENKUlT_T0_E_clISt17integral_constantIbLb1EESZ_EEDaSU_SV_EUlSU_E_NS1_11comp_targetILNS1_3genE10ELNS1_11target_archE1201ELNS1_3gpuE5ELNS1_3repE0EEENS1_30default_config_static_selectorELNS0_4arch9wavefront6targetE1EEEvT1_
; %bb.0:
	.section	.rodata,"a",@progbits
	.p2align	6, 0x0
	.amdhsa_kernel _ZN7rocprim17ROCPRIM_400000_NS6detail17trampoline_kernelINS0_14default_configENS1_27scan_by_key_config_selectorIiiEEZZNS1_16scan_by_key_implILNS1_25lookback_scan_determinismE0ELb1ES3_N6thrust23THRUST_200600_302600_NS6detail15normal_iteratorINS9_10device_ptrIiEEEESE_SE_iNS9_4plusIvEENS9_8equal_toIiEEiEE10hipError_tPvRmT2_T3_T4_T5_mT6_T7_P12ihipStream_tbENKUlT_T0_E_clISt17integral_constantIbLb1EESZ_EEDaSU_SV_EUlSU_E_NS1_11comp_targetILNS1_3genE10ELNS1_11target_archE1201ELNS1_3gpuE5ELNS1_3repE0EEENS1_30default_config_static_selectorELNS0_4arch9wavefront6targetE1EEEvT1_
		.amdhsa_group_segment_fixed_size 0
		.amdhsa_private_segment_fixed_size 0
		.amdhsa_kernarg_size 112
		.amdhsa_user_sgpr_count 2
		.amdhsa_user_sgpr_dispatch_ptr 0
		.amdhsa_user_sgpr_queue_ptr 0
		.amdhsa_user_sgpr_kernarg_segment_ptr 1
		.amdhsa_user_sgpr_dispatch_id 0
		.amdhsa_user_sgpr_kernarg_preload_length 0
		.amdhsa_user_sgpr_kernarg_preload_offset 0
		.amdhsa_user_sgpr_private_segment_size 0
		.amdhsa_uses_dynamic_stack 0
		.amdhsa_enable_private_segment 0
		.amdhsa_system_sgpr_workgroup_id_x 1
		.amdhsa_system_sgpr_workgroup_id_y 0
		.amdhsa_system_sgpr_workgroup_id_z 0
		.amdhsa_system_sgpr_workgroup_info 0
		.amdhsa_system_vgpr_workitem_id 0
		.amdhsa_next_free_vgpr 1
		.amdhsa_next_free_sgpr 0
		.amdhsa_accum_offset 4
		.amdhsa_reserve_vcc 0
		.amdhsa_float_round_mode_32 0
		.amdhsa_float_round_mode_16_64 0
		.amdhsa_float_denorm_mode_32 3
		.amdhsa_float_denorm_mode_16_64 3
		.amdhsa_dx10_clamp 1
		.amdhsa_ieee_mode 1
		.amdhsa_fp16_overflow 0
		.amdhsa_tg_split 0
		.amdhsa_exception_fp_ieee_invalid_op 0
		.amdhsa_exception_fp_denorm_src 0
		.amdhsa_exception_fp_ieee_div_zero 0
		.amdhsa_exception_fp_ieee_overflow 0
		.amdhsa_exception_fp_ieee_underflow 0
		.amdhsa_exception_fp_ieee_inexact 0
		.amdhsa_exception_int_div_zero 0
	.end_amdhsa_kernel
	.section	.text._ZN7rocprim17ROCPRIM_400000_NS6detail17trampoline_kernelINS0_14default_configENS1_27scan_by_key_config_selectorIiiEEZZNS1_16scan_by_key_implILNS1_25lookback_scan_determinismE0ELb1ES3_N6thrust23THRUST_200600_302600_NS6detail15normal_iteratorINS9_10device_ptrIiEEEESE_SE_iNS9_4plusIvEENS9_8equal_toIiEEiEE10hipError_tPvRmT2_T3_T4_T5_mT6_T7_P12ihipStream_tbENKUlT_T0_E_clISt17integral_constantIbLb1EESZ_EEDaSU_SV_EUlSU_E_NS1_11comp_targetILNS1_3genE10ELNS1_11target_archE1201ELNS1_3gpuE5ELNS1_3repE0EEENS1_30default_config_static_selectorELNS0_4arch9wavefront6targetE1EEEvT1_,"axG",@progbits,_ZN7rocprim17ROCPRIM_400000_NS6detail17trampoline_kernelINS0_14default_configENS1_27scan_by_key_config_selectorIiiEEZZNS1_16scan_by_key_implILNS1_25lookback_scan_determinismE0ELb1ES3_N6thrust23THRUST_200600_302600_NS6detail15normal_iteratorINS9_10device_ptrIiEEEESE_SE_iNS9_4plusIvEENS9_8equal_toIiEEiEE10hipError_tPvRmT2_T3_T4_T5_mT6_T7_P12ihipStream_tbENKUlT_T0_E_clISt17integral_constantIbLb1EESZ_EEDaSU_SV_EUlSU_E_NS1_11comp_targetILNS1_3genE10ELNS1_11target_archE1201ELNS1_3gpuE5ELNS1_3repE0EEENS1_30default_config_static_selectorELNS0_4arch9wavefront6targetE1EEEvT1_,comdat
.Lfunc_end543:
	.size	_ZN7rocprim17ROCPRIM_400000_NS6detail17trampoline_kernelINS0_14default_configENS1_27scan_by_key_config_selectorIiiEEZZNS1_16scan_by_key_implILNS1_25lookback_scan_determinismE0ELb1ES3_N6thrust23THRUST_200600_302600_NS6detail15normal_iteratorINS9_10device_ptrIiEEEESE_SE_iNS9_4plusIvEENS9_8equal_toIiEEiEE10hipError_tPvRmT2_T3_T4_T5_mT6_T7_P12ihipStream_tbENKUlT_T0_E_clISt17integral_constantIbLb1EESZ_EEDaSU_SV_EUlSU_E_NS1_11comp_targetILNS1_3genE10ELNS1_11target_archE1201ELNS1_3gpuE5ELNS1_3repE0EEENS1_30default_config_static_selectorELNS0_4arch9wavefront6targetE1EEEvT1_, .Lfunc_end543-_ZN7rocprim17ROCPRIM_400000_NS6detail17trampoline_kernelINS0_14default_configENS1_27scan_by_key_config_selectorIiiEEZZNS1_16scan_by_key_implILNS1_25lookback_scan_determinismE0ELb1ES3_N6thrust23THRUST_200600_302600_NS6detail15normal_iteratorINS9_10device_ptrIiEEEESE_SE_iNS9_4plusIvEENS9_8equal_toIiEEiEE10hipError_tPvRmT2_T3_T4_T5_mT6_T7_P12ihipStream_tbENKUlT_T0_E_clISt17integral_constantIbLb1EESZ_EEDaSU_SV_EUlSU_E_NS1_11comp_targetILNS1_3genE10ELNS1_11target_archE1201ELNS1_3gpuE5ELNS1_3repE0EEENS1_30default_config_static_selectorELNS0_4arch9wavefront6targetE1EEEvT1_
                                        ; -- End function
	.section	.AMDGPU.csdata,"",@progbits
; Kernel info:
; codeLenInByte = 0
; NumSgprs: 6
; NumVgprs: 0
; NumAgprs: 0
; TotalNumVgprs: 0
; ScratchSize: 0
; MemoryBound: 0
; FloatMode: 240
; IeeeMode: 1
; LDSByteSize: 0 bytes/workgroup (compile time only)
; SGPRBlocks: 0
; VGPRBlocks: 0
; NumSGPRsForWavesPerEU: 6
; NumVGPRsForWavesPerEU: 1
; AccumOffset: 4
; Occupancy: 8
; WaveLimiterHint : 0
; COMPUTE_PGM_RSRC2:SCRATCH_EN: 0
; COMPUTE_PGM_RSRC2:USER_SGPR: 2
; COMPUTE_PGM_RSRC2:TRAP_HANDLER: 0
; COMPUTE_PGM_RSRC2:TGID_X_EN: 1
; COMPUTE_PGM_RSRC2:TGID_Y_EN: 0
; COMPUTE_PGM_RSRC2:TGID_Z_EN: 0
; COMPUTE_PGM_RSRC2:TIDIG_COMP_CNT: 0
; COMPUTE_PGM_RSRC3_GFX90A:ACCUM_OFFSET: 0
; COMPUTE_PGM_RSRC3_GFX90A:TG_SPLIT: 0
	.section	.text._ZN7rocprim17ROCPRIM_400000_NS6detail17trampoline_kernelINS0_14default_configENS1_27scan_by_key_config_selectorIiiEEZZNS1_16scan_by_key_implILNS1_25lookback_scan_determinismE0ELb1ES3_N6thrust23THRUST_200600_302600_NS6detail15normal_iteratorINS9_10device_ptrIiEEEESE_SE_iNS9_4plusIvEENS9_8equal_toIiEEiEE10hipError_tPvRmT2_T3_T4_T5_mT6_T7_P12ihipStream_tbENKUlT_T0_E_clISt17integral_constantIbLb1EESZ_EEDaSU_SV_EUlSU_E_NS1_11comp_targetILNS1_3genE5ELNS1_11target_archE942ELNS1_3gpuE9ELNS1_3repE0EEENS1_30default_config_static_selectorELNS0_4arch9wavefront6targetE1EEEvT1_,"axG",@progbits,_ZN7rocprim17ROCPRIM_400000_NS6detail17trampoline_kernelINS0_14default_configENS1_27scan_by_key_config_selectorIiiEEZZNS1_16scan_by_key_implILNS1_25lookback_scan_determinismE0ELb1ES3_N6thrust23THRUST_200600_302600_NS6detail15normal_iteratorINS9_10device_ptrIiEEEESE_SE_iNS9_4plusIvEENS9_8equal_toIiEEiEE10hipError_tPvRmT2_T3_T4_T5_mT6_T7_P12ihipStream_tbENKUlT_T0_E_clISt17integral_constantIbLb1EESZ_EEDaSU_SV_EUlSU_E_NS1_11comp_targetILNS1_3genE5ELNS1_11target_archE942ELNS1_3gpuE9ELNS1_3repE0EEENS1_30default_config_static_selectorELNS0_4arch9wavefront6targetE1EEEvT1_,comdat
	.protected	_ZN7rocprim17ROCPRIM_400000_NS6detail17trampoline_kernelINS0_14default_configENS1_27scan_by_key_config_selectorIiiEEZZNS1_16scan_by_key_implILNS1_25lookback_scan_determinismE0ELb1ES3_N6thrust23THRUST_200600_302600_NS6detail15normal_iteratorINS9_10device_ptrIiEEEESE_SE_iNS9_4plusIvEENS9_8equal_toIiEEiEE10hipError_tPvRmT2_T3_T4_T5_mT6_T7_P12ihipStream_tbENKUlT_T0_E_clISt17integral_constantIbLb1EESZ_EEDaSU_SV_EUlSU_E_NS1_11comp_targetILNS1_3genE5ELNS1_11target_archE942ELNS1_3gpuE9ELNS1_3repE0EEENS1_30default_config_static_selectorELNS0_4arch9wavefront6targetE1EEEvT1_ ; -- Begin function _ZN7rocprim17ROCPRIM_400000_NS6detail17trampoline_kernelINS0_14default_configENS1_27scan_by_key_config_selectorIiiEEZZNS1_16scan_by_key_implILNS1_25lookback_scan_determinismE0ELb1ES3_N6thrust23THRUST_200600_302600_NS6detail15normal_iteratorINS9_10device_ptrIiEEEESE_SE_iNS9_4plusIvEENS9_8equal_toIiEEiEE10hipError_tPvRmT2_T3_T4_T5_mT6_T7_P12ihipStream_tbENKUlT_T0_E_clISt17integral_constantIbLb1EESZ_EEDaSU_SV_EUlSU_E_NS1_11comp_targetILNS1_3genE5ELNS1_11target_archE942ELNS1_3gpuE9ELNS1_3repE0EEENS1_30default_config_static_selectorELNS0_4arch9wavefront6targetE1EEEvT1_
	.globl	_ZN7rocprim17ROCPRIM_400000_NS6detail17trampoline_kernelINS0_14default_configENS1_27scan_by_key_config_selectorIiiEEZZNS1_16scan_by_key_implILNS1_25lookback_scan_determinismE0ELb1ES3_N6thrust23THRUST_200600_302600_NS6detail15normal_iteratorINS9_10device_ptrIiEEEESE_SE_iNS9_4plusIvEENS9_8equal_toIiEEiEE10hipError_tPvRmT2_T3_T4_T5_mT6_T7_P12ihipStream_tbENKUlT_T0_E_clISt17integral_constantIbLb1EESZ_EEDaSU_SV_EUlSU_E_NS1_11comp_targetILNS1_3genE5ELNS1_11target_archE942ELNS1_3gpuE9ELNS1_3repE0EEENS1_30default_config_static_selectorELNS0_4arch9wavefront6targetE1EEEvT1_
	.p2align	8
	.type	_ZN7rocprim17ROCPRIM_400000_NS6detail17trampoline_kernelINS0_14default_configENS1_27scan_by_key_config_selectorIiiEEZZNS1_16scan_by_key_implILNS1_25lookback_scan_determinismE0ELb1ES3_N6thrust23THRUST_200600_302600_NS6detail15normal_iteratorINS9_10device_ptrIiEEEESE_SE_iNS9_4plusIvEENS9_8equal_toIiEEiEE10hipError_tPvRmT2_T3_T4_T5_mT6_T7_P12ihipStream_tbENKUlT_T0_E_clISt17integral_constantIbLb1EESZ_EEDaSU_SV_EUlSU_E_NS1_11comp_targetILNS1_3genE5ELNS1_11target_archE942ELNS1_3gpuE9ELNS1_3repE0EEENS1_30default_config_static_selectorELNS0_4arch9wavefront6targetE1EEEvT1_,@function
_ZN7rocprim17ROCPRIM_400000_NS6detail17trampoline_kernelINS0_14default_configENS1_27scan_by_key_config_selectorIiiEEZZNS1_16scan_by_key_implILNS1_25lookback_scan_determinismE0ELb1ES3_N6thrust23THRUST_200600_302600_NS6detail15normal_iteratorINS9_10device_ptrIiEEEESE_SE_iNS9_4plusIvEENS9_8equal_toIiEEiEE10hipError_tPvRmT2_T3_T4_T5_mT6_T7_P12ihipStream_tbENKUlT_T0_E_clISt17integral_constantIbLb1EESZ_EEDaSU_SV_EUlSU_E_NS1_11comp_targetILNS1_3genE5ELNS1_11target_archE942ELNS1_3gpuE9ELNS1_3repE0EEENS1_30default_config_static_selectorELNS0_4arch9wavefront6targetE1EEEvT1_: ; @_ZN7rocprim17ROCPRIM_400000_NS6detail17trampoline_kernelINS0_14default_configENS1_27scan_by_key_config_selectorIiiEEZZNS1_16scan_by_key_implILNS1_25lookback_scan_determinismE0ELb1ES3_N6thrust23THRUST_200600_302600_NS6detail15normal_iteratorINS9_10device_ptrIiEEEESE_SE_iNS9_4plusIvEENS9_8equal_toIiEEiEE10hipError_tPvRmT2_T3_T4_T5_mT6_T7_P12ihipStream_tbENKUlT_T0_E_clISt17integral_constantIbLb1EESZ_EEDaSU_SV_EUlSU_E_NS1_11comp_targetILNS1_3genE5ELNS1_11target_archE942ELNS1_3gpuE9ELNS1_3repE0EEENS1_30default_config_static_selectorELNS0_4arch9wavefront6targetE1EEEvT1_
; %bb.0:
	s_load_dword s74, s[0:1], 0x20
	s_load_dwordx4 s[64:67], s[0:1], 0x28
	s_load_dwordx2 s[72:73], s[0:1], 0x38
	v_cmp_ne_u32_e64 s[4:5], 0, v0
	v_cmp_eq_u32_e64 s[52:53], 0, v0
	s_and_saveexec_b64 s[2:3], s[52:53]
	s_cbranch_execz .LBB544_4
; %bb.1:
	s_mov_b64 s[8:9], exec
	v_mbcnt_lo_u32_b32 v1, s8, 0
	v_mbcnt_hi_u32_b32 v1, s9, v1
	v_cmp_eq_u32_e32 vcc, 0, v1
                                        ; implicit-def: $vgpr2
	s_and_saveexec_b64 s[6:7], vcc
	s_cbranch_execz .LBB544_3
; %bb.2:
	s_load_dwordx2 s[10:11], s[0:1], 0x68
	s_bcnt1_i32_b64 s8, s[8:9]
	v_mov_b32_e32 v2, 0
	v_mov_b32_e32 v3, s8
	s_waitcnt lgkmcnt(0)
	global_atomic_add v2, v2, v3, s[10:11] sc0
.LBB544_3:
	s_or_b64 exec, exec, s[6:7]
	s_waitcnt vmcnt(0)
	v_readfirstlane_b32 s6, v2
	v_mov_b32_e32 v2, 0
	s_nop 0
	v_add_u32_e32 v1, s6, v1
	ds_write_b32 v2, v1
.LBB544_4:
	s_or_b64 exec, exec, s[2:3]
	s_load_dwordx8 s[56:63], s[0:1], 0x0
	s_load_dword s2, s[0:1], 0x40
	s_load_dwordx4 s[68:71], s[0:1], 0x48
	v_mov_b32_e32 v7, 0
	s_waitcnt lgkmcnt(0)
	s_lshl_b64 s[54:55], s[58:59], 2
	s_barrier
	ds_read_b32 v6, v7
	s_add_u32 s0, s56, s54
	s_addc_u32 s1, s57, s55
	s_add_u32 s6, s60, s54
	s_mul_i32 s3, s73, s2
	s_mul_hi_u32 s8, s72, s2
	s_addc_u32 s7, s61, s55
	s_add_i32 s3, s8, s3
	s_movk_i32 s8, 0x1700
	s_waitcnt lgkmcnt(0)
	v_mul_lo_u32 v2, v6, s8
	v_mov_b32_e32 v3, v7
	v_lshlrev_b64 v[10:11], 2, v[2:3]
	s_mul_i32 s2, s72, s2
	v_lshl_add_u64 v[2:3], s[6:7], 0, v[10:11]
	s_add_u32 s6, s68, -1
	v_readfirstlane_b32 s67, v6
	v_lshl_add_u64 v[6:7], s[2:3], 0, v[6:7]
	s_addc_u32 s7, s69, -1
	v_cmp_le_u64_e64 s[2:3], s[6:7], v[6:7]
	v_lshl_add_u64 v[4:5], s[0:1], 0, v[10:11]
	s_mov_b64 s[0:1], -1
	s_and_b64 vcc, exec, s[2:3]
	s_mul_i32 s33, s6, 0xffffe900
	s_barrier
	s_barrier
	s_cbranch_vccz .LBB544_75
; %bb.5:
	flat_load_dword v1, v[4:5]
	s_add_i32 s60, s33, s66
	v_cmp_gt_u32_e32 vcc, s60, v0
	s_waitcnt vmcnt(0) lgkmcnt(0)
	v_mov_b32_e32 v7, v1
	s_and_saveexec_b64 s[0:1], vcc
	s_cbranch_execz .LBB544_7
; %bb.6:
	v_lshlrev_b32_e32 v6, 2, v0
	v_mov_b32_e32 v7, 0
	v_lshl_add_u64 v[6:7], v[4:5], 0, v[6:7]
	flat_load_dword v7, v[6:7]
.LBB544_7:
	s_or_b64 exec, exec, s[0:1]
	v_or_b32_e32 v6, 0x100, v0
	v_cmp_gt_u32_e64 s[6:7], s60, v6
	v_mov_b32_e32 v8, v1
	s_and_saveexec_b64 s[0:1], s[6:7]
	s_cbranch_execz .LBB544_9
; %bb.8:
	v_lshlrev_b32_e32 v8, 2, v0
	v_mov_b32_e32 v9, 0
	v_lshl_add_u64 v[8:9], v[4:5], 0, v[8:9]
	flat_load_dword v8, v[8:9] offset:1024
.LBB544_9:
	s_or_b64 exec, exec, s[0:1]
	v_or_b32_e32 v6, 0x200, v0
	v_cmp_gt_u32_e64 s[8:9], s60, v6
	v_mov_b32_e32 v9, v1
	s_and_saveexec_b64 s[0:1], s[8:9]
	s_cbranch_execz .LBB544_11
; %bb.10:
	v_lshlrev_b32_e32 v12, 2, v0
	v_mov_b32_e32 v13, 0
	v_lshl_add_u64 v[12:13], v[4:5], 0, v[12:13]
	flat_load_dword v9, v[12:13] offset:2048
.LBB544_11:
	;; [unrolled: 12-line block ×3, first 2 shown]
	s_or_b64 exec, exec, s[0:1]
	v_or_b32_e32 v12, 0x400, v0
	v_cmp_gt_u32_e64 s[12:13], s60, v12
	v_mov_b32_e32 v32, v1
	s_and_saveexec_b64 s[0:1], s[12:13]
	s_cbranch_execz .LBB544_15
; %bb.14:
	v_lshlrev_b32_e32 v14, 2, v12
	v_mov_b32_e32 v15, 0
	v_lshl_add_u64 v[14:15], v[4:5], 0, v[14:15]
	flat_load_dword v32, v[14:15]
.LBB544_15:
	s_or_b64 exec, exec, s[0:1]
	v_or_b32_e32 v13, 0x500, v0
	v_cmp_gt_u32_e64 s[14:15], s60, v13
	v_mov_b32_e32 v33, v1
	s_and_saveexec_b64 s[0:1], s[14:15]
	s_cbranch_execz .LBB544_17
; %bb.16:
	v_lshlrev_b32_e32 v14, 2, v13
	v_mov_b32_e32 v15, 0
	v_lshl_add_u64 v[14:15], v[4:5], 0, v[14:15]
	flat_load_dword v33, v[14:15]
.LBB544_17:
	;; [unrolled: 12-line block ×18, first 2 shown]
	s_or_b64 exec, exec, s[0:1]
	v_or_b32_e32 v30, 0x1600, v0
	v_cmp_gt_u32_e64 s[50:51], s60, v30
	s_and_saveexec_b64 s[0:1], s[50:51]
	s_cbranch_execz .LBB544_51
; %bb.50:
	v_lshlrev_b32_e32 v50, 2, v30
	v_mov_b32_e32 v51, 0
	v_lshl_add_u64 v[50:51], v[4:5], 0, v[50:51]
	flat_load_dword v1, v[50:51]
.LBB544_51:
	s_or_b64 exec, exec, s[0:1]
	v_lshlrev_b32_e32 v6, 2, v0
	s_waitcnt vmcnt(0) lgkmcnt(0)
	ds_write2st64_b32 v6, v7, v8 offset1:4
	ds_write2st64_b32 v6, v9, v31 offset0:8 offset1:12
	ds_write2st64_b32 v6, v32, v33 offset0:16 offset1:20
	;; [unrolled: 1-line block ×10, first 2 shown]
	ds_write_b32 v6, v1 offset:22528
	s_waitcnt lgkmcnt(0)
	s_barrier
	flat_load_dword v1, v[4:5]
	s_movk_i32 s0, 0x58
	v_mad_u32_u24 v76, v0, s0, v6
	s_movk_i32 s0, 0xffa8
	v_mad_i32_i24 v7, v0, s0, v76
	s_movk_i32 s0, 0xff
	v_cmp_ne_u32_e64 s[0:1], s0, v0
	ds_read_b32 v78, v76
	ds_read2_b32 v[74:75], v76 offset0:1 offset1:2
	ds_read2_b32 v[72:73], v76 offset0:3 offset1:4
	;; [unrolled: 1-line block ×11, first 2 shown]
	s_waitcnt lgkmcnt(0)
	ds_write_b32 v7, v78 offset:24576
	s_waitcnt lgkmcnt(0)
	s_barrier
	s_and_saveexec_b64 s[56:57], s[0:1]
	s_cbranch_execz .LBB544_53
; %bb.52:
	s_waitcnt vmcnt(0)
	ds_read_b32 v1, v6 offset:24580
.LBB544_53:
	s_or_b64 exec, exec, s[56:57]
	v_mov_b32_e32 v7, 0
	s_waitcnt lgkmcnt(0)
	s_barrier
	s_waitcnt lgkmcnt(0)
                                        ; implicit-def: $vgpr31
	s_and_saveexec_b64 s[0:1], vcc
	s_cbranch_execz .LBB544_76
; %bb.54:
	v_lshl_add_u64 v[32:33], v[2:3], 0, v[6:7]
	flat_load_dword v31, v[32:33]
	s_or_b64 exec, exec, s[0:1]
                                        ; implicit-def: $vgpr32
	s_and_saveexec_b64 s[0:1], s[6:7]
	s_cbranch_execnz .LBB544_77
.LBB544_55:
	s_or_b64 exec, exec, s[0:1]
                                        ; implicit-def: $vgpr33
	s_and_saveexec_b64 s[0:1], s[8:9]
	s_cbranch_execz .LBB544_78
.LBB544_56:
	v_mov_b32_e32 v7, 0
	v_lshl_add_u64 v[34:35], v[2:3], 0, v[6:7]
	flat_load_dword v33, v[34:35] offset:2048
	s_or_b64 exec, exec, s[0:1]
                                        ; implicit-def: $vgpr7
	s_and_saveexec_b64 s[0:1], s[10:11]
	s_cbranch_execnz .LBB544_79
.LBB544_57:
	s_or_b64 exec, exec, s[0:1]
                                        ; implicit-def: $vgpr34
	s_and_saveexec_b64 s[0:1], s[12:13]
	s_cbranch_execz .LBB544_80
.LBB544_58:
	v_lshlrev_b32_e32 v34, 2, v12
	v_mov_b32_e32 v35, 0
	v_lshl_add_u64 v[34:35], v[2:3], 0, v[34:35]
	flat_load_dword v34, v[34:35]
	s_or_b64 exec, exec, s[0:1]
                                        ; implicit-def: $vgpr12
	s_and_saveexec_b64 s[0:1], s[14:15]
	s_cbranch_execnz .LBB544_81
.LBB544_59:
	s_or_b64 exec, exec, s[0:1]
                                        ; implicit-def: $vgpr13
	s_and_saveexec_b64 s[0:1], s[16:17]
	s_cbranch_execz .LBB544_82
.LBB544_60:
	v_lshlrev_b32_e32 v36, 2, v14
	v_mov_b32_e32 v37, 0
	v_lshl_add_u64 v[36:37], v[2:3], 0, v[36:37]
	flat_load_dword v13, v[36:37]
	s_or_b64 exec, exec, s[0:1]
                                        ; implicit-def: $vgpr14
	s_and_saveexec_b64 s[0:1], s[18:19]
	s_cbranch_execnz .LBB544_83
.LBB544_61:
	s_or_b64 exec, exec, s[0:1]
                                        ; implicit-def: $vgpr15
	s_and_saveexec_b64 s[0:1], s[20:21]
	s_cbranch_execz .LBB544_84
.LBB544_62:
	v_lshlrev_b32_e32 v36, 2, v16
	v_mov_b32_e32 v37, 0
	v_lshl_add_u64 v[36:37], v[2:3], 0, v[36:37]
	flat_load_dword v15, v[36:37]
	s_or_b64 exec, exec, s[0:1]
                                        ; implicit-def: $vgpr16
	s_and_saveexec_b64 s[0:1], s[22:23]
	s_cbranch_execnz .LBB544_85
.LBB544_63:
	s_or_b64 exec, exec, s[0:1]
                                        ; implicit-def: $vgpr17
	s_and_saveexec_b64 s[0:1], s[24:25]
	s_cbranch_execz .LBB544_86
.LBB544_64:
	v_lshlrev_b32_e32 v36, 2, v18
	v_mov_b32_e32 v37, 0
	v_lshl_add_u64 v[36:37], v[2:3], 0, v[36:37]
	flat_load_dword v17, v[36:37]
	s_or_b64 exec, exec, s[0:1]
                                        ; implicit-def: $vgpr18
	s_and_saveexec_b64 s[0:1], s[26:27]
	s_cbranch_execnz .LBB544_87
.LBB544_65:
	s_or_b64 exec, exec, s[0:1]
                                        ; implicit-def: $vgpr19
	s_and_saveexec_b64 s[0:1], s[28:29]
	s_cbranch_execz .LBB544_88
.LBB544_66:
	v_lshlrev_b32_e32 v36, 2, v20
	v_mov_b32_e32 v37, 0
	v_lshl_add_u64 v[36:37], v[2:3], 0, v[36:37]
	flat_load_dword v19, v[36:37]
	s_or_b64 exec, exec, s[0:1]
                                        ; implicit-def: $vgpr20
	s_and_saveexec_b64 s[0:1], s[30:31]
	s_cbranch_execnz .LBB544_89
.LBB544_67:
	s_or_b64 exec, exec, s[0:1]
                                        ; implicit-def: $vgpr21
	s_and_saveexec_b64 s[0:1], s[34:35]
	s_cbranch_execz .LBB544_90
.LBB544_68:
	v_lshlrev_b32_e32 v36, 2, v22
	v_mov_b32_e32 v37, 0
	v_lshl_add_u64 v[36:37], v[2:3], 0, v[36:37]
	flat_load_dword v21, v[36:37]
	s_or_b64 exec, exec, s[0:1]
                                        ; implicit-def: $vgpr22
	s_and_saveexec_b64 s[0:1], s[36:37]
	s_cbranch_execnz .LBB544_91
.LBB544_69:
	s_or_b64 exec, exec, s[0:1]
                                        ; implicit-def: $vgpr23
	s_and_saveexec_b64 s[0:1], s[38:39]
	s_cbranch_execz .LBB544_92
.LBB544_70:
	v_lshlrev_b32_e32 v36, 2, v24
	v_mov_b32_e32 v37, 0
	v_lshl_add_u64 v[36:37], v[2:3], 0, v[36:37]
	flat_load_dword v23, v[36:37]
	s_or_b64 exec, exec, s[0:1]
                                        ; implicit-def: $vgpr24
	s_and_saveexec_b64 s[0:1], s[40:41]
	s_cbranch_execnz .LBB544_93
.LBB544_71:
	s_or_b64 exec, exec, s[0:1]
                                        ; implicit-def: $vgpr25
	s_and_saveexec_b64 s[0:1], s[42:43]
	s_cbranch_execz .LBB544_94
.LBB544_72:
	v_lshlrev_b32_e32 v36, 2, v26
	v_mov_b32_e32 v37, 0
	v_lshl_add_u64 v[36:37], v[2:3], 0, v[36:37]
	flat_load_dword v25, v[36:37]
	s_or_b64 exec, exec, s[0:1]
                                        ; implicit-def: $vgpr26
	s_and_saveexec_b64 s[0:1], s[44:45]
	s_cbranch_execnz .LBB544_95
.LBB544_73:
	s_or_b64 exec, exec, s[0:1]
                                        ; implicit-def: $vgpr27
	s_and_saveexec_b64 s[0:1], s[46:47]
	s_cbranch_execz .LBB544_96
.LBB544_74:
	v_lshlrev_b32_e32 v36, 2, v28
	v_mov_b32_e32 v37, 0
	v_lshl_add_u64 v[36:37], v[2:3], 0, v[36:37]
	flat_load_dword v27, v[36:37]
	s_or_b64 exec, exec, s[0:1]
                                        ; implicit-def: $vgpr28
	s_and_saveexec_b64 s[0:1], s[48:49]
	s_cbranch_execz .LBB544_98
	s_branch .LBB544_97
.LBB544_75:
	s_mov_b64 s[10:11], 0
                                        ; implicit-def: $sgpr8_sgpr9
                                        ; implicit-def: $vgpr6
                                        ; implicit-def: $vgpr12_vgpr13
                                        ; implicit-def: $vgpr14_vgpr15
                                        ; implicit-def: $vgpr16_vgpr17
                                        ; implicit-def: $vgpr18_vgpr19
                                        ; implicit-def: $vgpr20_vgpr21
                                        ; implicit-def: $vgpr22_vgpr23
                                        ; implicit-def: $vgpr24_vgpr25
                                        ; implicit-def: $vgpr26_vgpr27
                                        ; implicit-def: $vgpr28_vgpr29
                                        ; implicit-def: $vgpr30_vgpr31
                                        ; implicit-def: $vgpr32_vgpr33
                                        ; implicit-def: $vgpr34_vgpr35
                                        ; implicit-def: $vgpr36_vgpr37
                                        ; implicit-def: $vgpr38_vgpr39
                                        ; implicit-def: $vgpr40_vgpr41
                                        ; implicit-def: $vgpr42_vgpr43
                                        ; implicit-def: $vgpr44_vgpr45
                                        ; implicit-def: $vgpr46_vgpr47
                                        ; implicit-def: $vgpr48_vgpr49
                                        ; implicit-def: $vgpr50_vgpr51
                                        ; implicit-def: $vgpr52_vgpr53
                                        ; implicit-def: $vgpr54_vgpr55
                                        ; implicit-def: $sgpr6_sgpr7
	s_and_b64 vcc, exec, s[0:1]
	v_lshlrev_b32_e32 v56, 2, v0
	s_cbranch_vccz .LBB544_152
	s_branch .LBB544_147
.LBB544_76:
	s_or_b64 exec, exec, s[0:1]
                                        ; implicit-def: $vgpr32
	s_and_saveexec_b64 s[0:1], s[6:7]
	s_cbranch_execz .LBB544_55
.LBB544_77:
	v_mov_b32_e32 v7, 0
	v_lshl_add_u64 v[32:33], v[2:3], 0, v[6:7]
	flat_load_dword v32, v[32:33] offset:1024
	s_or_b64 exec, exec, s[0:1]
                                        ; implicit-def: $vgpr33
	s_and_saveexec_b64 s[0:1], s[8:9]
	s_cbranch_execnz .LBB544_56
.LBB544_78:
	s_or_b64 exec, exec, s[0:1]
                                        ; implicit-def: $vgpr7
	s_and_saveexec_b64 s[0:1], s[10:11]
	s_cbranch_execz .LBB544_57
.LBB544_79:
	v_mov_b32_e32 v7, 0
	v_lshl_add_u64 v[34:35], v[2:3], 0, v[6:7]
	flat_load_dword v7, v[34:35] offset:3072
	s_or_b64 exec, exec, s[0:1]
                                        ; implicit-def: $vgpr34
	s_and_saveexec_b64 s[0:1], s[12:13]
	s_cbranch_execnz .LBB544_58
.LBB544_80:
	s_or_b64 exec, exec, s[0:1]
                                        ; implicit-def: $vgpr12
	s_and_saveexec_b64 s[0:1], s[14:15]
	s_cbranch_execz .LBB544_59
.LBB544_81:
	v_lshlrev_b32_e32 v12, 2, v13
	v_mov_b32_e32 v13, 0
	v_lshl_add_u64 v[12:13], v[2:3], 0, v[12:13]
	flat_load_dword v12, v[12:13]
	s_or_b64 exec, exec, s[0:1]
                                        ; implicit-def: $vgpr13
	s_and_saveexec_b64 s[0:1], s[16:17]
	s_cbranch_execnz .LBB544_60
.LBB544_82:
	s_or_b64 exec, exec, s[0:1]
                                        ; implicit-def: $vgpr14
	s_and_saveexec_b64 s[0:1], s[18:19]
	s_cbranch_execz .LBB544_61
.LBB544_83:
	v_lshlrev_b32_e32 v14, 2, v15
	v_mov_b32_e32 v15, 0
	v_lshl_add_u64 v[14:15], v[2:3], 0, v[14:15]
	flat_load_dword v14, v[14:15]
	s_or_b64 exec, exec, s[0:1]
                                        ; implicit-def: $vgpr15
	s_and_saveexec_b64 s[0:1], s[20:21]
	s_cbranch_execnz .LBB544_62
.LBB544_84:
	s_or_b64 exec, exec, s[0:1]
                                        ; implicit-def: $vgpr16
	s_and_saveexec_b64 s[0:1], s[22:23]
	s_cbranch_execz .LBB544_63
.LBB544_85:
	v_lshlrev_b32_e32 v16, 2, v17
	v_mov_b32_e32 v17, 0
	v_lshl_add_u64 v[16:17], v[2:3], 0, v[16:17]
	flat_load_dword v16, v[16:17]
	s_or_b64 exec, exec, s[0:1]
                                        ; implicit-def: $vgpr17
	s_and_saveexec_b64 s[0:1], s[24:25]
	s_cbranch_execnz .LBB544_64
.LBB544_86:
	s_or_b64 exec, exec, s[0:1]
                                        ; implicit-def: $vgpr18
	s_and_saveexec_b64 s[0:1], s[26:27]
	s_cbranch_execz .LBB544_65
.LBB544_87:
	v_lshlrev_b32_e32 v18, 2, v19
	v_mov_b32_e32 v19, 0
	v_lshl_add_u64 v[18:19], v[2:3], 0, v[18:19]
	flat_load_dword v18, v[18:19]
	s_or_b64 exec, exec, s[0:1]
                                        ; implicit-def: $vgpr19
	s_and_saveexec_b64 s[0:1], s[28:29]
	s_cbranch_execnz .LBB544_66
.LBB544_88:
	s_or_b64 exec, exec, s[0:1]
                                        ; implicit-def: $vgpr20
	s_and_saveexec_b64 s[0:1], s[30:31]
	s_cbranch_execz .LBB544_67
.LBB544_89:
	v_lshlrev_b32_e32 v20, 2, v21
	v_mov_b32_e32 v21, 0
	v_lshl_add_u64 v[20:21], v[2:3], 0, v[20:21]
	flat_load_dword v20, v[20:21]
	s_or_b64 exec, exec, s[0:1]
                                        ; implicit-def: $vgpr21
	s_and_saveexec_b64 s[0:1], s[34:35]
	s_cbranch_execnz .LBB544_68
.LBB544_90:
	s_or_b64 exec, exec, s[0:1]
                                        ; implicit-def: $vgpr22
	s_and_saveexec_b64 s[0:1], s[36:37]
	s_cbranch_execz .LBB544_69
.LBB544_91:
	v_lshlrev_b32_e32 v22, 2, v23
	v_mov_b32_e32 v23, 0
	v_lshl_add_u64 v[22:23], v[2:3], 0, v[22:23]
	flat_load_dword v22, v[22:23]
	s_or_b64 exec, exec, s[0:1]
                                        ; implicit-def: $vgpr23
	s_and_saveexec_b64 s[0:1], s[38:39]
	s_cbranch_execnz .LBB544_70
.LBB544_92:
	s_or_b64 exec, exec, s[0:1]
                                        ; implicit-def: $vgpr24
	s_and_saveexec_b64 s[0:1], s[40:41]
	s_cbranch_execz .LBB544_71
.LBB544_93:
	v_lshlrev_b32_e32 v24, 2, v25
	v_mov_b32_e32 v25, 0
	v_lshl_add_u64 v[24:25], v[2:3], 0, v[24:25]
	flat_load_dword v24, v[24:25]
	s_or_b64 exec, exec, s[0:1]
                                        ; implicit-def: $vgpr25
	s_and_saveexec_b64 s[0:1], s[42:43]
	s_cbranch_execnz .LBB544_72
.LBB544_94:
	s_or_b64 exec, exec, s[0:1]
                                        ; implicit-def: $vgpr26
	s_and_saveexec_b64 s[0:1], s[44:45]
	s_cbranch_execz .LBB544_73
.LBB544_95:
	v_lshlrev_b32_e32 v26, 2, v27
	v_mov_b32_e32 v27, 0
	v_lshl_add_u64 v[26:27], v[2:3], 0, v[26:27]
	flat_load_dword v26, v[26:27]
	s_or_b64 exec, exec, s[0:1]
                                        ; implicit-def: $vgpr27
	s_and_saveexec_b64 s[0:1], s[46:47]
	s_cbranch_execnz .LBB544_74
.LBB544_96:
	s_or_b64 exec, exec, s[0:1]
                                        ; implicit-def: $vgpr28
	s_and_saveexec_b64 s[0:1], s[48:49]
	s_cbranch_execz .LBB544_98
.LBB544_97:
	v_lshlrev_b32_e32 v28, 2, v29
	v_mov_b32_e32 v29, 0
	v_lshl_add_u64 v[28:29], v[2:3], 0, v[28:29]
	flat_load_dword v28, v[28:29]
.LBB544_98:
	s_or_b64 exec, exec, s[0:1]
	v_mul_u32_u24_e32 v77, 23, v0
                                        ; implicit-def: $vgpr29
	s_and_saveexec_b64 s[0:1], s[50:51]
	s_cbranch_execz .LBB544_100
; %bb.99:
	v_lshlrev_b32_e32 v36, 2, v30
	v_mov_b32_e32 v37, 0
	v_lshl_add_u64 v[36:37], v[2:3], 0, v[36:37]
	flat_load_dword v29, v[36:37]
.LBB544_100:
	s_or_b64 exec, exec, s[0:1]
	s_waitcnt vmcnt(0) lgkmcnt(0)
	ds_write2st64_b32 v6, v31, v32 offset1:4
	ds_write2st64_b32 v6, v33, v7 offset0:8 offset1:12
	ds_write2st64_b32 v6, v34, v12 offset0:16 offset1:20
	ds_write2st64_b32 v6, v13, v14 offset0:24 offset1:28
	ds_write2st64_b32 v6, v15, v16 offset0:32 offset1:36
	ds_write2st64_b32 v6, v17, v18 offset0:40 offset1:44
	ds_write2st64_b32 v6, v19, v20 offset0:48 offset1:52
	ds_write2st64_b32 v6, v21, v22 offset0:56 offset1:60
	ds_write2st64_b32 v6, v23, v24 offset0:64 offset1:68
	ds_write2st64_b32 v6, v25, v26 offset0:72 offset1:76
	ds_write2st64_b32 v6, v27, v28 offset0:80 offset1:84
	ds_write_b32 v6, v29 offset:22528
	v_mov_b64_e32 v[12:13], 0
	v_cmp_gt_u32_e32 vcc, s60, v77
	s_mov_b64 s[10:11], 0
	s_mov_b64 s[0:1], 0
	v_mov_b64_e32 v[14:15], v[12:13]
	v_mov_b64_e32 v[16:17], v[12:13]
	;; [unrolled: 1-line block ×21, first 2 shown]
	s_waitcnt lgkmcnt(0)
	s_barrier
	s_waitcnt lgkmcnt(0)
                                        ; implicit-def: $sgpr8_sgpr9
                                        ; implicit-def: $vgpr6
	s_and_saveexec_b64 s[6:7], vcc
	s_cbranch_execz .LBB544_146
; %bb.101:
	ds_read_b32 v6, v76
	v_mov_b32_e32 v12, s74
	v_cmp_eq_u32_e32 vcc, v78, v74
	v_add_u32_e32 v7, 1, v77
	v_mov_b64_e32 v[14:15], 0
	s_waitcnt lgkmcnt(0)
	v_cndmask_b32_e32 v12, v12, v6, vcc
	v_cmp_ne_u32_e32 vcc, v78, v74
	s_mov_b64 s[12:13], 0
	v_mov_b64_e32 v[16:17], v[14:15]
	v_cndmask_b32_e64 v13, 0, 1, vcc
	v_cmp_gt_u32_e32 vcc, s60, v7
	v_mov_b64_e32 v[18:19], v[14:15]
	v_mov_b64_e32 v[20:21], v[14:15]
	;; [unrolled: 1-line block ×19, first 2 shown]
                                        ; implicit-def: $sgpr14_sgpr15
                                        ; implicit-def: $vgpr6
	s_and_saveexec_b64 s[8:9], vcc
	s_cbranch_execz .LBB544_145
; %bb.102:
	ds_read2_b32 v[6:7], v76 offset0:1 offset1:2
	v_mov_b32_e32 v14, s74
	v_cmp_eq_u32_e32 vcc, v74, v75
	v_add_u32_e32 v16, 2, v77
	s_mov_b64 s[14:15], 0
	s_waitcnt lgkmcnt(0)
	v_cndmask_b32_e32 v14, v14, v6, vcc
	v_cmp_ne_u32_e32 vcc, v74, v75
                                        ; implicit-def: $sgpr16_sgpr17
                                        ; implicit-def: $vgpr6
	s_nop 1
	v_cndmask_b32_e64 v15, 0, 1, vcc
	v_cmp_gt_u32_e32 vcc, s60, v16
	v_mov_b64_e32 v[16:17], 0
	v_mov_b64_e32 v[18:19], v[16:17]
	;; [unrolled: 1-line block ×20, first 2 shown]
	s_and_saveexec_b64 s[10:11], vcc
	s_cbranch_execz .LBB544_144
; %bb.103:
	v_mov_b32_e32 v16, s74
	v_cmp_eq_u32_e32 vcc, v75, v72
	v_add_u32_e32 v6, 3, v77
	v_mov_b64_e32 v[18:19], 0
	v_cndmask_b32_e32 v16, v16, v7, vcc
	v_cmp_ne_u32_e32 vcc, v75, v72
	s_mov_b64 s[16:17], 0
	v_mov_b64_e32 v[20:21], v[18:19]
	v_cndmask_b32_e64 v17, 0, 1, vcc
	v_cmp_gt_u32_e32 vcc, s60, v6
	v_mov_b64_e32 v[22:23], v[18:19]
	v_mov_b64_e32 v[24:25], v[18:19]
	v_mov_b64_e32 v[26:27], v[18:19]
	v_mov_b64_e32 v[28:29], v[18:19]
	v_mov_b64_e32 v[30:31], v[18:19]
	v_mov_b64_e32 v[32:33], v[18:19]
	v_mov_b64_e32 v[34:35], v[18:19]
	v_mov_b64_e32 v[36:37], v[18:19]
	v_mov_b64_e32 v[38:39], v[18:19]
	v_mov_b64_e32 v[40:41], v[18:19]
	v_mov_b64_e32 v[42:43], v[18:19]
	v_mov_b64_e32 v[44:45], v[18:19]
	v_mov_b64_e32 v[46:47], v[18:19]
	v_mov_b64_e32 v[48:49], v[18:19]
	v_mov_b64_e32 v[50:51], v[18:19]
	v_mov_b64_e32 v[52:53], v[18:19]
	v_mov_b64_e32 v[54:55], v[18:19]
                                        ; implicit-def: $sgpr18_sgpr19
                                        ; implicit-def: $vgpr6
	s_and_saveexec_b64 s[12:13], vcc
	s_cbranch_execz .LBB544_143
; %bb.104:
	ds_read2_b32 v[6:7], v76 offset0:3 offset1:4
	v_mov_b32_e32 v18, s74
	v_cmp_eq_u32_e32 vcc, v72, v73
	v_add_u32_e32 v20, 4, v77
	s_mov_b64 s[18:19], 0
	s_waitcnt lgkmcnt(0)
	v_cndmask_b32_e32 v18, v18, v6, vcc
	v_cmp_ne_u32_e32 vcc, v72, v73
                                        ; implicit-def: $sgpr20_sgpr21
                                        ; implicit-def: $vgpr6
	s_nop 1
	v_cndmask_b32_e64 v19, 0, 1, vcc
	v_cmp_gt_u32_e32 vcc, s60, v20
	v_mov_b64_e32 v[20:21], 0
	v_mov_b64_e32 v[22:23], v[20:21]
	v_mov_b64_e32 v[24:25], v[20:21]
	v_mov_b64_e32 v[26:27], v[20:21]
	v_mov_b64_e32 v[28:29], v[20:21]
	v_mov_b64_e32 v[30:31], v[20:21]
	v_mov_b64_e32 v[32:33], v[20:21]
	v_mov_b64_e32 v[34:35], v[20:21]
	v_mov_b64_e32 v[36:37], v[20:21]
	v_mov_b64_e32 v[38:39], v[20:21]
	v_mov_b64_e32 v[40:41], v[20:21]
	v_mov_b64_e32 v[42:43], v[20:21]
	v_mov_b64_e32 v[44:45], v[20:21]
	v_mov_b64_e32 v[46:47], v[20:21]
	v_mov_b64_e32 v[48:49], v[20:21]
	v_mov_b64_e32 v[50:51], v[20:21]
	v_mov_b64_e32 v[52:53], v[20:21]
	v_mov_b64_e32 v[54:55], v[20:21]
	s_and_saveexec_b64 s[14:15], vcc
	s_cbranch_execz .LBB544_142
; %bb.105:
	v_mov_b32_e32 v20, s74
	v_cmp_eq_u32_e32 vcc, v73, v70
	v_add_u32_e32 v6, 5, v77
	v_mov_b64_e32 v[22:23], 0
	v_cndmask_b32_e32 v20, v20, v7, vcc
	v_cmp_ne_u32_e32 vcc, v73, v70
	s_mov_b64 s[20:21], 0
	v_mov_b64_e32 v[24:25], v[22:23]
	v_cndmask_b32_e64 v21, 0, 1, vcc
	v_cmp_gt_u32_e32 vcc, s60, v6
	v_mov_b64_e32 v[26:27], v[22:23]
	v_mov_b64_e32 v[28:29], v[22:23]
	;; [unrolled: 1-line block ×15, first 2 shown]
                                        ; implicit-def: $sgpr22_sgpr23
                                        ; implicit-def: $vgpr6
	s_and_saveexec_b64 s[16:17], vcc
	s_cbranch_execz .LBB544_141
; %bb.106:
	ds_read2_b32 v[6:7], v76 offset0:5 offset1:6
	v_mov_b32_e32 v22, s74
	v_cmp_eq_u32_e32 vcc, v70, v71
	v_add_u32_e32 v24, 6, v77
	s_mov_b64 s[22:23], 0
	s_waitcnt lgkmcnt(0)
	v_cndmask_b32_e32 v22, v22, v6, vcc
	v_cmp_ne_u32_e32 vcc, v70, v71
                                        ; implicit-def: $sgpr24_sgpr25
                                        ; implicit-def: $vgpr6
	s_nop 1
	v_cndmask_b32_e64 v23, 0, 1, vcc
	v_cmp_gt_u32_e32 vcc, s60, v24
	v_mov_b64_e32 v[24:25], 0
	v_mov_b64_e32 v[26:27], v[24:25]
	;; [unrolled: 1-line block ×16, first 2 shown]
	s_and_saveexec_b64 s[18:19], vcc
	s_cbranch_execz .LBB544_140
; %bb.107:
	v_mov_b32_e32 v24, s74
	v_cmp_eq_u32_e32 vcc, v71, v68
	v_add_u32_e32 v6, 7, v77
	v_mov_b64_e32 v[26:27], 0
	v_cndmask_b32_e32 v24, v24, v7, vcc
	v_cmp_ne_u32_e32 vcc, v71, v68
	s_mov_b64 s[24:25], 0
	v_mov_b64_e32 v[28:29], v[26:27]
	v_cndmask_b32_e64 v25, 0, 1, vcc
	v_cmp_gt_u32_e32 vcc, s60, v6
	v_mov_b64_e32 v[30:31], v[26:27]
	v_mov_b64_e32 v[32:33], v[26:27]
	;; [unrolled: 1-line block ×13, first 2 shown]
                                        ; implicit-def: $sgpr26_sgpr27
                                        ; implicit-def: $vgpr6
	s_and_saveexec_b64 s[20:21], vcc
	s_cbranch_execz .LBB544_139
; %bb.108:
	ds_read2_b32 v[6:7], v76 offset0:7 offset1:8
	v_mov_b32_e32 v26, s74
	v_cmp_eq_u32_e32 vcc, v68, v69
	v_add_u32_e32 v28, 8, v77
	s_mov_b64 s[26:27], 0
	s_waitcnt lgkmcnt(0)
	v_cndmask_b32_e32 v26, v26, v6, vcc
	v_cmp_ne_u32_e32 vcc, v68, v69
                                        ; implicit-def: $sgpr28_sgpr29
                                        ; implicit-def: $vgpr6
	s_nop 1
	v_cndmask_b32_e64 v27, 0, 1, vcc
	v_cmp_gt_u32_e32 vcc, s60, v28
	v_mov_b64_e32 v[28:29], 0
	v_mov_b64_e32 v[30:31], v[28:29]
	;; [unrolled: 1-line block ×14, first 2 shown]
	s_and_saveexec_b64 s[22:23], vcc
	s_cbranch_execz .LBB544_138
; %bb.109:
	v_mov_b32_e32 v28, s74
	v_cmp_eq_u32_e32 vcc, v69, v66
	v_add_u32_e32 v6, 9, v77
	v_mov_b64_e32 v[30:31], 0
	v_cndmask_b32_e32 v28, v28, v7, vcc
	v_cmp_ne_u32_e32 vcc, v69, v66
	s_mov_b64 s[28:29], 0
	v_mov_b64_e32 v[32:33], v[30:31]
	v_cndmask_b32_e64 v29, 0, 1, vcc
	v_cmp_gt_u32_e32 vcc, s60, v6
	v_mov_b64_e32 v[34:35], v[30:31]
	v_mov_b64_e32 v[36:37], v[30:31]
	;; [unrolled: 1-line block ×11, first 2 shown]
                                        ; implicit-def: $sgpr30_sgpr31
                                        ; implicit-def: $vgpr6
	s_and_saveexec_b64 s[24:25], vcc
	s_cbranch_execz .LBB544_137
; %bb.110:
	ds_read2_b32 v[6:7], v76 offset0:9 offset1:10
	v_mov_b32_e32 v30, s74
	v_cmp_eq_u32_e32 vcc, v66, v67
	v_add_u32_e32 v32, 10, v77
	s_mov_b64 s[30:31], 0
	s_waitcnt lgkmcnt(0)
	v_cndmask_b32_e32 v30, v30, v6, vcc
	v_cmp_ne_u32_e32 vcc, v66, v67
                                        ; implicit-def: $sgpr34_sgpr35
                                        ; implicit-def: $vgpr6
	s_nop 1
	v_cndmask_b32_e64 v31, 0, 1, vcc
	v_cmp_gt_u32_e32 vcc, s60, v32
	v_mov_b64_e32 v[32:33], 0
	v_mov_b64_e32 v[34:35], v[32:33]
	;; [unrolled: 1-line block ×12, first 2 shown]
	s_and_saveexec_b64 s[26:27], vcc
	s_cbranch_execz .LBB544_136
; %bb.111:
	v_mov_b32_e32 v32, s74
	v_cmp_eq_u32_e32 vcc, v67, v64
	v_add_u32_e32 v6, 11, v77
	v_mov_b64_e32 v[34:35], 0
	v_cndmask_b32_e32 v32, v32, v7, vcc
	v_cmp_ne_u32_e32 vcc, v67, v64
	s_mov_b64 s[34:35], 0
	v_mov_b64_e32 v[36:37], v[34:35]
	v_cndmask_b32_e64 v33, 0, 1, vcc
	v_cmp_gt_u32_e32 vcc, s60, v6
	v_mov_b64_e32 v[38:39], v[34:35]
	v_mov_b64_e32 v[40:41], v[34:35]
	;; [unrolled: 1-line block ×9, first 2 shown]
                                        ; implicit-def: $sgpr36_sgpr37
                                        ; implicit-def: $vgpr6
	s_and_saveexec_b64 s[28:29], vcc
	s_cbranch_execz .LBB544_135
; %bb.112:
	ds_read2_b32 v[6:7], v76 offset0:11 offset1:12
	v_mov_b32_e32 v34, s74
	v_cmp_eq_u32_e32 vcc, v64, v65
	v_add_u32_e32 v36, 12, v77
	s_mov_b64 s[36:37], 0
	s_waitcnt lgkmcnt(0)
	v_cndmask_b32_e32 v34, v34, v6, vcc
	v_cmp_ne_u32_e32 vcc, v64, v65
                                        ; implicit-def: $sgpr38_sgpr39
                                        ; implicit-def: $vgpr6
	s_nop 1
	v_cndmask_b32_e64 v35, 0, 1, vcc
	v_cmp_gt_u32_e32 vcc, s60, v36
	v_mov_b64_e32 v[36:37], 0
	v_mov_b64_e32 v[38:39], v[36:37]
	;; [unrolled: 1-line block ×10, first 2 shown]
	s_and_saveexec_b64 s[30:31], vcc
	s_cbranch_execz .LBB544_134
; %bb.113:
	v_mov_b32_e32 v36, s74
	v_cmp_eq_u32_e32 vcc, v65, v62
	v_add_u32_e32 v6, 13, v77
	v_mov_b64_e32 v[38:39], 0
	v_cndmask_b32_e32 v36, v36, v7, vcc
	v_cmp_ne_u32_e32 vcc, v65, v62
	s_mov_b64 s[38:39], 0
	v_mov_b64_e32 v[40:41], v[38:39]
	v_cndmask_b32_e64 v37, 0, 1, vcc
	v_cmp_gt_u32_e32 vcc, s60, v6
	v_mov_b64_e32 v[42:43], v[38:39]
	v_mov_b64_e32 v[44:45], v[38:39]
	;; [unrolled: 1-line block ×7, first 2 shown]
                                        ; implicit-def: $sgpr40_sgpr41
                                        ; implicit-def: $vgpr6
	s_and_saveexec_b64 s[34:35], vcc
	s_cbranch_execz .LBB544_133
; %bb.114:
	ds_read2_b32 v[6:7], v76 offset0:13 offset1:14
	v_mov_b32_e32 v38, s74
	v_cmp_eq_u32_e32 vcc, v62, v63
	v_add_u32_e32 v40, 14, v77
	s_mov_b64 s[40:41], 0
	s_waitcnt lgkmcnt(0)
	v_cndmask_b32_e32 v38, v38, v6, vcc
	v_cmp_ne_u32_e32 vcc, v62, v63
                                        ; implicit-def: $sgpr42_sgpr43
                                        ; implicit-def: $vgpr6
	s_nop 1
	v_cndmask_b32_e64 v39, 0, 1, vcc
	v_cmp_gt_u32_e32 vcc, s60, v40
	v_mov_b64_e32 v[40:41], 0
	v_mov_b64_e32 v[42:43], v[40:41]
	;; [unrolled: 1-line block ×8, first 2 shown]
	s_and_saveexec_b64 s[36:37], vcc
	s_cbranch_execz .LBB544_132
; %bb.115:
	v_mov_b32_e32 v40, s74
	v_cmp_eq_u32_e32 vcc, v63, v60
	v_add_u32_e32 v6, 15, v77
	v_mov_b64_e32 v[42:43], 0
	v_cndmask_b32_e32 v40, v40, v7, vcc
	v_cmp_ne_u32_e32 vcc, v63, v60
	s_mov_b64 s[42:43], 0
	v_mov_b64_e32 v[44:45], v[42:43]
	v_cndmask_b32_e64 v41, 0, 1, vcc
	v_cmp_gt_u32_e32 vcc, s60, v6
	v_mov_b64_e32 v[46:47], v[42:43]
	v_mov_b64_e32 v[48:49], v[42:43]
	;; [unrolled: 1-line block ×5, first 2 shown]
                                        ; implicit-def: $sgpr44_sgpr45
                                        ; implicit-def: $vgpr6
	s_and_saveexec_b64 s[38:39], vcc
	s_cbranch_execz .LBB544_131
; %bb.116:
	ds_read2_b32 v[6:7], v76 offset0:15 offset1:16
	v_mov_b32_e32 v42, s74
	v_cmp_eq_u32_e32 vcc, v60, v61
	v_add_u32_e32 v44, 16, v77
	s_mov_b64 s[44:45], 0
	s_waitcnt lgkmcnt(0)
	v_cndmask_b32_e32 v42, v42, v6, vcc
	v_cmp_ne_u32_e32 vcc, v60, v61
                                        ; implicit-def: $sgpr46_sgpr47
                                        ; implicit-def: $vgpr6
	s_nop 1
	v_cndmask_b32_e64 v43, 0, 1, vcc
	v_cmp_gt_u32_e32 vcc, s60, v44
	v_mov_b64_e32 v[44:45], 0
	v_mov_b64_e32 v[46:47], v[44:45]
	;; [unrolled: 1-line block ×6, first 2 shown]
	s_and_saveexec_b64 s[40:41], vcc
	s_cbranch_execz .LBB544_130
; %bb.117:
	v_mov_b32_e32 v44, s74
	v_cmp_eq_u32_e32 vcc, v61, v58
	v_add_u32_e32 v6, 17, v77
	v_mov_b64_e32 v[46:47], 0
	v_cndmask_b32_e32 v44, v44, v7, vcc
	v_cmp_ne_u32_e32 vcc, v61, v58
	s_mov_b64 s[46:47], 0
	v_mov_b64_e32 v[48:49], v[46:47]
	v_cndmask_b32_e64 v45, 0, 1, vcc
	v_cmp_gt_u32_e32 vcc, s60, v6
	v_mov_b64_e32 v[50:51], v[46:47]
	v_mov_b64_e32 v[52:53], v[46:47]
	;; [unrolled: 1-line block ×3, first 2 shown]
                                        ; implicit-def: $sgpr48_sgpr49
                                        ; implicit-def: $vgpr6
	s_and_saveexec_b64 s[42:43], vcc
	s_cbranch_execz .LBB544_129
; %bb.118:
	ds_read2_b32 v[6:7], v76 offset0:17 offset1:18
	v_mov_b32_e32 v46, s74
	v_cmp_eq_u32_e32 vcc, v58, v59
	v_add_u32_e32 v48, 18, v77
	s_mov_b64 s[48:49], 0
	s_waitcnt lgkmcnt(0)
	v_cndmask_b32_e32 v46, v46, v6, vcc
	v_cmp_ne_u32_e32 vcc, v58, v59
                                        ; implicit-def: $sgpr50_sgpr51
                                        ; implicit-def: $vgpr6
	s_nop 1
	v_cndmask_b32_e64 v47, 0, 1, vcc
	v_cmp_gt_u32_e32 vcc, s60, v48
	v_mov_b64_e32 v[48:49], 0
	v_mov_b64_e32 v[50:51], v[48:49]
	;; [unrolled: 1-line block ×4, first 2 shown]
	s_and_saveexec_b64 s[44:45], vcc
	s_cbranch_execz .LBB544_128
; %bb.119:
	v_mov_b32_e32 v48, s74
	v_cmp_eq_u32_e32 vcc, v59, v56
	v_add_u32_e32 v6, 19, v77
	v_mov_b64_e32 v[50:51], 0
	v_cndmask_b32_e32 v48, v48, v7, vcc
	v_cmp_ne_u32_e32 vcc, v59, v56
	s_mov_b64 s[50:51], 0
	v_mov_b64_e32 v[52:53], v[50:51]
	v_cndmask_b32_e64 v49, 0, 1, vcc
	v_cmp_gt_u32_e32 vcc, s60, v6
	v_mov_b64_e32 v[54:55], v[50:51]
                                        ; implicit-def: $sgpr56_sgpr57
                                        ; implicit-def: $vgpr6
	s_and_saveexec_b64 s[46:47], vcc
	s_cbranch_execz .LBB544_127
; %bb.120:
	ds_read2_b32 v[6:7], v76 offset0:19 offset1:20
	v_mov_b32_e32 v50, s74
	v_cmp_eq_u32_e32 vcc, v56, v57
	v_add_u32_e32 v52, 20, v77
	s_mov_b64 s[56:57], 0
	s_waitcnt lgkmcnt(0)
	v_cndmask_b32_e32 v50, v50, v6, vcc
	v_cmp_ne_u32_e32 vcc, v56, v57
                                        ; implicit-def: $sgpr58_sgpr59
                                        ; implicit-def: $vgpr6
	s_nop 1
	v_cndmask_b32_e64 v51, 0, 1, vcc
	v_cmp_gt_u32_e32 vcc, s60, v52
	v_mov_b64_e32 v[52:53], 0
	v_mov_b64_e32 v[54:55], v[52:53]
	s_and_saveexec_b64 s[48:49], vcc
	s_cbranch_execz .LBB544_126
; %bb.121:
	v_mov_b32_e32 v52, s74
	v_cmp_eq_u32_e32 vcc, v57, v8
	v_add_u32_e32 v6, 21, v77
	v_mov_b64_e32 v[54:55], 0
	v_cndmask_b32_e32 v52, v52, v7, vcc
	v_cmp_ne_u32_e32 vcc, v57, v8
                                        ; implicit-def: $sgpr58_sgpr59
	s_nop 1
	v_cndmask_b32_e64 v53, 0, 1, vcc
	v_cmp_gt_u32_e32 vcc, s60, v6
                                        ; implicit-def: $vgpr6
	s_and_saveexec_b64 s[50:51], vcc
	s_cbranch_execz .LBB544_125
; %bb.122:
	ds_read2_b32 v[6:7], v76 offset0:21 offset1:22
	v_mov_b32_e32 v54, s74
	v_cmp_eq_u32_e32 vcc, v8, v9
	v_add_u32_e32 v56, 22, v77
                                        ; implicit-def: $sgpr58_sgpr59
	s_waitcnt lgkmcnt(0)
	v_cndmask_b32_e32 v54, v54, v6, vcc
	v_cmp_ne_u32_e32 vcc, v8, v9
                                        ; implicit-def: $vgpr6
	s_nop 1
	v_cndmask_b32_e64 v55, 0, 1, vcc
	v_cmp_gt_u32_e32 vcc, s60, v56
	s_and_saveexec_b64 s[60:61], vcc
	s_xor_b64 s[60:61], exec, s[60:61]
; %bb.123:
	v_mov_b32_e32 v6, s74
	v_cmp_ne_u32_e32 vcc, v9, v1
	s_mov_b64 s[56:57], exec
	s_and_b64 s[58:59], vcc, exec
	v_cndmask_b32_e32 v6, v7, v6, vcc
; %bb.124:
	s_or_b64 exec, exec, s[60:61]
	s_and_b64 s[58:59], s[58:59], exec
	s_and_b64 s[56:57], s[56:57], exec
.LBB544_125:
	s_or_b64 exec, exec, s[50:51]
	s_and_b64 s[58:59], s[58:59], exec
	s_and_b64 s[50:51], s[56:57], exec
.LBB544_126:
	s_or_b64 exec, exec, s[48:49]
	s_and_b64 s[56:57], s[58:59], exec
	s_and_b64 s[48:49], s[50:51], exec
.LBB544_127:
	s_or_b64 exec, exec, s[46:47]
	s_and_b64 s[50:51], s[56:57], exec
	s_and_b64 s[46:47], s[48:49], exec
.LBB544_128:
	s_or_b64 exec, exec, s[44:45]
	s_and_b64 s[48:49], s[50:51], exec
	s_and_b64 s[44:45], s[46:47], exec
.LBB544_129:
	s_or_b64 exec, exec, s[42:43]
	s_and_b64 s[46:47], s[48:49], exec
	s_and_b64 s[42:43], s[44:45], exec
.LBB544_130:
	s_or_b64 exec, exec, s[40:41]
	s_and_b64 s[44:45], s[46:47], exec
	s_and_b64 s[40:41], s[42:43], exec
.LBB544_131:
	s_or_b64 exec, exec, s[38:39]
	s_and_b64 s[42:43], s[44:45], exec
	s_and_b64 s[38:39], s[40:41], exec
.LBB544_132:
	s_or_b64 exec, exec, s[36:37]
	s_and_b64 s[40:41], s[42:43], exec
	s_and_b64 s[36:37], s[38:39], exec
.LBB544_133:
	s_or_b64 exec, exec, s[34:35]
	s_and_b64 s[38:39], s[40:41], exec
	s_and_b64 s[34:35], s[36:37], exec
.LBB544_134:
	s_or_b64 exec, exec, s[30:31]
	s_and_b64 s[36:37], s[38:39], exec
	s_and_b64 s[30:31], s[34:35], exec
.LBB544_135:
	s_or_b64 exec, exec, s[28:29]
	s_and_b64 s[34:35], s[36:37], exec
	s_and_b64 s[28:29], s[30:31], exec
.LBB544_136:
	s_or_b64 exec, exec, s[26:27]
	s_and_b64 s[30:31], s[34:35], exec
	s_and_b64 s[26:27], s[28:29], exec
.LBB544_137:
	s_or_b64 exec, exec, s[24:25]
	s_and_b64 s[28:29], s[30:31], exec
	s_and_b64 s[24:25], s[26:27], exec
.LBB544_138:
	s_or_b64 exec, exec, s[22:23]
	s_and_b64 s[26:27], s[28:29], exec
	s_and_b64 s[22:23], s[24:25], exec
.LBB544_139:
	s_or_b64 exec, exec, s[20:21]
	s_and_b64 s[24:25], s[26:27], exec
	s_and_b64 s[20:21], s[22:23], exec
.LBB544_140:
	s_or_b64 exec, exec, s[18:19]
	s_and_b64 s[22:23], s[24:25], exec
	s_and_b64 s[18:19], s[20:21], exec
.LBB544_141:
	s_or_b64 exec, exec, s[16:17]
	s_and_b64 s[20:21], s[22:23], exec
	s_and_b64 s[16:17], s[18:19], exec
.LBB544_142:
	s_or_b64 exec, exec, s[14:15]
	s_and_b64 s[18:19], s[20:21], exec
	s_and_b64 s[14:15], s[16:17], exec
.LBB544_143:
	s_or_b64 exec, exec, s[12:13]
	s_and_b64 s[16:17], s[18:19], exec
	s_and_b64 s[12:13], s[14:15], exec
.LBB544_144:
	s_or_b64 exec, exec, s[10:11]
	s_and_b64 s[14:15], s[16:17], exec
	s_and_b64 s[10:11], s[12:13], exec
.LBB544_145:
	s_or_b64 exec, exec, s[8:9]
	s_and_b64 s[8:9], s[14:15], exec
	s_and_b64 s[10:11], s[10:11], exec
.LBB544_146:
	s_or_b64 exec, exec, s[6:7]
	s_mov_b64 s[6:7], 0
	s_and_b64 vcc, exec, s[0:1]
	v_lshlrev_b32_e32 v56, 2, v0
	s_cbranch_vccz .LBB544_152
.LBB544_147:
	v_mov_b32_e32 v57, 0
	v_lshl_add_u64 v[6:7], v[4:5], 0, v[56:57]
	v_add_co_u32_e32 v8, vcc, 0x1000, v6
	s_movk_i32 s6, 0x58
	s_nop 0
	v_addc_co_u32_e32 v9, vcc, 0, v7, vcc
	flat_load_dword v1, v[6:7]
	flat_load_dword v14, v[6:7] offset:1024
	flat_load_dword v15, v[6:7] offset:2048
	;; [unrolled: 1-line block ×3, first 2 shown]
	flat_load_dword v17, v[8:9]
	flat_load_dword v18, v[8:9] offset:1024
	flat_load_dword v19, v[8:9] offset:2048
	;; [unrolled: 1-line block ×3, first 2 shown]
	v_add_co_u32_e32 v8, vcc, 0x2000, v6
	s_movk_i32 s11, 0x1000
	s_nop 0
	v_addc_co_u32_e32 v9, vcc, 0, v7, vcc
	v_add_co_u32_e32 v12, vcc, 0x3000, v6
	s_mov_b32 s0, 0
	s_nop 0
	v_addc_co_u32_e32 v13, vcc, 0, v7, vcc
	flat_load_dword v21, v[8:9]
	flat_load_dword v22, v[8:9] offset:1024
	flat_load_dword v23, v[8:9] offset:2048
	;; [unrolled: 1-line block ×3, first 2 shown]
	flat_load_dword v25, v[12:13]
	flat_load_dword v26, v[12:13] offset:1024
	flat_load_dword v27, v[12:13] offset:2048
	;; [unrolled: 1-line block ×3, first 2 shown]
	v_add_co_u32_e32 v8, vcc, 0x4000, v6
	s_movk_i32 s10, 0x2000
	s_nop 0
	v_addc_co_u32_e32 v9, vcc, 0, v7, vcc
	v_add_co_u32_e32 v6, vcc, 0x5000, v6
	s_movk_i32 s9, 0x3000
	s_nop 0
	v_addc_co_u32_e32 v7, vcc, 0, v7, vcc
	flat_load_dword v12, v[8:9]
	flat_load_dword v13, v[8:9] offset:1024
	flat_load_dword v29, v[8:9] offset:2048
	;; [unrolled: 1-line block ×3, first 2 shown]
	flat_load_dword v31, v[6:7]
	flat_load_dword v32, v[6:7] offset:1024
	flat_load_dword v33, v[6:7] offset:2048
	v_add_co_u32_e32 v4, vcc, 0x5000, v4
	s_movk_i32 s8, 0x4000
	s_nop 0
	v_addc_co_u32_e32 v5, vcc, 0, v5, vcc
	s_movk_i32 s1, 0x5000
	s_waitcnt vmcnt(0) lgkmcnt(0)
	ds_write2st64_b32 v56, v1, v14 offset1:4
	ds_write2st64_b32 v56, v15, v16 offset0:8 offset1:12
	ds_write2st64_b32 v56, v17, v18 offset0:16 offset1:20
	;; [unrolled: 1-line block ×10, first 2 shown]
	ds_write_b32 v56, v33 offset:22528
	s_waitcnt lgkmcnt(0)
	s_barrier
	flat_load_dword v1, v[4:5] offset:3072
	v_mad_u32_u24 v14, v0, s6, v56
	s_movk_i32 s6, 0xffa8
	v_mad_i32_i24 v13, v0, s6, v14
	s_movk_i32 s6, 0xff
	v_cmp_ne_u32_e32 vcc, s6, v0
	ds_read_b32 v12, v14
	ds_read2_b32 v[16:17], v14 offset0:1 offset1:2
	ds_read2_b32 v[20:21], v14 offset0:3 offset1:4
	;; [unrolled: 1-line block ×11, first 2 shown]
	s_waitcnt lgkmcnt(0)
	ds_write_b32 v13, v12 offset:24576
	s_waitcnt lgkmcnt(0)
	s_barrier
	s_and_saveexec_b64 s[6:7], vcc
	s_cbranch_execz .LBB544_149
; %bb.148:
	s_waitcnt vmcnt(0)
	ds_read_b32 v1, v56 offset:24580
.LBB544_149:
	s_or_b64 exec, exec, s[6:7]
	v_lshl_add_u64 v[2:3], v[2:3], 0, v[56:57]
	v_add_co_u32_e32 v18, vcc, s11, v2
	s_waitcnt lgkmcnt(0)
	s_nop 0
	v_addc_co_u32_e32 v19, vcc, 0, v3, vcc
	s_barrier
	flat_load_dword v13, v[2:3]
	flat_load_dword v15, v[2:3] offset:1024
	flat_load_dword v26, v[2:3] offset:2048
	;; [unrolled: 1-line block ×3, first 2 shown]
	flat_load_dword v30, v[18:19]
	flat_load_dword v31, v[18:19] offset:1024
	flat_load_dword v34, v[18:19] offset:2048
	;; [unrolled: 1-line block ×3, first 2 shown]
	v_add_co_u32_e32 v18, vcc, s10, v2
	s_nop 1
	v_addc_co_u32_e32 v19, vcc, 0, v3, vcc
	v_add_co_u32_e32 v22, vcc, s9, v2
	s_nop 1
	v_addc_co_u32_e32 v23, vcc, 0, v3, vcc
	flat_load_dword v38, v[18:19]
	flat_load_dword v39, v[18:19] offset:1024
	flat_load_dword v42, v[18:19] offset:2048
	;; [unrolled: 1-line block ×3, first 2 shown]
	flat_load_dword v46, v[22:23]
	flat_load_dword v47, v[22:23] offset:1024
	flat_load_dword v48, v[22:23] offset:2048
	;; [unrolled: 1-line block ×3, first 2 shown]
	v_add_co_u32_e32 v18, vcc, s8, v2
	s_nop 1
	v_addc_co_u32_e32 v19, vcc, 0, v3, vcc
	v_add_co_u32_e32 v2, vcc, s1, v2
	s_mov_b32 s1, 1
	s_nop 0
	v_addc_co_u32_e32 v3, vcc, 0, v3, vcc
	flat_load_dword v22, v[18:19]
	flat_load_dword v23, v[18:19] offset:1024
	flat_load_dword v50, v[18:19] offset:2048
	;; [unrolled: 1-line block ×3, first 2 shown]
	flat_load_dword v52, v[2:3]
	flat_load_dword v53, v[2:3] offset:1024
	flat_load_dword v54, v[2:3] offset:2048
	v_cmp_eq_u32_e32 vcc, v12, v16
	s_waitcnt vmcnt(0) lgkmcnt(0)
	ds_write2st64_b32 v56, v13, v15 offset1:4
	ds_write2st64_b32 v56, v26, v27 offset0:8 offset1:12
	ds_write2st64_b32 v56, v30, v31 offset0:16 offset1:20
	;; [unrolled: 1-line block ×10, first 2 shown]
	ds_write_b32 v56, v54 offset:22528
	s_waitcnt lgkmcnt(0)
	s_barrier
	ds_read2_b32 v[18:19], v14 offset0:1 offset1:2
	ds_read2_b32 v[22:23], v14 offset0:3 offset1:4
	;; [unrolled: 1-line block ×11, first 2 shown]
	v_mov_b64_e32 v[12:13], s[0:1]
	v_mov_b32_e32 v15, s74
	s_and_saveexec_b64 s[0:1], vcc
	s_cbranch_execz .LBB544_151
; %bb.150:
	ds_read_b32 v15, v14
	v_mov_b64_e32 v[12:13], 0
.LBB544_151:
	s_or_b64 exec, exec, s[0:1]
	v_mov_b32_e32 v57, s74
	v_cmp_eq_u32_e32 vcc, v16, v17
	s_waitcnt lgkmcnt(0)
	v_or_b32_e32 v12, v12, v15
	v_cmp_ne_u32_e64 s[8:9], v5, v1
	v_cndmask_b32_e32 v14, v57, v18, vcc
	v_cmp_ne_u32_e32 vcc, v16, v17
	s_mov_b64 s[10:11], -1
                                        ; implicit-def: $sgpr6_sgpr7
	s_nop 0
	v_cndmask_b32_e64 v15, 0, 1, vcc
	v_cmp_eq_u32_e32 vcc, v17, v20
	s_nop 1
	v_cndmask_b32_e32 v16, v57, v19, vcc
	v_cmp_ne_u32_e32 vcc, v17, v20
	s_nop 1
	v_cndmask_b32_e64 v17, 0, 1, vcc
	v_cmp_eq_u32_e32 vcc, v20, v21
	s_nop 1
	v_cndmask_b32_e32 v18, v57, v22, vcc
	v_cmp_ne_u32_e32 vcc, v20, v21
	s_nop 1
	v_cndmask_b32_e64 v19, 0, 1, vcc
	v_cmp_eq_u32_e32 vcc, v21, v24
	s_nop 1
	v_cndmask_b32_e32 v20, v57, v23, vcc
	v_cmp_ne_u32_e32 vcc, v21, v24
	s_nop 1
	v_cndmask_b32_e64 v21, 0, 1, vcc
	v_cmp_eq_u32_e32 vcc, v24, v25
	s_nop 1
	v_cndmask_b32_e32 v22, v57, v26, vcc
	v_cmp_ne_u32_e32 vcc, v24, v25
	s_nop 1
	v_cndmask_b32_e64 v23, 0, 1, vcc
	v_cmp_eq_u32_e32 vcc, v25, v28
	s_nop 1
	v_cndmask_b32_e32 v24, v57, v27, vcc
	v_cmp_ne_u32_e32 vcc, v25, v28
	s_nop 1
	v_cndmask_b32_e64 v25, 0, 1, vcc
	v_cmp_eq_u32_e32 vcc, v28, v29
	s_nop 1
	v_cndmask_b32_e32 v26, v57, v30, vcc
	v_cmp_ne_u32_e32 vcc, v28, v29
	s_nop 1
	v_cndmask_b32_e64 v27, 0, 1, vcc
	v_cmp_eq_u32_e32 vcc, v29, v32
	s_nop 1
	v_cndmask_b32_e32 v28, v57, v31, vcc
	v_cmp_ne_u32_e32 vcc, v29, v32
	s_nop 1
	v_cndmask_b32_e64 v29, 0, 1, vcc
	v_cmp_eq_u32_e32 vcc, v32, v33
	s_nop 1
	v_cndmask_b32_e32 v30, v57, v34, vcc
	v_cmp_ne_u32_e32 vcc, v32, v33
	s_nop 1
	v_cndmask_b32_e64 v31, 0, 1, vcc
	v_cmp_eq_u32_e32 vcc, v33, v36
	s_nop 1
	v_cndmask_b32_e32 v32, v57, v35, vcc
	v_cmp_ne_u32_e32 vcc, v33, v36
	s_nop 1
	v_cndmask_b32_e64 v33, 0, 1, vcc
	v_cmp_eq_u32_e32 vcc, v36, v37
	s_nop 1
	v_cndmask_b32_e32 v34, v57, v38, vcc
	v_cmp_ne_u32_e32 vcc, v36, v37
	s_nop 1
	v_cndmask_b32_e64 v35, 0, 1, vcc
	v_cmp_eq_u32_e32 vcc, v37, v40
	s_nop 1
	v_cndmask_b32_e32 v36, v57, v39, vcc
	v_cmp_ne_u32_e32 vcc, v37, v40
	s_nop 1
	v_cndmask_b32_e64 v37, 0, 1, vcc
	v_cmp_eq_u32_e32 vcc, v40, v41
	s_nop 1
	v_cndmask_b32_e32 v38, v57, v42, vcc
	v_cmp_ne_u32_e32 vcc, v40, v41
	s_nop 1
	v_cndmask_b32_e64 v39, 0, 1, vcc
	v_cmp_eq_u32_e32 vcc, v41, v44
	s_nop 1
	v_cndmask_b32_e32 v40, v57, v43, vcc
	v_cmp_ne_u32_e32 vcc, v41, v44
	s_nop 1
	v_cndmask_b32_e64 v41, 0, 1, vcc
	v_cmp_eq_u32_e32 vcc, v44, v45
	s_nop 1
	v_cndmask_b32_e32 v42, v57, v46, vcc
	v_cmp_ne_u32_e32 vcc, v44, v45
	s_nop 1
	v_cndmask_b32_e64 v43, 0, 1, vcc
	v_cmp_eq_u32_e32 vcc, v45, v8
	s_nop 1
	v_cndmask_b32_e32 v44, v57, v47, vcc
	v_cmp_ne_u32_e32 vcc, v45, v8
	s_nop 1
	v_cndmask_b32_e64 v45, 0, 1, vcc
	v_cmp_eq_u32_e32 vcc, v8, v9
	s_nop 1
	v_cndmask_b32_e32 v46, v57, v48, vcc
	v_cmp_ne_u32_e32 vcc, v8, v9
	s_nop 1
	v_cndmask_b32_e64 v47, 0, 1, vcc
	v_cmp_eq_u32_e32 vcc, v9, v6
	s_nop 1
	v_cndmask_b32_e32 v48, v57, v49, vcc
	v_cmp_ne_u32_e32 vcc, v9, v6
	s_nop 1
	v_cndmask_b32_e64 v49, 0, 1, vcc
	v_cmp_eq_u32_e32 vcc, v6, v7
	s_nop 1
	v_cndmask_b32_e32 v50, v57, v52, vcc
	v_cmp_ne_u32_e32 vcc, v6, v7
	v_cndmask_b32_e64 v6, v3, v57, s[8:9]
	s_nop 0
	v_cndmask_b32_e64 v51, 0, 1, vcc
	v_cmp_eq_u32_e32 vcc, v7, v4
	s_nop 1
	v_cndmask_b32_e32 v52, v57, v53, vcc
	v_cmp_ne_u32_e32 vcc, v7, v4
	s_nop 1
	v_cndmask_b32_e64 v53, 0, 1, vcc
	v_cmp_eq_u32_e32 vcc, v4, v5
	s_nop 1
	v_cndmask_b32_e32 v54, v57, v2, vcc
	v_cmp_ne_u32_e32 vcc, v4, v5
	s_nop 1
	v_cndmask_b32_e64 v55, 0, 1, vcc
.LBB544_152:
	v_mov_b64_e32 v[58:59], s[6:7]
	s_and_saveexec_b64 s[0:1], s[10:11]
; %bb.153:
	v_cndmask_b32_e64 v7, 0, 1, s[8:9]
	v_mov_b64_e32 v[58:59], v[6:7]
; %bb.154:
	s_or_b64 exec, exec, s[0:1]
	s_mov_b32 s0, 0
	s_cmp_lg_u32 s67, 0
	v_or_b32_e32 v57, v59, v55
	v_lshrrev_b32_e32 v1, 5, v0
	v_cmp_gt_u32_e32 vcc, 64, v0
	s_barrier
	s_cbranch_scc0 .LBB544_193
; %bb.155:
	s_mov_b32 s1, 1
	v_cmp_gt_u64_e64 s[6:7], s[0:1], v[14:15]
	v_cmp_gt_u64_e64 s[8:9], s[0:1], v[16:17]
	v_cmp_gt_u64_e64 s[10:11], s[0:1], v[18:19]
	v_cndmask_b32_e64 v2, 0, v12, s[6:7]
	v_add_u32_e32 v2, v2, v14
	v_cndmask_b32_e64 v2, 0, v2, s[8:9]
	v_add_u32_e32 v2, v2, v16
	v_cndmask_b32_e64 v2, 0, v2, s[10:11]
	v_add_u32_e32 v2, v2, v18
	v_cmp_gt_u64_e64 s[12:13], s[0:1], v[20:21]
	v_cmp_gt_u64_e64 s[14:15], s[0:1], v[22:23]
	v_cmp_gt_u64_e64 s[16:17], s[0:1], v[24:25]
	v_cndmask_b32_e64 v2, 0, v2, s[12:13]
	v_add_u32_e32 v2, v2, v20
	v_cndmask_b32_e64 v2, 0, v2, s[14:15]
	v_add_u32_e32 v2, v2, v22
	v_cndmask_b32_e64 v2, 0, v2, s[16:17]
	v_add_u32_e32 v2, v2, v24
	;; [unrolled: 9-line block ×7, first 2 shown]
	v_cmp_gt_u64_e64 s[0:1], s[0:1], v[58:59]
	s_nop 1
	v_cndmask_b32_e64 v2, 0, v2, s[0:1]
	v_add_u32_e32 v64, v2, v58
	v_or3_b32 v2, v57, v53, v51
	v_or3_b32 v2, v2, v49, v47
	;; [unrolled: 1-line block ×10, first 2 shown]
	v_and_b32_e32 v2, 1, v2
	v_cmp_eq_u32_e64 s[0:1], 1, v2
	v_add_lshl_u32 v2, v1, v0, 3
	s_nop 0
	v_cndmask_b32_e64 v65, v13, 1, s[0:1]
	ds_write_b32 v2, v64
	ds_write_b8 v2, v65 offset:4
	s_waitcnt lgkmcnt(0)
	s_barrier
	s_and_saveexec_b64 s[50:51], vcc
	s_cbranch_execz .LBB544_167
; %bb.156:
	v_lshrrev_b32_e32 v2, 3, v0
	v_add_lshl_u32 v4, v2, v56, 3
	ds_read2_b32 v[6:7], v4 offset0:2 offset1:4
	ds_read_b64 v[2:3], v4
	ds_read_u8 v8, v4 offset:12
	ds_read_u8 v9, v4 offset:20
	ds_read_b32 v60, v4 offset:24
	ds_read_u8 v61, v4 offset:28
	v_mov_b32_e32 v62, 0
	s_waitcnt lgkmcnt(3)
	v_cmp_eq_u16_sdwa s[0:1], v8, v62 src0_sel:BYTE_0 src1_sel:DWORD
	v_and_b32_e32 v5, 1, v3
	s_nop 0
	v_cndmask_b32_e64 v63, 0, v2, s[0:1]
	v_add_u32_e32 v6, v63, v6
	s_waitcnt lgkmcnt(2)
	v_cmp_eq_u16_sdwa s[0:1], v9, v62 src0_sel:BYTE_0 src1_sel:DWORD
	s_nop 1
	v_cndmask_b32_e64 v6, 0, v6, s[0:1]
	v_add_u32_e32 v6, v6, v7
	s_waitcnt lgkmcnt(0)
	v_cmp_eq_u16_e64 s[0:1], 0, v61
	s_nop 1
	v_cndmask_b32_e64 v6, 0, v6, s[0:1]
	v_add_u32_e32 v7, v6, v60
	v_or_b32_e32 v6, v61, v9
	v_or_b32_e32 v6, v6, v8
	v_and_b32_e32 v6, 1, v6
	v_cmp_eq_u32_e64 s[0:1], 1, v6
	v_mbcnt_lo_u32_b32 v8, -1, 0
	v_and_b32_e32 v6, 0xffffff00, v3
	v_cndmask_b32_e64 v9, v5, 1, s[0:1]
	v_mbcnt_hi_u32_b32 v8, -1, v8
	v_and_b32_e32 v61, 15, v8
	v_or_b32_sdwa v60, v6, v9 dst_sel:DWORD dst_unused:UNUSED_PAD src0_sel:DWORD src1_sel:WORD_0
	v_mov_b32_dpp v62, v7 row_shr:1 row_mask:0xf bank_mask:0xf
	v_cmp_ne_u32_e64 s[0:1], 0, v61
	v_mov_b32_dpp v63, v60 row_shr:1 row_mask:0xf bank_mask:0xf
	s_and_saveexec_b64 s[56:57], s[0:1]
; %bb.157:
	v_and_b32_e32 v60, 1, v9
	v_and_b32_e32 v63, 1, v63
	v_cmp_eq_u32_e64 s[0:1], 1, v60
	s_nop 1
	v_cndmask_b32_e64 v63, v63, 1, s[0:1]
	v_cmp_eq_u16_e64 s[0:1], 0, v9
	v_or_b32_sdwa v60, v6, v63 dst_sel:DWORD dst_unused:UNUSED_PAD src0_sel:DWORD src1_sel:WORD_0
	s_nop 0
	v_cndmask_b32_e64 v9, 0, v62, s[0:1]
	v_add_u32_e32 v7, v9, v7
	v_mov_b32_e32 v9, v63
; %bb.158:
	s_or_b64 exec, exec, s[56:57]
	v_mov_b32_dpp v62, v7 row_shr:2 row_mask:0xf bank_mask:0xf
	v_mov_b32_dpp v63, v60 row_shr:2 row_mask:0xf bank_mask:0xf
	v_cmp_lt_u32_e64 s[0:1], 1, v61
	s_and_saveexec_b64 s[56:57], s[0:1]
; %bb.159:
	v_and_b32_e32 v60, 1, v9
	v_and_b32_e32 v63, 1, v63
	v_cmp_eq_u32_e64 s[0:1], 1, v60
	s_nop 1
	v_cndmask_b32_e64 v63, v63, 1, s[0:1]
	v_cmp_eq_u16_e64 s[0:1], 0, v9
	v_or_b32_sdwa v60, v6, v63 dst_sel:DWORD dst_unused:UNUSED_PAD src0_sel:DWORD src1_sel:WORD_0
	s_nop 0
	v_cndmask_b32_e64 v9, 0, v62, s[0:1]
	v_add_u32_e32 v7, v9, v7
	v_mov_b32_e32 v9, v63
; %bb.160:
	s_or_b64 exec, exec, s[56:57]
	v_mov_b32_dpp v62, v7 row_shr:4 row_mask:0xf bank_mask:0xf
	v_mov_b32_dpp v63, v60 row_shr:4 row_mask:0xf bank_mask:0xf
	v_cmp_lt_u32_e64 s[0:1], 3, v61
	;; [unrolled: 18-line block ×3, first 2 shown]
	s_and_saveexec_b64 s[56:57], s[0:1]
; %bb.163:
	v_and_b32_e32 v60, 1, v9
	v_and_b32_e32 v61, 1, v63
	v_cmp_eq_u32_e64 s[0:1], 1, v60
	s_nop 1
	v_cndmask_b32_e64 v61, v61, 1, s[0:1]
	v_cmp_eq_u16_e64 s[0:1], 0, v9
	v_or_b32_sdwa v60, v6, v61 dst_sel:DWORD dst_unused:UNUSED_PAD src0_sel:DWORD src1_sel:WORD_0
	s_nop 0
	v_cndmask_b32_e64 v9, 0, v62, s[0:1]
	v_add_u32_e32 v7, v9, v7
	v_mov_b32_e32 v9, v61
; %bb.164:
	s_or_b64 exec, exec, s[56:57]
	v_and_b32_e32 v63, 16, v8
	v_mov_b32_dpp v61, v7 row_bcast:15 row_mask:0xf bank_mask:0xf
	v_mov_b32_dpp v62, v60 row_bcast:15 row_mask:0xf bank_mask:0xf
	v_cmp_ne_u32_e64 s[0:1], 0, v63
	s_and_saveexec_b64 s[56:57], s[0:1]
; %bb.165:
	v_and_b32_e32 v60, 1, v9
	v_and_b32_e32 v62, 1, v62
	v_cmp_eq_u32_e64 s[0:1], 1, v60
	s_nop 1
	v_cndmask_b32_e64 v62, v62, 1, s[0:1]
	v_cmp_eq_u16_e64 s[0:1], 0, v9
	v_or_b32_sdwa v60, v6, v62 dst_sel:DWORD dst_unused:UNUSED_PAD src0_sel:DWORD src1_sel:WORD_0
	s_nop 0
	v_cndmask_b32_e64 v9, 0, v61, s[0:1]
	v_add_u32_e32 v7, v9, v7
	v_mov_b32_e32 v9, v62
; %bb.166:
	s_or_b64 exec, exec, s[56:57]
	v_mov_b32_dpp v60, v60 row_bcast:31 row_mask:0xf bank_mask:0xf
	v_and_b32_e32 v62, 1, v9
	v_and_b32_e32 v60, 1, v60
	v_cmp_eq_u32_e64 s[0:1], 1, v62
	v_mov_b32_e32 v62, 0
	v_cmp_eq_u16_sdwa s[56:57], v9, v62 src0_sel:BYTE_0 src1_sel:DWORD
	v_cndmask_b32_e64 v60, v60, 1, s[0:1]
	v_cmp_lt_u32_e64 s[0:1], 31, v8
	v_mov_b32_dpp v61, v7 row_bcast:31 row_mask:0xf bank_mask:0xf
	s_movk_i32 s58, 0xff
	v_cndmask_b32_e64 v9, v9, v60, s[0:1]
	s_and_b64 s[0:1], s[0:1], s[56:57]
	v_cndmask_b32_e64 v60, 0, v61, s[0:1]
	v_add_u32_e32 v7, v60, v7
	v_add_u32_e32 v60, -1, v8
	v_and_b32_e32 v61, 64, v8
	v_cmp_lt_i32_e64 s[0:1], v60, v61
	v_and_or_b32 v6, v9, s58, v6
	s_nop 0
	v_cndmask_b32_e64 v8, v60, v8, s[0:1]
	v_lshlrev_b32_e32 v8, 2, v8
	ds_bpermute_b32 v7, v8, v7
	ds_bpermute_b32 v6, v8, v6
	v_cmp_eq_u16_sdwa s[0:1], v3, v62 src0_sel:BYTE_0 src1_sel:DWORD
	; wave barrier
	s_waitcnt lgkmcnt(1)
	s_nop 0
	v_cndmask_b32_e64 v3, 0, v7, s[0:1]
	v_add_u32_e32 v2, v3, v2
	s_waitcnt lgkmcnt(0)
	v_and_b32_e32 v3, 1, v6
	v_cmp_eq_u32_e64 s[0:1], 1, v5
	v_cndmask_b32_e64 v5, v2, v64, s[52:53]
	s_nop 0
	v_cndmask_b32_e64 v3, v3, 1, s[0:1]
	v_cndmask_b32_e64 v6, v3, v65, s[52:53]
	ds_write_b32 v4, v5
	ds_write_b8 v4, v6 offset:4
	; wave barrier
	ds_read_u8 v7, v4 offset:12
	ds_read2_b32 v[2:3], v4 offset0:2 offset1:4
	ds_read_u8 v8, v4 offset:20
	ds_read_b32 v9, v4 offset:24
	ds_read_u8 v60, v4 offset:28
	s_waitcnt lgkmcnt(4)
	v_cmp_eq_u16_e64 s[0:1], 0, v7
	s_nop 1
	v_cndmask_b32_e64 v5, 0, v5, s[0:1]
	s_waitcnt lgkmcnt(3)
	v_add_u32_e32 v2, v5, v2
	v_and_b32_e32 v5, 1, v7
	v_cmp_eq_u32_e64 s[0:1], 1, v5
	s_nop 1
	v_cndmask_b32_e64 v5, v6, 1, s[0:1]
	s_waitcnt lgkmcnt(2)
	v_cmp_eq_u16_e64 s[0:1], 0, v8
	ds_write_b8 v4, v5 offset:12
	s_nop 0
	v_cndmask_b32_e64 v6, 0, v2, s[0:1]
	v_add_u32_e32 v3, v6, v3
	v_and_b32_e32 v6, 1, v8
	v_cmp_eq_u32_e64 s[0:1], 1, v6
	s_nop 1
	v_cndmask_b32_e64 v5, v5, 1, s[0:1]
	s_waitcnt lgkmcnt(1)
	v_cmp_eq_u16_e64 s[0:1], 0, v60
	ds_write2_b32 v4, v2, v3 offset0:2 offset1:4
	ds_write_b8 v4, v5 offset:20
	v_cndmask_b32_e64 v2, 0, v3, s[0:1]
	v_and_b32_e32 v3, 1, v60
	v_add_u32_e32 v2, v2, v9
	v_cmp_eq_u32_e64 s[0:1], 1, v3
	s_nop 1
	v_cndmask_b32_e64 v3, v5, 1, s[0:1]
	ds_write_b32 v4, v2 offset:24
	ds_write_b8 v4, v3 offset:28
.LBB544_167:
	s_or_b64 exec, exec, s[50:51]
	s_waitcnt lgkmcnt(0)
	s_barrier
	s_and_saveexec_b64 s[0:1], s[4:5]
	s_cbranch_execz .LBB544_169
; %bb.168:
	v_add_u32_e32 v2, -1, v0
	v_lshrrev_b32_e32 v3, 5, v2
	v_add_lshl_u32 v2, v3, v2, 3
	ds_read_b32 v64, v2
	ds_read_u8 v65, v2 offset:4
.LBB544_169:
	s_or_b64 exec, exec, s[0:1]
	s_and_saveexec_b64 s[56:57], vcc
	s_cbranch_execz .LBB544_192
; %bb.170:
	v_mov_b32_e32 v5, 0
	ds_read_b64 v[2:3], v5 offset:2096
	v_mbcnt_lo_u32_b32 v4, -1, 0
	v_mbcnt_hi_u32_b32 v75, -1, v4
	s_mov_b32 s59, 0
	v_cmp_eq_u32_e64 s[50:51], 0, v75
	s_waitcnt lgkmcnt(0)
	v_readfirstlane_b32 s68, v3
	s_and_saveexec_b64 s[0:1], s[50:51]
	s_cbranch_execz .LBB544_172
; %bb.171:
	s_add_i32 s58, s67, 64
	s_lshl_b64 s[60:61], s[58:59], 4
	s_add_u32 s60, s64, s60
	s_addc_u32 s61, s65, s61
	s_and_b32 s77, s68, 0xff000000
	s_mov_b32 s76, s59
	s_and_b32 s79, s68, 0xff0000
	s_mov_b32 s78, s59
	s_or_b64 s[76:77], s[78:79], s[76:77]
	s_and_b32 s79, s68, 0xff00
	s_or_b64 s[76:77], s[76:77], s[78:79]
	s_and_b32 s79, s68, 0xff
	s_or_b64 s[58:59], s[76:77], s[78:79]
	v_mov_b32_e32 v3, s59
	v_mov_b32_e32 v4, 1
	v_mov_b64_e32 v[6:7], s[60:61]
	;;#ASMSTART
	global_store_dwordx4 v[6:7], v[2:5] off sc1	
s_waitcnt vmcnt(0)
	;;#ASMEND
.LBB544_172:
	s_or_b64 exec, exec, s[0:1]
	v_xad_u32 v60, v75, -1, s67
	v_add_u32_e32 v4, 64, v60
	v_lshl_add_u64 v[62:63], v[4:5], 4, s[64:65]
	;;#ASMSTART
	global_load_dwordx4 v[6:9], v[62:63] off sc1	
s_waitcnt vmcnt(0)
	;;#ASMEND
	s_nop 0
	v_and_b32_e32 v3, 0xff0000, v6
	v_and_b32_e32 v4, 0xff000000, v6
	;; [unrolled: 1-line block ×3, first 2 shown]
	v_or_b32_sdwa v3, v6, v3 dst_sel:DWORD dst_unused:UNUSED_PAD src0_sel:WORD_0 src1_sel:DWORD
	v_or3_b32 v7, 0, 0, v7
	v_or3_b32 v6, v3, v4, 0
	v_cmp_eq_u16_sdwa s[58:59], v8, v5 src0_sel:BYTE_0 src1_sel:DWORD
	s_and_saveexec_b64 s[0:1], s[58:59]
	s_cbranch_execz .LBB544_178
; %bb.173:
	s_mov_b32 s60, 1
	s_mov_b64 s[58:59], 0
	v_mov_b32_e32 v3, 0
.LBB544_174:                            ; =>This Loop Header: Depth=1
                                        ;     Child Loop BB544_175 Depth 2
	s_max_u32 s61, s60, 1
.LBB544_175:                            ;   Parent Loop BB544_174 Depth=1
                                        ; =>  This Inner Loop Header: Depth=2
	s_add_i32 s61, s61, -1
	s_cmp_eq_u32 s61, 0
	s_sleep 1
	s_cbranch_scc0 .LBB544_175
; %bb.176:                              ;   in Loop: Header=BB544_174 Depth=1
	s_cmp_lt_u32 s60, 32
	s_cselect_b64 s[76:77], -1, 0
	s_cmp_lg_u64 s[76:77], 0
	s_addc_u32 s60, s60, 0
	;;#ASMSTART
	global_load_dwordx4 v[6:9], v[62:63] off sc1	
s_waitcnt vmcnt(0)
	;;#ASMEND
	s_nop 0
	v_cmp_ne_u16_sdwa s[76:77], v8, v3 src0_sel:BYTE_0 src1_sel:DWORD
	s_or_b64 s[58:59], s[76:77], s[58:59]
	s_andn2_b64 exec, exec, s[58:59]
	s_cbranch_execnz .LBB544_174
; %bb.177:
	s_or_b64 exec, exec, s[58:59]
	v_and_b32_e32 v7, 0xff, v7
.LBB544_178:
	s_or_b64 exec, exec, s[0:1]
	v_mov_b32_e32 v3, 2
	v_cmp_eq_u16_sdwa s[0:1], v8, v3 src0_sel:BYTE_0 src1_sel:DWORD
	v_lshlrev_b64 v[4:5], v75, -1
	v_and_b32_e32 v66, 63, v75
	v_and_b32_e32 v9, s1, v5
	v_or_b32_e32 v9, 0x80000000, v9
	v_and_b32_e32 v61, s0, v4
	v_ffbl_b32_e32 v9, v9
	v_add_u32_e32 v9, 32, v9
	v_ffbl_b32_e32 v61, v61
	v_cmp_ne_u32_e32 vcc, 63, v66
	v_min_u32_e32 v9, v61, v9
	s_mov_b32 s58, 0
	v_addc_co_u32_e32 v61, vcc, 0, v75, vcc
	v_lshlrev_b32_e32 v67, 2, v61
	ds_bpermute_b32 v61, v67, v7
	ds_bpermute_b32 v62, v67, v6
	v_and_b32_e32 v63, 1, v7
	s_mov_b32 s59, 1
	v_cmp_eq_u32_e32 vcc, 1, v63
	s_waitcnt lgkmcnt(1)
	v_and_b32_e32 v61, 1, v61
	v_cmp_lt_u32_e64 s[0:1], v66, v9
	v_cndmask_b32_e64 v61, v61, 1, vcc
	v_cmp_gt_u64_e32 vcc, s[58:59], v[6:7]
	s_and_b64 vcc, s[0:1], vcc
	v_and_b32_e32 v63, 0xffff, v61
	v_cndmask_b32_e64 v70, v7, v61, s[0:1]
	s_waitcnt lgkmcnt(0)
	v_cndmask_b32_e32 v61, 0, v62, vcc
	v_cmp_gt_u32_e32 vcc, 62, v66
	v_cndmask_b32_e64 v7, v7, v63, s[0:1]
	v_add_u32_e32 v6, v61, v6
	v_cndmask_b32_e64 v62, 0, 1, vcc
	v_lshlrev_b32_e32 v62, 1, v62
	v_add_lshl_u32 v68, v62, v75, 2
	ds_bpermute_b32 v62, v68, v7
	ds_bpermute_b32 v63, v68, v6
	v_and_b32_e32 v61, 1, v70
	v_cmp_eq_u32_e32 vcc, 1, v61
	v_mov_b32_e32 v61, 0
	s_waitcnt lgkmcnt(1)
	v_and_b32_e32 v62, 1, v62
	v_add_u32_e32 v69, 2, v66
	v_cndmask_b32_e64 v62, v62, 1, vcc
	v_cmp_eq_u16_sdwa vcc, v70, v61 src0_sel:BYTE_0 src1_sel:DWORD
	v_and_b32_e32 v71, 0xffff, v62
	v_add_u32_e32 v79, 32, v66
	s_waitcnt lgkmcnt(0)
	v_cndmask_b32_e32 v63, 0, v63, vcc
	v_cmp_gt_u32_e32 vcc, v69, v9
	s_nop 1
	v_cndmask_b32_e32 v62, v62, v70, vcc
	v_cndmask_b32_e64 v63, v63, 0, vcc
	v_cndmask_b32_e32 v7, v71, v7, vcc
	v_cmp_gt_u32_e32 vcc, 60, v66
	v_add_u32_e32 v6, v63, v6
	v_and_b32_e32 v73, 1, v62
	v_cndmask_b32_e64 v70, 0, 1, vcc
	v_lshlrev_b32_e32 v70, 2, v70
	v_add_lshl_u32 v70, v70, v75, 2
	ds_bpermute_b32 v72, v70, v7
	ds_bpermute_b32 v63, v70, v6
	v_cmp_eq_u32_e32 vcc, 1, v73
	v_add_u32_e32 v71, 4, v66
	s_waitcnt lgkmcnt(1)
	v_and_b32_e32 v72, 1, v72
	v_cndmask_b32_e64 v72, v72, 1, vcc
	v_cmp_eq_u16_sdwa vcc, v62, v61 src0_sel:BYTE_0 src1_sel:DWORD
	v_and_b32_e32 v73, 0xffff, v72
	s_waitcnt lgkmcnt(0)
	v_cndmask_b32_e32 v63, 0, v63, vcc
	v_cmp_gt_u32_e32 vcc, v71, v9
	s_nop 1
	v_cndmask_b32_e32 v62, v72, v62, vcc
	v_cndmask_b32_e64 v63, v63, 0, vcc
	v_cndmask_b32_e32 v7, v73, v7, vcc
	v_cmp_gt_u32_e32 vcc, 56, v66
	v_add_u32_e32 v6, v63, v6
	v_and_b32_e32 v76, 1, v62
	v_cndmask_b32_e64 v72, 0, 1, vcc
	v_lshlrev_b32_e32 v72, 3, v72
	v_add_lshl_u32 v72, v72, v75, 2
	ds_bpermute_b32 v74, v72, v7
	ds_bpermute_b32 v63, v72, v6
	v_cmp_eq_u32_e32 vcc, 1, v76
	v_add_u32_e32 v73, 8, v66
	s_waitcnt lgkmcnt(1)
	v_and_b32_e32 v74, 1, v74
	v_cndmask_b32_e64 v74, v74, 1, vcc
	v_cmp_eq_u16_sdwa vcc, v62, v61 src0_sel:BYTE_0 src1_sel:DWORD
	v_and_b32_e32 v76, 0xffff, v74
	;; [unrolled: 22-line block ×3, first 2 shown]
	s_waitcnt lgkmcnt(0)
	v_cndmask_b32_e32 v63, 0, v63, vcc
	v_cmp_gt_u32_e32 vcc, v76, v9
	s_nop 1
	v_cndmask_b32_e32 v62, v77, v62, vcc
	v_cndmask_b32_e64 v63, v63, 0, vcc
	v_cndmask_b32_e32 v7, v78, v7, vcc
	v_cmp_gt_u32_e32 vcc, 32, v66
	v_add_u32_e32 v6, v63, v6
	s_nop 0
	v_cndmask_b32_e64 v77, 0, 1, vcc
	v_lshlrev_b32_e32 v77, 5, v77
	v_add_lshl_u32 v78, v77, v75, 2
	ds_bpermute_b32 v7, v78, v7
	ds_bpermute_b32 v63, v78, v6
	v_and_b32_e32 v75, 1, v62
	v_cmp_eq_u32_e32 vcc, 1, v75
	s_waitcnt lgkmcnt(1)
	v_and_b32_e32 v7, 1, v7
	v_cndmask_b32_e64 v7, v7, 1, vcc
	v_cmp_eq_u16_sdwa vcc, v62, v61 src0_sel:BYTE_0 src1_sel:DWORD
	s_waitcnt lgkmcnt(0)
	s_nop 0
	v_cndmask_b32_e32 v63, 0, v63, vcc
	v_cmp_gt_u32_e32 vcc, v79, v9
	s_nop 1
	v_cndmask_b32_e64 v9, v63, 0, vcc
	v_cndmask_b32_e32 v7, v7, v62, vcc
	v_add_u32_e32 v6, v9, v6
	s_branch .LBB544_180
.LBB544_179:                            ;   in Loop: Header=BB544_180 Depth=1
	s_or_b64 exec, exec, s[0:1]
	v_cmp_eq_u16_sdwa s[0:1], v8, v3 src0_sel:BYTE_0 src1_sel:DWORD
	ds_bpermute_b32 v63, v67, v7
	v_and_b32_e32 v80, 1, v7
	v_and_b32_e32 v9, s1, v5
	v_or_b32_e32 v9, 0x80000000, v9
	v_and_b32_e32 v62, s0, v4
	v_ffbl_b32_e32 v9, v9
	v_add_u32_e32 v9, 32, v9
	v_ffbl_b32_e32 v62, v62
	v_min_u32_e32 v9, v62, v9
	ds_bpermute_b32 v62, v67, v6
	s_waitcnt lgkmcnt(1)
	v_and_b32_e32 v63, 1, v63
	v_cmp_eq_u32_e32 vcc, 1, v80
	v_cmp_lt_u32_e64 s[0:1], v66, v9
	v_subrev_u32_e32 v60, 64, v60
	v_cndmask_b32_e64 v63, v63, 1, vcc
	v_cmp_gt_u64_e32 vcc, s[58:59], v[6:7]
	v_and_b32_e32 v80, 0xffff, v63
	v_cndmask_b32_e64 v63, v7, v63, s[0:1]
	v_cndmask_b32_e64 v7, v7, v80, s[0:1]
	s_and_b64 vcc, s[0:1], vcc
	ds_bpermute_b32 v80, v68, v7
	s_waitcnt lgkmcnt(1)
	v_cndmask_b32_e32 v62, 0, v62, vcc
	v_add_u32_e32 v6, v62, v6
	ds_bpermute_b32 v62, v68, v6
	v_and_b32_e32 v81, 1, v63
	s_waitcnt lgkmcnt(1)
	v_and_b32_e32 v80, 1, v80
	v_cmp_eq_u32_e32 vcc, 1, v81
	s_nop 1
	v_cndmask_b32_e64 v80, v80, 1, vcc
	v_cmp_eq_u16_sdwa vcc, v63, v61 src0_sel:BYTE_0 src1_sel:DWORD
	v_and_b32_e32 v81, 0xffff, v80
	s_waitcnt lgkmcnt(0)
	v_cndmask_b32_e32 v62, 0, v62, vcc
	v_cmp_gt_u32_e32 vcc, v69, v9
	s_nop 1
	v_cndmask_b32_e32 v7, v81, v7, vcc
	v_cndmask_b32_e32 v63, v80, v63, vcc
	ds_bpermute_b32 v80, v70, v7
	v_cndmask_b32_e64 v62, v62, 0, vcc
	v_add_u32_e32 v6, v62, v6
	ds_bpermute_b32 v62, v70, v6
	v_and_b32_e32 v81, 1, v63
	s_waitcnt lgkmcnt(1)
	v_and_b32_e32 v80, 1, v80
	v_cmp_eq_u32_e32 vcc, 1, v81
	s_nop 1
	v_cndmask_b32_e64 v80, v80, 1, vcc
	v_cmp_eq_u16_sdwa vcc, v63, v61 src0_sel:BYTE_0 src1_sel:DWORD
	v_and_b32_e32 v81, 0xffff, v80
	s_waitcnt lgkmcnt(0)
	v_cndmask_b32_e32 v62, 0, v62, vcc
	v_cmp_gt_u32_e32 vcc, v71, v9
	s_nop 1
	v_cndmask_b32_e32 v7, v81, v7, vcc
	v_cndmask_b32_e32 v63, v80, v63, vcc
	ds_bpermute_b32 v80, v72, v7
	v_cndmask_b32_e64 v62, v62, 0, vcc
	v_add_u32_e32 v6, v62, v6
	ds_bpermute_b32 v62, v72, v6
	v_and_b32_e32 v81, 1, v63
	s_waitcnt lgkmcnt(1)
	v_and_b32_e32 v80, 1, v80
	v_cmp_eq_u32_e32 vcc, 1, v81
	s_nop 1
	v_cndmask_b32_e64 v80, v80, 1, vcc
	v_cmp_eq_u16_sdwa vcc, v63, v61 src0_sel:BYTE_0 src1_sel:DWORD
	v_and_b32_e32 v81, 0xffff, v80
	s_waitcnt lgkmcnt(0)
	v_cndmask_b32_e32 v62, 0, v62, vcc
	v_cmp_gt_u32_e32 vcc, v73, v9
	s_nop 1
	v_cndmask_b32_e32 v7, v81, v7, vcc
	v_cndmask_b32_e32 v63, v80, v63, vcc
	ds_bpermute_b32 v80, v74, v7
	v_cndmask_b32_e64 v62, v62, 0, vcc
	v_add_u32_e32 v6, v62, v6
	ds_bpermute_b32 v62, v74, v6
	v_and_b32_e32 v81, 1, v63
	s_waitcnt lgkmcnt(1)
	v_and_b32_e32 v80, 1, v80
	v_cmp_eq_u32_e32 vcc, 1, v81
	s_nop 1
	v_cndmask_b32_e64 v80, v80, 1, vcc
	v_cmp_eq_u16_sdwa vcc, v63, v61 src0_sel:BYTE_0 src1_sel:DWORD
	v_and_b32_e32 v81, 0xffff, v80
	s_waitcnt lgkmcnt(0)
	v_cndmask_b32_e32 v62, 0, v62, vcc
	v_cmp_gt_u32_e32 vcc, v76, v9
	s_nop 1
	v_cndmask_b32_e64 v62, v62, 0, vcc
	v_cndmask_b32_e32 v7, v81, v7, vcc
	ds_bpermute_b32 v7, v78, v7
	v_add_u32_e32 v6, v62, v6
	ds_bpermute_b32 v62, v78, v6
	v_cndmask_b32_e32 v63, v80, v63, vcc
	v_and_b32_e32 v80, 1, v63
	v_cmp_eq_u32_e32 vcc, 1, v80
	s_waitcnt lgkmcnt(1)
	s_nop 0
	v_cndmask_b32_e64 v7, v7, 1, vcc
	v_cmp_eq_u16_sdwa vcc, v63, v61 src0_sel:BYTE_0 src1_sel:DWORD
	s_waitcnt lgkmcnt(0)
	s_nop 0
	v_cndmask_b32_e32 v62, 0, v62, vcc
	v_cmp_gt_u32_e32 vcc, v79, v9
	s_nop 1
	v_cndmask_b32_e64 v9, v62, 0, vcc
	v_cndmask_b32_e32 v7, v7, v63, vcc
	v_add_u32_e32 v6, v9, v6
	v_cmp_eq_u16_sdwa vcc, v75, v61 src0_sel:BYTE_0 src1_sel:DWORD
	v_and_b32_e32 v9, 1, v75
	v_and_b32_e32 v7, 1, v7
	v_cndmask_b32_e32 v6, 0, v6, vcc
	v_cmp_eq_u32_e32 vcc, 1, v9
	v_add_u32_e32 v6, v6, v77
	s_nop 0
	v_cndmask_b32_e64 v7, v7, 1, vcc
.LBB544_180:                            ; =>This Loop Header: Depth=1
                                        ;     Child Loop BB544_183 Depth 2
                                        ;       Child Loop BB544_184 Depth 3
	v_cmp_ne_u16_sdwa s[0:1], v8, v3 src0_sel:BYTE_0 src1_sel:DWORD
	v_mov_b32_e32 v75, v7
	v_mov_b32_e32 v77, v6
	v_cndmask_b32_e64 v7, 0, 1, s[0:1]
	;;#ASMSTART
	;;#ASMEND
	s_nop 0
	v_cmp_ne_u32_e32 vcc, 0, v7
	s_cmp_lg_u64 vcc, exec
	s_cbranch_scc1 .LBB544_187
; %bb.181:                              ;   in Loop: Header=BB544_180 Depth=1
	v_lshl_add_u64 v[62:63], v[60:61], 4, s[64:65]
	;;#ASMSTART
	global_load_dwordx4 v[6:9], v[62:63] off sc1	
s_waitcnt vmcnt(0)
	;;#ASMEND
	s_nop 0
	v_and_b32_e32 v9, 0xff0000, v6
	v_and_b32_e32 v80, 0xff000000, v6
	v_and_b32_e32 v7, 0xff, v7
	v_or_b32_sdwa v6, v6, v9 dst_sel:DWORD dst_unused:UNUSED_PAD src0_sel:WORD_0 src1_sel:DWORD
	v_or3_b32 v7, 0, 0, v7
	v_or3_b32 v6, v6, v80, 0
	v_cmp_eq_u16_sdwa s[60:61], v8, v61 src0_sel:BYTE_0 src1_sel:DWORD
	s_and_saveexec_b64 s[0:1], s[60:61]
	s_cbranch_execz .LBB544_179
; %bb.182:                              ;   in Loop: Header=BB544_180 Depth=1
	s_mov_b32 s69, 1
	s_mov_b64 s[60:61], 0
.LBB544_183:                            ;   Parent Loop BB544_180 Depth=1
                                        ; =>  This Loop Header: Depth=2
                                        ;       Child Loop BB544_184 Depth 3
	s_max_u32 s75, s69, 1
.LBB544_184:                            ;   Parent Loop BB544_180 Depth=1
                                        ;     Parent Loop BB544_183 Depth=2
                                        ; =>    This Inner Loop Header: Depth=3
	s_add_i32 s75, s75, -1
	s_cmp_eq_u32 s75, 0
	s_sleep 1
	s_cbranch_scc0 .LBB544_184
; %bb.185:                              ;   in Loop: Header=BB544_183 Depth=2
	s_cmp_lt_u32 s69, 32
	s_cselect_b64 s[76:77], -1, 0
	s_cmp_lg_u64 s[76:77], 0
	s_addc_u32 s69, s69, 0
	;;#ASMSTART
	global_load_dwordx4 v[6:9], v[62:63] off sc1	
s_waitcnt vmcnt(0)
	;;#ASMEND
	s_nop 0
	v_cmp_ne_u16_sdwa s[76:77], v8, v61 src0_sel:BYTE_0 src1_sel:DWORD
	s_or_b64 s[60:61], s[76:77], s[60:61]
	s_andn2_b64 exec, exec, s[60:61]
	s_cbranch_execnz .LBB544_183
; %bb.186:                              ;   in Loop: Header=BB544_180 Depth=1
	s_or_b64 exec, exec, s[60:61]
	v_and_b32_e32 v7, 0xff, v7
	s_branch .LBB544_179
.LBB544_187:                            ;   in Loop: Header=BB544_180 Depth=1
                                        ; implicit-def: $vgpr7
                                        ; implicit-def: $vgpr6
                                        ; implicit-def: $vgpr8
	s_cbranch_execz .LBB544_180
; %bb.188:
	s_and_saveexec_b64 s[0:1], s[50:51]
	s_cbranch_execz .LBB544_190
; %bb.189:
	s_and_b32 s50, s68, 0xff
	s_cmp_eq_u32 s50, 0
	s_cselect_b64 vcc, -1, 0
	s_bitcmp1_b32 s68, 0
	s_mov_b32 s51, 0
	s_cselect_b64 s[58:59], -1, 0
	s_add_i32 s50, s67, 64
	s_lshl_b64 s[50:51], s[50:51], 4
	v_cndmask_b32_e32 v3, 0, v77, vcc
	s_add_u32 s50, s64, s50
	v_add_u32_e32 v2, v3, v2
	v_and_b32_e32 v3, 1, v75
	s_addc_u32 s51, s65, s51
	v_mov_b32_e32 v5, 0
	v_cndmask_b32_e64 v3, v3, 1, s[58:59]
	v_mov_b32_e32 v4, 2
	v_mov_b64_e32 v[6:7], s[50:51]
	;;#ASMSTART
	global_store_dwordx4 v[6:7], v[2:5] off sc1	
s_waitcnt vmcnt(0)
	;;#ASMEND
.LBB544_190:
	s_or_b64 exec, exec, s[0:1]
	s_and_b64 exec, exec, s[52:53]
	s_cbranch_execz .LBB544_192
; %bb.191:
	v_mov_b32_e32 v2, 0
	ds_write_b32 v2, v77
	ds_write_b8 v2, v75 offset:4
.LBB544_192:
	s_or_b64 exec, exec, s[56:57]
	v_mov_b32_e32 v2, 0
	s_waitcnt lgkmcnt(0)
	s_barrier
	ds_read_b32 v3, v2
	v_cmp_eq_u16_sdwa vcc, v65, v2 src0_sel:BYTE_0 src1_sel:DWORD
	s_waitcnt lgkmcnt(0)
	s_nop 0
	v_cndmask_b32_e32 v4, 0, v3, vcc
	v_add_u32_e32 v4, v4, v64
	v_cndmask_b32_e64 v60, v4, v3, s[52:53]
	v_and_b32_e32 v3, 0xff, v13
	v_cmp_eq_u64_e32 vcc, 0, v[2:3]
	s_nop 1
	v_cndmask_b32_e32 v2, 0, v60, vcc
	v_add_u32_e32 v61, v2, v12
	v_cndmask_b32_e64 v2, 0, v61, s[6:7]
	v_add_u32_e32 v62, v2, v14
	v_cndmask_b32_e64 v2, 0, v62, s[8:9]
	;; [unrolled: 2-line block ×21, first 2 shown]
	v_add_u32_e32 v82, v2, v54
	s_branch .LBB544_213
.LBB544_193:
                                        ; implicit-def: $vgpr81
                                        ; implicit-def: $vgpr80
                                        ; implicit-def: $vgpr79
                                        ; implicit-def: $vgpr78
                                        ; implicit-def: $vgpr77
                                        ; implicit-def: $vgpr76
                                        ; implicit-def: $vgpr75
                                        ; implicit-def: $vgpr74
                                        ; implicit-def: $vgpr73
                                        ; implicit-def: $vgpr72
                                        ; implicit-def: $vgpr71
                                        ; implicit-def: $vgpr70
                                        ; implicit-def: $vgpr69
                                        ; implicit-def: $vgpr68
                                        ; implicit-def: $vgpr67
                                        ; implicit-def: $vgpr66
                                        ; implicit-def: $vgpr65
                                        ; implicit-def: $vgpr64
                                        ; implicit-def: $vgpr63
                                        ; implicit-def: $vgpr62
                                        ; implicit-def: $vgpr61
                                        ; implicit-def: $vgpr60
                                        ; implicit-def: $vgpr82
	s_cbranch_execz .LBB544_213
; %bb.194:
	s_cmp_lg_u64 s[72:73], 0
	s_cselect_b32 s7, s71, 0
	s_cselect_b32 s6, s70, 0
	s_mov_b32 s0, 0
	s_cmp_eq_u64 s[6:7], 0
	v_mov_b32_e32 v4, s74
	s_cbranch_scc1 .LBB544_196
; %bb.195:
	v_mov_b32_e32 v2, 0
	global_load_dword v4, v2, s[6:7]
.LBB544_196:
	s_mov_b32 s1, 1
	v_cmp_gt_u64_e32 vcc, s[0:1], v[14:15]
	v_cmp_gt_u64_e64 s[6:7], s[0:1], v[16:17]
	v_cmp_gt_u64_e64 s[8:9], s[0:1], v[18:19]
	v_cndmask_b32_e32 v2, 0, v12, vcc
	v_add_u32_e32 v2, v2, v14
	v_cndmask_b32_e64 v2, 0, v2, s[6:7]
	v_add_u32_e32 v2, v2, v16
	v_cndmask_b32_e64 v2, 0, v2, s[8:9]
	v_add_u32_e32 v2, v2, v18
	v_cmp_gt_u64_e64 s[10:11], s[0:1], v[20:21]
	v_cmp_gt_u64_e64 s[12:13], s[0:1], v[22:23]
	v_cmp_gt_u64_e64 s[14:15], s[0:1], v[24:25]
	v_cndmask_b32_e64 v2, 0, v2, s[10:11]
	v_add_u32_e32 v2, v2, v20
	v_cndmask_b32_e64 v2, 0, v2, s[12:13]
	v_add_u32_e32 v2, v2, v22
	v_cndmask_b32_e64 v2, 0, v2, s[14:15]
	v_add_u32_e32 v2, v2, v24
	v_cmp_gt_u64_e64 s[16:17], s[0:1], v[26:27]
	v_cmp_gt_u64_e64 s[18:19], s[0:1], v[28:29]
	v_cmp_gt_u64_e64 s[20:21], s[0:1], v[30:31]
	v_cndmask_b32_e64 v2, 0, v2, s[16:17]
	;; [unrolled: 9-line block ×6, first 2 shown]
	v_add_u32_e32 v2, v2, v50
	v_cndmask_b32_e64 v2, 0, v2, s[44:45]
	v_add_u32_e32 v2, v2, v52
	v_cndmask_b32_e64 v2, 0, v2, s[46:47]
	v_add_u32_e32 v2, v2, v54
	v_cmp_gt_u64_e64 s[0:1], s[0:1], v[58:59]
	v_add_lshl_u32 v1, v1, v0, 3
	s_nop 0
	v_cndmask_b32_e64 v2, 0, v2, s[0:1]
	v_add_u32_e32 v5, v2, v58
	v_or3_b32 v2, v57, v53, v51
	v_or3_b32 v2, v2, v49, v47
	;; [unrolled: 1-line block ×10, first 2 shown]
	v_and_b32_e32 v2, 1, v2
	v_cmp_eq_u32_e64 s[0:1], 1, v2
	s_nop 1
	v_cndmask_b32_e64 v6, v13, 1, s[0:1]
	v_cmp_gt_u32_e64 s[0:1], 64, v0
	ds_write_b32 v1, v5
	ds_write_b8 v1, v6 offset:4
	s_waitcnt lgkmcnt(0)
	s_barrier
	s_and_saveexec_b64 s[48:49], s[0:1]
	s_cbranch_execz .LBB544_208
; %bb.197:
	v_lshrrev_b32_e32 v1, 3, v0
	v_add_lshl_u32 v1, v1, v56, 3
	ds_read2_b32 v[8:9], v1 offset0:2 offset1:4
	ds_read_b64 v[2:3], v1
	ds_read_u8 v15, v1 offset:12
	ds_read_u8 v17, v1 offset:20
	ds_read_b32 v19, v1 offset:24
	ds_read_u8 v21, v1 offset:28
	v_mov_b32_e32 v23, 0
	s_waitcnt lgkmcnt(3)
	v_cmp_eq_u16_sdwa s[0:1], v15, v23 src0_sel:BYTE_0 src1_sel:DWORD
	v_and_b32_e32 v7, 1, v3
	s_nop 0
	v_cndmask_b32_e64 v25, 0, v2, s[0:1]
	v_add_u32_e32 v8, v25, v8
	s_waitcnt lgkmcnt(2)
	v_cmp_eq_u16_sdwa s[0:1], v17, v23 src0_sel:BYTE_0 src1_sel:DWORD
	s_nop 1
	v_cndmask_b32_e64 v8, 0, v8, s[0:1]
	v_add_u32_e32 v8, v8, v9
	s_waitcnt lgkmcnt(0)
	v_cmp_eq_u16_e64 s[0:1], 0, v21
	s_nop 1
	v_cndmask_b32_e64 v8, 0, v8, s[0:1]
	v_add_u32_e32 v9, v8, v19
	v_or_b32_e32 v8, v21, v17
	v_or_b32_e32 v8, v8, v15
	v_and_b32_e32 v8, 1, v8
	v_cmp_eq_u32_e64 s[0:1], 1, v8
	v_mbcnt_lo_u32_b32 v15, -1, 0
	v_and_b32_e32 v8, 0xffffff00, v3
	v_cndmask_b32_e64 v17, v7, 1, s[0:1]
	v_mbcnt_hi_u32_b32 v15, -1, v15
	v_and_b32_e32 v21, 15, v15
	v_or_b32_sdwa v19, v8, v17 dst_sel:DWORD dst_unused:UNUSED_PAD src0_sel:DWORD src1_sel:WORD_0
	v_mov_b32_dpp v23, v9 row_shr:1 row_mask:0xf bank_mask:0xf
	v_cmp_ne_u32_e64 s[0:1], 0, v21
	v_mov_b32_dpp v25, v19 row_shr:1 row_mask:0xf bank_mask:0xf
	s_and_saveexec_b64 s[50:51], s[0:1]
; %bb.198:
	v_and_b32_e32 v19, 1, v17
	v_and_b32_e32 v25, 1, v25
	v_cmp_eq_u32_e64 s[0:1], 1, v19
	s_nop 1
	v_cndmask_b32_e64 v25, v25, 1, s[0:1]
	v_cmp_eq_u16_e64 s[0:1], 0, v17
	v_or_b32_sdwa v19, v8, v25 dst_sel:DWORD dst_unused:UNUSED_PAD src0_sel:DWORD src1_sel:WORD_0
	s_nop 0
	v_cndmask_b32_e64 v17, 0, v23, s[0:1]
	v_add_u32_e32 v9, v17, v9
	v_mov_b32_e32 v17, v25
; %bb.199:
	s_or_b64 exec, exec, s[50:51]
	v_mov_b32_dpp v23, v9 row_shr:2 row_mask:0xf bank_mask:0xf
	v_mov_b32_dpp v25, v19 row_shr:2 row_mask:0xf bank_mask:0xf
	v_cmp_lt_u32_e64 s[0:1], 1, v21
	s_and_saveexec_b64 s[50:51], s[0:1]
; %bb.200:
	v_and_b32_e32 v19, 1, v17
	v_and_b32_e32 v25, 1, v25
	v_cmp_eq_u32_e64 s[0:1], 1, v19
	s_nop 1
	v_cndmask_b32_e64 v25, v25, 1, s[0:1]
	v_cmp_eq_u16_e64 s[0:1], 0, v17
	v_or_b32_sdwa v19, v8, v25 dst_sel:DWORD dst_unused:UNUSED_PAD src0_sel:DWORD src1_sel:WORD_0
	s_nop 0
	v_cndmask_b32_e64 v17, 0, v23, s[0:1]
	v_add_u32_e32 v9, v17, v9
	v_mov_b32_e32 v17, v25
; %bb.201:
	s_or_b64 exec, exec, s[50:51]
	v_mov_b32_dpp v23, v9 row_shr:4 row_mask:0xf bank_mask:0xf
	v_mov_b32_dpp v25, v19 row_shr:4 row_mask:0xf bank_mask:0xf
	v_cmp_lt_u32_e64 s[0:1], 3, v21
	;; [unrolled: 18-line block ×3, first 2 shown]
	s_and_saveexec_b64 s[50:51], s[0:1]
; %bb.204:
	v_and_b32_e32 v19, 1, v17
	v_and_b32_e32 v21, 1, v25
	v_cmp_eq_u32_e64 s[0:1], 1, v19
	s_nop 1
	v_cndmask_b32_e64 v21, v21, 1, s[0:1]
	v_cmp_eq_u16_e64 s[0:1], 0, v17
	v_or_b32_sdwa v19, v8, v21 dst_sel:DWORD dst_unused:UNUSED_PAD src0_sel:DWORD src1_sel:WORD_0
	s_nop 0
	v_cndmask_b32_e64 v17, 0, v23, s[0:1]
	v_add_u32_e32 v9, v17, v9
	v_mov_b32_e32 v17, v21
; %bb.205:
	s_or_b64 exec, exec, s[50:51]
	v_and_b32_e32 v25, 16, v15
	v_mov_b32_dpp v21, v9 row_bcast:15 row_mask:0xf bank_mask:0xf
	v_mov_b32_dpp v23, v19 row_bcast:15 row_mask:0xf bank_mask:0xf
	v_cmp_ne_u32_e64 s[0:1], 0, v25
	s_and_saveexec_b64 s[50:51], s[0:1]
; %bb.206:
	v_and_b32_e32 v19, 1, v17
	v_and_b32_e32 v23, 1, v23
	v_cmp_eq_u32_e64 s[0:1], 1, v19
	s_nop 1
	v_cndmask_b32_e64 v23, v23, 1, s[0:1]
	v_cmp_eq_u16_e64 s[0:1], 0, v17
	v_or_b32_sdwa v19, v8, v23 dst_sel:DWORD dst_unused:UNUSED_PAD src0_sel:DWORD src1_sel:WORD_0
	s_nop 0
	v_cndmask_b32_e64 v17, 0, v21, s[0:1]
	v_add_u32_e32 v9, v17, v9
	v_mov_b32_e32 v17, v23
; %bb.207:
	s_or_b64 exec, exec, s[50:51]
	v_mov_b32_dpp v19, v19 row_bcast:31 row_mask:0xf bank_mask:0xf
	v_and_b32_e32 v23, 1, v17
	v_and_b32_e32 v19, 1, v19
	v_cmp_eq_u32_e64 s[0:1], 1, v23
	v_mov_b32_e32 v23, 0
	v_cmp_eq_u16_sdwa s[50:51], v17, v23 src0_sel:BYTE_0 src1_sel:DWORD
	v_cndmask_b32_e64 v19, v19, 1, s[0:1]
	v_cmp_lt_u32_e64 s[0:1], 31, v15
	v_mov_b32_dpp v21, v9 row_bcast:31 row_mask:0xf bank_mask:0xf
	s_movk_i32 s56, 0xff
	v_cndmask_b32_e64 v17, v17, v19, s[0:1]
	s_and_b64 s[0:1], s[0:1], s[50:51]
	v_cndmask_b32_e64 v19, 0, v21, s[0:1]
	v_add_u32_e32 v9, v19, v9
	v_add_u32_e32 v19, -1, v15
	v_and_b32_e32 v21, 64, v15
	v_cmp_lt_i32_e64 s[0:1], v19, v21
	v_and_or_b32 v8, v17, s56, v8
	s_nop 0
	v_cndmask_b32_e64 v15, v19, v15, s[0:1]
	v_lshlrev_b32_e32 v15, 2, v15
	ds_bpermute_b32 v9, v15, v9
	ds_bpermute_b32 v8, v15, v8
	v_cmp_eq_u16_sdwa s[0:1], v3, v23 src0_sel:BYTE_0 src1_sel:DWORD
	; wave barrier
	s_waitcnt lgkmcnt(1)
	s_nop 0
	v_cndmask_b32_e64 v3, 0, v9, s[0:1]
	v_add_u32_e32 v2, v3, v2
	s_waitcnt lgkmcnt(0)
	v_and_b32_e32 v3, 1, v8
	v_cmp_eq_u32_e64 s[0:1], 1, v7
	v_cndmask_b32_e64 v5, v2, v5, s[52:53]
	s_nop 0
	v_cndmask_b32_e64 v3, v3, 1, s[0:1]
	v_cndmask_b32_e64 v6, v3, v6, s[52:53]
	ds_write_b32 v1, v5
	ds_write_b8 v1, v6 offset:4
	; wave barrier
	ds_read_u8 v7, v1 offset:12
	ds_read2_b32 v[2:3], v1 offset0:2 offset1:4
	ds_read_u8 v8, v1 offset:20
	ds_read_b32 v9, v1 offset:24
	ds_read_u8 v15, v1 offset:28
	s_waitcnt lgkmcnt(4)
	v_cmp_eq_u16_e64 s[0:1], 0, v7
	s_nop 1
	v_cndmask_b32_e64 v5, 0, v5, s[0:1]
	s_waitcnt lgkmcnt(3)
	v_add_u32_e32 v2, v5, v2
	v_and_b32_e32 v5, 1, v7
	v_cmp_eq_u32_e64 s[0:1], 1, v5
	s_nop 1
	v_cndmask_b32_e64 v5, v6, 1, s[0:1]
	s_waitcnt lgkmcnt(2)
	v_cmp_eq_u16_e64 s[0:1], 0, v8
	ds_write_b8 v1, v5 offset:12
	s_nop 0
	v_cndmask_b32_e64 v6, 0, v2, s[0:1]
	v_add_u32_e32 v3, v6, v3
	v_and_b32_e32 v6, 1, v8
	v_cmp_eq_u32_e64 s[0:1], 1, v6
	s_nop 1
	v_cndmask_b32_e64 v5, v5, 1, s[0:1]
	s_waitcnt lgkmcnt(1)
	v_cmp_eq_u16_e64 s[0:1], 0, v15
	ds_write2_b32 v1, v2, v3 offset0:2 offset1:4
	ds_write_b8 v1, v5 offset:20
	v_cndmask_b32_e64 v2, 0, v3, s[0:1]
	v_and_b32_e32 v3, 1, v15
	v_add_u32_e32 v2, v2, v9
	v_cmp_eq_u32_e64 s[0:1], 1, v3
	s_nop 1
	v_cndmask_b32_e64 v3, v5, 1, s[0:1]
	ds_write_b32 v1, v2 offset:24
	ds_write_b8 v1, v3 offset:28
.LBB544_208:
	s_or_b64 exec, exec, s[48:49]
	s_waitcnt vmcnt(0)
	v_mov_b32_e32 v60, v4
	s_waitcnt lgkmcnt(0)
	s_barrier
	s_and_saveexec_b64 s[48:49], s[4:5]
	s_cbranch_execz .LBB544_210
; %bb.209:
	v_add_u32_e32 v1, -1, v0
	v_lshrrev_b32_e32 v2, 5, v1
	v_add_lshl_u32 v1, v2, v1, 3
	ds_read_u8 v2, v1 offset:4
	ds_read_b32 v1, v1
	s_waitcnt lgkmcnt(1)
	v_cmp_eq_u16_e64 s[0:1], 0, v2
	s_nop 1
	v_cndmask_b32_e64 v2, 0, v4, s[0:1]
	s_waitcnt lgkmcnt(0)
	v_add_u32_e32 v60, v2, v1
.LBB544_210:
	s_or_b64 exec, exec, s[48:49]
	v_and_b32_e32 v3, 0xff, v13
	v_mov_b32_e32 v2, 0
	v_cmp_eq_u64_e64 s[0:1], 0, v[2:3]
	s_nop 1
	v_cndmask_b32_e64 v1, 0, v60, s[0:1]
	v_add_u32_e32 v61, v1, v12
	v_cndmask_b32_e32 v1, 0, v61, vcc
	v_add_u32_e32 v62, v1, v14
	v_cndmask_b32_e64 v1, 0, v62, s[6:7]
	v_add_u32_e32 v63, v1, v16
	v_cndmask_b32_e64 v1, 0, v63, s[8:9]
	;; [unrolled: 2-line block ×20, first 2 shown]
	s_and_saveexec_b64 s[0:1], s[52:53]
	s_cbranch_execz .LBB544_212
; %bb.211:
	ds_read_u8 v3, v2 offset:2100
	ds_read_b32 v5, v2 offset:2096
	s_add_u32 s4, s64, 0x400
	s_addc_u32 s5, s65, 0
	v_mov_b32_e32 v6, 2
	s_waitcnt lgkmcnt(1)
	v_cmp_eq_u16_e32 vcc, 0, v3
	v_mov_b32_e32 v7, v2
	s_nop 0
	v_cndmask_b32_e32 v4, 0, v4, vcc
	s_waitcnt lgkmcnt(0)
	v_add_u32_e32 v4, v4, v5
	v_and_b32_e32 v5, 0xffff, v3
	v_mov_b64_e32 v[2:3], s[4:5]
	;;#ASMSTART
	global_store_dwordx4 v[2:3], v[4:7] off sc1	
s_waitcnt vmcnt(0)
	;;#ASMEND
.LBB544_212:
	s_or_b64 exec, exec, s[0:1]
	v_add_u32_e32 v82, v1, v54
.LBB544_213:
	s_add_u32 s0, s62, s54
	s_addc_u32 s1, s63, s55
	v_lshl_add_u64 v[2:3], s[0:1], 0, v[10:11]
	s_and_b64 vcc, exec, s[2:3]
	s_cbranch_vccz .LBB544_259
; %bb.214:
	s_movk_i32 s0, 0x5c
	v_mul_i32_i24_e32 v28, 0xffffffa8, v0
	v_mul_u32_u24_e32 v1, 0x5c, v0
	v_mad_u32_u24 v4, v0, s0, v28
	s_barrier
	ds_write2_b32 v1, v60, v61 offset1:1
	ds_write2_b32 v1, v62, v63 offset0:2 offset1:3
	ds_write2_b32 v1, v64, v65 offset0:4 offset1:5
	;; [unrolled: 1-line block ×10, first 2 shown]
	ds_write_b32 v1, v82 offset:88
	s_waitcnt lgkmcnt(0)
	s_barrier
	ds_read2st64_b32 v[26:27], v4 offset0:4 offset1:8
	ds_read2st64_b32 v[24:25], v4 offset0:12 offset1:16
	;; [unrolled: 1-line block ×11, first 2 shown]
	s_add_i32 s33, s33, s66
	v_mov_b32_e32 v57, 0
	v_lshl_add_u64 v[6:7], v[2:3], 0, v[56:57]
	v_cmp_gt_u32_e32 vcc, s33, v0
	s_and_saveexec_b64 s[0:1], vcc
	s_cbranch_execz .LBB544_216
; %bb.215:
	v_add_u32_e32 v1, v1, v28
	ds_read_b32 v1, v1
	s_waitcnt lgkmcnt(0)
	flat_store_dword v[6:7], v1
.LBB544_216:
	s_or_b64 exec, exec, s[0:1]
	v_or_b32_e32 v1, 0x100, v0
	v_cmp_gt_u32_e32 vcc, s33, v1
	s_and_saveexec_b64 s[0:1], vcc
	s_cbranch_execz .LBB544_218
; %bb.217:
	s_waitcnt lgkmcnt(0)
	flat_store_dword v[6:7], v26 offset:1024
.LBB544_218:
	s_or_b64 exec, exec, s[0:1]
	v_or_b32_e32 v1, 0x200, v0
	v_cmp_gt_u32_e32 vcc, s33, v1
	s_and_saveexec_b64 s[0:1], vcc
	s_cbranch_execz .LBB544_220
; %bb.219:
	s_waitcnt lgkmcnt(0)
	flat_store_dword v[6:7], v27 offset:2048
.LBB544_220:
	;; [unrolled: 9-line block ×3, first 2 shown]
	s_or_b64 exec, exec, s[0:1]
	v_or_b32_e32 v1, 0x400, v0
	v_cmp_gt_u32_e32 vcc, s33, v1
	s_and_saveexec_b64 s[0:1], vcc
	s_cbranch_execz .LBB544_224
; %bb.223:
	s_waitcnt lgkmcnt(0)
	v_add_co_u32_e32 v26, vcc, 0x1000, v6
	s_nop 1
	v_addc_co_u32_e32 v27, vcc, 0, v7, vcc
	flat_store_dword v[26:27], v25
.LBB544_224:
	s_or_b64 exec, exec, s[0:1]
	v_or_b32_e32 v1, 0x500, v0
	v_cmp_gt_u32_e32 vcc, s33, v1
	s_and_saveexec_b64 s[0:1], vcc
	s_cbranch_execz .LBB544_226
; %bb.225:
	s_waitcnt lgkmcnt(0)
	v_add_co_u32_e32 v24, vcc, 0x1000, v6
	s_nop 1
	v_addc_co_u32_e32 v25, vcc, 0, v7, vcc
	flat_store_dword v[24:25], v22 offset:1024
.LBB544_226:
	s_or_b64 exec, exec, s[0:1]
	v_or_b32_e32 v1, 0x600, v0
	v_cmp_gt_u32_e32 vcc, s33, v1
	s_and_saveexec_b64 s[0:1], vcc
	s_cbranch_execz .LBB544_228
; %bb.227:
	s_waitcnt lgkmcnt(0)
	v_add_co_u32_e32 v24, vcc, 0x1000, v6
	s_nop 1
	v_addc_co_u32_e32 v25, vcc, 0, v7, vcc
	flat_store_dword v[24:25], v23 offset:2048
.LBB544_228:
	s_or_b64 exec, exec, s[0:1]
	v_or_b32_e32 v1, 0x700, v0
	v_cmp_gt_u32_e32 vcc, s33, v1
	s_and_saveexec_b64 s[0:1], vcc
	s_cbranch_execz .LBB544_230
; %bb.229:
	s_waitcnt lgkmcnt(0)
	v_add_co_u32_e32 v22, vcc, 0x1000, v6
	s_nop 1
	v_addc_co_u32_e32 v23, vcc, 0, v7, vcc
	flat_store_dword v[22:23], v20 offset:3072
.LBB544_230:
	s_or_b64 exec, exec, s[0:1]
	v_or_b32_e32 v1, 0x800, v0
	v_cmp_gt_u32_e32 vcc, s33, v1
	s_and_saveexec_b64 s[0:1], vcc
	s_cbranch_execz .LBB544_232
; %bb.231:
	s_waitcnt lgkmcnt(0)
	v_add_co_u32_e32 v22, vcc, 0x2000, v6
	s_nop 1
	v_addc_co_u32_e32 v23, vcc, 0, v7, vcc
	flat_store_dword v[22:23], v21
.LBB544_232:
	s_or_b64 exec, exec, s[0:1]
	v_or_b32_e32 v1, 0x900, v0
	v_cmp_gt_u32_e32 vcc, s33, v1
	s_and_saveexec_b64 s[0:1], vcc
	s_cbranch_execz .LBB544_234
; %bb.233:
	s_waitcnt lgkmcnt(0)
	v_add_co_u32_e32 v20, vcc, 0x2000, v6
	s_nop 1
	v_addc_co_u32_e32 v21, vcc, 0, v7, vcc
	flat_store_dword v[20:21], v18 offset:1024
.LBB544_234:
	s_or_b64 exec, exec, s[0:1]
	v_or_b32_e32 v1, 0xa00, v0
	v_cmp_gt_u32_e32 vcc, s33, v1
	s_and_saveexec_b64 s[0:1], vcc
	s_cbranch_execz .LBB544_236
; %bb.235:
	s_waitcnt lgkmcnt(0)
	v_add_co_u32_e32 v20, vcc, 0x2000, v6
	s_nop 1
	v_addc_co_u32_e32 v21, vcc, 0, v7, vcc
	flat_store_dword v[20:21], v19 offset:2048
.LBB544_236:
	s_or_b64 exec, exec, s[0:1]
	v_or_b32_e32 v1, 0xb00, v0
	v_cmp_gt_u32_e32 vcc, s33, v1
	s_and_saveexec_b64 s[0:1], vcc
	s_cbranch_execz .LBB544_238
; %bb.237:
	s_waitcnt lgkmcnt(0)
	v_add_co_u32_e32 v18, vcc, 0x2000, v6
	s_nop 1
	v_addc_co_u32_e32 v19, vcc, 0, v7, vcc
	flat_store_dword v[18:19], v16 offset:3072
.LBB544_238:
	;; [unrolled: 48-line block ×4, first 2 shown]
	s_or_b64 exec, exec, s[0:1]
	v_or_b32_e32 v1, 0x1400, v0
	v_cmp_gt_u32_e32 vcc, s33, v1
	s_and_saveexec_b64 s[0:1], vcc
	s_cbranch_execz .LBB544_256
; %bb.255:
	s_waitcnt lgkmcnt(0)
	v_add_co_u32_e32 v10, vcc, 0x5000, v6
	s_nop 1
	v_addc_co_u32_e32 v11, vcc, 0, v7, vcc
	flat_store_dword v[10:11], v9
.LBB544_256:
	s_or_b64 exec, exec, s[0:1]
	v_or_b32_e32 v1, 0x1500, v0
	v_cmp_gt_u32_e32 vcc, s33, v1
	s_and_saveexec_b64 s[0:1], vcc
	s_cbranch_execz .LBB544_258
; %bb.257:
	v_add_co_u32_e32 v6, vcc, 0x5000, v6
	s_nop 1
	v_addc_co_u32_e32 v7, vcc, 0, v7, vcc
	s_waitcnt lgkmcnt(0)
	flat_store_dword v[6:7], v4 offset:1024
.LBB544_258:
	s_or_b64 exec, exec, s[0:1]
	s_waitcnt lgkmcnt(0)
	v_or_b32_e32 v4, 0x1600, v0
	v_mov_b32_e32 v1, v57
	v_cmp_gt_u32_e64 s[0:1], s33, v4
	s_branch .LBB544_261
.LBB544_259:
	s_mov_b64 s[0:1], 0
                                        ; implicit-def: $vgpr5
	s_cbranch_execz .LBB544_261
; %bb.260:
	v_mul_u32_u24_e32 v1, 0x5c, v0
	s_barrier
	s_movk_i32 s2, 0x5c
	ds_write2_b32 v1, v60, v61 offset1:1
	ds_write2_b32 v1, v62, v63 offset0:2 offset1:3
	ds_write2_b32 v1, v64, v65 offset0:4 offset1:5
	ds_write2_b32 v1, v66, v67 offset0:6 offset1:7
	ds_write2_b32 v1, v68, v69 offset0:8 offset1:9
	ds_write2_b32 v1, v70, v71 offset0:10 offset1:11
	ds_write2_b32 v1, v72, v73 offset0:12 offset1:13
	ds_write2_b32 v1, v74, v75 offset0:14 offset1:15
	ds_write2_b32 v1, v76, v77 offset0:16 offset1:17
	ds_write2_b32 v1, v78, v79 offset0:18 offset1:19
	ds_write2_b32 v1, v80, v81 offset0:20 offset1:21
	ds_write_b32 v1, v82 offset:88
	v_mov_b32_e32 v1, 0
	v_mul_i32_i24_e32 v4, 0xffffffa8, v0
	v_mad_u32_u24 v4, v0, s2, v4
	v_mov_b32_e32 v57, v1
	s_waitcnt lgkmcnt(0)
	s_barrier
	ds_read2st64_b32 v[6:7], v4 offset1:4
	ds_read2st64_b32 v[8:9], v4 offset0:8 offset1:12
	ds_read2st64_b32 v[10:11], v4 offset0:16 offset1:20
	;; [unrolled: 1-line block ×10, first 2 shown]
	ds_read_b32 v5, v4 offset:22528
	v_lshl_add_u64 v[28:29], v[2:3], 0, v[56:57]
	s_movk_i32 s2, 0x1000
	s_waitcnt lgkmcnt(0)
	flat_store_dword v[28:29], v6
	flat_store_dword v[28:29], v7 offset:1024
	flat_store_dword v[28:29], v8 offset:2048
	;; [unrolled: 1-line block ×3, first 2 shown]
	v_add_co_u32_e32 v6, vcc, s2, v28
	s_movk_i32 s2, 0x2000
	s_nop 0
	v_addc_co_u32_e32 v7, vcc, 0, v29, vcc
	flat_store_dword v[6:7], v10
	flat_store_dword v[6:7], v11 offset:1024
	flat_store_dword v[6:7], v12 offset:2048
	;; [unrolled: 1-line block ×3, first 2 shown]
	v_add_co_u32_e32 v6, vcc, s2, v28
	s_movk_i32 s2, 0x3000
	s_nop 0
	v_addc_co_u32_e32 v7, vcc, 0, v29, vcc
	flat_store_dword v[6:7], v14
	flat_store_dword v[6:7], v15 offset:1024
	flat_store_dword v[6:7], v16 offset:2048
	;; [unrolled: 1-line block ×3, first 2 shown]
	v_add_co_u32_e32 v6, vcc, s2, v28
	s_or_b64 s[0:1], s[0:1], exec
	s_nop 0
	v_addc_co_u32_e32 v7, vcc, 0, v29, vcc
	flat_store_dword v[6:7], v18
	flat_store_dword v[6:7], v19 offset:1024
	flat_store_dword v[6:7], v20 offset:2048
	;; [unrolled: 1-line block ×3, first 2 shown]
	v_add_co_u32_e32 v6, vcc, 0x4000, v28
	s_nop 1
	v_addc_co_u32_e32 v7, vcc, 0, v29, vcc
	flat_store_dword v[6:7], v22
	flat_store_dword v[6:7], v23 offset:1024
	flat_store_dword v[6:7], v24 offset:2048
	;; [unrolled: 1-line block ×3, first 2 shown]
	v_add_co_u32_e32 v6, vcc, 0x5000, v28
	s_nop 1
	v_addc_co_u32_e32 v7, vcc, 0, v29, vcc
	flat_store_dword v[6:7], v26
	flat_store_dword v[6:7], v27 offset:1024
.LBB544_261:
	s_and_saveexec_b64 s[2:3], s[0:1]
	s_cbranch_execz .LBB544_263
; %bb.262:
	v_lshl_add_u64 v[0:1], v[0:1], 2, v[2:3]
	v_add_co_u32_e32 v0, vcc, 0x5000, v0
	s_nop 1
	v_addc_co_u32_e32 v1, vcc, 0, v1, vcc
	flat_store_dword v[0:1], v5 offset:2048
	s_endpgm
.LBB544_263:
	s_endpgm
	.section	.rodata,"a",@progbits
	.p2align	6, 0x0
	.amdhsa_kernel _ZN7rocprim17ROCPRIM_400000_NS6detail17trampoline_kernelINS0_14default_configENS1_27scan_by_key_config_selectorIiiEEZZNS1_16scan_by_key_implILNS1_25lookback_scan_determinismE0ELb1ES3_N6thrust23THRUST_200600_302600_NS6detail15normal_iteratorINS9_10device_ptrIiEEEESE_SE_iNS9_4plusIvEENS9_8equal_toIiEEiEE10hipError_tPvRmT2_T3_T4_T5_mT6_T7_P12ihipStream_tbENKUlT_T0_E_clISt17integral_constantIbLb1EESZ_EEDaSU_SV_EUlSU_E_NS1_11comp_targetILNS1_3genE5ELNS1_11target_archE942ELNS1_3gpuE9ELNS1_3repE0EEENS1_30default_config_static_selectorELNS0_4arch9wavefront6targetE1EEEvT1_
		.amdhsa_group_segment_fixed_size 25600
		.amdhsa_private_segment_fixed_size 0
		.amdhsa_kernarg_size 112
		.amdhsa_user_sgpr_count 2
		.amdhsa_user_sgpr_dispatch_ptr 0
		.amdhsa_user_sgpr_queue_ptr 0
		.amdhsa_user_sgpr_kernarg_segment_ptr 1
		.amdhsa_user_sgpr_dispatch_id 0
		.amdhsa_user_sgpr_kernarg_preload_length 0
		.amdhsa_user_sgpr_kernarg_preload_offset 0
		.amdhsa_user_sgpr_private_segment_size 0
		.amdhsa_uses_dynamic_stack 0
		.amdhsa_enable_private_segment 0
		.amdhsa_system_sgpr_workgroup_id_x 1
		.amdhsa_system_sgpr_workgroup_id_y 0
		.amdhsa_system_sgpr_workgroup_id_z 0
		.amdhsa_system_sgpr_workgroup_info 0
		.amdhsa_system_vgpr_workitem_id 0
		.amdhsa_next_free_vgpr 83
		.amdhsa_next_free_sgpr 80
		.amdhsa_accum_offset 84
		.amdhsa_reserve_vcc 1
		.amdhsa_float_round_mode_32 0
		.amdhsa_float_round_mode_16_64 0
		.amdhsa_float_denorm_mode_32 3
		.amdhsa_float_denorm_mode_16_64 3
		.amdhsa_dx10_clamp 1
		.amdhsa_ieee_mode 1
		.amdhsa_fp16_overflow 0
		.amdhsa_tg_split 0
		.amdhsa_exception_fp_ieee_invalid_op 0
		.amdhsa_exception_fp_denorm_src 0
		.amdhsa_exception_fp_ieee_div_zero 0
		.amdhsa_exception_fp_ieee_overflow 0
		.amdhsa_exception_fp_ieee_underflow 0
		.amdhsa_exception_fp_ieee_inexact 0
		.amdhsa_exception_int_div_zero 0
	.end_amdhsa_kernel
	.section	.text._ZN7rocprim17ROCPRIM_400000_NS6detail17trampoline_kernelINS0_14default_configENS1_27scan_by_key_config_selectorIiiEEZZNS1_16scan_by_key_implILNS1_25lookback_scan_determinismE0ELb1ES3_N6thrust23THRUST_200600_302600_NS6detail15normal_iteratorINS9_10device_ptrIiEEEESE_SE_iNS9_4plusIvEENS9_8equal_toIiEEiEE10hipError_tPvRmT2_T3_T4_T5_mT6_T7_P12ihipStream_tbENKUlT_T0_E_clISt17integral_constantIbLb1EESZ_EEDaSU_SV_EUlSU_E_NS1_11comp_targetILNS1_3genE5ELNS1_11target_archE942ELNS1_3gpuE9ELNS1_3repE0EEENS1_30default_config_static_selectorELNS0_4arch9wavefront6targetE1EEEvT1_,"axG",@progbits,_ZN7rocprim17ROCPRIM_400000_NS6detail17trampoline_kernelINS0_14default_configENS1_27scan_by_key_config_selectorIiiEEZZNS1_16scan_by_key_implILNS1_25lookback_scan_determinismE0ELb1ES3_N6thrust23THRUST_200600_302600_NS6detail15normal_iteratorINS9_10device_ptrIiEEEESE_SE_iNS9_4plusIvEENS9_8equal_toIiEEiEE10hipError_tPvRmT2_T3_T4_T5_mT6_T7_P12ihipStream_tbENKUlT_T0_E_clISt17integral_constantIbLb1EESZ_EEDaSU_SV_EUlSU_E_NS1_11comp_targetILNS1_3genE5ELNS1_11target_archE942ELNS1_3gpuE9ELNS1_3repE0EEENS1_30default_config_static_selectorELNS0_4arch9wavefront6targetE1EEEvT1_,comdat
.Lfunc_end544:
	.size	_ZN7rocprim17ROCPRIM_400000_NS6detail17trampoline_kernelINS0_14default_configENS1_27scan_by_key_config_selectorIiiEEZZNS1_16scan_by_key_implILNS1_25lookback_scan_determinismE0ELb1ES3_N6thrust23THRUST_200600_302600_NS6detail15normal_iteratorINS9_10device_ptrIiEEEESE_SE_iNS9_4plusIvEENS9_8equal_toIiEEiEE10hipError_tPvRmT2_T3_T4_T5_mT6_T7_P12ihipStream_tbENKUlT_T0_E_clISt17integral_constantIbLb1EESZ_EEDaSU_SV_EUlSU_E_NS1_11comp_targetILNS1_3genE5ELNS1_11target_archE942ELNS1_3gpuE9ELNS1_3repE0EEENS1_30default_config_static_selectorELNS0_4arch9wavefront6targetE1EEEvT1_, .Lfunc_end544-_ZN7rocprim17ROCPRIM_400000_NS6detail17trampoline_kernelINS0_14default_configENS1_27scan_by_key_config_selectorIiiEEZZNS1_16scan_by_key_implILNS1_25lookback_scan_determinismE0ELb1ES3_N6thrust23THRUST_200600_302600_NS6detail15normal_iteratorINS9_10device_ptrIiEEEESE_SE_iNS9_4plusIvEENS9_8equal_toIiEEiEE10hipError_tPvRmT2_T3_T4_T5_mT6_T7_P12ihipStream_tbENKUlT_T0_E_clISt17integral_constantIbLb1EESZ_EEDaSU_SV_EUlSU_E_NS1_11comp_targetILNS1_3genE5ELNS1_11target_archE942ELNS1_3gpuE9ELNS1_3repE0EEENS1_30default_config_static_selectorELNS0_4arch9wavefront6targetE1EEEvT1_
                                        ; -- End function
	.section	.AMDGPU.csdata,"",@progbits
; Kernel info:
; codeLenInByte = 15924
; NumSgprs: 86
; NumVgprs: 83
; NumAgprs: 0
; TotalNumVgprs: 83
; ScratchSize: 0
; MemoryBound: 0
; FloatMode: 240
; IeeeMode: 1
; LDSByteSize: 25600 bytes/workgroup (compile time only)
; SGPRBlocks: 10
; VGPRBlocks: 10
; NumSGPRsForWavesPerEU: 86
; NumVGPRsForWavesPerEU: 83
; AccumOffset: 84
; Occupancy: 2
; WaveLimiterHint : 1
; COMPUTE_PGM_RSRC2:SCRATCH_EN: 0
; COMPUTE_PGM_RSRC2:USER_SGPR: 2
; COMPUTE_PGM_RSRC2:TRAP_HANDLER: 0
; COMPUTE_PGM_RSRC2:TGID_X_EN: 1
; COMPUTE_PGM_RSRC2:TGID_Y_EN: 0
; COMPUTE_PGM_RSRC2:TGID_Z_EN: 0
; COMPUTE_PGM_RSRC2:TIDIG_COMP_CNT: 0
; COMPUTE_PGM_RSRC3_GFX90A:ACCUM_OFFSET: 20
; COMPUTE_PGM_RSRC3_GFX90A:TG_SPLIT: 0
	.section	.text._ZN7rocprim17ROCPRIM_400000_NS6detail17trampoline_kernelINS0_14default_configENS1_27scan_by_key_config_selectorIiiEEZZNS1_16scan_by_key_implILNS1_25lookback_scan_determinismE0ELb1ES3_N6thrust23THRUST_200600_302600_NS6detail15normal_iteratorINS9_10device_ptrIiEEEESE_SE_iNS9_4plusIvEENS9_8equal_toIiEEiEE10hipError_tPvRmT2_T3_T4_T5_mT6_T7_P12ihipStream_tbENKUlT_T0_E_clISt17integral_constantIbLb1EESZ_EEDaSU_SV_EUlSU_E_NS1_11comp_targetILNS1_3genE4ELNS1_11target_archE910ELNS1_3gpuE8ELNS1_3repE0EEENS1_30default_config_static_selectorELNS0_4arch9wavefront6targetE1EEEvT1_,"axG",@progbits,_ZN7rocprim17ROCPRIM_400000_NS6detail17trampoline_kernelINS0_14default_configENS1_27scan_by_key_config_selectorIiiEEZZNS1_16scan_by_key_implILNS1_25lookback_scan_determinismE0ELb1ES3_N6thrust23THRUST_200600_302600_NS6detail15normal_iteratorINS9_10device_ptrIiEEEESE_SE_iNS9_4plusIvEENS9_8equal_toIiEEiEE10hipError_tPvRmT2_T3_T4_T5_mT6_T7_P12ihipStream_tbENKUlT_T0_E_clISt17integral_constantIbLb1EESZ_EEDaSU_SV_EUlSU_E_NS1_11comp_targetILNS1_3genE4ELNS1_11target_archE910ELNS1_3gpuE8ELNS1_3repE0EEENS1_30default_config_static_selectorELNS0_4arch9wavefront6targetE1EEEvT1_,comdat
	.protected	_ZN7rocprim17ROCPRIM_400000_NS6detail17trampoline_kernelINS0_14default_configENS1_27scan_by_key_config_selectorIiiEEZZNS1_16scan_by_key_implILNS1_25lookback_scan_determinismE0ELb1ES3_N6thrust23THRUST_200600_302600_NS6detail15normal_iteratorINS9_10device_ptrIiEEEESE_SE_iNS9_4plusIvEENS9_8equal_toIiEEiEE10hipError_tPvRmT2_T3_T4_T5_mT6_T7_P12ihipStream_tbENKUlT_T0_E_clISt17integral_constantIbLb1EESZ_EEDaSU_SV_EUlSU_E_NS1_11comp_targetILNS1_3genE4ELNS1_11target_archE910ELNS1_3gpuE8ELNS1_3repE0EEENS1_30default_config_static_selectorELNS0_4arch9wavefront6targetE1EEEvT1_ ; -- Begin function _ZN7rocprim17ROCPRIM_400000_NS6detail17trampoline_kernelINS0_14default_configENS1_27scan_by_key_config_selectorIiiEEZZNS1_16scan_by_key_implILNS1_25lookback_scan_determinismE0ELb1ES3_N6thrust23THRUST_200600_302600_NS6detail15normal_iteratorINS9_10device_ptrIiEEEESE_SE_iNS9_4plusIvEENS9_8equal_toIiEEiEE10hipError_tPvRmT2_T3_T4_T5_mT6_T7_P12ihipStream_tbENKUlT_T0_E_clISt17integral_constantIbLb1EESZ_EEDaSU_SV_EUlSU_E_NS1_11comp_targetILNS1_3genE4ELNS1_11target_archE910ELNS1_3gpuE8ELNS1_3repE0EEENS1_30default_config_static_selectorELNS0_4arch9wavefront6targetE1EEEvT1_
	.globl	_ZN7rocprim17ROCPRIM_400000_NS6detail17trampoline_kernelINS0_14default_configENS1_27scan_by_key_config_selectorIiiEEZZNS1_16scan_by_key_implILNS1_25lookback_scan_determinismE0ELb1ES3_N6thrust23THRUST_200600_302600_NS6detail15normal_iteratorINS9_10device_ptrIiEEEESE_SE_iNS9_4plusIvEENS9_8equal_toIiEEiEE10hipError_tPvRmT2_T3_T4_T5_mT6_T7_P12ihipStream_tbENKUlT_T0_E_clISt17integral_constantIbLb1EESZ_EEDaSU_SV_EUlSU_E_NS1_11comp_targetILNS1_3genE4ELNS1_11target_archE910ELNS1_3gpuE8ELNS1_3repE0EEENS1_30default_config_static_selectorELNS0_4arch9wavefront6targetE1EEEvT1_
	.p2align	8
	.type	_ZN7rocprim17ROCPRIM_400000_NS6detail17trampoline_kernelINS0_14default_configENS1_27scan_by_key_config_selectorIiiEEZZNS1_16scan_by_key_implILNS1_25lookback_scan_determinismE0ELb1ES3_N6thrust23THRUST_200600_302600_NS6detail15normal_iteratorINS9_10device_ptrIiEEEESE_SE_iNS9_4plusIvEENS9_8equal_toIiEEiEE10hipError_tPvRmT2_T3_T4_T5_mT6_T7_P12ihipStream_tbENKUlT_T0_E_clISt17integral_constantIbLb1EESZ_EEDaSU_SV_EUlSU_E_NS1_11comp_targetILNS1_3genE4ELNS1_11target_archE910ELNS1_3gpuE8ELNS1_3repE0EEENS1_30default_config_static_selectorELNS0_4arch9wavefront6targetE1EEEvT1_,@function
_ZN7rocprim17ROCPRIM_400000_NS6detail17trampoline_kernelINS0_14default_configENS1_27scan_by_key_config_selectorIiiEEZZNS1_16scan_by_key_implILNS1_25lookback_scan_determinismE0ELb1ES3_N6thrust23THRUST_200600_302600_NS6detail15normal_iteratorINS9_10device_ptrIiEEEESE_SE_iNS9_4plusIvEENS9_8equal_toIiEEiEE10hipError_tPvRmT2_T3_T4_T5_mT6_T7_P12ihipStream_tbENKUlT_T0_E_clISt17integral_constantIbLb1EESZ_EEDaSU_SV_EUlSU_E_NS1_11comp_targetILNS1_3genE4ELNS1_11target_archE910ELNS1_3gpuE8ELNS1_3repE0EEENS1_30default_config_static_selectorELNS0_4arch9wavefront6targetE1EEEvT1_: ; @_ZN7rocprim17ROCPRIM_400000_NS6detail17trampoline_kernelINS0_14default_configENS1_27scan_by_key_config_selectorIiiEEZZNS1_16scan_by_key_implILNS1_25lookback_scan_determinismE0ELb1ES3_N6thrust23THRUST_200600_302600_NS6detail15normal_iteratorINS9_10device_ptrIiEEEESE_SE_iNS9_4plusIvEENS9_8equal_toIiEEiEE10hipError_tPvRmT2_T3_T4_T5_mT6_T7_P12ihipStream_tbENKUlT_T0_E_clISt17integral_constantIbLb1EESZ_EEDaSU_SV_EUlSU_E_NS1_11comp_targetILNS1_3genE4ELNS1_11target_archE910ELNS1_3gpuE8ELNS1_3repE0EEENS1_30default_config_static_selectorELNS0_4arch9wavefront6targetE1EEEvT1_
; %bb.0:
	.section	.rodata,"a",@progbits
	.p2align	6, 0x0
	.amdhsa_kernel _ZN7rocprim17ROCPRIM_400000_NS6detail17trampoline_kernelINS0_14default_configENS1_27scan_by_key_config_selectorIiiEEZZNS1_16scan_by_key_implILNS1_25lookback_scan_determinismE0ELb1ES3_N6thrust23THRUST_200600_302600_NS6detail15normal_iteratorINS9_10device_ptrIiEEEESE_SE_iNS9_4plusIvEENS9_8equal_toIiEEiEE10hipError_tPvRmT2_T3_T4_T5_mT6_T7_P12ihipStream_tbENKUlT_T0_E_clISt17integral_constantIbLb1EESZ_EEDaSU_SV_EUlSU_E_NS1_11comp_targetILNS1_3genE4ELNS1_11target_archE910ELNS1_3gpuE8ELNS1_3repE0EEENS1_30default_config_static_selectorELNS0_4arch9wavefront6targetE1EEEvT1_
		.amdhsa_group_segment_fixed_size 0
		.amdhsa_private_segment_fixed_size 0
		.amdhsa_kernarg_size 112
		.amdhsa_user_sgpr_count 2
		.amdhsa_user_sgpr_dispatch_ptr 0
		.amdhsa_user_sgpr_queue_ptr 0
		.amdhsa_user_sgpr_kernarg_segment_ptr 1
		.amdhsa_user_sgpr_dispatch_id 0
		.amdhsa_user_sgpr_kernarg_preload_length 0
		.amdhsa_user_sgpr_kernarg_preload_offset 0
		.amdhsa_user_sgpr_private_segment_size 0
		.amdhsa_uses_dynamic_stack 0
		.amdhsa_enable_private_segment 0
		.amdhsa_system_sgpr_workgroup_id_x 1
		.amdhsa_system_sgpr_workgroup_id_y 0
		.amdhsa_system_sgpr_workgroup_id_z 0
		.amdhsa_system_sgpr_workgroup_info 0
		.amdhsa_system_vgpr_workitem_id 0
		.amdhsa_next_free_vgpr 1
		.amdhsa_next_free_sgpr 0
		.amdhsa_accum_offset 4
		.amdhsa_reserve_vcc 0
		.amdhsa_float_round_mode_32 0
		.amdhsa_float_round_mode_16_64 0
		.amdhsa_float_denorm_mode_32 3
		.amdhsa_float_denorm_mode_16_64 3
		.amdhsa_dx10_clamp 1
		.amdhsa_ieee_mode 1
		.amdhsa_fp16_overflow 0
		.amdhsa_tg_split 0
		.amdhsa_exception_fp_ieee_invalid_op 0
		.amdhsa_exception_fp_denorm_src 0
		.amdhsa_exception_fp_ieee_div_zero 0
		.amdhsa_exception_fp_ieee_overflow 0
		.amdhsa_exception_fp_ieee_underflow 0
		.amdhsa_exception_fp_ieee_inexact 0
		.amdhsa_exception_int_div_zero 0
	.end_amdhsa_kernel
	.section	.text._ZN7rocprim17ROCPRIM_400000_NS6detail17trampoline_kernelINS0_14default_configENS1_27scan_by_key_config_selectorIiiEEZZNS1_16scan_by_key_implILNS1_25lookback_scan_determinismE0ELb1ES3_N6thrust23THRUST_200600_302600_NS6detail15normal_iteratorINS9_10device_ptrIiEEEESE_SE_iNS9_4plusIvEENS9_8equal_toIiEEiEE10hipError_tPvRmT2_T3_T4_T5_mT6_T7_P12ihipStream_tbENKUlT_T0_E_clISt17integral_constantIbLb1EESZ_EEDaSU_SV_EUlSU_E_NS1_11comp_targetILNS1_3genE4ELNS1_11target_archE910ELNS1_3gpuE8ELNS1_3repE0EEENS1_30default_config_static_selectorELNS0_4arch9wavefront6targetE1EEEvT1_,"axG",@progbits,_ZN7rocprim17ROCPRIM_400000_NS6detail17trampoline_kernelINS0_14default_configENS1_27scan_by_key_config_selectorIiiEEZZNS1_16scan_by_key_implILNS1_25lookback_scan_determinismE0ELb1ES3_N6thrust23THRUST_200600_302600_NS6detail15normal_iteratorINS9_10device_ptrIiEEEESE_SE_iNS9_4plusIvEENS9_8equal_toIiEEiEE10hipError_tPvRmT2_T3_T4_T5_mT6_T7_P12ihipStream_tbENKUlT_T0_E_clISt17integral_constantIbLb1EESZ_EEDaSU_SV_EUlSU_E_NS1_11comp_targetILNS1_3genE4ELNS1_11target_archE910ELNS1_3gpuE8ELNS1_3repE0EEENS1_30default_config_static_selectorELNS0_4arch9wavefront6targetE1EEEvT1_,comdat
.Lfunc_end545:
	.size	_ZN7rocprim17ROCPRIM_400000_NS6detail17trampoline_kernelINS0_14default_configENS1_27scan_by_key_config_selectorIiiEEZZNS1_16scan_by_key_implILNS1_25lookback_scan_determinismE0ELb1ES3_N6thrust23THRUST_200600_302600_NS6detail15normal_iteratorINS9_10device_ptrIiEEEESE_SE_iNS9_4plusIvEENS9_8equal_toIiEEiEE10hipError_tPvRmT2_T3_T4_T5_mT6_T7_P12ihipStream_tbENKUlT_T0_E_clISt17integral_constantIbLb1EESZ_EEDaSU_SV_EUlSU_E_NS1_11comp_targetILNS1_3genE4ELNS1_11target_archE910ELNS1_3gpuE8ELNS1_3repE0EEENS1_30default_config_static_selectorELNS0_4arch9wavefront6targetE1EEEvT1_, .Lfunc_end545-_ZN7rocprim17ROCPRIM_400000_NS6detail17trampoline_kernelINS0_14default_configENS1_27scan_by_key_config_selectorIiiEEZZNS1_16scan_by_key_implILNS1_25lookback_scan_determinismE0ELb1ES3_N6thrust23THRUST_200600_302600_NS6detail15normal_iteratorINS9_10device_ptrIiEEEESE_SE_iNS9_4plusIvEENS9_8equal_toIiEEiEE10hipError_tPvRmT2_T3_T4_T5_mT6_T7_P12ihipStream_tbENKUlT_T0_E_clISt17integral_constantIbLb1EESZ_EEDaSU_SV_EUlSU_E_NS1_11comp_targetILNS1_3genE4ELNS1_11target_archE910ELNS1_3gpuE8ELNS1_3repE0EEENS1_30default_config_static_selectorELNS0_4arch9wavefront6targetE1EEEvT1_
                                        ; -- End function
	.section	.AMDGPU.csdata,"",@progbits
; Kernel info:
; codeLenInByte = 0
; NumSgprs: 6
; NumVgprs: 0
; NumAgprs: 0
; TotalNumVgprs: 0
; ScratchSize: 0
; MemoryBound: 0
; FloatMode: 240
; IeeeMode: 1
; LDSByteSize: 0 bytes/workgroup (compile time only)
; SGPRBlocks: 0
; VGPRBlocks: 0
; NumSGPRsForWavesPerEU: 6
; NumVGPRsForWavesPerEU: 1
; AccumOffset: 4
; Occupancy: 8
; WaveLimiterHint : 0
; COMPUTE_PGM_RSRC2:SCRATCH_EN: 0
; COMPUTE_PGM_RSRC2:USER_SGPR: 2
; COMPUTE_PGM_RSRC2:TRAP_HANDLER: 0
; COMPUTE_PGM_RSRC2:TGID_X_EN: 1
; COMPUTE_PGM_RSRC2:TGID_Y_EN: 0
; COMPUTE_PGM_RSRC2:TGID_Z_EN: 0
; COMPUTE_PGM_RSRC2:TIDIG_COMP_CNT: 0
; COMPUTE_PGM_RSRC3_GFX90A:ACCUM_OFFSET: 0
; COMPUTE_PGM_RSRC3_GFX90A:TG_SPLIT: 0
	.section	.text._ZN7rocprim17ROCPRIM_400000_NS6detail17trampoline_kernelINS0_14default_configENS1_27scan_by_key_config_selectorIiiEEZZNS1_16scan_by_key_implILNS1_25lookback_scan_determinismE0ELb1ES3_N6thrust23THRUST_200600_302600_NS6detail15normal_iteratorINS9_10device_ptrIiEEEESE_SE_iNS9_4plusIvEENS9_8equal_toIiEEiEE10hipError_tPvRmT2_T3_T4_T5_mT6_T7_P12ihipStream_tbENKUlT_T0_E_clISt17integral_constantIbLb1EESZ_EEDaSU_SV_EUlSU_E_NS1_11comp_targetILNS1_3genE3ELNS1_11target_archE908ELNS1_3gpuE7ELNS1_3repE0EEENS1_30default_config_static_selectorELNS0_4arch9wavefront6targetE1EEEvT1_,"axG",@progbits,_ZN7rocprim17ROCPRIM_400000_NS6detail17trampoline_kernelINS0_14default_configENS1_27scan_by_key_config_selectorIiiEEZZNS1_16scan_by_key_implILNS1_25lookback_scan_determinismE0ELb1ES3_N6thrust23THRUST_200600_302600_NS6detail15normal_iteratorINS9_10device_ptrIiEEEESE_SE_iNS9_4plusIvEENS9_8equal_toIiEEiEE10hipError_tPvRmT2_T3_T4_T5_mT6_T7_P12ihipStream_tbENKUlT_T0_E_clISt17integral_constantIbLb1EESZ_EEDaSU_SV_EUlSU_E_NS1_11comp_targetILNS1_3genE3ELNS1_11target_archE908ELNS1_3gpuE7ELNS1_3repE0EEENS1_30default_config_static_selectorELNS0_4arch9wavefront6targetE1EEEvT1_,comdat
	.protected	_ZN7rocprim17ROCPRIM_400000_NS6detail17trampoline_kernelINS0_14default_configENS1_27scan_by_key_config_selectorIiiEEZZNS1_16scan_by_key_implILNS1_25lookback_scan_determinismE0ELb1ES3_N6thrust23THRUST_200600_302600_NS6detail15normal_iteratorINS9_10device_ptrIiEEEESE_SE_iNS9_4plusIvEENS9_8equal_toIiEEiEE10hipError_tPvRmT2_T3_T4_T5_mT6_T7_P12ihipStream_tbENKUlT_T0_E_clISt17integral_constantIbLb1EESZ_EEDaSU_SV_EUlSU_E_NS1_11comp_targetILNS1_3genE3ELNS1_11target_archE908ELNS1_3gpuE7ELNS1_3repE0EEENS1_30default_config_static_selectorELNS0_4arch9wavefront6targetE1EEEvT1_ ; -- Begin function _ZN7rocprim17ROCPRIM_400000_NS6detail17trampoline_kernelINS0_14default_configENS1_27scan_by_key_config_selectorIiiEEZZNS1_16scan_by_key_implILNS1_25lookback_scan_determinismE0ELb1ES3_N6thrust23THRUST_200600_302600_NS6detail15normal_iteratorINS9_10device_ptrIiEEEESE_SE_iNS9_4plusIvEENS9_8equal_toIiEEiEE10hipError_tPvRmT2_T3_T4_T5_mT6_T7_P12ihipStream_tbENKUlT_T0_E_clISt17integral_constantIbLb1EESZ_EEDaSU_SV_EUlSU_E_NS1_11comp_targetILNS1_3genE3ELNS1_11target_archE908ELNS1_3gpuE7ELNS1_3repE0EEENS1_30default_config_static_selectorELNS0_4arch9wavefront6targetE1EEEvT1_
	.globl	_ZN7rocprim17ROCPRIM_400000_NS6detail17trampoline_kernelINS0_14default_configENS1_27scan_by_key_config_selectorIiiEEZZNS1_16scan_by_key_implILNS1_25lookback_scan_determinismE0ELb1ES3_N6thrust23THRUST_200600_302600_NS6detail15normal_iteratorINS9_10device_ptrIiEEEESE_SE_iNS9_4plusIvEENS9_8equal_toIiEEiEE10hipError_tPvRmT2_T3_T4_T5_mT6_T7_P12ihipStream_tbENKUlT_T0_E_clISt17integral_constantIbLb1EESZ_EEDaSU_SV_EUlSU_E_NS1_11comp_targetILNS1_3genE3ELNS1_11target_archE908ELNS1_3gpuE7ELNS1_3repE0EEENS1_30default_config_static_selectorELNS0_4arch9wavefront6targetE1EEEvT1_
	.p2align	8
	.type	_ZN7rocprim17ROCPRIM_400000_NS6detail17trampoline_kernelINS0_14default_configENS1_27scan_by_key_config_selectorIiiEEZZNS1_16scan_by_key_implILNS1_25lookback_scan_determinismE0ELb1ES3_N6thrust23THRUST_200600_302600_NS6detail15normal_iteratorINS9_10device_ptrIiEEEESE_SE_iNS9_4plusIvEENS9_8equal_toIiEEiEE10hipError_tPvRmT2_T3_T4_T5_mT6_T7_P12ihipStream_tbENKUlT_T0_E_clISt17integral_constantIbLb1EESZ_EEDaSU_SV_EUlSU_E_NS1_11comp_targetILNS1_3genE3ELNS1_11target_archE908ELNS1_3gpuE7ELNS1_3repE0EEENS1_30default_config_static_selectorELNS0_4arch9wavefront6targetE1EEEvT1_,@function
_ZN7rocprim17ROCPRIM_400000_NS6detail17trampoline_kernelINS0_14default_configENS1_27scan_by_key_config_selectorIiiEEZZNS1_16scan_by_key_implILNS1_25lookback_scan_determinismE0ELb1ES3_N6thrust23THRUST_200600_302600_NS6detail15normal_iteratorINS9_10device_ptrIiEEEESE_SE_iNS9_4plusIvEENS9_8equal_toIiEEiEE10hipError_tPvRmT2_T3_T4_T5_mT6_T7_P12ihipStream_tbENKUlT_T0_E_clISt17integral_constantIbLb1EESZ_EEDaSU_SV_EUlSU_E_NS1_11comp_targetILNS1_3genE3ELNS1_11target_archE908ELNS1_3gpuE7ELNS1_3repE0EEENS1_30default_config_static_selectorELNS0_4arch9wavefront6targetE1EEEvT1_: ; @_ZN7rocprim17ROCPRIM_400000_NS6detail17trampoline_kernelINS0_14default_configENS1_27scan_by_key_config_selectorIiiEEZZNS1_16scan_by_key_implILNS1_25lookback_scan_determinismE0ELb1ES3_N6thrust23THRUST_200600_302600_NS6detail15normal_iteratorINS9_10device_ptrIiEEEESE_SE_iNS9_4plusIvEENS9_8equal_toIiEEiEE10hipError_tPvRmT2_T3_T4_T5_mT6_T7_P12ihipStream_tbENKUlT_T0_E_clISt17integral_constantIbLb1EESZ_EEDaSU_SV_EUlSU_E_NS1_11comp_targetILNS1_3genE3ELNS1_11target_archE908ELNS1_3gpuE7ELNS1_3repE0EEENS1_30default_config_static_selectorELNS0_4arch9wavefront6targetE1EEEvT1_
; %bb.0:
	.section	.rodata,"a",@progbits
	.p2align	6, 0x0
	.amdhsa_kernel _ZN7rocprim17ROCPRIM_400000_NS6detail17trampoline_kernelINS0_14default_configENS1_27scan_by_key_config_selectorIiiEEZZNS1_16scan_by_key_implILNS1_25lookback_scan_determinismE0ELb1ES3_N6thrust23THRUST_200600_302600_NS6detail15normal_iteratorINS9_10device_ptrIiEEEESE_SE_iNS9_4plusIvEENS9_8equal_toIiEEiEE10hipError_tPvRmT2_T3_T4_T5_mT6_T7_P12ihipStream_tbENKUlT_T0_E_clISt17integral_constantIbLb1EESZ_EEDaSU_SV_EUlSU_E_NS1_11comp_targetILNS1_3genE3ELNS1_11target_archE908ELNS1_3gpuE7ELNS1_3repE0EEENS1_30default_config_static_selectorELNS0_4arch9wavefront6targetE1EEEvT1_
		.amdhsa_group_segment_fixed_size 0
		.amdhsa_private_segment_fixed_size 0
		.amdhsa_kernarg_size 112
		.amdhsa_user_sgpr_count 2
		.amdhsa_user_sgpr_dispatch_ptr 0
		.amdhsa_user_sgpr_queue_ptr 0
		.amdhsa_user_sgpr_kernarg_segment_ptr 1
		.amdhsa_user_sgpr_dispatch_id 0
		.amdhsa_user_sgpr_kernarg_preload_length 0
		.amdhsa_user_sgpr_kernarg_preload_offset 0
		.amdhsa_user_sgpr_private_segment_size 0
		.amdhsa_uses_dynamic_stack 0
		.amdhsa_enable_private_segment 0
		.amdhsa_system_sgpr_workgroup_id_x 1
		.amdhsa_system_sgpr_workgroup_id_y 0
		.amdhsa_system_sgpr_workgroup_id_z 0
		.amdhsa_system_sgpr_workgroup_info 0
		.amdhsa_system_vgpr_workitem_id 0
		.amdhsa_next_free_vgpr 1
		.amdhsa_next_free_sgpr 0
		.amdhsa_accum_offset 4
		.amdhsa_reserve_vcc 0
		.amdhsa_float_round_mode_32 0
		.amdhsa_float_round_mode_16_64 0
		.amdhsa_float_denorm_mode_32 3
		.amdhsa_float_denorm_mode_16_64 3
		.amdhsa_dx10_clamp 1
		.amdhsa_ieee_mode 1
		.amdhsa_fp16_overflow 0
		.amdhsa_tg_split 0
		.amdhsa_exception_fp_ieee_invalid_op 0
		.amdhsa_exception_fp_denorm_src 0
		.amdhsa_exception_fp_ieee_div_zero 0
		.amdhsa_exception_fp_ieee_overflow 0
		.amdhsa_exception_fp_ieee_underflow 0
		.amdhsa_exception_fp_ieee_inexact 0
		.amdhsa_exception_int_div_zero 0
	.end_amdhsa_kernel
	.section	.text._ZN7rocprim17ROCPRIM_400000_NS6detail17trampoline_kernelINS0_14default_configENS1_27scan_by_key_config_selectorIiiEEZZNS1_16scan_by_key_implILNS1_25lookback_scan_determinismE0ELb1ES3_N6thrust23THRUST_200600_302600_NS6detail15normal_iteratorINS9_10device_ptrIiEEEESE_SE_iNS9_4plusIvEENS9_8equal_toIiEEiEE10hipError_tPvRmT2_T3_T4_T5_mT6_T7_P12ihipStream_tbENKUlT_T0_E_clISt17integral_constantIbLb1EESZ_EEDaSU_SV_EUlSU_E_NS1_11comp_targetILNS1_3genE3ELNS1_11target_archE908ELNS1_3gpuE7ELNS1_3repE0EEENS1_30default_config_static_selectorELNS0_4arch9wavefront6targetE1EEEvT1_,"axG",@progbits,_ZN7rocprim17ROCPRIM_400000_NS6detail17trampoline_kernelINS0_14default_configENS1_27scan_by_key_config_selectorIiiEEZZNS1_16scan_by_key_implILNS1_25lookback_scan_determinismE0ELb1ES3_N6thrust23THRUST_200600_302600_NS6detail15normal_iteratorINS9_10device_ptrIiEEEESE_SE_iNS9_4plusIvEENS9_8equal_toIiEEiEE10hipError_tPvRmT2_T3_T4_T5_mT6_T7_P12ihipStream_tbENKUlT_T0_E_clISt17integral_constantIbLb1EESZ_EEDaSU_SV_EUlSU_E_NS1_11comp_targetILNS1_3genE3ELNS1_11target_archE908ELNS1_3gpuE7ELNS1_3repE0EEENS1_30default_config_static_selectorELNS0_4arch9wavefront6targetE1EEEvT1_,comdat
.Lfunc_end546:
	.size	_ZN7rocprim17ROCPRIM_400000_NS6detail17trampoline_kernelINS0_14default_configENS1_27scan_by_key_config_selectorIiiEEZZNS1_16scan_by_key_implILNS1_25lookback_scan_determinismE0ELb1ES3_N6thrust23THRUST_200600_302600_NS6detail15normal_iteratorINS9_10device_ptrIiEEEESE_SE_iNS9_4plusIvEENS9_8equal_toIiEEiEE10hipError_tPvRmT2_T3_T4_T5_mT6_T7_P12ihipStream_tbENKUlT_T0_E_clISt17integral_constantIbLb1EESZ_EEDaSU_SV_EUlSU_E_NS1_11comp_targetILNS1_3genE3ELNS1_11target_archE908ELNS1_3gpuE7ELNS1_3repE0EEENS1_30default_config_static_selectorELNS0_4arch9wavefront6targetE1EEEvT1_, .Lfunc_end546-_ZN7rocprim17ROCPRIM_400000_NS6detail17trampoline_kernelINS0_14default_configENS1_27scan_by_key_config_selectorIiiEEZZNS1_16scan_by_key_implILNS1_25lookback_scan_determinismE0ELb1ES3_N6thrust23THRUST_200600_302600_NS6detail15normal_iteratorINS9_10device_ptrIiEEEESE_SE_iNS9_4plusIvEENS9_8equal_toIiEEiEE10hipError_tPvRmT2_T3_T4_T5_mT6_T7_P12ihipStream_tbENKUlT_T0_E_clISt17integral_constantIbLb1EESZ_EEDaSU_SV_EUlSU_E_NS1_11comp_targetILNS1_3genE3ELNS1_11target_archE908ELNS1_3gpuE7ELNS1_3repE0EEENS1_30default_config_static_selectorELNS0_4arch9wavefront6targetE1EEEvT1_
                                        ; -- End function
	.section	.AMDGPU.csdata,"",@progbits
; Kernel info:
; codeLenInByte = 0
; NumSgprs: 6
; NumVgprs: 0
; NumAgprs: 0
; TotalNumVgprs: 0
; ScratchSize: 0
; MemoryBound: 0
; FloatMode: 240
; IeeeMode: 1
; LDSByteSize: 0 bytes/workgroup (compile time only)
; SGPRBlocks: 0
; VGPRBlocks: 0
; NumSGPRsForWavesPerEU: 6
; NumVGPRsForWavesPerEU: 1
; AccumOffset: 4
; Occupancy: 8
; WaveLimiterHint : 0
; COMPUTE_PGM_RSRC2:SCRATCH_EN: 0
; COMPUTE_PGM_RSRC2:USER_SGPR: 2
; COMPUTE_PGM_RSRC2:TRAP_HANDLER: 0
; COMPUTE_PGM_RSRC2:TGID_X_EN: 1
; COMPUTE_PGM_RSRC2:TGID_Y_EN: 0
; COMPUTE_PGM_RSRC2:TGID_Z_EN: 0
; COMPUTE_PGM_RSRC2:TIDIG_COMP_CNT: 0
; COMPUTE_PGM_RSRC3_GFX90A:ACCUM_OFFSET: 0
; COMPUTE_PGM_RSRC3_GFX90A:TG_SPLIT: 0
	.section	.text._ZN7rocprim17ROCPRIM_400000_NS6detail17trampoline_kernelINS0_14default_configENS1_27scan_by_key_config_selectorIiiEEZZNS1_16scan_by_key_implILNS1_25lookback_scan_determinismE0ELb1ES3_N6thrust23THRUST_200600_302600_NS6detail15normal_iteratorINS9_10device_ptrIiEEEESE_SE_iNS9_4plusIvEENS9_8equal_toIiEEiEE10hipError_tPvRmT2_T3_T4_T5_mT6_T7_P12ihipStream_tbENKUlT_T0_E_clISt17integral_constantIbLb1EESZ_EEDaSU_SV_EUlSU_E_NS1_11comp_targetILNS1_3genE2ELNS1_11target_archE906ELNS1_3gpuE6ELNS1_3repE0EEENS1_30default_config_static_selectorELNS0_4arch9wavefront6targetE1EEEvT1_,"axG",@progbits,_ZN7rocprim17ROCPRIM_400000_NS6detail17trampoline_kernelINS0_14default_configENS1_27scan_by_key_config_selectorIiiEEZZNS1_16scan_by_key_implILNS1_25lookback_scan_determinismE0ELb1ES3_N6thrust23THRUST_200600_302600_NS6detail15normal_iteratorINS9_10device_ptrIiEEEESE_SE_iNS9_4plusIvEENS9_8equal_toIiEEiEE10hipError_tPvRmT2_T3_T4_T5_mT6_T7_P12ihipStream_tbENKUlT_T0_E_clISt17integral_constantIbLb1EESZ_EEDaSU_SV_EUlSU_E_NS1_11comp_targetILNS1_3genE2ELNS1_11target_archE906ELNS1_3gpuE6ELNS1_3repE0EEENS1_30default_config_static_selectorELNS0_4arch9wavefront6targetE1EEEvT1_,comdat
	.protected	_ZN7rocprim17ROCPRIM_400000_NS6detail17trampoline_kernelINS0_14default_configENS1_27scan_by_key_config_selectorIiiEEZZNS1_16scan_by_key_implILNS1_25lookback_scan_determinismE0ELb1ES3_N6thrust23THRUST_200600_302600_NS6detail15normal_iteratorINS9_10device_ptrIiEEEESE_SE_iNS9_4plusIvEENS9_8equal_toIiEEiEE10hipError_tPvRmT2_T3_T4_T5_mT6_T7_P12ihipStream_tbENKUlT_T0_E_clISt17integral_constantIbLb1EESZ_EEDaSU_SV_EUlSU_E_NS1_11comp_targetILNS1_3genE2ELNS1_11target_archE906ELNS1_3gpuE6ELNS1_3repE0EEENS1_30default_config_static_selectorELNS0_4arch9wavefront6targetE1EEEvT1_ ; -- Begin function _ZN7rocprim17ROCPRIM_400000_NS6detail17trampoline_kernelINS0_14default_configENS1_27scan_by_key_config_selectorIiiEEZZNS1_16scan_by_key_implILNS1_25lookback_scan_determinismE0ELb1ES3_N6thrust23THRUST_200600_302600_NS6detail15normal_iteratorINS9_10device_ptrIiEEEESE_SE_iNS9_4plusIvEENS9_8equal_toIiEEiEE10hipError_tPvRmT2_T3_T4_T5_mT6_T7_P12ihipStream_tbENKUlT_T0_E_clISt17integral_constantIbLb1EESZ_EEDaSU_SV_EUlSU_E_NS1_11comp_targetILNS1_3genE2ELNS1_11target_archE906ELNS1_3gpuE6ELNS1_3repE0EEENS1_30default_config_static_selectorELNS0_4arch9wavefront6targetE1EEEvT1_
	.globl	_ZN7rocprim17ROCPRIM_400000_NS6detail17trampoline_kernelINS0_14default_configENS1_27scan_by_key_config_selectorIiiEEZZNS1_16scan_by_key_implILNS1_25lookback_scan_determinismE0ELb1ES3_N6thrust23THRUST_200600_302600_NS6detail15normal_iteratorINS9_10device_ptrIiEEEESE_SE_iNS9_4plusIvEENS9_8equal_toIiEEiEE10hipError_tPvRmT2_T3_T4_T5_mT6_T7_P12ihipStream_tbENKUlT_T0_E_clISt17integral_constantIbLb1EESZ_EEDaSU_SV_EUlSU_E_NS1_11comp_targetILNS1_3genE2ELNS1_11target_archE906ELNS1_3gpuE6ELNS1_3repE0EEENS1_30default_config_static_selectorELNS0_4arch9wavefront6targetE1EEEvT1_
	.p2align	8
	.type	_ZN7rocprim17ROCPRIM_400000_NS6detail17trampoline_kernelINS0_14default_configENS1_27scan_by_key_config_selectorIiiEEZZNS1_16scan_by_key_implILNS1_25lookback_scan_determinismE0ELb1ES3_N6thrust23THRUST_200600_302600_NS6detail15normal_iteratorINS9_10device_ptrIiEEEESE_SE_iNS9_4plusIvEENS9_8equal_toIiEEiEE10hipError_tPvRmT2_T3_T4_T5_mT6_T7_P12ihipStream_tbENKUlT_T0_E_clISt17integral_constantIbLb1EESZ_EEDaSU_SV_EUlSU_E_NS1_11comp_targetILNS1_3genE2ELNS1_11target_archE906ELNS1_3gpuE6ELNS1_3repE0EEENS1_30default_config_static_selectorELNS0_4arch9wavefront6targetE1EEEvT1_,@function
_ZN7rocprim17ROCPRIM_400000_NS6detail17trampoline_kernelINS0_14default_configENS1_27scan_by_key_config_selectorIiiEEZZNS1_16scan_by_key_implILNS1_25lookback_scan_determinismE0ELb1ES3_N6thrust23THRUST_200600_302600_NS6detail15normal_iteratorINS9_10device_ptrIiEEEESE_SE_iNS9_4plusIvEENS9_8equal_toIiEEiEE10hipError_tPvRmT2_T3_T4_T5_mT6_T7_P12ihipStream_tbENKUlT_T0_E_clISt17integral_constantIbLb1EESZ_EEDaSU_SV_EUlSU_E_NS1_11comp_targetILNS1_3genE2ELNS1_11target_archE906ELNS1_3gpuE6ELNS1_3repE0EEENS1_30default_config_static_selectorELNS0_4arch9wavefront6targetE1EEEvT1_: ; @_ZN7rocprim17ROCPRIM_400000_NS6detail17trampoline_kernelINS0_14default_configENS1_27scan_by_key_config_selectorIiiEEZZNS1_16scan_by_key_implILNS1_25lookback_scan_determinismE0ELb1ES3_N6thrust23THRUST_200600_302600_NS6detail15normal_iteratorINS9_10device_ptrIiEEEESE_SE_iNS9_4plusIvEENS9_8equal_toIiEEiEE10hipError_tPvRmT2_T3_T4_T5_mT6_T7_P12ihipStream_tbENKUlT_T0_E_clISt17integral_constantIbLb1EESZ_EEDaSU_SV_EUlSU_E_NS1_11comp_targetILNS1_3genE2ELNS1_11target_archE906ELNS1_3gpuE6ELNS1_3repE0EEENS1_30default_config_static_selectorELNS0_4arch9wavefront6targetE1EEEvT1_
; %bb.0:
	.section	.rodata,"a",@progbits
	.p2align	6, 0x0
	.amdhsa_kernel _ZN7rocprim17ROCPRIM_400000_NS6detail17trampoline_kernelINS0_14default_configENS1_27scan_by_key_config_selectorIiiEEZZNS1_16scan_by_key_implILNS1_25lookback_scan_determinismE0ELb1ES3_N6thrust23THRUST_200600_302600_NS6detail15normal_iteratorINS9_10device_ptrIiEEEESE_SE_iNS9_4plusIvEENS9_8equal_toIiEEiEE10hipError_tPvRmT2_T3_T4_T5_mT6_T7_P12ihipStream_tbENKUlT_T0_E_clISt17integral_constantIbLb1EESZ_EEDaSU_SV_EUlSU_E_NS1_11comp_targetILNS1_3genE2ELNS1_11target_archE906ELNS1_3gpuE6ELNS1_3repE0EEENS1_30default_config_static_selectorELNS0_4arch9wavefront6targetE1EEEvT1_
		.amdhsa_group_segment_fixed_size 0
		.amdhsa_private_segment_fixed_size 0
		.amdhsa_kernarg_size 112
		.amdhsa_user_sgpr_count 2
		.amdhsa_user_sgpr_dispatch_ptr 0
		.amdhsa_user_sgpr_queue_ptr 0
		.amdhsa_user_sgpr_kernarg_segment_ptr 1
		.amdhsa_user_sgpr_dispatch_id 0
		.amdhsa_user_sgpr_kernarg_preload_length 0
		.amdhsa_user_sgpr_kernarg_preload_offset 0
		.amdhsa_user_sgpr_private_segment_size 0
		.amdhsa_uses_dynamic_stack 0
		.amdhsa_enable_private_segment 0
		.amdhsa_system_sgpr_workgroup_id_x 1
		.amdhsa_system_sgpr_workgroup_id_y 0
		.amdhsa_system_sgpr_workgroup_id_z 0
		.amdhsa_system_sgpr_workgroup_info 0
		.amdhsa_system_vgpr_workitem_id 0
		.amdhsa_next_free_vgpr 1
		.amdhsa_next_free_sgpr 0
		.amdhsa_accum_offset 4
		.amdhsa_reserve_vcc 0
		.amdhsa_float_round_mode_32 0
		.amdhsa_float_round_mode_16_64 0
		.amdhsa_float_denorm_mode_32 3
		.amdhsa_float_denorm_mode_16_64 3
		.amdhsa_dx10_clamp 1
		.amdhsa_ieee_mode 1
		.amdhsa_fp16_overflow 0
		.amdhsa_tg_split 0
		.amdhsa_exception_fp_ieee_invalid_op 0
		.amdhsa_exception_fp_denorm_src 0
		.amdhsa_exception_fp_ieee_div_zero 0
		.amdhsa_exception_fp_ieee_overflow 0
		.amdhsa_exception_fp_ieee_underflow 0
		.amdhsa_exception_fp_ieee_inexact 0
		.amdhsa_exception_int_div_zero 0
	.end_amdhsa_kernel
	.section	.text._ZN7rocprim17ROCPRIM_400000_NS6detail17trampoline_kernelINS0_14default_configENS1_27scan_by_key_config_selectorIiiEEZZNS1_16scan_by_key_implILNS1_25lookback_scan_determinismE0ELb1ES3_N6thrust23THRUST_200600_302600_NS6detail15normal_iteratorINS9_10device_ptrIiEEEESE_SE_iNS9_4plusIvEENS9_8equal_toIiEEiEE10hipError_tPvRmT2_T3_T4_T5_mT6_T7_P12ihipStream_tbENKUlT_T0_E_clISt17integral_constantIbLb1EESZ_EEDaSU_SV_EUlSU_E_NS1_11comp_targetILNS1_3genE2ELNS1_11target_archE906ELNS1_3gpuE6ELNS1_3repE0EEENS1_30default_config_static_selectorELNS0_4arch9wavefront6targetE1EEEvT1_,"axG",@progbits,_ZN7rocprim17ROCPRIM_400000_NS6detail17trampoline_kernelINS0_14default_configENS1_27scan_by_key_config_selectorIiiEEZZNS1_16scan_by_key_implILNS1_25lookback_scan_determinismE0ELb1ES3_N6thrust23THRUST_200600_302600_NS6detail15normal_iteratorINS9_10device_ptrIiEEEESE_SE_iNS9_4plusIvEENS9_8equal_toIiEEiEE10hipError_tPvRmT2_T3_T4_T5_mT6_T7_P12ihipStream_tbENKUlT_T0_E_clISt17integral_constantIbLb1EESZ_EEDaSU_SV_EUlSU_E_NS1_11comp_targetILNS1_3genE2ELNS1_11target_archE906ELNS1_3gpuE6ELNS1_3repE0EEENS1_30default_config_static_selectorELNS0_4arch9wavefront6targetE1EEEvT1_,comdat
.Lfunc_end547:
	.size	_ZN7rocprim17ROCPRIM_400000_NS6detail17trampoline_kernelINS0_14default_configENS1_27scan_by_key_config_selectorIiiEEZZNS1_16scan_by_key_implILNS1_25lookback_scan_determinismE0ELb1ES3_N6thrust23THRUST_200600_302600_NS6detail15normal_iteratorINS9_10device_ptrIiEEEESE_SE_iNS9_4plusIvEENS9_8equal_toIiEEiEE10hipError_tPvRmT2_T3_T4_T5_mT6_T7_P12ihipStream_tbENKUlT_T0_E_clISt17integral_constantIbLb1EESZ_EEDaSU_SV_EUlSU_E_NS1_11comp_targetILNS1_3genE2ELNS1_11target_archE906ELNS1_3gpuE6ELNS1_3repE0EEENS1_30default_config_static_selectorELNS0_4arch9wavefront6targetE1EEEvT1_, .Lfunc_end547-_ZN7rocprim17ROCPRIM_400000_NS6detail17trampoline_kernelINS0_14default_configENS1_27scan_by_key_config_selectorIiiEEZZNS1_16scan_by_key_implILNS1_25lookback_scan_determinismE0ELb1ES3_N6thrust23THRUST_200600_302600_NS6detail15normal_iteratorINS9_10device_ptrIiEEEESE_SE_iNS9_4plusIvEENS9_8equal_toIiEEiEE10hipError_tPvRmT2_T3_T4_T5_mT6_T7_P12ihipStream_tbENKUlT_T0_E_clISt17integral_constantIbLb1EESZ_EEDaSU_SV_EUlSU_E_NS1_11comp_targetILNS1_3genE2ELNS1_11target_archE906ELNS1_3gpuE6ELNS1_3repE0EEENS1_30default_config_static_selectorELNS0_4arch9wavefront6targetE1EEEvT1_
                                        ; -- End function
	.section	.AMDGPU.csdata,"",@progbits
; Kernel info:
; codeLenInByte = 0
; NumSgprs: 6
; NumVgprs: 0
; NumAgprs: 0
; TotalNumVgprs: 0
; ScratchSize: 0
; MemoryBound: 0
; FloatMode: 240
; IeeeMode: 1
; LDSByteSize: 0 bytes/workgroup (compile time only)
; SGPRBlocks: 0
; VGPRBlocks: 0
; NumSGPRsForWavesPerEU: 6
; NumVGPRsForWavesPerEU: 1
; AccumOffset: 4
; Occupancy: 8
; WaveLimiterHint : 0
; COMPUTE_PGM_RSRC2:SCRATCH_EN: 0
; COMPUTE_PGM_RSRC2:USER_SGPR: 2
; COMPUTE_PGM_RSRC2:TRAP_HANDLER: 0
; COMPUTE_PGM_RSRC2:TGID_X_EN: 1
; COMPUTE_PGM_RSRC2:TGID_Y_EN: 0
; COMPUTE_PGM_RSRC2:TGID_Z_EN: 0
; COMPUTE_PGM_RSRC2:TIDIG_COMP_CNT: 0
; COMPUTE_PGM_RSRC3_GFX90A:ACCUM_OFFSET: 0
; COMPUTE_PGM_RSRC3_GFX90A:TG_SPLIT: 0
	.section	.text._ZN7rocprim17ROCPRIM_400000_NS6detail17trampoline_kernelINS0_14default_configENS1_27scan_by_key_config_selectorIiiEEZZNS1_16scan_by_key_implILNS1_25lookback_scan_determinismE0ELb1ES3_N6thrust23THRUST_200600_302600_NS6detail15normal_iteratorINS9_10device_ptrIiEEEESE_SE_iNS9_4plusIvEENS9_8equal_toIiEEiEE10hipError_tPvRmT2_T3_T4_T5_mT6_T7_P12ihipStream_tbENKUlT_T0_E_clISt17integral_constantIbLb1EESZ_EEDaSU_SV_EUlSU_E_NS1_11comp_targetILNS1_3genE10ELNS1_11target_archE1200ELNS1_3gpuE4ELNS1_3repE0EEENS1_30default_config_static_selectorELNS0_4arch9wavefront6targetE1EEEvT1_,"axG",@progbits,_ZN7rocprim17ROCPRIM_400000_NS6detail17trampoline_kernelINS0_14default_configENS1_27scan_by_key_config_selectorIiiEEZZNS1_16scan_by_key_implILNS1_25lookback_scan_determinismE0ELb1ES3_N6thrust23THRUST_200600_302600_NS6detail15normal_iteratorINS9_10device_ptrIiEEEESE_SE_iNS9_4plusIvEENS9_8equal_toIiEEiEE10hipError_tPvRmT2_T3_T4_T5_mT6_T7_P12ihipStream_tbENKUlT_T0_E_clISt17integral_constantIbLb1EESZ_EEDaSU_SV_EUlSU_E_NS1_11comp_targetILNS1_3genE10ELNS1_11target_archE1200ELNS1_3gpuE4ELNS1_3repE0EEENS1_30default_config_static_selectorELNS0_4arch9wavefront6targetE1EEEvT1_,comdat
	.protected	_ZN7rocprim17ROCPRIM_400000_NS6detail17trampoline_kernelINS0_14default_configENS1_27scan_by_key_config_selectorIiiEEZZNS1_16scan_by_key_implILNS1_25lookback_scan_determinismE0ELb1ES3_N6thrust23THRUST_200600_302600_NS6detail15normal_iteratorINS9_10device_ptrIiEEEESE_SE_iNS9_4plusIvEENS9_8equal_toIiEEiEE10hipError_tPvRmT2_T3_T4_T5_mT6_T7_P12ihipStream_tbENKUlT_T0_E_clISt17integral_constantIbLb1EESZ_EEDaSU_SV_EUlSU_E_NS1_11comp_targetILNS1_3genE10ELNS1_11target_archE1200ELNS1_3gpuE4ELNS1_3repE0EEENS1_30default_config_static_selectorELNS0_4arch9wavefront6targetE1EEEvT1_ ; -- Begin function _ZN7rocprim17ROCPRIM_400000_NS6detail17trampoline_kernelINS0_14default_configENS1_27scan_by_key_config_selectorIiiEEZZNS1_16scan_by_key_implILNS1_25lookback_scan_determinismE0ELb1ES3_N6thrust23THRUST_200600_302600_NS6detail15normal_iteratorINS9_10device_ptrIiEEEESE_SE_iNS9_4plusIvEENS9_8equal_toIiEEiEE10hipError_tPvRmT2_T3_T4_T5_mT6_T7_P12ihipStream_tbENKUlT_T0_E_clISt17integral_constantIbLb1EESZ_EEDaSU_SV_EUlSU_E_NS1_11comp_targetILNS1_3genE10ELNS1_11target_archE1200ELNS1_3gpuE4ELNS1_3repE0EEENS1_30default_config_static_selectorELNS0_4arch9wavefront6targetE1EEEvT1_
	.globl	_ZN7rocprim17ROCPRIM_400000_NS6detail17trampoline_kernelINS0_14default_configENS1_27scan_by_key_config_selectorIiiEEZZNS1_16scan_by_key_implILNS1_25lookback_scan_determinismE0ELb1ES3_N6thrust23THRUST_200600_302600_NS6detail15normal_iteratorINS9_10device_ptrIiEEEESE_SE_iNS9_4plusIvEENS9_8equal_toIiEEiEE10hipError_tPvRmT2_T3_T4_T5_mT6_T7_P12ihipStream_tbENKUlT_T0_E_clISt17integral_constantIbLb1EESZ_EEDaSU_SV_EUlSU_E_NS1_11comp_targetILNS1_3genE10ELNS1_11target_archE1200ELNS1_3gpuE4ELNS1_3repE0EEENS1_30default_config_static_selectorELNS0_4arch9wavefront6targetE1EEEvT1_
	.p2align	8
	.type	_ZN7rocprim17ROCPRIM_400000_NS6detail17trampoline_kernelINS0_14default_configENS1_27scan_by_key_config_selectorIiiEEZZNS1_16scan_by_key_implILNS1_25lookback_scan_determinismE0ELb1ES3_N6thrust23THRUST_200600_302600_NS6detail15normal_iteratorINS9_10device_ptrIiEEEESE_SE_iNS9_4plusIvEENS9_8equal_toIiEEiEE10hipError_tPvRmT2_T3_T4_T5_mT6_T7_P12ihipStream_tbENKUlT_T0_E_clISt17integral_constantIbLb1EESZ_EEDaSU_SV_EUlSU_E_NS1_11comp_targetILNS1_3genE10ELNS1_11target_archE1200ELNS1_3gpuE4ELNS1_3repE0EEENS1_30default_config_static_selectorELNS0_4arch9wavefront6targetE1EEEvT1_,@function
_ZN7rocprim17ROCPRIM_400000_NS6detail17trampoline_kernelINS0_14default_configENS1_27scan_by_key_config_selectorIiiEEZZNS1_16scan_by_key_implILNS1_25lookback_scan_determinismE0ELb1ES3_N6thrust23THRUST_200600_302600_NS6detail15normal_iteratorINS9_10device_ptrIiEEEESE_SE_iNS9_4plusIvEENS9_8equal_toIiEEiEE10hipError_tPvRmT2_T3_T4_T5_mT6_T7_P12ihipStream_tbENKUlT_T0_E_clISt17integral_constantIbLb1EESZ_EEDaSU_SV_EUlSU_E_NS1_11comp_targetILNS1_3genE10ELNS1_11target_archE1200ELNS1_3gpuE4ELNS1_3repE0EEENS1_30default_config_static_selectorELNS0_4arch9wavefront6targetE1EEEvT1_: ; @_ZN7rocprim17ROCPRIM_400000_NS6detail17trampoline_kernelINS0_14default_configENS1_27scan_by_key_config_selectorIiiEEZZNS1_16scan_by_key_implILNS1_25lookback_scan_determinismE0ELb1ES3_N6thrust23THRUST_200600_302600_NS6detail15normal_iteratorINS9_10device_ptrIiEEEESE_SE_iNS9_4plusIvEENS9_8equal_toIiEEiEE10hipError_tPvRmT2_T3_T4_T5_mT6_T7_P12ihipStream_tbENKUlT_T0_E_clISt17integral_constantIbLb1EESZ_EEDaSU_SV_EUlSU_E_NS1_11comp_targetILNS1_3genE10ELNS1_11target_archE1200ELNS1_3gpuE4ELNS1_3repE0EEENS1_30default_config_static_selectorELNS0_4arch9wavefront6targetE1EEEvT1_
; %bb.0:
	.section	.rodata,"a",@progbits
	.p2align	6, 0x0
	.amdhsa_kernel _ZN7rocprim17ROCPRIM_400000_NS6detail17trampoline_kernelINS0_14default_configENS1_27scan_by_key_config_selectorIiiEEZZNS1_16scan_by_key_implILNS1_25lookback_scan_determinismE0ELb1ES3_N6thrust23THRUST_200600_302600_NS6detail15normal_iteratorINS9_10device_ptrIiEEEESE_SE_iNS9_4plusIvEENS9_8equal_toIiEEiEE10hipError_tPvRmT2_T3_T4_T5_mT6_T7_P12ihipStream_tbENKUlT_T0_E_clISt17integral_constantIbLb1EESZ_EEDaSU_SV_EUlSU_E_NS1_11comp_targetILNS1_3genE10ELNS1_11target_archE1200ELNS1_3gpuE4ELNS1_3repE0EEENS1_30default_config_static_selectorELNS0_4arch9wavefront6targetE1EEEvT1_
		.amdhsa_group_segment_fixed_size 0
		.amdhsa_private_segment_fixed_size 0
		.amdhsa_kernarg_size 112
		.amdhsa_user_sgpr_count 2
		.amdhsa_user_sgpr_dispatch_ptr 0
		.amdhsa_user_sgpr_queue_ptr 0
		.amdhsa_user_sgpr_kernarg_segment_ptr 1
		.amdhsa_user_sgpr_dispatch_id 0
		.amdhsa_user_sgpr_kernarg_preload_length 0
		.amdhsa_user_sgpr_kernarg_preload_offset 0
		.amdhsa_user_sgpr_private_segment_size 0
		.amdhsa_uses_dynamic_stack 0
		.amdhsa_enable_private_segment 0
		.amdhsa_system_sgpr_workgroup_id_x 1
		.amdhsa_system_sgpr_workgroup_id_y 0
		.amdhsa_system_sgpr_workgroup_id_z 0
		.amdhsa_system_sgpr_workgroup_info 0
		.amdhsa_system_vgpr_workitem_id 0
		.amdhsa_next_free_vgpr 1
		.amdhsa_next_free_sgpr 0
		.amdhsa_accum_offset 4
		.amdhsa_reserve_vcc 0
		.amdhsa_float_round_mode_32 0
		.amdhsa_float_round_mode_16_64 0
		.amdhsa_float_denorm_mode_32 3
		.amdhsa_float_denorm_mode_16_64 3
		.amdhsa_dx10_clamp 1
		.amdhsa_ieee_mode 1
		.amdhsa_fp16_overflow 0
		.amdhsa_tg_split 0
		.amdhsa_exception_fp_ieee_invalid_op 0
		.amdhsa_exception_fp_denorm_src 0
		.amdhsa_exception_fp_ieee_div_zero 0
		.amdhsa_exception_fp_ieee_overflow 0
		.amdhsa_exception_fp_ieee_underflow 0
		.amdhsa_exception_fp_ieee_inexact 0
		.amdhsa_exception_int_div_zero 0
	.end_amdhsa_kernel
	.section	.text._ZN7rocprim17ROCPRIM_400000_NS6detail17trampoline_kernelINS0_14default_configENS1_27scan_by_key_config_selectorIiiEEZZNS1_16scan_by_key_implILNS1_25lookback_scan_determinismE0ELb1ES3_N6thrust23THRUST_200600_302600_NS6detail15normal_iteratorINS9_10device_ptrIiEEEESE_SE_iNS9_4plusIvEENS9_8equal_toIiEEiEE10hipError_tPvRmT2_T3_T4_T5_mT6_T7_P12ihipStream_tbENKUlT_T0_E_clISt17integral_constantIbLb1EESZ_EEDaSU_SV_EUlSU_E_NS1_11comp_targetILNS1_3genE10ELNS1_11target_archE1200ELNS1_3gpuE4ELNS1_3repE0EEENS1_30default_config_static_selectorELNS0_4arch9wavefront6targetE1EEEvT1_,"axG",@progbits,_ZN7rocprim17ROCPRIM_400000_NS6detail17trampoline_kernelINS0_14default_configENS1_27scan_by_key_config_selectorIiiEEZZNS1_16scan_by_key_implILNS1_25lookback_scan_determinismE0ELb1ES3_N6thrust23THRUST_200600_302600_NS6detail15normal_iteratorINS9_10device_ptrIiEEEESE_SE_iNS9_4plusIvEENS9_8equal_toIiEEiEE10hipError_tPvRmT2_T3_T4_T5_mT6_T7_P12ihipStream_tbENKUlT_T0_E_clISt17integral_constantIbLb1EESZ_EEDaSU_SV_EUlSU_E_NS1_11comp_targetILNS1_3genE10ELNS1_11target_archE1200ELNS1_3gpuE4ELNS1_3repE0EEENS1_30default_config_static_selectorELNS0_4arch9wavefront6targetE1EEEvT1_,comdat
.Lfunc_end548:
	.size	_ZN7rocprim17ROCPRIM_400000_NS6detail17trampoline_kernelINS0_14default_configENS1_27scan_by_key_config_selectorIiiEEZZNS1_16scan_by_key_implILNS1_25lookback_scan_determinismE0ELb1ES3_N6thrust23THRUST_200600_302600_NS6detail15normal_iteratorINS9_10device_ptrIiEEEESE_SE_iNS9_4plusIvEENS9_8equal_toIiEEiEE10hipError_tPvRmT2_T3_T4_T5_mT6_T7_P12ihipStream_tbENKUlT_T0_E_clISt17integral_constantIbLb1EESZ_EEDaSU_SV_EUlSU_E_NS1_11comp_targetILNS1_3genE10ELNS1_11target_archE1200ELNS1_3gpuE4ELNS1_3repE0EEENS1_30default_config_static_selectorELNS0_4arch9wavefront6targetE1EEEvT1_, .Lfunc_end548-_ZN7rocprim17ROCPRIM_400000_NS6detail17trampoline_kernelINS0_14default_configENS1_27scan_by_key_config_selectorIiiEEZZNS1_16scan_by_key_implILNS1_25lookback_scan_determinismE0ELb1ES3_N6thrust23THRUST_200600_302600_NS6detail15normal_iteratorINS9_10device_ptrIiEEEESE_SE_iNS9_4plusIvEENS9_8equal_toIiEEiEE10hipError_tPvRmT2_T3_T4_T5_mT6_T7_P12ihipStream_tbENKUlT_T0_E_clISt17integral_constantIbLb1EESZ_EEDaSU_SV_EUlSU_E_NS1_11comp_targetILNS1_3genE10ELNS1_11target_archE1200ELNS1_3gpuE4ELNS1_3repE0EEENS1_30default_config_static_selectorELNS0_4arch9wavefront6targetE1EEEvT1_
                                        ; -- End function
	.section	.AMDGPU.csdata,"",@progbits
; Kernel info:
; codeLenInByte = 0
; NumSgprs: 6
; NumVgprs: 0
; NumAgprs: 0
; TotalNumVgprs: 0
; ScratchSize: 0
; MemoryBound: 0
; FloatMode: 240
; IeeeMode: 1
; LDSByteSize: 0 bytes/workgroup (compile time only)
; SGPRBlocks: 0
; VGPRBlocks: 0
; NumSGPRsForWavesPerEU: 6
; NumVGPRsForWavesPerEU: 1
; AccumOffset: 4
; Occupancy: 8
; WaveLimiterHint : 0
; COMPUTE_PGM_RSRC2:SCRATCH_EN: 0
; COMPUTE_PGM_RSRC2:USER_SGPR: 2
; COMPUTE_PGM_RSRC2:TRAP_HANDLER: 0
; COMPUTE_PGM_RSRC2:TGID_X_EN: 1
; COMPUTE_PGM_RSRC2:TGID_Y_EN: 0
; COMPUTE_PGM_RSRC2:TGID_Z_EN: 0
; COMPUTE_PGM_RSRC2:TIDIG_COMP_CNT: 0
; COMPUTE_PGM_RSRC3_GFX90A:ACCUM_OFFSET: 0
; COMPUTE_PGM_RSRC3_GFX90A:TG_SPLIT: 0
	.section	.text._ZN7rocprim17ROCPRIM_400000_NS6detail17trampoline_kernelINS0_14default_configENS1_27scan_by_key_config_selectorIiiEEZZNS1_16scan_by_key_implILNS1_25lookback_scan_determinismE0ELb1ES3_N6thrust23THRUST_200600_302600_NS6detail15normal_iteratorINS9_10device_ptrIiEEEESE_SE_iNS9_4plusIvEENS9_8equal_toIiEEiEE10hipError_tPvRmT2_T3_T4_T5_mT6_T7_P12ihipStream_tbENKUlT_T0_E_clISt17integral_constantIbLb1EESZ_EEDaSU_SV_EUlSU_E_NS1_11comp_targetILNS1_3genE9ELNS1_11target_archE1100ELNS1_3gpuE3ELNS1_3repE0EEENS1_30default_config_static_selectorELNS0_4arch9wavefront6targetE1EEEvT1_,"axG",@progbits,_ZN7rocprim17ROCPRIM_400000_NS6detail17trampoline_kernelINS0_14default_configENS1_27scan_by_key_config_selectorIiiEEZZNS1_16scan_by_key_implILNS1_25lookback_scan_determinismE0ELb1ES3_N6thrust23THRUST_200600_302600_NS6detail15normal_iteratorINS9_10device_ptrIiEEEESE_SE_iNS9_4plusIvEENS9_8equal_toIiEEiEE10hipError_tPvRmT2_T3_T4_T5_mT6_T7_P12ihipStream_tbENKUlT_T0_E_clISt17integral_constantIbLb1EESZ_EEDaSU_SV_EUlSU_E_NS1_11comp_targetILNS1_3genE9ELNS1_11target_archE1100ELNS1_3gpuE3ELNS1_3repE0EEENS1_30default_config_static_selectorELNS0_4arch9wavefront6targetE1EEEvT1_,comdat
	.protected	_ZN7rocprim17ROCPRIM_400000_NS6detail17trampoline_kernelINS0_14default_configENS1_27scan_by_key_config_selectorIiiEEZZNS1_16scan_by_key_implILNS1_25lookback_scan_determinismE0ELb1ES3_N6thrust23THRUST_200600_302600_NS6detail15normal_iteratorINS9_10device_ptrIiEEEESE_SE_iNS9_4plusIvEENS9_8equal_toIiEEiEE10hipError_tPvRmT2_T3_T4_T5_mT6_T7_P12ihipStream_tbENKUlT_T0_E_clISt17integral_constantIbLb1EESZ_EEDaSU_SV_EUlSU_E_NS1_11comp_targetILNS1_3genE9ELNS1_11target_archE1100ELNS1_3gpuE3ELNS1_3repE0EEENS1_30default_config_static_selectorELNS0_4arch9wavefront6targetE1EEEvT1_ ; -- Begin function _ZN7rocprim17ROCPRIM_400000_NS6detail17trampoline_kernelINS0_14default_configENS1_27scan_by_key_config_selectorIiiEEZZNS1_16scan_by_key_implILNS1_25lookback_scan_determinismE0ELb1ES3_N6thrust23THRUST_200600_302600_NS6detail15normal_iteratorINS9_10device_ptrIiEEEESE_SE_iNS9_4plusIvEENS9_8equal_toIiEEiEE10hipError_tPvRmT2_T3_T4_T5_mT6_T7_P12ihipStream_tbENKUlT_T0_E_clISt17integral_constantIbLb1EESZ_EEDaSU_SV_EUlSU_E_NS1_11comp_targetILNS1_3genE9ELNS1_11target_archE1100ELNS1_3gpuE3ELNS1_3repE0EEENS1_30default_config_static_selectorELNS0_4arch9wavefront6targetE1EEEvT1_
	.globl	_ZN7rocprim17ROCPRIM_400000_NS6detail17trampoline_kernelINS0_14default_configENS1_27scan_by_key_config_selectorIiiEEZZNS1_16scan_by_key_implILNS1_25lookback_scan_determinismE0ELb1ES3_N6thrust23THRUST_200600_302600_NS6detail15normal_iteratorINS9_10device_ptrIiEEEESE_SE_iNS9_4plusIvEENS9_8equal_toIiEEiEE10hipError_tPvRmT2_T3_T4_T5_mT6_T7_P12ihipStream_tbENKUlT_T0_E_clISt17integral_constantIbLb1EESZ_EEDaSU_SV_EUlSU_E_NS1_11comp_targetILNS1_3genE9ELNS1_11target_archE1100ELNS1_3gpuE3ELNS1_3repE0EEENS1_30default_config_static_selectorELNS0_4arch9wavefront6targetE1EEEvT1_
	.p2align	8
	.type	_ZN7rocprim17ROCPRIM_400000_NS6detail17trampoline_kernelINS0_14default_configENS1_27scan_by_key_config_selectorIiiEEZZNS1_16scan_by_key_implILNS1_25lookback_scan_determinismE0ELb1ES3_N6thrust23THRUST_200600_302600_NS6detail15normal_iteratorINS9_10device_ptrIiEEEESE_SE_iNS9_4plusIvEENS9_8equal_toIiEEiEE10hipError_tPvRmT2_T3_T4_T5_mT6_T7_P12ihipStream_tbENKUlT_T0_E_clISt17integral_constantIbLb1EESZ_EEDaSU_SV_EUlSU_E_NS1_11comp_targetILNS1_3genE9ELNS1_11target_archE1100ELNS1_3gpuE3ELNS1_3repE0EEENS1_30default_config_static_selectorELNS0_4arch9wavefront6targetE1EEEvT1_,@function
_ZN7rocprim17ROCPRIM_400000_NS6detail17trampoline_kernelINS0_14default_configENS1_27scan_by_key_config_selectorIiiEEZZNS1_16scan_by_key_implILNS1_25lookback_scan_determinismE0ELb1ES3_N6thrust23THRUST_200600_302600_NS6detail15normal_iteratorINS9_10device_ptrIiEEEESE_SE_iNS9_4plusIvEENS9_8equal_toIiEEiEE10hipError_tPvRmT2_T3_T4_T5_mT6_T7_P12ihipStream_tbENKUlT_T0_E_clISt17integral_constantIbLb1EESZ_EEDaSU_SV_EUlSU_E_NS1_11comp_targetILNS1_3genE9ELNS1_11target_archE1100ELNS1_3gpuE3ELNS1_3repE0EEENS1_30default_config_static_selectorELNS0_4arch9wavefront6targetE1EEEvT1_: ; @_ZN7rocprim17ROCPRIM_400000_NS6detail17trampoline_kernelINS0_14default_configENS1_27scan_by_key_config_selectorIiiEEZZNS1_16scan_by_key_implILNS1_25lookback_scan_determinismE0ELb1ES3_N6thrust23THRUST_200600_302600_NS6detail15normal_iteratorINS9_10device_ptrIiEEEESE_SE_iNS9_4plusIvEENS9_8equal_toIiEEiEE10hipError_tPvRmT2_T3_T4_T5_mT6_T7_P12ihipStream_tbENKUlT_T0_E_clISt17integral_constantIbLb1EESZ_EEDaSU_SV_EUlSU_E_NS1_11comp_targetILNS1_3genE9ELNS1_11target_archE1100ELNS1_3gpuE3ELNS1_3repE0EEENS1_30default_config_static_selectorELNS0_4arch9wavefront6targetE1EEEvT1_
; %bb.0:
	.section	.rodata,"a",@progbits
	.p2align	6, 0x0
	.amdhsa_kernel _ZN7rocprim17ROCPRIM_400000_NS6detail17trampoline_kernelINS0_14default_configENS1_27scan_by_key_config_selectorIiiEEZZNS1_16scan_by_key_implILNS1_25lookback_scan_determinismE0ELb1ES3_N6thrust23THRUST_200600_302600_NS6detail15normal_iteratorINS9_10device_ptrIiEEEESE_SE_iNS9_4plusIvEENS9_8equal_toIiEEiEE10hipError_tPvRmT2_T3_T4_T5_mT6_T7_P12ihipStream_tbENKUlT_T0_E_clISt17integral_constantIbLb1EESZ_EEDaSU_SV_EUlSU_E_NS1_11comp_targetILNS1_3genE9ELNS1_11target_archE1100ELNS1_3gpuE3ELNS1_3repE0EEENS1_30default_config_static_selectorELNS0_4arch9wavefront6targetE1EEEvT1_
		.amdhsa_group_segment_fixed_size 0
		.amdhsa_private_segment_fixed_size 0
		.amdhsa_kernarg_size 112
		.amdhsa_user_sgpr_count 2
		.amdhsa_user_sgpr_dispatch_ptr 0
		.amdhsa_user_sgpr_queue_ptr 0
		.amdhsa_user_sgpr_kernarg_segment_ptr 1
		.amdhsa_user_sgpr_dispatch_id 0
		.amdhsa_user_sgpr_kernarg_preload_length 0
		.amdhsa_user_sgpr_kernarg_preload_offset 0
		.amdhsa_user_sgpr_private_segment_size 0
		.amdhsa_uses_dynamic_stack 0
		.amdhsa_enable_private_segment 0
		.amdhsa_system_sgpr_workgroup_id_x 1
		.amdhsa_system_sgpr_workgroup_id_y 0
		.amdhsa_system_sgpr_workgroup_id_z 0
		.amdhsa_system_sgpr_workgroup_info 0
		.amdhsa_system_vgpr_workitem_id 0
		.amdhsa_next_free_vgpr 1
		.amdhsa_next_free_sgpr 0
		.amdhsa_accum_offset 4
		.amdhsa_reserve_vcc 0
		.amdhsa_float_round_mode_32 0
		.amdhsa_float_round_mode_16_64 0
		.amdhsa_float_denorm_mode_32 3
		.amdhsa_float_denorm_mode_16_64 3
		.amdhsa_dx10_clamp 1
		.amdhsa_ieee_mode 1
		.amdhsa_fp16_overflow 0
		.amdhsa_tg_split 0
		.amdhsa_exception_fp_ieee_invalid_op 0
		.amdhsa_exception_fp_denorm_src 0
		.amdhsa_exception_fp_ieee_div_zero 0
		.amdhsa_exception_fp_ieee_overflow 0
		.amdhsa_exception_fp_ieee_underflow 0
		.amdhsa_exception_fp_ieee_inexact 0
		.amdhsa_exception_int_div_zero 0
	.end_amdhsa_kernel
	.section	.text._ZN7rocprim17ROCPRIM_400000_NS6detail17trampoline_kernelINS0_14default_configENS1_27scan_by_key_config_selectorIiiEEZZNS1_16scan_by_key_implILNS1_25lookback_scan_determinismE0ELb1ES3_N6thrust23THRUST_200600_302600_NS6detail15normal_iteratorINS9_10device_ptrIiEEEESE_SE_iNS9_4plusIvEENS9_8equal_toIiEEiEE10hipError_tPvRmT2_T3_T4_T5_mT6_T7_P12ihipStream_tbENKUlT_T0_E_clISt17integral_constantIbLb1EESZ_EEDaSU_SV_EUlSU_E_NS1_11comp_targetILNS1_3genE9ELNS1_11target_archE1100ELNS1_3gpuE3ELNS1_3repE0EEENS1_30default_config_static_selectorELNS0_4arch9wavefront6targetE1EEEvT1_,"axG",@progbits,_ZN7rocprim17ROCPRIM_400000_NS6detail17trampoline_kernelINS0_14default_configENS1_27scan_by_key_config_selectorIiiEEZZNS1_16scan_by_key_implILNS1_25lookback_scan_determinismE0ELb1ES3_N6thrust23THRUST_200600_302600_NS6detail15normal_iteratorINS9_10device_ptrIiEEEESE_SE_iNS9_4plusIvEENS9_8equal_toIiEEiEE10hipError_tPvRmT2_T3_T4_T5_mT6_T7_P12ihipStream_tbENKUlT_T0_E_clISt17integral_constantIbLb1EESZ_EEDaSU_SV_EUlSU_E_NS1_11comp_targetILNS1_3genE9ELNS1_11target_archE1100ELNS1_3gpuE3ELNS1_3repE0EEENS1_30default_config_static_selectorELNS0_4arch9wavefront6targetE1EEEvT1_,comdat
.Lfunc_end549:
	.size	_ZN7rocprim17ROCPRIM_400000_NS6detail17trampoline_kernelINS0_14default_configENS1_27scan_by_key_config_selectorIiiEEZZNS1_16scan_by_key_implILNS1_25lookback_scan_determinismE0ELb1ES3_N6thrust23THRUST_200600_302600_NS6detail15normal_iteratorINS9_10device_ptrIiEEEESE_SE_iNS9_4plusIvEENS9_8equal_toIiEEiEE10hipError_tPvRmT2_T3_T4_T5_mT6_T7_P12ihipStream_tbENKUlT_T0_E_clISt17integral_constantIbLb1EESZ_EEDaSU_SV_EUlSU_E_NS1_11comp_targetILNS1_3genE9ELNS1_11target_archE1100ELNS1_3gpuE3ELNS1_3repE0EEENS1_30default_config_static_selectorELNS0_4arch9wavefront6targetE1EEEvT1_, .Lfunc_end549-_ZN7rocprim17ROCPRIM_400000_NS6detail17trampoline_kernelINS0_14default_configENS1_27scan_by_key_config_selectorIiiEEZZNS1_16scan_by_key_implILNS1_25lookback_scan_determinismE0ELb1ES3_N6thrust23THRUST_200600_302600_NS6detail15normal_iteratorINS9_10device_ptrIiEEEESE_SE_iNS9_4plusIvEENS9_8equal_toIiEEiEE10hipError_tPvRmT2_T3_T4_T5_mT6_T7_P12ihipStream_tbENKUlT_T0_E_clISt17integral_constantIbLb1EESZ_EEDaSU_SV_EUlSU_E_NS1_11comp_targetILNS1_3genE9ELNS1_11target_archE1100ELNS1_3gpuE3ELNS1_3repE0EEENS1_30default_config_static_selectorELNS0_4arch9wavefront6targetE1EEEvT1_
                                        ; -- End function
	.section	.AMDGPU.csdata,"",@progbits
; Kernel info:
; codeLenInByte = 0
; NumSgprs: 6
; NumVgprs: 0
; NumAgprs: 0
; TotalNumVgprs: 0
; ScratchSize: 0
; MemoryBound: 0
; FloatMode: 240
; IeeeMode: 1
; LDSByteSize: 0 bytes/workgroup (compile time only)
; SGPRBlocks: 0
; VGPRBlocks: 0
; NumSGPRsForWavesPerEU: 6
; NumVGPRsForWavesPerEU: 1
; AccumOffset: 4
; Occupancy: 8
; WaveLimiterHint : 0
; COMPUTE_PGM_RSRC2:SCRATCH_EN: 0
; COMPUTE_PGM_RSRC2:USER_SGPR: 2
; COMPUTE_PGM_RSRC2:TRAP_HANDLER: 0
; COMPUTE_PGM_RSRC2:TGID_X_EN: 1
; COMPUTE_PGM_RSRC2:TGID_Y_EN: 0
; COMPUTE_PGM_RSRC2:TGID_Z_EN: 0
; COMPUTE_PGM_RSRC2:TIDIG_COMP_CNT: 0
; COMPUTE_PGM_RSRC3_GFX90A:ACCUM_OFFSET: 0
; COMPUTE_PGM_RSRC3_GFX90A:TG_SPLIT: 0
	.section	.text._ZN7rocprim17ROCPRIM_400000_NS6detail17trampoline_kernelINS0_14default_configENS1_27scan_by_key_config_selectorIiiEEZZNS1_16scan_by_key_implILNS1_25lookback_scan_determinismE0ELb1ES3_N6thrust23THRUST_200600_302600_NS6detail15normal_iteratorINS9_10device_ptrIiEEEESE_SE_iNS9_4plusIvEENS9_8equal_toIiEEiEE10hipError_tPvRmT2_T3_T4_T5_mT6_T7_P12ihipStream_tbENKUlT_T0_E_clISt17integral_constantIbLb1EESZ_EEDaSU_SV_EUlSU_E_NS1_11comp_targetILNS1_3genE8ELNS1_11target_archE1030ELNS1_3gpuE2ELNS1_3repE0EEENS1_30default_config_static_selectorELNS0_4arch9wavefront6targetE1EEEvT1_,"axG",@progbits,_ZN7rocprim17ROCPRIM_400000_NS6detail17trampoline_kernelINS0_14default_configENS1_27scan_by_key_config_selectorIiiEEZZNS1_16scan_by_key_implILNS1_25lookback_scan_determinismE0ELb1ES3_N6thrust23THRUST_200600_302600_NS6detail15normal_iteratorINS9_10device_ptrIiEEEESE_SE_iNS9_4plusIvEENS9_8equal_toIiEEiEE10hipError_tPvRmT2_T3_T4_T5_mT6_T7_P12ihipStream_tbENKUlT_T0_E_clISt17integral_constantIbLb1EESZ_EEDaSU_SV_EUlSU_E_NS1_11comp_targetILNS1_3genE8ELNS1_11target_archE1030ELNS1_3gpuE2ELNS1_3repE0EEENS1_30default_config_static_selectorELNS0_4arch9wavefront6targetE1EEEvT1_,comdat
	.protected	_ZN7rocprim17ROCPRIM_400000_NS6detail17trampoline_kernelINS0_14default_configENS1_27scan_by_key_config_selectorIiiEEZZNS1_16scan_by_key_implILNS1_25lookback_scan_determinismE0ELb1ES3_N6thrust23THRUST_200600_302600_NS6detail15normal_iteratorINS9_10device_ptrIiEEEESE_SE_iNS9_4plusIvEENS9_8equal_toIiEEiEE10hipError_tPvRmT2_T3_T4_T5_mT6_T7_P12ihipStream_tbENKUlT_T0_E_clISt17integral_constantIbLb1EESZ_EEDaSU_SV_EUlSU_E_NS1_11comp_targetILNS1_3genE8ELNS1_11target_archE1030ELNS1_3gpuE2ELNS1_3repE0EEENS1_30default_config_static_selectorELNS0_4arch9wavefront6targetE1EEEvT1_ ; -- Begin function _ZN7rocprim17ROCPRIM_400000_NS6detail17trampoline_kernelINS0_14default_configENS1_27scan_by_key_config_selectorIiiEEZZNS1_16scan_by_key_implILNS1_25lookback_scan_determinismE0ELb1ES3_N6thrust23THRUST_200600_302600_NS6detail15normal_iteratorINS9_10device_ptrIiEEEESE_SE_iNS9_4plusIvEENS9_8equal_toIiEEiEE10hipError_tPvRmT2_T3_T4_T5_mT6_T7_P12ihipStream_tbENKUlT_T0_E_clISt17integral_constantIbLb1EESZ_EEDaSU_SV_EUlSU_E_NS1_11comp_targetILNS1_3genE8ELNS1_11target_archE1030ELNS1_3gpuE2ELNS1_3repE0EEENS1_30default_config_static_selectorELNS0_4arch9wavefront6targetE1EEEvT1_
	.globl	_ZN7rocprim17ROCPRIM_400000_NS6detail17trampoline_kernelINS0_14default_configENS1_27scan_by_key_config_selectorIiiEEZZNS1_16scan_by_key_implILNS1_25lookback_scan_determinismE0ELb1ES3_N6thrust23THRUST_200600_302600_NS6detail15normal_iteratorINS9_10device_ptrIiEEEESE_SE_iNS9_4plusIvEENS9_8equal_toIiEEiEE10hipError_tPvRmT2_T3_T4_T5_mT6_T7_P12ihipStream_tbENKUlT_T0_E_clISt17integral_constantIbLb1EESZ_EEDaSU_SV_EUlSU_E_NS1_11comp_targetILNS1_3genE8ELNS1_11target_archE1030ELNS1_3gpuE2ELNS1_3repE0EEENS1_30default_config_static_selectorELNS0_4arch9wavefront6targetE1EEEvT1_
	.p2align	8
	.type	_ZN7rocprim17ROCPRIM_400000_NS6detail17trampoline_kernelINS0_14default_configENS1_27scan_by_key_config_selectorIiiEEZZNS1_16scan_by_key_implILNS1_25lookback_scan_determinismE0ELb1ES3_N6thrust23THRUST_200600_302600_NS6detail15normal_iteratorINS9_10device_ptrIiEEEESE_SE_iNS9_4plusIvEENS9_8equal_toIiEEiEE10hipError_tPvRmT2_T3_T4_T5_mT6_T7_P12ihipStream_tbENKUlT_T0_E_clISt17integral_constantIbLb1EESZ_EEDaSU_SV_EUlSU_E_NS1_11comp_targetILNS1_3genE8ELNS1_11target_archE1030ELNS1_3gpuE2ELNS1_3repE0EEENS1_30default_config_static_selectorELNS0_4arch9wavefront6targetE1EEEvT1_,@function
_ZN7rocprim17ROCPRIM_400000_NS6detail17trampoline_kernelINS0_14default_configENS1_27scan_by_key_config_selectorIiiEEZZNS1_16scan_by_key_implILNS1_25lookback_scan_determinismE0ELb1ES3_N6thrust23THRUST_200600_302600_NS6detail15normal_iteratorINS9_10device_ptrIiEEEESE_SE_iNS9_4plusIvEENS9_8equal_toIiEEiEE10hipError_tPvRmT2_T3_T4_T5_mT6_T7_P12ihipStream_tbENKUlT_T0_E_clISt17integral_constantIbLb1EESZ_EEDaSU_SV_EUlSU_E_NS1_11comp_targetILNS1_3genE8ELNS1_11target_archE1030ELNS1_3gpuE2ELNS1_3repE0EEENS1_30default_config_static_selectorELNS0_4arch9wavefront6targetE1EEEvT1_: ; @_ZN7rocprim17ROCPRIM_400000_NS6detail17trampoline_kernelINS0_14default_configENS1_27scan_by_key_config_selectorIiiEEZZNS1_16scan_by_key_implILNS1_25lookback_scan_determinismE0ELb1ES3_N6thrust23THRUST_200600_302600_NS6detail15normal_iteratorINS9_10device_ptrIiEEEESE_SE_iNS9_4plusIvEENS9_8equal_toIiEEiEE10hipError_tPvRmT2_T3_T4_T5_mT6_T7_P12ihipStream_tbENKUlT_T0_E_clISt17integral_constantIbLb1EESZ_EEDaSU_SV_EUlSU_E_NS1_11comp_targetILNS1_3genE8ELNS1_11target_archE1030ELNS1_3gpuE2ELNS1_3repE0EEENS1_30default_config_static_selectorELNS0_4arch9wavefront6targetE1EEEvT1_
; %bb.0:
	.section	.rodata,"a",@progbits
	.p2align	6, 0x0
	.amdhsa_kernel _ZN7rocprim17ROCPRIM_400000_NS6detail17trampoline_kernelINS0_14default_configENS1_27scan_by_key_config_selectorIiiEEZZNS1_16scan_by_key_implILNS1_25lookback_scan_determinismE0ELb1ES3_N6thrust23THRUST_200600_302600_NS6detail15normal_iteratorINS9_10device_ptrIiEEEESE_SE_iNS9_4plusIvEENS9_8equal_toIiEEiEE10hipError_tPvRmT2_T3_T4_T5_mT6_T7_P12ihipStream_tbENKUlT_T0_E_clISt17integral_constantIbLb1EESZ_EEDaSU_SV_EUlSU_E_NS1_11comp_targetILNS1_3genE8ELNS1_11target_archE1030ELNS1_3gpuE2ELNS1_3repE0EEENS1_30default_config_static_selectorELNS0_4arch9wavefront6targetE1EEEvT1_
		.amdhsa_group_segment_fixed_size 0
		.amdhsa_private_segment_fixed_size 0
		.amdhsa_kernarg_size 112
		.amdhsa_user_sgpr_count 2
		.amdhsa_user_sgpr_dispatch_ptr 0
		.amdhsa_user_sgpr_queue_ptr 0
		.amdhsa_user_sgpr_kernarg_segment_ptr 1
		.amdhsa_user_sgpr_dispatch_id 0
		.amdhsa_user_sgpr_kernarg_preload_length 0
		.amdhsa_user_sgpr_kernarg_preload_offset 0
		.amdhsa_user_sgpr_private_segment_size 0
		.amdhsa_uses_dynamic_stack 0
		.amdhsa_enable_private_segment 0
		.amdhsa_system_sgpr_workgroup_id_x 1
		.amdhsa_system_sgpr_workgroup_id_y 0
		.amdhsa_system_sgpr_workgroup_id_z 0
		.amdhsa_system_sgpr_workgroup_info 0
		.amdhsa_system_vgpr_workitem_id 0
		.amdhsa_next_free_vgpr 1
		.amdhsa_next_free_sgpr 0
		.amdhsa_accum_offset 4
		.amdhsa_reserve_vcc 0
		.amdhsa_float_round_mode_32 0
		.amdhsa_float_round_mode_16_64 0
		.amdhsa_float_denorm_mode_32 3
		.amdhsa_float_denorm_mode_16_64 3
		.amdhsa_dx10_clamp 1
		.amdhsa_ieee_mode 1
		.amdhsa_fp16_overflow 0
		.amdhsa_tg_split 0
		.amdhsa_exception_fp_ieee_invalid_op 0
		.amdhsa_exception_fp_denorm_src 0
		.amdhsa_exception_fp_ieee_div_zero 0
		.amdhsa_exception_fp_ieee_overflow 0
		.amdhsa_exception_fp_ieee_underflow 0
		.amdhsa_exception_fp_ieee_inexact 0
		.amdhsa_exception_int_div_zero 0
	.end_amdhsa_kernel
	.section	.text._ZN7rocprim17ROCPRIM_400000_NS6detail17trampoline_kernelINS0_14default_configENS1_27scan_by_key_config_selectorIiiEEZZNS1_16scan_by_key_implILNS1_25lookback_scan_determinismE0ELb1ES3_N6thrust23THRUST_200600_302600_NS6detail15normal_iteratorINS9_10device_ptrIiEEEESE_SE_iNS9_4plusIvEENS9_8equal_toIiEEiEE10hipError_tPvRmT2_T3_T4_T5_mT6_T7_P12ihipStream_tbENKUlT_T0_E_clISt17integral_constantIbLb1EESZ_EEDaSU_SV_EUlSU_E_NS1_11comp_targetILNS1_3genE8ELNS1_11target_archE1030ELNS1_3gpuE2ELNS1_3repE0EEENS1_30default_config_static_selectorELNS0_4arch9wavefront6targetE1EEEvT1_,"axG",@progbits,_ZN7rocprim17ROCPRIM_400000_NS6detail17trampoline_kernelINS0_14default_configENS1_27scan_by_key_config_selectorIiiEEZZNS1_16scan_by_key_implILNS1_25lookback_scan_determinismE0ELb1ES3_N6thrust23THRUST_200600_302600_NS6detail15normal_iteratorINS9_10device_ptrIiEEEESE_SE_iNS9_4plusIvEENS9_8equal_toIiEEiEE10hipError_tPvRmT2_T3_T4_T5_mT6_T7_P12ihipStream_tbENKUlT_T0_E_clISt17integral_constantIbLb1EESZ_EEDaSU_SV_EUlSU_E_NS1_11comp_targetILNS1_3genE8ELNS1_11target_archE1030ELNS1_3gpuE2ELNS1_3repE0EEENS1_30default_config_static_selectorELNS0_4arch9wavefront6targetE1EEEvT1_,comdat
.Lfunc_end550:
	.size	_ZN7rocprim17ROCPRIM_400000_NS6detail17trampoline_kernelINS0_14default_configENS1_27scan_by_key_config_selectorIiiEEZZNS1_16scan_by_key_implILNS1_25lookback_scan_determinismE0ELb1ES3_N6thrust23THRUST_200600_302600_NS6detail15normal_iteratorINS9_10device_ptrIiEEEESE_SE_iNS9_4plusIvEENS9_8equal_toIiEEiEE10hipError_tPvRmT2_T3_T4_T5_mT6_T7_P12ihipStream_tbENKUlT_T0_E_clISt17integral_constantIbLb1EESZ_EEDaSU_SV_EUlSU_E_NS1_11comp_targetILNS1_3genE8ELNS1_11target_archE1030ELNS1_3gpuE2ELNS1_3repE0EEENS1_30default_config_static_selectorELNS0_4arch9wavefront6targetE1EEEvT1_, .Lfunc_end550-_ZN7rocprim17ROCPRIM_400000_NS6detail17trampoline_kernelINS0_14default_configENS1_27scan_by_key_config_selectorIiiEEZZNS1_16scan_by_key_implILNS1_25lookback_scan_determinismE0ELb1ES3_N6thrust23THRUST_200600_302600_NS6detail15normal_iteratorINS9_10device_ptrIiEEEESE_SE_iNS9_4plusIvEENS9_8equal_toIiEEiEE10hipError_tPvRmT2_T3_T4_T5_mT6_T7_P12ihipStream_tbENKUlT_T0_E_clISt17integral_constantIbLb1EESZ_EEDaSU_SV_EUlSU_E_NS1_11comp_targetILNS1_3genE8ELNS1_11target_archE1030ELNS1_3gpuE2ELNS1_3repE0EEENS1_30default_config_static_selectorELNS0_4arch9wavefront6targetE1EEEvT1_
                                        ; -- End function
	.section	.AMDGPU.csdata,"",@progbits
; Kernel info:
; codeLenInByte = 0
; NumSgprs: 6
; NumVgprs: 0
; NumAgprs: 0
; TotalNumVgprs: 0
; ScratchSize: 0
; MemoryBound: 0
; FloatMode: 240
; IeeeMode: 1
; LDSByteSize: 0 bytes/workgroup (compile time only)
; SGPRBlocks: 0
; VGPRBlocks: 0
; NumSGPRsForWavesPerEU: 6
; NumVGPRsForWavesPerEU: 1
; AccumOffset: 4
; Occupancy: 8
; WaveLimiterHint : 0
; COMPUTE_PGM_RSRC2:SCRATCH_EN: 0
; COMPUTE_PGM_RSRC2:USER_SGPR: 2
; COMPUTE_PGM_RSRC2:TRAP_HANDLER: 0
; COMPUTE_PGM_RSRC2:TGID_X_EN: 1
; COMPUTE_PGM_RSRC2:TGID_Y_EN: 0
; COMPUTE_PGM_RSRC2:TGID_Z_EN: 0
; COMPUTE_PGM_RSRC2:TIDIG_COMP_CNT: 0
; COMPUTE_PGM_RSRC3_GFX90A:ACCUM_OFFSET: 0
; COMPUTE_PGM_RSRC3_GFX90A:TG_SPLIT: 0
	.section	.text._ZN7rocprim17ROCPRIM_400000_NS6detail17trampoline_kernelINS0_14default_configENS1_27scan_by_key_config_selectorIiiEEZZNS1_16scan_by_key_implILNS1_25lookback_scan_determinismE0ELb1ES3_N6thrust23THRUST_200600_302600_NS6detail15normal_iteratorINS9_10device_ptrIiEEEESE_SE_iNS9_4plusIvEENS9_8equal_toIiEEiEE10hipError_tPvRmT2_T3_T4_T5_mT6_T7_P12ihipStream_tbENKUlT_T0_E_clISt17integral_constantIbLb1EESY_IbLb0EEEEDaSU_SV_EUlSU_E_NS1_11comp_targetILNS1_3genE0ELNS1_11target_archE4294967295ELNS1_3gpuE0ELNS1_3repE0EEENS1_30default_config_static_selectorELNS0_4arch9wavefront6targetE1EEEvT1_,"axG",@progbits,_ZN7rocprim17ROCPRIM_400000_NS6detail17trampoline_kernelINS0_14default_configENS1_27scan_by_key_config_selectorIiiEEZZNS1_16scan_by_key_implILNS1_25lookback_scan_determinismE0ELb1ES3_N6thrust23THRUST_200600_302600_NS6detail15normal_iteratorINS9_10device_ptrIiEEEESE_SE_iNS9_4plusIvEENS9_8equal_toIiEEiEE10hipError_tPvRmT2_T3_T4_T5_mT6_T7_P12ihipStream_tbENKUlT_T0_E_clISt17integral_constantIbLb1EESY_IbLb0EEEEDaSU_SV_EUlSU_E_NS1_11comp_targetILNS1_3genE0ELNS1_11target_archE4294967295ELNS1_3gpuE0ELNS1_3repE0EEENS1_30default_config_static_selectorELNS0_4arch9wavefront6targetE1EEEvT1_,comdat
	.protected	_ZN7rocprim17ROCPRIM_400000_NS6detail17trampoline_kernelINS0_14default_configENS1_27scan_by_key_config_selectorIiiEEZZNS1_16scan_by_key_implILNS1_25lookback_scan_determinismE0ELb1ES3_N6thrust23THRUST_200600_302600_NS6detail15normal_iteratorINS9_10device_ptrIiEEEESE_SE_iNS9_4plusIvEENS9_8equal_toIiEEiEE10hipError_tPvRmT2_T3_T4_T5_mT6_T7_P12ihipStream_tbENKUlT_T0_E_clISt17integral_constantIbLb1EESY_IbLb0EEEEDaSU_SV_EUlSU_E_NS1_11comp_targetILNS1_3genE0ELNS1_11target_archE4294967295ELNS1_3gpuE0ELNS1_3repE0EEENS1_30default_config_static_selectorELNS0_4arch9wavefront6targetE1EEEvT1_ ; -- Begin function _ZN7rocprim17ROCPRIM_400000_NS6detail17trampoline_kernelINS0_14default_configENS1_27scan_by_key_config_selectorIiiEEZZNS1_16scan_by_key_implILNS1_25lookback_scan_determinismE0ELb1ES3_N6thrust23THRUST_200600_302600_NS6detail15normal_iteratorINS9_10device_ptrIiEEEESE_SE_iNS9_4plusIvEENS9_8equal_toIiEEiEE10hipError_tPvRmT2_T3_T4_T5_mT6_T7_P12ihipStream_tbENKUlT_T0_E_clISt17integral_constantIbLb1EESY_IbLb0EEEEDaSU_SV_EUlSU_E_NS1_11comp_targetILNS1_3genE0ELNS1_11target_archE4294967295ELNS1_3gpuE0ELNS1_3repE0EEENS1_30default_config_static_selectorELNS0_4arch9wavefront6targetE1EEEvT1_
	.globl	_ZN7rocprim17ROCPRIM_400000_NS6detail17trampoline_kernelINS0_14default_configENS1_27scan_by_key_config_selectorIiiEEZZNS1_16scan_by_key_implILNS1_25lookback_scan_determinismE0ELb1ES3_N6thrust23THRUST_200600_302600_NS6detail15normal_iteratorINS9_10device_ptrIiEEEESE_SE_iNS9_4plusIvEENS9_8equal_toIiEEiEE10hipError_tPvRmT2_T3_T4_T5_mT6_T7_P12ihipStream_tbENKUlT_T0_E_clISt17integral_constantIbLb1EESY_IbLb0EEEEDaSU_SV_EUlSU_E_NS1_11comp_targetILNS1_3genE0ELNS1_11target_archE4294967295ELNS1_3gpuE0ELNS1_3repE0EEENS1_30default_config_static_selectorELNS0_4arch9wavefront6targetE1EEEvT1_
	.p2align	8
	.type	_ZN7rocprim17ROCPRIM_400000_NS6detail17trampoline_kernelINS0_14default_configENS1_27scan_by_key_config_selectorIiiEEZZNS1_16scan_by_key_implILNS1_25lookback_scan_determinismE0ELb1ES3_N6thrust23THRUST_200600_302600_NS6detail15normal_iteratorINS9_10device_ptrIiEEEESE_SE_iNS9_4plusIvEENS9_8equal_toIiEEiEE10hipError_tPvRmT2_T3_T4_T5_mT6_T7_P12ihipStream_tbENKUlT_T0_E_clISt17integral_constantIbLb1EESY_IbLb0EEEEDaSU_SV_EUlSU_E_NS1_11comp_targetILNS1_3genE0ELNS1_11target_archE4294967295ELNS1_3gpuE0ELNS1_3repE0EEENS1_30default_config_static_selectorELNS0_4arch9wavefront6targetE1EEEvT1_,@function
_ZN7rocprim17ROCPRIM_400000_NS6detail17trampoline_kernelINS0_14default_configENS1_27scan_by_key_config_selectorIiiEEZZNS1_16scan_by_key_implILNS1_25lookback_scan_determinismE0ELb1ES3_N6thrust23THRUST_200600_302600_NS6detail15normal_iteratorINS9_10device_ptrIiEEEESE_SE_iNS9_4plusIvEENS9_8equal_toIiEEiEE10hipError_tPvRmT2_T3_T4_T5_mT6_T7_P12ihipStream_tbENKUlT_T0_E_clISt17integral_constantIbLb1EESY_IbLb0EEEEDaSU_SV_EUlSU_E_NS1_11comp_targetILNS1_3genE0ELNS1_11target_archE4294967295ELNS1_3gpuE0ELNS1_3repE0EEENS1_30default_config_static_selectorELNS0_4arch9wavefront6targetE1EEEvT1_: ; @_ZN7rocprim17ROCPRIM_400000_NS6detail17trampoline_kernelINS0_14default_configENS1_27scan_by_key_config_selectorIiiEEZZNS1_16scan_by_key_implILNS1_25lookback_scan_determinismE0ELb1ES3_N6thrust23THRUST_200600_302600_NS6detail15normal_iteratorINS9_10device_ptrIiEEEESE_SE_iNS9_4plusIvEENS9_8equal_toIiEEiEE10hipError_tPvRmT2_T3_T4_T5_mT6_T7_P12ihipStream_tbENKUlT_T0_E_clISt17integral_constantIbLb1EESY_IbLb0EEEEDaSU_SV_EUlSU_E_NS1_11comp_targetILNS1_3genE0ELNS1_11target_archE4294967295ELNS1_3gpuE0ELNS1_3repE0EEENS1_30default_config_static_selectorELNS0_4arch9wavefront6targetE1EEEvT1_
; %bb.0:
	.section	.rodata,"a",@progbits
	.p2align	6, 0x0
	.amdhsa_kernel _ZN7rocprim17ROCPRIM_400000_NS6detail17trampoline_kernelINS0_14default_configENS1_27scan_by_key_config_selectorIiiEEZZNS1_16scan_by_key_implILNS1_25lookback_scan_determinismE0ELb1ES3_N6thrust23THRUST_200600_302600_NS6detail15normal_iteratorINS9_10device_ptrIiEEEESE_SE_iNS9_4plusIvEENS9_8equal_toIiEEiEE10hipError_tPvRmT2_T3_T4_T5_mT6_T7_P12ihipStream_tbENKUlT_T0_E_clISt17integral_constantIbLb1EESY_IbLb0EEEEDaSU_SV_EUlSU_E_NS1_11comp_targetILNS1_3genE0ELNS1_11target_archE4294967295ELNS1_3gpuE0ELNS1_3repE0EEENS1_30default_config_static_selectorELNS0_4arch9wavefront6targetE1EEEvT1_
		.amdhsa_group_segment_fixed_size 0
		.amdhsa_private_segment_fixed_size 0
		.amdhsa_kernarg_size 112
		.amdhsa_user_sgpr_count 2
		.amdhsa_user_sgpr_dispatch_ptr 0
		.amdhsa_user_sgpr_queue_ptr 0
		.amdhsa_user_sgpr_kernarg_segment_ptr 1
		.amdhsa_user_sgpr_dispatch_id 0
		.amdhsa_user_sgpr_kernarg_preload_length 0
		.amdhsa_user_sgpr_kernarg_preload_offset 0
		.amdhsa_user_sgpr_private_segment_size 0
		.amdhsa_uses_dynamic_stack 0
		.amdhsa_enable_private_segment 0
		.amdhsa_system_sgpr_workgroup_id_x 1
		.amdhsa_system_sgpr_workgroup_id_y 0
		.amdhsa_system_sgpr_workgroup_id_z 0
		.amdhsa_system_sgpr_workgroup_info 0
		.amdhsa_system_vgpr_workitem_id 0
		.amdhsa_next_free_vgpr 1
		.amdhsa_next_free_sgpr 0
		.amdhsa_accum_offset 4
		.amdhsa_reserve_vcc 0
		.amdhsa_float_round_mode_32 0
		.amdhsa_float_round_mode_16_64 0
		.amdhsa_float_denorm_mode_32 3
		.amdhsa_float_denorm_mode_16_64 3
		.amdhsa_dx10_clamp 1
		.amdhsa_ieee_mode 1
		.amdhsa_fp16_overflow 0
		.amdhsa_tg_split 0
		.amdhsa_exception_fp_ieee_invalid_op 0
		.amdhsa_exception_fp_denorm_src 0
		.amdhsa_exception_fp_ieee_div_zero 0
		.amdhsa_exception_fp_ieee_overflow 0
		.amdhsa_exception_fp_ieee_underflow 0
		.amdhsa_exception_fp_ieee_inexact 0
		.amdhsa_exception_int_div_zero 0
	.end_amdhsa_kernel
	.section	.text._ZN7rocprim17ROCPRIM_400000_NS6detail17trampoline_kernelINS0_14default_configENS1_27scan_by_key_config_selectorIiiEEZZNS1_16scan_by_key_implILNS1_25lookback_scan_determinismE0ELb1ES3_N6thrust23THRUST_200600_302600_NS6detail15normal_iteratorINS9_10device_ptrIiEEEESE_SE_iNS9_4plusIvEENS9_8equal_toIiEEiEE10hipError_tPvRmT2_T3_T4_T5_mT6_T7_P12ihipStream_tbENKUlT_T0_E_clISt17integral_constantIbLb1EESY_IbLb0EEEEDaSU_SV_EUlSU_E_NS1_11comp_targetILNS1_3genE0ELNS1_11target_archE4294967295ELNS1_3gpuE0ELNS1_3repE0EEENS1_30default_config_static_selectorELNS0_4arch9wavefront6targetE1EEEvT1_,"axG",@progbits,_ZN7rocprim17ROCPRIM_400000_NS6detail17trampoline_kernelINS0_14default_configENS1_27scan_by_key_config_selectorIiiEEZZNS1_16scan_by_key_implILNS1_25lookback_scan_determinismE0ELb1ES3_N6thrust23THRUST_200600_302600_NS6detail15normal_iteratorINS9_10device_ptrIiEEEESE_SE_iNS9_4plusIvEENS9_8equal_toIiEEiEE10hipError_tPvRmT2_T3_T4_T5_mT6_T7_P12ihipStream_tbENKUlT_T0_E_clISt17integral_constantIbLb1EESY_IbLb0EEEEDaSU_SV_EUlSU_E_NS1_11comp_targetILNS1_3genE0ELNS1_11target_archE4294967295ELNS1_3gpuE0ELNS1_3repE0EEENS1_30default_config_static_selectorELNS0_4arch9wavefront6targetE1EEEvT1_,comdat
.Lfunc_end551:
	.size	_ZN7rocprim17ROCPRIM_400000_NS6detail17trampoline_kernelINS0_14default_configENS1_27scan_by_key_config_selectorIiiEEZZNS1_16scan_by_key_implILNS1_25lookback_scan_determinismE0ELb1ES3_N6thrust23THRUST_200600_302600_NS6detail15normal_iteratorINS9_10device_ptrIiEEEESE_SE_iNS9_4plusIvEENS9_8equal_toIiEEiEE10hipError_tPvRmT2_T3_T4_T5_mT6_T7_P12ihipStream_tbENKUlT_T0_E_clISt17integral_constantIbLb1EESY_IbLb0EEEEDaSU_SV_EUlSU_E_NS1_11comp_targetILNS1_3genE0ELNS1_11target_archE4294967295ELNS1_3gpuE0ELNS1_3repE0EEENS1_30default_config_static_selectorELNS0_4arch9wavefront6targetE1EEEvT1_, .Lfunc_end551-_ZN7rocprim17ROCPRIM_400000_NS6detail17trampoline_kernelINS0_14default_configENS1_27scan_by_key_config_selectorIiiEEZZNS1_16scan_by_key_implILNS1_25lookback_scan_determinismE0ELb1ES3_N6thrust23THRUST_200600_302600_NS6detail15normal_iteratorINS9_10device_ptrIiEEEESE_SE_iNS9_4plusIvEENS9_8equal_toIiEEiEE10hipError_tPvRmT2_T3_T4_T5_mT6_T7_P12ihipStream_tbENKUlT_T0_E_clISt17integral_constantIbLb1EESY_IbLb0EEEEDaSU_SV_EUlSU_E_NS1_11comp_targetILNS1_3genE0ELNS1_11target_archE4294967295ELNS1_3gpuE0ELNS1_3repE0EEENS1_30default_config_static_selectorELNS0_4arch9wavefront6targetE1EEEvT1_
                                        ; -- End function
	.section	.AMDGPU.csdata,"",@progbits
; Kernel info:
; codeLenInByte = 0
; NumSgprs: 6
; NumVgprs: 0
; NumAgprs: 0
; TotalNumVgprs: 0
; ScratchSize: 0
; MemoryBound: 0
; FloatMode: 240
; IeeeMode: 1
; LDSByteSize: 0 bytes/workgroup (compile time only)
; SGPRBlocks: 0
; VGPRBlocks: 0
; NumSGPRsForWavesPerEU: 6
; NumVGPRsForWavesPerEU: 1
; AccumOffset: 4
; Occupancy: 8
; WaveLimiterHint : 0
; COMPUTE_PGM_RSRC2:SCRATCH_EN: 0
; COMPUTE_PGM_RSRC2:USER_SGPR: 2
; COMPUTE_PGM_RSRC2:TRAP_HANDLER: 0
; COMPUTE_PGM_RSRC2:TGID_X_EN: 1
; COMPUTE_PGM_RSRC2:TGID_Y_EN: 0
; COMPUTE_PGM_RSRC2:TGID_Z_EN: 0
; COMPUTE_PGM_RSRC2:TIDIG_COMP_CNT: 0
; COMPUTE_PGM_RSRC3_GFX90A:ACCUM_OFFSET: 0
; COMPUTE_PGM_RSRC3_GFX90A:TG_SPLIT: 0
	.section	.text._ZN7rocprim17ROCPRIM_400000_NS6detail17trampoline_kernelINS0_14default_configENS1_27scan_by_key_config_selectorIiiEEZZNS1_16scan_by_key_implILNS1_25lookback_scan_determinismE0ELb1ES3_N6thrust23THRUST_200600_302600_NS6detail15normal_iteratorINS9_10device_ptrIiEEEESE_SE_iNS9_4plusIvEENS9_8equal_toIiEEiEE10hipError_tPvRmT2_T3_T4_T5_mT6_T7_P12ihipStream_tbENKUlT_T0_E_clISt17integral_constantIbLb1EESY_IbLb0EEEEDaSU_SV_EUlSU_E_NS1_11comp_targetILNS1_3genE10ELNS1_11target_archE1201ELNS1_3gpuE5ELNS1_3repE0EEENS1_30default_config_static_selectorELNS0_4arch9wavefront6targetE1EEEvT1_,"axG",@progbits,_ZN7rocprim17ROCPRIM_400000_NS6detail17trampoline_kernelINS0_14default_configENS1_27scan_by_key_config_selectorIiiEEZZNS1_16scan_by_key_implILNS1_25lookback_scan_determinismE0ELb1ES3_N6thrust23THRUST_200600_302600_NS6detail15normal_iteratorINS9_10device_ptrIiEEEESE_SE_iNS9_4plusIvEENS9_8equal_toIiEEiEE10hipError_tPvRmT2_T3_T4_T5_mT6_T7_P12ihipStream_tbENKUlT_T0_E_clISt17integral_constantIbLb1EESY_IbLb0EEEEDaSU_SV_EUlSU_E_NS1_11comp_targetILNS1_3genE10ELNS1_11target_archE1201ELNS1_3gpuE5ELNS1_3repE0EEENS1_30default_config_static_selectorELNS0_4arch9wavefront6targetE1EEEvT1_,comdat
	.protected	_ZN7rocprim17ROCPRIM_400000_NS6detail17trampoline_kernelINS0_14default_configENS1_27scan_by_key_config_selectorIiiEEZZNS1_16scan_by_key_implILNS1_25lookback_scan_determinismE0ELb1ES3_N6thrust23THRUST_200600_302600_NS6detail15normal_iteratorINS9_10device_ptrIiEEEESE_SE_iNS9_4plusIvEENS9_8equal_toIiEEiEE10hipError_tPvRmT2_T3_T4_T5_mT6_T7_P12ihipStream_tbENKUlT_T0_E_clISt17integral_constantIbLb1EESY_IbLb0EEEEDaSU_SV_EUlSU_E_NS1_11comp_targetILNS1_3genE10ELNS1_11target_archE1201ELNS1_3gpuE5ELNS1_3repE0EEENS1_30default_config_static_selectorELNS0_4arch9wavefront6targetE1EEEvT1_ ; -- Begin function _ZN7rocprim17ROCPRIM_400000_NS6detail17trampoline_kernelINS0_14default_configENS1_27scan_by_key_config_selectorIiiEEZZNS1_16scan_by_key_implILNS1_25lookback_scan_determinismE0ELb1ES3_N6thrust23THRUST_200600_302600_NS6detail15normal_iteratorINS9_10device_ptrIiEEEESE_SE_iNS9_4plusIvEENS9_8equal_toIiEEiEE10hipError_tPvRmT2_T3_T4_T5_mT6_T7_P12ihipStream_tbENKUlT_T0_E_clISt17integral_constantIbLb1EESY_IbLb0EEEEDaSU_SV_EUlSU_E_NS1_11comp_targetILNS1_3genE10ELNS1_11target_archE1201ELNS1_3gpuE5ELNS1_3repE0EEENS1_30default_config_static_selectorELNS0_4arch9wavefront6targetE1EEEvT1_
	.globl	_ZN7rocprim17ROCPRIM_400000_NS6detail17trampoline_kernelINS0_14default_configENS1_27scan_by_key_config_selectorIiiEEZZNS1_16scan_by_key_implILNS1_25lookback_scan_determinismE0ELb1ES3_N6thrust23THRUST_200600_302600_NS6detail15normal_iteratorINS9_10device_ptrIiEEEESE_SE_iNS9_4plusIvEENS9_8equal_toIiEEiEE10hipError_tPvRmT2_T3_T4_T5_mT6_T7_P12ihipStream_tbENKUlT_T0_E_clISt17integral_constantIbLb1EESY_IbLb0EEEEDaSU_SV_EUlSU_E_NS1_11comp_targetILNS1_3genE10ELNS1_11target_archE1201ELNS1_3gpuE5ELNS1_3repE0EEENS1_30default_config_static_selectorELNS0_4arch9wavefront6targetE1EEEvT1_
	.p2align	8
	.type	_ZN7rocprim17ROCPRIM_400000_NS6detail17trampoline_kernelINS0_14default_configENS1_27scan_by_key_config_selectorIiiEEZZNS1_16scan_by_key_implILNS1_25lookback_scan_determinismE0ELb1ES3_N6thrust23THRUST_200600_302600_NS6detail15normal_iteratorINS9_10device_ptrIiEEEESE_SE_iNS9_4plusIvEENS9_8equal_toIiEEiEE10hipError_tPvRmT2_T3_T4_T5_mT6_T7_P12ihipStream_tbENKUlT_T0_E_clISt17integral_constantIbLb1EESY_IbLb0EEEEDaSU_SV_EUlSU_E_NS1_11comp_targetILNS1_3genE10ELNS1_11target_archE1201ELNS1_3gpuE5ELNS1_3repE0EEENS1_30default_config_static_selectorELNS0_4arch9wavefront6targetE1EEEvT1_,@function
_ZN7rocprim17ROCPRIM_400000_NS6detail17trampoline_kernelINS0_14default_configENS1_27scan_by_key_config_selectorIiiEEZZNS1_16scan_by_key_implILNS1_25lookback_scan_determinismE0ELb1ES3_N6thrust23THRUST_200600_302600_NS6detail15normal_iteratorINS9_10device_ptrIiEEEESE_SE_iNS9_4plusIvEENS9_8equal_toIiEEiEE10hipError_tPvRmT2_T3_T4_T5_mT6_T7_P12ihipStream_tbENKUlT_T0_E_clISt17integral_constantIbLb1EESY_IbLb0EEEEDaSU_SV_EUlSU_E_NS1_11comp_targetILNS1_3genE10ELNS1_11target_archE1201ELNS1_3gpuE5ELNS1_3repE0EEENS1_30default_config_static_selectorELNS0_4arch9wavefront6targetE1EEEvT1_: ; @_ZN7rocprim17ROCPRIM_400000_NS6detail17trampoline_kernelINS0_14default_configENS1_27scan_by_key_config_selectorIiiEEZZNS1_16scan_by_key_implILNS1_25lookback_scan_determinismE0ELb1ES3_N6thrust23THRUST_200600_302600_NS6detail15normal_iteratorINS9_10device_ptrIiEEEESE_SE_iNS9_4plusIvEENS9_8equal_toIiEEiEE10hipError_tPvRmT2_T3_T4_T5_mT6_T7_P12ihipStream_tbENKUlT_T0_E_clISt17integral_constantIbLb1EESY_IbLb0EEEEDaSU_SV_EUlSU_E_NS1_11comp_targetILNS1_3genE10ELNS1_11target_archE1201ELNS1_3gpuE5ELNS1_3repE0EEENS1_30default_config_static_selectorELNS0_4arch9wavefront6targetE1EEEvT1_
; %bb.0:
	.section	.rodata,"a",@progbits
	.p2align	6, 0x0
	.amdhsa_kernel _ZN7rocprim17ROCPRIM_400000_NS6detail17trampoline_kernelINS0_14default_configENS1_27scan_by_key_config_selectorIiiEEZZNS1_16scan_by_key_implILNS1_25lookback_scan_determinismE0ELb1ES3_N6thrust23THRUST_200600_302600_NS6detail15normal_iteratorINS9_10device_ptrIiEEEESE_SE_iNS9_4plusIvEENS9_8equal_toIiEEiEE10hipError_tPvRmT2_T3_T4_T5_mT6_T7_P12ihipStream_tbENKUlT_T0_E_clISt17integral_constantIbLb1EESY_IbLb0EEEEDaSU_SV_EUlSU_E_NS1_11comp_targetILNS1_3genE10ELNS1_11target_archE1201ELNS1_3gpuE5ELNS1_3repE0EEENS1_30default_config_static_selectorELNS0_4arch9wavefront6targetE1EEEvT1_
		.amdhsa_group_segment_fixed_size 0
		.amdhsa_private_segment_fixed_size 0
		.amdhsa_kernarg_size 112
		.amdhsa_user_sgpr_count 2
		.amdhsa_user_sgpr_dispatch_ptr 0
		.amdhsa_user_sgpr_queue_ptr 0
		.amdhsa_user_sgpr_kernarg_segment_ptr 1
		.amdhsa_user_sgpr_dispatch_id 0
		.amdhsa_user_sgpr_kernarg_preload_length 0
		.amdhsa_user_sgpr_kernarg_preload_offset 0
		.amdhsa_user_sgpr_private_segment_size 0
		.amdhsa_uses_dynamic_stack 0
		.amdhsa_enable_private_segment 0
		.amdhsa_system_sgpr_workgroup_id_x 1
		.amdhsa_system_sgpr_workgroup_id_y 0
		.amdhsa_system_sgpr_workgroup_id_z 0
		.amdhsa_system_sgpr_workgroup_info 0
		.amdhsa_system_vgpr_workitem_id 0
		.amdhsa_next_free_vgpr 1
		.amdhsa_next_free_sgpr 0
		.amdhsa_accum_offset 4
		.amdhsa_reserve_vcc 0
		.amdhsa_float_round_mode_32 0
		.amdhsa_float_round_mode_16_64 0
		.amdhsa_float_denorm_mode_32 3
		.amdhsa_float_denorm_mode_16_64 3
		.amdhsa_dx10_clamp 1
		.amdhsa_ieee_mode 1
		.amdhsa_fp16_overflow 0
		.amdhsa_tg_split 0
		.amdhsa_exception_fp_ieee_invalid_op 0
		.amdhsa_exception_fp_denorm_src 0
		.amdhsa_exception_fp_ieee_div_zero 0
		.amdhsa_exception_fp_ieee_overflow 0
		.amdhsa_exception_fp_ieee_underflow 0
		.amdhsa_exception_fp_ieee_inexact 0
		.amdhsa_exception_int_div_zero 0
	.end_amdhsa_kernel
	.section	.text._ZN7rocprim17ROCPRIM_400000_NS6detail17trampoline_kernelINS0_14default_configENS1_27scan_by_key_config_selectorIiiEEZZNS1_16scan_by_key_implILNS1_25lookback_scan_determinismE0ELb1ES3_N6thrust23THRUST_200600_302600_NS6detail15normal_iteratorINS9_10device_ptrIiEEEESE_SE_iNS9_4plusIvEENS9_8equal_toIiEEiEE10hipError_tPvRmT2_T3_T4_T5_mT6_T7_P12ihipStream_tbENKUlT_T0_E_clISt17integral_constantIbLb1EESY_IbLb0EEEEDaSU_SV_EUlSU_E_NS1_11comp_targetILNS1_3genE10ELNS1_11target_archE1201ELNS1_3gpuE5ELNS1_3repE0EEENS1_30default_config_static_selectorELNS0_4arch9wavefront6targetE1EEEvT1_,"axG",@progbits,_ZN7rocprim17ROCPRIM_400000_NS6detail17trampoline_kernelINS0_14default_configENS1_27scan_by_key_config_selectorIiiEEZZNS1_16scan_by_key_implILNS1_25lookback_scan_determinismE0ELb1ES3_N6thrust23THRUST_200600_302600_NS6detail15normal_iteratorINS9_10device_ptrIiEEEESE_SE_iNS9_4plusIvEENS9_8equal_toIiEEiEE10hipError_tPvRmT2_T3_T4_T5_mT6_T7_P12ihipStream_tbENKUlT_T0_E_clISt17integral_constantIbLb1EESY_IbLb0EEEEDaSU_SV_EUlSU_E_NS1_11comp_targetILNS1_3genE10ELNS1_11target_archE1201ELNS1_3gpuE5ELNS1_3repE0EEENS1_30default_config_static_selectorELNS0_4arch9wavefront6targetE1EEEvT1_,comdat
.Lfunc_end552:
	.size	_ZN7rocprim17ROCPRIM_400000_NS6detail17trampoline_kernelINS0_14default_configENS1_27scan_by_key_config_selectorIiiEEZZNS1_16scan_by_key_implILNS1_25lookback_scan_determinismE0ELb1ES3_N6thrust23THRUST_200600_302600_NS6detail15normal_iteratorINS9_10device_ptrIiEEEESE_SE_iNS9_4plusIvEENS9_8equal_toIiEEiEE10hipError_tPvRmT2_T3_T4_T5_mT6_T7_P12ihipStream_tbENKUlT_T0_E_clISt17integral_constantIbLb1EESY_IbLb0EEEEDaSU_SV_EUlSU_E_NS1_11comp_targetILNS1_3genE10ELNS1_11target_archE1201ELNS1_3gpuE5ELNS1_3repE0EEENS1_30default_config_static_selectorELNS0_4arch9wavefront6targetE1EEEvT1_, .Lfunc_end552-_ZN7rocprim17ROCPRIM_400000_NS6detail17trampoline_kernelINS0_14default_configENS1_27scan_by_key_config_selectorIiiEEZZNS1_16scan_by_key_implILNS1_25lookback_scan_determinismE0ELb1ES3_N6thrust23THRUST_200600_302600_NS6detail15normal_iteratorINS9_10device_ptrIiEEEESE_SE_iNS9_4plusIvEENS9_8equal_toIiEEiEE10hipError_tPvRmT2_T3_T4_T5_mT6_T7_P12ihipStream_tbENKUlT_T0_E_clISt17integral_constantIbLb1EESY_IbLb0EEEEDaSU_SV_EUlSU_E_NS1_11comp_targetILNS1_3genE10ELNS1_11target_archE1201ELNS1_3gpuE5ELNS1_3repE0EEENS1_30default_config_static_selectorELNS0_4arch9wavefront6targetE1EEEvT1_
                                        ; -- End function
	.section	.AMDGPU.csdata,"",@progbits
; Kernel info:
; codeLenInByte = 0
; NumSgprs: 6
; NumVgprs: 0
; NumAgprs: 0
; TotalNumVgprs: 0
; ScratchSize: 0
; MemoryBound: 0
; FloatMode: 240
; IeeeMode: 1
; LDSByteSize: 0 bytes/workgroup (compile time only)
; SGPRBlocks: 0
; VGPRBlocks: 0
; NumSGPRsForWavesPerEU: 6
; NumVGPRsForWavesPerEU: 1
; AccumOffset: 4
; Occupancy: 8
; WaveLimiterHint : 0
; COMPUTE_PGM_RSRC2:SCRATCH_EN: 0
; COMPUTE_PGM_RSRC2:USER_SGPR: 2
; COMPUTE_PGM_RSRC2:TRAP_HANDLER: 0
; COMPUTE_PGM_RSRC2:TGID_X_EN: 1
; COMPUTE_PGM_RSRC2:TGID_Y_EN: 0
; COMPUTE_PGM_RSRC2:TGID_Z_EN: 0
; COMPUTE_PGM_RSRC2:TIDIG_COMP_CNT: 0
; COMPUTE_PGM_RSRC3_GFX90A:ACCUM_OFFSET: 0
; COMPUTE_PGM_RSRC3_GFX90A:TG_SPLIT: 0
	.section	.text._ZN7rocprim17ROCPRIM_400000_NS6detail17trampoline_kernelINS0_14default_configENS1_27scan_by_key_config_selectorIiiEEZZNS1_16scan_by_key_implILNS1_25lookback_scan_determinismE0ELb1ES3_N6thrust23THRUST_200600_302600_NS6detail15normal_iteratorINS9_10device_ptrIiEEEESE_SE_iNS9_4plusIvEENS9_8equal_toIiEEiEE10hipError_tPvRmT2_T3_T4_T5_mT6_T7_P12ihipStream_tbENKUlT_T0_E_clISt17integral_constantIbLb1EESY_IbLb0EEEEDaSU_SV_EUlSU_E_NS1_11comp_targetILNS1_3genE5ELNS1_11target_archE942ELNS1_3gpuE9ELNS1_3repE0EEENS1_30default_config_static_selectorELNS0_4arch9wavefront6targetE1EEEvT1_,"axG",@progbits,_ZN7rocprim17ROCPRIM_400000_NS6detail17trampoline_kernelINS0_14default_configENS1_27scan_by_key_config_selectorIiiEEZZNS1_16scan_by_key_implILNS1_25lookback_scan_determinismE0ELb1ES3_N6thrust23THRUST_200600_302600_NS6detail15normal_iteratorINS9_10device_ptrIiEEEESE_SE_iNS9_4plusIvEENS9_8equal_toIiEEiEE10hipError_tPvRmT2_T3_T4_T5_mT6_T7_P12ihipStream_tbENKUlT_T0_E_clISt17integral_constantIbLb1EESY_IbLb0EEEEDaSU_SV_EUlSU_E_NS1_11comp_targetILNS1_3genE5ELNS1_11target_archE942ELNS1_3gpuE9ELNS1_3repE0EEENS1_30default_config_static_selectorELNS0_4arch9wavefront6targetE1EEEvT1_,comdat
	.protected	_ZN7rocprim17ROCPRIM_400000_NS6detail17trampoline_kernelINS0_14default_configENS1_27scan_by_key_config_selectorIiiEEZZNS1_16scan_by_key_implILNS1_25lookback_scan_determinismE0ELb1ES3_N6thrust23THRUST_200600_302600_NS6detail15normal_iteratorINS9_10device_ptrIiEEEESE_SE_iNS9_4plusIvEENS9_8equal_toIiEEiEE10hipError_tPvRmT2_T3_T4_T5_mT6_T7_P12ihipStream_tbENKUlT_T0_E_clISt17integral_constantIbLb1EESY_IbLb0EEEEDaSU_SV_EUlSU_E_NS1_11comp_targetILNS1_3genE5ELNS1_11target_archE942ELNS1_3gpuE9ELNS1_3repE0EEENS1_30default_config_static_selectorELNS0_4arch9wavefront6targetE1EEEvT1_ ; -- Begin function _ZN7rocprim17ROCPRIM_400000_NS6detail17trampoline_kernelINS0_14default_configENS1_27scan_by_key_config_selectorIiiEEZZNS1_16scan_by_key_implILNS1_25lookback_scan_determinismE0ELb1ES3_N6thrust23THRUST_200600_302600_NS6detail15normal_iteratorINS9_10device_ptrIiEEEESE_SE_iNS9_4plusIvEENS9_8equal_toIiEEiEE10hipError_tPvRmT2_T3_T4_T5_mT6_T7_P12ihipStream_tbENKUlT_T0_E_clISt17integral_constantIbLb1EESY_IbLb0EEEEDaSU_SV_EUlSU_E_NS1_11comp_targetILNS1_3genE5ELNS1_11target_archE942ELNS1_3gpuE9ELNS1_3repE0EEENS1_30default_config_static_selectorELNS0_4arch9wavefront6targetE1EEEvT1_
	.globl	_ZN7rocprim17ROCPRIM_400000_NS6detail17trampoline_kernelINS0_14default_configENS1_27scan_by_key_config_selectorIiiEEZZNS1_16scan_by_key_implILNS1_25lookback_scan_determinismE0ELb1ES3_N6thrust23THRUST_200600_302600_NS6detail15normal_iteratorINS9_10device_ptrIiEEEESE_SE_iNS9_4plusIvEENS9_8equal_toIiEEiEE10hipError_tPvRmT2_T3_T4_T5_mT6_T7_P12ihipStream_tbENKUlT_T0_E_clISt17integral_constantIbLb1EESY_IbLb0EEEEDaSU_SV_EUlSU_E_NS1_11comp_targetILNS1_3genE5ELNS1_11target_archE942ELNS1_3gpuE9ELNS1_3repE0EEENS1_30default_config_static_selectorELNS0_4arch9wavefront6targetE1EEEvT1_
	.p2align	8
	.type	_ZN7rocprim17ROCPRIM_400000_NS6detail17trampoline_kernelINS0_14default_configENS1_27scan_by_key_config_selectorIiiEEZZNS1_16scan_by_key_implILNS1_25lookback_scan_determinismE0ELb1ES3_N6thrust23THRUST_200600_302600_NS6detail15normal_iteratorINS9_10device_ptrIiEEEESE_SE_iNS9_4plusIvEENS9_8equal_toIiEEiEE10hipError_tPvRmT2_T3_T4_T5_mT6_T7_P12ihipStream_tbENKUlT_T0_E_clISt17integral_constantIbLb1EESY_IbLb0EEEEDaSU_SV_EUlSU_E_NS1_11comp_targetILNS1_3genE5ELNS1_11target_archE942ELNS1_3gpuE9ELNS1_3repE0EEENS1_30default_config_static_selectorELNS0_4arch9wavefront6targetE1EEEvT1_,@function
_ZN7rocprim17ROCPRIM_400000_NS6detail17trampoline_kernelINS0_14default_configENS1_27scan_by_key_config_selectorIiiEEZZNS1_16scan_by_key_implILNS1_25lookback_scan_determinismE0ELb1ES3_N6thrust23THRUST_200600_302600_NS6detail15normal_iteratorINS9_10device_ptrIiEEEESE_SE_iNS9_4plusIvEENS9_8equal_toIiEEiEE10hipError_tPvRmT2_T3_T4_T5_mT6_T7_P12ihipStream_tbENKUlT_T0_E_clISt17integral_constantIbLb1EESY_IbLb0EEEEDaSU_SV_EUlSU_E_NS1_11comp_targetILNS1_3genE5ELNS1_11target_archE942ELNS1_3gpuE9ELNS1_3repE0EEENS1_30default_config_static_selectorELNS0_4arch9wavefront6targetE1EEEvT1_: ; @_ZN7rocprim17ROCPRIM_400000_NS6detail17trampoline_kernelINS0_14default_configENS1_27scan_by_key_config_selectorIiiEEZZNS1_16scan_by_key_implILNS1_25lookback_scan_determinismE0ELb1ES3_N6thrust23THRUST_200600_302600_NS6detail15normal_iteratorINS9_10device_ptrIiEEEESE_SE_iNS9_4plusIvEENS9_8equal_toIiEEiEE10hipError_tPvRmT2_T3_T4_T5_mT6_T7_P12ihipStream_tbENKUlT_T0_E_clISt17integral_constantIbLb1EESY_IbLb0EEEEDaSU_SV_EUlSU_E_NS1_11comp_targetILNS1_3genE5ELNS1_11target_archE942ELNS1_3gpuE9ELNS1_3repE0EEENS1_30default_config_static_selectorELNS0_4arch9wavefront6targetE1EEEvT1_
; %bb.0:
	s_load_dwordx8 s[48:55], s[0:1], 0x0
	s_load_dword s76, s[0:1], 0x20
	s_load_dwordx4 s[56:59], s[0:1], 0x28
	s_load_dwordx2 s[68:69], s[0:1], 0x38
	s_load_dword s3, s[0:1], 0x40
	s_load_dwordx4 s[60:63], s[0:1], 0x48
	s_waitcnt lgkmcnt(0)
	s_lshl_b64 s[64:65], s[50:51], 2
	s_add_u32 s4, s48, s64
	s_addc_u32 s5, s49, s65
	s_add_u32 s6, s52, s64
	s_mul_i32 s0, s69, s3
	s_mul_hi_u32 s1, s68, s3
	s_addc_u32 s7, s53, s65
	s_add_i32 s8, s1, s0
	s_mul_i32 s0, s2, 0x1700
	s_mov_b32 s1, 0
	s_lshl_b64 s[66:67], s[0:1], 2
	s_add_u32 s70, s4, s66
	s_addc_u32 s71, s5, s67
	s_add_u32 s52, s6, s66
	s_mul_i32 s3, s68, s3
	s_addc_u32 s53, s7, s67
	s_add_u32 s0, s3, s2
	s_addc_u32 s1, s8, 0
	s_add_u32 s6, s60, -1
	s_addc_u32 s7, s61, -1
	v_mov_b64_e32 v[2:3], s[6:7]
	v_cmp_ge_u64_e64 s[0:1], s[0:1], v[2:3]
	s_mov_b64 s[4:5], -1
	s_and_b64 vcc, exec, s[0:1]
	s_mul_i32 s33, s6, 0xffffe900
	s_barrier
	s_cbranch_vccz .LBB553_71
; %bb.1:
	v_mov_b64_e32 v[2:3], s[70:71]
	flat_load_dword v1, v[2:3]
	s_add_i32 s3, s33, s58
	v_cmp_gt_u32_e32 vcc, s3, v0
	s_waitcnt vmcnt(0) lgkmcnt(0)
	v_mov_b32_e32 v3, v1
	s_and_saveexec_b64 s[4:5], vcc
	s_cbranch_execz .LBB553_3
; %bb.2:
	v_lshlrev_b32_e32 v2, 2, v0
	v_mov_b32_e32 v3, 0
	v_lshl_add_u64 v[2:3], s[70:71], 0, v[2:3]
	flat_load_dword v3, v[2:3]
.LBB553_3:
	s_or_b64 exec, exec, s[4:5]
	v_or_b32_e32 v2, 0x100, v0
	v_cmp_gt_u32_e64 s[48:49], s3, v2
	v_mov_b32_e32 v4, v1
	s_and_saveexec_b64 s[4:5], s[48:49]
	s_cbranch_execz .LBB553_5
; %bb.4:
	v_lshlrev_b32_e32 v4, 2, v0
	v_mov_b32_e32 v5, 0
	v_lshl_add_u64 v[4:5], s[70:71], 0, v[4:5]
	flat_load_dword v4, v[4:5] offset:1024
.LBB553_5:
	s_or_b64 exec, exec, s[4:5]
	v_or_b32_e32 v2, 0x200, v0
	v_cmp_gt_u32_e64 s[4:5], s3, v2
	v_mov_b32_e32 v5, v1
	s_and_saveexec_b64 s[6:7], s[4:5]
	s_cbranch_execz .LBB553_7
; %bb.6:
	v_lshlrev_b32_e32 v6, 2, v0
	v_mov_b32_e32 v7, 0
	v_lshl_add_u64 v[6:7], s[70:71], 0, v[6:7]
	flat_load_dword v5, v[6:7] offset:2048
.LBB553_7:
	;; [unrolled: 12-line block ×3, first 2 shown]
	s_or_b64 exec, exec, s[8:9]
	v_or_b32_e32 v10, 0x400, v0
	v_cmp_gt_u32_e64 s[8:9], s3, v10
	v_mov_b32_e32 v7, v1
	s_and_saveexec_b64 s[10:11], s[8:9]
	s_cbranch_execz .LBB553_11
; %bb.10:
	v_lshlrev_b32_e32 v8, 2, v10
	v_mov_b32_e32 v9, 0
	v_lshl_add_u64 v[8:9], s[70:71], 0, v[8:9]
	flat_load_dword v7, v[8:9]
.LBB553_11:
	s_or_b64 exec, exec, s[10:11]
	v_or_b32_e32 v11, 0x500, v0
	v_cmp_gt_u32_e64 s[10:11], s3, v11
	v_mov_b32_e32 v8, v1
	s_and_saveexec_b64 s[12:13], s[10:11]
	s_cbranch_execz .LBB553_13
; %bb.12:
	v_lshlrev_b32_e32 v8, 2, v11
	v_mov_b32_e32 v9, 0
	v_lshl_add_u64 v[8:9], s[70:71], 0, v[8:9]
	flat_load_dword v8, v[8:9]
.LBB553_13:
	;; [unrolled: 12-line block ×18, first 2 shown]
	s_or_b64 exec, exec, s[46:47]
	v_or_b32_e32 v28, 0x1600, v0
	v_cmp_gt_u32_e64 s[46:47], s3, v28
	s_and_saveexec_b64 s[50:51], s[46:47]
	s_cbranch_execz .LBB553_47
; %bb.46:
	v_lshlrev_b32_e32 v44, 2, v28
	v_mov_b32_e32 v45, 0
	v_lshl_add_u64 v[44:45], s[70:71], 0, v[44:45]
	flat_load_dword v1, v[44:45]
.LBB553_47:
	s_or_b64 exec, exec, s[50:51]
	v_lshlrev_b32_e32 v2, 2, v0
	s_waitcnt vmcnt(0) lgkmcnt(0)
	ds_write2st64_b32 v2, v3, v4 offset1:4
	ds_write2st64_b32 v2, v5, v6 offset0:8 offset1:12
	ds_write2st64_b32 v2, v7, v8 offset0:16 offset1:20
	ds_write2st64_b32 v2, v9, v29 offset0:24 offset1:28
	ds_write2st64_b32 v2, v30, v31 offset0:32 offset1:36
	ds_write2st64_b32 v2, v32, v33 offset0:40 offset1:44
	ds_write2st64_b32 v2, v34, v35 offset0:48 offset1:52
	ds_write2st64_b32 v2, v36, v37 offset0:56 offset1:60
	ds_write2st64_b32 v2, v38, v39 offset0:64 offset1:68
	ds_write2st64_b32 v2, v40, v41 offset0:72 offset1:76
	ds_write2st64_b32 v2, v42, v43 offset0:80 offset1:84
	ds_write_b32 v2, v1 offset:22528
	v_mov_b64_e32 v[4:5], s[70:71]
	s_waitcnt lgkmcnt(0)
	s_barrier
	flat_load_dword v1, v[4:5]
	s_movk_i32 s50, 0x58
	v_mad_u32_u24 v70, v0, s50, v2
	s_movk_i32 s50, 0xffa8
	v_mad_i32_i24 v3, v0, s50, v70
	s_movk_i32 s50, 0xff
	v_cmp_ne_u32_e64 s[50:51], s50, v0
	ds_read_b32 v72, v70
	ds_read2_b32 v[68:69], v70 offset0:1 offset1:2
	ds_read2_b32 v[66:67], v70 offset0:3 offset1:4
	;; [unrolled: 1-line block ×11, first 2 shown]
	s_waitcnt lgkmcnt(0)
	ds_write_b32 v3, v72 offset:24576
	s_waitcnt lgkmcnt(0)
	s_barrier
	s_and_saveexec_b64 s[60:61], s[50:51]
	s_cbranch_execz .LBB553_49
; %bb.48:
	s_waitcnt vmcnt(0)
	ds_read_b32 v1, v2 offset:24580
.LBB553_49:
	s_or_b64 exec, exec, s[60:61]
	v_mov_b32_e32 v3, 0
	s_waitcnt lgkmcnt(0)
	s_barrier
	s_waitcnt lgkmcnt(0)
                                        ; implicit-def: $vgpr29
	s_and_saveexec_b64 s[50:51], vcc
	s_cbranch_execz .LBB553_72
; %bb.50:
	v_lshl_add_u64 v[30:31], s[52:53], 0, v[2:3]
	flat_load_dword v29, v[30:31]
	s_or_b64 exec, exec, s[50:51]
                                        ; implicit-def: $vgpr30
	s_and_saveexec_b64 s[50:51], s[48:49]
	s_cbranch_execnz .LBB553_73
.LBB553_51:
	s_or_b64 exec, exec, s[50:51]
                                        ; implicit-def: $vgpr31
	s_and_saveexec_b64 s[48:49], s[4:5]
	s_cbranch_execz .LBB553_74
.LBB553_52:
	v_mov_b32_e32 v3, 0
	v_lshl_add_u64 v[32:33], s[52:53], 0, v[2:3]
	flat_load_dword v31, v[32:33] offset:2048
	s_or_b64 exec, exec, s[48:49]
                                        ; implicit-def: $vgpr3
	s_and_saveexec_b64 s[4:5], s[6:7]
	s_cbranch_execnz .LBB553_75
.LBB553_53:
	s_or_b64 exec, exec, s[4:5]
                                        ; implicit-def: $vgpr32
	s_and_saveexec_b64 s[4:5], s[8:9]
	s_cbranch_execz .LBB553_76
.LBB553_54:
	v_lshlrev_b32_e32 v32, 2, v10
	v_mov_b32_e32 v33, 0
	v_lshl_add_u64 v[32:33], s[52:53], 0, v[32:33]
	flat_load_dword v32, v[32:33]
	s_or_b64 exec, exec, s[4:5]
                                        ; implicit-def: $vgpr10
	s_and_saveexec_b64 s[4:5], s[10:11]
	s_cbranch_execnz .LBB553_77
.LBB553_55:
	s_or_b64 exec, exec, s[4:5]
                                        ; implicit-def: $vgpr11
	s_and_saveexec_b64 s[4:5], s[12:13]
	s_cbranch_execz .LBB553_78
.LBB553_56:
	v_lshlrev_b32_e32 v34, 2, v12
	v_mov_b32_e32 v35, 0
	v_lshl_add_u64 v[34:35], s[52:53], 0, v[34:35]
	flat_load_dword v11, v[34:35]
	s_or_b64 exec, exec, s[4:5]
                                        ; implicit-def: $vgpr12
	s_and_saveexec_b64 s[4:5], s[14:15]
	s_cbranch_execnz .LBB553_79
.LBB553_57:
	s_or_b64 exec, exec, s[4:5]
                                        ; implicit-def: $vgpr13
	s_and_saveexec_b64 s[4:5], s[16:17]
	s_cbranch_execz .LBB553_80
.LBB553_58:
	v_lshlrev_b32_e32 v34, 2, v14
	v_mov_b32_e32 v35, 0
	v_lshl_add_u64 v[34:35], s[52:53], 0, v[34:35]
	flat_load_dword v13, v[34:35]
	s_or_b64 exec, exec, s[4:5]
                                        ; implicit-def: $vgpr14
	s_and_saveexec_b64 s[4:5], s[18:19]
	s_cbranch_execnz .LBB553_81
.LBB553_59:
	s_or_b64 exec, exec, s[4:5]
                                        ; implicit-def: $vgpr15
	s_and_saveexec_b64 s[4:5], s[20:21]
	s_cbranch_execz .LBB553_82
.LBB553_60:
	v_lshlrev_b32_e32 v34, 2, v16
	v_mov_b32_e32 v35, 0
	v_lshl_add_u64 v[34:35], s[52:53], 0, v[34:35]
	flat_load_dword v15, v[34:35]
	s_or_b64 exec, exec, s[4:5]
                                        ; implicit-def: $vgpr16
	s_and_saveexec_b64 s[4:5], s[22:23]
	s_cbranch_execnz .LBB553_83
.LBB553_61:
	s_or_b64 exec, exec, s[4:5]
                                        ; implicit-def: $vgpr17
	s_and_saveexec_b64 s[4:5], s[24:25]
	s_cbranch_execz .LBB553_84
.LBB553_62:
	v_lshlrev_b32_e32 v34, 2, v18
	v_mov_b32_e32 v35, 0
	v_lshl_add_u64 v[34:35], s[52:53], 0, v[34:35]
	flat_load_dword v17, v[34:35]
	s_or_b64 exec, exec, s[4:5]
                                        ; implicit-def: $vgpr18
	s_and_saveexec_b64 s[4:5], s[26:27]
	s_cbranch_execnz .LBB553_85
.LBB553_63:
	s_or_b64 exec, exec, s[4:5]
                                        ; implicit-def: $vgpr19
	s_and_saveexec_b64 s[4:5], s[28:29]
	s_cbranch_execz .LBB553_86
.LBB553_64:
	v_lshlrev_b32_e32 v34, 2, v20
	v_mov_b32_e32 v35, 0
	v_lshl_add_u64 v[34:35], s[52:53], 0, v[34:35]
	flat_load_dword v19, v[34:35]
	s_or_b64 exec, exec, s[4:5]
                                        ; implicit-def: $vgpr20
	s_and_saveexec_b64 s[4:5], s[30:31]
	s_cbranch_execnz .LBB553_87
.LBB553_65:
	s_or_b64 exec, exec, s[4:5]
                                        ; implicit-def: $vgpr21
	s_and_saveexec_b64 s[4:5], s[34:35]
	s_cbranch_execz .LBB553_88
.LBB553_66:
	v_lshlrev_b32_e32 v34, 2, v22
	v_mov_b32_e32 v35, 0
	v_lshl_add_u64 v[34:35], s[52:53], 0, v[34:35]
	flat_load_dword v21, v[34:35]
	s_or_b64 exec, exec, s[4:5]
                                        ; implicit-def: $vgpr22
	s_and_saveexec_b64 s[4:5], s[36:37]
	s_cbranch_execnz .LBB553_89
.LBB553_67:
	s_or_b64 exec, exec, s[4:5]
                                        ; implicit-def: $vgpr23
	s_and_saveexec_b64 s[4:5], s[38:39]
	s_cbranch_execz .LBB553_90
.LBB553_68:
	v_lshlrev_b32_e32 v34, 2, v24
	v_mov_b32_e32 v35, 0
	v_lshl_add_u64 v[34:35], s[52:53], 0, v[34:35]
	flat_load_dword v23, v[34:35]
	s_or_b64 exec, exec, s[4:5]
                                        ; implicit-def: $vgpr24
	s_and_saveexec_b64 s[4:5], s[40:41]
	s_cbranch_execnz .LBB553_91
.LBB553_69:
	s_or_b64 exec, exec, s[4:5]
                                        ; implicit-def: $vgpr25
	s_and_saveexec_b64 s[4:5], s[42:43]
	s_cbranch_execz .LBB553_92
.LBB553_70:
	v_lshlrev_b32_e32 v34, 2, v26
	v_mov_b32_e32 v35, 0
	v_lshl_add_u64 v[34:35], s[52:53], 0, v[34:35]
	flat_load_dword v25, v[34:35]
	s_or_b64 exec, exec, s[4:5]
                                        ; implicit-def: $vgpr26
	s_and_saveexec_b64 s[4:5], s[44:45]
	s_cbranch_execz .LBB553_94
	s_branch .LBB553_93
.LBB553_71:
	s_mov_b64 s[10:11], 0
                                        ; implicit-def: $sgpr8_sgpr9
                                        ; implicit-def: $vgpr2
                                        ; implicit-def: $vgpr10_vgpr11
                                        ; implicit-def: $vgpr12_vgpr13
                                        ; implicit-def: $vgpr14_vgpr15
                                        ; implicit-def: $vgpr16_vgpr17
                                        ; implicit-def: $vgpr18_vgpr19
                                        ; implicit-def: $vgpr20_vgpr21
                                        ; implicit-def: $vgpr22_vgpr23
                                        ; implicit-def: $vgpr24_vgpr25
                                        ; implicit-def: $vgpr26_vgpr27
                                        ; implicit-def: $vgpr28_vgpr29
                                        ; implicit-def: $vgpr30_vgpr31
                                        ; implicit-def: $vgpr32_vgpr33
                                        ; implicit-def: $vgpr34_vgpr35
                                        ; implicit-def: $vgpr36_vgpr37
                                        ; implicit-def: $vgpr38_vgpr39
                                        ; implicit-def: $vgpr40_vgpr41
                                        ; implicit-def: $vgpr42_vgpr43
                                        ; implicit-def: $vgpr44_vgpr45
                                        ; implicit-def: $vgpr46_vgpr47
                                        ; implicit-def: $vgpr48_vgpr49
                                        ; implicit-def: $vgpr50_vgpr51
                                        ; implicit-def: $vgpr52_vgpr53
                                        ; implicit-def: $sgpr6_sgpr7
	s_and_b64 vcc, exec, s[4:5]
	v_lshlrev_b32_e32 v54, 2, v0
	s_cbranch_vccz .LBB553_148
	s_branch .LBB553_143
.LBB553_72:
	s_or_b64 exec, exec, s[50:51]
                                        ; implicit-def: $vgpr30
	s_and_saveexec_b64 s[50:51], s[48:49]
	s_cbranch_execz .LBB553_51
.LBB553_73:
	v_mov_b32_e32 v3, 0
	v_lshl_add_u64 v[30:31], s[52:53], 0, v[2:3]
	flat_load_dword v30, v[30:31] offset:1024
	s_or_b64 exec, exec, s[50:51]
                                        ; implicit-def: $vgpr31
	s_and_saveexec_b64 s[48:49], s[4:5]
	s_cbranch_execnz .LBB553_52
.LBB553_74:
	s_or_b64 exec, exec, s[48:49]
                                        ; implicit-def: $vgpr3
	s_and_saveexec_b64 s[4:5], s[6:7]
	s_cbranch_execz .LBB553_53
.LBB553_75:
	v_mov_b32_e32 v3, 0
	v_lshl_add_u64 v[32:33], s[52:53], 0, v[2:3]
	flat_load_dword v3, v[32:33] offset:3072
	s_or_b64 exec, exec, s[4:5]
                                        ; implicit-def: $vgpr32
	s_and_saveexec_b64 s[4:5], s[8:9]
	s_cbranch_execnz .LBB553_54
.LBB553_76:
	s_or_b64 exec, exec, s[4:5]
                                        ; implicit-def: $vgpr10
	s_and_saveexec_b64 s[4:5], s[10:11]
	s_cbranch_execz .LBB553_55
.LBB553_77:
	v_lshlrev_b32_e32 v10, 2, v11
	v_mov_b32_e32 v11, 0
	v_lshl_add_u64 v[10:11], s[52:53], 0, v[10:11]
	flat_load_dword v10, v[10:11]
	s_or_b64 exec, exec, s[4:5]
                                        ; implicit-def: $vgpr11
	s_and_saveexec_b64 s[4:5], s[12:13]
	s_cbranch_execnz .LBB553_56
.LBB553_78:
	s_or_b64 exec, exec, s[4:5]
                                        ; implicit-def: $vgpr12
	s_and_saveexec_b64 s[4:5], s[14:15]
	s_cbranch_execz .LBB553_57
.LBB553_79:
	v_lshlrev_b32_e32 v12, 2, v13
	v_mov_b32_e32 v13, 0
	v_lshl_add_u64 v[12:13], s[52:53], 0, v[12:13]
	flat_load_dword v12, v[12:13]
	s_or_b64 exec, exec, s[4:5]
                                        ; implicit-def: $vgpr13
	s_and_saveexec_b64 s[4:5], s[16:17]
	s_cbranch_execnz .LBB553_58
.LBB553_80:
	s_or_b64 exec, exec, s[4:5]
                                        ; implicit-def: $vgpr14
	s_and_saveexec_b64 s[4:5], s[18:19]
	s_cbranch_execz .LBB553_59
.LBB553_81:
	v_lshlrev_b32_e32 v14, 2, v15
	v_mov_b32_e32 v15, 0
	v_lshl_add_u64 v[14:15], s[52:53], 0, v[14:15]
	flat_load_dword v14, v[14:15]
	s_or_b64 exec, exec, s[4:5]
                                        ; implicit-def: $vgpr15
	s_and_saveexec_b64 s[4:5], s[20:21]
	s_cbranch_execnz .LBB553_60
.LBB553_82:
	s_or_b64 exec, exec, s[4:5]
                                        ; implicit-def: $vgpr16
	s_and_saveexec_b64 s[4:5], s[22:23]
	s_cbranch_execz .LBB553_61
.LBB553_83:
	v_lshlrev_b32_e32 v16, 2, v17
	v_mov_b32_e32 v17, 0
	v_lshl_add_u64 v[16:17], s[52:53], 0, v[16:17]
	flat_load_dword v16, v[16:17]
	s_or_b64 exec, exec, s[4:5]
                                        ; implicit-def: $vgpr17
	s_and_saveexec_b64 s[4:5], s[24:25]
	s_cbranch_execnz .LBB553_62
.LBB553_84:
	s_or_b64 exec, exec, s[4:5]
                                        ; implicit-def: $vgpr18
	s_and_saveexec_b64 s[4:5], s[26:27]
	s_cbranch_execz .LBB553_63
.LBB553_85:
	v_lshlrev_b32_e32 v18, 2, v19
	v_mov_b32_e32 v19, 0
	v_lshl_add_u64 v[18:19], s[52:53], 0, v[18:19]
	flat_load_dword v18, v[18:19]
	s_or_b64 exec, exec, s[4:5]
                                        ; implicit-def: $vgpr19
	s_and_saveexec_b64 s[4:5], s[28:29]
	s_cbranch_execnz .LBB553_64
.LBB553_86:
	s_or_b64 exec, exec, s[4:5]
                                        ; implicit-def: $vgpr20
	s_and_saveexec_b64 s[4:5], s[30:31]
	s_cbranch_execz .LBB553_65
.LBB553_87:
	v_lshlrev_b32_e32 v20, 2, v21
	v_mov_b32_e32 v21, 0
	v_lshl_add_u64 v[20:21], s[52:53], 0, v[20:21]
	flat_load_dword v20, v[20:21]
	s_or_b64 exec, exec, s[4:5]
                                        ; implicit-def: $vgpr21
	s_and_saveexec_b64 s[4:5], s[34:35]
	s_cbranch_execnz .LBB553_66
.LBB553_88:
	s_or_b64 exec, exec, s[4:5]
                                        ; implicit-def: $vgpr22
	s_and_saveexec_b64 s[4:5], s[36:37]
	s_cbranch_execz .LBB553_67
.LBB553_89:
	v_lshlrev_b32_e32 v22, 2, v23
	v_mov_b32_e32 v23, 0
	v_lshl_add_u64 v[22:23], s[52:53], 0, v[22:23]
	flat_load_dword v22, v[22:23]
	s_or_b64 exec, exec, s[4:5]
                                        ; implicit-def: $vgpr23
	s_and_saveexec_b64 s[4:5], s[38:39]
	s_cbranch_execnz .LBB553_68
.LBB553_90:
	s_or_b64 exec, exec, s[4:5]
                                        ; implicit-def: $vgpr24
	s_and_saveexec_b64 s[4:5], s[40:41]
	s_cbranch_execz .LBB553_69
.LBB553_91:
	v_lshlrev_b32_e32 v24, 2, v25
	v_mov_b32_e32 v25, 0
	v_lshl_add_u64 v[24:25], s[52:53], 0, v[24:25]
	flat_load_dword v24, v[24:25]
	s_or_b64 exec, exec, s[4:5]
                                        ; implicit-def: $vgpr25
	s_and_saveexec_b64 s[4:5], s[42:43]
	s_cbranch_execnz .LBB553_70
.LBB553_92:
	s_or_b64 exec, exec, s[4:5]
                                        ; implicit-def: $vgpr26
	s_and_saveexec_b64 s[4:5], s[44:45]
	s_cbranch_execz .LBB553_94
.LBB553_93:
	v_lshlrev_b32_e32 v26, 2, v27
	v_mov_b32_e32 v27, 0
	v_lshl_add_u64 v[26:27], s[52:53], 0, v[26:27]
	flat_load_dword v26, v[26:27]
.LBB553_94:
	s_or_b64 exec, exec, s[4:5]
	v_mul_u32_u24_e32 v71, 23, v0
                                        ; implicit-def: $vgpr27
	s_and_saveexec_b64 s[4:5], s[46:47]
	s_cbranch_execz .LBB553_96
; %bb.95:
	v_lshlrev_b32_e32 v34, 2, v28
	v_mov_b32_e32 v35, 0
	v_lshl_add_u64 v[34:35], s[52:53], 0, v[34:35]
	flat_load_dword v27, v[34:35]
.LBB553_96:
	s_or_b64 exec, exec, s[4:5]
	s_waitcnt vmcnt(0) lgkmcnt(0)
	ds_write2st64_b32 v2, v29, v30 offset1:4
	ds_write2st64_b32 v2, v31, v3 offset0:8 offset1:12
	ds_write2st64_b32 v2, v32, v10 offset0:16 offset1:20
	;; [unrolled: 1-line block ×10, first 2 shown]
	ds_write_b32 v2, v27 offset:22528
	v_mov_b64_e32 v[10:11], 0
	v_cmp_gt_u32_e32 vcc, s3, v71
	s_mov_b64 s[10:11], 0
	s_mov_b64 s[4:5], 0
	v_mov_b64_e32 v[12:13], v[10:11]
	v_mov_b64_e32 v[14:15], v[10:11]
	;; [unrolled: 1-line block ×21, first 2 shown]
	s_waitcnt lgkmcnt(0)
	s_barrier
	s_waitcnt lgkmcnt(0)
                                        ; implicit-def: $sgpr8_sgpr9
                                        ; implicit-def: $vgpr2
	s_and_saveexec_b64 s[6:7], vcc
	s_cbranch_execz .LBB553_142
; %bb.97:
	ds_read_b32 v2, v70
	v_mov_b32_e32 v10, s76
	v_cmp_eq_u32_e32 vcc, v72, v68
	v_add_u32_e32 v3, 1, v71
	v_mov_b64_e32 v[12:13], 0
	s_waitcnt lgkmcnt(0)
	v_cndmask_b32_e32 v10, v10, v2, vcc
	v_cmp_ne_u32_e32 vcc, v72, v68
	s_mov_b64 s[12:13], 0
	v_mov_b64_e32 v[14:15], v[12:13]
	v_cndmask_b32_e64 v11, 0, 1, vcc
	v_cmp_gt_u32_e32 vcc, s3, v3
	v_mov_b64_e32 v[16:17], v[12:13]
	v_mov_b64_e32 v[18:19], v[12:13]
	;; [unrolled: 1-line block ×19, first 2 shown]
                                        ; implicit-def: $sgpr14_sgpr15
                                        ; implicit-def: $vgpr2
	s_and_saveexec_b64 s[8:9], vcc
	s_cbranch_execz .LBB553_141
; %bb.98:
	ds_read2_b32 v[2:3], v70 offset0:1 offset1:2
	v_mov_b32_e32 v12, s76
	v_cmp_eq_u32_e32 vcc, v68, v69
	v_add_u32_e32 v14, 2, v71
	s_mov_b64 s[14:15], 0
	s_waitcnt lgkmcnt(0)
	v_cndmask_b32_e32 v12, v12, v2, vcc
	v_cmp_ne_u32_e32 vcc, v68, v69
                                        ; implicit-def: $sgpr16_sgpr17
                                        ; implicit-def: $vgpr2
	s_nop 1
	v_cndmask_b32_e64 v13, 0, 1, vcc
	v_cmp_gt_u32_e32 vcc, s3, v14
	v_mov_b64_e32 v[14:15], 0
	v_mov_b64_e32 v[16:17], v[14:15]
	;; [unrolled: 1-line block ×20, first 2 shown]
	s_and_saveexec_b64 s[10:11], vcc
	s_cbranch_execz .LBB553_140
; %bb.99:
	v_mov_b32_e32 v14, s76
	v_cmp_eq_u32_e32 vcc, v69, v66
	v_add_u32_e32 v2, 3, v71
	v_mov_b64_e32 v[16:17], 0
	v_cndmask_b32_e32 v14, v14, v3, vcc
	v_cmp_ne_u32_e32 vcc, v69, v66
	s_mov_b64 s[16:17], 0
	v_mov_b64_e32 v[18:19], v[16:17]
	v_cndmask_b32_e64 v15, 0, 1, vcc
	v_cmp_gt_u32_e32 vcc, s3, v2
	v_mov_b64_e32 v[20:21], v[16:17]
	v_mov_b64_e32 v[22:23], v[16:17]
	;; [unrolled: 1-line block ×17, first 2 shown]
                                        ; implicit-def: $sgpr18_sgpr19
                                        ; implicit-def: $vgpr2
	s_and_saveexec_b64 s[12:13], vcc
	s_cbranch_execz .LBB553_139
; %bb.100:
	ds_read2_b32 v[2:3], v70 offset0:3 offset1:4
	v_mov_b32_e32 v16, s76
	v_cmp_eq_u32_e32 vcc, v66, v67
	v_add_u32_e32 v18, 4, v71
	s_mov_b64 s[18:19], 0
	s_waitcnt lgkmcnt(0)
	v_cndmask_b32_e32 v16, v16, v2, vcc
	v_cmp_ne_u32_e32 vcc, v66, v67
                                        ; implicit-def: $sgpr20_sgpr21
                                        ; implicit-def: $vgpr2
	s_nop 1
	v_cndmask_b32_e64 v17, 0, 1, vcc
	v_cmp_gt_u32_e32 vcc, s3, v18
	v_mov_b64_e32 v[18:19], 0
	v_mov_b64_e32 v[20:21], v[18:19]
	v_mov_b64_e32 v[22:23], v[18:19]
	v_mov_b64_e32 v[24:25], v[18:19]
	v_mov_b64_e32 v[26:27], v[18:19]
	v_mov_b64_e32 v[28:29], v[18:19]
	v_mov_b64_e32 v[30:31], v[18:19]
	v_mov_b64_e32 v[32:33], v[18:19]
	v_mov_b64_e32 v[34:35], v[18:19]
	v_mov_b64_e32 v[36:37], v[18:19]
	v_mov_b64_e32 v[38:39], v[18:19]
	v_mov_b64_e32 v[40:41], v[18:19]
	v_mov_b64_e32 v[42:43], v[18:19]
	v_mov_b64_e32 v[44:45], v[18:19]
	v_mov_b64_e32 v[46:47], v[18:19]
	v_mov_b64_e32 v[48:49], v[18:19]
	v_mov_b64_e32 v[50:51], v[18:19]
	v_mov_b64_e32 v[52:53], v[18:19]
	s_and_saveexec_b64 s[14:15], vcc
	s_cbranch_execz .LBB553_138
; %bb.101:
	v_mov_b32_e32 v18, s76
	v_cmp_eq_u32_e32 vcc, v67, v64
	v_add_u32_e32 v2, 5, v71
	v_mov_b64_e32 v[20:21], 0
	v_cndmask_b32_e32 v18, v18, v3, vcc
	v_cmp_ne_u32_e32 vcc, v67, v64
	s_mov_b64 s[20:21], 0
	v_mov_b64_e32 v[22:23], v[20:21]
	v_cndmask_b32_e64 v19, 0, 1, vcc
	v_cmp_gt_u32_e32 vcc, s3, v2
	v_mov_b64_e32 v[24:25], v[20:21]
	v_mov_b64_e32 v[26:27], v[20:21]
	v_mov_b64_e32 v[28:29], v[20:21]
	v_mov_b64_e32 v[30:31], v[20:21]
	v_mov_b64_e32 v[32:33], v[20:21]
	v_mov_b64_e32 v[34:35], v[20:21]
	v_mov_b64_e32 v[36:37], v[20:21]
	v_mov_b64_e32 v[38:39], v[20:21]
	v_mov_b64_e32 v[40:41], v[20:21]
	v_mov_b64_e32 v[42:43], v[20:21]
	v_mov_b64_e32 v[44:45], v[20:21]
	v_mov_b64_e32 v[46:47], v[20:21]
	v_mov_b64_e32 v[48:49], v[20:21]
	v_mov_b64_e32 v[50:51], v[20:21]
	v_mov_b64_e32 v[52:53], v[20:21]
                                        ; implicit-def: $sgpr22_sgpr23
                                        ; implicit-def: $vgpr2
	s_and_saveexec_b64 s[16:17], vcc
	s_cbranch_execz .LBB553_137
; %bb.102:
	ds_read2_b32 v[2:3], v70 offset0:5 offset1:6
	v_mov_b32_e32 v20, s76
	v_cmp_eq_u32_e32 vcc, v64, v65
	v_add_u32_e32 v22, 6, v71
	s_mov_b64 s[22:23], 0
	s_waitcnt lgkmcnt(0)
	v_cndmask_b32_e32 v20, v20, v2, vcc
	v_cmp_ne_u32_e32 vcc, v64, v65
                                        ; implicit-def: $sgpr24_sgpr25
                                        ; implicit-def: $vgpr2
	s_nop 1
	v_cndmask_b32_e64 v21, 0, 1, vcc
	v_cmp_gt_u32_e32 vcc, s3, v22
	v_mov_b64_e32 v[22:23], 0
	v_mov_b64_e32 v[24:25], v[22:23]
	;; [unrolled: 1-line block ×16, first 2 shown]
	s_and_saveexec_b64 s[18:19], vcc
	s_cbranch_execz .LBB553_136
; %bb.103:
	v_mov_b32_e32 v22, s76
	v_cmp_eq_u32_e32 vcc, v65, v62
	v_add_u32_e32 v2, 7, v71
	v_mov_b64_e32 v[24:25], 0
	v_cndmask_b32_e32 v22, v22, v3, vcc
	v_cmp_ne_u32_e32 vcc, v65, v62
	s_mov_b64 s[24:25], 0
	v_mov_b64_e32 v[26:27], v[24:25]
	v_cndmask_b32_e64 v23, 0, 1, vcc
	v_cmp_gt_u32_e32 vcc, s3, v2
	v_mov_b64_e32 v[28:29], v[24:25]
	v_mov_b64_e32 v[30:31], v[24:25]
	;; [unrolled: 1-line block ×13, first 2 shown]
                                        ; implicit-def: $sgpr26_sgpr27
                                        ; implicit-def: $vgpr2
	s_and_saveexec_b64 s[20:21], vcc
	s_cbranch_execz .LBB553_135
; %bb.104:
	ds_read2_b32 v[2:3], v70 offset0:7 offset1:8
	v_mov_b32_e32 v24, s76
	v_cmp_eq_u32_e32 vcc, v62, v63
	v_add_u32_e32 v26, 8, v71
	s_mov_b64 s[26:27], 0
	s_waitcnt lgkmcnt(0)
	v_cndmask_b32_e32 v24, v24, v2, vcc
	v_cmp_ne_u32_e32 vcc, v62, v63
                                        ; implicit-def: $sgpr28_sgpr29
                                        ; implicit-def: $vgpr2
	s_nop 1
	v_cndmask_b32_e64 v25, 0, 1, vcc
	v_cmp_gt_u32_e32 vcc, s3, v26
	v_mov_b64_e32 v[26:27], 0
	v_mov_b64_e32 v[28:29], v[26:27]
	v_mov_b64_e32 v[30:31], v[26:27]
	v_mov_b64_e32 v[32:33], v[26:27]
	v_mov_b64_e32 v[34:35], v[26:27]
	v_mov_b64_e32 v[36:37], v[26:27]
	v_mov_b64_e32 v[38:39], v[26:27]
	v_mov_b64_e32 v[40:41], v[26:27]
	v_mov_b64_e32 v[42:43], v[26:27]
	v_mov_b64_e32 v[44:45], v[26:27]
	v_mov_b64_e32 v[46:47], v[26:27]
	v_mov_b64_e32 v[48:49], v[26:27]
	v_mov_b64_e32 v[50:51], v[26:27]
	v_mov_b64_e32 v[52:53], v[26:27]
	s_and_saveexec_b64 s[22:23], vcc
	s_cbranch_execz .LBB553_134
; %bb.105:
	v_mov_b32_e32 v26, s76
	v_cmp_eq_u32_e32 vcc, v63, v60
	v_add_u32_e32 v2, 9, v71
	v_mov_b64_e32 v[28:29], 0
	v_cndmask_b32_e32 v26, v26, v3, vcc
	v_cmp_ne_u32_e32 vcc, v63, v60
	s_mov_b64 s[28:29], 0
	v_mov_b64_e32 v[30:31], v[28:29]
	v_cndmask_b32_e64 v27, 0, 1, vcc
	v_cmp_gt_u32_e32 vcc, s3, v2
	v_mov_b64_e32 v[32:33], v[28:29]
	v_mov_b64_e32 v[34:35], v[28:29]
	;; [unrolled: 1-line block ×11, first 2 shown]
                                        ; implicit-def: $sgpr30_sgpr31
                                        ; implicit-def: $vgpr2
	s_and_saveexec_b64 s[24:25], vcc
	s_cbranch_execz .LBB553_133
; %bb.106:
	ds_read2_b32 v[2:3], v70 offset0:9 offset1:10
	v_mov_b32_e32 v28, s76
	v_cmp_eq_u32_e32 vcc, v60, v61
	v_add_u32_e32 v30, 10, v71
	s_mov_b64 s[30:31], 0
	s_waitcnt lgkmcnt(0)
	v_cndmask_b32_e32 v28, v28, v2, vcc
	v_cmp_ne_u32_e32 vcc, v60, v61
                                        ; implicit-def: $sgpr34_sgpr35
                                        ; implicit-def: $vgpr2
	s_nop 1
	v_cndmask_b32_e64 v29, 0, 1, vcc
	v_cmp_gt_u32_e32 vcc, s3, v30
	v_mov_b64_e32 v[30:31], 0
	v_mov_b64_e32 v[32:33], v[30:31]
	v_mov_b64_e32 v[34:35], v[30:31]
	v_mov_b64_e32 v[36:37], v[30:31]
	v_mov_b64_e32 v[38:39], v[30:31]
	v_mov_b64_e32 v[40:41], v[30:31]
	v_mov_b64_e32 v[42:43], v[30:31]
	v_mov_b64_e32 v[44:45], v[30:31]
	v_mov_b64_e32 v[46:47], v[30:31]
	v_mov_b64_e32 v[48:49], v[30:31]
	v_mov_b64_e32 v[50:51], v[30:31]
	v_mov_b64_e32 v[52:53], v[30:31]
	s_and_saveexec_b64 s[26:27], vcc
	s_cbranch_execz .LBB553_132
; %bb.107:
	v_mov_b32_e32 v30, s76
	v_cmp_eq_u32_e32 vcc, v61, v58
	v_add_u32_e32 v2, 11, v71
	v_mov_b64_e32 v[32:33], 0
	v_cndmask_b32_e32 v30, v30, v3, vcc
	v_cmp_ne_u32_e32 vcc, v61, v58
	s_mov_b64 s[34:35], 0
	v_mov_b64_e32 v[34:35], v[32:33]
	v_cndmask_b32_e64 v31, 0, 1, vcc
	v_cmp_gt_u32_e32 vcc, s3, v2
	v_mov_b64_e32 v[36:37], v[32:33]
	v_mov_b64_e32 v[38:39], v[32:33]
	;; [unrolled: 1-line block ×9, first 2 shown]
                                        ; implicit-def: $sgpr36_sgpr37
                                        ; implicit-def: $vgpr2
	s_and_saveexec_b64 s[28:29], vcc
	s_cbranch_execz .LBB553_131
; %bb.108:
	ds_read2_b32 v[2:3], v70 offset0:11 offset1:12
	v_mov_b32_e32 v32, s76
	v_cmp_eq_u32_e32 vcc, v58, v59
	v_add_u32_e32 v34, 12, v71
	s_mov_b64 s[36:37], 0
	s_waitcnt lgkmcnt(0)
	v_cndmask_b32_e32 v32, v32, v2, vcc
	v_cmp_ne_u32_e32 vcc, v58, v59
                                        ; implicit-def: $sgpr38_sgpr39
                                        ; implicit-def: $vgpr2
	s_nop 1
	v_cndmask_b32_e64 v33, 0, 1, vcc
	v_cmp_gt_u32_e32 vcc, s3, v34
	v_mov_b64_e32 v[34:35], 0
	v_mov_b64_e32 v[36:37], v[34:35]
	;; [unrolled: 1-line block ×10, first 2 shown]
	s_and_saveexec_b64 s[30:31], vcc
	s_cbranch_execz .LBB553_130
; %bb.109:
	v_mov_b32_e32 v34, s76
	v_cmp_eq_u32_e32 vcc, v59, v56
	v_add_u32_e32 v2, 13, v71
	v_mov_b64_e32 v[36:37], 0
	v_cndmask_b32_e32 v34, v34, v3, vcc
	v_cmp_ne_u32_e32 vcc, v59, v56
	s_mov_b64 s[38:39], 0
	v_mov_b64_e32 v[38:39], v[36:37]
	v_cndmask_b32_e64 v35, 0, 1, vcc
	v_cmp_gt_u32_e32 vcc, s3, v2
	v_mov_b64_e32 v[40:41], v[36:37]
	v_mov_b64_e32 v[42:43], v[36:37]
	;; [unrolled: 1-line block ×7, first 2 shown]
                                        ; implicit-def: $sgpr40_sgpr41
                                        ; implicit-def: $vgpr2
	s_and_saveexec_b64 s[34:35], vcc
	s_cbranch_execz .LBB553_129
; %bb.110:
	ds_read2_b32 v[2:3], v70 offset0:13 offset1:14
	v_mov_b32_e32 v36, s76
	v_cmp_eq_u32_e32 vcc, v56, v57
	v_add_u32_e32 v38, 14, v71
	s_mov_b64 s[40:41], 0
	s_waitcnt lgkmcnt(0)
	v_cndmask_b32_e32 v36, v36, v2, vcc
	v_cmp_ne_u32_e32 vcc, v56, v57
                                        ; implicit-def: $sgpr42_sgpr43
                                        ; implicit-def: $vgpr2
	s_nop 1
	v_cndmask_b32_e64 v37, 0, 1, vcc
	v_cmp_gt_u32_e32 vcc, s3, v38
	v_mov_b64_e32 v[38:39], 0
	v_mov_b64_e32 v[40:41], v[38:39]
	;; [unrolled: 1-line block ×8, first 2 shown]
	s_and_saveexec_b64 s[36:37], vcc
	s_cbranch_execz .LBB553_128
; %bb.111:
	v_mov_b32_e32 v38, s76
	v_cmp_eq_u32_e32 vcc, v57, v54
	v_add_u32_e32 v2, 15, v71
	v_mov_b64_e32 v[40:41], 0
	v_cndmask_b32_e32 v38, v38, v3, vcc
	v_cmp_ne_u32_e32 vcc, v57, v54
	s_mov_b64 s[42:43], 0
	v_mov_b64_e32 v[42:43], v[40:41]
	v_cndmask_b32_e64 v39, 0, 1, vcc
	v_cmp_gt_u32_e32 vcc, s3, v2
	v_mov_b64_e32 v[44:45], v[40:41]
	v_mov_b64_e32 v[46:47], v[40:41]
	;; [unrolled: 1-line block ×5, first 2 shown]
                                        ; implicit-def: $sgpr44_sgpr45
                                        ; implicit-def: $vgpr2
	s_and_saveexec_b64 s[38:39], vcc
	s_cbranch_execz .LBB553_127
; %bb.112:
	ds_read2_b32 v[2:3], v70 offset0:15 offset1:16
	v_mov_b32_e32 v40, s76
	v_cmp_eq_u32_e32 vcc, v54, v55
	v_add_u32_e32 v42, 16, v71
	s_mov_b64 s[44:45], 0
	s_waitcnt lgkmcnt(0)
	v_cndmask_b32_e32 v40, v40, v2, vcc
	v_cmp_ne_u32_e32 vcc, v54, v55
                                        ; implicit-def: $sgpr46_sgpr47
                                        ; implicit-def: $vgpr2
	s_nop 1
	v_cndmask_b32_e64 v41, 0, 1, vcc
	v_cmp_gt_u32_e32 vcc, s3, v42
	v_mov_b64_e32 v[42:43], 0
	v_mov_b64_e32 v[44:45], v[42:43]
	;; [unrolled: 1-line block ×6, first 2 shown]
	s_and_saveexec_b64 s[40:41], vcc
	s_cbranch_execz .LBB553_126
; %bb.113:
	v_mov_b32_e32 v42, s76
	v_cmp_eq_u32_e32 vcc, v55, v8
	v_add_u32_e32 v2, 17, v71
	v_mov_b64_e32 v[44:45], 0
	v_cndmask_b32_e32 v42, v42, v3, vcc
	v_cmp_ne_u32_e32 vcc, v55, v8
	s_mov_b64 s[46:47], 0
	v_mov_b64_e32 v[46:47], v[44:45]
	v_cndmask_b32_e64 v43, 0, 1, vcc
	v_cmp_gt_u32_e32 vcc, s3, v2
	v_mov_b64_e32 v[48:49], v[44:45]
	v_mov_b64_e32 v[50:51], v[44:45]
	;; [unrolled: 1-line block ×3, first 2 shown]
                                        ; implicit-def: $sgpr48_sgpr49
                                        ; implicit-def: $vgpr2
	s_and_saveexec_b64 s[42:43], vcc
	s_cbranch_execz .LBB553_125
; %bb.114:
	ds_read2_b32 v[2:3], v70 offset0:17 offset1:18
	v_mov_b32_e32 v44, s76
	v_cmp_eq_u32_e32 vcc, v8, v9
	v_add_u32_e32 v46, 18, v71
	s_mov_b64 s[48:49], 0
	s_waitcnt lgkmcnt(0)
	v_cndmask_b32_e32 v44, v44, v2, vcc
	v_cmp_ne_u32_e32 vcc, v8, v9
                                        ; implicit-def: $sgpr50_sgpr51
                                        ; implicit-def: $vgpr2
	s_nop 1
	v_cndmask_b32_e64 v45, 0, 1, vcc
	v_cmp_gt_u32_e32 vcc, s3, v46
	v_mov_b64_e32 v[46:47], 0
	v_mov_b64_e32 v[48:49], v[46:47]
	;; [unrolled: 1-line block ×4, first 2 shown]
	s_and_saveexec_b64 s[44:45], vcc
	s_cbranch_execz .LBB553_124
; %bb.115:
	v_mov_b32_e32 v8, s76
	v_cmp_eq_u32_e32 vcc, v9, v6
	v_add_u32_e32 v2, 19, v71
	v_mov_b64_e32 v[48:49], 0
	v_cndmask_b32_e32 v46, v8, v3, vcc
	v_cmp_ne_u32_e32 vcc, v9, v6
	s_mov_b64 s[50:51], 0
	v_mov_b64_e32 v[50:51], v[48:49]
	v_cndmask_b32_e64 v47, 0, 1, vcc
	v_cmp_gt_u32_e32 vcc, s3, v2
	v_mov_b64_e32 v[52:53], v[48:49]
                                        ; implicit-def: $sgpr60_sgpr61
                                        ; implicit-def: $vgpr2
	s_and_saveexec_b64 s[46:47], vcc
	s_cbranch_execz .LBB553_123
; %bb.116:
	ds_read2_b32 v[2:3], v70 offset0:19 offset1:20
	v_mov_b32_e32 v9, s76
	v_cmp_eq_u32_e32 vcc, v6, v7
	v_add_u32_e32 v8, 20, v71
	v_mov_b64_e32 v[50:51], 0
	s_waitcnt lgkmcnt(0)
	v_cndmask_b32_e32 v48, v9, v2, vcc
	v_cmp_ne_u32_e32 vcc, v6, v7
	s_mov_b64 s[60:61], 0
	v_mov_b64_e32 v[52:53], v[50:51]
	v_cndmask_b32_e64 v49, 0, 1, vcc
	v_cmp_gt_u32_e32 vcc, s3, v8
                                        ; implicit-def: $sgpr72_sgpr73
                                        ; implicit-def: $vgpr2
	s_and_saveexec_b64 s[48:49], vcc
	s_cbranch_execz .LBB553_122
; %bb.117:
	v_mov_b32_e32 v6, s76
	v_cmp_eq_u32_e32 vcc, v7, v4
	v_add_u32_e32 v2, 21, v71
	v_mov_b64_e32 v[52:53], 0
	v_cndmask_b32_e32 v50, v6, v3, vcc
	v_cmp_ne_u32_e32 vcc, v7, v4
                                        ; implicit-def: $sgpr72_sgpr73
	s_nop 1
	v_cndmask_b32_e64 v51, 0, 1, vcc
	v_cmp_gt_u32_e32 vcc, s3, v2
                                        ; implicit-def: $vgpr2
	s_and_saveexec_b64 s[50:51], vcc
	s_cbranch_execz .LBB553_121
; %bb.118:
	ds_read2_b32 v[2:3], v70 offset0:21 offset1:22
	v_mov_b32_e32 v7, s76
	v_cmp_eq_u32_e32 vcc, v4, v5
	v_add_u32_e32 v6, 22, v71
                                        ; implicit-def: $sgpr72_sgpr73
	s_waitcnt lgkmcnt(0)
	v_cndmask_b32_e32 v52, v7, v2, vcc
	v_cmp_ne_u32_e32 vcc, v4, v5
                                        ; implicit-def: $vgpr2
	s_nop 1
	v_cndmask_b32_e64 v53, 0, 1, vcc
	v_cmp_gt_u32_e32 vcc, s3, v6
	s_and_saveexec_b64 s[74:75], vcc
	s_xor_b64 s[74:75], exec, s[74:75]
; %bb.119:
	v_mov_b32_e32 v2, s76
	v_cmp_ne_u32_e32 vcc, v5, v1
	s_mov_b64 s[60:61], exec
	s_and_b64 s[72:73], vcc, exec
	v_cndmask_b32_e32 v2, v3, v2, vcc
; %bb.120:
	s_or_b64 exec, exec, s[74:75]
	s_and_b64 s[72:73], s[72:73], exec
	s_and_b64 s[60:61], s[60:61], exec
.LBB553_121:
	s_or_b64 exec, exec, s[50:51]
	s_and_b64 s[72:73], s[72:73], exec
	s_and_b64 s[50:51], s[60:61], exec
.LBB553_122:
	s_or_b64 exec, exec, s[48:49]
	s_and_b64 s[60:61], s[72:73], exec
	s_and_b64 s[48:49], s[50:51], exec
.LBB553_123:
	s_or_b64 exec, exec, s[46:47]
	s_and_b64 s[50:51], s[60:61], exec
	s_and_b64 s[46:47], s[48:49], exec
.LBB553_124:
	s_or_b64 exec, exec, s[44:45]
	s_and_b64 s[48:49], s[50:51], exec
	s_and_b64 s[44:45], s[46:47], exec
.LBB553_125:
	s_or_b64 exec, exec, s[42:43]
	s_and_b64 s[46:47], s[48:49], exec
	s_and_b64 s[42:43], s[44:45], exec
.LBB553_126:
	s_or_b64 exec, exec, s[40:41]
	s_and_b64 s[44:45], s[46:47], exec
	s_and_b64 s[40:41], s[42:43], exec
.LBB553_127:
	s_or_b64 exec, exec, s[38:39]
	s_and_b64 s[42:43], s[44:45], exec
	s_and_b64 s[38:39], s[40:41], exec
.LBB553_128:
	s_or_b64 exec, exec, s[36:37]
	s_and_b64 s[40:41], s[42:43], exec
	s_and_b64 s[36:37], s[38:39], exec
.LBB553_129:
	s_or_b64 exec, exec, s[34:35]
	s_and_b64 s[38:39], s[40:41], exec
	s_and_b64 s[34:35], s[36:37], exec
.LBB553_130:
	s_or_b64 exec, exec, s[30:31]
	s_and_b64 s[36:37], s[38:39], exec
	s_and_b64 s[30:31], s[34:35], exec
.LBB553_131:
	s_or_b64 exec, exec, s[28:29]
	s_and_b64 s[34:35], s[36:37], exec
	s_and_b64 s[28:29], s[30:31], exec
.LBB553_132:
	s_or_b64 exec, exec, s[26:27]
	s_and_b64 s[30:31], s[34:35], exec
	s_and_b64 s[26:27], s[28:29], exec
.LBB553_133:
	s_or_b64 exec, exec, s[24:25]
	s_and_b64 s[28:29], s[30:31], exec
	s_and_b64 s[24:25], s[26:27], exec
.LBB553_134:
	s_or_b64 exec, exec, s[22:23]
	s_and_b64 s[26:27], s[28:29], exec
	s_and_b64 s[22:23], s[24:25], exec
.LBB553_135:
	s_or_b64 exec, exec, s[20:21]
	s_and_b64 s[24:25], s[26:27], exec
	s_and_b64 s[20:21], s[22:23], exec
.LBB553_136:
	s_or_b64 exec, exec, s[18:19]
	s_and_b64 s[22:23], s[24:25], exec
	s_and_b64 s[18:19], s[20:21], exec
.LBB553_137:
	s_or_b64 exec, exec, s[16:17]
	s_and_b64 s[20:21], s[22:23], exec
	s_and_b64 s[16:17], s[18:19], exec
.LBB553_138:
	s_or_b64 exec, exec, s[14:15]
	s_and_b64 s[18:19], s[20:21], exec
	s_and_b64 s[14:15], s[16:17], exec
.LBB553_139:
	s_or_b64 exec, exec, s[12:13]
	s_and_b64 s[16:17], s[18:19], exec
	s_and_b64 s[12:13], s[14:15], exec
.LBB553_140:
	s_or_b64 exec, exec, s[10:11]
	s_and_b64 s[14:15], s[16:17], exec
	s_and_b64 s[10:11], s[12:13], exec
.LBB553_141:
	s_or_b64 exec, exec, s[8:9]
	s_and_b64 s[8:9], s[14:15], exec
	s_and_b64 s[10:11], s[10:11], exec
.LBB553_142:
	s_or_b64 exec, exec, s[6:7]
	s_mov_b64 s[6:7], 0
	s_and_b64 vcc, exec, s[4:5]
	v_lshlrev_b32_e32 v54, 2, v0
	s_cbranch_vccz .LBB553_148
.LBB553_143:
	v_mov_b32_e32 v55, 0
	v_lshl_add_u64 v[2:3], s[70:71], 0, v[54:55]
	v_add_co_u32_e32 v4, vcc, 0x1000, v2
	s_movk_i32 s6, 0x58
	s_nop 0
	v_addc_co_u32_e32 v5, vcc, 0, v3, vcc
	flat_load_dword v1, v[2:3]
	flat_load_dword v8, v[2:3] offset:1024
	flat_load_dword v9, v[2:3] offset:2048
	;; [unrolled: 1-line block ×3, first 2 shown]
	flat_load_dword v11, v[4:5]
	flat_load_dword v12, v[4:5] offset:1024
	flat_load_dword v13, v[4:5] offset:2048
	;; [unrolled: 1-line block ×3, first 2 shown]
	v_add_co_u32_e32 v4, vcc, 0x2000, v2
	s_movk_i32 s10, 0x1000
	s_nop 0
	v_addc_co_u32_e32 v5, vcc, 0, v3, vcc
	v_add_co_u32_e32 v6, vcc, 0x3000, v2
	s_mov_b32 s4, 0
	s_nop 0
	v_addc_co_u32_e32 v7, vcc, 0, v3, vcc
	flat_load_dword v15, v[4:5]
	flat_load_dword v16, v[4:5] offset:1024
	flat_load_dword v17, v[4:5] offset:2048
	;; [unrolled: 1-line block ×3, first 2 shown]
	flat_load_dword v19, v[6:7]
	flat_load_dword v20, v[6:7] offset:1024
	flat_load_dword v21, v[6:7] offset:2048
	;; [unrolled: 1-line block ×3, first 2 shown]
	v_add_co_u32_e32 v4, vcc, 0x4000, v2
	s_movk_i32 s9, 0x2000
	s_nop 0
	v_addc_co_u32_e32 v5, vcc, 0, v3, vcc
	v_add_co_u32_e32 v2, vcc, 0x5000, v2
	s_movk_i32 s8, 0x3000
	s_nop 0
	v_addc_co_u32_e32 v3, vcc, 0, v3, vcc
	flat_load_dword v6, v[4:5]
	flat_load_dword v7, v[4:5] offset:1024
	flat_load_dword v23, v[4:5] offset:2048
	;; [unrolled: 1-line block ×3, first 2 shown]
	flat_load_dword v25, v[2:3]
	flat_load_dword v26, v[2:3] offset:1024
	flat_load_dword v27, v[2:3] offset:2048
	v_mov_b32_e32 v2, s70
	v_mov_b32_e32 v3, s71
	v_add_co_u32_e32 v2, vcc, 0x5000, v2
	s_movk_i32 s5, 0x4000
	s_nop 0
	v_addc_co_u32_e32 v3, vcc, 0, v3, vcc
	s_movk_i32 s3, 0x5000
	s_waitcnt vmcnt(0) lgkmcnt(0)
	ds_write2st64_b32 v54, v1, v8 offset1:4
	ds_write2st64_b32 v54, v9, v10 offset0:8 offset1:12
	ds_write2st64_b32 v54, v11, v12 offset0:16 offset1:20
	;; [unrolled: 1-line block ×10, first 2 shown]
	ds_write_b32 v54, v27 offset:22528
	s_waitcnt lgkmcnt(0)
	s_barrier
	flat_load_dword v1, v[2:3] offset:3072
	v_mad_u32_u24 v12, v0, s6, v54
	s_movk_i32 s6, 0xffa8
	v_mad_i32_i24 v11, v0, s6, v12
	s_movk_i32 s6, 0xff
	v_cmp_ne_u32_e32 vcc, s6, v0
	ds_read_b32 v10, v12
	ds_read2_b32 v[14:15], v12 offset0:1 offset1:2
	ds_read2_b32 v[18:19], v12 offset0:3 offset1:4
	;; [unrolled: 1-line block ×11, first 2 shown]
	s_waitcnt lgkmcnt(0)
	ds_write_b32 v11, v10 offset:24576
	s_waitcnt lgkmcnt(0)
	s_barrier
	s_and_saveexec_b64 s[6:7], vcc
	s_cbranch_execz .LBB553_145
; %bb.144:
	s_waitcnt vmcnt(0)
	ds_read_b32 v1, v54 offset:24580
.LBB553_145:
	s_or_b64 exec, exec, s[6:7]
	v_lshl_add_u64 v[16:17], s[52:53], 0, v[54:55]
	v_add_co_u32_e32 v20, vcc, s10, v16
	s_waitcnt lgkmcnt(0)
	s_nop 0
	v_addc_co_u32_e32 v21, vcc, 0, v17, vcc
	s_barrier
	flat_load_dword v11, v[16:17]
	flat_load_dword v13, v[16:17] offset:1024
	flat_load_dword v28, v[16:17] offset:2048
	;; [unrolled: 1-line block ×3, first 2 shown]
	flat_load_dword v32, v[20:21]
	flat_load_dword v33, v[20:21] offset:1024
	flat_load_dword v36, v[20:21] offset:2048
	;; [unrolled: 1-line block ×3, first 2 shown]
	v_add_co_u32_e32 v20, vcc, s9, v16
	s_nop 1
	v_addc_co_u32_e32 v21, vcc, 0, v17, vcc
	v_add_co_u32_e32 v24, vcc, s8, v16
	s_nop 1
	v_addc_co_u32_e32 v25, vcc, 0, v17, vcc
	flat_load_dword v40, v[20:21]
	flat_load_dword v41, v[20:21] offset:1024
	flat_load_dword v42, v[20:21] offset:2048
	;; [unrolled: 1-line block ×3, first 2 shown]
	flat_load_dword v44, v[24:25]
	flat_load_dword v45, v[24:25] offset:1024
	flat_load_dword v46, v[24:25] offset:2048
	;; [unrolled: 1-line block ×3, first 2 shown]
	v_add_co_u32_e32 v20, vcc, s5, v16
	s_mov_b32 s5, 1
	s_nop 0
	v_addc_co_u32_e32 v21, vcc, 0, v17, vcc
	v_add_co_u32_e32 v16, vcc, s3, v16
	s_nop 1
	v_addc_co_u32_e32 v17, vcc, 0, v17, vcc
	flat_load_dword v24, v[20:21]
	flat_load_dword v25, v[20:21] offset:1024
	flat_load_dword v48, v[20:21] offset:2048
	;; [unrolled: 1-line block ×3, first 2 shown]
	flat_load_dword v50, v[16:17]
	flat_load_dword v51, v[16:17] offset:1024
	flat_load_dword v52, v[16:17] offset:2048
	v_cmp_eq_u32_e32 vcc, v10, v14
	s_waitcnt vmcnt(0) lgkmcnt(0)
	ds_write2st64_b32 v54, v11, v13 offset1:4
	ds_write2st64_b32 v54, v28, v29 offset0:8 offset1:12
	ds_write2st64_b32 v54, v32, v33 offset0:16 offset1:20
	;; [unrolled: 1-line block ×10, first 2 shown]
	ds_write_b32 v54, v52 offset:22528
	s_waitcnt lgkmcnt(0)
	s_barrier
	ds_read2_b32 v[16:17], v12 offset0:1 offset1:2
	ds_read2_b32 v[20:21], v12 offset0:3 offset1:4
	;; [unrolled: 1-line block ×11, first 2 shown]
	v_mov_b64_e32 v[10:11], s[4:5]
	v_mov_b32_e32 v13, s76
	s_and_saveexec_b64 s[4:5], vcc
	s_cbranch_execz .LBB553_147
; %bb.146:
	ds_read_b32 v13, v12
	v_mov_b64_e32 v[10:11], 0
.LBB553_147:
	s_or_b64 exec, exec, s[4:5]
	v_mov_b32_e32 v55, s76
	v_cmp_eq_u32_e32 vcc, v14, v15
	s_waitcnt lgkmcnt(0)
	v_or_b32_e32 v10, v10, v13
	v_cmp_ne_u32_e64 s[8:9], v3, v1
	v_cndmask_b32_e32 v12, v55, v16, vcc
	v_cmp_ne_u32_e32 vcc, v14, v15
	s_mov_b64 s[10:11], -1
                                        ; implicit-def: $sgpr6_sgpr7
	s_nop 0
	v_cndmask_b32_e64 v13, 0, 1, vcc
	v_cmp_eq_u32_e32 vcc, v15, v18
	s_nop 1
	v_cndmask_b32_e32 v14, v55, v17, vcc
	v_cmp_ne_u32_e32 vcc, v15, v18
	s_nop 1
	v_cndmask_b32_e64 v15, 0, 1, vcc
	v_cmp_eq_u32_e32 vcc, v18, v19
	s_nop 1
	v_cndmask_b32_e32 v16, v55, v20, vcc
	v_cmp_ne_u32_e32 vcc, v18, v19
	s_nop 1
	v_cndmask_b32_e64 v17, 0, 1, vcc
	v_cmp_eq_u32_e32 vcc, v19, v22
	s_nop 1
	v_cndmask_b32_e32 v18, v55, v21, vcc
	v_cmp_ne_u32_e32 vcc, v19, v22
	s_nop 1
	v_cndmask_b32_e64 v19, 0, 1, vcc
	v_cmp_eq_u32_e32 vcc, v22, v23
	s_nop 1
	v_cndmask_b32_e32 v20, v55, v24, vcc
	v_cmp_ne_u32_e32 vcc, v22, v23
	s_nop 1
	v_cndmask_b32_e64 v21, 0, 1, vcc
	v_cmp_eq_u32_e32 vcc, v23, v26
	s_nop 1
	v_cndmask_b32_e32 v22, v55, v25, vcc
	v_cmp_ne_u32_e32 vcc, v23, v26
	s_nop 1
	v_cndmask_b32_e64 v23, 0, 1, vcc
	v_cmp_eq_u32_e32 vcc, v26, v27
	s_nop 1
	v_cndmask_b32_e32 v24, v55, v28, vcc
	v_cmp_ne_u32_e32 vcc, v26, v27
	s_nop 1
	v_cndmask_b32_e64 v25, 0, 1, vcc
	v_cmp_eq_u32_e32 vcc, v27, v30
	s_nop 1
	v_cndmask_b32_e32 v26, v55, v29, vcc
	v_cmp_ne_u32_e32 vcc, v27, v30
	s_nop 1
	v_cndmask_b32_e64 v27, 0, 1, vcc
	v_cmp_eq_u32_e32 vcc, v30, v31
	s_nop 1
	v_cndmask_b32_e32 v28, v55, v32, vcc
	v_cmp_ne_u32_e32 vcc, v30, v31
	s_nop 1
	v_cndmask_b32_e64 v29, 0, 1, vcc
	v_cmp_eq_u32_e32 vcc, v31, v34
	s_nop 1
	v_cndmask_b32_e32 v30, v55, v33, vcc
	v_cmp_ne_u32_e32 vcc, v31, v34
	s_nop 1
	v_cndmask_b32_e64 v31, 0, 1, vcc
	v_cmp_eq_u32_e32 vcc, v34, v35
	s_nop 1
	v_cndmask_b32_e32 v32, v55, v36, vcc
	v_cmp_ne_u32_e32 vcc, v34, v35
	s_nop 1
	v_cndmask_b32_e64 v33, 0, 1, vcc
	v_cmp_eq_u32_e32 vcc, v35, v38
	s_nop 1
	v_cndmask_b32_e32 v34, v55, v37, vcc
	v_cmp_ne_u32_e32 vcc, v35, v38
	s_nop 1
	v_cndmask_b32_e64 v35, 0, 1, vcc
	v_cmp_eq_u32_e32 vcc, v38, v39
	s_nop 1
	v_cndmask_b32_e32 v36, v55, v40, vcc
	v_cmp_ne_u32_e32 vcc, v38, v39
	s_nop 1
	v_cndmask_b32_e64 v37, 0, 1, vcc
	v_cmp_eq_u32_e32 vcc, v39, v8
	s_nop 1
	v_cndmask_b32_e32 v38, v55, v41, vcc
	v_cmp_ne_u32_e32 vcc, v39, v8
	s_nop 1
	v_cndmask_b32_e64 v39, 0, 1, vcc
	v_cmp_eq_u32_e32 vcc, v8, v9
	s_nop 1
	v_cndmask_b32_e32 v40, v55, v42, vcc
	v_cmp_ne_u32_e32 vcc, v8, v9
	s_nop 1
	v_cndmask_b32_e64 v41, 0, 1, vcc
	v_cmp_eq_u32_e32 vcc, v9, v6
	s_nop 1
	v_cndmask_b32_e32 v42, v55, v43, vcc
	v_cmp_ne_u32_e32 vcc, v9, v6
	s_nop 1
	v_cndmask_b32_e64 v43, 0, 1, vcc
	v_cmp_eq_u32_e32 vcc, v6, v7
	s_nop 1
	v_cndmask_b32_e32 v44, v55, v46, vcc
	v_cmp_ne_u32_e32 vcc, v6, v7
	s_nop 1
	v_cndmask_b32_e64 v45, 0, 1, vcc
	v_cmp_eq_u32_e32 vcc, v7, v4
	s_nop 1
	v_cndmask_b32_e32 v46, v55, v47, vcc
	v_cmp_ne_u32_e32 vcc, v7, v4
	s_nop 1
	v_cndmask_b32_e64 v47, 0, 1, vcc
	v_cmp_eq_u32_e32 vcc, v4, v5
	s_nop 1
	v_cndmask_b32_e32 v48, v55, v50, vcc
	v_cmp_ne_u32_e32 vcc, v4, v5
	s_nop 1
	v_cndmask_b32_e64 v49, 0, 1, vcc
	v_cmp_eq_u32_e32 vcc, v5, v2
	s_nop 1
	v_cndmask_b32_e32 v50, v55, v51, vcc
	v_cmp_ne_u32_e32 vcc, v5, v2
	s_nop 1
	v_cndmask_b32_e64 v51, 0, 1, vcc
	v_cmp_eq_u32_e32 vcc, v2, v3
	s_nop 1
	v_cndmask_b32_e32 v52, v55, v56, vcc
	v_cmp_ne_u32_e32 vcc, v2, v3
	v_cndmask_b32_e64 v2, v57, v55, s[8:9]
	s_nop 0
	v_cndmask_b32_e64 v53, 0, 1, vcc
.LBB553_148:
	v_mov_b64_e32 v[56:57], s[6:7]
	s_and_saveexec_b64 s[4:5], s[10:11]
; %bb.149:
	v_cndmask_b32_e64 v3, 0, 1, s[8:9]
	v_mov_b64_e32 v[56:57], v[2:3]
; %bb.150:
	s_or_b64 exec, exec, s[4:5]
	s_mov_b32 s46, 0
	s_cmp_lg_u32 s2, 0
	v_or_b32_e32 v55, v57, v53
	v_lshrrev_b32_e32 v1, 5, v0
	v_cmp_gt_u32_e32 vcc, 64, v0
	s_barrier
	s_cbranch_scc0 .LBB553_189
; %bb.151:
	s_mov_b32 s47, 1
	v_cmp_gt_u64_e64 s[50:51], s[46:47], v[12:13]
	v_cmp_gt_u64_e64 s[4:5], s[46:47], v[14:15]
	v_cmp_gt_u64_e64 s[6:7], s[46:47], v[16:17]
	v_cndmask_b32_e64 v2, 0, v10, s[50:51]
	v_add_u32_e32 v2, v2, v12
	v_cndmask_b32_e64 v2, 0, v2, s[4:5]
	v_add_u32_e32 v2, v2, v14
	v_cndmask_b32_e64 v2, 0, v2, s[6:7]
	v_add_u32_e32 v2, v2, v16
	v_cmp_gt_u64_e64 s[8:9], s[46:47], v[18:19]
	v_cmp_gt_u64_e64 s[10:11], s[46:47], v[20:21]
	v_cmp_gt_u64_e64 s[12:13], s[46:47], v[22:23]
	v_cndmask_b32_e64 v2, 0, v2, s[8:9]
	v_add_u32_e32 v2, v2, v18
	v_cndmask_b32_e64 v2, 0, v2, s[10:11]
	v_add_u32_e32 v2, v2, v20
	v_cndmask_b32_e64 v2, 0, v2, s[12:13]
	v_add_u32_e32 v2, v2, v22
	;; [unrolled: 9-line block ×7, first 2 shown]
	v_cmp_gt_u64_e64 s[46:47], s[46:47], v[56:57]
	s_nop 1
	v_cndmask_b32_e64 v2, 0, v2, s[46:47]
	v_add_u32_e32 v62, v2, v56
	v_or3_b32 v2, v55, v51, v49
	v_or3_b32 v2, v2, v47, v45
	;; [unrolled: 1-line block ×10, first 2 shown]
	v_and_b32_e32 v2, 1, v2
	v_cmp_eq_u32_e64 s[46:47], 1, v2
	v_add_lshl_u32 v2, v1, v0, 3
	s_nop 0
	v_cndmask_b32_e64 v63, v11, 1, s[46:47]
	ds_write_b32 v2, v62
	ds_write_b8 v2, v63 offset:4
	s_waitcnt lgkmcnt(0)
	s_barrier
	s_and_saveexec_b64 s[48:49], vcc
	s_cbranch_execz .LBB553_163
; %bb.152:
	v_lshrrev_b32_e32 v2, 3, v0
	v_add_lshl_u32 v4, v2, v54, 3
	ds_read2_b32 v[6:7], v4 offset0:2 offset1:4
	ds_read_b64 v[2:3], v4
	ds_read_u8 v8, v4 offset:12
	ds_read_u8 v9, v4 offset:20
	ds_read_b32 v58, v4 offset:24
	ds_read_u8 v59, v4 offset:28
	v_mov_b32_e32 v60, 0
	s_waitcnt lgkmcnt(3)
	v_cmp_eq_u16_sdwa s[46:47], v8, v60 src0_sel:BYTE_0 src1_sel:DWORD
	v_and_b32_e32 v5, 1, v3
	s_nop 0
	v_cndmask_b32_e64 v61, 0, v2, s[46:47]
	v_add_u32_e32 v6, v61, v6
	s_waitcnt lgkmcnt(2)
	v_cmp_eq_u16_sdwa s[46:47], v9, v60 src0_sel:BYTE_0 src1_sel:DWORD
	s_nop 1
	v_cndmask_b32_e64 v6, 0, v6, s[46:47]
	v_add_u32_e32 v6, v6, v7
	s_waitcnt lgkmcnt(0)
	v_cmp_eq_u16_e64 s[46:47], 0, v59
	s_nop 1
	v_cndmask_b32_e64 v6, 0, v6, s[46:47]
	v_add_u32_e32 v7, v6, v58
	v_or_b32_e32 v6, v59, v9
	v_or_b32_e32 v6, v6, v8
	v_and_b32_e32 v6, 1, v6
	v_cmp_eq_u32_e64 s[46:47], 1, v6
	v_mbcnt_lo_u32_b32 v8, -1, 0
	v_and_b32_e32 v6, 0xffffff00, v3
	v_cndmask_b32_e64 v9, v5, 1, s[46:47]
	v_mbcnt_hi_u32_b32 v8, -1, v8
	v_and_b32_e32 v59, 15, v8
	v_or_b32_sdwa v58, v6, v9 dst_sel:DWORD dst_unused:UNUSED_PAD src0_sel:DWORD src1_sel:WORD_0
	v_mov_b32_dpp v60, v7 row_shr:1 row_mask:0xf bank_mask:0xf
	v_cmp_ne_u32_e64 s[46:47], 0, v59
	v_mov_b32_dpp v61, v58 row_shr:1 row_mask:0xf bank_mask:0xf
	s_and_saveexec_b64 s[52:53], s[46:47]
; %bb.153:
	v_and_b32_e32 v58, 1, v9
	v_and_b32_e32 v61, 1, v61
	v_cmp_eq_u32_e64 s[46:47], 1, v58
	s_nop 1
	v_cndmask_b32_e64 v61, v61, 1, s[46:47]
	v_cmp_eq_u16_e64 s[46:47], 0, v9
	v_or_b32_sdwa v58, v6, v61 dst_sel:DWORD dst_unused:UNUSED_PAD src0_sel:DWORD src1_sel:WORD_0
	s_nop 0
	v_cndmask_b32_e64 v9, 0, v60, s[46:47]
	v_add_u32_e32 v7, v9, v7
	v_mov_b32_e32 v9, v61
; %bb.154:
	s_or_b64 exec, exec, s[52:53]
	v_mov_b32_dpp v60, v7 row_shr:2 row_mask:0xf bank_mask:0xf
	v_mov_b32_dpp v61, v58 row_shr:2 row_mask:0xf bank_mask:0xf
	v_cmp_lt_u32_e64 s[46:47], 1, v59
	s_and_saveexec_b64 s[52:53], s[46:47]
; %bb.155:
	v_and_b32_e32 v58, 1, v9
	v_and_b32_e32 v61, 1, v61
	v_cmp_eq_u32_e64 s[46:47], 1, v58
	s_nop 1
	v_cndmask_b32_e64 v61, v61, 1, s[46:47]
	v_cmp_eq_u16_e64 s[46:47], 0, v9
	v_or_b32_sdwa v58, v6, v61 dst_sel:DWORD dst_unused:UNUSED_PAD src0_sel:DWORD src1_sel:WORD_0
	s_nop 0
	v_cndmask_b32_e64 v9, 0, v60, s[46:47]
	v_add_u32_e32 v7, v9, v7
	v_mov_b32_e32 v9, v61
; %bb.156:
	s_or_b64 exec, exec, s[52:53]
	v_mov_b32_dpp v60, v7 row_shr:4 row_mask:0xf bank_mask:0xf
	v_mov_b32_dpp v61, v58 row_shr:4 row_mask:0xf bank_mask:0xf
	v_cmp_lt_u32_e64 s[46:47], 3, v59
	;; [unrolled: 18-line block ×3, first 2 shown]
	s_and_saveexec_b64 s[52:53], s[46:47]
; %bb.159:
	v_and_b32_e32 v58, 1, v9
	v_and_b32_e32 v59, 1, v61
	v_cmp_eq_u32_e64 s[46:47], 1, v58
	s_nop 1
	v_cndmask_b32_e64 v59, v59, 1, s[46:47]
	v_cmp_eq_u16_e64 s[46:47], 0, v9
	v_or_b32_sdwa v58, v6, v59 dst_sel:DWORD dst_unused:UNUSED_PAD src0_sel:DWORD src1_sel:WORD_0
	s_nop 0
	v_cndmask_b32_e64 v9, 0, v60, s[46:47]
	v_add_u32_e32 v7, v9, v7
	v_mov_b32_e32 v9, v59
; %bb.160:
	s_or_b64 exec, exec, s[52:53]
	v_and_b32_e32 v61, 16, v8
	v_mov_b32_dpp v59, v7 row_bcast:15 row_mask:0xf bank_mask:0xf
	v_mov_b32_dpp v60, v58 row_bcast:15 row_mask:0xf bank_mask:0xf
	v_cmp_ne_u32_e64 s[46:47], 0, v61
	s_and_saveexec_b64 s[52:53], s[46:47]
; %bb.161:
	v_and_b32_e32 v58, 1, v9
	v_and_b32_e32 v60, 1, v60
	v_cmp_eq_u32_e64 s[46:47], 1, v58
	s_nop 1
	v_cndmask_b32_e64 v60, v60, 1, s[46:47]
	v_cmp_eq_u16_e64 s[46:47], 0, v9
	v_or_b32_sdwa v58, v6, v60 dst_sel:DWORD dst_unused:UNUSED_PAD src0_sel:DWORD src1_sel:WORD_0
	s_nop 0
	v_cndmask_b32_e64 v9, 0, v59, s[46:47]
	v_add_u32_e32 v7, v9, v7
	v_mov_b32_e32 v9, v60
; %bb.162:
	s_or_b64 exec, exec, s[52:53]
	v_mov_b32_dpp v58, v58 row_bcast:31 row_mask:0xf bank_mask:0xf
	v_and_b32_e32 v60, 1, v9
	v_and_b32_e32 v58, 1, v58
	v_cmp_eq_u32_e64 s[46:47], 1, v60
	v_mov_b32_e32 v60, 0
	v_cmp_eq_u16_sdwa s[52:53], v9, v60 src0_sel:BYTE_0 src1_sel:DWORD
	v_cndmask_b32_e64 v58, v58, 1, s[46:47]
	v_cmp_lt_u32_e64 s[46:47], 31, v8
	v_mov_b32_dpp v59, v7 row_bcast:31 row_mask:0xf bank_mask:0xf
	s_movk_i32 s3, 0xff
	v_cndmask_b32_e64 v9, v9, v58, s[46:47]
	s_and_b64 s[46:47], s[46:47], s[52:53]
	v_cndmask_b32_e64 v58, 0, v59, s[46:47]
	v_add_u32_e32 v7, v58, v7
	v_add_u32_e32 v58, -1, v8
	v_and_b32_e32 v59, 64, v8
	v_cmp_lt_i32_e64 s[46:47], v58, v59
	v_and_or_b32 v6, v9, s3, v6
	s_nop 0
	v_cndmask_b32_e64 v8, v58, v8, s[46:47]
	v_lshlrev_b32_e32 v8, 2, v8
	ds_bpermute_b32 v7, v8, v7
	ds_bpermute_b32 v6, v8, v6
	v_cmp_eq_u16_sdwa s[46:47], v3, v60 src0_sel:BYTE_0 src1_sel:DWORD
	; wave barrier
	s_waitcnt lgkmcnt(1)
	s_nop 0
	v_cndmask_b32_e64 v3, 0, v7, s[46:47]
	v_add_u32_e32 v2, v3, v2
	s_waitcnt lgkmcnt(0)
	v_and_b32_e32 v3, 1, v6
	v_cmp_eq_u32_e64 s[46:47], 1, v5
	s_nop 1
	v_cndmask_b32_e64 v3, v3, 1, s[46:47]
	v_cmp_eq_u32_e64 s[46:47], 0, v0
	s_nop 1
	v_cndmask_b32_e64 v5, v2, v62, s[46:47]
	v_cndmask_b32_e64 v6, v3, v63, s[46:47]
	ds_write_b32 v4, v5
	ds_write_b8 v4, v6 offset:4
	; wave barrier
	ds_read_u8 v7, v4 offset:12
	ds_read2_b32 v[2:3], v4 offset0:2 offset1:4
	ds_read_u8 v8, v4 offset:20
	ds_read_b32 v9, v4 offset:24
	ds_read_u8 v58, v4 offset:28
	s_waitcnt lgkmcnt(4)
	v_cmp_eq_u16_e64 s[46:47], 0, v7
	s_nop 1
	v_cndmask_b32_e64 v5, 0, v5, s[46:47]
	s_waitcnt lgkmcnt(3)
	v_add_u32_e32 v2, v5, v2
	v_and_b32_e32 v5, 1, v7
	v_cmp_eq_u32_e64 s[46:47], 1, v5
	s_nop 1
	v_cndmask_b32_e64 v5, v6, 1, s[46:47]
	s_waitcnt lgkmcnt(2)
	v_cmp_eq_u16_e64 s[46:47], 0, v8
	ds_write_b8 v4, v5 offset:12
	s_nop 0
	v_cndmask_b32_e64 v6, 0, v2, s[46:47]
	v_add_u32_e32 v3, v6, v3
	v_and_b32_e32 v6, 1, v8
	v_cmp_eq_u32_e64 s[46:47], 1, v6
	s_nop 1
	v_cndmask_b32_e64 v5, v5, 1, s[46:47]
	s_waitcnt lgkmcnt(1)
	v_cmp_eq_u16_e64 s[46:47], 0, v58
	ds_write2_b32 v4, v2, v3 offset0:2 offset1:4
	ds_write_b8 v4, v5 offset:20
	v_cndmask_b32_e64 v2, 0, v3, s[46:47]
	v_and_b32_e32 v3, 1, v58
	v_add_u32_e32 v2, v2, v9
	v_cmp_eq_u32_e64 s[46:47], 1, v3
	s_nop 1
	v_cndmask_b32_e64 v3, v5, 1, s[46:47]
	ds_write_b32 v4, v2 offset:24
	ds_write_b8 v4, v3 offset:28
.LBB553_163:
	s_or_b64 exec, exec, s[48:49]
	v_cmp_eq_u32_e64 s[46:47], 0, v0
	v_cmp_ne_u32_e64 s[48:49], 0, v0
	s_waitcnt lgkmcnt(0)
	s_barrier
	s_and_saveexec_b64 s[52:53], s[48:49]
	s_cbranch_execz .LBB553_165
; %bb.164:
	v_add_u32_e32 v2, -1, v0
	v_lshrrev_b32_e32 v3, 5, v2
	v_add_lshl_u32 v2, v3, v2, 3
	ds_read_b32 v62, v2
	ds_read_u8 v63, v2 offset:4
.LBB553_165:
	s_or_b64 exec, exec, s[52:53]
	s_and_saveexec_b64 s[60:61], vcc
	s_cbranch_execz .LBB553_188
; %bb.166:
	v_mov_b32_e32 v5, 0
	ds_read_b64 v[2:3], v5 offset:2096
	v_mbcnt_lo_u32_b32 v4, -1, 0
	v_mbcnt_hi_u32_b32 v73, -1, v4
	s_mov_b32 s71, 0
	v_cmp_eq_u32_e64 s[48:49], 0, v73
	s_waitcnt lgkmcnt(0)
	v_readfirstlane_b32 s3, v3
	s_and_saveexec_b64 s[52:53], s[48:49]
	s_cbranch_execz .LBB553_168
; %bb.167:
	s_add_i32 s70, s2, 64
	s_lshl_b64 s[72:73], s[70:71], 4
	s_add_u32 s72, s56, s72
	s_addc_u32 s73, s57, s73
	s_and_b32 s75, s3, 0xff000000
	s_mov_b32 s74, s71
	s_and_b32 s79, s3, 0xff0000
	s_mov_b32 s78, s71
	s_or_b64 s[74:75], s[78:79], s[74:75]
	s_and_b32 s79, s3, 0xff00
	s_or_b64 s[74:75], s[74:75], s[78:79]
	s_and_b32 s79, s3, 0xff
	s_or_b64 s[70:71], s[74:75], s[78:79]
	v_mov_b32_e32 v3, s71
	v_mov_b32_e32 v4, 1
	v_mov_b64_e32 v[6:7], s[72:73]
	;;#ASMSTART
	global_store_dwordx4 v[6:7], v[2:5] off sc1	
s_waitcnt vmcnt(0)
	;;#ASMEND
.LBB553_168:
	s_or_b64 exec, exec, s[52:53]
	v_xad_u32 v58, v73, -1, s2
	v_add_u32_e32 v4, 64, v58
	v_lshl_add_u64 v[60:61], v[4:5], 4, s[56:57]
	;;#ASMSTART
	global_load_dwordx4 v[6:9], v[60:61] off sc1	
s_waitcnt vmcnt(0)
	;;#ASMEND
	s_nop 0
	v_and_b32_e32 v3, 0xff0000, v6
	v_and_b32_e32 v4, 0xff000000, v6
	;; [unrolled: 1-line block ×3, first 2 shown]
	v_or_b32_sdwa v3, v6, v3 dst_sel:DWORD dst_unused:UNUSED_PAD src0_sel:WORD_0 src1_sel:DWORD
	v_or3_b32 v7, 0, 0, v7
	v_or3_b32 v6, v3, v4, 0
	v_cmp_eq_u16_sdwa s[70:71], v8, v5 src0_sel:BYTE_0 src1_sel:DWORD
	s_and_saveexec_b64 s[52:53], s[70:71]
	s_cbranch_execz .LBB553_174
; %bb.169:
	s_mov_b32 s59, 1
	s_mov_b64 s[70:71], 0
	v_mov_b32_e32 v3, 0
.LBB553_170:                            ; =>This Loop Header: Depth=1
                                        ;     Child Loop BB553_171 Depth 2
	s_max_u32 s72, s59, 1
.LBB553_171:                            ;   Parent Loop BB553_170 Depth=1
                                        ; =>  This Inner Loop Header: Depth=2
	s_add_i32 s72, s72, -1
	s_cmp_eq_u32 s72, 0
	s_sleep 1
	s_cbranch_scc0 .LBB553_171
; %bb.172:                              ;   in Loop: Header=BB553_170 Depth=1
	s_cmp_lt_u32 s59, 32
	s_cselect_b64 s[72:73], -1, 0
	s_cmp_lg_u64 s[72:73], 0
	s_addc_u32 s59, s59, 0
	;;#ASMSTART
	global_load_dwordx4 v[6:9], v[60:61] off sc1	
s_waitcnt vmcnt(0)
	;;#ASMEND
	s_nop 0
	v_cmp_ne_u16_sdwa s[72:73], v8, v3 src0_sel:BYTE_0 src1_sel:DWORD
	s_or_b64 s[70:71], s[72:73], s[70:71]
	s_andn2_b64 exec, exec, s[70:71]
	s_cbranch_execnz .LBB553_170
; %bb.173:
	s_or_b64 exec, exec, s[70:71]
	v_and_b32_e32 v7, 0xff, v7
.LBB553_174:
	s_or_b64 exec, exec, s[52:53]
	v_mov_b32_e32 v3, 2
	v_cmp_eq_u16_sdwa s[52:53], v8, v3 src0_sel:BYTE_0 src1_sel:DWORD
	v_lshlrev_b64 v[4:5], v73, -1
	v_and_b32_e32 v64, 63, v73
	v_and_b32_e32 v9, s53, v5
	v_or_b32_e32 v9, 0x80000000, v9
	v_and_b32_e32 v59, s52, v4
	v_ffbl_b32_e32 v9, v9
	v_add_u32_e32 v9, 32, v9
	v_ffbl_b32_e32 v59, v59
	v_cmp_ne_u32_e32 vcc, 63, v64
	v_min_u32_e32 v9, v59, v9
	s_mov_b32 s70, 0
	v_addc_co_u32_e32 v59, vcc, 0, v73, vcc
	v_lshlrev_b32_e32 v65, 2, v59
	ds_bpermute_b32 v59, v65, v7
	ds_bpermute_b32 v60, v65, v6
	v_and_b32_e32 v61, 1, v7
	s_mov_b32 s71, 1
	v_cmp_eq_u32_e32 vcc, 1, v61
	s_waitcnt lgkmcnt(1)
	v_and_b32_e32 v59, 1, v59
	v_cmp_lt_u32_e64 s[52:53], v64, v9
	v_cndmask_b32_e64 v59, v59, 1, vcc
	v_cmp_gt_u64_e32 vcc, s[70:71], v[6:7]
	s_and_b64 vcc, s[52:53], vcc
	v_and_b32_e32 v61, 0xffff, v59
	v_cndmask_b32_e64 v68, v7, v59, s[52:53]
	s_waitcnt lgkmcnt(0)
	v_cndmask_b32_e32 v59, 0, v60, vcc
	v_cmp_gt_u32_e32 vcc, 62, v64
	v_cndmask_b32_e64 v7, v7, v61, s[52:53]
	v_add_u32_e32 v6, v59, v6
	v_cndmask_b32_e64 v60, 0, 1, vcc
	v_lshlrev_b32_e32 v60, 1, v60
	v_add_lshl_u32 v66, v60, v73, 2
	ds_bpermute_b32 v60, v66, v7
	ds_bpermute_b32 v61, v66, v6
	v_and_b32_e32 v59, 1, v68
	v_cmp_eq_u32_e32 vcc, 1, v59
	v_mov_b32_e32 v59, 0
	s_waitcnt lgkmcnt(1)
	v_and_b32_e32 v60, 1, v60
	v_add_u32_e32 v67, 2, v64
	v_cndmask_b32_e64 v60, v60, 1, vcc
	v_cmp_eq_u16_sdwa vcc, v68, v59 src0_sel:BYTE_0 src1_sel:DWORD
	v_and_b32_e32 v69, 0xffff, v60
	v_add_u32_e32 v77, 32, v64
	s_waitcnt lgkmcnt(0)
	v_cndmask_b32_e32 v61, 0, v61, vcc
	v_cmp_gt_u32_e32 vcc, v67, v9
	s_nop 1
	v_cndmask_b32_e32 v60, v60, v68, vcc
	v_cndmask_b32_e64 v61, v61, 0, vcc
	v_cndmask_b32_e32 v7, v69, v7, vcc
	v_cmp_gt_u32_e32 vcc, 60, v64
	v_add_u32_e32 v6, v61, v6
	v_and_b32_e32 v71, 1, v60
	v_cndmask_b32_e64 v68, 0, 1, vcc
	v_lshlrev_b32_e32 v68, 2, v68
	v_add_lshl_u32 v68, v68, v73, 2
	ds_bpermute_b32 v70, v68, v7
	ds_bpermute_b32 v61, v68, v6
	v_cmp_eq_u32_e32 vcc, 1, v71
	v_add_u32_e32 v69, 4, v64
	s_waitcnt lgkmcnt(1)
	v_and_b32_e32 v70, 1, v70
	v_cndmask_b32_e64 v70, v70, 1, vcc
	v_cmp_eq_u16_sdwa vcc, v60, v59 src0_sel:BYTE_0 src1_sel:DWORD
	v_and_b32_e32 v71, 0xffff, v70
	s_waitcnt lgkmcnt(0)
	v_cndmask_b32_e32 v61, 0, v61, vcc
	v_cmp_gt_u32_e32 vcc, v69, v9
	s_nop 1
	v_cndmask_b32_e32 v60, v70, v60, vcc
	v_cndmask_b32_e64 v61, v61, 0, vcc
	v_cndmask_b32_e32 v7, v71, v7, vcc
	v_cmp_gt_u32_e32 vcc, 56, v64
	v_add_u32_e32 v6, v61, v6
	v_and_b32_e32 v74, 1, v60
	v_cndmask_b32_e64 v70, 0, 1, vcc
	v_lshlrev_b32_e32 v70, 3, v70
	v_add_lshl_u32 v70, v70, v73, 2
	ds_bpermute_b32 v72, v70, v7
	ds_bpermute_b32 v61, v70, v6
	v_cmp_eq_u32_e32 vcc, 1, v74
	v_add_u32_e32 v71, 8, v64
	s_waitcnt lgkmcnt(1)
	v_and_b32_e32 v72, 1, v72
	v_cndmask_b32_e64 v72, v72, 1, vcc
	v_cmp_eq_u16_sdwa vcc, v60, v59 src0_sel:BYTE_0 src1_sel:DWORD
	v_and_b32_e32 v74, 0xffff, v72
	;; [unrolled: 22-line block ×3, first 2 shown]
	s_waitcnt lgkmcnt(0)
	v_cndmask_b32_e32 v61, 0, v61, vcc
	v_cmp_gt_u32_e32 vcc, v74, v9
	s_nop 1
	v_cndmask_b32_e32 v60, v75, v60, vcc
	v_cndmask_b32_e64 v61, v61, 0, vcc
	v_cndmask_b32_e32 v7, v76, v7, vcc
	v_cmp_gt_u32_e32 vcc, 32, v64
	v_add_u32_e32 v6, v61, v6
	s_nop 0
	v_cndmask_b32_e64 v75, 0, 1, vcc
	v_lshlrev_b32_e32 v75, 5, v75
	v_add_lshl_u32 v76, v75, v73, 2
	ds_bpermute_b32 v7, v76, v7
	ds_bpermute_b32 v61, v76, v6
	v_and_b32_e32 v73, 1, v60
	v_cmp_eq_u32_e32 vcc, 1, v73
	s_waitcnt lgkmcnt(1)
	v_and_b32_e32 v7, 1, v7
	v_cndmask_b32_e64 v7, v7, 1, vcc
	v_cmp_eq_u16_sdwa vcc, v60, v59 src0_sel:BYTE_0 src1_sel:DWORD
	s_waitcnt lgkmcnt(0)
	s_nop 0
	v_cndmask_b32_e32 v61, 0, v61, vcc
	v_cmp_gt_u32_e32 vcc, v77, v9
	s_nop 1
	v_cndmask_b32_e64 v9, v61, 0, vcc
	v_cndmask_b32_e32 v7, v7, v60, vcc
	v_add_u32_e32 v6, v9, v6
	s_branch .LBB553_176
.LBB553_175:                            ;   in Loop: Header=BB553_176 Depth=1
	s_or_b64 exec, exec, s[52:53]
	v_cmp_eq_u16_sdwa s[52:53], v8, v3 src0_sel:BYTE_0 src1_sel:DWORD
	ds_bpermute_b32 v61, v65, v7
	v_and_b32_e32 v78, 1, v7
	v_and_b32_e32 v9, s53, v5
	v_or_b32_e32 v9, 0x80000000, v9
	v_and_b32_e32 v60, s52, v4
	v_ffbl_b32_e32 v9, v9
	v_add_u32_e32 v9, 32, v9
	v_ffbl_b32_e32 v60, v60
	v_min_u32_e32 v9, v60, v9
	ds_bpermute_b32 v60, v65, v6
	s_waitcnt lgkmcnt(1)
	v_and_b32_e32 v61, 1, v61
	v_cmp_eq_u32_e32 vcc, 1, v78
	v_cmp_lt_u32_e64 s[52:53], v64, v9
	v_subrev_u32_e32 v58, 64, v58
	v_cndmask_b32_e64 v61, v61, 1, vcc
	v_cmp_gt_u64_e32 vcc, s[70:71], v[6:7]
	v_and_b32_e32 v78, 0xffff, v61
	v_cndmask_b32_e64 v61, v7, v61, s[52:53]
	v_cndmask_b32_e64 v7, v7, v78, s[52:53]
	s_and_b64 vcc, s[52:53], vcc
	ds_bpermute_b32 v78, v66, v7
	s_waitcnt lgkmcnt(1)
	v_cndmask_b32_e32 v60, 0, v60, vcc
	v_add_u32_e32 v6, v60, v6
	ds_bpermute_b32 v60, v66, v6
	v_and_b32_e32 v79, 1, v61
	s_waitcnt lgkmcnt(1)
	v_and_b32_e32 v78, 1, v78
	v_cmp_eq_u32_e32 vcc, 1, v79
	s_nop 1
	v_cndmask_b32_e64 v78, v78, 1, vcc
	v_cmp_eq_u16_sdwa vcc, v61, v59 src0_sel:BYTE_0 src1_sel:DWORD
	v_and_b32_e32 v79, 0xffff, v78
	s_waitcnt lgkmcnt(0)
	v_cndmask_b32_e32 v60, 0, v60, vcc
	v_cmp_gt_u32_e32 vcc, v67, v9
	s_nop 1
	v_cndmask_b32_e32 v7, v79, v7, vcc
	v_cndmask_b32_e32 v61, v78, v61, vcc
	ds_bpermute_b32 v78, v68, v7
	v_cndmask_b32_e64 v60, v60, 0, vcc
	v_add_u32_e32 v6, v60, v6
	ds_bpermute_b32 v60, v68, v6
	v_and_b32_e32 v79, 1, v61
	s_waitcnt lgkmcnt(1)
	v_and_b32_e32 v78, 1, v78
	v_cmp_eq_u32_e32 vcc, 1, v79
	s_nop 1
	v_cndmask_b32_e64 v78, v78, 1, vcc
	v_cmp_eq_u16_sdwa vcc, v61, v59 src0_sel:BYTE_0 src1_sel:DWORD
	v_and_b32_e32 v79, 0xffff, v78
	s_waitcnt lgkmcnt(0)
	v_cndmask_b32_e32 v60, 0, v60, vcc
	v_cmp_gt_u32_e32 vcc, v69, v9
	s_nop 1
	v_cndmask_b32_e32 v7, v79, v7, vcc
	v_cndmask_b32_e32 v61, v78, v61, vcc
	ds_bpermute_b32 v78, v70, v7
	v_cndmask_b32_e64 v60, v60, 0, vcc
	;; [unrolled: 18-line block ×3, first 2 shown]
	v_add_u32_e32 v6, v60, v6
	ds_bpermute_b32 v60, v72, v6
	v_and_b32_e32 v79, 1, v61
	s_waitcnt lgkmcnt(1)
	v_and_b32_e32 v78, 1, v78
	v_cmp_eq_u32_e32 vcc, 1, v79
	s_nop 1
	v_cndmask_b32_e64 v78, v78, 1, vcc
	v_cmp_eq_u16_sdwa vcc, v61, v59 src0_sel:BYTE_0 src1_sel:DWORD
	v_and_b32_e32 v79, 0xffff, v78
	s_waitcnt lgkmcnt(0)
	v_cndmask_b32_e32 v60, 0, v60, vcc
	v_cmp_gt_u32_e32 vcc, v74, v9
	s_nop 1
	v_cndmask_b32_e64 v60, v60, 0, vcc
	v_cndmask_b32_e32 v7, v79, v7, vcc
	ds_bpermute_b32 v7, v76, v7
	v_add_u32_e32 v6, v60, v6
	ds_bpermute_b32 v60, v76, v6
	v_cndmask_b32_e32 v61, v78, v61, vcc
	v_and_b32_e32 v78, 1, v61
	v_cmp_eq_u32_e32 vcc, 1, v78
	s_waitcnt lgkmcnt(1)
	s_nop 0
	v_cndmask_b32_e64 v7, v7, 1, vcc
	v_cmp_eq_u16_sdwa vcc, v61, v59 src0_sel:BYTE_0 src1_sel:DWORD
	s_waitcnt lgkmcnt(0)
	s_nop 0
	v_cndmask_b32_e32 v60, 0, v60, vcc
	v_cmp_gt_u32_e32 vcc, v77, v9
	s_nop 1
	v_cndmask_b32_e64 v9, v60, 0, vcc
	v_cndmask_b32_e32 v7, v7, v61, vcc
	v_add_u32_e32 v6, v9, v6
	v_cmp_eq_u16_sdwa vcc, v73, v59 src0_sel:BYTE_0 src1_sel:DWORD
	v_and_b32_e32 v9, 1, v73
	v_and_b32_e32 v7, 1, v7
	v_cndmask_b32_e32 v6, 0, v6, vcc
	v_cmp_eq_u32_e32 vcc, 1, v9
	v_add_u32_e32 v6, v6, v75
	s_nop 0
	v_cndmask_b32_e64 v7, v7, 1, vcc
.LBB553_176:                            ; =>This Loop Header: Depth=1
                                        ;     Child Loop BB553_179 Depth 2
                                        ;       Child Loop BB553_180 Depth 3
	v_cmp_ne_u16_sdwa s[52:53], v8, v3 src0_sel:BYTE_0 src1_sel:DWORD
	v_mov_b32_e32 v73, v7
	v_mov_b32_e32 v75, v6
	v_cndmask_b32_e64 v7, 0, 1, s[52:53]
	;;#ASMSTART
	;;#ASMEND
	s_nop 0
	v_cmp_ne_u32_e32 vcc, 0, v7
	s_cmp_lg_u64 vcc, exec
	s_cbranch_scc1 .LBB553_183
; %bb.177:                              ;   in Loop: Header=BB553_176 Depth=1
	v_lshl_add_u64 v[60:61], v[58:59], 4, s[56:57]
	;;#ASMSTART
	global_load_dwordx4 v[6:9], v[60:61] off sc1	
s_waitcnt vmcnt(0)
	;;#ASMEND
	s_nop 0
	v_and_b32_e32 v9, 0xff0000, v6
	v_and_b32_e32 v78, 0xff000000, v6
	;; [unrolled: 1-line block ×3, first 2 shown]
	v_or_b32_sdwa v6, v6, v9 dst_sel:DWORD dst_unused:UNUSED_PAD src0_sel:WORD_0 src1_sel:DWORD
	v_or3_b32 v7, 0, 0, v7
	v_or3_b32 v6, v6, v78, 0
	v_cmp_eq_u16_sdwa s[72:73], v8, v59 src0_sel:BYTE_0 src1_sel:DWORD
	s_and_saveexec_b64 s[52:53], s[72:73]
	s_cbranch_execz .LBB553_175
; %bb.178:                              ;   in Loop: Header=BB553_176 Depth=1
	s_mov_b32 s59, 1
	s_mov_b64 s[72:73], 0
.LBB553_179:                            ;   Parent Loop BB553_176 Depth=1
                                        ; =>  This Loop Header: Depth=2
                                        ;       Child Loop BB553_180 Depth 3
	s_max_u32 s74, s59, 1
.LBB553_180:                            ;   Parent Loop BB553_176 Depth=1
                                        ;     Parent Loop BB553_179 Depth=2
                                        ; =>    This Inner Loop Header: Depth=3
	s_add_i32 s74, s74, -1
	s_cmp_eq_u32 s74, 0
	s_sleep 1
	s_cbranch_scc0 .LBB553_180
; %bb.181:                              ;   in Loop: Header=BB553_179 Depth=2
	s_cmp_lt_u32 s59, 32
	s_cselect_b64 s[74:75], -1, 0
	s_cmp_lg_u64 s[74:75], 0
	s_addc_u32 s59, s59, 0
	;;#ASMSTART
	global_load_dwordx4 v[6:9], v[60:61] off sc1	
s_waitcnt vmcnt(0)
	;;#ASMEND
	s_nop 0
	v_cmp_ne_u16_sdwa s[74:75], v8, v59 src0_sel:BYTE_0 src1_sel:DWORD
	s_or_b64 s[72:73], s[74:75], s[72:73]
	s_andn2_b64 exec, exec, s[72:73]
	s_cbranch_execnz .LBB553_179
; %bb.182:                              ;   in Loop: Header=BB553_176 Depth=1
	s_or_b64 exec, exec, s[72:73]
	v_and_b32_e32 v7, 0xff, v7
	s_branch .LBB553_175
.LBB553_183:                            ;   in Loop: Header=BB553_176 Depth=1
                                        ; implicit-def: $vgpr7
                                        ; implicit-def: $vgpr6
                                        ; implicit-def: $vgpr8
	s_cbranch_execz .LBB553_176
; %bb.184:
	s_and_saveexec_b64 s[52:53], s[48:49]
	s_cbranch_execz .LBB553_186
; %bb.185:
	s_and_b32 s48, s3, 0xff
	s_cmp_eq_u32 s48, 0
	s_cselect_b64 vcc, -1, 0
	s_bitcmp1_b32 s3, 0
	s_mov_b32 s49, 0
	s_cselect_b64 s[70:71], -1, 0
	s_add_i32 s48, s2, 64
	s_lshl_b64 s[2:3], s[48:49], 4
	v_cndmask_b32_e32 v3, 0, v75, vcc
	s_add_u32 s2, s56, s2
	v_add_u32_e32 v2, v3, v2
	v_and_b32_e32 v3, 1, v73
	s_addc_u32 s3, s57, s3
	v_mov_b32_e32 v5, 0
	v_cndmask_b32_e64 v3, v3, 1, s[70:71]
	v_mov_b32_e32 v4, 2
	v_mov_b64_e32 v[6:7], s[2:3]
	;;#ASMSTART
	global_store_dwordx4 v[6:7], v[2:5] off sc1	
s_waitcnt vmcnt(0)
	;;#ASMEND
.LBB553_186:
	s_or_b64 exec, exec, s[52:53]
	s_and_b64 exec, exec, s[46:47]
	s_cbranch_execz .LBB553_188
; %bb.187:
	v_mov_b32_e32 v2, 0
	ds_write_b32 v2, v75
	ds_write_b8 v2, v73 offset:4
.LBB553_188:
	s_or_b64 exec, exec, s[60:61]
	v_mov_b32_e32 v2, 0
	s_waitcnt lgkmcnt(0)
	s_barrier
	ds_read_b32 v3, v2
	v_cmp_eq_u16_sdwa vcc, v63, v2 src0_sel:BYTE_0 src1_sel:DWORD
	s_waitcnt lgkmcnt(0)
	s_nop 0
	v_cndmask_b32_e32 v4, 0, v3, vcc
	v_add_u32_e32 v4, v4, v62
	v_cndmask_b32_e64 v58, v4, v3, s[46:47]
	v_and_b32_e32 v3, 0xff, v11
	v_cmp_eq_u64_e32 vcc, 0, v[2:3]
	s_nop 1
	v_cndmask_b32_e32 v2, 0, v58, vcc
	v_add_u32_e32 v59, v2, v10
	v_cndmask_b32_e64 v2, 0, v59, s[50:51]
	v_add_u32_e32 v60, v2, v12
	v_cndmask_b32_e64 v2, 0, v60, s[4:5]
	;; [unrolled: 2-line block ×21, first 2 shown]
	v_add_u32_e32 v80, v2, v52
	s_branch .LBB553_209
.LBB553_189:
                                        ; implicit-def: $vgpr79
                                        ; implicit-def: $vgpr78
                                        ; implicit-def: $vgpr77
                                        ; implicit-def: $vgpr76
                                        ; implicit-def: $vgpr75
                                        ; implicit-def: $vgpr74
                                        ; implicit-def: $vgpr73
                                        ; implicit-def: $vgpr72
                                        ; implicit-def: $vgpr71
                                        ; implicit-def: $vgpr70
                                        ; implicit-def: $vgpr69
                                        ; implicit-def: $vgpr68
                                        ; implicit-def: $vgpr67
                                        ; implicit-def: $vgpr66
                                        ; implicit-def: $vgpr65
                                        ; implicit-def: $vgpr64
                                        ; implicit-def: $vgpr63
                                        ; implicit-def: $vgpr62
                                        ; implicit-def: $vgpr61
                                        ; implicit-def: $vgpr60
                                        ; implicit-def: $vgpr59
                                        ; implicit-def: $vgpr58
                                        ; implicit-def: $vgpr80
	s_cbranch_execz .LBB553_209
; %bb.190:
	s_cmp_lg_u64 s[68:69], 0
	s_cselect_b32 s3, s63, 0
	s_cselect_b32 s2, s62, 0
	s_mov_b32 s44, 0
	s_cmp_eq_u64 s[2:3], 0
	v_mov_b32_e32 v4, s76
	s_cbranch_scc1 .LBB553_192
; %bb.191:
	v_mov_b32_e32 v2, 0
	global_load_dword v4, v2, s[2:3]
.LBB553_192:
	s_mov_b32 s45, 1
	v_cmp_gt_u64_e32 vcc, s[44:45], v[12:13]
	v_cmp_gt_u64_e64 s[2:3], s[44:45], v[14:15]
	v_cmp_gt_u64_e64 s[4:5], s[44:45], v[16:17]
	v_cndmask_b32_e32 v2, 0, v10, vcc
	v_add_u32_e32 v2, v2, v12
	v_cndmask_b32_e64 v2, 0, v2, s[2:3]
	v_add_u32_e32 v2, v2, v14
	v_cndmask_b32_e64 v2, 0, v2, s[4:5]
	v_add_u32_e32 v2, v2, v16
	v_cmp_gt_u64_e64 s[6:7], s[44:45], v[18:19]
	v_cmp_gt_u64_e64 s[8:9], s[44:45], v[20:21]
	v_cmp_gt_u64_e64 s[10:11], s[44:45], v[22:23]
	v_cndmask_b32_e64 v2, 0, v2, s[6:7]
	v_add_u32_e32 v2, v2, v18
	v_cndmask_b32_e64 v2, 0, v2, s[8:9]
	v_add_u32_e32 v2, v2, v20
	v_cndmask_b32_e64 v2, 0, v2, s[10:11]
	v_add_u32_e32 v2, v2, v22
	v_cmp_gt_u64_e64 s[12:13], s[44:45], v[24:25]
	v_cmp_gt_u64_e64 s[14:15], s[44:45], v[26:27]
	v_cmp_gt_u64_e64 s[16:17], s[44:45], v[28:29]
	v_cndmask_b32_e64 v2, 0, v2, s[12:13]
	;; [unrolled: 9-line block ×6, first 2 shown]
	v_add_u32_e32 v2, v2, v48
	v_cndmask_b32_e64 v2, 0, v2, s[40:41]
	v_add_u32_e32 v2, v2, v50
	v_cndmask_b32_e64 v2, 0, v2, s[42:43]
	v_add_u32_e32 v2, v2, v52
	v_cmp_gt_u64_e64 s[44:45], s[44:45], v[56:57]
	v_add_lshl_u32 v1, v1, v0, 3
	s_nop 0
	v_cndmask_b32_e64 v2, 0, v2, s[44:45]
	v_add_u32_e32 v5, v2, v56
	v_or3_b32 v2, v55, v51, v49
	v_or3_b32 v2, v2, v47, v45
	;; [unrolled: 1-line block ×10, first 2 shown]
	v_and_b32_e32 v2, 1, v2
	v_cmp_eq_u32_e64 s[44:45], 1, v2
	s_nop 1
	v_cndmask_b32_e64 v6, v11, 1, s[44:45]
	v_cmp_gt_u32_e64 s[44:45], 64, v0
	ds_write_b32 v1, v5
	ds_write_b8 v1, v6 offset:4
	s_waitcnt lgkmcnt(0)
	s_barrier
	s_and_saveexec_b64 s[46:47], s[44:45]
	s_cbranch_execz .LBB553_204
; %bb.193:
	v_lshrrev_b32_e32 v1, 3, v0
	v_add_lshl_u32 v1, v1, v54, 3
	ds_read2_b32 v[8:9], v1 offset0:2 offset1:4
	ds_read_b64 v[2:3], v1
	ds_read_u8 v13, v1 offset:12
	ds_read_u8 v15, v1 offset:20
	ds_read_b32 v17, v1 offset:24
	ds_read_u8 v19, v1 offset:28
	v_mov_b32_e32 v21, 0
	s_waitcnt lgkmcnt(3)
	v_cmp_eq_u16_sdwa s[44:45], v13, v21 src0_sel:BYTE_0 src1_sel:DWORD
	v_and_b32_e32 v7, 1, v3
	s_nop 0
	v_cndmask_b32_e64 v23, 0, v2, s[44:45]
	v_add_u32_e32 v8, v23, v8
	s_waitcnt lgkmcnt(2)
	v_cmp_eq_u16_sdwa s[44:45], v15, v21 src0_sel:BYTE_0 src1_sel:DWORD
	s_nop 1
	v_cndmask_b32_e64 v8, 0, v8, s[44:45]
	v_add_u32_e32 v8, v8, v9
	s_waitcnt lgkmcnt(0)
	v_cmp_eq_u16_e64 s[44:45], 0, v19
	s_nop 1
	v_cndmask_b32_e64 v8, 0, v8, s[44:45]
	v_add_u32_e32 v9, v8, v17
	v_or_b32_e32 v8, v19, v15
	v_or_b32_e32 v8, v8, v13
	v_and_b32_e32 v8, 1, v8
	v_cmp_eq_u32_e64 s[44:45], 1, v8
	v_mbcnt_lo_u32_b32 v13, -1, 0
	v_and_b32_e32 v8, 0xffffff00, v3
	v_cndmask_b32_e64 v15, v7, 1, s[44:45]
	v_mbcnt_hi_u32_b32 v13, -1, v13
	v_and_b32_e32 v19, 15, v13
	v_or_b32_sdwa v17, v8, v15 dst_sel:DWORD dst_unused:UNUSED_PAD src0_sel:DWORD src1_sel:WORD_0
	v_mov_b32_dpp v21, v9 row_shr:1 row_mask:0xf bank_mask:0xf
	v_cmp_ne_u32_e64 s[44:45], 0, v19
	v_mov_b32_dpp v23, v17 row_shr:1 row_mask:0xf bank_mask:0xf
	s_and_saveexec_b64 s[48:49], s[44:45]
; %bb.194:
	v_and_b32_e32 v17, 1, v15
	v_and_b32_e32 v23, 1, v23
	v_cmp_eq_u32_e64 s[44:45], 1, v17
	s_nop 1
	v_cndmask_b32_e64 v23, v23, 1, s[44:45]
	v_cmp_eq_u16_e64 s[44:45], 0, v15
	v_or_b32_sdwa v17, v8, v23 dst_sel:DWORD dst_unused:UNUSED_PAD src0_sel:DWORD src1_sel:WORD_0
	s_nop 0
	v_cndmask_b32_e64 v15, 0, v21, s[44:45]
	v_add_u32_e32 v9, v15, v9
	v_mov_b32_e32 v15, v23
; %bb.195:
	s_or_b64 exec, exec, s[48:49]
	v_mov_b32_dpp v21, v9 row_shr:2 row_mask:0xf bank_mask:0xf
	v_mov_b32_dpp v23, v17 row_shr:2 row_mask:0xf bank_mask:0xf
	v_cmp_lt_u32_e64 s[44:45], 1, v19
	s_and_saveexec_b64 s[48:49], s[44:45]
; %bb.196:
	v_and_b32_e32 v17, 1, v15
	v_and_b32_e32 v23, 1, v23
	v_cmp_eq_u32_e64 s[44:45], 1, v17
	s_nop 1
	v_cndmask_b32_e64 v23, v23, 1, s[44:45]
	v_cmp_eq_u16_e64 s[44:45], 0, v15
	v_or_b32_sdwa v17, v8, v23 dst_sel:DWORD dst_unused:UNUSED_PAD src0_sel:DWORD src1_sel:WORD_0
	s_nop 0
	v_cndmask_b32_e64 v15, 0, v21, s[44:45]
	v_add_u32_e32 v9, v15, v9
	v_mov_b32_e32 v15, v23
; %bb.197:
	s_or_b64 exec, exec, s[48:49]
	v_mov_b32_dpp v21, v9 row_shr:4 row_mask:0xf bank_mask:0xf
	v_mov_b32_dpp v23, v17 row_shr:4 row_mask:0xf bank_mask:0xf
	v_cmp_lt_u32_e64 s[44:45], 3, v19
	;; [unrolled: 18-line block ×3, first 2 shown]
	s_and_saveexec_b64 s[48:49], s[44:45]
; %bb.200:
	v_and_b32_e32 v17, 1, v15
	v_and_b32_e32 v19, 1, v23
	v_cmp_eq_u32_e64 s[44:45], 1, v17
	s_nop 1
	v_cndmask_b32_e64 v19, v19, 1, s[44:45]
	v_cmp_eq_u16_e64 s[44:45], 0, v15
	v_or_b32_sdwa v17, v8, v19 dst_sel:DWORD dst_unused:UNUSED_PAD src0_sel:DWORD src1_sel:WORD_0
	s_nop 0
	v_cndmask_b32_e64 v15, 0, v21, s[44:45]
	v_add_u32_e32 v9, v15, v9
	v_mov_b32_e32 v15, v19
; %bb.201:
	s_or_b64 exec, exec, s[48:49]
	v_and_b32_e32 v23, 16, v13
	v_mov_b32_dpp v19, v9 row_bcast:15 row_mask:0xf bank_mask:0xf
	v_mov_b32_dpp v21, v17 row_bcast:15 row_mask:0xf bank_mask:0xf
	v_cmp_ne_u32_e64 s[44:45], 0, v23
	s_and_saveexec_b64 s[48:49], s[44:45]
; %bb.202:
	v_and_b32_e32 v17, 1, v15
	v_and_b32_e32 v21, 1, v21
	v_cmp_eq_u32_e64 s[44:45], 1, v17
	s_nop 1
	v_cndmask_b32_e64 v21, v21, 1, s[44:45]
	v_cmp_eq_u16_e64 s[44:45], 0, v15
	v_or_b32_sdwa v17, v8, v21 dst_sel:DWORD dst_unused:UNUSED_PAD src0_sel:DWORD src1_sel:WORD_0
	s_nop 0
	v_cndmask_b32_e64 v15, 0, v19, s[44:45]
	v_add_u32_e32 v9, v15, v9
	v_mov_b32_e32 v15, v21
; %bb.203:
	s_or_b64 exec, exec, s[48:49]
	v_mov_b32_dpp v17, v17 row_bcast:31 row_mask:0xf bank_mask:0xf
	v_and_b32_e32 v21, 1, v15
	v_and_b32_e32 v17, 1, v17
	v_cmp_eq_u32_e64 s[44:45], 1, v21
	v_mov_b32_e32 v21, 0
	v_cmp_eq_u16_sdwa s[48:49], v15, v21 src0_sel:BYTE_0 src1_sel:DWORD
	v_cndmask_b32_e64 v17, v17, 1, s[44:45]
	v_cmp_lt_u32_e64 s[44:45], 31, v13
	v_mov_b32_dpp v19, v9 row_bcast:31 row_mask:0xf bank_mask:0xf
	s_movk_i32 s50, 0xff
	v_cndmask_b32_e64 v15, v15, v17, s[44:45]
	s_and_b64 s[44:45], s[44:45], s[48:49]
	v_cndmask_b32_e64 v17, 0, v19, s[44:45]
	v_add_u32_e32 v9, v17, v9
	v_add_u32_e32 v17, -1, v13
	v_and_b32_e32 v19, 64, v13
	v_cmp_lt_i32_e64 s[44:45], v17, v19
	v_and_or_b32 v8, v15, s50, v8
	s_nop 0
	v_cndmask_b32_e64 v13, v17, v13, s[44:45]
	v_lshlrev_b32_e32 v13, 2, v13
	ds_bpermute_b32 v9, v13, v9
	ds_bpermute_b32 v8, v13, v8
	v_cmp_eq_u16_sdwa s[44:45], v3, v21 src0_sel:BYTE_0 src1_sel:DWORD
	; wave barrier
	s_waitcnt lgkmcnt(1)
	s_nop 0
	v_cndmask_b32_e64 v3, 0, v9, s[44:45]
	v_add_u32_e32 v2, v3, v2
	s_waitcnt lgkmcnt(0)
	v_and_b32_e32 v3, 1, v8
	v_cmp_eq_u32_e64 s[44:45], 1, v7
	s_nop 1
	v_cndmask_b32_e64 v3, v3, 1, s[44:45]
	v_cmp_eq_u32_e64 s[44:45], 0, v0
	s_nop 1
	v_cndmask_b32_e64 v5, v2, v5, s[44:45]
	v_cndmask_b32_e64 v6, v3, v6, s[44:45]
	ds_write_b32 v1, v5
	ds_write_b8 v1, v6 offset:4
	; wave barrier
	ds_read_u8 v7, v1 offset:12
	ds_read2_b32 v[2:3], v1 offset0:2 offset1:4
	ds_read_u8 v8, v1 offset:20
	ds_read_b32 v9, v1 offset:24
	ds_read_u8 v13, v1 offset:28
	s_waitcnt lgkmcnt(4)
	v_cmp_eq_u16_e64 s[44:45], 0, v7
	s_nop 1
	v_cndmask_b32_e64 v5, 0, v5, s[44:45]
	s_waitcnt lgkmcnt(3)
	v_add_u32_e32 v2, v5, v2
	v_and_b32_e32 v5, 1, v7
	v_cmp_eq_u32_e64 s[44:45], 1, v5
	s_nop 1
	v_cndmask_b32_e64 v5, v6, 1, s[44:45]
	s_waitcnt lgkmcnt(2)
	v_cmp_eq_u16_e64 s[44:45], 0, v8
	ds_write_b8 v1, v5 offset:12
	s_nop 0
	v_cndmask_b32_e64 v6, 0, v2, s[44:45]
	v_add_u32_e32 v3, v6, v3
	v_and_b32_e32 v6, 1, v8
	v_cmp_eq_u32_e64 s[44:45], 1, v6
	s_nop 1
	v_cndmask_b32_e64 v5, v5, 1, s[44:45]
	s_waitcnt lgkmcnt(1)
	v_cmp_eq_u16_e64 s[44:45], 0, v13
	ds_write2_b32 v1, v2, v3 offset0:2 offset1:4
	ds_write_b8 v1, v5 offset:20
	v_cndmask_b32_e64 v2, 0, v3, s[44:45]
	v_and_b32_e32 v3, 1, v13
	v_add_u32_e32 v2, v2, v9
	v_cmp_eq_u32_e64 s[44:45], 1, v3
	s_nop 1
	v_cndmask_b32_e64 v3, v5, 1, s[44:45]
	ds_write_b32 v1, v2 offset:24
	ds_write_b8 v1, v3 offset:28
.LBB553_204:
	s_or_b64 exec, exec, s[46:47]
	v_cmp_eq_u32_e64 s[44:45], 0, v0
	v_cmp_ne_u32_e64 s[46:47], 0, v0
	s_waitcnt vmcnt(0)
	v_mov_b32_e32 v58, v4
	s_waitcnt lgkmcnt(0)
	s_barrier
	s_and_saveexec_b64 s[48:49], s[46:47]
	s_cbranch_execz .LBB553_206
; %bb.205:
	v_add_u32_e32 v1, -1, v0
	v_lshrrev_b32_e32 v2, 5, v1
	v_add_lshl_u32 v1, v2, v1, 3
	ds_read_u8 v2, v1 offset:4
	ds_read_b32 v1, v1
	s_waitcnt lgkmcnt(1)
	v_cmp_eq_u16_e64 s[46:47], 0, v2
	s_nop 1
	v_cndmask_b32_e64 v2, 0, v4, s[46:47]
	s_waitcnt lgkmcnt(0)
	v_add_u32_e32 v58, v2, v1
.LBB553_206:
	s_or_b64 exec, exec, s[48:49]
	v_and_b32_e32 v3, 0xff, v11
	v_mov_b32_e32 v2, 0
	v_cmp_eq_u64_e64 s[46:47], 0, v[2:3]
	s_nop 1
	v_cndmask_b32_e64 v1, 0, v58, s[46:47]
	v_add_u32_e32 v59, v1, v10
	v_cndmask_b32_e32 v1, 0, v59, vcc
	v_add_u32_e32 v60, v1, v12
	v_cndmask_b32_e64 v1, 0, v60, s[2:3]
	v_add_u32_e32 v61, v1, v14
	v_cndmask_b32_e64 v1, 0, v61, s[4:5]
	;; [unrolled: 2-line block ×20, first 2 shown]
	s_and_saveexec_b64 s[2:3], s[44:45]
	s_cbranch_execz .LBB553_208
; %bb.207:
	ds_read_u8 v3, v2 offset:2100
	ds_read_b32 v5, v2 offset:2096
	s_add_u32 s4, s56, 0x400
	s_addc_u32 s5, s57, 0
	v_mov_b32_e32 v6, 2
	s_waitcnt lgkmcnt(1)
	v_cmp_eq_u16_e32 vcc, 0, v3
	v_mov_b32_e32 v7, v2
	s_nop 0
	v_cndmask_b32_e32 v4, 0, v4, vcc
	s_waitcnt lgkmcnt(0)
	v_add_u32_e32 v4, v4, v5
	v_and_b32_e32 v5, 0xffff, v3
	v_mov_b64_e32 v[2:3], s[4:5]
	;;#ASMSTART
	global_store_dwordx4 v[2:3], v[4:7] off sc1	
s_waitcnt vmcnt(0)
	;;#ASMEND
.LBB553_208:
	s_or_b64 exec, exec, s[2:3]
	v_add_u32_e32 v80, v1, v52
.LBB553_209:
	s_add_u32 s2, s54, s64
	s_addc_u32 s3, s55, s65
	s_add_u32 s2, s2, s66
	s_addc_u32 s3, s3, s67
	s_and_b64 vcc, exec, s[0:1]
	s_cbranch_vccz .LBB553_255
; %bb.210:
	s_movk_i32 s0, 0x5c
	v_mul_i32_i24_e32 v26, 0xffffffa8, v0
	v_mul_u32_u24_e32 v1, 0x5c, v0
	v_mad_u32_u24 v2, v0, s0, v26
	s_barrier
	ds_write2_b32 v1, v58, v59 offset1:1
	ds_write2_b32 v1, v60, v61 offset0:2 offset1:3
	ds_write2_b32 v1, v62, v63 offset0:4 offset1:5
	;; [unrolled: 1-line block ×10, first 2 shown]
	ds_write_b32 v1, v80 offset:88
	s_waitcnt lgkmcnt(0)
	s_barrier
	ds_read2st64_b32 v[24:25], v2 offset0:4 offset1:8
	ds_read2st64_b32 v[22:23], v2 offset0:12 offset1:16
	;; [unrolled: 1-line block ×11, first 2 shown]
	s_add_i32 s33, s33, s58
	v_mov_b32_e32 v55, 0
	v_lshl_add_u64 v[4:5], s[2:3], 0, v[54:55]
	v_cmp_gt_u32_e32 vcc, s33, v0
	s_and_saveexec_b64 s[0:1], vcc
	s_cbranch_execz .LBB553_212
; %bb.211:
	v_add_u32_e32 v1, v1, v26
	ds_read_b32 v1, v1
	s_waitcnt lgkmcnt(0)
	flat_store_dword v[4:5], v1
.LBB553_212:
	s_or_b64 exec, exec, s[0:1]
	v_or_b32_e32 v1, 0x100, v0
	v_cmp_gt_u32_e32 vcc, s33, v1
	s_and_saveexec_b64 s[0:1], vcc
	s_cbranch_execz .LBB553_214
; %bb.213:
	s_waitcnt lgkmcnt(0)
	flat_store_dword v[4:5], v24 offset:1024
.LBB553_214:
	s_or_b64 exec, exec, s[0:1]
	v_or_b32_e32 v1, 0x200, v0
	v_cmp_gt_u32_e32 vcc, s33, v1
	s_and_saveexec_b64 s[0:1], vcc
	s_cbranch_execz .LBB553_216
; %bb.215:
	s_waitcnt lgkmcnt(0)
	flat_store_dword v[4:5], v25 offset:2048
.LBB553_216:
	;; [unrolled: 9-line block ×3, first 2 shown]
	s_or_b64 exec, exec, s[0:1]
	v_or_b32_e32 v1, 0x400, v0
	v_cmp_gt_u32_e32 vcc, s33, v1
	s_and_saveexec_b64 s[0:1], vcc
	s_cbranch_execz .LBB553_220
; %bb.219:
	s_waitcnt lgkmcnt(0)
	v_add_co_u32_e32 v24, vcc, 0x1000, v4
	s_nop 1
	v_addc_co_u32_e32 v25, vcc, 0, v5, vcc
	flat_store_dword v[24:25], v23
.LBB553_220:
	s_or_b64 exec, exec, s[0:1]
	v_or_b32_e32 v1, 0x500, v0
	v_cmp_gt_u32_e32 vcc, s33, v1
	s_and_saveexec_b64 s[0:1], vcc
	s_cbranch_execz .LBB553_222
; %bb.221:
	s_waitcnt lgkmcnt(0)
	v_add_co_u32_e32 v22, vcc, 0x1000, v4
	s_nop 1
	v_addc_co_u32_e32 v23, vcc, 0, v5, vcc
	flat_store_dword v[22:23], v20 offset:1024
.LBB553_222:
	s_or_b64 exec, exec, s[0:1]
	v_or_b32_e32 v1, 0x600, v0
	v_cmp_gt_u32_e32 vcc, s33, v1
	s_and_saveexec_b64 s[0:1], vcc
	s_cbranch_execz .LBB553_224
; %bb.223:
	s_waitcnt lgkmcnt(0)
	v_add_co_u32_e32 v22, vcc, 0x1000, v4
	s_nop 1
	v_addc_co_u32_e32 v23, vcc, 0, v5, vcc
	flat_store_dword v[22:23], v21 offset:2048
.LBB553_224:
	s_or_b64 exec, exec, s[0:1]
	v_or_b32_e32 v1, 0x700, v0
	v_cmp_gt_u32_e32 vcc, s33, v1
	s_and_saveexec_b64 s[0:1], vcc
	s_cbranch_execz .LBB553_226
; %bb.225:
	s_waitcnt lgkmcnt(0)
	v_add_co_u32_e32 v20, vcc, 0x1000, v4
	s_nop 1
	v_addc_co_u32_e32 v21, vcc, 0, v5, vcc
	flat_store_dword v[20:21], v18 offset:3072
.LBB553_226:
	s_or_b64 exec, exec, s[0:1]
	v_or_b32_e32 v1, 0x800, v0
	v_cmp_gt_u32_e32 vcc, s33, v1
	s_and_saveexec_b64 s[0:1], vcc
	s_cbranch_execz .LBB553_228
; %bb.227:
	s_waitcnt lgkmcnt(0)
	v_add_co_u32_e32 v20, vcc, 0x2000, v4
	s_nop 1
	v_addc_co_u32_e32 v21, vcc, 0, v5, vcc
	flat_store_dword v[20:21], v19
.LBB553_228:
	s_or_b64 exec, exec, s[0:1]
	v_or_b32_e32 v1, 0x900, v0
	v_cmp_gt_u32_e32 vcc, s33, v1
	s_and_saveexec_b64 s[0:1], vcc
	s_cbranch_execz .LBB553_230
; %bb.229:
	s_waitcnt lgkmcnt(0)
	v_add_co_u32_e32 v18, vcc, 0x2000, v4
	s_nop 1
	v_addc_co_u32_e32 v19, vcc, 0, v5, vcc
	flat_store_dword v[18:19], v16 offset:1024
.LBB553_230:
	s_or_b64 exec, exec, s[0:1]
	v_or_b32_e32 v1, 0xa00, v0
	v_cmp_gt_u32_e32 vcc, s33, v1
	s_and_saveexec_b64 s[0:1], vcc
	s_cbranch_execz .LBB553_232
; %bb.231:
	s_waitcnt lgkmcnt(0)
	v_add_co_u32_e32 v18, vcc, 0x2000, v4
	s_nop 1
	v_addc_co_u32_e32 v19, vcc, 0, v5, vcc
	flat_store_dword v[18:19], v17 offset:2048
.LBB553_232:
	s_or_b64 exec, exec, s[0:1]
	v_or_b32_e32 v1, 0xb00, v0
	v_cmp_gt_u32_e32 vcc, s33, v1
	s_and_saveexec_b64 s[0:1], vcc
	s_cbranch_execz .LBB553_234
; %bb.233:
	s_waitcnt lgkmcnt(0)
	v_add_co_u32_e32 v16, vcc, 0x2000, v4
	s_nop 1
	v_addc_co_u32_e32 v17, vcc, 0, v5, vcc
	flat_store_dword v[16:17], v14 offset:3072
.LBB553_234:
	;; [unrolled: 48-line block ×4, first 2 shown]
	s_or_b64 exec, exec, s[0:1]
	v_or_b32_e32 v1, 0x1400, v0
	v_cmp_gt_u32_e32 vcc, s33, v1
	s_and_saveexec_b64 s[0:1], vcc
	s_cbranch_execz .LBB553_252
; %bb.251:
	s_waitcnt lgkmcnt(0)
	v_add_co_u32_e32 v8, vcc, 0x5000, v4
	s_nop 1
	v_addc_co_u32_e32 v9, vcc, 0, v5, vcc
	flat_store_dword v[8:9], v7
.LBB553_252:
	s_or_b64 exec, exec, s[0:1]
	v_or_b32_e32 v1, 0x1500, v0
	v_cmp_gt_u32_e32 vcc, s33, v1
	s_and_saveexec_b64 s[0:1], vcc
	s_cbranch_execz .LBB553_254
; %bb.253:
	v_add_co_u32_e32 v4, vcc, 0x5000, v4
	s_nop 1
	v_addc_co_u32_e32 v5, vcc, 0, v5, vcc
	s_waitcnt lgkmcnt(0)
	flat_store_dword v[4:5], v2 offset:1024
.LBB553_254:
	s_or_b64 exec, exec, s[0:1]
	s_waitcnt lgkmcnt(0)
	v_or_b32_e32 v2, 0x1600, v0
	v_mov_b32_e32 v1, v55
	v_cmp_gt_u32_e64 s[0:1], s33, v2
	s_branch .LBB553_257
.LBB553_255:
	s_mov_b64 s[0:1], 0
                                        ; implicit-def: $vgpr3
	s_cbranch_execz .LBB553_257
; %bb.256:
	v_mul_u32_u24_e32 v1, 0x5c, v0
	s_barrier
	s_movk_i32 s4, 0x5c
	ds_write2_b32 v1, v58, v59 offset1:1
	ds_write2_b32 v1, v60, v61 offset0:2 offset1:3
	ds_write2_b32 v1, v62, v63 offset0:4 offset1:5
	;; [unrolled: 1-line block ×10, first 2 shown]
	ds_write_b32 v1, v80 offset:88
	v_mov_b32_e32 v1, 0
	v_mul_i32_i24_e32 v2, 0xffffffa8, v0
	v_mad_u32_u24 v2, v0, s4, v2
	v_mov_b32_e32 v55, v1
	s_waitcnt lgkmcnt(0)
	s_barrier
	ds_read2st64_b32 v[4:5], v2 offset1:4
	ds_read2st64_b32 v[6:7], v2 offset0:8 offset1:12
	ds_read2st64_b32 v[8:9], v2 offset0:16 offset1:20
	;; [unrolled: 1-line block ×10, first 2 shown]
	ds_read_b32 v3, v2 offset:22528
	v_lshl_add_u64 v[26:27], s[2:3], 0, v[54:55]
	s_movk_i32 s4, 0x1000
	s_waitcnt lgkmcnt(0)
	flat_store_dword v[26:27], v4
	flat_store_dword v[26:27], v5 offset:1024
	flat_store_dword v[26:27], v6 offset:2048
	;; [unrolled: 1-line block ×3, first 2 shown]
	v_add_co_u32_e32 v4, vcc, s4, v26
	s_movk_i32 s4, 0x2000
	s_nop 0
	v_addc_co_u32_e32 v5, vcc, 0, v27, vcc
	flat_store_dword v[4:5], v8
	flat_store_dword v[4:5], v9 offset:1024
	flat_store_dword v[4:5], v10 offset:2048
	;; [unrolled: 1-line block ×3, first 2 shown]
	v_add_co_u32_e32 v4, vcc, s4, v26
	s_movk_i32 s4, 0x3000
	s_nop 0
	v_addc_co_u32_e32 v5, vcc, 0, v27, vcc
	flat_store_dword v[4:5], v12
	flat_store_dword v[4:5], v13 offset:1024
	flat_store_dword v[4:5], v14 offset:2048
	;; [unrolled: 1-line block ×3, first 2 shown]
	v_add_co_u32_e32 v4, vcc, s4, v26
	s_or_b64 s[0:1], s[0:1], exec
	s_nop 0
	v_addc_co_u32_e32 v5, vcc, 0, v27, vcc
	flat_store_dword v[4:5], v16
	flat_store_dword v[4:5], v17 offset:1024
	flat_store_dword v[4:5], v18 offset:2048
	flat_store_dword v[4:5], v19 offset:3072
	v_add_co_u32_e32 v4, vcc, 0x4000, v26
	s_nop 1
	v_addc_co_u32_e32 v5, vcc, 0, v27, vcc
	flat_store_dword v[4:5], v20
	flat_store_dword v[4:5], v21 offset:1024
	flat_store_dword v[4:5], v22 offset:2048
	;; [unrolled: 1-line block ×3, first 2 shown]
	v_add_co_u32_e32 v4, vcc, 0x5000, v26
	s_nop 1
	v_addc_co_u32_e32 v5, vcc, 0, v27, vcc
	flat_store_dword v[4:5], v24
	flat_store_dword v[4:5], v25 offset:1024
.LBB553_257:
	s_and_saveexec_b64 s[4:5], s[0:1]
	s_cbranch_execz .LBB553_259
; %bb.258:
	v_lshl_add_u64 v[0:1], v[0:1], 2, s[2:3]
	v_add_co_u32_e32 v0, vcc, 0x5000, v0
	s_nop 1
	v_addc_co_u32_e32 v1, vcc, 0, v1, vcc
	flat_store_dword v[0:1], v3 offset:2048
	s_endpgm
.LBB553_259:
	s_endpgm
	.section	.rodata,"a",@progbits
	.p2align	6, 0x0
	.amdhsa_kernel _ZN7rocprim17ROCPRIM_400000_NS6detail17trampoline_kernelINS0_14default_configENS1_27scan_by_key_config_selectorIiiEEZZNS1_16scan_by_key_implILNS1_25lookback_scan_determinismE0ELb1ES3_N6thrust23THRUST_200600_302600_NS6detail15normal_iteratorINS9_10device_ptrIiEEEESE_SE_iNS9_4plusIvEENS9_8equal_toIiEEiEE10hipError_tPvRmT2_T3_T4_T5_mT6_T7_P12ihipStream_tbENKUlT_T0_E_clISt17integral_constantIbLb1EESY_IbLb0EEEEDaSU_SV_EUlSU_E_NS1_11comp_targetILNS1_3genE5ELNS1_11target_archE942ELNS1_3gpuE9ELNS1_3repE0EEENS1_30default_config_static_selectorELNS0_4arch9wavefront6targetE1EEEvT1_
		.amdhsa_group_segment_fixed_size 25600
		.amdhsa_private_segment_fixed_size 0
		.amdhsa_kernarg_size 112
		.amdhsa_user_sgpr_count 2
		.amdhsa_user_sgpr_dispatch_ptr 0
		.amdhsa_user_sgpr_queue_ptr 0
		.amdhsa_user_sgpr_kernarg_segment_ptr 1
		.amdhsa_user_sgpr_dispatch_id 0
		.amdhsa_user_sgpr_kernarg_preload_length 0
		.amdhsa_user_sgpr_kernarg_preload_offset 0
		.amdhsa_user_sgpr_private_segment_size 0
		.amdhsa_uses_dynamic_stack 0
		.amdhsa_enable_private_segment 0
		.amdhsa_system_sgpr_workgroup_id_x 1
		.amdhsa_system_sgpr_workgroup_id_y 0
		.amdhsa_system_sgpr_workgroup_id_z 0
		.amdhsa_system_sgpr_workgroup_info 0
		.amdhsa_system_vgpr_workitem_id 0
		.amdhsa_next_free_vgpr 81
		.amdhsa_next_free_sgpr 80
		.amdhsa_accum_offset 84
		.amdhsa_reserve_vcc 1
		.amdhsa_float_round_mode_32 0
		.amdhsa_float_round_mode_16_64 0
		.amdhsa_float_denorm_mode_32 3
		.amdhsa_float_denorm_mode_16_64 3
		.amdhsa_dx10_clamp 1
		.amdhsa_ieee_mode 1
		.amdhsa_fp16_overflow 0
		.amdhsa_tg_split 0
		.amdhsa_exception_fp_ieee_invalid_op 0
		.amdhsa_exception_fp_denorm_src 0
		.amdhsa_exception_fp_ieee_div_zero 0
		.amdhsa_exception_fp_ieee_overflow 0
		.amdhsa_exception_fp_ieee_underflow 0
		.amdhsa_exception_fp_ieee_inexact 0
		.amdhsa_exception_int_div_zero 0
	.end_amdhsa_kernel
	.section	.text._ZN7rocprim17ROCPRIM_400000_NS6detail17trampoline_kernelINS0_14default_configENS1_27scan_by_key_config_selectorIiiEEZZNS1_16scan_by_key_implILNS1_25lookback_scan_determinismE0ELb1ES3_N6thrust23THRUST_200600_302600_NS6detail15normal_iteratorINS9_10device_ptrIiEEEESE_SE_iNS9_4plusIvEENS9_8equal_toIiEEiEE10hipError_tPvRmT2_T3_T4_T5_mT6_T7_P12ihipStream_tbENKUlT_T0_E_clISt17integral_constantIbLb1EESY_IbLb0EEEEDaSU_SV_EUlSU_E_NS1_11comp_targetILNS1_3genE5ELNS1_11target_archE942ELNS1_3gpuE9ELNS1_3repE0EEENS1_30default_config_static_selectorELNS0_4arch9wavefront6targetE1EEEvT1_,"axG",@progbits,_ZN7rocprim17ROCPRIM_400000_NS6detail17trampoline_kernelINS0_14default_configENS1_27scan_by_key_config_selectorIiiEEZZNS1_16scan_by_key_implILNS1_25lookback_scan_determinismE0ELb1ES3_N6thrust23THRUST_200600_302600_NS6detail15normal_iteratorINS9_10device_ptrIiEEEESE_SE_iNS9_4plusIvEENS9_8equal_toIiEEiEE10hipError_tPvRmT2_T3_T4_T5_mT6_T7_P12ihipStream_tbENKUlT_T0_E_clISt17integral_constantIbLb1EESY_IbLb0EEEEDaSU_SV_EUlSU_E_NS1_11comp_targetILNS1_3genE5ELNS1_11target_archE942ELNS1_3gpuE9ELNS1_3repE0EEENS1_30default_config_static_selectorELNS0_4arch9wavefront6targetE1EEEvT1_,comdat
.Lfunc_end553:
	.size	_ZN7rocprim17ROCPRIM_400000_NS6detail17trampoline_kernelINS0_14default_configENS1_27scan_by_key_config_selectorIiiEEZZNS1_16scan_by_key_implILNS1_25lookback_scan_determinismE0ELb1ES3_N6thrust23THRUST_200600_302600_NS6detail15normal_iteratorINS9_10device_ptrIiEEEESE_SE_iNS9_4plusIvEENS9_8equal_toIiEEiEE10hipError_tPvRmT2_T3_T4_T5_mT6_T7_P12ihipStream_tbENKUlT_T0_E_clISt17integral_constantIbLb1EESY_IbLb0EEEEDaSU_SV_EUlSU_E_NS1_11comp_targetILNS1_3genE5ELNS1_11target_archE942ELNS1_3gpuE9ELNS1_3repE0EEENS1_30default_config_static_selectorELNS0_4arch9wavefront6targetE1EEEvT1_, .Lfunc_end553-_ZN7rocprim17ROCPRIM_400000_NS6detail17trampoline_kernelINS0_14default_configENS1_27scan_by_key_config_selectorIiiEEZZNS1_16scan_by_key_implILNS1_25lookback_scan_determinismE0ELb1ES3_N6thrust23THRUST_200600_302600_NS6detail15normal_iteratorINS9_10device_ptrIiEEEESE_SE_iNS9_4plusIvEENS9_8equal_toIiEEiEE10hipError_tPvRmT2_T3_T4_T5_mT6_T7_P12ihipStream_tbENKUlT_T0_E_clISt17integral_constantIbLb1EESY_IbLb0EEEEDaSU_SV_EUlSU_E_NS1_11comp_targetILNS1_3genE5ELNS1_11target_archE942ELNS1_3gpuE9ELNS1_3repE0EEENS1_30default_config_static_selectorELNS0_4arch9wavefront6targetE1EEEvT1_
                                        ; -- End function
	.section	.AMDGPU.csdata,"",@progbits
; Kernel info:
; codeLenInByte = 15836
; NumSgprs: 86
; NumVgprs: 81
; NumAgprs: 0
; TotalNumVgprs: 81
; ScratchSize: 0
; MemoryBound: 0
; FloatMode: 240
; IeeeMode: 1
; LDSByteSize: 25600 bytes/workgroup (compile time only)
; SGPRBlocks: 10
; VGPRBlocks: 10
; NumSGPRsForWavesPerEU: 86
; NumVGPRsForWavesPerEU: 81
; AccumOffset: 84
; Occupancy: 2
; WaveLimiterHint : 1
; COMPUTE_PGM_RSRC2:SCRATCH_EN: 0
; COMPUTE_PGM_RSRC2:USER_SGPR: 2
; COMPUTE_PGM_RSRC2:TRAP_HANDLER: 0
; COMPUTE_PGM_RSRC2:TGID_X_EN: 1
; COMPUTE_PGM_RSRC2:TGID_Y_EN: 0
; COMPUTE_PGM_RSRC2:TGID_Z_EN: 0
; COMPUTE_PGM_RSRC2:TIDIG_COMP_CNT: 0
; COMPUTE_PGM_RSRC3_GFX90A:ACCUM_OFFSET: 20
; COMPUTE_PGM_RSRC3_GFX90A:TG_SPLIT: 0
	.section	.text._ZN7rocprim17ROCPRIM_400000_NS6detail17trampoline_kernelINS0_14default_configENS1_27scan_by_key_config_selectorIiiEEZZNS1_16scan_by_key_implILNS1_25lookback_scan_determinismE0ELb1ES3_N6thrust23THRUST_200600_302600_NS6detail15normal_iteratorINS9_10device_ptrIiEEEESE_SE_iNS9_4plusIvEENS9_8equal_toIiEEiEE10hipError_tPvRmT2_T3_T4_T5_mT6_T7_P12ihipStream_tbENKUlT_T0_E_clISt17integral_constantIbLb1EESY_IbLb0EEEEDaSU_SV_EUlSU_E_NS1_11comp_targetILNS1_3genE4ELNS1_11target_archE910ELNS1_3gpuE8ELNS1_3repE0EEENS1_30default_config_static_selectorELNS0_4arch9wavefront6targetE1EEEvT1_,"axG",@progbits,_ZN7rocprim17ROCPRIM_400000_NS6detail17trampoline_kernelINS0_14default_configENS1_27scan_by_key_config_selectorIiiEEZZNS1_16scan_by_key_implILNS1_25lookback_scan_determinismE0ELb1ES3_N6thrust23THRUST_200600_302600_NS6detail15normal_iteratorINS9_10device_ptrIiEEEESE_SE_iNS9_4plusIvEENS9_8equal_toIiEEiEE10hipError_tPvRmT2_T3_T4_T5_mT6_T7_P12ihipStream_tbENKUlT_T0_E_clISt17integral_constantIbLb1EESY_IbLb0EEEEDaSU_SV_EUlSU_E_NS1_11comp_targetILNS1_3genE4ELNS1_11target_archE910ELNS1_3gpuE8ELNS1_3repE0EEENS1_30default_config_static_selectorELNS0_4arch9wavefront6targetE1EEEvT1_,comdat
	.protected	_ZN7rocprim17ROCPRIM_400000_NS6detail17trampoline_kernelINS0_14default_configENS1_27scan_by_key_config_selectorIiiEEZZNS1_16scan_by_key_implILNS1_25lookback_scan_determinismE0ELb1ES3_N6thrust23THRUST_200600_302600_NS6detail15normal_iteratorINS9_10device_ptrIiEEEESE_SE_iNS9_4plusIvEENS9_8equal_toIiEEiEE10hipError_tPvRmT2_T3_T4_T5_mT6_T7_P12ihipStream_tbENKUlT_T0_E_clISt17integral_constantIbLb1EESY_IbLb0EEEEDaSU_SV_EUlSU_E_NS1_11comp_targetILNS1_3genE4ELNS1_11target_archE910ELNS1_3gpuE8ELNS1_3repE0EEENS1_30default_config_static_selectorELNS0_4arch9wavefront6targetE1EEEvT1_ ; -- Begin function _ZN7rocprim17ROCPRIM_400000_NS6detail17trampoline_kernelINS0_14default_configENS1_27scan_by_key_config_selectorIiiEEZZNS1_16scan_by_key_implILNS1_25lookback_scan_determinismE0ELb1ES3_N6thrust23THRUST_200600_302600_NS6detail15normal_iteratorINS9_10device_ptrIiEEEESE_SE_iNS9_4plusIvEENS9_8equal_toIiEEiEE10hipError_tPvRmT2_T3_T4_T5_mT6_T7_P12ihipStream_tbENKUlT_T0_E_clISt17integral_constantIbLb1EESY_IbLb0EEEEDaSU_SV_EUlSU_E_NS1_11comp_targetILNS1_3genE4ELNS1_11target_archE910ELNS1_3gpuE8ELNS1_3repE0EEENS1_30default_config_static_selectorELNS0_4arch9wavefront6targetE1EEEvT1_
	.globl	_ZN7rocprim17ROCPRIM_400000_NS6detail17trampoline_kernelINS0_14default_configENS1_27scan_by_key_config_selectorIiiEEZZNS1_16scan_by_key_implILNS1_25lookback_scan_determinismE0ELb1ES3_N6thrust23THRUST_200600_302600_NS6detail15normal_iteratorINS9_10device_ptrIiEEEESE_SE_iNS9_4plusIvEENS9_8equal_toIiEEiEE10hipError_tPvRmT2_T3_T4_T5_mT6_T7_P12ihipStream_tbENKUlT_T0_E_clISt17integral_constantIbLb1EESY_IbLb0EEEEDaSU_SV_EUlSU_E_NS1_11comp_targetILNS1_3genE4ELNS1_11target_archE910ELNS1_3gpuE8ELNS1_3repE0EEENS1_30default_config_static_selectorELNS0_4arch9wavefront6targetE1EEEvT1_
	.p2align	8
	.type	_ZN7rocprim17ROCPRIM_400000_NS6detail17trampoline_kernelINS0_14default_configENS1_27scan_by_key_config_selectorIiiEEZZNS1_16scan_by_key_implILNS1_25lookback_scan_determinismE0ELb1ES3_N6thrust23THRUST_200600_302600_NS6detail15normal_iteratorINS9_10device_ptrIiEEEESE_SE_iNS9_4plusIvEENS9_8equal_toIiEEiEE10hipError_tPvRmT2_T3_T4_T5_mT6_T7_P12ihipStream_tbENKUlT_T0_E_clISt17integral_constantIbLb1EESY_IbLb0EEEEDaSU_SV_EUlSU_E_NS1_11comp_targetILNS1_3genE4ELNS1_11target_archE910ELNS1_3gpuE8ELNS1_3repE0EEENS1_30default_config_static_selectorELNS0_4arch9wavefront6targetE1EEEvT1_,@function
_ZN7rocprim17ROCPRIM_400000_NS6detail17trampoline_kernelINS0_14default_configENS1_27scan_by_key_config_selectorIiiEEZZNS1_16scan_by_key_implILNS1_25lookback_scan_determinismE0ELb1ES3_N6thrust23THRUST_200600_302600_NS6detail15normal_iteratorINS9_10device_ptrIiEEEESE_SE_iNS9_4plusIvEENS9_8equal_toIiEEiEE10hipError_tPvRmT2_T3_T4_T5_mT6_T7_P12ihipStream_tbENKUlT_T0_E_clISt17integral_constantIbLb1EESY_IbLb0EEEEDaSU_SV_EUlSU_E_NS1_11comp_targetILNS1_3genE4ELNS1_11target_archE910ELNS1_3gpuE8ELNS1_3repE0EEENS1_30default_config_static_selectorELNS0_4arch9wavefront6targetE1EEEvT1_: ; @_ZN7rocprim17ROCPRIM_400000_NS6detail17trampoline_kernelINS0_14default_configENS1_27scan_by_key_config_selectorIiiEEZZNS1_16scan_by_key_implILNS1_25lookback_scan_determinismE0ELb1ES3_N6thrust23THRUST_200600_302600_NS6detail15normal_iteratorINS9_10device_ptrIiEEEESE_SE_iNS9_4plusIvEENS9_8equal_toIiEEiEE10hipError_tPvRmT2_T3_T4_T5_mT6_T7_P12ihipStream_tbENKUlT_T0_E_clISt17integral_constantIbLb1EESY_IbLb0EEEEDaSU_SV_EUlSU_E_NS1_11comp_targetILNS1_3genE4ELNS1_11target_archE910ELNS1_3gpuE8ELNS1_3repE0EEENS1_30default_config_static_selectorELNS0_4arch9wavefront6targetE1EEEvT1_
; %bb.0:
	.section	.rodata,"a",@progbits
	.p2align	6, 0x0
	.amdhsa_kernel _ZN7rocprim17ROCPRIM_400000_NS6detail17trampoline_kernelINS0_14default_configENS1_27scan_by_key_config_selectorIiiEEZZNS1_16scan_by_key_implILNS1_25lookback_scan_determinismE0ELb1ES3_N6thrust23THRUST_200600_302600_NS6detail15normal_iteratorINS9_10device_ptrIiEEEESE_SE_iNS9_4plusIvEENS9_8equal_toIiEEiEE10hipError_tPvRmT2_T3_T4_T5_mT6_T7_P12ihipStream_tbENKUlT_T0_E_clISt17integral_constantIbLb1EESY_IbLb0EEEEDaSU_SV_EUlSU_E_NS1_11comp_targetILNS1_3genE4ELNS1_11target_archE910ELNS1_3gpuE8ELNS1_3repE0EEENS1_30default_config_static_selectorELNS0_4arch9wavefront6targetE1EEEvT1_
		.amdhsa_group_segment_fixed_size 0
		.amdhsa_private_segment_fixed_size 0
		.amdhsa_kernarg_size 112
		.amdhsa_user_sgpr_count 2
		.amdhsa_user_sgpr_dispatch_ptr 0
		.amdhsa_user_sgpr_queue_ptr 0
		.amdhsa_user_sgpr_kernarg_segment_ptr 1
		.amdhsa_user_sgpr_dispatch_id 0
		.amdhsa_user_sgpr_kernarg_preload_length 0
		.amdhsa_user_sgpr_kernarg_preload_offset 0
		.amdhsa_user_sgpr_private_segment_size 0
		.amdhsa_uses_dynamic_stack 0
		.amdhsa_enable_private_segment 0
		.amdhsa_system_sgpr_workgroup_id_x 1
		.amdhsa_system_sgpr_workgroup_id_y 0
		.amdhsa_system_sgpr_workgroup_id_z 0
		.amdhsa_system_sgpr_workgroup_info 0
		.amdhsa_system_vgpr_workitem_id 0
		.amdhsa_next_free_vgpr 1
		.amdhsa_next_free_sgpr 0
		.amdhsa_accum_offset 4
		.amdhsa_reserve_vcc 0
		.amdhsa_float_round_mode_32 0
		.amdhsa_float_round_mode_16_64 0
		.amdhsa_float_denorm_mode_32 3
		.amdhsa_float_denorm_mode_16_64 3
		.amdhsa_dx10_clamp 1
		.amdhsa_ieee_mode 1
		.amdhsa_fp16_overflow 0
		.amdhsa_tg_split 0
		.amdhsa_exception_fp_ieee_invalid_op 0
		.amdhsa_exception_fp_denorm_src 0
		.amdhsa_exception_fp_ieee_div_zero 0
		.amdhsa_exception_fp_ieee_overflow 0
		.amdhsa_exception_fp_ieee_underflow 0
		.amdhsa_exception_fp_ieee_inexact 0
		.amdhsa_exception_int_div_zero 0
	.end_amdhsa_kernel
	.section	.text._ZN7rocprim17ROCPRIM_400000_NS6detail17trampoline_kernelINS0_14default_configENS1_27scan_by_key_config_selectorIiiEEZZNS1_16scan_by_key_implILNS1_25lookback_scan_determinismE0ELb1ES3_N6thrust23THRUST_200600_302600_NS6detail15normal_iteratorINS9_10device_ptrIiEEEESE_SE_iNS9_4plusIvEENS9_8equal_toIiEEiEE10hipError_tPvRmT2_T3_T4_T5_mT6_T7_P12ihipStream_tbENKUlT_T0_E_clISt17integral_constantIbLb1EESY_IbLb0EEEEDaSU_SV_EUlSU_E_NS1_11comp_targetILNS1_3genE4ELNS1_11target_archE910ELNS1_3gpuE8ELNS1_3repE0EEENS1_30default_config_static_selectorELNS0_4arch9wavefront6targetE1EEEvT1_,"axG",@progbits,_ZN7rocprim17ROCPRIM_400000_NS6detail17trampoline_kernelINS0_14default_configENS1_27scan_by_key_config_selectorIiiEEZZNS1_16scan_by_key_implILNS1_25lookback_scan_determinismE0ELb1ES3_N6thrust23THRUST_200600_302600_NS6detail15normal_iteratorINS9_10device_ptrIiEEEESE_SE_iNS9_4plusIvEENS9_8equal_toIiEEiEE10hipError_tPvRmT2_T3_T4_T5_mT6_T7_P12ihipStream_tbENKUlT_T0_E_clISt17integral_constantIbLb1EESY_IbLb0EEEEDaSU_SV_EUlSU_E_NS1_11comp_targetILNS1_3genE4ELNS1_11target_archE910ELNS1_3gpuE8ELNS1_3repE0EEENS1_30default_config_static_selectorELNS0_4arch9wavefront6targetE1EEEvT1_,comdat
.Lfunc_end554:
	.size	_ZN7rocprim17ROCPRIM_400000_NS6detail17trampoline_kernelINS0_14default_configENS1_27scan_by_key_config_selectorIiiEEZZNS1_16scan_by_key_implILNS1_25lookback_scan_determinismE0ELb1ES3_N6thrust23THRUST_200600_302600_NS6detail15normal_iteratorINS9_10device_ptrIiEEEESE_SE_iNS9_4plusIvEENS9_8equal_toIiEEiEE10hipError_tPvRmT2_T3_T4_T5_mT6_T7_P12ihipStream_tbENKUlT_T0_E_clISt17integral_constantIbLb1EESY_IbLb0EEEEDaSU_SV_EUlSU_E_NS1_11comp_targetILNS1_3genE4ELNS1_11target_archE910ELNS1_3gpuE8ELNS1_3repE0EEENS1_30default_config_static_selectorELNS0_4arch9wavefront6targetE1EEEvT1_, .Lfunc_end554-_ZN7rocprim17ROCPRIM_400000_NS6detail17trampoline_kernelINS0_14default_configENS1_27scan_by_key_config_selectorIiiEEZZNS1_16scan_by_key_implILNS1_25lookback_scan_determinismE0ELb1ES3_N6thrust23THRUST_200600_302600_NS6detail15normal_iteratorINS9_10device_ptrIiEEEESE_SE_iNS9_4plusIvEENS9_8equal_toIiEEiEE10hipError_tPvRmT2_T3_T4_T5_mT6_T7_P12ihipStream_tbENKUlT_T0_E_clISt17integral_constantIbLb1EESY_IbLb0EEEEDaSU_SV_EUlSU_E_NS1_11comp_targetILNS1_3genE4ELNS1_11target_archE910ELNS1_3gpuE8ELNS1_3repE0EEENS1_30default_config_static_selectorELNS0_4arch9wavefront6targetE1EEEvT1_
                                        ; -- End function
	.section	.AMDGPU.csdata,"",@progbits
; Kernel info:
; codeLenInByte = 0
; NumSgprs: 6
; NumVgprs: 0
; NumAgprs: 0
; TotalNumVgprs: 0
; ScratchSize: 0
; MemoryBound: 0
; FloatMode: 240
; IeeeMode: 1
; LDSByteSize: 0 bytes/workgroup (compile time only)
; SGPRBlocks: 0
; VGPRBlocks: 0
; NumSGPRsForWavesPerEU: 6
; NumVGPRsForWavesPerEU: 1
; AccumOffset: 4
; Occupancy: 8
; WaveLimiterHint : 0
; COMPUTE_PGM_RSRC2:SCRATCH_EN: 0
; COMPUTE_PGM_RSRC2:USER_SGPR: 2
; COMPUTE_PGM_RSRC2:TRAP_HANDLER: 0
; COMPUTE_PGM_RSRC2:TGID_X_EN: 1
; COMPUTE_PGM_RSRC2:TGID_Y_EN: 0
; COMPUTE_PGM_RSRC2:TGID_Z_EN: 0
; COMPUTE_PGM_RSRC2:TIDIG_COMP_CNT: 0
; COMPUTE_PGM_RSRC3_GFX90A:ACCUM_OFFSET: 0
; COMPUTE_PGM_RSRC3_GFX90A:TG_SPLIT: 0
	.section	.text._ZN7rocprim17ROCPRIM_400000_NS6detail17trampoline_kernelINS0_14default_configENS1_27scan_by_key_config_selectorIiiEEZZNS1_16scan_by_key_implILNS1_25lookback_scan_determinismE0ELb1ES3_N6thrust23THRUST_200600_302600_NS6detail15normal_iteratorINS9_10device_ptrIiEEEESE_SE_iNS9_4plusIvEENS9_8equal_toIiEEiEE10hipError_tPvRmT2_T3_T4_T5_mT6_T7_P12ihipStream_tbENKUlT_T0_E_clISt17integral_constantIbLb1EESY_IbLb0EEEEDaSU_SV_EUlSU_E_NS1_11comp_targetILNS1_3genE3ELNS1_11target_archE908ELNS1_3gpuE7ELNS1_3repE0EEENS1_30default_config_static_selectorELNS0_4arch9wavefront6targetE1EEEvT1_,"axG",@progbits,_ZN7rocprim17ROCPRIM_400000_NS6detail17trampoline_kernelINS0_14default_configENS1_27scan_by_key_config_selectorIiiEEZZNS1_16scan_by_key_implILNS1_25lookback_scan_determinismE0ELb1ES3_N6thrust23THRUST_200600_302600_NS6detail15normal_iteratorINS9_10device_ptrIiEEEESE_SE_iNS9_4plusIvEENS9_8equal_toIiEEiEE10hipError_tPvRmT2_T3_T4_T5_mT6_T7_P12ihipStream_tbENKUlT_T0_E_clISt17integral_constantIbLb1EESY_IbLb0EEEEDaSU_SV_EUlSU_E_NS1_11comp_targetILNS1_3genE3ELNS1_11target_archE908ELNS1_3gpuE7ELNS1_3repE0EEENS1_30default_config_static_selectorELNS0_4arch9wavefront6targetE1EEEvT1_,comdat
	.protected	_ZN7rocprim17ROCPRIM_400000_NS6detail17trampoline_kernelINS0_14default_configENS1_27scan_by_key_config_selectorIiiEEZZNS1_16scan_by_key_implILNS1_25lookback_scan_determinismE0ELb1ES3_N6thrust23THRUST_200600_302600_NS6detail15normal_iteratorINS9_10device_ptrIiEEEESE_SE_iNS9_4plusIvEENS9_8equal_toIiEEiEE10hipError_tPvRmT2_T3_T4_T5_mT6_T7_P12ihipStream_tbENKUlT_T0_E_clISt17integral_constantIbLb1EESY_IbLb0EEEEDaSU_SV_EUlSU_E_NS1_11comp_targetILNS1_3genE3ELNS1_11target_archE908ELNS1_3gpuE7ELNS1_3repE0EEENS1_30default_config_static_selectorELNS0_4arch9wavefront6targetE1EEEvT1_ ; -- Begin function _ZN7rocprim17ROCPRIM_400000_NS6detail17trampoline_kernelINS0_14default_configENS1_27scan_by_key_config_selectorIiiEEZZNS1_16scan_by_key_implILNS1_25lookback_scan_determinismE0ELb1ES3_N6thrust23THRUST_200600_302600_NS6detail15normal_iteratorINS9_10device_ptrIiEEEESE_SE_iNS9_4plusIvEENS9_8equal_toIiEEiEE10hipError_tPvRmT2_T3_T4_T5_mT6_T7_P12ihipStream_tbENKUlT_T0_E_clISt17integral_constantIbLb1EESY_IbLb0EEEEDaSU_SV_EUlSU_E_NS1_11comp_targetILNS1_3genE3ELNS1_11target_archE908ELNS1_3gpuE7ELNS1_3repE0EEENS1_30default_config_static_selectorELNS0_4arch9wavefront6targetE1EEEvT1_
	.globl	_ZN7rocprim17ROCPRIM_400000_NS6detail17trampoline_kernelINS0_14default_configENS1_27scan_by_key_config_selectorIiiEEZZNS1_16scan_by_key_implILNS1_25lookback_scan_determinismE0ELb1ES3_N6thrust23THRUST_200600_302600_NS6detail15normal_iteratorINS9_10device_ptrIiEEEESE_SE_iNS9_4plusIvEENS9_8equal_toIiEEiEE10hipError_tPvRmT2_T3_T4_T5_mT6_T7_P12ihipStream_tbENKUlT_T0_E_clISt17integral_constantIbLb1EESY_IbLb0EEEEDaSU_SV_EUlSU_E_NS1_11comp_targetILNS1_3genE3ELNS1_11target_archE908ELNS1_3gpuE7ELNS1_3repE0EEENS1_30default_config_static_selectorELNS0_4arch9wavefront6targetE1EEEvT1_
	.p2align	8
	.type	_ZN7rocprim17ROCPRIM_400000_NS6detail17trampoline_kernelINS0_14default_configENS1_27scan_by_key_config_selectorIiiEEZZNS1_16scan_by_key_implILNS1_25lookback_scan_determinismE0ELb1ES3_N6thrust23THRUST_200600_302600_NS6detail15normal_iteratorINS9_10device_ptrIiEEEESE_SE_iNS9_4plusIvEENS9_8equal_toIiEEiEE10hipError_tPvRmT2_T3_T4_T5_mT6_T7_P12ihipStream_tbENKUlT_T0_E_clISt17integral_constantIbLb1EESY_IbLb0EEEEDaSU_SV_EUlSU_E_NS1_11comp_targetILNS1_3genE3ELNS1_11target_archE908ELNS1_3gpuE7ELNS1_3repE0EEENS1_30default_config_static_selectorELNS0_4arch9wavefront6targetE1EEEvT1_,@function
_ZN7rocprim17ROCPRIM_400000_NS6detail17trampoline_kernelINS0_14default_configENS1_27scan_by_key_config_selectorIiiEEZZNS1_16scan_by_key_implILNS1_25lookback_scan_determinismE0ELb1ES3_N6thrust23THRUST_200600_302600_NS6detail15normal_iteratorINS9_10device_ptrIiEEEESE_SE_iNS9_4plusIvEENS9_8equal_toIiEEiEE10hipError_tPvRmT2_T3_T4_T5_mT6_T7_P12ihipStream_tbENKUlT_T0_E_clISt17integral_constantIbLb1EESY_IbLb0EEEEDaSU_SV_EUlSU_E_NS1_11comp_targetILNS1_3genE3ELNS1_11target_archE908ELNS1_3gpuE7ELNS1_3repE0EEENS1_30default_config_static_selectorELNS0_4arch9wavefront6targetE1EEEvT1_: ; @_ZN7rocprim17ROCPRIM_400000_NS6detail17trampoline_kernelINS0_14default_configENS1_27scan_by_key_config_selectorIiiEEZZNS1_16scan_by_key_implILNS1_25lookback_scan_determinismE0ELb1ES3_N6thrust23THRUST_200600_302600_NS6detail15normal_iteratorINS9_10device_ptrIiEEEESE_SE_iNS9_4plusIvEENS9_8equal_toIiEEiEE10hipError_tPvRmT2_T3_T4_T5_mT6_T7_P12ihipStream_tbENKUlT_T0_E_clISt17integral_constantIbLb1EESY_IbLb0EEEEDaSU_SV_EUlSU_E_NS1_11comp_targetILNS1_3genE3ELNS1_11target_archE908ELNS1_3gpuE7ELNS1_3repE0EEENS1_30default_config_static_selectorELNS0_4arch9wavefront6targetE1EEEvT1_
; %bb.0:
	.section	.rodata,"a",@progbits
	.p2align	6, 0x0
	.amdhsa_kernel _ZN7rocprim17ROCPRIM_400000_NS6detail17trampoline_kernelINS0_14default_configENS1_27scan_by_key_config_selectorIiiEEZZNS1_16scan_by_key_implILNS1_25lookback_scan_determinismE0ELb1ES3_N6thrust23THRUST_200600_302600_NS6detail15normal_iteratorINS9_10device_ptrIiEEEESE_SE_iNS9_4plusIvEENS9_8equal_toIiEEiEE10hipError_tPvRmT2_T3_T4_T5_mT6_T7_P12ihipStream_tbENKUlT_T0_E_clISt17integral_constantIbLb1EESY_IbLb0EEEEDaSU_SV_EUlSU_E_NS1_11comp_targetILNS1_3genE3ELNS1_11target_archE908ELNS1_3gpuE7ELNS1_3repE0EEENS1_30default_config_static_selectorELNS0_4arch9wavefront6targetE1EEEvT1_
		.amdhsa_group_segment_fixed_size 0
		.amdhsa_private_segment_fixed_size 0
		.amdhsa_kernarg_size 112
		.amdhsa_user_sgpr_count 2
		.amdhsa_user_sgpr_dispatch_ptr 0
		.amdhsa_user_sgpr_queue_ptr 0
		.amdhsa_user_sgpr_kernarg_segment_ptr 1
		.amdhsa_user_sgpr_dispatch_id 0
		.amdhsa_user_sgpr_kernarg_preload_length 0
		.amdhsa_user_sgpr_kernarg_preload_offset 0
		.amdhsa_user_sgpr_private_segment_size 0
		.amdhsa_uses_dynamic_stack 0
		.amdhsa_enable_private_segment 0
		.amdhsa_system_sgpr_workgroup_id_x 1
		.amdhsa_system_sgpr_workgroup_id_y 0
		.amdhsa_system_sgpr_workgroup_id_z 0
		.amdhsa_system_sgpr_workgroup_info 0
		.amdhsa_system_vgpr_workitem_id 0
		.amdhsa_next_free_vgpr 1
		.amdhsa_next_free_sgpr 0
		.amdhsa_accum_offset 4
		.amdhsa_reserve_vcc 0
		.amdhsa_float_round_mode_32 0
		.amdhsa_float_round_mode_16_64 0
		.amdhsa_float_denorm_mode_32 3
		.amdhsa_float_denorm_mode_16_64 3
		.amdhsa_dx10_clamp 1
		.amdhsa_ieee_mode 1
		.amdhsa_fp16_overflow 0
		.amdhsa_tg_split 0
		.amdhsa_exception_fp_ieee_invalid_op 0
		.amdhsa_exception_fp_denorm_src 0
		.amdhsa_exception_fp_ieee_div_zero 0
		.amdhsa_exception_fp_ieee_overflow 0
		.amdhsa_exception_fp_ieee_underflow 0
		.amdhsa_exception_fp_ieee_inexact 0
		.amdhsa_exception_int_div_zero 0
	.end_amdhsa_kernel
	.section	.text._ZN7rocprim17ROCPRIM_400000_NS6detail17trampoline_kernelINS0_14default_configENS1_27scan_by_key_config_selectorIiiEEZZNS1_16scan_by_key_implILNS1_25lookback_scan_determinismE0ELb1ES3_N6thrust23THRUST_200600_302600_NS6detail15normal_iteratorINS9_10device_ptrIiEEEESE_SE_iNS9_4plusIvEENS9_8equal_toIiEEiEE10hipError_tPvRmT2_T3_T4_T5_mT6_T7_P12ihipStream_tbENKUlT_T0_E_clISt17integral_constantIbLb1EESY_IbLb0EEEEDaSU_SV_EUlSU_E_NS1_11comp_targetILNS1_3genE3ELNS1_11target_archE908ELNS1_3gpuE7ELNS1_3repE0EEENS1_30default_config_static_selectorELNS0_4arch9wavefront6targetE1EEEvT1_,"axG",@progbits,_ZN7rocprim17ROCPRIM_400000_NS6detail17trampoline_kernelINS0_14default_configENS1_27scan_by_key_config_selectorIiiEEZZNS1_16scan_by_key_implILNS1_25lookback_scan_determinismE0ELb1ES3_N6thrust23THRUST_200600_302600_NS6detail15normal_iteratorINS9_10device_ptrIiEEEESE_SE_iNS9_4plusIvEENS9_8equal_toIiEEiEE10hipError_tPvRmT2_T3_T4_T5_mT6_T7_P12ihipStream_tbENKUlT_T0_E_clISt17integral_constantIbLb1EESY_IbLb0EEEEDaSU_SV_EUlSU_E_NS1_11comp_targetILNS1_3genE3ELNS1_11target_archE908ELNS1_3gpuE7ELNS1_3repE0EEENS1_30default_config_static_selectorELNS0_4arch9wavefront6targetE1EEEvT1_,comdat
.Lfunc_end555:
	.size	_ZN7rocprim17ROCPRIM_400000_NS6detail17trampoline_kernelINS0_14default_configENS1_27scan_by_key_config_selectorIiiEEZZNS1_16scan_by_key_implILNS1_25lookback_scan_determinismE0ELb1ES3_N6thrust23THRUST_200600_302600_NS6detail15normal_iteratorINS9_10device_ptrIiEEEESE_SE_iNS9_4plusIvEENS9_8equal_toIiEEiEE10hipError_tPvRmT2_T3_T4_T5_mT6_T7_P12ihipStream_tbENKUlT_T0_E_clISt17integral_constantIbLb1EESY_IbLb0EEEEDaSU_SV_EUlSU_E_NS1_11comp_targetILNS1_3genE3ELNS1_11target_archE908ELNS1_3gpuE7ELNS1_3repE0EEENS1_30default_config_static_selectorELNS0_4arch9wavefront6targetE1EEEvT1_, .Lfunc_end555-_ZN7rocprim17ROCPRIM_400000_NS6detail17trampoline_kernelINS0_14default_configENS1_27scan_by_key_config_selectorIiiEEZZNS1_16scan_by_key_implILNS1_25lookback_scan_determinismE0ELb1ES3_N6thrust23THRUST_200600_302600_NS6detail15normal_iteratorINS9_10device_ptrIiEEEESE_SE_iNS9_4plusIvEENS9_8equal_toIiEEiEE10hipError_tPvRmT2_T3_T4_T5_mT6_T7_P12ihipStream_tbENKUlT_T0_E_clISt17integral_constantIbLb1EESY_IbLb0EEEEDaSU_SV_EUlSU_E_NS1_11comp_targetILNS1_3genE3ELNS1_11target_archE908ELNS1_3gpuE7ELNS1_3repE0EEENS1_30default_config_static_selectorELNS0_4arch9wavefront6targetE1EEEvT1_
                                        ; -- End function
	.section	.AMDGPU.csdata,"",@progbits
; Kernel info:
; codeLenInByte = 0
; NumSgprs: 6
; NumVgprs: 0
; NumAgprs: 0
; TotalNumVgprs: 0
; ScratchSize: 0
; MemoryBound: 0
; FloatMode: 240
; IeeeMode: 1
; LDSByteSize: 0 bytes/workgroup (compile time only)
; SGPRBlocks: 0
; VGPRBlocks: 0
; NumSGPRsForWavesPerEU: 6
; NumVGPRsForWavesPerEU: 1
; AccumOffset: 4
; Occupancy: 8
; WaveLimiterHint : 0
; COMPUTE_PGM_RSRC2:SCRATCH_EN: 0
; COMPUTE_PGM_RSRC2:USER_SGPR: 2
; COMPUTE_PGM_RSRC2:TRAP_HANDLER: 0
; COMPUTE_PGM_RSRC2:TGID_X_EN: 1
; COMPUTE_PGM_RSRC2:TGID_Y_EN: 0
; COMPUTE_PGM_RSRC2:TGID_Z_EN: 0
; COMPUTE_PGM_RSRC2:TIDIG_COMP_CNT: 0
; COMPUTE_PGM_RSRC3_GFX90A:ACCUM_OFFSET: 0
; COMPUTE_PGM_RSRC3_GFX90A:TG_SPLIT: 0
	.section	.text._ZN7rocprim17ROCPRIM_400000_NS6detail17trampoline_kernelINS0_14default_configENS1_27scan_by_key_config_selectorIiiEEZZNS1_16scan_by_key_implILNS1_25lookback_scan_determinismE0ELb1ES3_N6thrust23THRUST_200600_302600_NS6detail15normal_iteratorINS9_10device_ptrIiEEEESE_SE_iNS9_4plusIvEENS9_8equal_toIiEEiEE10hipError_tPvRmT2_T3_T4_T5_mT6_T7_P12ihipStream_tbENKUlT_T0_E_clISt17integral_constantIbLb1EESY_IbLb0EEEEDaSU_SV_EUlSU_E_NS1_11comp_targetILNS1_3genE2ELNS1_11target_archE906ELNS1_3gpuE6ELNS1_3repE0EEENS1_30default_config_static_selectorELNS0_4arch9wavefront6targetE1EEEvT1_,"axG",@progbits,_ZN7rocprim17ROCPRIM_400000_NS6detail17trampoline_kernelINS0_14default_configENS1_27scan_by_key_config_selectorIiiEEZZNS1_16scan_by_key_implILNS1_25lookback_scan_determinismE0ELb1ES3_N6thrust23THRUST_200600_302600_NS6detail15normal_iteratorINS9_10device_ptrIiEEEESE_SE_iNS9_4plusIvEENS9_8equal_toIiEEiEE10hipError_tPvRmT2_T3_T4_T5_mT6_T7_P12ihipStream_tbENKUlT_T0_E_clISt17integral_constantIbLb1EESY_IbLb0EEEEDaSU_SV_EUlSU_E_NS1_11comp_targetILNS1_3genE2ELNS1_11target_archE906ELNS1_3gpuE6ELNS1_3repE0EEENS1_30default_config_static_selectorELNS0_4arch9wavefront6targetE1EEEvT1_,comdat
	.protected	_ZN7rocprim17ROCPRIM_400000_NS6detail17trampoline_kernelINS0_14default_configENS1_27scan_by_key_config_selectorIiiEEZZNS1_16scan_by_key_implILNS1_25lookback_scan_determinismE0ELb1ES3_N6thrust23THRUST_200600_302600_NS6detail15normal_iteratorINS9_10device_ptrIiEEEESE_SE_iNS9_4plusIvEENS9_8equal_toIiEEiEE10hipError_tPvRmT2_T3_T4_T5_mT6_T7_P12ihipStream_tbENKUlT_T0_E_clISt17integral_constantIbLb1EESY_IbLb0EEEEDaSU_SV_EUlSU_E_NS1_11comp_targetILNS1_3genE2ELNS1_11target_archE906ELNS1_3gpuE6ELNS1_3repE0EEENS1_30default_config_static_selectorELNS0_4arch9wavefront6targetE1EEEvT1_ ; -- Begin function _ZN7rocprim17ROCPRIM_400000_NS6detail17trampoline_kernelINS0_14default_configENS1_27scan_by_key_config_selectorIiiEEZZNS1_16scan_by_key_implILNS1_25lookback_scan_determinismE0ELb1ES3_N6thrust23THRUST_200600_302600_NS6detail15normal_iteratorINS9_10device_ptrIiEEEESE_SE_iNS9_4plusIvEENS9_8equal_toIiEEiEE10hipError_tPvRmT2_T3_T4_T5_mT6_T7_P12ihipStream_tbENKUlT_T0_E_clISt17integral_constantIbLb1EESY_IbLb0EEEEDaSU_SV_EUlSU_E_NS1_11comp_targetILNS1_3genE2ELNS1_11target_archE906ELNS1_3gpuE6ELNS1_3repE0EEENS1_30default_config_static_selectorELNS0_4arch9wavefront6targetE1EEEvT1_
	.globl	_ZN7rocprim17ROCPRIM_400000_NS6detail17trampoline_kernelINS0_14default_configENS1_27scan_by_key_config_selectorIiiEEZZNS1_16scan_by_key_implILNS1_25lookback_scan_determinismE0ELb1ES3_N6thrust23THRUST_200600_302600_NS6detail15normal_iteratorINS9_10device_ptrIiEEEESE_SE_iNS9_4plusIvEENS9_8equal_toIiEEiEE10hipError_tPvRmT2_T3_T4_T5_mT6_T7_P12ihipStream_tbENKUlT_T0_E_clISt17integral_constantIbLb1EESY_IbLb0EEEEDaSU_SV_EUlSU_E_NS1_11comp_targetILNS1_3genE2ELNS1_11target_archE906ELNS1_3gpuE6ELNS1_3repE0EEENS1_30default_config_static_selectorELNS0_4arch9wavefront6targetE1EEEvT1_
	.p2align	8
	.type	_ZN7rocprim17ROCPRIM_400000_NS6detail17trampoline_kernelINS0_14default_configENS1_27scan_by_key_config_selectorIiiEEZZNS1_16scan_by_key_implILNS1_25lookback_scan_determinismE0ELb1ES3_N6thrust23THRUST_200600_302600_NS6detail15normal_iteratorINS9_10device_ptrIiEEEESE_SE_iNS9_4plusIvEENS9_8equal_toIiEEiEE10hipError_tPvRmT2_T3_T4_T5_mT6_T7_P12ihipStream_tbENKUlT_T0_E_clISt17integral_constantIbLb1EESY_IbLb0EEEEDaSU_SV_EUlSU_E_NS1_11comp_targetILNS1_3genE2ELNS1_11target_archE906ELNS1_3gpuE6ELNS1_3repE0EEENS1_30default_config_static_selectorELNS0_4arch9wavefront6targetE1EEEvT1_,@function
_ZN7rocprim17ROCPRIM_400000_NS6detail17trampoline_kernelINS0_14default_configENS1_27scan_by_key_config_selectorIiiEEZZNS1_16scan_by_key_implILNS1_25lookback_scan_determinismE0ELb1ES3_N6thrust23THRUST_200600_302600_NS6detail15normal_iteratorINS9_10device_ptrIiEEEESE_SE_iNS9_4plusIvEENS9_8equal_toIiEEiEE10hipError_tPvRmT2_T3_T4_T5_mT6_T7_P12ihipStream_tbENKUlT_T0_E_clISt17integral_constantIbLb1EESY_IbLb0EEEEDaSU_SV_EUlSU_E_NS1_11comp_targetILNS1_3genE2ELNS1_11target_archE906ELNS1_3gpuE6ELNS1_3repE0EEENS1_30default_config_static_selectorELNS0_4arch9wavefront6targetE1EEEvT1_: ; @_ZN7rocprim17ROCPRIM_400000_NS6detail17trampoline_kernelINS0_14default_configENS1_27scan_by_key_config_selectorIiiEEZZNS1_16scan_by_key_implILNS1_25lookback_scan_determinismE0ELb1ES3_N6thrust23THRUST_200600_302600_NS6detail15normal_iteratorINS9_10device_ptrIiEEEESE_SE_iNS9_4plusIvEENS9_8equal_toIiEEiEE10hipError_tPvRmT2_T3_T4_T5_mT6_T7_P12ihipStream_tbENKUlT_T0_E_clISt17integral_constantIbLb1EESY_IbLb0EEEEDaSU_SV_EUlSU_E_NS1_11comp_targetILNS1_3genE2ELNS1_11target_archE906ELNS1_3gpuE6ELNS1_3repE0EEENS1_30default_config_static_selectorELNS0_4arch9wavefront6targetE1EEEvT1_
; %bb.0:
	.section	.rodata,"a",@progbits
	.p2align	6, 0x0
	.amdhsa_kernel _ZN7rocprim17ROCPRIM_400000_NS6detail17trampoline_kernelINS0_14default_configENS1_27scan_by_key_config_selectorIiiEEZZNS1_16scan_by_key_implILNS1_25lookback_scan_determinismE0ELb1ES3_N6thrust23THRUST_200600_302600_NS6detail15normal_iteratorINS9_10device_ptrIiEEEESE_SE_iNS9_4plusIvEENS9_8equal_toIiEEiEE10hipError_tPvRmT2_T3_T4_T5_mT6_T7_P12ihipStream_tbENKUlT_T0_E_clISt17integral_constantIbLb1EESY_IbLb0EEEEDaSU_SV_EUlSU_E_NS1_11comp_targetILNS1_3genE2ELNS1_11target_archE906ELNS1_3gpuE6ELNS1_3repE0EEENS1_30default_config_static_selectorELNS0_4arch9wavefront6targetE1EEEvT1_
		.amdhsa_group_segment_fixed_size 0
		.amdhsa_private_segment_fixed_size 0
		.amdhsa_kernarg_size 112
		.amdhsa_user_sgpr_count 2
		.amdhsa_user_sgpr_dispatch_ptr 0
		.amdhsa_user_sgpr_queue_ptr 0
		.amdhsa_user_sgpr_kernarg_segment_ptr 1
		.amdhsa_user_sgpr_dispatch_id 0
		.amdhsa_user_sgpr_kernarg_preload_length 0
		.amdhsa_user_sgpr_kernarg_preload_offset 0
		.amdhsa_user_sgpr_private_segment_size 0
		.amdhsa_uses_dynamic_stack 0
		.amdhsa_enable_private_segment 0
		.amdhsa_system_sgpr_workgroup_id_x 1
		.amdhsa_system_sgpr_workgroup_id_y 0
		.amdhsa_system_sgpr_workgroup_id_z 0
		.amdhsa_system_sgpr_workgroup_info 0
		.amdhsa_system_vgpr_workitem_id 0
		.amdhsa_next_free_vgpr 1
		.amdhsa_next_free_sgpr 0
		.amdhsa_accum_offset 4
		.amdhsa_reserve_vcc 0
		.amdhsa_float_round_mode_32 0
		.amdhsa_float_round_mode_16_64 0
		.amdhsa_float_denorm_mode_32 3
		.amdhsa_float_denorm_mode_16_64 3
		.amdhsa_dx10_clamp 1
		.amdhsa_ieee_mode 1
		.amdhsa_fp16_overflow 0
		.amdhsa_tg_split 0
		.amdhsa_exception_fp_ieee_invalid_op 0
		.amdhsa_exception_fp_denorm_src 0
		.amdhsa_exception_fp_ieee_div_zero 0
		.amdhsa_exception_fp_ieee_overflow 0
		.amdhsa_exception_fp_ieee_underflow 0
		.amdhsa_exception_fp_ieee_inexact 0
		.amdhsa_exception_int_div_zero 0
	.end_amdhsa_kernel
	.section	.text._ZN7rocprim17ROCPRIM_400000_NS6detail17trampoline_kernelINS0_14default_configENS1_27scan_by_key_config_selectorIiiEEZZNS1_16scan_by_key_implILNS1_25lookback_scan_determinismE0ELb1ES3_N6thrust23THRUST_200600_302600_NS6detail15normal_iteratorINS9_10device_ptrIiEEEESE_SE_iNS9_4plusIvEENS9_8equal_toIiEEiEE10hipError_tPvRmT2_T3_T4_T5_mT6_T7_P12ihipStream_tbENKUlT_T0_E_clISt17integral_constantIbLb1EESY_IbLb0EEEEDaSU_SV_EUlSU_E_NS1_11comp_targetILNS1_3genE2ELNS1_11target_archE906ELNS1_3gpuE6ELNS1_3repE0EEENS1_30default_config_static_selectorELNS0_4arch9wavefront6targetE1EEEvT1_,"axG",@progbits,_ZN7rocprim17ROCPRIM_400000_NS6detail17trampoline_kernelINS0_14default_configENS1_27scan_by_key_config_selectorIiiEEZZNS1_16scan_by_key_implILNS1_25lookback_scan_determinismE0ELb1ES3_N6thrust23THRUST_200600_302600_NS6detail15normal_iteratorINS9_10device_ptrIiEEEESE_SE_iNS9_4plusIvEENS9_8equal_toIiEEiEE10hipError_tPvRmT2_T3_T4_T5_mT6_T7_P12ihipStream_tbENKUlT_T0_E_clISt17integral_constantIbLb1EESY_IbLb0EEEEDaSU_SV_EUlSU_E_NS1_11comp_targetILNS1_3genE2ELNS1_11target_archE906ELNS1_3gpuE6ELNS1_3repE0EEENS1_30default_config_static_selectorELNS0_4arch9wavefront6targetE1EEEvT1_,comdat
.Lfunc_end556:
	.size	_ZN7rocprim17ROCPRIM_400000_NS6detail17trampoline_kernelINS0_14default_configENS1_27scan_by_key_config_selectorIiiEEZZNS1_16scan_by_key_implILNS1_25lookback_scan_determinismE0ELb1ES3_N6thrust23THRUST_200600_302600_NS6detail15normal_iteratorINS9_10device_ptrIiEEEESE_SE_iNS9_4plusIvEENS9_8equal_toIiEEiEE10hipError_tPvRmT2_T3_T4_T5_mT6_T7_P12ihipStream_tbENKUlT_T0_E_clISt17integral_constantIbLb1EESY_IbLb0EEEEDaSU_SV_EUlSU_E_NS1_11comp_targetILNS1_3genE2ELNS1_11target_archE906ELNS1_3gpuE6ELNS1_3repE0EEENS1_30default_config_static_selectorELNS0_4arch9wavefront6targetE1EEEvT1_, .Lfunc_end556-_ZN7rocprim17ROCPRIM_400000_NS6detail17trampoline_kernelINS0_14default_configENS1_27scan_by_key_config_selectorIiiEEZZNS1_16scan_by_key_implILNS1_25lookback_scan_determinismE0ELb1ES3_N6thrust23THRUST_200600_302600_NS6detail15normal_iteratorINS9_10device_ptrIiEEEESE_SE_iNS9_4plusIvEENS9_8equal_toIiEEiEE10hipError_tPvRmT2_T3_T4_T5_mT6_T7_P12ihipStream_tbENKUlT_T0_E_clISt17integral_constantIbLb1EESY_IbLb0EEEEDaSU_SV_EUlSU_E_NS1_11comp_targetILNS1_3genE2ELNS1_11target_archE906ELNS1_3gpuE6ELNS1_3repE0EEENS1_30default_config_static_selectorELNS0_4arch9wavefront6targetE1EEEvT1_
                                        ; -- End function
	.section	.AMDGPU.csdata,"",@progbits
; Kernel info:
; codeLenInByte = 0
; NumSgprs: 6
; NumVgprs: 0
; NumAgprs: 0
; TotalNumVgprs: 0
; ScratchSize: 0
; MemoryBound: 0
; FloatMode: 240
; IeeeMode: 1
; LDSByteSize: 0 bytes/workgroup (compile time only)
; SGPRBlocks: 0
; VGPRBlocks: 0
; NumSGPRsForWavesPerEU: 6
; NumVGPRsForWavesPerEU: 1
; AccumOffset: 4
; Occupancy: 8
; WaveLimiterHint : 0
; COMPUTE_PGM_RSRC2:SCRATCH_EN: 0
; COMPUTE_PGM_RSRC2:USER_SGPR: 2
; COMPUTE_PGM_RSRC2:TRAP_HANDLER: 0
; COMPUTE_PGM_RSRC2:TGID_X_EN: 1
; COMPUTE_PGM_RSRC2:TGID_Y_EN: 0
; COMPUTE_PGM_RSRC2:TGID_Z_EN: 0
; COMPUTE_PGM_RSRC2:TIDIG_COMP_CNT: 0
; COMPUTE_PGM_RSRC3_GFX90A:ACCUM_OFFSET: 0
; COMPUTE_PGM_RSRC3_GFX90A:TG_SPLIT: 0
	.section	.text._ZN7rocprim17ROCPRIM_400000_NS6detail17trampoline_kernelINS0_14default_configENS1_27scan_by_key_config_selectorIiiEEZZNS1_16scan_by_key_implILNS1_25lookback_scan_determinismE0ELb1ES3_N6thrust23THRUST_200600_302600_NS6detail15normal_iteratorINS9_10device_ptrIiEEEESE_SE_iNS9_4plusIvEENS9_8equal_toIiEEiEE10hipError_tPvRmT2_T3_T4_T5_mT6_T7_P12ihipStream_tbENKUlT_T0_E_clISt17integral_constantIbLb1EESY_IbLb0EEEEDaSU_SV_EUlSU_E_NS1_11comp_targetILNS1_3genE10ELNS1_11target_archE1200ELNS1_3gpuE4ELNS1_3repE0EEENS1_30default_config_static_selectorELNS0_4arch9wavefront6targetE1EEEvT1_,"axG",@progbits,_ZN7rocprim17ROCPRIM_400000_NS6detail17trampoline_kernelINS0_14default_configENS1_27scan_by_key_config_selectorIiiEEZZNS1_16scan_by_key_implILNS1_25lookback_scan_determinismE0ELb1ES3_N6thrust23THRUST_200600_302600_NS6detail15normal_iteratorINS9_10device_ptrIiEEEESE_SE_iNS9_4plusIvEENS9_8equal_toIiEEiEE10hipError_tPvRmT2_T3_T4_T5_mT6_T7_P12ihipStream_tbENKUlT_T0_E_clISt17integral_constantIbLb1EESY_IbLb0EEEEDaSU_SV_EUlSU_E_NS1_11comp_targetILNS1_3genE10ELNS1_11target_archE1200ELNS1_3gpuE4ELNS1_3repE0EEENS1_30default_config_static_selectorELNS0_4arch9wavefront6targetE1EEEvT1_,comdat
	.protected	_ZN7rocprim17ROCPRIM_400000_NS6detail17trampoline_kernelINS0_14default_configENS1_27scan_by_key_config_selectorIiiEEZZNS1_16scan_by_key_implILNS1_25lookback_scan_determinismE0ELb1ES3_N6thrust23THRUST_200600_302600_NS6detail15normal_iteratorINS9_10device_ptrIiEEEESE_SE_iNS9_4plusIvEENS9_8equal_toIiEEiEE10hipError_tPvRmT2_T3_T4_T5_mT6_T7_P12ihipStream_tbENKUlT_T0_E_clISt17integral_constantIbLb1EESY_IbLb0EEEEDaSU_SV_EUlSU_E_NS1_11comp_targetILNS1_3genE10ELNS1_11target_archE1200ELNS1_3gpuE4ELNS1_3repE0EEENS1_30default_config_static_selectorELNS0_4arch9wavefront6targetE1EEEvT1_ ; -- Begin function _ZN7rocprim17ROCPRIM_400000_NS6detail17trampoline_kernelINS0_14default_configENS1_27scan_by_key_config_selectorIiiEEZZNS1_16scan_by_key_implILNS1_25lookback_scan_determinismE0ELb1ES3_N6thrust23THRUST_200600_302600_NS6detail15normal_iteratorINS9_10device_ptrIiEEEESE_SE_iNS9_4plusIvEENS9_8equal_toIiEEiEE10hipError_tPvRmT2_T3_T4_T5_mT6_T7_P12ihipStream_tbENKUlT_T0_E_clISt17integral_constantIbLb1EESY_IbLb0EEEEDaSU_SV_EUlSU_E_NS1_11comp_targetILNS1_3genE10ELNS1_11target_archE1200ELNS1_3gpuE4ELNS1_3repE0EEENS1_30default_config_static_selectorELNS0_4arch9wavefront6targetE1EEEvT1_
	.globl	_ZN7rocprim17ROCPRIM_400000_NS6detail17trampoline_kernelINS0_14default_configENS1_27scan_by_key_config_selectorIiiEEZZNS1_16scan_by_key_implILNS1_25lookback_scan_determinismE0ELb1ES3_N6thrust23THRUST_200600_302600_NS6detail15normal_iteratorINS9_10device_ptrIiEEEESE_SE_iNS9_4plusIvEENS9_8equal_toIiEEiEE10hipError_tPvRmT2_T3_T4_T5_mT6_T7_P12ihipStream_tbENKUlT_T0_E_clISt17integral_constantIbLb1EESY_IbLb0EEEEDaSU_SV_EUlSU_E_NS1_11comp_targetILNS1_3genE10ELNS1_11target_archE1200ELNS1_3gpuE4ELNS1_3repE0EEENS1_30default_config_static_selectorELNS0_4arch9wavefront6targetE1EEEvT1_
	.p2align	8
	.type	_ZN7rocprim17ROCPRIM_400000_NS6detail17trampoline_kernelINS0_14default_configENS1_27scan_by_key_config_selectorIiiEEZZNS1_16scan_by_key_implILNS1_25lookback_scan_determinismE0ELb1ES3_N6thrust23THRUST_200600_302600_NS6detail15normal_iteratorINS9_10device_ptrIiEEEESE_SE_iNS9_4plusIvEENS9_8equal_toIiEEiEE10hipError_tPvRmT2_T3_T4_T5_mT6_T7_P12ihipStream_tbENKUlT_T0_E_clISt17integral_constantIbLb1EESY_IbLb0EEEEDaSU_SV_EUlSU_E_NS1_11comp_targetILNS1_3genE10ELNS1_11target_archE1200ELNS1_3gpuE4ELNS1_3repE0EEENS1_30default_config_static_selectorELNS0_4arch9wavefront6targetE1EEEvT1_,@function
_ZN7rocprim17ROCPRIM_400000_NS6detail17trampoline_kernelINS0_14default_configENS1_27scan_by_key_config_selectorIiiEEZZNS1_16scan_by_key_implILNS1_25lookback_scan_determinismE0ELb1ES3_N6thrust23THRUST_200600_302600_NS6detail15normal_iteratorINS9_10device_ptrIiEEEESE_SE_iNS9_4plusIvEENS9_8equal_toIiEEiEE10hipError_tPvRmT2_T3_T4_T5_mT6_T7_P12ihipStream_tbENKUlT_T0_E_clISt17integral_constantIbLb1EESY_IbLb0EEEEDaSU_SV_EUlSU_E_NS1_11comp_targetILNS1_3genE10ELNS1_11target_archE1200ELNS1_3gpuE4ELNS1_3repE0EEENS1_30default_config_static_selectorELNS0_4arch9wavefront6targetE1EEEvT1_: ; @_ZN7rocprim17ROCPRIM_400000_NS6detail17trampoline_kernelINS0_14default_configENS1_27scan_by_key_config_selectorIiiEEZZNS1_16scan_by_key_implILNS1_25lookback_scan_determinismE0ELb1ES3_N6thrust23THRUST_200600_302600_NS6detail15normal_iteratorINS9_10device_ptrIiEEEESE_SE_iNS9_4plusIvEENS9_8equal_toIiEEiEE10hipError_tPvRmT2_T3_T4_T5_mT6_T7_P12ihipStream_tbENKUlT_T0_E_clISt17integral_constantIbLb1EESY_IbLb0EEEEDaSU_SV_EUlSU_E_NS1_11comp_targetILNS1_3genE10ELNS1_11target_archE1200ELNS1_3gpuE4ELNS1_3repE0EEENS1_30default_config_static_selectorELNS0_4arch9wavefront6targetE1EEEvT1_
; %bb.0:
	.section	.rodata,"a",@progbits
	.p2align	6, 0x0
	.amdhsa_kernel _ZN7rocprim17ROCPRIM_400000_NS6detail17trampoline_kernelINS0_14default_configENS1_27scan_by_key_config_selectorIiiEEZZNS1_16scan_by_key_implILNS1_25lookback_scan_determinismE0ELb1ES3_N6thrust23THRUST_200600_302600_NS6detail15normal_iteratorINS9_10device_ptrIiEEEESE_SE_iNS9_4plusIvEENS9_8equal_toIiEEiEE10hipError_tPvRmT2_T3_T4_T5_mT6_T7_P12ihipStream_tbENKUlT_T0_E_clISt17integral_constantIbLb1EESY_IbLb0EEEEDaSU_SV_EUlSU_E_NS1_11comp_targetILNS1_3genE10ELNS1_11target_archE1200ELNS1_3gpuE4ELNS1_3repE0EEENS1_30default_config_static_selectorELNS0_4arch9wavefront6targetE1EEEvT1_
		.amdhsa_group_segment_fixed_size 0
		.amdhsa_private_segment_fixed_size 0
		.amdhsa_kernarg_size 112
		.amdhsa_user_sgpr_count 2
		.amdhsa_user_sgpr_dispatch_ptr 0
		.amdhsa_user_sgpr_queue_ptr 0
		.amdhsa_user_sgpr_kernarg_segment_ptr 1
		.amdhsa_user_sgpr_dispatch_id 0
		.amdhsa_user_sgpr_kernarg_preload_length 0
		.amdhsa_user_sgpr_kernarg_preload_offset 0
		.amdhsa_user_sgpr_private_segment_size 0
		.amdhsa_uses_dynamic_stack 0
		.amdhsa_enable_private_segment 0
		.amdhsa_system_sgpr_workgroup_id_x 1
		.amdhsa_system_sgpr_workgroup_id_y 0
		.amdhsa_system_sgpr_workgroup_id_z 0
		.amdhsa_system_sgpr_workgroup_info 0
		.amdhsa_system_vgpr_workitem_id 0
		.amdhsa_next_free_vgpr 1
		.amdhsa_next_free_sgpr 0
		.amdhsa_accum_offset 4
		.amdhsa_reserve_vcc 0
		.amdhsa_float_round_mode_32 0
		.amdhsa_float_round_mode_16_64 0
		.amdhsa_float_denorm_mode_32 3
		.amdhsa_float_denorm_mode_16_64 3
		.amdhsa_dx10_clamp 1
		.amdhsa_ieee_mode 1
		.amdhsa_fp16_overflow 0
		.amdhsa_tg_split 0
		.amdhsa_exception_fp_ieee_invalid_op 0
		.amdhsa_exception_fp_denorm_src 0
		.amdhsa_exception_fp_ieee_div_zero 0
		.amdhsa_exception_fp_ieee_overflow 0
		.amdhsa_exception_fp_ieee_underflow 0
		.amdhsa_exception_fp_ieee_inexact 0
		.amdhsa_exception_int_div_zero 0
	.end_amdhsa_kernel
	.section	.text._ZN7rocprim17ROCPRIM_400000_NS6detail17trampoline_kernelINS0_14default_configENS1_27scan_by_key_config_selectorIiiEEZZNS1_16scan_by_key_implILNS1_25lookback_scan_determinismE0ELb1ES3_N6thrust23THRUST_200600_302600_NS6detail15normal_iteratorINS9_10device_ptrIiEEEESE_SE_iNS9_4plusIvEENS9_8equal_toIiEEiEE10hipError_tPvRmT2_T3_T4_T5_mT6_T7_P12ihipStream_tbENKUlT_T0_E_clISt17integral_constantIbLb1EESY_IbLb0EEEEDaSU_SV_EUlSU_E_NS1_11comp_targetILNS1_3genE10ELNS1_11target_archE1200ELNS1_3gpuE4ELNS1_3repE0EEENS1_30default_config_static_selectorELNS0_4arch9wavefront6targetE1EEEvT1_,"axG",@progbits,_ZN7rocprim17ROCPRIM_400000_NS6detail17trampoline_kernelINS0_14default_configENS1_27scan_by_key_config_selectorIiiEEZZNS1_16scan_by_key_implILNS1_25lookback_scan_determinismE0ELb1ES3_N6thrust23THRUST_200600_302600_NS6detail15normal_iteratorINS9_10device_ptrIiEEEESE_SE_iNS9_4plusIvEENS9_8equal_toIiEEiEE10hipError_tPvRmT2_T3_T4_T5_mT6_T7_P12ihipStream_tbENKUlT_T0_E_clISt17integral_constantIbLb1EESY_IbLb0EEEEDaSU_SV_EUlSU_E_NS1_11comp_targetILNS1_3genE10ELNS1_11target_archE1200ELNS1_3gpuE4ELNS1_3repE0EEENS1_30default_config_static_selectorELNS0_4arch9wavefront6targetE1EEEvT1_,comdat
.Lfunc_end557:
	.size	_ZN7rocprim17ROCPRIM_400000_NS6detail17trampoline_kernelINS0_14default_configENS1_27scan_by_key_config_selectorIiiEEZZNS1_16scan_by_key_implILNS1_25lookback_scan_determinismE0ELb1ES3_N6thrust23THRUST_200600_302600_NS6detail15normal_iteratorINS9_10device_ptrIiEEEESE_SE_iNS9_4plusIvEENS9_8equal_toIiEEiEE10hipError_tPvRmT2_T3_T4_T5_mT6_T7_P12ihipStream_tbENKUlT_T0_E_clISt17integral_constantIbLb1EESY_IbLb0EEEEDaSU_SV_EUlSU_E_NS1_11comp_targetILNS1_3genE10ELNS1_11target_archE1200ELNS1_3gpuE4ELNS1_3repE0EEENS1_30default_config_static_selectorELNS0_4arch9wavefront6targetE1EEEvT1_, .Lfunc_end557-_ZN7rocprim17ROCPRIM_400000_NS6detail17trampoline_kernelINS0_14default_configENS1_27scan_by_key_config_selectorIiiEEZZNS1_16scan_by_key_implILNS1_25lookback_scan_determinismE0ELb1ES3_N6thrust23THRUST_200600_302600_NS6detail15normal_iteratorINS9_10device_ptrIiEEEESE_SE_iNS9_4plusIvEENS9_8equal_toIiEEiEE10hipError_tPvRmT2_T3_T4_T5_mT6_T7_P12ihipStream_tbENKUlT_T0_E_clISt17integral_constantIbLb1EESY_IbLb0EEEEDaSU_SV_EUlSU_E_NS1_11comp_targetILNS1_3genE10ELNS1_11target_archE1200ELNS1_3gpuE4ELNS1_3repE0EEENS1_30default_config_static_selectorELNS0_4arch9wavefront6targetE1EEEvT1_
                                        ; -- End function
	.section	.AMDGPU.csdata,"",@progbits
; Kernel info:
; codeLenInByte = 0
; NumSgprs: 6
; NumVgprs: 0
; NumAgprs: 0
; TotalNumVgprs: 0
; ScratchSize: 0
; MemoryBound: 0
; FloatMode: 240
; IeeeMode: 1
; LDSByteSize: 0 bytes/workgroup (compile time only)
; SGPRBlocks: 0
; VGPRBlocks: 0
; NumSGPRsForWavesPerEU: 6
; NumVGPRsForWavesPerEU: 1
; AccumOffset: 4
; Occupancy: 8
; WaveLimiterHint : 0
; COMPUTE_PGM_RSRC2:SCRATCH_EN: 0
; COMPUTE_PGM_RSRC2:USER_SGPR: 2
; COMPUTE_PGM_RSRC2:TRAP_HANDLER: 0
; COMPUTE_PGM_RSRC2:TGID_X_EN: 1
; COMPUTE_PGM_RSRC2:TGID_Y_EN: 0
; COMPUTE_PGM_RSRC2:TGID_Z_EN: 0
; COMPUTE_PGM_RSRC2:TIDIG_COMP_CNT: 0
; COMPUTE_PGM_RSRC3_GFX90A:ACCUM_OFFSET: 0
; COMPUTE_PGM_RSRC3_GFX90A:TG_SPLIT: 0
	.section	.text._ZN7rocprim17ROCPRIM_400000_NS6detail17trampoline_kernelINS0_14default_configENS1_27scan_by_key_config_selectorIiiEEZZNS1_16scan_by_key_implILNS1_25lookback_scan_determinismE0ELb1ES3_N6thrust23THRUST_200600_302600_NS6detail15normal_iteratorINS9_10device_ptrIiEEEESE_SE_iNS9_4plusIvEENS9_8equal_toIiEEiEE10hipError_tPvRmT2_T3_T4_T5_mT6_T7_P12ihipStream_tbENKUlT_T0_E_clISt17integral_constantIbLb1EESY_IbLb0EEEEDaSU_SV_EUlSU_E_NS1_11comp_targetILNS1_3genE9ELNS1_11target_archE1100ELNS1_3gpuE3ELNS1_3repE0EEENS1_30default_config_static_selectorELNS0_4arch9wavefront6targetE1EEEvT1_,"axG",@progbits,_ZN7rocprim17ROCPRIM_400000_NS6detail17trampoline_kernelINS0_14default_configENS1_27scan_by_key_config_selectorIiiEEZZNS1_16scan_by_key_implILNS1_25lookback_scan_determinismE0ELb1ES3_N6thrust23THRUST_200600_302600_NS6detail15normal_iteratorINS9_10device_ptrIiEEEESE_SE_iNS9_4plusIvEENS9_8equal_toIiEEiEE10hipError_tPvRmT2_T3_T4_T5_mT6_T7_P12ihipStream_tbENKUlT_T0_E_clISt17integral_constantIbLb1EESY_IbLb0EEEEDaSU_SV_EUlSU_E_NS1_11comp_targetILNS1_3genE9ELNS1_11target_archE1100ELNS1_3gpuE3ELNS1_3repE0EEENS1_30default_config_static_selectorELNS0_4arch9wavefront6targetE1EEEvT1_,comdat
	.protected	_ZN7rocprim17ROCPRIM_400000_NS6detail17trampoline_kernelINS0_14default_configENS1_27scan_by_key_config_selectorIiiEEZZNS1_16scan_by_key_implILNS1_25lookback_scan_determinismE0ELb1ES3_N6thrust23THRUST_200600_302600_NS6detail15normal_iteratorINS9_10device_ptrIiEEEESE_SE_iNS9_4plusIvEENS9_8equal_toIiEEiEE10hipError_tPvRmT2_T3_T4_T5_mT6_T7_P12ihipStream_tbENKUlT_T0_E_clISt17integral_constantIbLb1EESY_IbLb0EEEEDaSU_SV_EUlSU_E_NS1_11comp_targetILNS1_3genE9ELNS1_11target_archE1100ELNS1_3gpuE3ELNS1_3repE0EEENS1_30default_config_static_selectorELNS0_4arch9wavefront6targetE1EEEvT1_ ; -- Begin function _ZN7rocprim17ROCPRIM_400000_NS6detail17trampoline_kernelINS0_14default_configENS1_27scan_by_key_config_selectorIiiEEZZNS1_16scan_by_key_implILNS1_25lookback_scan_determinismE0ELb1ES3_N6thrust23THRUST_200600_302600_NS6detail15normal_iteratorINS9_10device_ptrIiEEEESE_SE_iNS9_4plusIvEENS9_8equal_toIiEEiEE10hipError_tPvRmT2_T3_T4_T5_mT6_T7_P12ihipStream_tbENKUlT_T0_E_clISt17integral_constantIbLb1EESY_IbLb0EEEEDaSU_SV_EUlSU_E_NS1_11comp_targetILNS1_3genE9ELNS1_11target_archE1100ELNS1_3gpuE3ELNS1_3repE0EEENS1_30default_config_static_selectorELNS0_4arch9wavefront6targetE1EEEvT1_
	.globl	_ZN7rocprim17ROCPRIM_400000_NS6detail17trampoline_kernelINS0_14default_configENS1_27scan_by_key_config_selectorIiiEEZZNS1_16scan_by_key_implILNS1_25lookback_scan_determinismE0ELb1ES3_N6thrust23THRUST_200600_302600_NS6detail15normal_iteratorINS9_10device_ptrIiEEEESE_SE_iNS9_4plusIvEENS9_8equal_toIiEEiEE10hipError_tPvRmT2_T3_T4_T5_mT6_T7_P12ihipStream_tbENKUlT_T0_E_clISt17integral_constantIbLb1EESY_IbLb0EEEEDaSU_SV_EUlSU_E_NS1_11comp_targetILNS1_3genE9ELNS1_11target_archE1100ELNS1_3gpuE3ELNS1_3repE0EEENS1_30default_config_static_selectorELNS0_4arch9wavefront6targetE1EEEvT1_
	.p2align	8
	.type	_ZN7rocprim17ROCPRIM_400000_NS6detail17trampoline_kernelINS0_14default_configENS1_27scan_by_key_config_selectorIiiEEZZNS1_16scan_by_key_implILNS1_25lookback_scan_determinismE0ELb1ES3_N6thrust23THRUST_200600_302600_NS6detail15normal_iteratorINS9_10device_ptrIiEEEESE_SE_iNS9_4plusIvEENS9_8equal_toIiEEiEE10hipError_tPvRmT2_T3_T4_T5_mT6_T7_P12ihipStream_tbENKUlT_T0_E_clISt17integral_constantIbLb1EESY_IbLb0EEEEDaSU_SV_EUlSU_E_NS1_11comp_targetILNS1_3genE9ELNS1_11target_archE1100ELNS1_3gpuE3ELNS1_3repE0EEENS1_30default_config_static_selectorELNS0_4arch9wavefront6targetE1EEEvT1_,@function
_ZN7rocprim17ROCPRIM_400000_NS6detail17trampoline_kernelINS0_14default_configENS1_27scan_by_key_config_selectorIiiEEZZNS1_16scan_by_key_implILNS1_25lookback_scan_determinismE0ELb1ES3_N6thrust23THRUST_200600_302600_NS6detail15normal_iteratorINS9_10device_ptrIiEEEESE_SE_iNS9_4plusIvEENS9_8equal_toIiEEiEE10hipError_tPvRmT2_T3_T4_T5_mT6_T7_P12ihipStream_tbENKUlT_T0_E_clISt17integral_constantIbLb1EESY_IbLb0EEEEDaSU_SV_EUlSU_E_NS1_11comp_targetILNS1_3genE9ELNS1_11target_archE1100ELNS1_3gpuE3ELNS1_3repE0EEENS1_30default_config_static_selectorELNS0_4arch9wavefront6targetE1EEEvT1_: ; @_ZN7rocprim17ROCPRIM_400000_NS6detail17trampoline_kernelINS0_14default_configENS1_27scan_by_key_config_selectorIiiEEZZNS1_16scan_by_key_implILNS1_25lookback_scan_determinismE0ELb1ES3_N6thrust23THRUST_200600_302600_NS6detail15normal_iteratorINS9_10device_ptrIiEEEESE_SE_iNS9_4plusIvEENS9_8equal_toIiEEiEE10hipError_tPvRmT2_T3_T4_T5_mT6_T7_P12ihipStream_tbENKUlT_T0_E_clISt17integral_constantIbLb1EESY_IbLb0EEEEDaSU_SV_EUlSU_E_NS1_11comp_targetILNS1_3genE9ELNS1_11target_archE1100ELNS1_3gpuE3ELNS1_3repE0EEENS1_30default_config_static_selectorELNS0_4arch9wavefront6targetE1EEEvT1_
; %bb.0:
	.section	.rodata,"a",@progbits
	.p2align	6, 0x0
	.amdhsa_kernel _ZN7rocprim17ROCPRIM_400000_NS6detail17trampoline_kernelINS0_14default_configENS1_27scan_by_key_config_selectorIiiEEZZNS1_16scan_by_key_implILNS1_25lookback_scan_determinismE0ELb1ES3_N6thrust23THRUST_200600_302600_NS6detail15normal_iteratorINS9_10device_ptrIiEEEESE_SE_iNS9_4plusIvEENS9_8equal_toIiEEiEE10hipError_tPvRmT2_T3_T4_T5_mT6_T7_P12ihipStream_tbENKUlT_T0_E_clISt17integral_constantIbLb1EESY_IbLb0EEEEDaSU_SV_EUlSU_E_NS1_11comp_targetILNS1_3genE9ELNS1_11target_archE1100ELNS1_3gpuE3ELNS1_3repE0EEENS1_30default_config_static_selectorELNS0_4arch9wavefront6targetE1EEEvT1_
		.amdhsa_group_segment_fixed_size 0
		.amdhsa_private_segment_fixed_size 0
		.amdhsa_kernarg_size 112
		.amdhsa_user_sgpr_count 2
		.amdhsa_user_sgpr_dispatch_ptr 0
		.amdhsa_user_sgpr_queue_ptr 0
		.amdhsa_user_sgpr_kernarg_segment_ptr 1
		.amdhsa_user_sgpr_dispatch_id 0
		.amdhsa_user_sgpr_kernarg_preload_length 0
		.amdhsa_user_sgpr_kernarg_preload_offset 0
		.amdhsa_user_sgpr_private_segment_size 0
		.amdhsa_uses_dynamic_stack 0
		.amdhsa_enable_private_segment 0
		.amdhsa_system_sgpr_workgroup_id_x 1
		.amdhsa_system_sgpr_workgroup_id_y 0
		.amdhsa_system_sgpr_workgroup_id_z 0
		.amdhsa_system_sgpr_workgroup_info 0
		.amdhsa_system_vgpr_workitem_id 0
		.amdhsa_next_free_vgpr 1
		.amdhsa_next_free_sgpr 0
		.amdhsa_accum_offset 4
		.amdhsa_reserve_vcc 0
		.amdhsa_float_round_mode_32 0
		.amdhsa_float_round_mode_16_64 0
		.amdhsa_float_denorm_mode_32 3
		.amdhsa_float_denorm_mode_16_64 3
		.amdhsa_dx10_clamp 1
		.amdhsa_ieee_mode 1
		.amdhsa_fp16_overflow 0
		.amdhsa_tg_split 0
		.amdhsa_exception_fp_ieee_invalid_op 0
		.amdhsa_exception_fp_denorm_src 0
		.amdhsa_exception_fp_ieee_div_zero 0
		.amdhsa_exception_fp_ieee_overflow 0
		.amdhsa_exception_fp_ieee_underflow 0
		.amdhsa_exception_fp_ieee_inexact 0
		.amdhsa_exception_int_div_zero 0
	.end_amdhsa_kernel
	.section	.text._ZN7rocprim17ROCPRIM_400000_NS6detail17trampoline_kernelINS0_14default_configENS1_27scan_by_key_config_selectorIiiEEZZNS1_16scan_by_key_implILNS1_25lookback_scan_determinismE0ELb1ES3_N6thrust23THRUST_200600_302600_NS6detail15normal_iteratorINS9_10device_ptrIiEEEESE_SE_iNS9_4plusIvEENS9_8equal_toIiEEiEE10hipError_tPvRmT2_T3_T4_T5_mT6_T7_P12ihipStream_tbENKUlT_T0_E_clISt17integral_constantIbLb1EESY_IbLb0EEEEDaSU_SV_EUlSU_E_NS1_11comp_targetILNS1_3genE9ELNS1_11target_archE1100ELNS1_3gpuE3ELNS1_3repE0EEENS1_30default_config_static_selectorELNS0_4arch9wavefront6targetE1EEEvT1_,"axG",@progbits,_ZN7rocprim17ROCPRIM_400000_NS6detail17trampoline_kernelINS0_14default_configENS1_27scan_by_key_config_selectorIiiEEZZNS1_16scan_by_key_implILNS1_25lookback_scan_determinismE0ELb1ES3_N6thrust23THRUST_200600_302600_NS6detail15normal_iteratorINS9_10device_ptrIiEEEESE_SE_iNS9_4plusIvEENS9_8equal_toIiEEiEE10hipError_tPvRmT2_T3_T4_T5_mT6_T7_P12ihipStream_tbENKUlT_T0_E_clISt17integral_constantIbLb1EESY_IbLb0EEEEDaSU_SV_EUlSU_E_NS1_11comp_targetILNS1_3genE9ELNS1_11target_archE1100ELNS1_3gpuE3ELNS1_3repE0EEENS1_30default_config_static_selectorELNS0_4arch9wavefront6targetE1EEEvT1_,comdat
.Lfunc_end558:
	.size	_ZN7rocprim17ROCPRIM_400000_NS6detail17trampoline_kernelINS0_14default_configENS1_27scan_by_key_config_selectorIiiEEZZNS1_16scan_by_key_implILNS1_25lookback_scan_determinismE0ELb1ES3_N6thrust23THRUST_200600_302600_NS6detail15normal_iteratorINS9_10device_ptrIiEEEESE_SE_iNS9_4plusIvEENS9_8equal_toIiEEiEE10hipError_tPvRmT2_T3_T4_T5_mT6_T7_P12ihipStream_tbENKUlT_T0_E_clISt17integral_constantIbLb1EESY_IbLb0EEEEDaSU_SV_EUlSU_E_NS1_11comp_targetILNS1_3genE9ELNS1_11target_archE1100ELNS1_3gpuE3ELNS1_3repE0EEENS1_30default_config_static_selectorELNS0_4arch9wavefront6targetE1EEEvT1_, .Lfunc_end558-_ZN7rocprim17ROCPRIM_400000_NS6detail17trampoline_kernelINS0_14default_configENS1_27scan_by_key_config_selectorIiiEEZZNS1_16scan_by_key_implILNS1_25lookback_scan_determinismE0ELb1ES3_N6thrust23THRUST_200600_302600_NS6detail15normal_iteratorINS9_10device_ptrIiEEEESE_SE_iNS9_4plusIvEENS9_8equal_toIiEEiEE10hipError_tPvRmT2_T3_T4_T5_mT6_T7_P12ihipStream_tbENKUlT_T0_E_clISt17integral_constantIbLb1EESY_IbLb0EEEEDaSU_SV_EUlSU_E_NS1_11comp_targetILNS1_3genE9ELNS1_11target_archE1100ELNS1_3gpuE3ELNS1_3repE0EEENS1_30default_config_static_selectorELNS0_4arch9wavefront6targetE1EEEvT1_
                                        ; -- End function
	.section	.AMDGPU.csdata,"",@progbits
; Kernel info:
; codeLenInByte = 0
; NumSgprs: 6
; NumVgprs: 0
; NumAgprs: 0
; TotalNumVgprs: 0
; ScratchSize: 0
; MemoryBound: 0
; FloatMode: 240
; IeeeMode: 1
; LDSByteSize: 0 bytes/workgroup (compile time only)
; SGPRBlocks: 0
; VGPRBlocks: 0
; NumSGPRsForWavesPerEU: 6
; NumVGPRsForWavesPerEU: 1
; AccumOffset: 4
; Occupancy: 8
; WaveLimiterHint : 0
; COMPUTE_PGM_RSRC2:SCRATCH_EN: 0
; COMPUTE_PGM_RSRC2:USER_SGPR: 2
; COMPUTE_PGM_RSRC2:TRAP_HANDLER: 0
; COMPUTE_PGM_RSRC2:TGID_X_EN: 1
; COMPUTE_PGM_RSRC2:TGID_Y_EN: 0
; COMPUTE_PGM_RSRC2:TGID_Z_EN: 0
; COMPUTE_PGM_RSRC2:TIDIG_COMP_CNT: 0
; COMPUTE_PGM_RSRC3_GFX90A:ACCUM_OFFSET: 0
; COMPUTE_PGM_RSRC3_GFX90A:TG_SPLIT: 0
	.section	.text._ZN7rocprim17ROCPRIM_400000_NS6detail17trampoline_kernelINS0_14default_configENS1_27scan_by_key_config_selectorIiiEEZZNS1_16scan_by_key_implILNS1_25lookback_scan_determinismE0ELb1ES3_N6thrust23THRUST_200600_302600_NS6detail15normal_iteratorINS9_10device_ptrIiEEEESE_SE_iNS9_4plusIvEENS9_8equal_toIiEEiEE10hipError_tPvRmT2_T3_T4_T5_mT6_T7_P12ihipStream_tbENKUlT_T0_E_clISt17integral_constantIbLb1EESY_IbLb0EEEEDaSU_SV_EUlSU_E_NS1_11comp_targetILNS1_3genE8ELNS1_11target_archE1030ELNS1_3gpuE2ELNS1_3repE0EEENS1_30default_config_static_selectorELNS0_4arch9wavefront6targetE1EEEvT1_,"axG",@progbits,_ZN7rocprim17ROCPRIM_400000_NS6detail17trampoline_kernelINS0_14default_configENS1_27scan_by_key_config_selectorIiiEEZZNS1_16scan_by_key_implILNS1_25lookback_scan_determinismE0ELb1ES3_N6thrust23THRUST_200600_302600_NS6detail15normal_iteratorINS9_10device_ptrIiEEEESE_SE_iNS9_4plusIvEENS9_8equal_toIiEEiEE10hipError_tPvRmT2_T3_T4_T5_mT6_T7_P12ihipStream_tbENKUlT_T0_E_clISt17integral_constantIbLb1EESY_IbLb0EEEEDaSU_SV_EUlSU_E_NS1_11comp_targetILNS1_3genE8ELNS1_11target_archE1030ELNS1_3gpuE2ELNS1_3repE0EEENS1_30default_config_static_selectorELNS0_4arch9wavefront6targetE1EEEvT1_,comdat
	.protected	_ZN7rocprim17ROCPRIM_400000_NS6detail17trampoline_kernelINS0_14default_configENS1_27scan_by_key_config_selectorIiiEEZZNS1_16scan_by_key_implILNS1_25lookback_scan_determinismE0ELb1ES3_N6thrust23THRUST_200600_302600_NS6detail15normal_iteratorINS9_10device_ptrIiEEEESE_SE_iNS9_4plusIvEENS9_8equal_toIiEEiEE10hipError_tPvRmT2_T3_T4_T5_mT6_T7_P12ihipStream_tbENKUlT_T0_E_clISt17integral_constantIbLb1EESY_IbLb0EEEEDaSU_SV_EUlSU_E_NS1_11comp_targetILNS1_3genE8ELNS1_11target_archE1030ELNS1_3gpuE2ELNS1_3repE0EEENS1_30default_config_static_selectorELNS0_4arch9wavefront6targetE1EEEvT1_ ; -- Begin function _ZN7rocprim17ROCPRIM_400000_NS6detail17trampoline_kernelINS0_14default_configENS1_27scan_by_key_config_selectorIiiEEZZNS1_16scan_by_key_implILNS1_25lookback_scan_determinismE0ELb1ES3_N6thrust23THRUST_200600_302600_NS6detail15normal_iteratorINS9_10device_ptrIiEEEESE_SE_iNS9_4plusIvEENS9_8equal_toIiEEiEE10hipError_tPvRmT2_T3_T4_T5_mT6_T7_P12ihipStream_tbENKUlT_T0_E_clISt17integral_constantIbLb1EESY_IbLb0EEEEDaSU_SV_EUlSU_E_NS1_11comp_targetILNS1_3genE8ELNS1_11target_archE1030ELNS1_3gpuE2ELNS1_3repE0EEENS1_30default_config_static_selectorELNS0_4arch9wavefront6targetE1EEEvT1_
	.globl	_ZN7rocprim17ROCPRIM_400000_NS6detail17trampoline_kernelINS0_14default_configENS1_27scan_by_key_config_selectorIiiEEZZNS1_16scan_by_key_implILNS1_25lookback_scan_determinismE0ELb1ES3_N6thrust23THRUST_200600_302600_NS6detail15normal_iteratorINS9_10device_ptrIiEEEESE_SE_iNS9_4plusIvEENS9_8equal_toIiEEiEE10hipError_tPvRmT2_T3_T4_T5_mT6_T7_P12ihipStream_tbENKUlT_T0_E_clISt17integral_constantIbLb1EESY_IbLb0EEEEDaSU_SV_EUlSU_E_NS1_11comp_targetILNS1_3genE8ELNS1_11target_archE1030ELNS1_3gpuE2ELNS1_3repE0EEENS1_30default_config_static_selectorELNS0_4arch9wavefront6targetE1EEEvT1_
	.p2align	8
	.type	_ZN7rocprim17ROCPRIM_400000_NS6detail17trampoline_kernelINS0_14default_configENS1_27scan_by_key_config_selectorIiiEEZZNS1_16scan_by_key_implILNS1_25lookback_scan_determinismE0ELb1ES3_N6thrust23THRUST_200600_302600_NS6detail15normal_iteratorINS9_10device_ptrIiEEEESE_SE_iNS9_4plusIvEENS9_8equal_toIiEEiEE10hipError_tPvRmT2_T3_T4_T5_mT6_T7_P12ihipStream_tbENKUlT_T0_E_clISt17integral_constantIbLb1EESY_IbLb0EEEEDaSU_SV_EUlSU_E_NS1_11comp_targetILNS1_3genE8ELNS1_11target_archE1030ELNS1_3gpuE2ELNS1_3repE0EEENS1_30default_config_static_selectorELNS0_4arch9wavefront6targetE1EEEvT1_,@function
_ZN7rocprim17ROCPRIM_400000_NS6detail17trampoline_kernelINS0_14default_configENS1_27scan_by_key_config_selectorIiiEEZZNS1_16scan_by_key_implILNS1_25lookback_scan_determinismE0ELb1ES3_N6thrust23THRUST_200600_302600_NS6detail15normal_iteratorINS9_10device_ptrIiEEEESE_SE_iNS9_4plusIvEENS9_8equal_toIiEEiEE10hipError_tPvRmT2_T3_T4_T5_mT6_T7_P12ihipStream_tbENKUlT_T0_E_clISt17integral_constantIbLb1EESY_IbLb0EEEEDaSU_SV_EUlSU_E_NS1_11comp_targetILNS1_3genE8ELNS1_11target_archE1030ELNS1_3gpuE2ELNS1_3repE0EEENS1_30default_config_static_selectorELNS0_4arch9wavefront6targetE1EEEvT1_: ; @_ZN7rocprim17ROCPRIM_400000_NS6detail17trampoline_kernelINS0_14default_configENS1_27scan_by_key_config_selectorIiiEEZZNS1_16scan_by_key_implILNS1_25lookback_scan_determinismE0ELb1ES3_N6thrust23THRUST_200600_302600_NS6detail15normal_iteratorINS9_10device_ptrIiEEEESE_SE_iNS9_4plusIvEENS9_8equal_toIiEEiEE10hipError_tPvRmT2_T3_T4_T5_mT6_T7_P12ihipStream_tbENKUlT_T0_E_clISt17integral_constantIbLb1EESY_IbLb0EEEEDaSU_SV_EUlSU_E_NS1_11comp_targetILNS1_3genE8ELNS1_11target_archE1030ELNS1_3gpuE2ELNS1_3repE0EEENS1_30default_config_static_selectorELNS0_4arch9wavefront6targetE1EEEvT1_
; %bb.0:
	.section	.rodata,"a",@progbits
	.p2align	6, 0x0
	.amdhsa_kernel _ZN7rocprim17ROCPRIM_400000_NS6detail17trampoline_kernelINS0_14default_configENS1_27scan_by_key_config_selectorIiiEEZZNS1_16scan_by_key_implILNS1_25lookback_scan_determinismE0ELb1ES3_N6thrust23THRUST_200600_302600_NS6detail15normal_iteratorINS9_10device_ptrIiEEEESE_SE_iNS9_4plusIvEENS9_8equal_toIiEEiEE10hipError_tPvRmT2_T3_T4_T5_mT6_T7_P12ihipStream_tbENKUlT_T0_E_clISt17integral_constantIbLb1EESY_IbLb0EEEEDaSU_SV_EUlSU_E_NS1_11comp_targetILNS1_3genE8ELNS1_11target_archE1030ELNS1_3gpuE2ELNS1_3repE0EEENS1_30default_config_static_selectorELNS0_4arch9wavefront6targetE1EEEvT1_
		.amdhsa_group_segment_fixed_size 0
		.amdhsa_private_segment_fixed_size 0
		.amdhsa_kernarg_size 112
		.amdhsa_user_sgpr_count 2
		.amdhsa_user_sgpr_dispatch_ptr 0
		.amdhsa_user_sgpr_queue_ptr 0
		.amdhsa_user_sgpr_kernarg_segment_ptr 1
		.amdhsa_user_sgpr_dispatch_id 0
		.amdhsa_user_sgpr_kernarg_preload_length 0
		.amdhsa_user_sgpr_kernarg_preload_offset 0
		.amdhsa_user_sgpr_private_segment_size 0
		.amdhsa_uses_dynamic_stack 0
		.amdhsa_enable_private_segment 0
		.amdhsa_system_sgpr_workgroup_id_x 1
		.amdhsa_system_sgpr_workgroup_id_y 0
		.amdhsa_system_sgpr_workgroup_id_z 0
		.amdhsa_system_sgpr_workgroup_info 0
		.amdhsa_system_vgpr_workitem_id 0
		.amdhsa_next_free_vgpr 1
		.amdhsa_next_free_sgpr 0
		.amdhsa_accum_offset 4
		.amdhsa_reserve_vcc 0
		.amdhsa_float_round_mode_32 0
		.amdhsa_float_round_mode_16_64 0
		.amdhsa_float_denorm_mode_32 3
		.amdhsa_float_denorm_mode_16_64 3
		.amdhsa_dx10_clamp 1
		.amdhsa_ieee_mode 1
		.amdhsa_fp16_overflow 0
		.amdhsa_tg_split 0
		.amdhsa_exception_fp_ieee_invalid_op 0
		.amdhsa_exception_fp_denorm_src 0
		.amdhsa_exception_fp_ieee_div_zero 0
		.amdhsa_exception_fp_ieee_overflow 0
		.amdhsa_exception_fp_ieee_underflow 0
		.amdhsa_exception_fp_ieee_inexact 0
		.amdhsa_exception_int_div_zero 0
	.end_amdhsa_kernel
	.section	.text._ZN7rocprim17ROCPRIM_400000_NS6detail17trampoline_kernelINS0_14default_configENS1_27scan_by_key_config_selectorIiiEEZZNS1_16scan_by_key_implILNS1_25lookback_scan_determinismE0ELb1ES3_N6thrust23THRUST_200600_302600_NS6detail15normal_iteratorINS9_10device_ptrIiEEEESE_SE_iNS9_4plusIvEENS9_8equal_toIiEEiEE10hipError_tPvRmT2_T3_T4_T5_mT6_T7_P12ihipStream_tbENKUlT_T0_E_clISt17integral_constantIbLb1EESY_IbLb0EEEEDaSU_SV_EUlSU_E_NS1_11comp_targetILNS1_3genE8ELNS1_11target_archE1030ELNS1_3gpuE2ELNS1_3repE0EEENS1_30default_config_static_selectorELNS0_4arch9wavefront6targetE1EEEvT1_,"axG",@progbits,_ZN7rocprim17ROCPRIM_400000_NS6detail17trampoline_kernelINS0_14default_configENS1_27scan_by_key_config_selectorIiiEEZZNS1_16scan_by_key_implILNS1_25lookback_scan_determinismE0ELb1ES3_N6thrust23THRUST_200600_302600_NS6detail15normal_iteratorINS9_10device_ptrIiEEEESE_SE_iNS9_4plusIvEENS9_8equal_toIiEEiEE10hipError_tPvRmT2_T3_T4_T5_mT6_T7_P12ihipStream_tbENKUlT_T0_E_clISt17integral_constantIbLb1EESY_IbLb0EEEEDaSU_SV_EUlSU_E_NS1_11comp_targetILNS1_3genE8ELNS1_11target_archE1030ELNS1_3gpuE2ELNS1_3repE0EEENS1_30default_config_static_selectorELNS0_4arch9wavefront6targetE1EEEvT1_,comdat
.Lfunc_end559:
	.size	_ZN7rocprim17ROCPRIM_400000_NS6detail17trampoline_kernelINS0_14default_configENS1_27scan_by_key_config_selectorIiiEEZZNS1_16scan_by_key_implILNS1_25lookback_scan_determinismE0ELb1ES3_N6thrust23THRUST_200600_302600_NS6detail15normal_iteratorINS9_10device_ptrIiEEEESE_SE_iNS9_4plusIvEENS9_8equal_toIiEEiEE10hipError_tPvRmT2_T3_T4_T5_mT6_T7_P12ihipStream_tbENKUlT_T0_E_clISt17integral_constantIbLb1EESY_IbLb0EEEEDaSU_SV_EUlSU_E_NS1_11comp_targetILNS1_3genE8ELNS1_11target_archE1030ELNS1_3gpuE2ELNS1_3repE0EEENS1_30default_config_static_selectorELNS0_4arch9wavefront6targetE1EEEvT1_, .Lfunc_end559-_ZN7rocprim17ROCPRIM_400000_NS6detail17trampoline_kernelINS0_14default_configENS1_27scan_by_key_config_selectorIiiEEZZNS1_16scan_by_key_implILNS1_25lookback_scan_determinismE0ELb1ES3_N6thrust23THRUST_200600_302600_NS6detail15normal_iteratorINS9_10device_ptrIiEEEESE_SE_iNS9_4plusIvEENS9_8equal_toIiEEiEE10hipError_tPvRmT2_T3_T4_T5_mT6_T7_P12ihipStream_tbENKUlT_T0_E_clISt17integral_constantIbLb1EESY_IbLb0EEEEDaSU_SV_EUlSU_E_NS1_11comp_targetILNS1_3genE8ELNS1_11target_archE1030ELNS1_3gpuE2ELNS1_3repE0EEENS1_30default_config_static_selectorELNS0_4arch9wavefront6targetE1EEEvT1_
                                        ; -- End function
	.section	.AMDGPU.csdata,"",@progbits
; Kernel info:
; codeLenInByte = 0
; NumSgprs: 6
; NumVgprs: 0
; NumAgprs: 0
; TotalNumVgprs: 0
; ScratchSize: 0
; MemoryBound: 0
; FloatMode: 240
; IeeeMode: 1
; LDSByteSize: 0 bytes/workgroup (compile time only)
; SGPRBlocks: 0
; VGPRBlocks: 0
; NumSGPRsForWavesPerEU: 6
; NumVGPRsForWavesPerEU: 1
; AccumOffset: 4
; Occupancy: 8
; WaveLimiterHint : 0
; COMPUTE_PGM_RSRC2:SCRATCH_EN: 0
; COMPUTE_PGM_RSRC2:USER_SGPR: 2
; COMPUTE_PGM_RSRC2:TRAP_HANDLER: 0
; COMPUTE_PGM_RSRC2:TGID_X_EN: 1
; COMPUTE_PGM_RSRC2:TGID_Y_EN: 0
; COMPUTE_PGM_RSRC2:TGID_Z_EN: 0
; COMPUTE_PGM_RSRC2:TIDIG_COMP_CNT: 0
; COMPUTE_PGM_RSRC3_GFX90A:ACCUM_OFFSET: 0
; COMPUTE_PGM_RSRC3_GFX90A:TG_SPLIT: 0
	.section	.text._ZN7rocprim17ROCPRIM_400000_NS6detail17trampoline_kernelINS0_14default_configENS1_27scan_by_key_config_selectorIiiEEZZNS1_16scan_by_key_implILNS1_25lookback_scan_determinismE0ELb1ES3_N6thrust23THRUST_200600_302600_NS6detail15normal_iteratorINS9_10device_ptrIiEEEESE_SE_iNS9_4plusIvEENS9_8equal_toIiEEiEE10hipError_tPvRmT2_T3_T4_T5_mT6_T7_P12ihipStream_tbENKUlT_T0_E_clISt17integral_constantIbLb0EESY_IbLb1EEEEDaSU_SV_EUlSU_E_NS1_11comp_targetILNS1_3genE0ELNS1_11target_archE4294967295ELNS1_3gpuE0ELNS1_3repE0EEENS1_30default_config_static_selectorELNS0_4arch9wavefront6targetE1EEEvT1_,"axG",@progbits,_ZN7rocprim17ROCPRIM_400000_NS6detail17trampoline_kernelINS0_14default_configENS1_27scan_by_key_config_selectorIiiEEZZNS1_16scan_by_key_implILNS1_25lookback_scan_determinismE0ELb1ES3_N6thrust23THRUST_200600_302600_NS6detail15normal_iteratorINS9_10device_ptrIiEEEESE_SE_iNS9_4plusIvEENS9_8equal_toIiEEiEE10hipError_tPvRmT2_T3_T4_T5_mT6_T7_P12ihipStream_tbENKUlT_T0_E_clISt17integral_constantIbLb0EESY_IbLb1EEEEDaSU_SV_EUlSU_E_NS1_11comp_targetILNS1_3genE0ELNS1_11target_archE4294967295ELNS1_3gpuE0ELNS1_3repE0EEENS1_30default_config_static_selectorELNS0_4arch9wavefront6targetE1EEEvT1_,comdat
	.protected	_ZN7rocprim17ROCPRIM_400000_NS6detail17trampoline_kernelINS0_14default_configENS1_27scan_by_key_config_selectorIiiEEZZNS1_16scan_by_key_implILNS1_25lookback_scan_determinismE0ELb1ES3_N6thrust23THRUST_200600_302600_NS6detail15normal_iteratorINS9_10device_ptrIiEEEESE_SE_iNS9_4plusIvEENS9_8equal_toIiEEiEE10hipError_tPvRmT2_T3_T4_T5_mT6_T7_P12ihipStream_tbENKUlT_T0_E_clISt17integral_constantIbLb0EESY_IbLb1EEEEDaSU_SV_EUlSU_E_NS1_11comp_targetILNS1_3genE0ELNS1_11target_archE4294967295ELNS1_3gpuE0ELNS1_3repE0EEENS1_30default_config_static_selectorELNS0_4arch9wavefront6targetE1EEEvT1_ ; -- Begin function _ZN7rocprim17ROCPRIM_400000_NS6detail17trampoline_kernelINS0_14default_configENS1_27scan_by_key_config_selectorIiiEEZZNS1_16scan_by_key_implILNS1_25lookback_scan_determinismE0ELb1ES3_N6thrust23THRUST_200600_302600_NS6detail15normal_iteratorINS9_10device_ptrIiEEEESE_SE_iNS9_4plusIvEENS9_8equal_toIiEEiEE10hipError_tPvRmT2_T3_T4_T5_mT6_T7_P12ihipStream_tbENKUlT_T0_E_clISt17integral_constantIbLb0EESY_IbLb1EEEEDaSU_SV_EUlSU_E_NS1_11comp_targetILNS1_3genE0ELNS1_11target_archE4294967295ELNS1_3gpuE0ELNS1_3repE0EEENS1_30default_config_static_selectorELNS0_4arch9wavefront6targetE1EEEvT1_
	.globl	_ZN7rocprim17ROCPRIM_400000_NS6detail17trampoline_kernelINS0_14default_configENS1_27scan_by_key_config_selectorIiiEEZZNS1_16scan_by_key_implILNS1_25lookback_scan_determinismE0ELb1ES3_N6thrust23THRUST_200600_302600_NS6detail15normal_iteratorINS9_10device_ptrIiEEEESE_SE_iNS9_4plusIvEENS9_8equal_toIiEEiEE10hipError_tPvRmT2_T3_T4_T5_mT6_T7_P12ihipStream_tbENKUlT_T0_E_clISt17integral_constantIbLb0EESY_IbLb1EEEEDaSU_SV_EUlSU_E_NS1_11comp_targetILNS1_3genE0ELNS1_11target_archE4294967295ELNS1_3gpuE0ELNS1_3repE0EEENS1_30default_config_static_selectorELNS0_4arch9wavefront6targetE1EEEvT1_
	.p2align	8
	.type	_ZN7rocprim17ROCPRIM_400000_NS6detail17trampoline_kernelINS0_14default_configENS1_27scan_by_key_config_selectorIiiEEZZNS1_16scan_by_key_implILNS1_25lookback_scan_determinismE0ELb1ES3_N6thrust23THRUST_200600_302600_NS6detail15normal_iteratorINS9_10device_ptrIiEEEESE_SE_iNS9_4plusIvEENS9_8equal_toIiEEiEE10hipError_tPvRmT2_T3_T4_T5_mT6_T7_P12ihipStream_tbENKUlT_T0_E_clISt17integral_constantIbLb0EESY_IbLb1EEEEDaSU_SV_EUlSU_E_NS1_11comp_targetILNS1_3genE0ELNS1_11target_archE4294967295ELNS1_3gpuE0ELNS1_3repE0EEENS1_30default_config_static_selectorELNS0_4arch9wavefront6targetE1EEEvT1_,@function
_ZN7rocprim17ROCPRIM_400000_NS6detail17trampoline_kernelINS0_14default_configENS1_27scan_by_key_config_selectorIiiEEZZNS1_16scan_by_key_implILNS1_25lookback_scan_determinismE0ELb1ES3_N6thrust23THRUST_200600_302600_NS6detail15normal_iteratorINS9_10device_ptrIiEEEESE_SE_iNS9_4plusIvEENS9_8equal_toIiEEiEE10hipError_tPvRmT2_T3_T4_T5_mT6_T7_P12ihipStream_tbENKUlT_T0_E_clISt17integral_constantIbLb0EESY_IbLb1EEEEDaSU_SV_EUlSU_E_NS1_11comp_targetILNS1_3genE0ELNS1_11target_archE4294967295ELNS1_3gpuE0ELNS1_3repE0EEENS1_30default_config_static_selectorELNS0_4arch9wavefront6targetE1EEEvT1_: ; @_ZN7rocprim17ROCPRIM_400000_NS6detail17trampoline_kernelINS0_14default_configENS1_27scan_by_key_config_selectorIiiEEZZNS1_16scan_by_key_implILNS1_25lookback_scan_determinismE0ELb1ES3_N6thrust23THRUST_200600_302600_NS6detail15normal_iteratorINS9_10device_ptrIiEEEESE_SE_iNS9_4plusIvEENS9_8equal_toIiEEiEE10hipError_tPvRmT2_T3_T4_T5_mT6_T7_P12ihipStream_tbENKUlT_T0_E_clISt17integral_constantIbLb0EESY_IbLb1EEEEDaSU_SV_EUlSU_E_NS1_11comp_targetILNS1_3genE0ELNS1_11target_archE4294967295ELNS1_3gpuE0ELNS1_3repE0EEENS1_30default_config_static_selectorELNS0_4arch9wavefront6targetE1EEEvT1_
; %bb.0:
	.section	.rodata,"a",@progbits
	.p2align	6, 0x0
	.amdhsa_kernel _ZN7rocprim17ROCPRIM_400000_NS6detail17trampoline_kernelINS0_14default_configENS1_27scan_by_key_config_selectorIiiEEZZNS1_16scan_by_key_implILNS1_25lookback_scan_determinismE0ELb1ES3_N6thrust23THRUST_200600_302600_NS6detail15normal_iteratorINS9_10device_ptrIiEEEESE_SE_iNS9_4plusIvEENS9_8equal_toIiEEiEE10hipError_tPvRmT2_T3_T4_T5_mT6_T7_P12ihipStream_tbENKUlT_T0_E_clISt17integral_constantIbLb0EESY_IbLb1EEEEDaSU_SV_EUlSU_E_NS1_11comp_targetILNS1_3genE0ELNS1_11target_archE4294967295ELNS1_3gpuE0ELNS1_3repE0EEENS1_30default_config_static_selectorELNS0_4arch9wavefront6targetE1EEEvT1_
		.amdhsa_group_segment_fixed_size 0
		.amdhsa_private_segment_fixed_size 0
		.amdhsa_kernarg_size 112
		.amdhsa_user_sgpr_count 2
		.amdhsa_user_sgpr_dispatch_ptr 0
		.amdhsa_user_sgpr_queue_ptr 0
		.amdhsa_user_sgpr_kernarg_segment_ptr 1
		.amdhsa_user_sgpr_dispatch_id 0
		.amdhsa_user_sgpr_kernarg_preload_length 0
		.amdhsa_user_sgpr_kernarg_preload_offset 0
		.amdhsa_user_sgpr_private_segment_size 0
		.amdhsa_uses_dynamic_stack 0
		.amdhsa_enable_private_segment 0
		.amdhsa_system_sgpr_workgroup_id_x 1
		.amdhsa_system_sgpr_workgroup_id_y 0
		.amdhsa_system_sgpr_workgroup_id_z 0
		.amdhsa_system_sgpr_workgroup_info 0
		.amdhsa_system_vgpr_workitem_id 0
		.amdhsa_next_free_vgpr 1
		.amdhsa_next_free_sgpr 0
		.amdhsa_accum_offset 4
		.amdhsa_reserve_vcc 0
		.amdhsa_float_round_mode_32 0
		.amdhsa_float_round_mode_16_64 0
		.amdhsa_float_denorm_mode_32 3
		.amdhsa_float_denorm_mode_16_64 3
		.amdhsa_dx10_clamp 1
		.amdhsa_ieee_mode 1
		.amdhsa_fp16_overflow 0
		.amdhsa_tg_split 0
		.amdhsa_exception_fp_ieee_invalid_op 0
		.amdhsa_exception_fp_denorm_src 0
		.amdhsa_exception_fp_ieee_div_zero 0
		.amdhsa_exception_fp_ieee_overflow 0
		.amdhsa_exception_fp_ieee_underflow 0
		.amdhsa_exception_fp_ieee_inexact 0
		.amdhsa_exception_int_div_zero 0
	.end_amdhsa_kernel
	.section	.text._ZN7rocprim17ROCPRIM_400000_NS6detail17trampoline_kernelINS0_14default_configENS1_27scan_by_key_config_selectorIiiEEZZNS1_16scan_by_key_implILNS1_25lookback_scan_determinismE0ELb1ES3_N6thrust23THRUST_200600_302600_NS6detail15normal_iteratorINS9_10device_ptrIiEEEESE_SE_iNS9_4plusIvEENS9_8equal_toIiEEiEE10hipError_tPvRmT2_T3_T4_T5_mT6_T7_P12ihipStream_tbENKUlT_T0_E_clISt17integral_constantIbLb0EESY_IbLb1EEEEDaSU_SV_EUlSU_E_NS1_11comp_targetILNS1_3genE0ELNS1_11target_archE4294967295ELNS1_3gpuE0ELNS1_3repE0EEENS1_30default_config_static_selectorELNS0_4arch9wavefront6targetE1EEEvT1_,"axG",@progbits,_ZN7rocprim17ROCPRIM_400000_NS6detail17trampoline_kernelINS0_14default_configENS1_27scan_by_key_config_selectorIiiEEZZNS1_16scan_by_key_implILNS1_25lookback_scan_determinismE0ELb1ES3_N6thrust23THRUST_200600_302600_NS6detail15normal_iteratorINS9_10device_ptrIiEEEESE_SE_iNS9_4plusIvEENS9_8equal_toIiEEiEE10hipError_tPvRmT2_T3_T4_T5_mT6_T7_P12ihipStream_tbENKUlT_T0_E_clISt17integral_constantIbLb0EESY_IbLb1EEEEDaSU_SV_EUlSU_E_NS1_11comp_targetILNS1_3genE0ELNS1_11target_archE4294967295ELNS1_3gpuE0ELNS1_3repE0EEENS1_30default_config_static_selectorELNS0_4arch9wavefront6targetE1EEEvT1_,comdat
.Lfunc_end560:
	.size	_ZN7rocprim17ROCPRIM_400000_NS6detail17trampoline_kernelINS0_14default_configENS1_27scan_by_key_config_selectorIiiEEZZNS1_16scan_by_key_implILNS1_25lookback_scan_determinismE0ELb1ES3_N6thrust23THRUST_200600_302600_NS6detail15normal_iteratorINS9_10device_ptrIiEEEESE_SE_iNS9_4plusIvEENS9_8equal_toIiEEiEE10hipError_tPvRmT2_T3_T4_T5_mT6_T7_P12ihipStream_tbENKUlT_T0_E_clISt17integral_constantIbLb0EESY_IbLb1EEEEDaSU_SV_EUlSU_E_NS1_11comp_targetILNS1_3genE0ELNS1_11target_archE4294967295ELNS1_3gpuE0ELNS1_3repE0EEENS1_30default_config_static_selectorELNS0_4arch9wavefront6targetE1EEEvT1_, .Lfunc_end560-_ZN7rocprim17ROCPRIM_400000_NS6detail17trampoline_kernelINS0_14default_configENS1_27scan_by_key_config_selectorIiiEEZZNS1_16scan_by_key_implILNS1_25lookback_scan_determinismE0ELb1ES3_N6thrust23THRUST_200600_302600_NS6detail15normal_iteratorINS9_10device_ptrIiEEEESE_SE_iNS9_4plusIvEENS9_8equal_toIiEEiEE10hipError_tPvRmT2_T3_T4_T5_mT6_T7_P12ihipStream_tbENKUlT_T0_E_clISt17integral_constantIbLb0EESY_IbLb1EEEEDaSU_SV_EUlSU_E_NS1_11comp_targetILNS1_3genE0ELNS1_11target_archE4294967295ELNS1_3gpuE0ELNS1_3repE0EEENS1_30default_config_static_selectorELNS0_4arch9wavefront6targetE1EEEvT1_
                                        ; -- End function
	.section	.AMDGPU.csdata,"",@progbits
; Kernel info:
; codeLenInByte = 0
; NumSgprs: 6
; NumVgprs: 0
; NumAgprs: 0
; TotalNumVgprs: 0
; ScratchSize: 0
; MemoryBound: 0
; FloatMode: 240
; IeeeMode: 1
; LDSByteSize: 0 bytes/workgroup (compile time only)
; SGPRBlocks: 0
; VGPRBlocks: 0
; NumSGPRsForWavesPerEU: 6
; NumVGPRsForWavesPerEU: 1
; AccumOffset: 4
; Occupancy: 8
; WaveLimiterHint : 0
; COMPUTE_PGM_RSRC2:SCRATCH_EN: 0
; COMPUTE_PGM_RSRC2:USER_SGPR: 2
; COMPUTE_PGM_RSRC2:TRAP_HANDLER: 0
; COMPUTE_PGM_RSRC2:TGID_X_EN: 1
; COMPUTE_PGM_RSRC2:TGID_Y_EN: 0
; COMPUTE_PGM_RSRC2:TGID_Z_EN: 0
; COMPUTE_PGM_RSRC2:TIDIG_COMP_CNT: 0
; COMPUTE_PGM_RSRC3_GFX90A:ACCUM_OFFSET: 0
; COMPUTE_PGM_RSRC3_GFX90A:TG_SPLIT: 0
	.section	.text._ZN7rocprim17ROCPRIM_400000_NS6detail17trampoline_kernelINS0_14default_configENS1_27scan_by_key_config_selectorIiiEEZZNS1_16scan_by_key_implILNS1_25lookback_scan_determinismE0ELb1ES3_N6thrust23THRUST_200600_302600_NS6detail15normal_iteratorINS9_10device_ptrIiEEEESE_SE_iNS9_4plusIvEENS9_8equal_toIiEEiEE10hipError_tPvRmT2_T3_T4_T5_mT6_T7_P12ihipStream_tbENKUlT_T0_E_clISt17integral_constantIbLb0EESY_IbLb1EEEEDaSU_SV_EUlSU_E_NS1_11comp_targetILNS1_3genE10ELNS1_11target_archE1201ELNS1_3gpuE5ELNS1_3repE0EEENS1_30default_config_static_selectorELNS0_4arch9wavefront6targetE1EEEvT1_,"axG",@progbits,_ZN7rocprim17ROCPRIM_400000_NS6detail17trampoline_kernelINS0_14default_configENS1_27scan_by_key_config_selectorIiiEEZZNS1_16scan_by_key_implILNS1_25lookback_scan_determinismE0ELb1ES3_N6thrust23THRUST_200600_302600_NS6detail15normal_iteratorINS9_10device_ptrIiEEEESE_SE_iNS9_4plusIvEENS9_8equal_toIiEEiEE10hipError_tPvRmT2_T3_T4_T5_mT6_T7_P12ihipStream_tbENKUlT_T0_E_clISt17integral_constantIbLb0EESY_IbLb1EEEEDaSU_SV_EUlSU_E_NS1_11comp_targetILNS1_3genE10ELNS1_11target_archE1201ELNS1_3gpuE5ELNS1_3repE0EEENS1_30default_config_static_selectorELNS0_4arch9wavefront6targetE1EEEvT1_,comdat
	.protected	_ZN7rocprim17ROCPRIM_400000_NS6detail17trampoline_kernelINS0_14default_configENS1_27scan_by_key_config_selectorIiiEEZZNS1_16scan_by_key_implILNS1_25lookback_scan_determinismE0ELb1ES3_N6thrust23THRUST_200600_302600_NS6detail15normal_iteratorINS9_10device_ptrIiEEEESE_SE_iNS9_4plusIvEENS9_8equal_toIiEEiEE10hipError_tPvRmT2_T3_T4_T5_mT6_T7_P12ihipStream_tbENKUlT_T0_E_clISt17integral_constantIbLb0EESY_IbLb1EEEEDaSU_SV_EUlSU_E_NS1_11comp_targetILNS1_3genE10ELNS1_11target_archE1201ELNS1_3gpuE5ELNS1_3repE0EEENS1_30default_config_static_selectorELNS0_4arch9wavefront6targetE1EEEvT1_ ; -- Begin function _ZN7rocprim17ROCPRIM_400000_NS6detail17trampoline_kernelINS0_14default_configENS1_27scan_by_key_config_selectorIiiEEZZNS1_16scan_by_key_implILNS1_25lookback_scan_determinismE0ELb1ES3_N6thrust23THRUST_200600_302600_NS6detail15normal_iteratorINS9_10device_ptrIiEEEESE_SE_iNS9_4plusIvEENS9_8equal_toIiEEiEE10hipError_tPvRmT2_T3_T4_T5_mT6_T7_P12ihipStream_tbENKUlT_T0_E_clISt17integral_constantIbLb0EESY_IbLb1EEEEDaSU_SV_EUlSU_E_NS1_11comp_targetILNS1_3genE10ELNS1_11target_archE1201ELNS1_3gpuE5ELNS1_3repE0EEENS1_30default_config_static_selectorELNS0_4arch9wavefront6targetE1EEEvT1_
	.globl	_ZN7rocprim17ROCPRIM_400000_NS6detail17trampoline_kernelINS0_14default_configENS1_27scan_by_key_config_selectorIiiEEZZNS1_16scan_by_key_implILNS1_25lookback_scan_determinismE0ELb1ES3_N6thrust23THRUST_200600_302600_NS6detail15normal_iteratorINS9_10device_ptrIiEEEESE_SE_iNS9_4plusIvEENS9_8equal_toIiEEiEE10hipError_tPvRmT2_T3_T4_T5_mT6_T7_P12ihipStream_tbENKUlT_T0_E_clISt17integral_constantIbLb0EESY_IbLb1EEEEDaSU_SV_EUlSU_E_NS1_11comp_targetILNS1_3genE10ELNS1_11target_archE1201ELNS1_3gpuE5ELNS1_3repE0EEENS1_30default_config_static_selectorELNS0_4arch9wavefront6targetE1EEEvT1_
	.p2align	8
	.type	_ZN7rocprim17ROCPRIM_400000_NS6detail17trampoline_kernelINS0_14default_configENS1_27scan_by_key_config_selectorIiiEEZZNS1_16scan_by_key_implILNS1_25lookback_scan_determinismE0ELb1ES3_N6thrust23THRUST_200600_302600_NS6detail15normal_iteratorINS9_10device_ptrIiEEEESE_SE_iNS9_4plusIvEENS9_8equal_toIiEEiEE10hipError_tPvRmT2_T3_T4_T5_mT6_T7_P12ihipStream_tbENKUlT_T0_E_clISt17integral_constantIbLb0EESY_IbLb1EEEEDaSU_SV_EUlSU_E_NS1_11comp_targetILNS1_3genE10ELNS1_11target_archE1201ELNS1_3gpuE5ELNS1_3repE0EEENS1_30default_config_static_selectorELNS0_4arch9wavefront6targetE1EEEvT1_,@function
_ZN7rocprim17ROCPRIM_400000_NS6detail17trampoline_kernelINS0_14default_configENS1_27scan_by_key_config_selectorIiiEEZZNS1_16scan_by_key_implILNS1_25lookback_scan_determinismE0ELb1ES3_N6thrust23THRUST_200600_302600_NS6detail15normal_iteratorINS9_10device_ptrIiEEEESE_SE_iNS9_4plusIvEENS9_8equal_toIiEEiEE10hipError_tPvRmT2_T3_T4_T5_mT6_T7_P12ihipStream_tbENKUlT_T0_E_clISt17integral_constantIbLb0EESY_IbLb1EEEEDaSU_SV_EUlSU_E_NS1_11comp_targetILNS1_3genE10ELNS1_11target_archE1201ELNS1_3gpuE5ELNS1_3repE0EEENS1_30default_config_static_selectorELNS0_4arch9wavefront6targetE1EEEvT1_: ; @_ZN7rocprim17ROCPRIM_400000_NS6detail17trampoline_kernelINS0_14default_configENS1_27scan_by_key_config_selectorIiiEEZZNS1_16scan_by_key_implILNS1_25lookback_scan_determinismE0ELb1ES3_N6thrust23THRUST_200600_302600_NS6detail15normal_iteratorINS9_10device_ptrIiEEEESE_SE_iNS9_4plusIvEENS9_8equal_toIiEEiEE10hipError_tPvRmT2_T3_T4_T5_mT6_T7_P12ihipStream_tbENKUlT_T0_E_clISt17integral_constantIbLb0EESY_IbLb1EEEEDaSU_SV_EUlSU_E_NS1_11comp_targetILNS1_3genE10ELNS1_11target_archE1201ELNS1_3gpuE5ELNS1_3repE0EEENS1_30default_config_static_selectorELNS0_4arch9wavefront6targetE1EEEvT1_
; %bb.0:
	.section	.rodata,"a",@progbits
	.p2align	6, 0x0
	.amdhsa_kernel _ZN7rocprim17ROCPRIM_400000_NS6detail17trampoline_kernelINS0_14default_configENS1_27scan_by_key_config_selectorIiiEEZZNS1_16scan_by_key_implILNS1_25lookback_scan_determinismE0ELb1ES3_N6thrust23THRUST_200600_302600_NS6detail15normal_iteratorINS9_10device_ptrIiEEEESE_SE_iNS9_4plusIvEENS9_8equal_toIiEEiEE10hipError_tPvRmT2_T3_T4_T5_mT6_T7_P12ihipStream_tbENKUlT_T0_E_clISt17integral_constantIbLb0EESY_IbLb1EEEEDaSU_SV_EUlSU_E_NS1_11comp_targetILNS1_3genE10ELNS1_11target_archE1201ELNS1_3gpuE5ELNS1_3repE0EEENS1_30default_config_static_selectorELNS0_4arch9wavefront6targetE1EEEvT1_
		.amdhsa_group_segment_fixed_size 0
		.amdhsa_private_segment_fixed_size 0
		.amdhsa_kernarg_size 112
		.amdhsa_user_sgpr_count 2
		.amdhsa_user_sgpr_dispatch_ptr 0
		.amdhsa_user_sgpr_queue_ptr 0
		.amdhsa_user_sgpr_kernarg_segment_ptr 1
		.amdhsa_user_sgpr_dispatch_id 0
		.amdhsa_user_sgpr_kernarg_preload_length 0
		.amdhsa_user_sgpr_kernarg_preload_offset 0
		.amdhsa_user_sgpr_private_segment_size 0
		.amdhsa_uses_dynamic_stack 0
		.amdhsa_enable_private_segment 0
		.amdhsa_system_sgpr_workgroup_id_x 1
		.amdhsa_system_sgpr_workgroup_id_y 0
		.amdhsa_system_sgpr_workgroup_id_z 0
		.amdhsa_system_sgpr_workgroup_info 0
		.amdhsa_system_vgpr_workitem_id 0
		.amdhsa_next_free_vgpr 1
		.amdhsa_next_free_sgpr 0
		.amdhsa_accum_offset 4
		.amdhsa_reserve_vcc 0
		.amdhsa_float_round_mode_32 0
		.amdhsa_float_round_mode_16_64 0
		.amdhsa_float_denorm_mode_32 3
		.amdhsa_float_denorm_mode_16_64 3
		.amdhsa_dx10_clamp 1
		.amdhsa_ieee_mode 1
		.amdhsa_fp16_overflow 0
		.amdhsa_tg_split 0
		.amdhsa_exception_fp_ieee_invalid_op 0
		.amdhsa_exception_fp_denorm_src 0
		.amdhsa_exception_fp_ieee_div_zero 0
		.amdhsa_exception_fp_ieee_overflow 0
		.amdhsa_exception_fp_ieee_underflow 0
		.amdhsa_exception_fp_ieee_inexact 0
		.amdhsa_exception_int_div_zero 0
	.end_amdhsa_kernel
	.section	.text._ZN7rocprim17ROCPRIM_400000_NS6detail17trampoline_kernelINS0_14default_configENS1_27scan_by_key_config_selectorIiiEEZZNS1_16scan_by_key_implILNS1_25lookback_scan_determinismE0ELb1ES3_N6thrust23THRUST_200600_302600_NS6detail15normal_iteratorINS9_10device_ptrIiEEEESE_SE_iNS9_4plusIvEENS9_8equal_toIiEEiEE10hipError_tPvRmT2_T3_T4_T5_mT6_T7_P12ihipStream_tbENKUlT_T0_E_clISt17integral_constantIbLb0EESY_IbLb1EEEEDaSU_SV_EUlSU_E_NS1_11comp_targetILNS1_3genE10ELNS1_11target_archE1201ELNS1_3gpuE5ELNS1_3repE0EEENS1_30default_config_static_selectorELNS0_4arch9wavefront6targetE1EEEvT1_,"axG",@progbits,_ZN7rocprim17ROCPRIM_400000_NS6detail17trampoline_kernelINS0_14default_configENS1_27scan_by_key_config_selectorIiiEEZZNS1_16scan_by_key_implILNS1_25lookback_scan_determinismE0ELb1ES3_N6thrust23THRUST_200600_302600_NS6detail15normal_iteratorINS9_10device_ptrIiEEEESE_SE_iNS9_4plusIvEENS9_8equal_toIiEEiEE10hipError_tPvRmT2_T3_T4_T5_mT6_T7_P12ihipStream_tbENKUlT_T0_E_clISt17integral_constantIbLb0EESY_IbLb1EEEEDaSU_SV_EUlSU_E_NS1_11comp_targetILNS1_3genE10ELNS1_11target_archE1201ELNS1_3gpuE5ELNS1_3repE0EEENS1_30default_config_static_selectorELNS0_4arch9wavefront6targetE1EEEvT1_,comdat
.Lfunc_end561:
	.size	_ZN7rocprim17ROCPRIM_400000_NS6detail17trampoline_kernelINS0_14default_configENS1_27scan_by_key_config_selectorIiiEEZZNS1_16scan_by_key_implILNS1_25lookback_scan_determinismE0ELb1ES3_N6thrust23THRUST_200600_302600_NS6detail15normal_iteratorINS9_10device_ptrIiEEEESE_SE_iNS9_4plusIvEENS9_8equal_toIiEEiEE10hipError_tPvRmT2_T3_T4_T5_mT6_T7_P12ihipStream_tbENKUlT_T0_E_clISt17integral_constantIbLb0EESY_IbLb1EEEEDaSU_SV_EUlSU_E_NS1_11comp_targetILNS1_3genE10ELNS1_11target_archE1201ELNS1_3gpuE5ELNS1_3repE0EEENS1_30default_config_static_selectorELNS0_4arch9wavefront6targetE1EEEvT1_, .Lfunc_end561-_ZN7rocprim17ROCPRIM_400000_NS6detail17trampoline_kernelINS0_14default_configENS1_27scan_by_key_config_selectorIiiEEZZNS1_16scan_by_key_implILNS1_25lookback_scan_determinismE0ELb1ES3_N6thrust23THRUST_200600_302600_NS6detail15normal_iteratorINS9_10device_ptrIiEEEESE_SE_iNS9_4plusIvEENS9_8equal_toIiEEiEE10hipError_tPvRmT2_T3_T4_T5_mT6_T7_P12ihipStream_tbENKUlT_T0_E_clISt17integral_constantIbLb0EESY_IbLb1EEEEDaSU_SV_EUlSU_E_NS1_11comp_targetILNS1_3genE10ELNS1_11target_archE1201ELNS1_3gpuE5ELNS1_3repE0EEENS1_30default_config_static_selectorELNS0_4arch9wavefront6targetE1EEEvT1_
                                        ; -- End function
	.section	.AMDGPU.csdata,"",@progbits
; Kernel info:
; codeLenInByte = 0
; NumSgprs: 6
; NumVgprs: 0
; NumAgprs: 0
; TotalNumVgprs: 0
; ScratchSize: 0
; MemoryBound: 0
; FloatMode: 240
; IeeeMode: 1
; LDSByteSize: 0 bytes/workgroup (compile time only)
; SGPRBlocks: 0
; VGPRBlocks: 0
; NumSGPRsForWavesPerEU: 6
; NumVGPRsForWavesPerEU: 1
; AccumOffset: 4
; Occupancy: 8
; WaveLimiterHint : 0
; COMPUTE_PGM_RSRC2:SCRATCH_EN: 0
; COMPUTE_PGM_RSRC2:USER_SGPR: 2
; COMPUTE_PGM_RSRC2:TRAP_HANDLER: 0
; COMPUTE_PGM_RSRC2:TGID_X_EN: 1
; COMPUTE_PGM_RSRC2:TGID_Y_EN: 0
; COMPUTE_PGM_RSRC2:TGID_Z_EN: 0
; COMPUTE_PGM_RSRC2:TIDIG_COMP_CNT: 0
; COMPUTE_PGM_RSRC3_GFX90A:ACCUM_OFFSET: 0
; COMPUTE_PGM_RSRC3_GFX90A:TG_SPLIT: 0
	.section	.text._ZN7rocprim17ROCPRIM_400000_NS6detail17trampoline_kernelINS0_14default_configENS1_27scan_by_key_config_selectorIiiEEZZNS1_16scan_by_key_implILNS1_25lookback_scan_determinismE0ELb1ES3_N6thrust23THRUST_200600_302600_NS6detail15normal_iteratorINS9_10device_ptrIiEEEESE_SE_iNS9_4plusIvEENS9_8equal_toIiEEiEE10hipError_tPvRmT2_T3_T4_T5_mT6_T7_P12ihipStream_tbENKUlT_T0_E_clISt17integral_constantIbLb0EESY_IbLb1EEEEDaSU_SV_EUlSU_E_NS1_11comp_targetILNS1_3genE5ELNS1_11target_archE942ELNS1_3gpuE9ELNS1_3repE0EEENS1_30default_config_static_selectorELNS0_4arch9wavefront6targetE1EEEvT1_,"axG",@progbits,_ZN7rocprim17ROCPRIM_400000_NS6detail17trampoline_kernelINS0_14default_configENS1_27scan_by_key_config_selectorIiiEEZZNS1_16scan_by_key_implILNS1_25lookback_scan_determinismE0ELb1ES3_N6thrust23THRUST_200600_302600_NS6detail15normal_iteratorINS9_10device_ptrIiEEEESE_SE_iNS9_4plusIvEENS9_8equal_toIiEEiEE10hipError_tPvRmT2_T3_T4_T5_mT6_T7_P12ihipStream_tbENKUlT_T0_E_clISt17integral_constantIbLb0EESY_IbLb1EEEEDaSU_SV_EUlSU_E_NS1_11comp_targetILNS1_3genE5ELNS1_11target_archE942ELNS1_3gpuE9ELNS1_3repE0EEENS1_30default_config_static_selectorELNS0_4arch9wavefront6targetE1EEEvT1_,comdat
	.protected	_ZN7rocprim17ROCPRIM_400000_NS6detail17trampoline_kernelINS0_14default_configENS1_27scan_by_key_config_selectorIiiEEZZNS1_16scan_by_key_implILNS1_25lookback_scan_determinismE0ELb1ES3_N6thrust23THRUST_200600_302600_NS6detail15normal_iteratorINS9_10device_ptrIiEEEESE_SE_iNS9_4plusIvEENS9_8equal_toIiEEiEE10hipError_tPvRmT2_T3_T4_T5_mT6_T7_P12ihipStream_tbENKUlT_T0_E_clISt17integral_constantIbLb0EESY_IbLb1EEEEDaSU_SV_EUlSU_E_NS1_11comp_targetILNS1_3genE5ELNS1_11target_archE942ELNS1_3gpuE9ELNS1_3repE0EEENS1_30default_config_static_selectorELNS0_4arch9wavefront6targetE1EEEvT1_ ; -- Begin function _ZN7rocprim17ROCPRIM_400000_NS6detail17trampoline_kernelINS0_14default_configENS1_27scan_by_key_config_selectorIiiEEZZNS1_16scan_by_key_implILNS1_25lookback_scan_determinismE0ELb1ES3_N6thrust23THRUST_200600_302600_NS6detail15normal_iteratorINS9_10device_ptrIiEEEESE_SE_iNS9_4plusIvEENS9_8equal_toIiEEiEE10hipError_tPvRmT2_T3_T4_T5_mT6_T7_P12ihipStream_tbENKUlT_T0_E_clISt17integral_constantIbLb0EESY_IbLb1EEEEDaSU_SV_EUlSU_E_NS1_11comp_targetILNS1_3genE5ELNS1_11target_archE942ELNS1_3gpuE9ELNS1_3repE0EEENS1_30default_config_static_selectorELNS0_4arch9wavefront6targetE1EEEvT1_
	.globl	_ZN7rocprim17ROCPRIM_400000_NS6detail17trampoline_kernelINS0_14default_configENS1_27scan_by_key_config_selectorIiiEEZZNS1_16scan_by_key_implILNS1_25lookback_scan_determinismE0ELb1ES3_N6thrust23THRUST_200600_302600_NS6detail15normal_iteratorINS9_10device_ptrIiEEEESE_SE_iNS9_4plusIvEENS9_8equal_toIiEEiEE10hipError_tPvRmT2_T3_T4_T5_mT6_T7_P12ihipStream_tbENKUlT_T0_E_clISt17integral_constantIbLb0EESY_IbLb1EEEEDaSU_SV_EUlSU_E_NS1_11comp_targetILNS1_3genE5ELNS1_11target_archE942ELNS1_3gpuE9ELNS1_3repE0EEENS1_30default_config_static_selectorELNS0_4arch9wavefront6targetE1EEEvT1_
	.p2align	8
	.type	_ZN7rocprim17ROCPRIM_400000_NS6detail17trampoline_kernelINS0_14default_configENS1_27scan_by_key_config_selectorIiiEEZZNS1_16scan_by_key_implILNS1_25lookback_scan_determinismE0ELb1ES3_N6thrust23THRUST_200600_302600_NS6detail15normal_iteratorINS9_10device_ptrIiEEEESE_SE_iNS9_4plusIvEENS9_8equal_toIiEEiEE10hipError_tPvRmT2_T3_T4_T5_mT6_T7_P12ihipStream_tbENKUlT_T0_E_clISt17integral_constantIbLb0EESY_IbLb1EEEEDaSU_SV_EUlSU_E_NS1_11comp_targetILNS1_3genE5ELNS1_11target_archE942ELNS1_3gpuE9ELNS1_3repE0EEENS1_30default_config_static_selectorELNS0_4arch9wavefront6targetE1EEEvT1_,@function
_ZN7rocprim17ROCPRIM_400000_NS6detail17trampoline_kernelINS0_14default_configENS1_27scan_by_key_config_selectorIiiEEZZNS1_16scan_by_key_implILNS1_25lookback_scan_determinismE0ELb1ES3_N6thrust23THRUST_200600_302600_NS6detail15normal_iteratorINS9_10device_ptrIiEEEESE_SE_iNS9_4plusIvEENS9_8equal_toIiEEiEE10hipError_tPvRmT2_T3_T4_T5_mT6_T7_P12ihipStream_tbENKUlT_T0_E_clISt17integral_constantIbLb0EESY_IbLb1EEEEDaSU_SV_EUlSU_E_NS1_11comp_targetILNS1_3genE5ELNS1_11target_archE942ELNS1_3gpuE9ELNS1_3repE0EEENS1_30default_config_static_selectorELNS0_4arch9wavefront6targetE1EEEvT1_: ; @_ZN7rocprim17ROCPRIM_400000_NS6detail17trampoline_kernelINS0_14default_configENS1_27scan_by_key_config_selectorIiiEEZZNS1_16scan_by_key_implILNS1_25lookback_scan_determinismE0ELb1ES3_N6thrust23THRUST_200600_302600_NS6detail15normal_iteratorINS9_10device_ptrIiEEEESE_SE_iNS9_4plusIvEENS9_8equal_toIiEEiEE10hipError_tPvRmT2_T3_T4_T5_mT6_T7_P12ihipStream_tbENKUlT_T0_E_clISt17integral_constantIbLb0EESY_IbLb1EEEEDaSU_SV_EUlSU_E_NS1_11comp_targetILNS1_3genE5ELNS1_11target_archE942ELNS1_3gpuE9ELNS1_3repE0EEENS1_30default_config_static_selectorELNS0_4arch9wavefront6targetE1EEEvT1_
; %bb.0:
	s_load_dword s74, s[0:1], 0x20
	s_load_dwordx4 s[64:67], s[0:1], 0x28
	s_load_dwordx2 s[72:73], s[0:1], 0x38
	v_cmp_ne_u32_e64 s[4:5], 0, v0
	v_cmp_eq_u32_e64 s[52:53], 0, v0
	s_and_saveexec_b64 s[2:3], s[52:53]
	s_cbranch_execz .LBB562_4
; %bb.1:
	s_mov_b64 s[8:9], exec
	v_mbcnt_lo_u32_b32 v1, s8, 0
	v_mbcnt_hi_u32_b32 v1, s9, v1
	v_cmp_eq_u32_e32 vcc, 0, v1
                                        ; implicit-def: $vgpr2
	s_and_saveexec_b64 s[6:7], vcc
	s_cbranch_execz .LBB562_3
; %bb.2:
	s_load_dwordx2 s[10:11], s[0:1], 0x68
	s_bcnt1_i32_b64 s8, s[8:9]
	v_mov_b32_e32 v2, 0
	v_mov_b32_e32 v3, s8
	s_waitcnt lgkmcnt(0)
	global_atomic_add v2, v2, v3, s[10:11] sc0
.LBB562_3:
	s_or_b64 exec, exec, s[6:7]
	s_waitcnt vmcnt(0)
	v_readfirstlane_b32 s6, v2
	v_mov_b32_e32 v2, 0
	s_nop 0
	v_add_u32_e32 v1, s6, v1
	ds_write_b32 v2, v1
.LBB562_4:
	s_or_b64 exec, exec, s[2:3]
	s_load_dwordx8 s[56:63], s[0:1], 0x0
	s_load_dword s2, s[0:1], 0x40
	s_load_dwordx4 s[68:71], s[0:1], 0x48
	v_mov_b32_e32 v7, 0
	s_waitcnt lgkmcnt(0)
	s_lshl_b64 s[54:55], s[58:59], 2
	s_barrier
	ds_read_b32 v6, v7
	s_add_u32 s0, s56, s54
	s_addc_u32 s1, s57, s55
	s_add_u32 s6, s60, s54
	s_mul_i32 s3, s73, s2
	s_mul_hi_u32 s8, s72, s2
	s_addc_u32 s7, s61, s55
	s_add_i32 s3, s8, s3
	s_movk_i32 s8, 0x1700
	s_waitcnt lgkmcnt(0)
	v_mul_lo_u32 v2, v6, s8
	v_mov_b32_e32 v3, v7
	v_lshlrev_b64 v[10:11], 2, v[2:3]
	s_mul_i32 s2, s72, s2
	v_lshl_add_u64 v[2:3], s[6:7], 0, v[10:11]
	s_add_u32 s6, s68, -1
	v_readfirstlane_b32 s67, v6
	v_lshl_add_u64 v[6:7], s[2:3], 0, v[6:7]
	s_addc_u32 s7, s69, -1
	v_cmp_le_u64_e64 s[2:3], s[6:7], v[6:7]
	v_lshl_add_u64 v[4:5], s[0:1], 0, v[10:11]
	s_mov_b64 s[0:1], -1
	s_and_b64 vcc, exec, s[2:3]
	s_mul_i32 s33, s6, 0xffffe900
	s_barrier
	s_barrier
	s_cbranch_vccz .LBB562_75
; %bb.5:
	flat_load_dword v1, v[4:5]
	s_add_i32 s60, s33, s66
	v_cmp_gt_u32_e32 vcc, s60, v0
	s_waitcnt vmcnt(0) lgkmcnt(0)
	v_mov_b32_e32 v8, v1
	s_and_saveexec_b64 s[0:1], vcc
	s_cbranch_execz .LBB562_7
; %bb.6:
	v_lshlrev_b32_e32 v6, 2, v0
	v_mov_b32_e32 v7, 0
	v_lshl_add_u64 v[6:7], v[4:5], 0, v[6:7]
	flat_load_dword v8, v[6:7]
.LBB562_7:
	s_or_b64 exec, exec, s[0:1]
	v_or_b32_e32 v6, 0x100, v0
	v_cmp_gt_u32_e64 s[6:7], s60, v6
	v_mov_b32_e32 v9, v1
	s_and_saveexec_b64 s[0:1], s[6:7]
	s_cbranch_execz .LBB562_9
; %bb.8:
	v_lshlrev_b32_e32 v6, 2, v0
	v_mov_b32_e32 v7, 0
	v_lshl_add_u64 v[6:7], v[4:5], 0, v[6:7]
	flat_load_dword v9, v[6:7] offset:1024
.LBB562_9:
	s_or_b64 exec, exec, s[0:1]
	v_or_b32_e32 v6, 0x200, v0
	v_cmp_gt_u32_e64 s[8:9], s60, v6
	v_mov_b32_e32 v49, v1
	s_and_saveexec_b64 s[0:1], s[8:9]
	s_cbranch_execz .LBB562_11
; %bb.10:
	v_lshlrev_b32_e32 v6, 2, v0
	v_mov_b32_e32 v7, 0
	v_lshl_add_u64 v[6:7], v[4:5], 0, v[6:7]
	flat_load_dword v49, v[6:7] offset:2048
.LBB562_11:
	;; [unrolled: 12-line block ×3, first 2 shown]
	s_or_b64 exec, exec, s[0:1]
	v_or_b32_e32 v6, 0x400, v0
	v_cmp_gt_u32_e64 s[12:13], s60, v6
	v_lshlrev_b32_e32 v6, 2, v6
	v_mov_b32_e32 v7, v1
	s_and_saveexec_b64 s[0:1], s[12:13]
	s_cbranch_execz .LBB562_15
; %bb.14:
	v_mov_b32_e32 v7, 0
	v_lshl_add_u64 v[12:13], v[4:5], 0, v[6:7]
	flat_load_dword v7, v[12:13]
.LBB562_15:
	s_or_b64 exec, exec, s[0:1]
	v_or_b32_e32 v12, 0x500, v0
	v_cmp_gt_u32_e64 s[14:15], s60, v12
	v_lshlrev_b32_e32 v12, 2, v12
	v_mov_b32_e32 v13, v1
	s_and_saveexec_b64 s[0:1], s[14:15]
	s_cbranch_execz .LBB562_17
; %bb.16:
	v_mov_b32_e32 v13, 0
	v_lshl_add_u64 v[14:15], v[4:5], 0, v[12:13]
	flat_load_dword v13, v[14:15]
.LBB562_17:
	;; [unrolled: 12-line block ×18, first 2 shown]
	s_or_b64 exec, exec, s[0:1]
	v_or_b32_e32 v46, 0x1600, v0
	v_cmp_gt_u32_e64 s[50:51], s60, v46
	v_lshlrev_b32_e32 v46, 2, v46
	s_and_saveexec_b64 s[0:1], s[50:51]
	s_cbranch_execz .LBB562_51
; %bb.50:
	v_mov_b32_e32 v47, 0
	v_lshl_add_u64 v[52:53], v[4:5], 0, v[46:47]
	flat_load_dword v1, v[52:53]
.LBB562_51:
	s_or_b64 exec, exec, s[0:1]
	v_lshlrev_b32_e32 v48, 2, v0
	s_waitcnt vmcnt(0) lgkmcnt(0)
	ds_write2st64_b32 v48, v8, v9 offset1:4
	ds_write2st64_b32 v48, v49, v50 offset0:8 offset1:12
	ds_write2st64_b32 v48, v7, v13 offset0:16 offset1:20
	;; [unrolled: 1-line block ×10, first 2 shown]
	ds_write_b32 v48, v1 offset:22528
	s_waitcnt lgkmcnt(0)
	s_barrier
	flat_load_dword v1, v[4:5]
	s_movk_i32 s0, 0x58
	v_mad_u32_u24 v76, v0, s0, v48
	s_movk_i32 s0, 0xffa8
	v_mad_i32_i24 v7, v0, s0, v76
	s_movk_i32 s0, 0xff
	v_cmp_ne_u32_e64 s[0:1], s0, v0
	ds_read_b32 v78, v76
	ds_read2_b32 v[74:75], v76 offset0:1 offset1:2
	ds_read2_b32 v[72:73], v76 offset0:3 offset1:4
	ds_read2_b32 v[70:71], v76 offset0:5 offset1:6
	ds_read2_b32 v[68:69], v76 offset0:7 offset1:8
	ds_read2_b32 v[66:67], v76 offset0:9 offset1:10
	ds_read2_b32 v[64:65], v76 offset0:11 offset1:12
	ds_read2_b32 v[62:63], v76 offset0:13 offset1:14
	ds_read2_b32 v[60:61], v76 offset0:15 offset1:16
	ds_read2_b32 v[58:59], v76 offset0:17 offset1:18
	ds_read2_b32 v[56:57], v76 offset0:19 offset1:20
	ds_read2_b32 v[8:9], v76 offset0:21 offset1:22
	s_waitcnt lgkmcnt(0)
	ds_write_b32 v7, v78 offset:24576
	s_waitcnt lgkmcnt(0)
	s_barrier
	s_and_saveexec_b64 s[56:57], s[0:1]
	s_cbranch_execz .LBB562_53
; %bb.52:
	s_waitcnt vmcnt(0)
	ds_read_b32 v1, v48 offset:24580
.LBB562_53:
	s_or_b64 exec, exec, s[56:57]
	v_mov_b32_e32 v49, 0
	s_waitcnt lgkmcnt(0)
	s_barrier
	s_waitcnt lgkmcnt(0)
                                        ; implicit-def: $vgpr50
	s_and_saveexec_b64 s[0:1], vcc
	s_cbranch_execz .LBB562_76
; %bb.54:
	v_lshl_add_u64 v[50:51], v[2:3], 0, v[48:49]
	flat_load_dword v50, v[50:51]
	s_or_b64 exec, exec, s[0:1]
                                        ; implicit-def: $vgpr51
	s_and_saveexec_b64 s[0:1], s[6:7]
	s_cbranch_execnz .LBB562_77
.LBB562_55:
	s_or_b64 exec, exec, s[0:1]
                                        ; implicit-def: $vgpr52
	s_and_saveexec_b64 s[0:1], s[8:9]
	s_cbranch_execz .LBB562_78
.LBB562_56:
	v_mov_b32_e32 v49, 0
	v_lshl_add_u64 v[52:53], v[2:3], 0, v[48:49]
	flat_load_dword v52, v[52:53] offset:2048
	s_or_b64 exec, exec, s[0:1]
                                        ; implicit-def: $vgpr49
	s_and_saveexec_b64 s[0:1], s[10:11]
	s_cbranch_execnz .LBB562_79
.LBB562_57:
	s_or_b64 exec, exec, s[0:1]
                                        ; implicit-def: $vgpr7
	s_and_saveexec_b64 s[0:1], s[12:13]
	s_cbranch_execz .LBB562_80
.LBB562_58:
	v_mov_b32_e32 v7, 0
	v_lshl_add_u64 v[6:7], v[2:3], 0, v[6:7]
	flat_load_dword v7, v[6:7]
	s_or_b64 exec, exec, s[0:1]
                                        ; implicit-def: $vgpr6
	s_and_saveexec_b64 s[0:1], s[14:15]
	s_cbranch_execnz .LBB562_81
.LBB562_59:
	s_or_b64 exec, exec, s[0:1]
                                        ; implicit-def: $vgpr12
	s_and_saveexec_b64 s[0:1], s[16:17]
	s_cbranch_execz .LBB562_82
.LBB562_60:
	v_mov_b32_e32 v15, 0
	v_lshl_add_u64 v[12:13], v[2:3], 0, v[14:15]
	flat_load_dword v12, v[12:13]
	s_or_b64 exec, exec, s[0:1]
                                        ; implicit-def: $vgpr13
	s_and_saveexec_b64 s[0:1], s[18:19]
	s_cbranch_execnz .LBB562_83
.LBB562_61:
	s_or_b64 exec, exec, s[0:1]
                                        ; implicit-def: $vgpr14
	s_and_saveexec_b64 s[0:1], s[20:21]
	s_cbranch_execz .LBB562_84
.LBB562_62:
	v_mov_b32_e32 v19, 0
	v_lshl_add_u64 v[14:15], v[2:3], 0, v[18:19]
	flat_load_dword v14, v[14:15]
	s_or_b64 exec, exec, s[0:1]
                                        ; implicit-def: $vgpr15
	s_and_saveexec_b64 s[0:1], s[22:23]
	s_cbranch_execnz .LBB562_85
.LBB562_63:
	s_or_b64 exec, exec, s[0:1]
                                        ; implicit-def: $vgpr16
	s_and_saveexec_b64 s[0:1], s[24:25]
	s_cbranch_execz .LBB562_86
.LBB562_64:
	v_mov_b32_e32 v23, 0
	v_lshl_add_u64 v[16:17], v[2:3], 0, v[22:23]
	flat_load_dword v16, v[16:17]
	s_or_b64 exec, exec, s[0:1]
                                        ; implicit-def: $vgpr17
	s_and_saveexec_b64 s[0:1], s[26:27]
	s_cbranch_execnz .LBB562_87
.LBB562_65:
	s_or_b64 exec, exec, s[0:1]
                                        ; implicit-def: $vgpr18
	s_and_saveexec_b64 s[0:1], s[28:29]
	s_cbranch_execz .LBB562_88
.LBB562_66:
	v_mov_b32_e32 v27, 0
	v_lshl_add_u64 v[18:19], v[2:3], 0, v[26:27]
	flat_load_dword v18, v[18:19]
	s_or_b64 exec, exec, s[0:1]
                                        ; implicit-def: $vgpr19
	s_and_saveexec_b64 s[0:1], s[30:31]
	s_cbranch_execnz .LBB562_89
.LBB562_67:
	s_or_b64 exec, exec, s[0:1]
                                        ; implicit-def: $vgpr20
	s_and_saveexec_b64 s[0:1], s[34:35]
	s_cbranch_execz .LBB562_90
.LBB562_68:
	v_mov_b32_e32 v31, 0
	v_lshl_add_u64 v[20:21], v[2:3], 0, v[30:31]
	flat_load_dword v20, v[20:21]
	s_or_b64 exec, exec, s[0:1]
                                        ; implicit-def: $vgpr21
	s_and_saveexec_b64 s[0:1], s[36:37]
	s_cbranch_execnz .LBB562_91
.LBB562_69:
	s_or_b64 exec, exec, s[0:1]
                                        ; implicit-def: $vgpr22
	s_and_saveexec_b64 s[0:1], s[38:39]
	s_cbranch_execz .LBB562_92
.LBB562_70:
	v_mov_b32_e32 v35, 0
	v_lshl_add_u64 v[22:23], v[2:3], 0, v[34:35]
	flat_load_dword v22, v[22:23]
	s_or_b64 exec, exec, s[0:1]
                                        ; implicit-def: $vgpr23
	s_and_saveexec_b64 s[0:1], s[40:41]
	s_cbranch_execnz .LBB562_93
.LBB562_71:
	s_or_b64 exec, exec, s[0:1]
                                        ; implicit-def: $vgpr24
	s_and_saveexec_b64 s[0:1], s[42:43]
	s_cbranch_execz .LBB562_94
.LBB562_72:
	v_mov_b32_e32 v39, 0
	v_lshl_add_u64 v[24:25], v[2:3], 0, v[38:39]
	flat_load_dword v24, v[24:25]
	s_or_b64 exec, exec, s[0:1]
                                        ; implicit-def: $vgpr25
	s_and_saveexec_b64 s[0:1], s[44:45]
	s_cbranch_execnz .LBB562_95
.LBB562_73:
	s_or_b64 exec, exec, s[0:1]
                                        ; implicit-def: $vgpr26
	s_and_saveexec_b64 s[0:1], s[46:47]
	s_cbranch_execz .LBB562_96
.LBB562_74:
	v_mov_b32_e32 v43, 0
	v_lshl_add_u64 v[26:27], v[2:3], 0, v[42:43]
	flat_load_dword v26, v[26:27]
	s_or_b64 exec, exec, s[0:1]
                                        ; implicit-def: $vgpr27
	s_and_saveexec_b64 s[0:1], s[48:49]
	s_cbranch_execz .LBB562_98
	s_branch .LBB562_97
.LBB562_75:
	s_mov_b64 s[10:11], 0
                                        ; implicit-def: $sgpr8_sgpr9
                                        ; implicit-def: $vgpr6
                                        ; implicit-def: $vgpr12_vgpr13
                                        ; implicit-def: $vgpr14_vgpr15
                                        ; implicit-def: $vgpr16_vgpr17
                                        ; implicit-def: $vgpr18_vgpr19
                                        ; implicit-def: $vgpr20_vgpr21
                                        ; implicit-def: $vgpr22_vgpr23
                                        ; implicit-def: $vgpr24_vgpr25
                                        ; implicit-def: $vgpr26_vgpr27
                                        ; implicit-def: $vgpr28_vgpr29
                                        ; implicit-def: $vgpr30_vgpr31
                                        ; implicit-def: $vgpr32_vgpr33
                                        ; implicit-def: $vgpr34_vgpr35
                                        ; implicit-def: $vgpr36_vgpr37
                                        ; implicit-def: $vgpr38_vgpr39
                                        ; implicit-def: $vgpr40_vgpr41
                                        ; implicit-def: $vgpr42_vgpr43
                                        ; implicit-def: $vgpr44_vgpr45
                                        ; implicit-def: $vgpr46_vgpr47
                                        ; implicit-def: $vgpr48_vgpr49
                                        ; implicit-def: $vgpr50_vgpr51
                                        ; implicit-def: $vgpr52_vgpr53
                                        ; implicit-def: $vgpr54_vgpr55
                                        ; implicit-def: $sgpr6_sgpr7
	s_and_b64 vcc, exec, s[0:1]
	v_lshlrev_b32_e32 v56, 2, v0
	s_cbranch_vccz .LBB562_152
	s_branch .LBB562_147
.LBB562_76:
	s_or_b64 exec, exec, s[0:1]
                                        ; implicit-def: $vgpr51
	s_and_saveexec_b64 s[0:1], s[6:7]
	s_cbranch_execz .LBB562_55
.LBB562_77:
	v_mov_b32_e32 v49, 0
	v_lshl_add_u64 v[52:53], v[2:3], 0, v[48:49]
	flat_load_dword v51, v[52:53] offset:1024
	s_or_b64 exec, exec, s[0:1]
                                        ; implicit-def: $vgpr52
	s_and_saveexec_b64 s[0:1], s[8:9]
	s_cbranch_execnz .LBB562_56
.LBB562_78:
	s_or_b64 exec, exec, s[0:1]
                                        ; implicit-def: $vgpr49
	s_and_saveexec_b64 s[0:1], s[10:11]
	s_cbranch_execz .LBB562_57
.LBB562_79:
	v_mov_b32_e32 v49, 0
	v_lshl_add_u64 v[54:55], v[2:3], 0, v[48:49]
	flat_load_dword v49, v[54:55] offset:3072
	s_or_b64 exec, exec, s[0:1]
                                        ; implicit-def: $vgpr7
	s_and_saveexec_b64 s[0:1], s[12:13]
	s_cbranch_execnz .LBB562_58
.LBB562_80:
	s_or_b64 exec, exec, s[0:1]
                                        ; implicit-def: $vgpr6
	s_and_saveexec_b64 s[0:1], s[14:15]
	s_cbranch_execz .LBB562_59
.LBB562_81:
	v_mov_b32_e32 v13, 0
	v_lshl_add_u64 v[12:13], v[2:3], 0, v[12:13]
	flat_load_dword v6, v[12:13]
	s_or_b64 exec, exec, s[0:1]
                                        ; implicit-def: $vgpr12
	s_and_saveexec_b64 s[0:1], s[16:17]
	s_cbranch_execnz .LBB562_60
.LBB562_82:
	s_or_b64 exec, exec, s[0:1]
                                        ; implicit-def: $vgpr13
	s_and_saveexec_b64 s[0:1], s[18:19]
	s_cbranch_execz .LBB562_61
.LBB562_83:
	v_mov_b32_e32 v17, 0
	v_lshl_add_u64 v[14:15], v[2:3], 0, v[16:17]
	flat_load_dword v13, v[14:15]
	s_or_b64 exec, exec, s[0:1]
                                        ; implicit-def: $vgpr14
	s_and_saveexec_b64 s[0:1], s[20:21]
	s_cbranch_execnz .LBB562_62
.LBB562_84:
	s_or_b64 exec, exec, s[0:1]
                                        ; implicit-def: $vgpr15
	s_and_saveexec_b64 s[0:1], s[22:23]
	s_cbranch_execz .LBB562_63
.LBB562_85:
	v_mov_b32_e32 v21, 0
	v_lshl_add_u64 v[16:17], v[2:3], 0, v[20:21]
	flat_load_dword v15, v[16:17]
	s_or_b64 exec, exec, s[0:1]
                                        ; implicit-def: $vgpr16
	s_and_saveexec_b64 s[0:1], s[24:25]
	s_cbranch_execnz .LBB562_64
.LBB562_86:
	s_or_b64 exec, exec, s[0:1]
                                        ; implicit-def: $vgpr17
	s_and_saveexec_b64 s[0:1], s[26:27]
	s_cbranch_execz .LBB562_65
.LBB562_87:
	v_mov_b32_e32 v25, 0
	v_lshl_add_u64 v[18:19], v[2:3], 0, v[24:25]
	flat_load_dword v17, v[18:19]
	s_or_b64 exec, exec, s[0:1]
                                        ; implicit-def: $vgpr18
	s_and_saveexec_b64 s[0:1], s[28:29]
	s_cbranch_execnz .LBB562_66
.LBB562_88:
	s_or_b64 exec, exec, s[0:1]
                                        ; implicit-def: $vgpr19
	s_and_saveexec_b64 s[0:1], s[30:31]
	s_cbranch_execz .LBB562_67
.LBB562_89:
	v_mov_b32_e32 v29, 0
	v_lshl_add_u64 v[20:21], v[2:3], 0, v[28:29]
	flat_load_dword v19, v[20:21]
	s_or_b64 exec, exec, s[0:1]
                                        ; implicit-def: $vgpr20
	s_and_saveexec_b64 s[0:1], s[34:35]
	s_cbranch_execnz .LBB562_68
.LBB562_90:
	s_or_b64 exec, exec, s[0:1]
                                        ; implicit-def: $vgpr21
	s_and_saveexec_b64 s[0:1], s[36:37]
	s_cbranch_execz .LBB562_69
.LBB562_91:
	v_mov_b32_e32 v33, 0
	v_lshl_add_u64 v[22:23], v[2:3], 0, v[32:33]
	flat_load_dword v21, v[22:23]
	s_or_b64 exec, exec, s[0:1]
                                        ; implicit-def: $vgpr22
	s_and_saveexec_b64 s[0:1], s[38:39]
	s_cbranch_execnz .LBB562_70
.LBB562_92:
	s_or_b64 exec, exec, s[0:1]
                                        ; implicit-def: $vgpr23
	s_and_saveexec_b64 s[0:1], s[40:41]
	s_cbranch_execz .LBB562_71
.LBB562_93:
	v_mov_b32_e32 v37, 0
	v_lshl_add_u64 v[24:25], v[2:3], 0, v[36:37]
	flat_load_dword v23, v[24:25]
	s_or_b64 exec, exec, s[0:1]
                                        ; implicit-def: $vgpr24
	s_and_saveexec_b64 s[0:1], s[42:43]
	s_cbranch_execnz .LBB562_72
.LBB562_94:
	s_or_b64 exec, exec, s[0:1]
                                        ; implicit-def: $vgpr25
	s_and_saveexec_b64 s[0:1], s[44:45]
	s_cbranch_execz .LBB562_73
.LBB562_95:
	v_mov_b32_e32 v41, 0
	v_lshl_add_u64 v[26:27], v[2:3], 0, v[40:41]
	flat_load_dword v25, v[26:27]
	s_or_b64 exec, exec, s[0:1]
                                        ; implicit-def: $vgpr26
	s_and_saveexec_b64 s[0:1], s[46:47]
	s_cbranch_execnz .LBB562_74
.LBB562_96:
	s_or_b64 exec, exec, s[0:1]
                                        ; implicit-def: $vgpr27
	s_and_saveexec_b64 s[0:1], s[48:49]
	s_cbranch_execz .LBB562_98
.LBB562_97:
	v_mov_b32_e32 v45, 0
	v_lshl_add_u64 v[28:29], v[2:3], 0, v[44:45]
	flat_load_dword v27, v[28:29]
.LBB562_98:
	s_or_b64 exec, exec, s[0:1]
	v_mul_u32_u24_e32 v77, 23, v0
                                        ; implicit-def: $vgpr28
	s_and_saveexec_b64 s[0:1], s[50:51]
	s_cbranch_execz .LBB562_100
; %bb.99:
	v_mov_b32_e32 v47, 0
	v_lshl_add_u64 v[28:29], v[2:3], 0, v[46:47]
	flat_load_dword v28, v[28:29]
.LBB562_100:
	s_or_b64 exec, exec, s[0:1]
	s_waitcnt vmcnt(0) lgkmcnt(0)
	ds_write2st64_b32 v48, v50, v51 offset1:4
	ds_write2st64_b32 v48, v52, v49 offset0:8 offset1:12
	ds_write2st64_b32 v48, v7, v6 offset0:16 offset1:20
	;; [unrolled: 1-line block ×10, first 2 shown]
	ds_write_b32 v48, v28 offset:22528
	v_mov_b64_e32 v[12:13], 0
	v_cmp_gt_u32_e32 vcc, s60, v77
	s_mov_b64 s[10:11], 0
	s_mov_b64 s[0:1], 0
	v_mov_b64_e32 v[14:15], v[12:13]
	v_mov_b64_e32 v[16:17], v[12:13]
	;; [unrolled: 1-line block ×21, first 2 shown]
	s_waitcnt lgkmcnt(0)
	s_barrier
	s_waitcnt lgkmcnt(0)
                                        ; implicit-def: $sgpr8_sgpr9
                                        ; implicit-def: $vgpr6
	s_and_saveexec_b64 s[6:7], vcc
	s_cbranch_execz .LBB562_146
; %bb.101:
	ds_read_b32 v6, v76
	v_mov_b32_e32 v12, s74
	v_cmp_eq_u32_e32 vcc, v78, v74
	v_add_u32_e32 v7, 1, v77
	v_mov_b64_e32 v[14:15], 0
	s_waitcnt lgkmcnt(0)
	v_cndmask_b32_e32 v12, v12, v6, vcc
	v_cmp_ne_u32_e32 vcc, v78, v74
	s_mov_b64 s[12:13], 0
	v_mov_b64_e32 v[16:17], v[14:15]
	v_cndmask_b32_e64 v13, 0, 1, vcc
	v_cmp_gt_u32_e32 vcc, s60, v7
	v_mov_b64_e32 v[18:19], v[14:15]
	v_mov_b64_e32 v[20:21], v[14:15]
	;; [unrolled: 1-line block ×19, first 2 shown]
                                        ; implicit-def: $sgpr14_sgpr15
                                        ; implicit-def: $vgpr6
	s_and_saveexec_b64 s[8:9], vcc
	s_cbranch_execz .LBB562_145
; %bb.102:
	ds_read2_b32 v[6:7], v76 offset0:1 offset1:2
	v_mov_b32_e32 v14, s74
	v_cmp_eq_u32_e32 vcc, v74, v75
	v_add_u32_e32 v16, 2, v77
	s_mov_b64 s[14:15], 0
	s_waitcnt lgkmcnt(0)
	v_cndmask_b32_e32 v14, v14, v6, vcc
	v_cmp_ne_u32_e32 vcc, v74, v75
                                        ; implicit-def: $sgpr16_sgpr17
                                        ; implicit-def: $vgpr6
	s_nop 1
	v_cndmask_b32_e64 v15, 0, 1, vcc
	v_cmp_gt_u32_e32 vcc, s60, v16
	v_mov_b64_e32 v[16:17], 0
	v_mov_b64_e32 v[18:19], v[16:17]
	;; [unrolled: 1-line block ×20, first 2 shown]
	s_and_saveexec_b64 s[10:11], vcc
	s_cbranch_execz .LBB562_144
; %bb.103:
	v_mov_b32_e32 v16, s74
	v_cmp_eq_u32_e32 vcc, v75, v72
	v_add_u32_e32 v6, 3, v77
	v_mov_b64_e32 v[18:19], 0
	v_cndmask_b32_e32 v16, v16, v7, vcc
	v_cmp_ne_u32_e32 vcc, v75, v72
	s_mov_b64 s[16:17], 0
	v_mov_b64_e32 v[20:21], v[18:19]
	v_cndmask_b32_e64 v17, 0, 1, vcc
	v_cmp_gt_u32_e32 vcc, s60, v6
	v_mov_b64_e32 v[22:23], v[18:19]
	v_mov_b64_e32 v[24:25], v[18:19]
	;; [unrolled: 1-line block ×17, first 2 shown]
                                        ; implicit-def: $sgpr18_sgpr19
                                        ; implicit-def: $vgpr6
	s_and_saveexec_b64 s[12:13], vcc
	s_cbranch_execz .LBB562_143
; %bb.104:
	ds_read2_b32 v[6:7], v76 offset0:3 offset1:4
	v_mov_b32_e32 v18, s74
	v_cmp_eq_u32_e32 vcc, v72, v73
	v_add_u32_e32 v20, 4, v77
	s_mov_b64 s[18:19], 0
	s_waitcnt lgkmcnt(0)
	v_cndmask_b32_e32 v18, v18, v6, vcc
	v_cmp_ne_u32_e32 vcc, v72, v73
                                        ; implicit-def: $sgpr20_sgpr21
                                        ; implicit-def: $vgpr6
	s_nop 1
	v_cndmask_b32_e64 v19, 0, 1, vcc
	v_cmp_gt_u32_e32 vcc, s60, v20
	v_mov_b64_e32 v[20:21], 0
	v_mov_b64_e32 v[22:23], v[20:21]
	;; [unrolled: 1-line block ×18, first 2 shown]
	s_and_saveexec_b64 s[14:15], vcc
	s_cbranch_execz .LBB562_142
; %bb.105:
	v_mov_b32_e32 v20, s74
	v_cmp_eq_u32_e32 vcc, v73, v70
	v_add_u32_e32 v6, 5, v77
	v_mov_b64_e32 v[22:23], 0
	v_cndmask_b32_e32 v20, v20, v7, vcc
	v_cmp_ne_u32_e32 vcc, v73, v70
	s_mov_b64 s[20:21], 0
	v_mov_b64_e32 v[24:25], v[22:23]
	v_cndmask_b32_e64 v21, 0, 1, vcc
	v_cmp_gt_u32_e32 vcc, s60, v6
	v_mov_b64_e32 v[26:27], v[22:23]
	v_mov_b64_e32 v[28:29], v[22:23]
	;; [unrolled: 1-line block ×15, first 2 shown]
                                        ; implicit-def: $sgpr22_sgpr23
                                        ; implicit-def: $vgpr6
	s_and_saveexec_b64 s[16:17], vcc
	s_cbranch_execz .LBB562_141
; %bb.106:
	ds_read2_b32 v[6:7], v76 offset0:5 offset1:6
	v_mov_b32_e32 v22, s74
	v_cmp_eq_u32_e32 vcc, v70, v71
	v_add_u32_e32 v24, 6, v77
	s_mov_b64 s[22:23], 0
	s_waitcnt lgkmcnt(0)
	v_cndmask_b32_e32 v22, v22, v6, vcc
	v_cmp_ne_u32_e32 vcc, v70, v71
                                        ; implicit-def: $sgpr24_sgpr25
                                        ; implicit-def: $vgpr6
	s_nop 1
	v_cndmask_b32_e64 v23, 0, 1, vcc
	v_cmp_gt_u32_e32 vcc, s60, v24
	v_mov_b64_e32 v[24:25], 0
	v_mov_b64_e32 v[26:27], v[24:25]
	;; [unrolled: 1-line block ×16, first 2 shown]
	s_and_saveexec_b64 s[18:19], vcc
	s_cbranch_execz .LBB562_140
; %bb.107:
	v_mov_b32_e32 v24, s74
	v_cmp_eq_u32_e32 vcc, v71, v68
	v_add_u32_e32 v6, 7, v77
	v_mov_b64_e32 v[26:27], 0
	v_cndmask_b32_e32 v24, v24, v7, vcc
	v_cmp_ne_u32_e32 vcc, v71, v68
	s_mov_b64 s[24:25], 0
	v_mov_b64_e32 v[28:29], v[26:27]
	v_cndmask_b32_e64 v25, 0, 1, vcc
	v_cmp_gt_u32_e32 vcc, s60, v6
	v_mov_b64_e32 v[30:31], v[26:27]
	v_mov_b64_e32 v[32:33], v[26:27]
	;; [unrolled: 1-line block ×13, first 2 shown]
                                        ; implicit-def: $sgpr26_sgpr27
                                        ; implicit-def: $vgpr6
	s_and_saveexec_b64 s[20:21], vcc
	s_cbranch_execz .LBB562_139
; %bb.108:
	ds_read2_b32 v[6:7], v76 offset0:7 offset1:8
	v_mov_b32_e32 v26, s74
	v_cmp_eq_u32_e32 vcc, v68, v69
	v_add_u32_e32 v28, 8, v77
	s_mov_b64 s[26:27], 0
	s_waitcnt lgkmcnt(0)
	v_cndmask_b32_e32 v26, v26, v6, vcc
	v_cmp_ne_u32_e32 vcc, v68, v69
                                        ; implicit-def: $sgpr28_sgpr29
                                        ; implicit-def: $vgpr6
	s_nop 1
	v_cndmask_b32_e64 v27, 0, 1, vcc
	v_cmp_gt_u32_e32 vcc, s60, v28
	v_mov_b64_e32 v[28:29], 0
	v_mov_b64_e32 v[30:31], v[28:29]
	;; [unrolled: 1-line block ×14, first 2 shown]
	s_and_saveexec_b64 s[22:23], vcc
	s_cbranch_execz .LBB562_138
; %bb.109:
	v_mov_b32_e32 v28, s74
	v_cmp_eq_u32_e32 vcc, v69, v66
	v_add_u32_e32 v6, 9, v77
	v_mov_b64_e32 v[30:31], 0
	v_cndmask_b32_e32 v28, v28, v7, vcc
	v_cmp_ne_u32_e32 vcc, v69, v66
	s_mov_b64 s[28:29], 0
	v_mov_b64_e32 v[32:33], v[30:31]
	v_cndmask_b32_e64 v29, 0, 1, vcc
	v_cmp_gt_u32_e32 vcc, s60, v6
	v_mov_b64_e32 v[34:35], v[30:31]
	v_mov_b64_e32 v[36:37], v[30:31]
	;; [unrolled: 1-line block ×11, first 2 shown]
                                        ; implicit-def: $sgpr30_sgpr31
                                        ; implicit-def: $vgpr6
	s_and_saveexec_b64 s[24:25], vcc
	s_cbranch_execz .LBB562_137
; %bb.110:
	ds_read2_b32 v[6:7], v76 offset0:9 offset1:10
	v_mov_b32_e32 v30, s74
	v_cmp_eq_u32_e32 vcc, v66, v67
	v_add_u32_e32 v32, 10, v77
	s_mov_b64 s[30:31], 0
	s_waitcnt lgkmcnt(0)
	v_cndmask_b32_e32 v30, v30, v6, vcc
	v_cmp_ne_u32_e32 vcc, v66, v67
                                        ; implicit-def: $sgpr34_sgpr35
                                        ; implicit-def: $vgpr6
	s_nop 1
	v_cndmask_b32_e64 v31, 0, 1, vcc
	v_cmp_gt_u32_e32 vcc, s60, v32
	v_mov_b64_e32 v[32:33], 0
	v_mov_b64_e32 v[34:35], v[32:33]
	;; [unrolled: 1-line block ×12, first 2 shown]
	s_and_saveexec_b64 s[26:27], vcc
	s_cbranch_execz .LBB562_136
; %bb.111:
	v_mov_b32_e32 v32, s74
	v_cmp_eq_u32_e32 vcc, v67, v64
	v_add_u32_e32 v6, 11, v77
	v_mov_b64_e32 v[34:35], 0
	v_cndmask_b32_e32 v32, v32, v7, vcc
	v_cmp_ne_u32_e32 vcc, v67, v64
	s_mov_b64 s[34:35], 0
	v_mov_b64_e32 v[36:37], v[34:35]
	v_cndmask_b32_e64 v33, 0, 1, vcc
	v_cmp_gt_u32_e32 vcc, s60, v6
	v_mov_b64_e32 v[38:39], v[34:35]
	v_mov_b64_e32 v[40:41], v[34:35]
	;; [unrolled: 1-line block ×9, first 2 shown]
                                        ; implicit-def: $sgpr36_sgpr37
                                        ; implicit-def: $vgpr6
	s_and_saveexec_b64 s[28:29], vcc
	s_cbranch_execz .LBB562_135
; %bb.112:
	ds_read2_b32 v[6:7], v76 offset0:11 offset1:12
	v_mov_b32_e32 v34, s74
	v_cmp_eq_u32_e32 vcc, v64, v65
	v_add_u32_e32 v36, 12, v77
	s_mov_b64 s[36:37], 0
	s_waitcnt lgkmcnt(0)
	v_cndmask_b32_e32 v34, v34, v6, vcc
	v_cmp_ne_u32_e32 vcc, v64, v65
                                        ; implicit-def: $sgpr38_sgpr39
                                        ; implicit-def: $vgpr6
	s_nop 1
	v_cndmask_b32_e64 v35, 0, 1, vcc
	v_cmp_gt_u32_e32 vcc, s60, v36
	v_mov_b64_e32 v[36:37], 0
	v_mov_b64_e32 v[38:39], v[36:37]
	;; [unrolled: 1-line block ×10, first 2 shown]
	s_and_saveexec_b64 s[30:31], vcc
	s_cbranch_execz .LBB562_134
; %bb.113:
	v_mov_b32_e32 v36, s74
	v_cmp_eq_u32_e32 vcc, v65, v62
	v_add_u32_e32 v6, 13, v77
	v_mov_b64_e32 v[38:39], 0
	v_cndmask_b32_e32 v36, v36, v7, vcc
	v_cmp_ne_u32_e32 vcc, v65, v62
	s_mov_b64 s[38:39], 0
	v_mov_b64_e32 v[40:41], v[38:39]
	v_cndmask_b32_e64 v37, 0, 1, vcc
	v_cmp_gt_u32_e32 vcc, s60, v6
	v_mov_b64_e32 v[42:43], v[38:39]
	v_mov_b64_e32 v[44:45], v[38:39]
	;; [unrolled: 1-line block ×7, first 2 shown]
                                        ; implicit-def: $sgpr40_sgpr41
                                        ; implicit-def: $vgpr6
	s_and_saveexec_b64 s[34:35], vcc
	s_cbranch_execz .LBB562_133
; %bb.114:
	ds_read2_b32 v[6:7], v76 offset0:13 offset1:14
	v_mov_b32_e32 v38, s74
	v_cmp_eq_u32_e32 vcc, v62, v63
	v_add_u32_e32 v40, 14, v77
	s_mov_b64 s[40:41], 0
	s_waitcnt lgkmcnt(0)
	v_cndmask_b32_e32 v38, v38, v6, vcc
	v_cmp_ne_u32_e32 vcc, v62, v63
                                        ; implicit-def: $sgpr42_sgpr43
                                        ; implicit-def: $vgpr6
	s_nop 1
	v_cndmask_b32_e64 v39, 0, 1, vcc
	v_cmp_gt_u32_e32 vcc, s60, v40
	v_mov_b64_e32 v[40:41], 0
	v_mov_b64_e32 v[42:43], v[40:41]
	;; [unrolled: 1-line block ×8, first 2 shown]
	s_and_saveexec_b64 s[36:37], vcc
	s_cbranch_execz .LBB562_132
; %bb.115:
	v_mov_b32_e32 v40, s74
	v_cmp_eq_u32_e32 vcc, v63, v60
	v_add_u32_e32 v6, 15, v77
	v_mov_b64_e32 v[42:43], 0
	v_cndmask_b32_e32 v40, v40, v7, vcc
	v_cmp_ne_u32_e32 vcc, v63, v60
	s_mov_b64 s[42:43], 0
	v_mov_b64_e32 v[44:45], v[42:43]
	v_cndmask_b32_e64 v41, 0, 1, vcc
	v_cmp_gt_u32_e32 vcc, s60, v6
	v_mov_b64_e32 v[46:47], v[42:43]
	v_mov_b64_e32 v[48:49], v[42:43]
	;; [unrolled: 1-line block ×5, first 2 shown]
                                        ; implicit-def: $sgpr44_sgpr45
                                        ; implicit-def: $vgpr6
	s_and_saveexec_b64 s[38:39], vcc
	s_cbranch_execz .LBB562_131
; %bb.116:
	ds_read2_b32 v[6:7], v76 offset0:15 offset1:16
	v_mov_b32_e32 v42, s74
	v_cmp_eq_u32_e32 vcc, v60, v61
	v_add_u32_e32 v44, 16, v77
	s_mov_b64 s[44:45], 0
	s_waitcnt lgkmcnt(0)
	v_cndmask_b32_e32 v42, v42, v6, vcc
	v_cmp_ne_u32_e32 vcc, v60, v61
                                        ; implicit-def: $sgpr46_sgpr47
                                        ; implicit-def: $vgpr6
	s_nop 1
	v_cndmask_b32_e64 v43, 0, 1, vcc
	v_cmp_gt_u32_e32 vcc, s60, v44
	v_mov_b64_e32 v[44:45], 0
	v_mov_b64_e32 v[46:47], v[44:45]
	;; [unrolled: 1-line block ×6, first 2 shown]
	s_and_saveexec_b64 s[40:41], vcc
	s_cbranch_execz .LBB562_130
; %bb.117:
	v_mov_b32_e32 v44, s74
	v_cmp_eq_u32_e32 vcc, v61, v58
	v_add_u32_e32 v6, 17, v77
	v_mov_b64_e32 v[46:47], 0
	v_cndmask_b32_e32 v44, v44, v7, vcc
	v_cmp_ne_u32_e32 vcc, v61, v58
	s_mov_b64 s[46:47], 0
	v_mov_b64_e32 v[48:49], v[46:47]
	v_cndmask_b32_e64 v45, 0, 1, vcc
	v_cmp_gt_u32_e32 vcc, s60, v6
	v_mov_b64_e32 v[50:51], v[46:47]
	v_mov_b64_e32 v[52:53], v[46:47]
	;; [unrolled: 1-line block ×3, first 2 shown]
                                        ; implicit-def: $sgpr48_sgpr49
                                        ; implicit-def: $vgpr6
	s_and_saveexec_b64 s[42:43], vcc
	s_cbranch_execz .LBB562_129
; %bb.118:
	ds_read2_b32 v[6:7], v76 offset0:17 offset1:18
	v_mov_b32_e32 v46, s74
	v_cmp_eq_u32_e32 vcc, v58, v59
	v_add_u32_e32 v48, 18, v77
	s_mov_b64 s[48:49], 0
	s_waitcnt lgkmcnt(0)
	v_cndmask_b32_e32 v46, v46, v6, vcc
	v_cmp_ne_u32_e32 vcc, v58, v59
                                        ; implicit-def: $sgpr50_sgpr51
                                        ; implicit-def: $vgpr6
	s_nop 1
	v_cndmask_b32_e64 v47, 0, 1, vcc
	v_cmp_gt_u32_e32 vcc, s60, v48
	v_mov_b64_e32 v[48:49], 0
	v_mov_b64_e32 v[50:51], v[48:49]
	;; [unrolled: 1-line block ×4, first 2 shown]
	s_and_saveexec_b64 s[44:45], vcc
	s_cbranch_execz .LBB562_128
; %bb.119:
	v_mov_b32_e32 v48, s74
	v_cmp_eq_u32_e32 vcc, v59, v56
	v_add_u32_e32 v6, 19, v77
	v_mov_b64_e32 v[50:51], 0
	v_cndmask_b32_e32 v48, v48, v7, vcc
	v_cmp_ne_u32_e32 vcc, v59, v56
	s_mov_b64 s[50:51], 0
	v_mov_b64_e32 v[52:53], v[50:51]
	v_cndmask_b32_e64 v49, 0, 1, vcc
	v_cmp_gt_u32_e32 vcc, s60, v6
	v_mov_b64_e32 v[54:55], v[50:51]
                                        ; implicit-def: $sgpr56_sgpr57
                                        ; implicit-def: $vgpr6
	s_and_saveexec_b64 s[46:47], vcc
	s_cbranch_execz .LBB562_127
; %bb.120:
	ds_read2_b32 v[6:7], v76 offset0:19 offset1:20
	v_mov_b32_e32 v50, s74
	v_cmp_eq_u32_e32 vcc, v56, v57
	v_add_u32_e32 v52, 20, v77
	s_mov_b64 s[56:57], 0
	s_waitcnt lgkmcnt(0)
	v_cndmask_b32_e32 v50, v50, v6, vcc
	v_cmp_ne_u32_e32 vcc, v56, v57
                                        ; implicit-def: $sgpr58_sgpr59
                                        ; implicit-def: $vgpr6
	s_nop 1
	v_cndmask_b32_e64 v51, 0, 1, vcc
	v_cmp_gt_u32_e32 vcc, s60, v52
	v_mov_b64_e32 v[52:53], 0
	v_mov_b64_e32 v[54:55], v[52:53]
	s_and_saveexec_b64 s[48:49], vcc
	s_cbranch_execz .LBB562_126
; %bb.121:
	v_mov_b32_e32 v52, s74
	v_cmp_eq_u32_e32 vcc, v57, v8
	v_add_u32_e32 v6, 21, v77
	v_mov_b64_e32 v[54:55], 0
	v_cndmask_b32_e32 v52, v52, v7, vcc
	v_cmp_ne_u32_e32 vcc, v57, v8
                                        ; implicit-def: $sgpr58_sgpr59
	s_nop 1
	v_cndmask_b32_e64 v53, 0, 1, vcc
	v_cmp_gt_u32_e32 vcc, s60, v6
                                        ; implicit-def: $vgpr6
	s_and_saveexec_b64 s[50:51], vcc
	s_cbranch_execz .LBB562_125
; %bb.122:
	ds_read2_b32 v[6:7], v76 offset0:21 offset1:22
	v_mov_b32_e32 v54, s74
	v_cmp_eq_u32_e32 vcc, v8, v9
	v_add_u32_e32 v56, 22, v77
                                        ; implicit-def: $sgpr58_sgpr59
	s_waitcnt lgkmcnt(0)
	v_cndmask_b32_e32 v54, v54, v6, vcc
	v_cmp_ne_u32_e32 vcc, v8, v9
                                        ; implicit-def: $vgpr6
	s_nop 1
	v_cndmask_b32_e64 v55, 0, 1, vcc
	v_cmp_gt_u32_e32 vcc, s60, v56
	s_and_saveexec_b64 s[60:61], vcc
	s_xor_b64 s[60:61], exec, s[60:61]
; %bb.123:
	v_mov_b32_e32 v6, s74
	v_cmp_ne_u32_e32 vcc, v9, v1
	s_mov_b64 s[56:57], exec
	s_and_b64 s[58:59], vcc, exec
	v_cndmask_b32_e32 v6, v7, v6, vcc
; %bb.124:
	s_or_b64 exec, exec, s[60:61]
	s_and_b64 s[58:59], s[58:59], exec
	s_and_b64 s[56:57], s[56:57], exec
.LBB562_125:
	s_or_b64 exec, exec, s[50:51]
	s_and_b64 s[58:59], s[58:59], exec
	s_and_b64 s[50:51], s[56:57], exec
.LBB562_126:
	s_or_b64 exec, exec, s[48:49]
	s_and_b64 s[56:57], s[58:59], exec
	s_and_b64 s[48:49], s[50:51], exec
.LBB562_127:
	s_or_b64 exec, exec, s[46:47]
	s_and_b64 s[50:51], s[56:57], exec
	s_and_b64 s[46:47], s[48:49], exec
.LBB562_128:
	s_or_b64 exec, exec, s[44:45]
	s_and_b64 s[48:49], s[50:51], exec
	s_and_b64 s[44:45], s[46:47], exec
.LBB562_129:
	s_or_b64 exec, exec, s[42:43]
	s_and_b64 s[46:47], s[48:49], exec
	s_and_b64 s[42:43], s[44:45], exec
.LBB562_130:
	s_or_b64 exec, exec, s[40:41]
	s_and_b64 s[44:45], s[46:47], exec
	s_and_b64 s[40:41], s[42:43], exec
.LBB562_131:
	s_or_b64 exec, exec, s[38:39]
	s_and_b64 s[42:43], s[44:45], exec
	s_and_b64 s[38:39], s[40:41], exec
.LBB562_132:
	s_or_b64 exec, exec, s[36:37]
	s_and_b64 s[40:41], s[42:43], exec
	s_and_b64 s[36:37], s[38:39], exec
.LBB562_133:
	s_or_b64 exec, exec, s[34:35]
	s_and_b64 s[38:39], s[40:41], exec
	s_and_b64 s[34:35], s[36:37], exec
.LBB562_134:
	s_or_b64 exec, exec, s[30:31]
	s_and_b64 s[36:37], s[38:39], exec
	s_and_b64 s[30:31], s[34:35], exec
.LBB562_135:
	s_or_b64 exec, exec, s[28:29]
	s_and_b64 s[34:35], s[36:37], exec
	s_and_b64 s[28:29], s[30:31], exec
.LBB562_136:
	s_or_b64 exec, exec, s[26:27]
	s_and_b64 s[30:31], s[34:35], exec
	s_and_b64 s[26:27], s[28:29], exec
.LBB562_137:
	s_or_b64 exec, exec, s[24:25]
	s_and_b64 s[28:29], s[30:31], exec
	s_and_b64 s[24:25], s[26:27], exec
.LBB562_138:
	s_or_b64 exec, exec, s[22:23]
	s_and_b64 s[26:27], s[28:29], exec
	s_and_b64 s[22:23], s[24:25], exec
.LBB562_139:
	s_or_b64 exec, exec, s[20:21]
	s_and_b64 s[24:25], s[26:27], exec
	s_and_b64 s[20:21], s[22:23], exec
.LBB562_140:
	s_or_b64 exec, exec, s[18:19]
	s_and_b64 s[22:23], s[24:25], exec
	s_and_b64 s[18:19], s[20:21], exec
.LBB562_141:
	s_or_b64 exec, exec, s[16:17]
	s_and_b64 s[20:21], s[22:23], exec
	s_and_b64 s[16:17], s[18:19], exec
.LBB562_142:
	s_or_b64 exec, exec, s[14:15]
	s_and_b64 s[18:19], s[20:21], exec
	s_and_b64 s[14:15], s[16:17], exec
.LBB562_143:
	s_or_b64 exec, exec, s[12:13]
	s_and_b64 s[16:17], s[18:19], exec
	s_and_b64 s[12:13], s[14:15], exec
.LBB562_144:
	s_or_b64 exec, exec, s[10:11]
	s_and_b64 s[14:15], s[16:17], exec
	s_and_b64 s[10:11], s[12:13], exec
.LBB562_145:
	s_or_b64 exec, exec, s[8:9]
	s_and_b64 s[8:9], s[14:15], exec
	s_and_b64 s[10:11], s[10:11], exec
.LBB562_146:
	s_or_b64 exec, exec, s[6:7]
	s_mov_b64 s[6:7], 0
	s_and_b64 vcc, exec, s[0:1]
	v_lshlrev_b32_e32 v56, 2, v0
	s_cbranch_vccz .LBB562_152
.LBB562_147:
	v_mov_b32_e32 v57, 0
	v_lshl_add_u64 v[6:7], v[4:5], 0, v[56:57]
	v_add_co_u32_e32 v8, vcc, 0x1000, v6
	s_movk_i32 s6, 0x58
	s_nop 0
	v_addc_co_u32_e32 v9, vcc, 0, v7, vcc
	flat_load_dword v1, v[6:7]
	flat_load_dword v14, v[6:7] offset:1024
	flat_load_dword v15, v[6:7] offset:2048
	;; [unrolled: 1-line block ×3, first 2 shown]
	flat_load_dword v17, v[8:9]
	flat_load_dword v18, v[8:9] offset:1024
	flat_load_dword v19, v[8:9] offset:2048
	flat_load_dword v20, v[8:9] offset:3072
	v_add_co_u32_e32 v8, vcc, 0x2000, v6
	s_movk_i32 s11, 0x1000
	s_nop 0
	v_addc_co_u32_e32 v9, vcc, 0, v7, vcc
	v_add_co_u32_e32 v12, vcc, 0x3000, v6
	s_mov_b32 s0, 0
	s_nop 0
	v_addc_co_u32_e32 v13, vcc, 0, v7, vcc
	flat_load_dword v21, v[8:9]
	flat_load_dword v22, v[8:9] offset:1024
	flat_load_dword v23, v[8:9] offset:2048
	;; [unrolled: 1-line block ×3, first 2 shown]
	flat_load_dword v25, v[12:13]
	flat_load_dword v26, v[12:13] offset:1024
	flat_load_dword v27, v[12:13] offset:2048
	;; [unrolled: 1-line block ×3, first 2 shown]
	v_add_co_u32_e32 v8, vcc, 0x4000, v6
	s_movk_i32 s10, 0x2000
	s_nop 0
	v_addc_co_u32_e32 v9, vcc, 0, v7, vcc
	v_add_co_u32_e32 v6, vcc, 0x5000, v6
	s_movk_i32 s9, 0x3000
	s_nop 0
	v_addc_co_u32_e32 v7, vcc, 0, v7, vcc
	flat_load_dword v12, v[8:9]
	flat_load_dword v13, v[8:9] offset:1024
	flat_load_dword v29, v[8:9] offset:2048
	;; [unrolled: 1-line block ×3, first 2 shown]
	flat_load_dword v31, v[6:7]
	flat_load_dword v32, v[6:7] offset:1024
	flat_load_dword v33, v[6:7] offset:2048
	v_add_co_u32_e32 v4, vcc, 0x5000, v4
	s_movk_i32 s8, 0x4000
	s_nop 0
	v_addc_co_u32_e32 v5, vcc, 0, v5, vcc
	s_movk_i32 s1, 0x5000
	s_waitcnt vmcnt(0) lgkmcnt(0)
	ds_write2st64_b32 v56, v1, v14 offset1:4
	ds_write2st64_b32 v56, v15, v16 offset0:8 offset1:12
	ds_write2st64_b32 v56, v17, v18 offset0:16 offset1:20
	;; [unrolled: 1-line block ×10, first 2 shown]
	ds_write_b32 v56, v33 offset:22528
	s_waitcnt lgkmcnt(0)
	s_barrier
	flat_load_dword v1, v[4:5] offset:3072
	v_mad_u32_u24 v14, v0, s6, v56
	s_movk_i32 s6, 0xffa8
	v_mad_i32_i24 v13, v0, s6, v14
	s_movk_i32 s6, 0xff
	v_cmp_ne_u32_e32 vcc, s6, v0
	ds_read_b32 v12, v14
	ds_read2_b32 v[16:17], v14 offset0:1 offset1:2
	ds_read2_b32 v[20:21], v14 offset0:3 offset1:4
	;; [unrolled: 1-line block ×11, first 2 shown]
	s_waitcnt lgkmcnt(0)
	ds_write_b32 v13, v12 offset:24576
	s_waitcnt lgkmcnt(0)
	s_barrier
	s_and_saveexec_b64 s[6:7], vcc
	s_cbranch_execz .LBB562_149
; %bb.148:
	s_waitcnt vmcnt(0)
	ds_read_b32 v1, v56 offset:24580
.LBB562_149:
	s_or_b64 exec, exec, s[6:7]
	v_lshl_add_u64 v[2:3], v[2:3], 0, v[56:57]
	v_add_co_u32_e32 v18, vcc, s11, v2
	s_waitcnt lgkmcnt(0)
	s_nop 0
	v_addc_co_u32_e32 v19, vcc, 0, v3, vcc
	s_barrier
	flat_load_dword v13, v[2:3]
	flat_load_dword v15, v[2:3] offset:1024
	flat_load_dword v26, v[2:3] offset:2048
	;; [unrolled: 1-line block ×3, first 2 shown]
	flat_load_dword v30, v[18:19]
	flat_load_dword v31, v[18:19] offset:1024
	flat_load_dword v34, v[18:19] offset:2048
	flat_load_dword v35, v[18:19] offset:3072
	v_add_co_u32_e32 v18, vcc, s10, v2
	s_nop 1
	v_addc_co_u32_e32 v19, vcc, 0, v3, vcc
	v_add_co_u32_e32 v22, vcc, s9, v2
	s_nop 1
	v_addc_co_u32_e32 v23, vcc, 0, v3, vcc
	flat_load_dword v38, v[18:19]
	flat_load_dword v39, v[18:19] offset:1024
	flat_load_dword v42, v[18:19] offset:2048
	;; [unrolled: 1-line block ×3, first 2 shown]
	flat_load_dword v46, v[22:23]
	flat_load_dword v47, v[22:23] offset:1024
	flat_load_dword v48, v[22:23] offset:2048
	;; [unrolled: 1-line block ×3, first 2 shown]
	v_add_co_u32_e32 v18, vcc, s8, v2
	s_nop 1
	v_addc_co_u32_e32 v19, vcc, 0, v3, vcc
	v_add_co_u32_e32 v2, vcc, s1, v2
	s_mov_b32 s1, 1
	s_nop 0
	v_addc_co_u32_e32 v3, vcc, 0, v3, vcc
	flat_load_dword v22, v[18:19]
	flat_load_dword v23, v[18:19] offset:1024
	flat_load_dword v50, v[18:19] offset:2048
	;; [unrolled: 1-line block ×3, first 2 shown]
	flat_load_dword v52, v[2:3]
	flat_load_dword v53, v[2:3] offset:1024
	flat_load_dword v54, v[2:3] offset:2048
	v_cmp_eq_u32_e32 vcc, v12, v16
	s_waitcnt vmcnt(0) lgkmcnt(0)
	ds_write2st64_b32 v56, v13, v15 offset1:4
	ds_write2st64_b32 v56, v26, v27 offset0:8 offset1:12
	ds_write2st64_b32 v56, v30, v31 offset0:16 offset1:20
	;; [unrolled: 1-line block ×10, first 2 shown]
	ds_write_b32 v56, v54 offset:22528
	s_waitcnt lgkmcnt(0)
	s_barrier
	ds_read2_b32 v[18:19], v14 offset0:1 offset1:2
	ds_read2_b32 v[22:23], v14 offset0:3 offset1:4
	;; [unrolled: 1-line block ×11, first 2 shown]
	v_mov_b64_e32 v[12:13], s[0:1]
	v_mov_b32_e32 v15, s74
	s_and_saveexec_b64 s[0:1], vcc
	s_cbranch_execz .LBB562_151
; %bb.150:
	ds_read_b32 v15, v14
	v_mov_b64_e32 v[12:13], 0
.LBB562_151:
	s_or_b64 exec, exec, s[0:1]
	v_mov_b32_e32 v57, s74
	v_cmp_eq_u32_e32 vcc, v16, v17
	s_waitcnt lgkmcnt(0)
	v_or_b32_e32 v12, v12, v15
	v_cmp_ne_u32_e64 s[8:9], v5, v1
	v_cndmask_b32_e32 v14, v57, v18, vcc
	v_cmp_ne_u32_e32 vcc, v16, v17
	s_mov_b64 s[10:11], -1
                                        ; implicit-def: $sgpr6_sgpr7
	s_nop 0
	v_cndmask_b32_e64 v15, 0, 1, vcc
	v_cmp_eq_u32_e32 vcc, v17, v20
	s_nop 1
	v_cndmask_b32_e32 v16, v57, v19, vcc
	v_cmp_ne_u32_e32 vcc, v17, v20
	s_nop 1
	v_cndmask_b32_e64 v17, 0, 1, vcc
	v_cmp_eq_u32_e32 vcc, v20, v21
	s_nop 1
	v_cndmask_b32_e32 v18, v57, v22, vcc
	v_cmp_ne_u32_e32 vcc, v20, v21
	;; [unrolled: 6-line block ×18, first 2 shown]
	v_cndmask_b32_e64 v6, v3, v57, s[8:9]
	s_nop 0
	v_cndmask_b32_e64 v51, 0, 1, vcc
	v_cmp_eq_u32_e32 vcc, v7, v4
	s_nop 1
	v_cndmask_b32_e32 v52, v57, v53, vcc
	v_cmp_ne_u32_e32 vcc, v7, v4
	s_nop 1
	v_cndmask_b32_e64 v53, 0, 1, vcc
	v_cmp_eq_u32_e32 vcc, v4, v5
	s_nop 1
	v_cndmask_b32_e32 v54, v57, v2, vcc
	v_cmp_ne_u32_e32 vcc, v4, v5
	s_nop 1
	v_cndmask_b32_e64 v55, 0, 1, vcc
.LBB562_152:
	v_mov_b64_e32 v[58:59], s[6:7]
	s_and_saveexec_b64 s[0:1], s[10:11]
; %bb.153:
	v_cndmask_b32_e64 v7, 0, 1, s[8:9]
	v_mov_b64_e32 v[58:59], v[6:7]
; %bb.154:
	s_or_b64 exec, exec, s[0:1]
	s_mov_b32 s0, 0
	s_cmp_lg_u32 s67, 0
	v_or_b32_e32 v57, v59, v55
	v_lshrrev_b32_e32 v1, 5, v0
	v_cmp_gt_u32_e32 vcc, 64, v0
	s_barrier
	s_cbranch_scc0 .LBB562_189
; %bb.155:
	s_mov_b32 s1, 1
	v_cmp_gt_u64_e64 s[6:7], s[0:1], v[14:15]
	v_cmp_gt_u64_e64 s[8:9], s[0:1], v[16:17]
	v_cmp_gt_u64_e64 s[10:11], s[0:1], v[18:19]
	v_cndmask_b32_e64 v2, 0, v12, s[6:7]
	v_add_u32_e32 v2, v2, v14
	v_cndmask_b32_e64 v2, 0, v2, s[8:9]
	v_add_u32_e32 v2, v2, v16
	v_cndmask_b32_e64 v2, 0, v2, s[10:11]
	v_add_u32_e32 v2, v2, v18
	v_cmp_gt_u64_e64 s[12:13], s[0:1], v[20:21]
	v_cmp_gt_u64_e64 s[14:15], s[0:1], v[22:23]
	v_cmp_gt_u64_e64 s[16:17], s[0:1], v[24:25]
	v_cndmask_b32_e64 v2, 0, v2, s[12:13]
	v_add_u32_e32 v2, v2, v20
	v_cndmask_b32_e64 v2, 0, v2, s[14:15]
	v_add_u32_e32 v2, v2, v22
	v_cndmask_b32_e64 v2, 0, v2, s[16:17]
	v_add_u32_e32 v2, v2, v24
	;; [unrolled: 9-line block ×7, first 2 shown]
	v_cmp_gt_u64_e64 s[0:1], s[0:1], v[58:59]
	s_nop 1
	v_cndmask_b32_e64 v2, 0, v2, s[0:1]
	v_add_u32_e32 v64, v2, v58
	v_or3_b32 v2, v57, v53, v51
	v_or3_b32 v2, v2, v49, v47
	;; [unrolled: 1-line block ×10, first 2 shown]
	v_and_b32_e32 v2, 1, v2
	v_cmp_eq_u32_e64 s[0:1], 1, v2
	v_add_lshl_u32 v2, v1, v0, 3
	s_nop 0
	v_cndmask_b32_e64 v65, v13, 1, s[0:1]
	ds_write_b32 v2, v64
	ds_write_b8 v2, v65 offset:4
	s_waitcnt lgkmcnt(0)
	s_barrier
	s_and_saveexec_b64 s[50:51], vcc
	s_cbranch_execz .LBB562_167
; %bb.156:
	v_lshrrev_b32_e32 v2, 3, v0
	v_add_lshl_u32 v4, v2, v56, 3
	ds_read2_b32 v[6:7], v4 offset0:2 offset1:4
	ds_read_b64 v[2:3], v4
	ds_read_u8 v8, v4 offset:12
	ds_read_u8 v9, v4 offset:20
	ds_read_b32 v60, v4 offset:24
	ds_read_u8 v61, v4 offset:28
	v_mov_b32_e32 v62, 0
	s_waitcnt lgkmcnt(3)
	v_cmp_eq_u16_sdwa s[0:1], v8, v62 src0_sel:BYTE_0 src1_sel:DWORD
	v_and_b32_e32 v5, 1, v3
	s_nop 0
	v_cndmask_b32_e64 v63, 0, v2, s[0:1]
	v_add_u32_e32 v6, v63, v6
	s_waitcnt lgkmcnt(2)
	v_cmp_eq_u16_sdwa s[0:1], v9, v62 src0_sel:BYTE_0 src1_sel:DWORD
	s_nop 1
	v_cndmask_b32_e64 v6, 0, v6, s[0:1]
	v_add_u32_e32 v6, v6, v7
	s_waitcnt lgkmcnt(0)
	v_cmp_eq_u16_e64 s[0:1], 0, v61
	s_nop 1
	v_cndmask_b32_e64 v6, 0, v6, s[0:1]
	v_add_u32_e32 v7, v6, v60
	v_or_b32_e32 v6, v61, v9
	v_or_b32_e32 v6, v6, v8
	v_and_b32_e32 v6, 1, v6
	v_cmp_eq_u32_e64 s[0:1], 1, v6
	v_mbcnt_lo_u32_b32 v8, -1, 0
	v_and_b32_e32 v6, 0xffffff00, v3
	v_cndmask_b32_e64 v9, v5, 1, s[0:1]
	v_mbcnt_hi_u32_b32 v8, -1, v8
	v_and_b32_e32 v61, 15, v8
	v_or_b32_sdwa v60, v6, v9 dst_sel:DWORD dst_unused:UNUSED_PAD src0_sel:DWORD src1_sel:WORD_0
	v_mov_b32_dpp v62, v7 row_shr:1 row_mask:0xf bank_mask:0xf
	v_cmp_ne_u32_e64 s[0:1], 0, v61
	v_mov_b32_dpp v63, v60 row_shr:1 row_mask:0xf bank_mask:0xf
	s_and_saveexec_b64 s[56:57], s[0:1]
; %bb.157:
	v_and_b32_e32 v60, 1, v9
	v_and_b32_e32 v63, 1, v63
	v_cmp_eq_u32_e64 s[0:1], 1, v60
	s_nop 1
	v_cndmask_b32_e64 v63, v63, 1, s[0:1]
	v_cmp_eq_u16_e64 s[0:1], 0, v9
	v_or_b32_sdwa v60, v6, v63 dst_sel:DWORD dst_unused:UNUSED_PAD src0_sel:DWORD src1_sel:WORD_0
	s_nop 0
	v_cndmask_b32_e64 v9, 0, v62, s[0:1]
	v_add_u32_e32 v7, v9, v7
	v_mov_b32_e32 v9, v63
; %bb.158:
	s_or_b64 exec, exec, s[56:57]
	v_mov_b32_dpp v62, v7 row_shr:2 row_mask:0xf bank_mask:0xf
	v_mov_b32_dpp v63, v60 row_shr:2 row_mask:0xf bank_mask:0xf
	v_cmp_lt_u32_e64 s[0:1], 1, v61
	s_and_saveexec_b64 s[56:57], s[0:1]
; %bb.159:
	v_and_b32_e32 v60, 1, v9
	v_and_b32_e32 v63, 1, v63
	v_cmp_eq_u32_e64 s[0:1], 1, v60
	s_nop 1
	v_cndmask_b32_e64 v63, v63, 1, s[0:1]
	v_cmp_eq_u16_e64 s[0:1], 0, v9
	v_or_b32_sdwa v60, v6, v63 dst_sel:DWORD dst_unused:UNUSED_PAD src0_sel:DWORD src1_sel:WORD_0
	s_nop 0
	v_cndmask_b32_e64 v9, 0, v62, s[0:1]
	v_add_u32_e32 v7, v9, v7
	v_mov_b32_e32 v9, v63
; %bb.160:
	s_or_b64 exec, exec, s[56:57]
	v_mov_b32_dpp v62, v7 row_shr:4 row_mask:0xf bank_mask:0xf
	v_mov_b32_dpp v63, v60 row_shr:4 row_mask:0xf bank_mask:0xf
	v_cmp_lt_u32_e64 s[0:1], 3, v61
	;; [unrolled: 18-line block ×3, first 2 shown]
	s_and_saveexec_b64 s[56:57], s[0:1]
; %bb.163:
	v_and_b32_e32 v60, 1, v9
	v_and_b32_e32 v61, 1, v63
	v_cmp_eq_u32_e64 s[0:1], 1, v60
	s_nop 1
	v_cndmask_b32_e64 v61, v61, 1, s[0:1]
	v_cmp_eq_u16_e64 s[0:1], 0, v9
	v_or_b32_sdwa v60, v6, v61 dst_sel:DWORD dst_unused:UNUSED_PAD src0_sel:DWORD src1_sel:WORD_0
	s_nop 0
	v_cndmask_b32_e64 v9, 0, v62, s[0:1]
	v_add_u32_e32 v7, v9, v7
	v_mov_b32_e32 v9, v61
; %bb.164:
	s_or_b64 exec, exec, s[56:57]
	v_and_b32_e32 v63, 16, v8
	v_mov_b32_dpp v61, v7 row_bcast:15 row_mask:0xf bank_mask:0xf
	v_mov_b32_dpp v62, v60 row_bcast:15 row_mask:0xf bank_mask:0xf
	v_cmp_ne_u32_e64 s[0:1], 0, v63
	s_and_saveexec_b64 s[56:57], s[0:1]
; %bb.165:
	v_and_b32_e32 v60, 1, v9
	v_and_b32_e32 v62, 1, v62
	v_cmp_eq_u32_e64 s[0:1], 1, v60
	s_nop 1
	v_cndmask_b32_e64 v62, v62, 1, s[0:1]
	v_cmp_eq_u16_e64 s[0:1], 0, v9
	v_or_b32_sdwa v60, v6, v62 dst_sel:DWORD dst_unused:UNUSED_PAD src0_sel:DWORD src1_sel:WORD_0
	s_nop 0
	v_cndmask_b32_e64 v9, 0, v61, s[0:1]
	v_add_u32_e32 v7, v9, v7
	v_mov_b32_e32 v9, v62
; %bb.166:
	s_or_b64 exec, exec, s[56:57]
	v_mov_b32_dpp v60, v60 row_bcast:31 row_mask:0xf bank_mask:0xf
	v_and_b32_e32 v62, 1, v9
	v_and_b32_e32 v60, 1, v60
	v_cmp_eq_u32_e64 s[0:1], 1, v62
	v_mov_b32_e32 v62, 0
	v_cmp_eq_u16_sdwa s[56:57], v9, v62 src0_sel:BYTE_0 src1_sel:DWORD
	v_cndmask_b32_e64 v60, v60, 1, s[0:1]
	v_cmp_lt_u32_e64 s[0:1], 31, v8
	v_mov_b32_dpp v61, v7 row_bcast:31 row_mask:0xf bank_mask:0xf
	s_movk_i32 s58, 0xff
	v_cndmask_b32_e64 v9, v9, v60, s[0:1]
	s_and_b64 s[0:1], s[0:1], s[56:57]
	v_cndmask_b32_e64 v60, 0, v61, s[0:1]
	v_add_u32_e32 v7, v60, v7
	v_add_u32_e32 v60, -1, v8
	v_and_b32_e32 v61, 64, v8
	v_cmp_lt_i32_e64 s[0:1], v60, v61
	v_and_or_b32 v6, v9, s58, v6
	s_nop 0
	v_cndmask_b32_e64 v8, v60, v8, s[0:1]
	v_lshlrev_b32_e32 v8, 2, v8
	ds_bpermute_b32 v7, v8, v7
	ds_bpermute_b32 v6, v8, v6
	v_cmp_eq_u16_sdwa s[0:1], v3, v62 src0_sel:BYTE_0 src1_sel:DWORD
	; wave barrier
	s_waitcnt lgkmcnt(1)
	s_nop 0
	v_cndmask_b32_e64 v3, 0, v7, s[0:1]
	v_add_u32_e32 v2, v3, v2
	s_waitcnt lgkmcnt(0)
	v_and_b32_e32 v3, 1, v6
	v_cmp_eq_u32_e64 s[0:1], 1, v5
	v_cndmask_b32_e64 v5, v2, v64, s[52:53]
	s_nop 0
	v_cndmask_b32_e64 v3, v3, 1, s[0:1]
	v_cndmask_b32_e64 v6, v3, v65, s[52:53]
	ds_write_b32 v4, v5
	ds_write_b8 v4, v6 offset:4
	; wave barrier
	ds_read_u8 v7, v4 offset:12
	ds_read2_b32 v[2:3], v4 offset0:2 offset1:4
	ds_read_u8 v8, v4 offset:20
	ds_read_b32 v9, v4 offset:24
	ds_read_u8 v60, v4 offset:28
	s_waitcnt lgkmcnt(4)
	v_cmp_eq_u16_e64 s[0:1], 0, v7
	s_nop 1
	v_cndmask_b32_e64 v5, 0, v5, s[0:1]
	s_waitcnt lgkmcnt(3)
	v_add_u32_e32 v2, v5, v2
	v_and_b32_e32 v5, 1, v7
	v_cmp_eq_u32_e64 s[0:1], 1, v5
	s_nop 1
	v_cndmask_b32_e64 v5, v6, 1, s[0:1]
	s_waitcnt lgkmcnt(2)
	v_cmp_eq_u16_e64 s[0:1], 0, v8
	ds_write_b8 v4, v5 offset:12
	s_nop 0
	v_cndmask_b32_e64 v6, 0, v2, s[0:1]
	v_add_u32_e32 v3, v6, v3
	v_and_b32_e32 v6, 1, v8
	v_cmp_eq_u32_e64 s[0:1], 1, v6
	s_nop 1
	v_cndmask_b32_e64 v5, v5, 1, s[0:1]
	s_waitcnt lgkmcnt(1)
	v_cmp_eq_u16_e64 s[0:1], 0, v60
	ds_write2_b32 v4, v2, v3 offset0:2 offset1:4
	ds_write_b8 v4, v5 offset:20
	v_cndmask_b32_e64 v2, 0, v3, s[0:1]
	v_and_b32_e32 v3, 1, v60
	v_add_u32_e32 v2, v2, v9
	v_cmp_eq_u32_e64 s[0:1], 1, v3
	s_nop 1
	v_cndmask_b32_e64 v3, v5, 1, s[0:1]
	ds_write_b32 v4, v2 offset:24
	ds_write_b8 v4, v3 offset:28
.LBB562_167:
	s_or_b64 exec, exec, s[50:51]
	s_waitcnt lgkmcnt(0)
	s_barrier
	s_and_saveexec_b64 s[0:1], s[4:5]
	s_cbranch_execz .LBB562_169
; %bb.168:
	v_add_u32_e32 v2, -1, v0
	v_lshrrev_b32_e32 v3, 5, v2
	v_add_lshl_u32 v2, v3, v2, 3
	ds_read_b32 v64, v2
	ds_read_u8 v65, v2 offset:4
.LBB562_169:
	s_or_b64 exec, exec, s[0:1]
	s_and_saveexec_b64 s[56:57], vcc
	s_cbranch_execz .LBB562_188
; %bb.170:
	v_mov_b32_e32 v5, 0
	ds_read_b64 v[2:3], v5 offset:2096
	v_mbcnt_lo_u32_b32 v4, -1, 0
	v_mbcnt_hi_u32_b32 v75, -1, v4
	s_mov_b32 s59, 0
	v_cmp_eq_u32_e64 s[50:51], 0, v75
	s_waitcnt lgkmcnt(0)
	v_readfirstlane_b32 s68, v3
	s_and_saveexec_b64 s[0:1], s[50:51]
	s_cbranch_execz .LBB562_172
; %bb.171:
	s_add_i32 s58, s67, 64
	s_lshl_b64 s[60:61], s[58:59], 4
	s_add_u32 s60, s64, s60
	s_addc_u32 s61, s65, s61
	s_and_b32 s77, s68, 0xff000000
	s_mov_b32 s76, s59
	s_and_b32 s79, s68, 0xff0000
	s_mov_b32 s78, s59
	s_or_b64 s[76:77], s[78:79], s[76:77]
	s_and_b32 s79, s68, 0xff00
	s_or_b64 s[76:77], s[76:77], s[78:79]
	s_and_b32 s79, s68, 0xff
	s_or_b64 s[58:59], s[76:77], s[78:79]
	v_mov_b32_e32 v3, s59
	v_mov_b32_e32 v4, 1
	v_mov_b64_e32 v[6:7], s[60:61]
	;;#ASMSTART
	global_store_dwordx4 v[6:7], v[2:5] off sc1	
s_waitcnt vmcnt(0)
	;;#ASMEND
.LBB562_172:
	s_or_b64 exec, exec, s[0:1]
	v_xad_u32 v60, v75, -1, s67
	v_add_u32_e32 v4, 64, v60
	v_lshl_add_u64 v[62:63], v[4:5], 4, s[64:65]
	;;#ASMSTART
	global_load_dwordx4 v[6:9], v[62:63] off sc1	
s_waitcnt vmcnt(0)
	;;#ASMEND
	s_nop 0
	v_and_b32_e32 v3, 0xff0000, v6
	v_and_b32_e32 v4, 0xff000000, v6
	;; [unrolled: 1-line block ×3, first 2 shown]
	v_or_b32_sdwa v3, v6, v3 dst_sel:DWORD dst_unused:UNUSED_PAD src0_sel:WORD_0 src1_sel:DWORD
	v_or3_b32 v7, 0, 0, v7
	v_or3_b32 v6, v3, v4, 0
	v_cmp_eq_u16_sdwa s[58:59], v8, v5 src0_sel:BYTE_0 src1_sel:DWORD
	s_and_saveexec_b64 s[0:1], s[58:59]
	s_cbranch_execz .LBB562_176
; %bb.173:
	s_mov_b64 s[58:59], 0
	v_mov_b32_e32 v3, 0
.LBB562_174:                            ; =>This Inner Loop Header: Depth=1
	;;#ASMSTART
	global_load_dwordx4 v[6:9], v[62:63] off sc1	
s_waitcnt vmcnt(0)
	;;#ASMEND
	s_nop 0
	v_cmp_ne_u16_sdwa s[60:61], v8, v3 src0_sel:BYTE_0 src1_sel:DWORD
	s_or_b64 s[58:59], s[60:61], s[58:59]
	s_andn2_b64 exec, exec, s[58:59]
	s_cbranch_execnz .LBB562_174
; %bb.175:
	s_or_b64 exec, exec, s[58:59]
	v_and_b32_e32 v7, 0xff, v7
.LBB562_176:
	s_or_b64 exec, exec, s[0:1]
	v_mov_b32_e32 v3, 2
	v_cmp_eq_u16_sdwa s[0:1], v8, v3 src0_sel:BYTE_0 src1_sel:DWORD
	v_lshlrev_b64 v[4:5], v75, -1
	v_and_b32_e32 v66, 63, v75
	v_and_b32_e32 v9, s1, v5
	v_or_b32_e32 v9, 0x80000000, v9
	v_and_b32_e32 v61, s0, v4
	v_ffbl_b32_e32 v9, v9
	v_add_u32_e32 v9, 32, v9
	v_ffbl_b32_e32 v61, v61
	v_cmp_ne_u32_e32 vcc, 63, v66
	v_min_u32_e32 v9, v61, v9
	s_mov_b32 s58, 0
	v_addc_co_u32_e32 v61, vcc, 0, v75, vcc
	v_lshlrev_b32_e32 v67, 2, v61
	ds_bpermute_b32 v61, v67, v7
	ds_bpermute_b32 v62, v67, v6
	v_and_b32_e32 v63, 1, v7
	s_mov_b32 s59, 1
	v_cmp_eq_u32_e32 vcc, 1, v63
	s_waitcnt lgkmcnt(1)
	v_and_b32_e32 v61, 1, v61
	v_cmp_lt_u32_e64 s[0:1], v66, v9
	v_cndmask_b32_e64 v61, v61, 1, vcc
	v_cmp_gt_u64_e32 vcc, s[58:59], v[6:7]
	s_and_b64 vcc, s[0:1], vcc
	v_and_b32_e32 v63, 0xffff, v61
	v_cndmask_b32_e64 v70, v7, v61, s[0:1]
	s_waitcnt lgkmcnt(0)
	v_cndmask_b32_e32 v61, 0, v62, vcc
	v_cmp_gt_u32_e32 vcc, 62, v66
	v_cndmask_b32_e64 v7, v7, v63, s[0:1]
	v_add_u32_e32 v6, v61, v6
	v_cndmask_b32_e64 v62, 0, 1, vcc
	v_lshlrev_b32_e32 v62, 1, v62
	v_add_lshl_u32 v68, v62, v75, 2
	ds_bpermute_b32 v62, v68, v7
	ds_bpermute_b32 v63, v68, v6
	v_and_b32_e32 v61, 1, v70
	v_cmp_eq_u32_e32 vcc, 1, v61
	v_mov_b32_e32 v61, 0
	s_waitcnt lgkmcnt(1)
	v_and_b32_e32 v62, 1, v62
	v_add_u32_e32 v69, 2, v66
	v_cndmask_b32_e64 v62, v62, 1, vcc
	v_cmp_eq_u16_sdwa vcc, v70, v61 src0_sel:BYTE_0 src1_sel:DWORD
	v_and_b32_e32 v71, 0xffff, v62
	v_add_u32_e32 v79, 32, v66
	s_waitcnt lgkmcnt(0)
	v_cndmask_b32_e32 v63, 0, v63, vcc
	v_cmp_gt_u32_e32 vcc, v69, v9
	s_nop 1
	v_cndmask_b32_e32 v62, v62, v70, vcc
	v_cndmask_b32_e64 v63, v63, 0, vcc
	v_cndmask_b32_e32 v7, v71, v7, vcc
	v_cmp_gt_u32_e32 vcc, 60, v66
	v_add_u32_e32 v6, v63, v6
	v_and_b32_e32 v73, 1, v62
	v_cndmask_b32_e64 v70, 0, 1, vcc
	v_lshlrev_b32_e32 v70, 2, v70
	v_add_lshl_u32 v70, v70, v75, 2
	ds_bpermute_b32 v72, v70, v7
	ds_bpermute_b32 v63, v70, v6
	v_cmp_eq_u32_e32 vcc, 1, v73
	v_add_u32_e32 v71, 4, v66
	s_waitcnt lgkmcnt(1)
	v_and_b32_e32 v72, 1, v72
	v_cndmask_b32_e64 v72, v72, 1, vcc
	v_cmp_eq_u16_sdwa vcc, v62, v61 src0_sel:BYTE_0 src1_sel:DWORD
	v_and_b32_e32 v73, 0xffff, v72
	s_waitcnt lgkmcnt(0)
	v_cndmask_b32_e32 v63, 0, v63, vcc
	v_cmp_gt_u32_e32 vcc, v71, v9
	s_nop 1
	v_cndmask_b32_e32 v62, v72, v62, vcc
	v_cndmask_b32_e64 v63, v63, 0, vcc
	v_cndmask_b32_e32 v7, v73, v7, vcc
	v_cmp_gt_u32_e32 vcc, 56, v66
	v_add_u32_e32 v6, v63, v6
	v_and_b32_e32 v76, 1, v62
	v_cndmask_b32_e64 v72, 0, 1, vcc
	v_lshlrev_b32_e32 v72, 3, v72
	v_add_lshl_u32 v72, v72, v75, 2
	ds_bpermute_b32 v74, v72, v7
	ds_bpermute_b32 v63, v72, v6
	v_cmp_eq_u32_e32 vcc, 1, v76
	v_add_u32_e32 v73, 8, v66
	s_waitcnt lgkmcnt(1)
	v_and_b32_e32 v74, 1, v74
	v_cndmask_b32_e64 v74, v74, 1, vcc
	v_cmp_eq_u16_sdwa vcc, v62, v61 src0_sel:BYTE_0 src1_sel:DWORD
	v_and_b32_e32 v76, 0xffff, v74
	;; [unrolled: 22-line block ×3, first 2 shown]
	s_waitcnt lgkmcnt(0)
	v_cndmask_b32_e32 v63, 0, v63, vcc
	v_cmp_gt_u32_e32 vcc, v76, v9
	s_nop 1
	v_cndmask_b32_e32 v62, v77, v62, vcc
	v_cndmask_b32_e64 v63, v63, 0, vcc
	v_cndmask_b32_e32 v7, v78, v7, vcc
	v_cmp_gt_u32_e32 vcc, 32, v66
	v_add_u32_e32 v6, v63, v6
	s_nop 0
	v_cndmask_b32_e64 v77, 0, 1, vcc
	v_lshlrev_b32_e32 v77, 5, v77
	v_add_lshl_u32 v78, v77, v75, 2
	ds_bpermute_b32 v7, v78, v7
	ds_bpermute_b32 v63, v78, v6
	v_and_b32_e32 v75, 1, v62
	v_cmp_eq_u32_e32 vcc, 1, v75
	s_waitcnt lgkmcnt(1)
	v_and_b32_e32 v7, 1, v7
	v_cndmask_b32_e64 v7, v7, 1, vcc
	v_cmp_eq_u16_sdwa vcc, v62, v61 src0_sel:BYTE_0 src1_sel:DWORD
	s_waitcnt lgkmcnt(0)
	s_nop 0
	v_cndmask_b32_e32 v63, 0, v63, vcc
	v_cmp_gt_u32_e32 vcc, v79, v9
	s_nop 1
	v_cndmask_b32_e64 v9, v63, 0, vcc
	v_cndmask_b32_e32 v7, v7, v62, vcc
	v_add_u32_e32 v6, v9, v6
	s_branch .LBB562_178
.LBB562_177:                            ;   in Loop: Header=BB562_178 Depth=1
	s_or_b64 exec, exec, s[0:1]
	v_cmp_eq_u16_sdwa s[0:1], v8, v3 src0_sel:BYTE_0 src1_sel:DWORD
	ds_bpermute_b32 v63, v67, v7
	v_and_b32_e32 v80, 1, v7
	v_and_b32_e32 v9, s1, v5
	v_or_b32_e32 v9, 0x80000000, v9
	v_and_b32_e32 v62, s0, v4
	v_ffbl_b32_e32 v9, v9
	v_add_u32_e32 v9, 32, v9
	v_ffbl_b32_e32 v62, v62
	v_min_u32_e32 v9, v62, v9
	ds_bpermute_b32 v62, v67, v6
	s_waitcnt lgkmcnt(1)
	v_and_b32_e32 v63, 1, v63
	v_cmp_eq_u32_e32 vcc, 1, v80
	v_cmp_lt_u32_e64 s[0:1], v66, v9
	v_subrev_u32_e32 v60, 64, v60
	v_cndmask_b32_e64 v63, v63, 1, vcc
	v_cmp_gt_u64_e32 vcc, s[58:59], v[6:7]
	v_and_b32_e32 v80, 0xffff, v63
	v_cndmask_b32_e64 v63, v7, v63, s[0:1]
	v_cndmask_b32_e64 v7, v7, v80, s[0:1]
	s_and_b64 vcc, s[0:1], vcc
	ds_bpermute_b32 v80, v68, v7
	s_waitcnt lgkmcnt(1)
	v_cndmask_b32_e32 v62, 0, v62, vcc
	v_add_u32_e32 v6, v62, v6
	ds_bpermute_b32 v62, v68, v6
	v_and_b32_e32 v81, 1, v63
	s_waitcnt lgkmcnt(1)
	v_and_b32_e32 v80, 1, v80
	v_cmp_eq_u32_e32 vcc, 1, v81
	s_nop 1
	v_cndmask_b32_e64 v80, v80, 1, vcc
	v_cmp_eq_u16_sdwa vcc, v63, v61 src0_sel:BYTE_0 src1_sel:DWORD
	v_and_b32_e32 v81, 0xffff, v80
	s_waitcnt lgkmcnt(0)
	v_cndmask_b32_e32 v62, 0, v62, vcc
	v_cmp_gt_u32_e32 vcc, v69, v9
	s_nop 1
	v_cndmask_b32_e32 v7, v81, v7, vcc
	v_cndmask_b32_e32 v63, v80, v63, vcc
	ds_bpermute_b32 v80, v70, v7
	v_cndmask_b32_e64 v62, v62, 0, vcc
	v_add_u32_e32 v6, v62, v6
	ds_bpermute_b32 v62, v70, v6
	v_and_b32_e32 v81, 1, v63
	s_waitcnt lgkmcnt(1)
	v_and_b32_e32 v80, 1, v80
	v_cmp_eq_u32_e32 vcc, 1, v81
	s_nop 1
	v_cndmask_b32_e64 v80, v80, 1, vcc
	v_cmp_eq_u16_sdwa vcc, v63, v61 src0_sel:BYTE_0 src1_sel:DWORD
	v_and_b32_e32 v81, 0xffff, v80
	s_waitcnt lgkmcnt(0)
	v_cndmask_b32_e32 v62, 0, v62, vcc
	v_cmp_gt_u32_e32 vcc, v71, v9
	s_nop 1
	v_cndmask_b32_e32 v7, v81, v7, vcc
	v_cndmask_b32_e32 v63, v80, v63, vcc
	ds_bpermute_b32 v80, v72, v7
	v_cndmask_b32_e64 v62, v62, 0, vcc
	;; [unrolled: 18-line block ×3, first 2 shown]
	v_add_u32_e32 v6, v62, v6
	ds_bpermute_b32 v62, v74, v6
	v_and_b32_e32 v81, 1, v63
	s_waitcnt lgkmcnt(1)
	v_and_b32_e32 v80, 1, v80
	v_cmp_eq_u32_e32 vcc, 1, v81
	s_nop 1
	v_cndmask_b32_e64 v80, v80, 1, vcc
	v_cmp_eq_u16_sdwa vcc, v63, v61 src0_sel:BYTE_0 src1_sel:DWORD
	v_and_b32_e32 v81, 0xffff, v80
	s_waitcnt lgkmcnt(0)
	v_cndmask_b32_e32 v62, 0, v62, vcc
	v_cmp_gt_u32_e32 vcc, v76, v9
	s_nop 1
	v_cndmask_b32_e64 v62, v62, 0, vcc
	v_cndmask_b32_e32 v7, v81, v7, vcc
	ds_bpermute_b32 v7, v78, v7
	v_add_u32_e32 v6, v62, v6
	ds_bpermute_b32 v62, v78, v6
	v_cndmask_b32_e32 v63, v80, v63, vcc
	v_and_b32_e32 v80, 1, v63
	v_cmp_eq_u32_e32 vcc, 1, v80
	s_waitcnt lgkmcnt(1)
	s_nop 0
	v_cndmask_b32_e64 v7, v7, 1, vcc
	v_cmp_eq_u16_sdwa vcc, v63, v61 src0_sel:BYTE_0 src1_sel:DWORD
	s_waitcnt lgkmcnt(0)
	s_nop 0
	v_cndmask_b32_e32 v62, 0, v62, vcc
	v_cmp_gt_u32_e32 vcc, v79, v9
	s_nop 1
	v_cndmask_b32_e64 v9, v62, 0, vcc
	v_cndmask_b32_e32 v7, v7, v63, vcc
	v_add_u32_e32 v6, v9, v6
	v_cmp_eq_u16_sdwa vcc, v75, v61 src0_sel:BYTE_0 src1_sel:DWORD
	v_and_b32_e32 v9, 1, v75
	v_and_b32_e32 v7, 1, v7
	v_cndmask_b32_e32 v6, 0, v6, vcc
	v_cmp_eq_u32_e32 vcc, 1, v9
	v_add_u32_e32 v6, v6, v77
	s_nop 0
	v_cndmask_b32_e64 v7, v7, 1, vcc
.LBB562_178:                            ; =>This Loop Header: Depth=1
                                        ;     Child Loop BB562_181 Depth 2
	v_cmp_ne_u16_sdwa s[0:1], v8, v3 src0_sel:BYTE_0 src1_sel:DWORD
	v_mov_b32_e32 v75, v7
	v_mov_b32_e32 v77, v6
	v_cndmask_b32_e64 v7, 0, 1, s[0:1]
	;;#ASMSTART
	;;#ASMEND
	s_nop 0
	v_cmp_ne_u32_e32 vcc, 0, v7
	s_cmp_lg_u64 vcc, exec
	s_cbranch_scc1 .LBB562_183
; %bb.179:                              ;   in Loop: Header=BB562_178 Depth=1
	v_lshl_add_u64 v[62:63], v[60:61], 4, s[64:65]
	;;#ASMSTART
	global_load_dwordx4 v[6:9], v[62:63] off sc1	
s_waitcnt vmcnt(0)
	;;#ASMEND
	s_nop 0
	v_and_b32_e32 v9, 0xff0000, v6
	v_and_b32_e32 v80, 0xff000000, v6
	;; [unrolled: 1-line block ×3, first 2 shown]
	v_or_b32_sdwa v6, v6, v9 dst_sel:DWORD dst_unused:UNUSED_PAD src0_sel:WORD_0 src1_sel:DWORD
	v_or3_b32 v7, 0, 0, v7
	v_or3_b32 v6, v6, v80, 0
	v_cmp_eq_u16_sdwa s[60:61], v8, v61 src0_sel:BYTE_0 src1_sel:DWORD
	s_and_saveexec_b64 s[0:1], s[60:61]
	s_cbranch_execz .LBB562_177
; %bb.180:                              ;   in Loop: Header=BB562_178 Depth=1
	s_mov_b64 s[60:61], 0
.LBB562_181:                            ;   Parent Loop BB562_178 Depth=1
                                        ; =>  This Inner Loop Header: Depth=2
	;;#ASMSTART
	global_load_dwordx4 v[6:9], v[62:63] off sc1	
s_waitcnt vmcnt(0)
	;;#ASMEND
	s_nop 0
	v_cmp_ne_u16_sdwa s[76:77], v8, v61 src0_sel:BYTE_0 src1_sel:DWORD
	s_or_b64 s[60:61], s[76:77], s[60:61]
	s_andn2_b64 exec, exec, s[60:61]
	s_cbranch_execnz .LBB562_181
; %bb.182:                              ;   in Loop: Header=BB562_178 Depth=1
	s_or_b64 exec, exec, s[60:61]
	v_and_b32_e32 v7, 0xff, v7
	s_branch .LBB562_177
.LBB562_183:                            ;   in Loop: Header=BB562_178 Depth=1
                                        ; implicit-def: $vgpr7
                                        ; implicit-def: $vgpr6
                                        ; implicit-def: $vgpr8
	s_cbranch_execz .LBB562_178
; %bb.184:
	s_and_saveexec_b64 s[0:1], s[50:51]
	s_cbranch_execz .LBB562_186
; %bb.185:
	s_and_b32 s50, s68, 0xff
	s_cmp_eq_u32 s50, 0
	s_cselect_b64 vcc, -1, 0
	s_bitcmp1_b32 s68, 0
	s_mov_b32 s51, 0
	s_cselect_b64 s[58:59], -1, 0
	s_add_i32 s50, s67, 64
	s_lshl_b64 s[50:51], s[50:51], 4
	v_cndmask_b32_e32 v3, 0, v77, vcc
	s_add_u32 s50, s64, s50
	v_add_u32_e32 v2, v3, v2
	v_and_b32_e32 v3, 1, v75
	s_addc_u32 s51, s65, s51
	v_mov_b32_e32 v5, 0
	v_cndmask_b32_e64 v3, v3, 1, s[58:59]
	v_mov_b32_e32 v4, 2
	v_mov_b64_e32 v[6:7], s[50:51]
	;;#ASMSTART
	global_store_dwordx4 v[6:7], v[2:5] off sc1	
s_waitcnt vmcnt(0)
	;;#ASMEND
.LBB562_186:
	s_or_b64 exec, exec, s[0:1]
	s_and_b64 exec, exec, s[52:53]
	s_cbranch_execz .LBB562_188
; %bb.187:
	v_mov_b32_e32 v2, 0
	ds_write_b32 v2, v77
	ds_write_b8 v2, v75 offset:4
.LBB562_188:
	s_or_b64 exec, exec, s[56:57]
	v_mov_b32_e32 v2, 0
	s_waitcnt lgkmcnt(0)
	s_barrier
	ds_read_b32 v3, v2
	v_cmp_eq_u16_sdwa vcc, v65, v2 src0_sel:BYTE_0 src1_sel:DWORD
	s_waitcnt lgkmcnt(0)
	s_nop 0
	v_cndmask_b32_e32 v4, 0, v3, vcc
	v_add_u32_e32 v4, v4, v64
	v_cndmask_b32_e64 v60, v4, v3, s[52:53]
	v_and_b32_e32 v3, 0xff, v13
	v_cmp_eq_u64_e32 vcc, 0, v[2:3]
	s_nop 1
	v_cndmask_b32_e32 v2, 0, v60, vcc
	v_add_u32_e32 v61, v2, v12
	v_cndmask_b32_e64 v2, 0, v61, s[6:7]
	v_add_u32_e32 v62, v2, v14
	v_cndmask_b32_e64 v2, 0, v62, s[8:9]
	;; [unrolled: 2-line block ×21, first 2 shown]
	v_add_u32_e32 v82, v2, v54
	s_branch .LBB562_209
.LBB562_189:
                                        ; implicit-def: $vgpr81
                                        ; implicit-def: $vgpr80
                                        ; implicit-def: $vgpr79
                                        ; implicit-def: $vgpr78
                                        ; implicit-def: $vgpr77
                                        ; implicit-def: $vgpr76
                                        ; implicit-def: $vgpr75
                                        ; implicit-def: $vgpr74
                                        ; implicit-def: $vgpr73
                                        ; implicit-def: $vgpr72
                                        ; implicit-def: $vgpr71
                                        ; implicit-def: $vgpr70
                                        ; implicit-def: $vgpr69
                                        ; implicit-def: $vgpr68
                                        ; implicit-def: $vgpr67
                                        ; implicit-def: $vgpr66
                                        ; implicit-def: $vgpr65
                                        ; implicit-def: $vgpr64
                                        ; implicit-def: $vgpr63
                                        ; implicit-def: $vgpr62
                                        ; implicit-def: $vgpr61
                                        ; implicit-def: $vgpr60
                                        ; implicit-def: $vgpr82
	s_cbranch_execz .LBB562_209
; %bb.190:
	s_cmp_lg_u64 s[72:73], 0
	s_cselect_b32 s7, s71, 0
	s_cselect_b32 s6, s70, 0
	s_mov_b32 s0, 0
	s_cmp_eq_u64 s[6:7], 0
	v_mov_b32_e32 v4, s74
	s_cbranch_scc1 .LBB562_192
; %bb.191:
	v_mov_b32_e32 v2, 0
	global_load_dword v4, v2, s[6:7]
.LBB562_192:
	s_mov_b32 s1, 1
	v_cmp_gt_u64_e32 vcc, s[0:1], v[14:15]
	v_cmp_gt_u64_e64 s[6:7], s[0:1], v[16:17]
	v_cmp_gt_u64_e64 s[8:9], s[0:1], v[18:19]
	v_cndmask_b32_e32 v2, 0, v12, vcc
	v_add_u32_e32 v2, v2, v14
	v_cndmask_b32_e64 v2, 0, v2, s[6:7]
	v_add_u32_e32 v2, v2, v16
	v_cndmask_b32_e64 v2, 0, v2, s[8:9]
	v_add_u32_e32 v2, v2, v18
	v_cmp_gt_u64_e64 s[10:11], s[0:1], v[20:21]
	v_cmp_gt_u64_e64 s[12:13], s[0:1], v[22:23]
	v_cmp_gt_u64_e64 s[14:15], s[0:1], v[24:25]
	v_cndmask_b32_e64 v2, 0, v2, s[10:11]
	v_add_u32_e32 v2, v2, v20
	v_cndmask_b32_e64 v2, 0, v2, s[12:13]
	v_add_u32_e32 v2, v2, v22
	v_cndmask_b32_e64 v2, 0, v2, s[14:15]
	v_add_u32_e32 v2, v2, v24
	v_cmp_gt_u64_e64 s[16:17], s[0:1], v[26:27]
	v_cmp_gt_u64_e64 s[18:19], s[0:1], v[28:29]
	v_cmp_gt_u64_e64 s[20:21], s[0:1], v[30:31]
	v_cndmask_b32_e64 v2, 0, v2, s[16:17]
	;; [unrolled: 9-line block ×6, first 2 shown]
	v_add_u32_e32 v2, v2, v50
	v_cndmask_b32_e64 v2, 0, v2, s[44:45]
	v_add_u32_e32 v2, v2, v52
	v_cndmask_b32_e64 v2, 0, v2, s[46:47]
	v_add_u32_e32 v2, v2, v54
	v_cmp_gt_u64_e64 s[0:1], s[0:1], v[58:59]
	v_add_lshl_u32 v1, v1, v0, 3
	s_nop 0
	v_cndmask_b32_e64 v2, 0, v2, s[0:1]
	v_add_u32_e32 v5, v2, v58
	v_or3_b32 v2, v57, v53, v51
	v_or3_b32 v2, v2, v49, v47
	;; [unrolled: 1-line block ×10, first 2 shown]
	v_and_b32_e32 v2, 1, v2
	v_cmp_eq_u32_e64 s[0:1], 1, v2
	s_nop 1
	v_cndmask_b32_e64 v6, v13, 1, s[0:1]
	v_cmp_gt_u32_e64 s[0:1], 64, v0
	ds_write_b32 v1, v5
	ds_write_b8 v1, v6 offset:4
	s_waitcnt lgkmcnt(0)
	s_barrier
	s_and_saveexec_b64 s[48:49], s[0:1]
	s_cbranch_execz .LBB562_204
; %bb.193:
	v_lshrrev_b32_e32 v1, 3, v0
	v_add_lshl_u32 v1, v1, v56, 3
	ds_read2_b32 v[8:9], v1 offset0:2 offset1:4
	ds_read_b64 v[2:3], v1
	ds_read_u8 v15, v1 offset:12
	ds_read_u8 v17, v1 offset:20
	ds_read_b32 v19, v1 offset:24
	ds_read_u8 v21, v1 offset:28
	v_mov_b32_e32 v23, 0
	s_waitcnt lgkmcnt(3)
	v_cmp_eq_u16_sdwa s[0:1], v15, v23 src0_sel:BYTE_0 src1_sel:DWORD
	v_and_b32_e32 v7, 1, v3
	s_nop 0
	v_cndmask_b32_e64 v25, 0, v2, s[0:1]
	v_add_u32_e32 v8, v25, v8
	s_waitcnt lgkmcnt(2)
	v_cmp_eq_u16_sdwa s[0:1], v17, v23 src0_sel:BYTE_0 src1_sel:DWORD
	s_nop 1
	v_cndmask_b32_e64 v8, 0, v8, s[0:1]
	v_add_u32_e32 v8, v8, v9
	s_waitcnt lgkmcnt(0)
	v_cmp_eq_u16_e64 s[0:1], 0, v21
	s_nop 1
	v_cndmask_b32_e64 v8, 0, v8, s[0:1]
	v_add_u32_e32 v9, v8, v19
	v_or_b32_e32 v8, v21, v17
	v_or_b32_e32 v8, v8, v15
	v_and_b32_e32 v8, 1, v8
	v_cmp_eq_u32_e64 s[0:1], 1, v8
	v_mbcnt_lo_u32_b32 v15, -1, 0
	v_and_b32_e32 v8, 0xffffff00, v3
	v_cndmask_b32_e64 v17, v7, 1, s[0:1]
	v_mbcnt_hi_u32_b32 v15, -1, v15
	v_and_b32_e32 v21, 15, v15
	v_or_b32_sdwa v19, v8, v17 dst_sel:DWORD dst_unused:UNUSED_PAD src0_sel:DWORD src1_sel:WORD_0
	v_mov_b32_dpp v23, v9 row_shr:1 row_mask:0xf bank_mask:0xf
	v_cmp_ne_u32_e64 s[0:1], 0, v21
	v_mov_b32_dpp v25, v19 row_shr:1 row_mask:0xf bank_mask:0xf
	s_and_saveexec_b64 s[50:51], s[0:1]
; %bb.194:
	v_and_b32_e32 v19, 1, v17
	v_and_b32_e32 v25, 1, v25
	v_cmp_eq_u32_e64 s[0:1], 1, v19
	s_nop 1
	v_cndmask_b32_e64 v25, v25, 1, s[0:1]
	v_cmp_eq_u16_e64 s[0:1], 0, v17
	v_or_b32_sdwa v19, v8, v25 dst_sel:DWORD dst_unused:UNUSED_PAD src0_sel:DWORD src1_sel:WORD_0
	s_nop 0
	v_cndmask_b32_e64 v17, 0, v23, s[0:1]
	v_add_u32_e32 v9, v17, v9
	v_mov_b32_e32 v17, v25
; %bb.195:
	s_or_b64 exec, exec, s[50:51]
	v_mov_b32_dpp v23, v9 row_shr:2 row_mask:0xf bank_mask:0xf
	v_mov_b32_dpp v25, v19 row_shr:2 row_mask:0xf bank_mask:0xf
	v_cmp_lt_u32_e64 s[0:1], 1, v21
	s_and_saveexec_b64 s[50:51], s[0:1]
; %bb.196:
	v_and_b32_e32 v19, 1, v17
	v_and_b32_e32 v25, 1, v25
	v_cmp_eq_u32_e64 s[0:1], 1, v19
	s_nop 1
	v_cndmask_b32_e64 v25, v25, 1, s[0:1]
	v_cmp_eq_u16_e64 s[0:1], 0, v17
	v_or_b32_sdwa v19, v8, v25 dst_sel:DWORD dst_unused:UNUSED_PAD src0_sel:DWORD src1_sel:WORD_0
	s_nop 0
	v_cndmask_b32_e64 v17, 0, v23, s[0:1]
	v_add_u32_e32 v9, v17, v9
	v_mov_b32_e32 v17, v25
; %bb.197:
	s_or_b64 exec, exec, s[50:51]
	v_mov_b32_dpp v23, v9 row_shr:4 row_mask:0xf bank_mask:0xf
	v_mov_b32_dpp v25, v19 row_shr:4 row_mask:0xf bank_mask:0xf
	v_cmp_lt_u32_e64 s[0:1], 3, v21
	;; [unrolled: 18-line block ×3, first 2 shown]
	s_and_saveexec_b64 s[50:51], s[0:1]
; %bb.200:
	v_and_b32_e32 v19, 1, v17
	v_and_b32_e32 v21, 1, v25
	v_cmp_eq_u32_e64 s[0:1], 1, v19
	s_nop 1
	v_cndmask_b32_e64 v21, v21, 1, s[0:1]
	v_cmp_eq_u16_e64 s[0:1], 0, v17
	v_or_b32_sdwa v19, v8, v21 dst_sel:DWORD dst_unused:UNUSED_PAD src0_sel:DWORD src1_sel:WORD_0
	s_nop 0
	v_cndmask_b32_e64 v17, 0, v23, s[0:1]
	v_add_u32_e32 v9, v17, v9
	v_mov_b32_e32 v17, v21
; %bb.201:
	s_or_b64 exec, exec, s[50:51]
	v_and_b32_e32 v25, 16, v15
	v_mov_b32_dpp v21, v9 row_bcast:15 row_mask:0xf bank_mask:0xf
	v_mov_b32_dpp v23, v19 row_bcast:15 row_mask:0xf bank_mask:0xf
	v_cmp_ne_u32_e64 s[0:1], 0, v25
	s_and_saveexec_b64 s[50:51], s[0:1]
; %bb.202:
	v_and_b32_e32 v19, 1, v17
	v_and_b32_e32 v23, 1, v23
	v_cmp_eq_u32_e64 s[0:1], 1, v19
	s_nop 1
	v_cndmask_b32_e64 v23, v23, 1, s[0:1]
	v_cmp_eq_u16_e64 s[0:1], 0, v17
	v_or_b32_sdwa v19, v8, v23 dst_sel:DWORD dst_unused:UNUSED_PAD src0_sel:DWORD src1_sel:WORD_0
	s_nop 0
	v_cndmask_b32_e64 v17, 0, v21, s[0:1]
	v_add_u32_e32 v9, v17, v9
	v_mov_b32_e32 v17, v23
; %bb.203:
	s_or_b64 exec, exec, s[50:51]
	v_mov_b32_dpp v19, v19 row_bcast:31 row_mask:0xf bank_mask:0xf
	v_and_b32_e32 v23, 1, v17
	v_and_b32_e32 v19, 1, v19
	v_cmp_eq_u32_e64 s[0:1], 1, v23
	v_mov_b32_e32 v23, 0
	v_cmp_eq_u16_sdwa s[50:51], v17, v23 src0_sel:BYTE_0 src1_sel:DWORD
	v_cndmask_b32_e64 v19, v19, 1, s[0:1]
	v_cmp_lt_u32_e64 s[0:1], 31, v15
	v_mov_b32_dpp v21, v9 row_bcast:31 row_mask:0xf bank_mask:0xf
	s_movk_i32 s56, 0xff
	v_cndmask_b32_e64 v17, v17, v19, s[0:1]
	s_and_b64 s[0:1], s[0:1], s[50:51]
	v_cndmask_b32_e64 v19, 0, v21, s[0:1]
	v_add_u32_e32 v9, v19, v9
	v_add_u32_e32 v19, -1, v15
	v_and_b32_e32 v21, 64, v15
	v_cmp_lt_i32_e64 s[0:1], v19, v21
	v_and_or_b32 v8, v17, s56, v8
	s_nop 0
	v_cndmask_b32_e64 v15, v19, v15, s[0:1]
	v_lshlrev_b32_e32 v15, 2, v15
	ds_bpermute_b32 v9, v15, v9
	ds_bpermute_b32 v8, v15, v8
	v_cmp_eq_u16_sdwa s[0:1], v3, v23 src0_sel:BYTE_0 src1_sel:DWORD
	; wave barrier
	s_waitcnt lgkmcnt(1)
	s_nop 0
	v_cndmask_b32_e64 v3, 0, v9, s[0:1]
	v_add_u32_e32 v2, v3, v2
	s_waitcnt lgkmcnt(0)
	v_and_b32_e32 v3, 1, v8
	v_cmp_eq_u32_e64 s[0:1], 1, v7
	v_cndmask_b32_e64 v5, v2, v5, s[52:53]
	s_nop 0
	v_cndmask_b32_e64 v3, v3, 1, s[0:1]
	v_cndmask_b32_e64 v6, v3, v6, s[52:53]
	ds_write_b32 v1, v5
	ds_write_b8 v1, v6 offset:4
	; wave barrier
	ds_read_u8 v7, v1 offset:12
	ds_read2_b32 v[2:3], v1 offset0:2 offset1:4
	ds_read_u8 v8, v1 offset:20
	ds_read_b32 v9, v1 offset:24
	ds_read_u8 v15, v1 offset:28
	s_waitcnt lgkmcnt(4)
	v_cmp_eq_u16_e64 s[0:1], 0, v7
	s_nop 1
	v_cndmask_b32_e64 v5, 0, v5, s[0:1]
	s_waitcnt lgkmcnt(3)
	v_add_u32_e32 v2, v5, v2
	v_and_b32_e32 v5, 1, v7
	v_cmp_eq_u32_e64 s[0:1], 1, v5
	s_nop 1
	v_cndmask_b32_e64 v5, v6, 1, s[0:1]
	s_waitcnt lgkmcnt(2)
	v_cmp_eq_u16_e64 s[0:1], 0, v8
	ds_write_b8 v1, v5 offset:12
	s_nop 0
	v_cndmask_b32_e64 v6, 0, v2, s[0:1]
	v_add_u32_e32 v3, v6, v3
	v_and_b32_e32 v6, 1, v8
	v_cmp_eq_u32_e64 s[0:1], 1, v6
	s_nop 1
	v_cndmask_b32_e64 v5, v5, 1, s[0:1]
	s_waitcnt lgkmcnt(1)
	v_cmp_eq_u16_e64 s[0:1], 0, v15
	ds_write2_b32 v1, v2, v3 offset0:2 offset1:4
	ds_write_b8 v1, v5 offset:20
	v_cndmask_b32_e64 v2, 0, v3, s[0:1]
	v_and_b32_e32 v3, 1, v15
	v_add_u32_e32 v2, v2, v9
	v_cmp_eq_u32_e64 s[0:1], 1, v3
	s_nop 1
	v_cndmask_b32_e64 v3, v5, 1, s[0:1]
	ds_write_b32 v1, v2 offset:24
	ds_write_b8 v1, v3 offset:28
.LBB562_204:
	s_or_b64 exec, exec, s[48:49]
	s_waitcnt vmcnt(0)
	v_mov_b32_e32 v60, v4
	s_waitcnt lgkmcnt(0)
	s_barrier
	s_and_saveexec_b64 s[48:49], s[4:5]
	s_cbranch_execz .LBB562_206
; %bb.205:
	v_add_u32_e32 v1, -1, v0
	v_lshrrev_b32_e32 v2, 5, v1
	v_add_lshl_u32 v1, v2, v1, 3
	ds_read_u8 v2, v1 offset:4
	ds_read_b32 v1, v1
	s_waitcnt lgkmcnt(1)
	v_cmp_eq_u16_e64 s[0:1], 0, v2
	s_nop 1
	v_cndmask_b32_e64 v2, 0, v4, s[0:1]
	s_waitcnt lgkmcnt(0)
	v_add_u32_e32 v60, v2, v1
.LBB562_206:
	s_or_b64 exec, exec, s[48:49]
	v_and_b32_e32 v3, 0xff, v13
	v_mov_b32_e32 v2, 0
	v_cmp_eq_u64_e64 s[0:1], 0, v[2:3]
	s_nop 1
	v_cndmask_b32_e64 v1, 0, v60, s[0:1]
	v_add_u32_e32 v61, v1, v12
	v_cndmask_b32_e32 v1, 0, v61, vcc
	v_add_u32_e32 v62, v1, v14
	v_cndmask_b32_e64 v1, 0, v62, s[6:7]
	v_add_u32_e32 v63, v1, v16
	v_cndmask_b32_e64 v1, 0, v63, s[8:9]
	;; [unrolled: 2-line block ×20, first 2 shown]
	s_and_saveexec_b64 s[0:1], s[52:53]
	s_cbranch_execz .LBB562_208
; %bb.207:
	ds_read_u8 v3, v2 offset:2100
	ds_read_b32 v5, v2 offset:2096
	s_add_u32 s4, s64, 0x400
	s_addc_u32 s5, s65, 0
	v_mov_b32_e32 v6, 2
	s_waitcnt lgkmcnt(1)
	v_cmp_eq_u16_e32 vcc, 0, v3
	v_mov_b32_e32 v7, v2
	s_nop 0
	v_cndmask_b32_e32 v4, 0, v4, vcc
	s_waitcnt lgkmcnt(0)
	v_add_u32_e32 v4, v4, v5
	v_and_b32_e32 v5, 0xffff, v3
	v_mov_b64_e32 v[2:3], s[4:5]
	;;#ASMSTART
	global_store_dwordx4 v[2:3], v[4:7] off sc1	
s_waitcnt vmcnt(0)
	;;#ASMEND
.LBB562_208:
	s_or_b64 exec, exec, s[0:1]
	v_add_u32_e32 v82, v1, v54
.LBB562_209:
	s_add_u32 s0, s62, s54
	s_addc_u32 s1, s63, s55
	v_lshl_add_u64 v[2:3], s[0:1], 0, v[10:11]
	s_and_b64 vcc, exec, s[2:3]
	s_cbranch_vccz .LBB562_255
; %bb.210:
	s_movk_i32 s0, 0x5c
	v_mul_i32_i24_e32 v28, 0xffffffa8, v0
	v_mul_u32_u24_e32 v1, 0x5c, v0
	v_mad_u32_u24 v4, v0, s0, v28
	s_barrier
	ds_write2_b32 v1, v60, v61 offset1:1
	ds_write2_b32 v1, v62, v63 offset0:2 offset1:3
	ds_write2_b32 v1, v64, v65 offset0:4 offset1:5
	;; [unrolled: 1-line block ×10, first 2 shown]
	ds_write_b32 v1, v82 offset:88
	s_waitcnt lgkmcnt(0)
	s_barrier
	ds_read2st64_b32 v[26:27], v4 offset0:4 offset1:8
	ds_read2st64_b32 v[24:25], v4 offset0:12 offset1:16
	;; [unrolled: 1-line block ×11, first 2 shown]
	s_add_i32 s33, s33, s66
	v_mov_b32_e32 v57, 0
	v_lshl_add_u64 v[6:7], v[2:3], 0, v[56:57]
	v_cmp_gt_u32_e32 vcc, s33, v0
	s_and_saveexec_b64 s[0:1], vcc
	s_cbranch_execz .LBB562_212
; %bb.211:
	v_add_u32_e32 v1, v1, v28
	ds_read_b32 v1, v1
	s_waitcnt lgkmcnt(0)
	flat_store_dword v[6:7], v1
.LBB562_212:
	s_or_b64 exec, exec, s[0:1]
	v_or_b32_e32 v1, 0x100, v0
	v_cmp_gt_u32_e32 vcc, s33, v1
	s_and_saveexec_b64 s[0:1], vcc
	s_cbranch_execz .LBB562_214
; %bb.213:
	s_waitcnt lgkmcnt(0)
	flat_store_dword v[6:7], v26 offset:1024
.LBB562_214:
	s_or_b64 exec, exec, s[0:1]
	v_or_b32_e32 v1, 0x200, v0
	v_cmp_gt_u32_e32 vcc, s33, v1
	s_and_saveexec_b64 s[0:1], vcc
	s_cbranch_execz .LBB562_216
; %bb.215:
	s_waitcnt lgkmcnt(0)
	flat_store_dword v[6:7], v27 offset:2048
.LBB562_216:
	;; [unrolled: 9-line block ×3, first 2 shown]
	s_or_b64 exec, exec, s[0:1]
	v_or_b32_e32 v1, 0x400, v0
	v_cmp_gt_u32_e32 vcc, s33, v1
	s_and_saveexec_b64 s[0:1], vcc
	s_cbranch_execz .LBB562_220
; %bb.219:
	s_waitcnt lgkmcnt(0)
	v_add_co_u32_e32 v26, vcc, 0x1000, v6
	s_nop 1
	v_addc_co_u32_e32 v27, vcc, 0, v7, vcc
	flat_store_dword v[26:27], v25
.LBB562_220:
	s_or_b64 exec, exec, s[0:1]
	v_or_b32_e32 v1, 0x500, v0
	v_cmp_gt_u32_e32 vcc, s33, v1
	s_and_saveexec_b64 s[0:1], vcc
	s_cbranch_execz .LBB562_222
; %bb.221:
	s_waitcnt lgkmcnt(0)
	v_add_co_u32_e32 v24, vcc, 0x1000, v6
	s_nop 1
	v_addc_co_u32_e32 v25, vcc, 0, v7, vcc
	flat_store_dword v[24:25], v22 offset:1024
.LBB562_222:
	s_or_b64 exec, exec, s[0:1]
	v_or_b32_e32 v1, 0x600, v0
	v_cmp_gt_u32_e32 vcc, s33, v1
	s_and_saveexec_b64 s[0:1], vcc
	s_cbranch_execz .LBB562_224
; %bb.223:
	s_waitcnt lgkmcnt(0)
	v_add_co_u32_e32 v24, vcc, 0x1000, v6
	s_nop 1
	v_addc_co_u32_e32 v25, vcc, 0, v7, vcc
	flat_store_dword v[24:25], v23 offset:2048
.LBB562_224:
	s_or_b64 exec, exec, s[0:1]
	v_or_b32_e32 v1, 0x700, v0
	v_cmp_gt_u32_e32 vcc, s33, v1
	s_and_saveexec_b64 s[0:1], vcc
	s_cbranch_execz .LBB562_226
; %bb.225:
	s_waitcnt lgkmcnt(0)
	v_add_co_u32_e32 v22, vcc, 0x1000, v6
	s_nop 1
	v_addc_co_u32_e32 v23, vcc, 0, v7, vcc
	flat_store_dword v[22:23], v20 offset:3072
.LBB562_226:
	s_or_b64 exec, exec, s[0:1]
	v_or_b32_e32 v1, 0x800, v0
	v_cmp_gt_u32_e32 vcc, s33, v1
	s_and_saveexec_b64 s[0:1], vcc
	s_cbranch_execz .LBB562_228
; %bb.227:
	s_waitcnt lgkmcnt(0)
	v_add_co_u32_e32 v22, vcc, 0x2000, v6
	s_nop 1
	v_addc_co_u32_e32 v23, vcc, 0, v7, vcc
	flat_store_dword v[22:23], v21
.LBB562_228:
	s_or_b64 exec, exec, s[0:1]
	v_or_b32_e32 v1, 0x900, v0
	v_cmp_gt_u32_e32 vcc, s33, v1
	s_and_saveexec_b64 s[0:1], vcc
	s_cbranch_execz .LBB562_230
; %bb.229:
	s_waitcnt lgkmcnt(0)
	v_add_co_u32_e32 v20, vcc, 0x2000, v6
	s_nop 1
	v_addc_co_u32_e32 v21, vcc, 0, v7, vcc
	flat_store_dword v[20:21], v18 offset:1024
.LBB562_230:
	s_or_b64 exec, exec, s[0:1]
	v_or_b32_e32 v1, 0xa00, v0
	v_cmp_gt_u32_e32 vcc, s33, v1
	s_and_saveexec_b64 s[0:1], vcc
	s_cbranch_execz .LBB562_232
; %bb.231:
	s_waitcnt lgkmcnt(0)
	v_add_co_u32_e32 v20, vcc, 0x2000, v6
	s_nop 1
	v_addc_co_u32_e32 v21, vcc, 0, v7, vcc
	flat_store_dword v[20:21], v19 offset:2048
.LBB562_232:
	s_or_b64 exec, exec, s[0:1]
	v_or_b32_e32 v1, 0xb00, v0
	v_cmp_gt_u32_e32 vcc, s33, v1
	s_and_saveexec_b64 s[0:1], vcc
	s_cbranch_execz .LBB562_234
; %bb.233:
	s_waitcnt lgkmcnt(0)
	v_add_co_u32_e32 v18, vcc, 0x2000, v6
	s_nop 1
	v_addc_co_u32_e32 v19, vcc, 0, v7, vcc
	flat_store_dword v[18:19], v16 offset:3072
.LBB562_234:
	;; [unrolled: 48-line block ×4, first 2 shown]
	s_or_b64 exec, exec, s[0:1]
	v_or_b32_e32 v1, 0x1400, v0
	v_cmp_gt_u32_e32 vcc, s33, v1
	s_and_saveexec_b64 s[0:1], vcc
	s_cbranch_execz .LBB562_252
; %bb.251:
	s_waitcnt lgkmcnt(0)
	v_add_co_u32_e32 v10, vcc, 0x5000, v6
	s_nop 1
	v_addc_co_u32_e32 v11, vcc, 0, v7, vcc
	flat_store_dword v[10:11], v9
.LBB562_252:
	s_or_b64 exec, exec, s[0:1]
	v_or_b32_e32 v1, 0x1500, v0
	v_cmp_gt_u32_e32 vcc, s33, v1
	s_and_saveexec_b64 s[0:1], vcc
	s_cbranch_execz .LBB562_254
; %bb.253:
	v_add_co_u32_e32 v6, vcc, 0x5000, v6
	s_nop 1
	v_addc_co_u32_e32 v7, vcc, 0, v7, vcc
	s_waitcnt lgkmcnt(0)
	flat_store_dword v[6:7], v4 offset:1024
.LBB562_254:
	s_or_b64 exec, exec, s[0:1]
	s_waitcnt lgkmcnt(0)
	v_or_b32_e32 v4, 0x1600, v0
	v_mov_b32_e32 v1, v57
	v_cmp_gt_u32_e64 s[0:1], s33, v4
	s_branch .LBB562_257
.LBB562_255:
	s_mov_b64 s[0:1], 0
                                        ; implicit-def: $vgpr5
	s_cbranch_execz .LBB562_257
; %bb.256:
	v_mul_u32_u24_e32 v1, 0x5c, v0
	s_barrier
	s_movk_i32 s2, 0x5c
	ds_write2_b32 v1, v60, v61 offset1:1
	ds_write2_b32 v1, v62, v63 offset0:2 offset1:3
	ds_write2_b32 v1, v64, v65 offset0:4 offset1:5
	;; [unrolled: 1-line block ×10, first 2 shown]
	ds_write_b32 v1, v82 offset:88
	v_mov_b32_e32 v1, 0
	v_mul_i32_i24_e32 v4, 0xffffffa8, v0
	v_mad_u32_u24 v4, v0, s2, v4
	v_mov_b32_e32 v57, v1
	s_waitcnt lgkmcnt(0)
	s_barrier
	ds_read2st64_b32 v[6:7], v4 offset1:4
	ds_read2st64_b32 v[8:9], v4 offset0:8 offset1:12
	ds_read2st64_b32 v[10:11], v4 offset0:16 offset1:20
	;; [unrolled: 1-line block ×10, first 2 shown]
	ds_read_b32 v5, v4 offset:22528
	v_lshl_add_u64 v[28:29], v[2:3], 0, v[56:57]
	s_movk_i32 s2, 0x1000
	s_waitcnt lgkmcnt(0)
	flat_store_dword v[28:29], v6
	flat_store_dword v[28:29], v7 offset:1024
	flat_store_dword v[28:29], v8 offset:2048
	;; [unrolled: 1-line block ×3, first 2 shown]
	v_add_co_u32_e32 v6, vcc, s2, v28
	s_movk_i32 s2, 0x2000
	s_nop 0
	v_addc_co_u32_e32 v7, vcc, 0, v29, vcc
	flat_store_dword v[6:7], v10
	flat_store_dword v[6:7], v11 offset:1024
	flat_store_dword v[6:7], v12 offset:2048
	;; [unrolled: 1-line block ×3, first 2 shown]
	v_add_co_u32_e32 v6, vcc, s2, v28
	s_movk_i32 s2, 0x3000
	s_nop 0
	v_addc_co_u32_e32 v7, vcc, 0, v29, vcc
	flat_store_dword v[6:7], v14
	flat_store_dword v[6:7], v15 offset:1024
	flat_store_dword v[6:7], v16 offset:2048
	flat_store_dword v[6:7], v17 offset:3072
	v_add_co_u32_e32 v6, vcc, s2, v28
	s_or_b64 s[0:1], s[0:1], exec
	s_nop 0
	v_addc_co_u32_e32 v7, vcc, 0, v29, vcc
	flat_store_dword v[6:7], v18
	flat_store_dword v[6:7], v19 offset:1024
	flat_store_dword v[6:7], v20 offset:2048
	;; [unrolled: 1-line block ×3, first 2 shown]
	v_add_co_u32_e32 v6, vcc, 0x4000, v28
	s_nop 1
	v_addc_co_u32_e32 v7, vcc, 0, v29, vcc
	flat_store_dword v[6:7], v22
	flat_store_dword v[6:7], v23 offset:1024
	flat_store_dword v[6:7], v24 offset:2048
	;; [unrolled: 1-line block ×3, first 2 shown]
	v_add_co_u32_e32 v6, vcc, 0x5000, v28
	s_nop 1
	v_addc_co_u32_e32 v7, vcc, 0, v29, vcc
	flat_store_dword v[6:7], v26
	flat_store_dword v[6:7], v27 offset:1024
.LBB562_257:
	s_and_saveexec_b64 s[2:3], s[0:1]
	s_cbranch_execz .LBB562_259
; %bb.258:
	v_lshl_add_u64 v[0:1], v[0:1], 2, v[2:3]
	v_add_co_u32_e32 v0, vcc, 0x5000, v0
	s_nop 1
	v_addc_co_u32_e32 v1, vcc, 0, v1, vcc
	flat_store_dword v[0:1], v5 offset:2048
	s_endpgm
.LBB562_259:
	s_endpgm
	.section	.rodata,"a",@progbits
	.p2align	6, 0x0
	.amdhsa_kernel _ZN7rocprim17ROCPRIM_400000_NS6detail17trampoline_kernelINS0_14default_configENS1_27scan_by_key_config_selectorIiiEEZZNS1_16scan_by_key_implILNS1_25lookback_scan_determinismE0ELb1ES3_N6thrust23THRUST_200600_302600_NS6detail15normal_iteratorINS9_10device_ptrIiEEEESE_SE_iNS9_4plusIvEENS9_8equal_toIiEEiEE10hipError_tPvRmT2_T3_T4_T5_mT6_T7_P12ihipStream_tbENKUlT_T0_E_clISt17integral_constantIbLb0EESY_IbLb1EEEEDaSU_SV_EUlSU_E_NS1_11comp_targetILNS1_3genE5ELNS1_11target_archE942ELNS1_3gpuE9ELNS1_3repE0EEENS1_30default_config_static_selectorELNS0_4arch9wavefront6targetE1EEEvT1_
		.amdhsa_group_segment_fixed_size 25600
		.amdhsa_private_segment_fixed_size 0
		.amdhsa_kernarg_size 112
		.amdhsa_user_sgpr_count 2
		.amdhsa_user_sgpr_dispatch_ptr 0
		.amdhsa_user_sgpr_queue_ptr 0
		.amdhsa_user_sgpr_kernarg_segment_ptr 1
		.amdhsa_user_sgpr_dispatch_id 0
		.amdhsa_user_sgpr_kernarg_preload_length 0
		.amdhsa_user_sgpr_kernarg_preload_offset 0
		.amdhsa_user_sgpr_private_segment_size 0
		.amdhsa_uses_dynamic_stack 0
		.amdhsa_enable_private_segment 0
		.amdhsa_system_sgpr_workgroup_id_x 1
		.amdhsa_system_sgpr_workgroup_id_y 0
		.amdhsa_system_sgpr_workgroup_id_z 0
		.amdhsa_system_sgpr_workgroup_info 0
		.amdhsa_system_vgpr_workitem_id 0
		.amdhsa_next_free_vgpr 83
		.amdhsa_next_free_sgpr 80
		.amdhsa_accum_offset 84
		.amdhsa_reserve_vcc 1
		.amdhsa_float_round_mode_32 0
		.amdhsa_float_round_mode_16_64 0
		.amdhsa_float_denorm_mode_32 3
		.amdhsa_float_denorm_mode_16_64 3
		.amdhsa_dx10_clamp 1
		.amdhsa_ieee_mode 1
		.amdhsa_fp16_overflow 0
		.amdhsa_tg_split 0
		.amdhsa_exception_fp_ieee_invalid_op 0
		.amdhsa_exception_fp_denorm_src 0
		.amdhsa_exception_fp_ieee_div_zero 0
		.amdhsa_exception_fp_ieee_overflow 0
		.amdhsa_exception_fp_ieee_underflow 0
		.amdhsa_exception_fp_ieee_inexact 0
		.amdhsa_exception_int_div_zero 0
	.end_amdhsa_kernel
	.section	.text._ZN7rocprim17ROCPRIM_400000_NS6detail17trampoline_kernelINS0_14default_configENS1_27scan_by_key_config_selectorIiiEEZZNS1_16scan_by_key_implILNS1_25lookback_scan_determinismE0ELb1ES3_N6thrust23THRUST_200600_302600_NS6detail15normal_iteratorINS9_10device_ptrIiEEEESE_SE_iNS9_4plusIvEENS9_8equal_toIiEEiEE10hipError_tPvRmT2_T3_T4_T5_mT6_T7_P12ihipStream_tbENKUlT_T0_E_clISt17integral_constantIbLb0EESY_IbLb1EEEEDaSU_SV_EUlSU_E_NS1_11comp_targetILNS1_3genE5ELNS1_11target_archE942ELNS1_3gpuE9ELNS1_3repE0EEENS1_30default_config_static_selectorELNS0_4arch9wavefront6targetE1EEEvT1_,"axG",@progbits,_ZN7rocprim17ROCPRIM_400000_NS6detail17trampoline_kernelINS0_14default_configENS1_27scan_by_key_config_selectorIiiEEZZNS1_16scan_by_key_implILNS1_25lookback_scan_determinismE0ELb1ES3_N6thrust23THRUST_200600_302600_NS6detail15normal_iteratorINS9_10device_ptrIiEEEESE_SE_iNS9_4plusIvEENS9_8equal_toIiEEiEE10hipError_tPvRmT2_T3_T4_T5_mT6_T7_P12ihipStream_tbENKUlT_T0_E_clISt17integral_constantIbLb0EESY_IbLb1EEEEDaSU_SV_EUlSU_E_NS1_11comp_targetILNS1_3genE5ELNS1_11target_archE942ELNS1_3gpuE9ELNS1_3repE0EEENS1_30default_config_static_selectorELNS0_4arch9wavefront6targetE1EEEvT1_,comdat
.Lfunc_end562:
	.size	_ZN7rocprim17ROCPRIM_400000_NS6detail17trampoline_kernelINS0_14default_configENS1_27scan_by_key_config_selectorIiiEEZZNS1_16scan_by_key_implILNS1_25lookback_scan_determinismE0ELb1ES3_N6thrust23THRUST_200600_302600_NS6detail15normal_iteratorINS9_10device_ptrIiEEEESE_SE_iNS9_4plusIvEENS9_8equal_toIiEEiEE10hipError_tPvRmT2_T3_T4_T5_mT6_T7_P12ihipStream_tbENKUlT_T0_E_clISt17integral_constantIbLb0EESY_IbLb1EEEEDaSU_SV_EUlSU_E_NS1_11comp_targetILNS1_3genE5ELNS1_11target_archE942ELNS1_3gpuE9ELNS1_3repE0EEENS1_30default_config_static_selectorELNS0_4arch9wavefront6targetE1EEEvT1_, .Lfunc_end562-_ZN7rocprim17ROCPRIM_400000_NS6detail17trampoline_kernelINS0_14default_configENS1_27scan_by_key_config_selectorIiiEEZZNS1_16scan_by_key_implILNS1_25lookback_scan_determinismE0ELb1ES3_N6thrust23THRUST_200600_302600_NS6detail15normal_iteratorINS9_10device_ptrIiEEEESE_SE_iNS9_4plusIvEENS9_8equal_toIiEEiEE10hipError_tPvRmT2_T3_T4_T5_mT6_T7_P12ihipStream_tbENKUlT_T0_E_clISt17integral_constantIbLb0EESY_IbLb1EEEEDaSU_SV_EUlSU_E_NS1_11comp_targetILNS1_3genE5ELNS1_11target_archE942ELNS1_3gpuE9ELNS1_3repE0EEENS1_30default_config_static_selectorELNS0_4arch9wavefront6targetE1EEEvT1_
                                        ; -- End function
	.section	.AMDGPU.csdata,"",@progbits
; Kernel info:
; codeLenInByte = 15768
; NumSgprs: 86
; NumVgprs: 83
; NumAgprs: 0
; TotalNumVgprs: 83
; ScratchSize: 0
; MemoryBound: 0
; FloatMode: 240
; IeeeMode: 1
; LDSByteSize: 25600 bytes/workgroup (compile time only)
; SGPRBlocks: 10
; VGPRBlocks: 10
; NumSGPRsForWavesPerEU: 86
; NumVGPRsForWavesPerEU: 83
; AccumOffset: 84
; Occupancy: 2
; WaveLimiterHint : 1
; COMPUTE_PGM_RSRC2:SCRATCH_EN: 0
; COMPUTE_PGM_RSRC2:USER_SGPR: 2
; COMPUTE_PGM_RSRC2:TRAP_HANDLER: 0
; COMPUTE_PGM_RSRC2:TGID_X_EN: 1
; COMPUTE_PGM_RSRC2:TGID_Y_EN: 0
; COMPUTE_PGM_RSRC2:TGID_Z_EN: 0
; COMPUTE_PGM_RSRC2:TIDIG_COMP_CNT: 0
; COMPUTE_PGM_RSRC3_GFX90A:ACCUM_OFFSET: 20
; COMPUTE_PGM_RSRC3_GFX90A:TG_SPLIT: 0
	.section	.text._ZN7rocprim17ROCPRIM_400000_NS6detail17trampoline_kernelINS0_14default_configENS1_27scan_by_key_config_selectorIiiEEZZNS1_16scan_by_key_implILNS1_25lookback_scan_determinismE0ELb1ES3_N6thrust23THRUST_200600_302600_NS6detail15normal_iteratorINS9_10device_ptrIiEEEESE_SE_iNS9_4plusIvEENS9_8equal_toIiEEiEE10hipError_tPvRmT2_T3_T4_T5_mT6_T7_P12ihipStream_tbENKUlT_T0_E_clISt17integral_constantIbLb0EESY_IbLb1EEEEDaSU_SV_EUlSU_E_NS1_11comp_targetILNS1_3genE4ELNS1_11target_archE910ELNS1_3gpuE8ELNS1_3repE0EEENS1_30default_config_static_selectorELNS0_4arch9wavefront6targetE1EEEvT1_,"axG",@progbits,_ZN7rocprim17ROCPRIM_400000_NS6detail17trampoline_kernelINS0_14default_configENS1_27scan_by_key_config_selectorIiiEEZZNS1_16scan_by_key_implILNS1_25lookback_scan_determinismE0ELb1ES3_N6thrust23THRUST_200600_302600_NS6detail15normal_iteratorINS9_10device_ptrIiEEEESE_SE_iNS9_4plusIvEENS9_8equal_toIiEEiEE10hipError_tPvRmT2_T3_T4_T5_mT6_T7_P12ihipStream_tbENKUlT_T0_E_clISt17integral_constantIbLb0EESY_IbLb1EEEEDaSU_SV_EUlSU_E_NS1_11comp_targetILNS1_3genE4ELNS1_11target_archE910ELNS1_3gpuE8ELNS1_3repE0EEENS1_30default_config_static_selectorELNS0_4arch9wavefront6targetE1EEEvT1_,comdat
	.protected	_ZN7rocprim17ROCPRIM_400000_NS6detail17trampoline_kernelINS0_14default_configENS1_27scan_by_key_config_selectorIiiEEZZNS1_16scan_by_key_implILNS1_25lookback_scan_determinismE0ELb1ES3_N6thrust23THRUST_200600_302600_NS6detail15normal_iteratorINS9_10device_ptrIiEEEESE_SE_iNS9_4plusIvEENS9_8equal_toIiEEiEE10hipError_tPvRmT2_T3_T4_T5_mT6_T7_P12ihipStream_tbENKUlT_T0_E_clISt17integral_constantIbLb0EESY_IbLb1EEEEDaSU_SV_EUlSU_E_NS1_11comp_targetILNS1_3genE4ELNS1_11target_archE910ELNS1_3gpuE8ELNS1_3repE0EEENS1_30default_config_static_selectorELNS0_4arch9wavefront6targetE1EEEvT1_ ; -- Begin function _ZN7rocprim17ROCPRIM_400000_NS6detail17trampoline_kernelINS0_14default_configENS1_27scan_by_key_config_selectorIiiEEZZNS1_16scan_by_key_implILNS1_25lookback_scan_determinismE0ELb1ES3_N6thrust23THRUST_200600_302600_NS6detail15normal_iteratorINS9_10device_ptrIiEEEESE_SE_iNS9_4plusIvEENS9_8equal_toIiEEiEE10hipError_tPvRmT2_T3_T4_T5_mT6_T7_P12ihipStream_tbENKUlT_T0_E_clISt17integral_constantIbLb0EESY_IbLb1EEEEDaSU_SV_EUlSU_E_NS1_11comp_targetILNS1_3genE4ELNS1_11target_archE910ELNS1_3gpuE8ELNS1_3repE0EEENS1_30default_config_static_selectorELNS0_4arch9wavefront6targetE1EEEvT1_
	.globl	_ZN7rocprim17ROCPRIM_400000_NS6detail17trampoline_kernelINS0_14default_configENS1_27scan_by_key_config_selectorIiiEEZZNS1_16scan_by_key_implILNS1_25lookback_scan_determinismE0ELb1ES3_N6thrust23THRUST_200600_302600_NS6detail15normal_iteratorINS9_10device_ptrIiEEEESE_SE_iNS9_4plusIvEENS9_8equal_toIiEEiEE10hipError_tPvRmT2_T3_T4_T5_mT6_T7_P12ihipStream_tbENKUlT_T0_E_clISt17integral_constantIbLb0EESY_IbLb1EEEEDaSU_SV_EUlSU_E_NS1_11comp_targetILNS1_3genE4ELNS1_11target_archE910ELNS1_3gpuE8ELNS1_3repE0EEENS1_30default_config_static_selectorELNS0_4arch9wavefront6targetE1EEEvT1_
	.p2align	8
	.type	_ZN7rocprim17ROCPRIM_400000_NS6detail17trampoline_kernelINS0_14default_configENS1_27scan_by_key_config_selectorIiiEEZZNS1_16scan_by_key_implILNS1_25lookback_scan_determinismE0ELb1ES3_N6thrust23THRUST_200600_302600_NS6detail15normal_iteratorINS9_10device_ptrIiEEEESE_SE_iNS9_4plusIvEENS9_8equal_toIiEEiEE10hipError_tPvRmT2_T3_T4_T5_mT6_T7_P12ihipStream_tbENKUlT_T0_E_clISt17integral_constantIbLb0EESY_IbLb1EEEEDaSU_SV_EUlSU_E_NS1_11comp_targetILNS1_3genE4ELNS1_11target_archE910ELNS1_3gpuE8ELNS1_3repE0EEENS1_30default_config_static_selectorELNS0_4arch9wavefront6targetE1EEEvT1_,@function
_ZN7rocprim17ROCPRIM_400000_NS6detail17trampoline_kernelINS0_14default_configENS1_27scan_by_key_config_selectorIiiEEZZNS1_16scan_by_key_implILNS1_25lookback_scan_determinismE0ELb1ES3_N6thrust23THRUST_200600_302600_NS6detail15normal_iteratorINS9_10device_ptrIiEEEESE_SE_iNS9_4plusIvEENS9_8equal_toIiEEiEE10hipError_tPvRmT2_T3_T4_T5_mT6_T7_P12ihipStream_tbENKUlT_T0_E_clISt17integral_constantIbLb0EESY_IbLb1EEEEDaSU_SV_EUlSU_E_NS1_11comp_targetILNS1_3genE4ELNS1_11target_archE910ELNS1_3gpuE8ELNS1_3repE0EEENS1_30default_config_static_selectorELNS0_4arch9wavefront6targetE1EEEvT1_: ; @_ZN7rocprim17ROCPRIM_400000_NS6detail17trampoline_kernelINS0_14default_configENS1_27scan_by_key_config_selectorIiiEEZZNS1_16scan_by_key_implILNS1_25lookback_scan_determinismE0ELb1ES3_N6thrust23THRUST_200600_302600_NS6detail15normal_iteratorINS9_10device_ptrIiEEEESE_SE_iNS9_4plusIvEENS9_8equal_toIiEEiEE10hipError_tPvRmT2_T3_T4_T5_mT6_T7_P12ihipStream_tbENKUlT_T0_E_clISt17integral_constantIbLb0EESY_IbLb1EEEEDaSU_SV_EUlSU_E_NS1_11comp_targetILNS1_3genE4ELNS1_11target_archE910ELNS1_3gpuE8ELNS1_3repE0EEENS1_30default_config_static_selectorELNS0_4arch9wavefront6targetE1EEEvT1_
; %bb.0:
	.section	.rodata,"a",@progbits
	.p2align	6, 0x0
	.amdhsa_kernel _ZN7rocprim17ROCPRIM_400000_NS6detail17trampoline_kernelINS0_14default_configENS1_27scan_by_key_config_selectorIiiEEZZNS1_16scan_by_key_implILNS1_25lookback_scan_determinismE0ELb1ES3_N6thrust23THRUST_200600_302600_NS6detail15normal_iteratorINS9_10device_ptrIiEEEESE_SE_iNS9_4plusIvEENS9_8equal_toIiEEiEE10hipError_tPvRmT2_T3_T4_T5_mT6_T7_P12ihipStream_tbENKUlT_T0_E_clISt17integral_constantIbLb0EESY_IbLb1EEEEDaSU_SV_EUlSU_E_NS1_11comp_targetILNS1_3genE4ELNS1_11target_archE910ELNS1_3gpuE8ELNS1_3repE0EEENS1_30default_config_static_selectorELNS0_4arch9wavefront6targetE1EEEvT1_
		.amdhsa_group_segment_fixed_size 0
		.amdhsa_private_segment_fixed_size 0
		.amdhsa_kernarg_size 112
		.amdhsa_user_sgpr_count 2
		.amdhsa_user_sgpr_dispatch_ptr 0
		.amdhsa_user_sgpr_queue_ptr 0
		.amdhsa_user_sgpr_kernarg_segment_ptr 1
		.amdhsa_user_sgpr_dispatch_id 0
		.amdhsa_user_sgpr_kernarg_preload_length 0
		.amdhsa_user_sgpr_kernarg_preload_offset 0
		.amdhsa_user_sgpr_private_segment_size 0
		.amdhsa_uses_dynamic_stack 0
		.amdhsa_enable_private_segment 0
		.amdhsa_system_sgpr_workgroup_id_x 1
		.amdhsa_system_sgpr_workgroup_id_y 0
		.amdhsa_system_sgpr_workgroup_id_z 0
		.amdhsa_system_sgpr_workgroup_info 0
		.amdhsa_system_vgpr_workitem_id 0
		.amdhsa_next_free_vgpr 1
		.amdhsa_next_free_sgpr 0
		.amdhsa_accum_offset 4
		.amdhsa_reserve_vcc 0
		.amdhsa_float_round_mode_32 0
		.amdhsa_float_round_mode_16_64 0
		.amdhsa_float_denorm_mode_32 3
		.amdhsa_float_denorm_mode_16_64 3
		.amdhsa_dx10_clamp 1
		.amdhsa_ieee_mode 1
		.amdhsa_fp16_overflow 0
		.amdhsa_tg_split 0
		.amdhsa_exception_fp_ieee_invalid_op 0
		.amdhsa_exception_fp_denorm_src 0
		.amdhsa_exception_fp_ieee_div_zero 0
		.amdhsa_exception_fp_ieee_overflow 0
		.amdhsa_exception_fp_ieee_underflow 0
		.amdhsa_exception_fp_ieee_inexact 0
		.amdhsa_exception_int_div_zero 0
	.end_amdhsa_kernel
	.section	.text._ZN7rocprim17ROCPRIM_400000_NS6detail17trampoline_kernelINS0_14default_configENS1_27scan_by_key_config_selectorIiiEEZZNS1_16scan_by_key_implILNS1_25lookback_scan_determinismE0ELb1ES3_N6thrust23THRUST_200600_302600_NS6detail15normal_iteratorINS9_10device_ptrIiEEEESE_SE_iNS9_4plusIvEENS9_8equal_toIiEEiEE10hipError_tPvRmT2_T3_T4_T5_mT6_T7_P12ihipStream_tbENKUlT_T0_E_clISt17integral_constantIbLb0EESY_IbLb1EEEEDaSU_SV_EUlSU_E_NS1_11comp_targetILNS1_3genE4ELNS1_11target_archE910ELNS1_3gpuE8ELNS1_3repE0EEENS1_30default_config_static_selectorELNS0_4arch9wavefront6targetE1EEEvT1_,"axG",@progbits,_ZN7rocprim17ROCPRIM_400000_NS6detail17trampoline_kernelINS0_14default_configENS1_27scan_by_key_config_selectorIiiEEZZNS1_16scan_by_key_implILNS1_25lookback_scan_determinismE0ELb1ES3_N6thrust23THRUST_200600_302600_NS6detail15normal_iteratorINS9_10device_ptrIiEEEESE_SE_iNS9_4plusIvEENS9_8equal_toIiEEiEE10hipError_tPvRmT2_T3_T4_T5_mT6_T7_P12ihipStream_tbENKUlT_T0_E_clISt17integral_constantIbLb0EESY_IbLb1EEEEDaSU_SV_EUlSU_E_NS1_11comp_targetILNS1_3genE4ELNS1_11target_archE910ELNS1_3gpuE8ELNS1_3repE0EEENS1_30default_config_static_selectorELNS0_4arch9wavefront6targetE1EEEvT1_,comdat
.Lfunc_end563:
	.size	_ZN7rocprim17ROCPRIM_400000_NS6detail17trampoline_kernelINS0_14default_configENS1_27scan_by_key_config_selectorIiiEEZZNS1_16scan_by_key_implILNS1_25lookback_scan_determinismE0ELb1ES3_N6thrust23THRUST_200600_302600_NS6detail15normal_iteratorINS9_10device_ptrIiEEEESE_SE_iNS9_4plusIvEENS9_8equal_toIiEEiEE10hipError_tPvRmT2_T3_T4_T5_mT6_T7_P12ihipStream_tbENKUlT_T0_E_clISt17integral_constantIbLb0EESY_IbLb1EEEEDaSU_SV_EUlSU_E_NS1_11comp_targetILNS1_3genE4ELNS1_11target_archE910ELNS1_3gpuE8ELNS1_3repE0EEENS1_30default_config_static_selectorELNS0_4arch9wavefront6targetE1EEEvT1_, .Lfunc_end563-_ZN7rocprim17ROCPRIM_400000_NS6detail17trampoline_kernelINS0_14default_configENS1_27scan_by_key_config_selectorIiiEEZZNS1_16scan_by_key_implILNS1_25lookback_scan_determinismE0ELb1ES3_N6thrust23THRUST_200600_302600_NS6detail15normal_iteratorINS9_10device_ptrIiEEEESE_SE_iNS9_4plusIvEENS9_8equal_toIiEEiEE10hipError_tPvRmT2_T3_T4_T5_mT6_T7_P12ihipStream_tbENKUlT_T0_E_clISt17integral_constantIbLb0EESY_IbLb1EEEEDaSU_SV_EUlSU_E_NS1_11comp_targetILNS1_3genE4ELNS1_11target_archE910ELNS1_3gpuE8ELNS1_3repE0EEENS1_30default_config_static_selectorELNS0_4arch9wavefront6targetE1EEEvT1_
                                        ; -- End function
	.section	.AMDGPU.csdata,"",@progbits
; Kernel info:
; codeLenInByte = 0
; NumSgprs: 6
; NumVgprs: 0
; NumAgprs: 0
; TotalNumVgprs: 0
; ScratchSize: 0
; MemoryBound: 0
; FloatMode: 240
; IeeeMode: 1
; LDSByteSize: 0 bytes/workgroup (compile time only)
; SGPRBlocks: 0
; VGPRBlocks: 0
; NumSGPRsForWavesPerEU: 6
; NumVGPRsForWavesPerEU: 1
; AccumOffset: 4
; Occupancy: 8
; WaveLimiterHint : 0
; COMPUTE_PGM_RSRC2:SCRATCH_EN: 0
; COMPUTE_PGM_RSRC2:USER_SGPR: 2
; COMPUTE_PGM_RSRC2:TRAP_HANDLER: 0
; COMPUTE_PGM_RSRC2:TGID_X_EN: 1
; COMPUTE_PGM_RSRC2:TGID_Y_EN: 0
; COMPUTE_PGM_RSRC2:TGID_Z_EN: 0
; COMPUTE_PGM_RSRC2:TIDIG_COMP_CNT: 0
; COMPUTE_PGM_RSRC3_GFX90A:ACCUM_OFFSET: 0
; COMPUTE_PGM_RSRC3_GFX90A:TG_SPLIT: 0
	.section	.text._ZN7rocprim17ROCPRIM_400000_NS6detail17trampoline_kernelINS0_14default_configENS1_27scan_by_key_config_selectorIiiEEZZNS1_16scan_by_key_implILNS1_25lookback_scan_determinismE0ELb1ES3_N6thrust23THRUST_200600_302600_NS6detail15normal_iteratorINS9_10device_ptrIiEEEESE_SE_iNS9_4plusIvEENS9_8equal_toIiEEiEE10hipError_tPvRmT2_T3_T4_T5_mT6_T7_P12ihipStream_tbENKUlT_T0_E_clISt17integral_constantIbLb0EESY_IbLb1EEEEDaSU_SV_EUlSU_E_NS1_11comp_targetILNS1_3genE3ELNS1_11target_archE908ELNS1_3gpuE7ELNS1_3repE0EEENS1_30default_config_static_selectorELNS0_4arch9wavefront6targetE1EEEvT1_,"axG",@progbits,_ZN7rocprim17ROCPRIM_400000_NS6detail17trampoline_kernelINS0_14default_configENS1_27scan_by_key_config_selectorIiiEEZZNS1_16scan_by_key_implILNS1_25lookback_scan_determinismE0ELb1ES3_N6thrust23THRUST_200600_302600_NS6detail15normal_iteratorINS9_10device_ptrIiEEEESE_SE_iNS9_4plusIvEENS9_8equal_toIiEEiEE10hipError_tPvRmT2_T3_T4_T5_mT6_T7_P12ihipStream_tbENKUlT_T0_E_clISt17integral_constantIbLb0EESY_IbLb1EEEEDaSU_SV_EUlSU_E_NS1_11comp_targetILNS1_3genE3ELNS1_11target_archE908ELNS1_3gpuE7ELNS1_3repE0EEENS1_30default_config_static_selectorELNS0_4arch9wavefront6targetE1EEEvT1_,comdat
	.protected	_ZN7rocprim17ROCPRIM_400000_NS6detail17trampoline_kernelINS0_14default_configENS1_27scan_by_key_config_selectorIiiEEZZNS1_16scan_by_key_implILNS1_25lookback_scan_determinismE0ELb1ES3_N6thrust23THRUST_200600_302600_NS6detail15normal_iteratorINS9_10device_ptrIiEEEESE_SE_iNS9_4plusIvEENS9_8equal_toIiEEiEE10hipError_tPvRmT2_T3_T4_T5_mT6_T7_P12ihipStream_tbENKUlT_T0_E_clISt17integral_constantIbLb0EESY_IbLb1EEEEDaSU_SV_EUlSU_E_NS1_11comp_targetILNS1_3genE3ELNS1_11target_archE908ELNS1_3gpuE7ELNS1_3repE0EEENS1_30default_config_static_selectorELNS0_4arch9wavefront6targetE1EEEvT1_ ; -- Begin function _ZN7rocprim17ROCPRIM_400000_NS6detail17trampoline_kernelINS0_14default_configENS1_27scan_by_key_config_selectorIiiEEZZNS1_16scan_by_key_implILNS1_25lookback_scan_determinismE0ELb1ES3_N6thrust23THRUST_200600_302600_NS6detail15normal_iteratorINS9_10device_ptrIiEEEESE_SE_iNS9_4plusIvEENS9_8equal_toIiEEiEE10hipError_tPvRmT2_T3_T4_T5_mT6_T7_P12ihipStream_tbENKUlT_T0_E_clISt17integral_constantIbLb0EESY_IbLb1EEEEDaSU_SV_EUlSU_E_NS1_11comp_targetILNS1_3genE3ELNS1_11target_archE908ELNS1_3gpuE7ELNS1_3repE0EEENS1_30default_config_static_selectorELNS0_4arch9wavefront6targetE1EEEvT1_
	.globl	_ZN7rocprim17ROCPRIM_400000_NS6detail17trampoline_kernelINS0_14default_configENS1_27scan_by_key_config_selectorIiiEEZZNS1_16scan_by_key_implILNS1_25lookback_scan_determinismE0ELb1ES3_N6thrust23THRUST_200600_302600_NS6detail15normal_iteratorINS9_10device_ptrIiEEEESE_SE_iNS9_4plusIvEENS9_8equal_toIiEEiEE10hipError_tPvRmT2_T3_T4_T5_mT6_T7_P12ihipStream_tbENKUlT_T0_E_clISt17integral_constantIbLb0EESY_IbLb1EEEEDaSU_SV_EUlSU_E_NS1_11comp_targetILNS1_3genE3ELNS1_11target_archE908ELNS1_3gpuE7ELNS1_3repE0EEENS1_30default_config_static_selectorELNS0_4arch9wavefront6targetE1EEEvT1_
	.p2align	8
	.type	_ZN7rocprim17ROCPRIM_400000_NS6detail17trampoline_kernelINS0_14default_configENS1_27scan_by_key_config_selectorIiiEEZZNS1_16scan_by_key_implILNS1_25lookback_scan_determinismE0ELb1ES3_N6thrust23THRUST_200600_302600_NS6detail15normal_iteratorINS9_10device_ptrIiEEEESE_SE_iNS9_4plusIvEENS9_8equal_toIiEEiEE10hipError_tPvRmT2_T3_T4_T5_mT6_T7_P12ihipStream_tbENKUlT_T0_E_clISt17integral_constantIbLb0EESY_IbLb1EEEEDaSU_SV_EUlSU_E_NS1_11comp_targetILNS1_3genE3ELNS1_11target_archE908ELNS1_3gpuE7ELNS1_3repE0EEENS1_30default_config_static_selectorELNS0_4arch9wavefront6targetE1EEEvT1_,@function
_ZN7rocprim17ROCPRIM_400000_NS6detail17trampoline_kernelINS0_14default_configENS1_27scan_by_key_config_selectorIiiEEZZNS1_16scan_by_key_implILNS1_25lookback_scan_determinismE0ELb1ES3_N6thrust23THRUST_200600_302600_NS6detail15normal_iteratorINS9_10device_ptrIiEEEESE_SE_iNS9_4plusIvEENS9_8equal_toIiEEiEE10hipError_tPvRmT2_T3_T4_T5_mT6_T7_P12ihipStream_tbENKUlT_T0_E_clISt17integral_constantIbLb0EESY_IbLb1EEEEDaSU_SV_EUlSU_E_NS1_11comp_targetILNS1_3genE3ELNS1_11target_archE908ELNS1_3gpuE7ELNS1_3repE0EEENS1_30default_config_static_selectorELNS0_4arch9wavefront6targetE1EEEvT1_: ; @_ZN7rocprim17ROCPRIM_400000_NS6detail17trampoline_kernelINS0_14default_configENS1_27scan_by_key_config_selectorIiiEEZZNS1_16scan_by_key_implILNS1_25lookback_scan_determinismE0ELb1ES3_N6thrust23THRUST_200600_302600_NS6detail15normal_iteratorINS9_10device_ptrIiEEEESE_SE_iNS9_4plusIvEENS9_8equal_toIiEEiEE10hipError_tPvRmT2_T3_T4_T5_mT6_T7_P12ihipStream_tbENKUlT_T0_E_clISt17integral_constantIbLb0EESY_IbLb1EEEEDaSU_SV_EUlSU_E_NS1_11comp_targetILNS1_3genE3ELNS1_11target_archE908ELNS1_3gpuE7ELNS1_3repE0EEENS1_30default_config_static_selectorELNS0_4arch9wavefront6targetE1EEEvT1_
; %bb.0:
	.section	.rodata,"a",@progbits
	.p2align	6, 0x0
	.amdhsa_kernel _ZN7rocprim17ROCPRIM_400000_NS6detail17trampoline_kernelINS0_14default_configENS1_27scan_by_key_config_selectorIiiEEZZNS1_16scan_by_key_implILNS1_25lookback_scan_determinismE0ELb1ES3_N6thrust23THRUST_200600_302600_NS6detail15normal_iteratorINS9_10device_ptrIiEEEESE_SE_iNS9_4plusIvEENS9_8equal_toIiEEiEE10hipError_tPvRmT2_T3_T4_T5_mT6_T7_P12ihipStream_tbENKUlT_T0_E_clISt17integral_constantIbLb0EESY_IbLb1EEEEDaSU_SV_EUlSU_E_NS1_11comp_targetILNS1_3genE3ELNS1_11target_archE908ELNS1_3gpuE7ELNS1_3repE0EEENS1_30default_config_static_selectorELNS0_4arch9wavefront6targetE1EEEvT1_
		.amdhsa_group_segment_fixed_size 0
		.amdhsa_private_segment_fixed_size 0
		.amdhsa_kernarg_size 112
		.amdhsa_user_sgpr_count 2
		.amdhsa_user_sgpr_dispatch_ptr 0
		.amdhsa_user_sgpr_queue_ptr 0
		.amdhsa_user_sgpr_kernarg_segment_ptr 1
		.amdhsa_user_sgpr_dispatch_id 0
		.amdhsa_user_sgpr_kernarg_preload_length 0
		.amdhsa_user_sgpr_kernarg_preload_offset 0
		.amdhsa_user_sgpr_private_segment_size 0
		.amdhsa_uses_dynamic_stack 0
		.amdhsa_enable_private_segment 0
		.amdhsa_system_sgpr_workgroup_id_x 1
		.amdhsa_system_sgpr_workgroup_id_y 0
		.amdhsa_system_sgpr_workgroup_id_z 0
		.amdhsa_system_sgpr_workgroup_info 0
		.amdhsa_system_vgpr_workitem_id 0
		.amdhsa_next_free_vgpr 1
		.amdhsa_next_free_sgpr 0
		.amdhsa_accum_offset 4
		.amdhsa_reserve_vcc 0
		.amdhsa_float_round_mode_32 0
		.amdhsa_float_round_mode_16_64 0
		.amdhsa_float_denorm_mode_32 3
		.amdhsa_float_denorm_mode_16_64 3
		.amdhsa_dx10_clamp 1
		.amdhsa_ieee_mode 1
		.amdhsa_fp16_overflow 0
		.amdhsa_tg_split 0
		.amdhsa_exception_fp_ieee_invalid_op 0
		.amdhsa_exception_fp_denorm_src 0
		.amdhsa_exception_fp_ieee_div_zero 0
		.amdhsa_exception_fp_ieee_overflow 0
		.amdhsa_exception_fp_ieee_underflow 0
		.amdhsa_exception_fp_ieee_inexact 0
		.amdhsa_exception_int_div_zero 0
	.end_amdhsa_kernel
	.section	.text._ZN7rocprim17ROCPRIM_400000_NS6detail17trampoline_kernelINS0_14default_configENS1_27scan_by_key_config_selectorIiiEEZZNS1_16scan_by_key_implILNS1_25lookback_scan_determinismE0ELb1ES3_N6thrust23THRUST_200600_302600_NS6detail15normal_iteratorINS9_10device_ptrIiEEEESE_SE_iNS9_4plusIvEENS9_8equal_toIiEEiEE10hipError_tPvRmT2_T3_T4_T5_mT6_T7_P12ihipStream_tbENKUlT_T0_E_clISt17integral_constantIbLb0EESY_IbLb1EEEEDaSU_SV_EUlSU_E_NS1_11comp_targetILNS1_3genE3ELNS1_11target_archE908ELNS1_3gpuE7ELNS1_3repE0EEENS1_30default_config_static_selectorELNS0_4arch9wavefront6targetE1EEEvT1_,"axG",@progbits,_ZN7rocprim17ROCPRIM_400000_NS6detail17trampoline_kernelINS0_14default_configENS1_27scan_by_key_config_selectorIiiEEZZNS1_16scan_by_key_implILNS1_25lookback_scan_determinismE0ELb1ES3_N6thrust23THRUST_200600_302600_NS6detail15normal_iteratorINS9_10device_ptrIiEEEESE_SE_iNS9_4plusIvEENS9_8equal_toIiEEiEE10hipError_tPvRmT2_T3_T4_T5_mT6_T7_P12ihipStream_tbENKUlT_T0_E_clISt17integral_constantIbLb0EESY_IbLb1EEEEDaSU_SV_EUlSU_E_NS1_11comp_targetILNS1_3genE3ELNS1_11target_archE908ELNS1_3gpuE7ELNS1_3repE0EEENS1_30default_config_static_selectorELNS0_4arch9wavefront6targetE1EEEvT1_,comdat
.Lfunc_end564:
	.size	_ZN7rocprim17ROCPRIM_400000_NS6detail17trampoline_kernelINS0_14default_configENS1_27scan_by_key_config_selectorIiiEEZZNS1_16scan_by_key_implILNS1_25lookback_scan_determinismE0ELb1ES3_N6thrust23THRUST_200600_302600_NS6detail15normal_iteratorINS9_10device_ptrIiEEEESE_SE_iNS9_4plusIvEENS9_8equal_toIiEEiEE10hipError_tPvRmT2_T3_T4_T5_mT6_T7_P12ihipStream_tbENKUlT_T0_E_clISt17integral_constantIbLb0EESY_IbLb1EEEEDaSU_SV_EUlSU_E_NS1_11comp_targetILNS1_3genE3ELNS1_11target_archE908ELNS1_3gpuE7ELNS1_3repE0EEENS1_30default_config_static_selectorELNS0_4arch9wavefront6targetE1EEEvT1_, .Lfunc_end564-_ZN7rocprim17ROCPRIM_400000_NS6detail17trampoline_kernelINS0_14default_configENS1_27scan_by_key_config_selectorIiiEEZZNS1_16scan_by_key_implILNS1_25lookback_scan_determinismE0ELb1ES3_N6thrust23THRUST_200600_302600_NS6detail15normal_iteratorINS9_10device_ptrIiEEEESE_SE_iNS9_4plusIvEENS9_8equal_toIiEEiEE10hipError_tPvRmT2_T3_T4_T5_mT6_T7_P12ihipStream_tbENKUlT_T0_E_clISt17integral_constantIbLb0EESY_IbLb1EEEEDaSU_SV_EUlSU_E_NS1_11comp_targetILNS1_3genE3ELNS1_11target_archE908ELNS1_3gpuE7ELNS1_3repE0EEENS1_30default_config_static_selectorELNS0_4arch9wavefront6targetE1EEEvT1_
                                        ; -- End function
	.section	.AMDGPU.csdata,"",@progbits
; Kernel info:
; codeLenInByte = 0
; NumSgprs: 6
; NumVgprs: 0
; NumAgprs: 0
; TotalNumVgprs: 0
; ScratchSize: 0
; MemoryBound: 0
; FloatMode: 240
; IeeeMode: 1
; LDSByteSize: 0 bytes/workgroup (compile time only)
; SGPRBlocks: 0
; VGPRBlocks: 0
; NumSGPRsForWavesPerEU: 6
; NumVGPRsForWavesPerEU: 1
; AccumOffset: 4
; Occupancy: 8
; WaveLimiterHint : 0
; COMPUTE_PGM_RSRC2:SCRATCH_EN: 0
; COMPUTE_PGM_RSRC2:USER_SGPR: 2
; COMPUTE_PGM_RSRC2:TRAP_HANDLER: 0
; COMPUTE_PGM_RSRC2:TGID_X_EN: 1
; COMPUTE_PGM_RSRC2:TGID_Y_EN: 0
; COMPUTE_PGM_RSRC2:TGID_Z_EN: 0
; COMPUTE_PGM_RSRC2:TIDIG_COMP_CNT: 0
; COMPUTE_PGM_RSRC3_GFX90A:ACCUM_OFFSET: 0
; COMPUTE_PGM_RSRC3_GFX90A:TG_SPLIT: 0
	.section	.text._ZN7rocprim17ROCPRIM_400000_NS6detail17trampoline_kernelINS0_14default_configENS1_27scan_by_key_config_selectorIiiEEZZNS1_16scan_by_key_implILNS1_25lookback_scan_determinismE0ELb1ES3_N6thrust23THRUST_200600_302600_NS6detail15normal_iteratorINS9_10device_ptrIiEEEESE_SE_iNS9_4plusIvEENS9_8equal_toIiEEiEE10hipError_tPvRmT2_T3_T4_T5_mT6_T7_P12ihipStream_tbENKUlT_T0_E_clISt17integral_constantIbLb0EESY_IbLb1EEEEDaSU_SV_EUlSU_E_NS1_11comp_targetILNS1_3genE2ELNS1_11target_archE906ELNS1_3gpuE6ELNS1_3repE0EEENS1_30default_config_static_selectorELNS0_4arch9wavefront6targetE1EEEvT1_,"axG",@progbits,_ZN7rocprim17ROCPRIM_400000_NS6detail17trampoline_kernelINS0_14default_configENS1_27scan_by_key_config_selectorIiiEEZZNS1_16scan_by_key_implILNS1_25lookback_scan_determinismE0ELb1ES3_N6thrust23THRUST_200600_302600_NS6detail15normal_iteratorINS9_10device_ptrIiEEEESE_SE_iNS9_4plusIvEENS9_8equal_toIiEEiEE10hipError_tPvRmT2_T3_T4_T5_mT6_T7_P12ihipStream_tbENKUlT_T0_E_clISt17integral_constantIbLb0EESY_IbLb1EEEEDaSU_SV_EUlSU_E_NS1_11comp_targetILNS1_3genE2ELNS1_11target_archE906ELNS1_3gpuE6ELNS1_3repE0EEENS1_30default_config_static_selectorELNS0_4arch9wavefront6targetE1EEEvT1_,comdat
	.protected	_ZN7rocprim17ROCPRIM_400000_NS6detail17trampoline_kernelINS0_14default_configENS1_27scan_by_key_config_selectorIiiEEZZNS1_16scan_by_key_implILNS1_25lookback_scan_determinismE0ELb1ES3_N6thrust23THRUST_200600_302600_NS6detail15normal_iteratorINS9_10device_ptrIiEEEESE_SE_iNS9_4plusIvEENS9_8equal_toIiEEiEE10hipError_tPvRmT2_T3_T4_T5_mT6_T7_P12ihipStream_tbENKUlT_T0_E_clISt17integral_constantIbLb0EESY_IbLb1EEEEDaSU_SV_EUlSU_E_NS1_11comp_targetILNS1_3genE2ELNS1_11target_archE906ELNS1_3gpuE6ELNS1_3repE0EEENS1_30default_config_static_selectorELNS0_4arch9wavefront6targetE1EEEvT1_ ; -- Begin function _ZN7rocprim17ROCPRIM_400000_NS6detail17trampoline_kernelINS0_14default_configENS1_27scan_by_key_config_selectorIiiEEZZNS1_16scan_by_key_implILNS1_25lookback_scan_determinismE0ELb1ES3_N6thrust23THRUST_200600_302600_NS6detail15normal_iteratorINS9_10device_ptrIiEEEESE_SE_iNS9_4plusIvEENS9_8equal_toIiEEiEE10hipError_tPvRmT2_T3_T4_T5_mT6_T7_P12ihipStream_tbENKUlT_T0_E_clISt17integral_constantIbLb0EESY_IbLb1EEEEDaSU_SV_EUlSU_E_NS1_11comp_targetILNS1_3genE2ELNS1_11target_archE906ELNS1_3gpuE6ELNS1_3repE0EEENS1_30default_config_static_selectorELNS0_4arch9wavefront6targetE1EEEvT1_
	.globl	_ZN7rocprim17ROCPRIM_400000_NS6detail17trampoline_kernelINS0_14default_configENS1_27scan_by_key_config_selectorIiiEEZZNS1_16scan_by_key_implILNS1_25lookback_scan_determinismE0ELb1ES3_N6thrust23THRUST_200600_302600_NS6detail15normal_iteratorINS9_10device_ptrIiEEEESE_SE_iNS9_4plusIvEENS9_8equal_toIiEEiEE10hipError_tPvRmT2_T3_T4_T5_mT6_T7_P12ihipStream_tbENKUlT_T0_E_clISt17integral_constantIbLb0EESY_IbLb1EEEEDaSU_SV_EUlSU_E_NS1_11comp_targetILNS1_3genE2ELNS1_11target_archE906ELNS1_3gpuE6ELNS1_3repE0EEENS1_30default_config_static_selectorELNS0_4arch9wavefront6targetE1EEEvT1_
	.p2align	8
	.type	_ZN7rocprim17ROCPRIM_400000_NS6detail17trampoline_kernelINS0_14default_configENS1_27scan_by_key_config_selectorIiiEEZZNS1_16scan_by_key_implILNS1_25lookback_scan_determinismE0ELb1ES3_N6thrust23THRUST_200600_302600_NS6detail15normal_iteratorINS9_10device_ptrIiEEEESE_SE_iNS9_4plusIvEENS9_8equal_toIiEEiEE10hipError_tPvRmT2_T3_T4_T5_mT6_T7_P12ihipStream_tbENKUlT_T0_E_clISt17integral_constantIbLb0EESY_IbLb1EEEEDaSU_SV_EUlSU_E_NS1_11comp_targetILNS1_3genE2ELNS1_11target_archE906ELNS1_3gpuE6ELNS1_3repE0EEENS1_30default_config_static_selectorELNS0_4arch9wavefront6targetE1EEEvT1_,@function
_ZN7rocprim17ROCPRIM_400000_NS6detail17trampoline_kernelINS0_14default_configENS1_27scan_by_key_config_selectorIiiEEZZNS1_16scan_by_key_implILNS1_25lookback_scan_determinismE0ELb1ES3_N6thrust23THRUST_200600_302600_NS6detail15normal_iteratorINS9_10device_ptrIiEEEESE_SE_iNS9_4plusIvEENS9_8equal_toIiEEiEE10hipError_tPvRmT2_T3_T4_T5_mT6_T7_P12ihipStream_tbENKUlT_T0_E_clISt17integral_constantIbLb0EESY_IbLb1EEEEDaSU_SV_EUlSU_E_NS1_11comp_targetILNS1_3genE2ELNS1_11target_archE906ELNS1_3gpuE6ELNS1_3repE0EEENS1_30default_config_static_selectorELNS0_4arch9wavefront6targetE1EEEvT1_: ; @_ZN7rocprim17ROCPRIM_400000_NS6detail17trampoline_kernelINS0_14default_configENS1_27scan_by_key_config_selectorIiiEEZZNS1_16scan_by_key_implILNS1_25lookback_scan_determinismE0ELb1ES3_N6thrust23THRUST_200600_302600_NS6detail15normal_iteratorINS9_10device_ptrIiEEEESE_SE_iNS9_4plusIvEENS9_8equal_toIiEEiEE10hipError_tPvRmT2_T3_T4_T5_mT6_T7_P12ihipStream_tbENKUlT_T0_E_clISt17integral_constantIbLb0EESY_IbLb1EEEEDaSU_SV_EUlSU_E_NS1_11comp_targetILNS1_3genE2ELNS1_11target_archE906ELNS1_3gpuE6ELNS1_3repE0EEENS1_30default_config_static_selectorELNS0_4arch9wavefront6targetE1EEEvT1_
; %bb.0:
	.section	.rodata,"a",@progbits
	.p2align	6, 0x0
	.amdhsa_kernel _ZN7rocprim17ROCPRIM_400000_NS6detail17trampoline_kernelINS0_14default_configENS1_27scan_by_key_config_selectorIiiEEZZNS1_16scan_by_key_implILNS1_25lookback_scan_determinismE0ELb1ES3_N6thrust23THRUST_200600_302600_NS6detail15normal_iteratorINS9_10device_ptrIiEEEESE_SE_iNS9_4plusIvEENS9_8equal_toIiEEiEE10hipError_tPvRmT2_T3_T4_T5_mT6_T7_P12ihipStream_tbENKUlT_T0_E_clISt17integral_constantIbLb0EESY_IbLb1EEEEDaSU_SV_EUlSU_E_NS1_11comp_targetILNS1_3genE2ELNS1_11target_archE906ELNS1_3gpuE6ELNS1_3repE0EEENS1_30default_config_static_selectorELNS0_4arch9wavefront6targetE1EEEvT1_
		.amdhsa_group_segment_fixed_size 0
		.amdhsa_private_segment_fixed_size 0
		.amdhsa_kernarg_size 112
		.amdhsa_user_sgpr_count 2
		.amdhsa_user_sgpr_dispatch_ptr 0
		.amdhsa_user_sgpr_queue_ptr 0
		.amdhsa_user_sgpr_kernarg_segment_ptr 1
		.amdhsa_user_sgpr_dispatch_id 0
		.amdhsa_user_sgpr_kernarg_preload_length 0
		.amdhsa_user_sgpr_kernarg_preload_offset 0
		.amdhsa_user_sgpr_private_segment_size 0
		.amdhsa_uses_dynamic_stack 0
		.amdhsa_enable_private_segment 0
		.amdhsa_system_sgpr_workgroup_id_x 1
		.amdhsa_system_sgpr_workgroup_id_y 0
		.amdhsa_system_sgpr_workgroup_id_z 0
		.amdhsa_system_sgpr_workgroup_info 0
		.amdhsa_system_vgpr_workitem_id 0
		.amdhsa_next_free_vgpr 1
		.amdhsa_next_free_sgpr 0
		.amdhsa_accum_offset 4
		.amdhsa_reserve_vcc 0
		.amdhsa_float_round_mode_32 0
		.amdhsa_float_round_mode_16_64 0
		.amdhsa_float_denorm_mode_32 3
		.amdhsa_float_denorm_mode_16_64 3
		.amdhsa_dx10_clamp 1
		.amdhsa_ieee_mode 1
		.amdhsa_fp16_overflow 0
		.amdhsa_tg_split 0
		.amdhsa_exception_fp_ieee_invalid_op 0
		.amdhsa_exception_fp_denorm_src 0
		.amdhsa_exception_fp_ieee_div_zero 0
		.amdhsa_exception_fp_ieee_overflow 0
		.amdhsa_exception_fp_ieee_underflow 0
		.amdhsa_exception_fp_ieee_inexact 0
		.amdhsa_exception_int_div_zero 0
	.end_amdhsa_kernel
	.section	.text._ZN7rocprim17ROCPRIM_400000_NS6detail17trampoline_kernelINS0_14default_configENS1_27scan_by_key_config_selectorIiiEEZZNS1_16scan_by_key_implILNS1_25lookback_scan_determinismE0ELb1ES3_N6thrust23THRUST_200600_302600_NS6detail15normal_iteratorINS9_10device_ptrIiEEEESE_SE_iNS9_4plusIvEENS9_8equal_toIiEEiEE10hipError_tPvRmT2_T3_T4_T5_mT6_T7_P12ihipStream_tbENKUlT_T0_E_clISt17integral_constantIbLb0EESY_IbLb1EEEEDaSU_SV_EUlSU_E_NS1_11comp_targetILNS1_3genE2ELNS1_11target_archE906ELNS1_3gpuE6ELNS1_3repE0EEENS1_30default_config_static_selectorELNS0_4arch9wavefront6targetE1EEEvT1_,"axG",@progbits,_ZN7rocprim17ROCPRIM_400000_NS6detail17trampoline_kernelINS0_14default_configENS1_27scan_by_key_config_selectorIiiEEZZNS1_16scan_by_key_implILNS1_25lookback_scan_determinismE0ELb1ES3_N6thrust23THRUST_200600_302600_NS6detail15normal_iteratorINS9_10device_ptrIiEEEESE_SE_iNS9_4plusIvEENS9_8equal_toIiEEiEE10hipError_tPvRmT2_T3_T4_T5_mT6_T7_P12ihipStream_tbENKUlT_T0_E_clISt17integral_constantIbLb0EESY_IbLb1EEEEDaSU_SV_EUlSU_E_NS1_11comp_targetILNS1_3genE2ELNS1_11target_archE906ELNS1_3gpuE6ELNS1_3repE0EEENS1_30default_config_static_selectorELNS0_4arch9wavefront6targetE1EEEvT1_,comdat
.Lfunc_end565:
	.size	_ZN7rocprim17ROCPRIM_400000_NS6detail17trampoline_kernelINS0_14default_configENS1_27scan_by_key_config_selectorIiiEEZZNS1_16scan_by_key_implILNS1_25lookback_scan_determinismE0ELb1ES3_N6thrust23THRUST_200600_302600_NS6detail15normal_iteratorINS9_10device_ptrIiEEEESE_SE_iNS9_4plusIvEENS9_8equal_toIiEEiEE10hipError_tPvRmT2_T3_T4_T5_mT6_T7_P12ihipStream_tbENKUlT_T0_E_clISt17integral_constantIbLb0EESY_IbLb1EEEEDaSU_SV_EUlSU_E_NS1_11comp_targetILNS1_3genE2ELNS1_11target_archE906ELNS1_3gpuE6ELNS1_3repE0EEENS1_30default_config_static_selectorELNS0_4arch9wavefront6targetE1EEEvT1_, .Lfunc_end565-_ZN7rocprim17ROCPRIM_400000_NS6detail17trampoline_kernelINS0_14default_configENS1_27scan_by_key_config_selectorIiiEEZZNS1_16scan_by_key_implILNS1_25lookback_scan_determinismE0ELb1ES3_N6thrust23THRUST_200600_302600_NS6detail15normal_iteratorINS9_10device_ptrIiEEEESE_SE_iNS9_4plusIvEENS9_8equal_toIiEEiEE10hipError_tPvRmT2_T3_T4_T5_mT6_T7_P12ihipStream_tbENKUlT_T0_E_clISt17integral_constantIbLb0EESY_IbLb1EEEEDaSU_SV_EUlSU_E_NS1_11comp_targetILNS1_3genE2ELNS1_11target_archE906ELNS1_3gpuE6ELNS1_3repE0EEENS1_30default_config_static_selectorELNS0_4arch9wavefront6targetE1EEEvT1_
                                        ; -- End function
	.section	.AMDGPU.csdata,"",@progbits
; Kernel info:
; codeLenInByte = 0
; NumSgprs: 6
; NumVgprs: 0
; NumAgprs: 0
; TotalNumVgprs: 0
; ScratchSize: 0
; MemoryBound: 0
; FloatMode: 240
; IeeeMode: 1
; LDSByteSize: 0 bytes/workgroup (compile time only)
; SGPRBlocks: 0
; VGPRBlocks: 0
; NumSGPRsForWavesPerEU: 6
; NumVGPRsForWavesPerEU: 1
; AccumOffset: 4
; Occupancy: 8
; WaveLimiterHint : 0
; COMPUTE_PGM_RSRC2:SCRATCH_EN: 0
; COMPUTE_PGM_RSRC2:USER_SGPR: 2
; COMPUTE_PGM_RSRC2:TRAP_HANDLER: 0
; COMPUTE_PGM_RSRC2:TGID_X_EN: 1
; COMPUTE_PGM_RSRC2:TGID_Y_EN: 0
; COMPUTE_PGM_RSRC2:TGID_Z_EN: 0
; COMPUTE_PGM_RSRC2:TIDIG_COMP_CNT: 0
; COMPUTE_PGM_RSRC3_GFX90A:ACCUM_OFFSET: 0
; COMPUTE_PGM_RSRC3_GFX90A:TG_SPLIT: 0
	.section	.text._ZN7rocprim17ROCPRIM_400000_NS6detail17trampoline_kernelINS0_14default_configENS1_27scan_by_key_config_selectorIiiEEZZNS1_16scan_by_key_implILNS1_25lookback_scan_determinismE0ELb1ES3_N6thrust23THRUST_200600_302600_NS6detail15normal_iteratorINS9_10device_ptrIiEEEESE_SE_iNS9_4plusIvEENS9_8equal_toIiEEiEE10hipError_tPvRmT2_T3_T4_T5_mT6_T7_P12ihipStream_tbENKUlT_T0_E_clISt17integral_constantIbLb0EESY_IbLb1EEEEDaSU_SV_EUlSU_E_NS1_11comp_targetILNS1_3genE10ELNS1_11target_archE1200ELNS1_3gpuE4ELNS1_3repE0EEENS1_30default_config_static_selectorELNS0_4arch9wavefront6targetE1EEEvT1_,"axG",@progbits,_ZN7rocprim17ROCPRIM_400000_NS6detail17trampoline_kernelINS0_14default_configENS1_27scan_by_key_config_selectorIiiEEZZNS1_16scan_by_key_implILNS1_25lookback_scan_determinismE0ELb1ES3_N6thrust23THRUST_200600_302600_NS6detail15normal_iteratorINS9_10device_ptrIiEEEESE_SE_iNS9_4plusIvEENS9_8equal_toIiEEiEE10hipError_tPvRmT2_T3_T4_T5_mT6_T7_P12ihipStream_tbENKUlT_T0_E_clISt17integral_constantIbLb0EESY_IbLb1EEEEDaSU_SV_EUlSU_E_NS1_11comp_targetILNS1_3genE10ELNS1_11target_archE1200ELNS1_3gpuE4ELNS1_3repE0EEENS1_30default_config_static_selectorELNS0_4arch9wavefront6targetE1EEEvT1_,comdat
	.protected	_ZN7rocprim17ROCPRIM_400000_NS6detail17trampoline_kernelINS0_14default_configENS1_27scan_by_key_config_selectorIiiEEZZNS1_16scan_by_key_implILNS1_25lookback_scan_determinismE0ELb1ES3_N6thrust23THRUST_200600_302600_NS6detail15normal_iteratorINS9_10device_ptrIiEEEESE_SE_iNS9_4plusIvEENS9_8equal_toIiEEiEE10hipError_tPvRmT2_T3_T4_T5_mT6_T7_P12ihipStream_tbENKUlT_T0_E_clISt17integral_constantIbLb0EESY_IbLb1EEEEDaSU_SV_EUlSU_E_NS1_11comp_targetILNS1_3genE10ELNS1_11target_archE1200ELNS1_3gpuE4ELNS1_3repE0EEENS1_30default_config_static_selectorELNS0_4arch9wavefront6targetE1EEEvT1_ ; -- Begin function _ZN7rocprim17ROCPRIM_400000_NS6detail17trampoline_kernelINS0_14default_configENS1_27scan_by_key_config_selectorIiiEEZZNS1_16scan_by_key_implILNS1_25lookback_scan_determinismE0ELb1ES3_N6thrust23THRUST_200600_302600_NS6detail15normal_iteratorINS9_10device_ptrIiEEEESE_SE_iNS9_4plusIvEENS9_8equal_toIiEEiEE10hipError_tPvRmT2_T3_T4_T5_mT6_T7_P12ihipStream_tbENKUlT_T0_E_clISt17integral_constantIbLb0EESY_IbLb1EEEEDaSU_SV_EUlSU_E_NS1_11comp_targetILNS1_3genE10ELNS1_11target_archE1200ELNS1_3gpuE4ELNS1_3repE0EEENS1_30default_config_static_selectorELNS0_4arch9wavefront6targetE1EEEvT1_
	.globl	_ZN7rocprim17ROCPRIM_400000_NS6detail17trampoline_kernelINS0_14default_configENS1_27scan_by_key_config_selectorIiiEEZZNS1_16scan_by_key_implILNS1_25lookback_scan_determinismE0ELb1ES3_N6thrust23THRUST_200600_302600_NS6detail15normal_iteratorINS9_10device_ptrIiEEEESE_SE_iNS9_4plusIvEENS9_8equal_toIiEEiEE10hipError_tPvRmT2_T3_T4_T5_mT6_T7_P12ihipStream_tbENKUlT_T0_E_clISt17integral_constantIbLb0EESY_IbLb1EEEEDaSU_SV_EUlSU_E_NS1_11comp_targetILNS1_3genE10ELNS1_11target_archE1200ELNS1_3gpuE4ELNS1_3repE0EEENS1_30default_config_static_selectorELNS0_4arch9wavefront6targetE1EEEvT1_
	.p2align	8
	.type	_ZN7rocprim17ROCPRIM_400000_NS6detail17trampoline_kernelINS0_14default_configENS1_27scan_by_key_config_selectorIiiEEZZNS1_16scan_by_key_implILNS1_25lookback_scan_determinismE0ELb1ES3_N6thrust23THRUST_200600_302600_NS6detail15normal_iteratorINS9_10device_ptrIiEEEESE_SE_iNS9_4plusIvEENS9_8equal_toIiEEiEE10hipError_tPvRmT2_T3_T4_T5_mT6_T7_P12ihipStream_tbENKUlT_T0_E_clISt17integral_constantIbLb0EESY_IbLb1EEEEDaSU_SV_EUlSU_E_NS1_11comp_targetILNS1_3genE10ELNS1_11target_archE1200ELNS1_3gpuE4ELNS1_3repE0EEENS1_30default_config_static_selectorELNS0_4arch9wavefront6targetE1EEEvT1_,@function
_ZN7rocprim17ROCPRIM_400000_NS6detail17trampoline_kernelINS0_14default_configENS1_27scan_by_key_config_selectorIiiEEZZNS1_16scan_by_key_implILNS1_25lookback_scan_determinismE0ELb1ES3_N6thrust23THRUST_200600_302600_NS6detail15normal_iteratorINS9_10device_ptrIiEEEESE_SE_iNS9_4plusIvEENS9_8equal_toIiEEiEE10hipError_tPvRmT2_T3_T4_T5_mT6_T7_P12ihipStream_tbENKUlT_T0_E_clISt17integral_constantIbLb0EESY_IbLb1EEEEDaSU_SV_EUlSU_E_NS1_11comp_targetILNS1_3genE10ELNS1_11target_archE1200ELNS1_3gpuE4ELNS1_3repE0EEENS1_30default_config_static_selectorELNS0_4arch9wavefront6targetE1EEEvT1_: ; @_ZN7rocprim17ROCPRIM_400000_NS6detail17trampoline_kernelINS0_14default_configENS1_27scan_by_key_config_selectorIiiEEZZNS1_16scan_by_key_implILNS1_25lookback_scan_determinismE0ELb1ES3_N6thrust23THRUST_200600_302600_NS6detail15normal_iteratorINS9_10device_ptrIiEEEESE_SE_iNS9_4plusIvEENS9_8equal_toIiEEiEE10hipError_tPvRmT2_T3_T4_T5_mT6_T7_P12ihipStream_tbENKUlT_T0_E_clISt17integral_constantIbLb0EESY_IbLb1EEEEDaSU_SV_EUlSU_E_NS1_11comp_targetILNS1_3genE10ELNS1_11target_archE1200ELNS1_3gpuE4ELNS1_3repE0EEENS1_30default_config_static_selectorELNS0_4arch9wavefront6targetE1EEEvT1_
; %bb.0:
	.section	.rodata,"a",@progbits
	.p2align	6, 0x0
	.amdhsa_kernel _ZN7rocprim17ROCPRIM_400000_NS6detail17trampoline_kernelINS0_14default_configENS1_27scan_by_key_config_selectorIiiEEZZNS1_16scan_by_key_implILNS1_25lookback_scan_determinismE0ELb1ES3_N6thrust23THRUST_200600_302600_NS6detail15normal_iteratorINS9_10device_ptrIiEEEESE_SE_iNS9_4plusIvEENS9_8equal_toIiEEiEE10hipError_tPvRmT2_T3_T4_T5_mT6_T7_P12ihipStream_tbENKUlT_T0_E_clISt17integral_constantIbLb0EESY_IbLb1EEEEDaSU_SV_EUlSU_E_NS1_11comp_targetILNS1_3genE10ELNS1_11target_archE1200ELNS1_3gpuE4ELNS1_3repE0EEENS1_30default_config_static_selectorELNS0_4arch9wavefront6targetE1EEEvT1_
		.amdhsa_group_segment_fixed_size 0
		.amdhsa_private_segment_fixed_size 0
		.amdhsa_kernarg_size 112
		.amdhsa_user_sgpr_count 2
		.amdhsa_user_sgpr_dispatch_ptr 0
		.amdhsa_user_sgpr_queue_ptr 0
		.amdhsa_user_sgpr_kernarg_segment_ptr 1
		.amdhsa_user_sgpr_dispatch_id 0
		.amdhsa_user_sgpr_kernarg_preload_length 0
		.amdhsa_user_sgpr_kernarg_preload_offset 0
		.amdhsa_user_sgpr_private_segment_size 0
		.amdhsa_uses_dynamic_stack 0
		.amdhsa_enable_private_segment 0
		.amdhsa_system_sgpr_workgroup_id_x 1
		.amdhsa_system_sgpr_workgroup_id_y 0
		.amdhsa_system_sgpr_workgroup_id_z 0
		.amdhsa_system_sgpr_workgroup_info 0
		.amdhsa_system_vgpr_workitem_id 0
		.amdhsa_next_free_vgpr 1
		.amdhsa_next_free_sgpr 0
		.amdhsa_accum_offset 4
		.amdhsa_reserve_vcc 0
		.amdhsa_float_round_mode_32 0
		.amdhsa_float_round_mode_16_64 0
		.amdhsa_float_denorm_mode_32 3
		.amdhsa_float_denorm_mode_16_64 3
		.amdhsa_dx10_clamp 1
		.amdhsa_ieee_mode 1
		.amdhsa_fp16_overflow 0
		.amdhsa_tg_split 0
		.amdhsa_exception_fp_ieee_invalid_op 0
		.amdhsa_exception_fp_denorm_src 0
		.amdhsa_exception_fp_ieee_div_zero 0
		.amdhsa_exception_fp_ieee_overflow 0
		.amdhsa_exception_fp_ieee_underflow 0
		.amdhsa_exception_fp_ieee_inexact 0
		.amdhsa_exception_int_div_zero 0
	.end_amdhsa_kernel
	.section	.text._ZN7rocprim17ROCPRIM_400000_NS6detail17trampoline_kernelINS0_14default_configENS1_27scan_by_key_config_selectorIiiEEZZNS1_16scan_by_key_implILNS1_25lookback_scan_determinismE0ELb1ES3_N6thrust23THRUST_200600_302600_NS6detail15normal_iteratorINS9_10device_ptrIiEEEESE_SE_iNS9_4plusIvEENS9_8equal_toIiEEiEE10hipError_tPvRmT2_T3_T4_T5_mT6_T7_P12ihipStream_tbENKUlT_T0_E_clISt17integral_constantIbLb0EESY_IbLb1EEEEDaSU_SV_EUlSU_E_NS1_11comp_targetILNS1_3genE10ELNS1_11target_archE1200ELNS1_3gpuE4ELNS1_3repE0EEENS1_30default_config_static_selectorELNS0_4arch9wavefront6targetE1EEEvT1_,"axG",@progbits,_ZN7rocprim17ROCPRIM_400000_NS6detail17trampoline_kernelINS0_14default_configENS1_27scan_by_key_config_selectorIiiEEZZNS1_16scan_by_key_implILNS1_25lookback_scan_determinismE0ELb1ES3_N6thrust23THRUST_200600_302600_NS6detail15normal_iteratorINS9_10device_ptrIiEEEESE_SE_iNS9_4plusIvEENS9_8equal_toIiEEiEE10hipError_tPvRmT2_T3_T4_T5_mT6_T7_P12ihipStream_tbENKUlT_T0_E_clISt17integral_constantIbLb0EESY_IbLb1EEEEDaSU_SV_EUlSU_E_NS1_11comp_targetILNS1_3genE10ELNS1_11target_archE1200ELNS1_3gpuE4ELNS1_3repE0EEENS1_30default_config_static_selectorELNS0_4arch9wavefront6targetE1EEEvT1_,comdat
.Lfunc_end566:
	.size	_ZN7rocprim17ROCPRIM_400000_NS6detail17trampoline_kernelINS0_14default_configENS1_27scan_by_key_config_selectorIiiEEZZNS1_16scan_by_key_implILNS1_25lookback_scan_determinismE0ELb1ES3_N6thrust23THRUST_200600_302600_NS6detail15normal_iteratorINS9_10device_ptrIiEEEESE_SE_iNS9_4plusIvEENS9_8equal_toIiEEiEE10hipError_tPvRmT2_T3_T4_T5_mT6_T7_P12ihipStream_tbENKUlT_T0_E_clISt17integral_constantIbLb0EESY_IbLb1EEEEDaSU_SV_EUlSU_E_NS1_11comp_targetILNS1_3genE10ELNS1_11target_archE1200ELNS1_3gpuE4ELNS1_3repE0EEENS1_30default_config_static_selectorELNS0_4arch9wavefront6targetE1EEEvT1_, .Lfunc_end566-_ZN7rocprim17ROCPRIM_400000_NS6detail17trampoline_kernelINS0_14default_configENS1_27scan_by_key_config_selectorIiiEEZZNS1_16scan_by_key_implILNS1_25lookback_scan_determinismE0ELb1ES3_N6thrust23THRUST_200600_302600_NS6detail15normal_iteratorINS9_10device_ptrIiEEEESE_SE_iNS9_4plusIvEENS9_8equal_toIiEEiEE10hipError_tPvRmT2_T3_T4_T5_mT6_T7_P12ihipStream_tbENKUlT_T0_E_clISt17integral_constantIbLb0EESY_IbLb1EEEEDaSU_SV_EUlSU_E_NS1_11comp_targetILNS1_3genE10ELNS1_11target_archE1200ELNS1_3gpuE4ELNS1_3repE0EEENS1_30default_config_static_selectorELNS0_4arch9wavefront6targetE1EEEvT1_
                                        ; -- End function
	.section	.AMDGPU.csdata,"",@progbits
; Kernel info:
; codeLenInByte = 0
; NumSgprs: 6
; NumVgprs: 0
; NumAgprs: 0
; TotalNumVgprs: 0
; ScratchSize: 0
; MemoryBound: 0
; FloatMode: 240
; IeeeMode: 1
; LDSByteSize: 0 bytes/workgroup (compile time only)
; SGPRBlocks: 0
; VGPRBlocks: 0
; NumSGPRsForWavesPerEU: 6
; NumVGPRsForWavesPerEU: 1
; AccumOffset: 4
; Occupancy: 8
; WaveLimiterHint : 0
; COMPUTE_PGM_RSRC2:SCRATCH_EN: 0
; COMPUTE_PGM_RSRC2:USER_SGPR: 2
; COMPUTE_PGM_RSRC2:TRAP_HANDLER: 0
; COMPUTE_PGM_RSRC2:TGID_X_EN: 1
; COMPUTE_PGM_RSRC2:TGID_Y_EN: 0
; COMPUTE_PGM_RSRC2:TGID_Z_EN: 0
; COMPUTE_PGM_RSRC2:TIDIG_COMP_CNT: 0
; COMPUTE_PGM_RSRC3_GFX90A:ACCUM_OFFSET: 0
; COMPUTE_PGM_RSRC3_GFX90A:TG_SPLIT: 0
	.section	.text._ZN7rocprim17ROCPRIM_400000_NS6detail17trampoline_kernelINS0_14default_configENS1_27scan_by_key_config_selectorIiiEEZZNS1_16scan_by_key_implILNS1_25lookback_scan_determinismE0ELb1ES3_N6thrust23THRUST_200600_302600_NS6detail15normal_iteratorINS9_10device_ptrIiEEEESE_SE_iNS9_4plusIvEENS9_8equal_toIiEEiEE10hipError_tPvRmT2_T3_T4_T5_mT6_T7_P12ihipStream_tbENKUlT_T0_E_clISt17integral_constantIbLb0EESY_IbLb1EEEEDaSU_SV_EUlSU_E_NS1_11comp_targetILNS1_3genE9ELNS1_11target_archE1100ELNS1_3gpuE3ELNS1_3repE0EEENS1_30default_config_static_selectorELNS0_4arch9wavefront6targetE1EEEvT1_,"axG",@progbits,_ZN7rocprim17ROCPRIM_400000_NS6detail17trampoline_kernelINS0_14default_configENS1_27scan_by_key_config_selectorIiiEEZZNS1_16scan_by_key_implILNS1_25lookback_scan_determinismE0ELb1ES3_N6thrust23THRUST_200600_302600_NS6detail15normal_iteratorINS9_10device_ptrIiEEEESE_SE_iNS9_4plusIvEENS9_8equal_toIiEEiEE10hipError_tPvRmT2_T3_T4_T5_mT6_T7_P12ihipStream_tbENKUlT_T0_E_clISt17integral_constantIbLb0EESY_IbLb1EEEEDaSU_SV_EUlSU_E_NS1_11comp_targetILNS1_3genE9ELNS1_11target_archE1100ELNS1_3gpuE3ELNS1_3repE0EEENS1_30default_config_static_selectorELNS0_4arch9wavefront6targetE1EEEvT1_,comdat
	.protected	_ZN7rocprim17ROCPRIM_400000_NS6detail17trampoline_kernelINS0_14default_configENS1_27scan_by_key_config_selectorIiiEEZZNS1_16scan_by_key_implILNS1_25lookback_scan_determinismE0ELb1ES3_N6thrust23THRUST_200600_302600_NS6detail15normal_iteratorINS9_10device_ptrIiEEEESE_SE_iNS9_4plusIvEENS9_8equal_toIiEEiEE10hipError_tPvRmT2_T3_T4_T5_mT6_T7_P12ihipStream_tbENKUlT_T0_E_clISt17integral_constantIbLb0EESY_IbLb1EEEEDaSU_SV_EUlSU_E_NS1_11comp_targetILNS1_3genE9ELNS1_11target_archE1100ELNS1_3gpuE3ELNS1_3repE0EEENS1_30default_config_static_selectorELNS0_4arch9wavefront6targetE1EEEvT1_ ; -- Begin function _ZN7rocprim17ROCPRIM_400000_NS6detail17trampoline_kernelINS0_14default_configENS1_27scan_by_key_config_selectorIiiEEZZNS1_16scan_by_key_implILNS1_25lookback_scan_determinismE0ELb1ES3_N6thrust23THRUST_200600_302600_NS6detail15normal_iteratorINS9_10device_ptrIiEEEESE_SE_iNS9_4plusIvEENS9_8equal_toIiEEiEE10hipError_tPvRmT2_T3_T4_T5_mT6_T7_P12ihipStream_tbENKUlT_T0_E_clISt17integral_constantIbLb0EESY_IbLb1EEEEDaSU_SV_EUlSU_E_NS1_11comp_targetILNS1_3genE9ELNS1_11target_archE1100ELNS1_3gpuE3ELNS1_3repE0EEENS1_30default_config_static_selectorELNS0_4arch9wavefront6targetE1EEEvT1_
	.globl	_ZN7rocprim17ROCPRIM_400000_NS6detail17trampoline_kernelINS0_14default_configENS1_27scan_by_key_config_selectorIiiEEZZNS1_16scan_by_key_implILNS1_25lookback_scan_determinismE0ELb1ES3_N6thrust23THRUST_200600_302600_NS6detail15normal_iteratorINS9_10device_ptrIiEEEESE_SE_iNS9_4plusIvEENS9_8equal_toIiEEiEE10hipError_tPvRmT2_T3_T4_T5_mT6_T7_P12ihipStream_tbENKUlT_T0_E_clISt17integral_constantIbLb0EESY_IbLb1EEEEDaSU_SV_EUlSU_E_NS1_11comp_targetILNS1_3genE9ELNS1_11target_archE1100ELNS1_3gpuE3ELNS1_3repE0EEENS1_30default_config_static_selectorELNS0_4arch9wavefront6targetE1EEEvT1_
	.p2align	8
	.type	_ZN7rocprim17ROCPRIM_400000_NS6detail17trampoline_kernelINS0_14default_configENS1_27scan_by_key_config_selectorIiiEEZZNS1_16scan_by_key_implILNS1_25lookback_scan_determinismE0ELb1ES3_N6thrust23THRUST_200600_302600_NS6detail15normal_iteratorINS9_10device_ptrIiEEEESE_SE_iNS9_4plusIvEENS9_8equal_toIiEEiEE10hipError_tPvRmT2_T3_T4_T5_mT6_T7_P12ihipStream_tbENKUlT_T0_E_clISt17integral_constantIbLb0EESY_IbLb1EEEEDaSU_SV_EUlSU_E_NS1_11comp_targetILNS1_3genE9ELNS1_11target_archE1100ELNS1_3gpuE3ELNS1_3repE0EEENS1_30default_config_static_selectorELNS0_4arch9wavefront6targetE1EEEvT1_,@function
_ZN7rocprim17ROCPRIM_400000_NS6detail17trampoline_kernelINS0_14default_configENS1_27scan_by_key_config_selectorIiiEEZZNS1_16scan_by_key_implILNS1_25lookback_scan_determinismE0ELb1ES3_N6thrust23THRUST_200600_302600_NS6detail15normal_iteratorINS9_10device_ptrIiEEEESE_SE_iNS9_4plusIvEENS9_8equal_toIiEEiEE10hipError_tPvRmT2_T3_T4_T5_mT6_T7_P12ihipStream_tbENKUlT_T0_E_clISt17integral_constantIbLb0EESY_IbLb1EEEEDaSU_SV_EUlSU_E_NS1_11comp_targetILNS1_3genE9ELNS1_11target_archE1100ELNS1_3gpuE3ELNS1_3repE0EEENS1_30default_config_static_selectorELNS0_4arch9wavefront6targetE1EEEvT1_: ; @_ZN7rocprim17ROCPRIM_400000_NS6detail17trampoline_kernelINS0_14default_configENS1_27scan_by_key_config_selectorIiiEEZZNS1_16scan_by_key_implILNS1_25lookback_scan_determinismE0ELb1ES3_N6thrust23THRUST_200600_302600_NS6detail15normal_iteratorINS9_10device_ptrIiEEEESE_SE_iNS9_4plusIvEENS9_8equal_toIiEEiEE10hipError_tPvRmT2_T3_T4_T5_mT6_T7_P12ihipStream_tbENKUlT_T0_E_clISt17integral_constantIbLb0EESY_IbLb1EEEEDaSU_SV_EUlSU_E_NS1_11comp_targetILNS1_3genE9ELNS1_11target_archE1100ELNS1_3gpuE3ELNS1_3repE0EEENS1_30default_config_static_selectorELNS0_4arch9wavefront6targetE1EEEvT1_
; %bb.0:
	.section	.rodata,"a",@progbits
	.p2align	6, 0x0
	.amdhsa_kernel _ZN7rocprim17ROCPRIM_400000_NS6detail17trampoline_kernelINS0_14default_configENS1_27scan_by_key_config_selectorIiiEEZZNS1_16scan_by_key_implILNS1_25lookback_scan_determinismE0ELb1ES3_N6thrust23THRUST_200600_302600_NS6detail15normal_iteratorINS9_10device_ptrIiEEEESE_SE_iNS9_4plusIvEENS9_8equal_toIiEEiEE10hipError_tPvRmT2_T3_T4_T5_mT6_T7_P12ihipStream_tbENKUlT_T0_E_clISt17integral_constantIbLb0EESY_IbLb1EEEEDaSU_SV_EUlSU_E_NS1_11comp_targetILNS1_3genE9ELNS1_11target_archE1100ELNS1_3gpuE3ELNS1_3repE0EEENS1_30default_config_static_selectorELNS0_4arch9wavefront6targetE1EEEvT1_
		.amdhsa_group_segment_fixed_size 0
		.amdhsa_private_segment_fixed_size 0
		.amdhsa_kernarg_size 112
		.amdhsa_user_sgpr_count 2
		.amdhsa_user_sgpr_dispatch_ptr 0
		.amdhsa_user_sgpr_queue_ptr 0
		.amdhsa_user_sgpr_kernarg_segment_ptr 1
		.amdhsa_user_sgpr_dispatch_id 0
		.amdhsa_user_sgpr_kernarg_preload_length 0
		.amdhsa_user_sgpr_kernarg_preload_offset 0
		.amdhsa_user_sgpr_private_segment_size 0
		.amdhsa_uses_dynamic_stack 0
		.amdhsa_enable_private_segment 0
		.amdhsa_system_sgpr_workgroup_id_x 1
		.amdhsa_system_sgpr_workgroup_id_y 0
		.amdhsa_system_sgpr_workgroup_id_z 0
		.amdhsa_system_sgpr_workgroup_info 0
		.amdhsa_system_vgpr_workitem_id 0
		.amdhsa_next_free_vgpr 1
		.amdhsa_next_free_sgpr 0
		.amdhsa_accum_offset 4
		.amdhsa_reserve_vcc 0
		.amdhsa_float_round_mode_32 0
		.amdhsa_float_round_mode_16_64 0
		.amdhsa_float_denorm_mode_32 3
		.amdhsa_float_denorm_mode_16_64 3
		.amdhsa_dx10_clamp 1
		.amdhsa_ieee_mode 1
		.amdhsa_fp16_overflow 0
		.amdhsa_tg_split 0
		.amdhsa_exception_fp_ieee_invalid_op 0
		.amdhsa_exception_fp_denorm_src 0
		.amdhsa_exception_fp_ieee_div_zero 0
		.amdhsa_exception_fp_ieee_overflow 0
		.amdhsa_exception_fp_ieee_underflow 0
		.amdhsa_exception_fp_ieee_inexact 0
		.amdhsa_exception_int_div_zero 0
	.end_amdhsa_kernel
	.section	.text._ZN7rocprim17ROCPRIM_400000_NS6detail17trampoline_kernelINS0_14default_configENS1_27scan_by_key_config_selectorIiiEEZZNS1_16scan_by_key_implILNS1_25lookback_scan_determinismE0ELb1ES3_N6thrust23THRUST_200600_302600_NS6detail15normal_iteratorINS9_10device_ptrIiEEEESE_SE_iNS9_4plusIvEENS9_8equal_toIiEEiEE10hipError_tPvRmT2_T3_T4_T5_mT6_T7_P12ihipStream_tbENKUlT_T0_E_clISt17integral_constantIbLb0EESY_IbLb1EEEEDaSU_SV_EUlSU_E_NS1_11comp_targetILNS1_3genE9ELNS1_11target_archE1100ELNS1_3gpuE3ELNS1_3repE0EEENS1_30default_config_static_selectorELNS0_4arch9wavefront6targetE1EEEvT1_,"axG",@progbits,_ZN7rocprim17ROCPRIM_400000_NS6detail17trampoline_kernelINS0_14default_configENS1_27scan_by_key_config_selectorIiiEEZZNS1_16scan_by_key_implILNS1_25lookback_scan_determinismE0ELb1ES3_N6thrust23THRUST_200600_302600_NS6detail15normal_iteratorINS9_10device_ptrIiEEEESE_SE_iNS9_4plusIvEENS9_8equal_toIiEEiEE10hipError_tPvRmT2_T3_T4_T5_mT6_T7_P12ihipStream_tbENKUlT_T0_E_clISt17integral_constantIbLb0EESY_IbLb1EEEEDaSU_SV_EUlSU_E_NS1_11comp_targetILNS1_3genE9ELNS1_11target_archE1100ELNS1_3gpuE3ELNS1_3repE0EEENS1_30default_config_static_selectorELNS0_4arch9wavefront6targetE1EEEvT1_,comdat
.Lfunc_end567:
	.size	_ZN7rocprim17ROCPRIM_400000_NS6detail17trampoline_kernelINS0_14default_configENS1_27scan_by_key_config_selectorIiiEEZZNS1_16scan_by_key_implILNS1_25lookback_scan_determinismE0ELb1ES3_N6thrust23THRUST_200600_302600_NS6detail15normal_iteratorINS9_10device_ptrIiEEEESE_SE_iNS9_4plusIvEENS9_8equal_toIiEEiEE10hipError_tPvRmT2_T3_T4_T5_mT6_T7_P12ihipStream_tbENKUlT_T0_E_clISt17integral_constantIbLb0EESY_IbLb1EEEEDaSU_SV_EUlSU_E_NS1_11comp_targetILNS1_3genE9ELNS1_11target_archE1100ELNS1_3gpuE3ELNS1_3repE0EEENS1_30default_config_static_selectorELNS0_4arch9wavefront6targetE1EEEvT1_, .Lfunc_end567-_ZN7rocprim17ROCPRIM_400000_NS6detail17trampoline_kernelINS0_14default_configENS1_27scan_by_key_config_selectorIiiEEZZNS1_16scan_by_key_implILNS1_25lookback_scan_determinismE0ELb1ES3_N6thrust23THRUST_200600_302600_NS6detail15normal_iteratorINS9_10device_ptrIiEEEESE_SE_iNS9_4plusIvEENS9_8equal_toIiEEiEE10hipError_tPvRmT2_T3_T4_T5_mT6_T7_P12ihipStream_tbENKUlT_T0_E_clISt17integral_constantIbLb0EESY_IbLb1EEEEDaSU_SV_EUlSU_E_NS1_11comp_targetILNS1_3genE9ELNS1_11target_archE1100ELNS1_3gpuE3ELNS1_3repE0EEENS1_30default_config_static_selectorELNS0_4arch9wavefront6targetE1EEEvT1_
                                        ; -- End function
	.section	.AMDGPU.csdata,"",@progbits
; Kernel info:
; codeLenInByte = 0
; NumSgprs: 6
; NumVgprs: 0
; NumAgprs: 0
; TotalNumVgprs: 0
; ScratchSize: 0
; MemoryBound: 0
; FloatMode: 240
; IeeeMode: 1
; LDSByteSize: 0 bytes/workgroup (compile time only)
; SGPRBlocks: 0
; VGPRBlocks: 0
; NumSGPRsForWavesPerEU: 6
; NumVGPRsForWavesPerEU: 1
; AccumOffset: 4
; Occupancy: 8
; WaveLimiterHint : 0
; COMPUTE_PGM_RSRC2:SCRATCH_EN: 0
; COMPUTE_PGM_RSRC2:USER_SGPR: 2
; COMPUTE_PGM_RSRC2:TRAP_HANDLER: 0
; COMPUTE_PGM_RSRC2:TGID_X_EN: 1
; COMPUTE_PGM_RSRC2:TGID_Y_EN: 0
; COMPUTE_PGM_RSRC2:TGID_Z_EN: 0
; COMPUTE_PGM_RSRC2:TIDIG_COMP_CNT: 0
; COMPUTE_PGM_RSRC3_GFX90A:ACCUM_OFFSET: 0
; COMPUTE_PGM_RSRC3_GFX90A:TG_SPLIT: 0
	.section	.text._ZN7rocprim17ROCPRIM_400000_NS6detail17trampoline_kernelINS0_14default_configENS1_27scan_by_key_config_selectorIiiEEZZNS1_16scan_by_key_implILNS1_25lookback_scan_determinismE0ELb1ES3_N6thrust23THRUST_200600_302600_NS6detail15normal_iteratorINS9_10device_ptrIiEEEESE_SE_iNS9_4plusIvEENS9_8equal_toIiEEiEE10hipError_tPvRmT2_T3_T4_T5_mT6_T7_P12ihipStream_tbENKUlT_T0_E_clISt17integral_constantIbLb0EESY_IbLb1EEEEDaSU_SV_EUlSU_E_NS1_11comp_targetILNS1_3genE8ELNS1_11target_archE1030ELNS1_3gpuE2ELNS1_3repE0EEENS1_30default_config_static_selectorELNS0_4arch9wavefront6targetE1EEEvT1_,"axG",@progbits,_ZN7rocprim17ROCPRIM_400000_NS6detail17trampoline_kernelINS0_14default_configENS1_27scan_by_key_config_selectorIiiEEZZNS1_16scan_by_key_implILNS1_25lookback_scan_determinismE0ELb1ES3_N6thrust23THRUST_200600_302600_NS6detail15normal_iteratorINS9_10device_ptrIiEEEESE_SE_iNS9_4plusIvEENS9_8equal_toIiEEiEE10hipError_tPvRmT2_T3_T4_T5_mT6_T7_P12ihipStream_tbENKUlT_T0_E_clISt17integral_constantIbLb0EESY_IbLb1EEEEDaSU_SV_EUlSU_E_NS1_11comp_targetILNS1_3genE8ELNS1_11target_archE1030ELNS1_3gpuE2ELNS1_3repE0EEENS1_30default_config_static_selectorELNS0_4arch9wavefront6targetE1EEEvT1_,comdat
	.protected	_ZN7rocprim17ROCPRIM_400000_NS6detail17trampoline_kernelINS0_14default_configENS1_27scan_by_key_config_selectorIiiEEZZNS1_16scan_by_key_implILNS1_25lookback_scan_determinismE0ELb1ES3_N6thrust23THRUST_200600_302600_NS6detail15normal_iteratorINS9_10device_ptrIiEEEESE_SE_iNS9_4plusIvEENS9_8equal_toIiEEiEE10hipError_tPvRmT2_T3_T4_T5_mT6_T7_P12ihipStream_tbENKUlT_T0_E_clISt17integral_constantIbLb0EESY_IbLb1EEEEDaSU_SV_EUlSU_E_NS1_11comp_targetILNS1_3genE8ELNS1_11target_archE1030ELNS1_3gpuE2ELNS1_3repE0EEENS1_30default_config_static_selectorELNS0_4arch9wavefront6targetE1EEEvT1_ ; -- Begin function _ZN7rocprim17ROCPRIM_400000_NS6detail17trampoline_kernelINS0_14default_configENS1_27scan_by_key_config_selectorIiiEEZZNS1_16scan_by_key_implILNS1_25lookback_scan_determinismE0ELb1ES3_N6thrust23THRUST_200600_302600_NS6detail15normal_iteratorINS9_10device_ptrIiEEEESE_SE_iNS9_4plusIvEENS9_8equal_toIiEEiEE10hipError_tPvRmT2_T3_T4_T5_mT6_T7_P12ihipStream_tbENKUlT_T0_E_clISt17integral_constantIbLb0EESY_IbLb1EEEEDaSU_SV_EUlSU_E_NS1_11comp_targetILNS1_3genE8ELNS1_11target_archE1030ELNS1_3gpuE2ELNS1_3repE0EEENS1_30default_config_static_selectorELNS0_4arch9wavefront6targetE1EEEvT1_
	.globl	_ZN7rocprim17ROCPRIM_400000_NS6detail17trampoline_kernelINS0_14default_configENS1_27scan_by_key_config_selectorIiiEEZZNS1_16scan_by_key_implILNS1_25lookback_scan_determinismE0ELb1ES3_N6thrust23THRUST_200600_302600_NS6detail15normal_iteratorINS9_10device_ptrIiEEEESE_SE_iNS9_4plusIvEENS9_8equal_toIiEEiEE10hipError_tPvRmT2_T3_T4_T5_mT6_T7_P12ihipStream_tbENKUlT_T0_E_clISt17integral_constantIbLb0EESY_IbLb1EEEEDaSU_SV_EUlSU_E_NS1_11comp_targetILNS1_3genE8ELNS1_11target_archE1030ELNS1_3gpuE2ELNS1_3repE0EEENS1_30default_config_static_selectorELNS0_4arch9wavefront6targetE1EEEvT1_
	.p2align	8
	.type	_ZN7rocprim17ROCPRIM_400000_NS6detail17trampoline_kernelINS0_14default_configENS1_27scan_by_key_config_selectorIiiEEZZNS1_16scan_by_key_implILNS1_25lookback_scan_determinismE0ELb1ES3_N6thrust23THRUST_200600_302600_NS6detail15normal_iteratorINS9_10device_ptrIiEEEESE_SE_iNS9_4plusIvEENS9_8equal_toIiEEiEE10hipError_tPvRmT2_T3_T4_T5_mT6_T7_P12ihipStream_tbENKUlT_T0_E_clISt17integral_constantIbLb0EESY_IbLb1EEEEDaSU_SV_EUlSU_E_NS1_11comp_targetILNS1_3genE8ELNS1_11target_archE1030ELNS1_3gpuE2ELNS1_3repE0EEENS1_30default_config_static_selectorELNS0_4arch9wavefront6targetE1EEEvT1_,@function
_ZN7rocprim17ROCPRIM_400000_NS6detail17trampoline_kernelINS0_14default_configENS1_27scan_by_key_config_selectorIiiEEZZNS1_16scan_by_key_implILNS1_25lookback_scan_determinismE0ELb1ES3_N6thrust23THRUST_200600_302600_NS6detail15normal_iteratorINS9_10device_ptrIiEEEESE_SE_iNS9_4plusIvEENS9_8equal_toIiEEiEE10hipError_tPvRmT2_T3_T4_T5_mT6_T7_P12ihipStream_tbENKUlT_T0_E_clISt17integral_constantIbLb0EESY_IbLb1EEEEDaSU_SV_EUlSU_E_NS1_11comp_targetILNS1_3genE8ELNS1_11target_archE1030ELNS1_3gpuE2ELNS1_3repE0EEENS1_30default_config_static_selectorELNS0_4arch9wavefront6targetE1EEEvT1_: ; @_ZN7rocprim17ROCPRIM_400000_NS6detail17trampoline_kernelINS0_14default_configENS1_27scan_by_key_config_selectorIiiEEZZNS1_16scan_by_key_implILNS1_25lookback_scan_determinismE0ELb1ES3_N6thrust23THRUST_200600_302600_NS6detail15normal_iteratorINS9_10device_ptrIiEEEESE_SE_iNS9_4plusIvEENS9_8equal_toIiEEiEE10hipError_tPvRmT2_T3_T4_T5_mT6_T7_P12ihipStream_tbENKUlT_T0_E_clISt17integral_constantIbLb0EESY_IbLb1EEEEDaSU_SV_EUlSU_E_NS1_11comp_targetILNS1_3genE8ELNS1_11target_archE1030ELNS1_3gpuE2ELNS1_3repE0EEENS1_30default_config_static_selectorELNS0_4arch9wavefront6targetE1EEEvT1_
; %bb.0:
	.section	.rodata,"a",@progbits
	.p2align	6, 0x0
	.amdhsa_kernel _ZN7rocprim17ROCPRIM_400000_NS6detail17trampoline_kernelINS0_14default_configENS1_27scan_by_key_config_selectorIiiEEZZNS1_16scan_by_key_implILNS1_25lookback_scan_determinismE0ELb1ES3_N6thrust23THRUST_200600_302600_NS6detail15normal_iteratorINS9_10device_ptrIiEEEESE_SE_iNS9_4plusIvEENS9_8equal_toIiEEiEE10hipError_tPvRmT2_T3_T4_T5_mT6_T7_P12ihipStream_tbENKUlT_T0_E_clISt17integral_constantIbLb0EESY_IbLb1EEEEDaSU_SV_EUlSU_E_NS1_11comp_targetILNS1_3genE8ELNS1_11target_archE1030ELNS1_3gpuE2ELNS1_3repE0EEENS1_30default_config_static_selectorELNS0_4arch9wavefront6targetE1EEEvT1_
		.amdhsa_group_segment_fixed_size 0
		.amdhsa_private_segment_fixed_size 0
		.amdhsa_kernarg_size 112
		.amdhsa_user_sgpr_count 2
		.amdhsa_user_sgpr_dispatch_ptr 0
		.amdhsa_user_sgpr_queue_ptr 0
		.amdhsa_user_sgpr_kernarg_segment_ptr 1
		.amdhsa_user_sgpr_dispatch_id 0
		.amdhsa_user_sgpr_kernarg_preload_length 0
		.amdhsa_user_sgpr_kernarg_preload_offset 0
		.amdhsa_user_sgpr_private_segment_size 0
		.amdhsa_uses_dynamic_stack 0
		.amdhsa_enable_private_segment 0
		.amdhsa_system_sgpr_workgroup_id_x 1
		.amdhsa_system_sgpr_workgroup_id_y 0
		.amdhsa_system_sgpr_workgroup_id_z 0
		.amdhsa_system_sgpr_workgroup_info 0
		.amdhsa_system_vgpr_workitem_id 0
		.amdhsa_next_free_vgpr 1
		.amdhsa_next_free_sgpr 0
		.amdhsa_accum_offset 4
		.amdhsa_reserve_vcc 0
		.amdhsa_float_round_mode_32 0
		.amdhsa_float_round_mode_16_64 0
		.amdhsa_float_denorm_mode_32 3
		.amdhsa_float_denorm_mode_16_64 3
		.amdhsa_dx10_clamp 1
		.amdhsa_ieee_mode 1
		.amdhsa_fp16_overflow 0
		.amdhsa_tg_split 0
		.amdhsa_exception_fp_ieee_invalid_op 0
		.amdhsa_exception_fp_denorm_src 0
		.amdhsa_exception_fp_ieee_div_zero 0
		.amdhsa_exception_fp_ieee_overflow 0
		.amdhsa_exception_fp_ieee_underflow 0
		.amdhsa_exception_fp_ieee_inexact 0
		.amdhsa_exception_int_div_zero 0
	.end_amdhsa_kernel
	.section	.text._ZN7rocprim17ROCPRIM_400000_NS6detail17trampoline_kernelINS0_14default_configENS1_27scan_by_key_config_selectorIiiEEZZNS1_16scan_by_key_implILNS1_25lookback_scan_determinismE0ELb1ES3_N6thrust23THRUST_200600_302600_NS6detail15normal_iteratorINS9_10device_ptrIiEEEESE_SE_iNS9_4plusIvEENS9_8equal_toIiEEiEE10hipError_tPvRmT2_T3_T4_T5_mT6_T7_P12ihipStream_tbENKUlT_T0_E_clISt17integral_constantIbLb0EESY_IbLb1EEEEDaSU_SV_EUlSU_E_NS1_11comp_targetILNS1_3genE8ELNS1_11target_archE1030ELNS1_3gpuE2ELNS1_3repE0EEENS1_30default_config_static_selectorELNS0_4arch9wavefront6targetE1EEEvT1_,"axG",@progbits,_ZN7rocprim17ROCPRIM_400000_NS6detail17trampoline_kernelINS0_14default_configENS1_27scan_by_key_config_selectorIiiEEZZNS1_16scan_by_key_implILNS1_25lookback_scan_determinismE0ELb1ES3_N6thrust23THRUST_200600_302600_NS6detail15normal_iteratorINS9_10device_ptrIiEEEESE_SE_iNS9_4plusIvEENS9_8equal_toIiEEiEE10hipError_tPvRmT2_T3_T4_T5_mT6_T7_P12ihipStream_tbENKUlT_T0_E_clISt17integral_constantIbLb0EESY_IbLb1EEEEDaSU_SV_EUlSU_E_NS1_11comp_targetILNS1_3genE8ELNS1_11target_archE1030ELNS1_3gpuE2ELNS1_3repE0EEENS1_30default_config_static_selectorELNS0_4arch9wavefront6targetE1EEEvT1_,comdat
.Lfunc_end568:
	.size	_ZN7rocprim17ROCPRIM_400000_NS6detail17trampoline_kernelINS0_14default_configENS1_27scan_by_key_config_selectorIiiEEZZNS1_16scan_by_key_implILNS1_25lookback_scan_determinismE0ELb1ES3_N6thrust23THRUST_200600_302600_NS6detail15normal_iteratorINS9_10device_ptrIiEEEESE_SE_iNS9_4plusIvEENS9_8equal_toIiEEiEE10hipError_tPvRmT2_T3_T4_T5_mT6_T7_P12ihipStream_tbENKUlT_T0_E_clISt17integral_constantIbLb0EESY_IbLb1EEEEDaSU_SV_EUlSU_E_NS1_11comp_targetILNS1_3genE8ELNS1_11target_archE1030ELNS1_3gpuE2ELNS1_3repE0EEENS1_30default_config_static_selectorELNS0_4arch9wavefront6targetE1EEEvT1_, .Lfunc_end568-_ZN7rocprim17ROCPRIM_400000_NS6detail17trampoline_kernelINS0_14default_configENS1_27scan_by_key_config_selectorIiiEEZZNS1_16scan_by_key_implILNS1_25lookback_scan_determinismE0ELb1ES3_N6thrust23THRUST_200600_302600_NS6detail15normal_iteratorINS9_10device_ptrIiEEEESE_SE_iNS9_4plusIvEENS9_8equal_toIiEEiEE10hipError_tPvRmT2_T3_T4_T5_mT6_T7_P12ihipStream_tbENKUlT_T0_E_clISt17integral_constantIbLb0EESY_IbLb1EEEEDaSU_SV_EUlSU_E_NS1_11comp_targetILNS1_3genE8ELNS1_11target_archE1030ELNS1_3gpuE2ELNS1_3repE0EEENS1_30default_config_static_selectorELNS0_4arch9wavefront6targetE1EEEvT1_
                                        ; -- End function
	.section	.AMDGPU.csdata,"",@progbits
; Kernel info:
; codeLenInByte = 0
; NumSgprs: 6
; NumVgprs: 0
; NumAgprs: 0
; TotalNumVgprs: 0
; ScratchSize: 0
; MemoryBound: 0
; FloatMode: 240
; IeeeMode: 1
; LDSByteSize: 0 bytes/workgroup (compile time only)
; SGPRBlocks: 0
; VGPRBlocks: 0
; NumSGPRsForWavesPerEU: 6
; NumVGPRsForWavesPerEU: 1
; AccumOffset: 4
; Occupancy: 8
; WaveLimiterHint : 0
; COMPUTE_PGM_RSRC2:SCRATCH_EN: 0
; COMPUTE_PGM_RSRC2:USER_SGPR: 2
; COMPUTE_PGM_RSRC2:TRAP_HANDLER: 0
; COMPUTE_PGM_RSRC2:TGID_X_EN: 1
; COMPUTE_PGM_RSRC2:TGID_Y_EN: 0
; COMPUTE_PGM_RSRC2:TGID_Z_EN: 0
; COMPUTE_PGM_RSRC2:TIDIG_COMP_CNT: 0
; COMPUTE_PGM_RSRC3_GFX90A:ACCUM_OFFSET: 0
; COMPUTE_PGM_RSRC3_GFX90A:TG_SPLIT: 0
	.section	.text._ZN7rocprim17ROCPRIM_400000_NS6detail17trampoline_kernelINS0_14default_configENS1_27scan_by_key_config_selectorIssEEZZNS1_16scan_by_key_implILNS1_25lookback_scan_determinismE0ELb1ES3_N6thrust23THRUST_200600_302600_NS6detail15normal_iteratorINS9_10device_ptrIsEEEESE_SE_sNS9_4plusIvEENS9_8equal_toIvEEsEE10hipError_tPvRmT2_T3_T4_T5_mT6_T7_P12ihipStream_tbENKUlT_T0_E_clISt17integral_constantIbLb0EESZ_EEDaSU_SV_EUlSU_E_NS1_11comp_targetILNS1_3genE0ELNS1_11target_archE4294967295ELNS1_3gpuE0ELNS1_3repE0EEENS1_30default_config_static_selectorELNS0_4arch9wavefront6targetE1EEEvT1_,"axG",@progbits,_ZN7rocprim17ROCPRIM_400000_NS6detail17trampoline_kernelINS0_14default_configENS1_27scan_by_key_config_selectorIssEEZZNS1_16scan_by_key_implILNS1_25lookback_scan_determinismE0ELb1ES3_N6thrust23THRUST_200600_302600_NS6detail15normal_iteratorINS9_10device_ptrIsEEEESE_SE_sNS9_4plusIvEENS9_8equal_toIvEEsEE10hipError_tPvRmT2_T3_T4_T5_mT6_T7_P12ihipStream_tbENKUlT_T0_E_clISt17integral_constantIbLb0EESZ_EEDaSU_SV_EUlSU_E_NS1_11comp_targetILNS1_3genE0ELNS1_11target_archE4294967295ELNS1_3gpuE0ELNS1_3repE0EEENS1_30default_config_static_selectorELNS0_4arch9wavefront6targetE1EEEvT1_,comdat
	.protected	_ZN7rocprim17ROCPRIM_400000_NS6detail17trampoline_kernelINS0_14default_configENS1_27scan_by_key_config_selectorIssEEZZNS1_16scan_by_key_implILNS1_25lookback_scan_determinismE0ELb1ES3_N6thrust23THRUST_200600_302600_NS6detail15normal_iteratorINS9_10device_ptrIsEEEESE_SE_sNS9_4plusIvEENS9_8equal_toIvEEsEE10hipError_tPvRmT2_T3_T4_T5_mT6_T7_P12ihipStream_tbENKUlT_T0_E_clISt17integral_constantIbLb0EESZ_EEDaSU_SV_EUlSU_E_NS1_11comp_targetILNS1_3genE0ELNS1_11target_archE4294967295ELNS1_3gpuE0ELNS1_3repE0EEENS1_30default_config_static_selectorELNS0_4arch9wavefront6targetE1EEEvT1_ ; -- Begin function _ZN7rocprim17ROCPRIM_400000_NS6detail17trampoline_kernelINS0_14default_configENS1_27scan_by_key_config_selectorIssEEZZNS1_16scan_by_key_implILNS1_25lookback_scan_determinismE0ELb1ES3_N6thrust23THRUST_200600_302600_NS6detail15normal_iteratorINS9_10device_ptrIsEEEESE_SE_sNS9_4plusIvEENS9_8equal_toIvEEsEE10hipError_tPvRmT2_T3_T4_T5_mT6_T7_P12ihipStream_tbENKUlT_T0_E_clISt17integral_constantIbLb0EESZ_EEDaSU_SV_EUlSU_E_NS1_11comp_targetILNS1_3genE0ELNS1_11target_archE4294967295ELNS1_3gpuE0ELNS1_3repE0EEENS1_30default_config_static_selectorELNS0_4arch9wavefront6targetE1EEEvT1_
	.globl	_ZN7rocprim17ROCPRIM_400000_NS6detail17trampoline_kernelINS0_14default_configENS1_27scan_by_key_config_selectorIssEEZZNS1_16scan_by_key_implILNS1_25lookback_scan_determinismE0ELb1ES3_N6thrust23THRUST_200600_302600_NS6detail15normal_iteratorINS9_10device_ptrIsEEEESE_SE_sNS9_4plusIvEENS9_8equal_toIvEEsEE10hipError_tPvRmT2_T3_T4_T5_mT6_T7_P12ihipStream_tbENKUlT_T0_E_clISt17integral_constantIbLb0EESZ_EEDaSU_SV_EUlSU_E_NS1_11comp_targetILNS1_3genE0ELNS1_11target_archE4294967295ELNS1_3gpuE0ELNS1_3repE0EEENS1_30default_config_static_selectorELNS0_4arch9wavefront6targetE1EEEvT1_
	.p2align	8
	.type	_ZN7rocprim17ROCPRIM_400000_NS6detail17trampoline_kernelINS0_14default_configENS1_27scan_by_key_config_selectorIssEEZZNS1_16scan_by_key_implILNS1_25lookback_scan_determinismE0ELb1ES3_N6thrust23THRUST_200600_302600_NS6detail15normal_iteratorINS9_10device_ptrIsEEEESE_SE_sNS9_4plusIvEENS9_8equal_toIvEEsEE10hipError_tPvRmT2_T3_T4_T5_mT6_T7_P12ihipStream_tbENKUlT_T0_E_clISt17integral_constantIbLb0EESZ_EEDaSU_SV_EUlSU_E_NS1_11comp_targetILNS1_3genE0ELNS1_11target_archE4294967295ELNS1_3gpuE0ELNS1_3repE0EEENS1_30default_config_static_selectorELNS0_4arch9wavefront6targetE1EEEvT1_,@function
_ZN7rocprim17ROCPRIM_400000_NS6detail17trampoline_kernelINS0_14default_configENS1_27scan_by_key_config_selectorIssEEZZNS1_16scan_by_key_implILNS1_25lookback_scan_determinismE0ELb1ES3_N6thrust23THRUST_200600_302600_NS6detail15normal_iteratorINS9_10device_ptrIsEEEESE_SE_sNS9_4plusIvEENS9_8equal_toIvEEsEE10hipError_tPvRmT2_T3_T4_T5_mT6_T7_P12ihipStream_tbENKUlT_T0_E_clISt17integral_constantIbLb0EESZ_EEDaSU_SV_EUlSU_E_NS1_11comp_targetILNS1_3genE0ELNS1_11target_archE4294967295ELNS1_3gpuE0ELNS1_3repE0EEENS1_30default_config_static_selectorELNS0_4arch9wavefront6targetE1EEEvT1_: ; @_ZN7rocprim17ROCPRIM_400000_NS6detail17trampoline_kernelINS0_14default_configENS1_27scan_by_key_config_selectorIssEEZZNS1_16scan_by_key_implILNS1_25lookback_scan_determinismE0ELb1ES3_N6thrust23THRUST_200600_302600_NS6detail15normal_iteratorINS9_10device_ptrIsEEEESE_SE_sNS9_4plusIvEENS9_8equal_toIvEEsEE10hipError_tPvRmT2_T3_T4_T5_mT6_T7_P12ihipStream_tbENKUlT_T0_E_clISt17integral_constantIbLb0EESZ_EEDaSU_SV_EUlSU_E_NS1_11comp_targetILNS1_3genE0ELNS1_11target_archE4294967295ELNS1_3gpuE0ELNS1_3repE0EEENS1_30default_config_static_selectorELNS0_4arch9wavefront6targetE1EEEvT1_
; %bb.0:
	.section	.rodata,"a",@progbits
	.p2align	6, 0x0
	.amdhsa_kernel _ZN7rocprim17ROCPRIM_400000_NS6detail17trampoline_kernelINS0_14default_configENS1_27scan_by_key_config_selectorIssEEZZNS1_16scan_by_key_implILNS1_25lookback_scan_determinismE0ELb1ES3_N6thrust23THRUST_200600_302600_NS6detail15normal_iteratorINS9_10device_ptrIsEEEESE_SE_sNS9_4plusIvEENS9_8equal_toIvEEsEE10hipError_tPvRmT2_T3_T4_T5_mT6_T7_P12ihipStream_tbENKUlT_T0_E_clISt17integral_constantIbLb0EESZ_EEDaSU_SV_EUlSU_E_NS1_11comp_targetILNS1_3genE0ELNS1_11target_archE4294967295ELNS1_3gpuE0ELNS1_3repE0EEENS1_30default_config_static_selectorELNS0_4arch9wavefront6targetE1EEEvT1_
		.amdhsa_group_segment_fixed_size 0
		.amdhsa_private_segment_fixed_size 0
		.amdhsa_kernarg_size 112
		.amdhsa_user_sgpr_count 2
		.amdhsa_user_sgpr_dispatch_ptr 0
		.amdhsa_user_sgpr_queue_ptr 0
		.amdhsa_user_sgpr_kernarg_segment_ptr 1
		.amdhsa_user_sgpr_dispatch_id 0
		.amdhsa_user_sgpr_kernarg_preload_length 0
		.amdhsa_user_sgpr_kernarg_preload_offset 0
		.amdhsa_user_sgpr_private_segment_size 0
		.amdhsa_uses_dynamic_stack 0
		.amdhsa_enable_private_segment 0
		.amdhsa_system_sgpr_workgroup_id_x 1
		.amdhsa_system_sgpr_workgroup_id_y 0
		.amdhsa_system_sgpr_workgroup_id_z 0
		.amdhsa_system_sgpr_workgroup_info 0
		.amdhsa_system_vgpr_workitem_id 0
		.amdhsa_next_free_vgpr 1
		.amdhsa_next_free_sgpr 0
		.amdhsa_accum_offset 4
		.amdhsa_reserve_vcc 0
		.amdhsa_float_round_mode_32 0
		.amdhsa_float_round_mode_16_64 0
		.amdhsa_float_denorm_mode_32 3
		.amdhsa_float_denorm_mode_16_64 3
		.amdhsa_dx10_clamp 1
		.amdhsa_ieee_mode 1
		.amdhsa_fp16_overflow 0
		.amdhsa_tg_split 0
		.amdhsa_exception_fp_ieee_invalid_op 0
		.amdhsa_exception_fp_denorm_src 0
		.amdhsa_exception_fp_ieee_div_zero 0
		.amdhsa_exception_fp_ieee_overflow 0
		.amdhsa_exception_fp_ieee_underflow 0
		.amdhsa_exception_fp_ieee_inexact 0
		.amdhsa_exception_int_div_zero 0
	.end_amdhsa_kernel
	.section	.text._ZN7rocprim17ROCPRIM_400000_NS6detail17trampoline_kernelINS0_14default_configENS1_27scan_by_key_config_selectorIssEEZZNS1_16scan_by_key_implILNS1_25lookback_scan_determinismE0ELb1ES3_N6thrust23THRUST_200600_302600_NS6detail15normal_iteratorINS9_10device_ptrIsEEEESE_SE_sNS9_4plusIvEENS9_8equal_toIvEEsEE10hipError_tPvRmT2_T3_T4_T5_mT6_T7_P12ihipStream_tbENKUlT_T0_E_clISt17integral_constantIbLb0EESZ_EEDaSU_SV_EUlSU_E_NS1_11comp_targetILNS1_3genE0ELNS1_11target_archE4294967295ELNS1_3gpuE0ELNS1_3repE0EEENS1_30default_config_static_selectorELNS0_4arch9wavefront6targetE1EEEvT1_,"axG",@progbits,_ZN7rocprim17ROCPRIM_400000_NS6detail17trampoline_kernelINS0_14default_configENS1_27scan_by_key_config_selectorIssEEZZNS1_16scan_by_key_implILNS1_25lookback_scan_determinismE0ELb1ES3_N6thrust23THRUST_200600_302600_NS6detail15normal_iteratorINS9_10device_ptrIsEEEESE_SE_sNS9_4plusIvEENS9_8equal_toIvEEsEE10hipError_tPvRmT2_T3_T4_T5_mT6_T7_P12ihipStream_tbENKUlT_T0_E_clISt17integral_constantIbLb0EESZ_EEDaSU_SV_EUlSU_E_NS1_11comp_targetILNS1_3genE0ELNS1_11target_archE4294967295ELNS1_3gpuE0ELNS1_3repE0EEENS1_30default_config_static_selectorELNS0_4arch9wavefront6targetE1EEEvT1_,comdat
.Lfunc_end569:
	.size	_ZN7rocprim17ROCPRIM_400000_NS6detail17trampoline_kernelINS0_14default_configENS1_27scan_by_key_config_selectorIssEEZZNS1_16scan_by_key_implILNS1_25lookback_scan_determinismE0ELb1ES3_N6thrust23THRUST_200600_302600_NS6detail15normal_iteratorINS9_10device_ptrIsEEEESE_SE_sNS9_4plusIvEENS9_8equal_toIvEEsEE10hipError_tPvRmT2_T3_T4_T5_mT6_T7_P12ihipStream_tbENKUlT_T0_E_clISt17integral_constantIbLb0EESZ_EEDaSU_SV_EUlSU_E_NS1_11comp_targetILNS1_3genE0ELNS1_11target_archE4294967295ELNS1_3gpuE0ELNS1_3repE0EEENS1_30default_config_static_selectorELNS0_4arch9wavefront6targetE1EEEvT1_, .Lfunc_end569-_ZN7rocprim17ROCPRIM_400000_NS6detail17trampoline_kernelINS0_14default_configENS1_27scan_by_key_config_selectorIssEEZZNS1_16scan_by_key_implILNS1_25lookback_scan_determinismE0ELb1ES3_N6thrust23THRUST_200600_302600_NS6detail15normal_iteratorINS9_10device_ptrIsEEEESE_SE_sNS9_4plusIvEENS9_8equal_toIvEEsEE10hipError_tPvRmT2_T3_T4_T5_mT6_T7_P12ihipStream_tbENKUlT_T0_E_clISt17integral_constantIbLb0EESZ_EEDaSU_SV_EUlSU_E_NS1_11comp_targetILNS1_3genE0ELNS1_11target_archE4294967295ELNS1_3gpuE0ELNS1_3repE0EEENS1_30default_config_static_selectorELNS0_4arch9wavefront6targetE1EEEvT1_
                                        ; -- End function
	.section	.AMDGPU.csdata,"",@progbits
; Kernel info:
; codeLenInByte = 0
; NumSgprs: 6
; NumVgprs: 0
; NumAgprs: 0
; TotalNumVgprs: 0
; ScratchSize: 0
; MemoryBound: 0
; FloatMode: 240
; IeeeMode: 1
; LDSByteSize: 0 bytes/workgroup (compile time only)
; SGPRBlocks: 0
; VGPRBlocks: 0
; NumSGPRsForWavesPerEU: 6
; NumVGPRsForWavesPerEU: 1
; AccumOffset: 4
; Occupancy: 8
; WaveLimiterHint : 0
; COMPUTE_PGM_RSRC2:SCRATCH_EN: 0
; COMPUTE_PGM_RSRC2:USER_SGPR: 2
; COMPUTE_PGM_RSRC2:TRAP_HANDLER: 0
; COMPUTE_PGM_RSRC2:TGID_X_EN: 1
; COMPUTE_PGM_RSRC2:TGID_Y_EN: 0
; COMPUTE_PGM_RSRC2:TGID_Z_EN: 0
; COMPUTE_PGM_RSRC2:TIDIG_COMP_CNT: 0
; COMPUTE_PGM_RSRC3_GFX90A:ACCUM_OFFSET: 0
; COMPUTE_PGM_RSRC3_GFX90A:TG_SPLIT: 0
	.section	.text._ZN7rocprim17ROCPRIM_400000_NS6detail17trampoline_kernelINS0_14default_configENS1_27scan_by_key_config_selectorIssEEZZNS1_16scan_by_key_implILNS1_25lookback_scan_determinismE0ELb1ES3_N6thrust23THRUST_200600_302600_NS6detail15normal_iteratorINS9_10device_ptrIsEEEESE_SE_sNS9_4plusIvEENS9_8equal_toIvEEsEE10hipError_tPvRmT2_T3_T4_T5_mT6_T7_P12ihipStream_tbENKUlT_T0_E_clISt17integral_constantIbLb0EESZ_EEDaSU_SV_EUlSU_E_NS1_11comp_targetILNS1_3genE10ELNS1_11target_archE1201ELNS1_3gpuE5ELNS1_3repE0EEENS1_30default_config_static_selectorELNS0_4arch9wavefront6targetE1EEEvT1_,"axG",@progbits,_ZN7rocprim17ROCPRIM_400000_NS6detail17trampoline_kernelINS0_14default_configENS1_27scan_by_key_config_selectorIssEEZZNS1_16scan_by_key_implILNS1_25lookback_scan_determinismE0ELb1ES3_N6thrust23THRUST_200600_302600_NS6detail15normal_iteratorINS9_10device_ptrIsEEEESE_SE_sNS9_4plusIvEENS9_8equal_toIvEEsEE10hipError_tPvRmT2_T3_T4_T5_mT6_T7_P12ihipStream_tbENKUlT_T0_E_clISt17integral_constantIbLb0EESZ_EEDaSU_SV_EUlSU_E_NS1_11comp_targetILNS1_3genE10ELNS1_11target_archE1201ELNS1_3gpuE5ELNS1_3repE0EEENS1_30default_config_static_selectorELNS0_4arch9wavefront6targetE1EEEvT1_,comdat
	.protected	_ZN7rocprim17ROCPRIM_400000_NS6detail17trampoline_kernelINS0_14default_configENS1_27scan_by_key_config_selectorIssEEZZNS1_16scan_by_key_implILNS1_25lookback_scan_determinismE0ELb1ES3_N6thrust23THRUST_200600_302600_NS6detail15normal_iteratorINS9_10device_ptrIsEEEESE_SE_sNS9_4plusIvEENS9_8equal_toIvEEsEE10hipError_tPvRmT2_T3_T4_T5_mT6_T7_P12ihipStream_tbENKUlT_T0_E_clISt17integral_constantIbLb0EESZ_EEDaSU_SV_EUlSU_E_NS1_11comp_targetILNS1_3genE10ELNS1_11target_archE1201ELNS1_3gpuE5ELNS1_3repE0EEENS1_30default_config_static_selectorELNS0_4arch9wavefront6targetE1EEEvT1_ ; -- Begin function _ZN7rocprim17ROCPRIM_400000_NS6detail17trampoline_kernelINS0_14default_configENS1_27scan_by_key_config_selectorIssEEZZNS1_16scan_by_key_implILNS1_25lookback_scan_determinismE0ELb1ES3_N6thrust23THRUST_200600_302600_NS6detail15normal_iteratorINS9_10device_ptrIsEEEESE_SE_sNS9_4plusIvEENS9_8equal_toIvEEsEE10hipError_tPvRmT2_T3_T4_T5_mT6_T7_P12ihipStream_tbENKUlT_T0_E_clISt17integral_constantIbLb0EESZ_EEDaSU_SV_EUlSU_E_NS1_11comp_targetILNS1_3genE10ELNS1_11target_archE1201ELNS1_3gpuE5ELNS1_3repE0EEENS1_30default_config_static_selectorELNS0_4arch9wavefront6targetE1EEEvT1_
	.globl	_ZN7rocprim17ROCPRIM_400000_NS6detail17trampoline_kernelINS0_14default_configENS1_27scan_by_key_config_selectorIssEEZZNS1_16scan_by_key_implILNS1_25lookback_scan_determinismE0ELb1ES3_N6thrust23THRUST_200600_302600_NS6detail15normal_iteratorINS9_10device_ptrIsEEEESE_SE_sNS9_4plusIvEENS9_8equal_toIvEEsEE10hipError_tPvRmT2_T3_T4_T5_mT6_T7_P12ihipStream_tbENKUlT_T0_E_clISt17integral_constantIbLb0EESZ_EEDaSU_SV_EUlSU_E_NS1_11comp_targetILNS1_3genE10ELNS1_11target_archE1201ELNS1_3gpuE5ELNS1_3repE0EEENS1_30default_config_static_selectorELNS0_4arch9wavefront6targetE1EEEvT1_
	.p2align	8
	.type	_ZN7rocprim17ROCPRIM_400000_NS6detail17trampoline_kernelINS0_14default_configENS1_27scan_by_key_config_selectorIssEEZZNS1_16scan_by_key_implILNS1_25lookback_scan_determinismE0ELb1ES3_N6thrust23THRUST_200600_302600_NS6detail15normal_iteratorINS9_10device_ptrIsEEEESE_SE_sNS9_4plusIvEENS9_8equal_toIvEEsEE10hipError_tPvRmT2_T3_T4_T5_mT6_T7_P12ihipStream_tbENKUlT_T0_E_clISt17integral_constantIbLb0EESZ_EEDaSU_SV_EUlSU_E_NS1_11comp_targetILNS1_3genE10ELNS1_11target_archE1201ELNS1_3gpuE5ELNS1_3repE0EEENS1_30default_config_static_selectorELNS0_4arch9wavefront6targetE1EEEvT1_,@function
_ZN7rocprim17ROCPRIM_400000_NS6detail17trampoline_kernelINS0_14default_configENS1_27scan_by_key_config_selectorIssEEZZNS1_16scan_by_key_implILNS1_25lookback_scan_determinismE0ELb1ES3_N6thrust23THRUST_200600_302600_NS6detail15normal_iteratorINS9_10device_ptrIsEEEESE_SE_sNS9_4plusIvEENS9_8equal_toIvEEsEE10hipError_tPvRmT2_T3_T4_T5_mT6_T7_P12ihipStream_tbENKUlT_T0_E_clISt17integral_constantIbLb0EESZ_EEDaSU_SV_EUlSU_E_NS1_11comp_targetILNS1_3genE10ELNS1_11target_archE1201ELNS1_3gpuE5ELNS1_3repE0EEENS1_30default_config_static_selectorELNS0_4arch9wavefront6targetE1EEEvT1_: ; @_ZN7rocprim17ROCPRIM_400000_NS6detail17trampoline_kernelINS0_14default_configENS1_27scan_by_key_config_selectorIssEEZZNS1_16scan_by_key_implILNS1_25lookback_scan_determinismE0ELb1ES3_N6thrust23THRUST_200600_302600_NS6detail15normal_iteratorINS9_10device_ptrIsEEEESE_SE_sNS9_4plusIvEENS9_8equal_toIvEEsEE10hipError_tPvRmT2_T3_T4_T5_mT6_T7_P12ihipStream_tbENKUlT_T0_E_clISt17integral_constantIbLb0EESZ_EEDaSU_SV_EUlSU_E_NS1_11comp_targetILNS1_3genE10ELNS1_11target_archE1201ELNS1_3gpuE5ELNS1_3repE0EEENS1_30default_config_static_selectorELNS0_4arch9wavefront6targetE1EEEvT1_
; %bb.0:
	.section	.rodata,"a",@progbits
	.p2align	6, 0x0
	.amdhsa_kernel _ZN7rocprim17ROCPRIM_400000_NS6detail17trampoline_kernelINS0_14default_configENS1_27scan_by_key_config_selectorIssEEZZNS1_16scan_by_key_implILNS1_25lookback_scan_determinismE0ELb1ES3_N6thrust23THRUST_200600_302600_NS6detail15normal_iteratorINS9_10device_ptrIsEEEESE_SE_sNS9_4plusIvEENS9_8equal_toIvEEsEE10hipError_tPvRmT2_T3_T4_T5_mT6_T7_P12ihipStream_tbENKUlT_T0_E_clISt17integral_constantIbLb0EESZ_EEDaSU_SV_EUlSU_E_NS1_11comp_targetILNS1_3genE10ELNS1_11target_archE1201ELNS1_3gpuE5ELNS1_3repE0EEENS1_30default_config_static_selectorELNS0_4arch9wavefront6targetE1EEEvT1_
		.amdhsa_group_segment_fixed_size 0
		.amdhsa_private_segment_fixed_size 0
		.amdhsa_kernarg_size 112
		.amdhsa_user_sgpr_count 2
		.amdhsa_user_sgpr_dispatch_ptr 0
		.amdhsa_user_sgpr_queue_ptr 0
		.amdhsa_user_sgpr_kernarg_segment_ptr 1
		.amdhsa_user_sgpr_dispatch_id 0
		.amdhsa_user_sgpr_kernarg_preload_length 0
		.amdhsa_user_sgpr_kernarg_preload_offset 0
		.amdhsa_user_sgpr_private_segment_size 0
		.amdhsa_uses_dynamic_stack 0
		.amdhsa_enable_private_segment 0
		.amdhsa_system_sgpr_workgroup_id_x 1
		.amdhsa_system_sgpr_workgroup_id_y 0
		.amdhsa_system_sgpr_workgroup_id_z 0
		.amdhsa_system_sgpr_workgroup_info 0
		.amdhsa_system_vgpr_workitem_id 0
		.amdhsa_next_free_vgpr 1
		.amdhsa_next_free_sgpr 0
		.amdhsa_accum_offset 4
		.amdhsa_reserve_vcc 0
		.amdhsa_float_round_mode_32 0
		.amdhsa_float_round_mode_16_64 0
		.amdhsa_float_denorm_mode_32 3
		.amdhsa_float_denorm_mode_16_64 3
		.amdhsa_dx10_clamp 1
		.amdhsa_ieee_mode 1
		.amdhsa_fp16_overflow 0
		.amdhsa_tg_split 0
		.amdhsa_exception_fp_ieee_invalid_op 0
		.amdhsa_exception_fp_denorm_src 0
		.amdhsa_exception_fp_ieee_div_zero 0
		.amdhsa_exception_fp_ieee_overflow 0
		.amdhsa_exception_fp_ieee_underflow 0
		.amdhsa_exception_fp_ieee_inexact 0
		.amdhsa_exception_int_div_zero 0
	.end_amdhsa_kernel
	.section	.text._ZN7rocprim17ROCPRIM_400000_NS6detail17trampoline_kernelINS0_14default_configENS1_27scan_by_key_config_selectorIssEEZZNS1_16scan_by_key_implILNS1_25lookback_scan_determinismE0ELb1ES3_N6thrust23THRUST_200600_302600_NS6detail15normal_iteratorINS9_10device_ptrIsEEEESE_SE_sNS9_4plusIvEENS9_8equal_toIvEEsEE10hipError_tPvRmT2_T3_T4_T5_mT6_T7_P12ihipStream_tbENKUlT_T0_E_clISt17integral_constantIbLb0EESZ_EEDaSU_SV_EUlSU_E_NS1_11comp_targetILNS1_3genE10ELNS1_11target_archE1201ELNS1_3gpuE5ELNS1_3repE0EEENS1_30default_config_static_selectorELNS0_4arch9wavefront6targetE1EEEvT1_,"axG",@progbits,_ZN7rocprim17ROCPRIM_400000_NS6detail17trampoline_kernelINS0_14default_configENS1_27scan_by_key_config_selectorIssEEZZNS1_16scan_by_key_implILNS1_25lookback_scan_determinismE0ELb1ES3_N6thrust23THRUST_200600_302600_NS6detail15normal_iteratorINS9_10device_ptrIsEEEESE_SE_sNS9_4plusIvEENS9_8equal_toIvEEsEE10hipError_tPvRmT2_T3_T4_T5_mT6_T7_P12ihipStream_tbENKUlT_T0_E_clISt17integral_constantIbLb0EESZ_EEDaSU_SV_EUlSU_E_NS1_11comp_targetILNS1_3genE10ELNS1_11target_archE1201ELNS1_3gpuE5ELNS1_3repE0EEENS1_30default_config_static_selectorELNS0_4arch9wavefront6targetE1EEEvT1_,comdat
.Lfunc_end570:
	.size	_ZN7rocprim17ROCPRIM_400000_NS6detail17trampoline_kernelINS0_14default_configENS1_27scan_by_key_config_selectorIssEEZZNS1_16scan_by_key_implILNS1_25lookback_scan_determinismE0ELb1ES3_N6thrust23THRUST_200600_302600_NS6detail15normal_iteratorINS9_10device_ptrIsEEEESE_SE_sNS9_4plusIvEENS9_8equal_toIvEEsEE10hipError_tPvRmT2_T3_T4_T5_mT6_T7_P12ihipStream_tbENKUlT_T0_E_clISt17integral_constantIbLb0EESZ_EEDaSU_SV_EUlSU_E_NS1_11comp_targetILNS1_3genE10ELNS1_11target_archE1201ELNS1_3gpuE5ELNS1_3repE0EEENS1_30default_config_static_selectorELNS0_4arch9wavefront6targetE1EEEvT1_, .Lfunc_end570-_ZN7rocprim17ROCPRIM_400000_NS6detail17trampoline_kernelINS0_14default_configENS1_27scan_by_key_config_selectorIssEEZZNS1_16scan_by_key_implILNS1_25lookback_scan_determinismE0ELb1ES3_N6thrust23THRUST_200600_302600_NS6detail15normal_iteratorINS9_10device_ptrIsEEEESE_SE_sNS9_4plusIvEENS9_8equal_toIvEEsEE10hipError_tPvRmT2_T3_T4_T5_mT6_T7_P12ihipStream_tbENKUlT_T0_E_clISt17integral_constantIbLb0EESZ_EEDaSU_SV_EUlSU_E_NS1_11comp_targetILNS1_3genE10ELNS1_11target_archE1201ELNS1_3gpuE5ELNS1_3repE0EEENS1_30default_config_static_selectorELNS0_4arch9wavefront6targetE1EEEvT1_
                                        ; -- End function
	.section	.AMDGPU.csdata,"",@progbits
; Kernel info:
; codeLenInByte = 0
; NumSgprs: 6
; NumVgprs: 0
; NumAgprs: 0
; TotalNumVgprs: 0
; ScratchSize: 0
; MemoryBound: 0
; FloatMode: 240
; IeeeMode: 1
; LDSByteSize: 0 bytes/workgroup (compile time only)
; SGPRBlocks: 0
; VGPRBlocks: 0
; NumSGPRsForWavesPerEU: 6
; NumVGPRsForWavesPerEU: 1
; AccumOffset: 4
; Occupancy: 8
; WaveLimiterHint : 0
; COMPUTE_PGM_RSRC2:SCRATCH_EN: 0
; COMPUTE_PGM_RSRC2:USER_SGPR: 2
; COMPUTE_PGM_RSRC2:TRAP_HANDLER: 0
; COMPUTE_PGM_RSRC2:TGID_X_EN: 1
; COMPUTE_PGM_RSRC2:TGID_Y_EN: 0
; COMPUTE_PGM_RSRC2:TGID_Z_EN: 0
; COMPUTE_PGM_RSRC2:TIDIG_COMP_CNT: 0
; COMPUTE_PGM_RSRC3_GFX90A:ACCUM_OFFSET: 0
; COMPUTE_PGM_RSRC3_GFX90A:TG_SPLIT: 0
	.section	.text._ZN7rocprim17ROCPRIM_400000_NS6detail17trampoline_kernelINS0_14default_configENS1_27scan_by_key_config_selectorIssEEZZNS1_16scan_by_key_implILNS1_25lookback_scan_determinismE0ELb1ES3_N6thrust23THRUST_200600_302600_NS6detail15normal_iteratorINS9_10device_ptrIsEEEESE_SE_sNS9_4plusIvEENS9_8equal_toIvEEsEE10hipError_tPvRmT2_T3_T4_T5_mT6_T7_P12ihipStream_tbENKUlT_T0_E_clISt17integral_constantIbLb0EESZ_EEDaSU_SV_EUlSU_E_NS1_11comp_targetILNS1_3genE5ELNS1_11target_archE942ELNS1_3gpuE9ELNS1_3repE0EEENS1_30default_config_static_selectorELNS0_4arch9wavefront6targetE1EEEvT1_,"axG",@progbits,_ZN7rocprim17ROCPRIM_400000_NS6detail17trampoline_kernelINS0_14default_configENS1_27scan_by_key_config_selectorIssEEZZNS1_16scan_by_key_implILNS1_25lookback_scan_determinismE0ELb1ES3_N6thrust23THRUST_200600_302600_NS6detail15normal_iteratorINS9_10device_ptrIsEEEESE_SE_sNS9_4plusIvEENS9_8equal_toIvEEsEE10hipError_tPvRmT2_T3_T4_T5_mT6_T7_P12ihipStream_tbENKUlT_T0_E_clISt17integral_constantIbLb0EESZ_EEDaSU_SV_EUlSU_E_NS1_11comp_targetILNS1_3genE5ELNS1_11target_archE942ELNS1_3gpuE9ELNS1_3repE0EEENS1_30default_config_static_selectorELNS0_4arch9wavefront6targetE1EEEvT1_,comdat
	.protected	_ZN7rocprim17ROCPRIM_400000_NS6detail17trampoline_kernelINS0_14default_configENS1_27scan_by_key_config_selectorIssEEZZNS1_16scan_by_key_implILNS1_25lookback_scan_determinismE0ELb1ES3_N6thrust23THRUST_200600_302600_NS6detail15normal_iteratorINS9_10device_ptrIsEEEESE_SE_sNS9_4plusIvEENS9_8equal_toIvEEsEE10hipError_tPvRmT2_T3_T4_T5_mT6_T7_P12ihipStream_tbENKUlT_T0_E_clISt17integral_constantIbLb0EESZ_EEDaSU_SV_EUlSU_E_NS1_11comp_targetILNS1_3genE5ELNS1_11target_archE942ELNS1_3gpuE9ELNS1_3repE0EEENS1_30default_config_static_selectorELNS0_4arch9wavefront6targetE1EEEvT1_ ; -- Begin function _ZN7rocprim17ROCPRIM_400000_NS6detail17trampoline_kernelINS0_14default_configENS1_27scan_by_key_config_selectorIssEEZZNS1_16scan_by_key_implILNS1_25lookback_scan_determinismE0ELb1ES3_N6thrust23THRUST_200600_302600_NS6detail15normal_iteratorINS9_10device_ptrIsEEEESE_SE_sNS9_4plusIvEENS9_8equal_toIvEEsEE10hipError_tPvRmT2_T3_T4_T5_mT6_T7_P12ihipStream_tbENKUlT_T0_E_clISt17integral_constantIbLb0EESZ_EEDaSU_SV_EUlSU_E_NS1_11comp_targetILNS1_3genE5ELNS1_11target_archE942ELNS1_3gpuE9ELNS1_3repE0EEENS1_30default_config_static_selectorELNS0_4arch9wavefront6targetE1EEEvT1_
	.globl	_ZN7rocprim17ROCPRIM_400000_NS6detail17trampoline_kernelINS0_14default_configENS1_27scan_by_key_config_selectorIssEEZZNS1_16scan_by_key_implILNS1_25lookback_scan_determinismE0ELb1ES3_N6thrust23THRUST_200600_302600_NS6detail15normal_iteratorINS9_10device_ptrIsEEEESE_SE_sNS9_4plusIvEENS9_8equal_toIvEEsEE10hipError_tPvRmT2_T3_T4_T5_mT6_T7_P12ihipStream_tbENKUlT_T0_E_clISt17integral_constantIbLb0EESZ_EEDaSU_SV_EUlSU_E_NS1_11comp_targetILNS1_3genE5ELNS1_11target_archE942ELNS1_3gpuE9ELNS1_3repE0EEENS1_30default_config_static_selectorELNS0_4arch9wavefront6targetE1EEEvT1_
	.p2align	8
	.type	_ZN7rocprim17ROCPRIM_400000_NS6detail17trampoline_kernelINS0_14default_configENS1_27scan_by_key_config_selectorIssEEZZNS1_16scan_by_key_implILNS1_25lookback_scan_determinismE0ELb1ES3_N6thrust23THRUST_200600_302600_NS6detail15normal_iteratorINS9_10device_ptrIsEEEESE_SE_sNS9_4plusIvEENS9_8equal_toIvEEsEE10hipError_tPvRmT2_T3_T4_T5_mT6_T7_P12ihipStream_tbENKUlT_T0_E_clISt17integral_constantIbLb0EESZ_EEDaSU_SV_EUlSU_E_NS1_11comp_targetILNS1_3genE5ELNS1_11target_archE942ELNS1_3gpuE9ELNS1_3repE0EEENS1_30default_config_static_selectorELNS0_4arch9wavefront6targetE1EEEvT1_,@function
_ZN7rocprim17ROCPRIM_400000_NS6detail17trampoline_kernelINS0_14default_configENS1_27scan_by_key_config_selectorIssEEZZNS1_16scan_by_key_implILNS1_25lookback_scan_determinismE0ELb1ES3_N6thrust23THRUST_200600_302600_NS6detail15normal_iteratorINS9_10device_ptrIsEEEESE_SE_sNS9_4plusIvEENS9_8equal_toIvEEsEE10hipError_tPvRmT2_T3_T4_T5_mT6_T7_P12ihipStream_tbENKUlT_T0_E_clISt17integral_constantIbLb0EESZ_EEDaSU_SV_EUlSU_E_NS1_11comp_targetILNS1_3genE5ELNS1_11target_archE942ELNS1_3gpuE9ELNS1_3repE0EEENS1_30default_config_static_selectorELNS0_4arch9wavefront6targetE1EEEvT1_: ; @_ZN7rocprim17ROCPRIM_400000_NS6detail17trampoline_kernelINS0_14default_configENS1_27scan_by_key_config_selectorIssEEZZNS1_16scan_by_key_implILNS1_25lookback_scan_determinismE0ELb1ES3_N6thrust23THRUST_200600_302600_NS6detail15normal_iteratorINS9_10device_ptrIsEEEESE_SE_sNS9_4plusIvEENS9_8equal_toIvEEsEE10hipError_tPvRmT2_T3_T4_T5_mT6_T7_P12ihipStream_tbENKUlT_T0_E_clISt17integral_constantIbLb0EESZ_EEDaSU_SV_EUlSU_E_NS1_11comp_targetILNS1_3genE5ELNS1_11target_archE942ELNS1_3gpuE9ELNS1_3repE0EEENS1_30default_config_static_selectorELNS0_4arch9wavefront6targetE1EEEvT1_
; %bb.0:
	s_load_dwordx8 s[48:55], s[0:1], 0x0
	s_load_dword s78, s[0:1], 0x20
	s_load_dwordx4 s[56:59], s[0:1], 0x28
	s_load_dwordx2 s[68:69], s[0:1], 0x38
	s_load_dword s3, s[0:1], 0x40
	s_load_dwordx4 s[60:63], s[0:1], 0x48
	s_waitcnt lgkmcnt(0)
	s_lshl_b64 s[64:65], s[50:51], 1
	s_add_u32 s4, s48, s64
	s_addc_u32 s5, s49, s65
	s_add_u32 s6, s52, s64
	s_mul_i32 s0, s69, s3
	s_mul_hi_u32 s1, s68, s3
	s_addc_u32 s7, s53, s65
	s_add_i32 s8, s1, s0
	s_mul_i32 s0, s2, 0x1800
	s_mov_b32 s1, 0
	s_lshl_b64 s[66:67], s[0:1], 1
	s_add_u32 s72, s4, s66
	s_addc_u32 s73, s5, s67
	s_add_u32 s70, s6, s66
	s_mul_i32 s3, s68, s3
	s_addc_u32 s71, s7, s67
	s_add_u32 s0, s3, s2
	s_addc_u32 s1, s8, 0
	s_add_u32 s6, s60, -1
	s_addc_u32 s7, s61, -1
	v_mov_b64_e32 v[2:3], s[6:7]
	v_cmp_ge_u64_e64 s[0:1], s[0:1], v[2:3]
	s_mov_b64 s[4:5], -1
	s_and_b64 vcc, exec, s[0:1]
	s_mul_i32 s33, s6, 0xffffe800
	s_barrier
	s_cbranch_vccz .LBB571_126
; %bb.1:
	v_mov_b64_e32 v[2:3], s[72:73]
	flat_load_ushort v1, v[2:3]
	s_add_i32 s59, s33, s58
	v_cmp_gt_u32_e32 vcc, s59, v0
	s_waitcnt vmcnt(0) lgkmcnt(0)
	v_mov_b32_e32 v2, v1
	s_and_saveexec_b64 s[4:5], vcc
	s_cbranch_execz .LBB571_3
; %bb.2:
	v_lshlrev_b32_e32 v2, 1, v0
	v_mov_b32_e32 v3, 0
	v_lshl_add_u64 v[2:3], s[72:73], 0, v[2:3]
	flat_load_ushort v2, v[2:3]
.LBB571_3:
	s_or_b64 exec, exec, s[4:5]
	v_or_b32_e32 v3, 0x100, v0
	v_cmp_gt_u32_e64 s[50:51], s59, v3
	v_mov_b32_e32 v3, v1
	s_and_saveexec_b64 s[4:5], s[50:51]
	s_cbranch_execz .LBB571_5
; %bb.4:
	v_lshlrev_b32_e32 v4, 1, v0
	v_mov_b32_e32 v5, 0
	v_lshl_add_u64 v[4:5], s[72:73], 0, v[4:5]
	flat_load_ushort v3, v[4:5] offset:512
.LBB571_5:
	s_or_b64 exec, exec, s[4:5]
	v_or_b32_e32 v4, 0x200, v0
	v_cmp_gt_u32_e64 s[4:5], s59, v4
	v_mov_b32_e32 v4, v1
	s_and_saveexec_b64 s[6:7], s[4:5]
	s_cbranch_execz .LBB571_7
; %bb.6:
	v_lshlrev_b32_e32 v4, 1, v0
	v_mov_b32_e32 v5, 0
	v_lshl_add_u64 v[4:5], s[72:73], 0, v[4:5]
	flat_load_ushort v4, v[4:5] offset:1024
.LBB571_7:
	;; [unrolled: 12-line block ×7, first 2 shown]
	s_or_b64 exec, exec, s[16:17]
	v_or_b32_e32 v10, 0x800, v0
	v_cmp_gt_u32_e64 s[16:17], s59, v10
	v_lshlrev_b32_e32 v14, 1, v10
	v_mov_b32_e32 v10, v1
	s_and_saveexec_b64 s[18:19], s[16:17]
	s_cbranch_execz .LBB571_19
; %bb.18:
	v_mov_b32_e32 v15, 0
	v_lshl_add_u64 v[10:11], s[72:73], 0, v[14:15]
	flat_load_ushort v10, v[10:11]
.LBB571_19:
	s_or_b64 exec, exec, s[18:19]
	v_or_b32_e32 v11, 0x900, v0
	v_cmp_gt_u32_e64 s[18:19], s59, v11
	v_lshlrev_b32_e32 v16, 1, v11
	v_mov_b32_e32 v11, v1
	s_and_saveexec_b64 s[20:21], s[18:19]
	s_cbranch_execz .LBB571_21
; %bb.20:
	v_mov_b32_e32 v17, 0
	v_lshl_add_u64 v[12:13], s[72:73], 0, v[16:17]
	flat_load_ushort v11, v[12:13]
.LBB571_21:
	s_or_b64 exec, exec, s[20:21]
	v_or_b32_e32 v12, 0xa00, v0
	v_cmp_gt_u32_e64 s[20:21], s59, v12
	v_lshlrev_b32_e32 v18, 1, v12
	v_mov_b32_e32 v12, v1
	s_and_saveexec_b64 s[22:23], s[20:21]
	s_cbranch_execz .LBB571_23
; %bb.22:
	v_mov_b32_e32 v19, 0
	v_lshl_add_u64 v[12:13], s[72:73], 0, v[18:19]
	flat_load_ushort v12, v[12:13]
.LBB571_23:
	s_or_b64 exec, exec, s[22:23]
	v_or_b32_e32 v13, 0xb00, v0
	v_cmp_gt_u32_e64 s[22:23], s59, v13
	v_lshlrev_b32_e32 v20, 1, v13
	v_mov_b32_e32 v13, v1
	s_and_saveexec_b64 s[24:25], s[22:23]
	s_cbranch_execz .LBB571_25
; %bb.24:
	v_mov_b32_e32 v21, 0
	v_lshl_add_u64 v[22:23], s[72:73], 0, v[20:21]
	flat_load_ushort v13, v[22:23]
.LBB571_25:
	s_or_b64 exec, exec, s[24:25]
	v_or_b32_e32 v15, 0xc00, v0
	v_cmp_gt_u32_e64 s[24:25], s59, v15
	v_lshlrev_b32_e32 v22, 1, v15
	v_mov_b32_e32 v15, v1
	s_and_saveexec_b64 s[26:27], s[24:25]
	s_cbranch_execz .LBB571_27
; %bb.26:
	v_mov_b32_e32 v23, 0
	v_lshl_add_u64 v[24:25], s[72:73], 0, v[22:23]
	flat_load_ushort v15, v[24:25]
.LBB571_27:
	s_or_b64 exec, exec, s[26:27]
	v_or_b32_e32 v17, 0xd00, v0
	v_cmp_gt_u32_e64 s[26:27], s59, v17
	v_lshlrev_b32_e32 v24, 1, v17
	v_mov_b32_e32 v17, v1
	s_and_saveexec_b64 s[28:29], s[26:27]
	s_cbranch_execz .LBB571_29
; %bb.28:
	v_mov_b32_e32 v25, 0
	v_lshl_add_u64 v[26:27], s[72:73], 0, v[24:25]
	flat_load_ushort v17, v[26:27]
.LBB571_29:
	s_or_b64 exec, exec, s[28:29]
	v_or_b32_e32 v19, 0xe00, v0
	v_cmp_gt_u32_e64 s[28:29], s59, v19
	v_lshlrev_b32_e32 v26, 1, v19
	v_mov_b32_e32 v19, v1
	s_and_saveexec_b64 s[30:31], s[28:29]
	s_cbranch_execz .LBB571_31
; %bb.30:
	v_mov_b32_e32 v27, 0
	v_lshl_add_u64 v[28:29], s[72:73], 0, v[26:27]
	flat_load_ushort v19, v[28:29]
.LBB571_31:
	s_or_b64 exec, exec, s[30:31]
	v_or_b32_e32 v21, 0xf00, v0
	v_cmp_gt_u32_e64 s[30:31], s59, v21
	v_lshlrev_b32_e32 v28, 1, v21
	v_mov_b32_e32 v21, v1
	s_and_saveexec_b64 s[34:35], s[30:31]
	s_cbranch_execz .LBB571_33
; %bb.32:
	v_mov_b32_e32 v29, 0
	v_lshl_add_u64 v[30:31], s[72:73], 0, v[28:29]
	flat_load_ushort v21, v[30:31]
.LBB571_33:
	s_or_b64 exec, exec, s[34:35]
	v_or_b32_e32 v23, 0x1000, v0
	v_cmp_gt_u32_e64 s[34:35], s59, v23
	v_lshlrev_b32_e32 v30, 1, v23
	v_mov_b32_e32 v23, v1
	s_and_saveexec_b64 s[36:37], s[34:35]
	s_cbranch_execz .LBB571_35
; %bb.34:
	v_mov_b32_e32 v31, 0
	v_lshl_add_u64 v[32:33], s[72:73], 0, v[30:31]
	flat_load_ushort v23, v[32:33]
.LBB571_35:
	s_or_b64 exec, exec, s[36:37]
	v_or_b32_e32 v25, 0x1100, v0
	v_cmp_gt_u32_e64 s[36:37], s59, v25
	v_lshlrev_b32_e32 v32, 1, v25
	v_mov_b32_e32 v25, v1
	s_and_saveexec_b64 s[38:39], s[36:37]
	s_cbranch_execz .LBB571_37
; %bb.36:
	v_mov_b32_e32 v33, 0
	v_lshl_add_u64 v[34:35], s[72:73], 0, v[32:33]
	flat_load_ushort v25, v[34:35]
.LBB571_37:
	s_or_b64 exec, exec, s[38:39]
	v_or_b32_e32 v27, 0x1200, v0
	v_cmp_gt_u32_e64 s[38:39], s59, v27
	v_lshlrev_b32_e32 v34, 1, v27
	v_mov_b32_e32 v27, v1
	s_and_saveexec_b64 s[40:41], s[38:39]
	s_cbranch_execz .LBB571_39
; %bb.38:
	v_mov_b32_e32 v35, 0
	v_lshl_add_u64 v[36:37], s[72:73], 0, v[34:35]
	flat_load_ushort v27, v[36:37]
.LBB571_39:
	s_or_b64 exec, exec, s[40:41]
	v_or_b32_e32 v29, 0x1300, v0
	v_cmp_gt_u32_e64 s[40:41], s59, v29
	v_lshlrev_b32_e32 v38, 1, v29
	v_mov_b32_e32 v29, v1
	s_and_saveexec_b64 s[42:43], s[40:41]
	s_cbranch_execz .LBB571_41
; %bb.40:
	v_mov_b32_e32 v39, 0
	v_lshl_add_u64 v[36:37], s[72:73], 0, v[38:39]
	flat_load_ushort v29, v[36:37]
.LBB571_41:
	s_or_b64 exec, exec, s[42:43]
	v_or_b32_e32 v31, 0x1400, v0
	v_cmp_gt_u32_e64 s[42:43], s59, v31
	v_lshlrev_b32_e32 v40, 1, v31
	v_mov_b32_e32 v31, v1
	s_and_saveexec_b64 s[44:45], s[42:43]
	s_cbranch_execz .LBB571_43
; %bb.42:
	v_mov_b32_e32 v41, 0
	v_lshl_add_u64 v[36:37], s[72:73], 0, v[40:41]
	flat_load_ushort v31, v[36:37]
.LBB571_43:
	s_or_b64 exec, exec, s[44:45]
	v_or_b32_e32 v33, 0x1500, v0
	v_cmp_gt_u32_e64 s[44:45], s59, v33
	v_lshlrev_b32_e32 v42, 1, v33
	v_mov_b32_e32 v33, v1
	s_and_saveexec_b64 s[46:47], s[44:45]
	s_cbranch_execz .LBB571_45
; %bb.44:
	v_mov_b32_e32 v43, 0
	v_lshl_add_u64 v[36:37], s[72:73], 0, v[42:43]
	flat_load_ushort v33, v[36:37]
.LBB571_45:
	s_or_b64 exec, exec, s[46:47]
	v_or_b32_e32 v35, 0x1600, v0
	v_cmp_gt_u32_e64 s[46:47], s59, v35
	v_lshlrev_b32_e32 v44, 1, v35
	v_mov_b32_e32 v35, v1
	s_and_saveexec_b64 s[48:49], s[46:47]
	s_cbranch_execz .LBB571_47
; %bb.46:
	v_mov_b32_e32 v45, 0
	v_lshl_add_u64 v[36:37], s[72:73], 0, v[44:45]
	flat_load_ushort v35, v[36:37]
.LBB571_47:
	s_or_b64 exec, exec, s[48:49]
	v_or_b32_e32 v36, 0x1700, v0
	v_cmp_gt_u32_e64 s[48:49], s59, v36
	v_lshlrev_b32_e32 v46, 1, v36
	s_and_saveexec_b64 s[52:53], s[48:49]
	s_cbranch_execz .LBB571_49
; %bb.48:
	v_mov_b32_e32 v47, 0
	v_lshl_add_u64 v[36:37], s[72:73], 0, v[46:47]
	flat_load_ushort v1, v[36:37]
.LBB571_49:
	s_or_b64 exec, exec, s[52:53]
	v_lshlrev_b32_e32 v36, 1, v0
	s_waitcnt vmcnt(0) lgkmcnt(0)
	ds_write_b16 v36, v2
	ds_write_b16 v36, v3 offset:512
	ds_write_b16 v36, v4 offset:1024
	;; [unrolled: 1-line block ×23, first 2 shown]
	v_mov_b64_e32 v[2:3], s[72:73]
	s_waitcnt lgkmcnt(0)
	s_barrier
	flat_load_ushort v48, v[2:3]
	v_mad_u32_u24 v49, v0, 46, v36
	ds_read_b128 v[10:13], v49
	ds_read_b128 v[6:9], v49 offset:16
	ds_read_b128 v[2:5], v49 offset:32
	s_movk_i32 s3, 0xffd2
	v_mad_i32_i24 v1, v0, s3, v49
	s_movk_i32 s3, 0xff
	v_cmp_ne_u32_e64 s[52:53], s3, v0
	s_waitcnt lgkmcnt(0)
	ds_write_b16 v1, v10 offset:12800
	s_waitcnt lgkmcnt(0)
	s_barrier
	s_and_saveexec_b64 s[60:61], s[52:53]
	s_cbranch_execz .LBB571_51
; %bb.50:
	s_waitcnt vmcnt(0)
	ds_read_u16 v48, v36 offset:12802
.LBB571_51:
	s_or_b64 exec, exec, s[60:61]
	v_mov_b32_e32 v37, 0
	s_waitcnt lgkmcnt(0)
	s_barrier
	s_waitcnt lgkmcnt(0)
                                        ; implicit-def: $vgpr1
	s_and_saveexec_b64 s[52:53], vcc
	s_cbranch_execz .LBB571_201
; %bb.52:
	v_lshl_add_u64 v[50:51], s[70:71], 0, v[36:37]
	flat_load_ushort v1, v[50:51]
	s_or_b64 exec, exec, s[52:53]
                                        ; implicit-def: $vgpr50
	s_and_saveexec_b64 s[52:53], s[50:51]
	s_cbranch_execnz .LBB571_202
.LBB571_53:
	s_or_b64 exec, exec, s[52:53]
                                        ; implicit-def: $vgpr51
	s_and_saveexec_b64 s[50:51], s[4:5]
	s_cbranch_execz .LBB571_203
.LBB571_54:
	v_mov_b32_e32 v37, 0
	v_lshl_add_u64 v[52:53], s[70:71], 0, v[36:37]
	flat_load_ushort v51, v[52:53] offset:1024
	s_or_b64 exec, exec, s[50:51]
                                        ; implicit-def: $vgpr52
	s_and_saveexec_b64 s[4:5], s[6:7]
	s_cbranch_execnz .LBB571_204
.LBB571_55:
	s_or_b64 exec, exec, s[4:5]
                                        ; implicit-def: $vgpr53
	s_and_saveexec_b64 s[4:5], s[8:9]
	s_cbranch_execz .LBB571_205
.LBB571_56:
	v_mov_b32_e32 v37, 0
	v_lshl_add_u64 v[54:55], s[70:71], 0, v[36:37]
	flat_load_ushort v53, v[54:55] offset:2048
	s_or_b64 exec, exec, s[4:5]
                                        ; implicit-def: $vgpr54
	s_and_saveexec_b64 s[4:5], s[10:11]
	s_cbranch_execnz .LBB571_206
.LBB571_57:
	s_or_b64 exec, exec, s[4:5]
                                        ; implicit-def: $vgpr55
	s_and_saveexec_b64 s[4:5], s[12:13]
	s_cbranch_execz .LBB571_207
.LBB571_58:
	v_mov_b32_e32 v37, 0
	v_lshl_add_u64 v[56:57], s[70:71], 0, v[36:37]
	flat_load_ushort v55, v[56:57] offset:3072
	s_or_b64 exec, exec, s[4:5]
                                        ; implicit-def: $vgpr37
	s_and_saveexec_b64 s[4:5], s[14:15]
	s_cbranch_execnz .LBB571_208
.LBB571_59:
	s_or_b64 exec, exec, s[4:5]
                                        ; implicit-def: $vgpr15
	s_and_saveexec_b64 s[4:5], s[16:17]
	s_cbranch_execz .LBB571_209
.LBB571_60:
	v_mov_b32_e32 v15, 0
	v_lshl_add_u64 v[14:15], s[70:71], 0, v[14:15]
	flat_load_ushort v15, v[14:15]
	s_or_b64 exec, exec, s[4:5]
                                        ; implicit-def: $vgpr14
	s_and_saveexec_b64 s[4:5], s[18:19]
	s_cbranch_execnz .LBB571_210
.LBB571_61:
	s_or_b64 exec, exec, s[4:5]
                                        ; implicit-def: $vgpr16
	s_and_saveexec_b64 s[4:5], s[20:21]
	s_cbranch_execz .LBB571_211
.LBB571_62:
	v_mov_b32_e32 v19, 0
	v_lshl_add_u64 v[16:17], s[70:71], 0, v[18:19]
	flat_load_ushort v16, v[16:17]
	s_or_b64 exec, exec, s[4:5]
                                        ; implicit-def: $vgpr17
	s_and_saveexec_b64 s[4:5], s[22:23]
	s_cbranch_execnz .LBB571_212
.LBB571_63:
	s_or_b64 exec, exec, s[4:5]
                                        ; implicit-def: $vgpr18
	s_and_saveexec_b64 s[4:5], s[24:25]
	s_cbranch_execz .LBB571_213
.LBB571_64:
	v_mov_b32_e32 v23, 0
	v_lshl_add_u64 v[18:19], s[70:71], 0, v[22:23]
	flat_load_ushort v18, v[18:19]
	s_or_b64 exec, exec, s[4:5]
                                        ; implicit-def: $vgpr19
	s_and_saveexec_b64 s[4:5], s[26:27]
	s_cbranch_execnz .LBB571_214
.LBB571_65:
	s_or_b64 exec, exec, s[4:5]
                                        ; implicit-def: $vgpr20
	s_and_saveexec_b64 s[4:5], s[28:29]
	s_cbranch_execz .LBB571_215
.LBB571_66:
	v_mov_b32_e32 v27, 0
	v_lshl_add_u64 v[20:21], s[70:71], 0, v[26:27]
	flat_load_ushort v20, v[20:21]
	s_or_b64 exec, exec, s[4:5]
                                        ; implicit-def: $vgpr21
	s_and_saveexec_b64 s[4:5], s[30:31]
	s_cbranch_execnz .LBB571_216
.LBB571_67:
	s_or_b64 exec, exec, s[4:5]
                                        ; implicit-def: $vgpr22
	s_and_saveexec_b64 s[4:5], s[34:35]
	s_cbranch_execz .LBB571_217
.LBB571_68:
	v_mov_b32_e32 v31, 0
	v_lshl_add_u64 v[22:23], s[70:71], 0, v[30:31]
	flat_load_ushort v22, v[22:23]
	s_or_b64 exec, exec, s[4:5]
                                        ; implicit-def: $vgpr23
	s_and_saveexec_b64 s[4:5], s[36:37]
	s_cbranch_execnz .LBB571_218
.LBB571_69:
	s_or_b64 exec, exec, s[4:5]
                                        ; implicit-def: $vgpr24
	s_and_saveexec_b64 s[4:5], s[38:39]
	s_cbranch_execz .LBB571_219
.LBB571_70:
	v_mov_b32_e32 v35, 0
	v_lshl_add_u64 v[24:25], s[70:71], 0, v[34:35]
	flat_load_ushort v24, v[24:25]
	s_or_b64 exec, exec, s[4:5]
                                        ; implicit-def: $vgpr25
	s_and_saveexec_b64 s[4:5], s[40:41]
	s_cbranch_execnz .LBB571_220
.LBB571_71:
	s_or_b64 exec, exec, s[4:5]
                                        ; implicit-def: $vgpr27
	s_and_saveexec_b64 s[4:5], s[42:43]
	s_cbranch_execz .LBB571_221
.LBB571_72:
	v_mov_b32_e32 v41, 0
	v_lshl_add_u64 v[26:27], s[70:71], 0, v[40:41]
	flat_load_ushort v27, v[26:27]
	s_or_b64 exec, exec, s[4:5]
                                        ; implicit-def: $vgpr28
	s_and_saveexec_b64 s[4:5], s[44:45]
	s_cbranch_execnz .LBB571_222
.LBB571_73:
	s_or_b64 exec, exec, s[4:5]
                                        ; implicit-def: $vgpr29
	s_and_saveexec_b64 s[4:5], s[46:47]
	s_cbranch_execz .LBB571_75
.LBB571_74:
	v_mov_b32_e32 v45, 0
	v_lshl_add_u64 v[30:31], s[70:71], 0, v[44:45]
	flat_load_ushort v29, v[30:31]
.LBB571_75:
	s_or_b64 exec, exec, s[4:5]
	v_mul_u32_u24_e32 v26, 24, v0
                                        ; implicit-def: $vgpr30
	s_and_saveexec_b64 s[4:5], s[48:49]
	s_cbranch_execz .LBB571_77
; %bb.76:
	v_mov_b32_e32 v47, 0
	v_lshl_add_u64 v[30:31], s[70:71], 0, v[46:47]
	flat_load_ushort v30, v[30:31]
.LBB571_77:
	s_or_b64 exec, exec, s[4:5]
	s_waitcnt vmcnt(0) lgkmcnt(0)
	ds_write_b16 v36, v1
	ds_write_b16 v36, v50 offset:512
	ds_write_b16 v36, v51 offset:1024
	;; [unrolled: 1-line block ×23, first 2 shown]
	v_cmp_gt_u32_e32 vcc, s59, v26
	s_mov_b64 s[4:5], 0
	s_mov_b32 s3, 0
	v_mov_b32_e32 v1, 0
	s_mov_b64 s[10:11], 0
	v_mov_b32_e32 v18, 0
	v_mov_b32_e32 v25, 0
	;; [unrolled: 1-line block ×22, first 2 shown]
	s_waitcnt lgkmcnt(0)
	s_barrier
	s_waitcnt lgkmcnt(0)
                                        ; implicit-def: $sgpr8_sgpr9
                                        ; implicit-def: $vgpr41
	s_and_saveexec_b64 s[6:7], vcc
	s_cbranch_execz .LBB571_125
; %bb.78:
	ds_read_u16 v1, v49
	v_mov_b32_e32 v15, s78
	v_cmp_eq_u16_sdwa vcc, v10, v10 src0_sel:DWORD src1_sel:WORD_1
	v_cmp_ne_u16_sdwa s[8:9], v10, v10 src0_sel:DWORD src1_sel:WORD_1
	v_or_b32_e32 v14, 1, v26
	s_waitcnt lgkmcnt(0)
	v_cndmask_b32_e32 v1, v15, v1, vcc
	v_and_b32_e32 v1, 0xffff, v1
	v_cndmask_b32_e64 v15, 0, 1, s[8:9]
	v_lshl_or_b32 v1, v15, 16, v1
	v_cmp_gt_u32_e32 vcc, s59, v14
	v_mov_b32_e32 v18, 0
	v_mov_b32_e32 v25, 0
	;; [unrolled: 1-line block ×22, first 2 shown]
                                        ; implicit-def: $sgpr12_sgpr13
                                        ; implicit-def: $vgpr41
	s_and_saveexec_b64 s[8:9], vcc
	s_cbranch_execz .LBB571_124
; %bb.79:
	ds_read_b128 v[14:17], v49 offset:2
	v_mov_b32_e32 v18, s78
	v_cmp_eq_u16_sdwa vcc, v10, v11 src0_sel:WORD_1 src1_sel:DWORD
	v_cmp_ne_u16_sdwa s[10:11], v10, v11 src0_sel:WORD_1 src1_sel:DWORD
	v_or_b32_e32 v19, 2, v26
	s_waitcnt lgkmcnt(0)
	v_cndmask_b32_e32 v18, v18, v14, vcc
	v_and_b32_e32 v18, 0xffff, v18
	v_cndmask_b32_e64 v10, 0, 1, s[10:11]
	v_lshl_or_b32 v18, v10, 16, v18
	v_cmp_gt_u32_e32 vcc, s59, v19
	s_mov_b64 s[14:15], 0
	v_mov_b32_e32 v25, 0
	v_mov_b32_e32 v19, 0
	;; [unrolled: 1-line block ×21, first 2 shown]
                                        ; implicit-def: $sgpr12_sgpr13
                                        ; implicit-def: $vgpr41
	s_and_saveexec_b64 s[10:11], vcc
	s_cbranch_execz .LBB571_123
; %bb.80:
	v_lshrrev_b32_e32 v10, 16, v14
	v_mov_b32_e32 v19, s78
	v_cmp_eq_u16_sdwa vcc, v11, v11 src0_sel:DWORD src1_sel:WORD_1
	v_cmp_ne_u16_sdwa s[12:13], v11, v11 src0_sel:DWORD src1_sel:WORD_1
	v_or_b32_e32 v14, 3, v26
	v_cndmask_b32_e32 v10, v19, v10, vcc
	v_and_b32_e32 v10, 0xffff, v10
	v_cndmask_b32_e64 v19, 0, 1, s[12:13]
	v_lshl_or_b32 v25, v19, 16, v10
	v_cmp_gt_u32_e32 vcc, s59, v14
	v_mov_b32_e32 v19, 0
	v_mov_b32_e32 v27, 0
	;; [unrolled: 1-line block ×20, first 2 shown]
                                        ; implicit-def: $sgpr16_sgpr17
                                        ; implicit-def: $vgpr41
	s_and_saveexec_b64 s[12:13], vcc
	s_cbranch_execz .LBB571_122
; %bb.81:
	v_mov_b32_e32 v14, s78
	v_cmp_eq_u16_sdwa vcc, v11, v12 src0_sel:WORD_1 src1_sel:DWORD
	v_cmp_ne_u16_sdwa s[14:15], v11, v12 src0_sel:WORD_1 src1_sel:DWORD
	v_or_b32_e32 v10, 4, v26
	v_cndmask_b32_e32 v14, v14, v15, vcc
	v_and_b32_e32 v14, 0xffff, v14
	v_cndmask_b32_e64 v11, 0, 1, s[14:15]
	v_lshl_or_b32 v19, v11, 16, v14
	v_cmp_gt_u32_e32 vcc, s59, v10
	s_mov_b64 s[18:19], 0
	v_mov_b32_e32 v27, 0
	v_mov_b32_e32 v20, 0
	v_mov_b32_e32 v28, 0
	v_mov_b32_e32 v21, 0
	v_mov_b32_e32 v29, 0
	v_mov_b32_e32 v30, 0
	v_mov_b32_e32 v31, 0
	v_mov_b32_e32 v32, 0
	v_mov_b32_e32 v33, 0
	v_mov_b32_e32 v34, 0
	v_mov_b32_e32 v35, 0
	v_mov_b32_e32 v36, 0
	v_mov_b32_e32 v37, 0
	v_mov_b32_e32 v22, 0
	v_mov_b32_e32 v38, 0
	v_mov_b32_e32 v23, 0
	v_mov_b32_e32 v39, 0
	v_mov_b32_e32 v24, 0
	v_mov_b32_e32 v40, 0
                                        ; implicit-def: $sgpr16_sgpr17
                                        ; implicit-def: $vgpr41
	s_and_saveexec_b64 s[14:15], vcc
	s_cbranch_execz .LBB571_121
; %bb.82:
	v_lshrrev_b32_e32 v10, 16, v15
	v_mov_b32_e32 v14, s78
	v_cmp_eq_u16_sdwa vcc, v12, v12 src0_sel:DWORD src1_sel:WORD_1
	v_cmp_ne_u16_sdwa s[16:17], v12, v12 src0_sel:DWORD src1_sel:WORD_1
	v_or_b32_e32 v11, 5, v26
	v_cndmask_b32_e32 v10, v14, v10, vcc
	v_and_b32_e32 v10, 0xffff, v10
	v_cndmask_b32_e64 v14, 0, 1, s[16:17]
	v_lshl_or_b32 v27, v14, 16, v10
	v_cmp_gt_u32_e32 vcc, s59, v11
	v_mov_b32_e32 v20, 0
	v_mov_b32_e32 v28, 0
	;; [unrolled: 1-line block ×18, first 2 shown]
                                        ; implicit-def: $sgpr20_sgpr21
                                        ; implicit-def: $vgpr41
	s_and_saveexec_b64 s[16:17], vcc
	s_cbranch_execz .LBB571_120
; %bb.83:
	v_mov_b32_e32 v11, s78
	v_cmp_eq_u16_sdwa vcc, v12, v13 src0_sel:WORD_1 src1_sel:DWORD
	v_cmp_ne_u16_sdwa s[18:19], v12, v13 src0_sel:WORD_1 src1_sel:DWORD
	v_or_b32_e32 v10, 6, v26
	v_cndmask_b32_e32 v11, v11, v16, vcc
	v_and_b32_e32 v11, 0xffff, v11
	v_cndmask_b32_e64 v12, 0, 1, s[18:19]
	v_lshl_or_b32 v20, v12, 16, v11
	v_cmp_gt_u32_e32 vcc, s59, v10
	s_mov_b64 s[22:23], 0
	v_mov_b32_e32 v28, 0
	v_mov_b32_e32 v21, 0
	;; [unrolled: 1-line block ×17, first 2 shown]
                                        ; implicit-def: $sgpr20_sgpr21
                                        ; implicit-def: $vgpr41
	s_and_saveexec_b64 s[18:19], vcc
	s_cbranch_execz .LBB571_119
; %bb.84:
	v_lshrrev_b32_e32 v10, 16, v16
	v_mov_b32_e32 v12, s78
	v_cmp_eq_u16_sdwa vcc, v13, v13 src0_sel:DWORD src1_sel:WORD_1
	v_cmp_ne_u16_sdwa s[20:21], v13, v13 src0_sel:DWORD src1_sel:WORD_1
	v_or_b32_e32 v11, 7, v26
	v_cndmask_b32_e32 v10, v12, v10, vcc
	v_and_b32_e32 v10, 0xffff, v10
	v_cndmask_b32_e64 v12, 0, 1, s[20:21]
	v_lshl_or_b32 v28, v12, 16, v10
	v_cmp_gt_u32_e32 vcc, s59, v11
	v_mov_b32_e32 v21, 0
	v_mov_b32_e32 v29, 0
	;; [unrolled: 1-line block ×16, first 2 shown]
                                        ; implicit-def: $sgpr24_sgpr25
                                        ; implicit-def: $vgpr41
	s_and_saveexec_b64 s[20:21], vcc
	s_cbranch_execz .LBB571_118
; %bb.85:
	v_mov_b32_e32 v11, s78
	v_cmp_eq_u16_sdwa vcc, v13, v6 src0_sel:WORD_1 src1_sel:DWORD
	v_cmp_ne_u16_sdwa s[22:23], v13, v6 src0_sel:WORD_1 src1_sel:DWORD
	v_add_u32_e32 v10, 8, v26
	v_cndmask_b32_e32 v11, v11, v17, vcc
	v_and_b32_e32 v11, 0xffff, v11
	v_cndmask_b32_e64 v12, 0, 1, s[22:23]
	v_lshl_or_b32 v21, v12, 16, v11
	v_cmp_gt_u32_e32 vcc, s59, v10
	s_mov_b64 s[26:27], 0
	v_mov_b32_e32 v29, 0
	v_mov_b32_e32 v30, 0
	;; [unrolled: 1-line block ×15, first 2 shown]
                                        ; implicit-def: $sgpr24_sgpr25
                                        ; implicit-def: $vgpr41
	s_and_saveexec_b64 s[22:23], vcc
	s_cbranch_execz .LBB571_117
; %bb.86:
	v_lshrrev_b32_e32 v10, 16, v17
	v_mov_b32_e32 v12, s78
	v_cmp_eq_u16_sdwa vcc, v6, v6 src0_sel:DWORD src1_sel:WORD_1
	v_cmp_ne_u16_sdwa s[24:25], v6, v6 src0_sel:DWORD src1_sel:WORD_1
	v_add_u32_e32 v11, 9, v26
	v_cndmask_b32_e32 v10, v12, v10, vcc
	v_and_b32_e32 v10, 0xffff, v10
	v_cndmask_b32_e64 v12, 0, 1, s[24:25]
	v_lshl_or_b32 v29, v12, 16, v10
	v_cmp_gt_u32_e32 vcc, s59, v11
	v_mov_b32_e32 v30, 0
	v_mov_b32_e32 v31, 0
	;; [unrolled: 1-line block ×14, first 2 shown]
                                        ; implicit-def: $sgpr28_sgpr29
                                        ; implicit-def: $vgpr41
	s_and_saveexec_b64 s[24:25], vcc
	s_cbranch_execz .LBB571_116
; %bb.87:
	ds_read_b128 v[10:13], v49 offset:18
	v_mov_b32_e32 v15, s78
	v_cmp_eq_u16_sdwa vcc, v6, v7 src0_sel:WORD_1 src1_sel:DWORD
	v_cmp_ne_u16_sdwa s[26:27], v6, v7 src0_sel:WORD_1 src1_sel:DWORD
	v_add_u32_e32 v14, 10, v26
	s_waitcnt lgkmcnt(0)
	v_cndmask_b32_e32 v15, v15, v10, vcc
	v_and_b32_e32 v15, 0xffff, v15
	v_cndmask_b32_e64 v6, 0, 1, s[26:27]
	v_lshl_or_b32 v30, v6, 16, v15
	v_cmp_gt_u32_e32 vcc, s59, v14
	s_mov_b64 s[30:31], 0
	v_mov_b32_e32 v31, 0
	v_mov_b32_e32 v32, 0
	;; [unrolled: 1-line block ×13, first 2 shown]
                                        ; implicit-def: $sgpr28_sgpr29
                                        ; implicit-def: $vgpr41
	s_and_saveexec_b64 s[26:27], vcc
	s_cbranch_execz .LBB571_115
; %bb.88:
	v_lshrrev_b32_e32 v6, 16, v10
	v_mov_b32_e32 v14, s78
	v_cmp_eq_u16_sdwa vcc, v7, v7 src0_sel:DWORD src1_sel:WORD_1
	v_cmp_ne_u16_sdwa s[28:29], v7, v7 src0_sel:DWORD src1_sel:WORD_1
	v_add_u32_e32 v10, 11, v26
	v_cndmask_b32_e32 v6, v14, v6, vcc
	v_and_b32_e32 v6, 0xffff, v6
	v_cndmask_b32_e64 v14, 0, 1, s[28:29]
	v_lshl_or_b32 v31, v14, 16, v6
	v_cmp_gt_u32_e32 vcc, s59, v10
	v_mov_b32_e32 v32, 0
	v_mov_b32_e32 v33, 0
	;; [unrolled: 1-line block ×12, first 2 shown]
                                        ; implicit-def: $sgpr34_sgpr35
                                        ; implicit-def: $vgpr41
	s_and_saveexec_b64 s[28:29], vcc
	s_cbranch_execz .LBB571_114
; %bb.89:
	v_mov_b32_e32 v10, s78
	v_cmp_eq_u16_sdwa vcc, v7, v8 src0_sel:WORD_1 src1_sel:DWORD
	v_cmp_ne_u16_sdwa s[30:31], v7, v8 src0_sel:WORD_1 src1_sel:DWORD
	v_add_u32_e32 v6, 12, v26
	v_cndmask_b32_e32 v10, v10, v11, vcc
	v_and_b32_e32 v10, 0xffff, v10
	v_cndmask_b32_e64 v7, 0, 1, s[30:31]
	v_lshl_or_b32 v32, v7, 16, v10
	v_cmp_gt_u32_e32 vcc, s59, v6
	s_mov_b64 s[36:37], 0
	v_mov_b32_e32 v33, 0
	v_mov_b32_e32 v34, 0
	;; [unrolled: 1-line block ×11, first 2 shown]
                                        ; implicit-def: $sgpr34_sgpr35
                                        ; implicit-def: $vgpr41
	s_and_saveexec_b64 s[30:31], vcc
	s_cbranch_execz .LBB571_113
; %bb.90:
	v_lshrrev_b32_e32 v6, 16, v11
	v_mov_b32_e32 v10, s78
	v_cmp_eq_u16_sdwa vcc, v8, v8 src0_sel:DWORD src1_sel:WORD_1
	v_cmp_ne_u16_sdwa s[34:35], v8, v8 src0_sel:DWORD src1_sel:WORD_1
	v_add_u32_e32 v7, 13, v26
	v_cndmask_b32_e32 v6, v10, v6, vcc
	v_and_b32_e32 v6, 0xffff, v6
	v_cndmask_b32_e64 v10, 0, 1, s[34:35]
	v_lshl_or_b32 v33, v10, 16, v6
	v_cmp_gt_u32_e32 vcc, s59, v7
	v_mov_b32_e32 v34, 0
	v_mov_b32_e32 v35, 0
	;; [unrolled: 1-line block ×10, first 2 shown]
                                        ; implicit-def: $sgpr38_sgpr39
                                        ; implicit-def: $vgpr41
	s_and_saveexec_b64 s[34:35], vcc
	s_cbranch_execz .LBB571_112
; %bb.91:
	v_mov_b32_e32 v7, s78
	v_cmp_eq_u16_sdwa vcc, v8, v9 src0_sel:WORD_1 src1_sel:DWORD
	v_cmp_ne_u16_sdwa s[36:37], v8, v9 src0_sel:WORD_1 src1_sel:DWORD
	v_add_u32_e32 v6, 14, v26
	v_cndmask_b32_e32 v7, v7, v12, vcc
	v_and_b32_e32 v7, 0xffff, v7
	v_cndmask_b32_e64 v8, 0, 1, s[36:37]
	v_lshl_or_b32 v34, v8, 16, v7
	v_cmp_gt_u32_e32 vcc, s59, v6
	s_mov_b64 s[40:41], 0
	v_mov_b32_e32 v35, 0
	v_mov_b32_e32 v36, 0
	;; [unrolled: 1-line block ×9, first 2 shown]
                                        ; implicit-def: $sgpr38_sgpr39
                                        ; implicit-def: $vgpr41
	s_and_saveexec_b64 s[36:37], vcc
	s_cbranch_execz .LBB571_111
; %bb.92:
	v_lshrrev_b32_e32 v6, 16, v12
	v_mov_b32_e32 v8, s78
	v_cmp_eq_u16_sdwa vcc, v9, v9 src0_sel:DWORD src1_sel:WORD_1
	v_cmp_ne_u16_sdwa s[38:39], v9, v9 src0_sel:DWORD src1_sel:WORD_1
	v_add_u32_e32 v7, 15, v26
	v_cndmask_b32_e32 v6, v8, v6, vcc
	v_and_b32_e32 v6, 0xffff, v6
	v_cndmask_b32_e64 v8, 0, 1, s[38:39]
	v_lshl_or_b32 v35, v8, 16, v6
	v_cmp_gt_u32_e32 vcc, s59, v7
	v_mov_b32_e32 v36, 0
	v_mov_b32_e32 v37, 0
	;; [unrolled: 1-line block ×8, first 2 shown]
                                        ; implicit-def: $sgpr42_sgpr43
                                        ; implicit-def: $vgpr41
	s_and_saveexec_b64 s[38:39], vcc
	s_cbranch_execz .LBB571_110
; %bb.93:
	v_mov_b32_e32 v7, s78
	v_cmp_eq_u16_sdwa vcc, v9, v2 src0_sel:WORD_1 src1_sel:DWORD
	v_cmp_ne_u16_sdwa s[40:41], v9, v2 src0_sel:WORD_1 src1_sel:DWORD
	v_add_u32_e32 v6, 16, v26
	v_cndmask_b32_e32 v7, v7, v13, vcc
	v_and_b32_e32 v7, 0xffff, v7
	v_cndmask_b32_e64 v8, 0, 1, s[40:41]
	v_lshl_or_b32 v36, v8, 16, v7
	v_cmp_gt_u32_e32 vcc, s59, v6
	s_mov_b64 s[44:45], 0
	v_mov_b32_e32 v37, 0
	v_mov_b32_e32 v22, 0
	;; [unrolled: 1-line block ×7, first 2 shown]
                                        ; implicit-def: $sgpr42_sgpr43
                                        ; implicit-def: $vgpr41
	s_and_saveexec_b64 s[40:41], vcc
	s_cbranch_execz .LBB571_109
; %bb.94:
	v_lshrrev_b32_e32 v6, 16, v13
	v_mov_b32_e32 v8, s78
	v_cmp_eq_u16_sdwa vcc, v2, v2 src0_sel:DWORD src1_sel:WORD_1
	v_cmp_ne_u16_sdwa s[42:43], v2, v2 src0_sel:DWORD src1_sel:WORD_1
	v_add_u32_e32 v7, 17, v26
	v_cndmask_b32_e32 v6, v8, v6, vcc
	v_and_b32_e32 v6, 0xffff, v6
	v_cndmask_b32_e64 v8, 0, 1, s[42:43]
	v_lshl_or_b32 v37, v8, 16, v6
	v_cmp_gt_u32_e32 vcc, s59, v7
	v_mov_b32_e32 v22, 0
	v_mov_b32_e32 v38, 0
	;; [unrolled: 1-line block ×6, first 2 shown]
                                        ; implicit-def: $sgpr46_sgpr47
                                        ; implicit-def: $vgpr41
	s_and_saveexec_b64 s[42:43], vcc
	s_cbranch_execz .LBB571_108
; %bb.95:
	ds_read_b96 v[6:8], v49 offset:34
	v_mov_b32_e32 v10, s78
	v_cmp_eq_u16_sdwa vcc, v2, v3 src0_sel:WORD_1 src1_sel:DWORD
	v_cmp_ne_u16_sdwa s[44:45], v2, v3 src0_sel:WORD_1 src1_sel:DWORD
	v_add_u32_e32 v9, 18, v26
	s_waitcnt lgkmcnt(0)
	v_cndmask_b32_e32 v10, v10, v6, vcc
	v_and_b32_e32 v10, 0xffff, v10
	v_cndmask_b32_e64 v2, 0, 1, s[44:45]
	v_lshl_or_b32 v22, v2, 16, v10
	v_cmp_gt_u32_e32 vcc, s59, v9
	s_mov_b64 s[48:49], 0
	v_mov_b32_e32 v38, 0
	v_mov_b32_e32 v23, 0
	;; [unrolled: 1-line block ×5, first 2 shown]
                                        ; implicit-def: $sgpr46_sgpr47
                                        ; implicit-def: $vgpr41
	s_and_saveexec_b64 s[44:45], vcc
	s_cbranch_execz .LBB571_107
; %bb.96:
	v_lshrrev_b32_e32 v2, 16, v6
	v_mov_b32_e32 v9, s78
	v_cmp_eq_u16_sdwa vcc, v3, v3 src0_sel:DWORD src1_sel:WORD_1
	v_cmp_ne_u16_sdwa s[46:47], v3, v3 src0_sel:DWORD src1_sel:WORD_1
	v_add_u32_e32 v6, 19, v26
	v_cndmask_b32_e32 v2, v9, v2, vcc
	v_and_b32_e32 v2, 0xffff, v2
	v_cndmask_b32_e64 v9, 0, 1, s[46:47]
	v_lshl_or_b32 v38, v9, 16, v2
	v_cmp_gt_u32_e32 vcc, s59, v6
	v_mov_b32_e32 v23, 0
	v_mov_b32_e32 v39, 0
	;; [unrolled: 1-line block ×4, first 2 shown]
                                        ; implicit-def: $sgpr50_sgpr51
                                        ; implicit-def: $vgpr41
	s_and_saveexec_b64 s[46:47], vcc
	s_cbranch_execz .LBB571_106
; %bb.97:
	v_mov_b32_e32 v6, s78
	v_cmp_eq_u16_sdwa vcc, v3, v4 src0_sel:WORD_1 src1_sel:DWORD
	v_cmp_ne_u16_sdwa s[48:49], v3, v4 src0_sel:WORD_1 src1_sel:DWORD
	v_add_u32_e32 v2, 20, v26
	v_cndmask_b32_e32 v6, v6, v7, vcc
	v_and_b32_e32 v6, 0xffff, v6
	v_cndmask_b32_e64 v3, 0, 1, s[48:49]
	v_lshl_or_b32 v23, v3, 16, v6
	v_cmp_gt_u32_e32 vcc, s59, v2
	s_mov_b64 s[52:53], 0
	v_mov_b32_e32 v39, 0
	v_mov_b32_e32 v24, 0
	;; [unrolled: 1-line block ×3, first 2 shown]
                                        ; implicit-def: $sgpr50_sgpr51
                                        ; implicit-def: $vgpr41
	s_and_saveexec_b64 s[48:49], vcc
	s_cbranch_execz .LBB571_105
; %bb.98:
	v_lshrrev_b32_e32 v2, 16, v7
	v_mov_b32_e32 v6, s78
	v_cmp_eq_u16_sdwa vcc, v4, v4 src0_sel:DWORD src1_sel:WORD_1
	v_cmp_ne_u16_sdwa s[50:51], v4, v4 src0_sel:DWORD src1_sel:WORD_1
	v_add_u32_e32 v3, 21, v26
	v_cndmask_b32_e32 v2, v6, v2, vcc
	v_and_b32_e32 v2, 0xffff, v2
	v_cndmask_b32_e64 v6, 0, 1, s[50:51]
	v_lshl_or_b32 v39, v6, 16, v2
	v_cmp_gt_u32_e32 vcc, s59, v3
	v_mov_b32_e32 v24, 0
	v_mov_b32_e32 v40, 0
                                        ; implicit-def: $sgpr60_sgpr61
                                        ; implicit-def: $vgpr41
	s_and_saveexec_b64 s[50:51], vcc
	s_cbranch_execz .LBB571_104
; %bb.99:
	v_mov_b32_e32 v3, s78
	v_cmp_eq_u16_sdwa vcc, v4, v5 src0_sel:WORD_1 src1_sel:DWORD
	v_cmp_ne_u16_sdwa s[52:53], v4, v5 src0_sel:WORD_1 src1_sel:DWORD
	v_add_u32_e32 v2, 22, v26
	v_cndmask_b32_e32 v3, v3, v8, vcc
	v_and_b32_e32 v3, 0xffff, v3
	v_cndmask_b32_e64 v4, 0, 1, s[52:53]
	v_lshl_or_b32 v24, v4, 16, v3
	v_cmp_gt_u32_e32 vcc, s59, v2
	s_mov_b64 s[74:75], 0
	v_mov_b32_e32 v40, 0
                                        ; implicit-def: $sgpr76_sgpr77
                                        ; implicit-def: $vgpr41
	s_and_saveexec_b64 s[52:53], vcc
	s_cbranch_execz .LBB571_103
; %bb.100:
	v_lshrrev_b32_e32 v2, 16, v8
	v_mov_b32_e32 v4, s78
	v_cmp_eq_u16_sdwa vcc, v5, v5 src0_sel:DWORD src1_sel:WORD_1
	v_cmp_ne_u16_sdwa s[60:61], v5, v5 src0_sel:DWORD src1_sel:WORD_1
	v_add_u32_e32 v3, 23, v26
	v_cndmask_b32_e32 v2, v4, v2, vcc
	v_and_b32_e32 v2, 0xffff, v2
	v_cndmask_b32_e64 v4, 0, 1, s[60:61]
	v_lshl_or_b32 v40, v4, 16, v2
	v_cmp_gt_u32_e32 vcc, s59, v3
	s_mov_b64 s[60:61], 0
                                        ; implicit-def: $sgpr74_sgpr75
                                        ; implicit-def: $vgpr41
	s_and_saveexec_b64 s[76:77], vcc
	s_xor_b64 s[76:77], exec, s[76:77]
	s_cbranch_execz .LBB571_102
; %bb.101:
	ds_read_u16 v2, v49 offset:46
	v_mov_b32_e32 v3, s78
	v_cmp_ne_u16_sdwa vcc, v5, v48 src0_sel:WORD_1 src1_sel:DWORD
	s_mov_b64 s[60:61], exec
	s_and_b64 s[74:75], vcc, exec
	s_waitcnt lgkmcnt(0)
	v_cndmask_b32_e32 v41, v2, v3, vcc
.LBB571_102:
	s_or_b64 exec, exec, s[76:77]
	s_and_b64 s[76:77], s[74:75], exec
	s_and_b64 s[74:75], s[60:61], exec
.LBB571_103:
	s_or_b64 exec, exec, s[52:53]
	s_and_b64 s[60:61], s[76:77], exec
	s_and_b64 s[52:53], s[74:75], exec
.LBB571_104:
	s_or_b64 exec, exec, s[50:51]
	s_and_b64 s[50:51], s[60:61], exec
	s_and_b64 s[52:53], s[52:53], exec
.LBB571_105:
	s_or_b64 exec, exec, s[48:49]
	s_and_b64 s[50:51], s[50:51], exec
	s_and_b64 s[48:49], s[52:53], exec
.LBB571_106:
	s_or_b64 exec, exec, s[46:47]
	s_and_b64 s[46:47], s[50:51], exec
	s_and_b64 s[48:49], s[48:49], exec
.LBB571_107:
	s_or_b64 exec, exec, s[44:45]
	s_and_b64 s[46:47], s[46:47], exec
	s_and_b64 s[44:45], s[48:49], exec
.LBB571_108:
	s_or_b64 exec, exec, s[42:43]
	s_and_b64 s[42:43], s[46:47], exec
	s_and_b64 s[44:45], s[44:45], exec
.LBB571_109:
	s_or_b64 exec, exec, s[40:41]
	s_and_b64 s[42:43], s[42:43], exec
	s_and_b64 s[40:41], s[44:45], exec
.LBB571_110:
	s_or_b64 exec, exec, s[38:39]
	s_and_b64 s[38:39], s[42:43], exec
	s_and_b64 s[40:41], s[40:41], exec
.LBB571_111:
	s_or_b64 exec, exec, s[36:37]
	s_and_b64 s[38:39], s[38:39], exec
	s_and_b64 s[36:37], s[40:41], exec
.LBB571_112:
	s_or_b64 exec, exec, s[34:35]
	s_and_b64 s[34:35], s[38:39], exec
	s_and_b64 s[36:37], s[36:37], exec
.LBB571_113:
	s_or_b64 exec, exec, s[30:31]
	s_and_b64 s[34:35], s[34:35], exec
	s_and_b64 s[30:31], s[36:37], exec
.LBB571_114:
	s_or_b64 exec, exec, s[28:29]
	s_and_b64 s[28:29], s[34:35], exec
	s_and_b64 s[30:31], s[30:31], exec
.LBB571_115:
	s_or_b64 exec, exec, s[26:27]
	s_and_b64 s[28:29], s[28:29], exec
	s_and_b64 s[26:27], s[30:31], exec
.LBB571_116:
	s_or_b64 exec, exec, s[24:25]
	s_and_b64 s[24:25], s[28:29], exec
	s_and_b64 s[26:27], s[26:27], exec
.LBB571_117:
	s_or_b64 exec, exec, s[22:23]
	s_and_b64 s[24:25], s[24:25], exec
	s_and_b64 s[22:23], s[26:27], exec
.LBB571_118:
	s_or_b64 exec, exec, s[20:21]
	s_and_b64 s[20:21], s[24:25], exec
	s_and_b64 s[22:23], s[22:23], exec
.LBB571_119:
	s_or_b64 exec, exec, s[18:19]
	s_and_b64 s[20:21], s[20:21], exec
	s_and_b64 s[18:19], s[22:23], exec
.LBB571_120:
	s_or_b64 exec, exec, s[16:17]
	s_and_b64 s[16:17], s[20:21], exec
	s_and_b64 s[18:19], s[18:19], exec
.LBB571_121:
	s_or_b64 exec, exec, s[14:15]
	s_and_b64 s[16:17], s[16:17], exec
	s_and_b64 s[14:15], s[18:19], exec
.LBB571_122:
	s_or_b64 exec, exec, s[12:13]
	s_and_b64 s[12:13], s[16:17], exec
	s_and_b64 s[14:15], s[14:15], exec
.LBB571_123:
	s_or_b64 exec, exec, s[10:11]
	s_and_b64 s[12:13], s[12:13], exec
	s_and_b64 s[10:11], s[14:15], exec
.LBB571_124:
	s_or_b64 exec, exec, s[8:9]
	s_and_b64 s[8:9], s[12:13], exec
	s_and_b64 s[10:11], s[10:11], exec
.LBB571_125:
	s_or_b64 exec, exec, s[6:7]
	s_and_b64 vcc, exec, s[4:5]
	v_lshlrev_b32_e32 v26, 1, v0
	s_cbranch_vccnz .LBB571_127
	s_branch .LBB571_132
.LBB571_126:
	s_mov_b64 s[10:11], 0
                                        ; implicit-def: $sgpr8_sgpr9
                                        ; implicit-def: $vgpr41
                                        ; implicit-def: $vgpr1
                                        ; implicit-def: $vgpr18
                                        ; implicit-def: $vgpr25
                                        ; implicit-def: $vgpr19
                                        ; implicit-def: $vgpr27
                                        ; implicit-def: $vgpr20
                                        ; implicit-def: $vgpr28
                                        ; implicit-def: $vgpr21
                                        ; implicit-def: $vgpr29
                                        ; implicit-def: $vgpr30
                                        ; implicit-def: $vgpr31
                                        ; implicit-def: $vgpr32
                                        ; implicit-def: $vgpr33
                                        ; implicit-def: $vgpr34
                                        ; implicit-def: $vgpr35
                                        ; implicit-def: $vgpr36
                                        ; implicit-def: $vgpr37
                                        ; implicit-def: $vgpr22
                                        ; implicit-def: $vgpr38
                                        ; implicit-def: $vgpr23
                                        ; implicit-def: $vgpr39
                                        ; implicit-def: $vgpr24
                                        ; implicit-def: $vgpr40
                                        ; implicit-def: $sgpr3
	s_and_b64 vcc, exec, s[4:5]
	v_lshlrev_b32_e32 v26, 1, v0
	s_cbranch_vccz .LBB571_132
.LBB571_127:
	v_mov_b32_e32 v27, 0
	v_lshl_add_u64 v[2:3], s[72:73], 0, v[26:27]
	v_add_co_u32_e32 v4, vcc, 0x1000, v2
	flat_load_ushort v1, v[2:3]
	flat_load_ushort v6, v[2:3] offset:512
	flat_load_ushort v7, v[2:3] offset:1024
	;; [unrolled: 1-line block ×7, first 2 shown]
	v_addc_co_u32_e32 v5, vcc, 0, v3, vcc
	v_add_co_u32_e32 v2, vcc, 0x2000, v2
	flat_load_ushort v13, v[4:5]
	flat_load_ushort v14, v[4:5] offset:512
	flat_load_ushort v15, v[4:5] offset:1024
	;; [unrolled: 1-line block ×7, first 2 shown]
	v_addc_co_u32_e32 v3, vcc, 0, v3, vcc
	flat_load_ushort v4, v[2:3]
	flat_load_ushort v5, v[2:3] offset:512
	flat_load_ushort v21, v[2:3] offset:1024
	;; [unrolled: 1-line block ×7, first 2 shown]
	v_mov_b32_e32 v2, s72
	v_mov_b32_e32 v3, s73
	v_add_co_u32_e32 v2, vcc, 0x3000, v2
	s_movk_i32 s4, 0xffd2
	s_nop 0
	v_addc_co_u32_e32 v3, vcc, 0, v3, vcc
	s_movk_i32 s6, 0x1000
	s_movk_i32 s3, 0x2000
	s_waitcnt vmcnt(0) lgkmcnt(0)
	ds_write_b16 v26, v1
	ds_write_b16 v26, v6 offset:512
	ds_write_b16 v26, v7 offset:1024
	;; [unrolled: 1-line block ×23, first 2 shown]
	s_waitcnt lgkmcnt(0)
	s_barrier
	flat_load_ushort v41, v[2:3]
	v_mad_u32_u24 v1, v0, 46, v26
	ds_read_b128 v[10:13], v1
	ds_read_b128 v[6:9], v1 offset:16
	ds_read_b128 v[2:5], v1 offset:32
	v_mad_i32_i24 v14, v0, s4, v1
	s_movk_i32 s4, 0xff
	v_cmp_ne_u32_e32 vcc, s4, v0
	s_waitcnt lgkmcnt(0)
	ds_write_b16 v14, v10 offset:12800
	s_waitcnt lgkmcnt(0)
	s_barrier
	s_and_saveexec_b64 s[4:5], vcc
	s_cbranch_execz .LBB571_129
; %bb.128:
	s_waitcnt vmcnt(0)
	ds_read_u16 v41, v26 offset:12802
.LBB571_129:
	s_or_b64 exec, exec, s[4:5]
	v_lshl_add_u64 v[14:15], s[70:71], 0, v[26:27]
	v_add_co_u32_e32 v16, vcc, s6, v14
	s_waitcnt lgkmcnt(0)
	s_nop 0
	v_addc_co_u32_e32 v17, vcc, 0, v15, vcc
	s_barrier
	flat_load_ushort v18, v[14:15]
	flat_load_ushort v19, v[14:15] offset:512
	flat_load_ushort v20, v[14:15] offset:1024
	;; [unrolled: 1-line block ×7, first 2 shown]
	v_add_co_u32_e32 v14, vcc, s3, v14
	flat_load_ushort v28, v[16:17]
	flat_load_ushort v29, v[16:17] offset:512
	flat_load_ushort v30, v[16:17] offset:1024
	;; [unrolled: 1-line block ×7, first 2 shown]
	v_addc_co_u32_e32 v15, vcc, 0, v15, vcc
	flat_load_ushort v16, v[14:15]
	flat_load_ushort v17, v[14:15] offset:512
	flat_load_ushort v36, v[14:15] offset:1024
	flat_load_ushort v37, v[14:15] offset:1536
	flat_load_ushort v38, v[14:15] offset:2048
	flat_load_ushort v39, v[14:15] offset:2560
	flat_load_ushort v40, v[14:15] offset:3072
	flat_load_ushort v42, v[14:15] offset:3584
	v_cmp_eq_u16_sdwa s[6:7], v10, v10 src0_sel:DWORD src1_sel:WORD_1
	s_waitcnt vmcnt(0) lgkmcnt(0)
	ds_write_b16 v26, v18
	ds_write_b16 v26, v19 offset:512
	ds_write_b16 v26, v20 offset:1024
	;; [unrolled: 1-line block ×23, first 2 shown]
	s_waitcnt lgkmcnt(0)
	s_barrier
	ds_read_b128 v[18:21], v1 offset:2
	ds_read_b128 v[14:17], v1 offset:18
	ds_read_b96 v[22:24], v1 offset:34
	ds_read_u16 v42, v1 offset:46
	v_mov_b32_e32 v25, 0x10000
	v_mov_b32_e32 v28, s78
	s_and_saveexec_b64 s[4:5], s[6:7]
	s_cbranch_execz .LBB571_131
; %bb.130:
	ds_read_u16 v28, v1
	v_mov_b32_e32 v25, v27
.LBB571_131:
	s_or_b64 exec, exec, s[4:5]
	v_mov_b32_e32 v43, s78
	v_cmp_eq_u16_sdwa vcc, v10, v11 src0_sel:WORD_1 src1_sel:DWORD
	s_waitcnt lgkmcnt(3)
	v_lshrrev_b32_e32 v27, 16, v18
	v_cmp_ne_u16_sdwa s[4:5], v10, v11 src0_sel:WORD_1 src1_sel:DWORD
	v_cndmask_b32_e32 v18, v43, v18, vcc
	v_and_b32_e32 v18, 0xffff, v18
	v_cndmask_b32_e64 v10, 0, 1, s[4:5]
	v_cmp_eq_u16_sdwa vcc, v11, v11 src0_sel:DWORD src1_sel:WORD_1
	v_lshl_or_b32 v18, v10, 16, v18
	v_cmp_ne_u16_sdwa s[4:5], v11, v11 src0_sel:DWORD src1_sel:WORD_1
	v_cndmask_b32_e32 v10, v43, v27, vcc
	s_waitcnt lgkmcnt(0)
	v_or_b32_sdwa v1, v25, v28 dst_sel:DWORD dst_unused:UNUSED_PAD src0_sel:DWORD src1_sel:WORD_0
	v_and_b32_e32 v10, 0xffff, v10
	v_cndmask_b32_e64 v25, 0, 1, s[4:5]
	v_cmp_eq_u16_sdwa vcc, v11, v12 src0_sel:WORD_1 src1_sel:DWORD
	v_lshl_or_b32 v25, v25, 16, v10
	v_cmp_ne_u16_sdwa s[4:5], v11, v12 src0_sel:WORD_1 src1_sel:DWORD
	v_cndmask_b32_e32 v10, v43, v19, vcc
	v_lshrrev_b32_e32 v29, 16, v19
	v_and_b32_e32 v10, 0xffff, v10
	v_cndmask_b32_e64 v11, 0, 1, s[4:5]
	v_cmp_eq_u16_sdwa vcc, v12, v12 src0_sel:DWORD src1_sel:WORD_1
	v_lshl_or_b32 v19, v11, 16, v10
	v_cmp_ne_u16_sdwa s[4:5], v12, v12 src0_sel:DWORD src1_sel:WORD_1
	v_cndmask_b32_e32 v10, v43, v29, vcc
	v_and_b32_e32 v10, 0xffff, v10
	v_cndmask_b32_e64 v11, 0, 1, s[4:5]
	v_cmp_eq_u16_sdwa vcc, v12, v13 src0_sel:WORD_1 src1_sel:DWORD
	v_lshl_or_b32 v27, v11, 16, v10
	v_cmp_ne_u16_sdwa s[4:5], v12, v13 src0_sel:WORD_1 src1_sel:DWORD
	v_cndmask_b32_e32 v10, v43, v20, vcc
	v_lshrrev_b32_e32 v30, 16, v20
	v_and_b32_e32 v10, 0xffff, v10
	v_cndmask_b32_e64 v11, 0, 1, s[4:5]
	v_cmp_eq_u16_sdwa vcc, v13, v13 src0_sel:DWORD src1_sel:WORD_1
	v_lshl_or_b32 v20, v11, 16, v10
	v_cmp_ne_u16_sdwa s[4:5], v13, v13 src0_sel:DWORD src1_sel:WORD_1
	v_cndmask_b32_e32 v10, v43, v30, vcc
	;; [unrolled: 13-line block ×10, first 2 shown]
	v_and_b32_e32 v2, 0xffff, v2
	v_cndmask_b32_e64 v3, 0, 1, s[4:5]
	v_cmp_ne_u16_sdwa s[8:9], v5, v41 src0_sel:WORD_1 src1_sel:DWORD
	v_lshl_or_b32 v40, v3, 16, v2
	s_mov_b64 s[10:11], -1
	v_cndmask_b32_e64 v41, v42, v43, s[8:9]
                                        ; implicit-def: $sgpr3
.LBB571_132:
	v_mov_b32_e32 v12, s3
	s_and_saveexec_b64 s[4:5], s[10:11]
; %bb.133:
	v_mov_b32_e32 v2, 0x10000
	v_cndmask_b32_e64 v2, 0, v2, s[8:9]
	v_or_b32_sdwa v12, v2, v41 dst_sel:DWORD dst_unused:UNUSED_PAD src0_sel:DWORD src1_sel:WORD_0
; %bb.134:
	s_or_b64 exec, exec, s[4:5]
	v_or3_b32 v2, v12, v40, v24
	s_cmp_lg_u32 s2, 0
	v_or3_b32 v14, v2, v39, v23
	v_mbcnt_lo_u32_b32 v13, -1, 0
	s_barrier
	s_cbranch_scc0 .LBB571_223
; %bb.135:
	s_mov_b32 s3, 0x10000
	v_cmp_gt_u32_e64 s[50:51], s3, v18
	v_cmp_gt_u32_e64 s[4:5], s3, v25
	v_cmp_gt_u32_e64 s[6:7], s3, v19
	v_cndmask_b32_e64 v2, 0, v1, s[50:51]
	v_add_u16_e32 v2, v2, v18
	v_cndmask_b32_e64 v2, 0, v2, s[4:5]
	v_add_u16_e32 v2, v2, v25
	v_cndmask_b32_e64 v2, 0, v2, s[6:7]
	v_add_u16_e32 v2, v2, v19
	v_cmp_gt_u32_e64 s[8:9], s3, v27
	v_cmp_gt_u32_e64 s[10:11], s3, v20
	v_cmp_gt_u32_e64 s[12:13], s3, v28
	v_cndmask_b32_e64 v2, 0, v2, s[8:9]
	v_add_u16_e32 v2, v2, v27
	v_cndmask_b32_e64 v2, 0, v2, s[10:11]
	v_add_u16_e32 v2, v2, v20
	v_cndmask_b32_e64 v2, 0, v2, s[12:13]
	v_add_u16_e32 v2, v2, v28
	;; [unrolled: 9-line block ×5, first 2 shown]
	v_cmp_gt_u32_e64 s[34:35], s3, v37
	v_cmp_gt_u32_e64 s[36:37], s3, v22
	;; [unrolled: 1-line block ×3, first 2 shown]
	v_cndmask_b32_e64 v2, 0, v2, s[34:35]
	v_add_u16_e32 v2, v2, v37
	v_cndmask_b32_e64 v2, 0, v2, s[36:37]
	v_add_u16_e32 v2, v2, v22
	v_cndmask_b32_e64 v2, 0, v2, s[38:39]
	v_or3_b32 v5, v14, v38, v22
	v_add_u16_e32 v2, v2, v38
	v_cmp_gt_u32_e64 s[40:41], s3, v23
	v_or3_b32 v5, v5, v37, v36
	v_or3_b32 v5, v5, v35, v34
	v_cndmask_b32_e64 v2, 0, v2, s[40:41]
	v_add_u16_e32 v2, v2, v23
	v_cmp_gt_u32_e64 s[42:43], s3, v39
	v_or3_b32 v5, v5, v33, v32
	v_or3_b32 v5, v5, v31, v30
	v_cndmask_b32_e64 v2, 0, v2, s[42:43]
	;; [unrolled: 5-line block ×4, first 2 shown]
	v_add_u16_e32 v2, v2, v40
	v_cmp_gt_u32_e32 vcc, s3, v12
	v_and_b32_e32 v5, 0x10000, v5
	v_and_b32_e32 v3, 0x10000, v1
	v_cndmask_b32_e32 v4, 0, v2, vcc
	v_mov_b32_e32 v6, 0x10000
	v_cmp_ne_u32_e32 vcc, 0, v5
	v_add_u16_e32 v2, v4, v12
	v_add_u16_e32 v4, v4, v12
	v_cndmask_b32_e32 v6, v3, v6, vcc
	v_mbcnt_hi_u32_b32 v5, -1, v13
	v_and_b32_e32 v7, 15, v5
	v_or_b32_e32 v4, v6, v4
	v_lshrrev_b32_e32 v3, 16, v6
	v_cmp_ne_u32_e32 vcc, 0, v7
	v_mov_b32_dpp v8, v4 row_shr:1 row_mask:0xf bank_mask:0xf
	s_and_saveexec_b64 s[48:49], vcc
	s_cbranch_execz .LBB571_137
; %bb.136:
	v_cmp_eq_u32_e32 vcc, 0, v6
	v_and_b32_e32 v3, 0x10000, v6
	v_mov_b32_e32 v6, 1
	v_cndmask_b32_e32 v4, 0, v8, vcc
	v_and_b32_sdwa v6, v8, v6 dst_sel:DWORD dst_unused:UNUSED_PAD src0_sel:WORD_1 src1_sel:DWORD
	v_cmp_ne_u32_e32 vcc, 0, v3
	v_add_u16_e32 v9, v4, v2
	v_add_u16_e32 v2, v4, v2
	v_cndmask_b32_e64 v3, v6, 1, vcc
	v_lshlrev_b32_e32 v6, 16, v3
	v_or_b32_e32 v4, v6, v2
	v_mov_b32_e32 v2, v9
.LBB571_137:
	s_or_b64 exec, exec, s[48:49]
	v_lshrrev_b32_e32 v6, 16, v4
	v_mov_b32_dpp v8, v4 row_shr:2 row_mask:0xf bank_mask:0xf
	v_cmp_lt_u32_e32 vcc, 1, v7
	s_and_saveexec_b64 s[48:49], vcc
	s_cbranch_execz .LBB571_139
; %bb.138:
	v_cmp_gt_u32_e32 vcc, s3, v4
	v_and_b32_e32 v3, 0x10000, v4
	v_mov_b32_e32 v4, 1
	v_cndmask_b32_e32 v6, 0, v8, vcc
	v_and_b32_sdwa v4, v8, v4 dst_sel:DWORD dst_unused:UNUSED_PAD src0_sel:WORD_1 src1_sel:DWORD
	v_cmp_ne_u32_e32 vcc, 0, v3
	v_add_u16_e32 v9, v6, v2
	v_add_u16_e32 v2, v6, v2
	v_cndmask_b32_e64 v3, v4, 1, vcc
	v_lshlrev_b32_e32 v4, 16, v3
	v_or_b32_e32 v4, v4, v2
	v_mov_b32_e32 v6, v3
	v_mov_b32_e32 v2, v9
.LBB571_139:
	s_or_b64 exec, exec, s[48:49]
	v_mov_b32_dpp v8, v4 row_shr:4 row_mask:0xf bank_mask:0xf
	v_cmp_lt_u32_e32 vcc, 3, v7
	s_and_saveexec_b64 s[48:49], vcc
	s_cbranch_execz .LBB571_141
; %bb.140:
	v_cmp_eq_u16_e32 vcc, 0, v6
	v_and_b32_e32 v3, 1, v6
	v_mov_b32_e32 v6, 1
	v_cndmask_b32_e32 v4, 0, v8, vcc
	v_and_b32_sdwa v6, v8, v6 dst_sel:DWORD dst_unused:UNUSED_PAD src0_sel:WORD_1 src1_sel:DWORD
	v_cmp_eq_u32_e32 vcc, 1, v3
	v_add_u16_e32 v9, v4, v2
	v_add_u16_e32 v2, v4, v2
	v_cndmask_b32_e64 v3, v6, 1, vcc
	v_lshlrev_b32_e32 v6, 16, v3
	v_or_b32_e32 v4, v6, v2
	v_mov_b32_e32 v6, v3
	v_mov_b32_e32 v2, v9
.LBB571_141:
	s_or_b64 exec, exec, s[48:49]
	v_mov_b32_dpp v8, v4 row_shr:8 row_mask:0xf bank_mask:0xf
	v_cmp_lt_u32_e32 vcc, 7, v7
	s_and_saveexec_b64 s[48:49], vcc
	s_cbranch_execz .LBB571_143
; %bb.142:
	v_cmp_eq_u16_e32 vcc, 0, v6
	v_and_b32_e32 v3, 1, v6
	v_mov_b32_e32 v6, 1
	v_cndmask_b32_e32 v4, 0, v8, vcc
	v_and_b32_sdwa v6, v8, v6 dst_sel:DWORD dst_unused:UNUSED_PAD src0_sel:WORD_1 src1_sel:DWORD
	v_cmp_eq_u32_e32 vcc, 1, v3
	v_add_u16_e32 v7, v4, v2
	v_add_u16_e32 v2, v4, v2
	v_cndmask_b32_e64 v3, v6, 1, vcc
	v_lshlrev_b32_e32 v6, 16, v3
	v_or_b32_e32 v4, v6, v2
	v_mov_b32_e32 v6, v3
	v_mov_b32_e32 v2, v7
.LBB571_143:
	s_or_b64 exec, exec, s[48:49]
	v_and_b32_e32 v8, 16, v5
	v_mov_b32_dpp v7, v4 row_bcast:15 row_mask:0xf bank_mask:0xf
	v_cmp_ne_u32_e32 vcc, 0, v8
	s_and_saveexec_b64 s[48:49], vcc
	s_cbranch_execz .LBB571_145
; %bb.144:
	v_cmp_eq_u16_e32 vcc, 0, v6
	v_and_b32_e32 v3, 1, v6
	v_mov_b32_e32 v6, 1
	v_cndmask_b32_e32 v4, 0, v7, vcc
	v_and_b32_sdwa v6, v7, v6 dst_sel:DWORD dst_unused:UNUSED_PAD src0_sel:WORD_1 src1_sel:DWORD
	v_cmp_eq_u32_e32 vcc, 1, v3
	v_add_u16_e32 v8, v4, v2
	v_add_u16_e32 v2, v4, v2
	v_cndmask_b32_e64 v3, v6, 1, vcc
	v_lshlrev_b32_e32 v6, 16, v3
	v_or_b32_e32 v4, v6, v2
	v_mov_b32_e32 v6, v3
	v_mov_b32_e32 v2, v8
.LBB571_145:
	s_or_b64 exec, exec, s[48:49]
	v_mov_b32_dpp v4, v4 row_bcast:31 row_mask:0xf bank_mask:0xf
	v_cmp_lt_u32_e32 vcc, 31, v5
	s_and_saveexec_b64 s[48:49], vcc
; %bb.146:
	v_cmp_eq_u16_e32 vcc, 0, v6
	s_nop 1
	v_cndmask_b32_e32 v3, 0, v4, vcc
	v_add_u16_e32 v2, v3, v2
	v_and_b32_e32 v3, 1, v6
	v_mov_b32_e32 v6, 1
	v_and_b32_sdwa v4, v4, v6 dst_sel:DWORD dst_unused:UNUSED_PAD src0_sel:WORD_1 src1_sel:DWORD
	v_cmp_eq_u32_e32 vcc, 1, v3
	s_nop 1
	v_cndmask_b32_e64 v3, v4, 1, vcc
; %bb.147:
	s_or_b64 exec, exec, s[48:49]
	v_or_b32_e32 v6, 63, v0
	v_lshrrev_b32_e32 v4, 6, v0
	v_cmp_eq_u32_e32 vcc, v6, v0
	s_and_saveexec_b64 s[48:49], vcc
	s_cbranch_execz .LBB571_149
; %bb.148:
	v_lshlrev_b32_e32 v6, 2, v4
	ds_write_b16 v6, v2
	ds_write_b8 v6, v3 offset:2
.LBB571_149:
	s_or_b64 exec, exec, s[48:49]
	v_cmp_gt_u32_e32 vcc, 4, v0
	s_waitcnt lgkmcnt(0)
	s_barrier
	s_and_saveexec_b64 s[48:49], vcc
	s_cbranch_execz .LBB571_155
; %bb.150:
	v_lshlrev_b32_e32 v6, 2, v0
	ds_read_b32 v7, v6
	v_and_b32_e32 v10, 3, v5
	v_cmp_ne_u32_e32 vcc, 0, v10
	s_waitcnt lgkmcnt(0)
	v_lshrrev_b32_e32 v9, 16, v7
	v_mov_b32_dpp v11, v7 row_shr:1 row_mask:0xf bank_mask:0xf
	v_mov_b32_e32 v8, v7
	s_and_saveexec_b64 s[52:53], vcc
	s_cbranch_execz .LBB571_152
; %bb.151:
	v_mov_b32_e32 v8, 0
	v_cmp_eq_u16_sdwa vcc, v9, v8 src0_sel:BYTE_0 src1_sel:DWORD
	v_and_b32_e32 v9, 0x10000, v7
	v_mov_b32_e32 v17, 1
	v_cndmask_b32_e32 v16, 0, v11, vcc
	v_and_b32_sdwa v11, v11, v17 dst_sel:DWORD dst_unused:UNUSED_PAD src0_sel:WORD_1 src1_sel:DWORD
	v_cmp_ne_u32_e32 vcc, 0, v9
	v_and_b32_e32 v15, 0xff000000, v7
	v_add_u16_e32 v8, v16, v7
	v_cndmask_b32_e64 v9, v11, 1, vcc
	v_lshlrev_b32_e32 v11, 16, v9
	v_add_u16_e32 v7, v16, v7
	v_or3_b32 v7, v11, v15, v7
.LBB571_152:
	s_or_b64 exec, exec, s[52:53]
	s_nop 0
	v_mov_b32_dpp v11, v7 row_shr:2 row_mask:0xf bank_mask:0xf
	v_cmp_lt_u32_e32 vcc, 1, v10
	s_and_saveexec_b64 s[52:53], vcc
; %bb.153:
	v_and_b32_e32 v9, 0xff0000, v7
	v_cmp_eq_u32_e32 vcc, 0, v9
	v_and_b32_e32 v7, 0x10000, v7
	s_nop 0
	v_cndmask_b32_e32 v9, 0, v11, vcc
	v_add_u16_e32 v8, v9, v8
	v_mov_b32_e32 v9, 1
	v_and_b32_sdwa v9, v11, v9 dst_sel:DWORD dst_unused:UNUSED_PAD src0_sel:WORD_1 src1_sel:DWORD
	v_cmp_eq_u32_e32 vcc, 0, v7
	s_nop 1
	v_cndmask_b32_e32 v9, 1, v9, vcc
; %bb.154:
	s_or_b64 exec, exec, s[52:53]
	ds_write_b16 v6, v8
	ds_write_b8 v6, v9 offset:2
.LBB571_155:
	s_or_b64 exec, exec, s[48:49]
	v_cmp_gt_u32_e32 vcc, 64, v0
	v_cmp_lt_u32_e64 s[48:49], 63, v0
	v_mov_b32_e32 v15, 0
	v_mov_b32_e32 v16, 0
	s_waitcnt lgkmcnt(0)
	s_barrier
	s_and_saveexec_b64 s[52:53], s[48:49]
	s_cbranch_execz .LBB571_157
; %bb.156:
	v_lshl_add_u32 v4, v4, 2, -4
	ds_read_u16 v15, v4
	ds_read_u8 v16, v4 offset:2
	v_and_b32_e32 v6, 1, v3
	v_cmp_eq_u16_e64 s[48:49], 0, v3
	s_waitcnt lgkmcnt(1)
	s_nop 0
	v_cndmask_b32_e64 v3, 0, v15, s[48:49]
	v_cmp_eq_u32_e64 s[48:49], 1, v6
	v_add_u16_e32 v2, v3, v2
	s_waitcnt lgkmcnt(0)
	v_cndmask_b32_e64 v3, v16, 1, s[48:49]
.LBB571_157:
	s_or_b64 exec, exec, s[52:53]
	v_and_b32_e32 v3, 0xff, v3
	v_and_b32_e32 v2, 0xffff, v2
	v_lshl_or_b32 v2, v3, 16, v2
	v_add_u32_e32 v3, -1, v5
	v_and_b32_e32 v4, 64, v5
	v_cmp_lt_i32_e64 s[48:49], v3, v4
	s_nop 1
	v_cndmask_b32_e64 v3, v3, v5, s[48:49]
	v_lshlrev_b32_e32 v3, 2, v3
	ds_bpermute_b32 v17, v3, v2
	v_cmp_eq_u32_e64 s[48:49], 0, v5
	s_and_saveexec_b64 s[52:53], vcc
	s_cbranch_execz .LBB571_200
; %bb.158:
	v_mov_b32_e32 v9, 0
	ds_read_b32 v2, v9 offset:12
	s_and_saveexec_b64 s[60:61], s[48:49]
	s_cbranch_execz .LBB571_160
; %bb.159:
	s_add_i32 s70, s2, 64
	s_mov_b32 s71, 0
	s_lshl_b64 s[70:71], s[70:71], 3
	s_add_u32 s70, s56, s70
	v_mov_b32_e32 v3, 1
	s_addc_u32 s71, s57, s71
	s_waitcnt lgkmcnt(0)
	global_store_dwordx2 v9, v[2:3], s[70:71] sc1
.LBB571_160:
	s_or_b64 exec, exec, s[60:61]
	v_xad_u32 v4, v5, -1, s2
	v_add_u32_e32 v8, 64, v4
	v_lshl_add_u64 v[10:11], v[8:9], 3, s[56:57]
	global_load_dwordx2 v[6:7], v[10:11], off sc1
	s_waitcnt vmcnt(0)
	v_cmp_eq_u16_sdwa s[70:71], v7, v9 src0_sel:BYTE_0 src1_sel:DWORD
	s_and_saveexec_b64 s[60:61], s[70:71]
	s_cbranch_execz .LBB571_164
; %bb.161:
	s_mov_b64 s[70:71], 0
	v_mov_b32_e32 v3, 0
.LBB571_162:                            ; =>This Inner Loop Header: Depth=1
	global_load_dwordx2 v[6:7], v[10:11], off sc1
	s_waitcnt vmcnt(0)
	v_cmp_ne_u16_sdwa s[72:73], v7, v3 src0_sel:BYTE_0 src1_sel:DWORD
	s_or_b64 s[70:71], s[72:73], s[70:71]
	s_andn2_b64 exec, exec, s[70:71]
	s_cbranch_execnz .LBB571_162
; %bb.163:
	s_or_b64 exec, exec, s[70:71]
.LBB571_164:
	s_or_b64 exec, exec, s[60:61]
	v_mov_b32_e32 v3, 2
	v_cmp_eq_u16_sdwa s[60:61], v7, v3 src0_sel:BYTE_0 src1_sel:DWORD
	v_lshlrev_b64 v[8:9], v5, -1
	v_and_b32_e32 v52, 0xffffff, v6
	v_and_b32_e32 v3, s61, v9
	v_or_b32_e32 v3, 0x80000000, v3
	v_ffbl_b32_e32 v3, v3
	v_add_u32_e32 v11, 32, v3
	v_and_b32_e32 v3, 63, v5
	v_cmp_ne_u32_e32 vcc, 63, v3
	v_and_b32_e32 v10, s60, v8
	v_ffbl_b32_e32 v10, v10
	v_addc_co_u32_e32 v41, vcc, 0, v5, vcc
	v_lshlrev_b32_e32 v41, 2, v41
	ds_bpermute_b32 v42, v41, v52
	v_min_u32_e32 v11, v10, v11
	v_lshrrev_b32_e32 v10, 16, v6
	v_cmp_lt_u32_e32 vcc, v3, v11
	v_bfe_u32 v50, v6, 16, 8
	s_and_saveexec_b64 s[60:61], vcc
	s_cbranch_execz .LBB571_166
; %bb.165:
	v_and_b32_e32 v10, 0xff0000, v6
	v_cmp_eq_u32_e32 vcc, 0, v10
	v_and_b32_e32 v10, 0x10000, v10
	v_mov_b32_e32 v45, 1
	s_waitcnt lgkmcnt(0)
	v_cndmask_b32_e32 v43, 0, v42, vcc
	v_and_b32_sdwa v42, v42, v45 dst_sel:DWORD dst_unused:UNUSED_PAD src0_sel:WORD_1 src1_sel:DWORD
	v_cmp_ne_u32_e32 vcc, 0, v10
	v_add_u16_e32 v44, v43, v6
	v_add_u16_e32 v6, v43, v6
	v_cndmask_b32_e64 v10, v42, 1, vcc
	v_lshlrev_b32_e32 v42, 16, v10
	v_or_b32_e32 v52, v42, v6
	v_mov_b32_e32 v6, v44
	v_mov_b32_e32 v50, v10
.LBB571_166:
	s_or_b64 exec, exec, s[60:61]
	v_cmp_gt_u32_e32 vcc, 62, v3
	v_add_u32_e32 v43, 2, v3
	s_waitcnt lgkmcnt(0)
	v_cndmask_b32_e64 v42, 0, 1, vcc
	v_lshlrev_b32_e32 v42, 1, v42
	v_add_lshl_u32 v42, v42, v5, 2
	ds_bpermute_b32 v44, v42, v52
	v_cmp_le_u32_e32 vcc, v43, v11
	s_and_saveexec_b64 s[60:61], vcc
	s_cbranch_execz .LBB571_168
; %bb.167:
	v_cmp_eq_u16_e32 vcc, 0, v50
	v_and_b32_e32 v10, 1, v50
	v_mov_b32_e32 v47, 1
	s_waitcnt lgkmcnt(0)
	v_cndmask_b32_e32 v45, 0, v44, vcc
	v_and_b32_sdwa v44, v44, v47 dst_sel:DWORD dst_unused:UNUSED_PAD src0_sel:WORD_1 src1_sel:DWORD
	v_cmp_eq_u32_e32 vcc, 1, v10
	v_add_u16_e32 v46, v45, v6
	v_add_u16_e32 v6, v45, v6
	v_cndmask_b32_e64 v10, v44, 1, vcc
	v_lshlrev_b32_e32 v44, 16, v10
	v_or_b32_e32 v52, v44, v6
	v_mov_b32_e32 v6, v46
	v_mov_b32_e32 v50, v10
.LBB571_168:
	s_or_b64 exec, exec, s[60:61]
	v_cmp_gt_u32_e32 vcc, 60, v3
	v_add_u32_e32 v45, 4, v3
	s_waitcnt lgkmcnt(0)
	v_cndmask_b32_e64 v44, 0, 1, vcc
	v_lshlrev_b32_e32 v44, 2, v44
	v_add_lshl_u32 v44, v44, v5, 2
	ds_bpermute_b32 v46, v44, v52
	v_cmp_le_u32_e32 vcc, v45, v11
	s_and_saveexec_b64 s[60:61], vcc
	s_cbranch_execz .LBB571_170
; %bb.169:
	v_cmp_eq_u16_e32 vcc, 0, v50
	v_and_b32_e32 v10, 1, v50
	v_mov_b32_e32 v49, 1
	s_waitcnt lgkmcnt(0)
	v_cndmask_b32_e32 v47, 0, v46, vcc
	v_and_b32_sdwa v46, v46, v49 dst_sel:DWORD dst_unused:UNUSED_PAD src0_sel:WORD_1 src1_sel:DWORD
	v_cmp_eq_u32_e32 vcc, 1, v10
	v_add_u16_e32 v48, v47, v6
	v_add_u16_e32 v6, v47, v6
	v_cndmask_b32_e64 v10, v46, 1, vcc
	v_lshlrev_b32_e32 v46, 16, v10
	v_or_b32_e32 v52, v46, v6
	v_mov_b32_e32 v6, v48
	v_mov_b32_e32 v50, v10
.LBB571_170:
	;; [unrolled: 27-line block ×4, first 2 shown]
	s_or_b64 exec, exec, s[60:61]
	v_cmp_gt_u32_e32 vcc, 32, v3
	v_add_u32_e32 v53, 32, v3
	s_waitcnt lgkmcnt(0)
	v_cndmask_b32_e64 v51, 0, 1, vcc
	v_lshlrev_b32_e32 v51, 5, v51
	v_add_lshl_u32 v51, v51, v5, 2
	ds_bpermute_b32 v5, v51, v52
	v_cmp_le_u32_e32 vcc, v53, v11
	s_and_saveexec_b64 s[60:61], vcc
	s_cbranch_execz .LBB571_176
; %bb.175:
	v_cmp_eq_u16_e32 vcc, 0, v50
	v_mov_b32_e32 v11, 1
	s_waitcnt lgkmcnt(0)
	v_cndmask_b32_e32 v10, 0, v5, vcc
	v_add_u16_e32 v6, v10, v6
	v_and_b32_e32 v10, 1, v50
	v_and_b32_sdwa v5, v5, v11 dst_sel:DWORD dst_unused:UNUSED_PAD src0_sel:WORD_1 src1_sel:DWORD
	v_cmp_eq_u32_e32 vcc, 1, v10
	s_nop 1
	v_cndmask_b32_e64 v10, v5, 1, vcc
.LBB571_176:
	s_or_b64 exec, exec, s[60:61]
	s_waitcnt lgkmcnt(0)
	v_mov_b32_e32 v5, 0
	v_mov_b32_e32 v54, 2
	;; [unrolled: 1-line block ×3, first 2 shown]
	s_branch .LBB571_178
.LBB571_177:                            ;   in Loop: Header=BB571_178 Depth=1
	s_or_b64 exec, exec, s[60:61]
	v_cmp_eq_u16_sdwa vcc, v50, v5 src0_sel:BYTE_0 src1_sel:DWORD
	v_and_b32_e32 v10, 1, v50
	v_and_b32_e32 v11, 1, v11
	v_cndmask_b32_e32 v6, 0, v6, vcc
	v_cmp_eq_u32_e32 vcc, 1, v10
	v_subrev_u32_e32 v4, 64, v4
	v_add_u16_e32 v6, v6, v52
	v_cndmask_b32_e64 v10, v11, 1, vcc
.LBB571_178:                            ; =>This Loop Header: Depth=1
                                        ;     Child Loop BB571_181 Depth 2
	v_cmp_ne_u16_sdwa s[60:61], v7, v54 src0_sel:BYTE_0 src1_sel:DWORD
	v_mov_b32_e32 v50, v10
	v_mov_b32_e32 v52, v6
	v_cndmask_b32_e64 v7, 0, 1, s[60:61]
	;;#ASMSTART
	;;#ASMEND
	s_nop 0
	v_cmp_ne_u32_e32 vcc, 0, v7
	s_cmp_lg_u64 vcc, exec
	s_cbranch_scc1 .LBB571_195
; %bb.179:                              ;   in Loop: Header=BB571_178 Depth=1
	v_lshl_add_u64 v[10:11], v[4:5], 3, s[56:57]
	global_load_dwordx2 v[6:7], v[10:11], off sc1
	s_waitcnt vmcnt(0)
	v_cmp_eq_u16_sdwa s[70:71], v7, v5 src0_sel:BYTE_0 src1_sel:DWORD
	s_and_saveexec_b64 s[60:61], s[70:71]
	s_cbranch_execz .LBB571_183
; %bb.180:                              ;   in Loop: Header=BB571_178 Depth=1
	s_mov_b64 s[70:71], 0
.LBB571_181:                            ;   Parent Loop BB571_178 Depth=1
                                        ; =>  This Inner Loop Header: Depth=2
	global_load_dwordx2 v[6:7], v[10:11], off sc1
	s_waitcnt vmcnt(0)
	v_cmp_ne_u16_sdwa s[72:73], v7, v5 src0_sel:BYTE_0 src1_sel:DWORD
	s_or_b64 s[70:71], s[72:73], s[70:71]
	s_andn2_b64 exec, exec, s[70:71]
	s_cbranch_execnz .LBB571_181
; %bb.182:                              ;   in Loop: Header=BB571_178 Depth=1
	s_or_b64 exec, exec, s[70:71]
.LBB571_183:                            ;   in Loop: Header=BB571_178 Depth=1
	s_or_b64 exec, exec, s[60:61]
	v_cmp_eq_u16_sdwa s[60:61], v7, v54 src0_sel:BYTE_0 src1_sel:DWORD
	s_waitcnt lgkmcnt(0)
	v_and_b32_e32 v57, 0xffffff, v6
	ds_bpermute_b32 v58, v41, v57
	v_and_b32_e32 v10, s61, v9
	v_or_b32_e32 v10, 0x80000000, v10
	v_and_b32_e32 v11, s60, v8
	v_ffbl_b32_e32 v10, v10
	v_add_u32_e32 v10, 32, v10
	v_ffbl_b32_e32 v11, v11
	v_min_u32_e32 v10, v11, v10
	v_lshrrev_b32_e32 v11, 16, v6
	v_cmp_lt_u32_e32 vcc, v3, v10
	v_bfe_u32 v56, v6, 16, 8
	s_and_saveexec_b64 s[60:61], vcc
	s_cbranch_execz .LBB571_185
; %bb.184:                              ;   in Loop: Header=BB571_178 Depth=1
	v_and_b32_e32 v11, 0xff0000, v6
	v_cmp_eq_u32_e32 vcc, 0, v11
	v_and_b32_e32 v11, 0x10000, v11
	s_waitcnt lgkmcnt(0)
	v_and_b32_sdwa v57, v58, v55 dst_sel:DWORD dst_unused:UNUSED_PAD src0_sel:WORD_1 src1_sel:DWORD
	v_cndmask_b32_e32 v56, 0, v58, vcc
	v_cmp_ne_u32_e32 vcc, 0, v11
	v_add_u16_e32 v59, v56, v6
	v_add_u16_e32 v6, v56, v6
	v_cndmask_b32_e64 v11, v57, 1, vcc
	v_lshlrev_b32_e32 v57, 16, v11
	v_or_b32_e32 v57, v57, v6
	v_mov_b32_e32 v6, v59
	v_mov_b32_e32 v56, v11
.LBB571_185:                            ;   in Loop: Header=BB571_178 Depth=1
	s_or_b64 exec, exec, s[60:61]
	s_waitcnt lgkmcnt(0)
	ds_bpermute_b32 v58, v42, v57
	v_cmp_le_u32_e32 vcc, v43, v10
	s_and_saveexec_b64 s[60:61], vcc
	s_cbranch_execz .LBB571_187
; %bb.186:                              ;   in Loop: Header=BB571_178 Depth=1
	v_cmp_eq_u16_e32 vcc, 0, v56
	v_and_b32_e32 v11, 1, v56
	s_waitcnt lgkmcnt(0)
	v_and_b32_sdwa v56, v58, v55 dst_sel:DWORD dst_unused:UNUSED_PAD src0_sel:WORD_1 src1_sel:DWORD
	v_cndmask_b32_e32 v57, 0, v58, vcc
	v_cmp_eq_u32_e32 vcc, 1, v11
	v_add_u16_e32 v59, v57, v6
	v_add_u16_e32 v6, v57, v6
	v_cndmask_b32_e64 v11, v56, 1, vcc
	v_lshlrev_b32_e32 v56, 16, v11
	v_or_b32_e32 v57, v56, v6
	v_mov_b32_e32 v6, v59
	v_mov_b32_e32 v56, v11
.LBB571_187:                            ;   in Loop: Header=BB571_178 Depth=1
	s_or_b64 exec, exec, s[60:61]
	s_waitcnt lgkmcnt(0)
	ds_bpermute_b32 v58, v44, v57
	v_cmp_le_u32_e32 vcc, v45, v10
	s_and_saveexec_b64 s[60:61], vcc
	s_cbranch_execz .LBB571_189
; %bb.188:                              ;   in Loop: Header=BB571_178 Depth=1
	v_cmp_eq_u16_e32 vcc, 0, v56
	v_and_b32_e32 v11, 1, v56
	s_waitcnt lgkmcnt(0)
	v_and_b32_sdwa v56, v58, v55 dst_sel:DWORD dst_unused:UNUSED_PAD src0_sel:WORD_1 src1_sel:DWORD
	v_cndmask_b32_e32 v57, 0, v58, vcc
	v_cmp_eq_u32_e32 vcc, 1, v11
	v_add_u16_e32 v59, v57, v6
	v_add_u16_e32 v6, v57, v6
	v_cndmask_b32_e64 v11, v56, 1, vcc
	v_lshlrev_b32_e32 v56, 16, v11
	v_or_b32_e32 v57, v56, v6
	v_mov_b32_e32 v6, v59
	v_mov_b32_e32 v56, v11
.LBB571_189:                            ;   in Loop: Header=BB571_178 Depth=1
	;; [unrolled: 21-line block ×4, first 2 shown]
	s_or_b64 exec, exec, s[60:61]
	ds_bpermute_b32 v57, v51, v57
	v_cmp_le_u32_e32 vcc, v53, v10
	s_and_saveexec_b64 s[60:61], vcc
	s_cbranch_execz .LBB571_177
; %bb.194:                              ;   in Loop: Header=BB571_178 Depth=1
	v_cmp_eq_u16_e32 vcc, 0, v56
	s_waitcnt lgkmcnt(0)
	v_lshrrev_b32_e32 v11, 16, v57
	v_cndmask_b32_e32 v10, 0, v57, vcc
	v_add_u16_e32 v6, v10, v6
	v_and_b32_e32 v10, 1, v56
	v_cmp_eq_u32_e32 vcc, 1, v10
	s_nop 1
	v_cndmask_b32_e64 v11, v11, 1, vcc
	s_branch .LBB571_177
.LBB571_195:                            ;   in Loop: Header=BB571_178 Depth=1
                                        ; implicit-def: $vgpr10
                                        ; implicit-def: $vgpr6
	s_cbranch_execz .LBB571_178
; %bb.196:
	s_and_saveexec_b64 s[60:61], s[48:49]
	s_cbranch_execz .LBB571_198
; %bb.197:
	v_and_b32_e32 v3, 0xff0000, v2
	s_mov_b32 s3, 0
	v_cmp_eq_u32_e32 vcc, 0, v3
	v_and_b32_e32 v4, 0x10000, v2
	v_mov_b32_e32 v5, 1
	s_add_i32 s2, s2, 64
	v_cndmask_b32_e32 v3, 0, v52, vcc
	v_and_b32_sdwa v5, v50, v5 dst_sel:WORD_1 dst_unused:UNUSED_PAD src0_sel:DWORD src1_sel:DWORD
	v_mov_b32_e32 v6, 0x10000
	v_cmp_eq_u32_e32 vcc, 0, v4
	s_lshl_b64 s[2:3], s[2:3], 3
	s_add_u32 s2, s56, s2
	v_cndmask_b32_e32 v4, v6, v5, vcc
	v_add_u16_e32 v2, v3, v2
	s_addc_u32 s3, s57, s3
	v_mov_b32_e32 v5, 0
	v_or_b32_e32 v2, v4, v2
	v_mov_b32_e32 v3, 2
	global_store_dwordx2 v5, v[2:3], s[2:3] sc1
.LBB571_198:
	s_or_b64 exec, exec, s[60:61]
	v_cmp_eq_u32_e32 vcc, 0, v0
	s_and_b64 exec, exec, vcc
	s_cbranch_execz .LBB571_200
; %bb.199:
	v_mov_b32_e32 v2, 0
	ds_write_b16 v2, v52 offset:12
	ds_write_b8 v2, v50 offset:14
.LBB571_200:
	s_or_b64 exec, exec, s[52:53]
	v_mov_b32_e32 v2, 0
	s_waitcnt lgkmcnt(0)
	s_barrier
	ds_read_b32 v3, v2 offset:12
	v_lshrrev_b32_e32 v4, 16, v17
	v_cndmask_b32_e64 v4, v4, v16, s[48:49]
	v_cmp_eq_u16_sdwa vcc, v4, v2 src0_sel:BYTE_0 src1_sel:DWORD
	v_cndmask_b32_e64 v5, v17, v15, s[48:49]
	s_waitcnt lgkmcnt(0)
	v_cndmask_b32_e32 v2, 0, v3, vcc
	v_add_u16_e32 v2, v2, v5
	v_cmp_eq_u32_e32 vcc, 0, v0
	s_nop 1
	v_cndmask_b32_e32 v6, v2, v3, vcc
	v_and_b32_e32 v2, 0xff0000, v1
	v_cmp_eq_u32_e32 vcc, 0, v2
	s_nop 1
	v_cndmask_b32_e32 v2, 0, v6, vcc
	v_add_u16_e32 v4, v2, v1
	v_cndmask_b32_e64 v2, 0, v4, s[50:51]
	v_add_u16_e32 v5, v2, v18
	v_cndmask_b32_e64 v2, 0, v5, s[4:5]
	v_add_u16_e32 v7, v2, v25
	v_cndmask_b32_e64 v2, 0, v7, s[6:7]
	v_add_u16_e32 v8, v2, v19
	v_cndmask_b32_e64 v2, 0, v8, s[8:9]
	v_add_u16_e32 v9, v2, v27
	v_cndmask_b32_e64 v2, 0, v9, s[10:11]
	v_add_u16_e32 v11, v2, v20
	v_cndmask_b32_e64 v2, 0, v11, s[12:13]
	v_add_u16_e32 v16, v2, v28
	v_cndmask_b32_e64 v2, 0, v16, s[14:15]
	v_add_u16_e32 v10, v2, v21
	v_cndmask_b32_e64 v2, 0, v10, s[16:17]
	v_add_u16_e32 v15, v2, v29
	v_cndmask_b32_e64 v2, 0, v15, s[18:19]
	v_add_u16_e32 v17, v2, v30
	v_cndmask_b32_e64 v2, 0, v17, s[20:21]
	v_add_u16_e32 v41, v2, v31
	v_cndmask_b32_e64 v2, 0, v41, s[22:23]
	v_add_u16_e32 v42, v2, v32
	v_cndmask_b32_e64 v2, 0, v42, s[24:25]
	v_add_u16_e32 v43, v2, v33
	v_cndmask_b32_e64 v2, 0, v43, s[26:27]
	v_add_u16_e32 v45, v2, v34
	v_cndmask_b32_e64 v2, 0, v45, s[28:29]
	v_add_u16_e32 v47, v2, v35
	v_cndmask_b32_e64 v2, 0, v47, s[30:31]
	v_add_u16_e32 v44, v2, v36
	v_cndmask_b32_e64 v2, 0, v44, s[34:35]
	v_add_u16_e32 v46, v2, v37
	v_cndmask_b32_e64 v2, 0, v46, s[36:37]
	v_add_u16_e32 v48, v2, v22
	v_cndmask_b32_e64 v2, 0, v48, s[38:39]
	v_add_u16_e32 v49, v2, v38
	v_cndmask_b32_e64 v2, 0, v49, s[40:41]
	v_add_u16_e32 v50, v2, v23
	v_cndmask_b32_e64 v2, 0, v50, s[42:43]
	v_add_u16_e32 v51, v2, v39
	v_cndmask_b32_e64 v2, 0, v51, s[44:45]
	v_add_u16_e32 v52, v2, v24
	v_cndmask_b32_e64 v2, 0, v52, s[46:47]
	v_add_u16_e32 v53, v2, v40
	s_branch .LBB571_251
.LBB571_201:
	s_or_b64 exec, exec, s[52:53]
                                        ; implicit-def: $vgpr50
	s_and_saveexec_b64 s[52:53], s[50:51]
	s_cbranch_execz .LBB571_53
.LBB571_202:
	v_mov_b32_e32 v37, 0
	v_lshl_add_u64 v[50:51], s[70:71], 0, v[36:37]
	flat_load_ushort v50, v[50:51] offset:512
	s_or_b64 exec, exec, s[52:53]
                                        ; implicit-def: $vgpr51
	s_and_saveexec_b64 s[50:51], s[4:5]
	s_cbranch_execnz .LBB571_54
.LBB571_203:
	s_or_b64 exec, exec, s[50:51]
                                        ; implicit-def: $vgpr52
	s_and_saveexec_b64 s[4:5], s[6:7]
	s_cbranch_execz .LBB571_55
.LBB571_204:
	v_mov_b32_e32 v37, 0
	v_lshl_add_u64 v[52:53], s[70:71], 0, v[36:37]
	flat_load_ushort v52, v[52:53] offset:1536
	s_or_b64 exec, exec, s[4:5]
                                        ; implicit-def: $vgpr53
	s_and_saveexec_b64 s[4:5], s[8:9]
	s_cbranch_execnz .LBB571_56
.LBB571_205:
	s_or_b64 exec, exec, s[4:5]
                                        ; implicit-def: $vgpr54
	s_and_saveexec_b64 s[4:5], s[10:11]
	s_cbranch_execz .LBB571_57
.LBB571_206:
	v_mov_b32_e32 v37, 0
	v_lshl_add_u64 v[54:55], s[70:71], 0, v[36:37]
	flat_load_ushort v54, v[54:55] offset:2560
	s_or_b64 exec, exec, s[4:5]
                                        ; implicit-def: $vgpr55
	s_and_saveexec_b64 s[4:5], s[12:13]
	s_cbranch_execnz .LBB571_58
.LBB571_207:
	s_or_b64 exec, exec, s[4:5]
                                        ; implicit-def: $vgpr37
	s_and_saveexec_b64 s[4:5], s[14:15]
	s_cbranch_execz .LBB571_59
.LBB571_208:
	v_mov_b32_e32 v37, 0
	v_lshl_add_u64 v[56:57], s[70:71], 0, v[36:37]
	flat_load_ushort v37, v[56:57] offset:3584
	s_or_b64 exec, exec, s[4:5]
                                        ; implicit-def: $vgpr15
	s_and_saveexec_b64 s[4:5], s[16:17]
	s_cbranch_execnz .LBB571_60
.LBB571_209:
	s_or_b64 exec, exec, s[4:5]
                                        ; implicit-def: $vgpr14
	s_and_saveexec_b64 s[4:5], s[18:19]
	s_cbranch_execz .LBB571_61
.LBB571_210:
	v_mov_b32_e32 v17, 0
	v_lshl_add_u64 v[16:17], s[70:71], 0, v[16:17]
	flat_load_ushort v14, v[16:17]
	s_or_b64 exec, exec, s[4:5]
                                        ; implicit-def: $vgpr16
	s_and_saveexec_b64 s[4:5], s[20:21]
	s_cbranch_execnz .LBB571_62
.LBB571_211:
	s_or_b64 exec, exec, s[4:5]
                                        ; implicit-def: $vgpr17
	s_and_saveexec_b64 s[4:5], s[22:23]
	s_cbranch_execz .LBB571_63
.LBB571_212:
	v_mov_b32_e32 v21, 0
	v_lshl_add_u64 v[18:19], s[70:71], 0, v[20:21]
	flat_load_ushort v17, v[18:19]
	s_or_b64 exec, exec, s[4:5]
                                        ; implicit-def: $vgpr18
	s_and_saveexec_b64 s[4:5], s[24:25]
	s_cbranch_execnz .LBB571_64
.LBB571_213:
	s_or_b64 exec, exec, s[4:5]
                                        ; implicit-def: $vgpr19
	s_and_saveexec_b64 s[4:5], s[26:27]
	s_cbranch_execz .LBB571_65
.LBB571_214:
	v_mov_b32_e32 v25, 0
	v_lshl_add_u64 v[20:21], s[70:71], 0, v[24:25]
	flat_load_ushort v19, v[20:21]
	s_or_b64 exec, exec, s[4:5]
                                        ; implicit-def: $vgpr20
	s_and_saveexec_b64 s[4:5], s[28:29]
	s_cbranch_execnz .LBB571_66
.LBB571_215:
	s_or_b64 exec, exec, s[4:5]
                                        ; implicit-def: $vgpr21
	s_and_saveexec_b64 s[4:5], s[30:31]
	s_cbranch_execz .LBB571_67
.LBB571_216:
	v_mov_b32_e32 v29, 0
	v_lshl_add_u64 v[22:23], s[70:71], 0, v[28:29]
	flat_load_ushort v21, v[22:23]
	s_or_b64 exec, exec, s[4:5]
                                        ; implicit-def: $vgpr22
	s_and_saveexec_b64 s[4:5], s[34:35]
	s_cbranch_execnz .LBB571_68
.LBB571_217:
	s_or_b64 exec, exec, s[4:5]
                                        ; implicit-def: $vgpr23
	s_and_saveexec_b64 s[4:5], s[36:37]
	s_cbranch_execz .LBB571_69
.LBB571_218:
	v_mov_b32_e32 v33, 0
	v_lshl_add_u64 v[24:25], s[70:71], 0, v[32:33]
	flat_load_ushort v23, v[24:25]
	s_or_b64 exec, exec, s[4:5]
                                        ; implicit-def: $vgpr24
	s_and_saveexec_b64 s[4:5], s[38:39]
	s_cbranch_execnz .LBB571_70
.LBB571_219:
	s_or_b64 exec, exec, s[4:5]
                                        ; implicit-def: $vgpr25
	s_and_saveexec_b64 s[4:5], s[40:41]
	s_cbranch_execz .LBB571_71
.LBB571_220:
	v_mov_b32_e32 v39, 0
	v_lshl_add_u64 v[26:27], s[70:71], 0, v[38:39]
	flat_load_ushort v25, v[26:27]
	s_or_b64 exec, exec, s[4:5]
                                        ; implicit-def: $vgpr27
	s_and_saveexec_b64 s[4:5], s[42:43]
	s_cbranch_execnz .LBB571_72
.LBB571_221:
	s_or_b64 exec, exec, s[4:5]
                                        ; implicit-def: $vgpr28
	s_and_saveexec_b64 s[4:5], s[44:45]
	s_cbranch_execz .LBB571_73
.LBB571_222:
	v_mov_b32_e32 v43, 0
	v_lshl_add_u64 v[28:29], s[70:71], 0, v[42:43]
	flat_load_ushort v28, v[28:29]
	s_or_b64 exec, exec, s[4:5]
                                        ; implicit-def: $vgpr29
	s_and_saveexec_b64 s[4:5], s[46:47]
	s_cbranch_execz .LBB571_75
	s_branch .LBB571_74
.LBB571_223:
                                        ; implicit-def: $vgpr6
                                        ; implicit-def: $vgpr4
                                        ; implicit-def: $vgpr5
                                        ; implicit-def: $vgpr7
                                        ; implicit-def: $vgpr8
                                        ; implicit-def: $vgpr9
                                        ; implicit-def: $vgpr11
                                        ; implicit-def: $vgpr16
                                        ; implicit-def: $vgpr10
                                        ; implicit-def: $vgpr15
                                        ; implicit-def: $vgpr17
                                        ; implicit-def: $vgpr41
                                        ; implicit-def: $vgpr42
                                        ; implicit-def: $vgpr43
                                        ; implicit-def: $vgpr45
                                        ; implicit-def: $vgpr47
                                        ; implicit-def: $vgpr44
                                        ; implicit-def: $vgpr46
                                        ; implicit-def: $vgpr48
                                        ; implicit-def: $vgpr49
                                        ; implicit-def: $vgpr50
                                        ; implicit-def: $vgpr51
                                        ; implicit-def: $vgpr52
                                        ; implicit-def: $vgpr53
	s_cbranch_execz .LBB571_251
; %bb.224:
	s_cmp_lg_u64 s[68:69], 0
	s_cselect_b32 s3, s63, 0
	s_cselect_b32 s2, s62, 0
	s_cmp_eq_u64 s[2:3], 0
	v_mov_b32_e32 v2, s78
	s_cbranch_scc1 .LBB571_226
; %bb.225:
	v_mov_b32_e32 v2, 0
	global_load_ushort v2, v2, s[2:3]
.LBB571_226:
	s_mov_b32 s46, 0x10000
	v_cmp_gt_u32_e32 vcc, s46, v18
	v_cmp_gt_u32_e64 s[2:3], s46, v25
	v_cmp_gt_u32_e64 s[4:5], s46, v19
	v_cndmask_b32_e32 v3, 0, v1, vcc
	v_add_u16_e32 v3, v3, v18
	v_cndmask_b32_e64 v3, 0, v3, s[2:3]
	v_add_u16_e32 v3, v3, v25
	v_cndmask_b32_e64 v3, 0, v3, s[4:5]
	v_add_u16_e32 v3, v3, v19
	v_cmp_gt_u32_e64 s[6:7], s46, v27
	v_cmp_gt_u32_e64 s[8:9], s46, v20
	v_cmp_gt_u32_e64 s[10:11], s46, v28
	v_cndmask_b32_e64 v3, 0, v3, s[6:7]
	v_add_u16_e32 v3, v3, v27
	v_cndmask_b32_e64 v3, 0, v3, s[8:9]
	v_add_u16_e32 v3, v3, v20
	v_cndmask_b32_e64 v3, 0, v3, s[10:11]
	v_add_u16_e32 v3, v3, v28
	v_cmp_gt_u32_e64 s[12:13], s46, v21
	v_cmp_gt_u32_e64 s[14:15], s46, v29
	v_cmp_gt_u32_e64 s[16:17], s46, v30
	v_cndmask_b32_e64 v3, 0, v3, s[12:13]
	;; [unrolled: 9-line block ×5, first 2 shown]
	v_add_u16_e32 v3, v3, v37
	v_cndmask_b32_e64 v3, 0, v3, s[34:35]
	v_add_u16_e32 v3, v3, v22
	v_cndmask_b32_e64 v3, 0, v3, s[36:37]
	v_or3_b32 v6, v14, v38, v22
	v_add_u16_e32 v3, v3, v38
	v_cmp_gt_u32_e64 s[38:39], s46, v23
	v_or3_b32 v6, v6, v37, v36
	v_or3_b32 v6, v6, v35, v34
	v_cndmask_b32_e64 v3, 0, v3, s[38:39]
	v_add_u16_e32 v3, v3, v23
	v_cmp_gt_u32_e64 s[40:41], s46, v39
	v_or3_b32 v6, v6, v33, v32
	v_or3_b32 v6, v6, v31, v30
	v_cndmask_b32_e64 v3, 0, v3, s[40:41]
	;; [unrolled: 5-line block ×4, first 2 shown]
	v_add_u16_e32 v3, v3, v40
	v_cmp_gt_u32_e64 s[46:47], s46, v12
	v_and_b32_e32 v6, 0x10000, v6
	v_and_b32_e32 v5, 0x10000, v1
	v_cndmask_b32_e64 v3, 0, v3, s[46:47]
	v_mov_b32_e32 v7, 0x10000
	v_cmp_ne_u32_e64 s[46:47], 0, v6
	v_add_u16_e32 v4, v3, v12
	v_add_u16_e32 v6, v3, v12
	v_cndmask_b32_e64 v7, v5, v7, s[46:47]
	v_mbcnt_hi_u32_b32 v3, -1, v13
	v_and_b32_e32 v8, 15, v3
	v_or_b32_e32 v6, v7, v6
	v_lshrrev_b32_e32 v5, 16, v7
	v_cmp_ne_u32_e64 s[46:47], 0, v8
	v_mov_b32_dpp v9, v6 row_shr:1 row_mask:0xf bank_mask:0xf
	s_and_saveexec_b64 s[48:49], s[46:47]
	s_cbranch_execz .LBB571_228
; %bb.227:
	v_cmp_eq_u32_e64 s[46:47], 0, v7
	v_and_b32_e32 v5, 0x10000, v7
	v_mov_b32_e32 v7, 1
	v_cndmask_b32_e64 v6, 0, v9, s[46:47]
	v_and_b32_sdwa v7, v9, v7 dst_sel:DWORD dst_unused:UNUSED_PAD src0_sel:WORD_1 src1_sel:DWORD
	v_cmp_ne_u32_e64 s[46:47], 0, v5
	v_add_u16_e32 v10, v6, v4
	v_add_u16_e32 v4, v6, v4
	v_cndmask_b32_e64 v5, v7, 1, s[46:47]
	v_lshlrev_b32_e32 v7, 16, v5
	v_or_b32_e32 v6, v7, v4
	v_mov_b32_e32 v4, v10
.LBB571_228:
	s_or_b64 exec, exec, s[48:49]
	v_lshrrev_b32_e32 v7, 16, v6
	v_mov_b32_dpp v9, v6 row_shr:2 row_mask:0xf bank_mask:0xf
	v_cmp_lt_u32_e64 s[46:47], 1, v8
	s_and_saveexec_b64 s[48:49], s[46:47]
	s_cbranch_execz .LBB571_230
; %bb.229:
	s_mov_b32 s46, 0x10000
	v_cmp_gt_u32_e64 s[46:47], s46, v6
	v_and_b32_e32 v5, 0x10000, v6
	v_mov_b32_e32 v6, 1
	v_cndmask_b32_e64 v7, 0, v9, s[46:47]
	v_and_b32_sdwa v6, v9, v6 dst_sel:DWORD dst_unused:UNUSED_PAD src0_sel:WORD_1 src1_sel:DWORD
	v_cmp_ne_u32_e64 s[46:47], 0, v5
	v_add_u16_e32 v10, v7, v4
	v_add_u16_e32 v4, v7, v4
	v_cndmask_b32_e64 v5, v6, 1, s[46:47]
	v_lshlrev_b32_e32 v6, 16, v5
	v_or_b32_e32 v6, v6, v4
	v_mov_b32_e32 v7, v5
	v_mov_b32_e32 v4, v10
.LBB571_230:
	s_or_b64 exec, exec, s[48:49]
	v_mov_b32_dpp v9, v6 row_shr:4 row_mask:0xf bank_mask:0xf
	v_cmp_lt_u32_e64 s[46:47], 3, v8
	s_and_saveexec_b64 s[48:49], s[46:47]
	s_cbranch_execz .LBB571_232
; %bb.231:
	v_cmp_eq_u16_e64 s[46:47], 0, v7
	v_and_b32_e32 v5, 1, v7
	v_mov_b32_e32 v7, 1
	v_cndmask_b32_e64 v6, 0, v9, s[46:47]
	v_and_b32_sdwa v7, v9, v7 dst_sel:DWORD dst_unused:UNUSED_PAD src0_sel:WORD_1 src1_sel:DWORD
	v_cmp_eq_u32_e64 s[46:47], 1, v5
	v_add_u16_e32 v10, v6, v4
	v_add_u16_e32 v4, v6, v4
	v_cndmask_b32_e64 v5, v7, 1, s[46:47]
	v_lshlrev_b32_e32 v7, 16, v5
	v_or_b32_e32 v6, v7, v4
	v_mov_b32_e32 v7, v5
	v_mov_b32_e32 v4, v10
.LBB571_232:
	s_or_b64 exec, exec, s[48:49]
	v_mov_b32_dpp v9, v6 row_shr:8 row_mask:0xf bank_mask:0xf
	v_cmp_lt_u32_e64 s[46:47], 7, v8
	s_and_saveexec_b64 s[48:49], s[46:47]
	s_cbranch_execz .LBB571_234
; %bb.233:
	v_cmp_eq_u16_e64 s[46:47], 0, v7
	v_and_b32_e32 v5, 1, v7
	v_mov_b32_e32 v7, 1
	v_cndmask_b32_e64 v6, 0, v9, s[46:47]
	v_and_b32_sdwa v7, v9, v7 dst_sel:DWORD dst_unused:UNUSED_PAD src0_sel:WORD_1 src1_sel:DWORD
	v_cmp_eq_u32_e64 s[46:47], 1, v5
	v_add_u16_e32 v8, v6, v4
	v_add_u16_e32 v4, v6, v4
	v_cndmask_b32_e64 v5, v7, 1, s[46:47]
	v_lshlrev_b32_e32 v7, 16, v5
	v_or_b32_e32 v6, v7, v4
	v_mov_b32_e32 v7, v5
	v_mov_b32_e32 v4, v8
.LBB571_234:
	s_or_b64 exec, exec, s[48:49]
	v_and_b32_e32 v9, 16, v3
	v_mov_b32_dpp v8, v6 row_bcast:15 row_mask:0xf bank_mask:0xf
	v_cmp_ne_u32_e64 s[46:47], 0, v9
	s_and_saveexec_b64 s[48:49], s[46:47]
	s_cbranch_execz .LBB571_236
; %bb.235:
	v_cmp_eq_u16_e64 s[46:47], 0, v7
	v_and_b32_e32 v5, 1, v7
	v_mov_b32_e32 v7, 1
	v_cndmask_b32_e64 v6, 0, v8, s[46:47]
	v_and_b32_sdwa v7, v8, v7 dst_sel:DWORD dst_unused:UNUSED_PAD src0_sel:WORD_1 src1_sel:DWORD
	v_cmp_eq_u32_e64 s[46:47], 1, v5
	v_add_u16_e32 v9, v6, v4
	v_add_u16_e32 v4, v6, v4
	v_cndmask_b32_e64 v5, v7, 1, s[46:47]
	v_lshlrev_b32_e32 v7, 16, v5
	v_or_b32_e32 v6, v7, v4
	v_mov_b32_e32 v7, v5
	v_mov_b32_e32 v4, v9
.LBB571_236:
	s_or_b64 exec, exec, s[48:49]
	v_mov_b32_dpp v6, v6 row_bcast:31 row_mask:0xf bank_mask:0xf
	v_cmp_lt_u32_e64 s[46:47], 31, v3
	s_and_saveexec_b64 s[48:49], s[46:47]
; %bb.237:
	v_cmp_eq_u16_e64 s[46:47], 0, v7
	s_nop 1
	v_cndmask_b32_e64 v5, 0, v6, s[46:47]
	v_add_u16_e32 v4, v5, v4
	v_and_b32_e32 v5, 1, v7
	v_mov_b32_e32 v7, 1
	v_and_b32_sdwa v6, v6, v7 dst_sel:DWORD dst_unused:UNUSED_PAD src0_sel:WORD_1 src1_sel:DWORD
	v_cmp_eq_u32_e64 s[46:47], 1, v5
	s_nop 1
	v_cndmask_b32_e64 v5, v6, 1, s[46:47]
; %bb.238:
	s_or_b64 exec, exec, s[48:49]
	v_or_b32_e32 v7, 63, v0
	v_lshrrev_b32_e32 v6, 6, v0
	v_cmp_eq_u32_e64 s[46:47], v7, v0
	s_and_saveexec_b64 s[48:49], s[46:47]
	s_cbranch_execz .LBB571_240
; %bb.239:
	v_lshlrev_b32_e32 v7, 2, v6
	ds_write_b16 v7, v4
	ds_write_b8 v7, v5 offset:2
.LBB571_240:
	s_or_b64 exec, exec, s[48:49]
	v_cmp_gt_u32_e64 s[46:47], 4, v0
	s_waitcnt lgkmcnt(0)
	s_barrier
	s_and_saveexec_b64 s[48:49], s[46:47]
	s_cbranch_execz .LBB571_246
; %bb.241:
	v_lshlrev_b32_e32 v7, 2, v0
	ds_read_b32 v8, v7
	v_and_b32_e32 v11, 3, v3
	v_cmp_ne_u32_e64 s[46:47], 0, v11
	s_waitcnt lgkmcnt(0)
	v_lshrrev_b32_e32 v10, 16, v8
	v_mov_b32_dpp v12, v8 row_shr:1 row_mask:0xf bank_mask:0xf
	v_mov_b32_e32 v9, v8
	s_and_saveexec_b64 s[50:51], s[46:47]
	s_cbranch_execz .LBB571_243
; %bb.242:
	v_mov_b32_e32 v9, 0
	v_cmp_eq_u16_sdwa s[46:47], v10, v9 src0_sel:BYTE_0 src1_sel:DWORD
	v_and_b32_e32 v10, 0x10000, v8
	v_mov_b32_e32 v15, 1
	v_cndmask_b32_e64 v14, 0, v12, s[46:47]
	v_and_b32_sdwa v12, v12, v15 dst_sel:DWORD dst_unused:UNUSED_PAD src0_sel:WORD_1 src1_sel:DWORD
	v_cmp_ne_u32_e64 s[46:47], 0, v10
	v_and_b32_e32 v13, 0xff000000, v8
	v_add_u16_e32 v9, v14, v8
	v_cndmask_b32_e64 v10, v12, 1, s[46:47]
	v_lshlrev_b32_e32 v12, 16, v10
	v_add_u16_e32 v8, v14, v8
	v_or3_b32 v8, v12, v13, v8
.LBB571_243:
	s_or_b64 exec, exec, s[50:51]
	s_nop 0
	v_mov_b32_dpp v12, v8 row_shr:2 row_mask:0xf bank_mask:0xf
	v_cmp_lt_u32_e64 s[46:47], 1, v11
	s_and_saveexec_b64 s[50:51], s[46:47]
; %bb.244:
	v_and_b32_e32 v10, 0xff0000, v8
	v_cmp_eq_u32_e64 s[46:47], 0, v10
	v_and_b32_e32 v8, 0x10000, v8
	s_nop 0
	v_cndmask_b32_e64 v10, 0, v12, s[46:47]
	v_add_u16_e32 v9, v10, v9
	v_mov_b32_e32 v10, 1
	v_and_b32_sdwa v10, v12, v10 dst_sel:DWORD dst_unused:UNUSED_PAD src0_sel:WORD_1 src1_sel:DWORD
	v_cmp_eq_u32_e64 s[46:47], 0, v8
	s_nop 1
	v_cndmask_b32_e64 v10, 1, v10, s[46:47]
; %bb.245:
	s_or_b64 exec, exec, s[50:51]
	ds_write_b16 v7, v9
	ds_write_b8 v7, v10 offset:2
.LBB571_246:
	s_or_b64 exec, exec, s[48:49]
	v_cmp_lt_u32_e64 s[46:47], 63, v0
	v_mov_b32_e32 v8, 0
	s_waitcnt vmcnt(0)
	v_mov_b32_e32 v7, v2
	s_waitcnt lgkmcnt(0)
	s_barrier
	s_and_saveexec_b64 s[48:49], s[46:47]
	s_cbranch_execz .LBB571_248
; %bb.247:
	v_lshl_add_u32 v6, v6, 2, -4
	ds_read_u8 v8, v6 offset:2
	ds_read_u16 v6, v6
	s_waitcnt lgkmcnt(1)
	v_cmp_eq_u16_e64 s[46:47], 0, v8
	s_nop 1
	v_cndmask_b32_e64 v7, 0, v2, s[46:47]
	s_waitcnt lgkmcnt(0)
	v_add_u16_e32 v7, v7, v6
.LBB571_248:
	s_or_b64 exec, exec, s[48:49]
	v_cmp_eq_u16_e64 s[46:47], 0, v5
	v_and_b32_e32 v5, 1, v5
	v_lshlrev_b32_e32 v8, 16, v8
	v_cndmask_b32_e64 v6, 0, v7, s[46:47]
	v_mov_b32_e32 v9, 0x10000
	v_cmp_eq_u32_e64 s[46:47], 1, v5
	v_add_u16_e32 v4, v6, v4
	v_and_b32_e32 v6, 64, v3
	v_cndmask_b32_e64 v5, v8, v9, s[46:47]
	v_or_b32_e32 v4, v5, v4
	v_add_u32_e32 v5, -1, v3
	v_cmp_lt_i32_e64 s[46:47], v5, v6
	s_nop 1
	v_cndmask_b32_e64 v5, v5, v3, s[46:47]
	v_lshlrev_b32_e32 v5, 2, v5
	ds_bpermute_b32 v4, v5, v4
	v_cmp_eq_u32_e64 s[46:47], 0, v3
	s_waitcnt lgkmcnt(0)
	s_nop 0
	v_cndmask_b32_e64 v6, v4, v7, s[46:47]
	v_cmp_eq_u32_e64 s[46:47], 0, v0
	v_and_b32_e32 v4, 0xff0000, v1
	v_cmp_eq_u32_e64 s[48:49], 0, v4
	v_cndmask_b32_e64 v3, v6, v2, s[46:47]
	s_nop 0
	v_cndmask_b32_e64 v3, 0, v3, s[48:49]
	v_add_u16_e32 v4, v3, v1
	v_cndmask_b32_e32 v1, 0, v4, vcc
	v_add_u16_e32 v5, v1, v18
	v_cndmask_b32_e64 v1, 0, v5, s[2:3]
	v_add_u16_e32 v7, v1, v25
	v_cndmask_b32_e64 v1, 0, v7, s[4:5]
	;; [unrolled: 2-line block ×21, first 2 shown]
	s_and_saveexec_b64 s[2:3], s[46:47]
	s_cbranch_execz .LBB571_250
; %bb.249:
	v_mov_b32_e32 v3, 0
	ds_read_u8 v6, v3 offset:14
	ds_read_u16 v12, v3 offset:12
	v_mov_b32_e32 v13, 2
	s_waitcnt lgkmcnt(1)
	v_cmp_eq_u32_e32 vcc, 0, v6
	v_lshlrev_b32_e32 v14, 16, v6
	s_nop 0
	v_cndmask_b32_e32 v6, 0, v2, vcc
	s_waitcnt lgkmcnt(0)
	v_add_u32_e32 v6, v6, v12
	v_or_b32_sdwa v12, v14, v6 dst_sel:DWORD dst_unused:UNUSED_PAD src0_sel:DWORD src1_sel:WORD_0
	v_mov_b32_e32 v6, v2
	global_store_dwordx2 v3, v[12:13], s[56:57] offset:512 sc1
.LBB571_250:
	s_or_b64 exec, exec, s[2:3]
	v_add_u16_e32 v53, v1, v40
.LBB571_251:
	s_add_u32 s2, s54, s64
	s_addc_u32 s3, s55, s65
	s_add_u32 s2, s2, s66
	v_mul_u32_u24_e32 v1, 24, v0
	s_addc_u32 s3, s3, s67
	s_and_b64 vcc, exec, s[0:1]
	v_lshlrev_b32_e32 v12, 1, v1
	s_cbranch_vccz .LBB571_299
; %bb.252:
	s_mov_b32 s0, 0x5040100
	v_perm_b32 v21, v16, v11, s0
	v_perm_b32 v20, v9, v8, s0
	;; [unrolled: 1-line block ×4, first 2 shown]
	s_barrier
	ds_write_b128 v12, v[18:21]
	v_perm_b32 v21, v47, v45, s0
	v_perm_b32 v20, v43, v42, s0
	;; [unrolled: 1-line block ×4, first 2 shown]
	ds_write_b128 v12, v[18:21] offset:16
	v_perm_b32 v21, v53, v52, s0
	v_perm_b32 v20, v51, v50, s0
	v_perm_b32 v19, v49, v48, s0
	v_perm_b32 v18, v46, v44, s0
	s_movk_i32 s0, 0xffd2
	v_mad_i32_i24 v2, v0, s0, v12
	ds_write_b128 v12, v[18:21] offset:32
	s_waitcnt lgkmcnt(0)
	s_barrier
	ds_read_u16 v39, v2 offset:512
	ds_read_u16 v38, v2 offset:1024
	;; [unrolled: 1-line block ×23, first 2 shown]
	s_add_i32 s33, s33, s58
	v_mov_b32_e32 v27, 0
	v_lshl_add_u64 v[2:3], s[2:3], 0, v[26:27]
	v_cmp_gt_u32_e32 vcc, s33, v0
	s_and_saveexec_b64 s[0:1], vcc
	s_cbranch_execz .LBB571_254
; %bb.253:
	v_mul_i32_i24_e32 v40, 0xffffffd2, v0
	v_add_u32_e32 v40, v12, v40
	ds_read_u16 v40, v40
	s_waitcnt lgkmcnt(0)
	flat_store_short v[2:3], v40
.LBB571_254:
	s_or_b64 exec, exec, s[0:1]
	v_or_b32_e32 v40, 0x100, v0
	v_cmp_gt_u32_e32 vcc, s33, v40
	s_and_saveexec_b64 s[0:1], vcc
	s_cbranch_execz .LBB571_256
; %bb.255:
	s_waitcnt lgkmcnt(0)
	flat_store_short v[2:3], v39 offset:512
.LBB571_256:
	s_or_b64 exec, exec, s[0:1]
	s_waitcnt lgkmcnt(0)
	v_or_b32_e32 v39, 0x200, v0
	v_cmp_gt_u32_e32 vcc, s33, v39
	s_and_saveexec_b64 s[0:1], vcc
	s_cbranch_execz .LBB571_258
; %bb.257:
	flat_store_short v[2:3], v38 offset:1024
.LBB571_258:
	s_or_b64 exec, exec, s[0:1]
	v_or_b32_e32 v38, 0x300, v0
	v_cmp_gt_u32_e32 vcc, s33, v38
	s_and_saveexec_b64 s[0:1], vcc
	s_cbranch_execz .LBB571_260
; %bb.259:
	flat_store_short v[2:3], v37 offset:1536
.LBB571_260:
	s_or_b64 exec, exec, s[0:1]
	;; [unrolled: 8-line block ×6, first 2 shown]
	v_or_b32_e32 v33, 0x800, v0
	v_cmp_gt_u32_e32 vcc, s33, v33
	s_and_saveexec_b64 s[0:1], vcc
	s_cbranch_execz .LBB571_270
; %bb.269:
	v_add_co_u32_e32 v34, vcc, 0x1000, v2
	s_nop 1
	v_addc_co_u32_e32 v35, vcc, 0, v3, vcc
	flat_store_short v[34:35], v32
.LBB571_270:
	s_or_b64 exec, exec, s[0:1]
	v_or_b32_e32 v32, 0x900, v0
	v_cmp_gt_u32_e32 vcc, s33, v32
	s_and_saveexec_b64 s[0:1], vcc
	s_cbranch_execz .LBB571_272
; %bb.271:
	v_add_co_u32_e32 v32, vcc, 0x1000, v2
	s_nop 1
	v_addc_co_u32_e32 v33, vcc, 0, v3, vcc
	flat_store_short v[32:33], v31 offset:512
.LBB571_272:
	s_or_b64 exec, exec, s[0:1]
	v_or_b32_e32 v31, 0xa00, v0
	v_cmp_gt_u32_e32 vcc, s33, v31
	s_and_saveexec_b64 s[0:1], vcc
	s_cbranch_execz .LBB571_274
; %bb.273:
	v_add_co_u32_e32 v32, vcc, 0x1000, v2
	s_nop 1
	v_addc_co_u32_e32 v33, vcc, 0, v3, vcc
	flat_store_short v[32:33], v30 offset:1024
.LBB571_274:
	;; [unrolled: 11-line block ×7, first 2 shown]
	s_or_b64 exec, exec, s[0:1]
	v_or_b32_e32 v23, 0x1000, v0
	v_cmp_gt_u32_e32 vcc, s33, v23
	s_and_saveexec_b64 s[0:1], vcc
	s_cbranch_execz .LBB571_286
; %bb.285:
	v_add_co_u32_e32 v24, vcc, 0x2000, v2
	s_nop 1
	v_addc_co_u32_e32 v25, vcc, 0, v3, vcc
	flat_store_short v[24:25], v22
.LBB571_286:
	s_or_b64 exec, exec, s[0:1]
	v_or_b32_e32 v22, 0x1100, v0
	v_cmp_gt_u32_e32 vcc, s33, v22
	s_and_saveexec_b64 s[0:1], vcc
	s_cbranch_execz .LBB571_288
; %bb.287:
	v_add_co_u32_e32 v22, vcc, 0x2000, v2
	s_nop 1
	v_addc_co_u32_e32 v23, vcc, 0, v3, vcc
	flat_store_short v[22:23], v21 offset:512
.LBB571_288:
	s_or_b64 exec, exec, s[0:1]
	v_or_b32_e32 v21, 0x1200, v0
	v_cmp_gt_u32_e32 vcc, s33, v21
	s_and_saveexec_b64 s[0:1], vcc
	s_cbranch_execz .LBB571_290
; %bb.289:
	v_add_co_u32_e32 v22, vcc, 0x2000, v2
	s_nop 1
	v_addc_co_u32_e32 v23, vcc, 0, v3, vcc
	flat_store_short v[22:23], v20 offset:1024
.LBB571_290:
	;; [unrolled: 11-line block ×6, first 2 shown]
	s_or_b64 exec, exec, s[0:1]
	v_or_b32_e32 v2, 0x1700, v0
	v_mov_b32_e32 v1, v27
	v_cmp_gt_u32_e64 s[0:1], s33, v2
	s_branch .LBB571_301
.LBB571_299:
	s_mov_b64 s[0:1], 0
                                        ; implicit-def: $vgpr13
	s_cbranch_execz .LBB571_301
; %bb.300:
	s_mov_b32 s4, 0x5040100
	v_perm_b32 v19, v7, v5, s4
	v_perm_b32 v18, v4, v6, s4
	v_perm_b32 v5, v47, v45, s4
	v_perm_b32 v4, v43, v42, s4
	v_perm_b32 v3, v41, v17, s4
	v_perm_b32 v2, v15, v10, s4
	s_waitcnt lgkmcnt(0)
	s_barrier
	v_perm_b32 v21, v16, v11, s4
	v_perm_b32 v20, v9, v8, s4
	ds_write_b128 v12, v[2:5] offset:16
	v_perm_b32 v5, v53, v52, s4
	v_perm_b32 v4, v51, v50, s4
	;; [unrolled: 1-line block ×4, first 2 shown]
	v_mov_b32_e32 v1, 0
	s_movk_i32 s4, 0xffd2
	ds_write_b128 v12, v[2:5] offset:32
	v_mad_i32_i24 v2, v0, s4, v12
	v_mov_b32_e32 v27, v1
	ds_write_b128 v12, v[18:21]
	s_waitcnt lgkmcnt(0)
	s_barrier
	ds_read_u16 v4, v2
	ds_read_u16 v5, v2 offset:512
	ds_read_u16 v6, v2 offset:1024
	;; [unrolled: 1-line block ×23, first 2 shown]
	v_lshl_add_u64 v[2:3], s[2:3], 0, v[26:27]
	s_movk_i32 s4, 0x1000
	s_waitcnt lgkmcnt(0)
	flat_store_short v[2:3], v4
	flat_store_short v[2:3], v5 offset:512
	flat_store_short v[2:3], v6 offset:1024
	;; [unrolled: 1-line block ×7, first 2 shown]
	v_add_co_u32_e32 v4, vcc, s4, v2
	s_or_b64 s[0:1], s[0:1], exec
	s_nop 0
	v_addc_co_u32_e32 v5, vcc, 0, v3, vcc
	v_add_co_u32_e32 v2, vcc, 0x2000, v2
	flat_store_short v[4:5], v12
	flat_store_short v[4:5], v14 offset:512
	flat_store_short v[4:5], v15 offset:1024
	;; [unrolled: 1-line block ×7, first 2 shown]
	v_addc_co_u32_e32 v3, vcc, 0, v3, vcc
	flat_store_short v[2:3], v21
	flat_store_short v[2:3], v22 offset:512
	flat_store_short v[2:3], v23 offset:1024
	;; [unrolled: 1-line block ×6, first 2 shown]
.LBB571_301:
	s_and_saveexec_b64 s[4:5], s[0:1]
	s_cbranch_execz .LBB571_303
; %bb.302:
	v_lshl_add_u64 v[0:1], v[0:1], 1, s[2:3]
	v_add_co_u32_e32 v0, vcc, 0x2000, v0
	s_nop 1
	v_addc_co_u32_e32 v1, vcc, 0, v1, vcc
	flat_store_short v[0:1], v13 offset:3584
	s_endpgm
.LBB571_303:
	s_endpgm
	.section	.rodata,"a",@progbits
	.p2align	6, 0x0
	.amdhsa_kernel _ZN7rocprim17ROCPRIM_400000_NS6detail17trampoline_kernelINS0_14default_configENS1_27scan_by_key_config_selectorIssEEZZNS1_16scan_by_key_implILNS1_25lookback_scan_determinismE0ELb1ES3_N6thrust23THRUST_200600_302600_NS6detail15normal_iteratorINS9_10device_ptrIsEEEESE_SE_sNS9_4plusIvEENS9_8equal_toIvEEsEE10hipError_tPvRmT2_T3_T4_T5_mT6_T7_P12ihipStream_tbENKUlT_T0_E_clISt17integral_constantIbLb0EESZ_EEDaSU_SV_EUlSU_E_NS1_11comp_targetILNS1_3genE5ELNS1_11target_archE942ELNS1_3gpuE9ELNS1_3repE0EEENS1_30default_config_static_selectorELNS0_4arch9wavefront6targetE1EEEvT1_
		.amdhsa_group_segment_fixed_size 13312
		.amdhsa_private_segment_fixed_size 0
		.amdhsa_kernarg_size 112
		.amdhsa_user_sgpr_count 2
		.amdhsa_user_sgpr_dispatch_ptr 0
		.amdhsa_user_sgpr_queue_ptr 0
		.amdhsa_user_sgpr_kernarg_segment_ptr 1
		.amdhsa_user_sgpr_dispatch_id 0
		.amdhsa_user_sgpr_kernarg_preload_length 0
		.amdhsa_user_sgpr_kernarg_preload_offset 0
		.amdhsa_user_sgpr_private_segment_size 0
		.amdhsa_uses_dynamic_stack 0
		.amdhsa_enable_private_segment 0
		.amdhsa_system_sgpr_workgroup_id_x 1
		.amdhsa_system_sgpr_workgroup_id_y 0
		.amdhsa_system_sgpr_workgroup_id_z 0
		.amdhsa_system_sgpr_workgroup_info 0
		.amdhsa_system_vgpr_workitem_id 0
		.amdhsa_next_free_vgpr 60
		.amdhsa_next_free_sgpr 79
		.amdhsa_accum_offset 60
		.amdhsa_reserve_vcc 1
		.amdhsa_float_round_mode_32 0
		.amdhsa_float_round_mode_16_64 0
		.amdhsa_float_denorm_mode_32 3
		.amdhsa_float_denorm_mode_16_64 3
		.amdhsa_dx10_clamp 1
		.amdhsa_ieee_mode 1
		.amdhsa_fp16_overflow 0
		.amdhsa_tg_split 0
		.amdhsa_exception_fp_ieee_invalid_op 0
		.amdhsa_exception_fp_denorm_src 0
		.amdhsa_exception_fp_ieee_div_zero 0
		.amdhsa_exception_fp_ieee_overflow 0
		.amdhsa_exception_fp_ieee_underflow 0
		.amdhsa_exception_fp_ieee_inexact 0
		.amdhsa_exception_int_div_zero 0
	.end_amdhsa_kernel
	.section	.text._ZN7rocprim17ROCPRIM_400000_NS6detail17trampoline_kernelINS0_14default_configENS1_27scan_by_key_config_selectorIssEEZZNS1_16scan_by_key_implILNS1_25lookback_scan_determinismE0ELb1ES3_N6thrust23THRUST_200600_302600_NS6detail15normal_iteratorINS9_10device_ptrIsEEEESE_SE_sNS9_4plusIvEENS9_8equal_toIvEEsEE10hipError_tPvRmT2_T3_T4_T5_mT6_T7_P12ihipStream_tbENKUlT_T0_E_clISt17integral_constantIbLb0EESZ_EEDaSU_SV_EUlSU_E_NS1_11comp_targetILNS1_3genE5ELNS1_11target_archE942ELNS1_3gpuE9ELNS1_3repE0EEENS1_30default_config_static_selectorELNS0_4arch9wavefront6targetE1EEEvT1_,"axG",@progbits,_ZN7rocprim17ROCPRIM_400000_NS6detail17trampoline_kernelINS0_14default_configENS1_27scan_by_key_config_selectorIssEEZZNS1_16scan_by_key_implILNS1_25lookback_scan_determinismE0ELb1ES3_N6thrust23THRUST_200600_302600_NS6detail15normal_iteratorINS9_10device_ptrIsEEEESE_SE_sNS9_4plusIvEENS9_8equal_toIvEEsEE10hipError_tPvRmT2_T3_T4_T5_mT6_T7_P12ihipStream_tbENKUlT_T0_E_clISt17integral_constantIbLb0EESZ_EEDaSU_SV_EUlSU_E_NS1_11comp_targetILNS1_3genE5ELNS1_11target_archE942ELNS1_3gpuE9ELNS1_3repE0EEENS1_30default_config_static_selectorELNS0_4arch9wavefront6targetE1EEEvT1_,comdat
.Lfunc_end571:
	.size	_ZN7rocprim17ROCPRIM_400000_NS6detail17trampoline_kernelINS0_14default_configENS1_27scan_by_key_config_selectorIssEEZZNS1_16scan_by_key_implILNS1_25lookback_scan_determinismE0ELb1ES3_N6thrust23THRUST_200600_302600_NS6detail15normal_iteratorINS9_10device_ptrIsEEEESE_SE_sNS9_4plusIvEENS9_8equal_toIvEEsEE10hipError_tPvRmT2_T3_T4_T5_mT6_T7_P12ihipStream_tbENKUlT_T0_E_clISt17integral_constantIbLb0EESZ_EEDaSU_SV_EUlSU_E_NS1_11comp_targetILNS1_3genE5ELNS1_11target_archE942ELNS1_3gpuE9ELNS1_3repE0EEENS1_30default_config_static_selectorELNS0_4arch9wavefront6targetE1EEEvT1_, .Lfunc_end571-_ZN7rocprim17ROCPRIM_400000_NS6detail17trampoline_kernelINS0_14default_configENS1_27scan_by_key_config_selectorIssEEZZNS1_16scan_by_key_implILNS1_25lookback_scan_determinismE0ELb1ES3_N6thrust23THRUST_200600_302600_NS6detail15normal_iteratorINS9_10device_ptrIsEEEESE_SE_sNS9_4plusIvEENS9_8equal_toIvEEsEE10hipError_tPvRmT2_T3_T4_T5_mT6_T7_P12ihipStream_tbENKUlT_T0_E_clISt17integral_constantIbLb0EESZ_EEDaSU_SV_EUlSU_E_NS1_11comp_targetILNS1_3genE5ELNS1_11target_archE942ELNS1_3gpuE9ELNS1_3repE0EEENS1_30default_config_static_selectorELNS0_4arch9wavefront6targetE1EEEvT1_
                                        ; -- End function
	.section	.AMDGPU.csdata,"",@progbits
; Kernel info:
; codeLenInByte = 16396
; NumSgprs: 85
; NumVgprs: 60
; NumAgprs: 0
; TotalNumVgprs: 60
; ScratchSize: 0
; MemoryBound: 0
; FloatMode: 240
; IeeeMode: 1
; LDSByteSize: 13312 bytes/workgroup (compile time only)
; SGPRBlocks: 10
; VGPRBlocks: 7
; NumSGPRsForWavesPerEU: 85
; NumVGPRsForWavesPerEU: 60
; AccumOffset: 60
; Occupancy: 4
; WaveLimiterHint : 1
; COMPUTE_PGM_RSRC2:SCRATCH_EN: 0
; COMPUTE_PGM_RSRC2:USER_SGPR: 2
; COMPUTE_PGM_RSRC2:TRAP_HANDLER: 0
; COMPUTE_PGM_RSRC2:TGID_X_EN: 1
; COMPUTE_PGM_RSRC2:TGID_Y_EN: 0
; COMPUTE_PGM_RSRC2:TGID_Z_EN: 0
; COMPUTE_PGM_RSRC2:TIDIG_COMP_CNT: 0
; COMPUTE_PGM_RSRC3_GFX90A:ACCUM_OFFSET: 14
; COMPUTE_PGM_RSRC3_GFX90A:TG_SPLIT: 0
	.section	.text._ZN7rocprim17ROCPRIM_400000_NS6detail17trampoline_kernelINS0_14default_configENS1_27scan_by_key_config_selectorIssEEZZNS1_16scan_by_key_implILNS1_25lookback_scan_determinismE0ELb1ES3_N6thrust23THRUST_200600_302600_NS6detail15normal_iteratorINS9_10device_ptrIsEEEESE_SE_sNS9_4plusIvEENS9_8equal_toIvEEsEE10hipError_tPvRmT2_T3_T4_T5_mT6_T7_P12ihipStream_tbENKUlT_T0_E_clISt17integral_constantIbLb0EESZ_EEDaSU_SV_EUlSU_E_NS1_11comp_targetILNS1_3genE4ELNS1_11target_archE910ELNS1_3gpuE8ELNS1_3repE0EEENS1_30default_config_static_selectorELNS0_4arch9wavefront6targetE1EEEvT1_,"axG",@progbits,_ZN7rocprim17ROCPRIM_400000_NS6detail17trampoline_kernelINS0_14default_configENS1_27scan_by_key_config_selectorIssEEZZNS1_16scan_by_key_implILNS1_25lookback_scan_determinismE0ELb1ES3_N6thrust23THRUST_200600_302600_NS6detail15normal_iteratorINS9_10device_ptrIsEEEESE_SE_sNS9_4plusIvEENS9_8equal_toIvEEsEE10hipError_tPvRmT2_T3_T4_T5_mT6_T7_P12ihipStream_tbENKUlT_T0_E_clISt17integral_constantIbLb0EESZ_EEDaSU_SV_EUlSU_E_NS1_11comp_targetILNS1_3genE4ELNS1_11target_archE910ELNS1_3gpuE8ELNS1_3repE0EEENS1_30default_config_static_selectorELNS0_4arch9wavefront6targetE1EEEvT1_,comdat
	.protected	_ZN7rocprim17ROCPRIM_400000_NS6detail17trampoline_kernelINS0_14default_configENS1_27scan_by_key_config_selectorIssEEZZNS1_16scan_by_key_implILNS1_25lookback_scan_determinismE0ELb1ES3_N6thrust23THRUST_200600_302600_NS6detail15normal_iteratorINS9_10device_ptrIsEEEESE_SE_sNS9_4plusIvEENS9_8equal_toIvEEsEE10hipError_tPvRmT2_T3_T4_T5_mT6_T7_P12ihipStream_tbENKUlT_T0_E_clISt17integral_constantIbLb0EESZ_EEDaSU_SV_EUlSU_E_NS1_11comp_targetILNS1_3genE4ELNS1_11target_archE910ELNS1_3gpuE8ELNS1_3repE0EEENS1_30default_config_static_selectorELNS0_4arch9wavefront6targetE1EEEvT1_ ; -- Begin function _ZN7rocprim17ROCPRIM_400000_NS6detail17trampoline_kernelINS0_14default_configENS1_27scan_by_key_config_selectorIssEEZZNS1_16scan_by_key_implILNS1_25lookback_scan_determinismE0ELb1ES3_N6thrust23THRUST_200600_302600_NS6detail15normal_iteratorINS9_10device_ptrIsEEEESE_SE_sNS9_4plusIvEENS9_8equal_toIvEEsEE10hipError_tPvRmT2_T3_T4_T5_mT6_T7_P12ihipStream_tbENKUlT_T0_E_clISt17integral_constantIbLb0EESZ_EEDaSU_SV_EUlSU_E_NS1_11comp_targetILNS1_3genE4ELNS1_11target_archE910ELNS1_3gpuE8ELNS1_3repE0EEENS1_30default_config_static_selectorELNS0_4arch9wavefront6targetE1EEEvT1_
	.globl	_ZN7rocprim17ROCPRIM_400000_NS6detail17trampoline_kernelINS0_14default_configENS1_27scan_by_key_config_selectorIssEEZZNS1_16scan_by_key_implILNS1_25lookback_scan_determinismE0ELb1ES3_N6thrust23THRUST_200600_302600_NS6detail15normal_iteratorINS9_10device_ptrIsEEEESE_SE_sNS9_4plusIvEENS9_8equal_toIvEEsEE10hipError_tPvRmT2_T3_T4_T5_mT6_T7_P12ihipStream_tbENKUlT_T0_E_clISt17integral_constantIbLb0EESZ_EEDaSU_SV_EUlSU_E_NS1_11comp_targetILNS1_3genE4ELNS1_11target_archE910ELNS1_3gpuE8ELNS1_3repE0EEENS1_30default_config_static_selectorELNS0_4arch9wavefront6targetE1EEEvT1_
	.p2align	8
	.type	_ZN7rocprim17ROCPRIM_400000_NS6detail17trampoline_kernelINS0_14default_configENS1_27scan_by_key_config_selectorIssEEZZNS1_16scan_by_key_implILNS1_25lookback_scan_determinismE0ELb1ES3_N6thrust23THRUST_200600_302600_NS6detail15normal_iteratorINS9_10device_ptrIsEEEESE_SE_sNS9_4plusIvEENS9_8equal_toIvEEsEE10hipError_tPvRmT2_T3_T4_T5_mT6_T7_P12ihipStream_tbENKUlT_T0_E_clISt17integral_constantIbLb0EESZ_EEDaSU_SV_EUlSU_E_NS1_11comp_targetILNS1_3genE4ELNS1_11target_archE910ELNS1_3gpuE8ELNS1_3repE0EEENS1_30default_config_static_selectorELNS0_4arch9wavefront6targetE1EEEvT1_,@function
_ZN7rocprim17ROCPRIM_400000_NS6detail17trampoline_kernelINS0_14default_configENS1_27scan_by_key_config_selectorIssEEZZNS1_16scan_by_key_implILNS1_25lookback_scan_determinismE0ELb1ES3_N6thrust23THRUST_200600_302600_NS6detail15normal_iteratorINS9_10device_ptrIsEEEESE_SE_sNS9_4plusIvEENS9_8equal_toIvEEsEE10hipError_tPvRmT2_T3_T4_T5_mT6_T7_P12ihipStream_tbENKUlT_T0_E_clISt17integral_constantIbLb0EESZ_EEDaSU_SV_EUlSU_E_NS1_11comp_targetILNS1_3genE4ELNS1_11target_archE910ELNS1_3gpuE8ELNS1_3repE0EEENS1_30default_config_static_selectorELNS0_4arch9wavefront6targetE1EEEvT1_: ; @_ZN7rocprim17ROCPRIM_400000_NS6detail17trampoline_kernelINS0_14default_configENS1_27scan_by_key_config_selectorIssEEZZNS1_16scan_by_key_implILNS1_25lookback_scan_determinismE0ELb1ES3_N6thrust23THRUST_200600_302600_NS6detail15normal_iteratorINS9_10device_ptrIsEEEESE_SE_sNS9_4plusIvEENS9_8equal_toIvEEsEE10hipError_tPvRmT2_T3_T4_T5_mT6_T7_P12ihipStream_tbENKUlT_T0_E_clISt17integral_constantIbLb0EESZ_EEDaSU_SV_EUlSU_E_NS1_11comp_targetILNS1_3genE4ELNS1_11target_archE910ELNS1_3gpuE8ELNS1_3repE0EEENS1_30default_config_static_selectorELNS0_4arch9wavefront6targetE1EEEvT1_
; %bb.0:
	.section	.rodata,"a",@progbits
	.p2align	6, 0x0
	.amdhsa_kernel _ZN7rocprim17ROCPRIM_400000_NS6detail17trampoline_kernelINS0_14default_configENS1_27scan_by_key_config_selectorIssEEZZNS1_16scan_by_key_implILNS1_25lookback_scan_determinismE0ELb1ES3_N6thrust23THRUST_200600_302600_NS6detail15normal_iteratorINS9_10device_ptrIsEEEESE_SE_sNS9_4plusIvEENS9_8equal_toIvEEsEE10hipError_tPvRmT2_T3_T4_T5_mT6_T7_P12ihipStream_tbENKUlT_T0_E_clISt17integral_constantIbLb0EESZ_EEDaSU_SV_EUlSU_E_NS1_11comp_targetILNS1_3genE4ELNS1_11target_archE910ELNS1_3gpuE8ELNS1_3repE0EEENS1_30default_config_static_selectorELNS0_4arch9wavefront6targetE1EEEvT1_
		.amdhsa_group_segment_fixed_size 0
		.amdhsa_private_segment_fixed_size 0
		.amdhsa_kernarg_size 112
		.amdhsa_user_sgpr_count 2
		.amdhsa_user_sgpr_dispatch_ptr 0
		.amdhsa_user_sgpr_queue_ptr 0
		.amdhsa_user_sgpr_kernarg_segment_ptr 1
		.amdhsa_user_sgpr_dispatch_id 0
		.amdhsa_user_sgpr_kernarg_preload_length 0
		.amdhsa_user_sgpr_kernarg_preload_offset 0
		.amdhsa_user_sgpr_private_segment_size 0
		.amdhsa_uses_dynamic_stack 0
		.amdhsa_enable_private_segment 0
		.amdhsa_system_sgpr_workgroup_id_x 1
		.amdhsa_system_sgpr_workgroup_id_y 0
		.amdhsa_system_sgpr_workgroup_id_z 0
		.amdhsa_system_sgpr_workgroup_info 0
		.amdhsa_system_vgpr_workitem_id 0
		.amdhsa_next_free_vgpr 1
		.amdhsa_next_free_sgpr 0
		.amdhsa_accum_offset 4
		.amdhsa_reserve_vcc 0
		.amdhsa_float_round_mode_32 0
		.amdhsa_float_round_mode_16_64 0
		.amdhsa_float_denorm_mode_32 3
		.amdhsa_float_denorm_mode_16_64 3
		.amdhsa_dx10_clamp 1
		.amdhsa_ieee_mode 1
		.amdhsa_fp16_overflow 0
		.amdhsa_tg_split 0
		.amdhsa_exception_fp_ieee_invalid_op 0
		.amdhsa_exception_fp_denorm_src 0
		.amdhsa_exception_fp_ieee_div_zero 0
		.amdhsa_exception_fp_ieee_overflow 0
		.amdhsa_exception_fp_ieee_underflow 0
		.amdhsa_exception_fp_ieee_inexact 0
		.amdhsa_exception_int_div_zero 0
	.end_amdhsa_kernel
	.section	.text._ZN7rocprim17ROCPRIM_400000_NS6detail17trampoline_kernelINS0_14default_configENS1_27scan_by_key_config_selectorIssEEZZNS1_16scan_by_key_implILNS1_25lookback_scan_determinismE0ELb1ES3_N6thrust23THRUST_200600_302600_NS6detail15normal_iteratorINS9_10device_ptrIsEEEESE_SE_sNS9_4plusIvEENS9_8equal_toIvEEsEE10hipError_tPvRmT2_T3_T4_T5_mT6_T7_P12ihipStream_tbENKUlT_T0_E_clISt17integral_constantIbLb0EESZ_EEDaSU_SV_EUlSU_E_NS1_11comp_targetILNS1_3genE4ELNS1_11target_archE910ELNS1_3gpuE8ELNS1_3repE0EEENS1_30default_config_static_selectorELNS0_4arch9wavefront6targetE1EEEvT1_,"axG",@progbits,_ZN7rocprim17ROCPRIM_400000_NS6detail17trampoline_kernelINS0_14default_configENS1_27scan_by_key_config_selectorIssEEZZNS1_16scan_by_key_implILNS1_25lookback_scan_determinismE0ELb1ES3_N6thrust23THRUST_200600_302600_NS6detail15normal_iteratorINS9_10device_ptrIsEEEESE_SE_sNS9_4plusIvEENS9_8equal_toIvEEsEE10hipError_tPvRmT2_T3_T4_T5_mT6_T7_P12ihipStream_tbENKUlT_T0_E_clISt17integral_constantIbLb0EESZ_EEDaSU_SV_EUlSU_E_NS1_11comp_targetILNS1_3genE4ELNS1_11target_archE910ELNS1_3gpuE8ELNS1_3repE0EEENS1_30default_config_static_selectorELNS0_4arch9wavefront6targetE1EEEvT1_,comdat
.Lfunc_end572:
	.size	_ZN7rocprim17ROCPRIM_400000_NS6detail17trampoline_kernelINS0_14default_configENS1_27scan_by_key_config_selectorIssEEZZNS1_16scan_by_key_implILNS1_25lookback_scan_determinismE0ELb1ES3_N6thrust23THRUST_200600_302600_NS6detail15normal_iteratorINS9_10device_ptrIsEEEESE_SE_sNS9_4plusIvEENS9_8equal_toIvEEsEE10hipError_tPvRmT2_T3_T4_T5_mT6_T7_P12ihipStream_tbENKUlT_T0_E_clISt17integral_constantIbLb0EESZ_EEDaSU_SV_EUlSU_E_NS1_11comp_targetILNS1_3genE4ELNS1_11target_archE910ELNS1_3gpuE8ELNS1_3repE0EEENS1_30default_config_static_selectorELNS0_4arch9wavefront6targetE1EEEvT1_, .Lfunc_end572-_ZN7rocprim17ROCPRIM_400000_NS6detail17trampoline_kernelINS0_14default_configENS1_27scan_by_key_config_selectorIssEEZZNS1_16scan_by_key_implILNS1_25lookback_scan_determinismE0ELb1ES3_N6thrust23THRUST_200600_302600_NS6detail15normal_iteratorINS9_10device_ptrIsEEEESE_SE_sNS9_4plusIvEENS9_8equal_toIvEEsEE10hipError_tPvRmT2_T3_T4_T5_mT6_T7_P12ihipStream_tbENKUlT_T0_E_clISt17integral_constantIbLb0EESZ_EEDaSU_SV_EUlSU_E_NS1_11comp_targetILNS1_3genE4ELNS1_11target_archE910ELNS1_3gpuE8ELNS1_3repE0EEENS1_30default_config_static_selectorELNS0_4arch9wavefront6targetE1EEEvT1_
                                        ; -- End function
	.section	.AMDGPU.csdata,"",@progbits
; Kernel info:
; codeLenInByte = 0
; NumSgprs: 6
; NumVgprs: 0
; NumAgprs: 0
; TotalNumVgprs: 0
; ScratchSize: 0
; MemoryBound: 0
; FloatMode: 240
; IeeeMode: 1
; LDSByteSize: 0 bytes/workgroup (compile time only)
; SGPRBlocks: 0
; VGPRBlocks: 0
; NumSGPRsForWavesPerEU: 6
; NumVGPRsForWavesPerEU: 1
; AccumOffset: 4
; Occupancy: 8
; WaveLimiterHint : 0
; COMPUTE_PGM_RSRC2:SCRATCH_EN: 0
; COMPUTE_PGM_RSRC2:USER_SGPR: 2
; COMPUTE_PGM_RSRC2:TRAP_HANDLER: 0
; COMPUTE_PGM_RSRC2:TGID_X_EN: 1
; COMPUTE_PGM_RSRC2:TGID_Y_EN: 0
; COMPUTE_PGM_RSRC2:TGID_Z_EN: 0
; COMPUTE_PGM_RSRC2:TIDIG_COMP_CNT: 0
; COMPUTE_PGM_RSRC3_GFX90A:ACCUM_OFFSET: 0
; COMPUTE_PGM_RSRC3_GFX90A:TG_SPLIT: 0
	.section	.text._ZN7rocprim17ROCPRIM_400000_NS6detail17trampoline_kernelINS0_14default_configENS1_27scan_by_key_config_selectorIssEEZZNS1_16scan_by_key_implILNS1_25lookback_scan_determinismE0ELb1ES3_N6thrust23THRUST_200600_302600_NS6detail15normal_iteratorINS9_10device_ptrIsEEEESE_SE_sNS9_4plusIvEENS9_8equal_toIvEEsEE10hipError_tPvRmT2_T3_T4_T5_mT6_T7_P12ihipStream_tbENKUlT_T0_E_clISt17integral_constantIbLb0EESZ_EEDaSU_SV_EUlSU_E_NS1_11comp_targetILNS1_3genE3ELNS1_11target_archE908ELNS1_3gpuE7ELNS1_3repE0EEENS1_30default_config_static_selectorELNS0_4arch9wavefront6targetE1EEEvT1_,"axG",@progbits,_ZN7rocprim17ROCPRIM_400000_NS6detail17trampoline_kernelINS0_14default_configENS1_27scan_by_key_config_selectorIssEEZZNS1_16scan_by_key_implILNS1_25lookback_scan_determinismE0ELb1ES3_N6thrust23THRUST_200600_302600_NS6detail15normal_iteratorINS9_10device_ptrIsEEEESE_SE_sNS9_4plusIvEENS9_8equal_toIvEEsEE10hipError_tPvRmT2_T3_T4_T5_mT6_T7_P12ihipStream_tbENKUlT_T0_E_clISt17integral_constantIbLb0EESZ_EEDaSU_SV_EUlSU_E_NS1_11comp_targetILNS1_3genE3ELNS1_11target_archE908ELNS1_3gpuE7ELNS1_3repE0EEENS1_30default_config_static_selectorELNS0_4arch9wavefront6targetE1EEEvT1_,comdat
	.protected	_ZN7rocprim17ROCPRIM_400000_NS6detail17trampoline_kernelINS0_14default_configENS1_27scan_by_key_config_selectorIssEEZZNS1_16scan_by_key_implILNS1_25lookback_scan_determinismE0ELb1ES3_N6thrust23THRUST_200600_302600_NS6detail15normal_iteratorINS9_10device_ptrIsEEEESE_SE_sNS9_4plusIvEENS9_8equal_toIvEEsEE10hipError_tPvRmT2_T3_T4_T5_mT6_T7_P12ihipStream_tbENKUlT_T0_E_clISt17integral_constantIbLb0EESZ_EEDaSU_SV_EUlSU_E_NS1_11comp_targetILNS1_3genE3ELNS1_11target_archE908ELNS1_3gpuE7ELNS1_3repE0EEENS1_30default_config_static_selectorELNS0_4arch9wavefront6targetE1EEEvT1_ ; -- Begin function _ZN7rocprim17ROCPRIM_400000_NS6detail17trampoline_kernelINS0_14default_configENS1_27scan_by_key_config_selectorIssEEZZNS1_16scan_by_key_implILNS1_25lookback_scan_determinismE0ELb1ES3_N6thrust23THRUST_200600_302600_NS6detail15normal_iteratorINS9_10device_ptrIsEEEESE_SE_sNS9_4plusIvEENS9_8equal_toIvEEsEE10hipError_tPvRmT2_T3_T4_T5_mT6_T7_P12ihipStream_tbENKUlT_T0_E_clISt17integral_constantIbLb0EESZ_EEDaSU_SV_EUlSU_E_NS1_11comp_targetILNS1_3genE3ELNS1_11target_archE908ELNS1_3gpuE7ELNS1_3repE0EEENS1_30default_config_static_selectorELNS0_4arch9wavefront6targetE1EEEvT1_
	.globl	_ZN7rocprim17ROCPRIM_400000_NS6detail17trampoline_kernelINS0_14default_configENS1_27scan_by_key_config_selectorIssEEZZNS1_16scan_by_key_implILNS1_25lookback_scan_determinismE0ELb1ES3_N6thrust23THRUST_200600_302600_NS6detail15normal_iteratorINS9_10device_ptrIsEEEESE_SE_sNS9_4plusIvEENS9_8equal_toIvEEsEE10hipError_tPvRmT2_T3_T4_T5_mT6_T7_P12ihipStream_tbENKUlT_T0_E_clISt17integral_constantIbLb0EESZ_EEDaSU_SV_EUlSU_E_NS1_11comp_targetILNS1_3genE3ELNS1_11target_archE908ELNS1_3gpuE7ELNS1_3repE0EEENS1_30default_config_static_selectorELNS0_4arch9wavefront6targetE1EEEvT1_
	.p2align	8
	.type	_ZN7rocprim17ROCPRIM_400000_NS6detail17trampoline_kernelINS0_14default_configENS1_27scan_by_key_config_selectorIssEEZZNS1_16scan_by_key_implILNS1_25lookback_scan_determinismE0ELb1ES3_N6thrust23THRUST_200600_302600_NS6detail15normal_iteratorINS9_10device_ptrIsEEEESE_SE_sNS9_4plusIvEENS9_8equal_toIvEEsEE10hipError_tPvRmT2_T3_T4_T5_mT6_T7_P12ihipStream_tbENKUlT_T0_E_clISt17integral_constantIbLb0EESZ_EEDaSU_SV_EUlSU_E_NS1_11comp_targetILNS1_3genE3ELNS1_11target_archE908ELNS1_3gpuE7ELNS1_3repE0EEENS1_30default_config_static_selectorELNS0_4arch9wavefront6targetE1EEEvT1_,@function
_ZN7rocprim17ROCPRIM_400000_NS6detail17trampoline_kernelINS0_14default_configENS1_27scan_by_key_config_selectorIssEEZZNS1_16scan_by_key_implILNS1_25lookback_scan_determinismE0ELb1ES3_N6thrust23THRUST_200600_302600_NS6detail15normal_iteratorINS9_10device_ptrIsEEEESE_SE_sNS9_4plusIvEENS9_8equal_toIvEEsEE10hipError_tPvRmT2_T3_T4_T5_mT6_T7_P12ihipStream_tbENKUlT_T0_E_clISt17integral_constantIbLb0EESZ_EEDaSU_SV_EUlSU_E_NS1_11comp_targetILNS1_3genE3ELNS1_11target_archE908ELNS1_3gpuE7ELNS1_3repE0EEENS1_30default_config_static_selectorELNS0_4arch9wavefront6targetE1EEEvT1_: ; @_ZN7rocprim17ROCPRIM_400000_NS6detail17trampoline_kernelINS0_14default_configENS1_27scan_by_key_config_selectorIssEEZZNS1_16scan_by_key_implILNS1_25lookback_scan_determinismE0ELb1ES3_N6thrust23THRUST_200600_302600_NS6detail15normal_iteratorINS9_10device_ptrIsEEEESE_SE_sNS9_4plusIvEENS9_8equal_toIvEEsEE10hipError_tPvRmT2_T3_T4_T5_mT6_T7_P12ihipStream_tbENKUlT_T0_E_clISt17integral_constantIbLb0EESZ_EEDaSU_SV_EUlSU_E_NS1_11comp_targetILNS1_3genE3ELNS1_11target_archE908ELNS1_3gpuE7ELNS1_3repE0EEENS1_30default_config_static_selectorELNS0_4arch9wavefront6targetE1EEEvT1_
; %bb.0:
	.section	.rodata,"a",@progbits
	.p2align	6, 0x0
	.amdhsa_kernel _ZN7rocprim17ROCPRIM_400000_NS6detail17trampoline_kernelINS0_14default_configENS1_27scan_by_key_config_selectorIssEEZZNS1_16scan_by_key_implILNS1_25lookback_scan_determinismE0ELb1ES3_N6thrust23THRUST_200600_302600_NS6detail15normal_iteratorINS9_10device_ptrIsEEEESE_SE_sNS9_4plusIvEENS9_8equal_toIvEEsEE10hipError_tPvRmT2_T3_T4_T5_mT6_T7_P12ihipStream_tbENKUlT_T0_E_clISt17integral_constantIbLb0EESZ_EEDaSU_SV_EUlSU_E_NS1_11comp_targetILNS1_3genE3ELNS1_11target_archE908ELNS1_3gpuE7ELNS1_3repE0EEENS1_30default_config_static_selectorELNS0_4arch9wavefront6targetE1EEEvT1_
		.amdhsa_group_segment_fixed_size 0
		.amdhsa_private_segment_fixed_size 0
		.amdhsa_kernarg_size 112
		.amdhsa_user_sgpr_count 2
		.amdhsa_user_sgpr_dispatch_ptr 0
		.amdhsa_user_sgpr_queue_ptr 0
		.amdhsa_user_sgpr_kernarg_segment_ptr 1
		.amdhsa_user_sgpr_dispatch_id 0
		.amdhsa_user_sgpr_kernarg_preload_length 0
		.amdhsa_user_sgpr_kernarg_preload_offset 0
		.amdhsa_user_sgpr_private_segment_size 0
		.amdhsa_uses_dynamic_stack 0
		.amdhsa_enable_private_segment 0
		.amdhsa_system_sgpr_workgroup_id_x 1
		.amdhsa_system_sgpr_workgroup_id_y 0
		.amdhsa_system_sgpr_workgroup_id_z 0
		.amdhsa_system_sgpr_workgroup_info 0
		.amdhsa_system_vgpr_workitem_id 0
		.amdhsa_next_free_vgpr 1
		.amdhsa_next_free_sgpr 0
		.amdhsa_accum_offset 4
		.amdhsa_reserve_vcc 0
		.amdhsa_float_round_mode_32 0
		.amdhsa_float_round_mode_16_64 0
		.amdhsa_float_denorm_mode_32 3
		.amdhsa_float_denorm_mode_16_64 3
		.amdhsa_dx10_clamp 1
		.amdhsa_ieee_mode 1
		.amdhsa_fp16_overflow 0
		.amdhsa_tg_split 0
		.amdhsa_exception_fp_ieee_invalid_op 0
		.amdhsa_exception_fp_denorm_src 0
		.amdhsa_exception_fp_ieee_div_zero 0
		.amdhsa_exception_fp_ieee_overflow 0
		.amdhsa_exception_fp_ieee_underflow 0
		.amdhsa_exception_fp_ieee_inexact 0
		.amdhsa_exception_int_div_zero 0
	.end_amdhsa_kernel
	.section	.text._ZN7rocprim17ROCPRIM_400000_NS6detail17trampoline_kernelINS0_14default_configENS1_27scan_by_key_config_selectorIssEEZZNS1_16scan_by_key_implILNS1_25lookback_scan_determinismE0ELb1ES3_N6thrust23THRUST_200600_302600_NS6detail15normal_iteratorINS9_10device_ptrIsEEEESE_SE_sNS9_4plusIvEENS9_8equal_toIvEEsEE10hipError_tPvRmT2_T3_T4_T5_mT6_T7_P12ihipStream_tbENKUlT_T0_E_clISt17integral_constantIbLb0EESZ_EEDaSU_SV_EUlSU_E_NS1_11comp_targetILNS1_3genE3ELNS1_11target_archE908ELNS1_3gpuE7ELNS1_3repE0EEENS1_30default_config_static_selectorELNS0_4arch9wavefront6targetE1EEEvT1_,"axG",@progbits,_ZN7rocprim17ROCPRIM_400000_NS6detail17trampoline_kernelINS0_14default_configENS1_27scan_by_key_config_selectorIssEEZZNS1_16scan_by_key_implILNS1_25lookback_scan_determinismE0ELb1ES3_N6thrust23THRUST_200600_302600_NS6detail15normal_iteratorINS9_10device_ptrIsEEEESE_SE_sNS9_4plusIvEENS9_8equal_toIvEEsEE10hipError_tPvRmT2_T3_T4_T5_mT6_T7_P12ihipStream_tbENKUlT_T0_E_clISt17integral_constantIbLb0EESZ_EEDaSU_SV_EUlSU_E_NS1_11comp_targetILNS1_3genE3ELNS1_11target_archE908ELNS1_3gpuE7ELNS1_3repE0EEENS1_30default_config_static_selectorELNS0_4arch9wavefront6targetE1EEEvT1_,comdat
.Lfunc_end573:
	.size	_ZN7rocprim17ROCPRIM_400000_NS6detail17trampoline_kernelINS0_14default_configENS1_27scan_by_key_config_selectorIssEEZZNS1_16scan_by_key_implILNS1_25lookback_scan_determinismE0ELb1ES3_N6thrust23THRUST_200600_302600_NS6detail15normal_iteratorINS9_10device_ptrIsEEEESE_SE_sNS9_4plusIvEENS9_8equal_toIvEEsEE10hipError_tPvRmT2_T3_T4_T5_mT6_T7_P12ihipStream_tbENKUlT_T0_E_clISt17integral_constantIbLb0EESZ_EEDaSU_SV_EUlSU_E_NS1_11comp_targetILNS1_3genE3ELNS1_11target_archE908ELNS1_3gpuE7ELNS1_3repE0EEENS1_30default_config_static_selectorELNS0_4arch9wavefront6targetE1EEEvT1_, .Lfunc_end573-_ZN7rocprim17ROCPRIM_400000_NS6detail17trampoline_kernelINS0_14default_configENS1_27scan_by_key_config_selectorIssEEZZNS1_16scan_by_key_implILNS1_25lookback_scan_determinismE0ELb1ES3_N6thrust23THRUST_200600_302600_NS6detail15normal_iteratorINS9_10device_ptrIsEEEESE_SE_sNS9_4plusIvEENS9_8equal_toIvEEsEE10hipError_tPvRmT2_T3_T4_T5_mT6_T7_P12ihipStream_tbENKUlT_T0_E_clISt17integral_constantIbLb0EESZ_EEDaSU_SV_EUlSU_E_NS1_11comp_targetILNS1_3genE3ELNS1_11target_archE908ELNS1_3gpuE7ELNS1_3repE0EEENS1_30default_config_static_selectorELNS0_4arch9wavefront6targetE1EEEvT1_
                                        ; -- End function
	.section	.AMDGPU.csdata,"",@progbits
; Kernel info:
; codeLenInByte = 0
; NumSgprs: 6
; NumVgprs: 0
; NumAgprs: 0
; TotalNumVgprs: 0
; ScratchSize: 0
; MemoryBound: 0
; FloatMode: 240
; IeeeMode: 1
; LDSByteSize: 0 bytes/workgroup (compile time only)
; SGPRBlocks: 0
; VGPRBlocks: 0
; NumSGPRsForWavesPerEU: 6
; NumVGPRsForWavesPerEU: 1
; AccumOffset: 4
; Occupancy: 8
; WaveLimiterHint : 0
; COMPUTE_PGM_RSRC2:SCRATCH_EN: 0
; COMPUTE_PGM_RSRC2:USER_SGPR: 2
; COMPUTE_PGM_RSRC2:TRAP_HANDLER: 0
; COMPUTE_PGM_RSRC2:TGID_X_EN: 1
; COMPUTE_PGM_RSRC2:TGID_Y_EN: 0
; COMPUTE_PGM_RSRC2:TGID_Z_EN: 0
; COMPUTE_PGM_RSRC2:TIDIG_COMP_CNT: 0
; COMPUTE_PGM_RSRC3_GFX90A:ACCUM_OFFSET: 0
; COMPUTE_PGM_RSRC3_GFX90A:TG_SPLIT: 0
	.section	.text._ZN7rocprim17ROCPRIM_400000_NS6detail17trampoline_kernelINS0_14default_configENS1_27scan_by_key_config_selectorIssEEZZNS1_16scan_by_key_implILNS1_25lookback_scan_determinismE0ELb1ES3_N6thrust23THRUST_200600_302600_NS6detail15normal_iteratorINS9_10device_ptrIsEEEESE_SE_sNS9_4plusIvEENS9_8equal_toIvEEsEE10hipError_tPvRmT2_T3_T4_T5_mT6_T7_P12ihipStream_tbENKUlT_T0_E_clISt17integral_constantIbLb0EESZ_EEDaSU_SV_EUlSU_E_NS1_11comp_targetILNS1_3genE2ELNS1_11target_archE906ELNS1_3gpuE6ELNS1_3repE0EEENS1_30default_config_static_selectorELNS0_4arch9wavefront6targetE1EEEvT1_,"axG",@progbits,_ZN7rocprim17ROCPRIM_400000_NS6detail17trampoline_kernelINS0_14default_configENS1_27scan_by_key_config_selectorIssEEZZNS1_16scan_by_key_implILNS1_25lookback_scan_determinismE0ELb1ES3_N6thrust23THRUST_200600_302600_NS6detail15normal_iteratorINS9_10device_ptrIsEEEESE_SE_sNS9_4plusIvEENS9_8equal_toIvEEsEE10hipError_tPvRmT2_T3_T4_T5_mT6_T7_P12ihipStream_tbENKUlT_T0_E_clISt17integral_constantIbLb0EESZ_EEDaSU_SV_EUlSU_E_NS1_11comp_targetILNS1_3genE2ELNS1_11target_archE906ELNS1_3gpuE6ELNS1_3repE0EEENS1_30default_config_static_selectorELNS0_4arch9wavefront6targetE1EEEvT1_,comdat
	.protected	_ZN7rocprim17ROCPRIM_400000_NS6detail17trampoline_kernelINS0_14default_configENS1_27scan_by_key_config_selectorIssEEZZNS1_16scan_by_key_implILNS1_25lookback_scan_determinismE0ELb1ES3_N6thrust23THRUST_200600_302600_NS6detail15normal_iteratorINS9_10device_ptrIsEEEESE_SE_sNS9_4plusIvEENS9_8equal_toIvEEsEE10hipError_tPvRmT2_T3_T4_T5_mT6_T7_P12ihipStream_tbENKUlT_T0_E_clISt17integral_constantIbLb0EESZ_EEDaSU_SV_EUlSU_E_NS1_11comp_targetILNS1_3genE2ELNS1_11target_archE906ELNS1_3gpuE6ELNS1_3repE0EEENS1_30default_config_static_selectorELNS0_4arch9wavefront6targetE1EEEvT1_ ; -- Begin function _ZN7rocprim17ROCPRIM_400000_NS6detail17trampoline_kernelINS0_14default_configENS1_27scan_by_key_config_selectorIssEEZZNS1_16scan_by_key_implILNS1_25lookback_scan_determinismE0ELb1ES3_N6thrust23THRUST_200600_302600_NS6detail15normal_iteratorINS9_10device_ptrIsEEEESE_SE_sNS9_4plusIvEENS9_8equal_toIvEEsEE10hipError_tPvRmT2_T3_T4_T5_mT6_T7_P12ihipStream_tbENKUlT_T0_E_clISt17integral_constantIbLb0EESZ_EEDaSU_SV_EUlSU_E_NS1_11comp_targetILNS1_3genE2ELNS1_11target_archE906ELNS1_3gpuE6ELNS1_3repE0EEENS1_30default_config_static_selectorELNS0_4arch9wavefront6targetE1EEEvT1_
	.globl	_ZN7rocprim17ROCPRIM_400000_NS6detail17trampoline_kernelINS0_14default_configENS1_27scan_by_key_config_selectorIssEEZZNS1_16scan_by_key_implILNS1_25lookback_scan_determinismE0ELb1ES3_N6thrust23THRUST_200600_302600_NS6detail15normal_iteratorINS9_10device_ptrIsEEEESE_SE_sNS9_4plusIvEENS9_8equal_toIvEEsEE10hipError_tPvRmT2_T3_T4_T5_mT6_T7_P12ihipStream_tbENKUlT_T0_E_clISt17integral_constantIbLb0EESZ_EEDaSU_SV_EUlSU_E_NS1_11comp_targetILNS1_3genE2ELNS1_11target_archE906ELNS1_3gpuE6ELNS1_3repE0EEENS1_30default_config_static_selectorELNS0_4arch9wavefront6targetE1EEEvT1_
	.p2align	8
	.type	_ZN7rocprim17ROCPRIM_400000_NS6detail17trampoline_kernelINS0_14default_configENS1_27scan_by_key_config_selectorIssEEZZNS1_16scan_by_key_implILNS1_25lookback_scan_determinismE0ELb1ES3_N6thrust23THRUST_200600_302600_NS6detail15normal_iteratorINS9_10device_ptrIsEEEESE_SE_sNS9_4plusIvEENS9_8equal_toIvEEsEE10hipError_tPvRmT2_T3_T4_T5_mT6_T7_P12ihipStream_tbENKUlT_T0_E_clISt17integral_constantIbLb0EESZ_EEDaSU_SV_EUlSU_E_NS1_11comp_targetILNS1_3genE2ELNS1_11target_archE906ELNS1_3gpuE6ELNS1_3repE0EEENS1_30default_config_static_selectorELNS0_4arch9wavefront6targetE1EEEvT1_,@function
_ZN7rocprim17ROCPRIM_400000_NS6detail17trampoline_kernelINS0_14default_configENS1_27scan_by_key_config_selectorIssEEZZNS1_16scan_by_key_implILNS1_25lookback_scan_determinismE0ELb1ES3_N6thrust23THRUST_200600_302600_NS6detail15normal_iteratorINS9_10device_ptrIsEEEESE_SE_sNS9_4plusIvEENS9_8equal_toIvEEsEE10hipError_tPvRmT2_T3_T4_T5_mT6_T7_P12ihipStream_tbENKUlT_T0_E_clISt17integral_constantIbLb0EESZ_EEDaSU_SV_EUlSU_E_NS1_11comp_targetILNS1_3genE2ELNS1_11target_archE906ELNS1_3gpuE6ELNS1_3repE0EEENS1_30default_config_static_selectorELNS0_4arch9wavefront6targetE1EEEvT1_: ; @_ZN7rocprim17ROCPRIM_400000_NS6detail17trampoline_kernelINS0_14default_configENS1_27scan_by_key_config_selectorIssEEZZNS1_16scan_by_key_implILNS1_25lookback_scan_determinismE0ELb1ES3_N6thrust23THRUST_200600_302600_NS6detail15normal_iteratorINS9_10device_ptrIsEEEESE_SE_sNS9_4plusIvEENS9_8equal_toIvEEsEE10hipError_tPvRmT2_T3_T4_T5_mT6_T7_P12ihipStream_tbENKUlT_T0_E_clISt17integral_constantIbLb0EESZ_EEDaSU_SV_EUlSU_E_NS1_11comp_targetILNS1_3genE2ELNS1_11target_archE906ELNS1_3gpuE6ELNS1_3repE0EEENS1_30default_config_static_selectorELNS0_4arch9wavefront6targetE1EEEvT1_
; %bb.0:
	.section	.rodata,"a",@progbits
	.p2align	6, 0x0
	.amdhsa_kernel _ZN7rocprim17ROCPRIM_400000_NS6detail17trampoline_kernelINS0_14default_configENS1_27scan_by_key_config_selectorIssEEZZNS1_16scan_by_key_implILNS1_25lookback_scan_determinismE0ELb1ES3_N6thrust23THRUST_200600_302600_NS6detail15normal_iteratorINS9_10device_ptrIsEEEESE_SE_sNS9_4plusIvEENS9_8equal_toIvEEsEE10hipError_tPvRmT2_T3_T4_T5_mT6_T7_P12ihipStream_tbENKUlT_T0_E_clISt17integral_constantIbLb0EESZ_EEDaSU_SV_EUlSU_E_NS1_11comp_targetILNS1_3genE2ELNS1_11target_archE906ELNS1_3gpuE6ELNS1_3repE0EEENS1_30default_config_static_selectorELNS0_4arch9wavefront6targetE1EEEvT1_
		.amdhsa_group_segment_fixed_size 0
		.amdhsa_private_segment_fixed_size 0
		.amdhsa_kernarg_size 112
		.amdhsa_user_sgpr_count 2
		.amdhsa_user_sgpr_dispatch_ptr 0
		.amdhsa_user_sgpr_queue_ptr 0
		.amdhsa_user_sgpr_kernarg_segment_ptr 1
		.amdhsa_user_sgpr_dispatch_id 0
		.amdhsa_user_sgpr_kernarg_preload_length 0
		.amdhsa_user_sgpr_kernarg_preload_offset 0
		.amdhsa_user_sgpr_private_segment_size 0
		.amdhsa_uses_dynamic_stack 0
		.amdhsa_enable_private_segment 0
		.amdhsa_system_sgpr_workgroup_id_x 1
		.amdhsa_system_sgpr_workgroup_id_y 0
		.amdhsa_system_sgpr_workgroup_id_z 0
		.amdhsa_system_sgpr_workgroup_info 0
		.amdhsa_system_vgpr_workitem_id 0
		.amdhsa_next_free_vgpr 1
		.amdhsa_next_free_sgpr 0
		.amdhsa_accum_offset 4
		.amdhsa_reserve_vcc 0
		.amdhsa_float_round_mode_32 0
		.amdhsa_float_round_mode_16_64 0
		.amdhsa_float_denorm_mode_32 3
		.amdhsa_float_denorm_mode_16_64 3
		.amdhsa_dx10_clamp 1
		.amdhsa_ieee_mode 1
		.amdhsa_fp16_overflow 0
		.amdhsa_tg_split 0
		.amdhsa_exception_fp_ieee_invalid_op 0
		.amdhsa_exception_fp_denorm_src 0
		.amdhsa_exception_fp_ieee_div_zero 0
		.amdhsa_exception_fp_ieee_overflow 0
		.amdhsa_exception_fp_ieee_underflow 0
		.amdhsa_exception_fp_ieee_inexact 0
		.amdhsa_exception_int_div_zero 0
	.end_amdhsa_kernel
	.section	.text._ZN7rocprim17ROCPRIM_400000_NS6detail17trampoline_kernelINS0_14default_configENS1_27scan_by_key_config_selectorIssEEZZNS1_16scan_by_key_implILNS1_25lookback_scan_determinismE0ELb1ES3_N6thrust23THRUST_200600_302600_NS6detail15normal_iteratorINS9_10device_ptrIsEEEESE_SE_sNS9_4plusIvEENS9_8equal_toIvEEsEE10hipError_tPvRmT2_T3_T4_T5_mT6_T7_P12ihipStream_tbENKUlT_T0_E_clISt17integral_constantIbLb0EESZ_EEDaSU_SV_EUlSU_E_NS1_11comp_targetILNS1_3genE2ELNS1_11target_archE906ELNS1_3gpuE6ELNS1_3repE0EEENS1_30default_config_static_selectorELNS0_4arch9wavefront6targetE1EEEvT1_,"axG",@progbits,_ZN7rocprim17ROCPRIM_400000_NS6detail17trampoline_kernelINS0_14default_configENS1_27scan_by_key_config_selectorIssEEZZNS1_16scan_by_key_implILNS1_25lookback_scan_determinismE0ELb1ES3_N6thrust23THRUST_200600_302600_NS6detail15normal_iteratorINS9_10device_ptrIsEEEESE_SE_sNS9_4plusIvEENS9_8equal_toIvEEsEE10hipError_tPvRmT2_T3_T4_T5_mT6_T7_P12ihipStream_tbENKUlT_T0_E_clISt17integral_constantIbLb0EESZ_EEDaSU_SV_EUlSU_E_NS1_11comp_targetILNS1_3genE2ELNS1_11target_archE906ELNS1_3gpuE6ELNS1_3repE0EEENS1_30default_config_static_selectorELNS0_4arch9wavefront6targetE1EEEvT1_,comdat
.Lfunc_end574:
	.size	_ZN7rocprim17ROCPRIM_400000_NS6detail17trampoline_kernelINS0_14default_configENS1_27scan_by_key_config_selectorIssEEZZNS1_16scan_by_key_implILNS1_25lookback_scan_determinismE0ELb1ES3_N6thrust23THRUST_200600_302600_NS6detail15normal_iteratorINS9_10device_ptrIsEEEESE_SE_sNS9_4plusIvEENS9_8equal_toIvEEsEE10hipError_tPvRmT2_T3_T4_T5_mT6_T7_P12ihipStream_tbENKUlT_T0_E_clISt17integral_constantIbLb0EESZ_EEDaSU_SV_EUlSU_E_NS1_11comp_targetILNS1_3genE2ELNS1_11target_archE906ELNS1_3gpuE6ELNS1_3repE0EEENS1_30default_config_static_selectorELNS0_4arch9wavefront6targetE1EEEvT1_, .Lfunc_end574-_ZN7rocprim17ROCPRIM_400000_NS6detail17trampoline_kernelINS0_14default_configENS1_27scan_by_key_config_selectorIssEEZZNS1_16scan_by_key_implILNS1_25lookback_scan_determinismE0ELb1ES3_N6thrust23THRUST_200600_302600_NS6detail15normal_iteratorINS9_10device_ptrIsEEEESE_SE_sNS9_4plusIvEENS9_8equal_toIvEEsEE10hipError_tPvRmT2_T3_T4_T5_mT6_T7_P12ihipStream_tbENKUlT_T0_E_clISt17integral_constantIbLb0EESZ_EEDaSU_SV_EUlSU_E_NS1_11comp_targetILNS1_3genE2ELNS1_11target_archE906ELNS1_3gpuE6ELNS1_3repE0EEENS1_30default_config_static_selectorELNS0_4arch9wavefront6targetE1EEEvT1_
                                        ; -- End function
	.section	.AMDGPU.csdata,"",@progbits
; Kernel info:
; codeLenInByte = 0
; NumSgprs: 6
; NumVgprs: 0
; NumAgprs: 0
; TotalNumVgprs: 0
; ScratchSize: 0
; MemoryBound: 0
; FloatMode: 240
; IeeeMode: 1
; LDSByteSize: 0 bytes/workgroup (compile time only)
; SGPRBlocks: 0
; VGPRBlocks: 0
; NumSGPRsForWavesPerEU: 6
; NumVGPRsForWavesPerEU: 1
; AccumOffset: 4
; Occupancy: 8
; WaveLimiterHint : 0
; COMPUTE_PGM_RSRC2:SCRATCH_EN: 0
; COMPUTE_PGM_RSRC2:USER_SGPR: 2
; COMPUTE_PGM_RSRC2:TRAP_HANDLER: 0
; COMPUTE_PGM_RSRC2:TGID_X_EN: 1
; COMPUTE_PGM_RSRC2:TGID_Y_EN: 0
; COMPUTE_PGM_RSRC2:TGID_Z_EN: 0
; COMPUTE_PGM_RSRC2:TIDIG_COMP_CNT: 0
; COMPUTE_PGM_RSRC3_GFX90A:ACCUM_OFFSET: 0
; COMPUTE_PGM_RSRC3_GFX90A:TG_SPLIT: 0
	.section	.text._ZN7rocprim17ROCPRIM_400000_NS6detail17trampoline_kernelINS0_14default_configENS1_27scan_by_key_config_selectorIssEEZZNS1_16scan_by_key_implILNS1_25lookback_scan_determinismE0ELb1ES3_N6thrust23THRUST_200600_302600_NS6detail15normal_iteratorINS9_10device_ptrIsEEEESE_SE_sNS9_4plusIvEENS9_8equal_toIvEEsEE10hipError_tPvRmT2_T3_T4_T5_mT6_T7_P12ihipStream_tbENKUlT_T0_E_clISt17integral_constantIbLb0EESZ_EEDaSU_SV_EUlSU_E_NS1_11comp_targetILNS1_3genE10ELNS1_11target_archE1200ELNS1_3gpuE4ELNS1_3repE0EEENS1_30default_config_static_selectorELNS0_4arch9wavefront6targetE1EEEvT1_,"axG",@progbits,_ZN7rocprim17ROCPRIM_400000_NS6detail17trampoline_kernelINS0_14default_configENS1_27scan_by_key_config_selectorIssEEZZNS1_16scan_by_key_implILNS1_25lookback_scan_determinismE0ELb1ES3_N6thrust23THRUST_200600_302600_NS6detail15normal_iteratorINS9_10device_ptrIsEEEESE_SE_sNS9_4plusIvEENS9_8equal_toIvEEsEE10hipError_tPvRmT2_T3_T4_T5_mT6_T7_P12ihipStream_tbENKUlT_T0_E_clISt17integral_constantIbLb0EESZ_EEDaSU_SV_EUlSU_E_NS1_11comp_targetILNS1_3genE10ELNS1_11target_archE1200ELNS1_3gpuE4ELNS1_3repE0EEENS1_30default_config_static_selectorELNS0_4arch9wavefront6targetE1EEEvT1_,comdat
	.protected	_ZN7rocprim17ROCPRIM_400000_NS6detail17trampoline_kernelINS0_14default_configENS1_27scan_by_key_config_selectorIssEEZZNS1_16scan_by_key_implILNS1_25lookback_scan_determinismE0ELb1ES3_N6thrust23THRUST_200600_302600_NS6detail15normal_iteratorINS9_10device_ptrIsEEEESE_SE_sNS9_4plusIvEENS9_8equal_toIvEEsEE10hipError_tPvRmT2_T3_T4_T5_mT6_T7_P12ihipStream_tbENKUlT_T0_E_clISt17integral_constantIbLb0EESZ_EEDaSU_SV_EUlSU_E_NS1_11comp_targetILNS1_3genE10ELNS1_11target_archE1200ELNS1_3gpuE4ELNS1_3repE0EEENS1_30default_config_static_selectorELNS0_4arch9wavefront6targetE1EEEvT1_ ; -- Begin function _ZN7rocprim17ROCPRIM_400000_NS6detail17trampoline_kernelINS0_14default_configENS1_27scan_by_key_config_selectorIssEEZZNS1_16scan_by_key_implILNS1_25lookback_scan_determinismE0ELb1ES3_N6thrust23THRUST_200600_302600_NS6detail15normal_iteratorINS9_10device_ptrIsEEEESE_SE_sNS9_4plusIvEENS9_8equal_toIvEEsEE10hipError_tPvRmT2_T3_T4_T5_mT6_T7_P12ihipStream_tbENKUlT_T0_E_clISt17integral_constantIbLb0EESZ_EEDaSU_SV_EUlSU_E_NS1_11comp_targetILNS1_3genE10ELNS1_11target_archE1200ELNS1_3gpuE4ELNS1_3repE0EEENS1_30default_config_static_selectorELNS0_4arch9wavefront6targetE1EEEvT1_
	.globl	_ZN7rocprim17ROCPRIM_400000_NS6detail17trampoline_kernelINS0_14default_configENS1_27scan_by_key_config_selectorIssEEZZNS1_16scan_by_key_implILNS1_25lookback_scan_determinismE0ELb1ES3_N6thrust23THRUST_200600_302600_NS6detail15normal_iteratorINS9_10device_ptrIsEEEESE_SE_sNS9_4plusIvEENS9_8equal_toIvEEsEE10hipError_tPvRmT2_T3_T4_T5_mT6_T7_P12ihipStream_tbENKUlT_T0_E_clISt17integral_constantIbLb0EESZ_EEDaSU_SV_EUlSU_E_NS1_11comp_targetILNS1_3genE10ELNS1_11target_archE1200ELNS1_3gpuE4ELNS1_3repE0EEENS1_30default_config_static_selectorELNS0_4arch9wavefront6targetE1EEEvT1_
	.p2align	8
	.type	_ZN7rocprim17ROCPRIM_400000_NS6detail17trampoline_kernelINS0_14default_configENS1_27scan_by_key_config_selectorIssEEZZNS1_16scan_by_key_implILNS1_25lookback_scan_determinismE0ELb1ES3_N6thrust23THRUST_200600_302600_NS6detail15normal_iteratorINS9_10device_ptrIsEEEESE_SE_sNS9_4plusIvEENS9_8equal_toIvEEsEE10hipError_tPvRmT2_T3_T4_T5_mT6_T7_P12ihipStream_tbENKUlT_T0_E_clISt17integral_constantIbLb0EESZ_EEDaSU_SV_EUlSU_E_NS1_11comp_targetILNS1_3genE10ELNS1_11target_archE1200ELNS1_3gpuE4ELNS1_3repE0EEENS1_30default_config_static_selectorELNS0_4arch9wavefront6targetE1EEEvT1_,@function
_ZN7rocprim17ROCPRIM_400000_NS6detail17trampoline_kernelINS0_14default_configENS1_27scan_by_key_config_selectorIssEEZZNS1_16scan_by_key_implILNS1_25lookback_scan_determinismE0ELb1ES3_N6thrust23THRUST_200600_302600_NS6detail15normal_iteratorINS9_10device_ptrIsEEEESE_SE_sNS9_4plusIvEENS9_8equal_toIvEEsEE10hipError_tPvRmT2_T3_T4_T5_mT6_T7_P12ihipStream_tbENKUlT_T0_E_clISt17integral_constantIbLb0EESZ_EEDaSU_SV_EUlSU_E_NS1_11comp_targetILNS1_3genE10ELNS1_11target_archE1200ELNS1_3gpuE4ELNS1_3repE0EEENS1_30default_config_static_selectorELNS0_4arch9wavefront6targetE1EEEvT1_: ; @_ZN7rocprim17ROCPRIM_400000_NS6detail17trampoline_kernelINS0_14default_configENS1_27scan_by_key_config_selectorIssEEZZNS1_16scan_by_key_implILNS1_25lookback_scan_determinismE0ELb1ES3_N6thrust23THRUST_200600_302600_NS6detail15normal_iteratorINS9_10device_ptrIsEEEESE_SE_sNS9_4plusIvEENS9_8equal_toIvEEsEE10hipError_tPvRmT2_T3_T4_T5_mT6_T7_P12ihipStream_tbENKUlT_T0_E_clISt17integral_constantIbLb0EESZ_EEDaSU_SV_EUlSU_E_NS1_11comp_targetILNS1_3genE10ELNS1_11target_archE1200ELNS1_3gpuE4ELNS1_3repE0EEENS1_30default_config_static_selectorELNS0_4arch9wavefront6targetE1EEEvT1_
; %bb.0:
	.section	.rodata,"a",@progbits
	.p2align	6, 0x0
	.amdhsa_kernel _ZN7rocprim17ROCPRIM_400000_NS6detail17trampoline_kernelINS0_14default_configENS1_27scan_by_key_config_selectorIssEEZZNS1_16scan_by_key_implILNS1_25lookback_scan_determinismE0ELb1ES3_N6thrust23THRUST_200600_302600_NS6detail15normal_iteratorINS9_10device_ptrIsEEEESE_SE_sNS9_4plusIvEENS9_8equal_toIvEEsEE10hipError_tPvRmT2_T3_T4_T5_mT6_T7_P12ihipStream_tbENKUlT_T0_E_clISt17integral_constantIbLb0EESZ_EEDaSU_SV_EUlSU_E_NS1_11comp_targetILNS1_3genE10ELNS1_11target_archE1200ELNS1_3gpuE4ELNS1_3repE0EEENS1_30default_config_static_selectorELNS0_4arch9wavefront6targetE1EEEvT1_
		.amdhsa_group_segment_fixed_size 0
		.amdhsa_private_segment_fixed_size 0
		.amdhsa_kernarg_size 112
		.amdhsa_user_sgpr_count 2
		.amdhsa_user_sgpr_dispatch_ptr 0
		.amdhsa_user_sgpr_queue_ptr 0
		.amdhsa_user_sgpr_kernarg_segment_ptr 1
		.amdhsa_user_sgpr_dispatch_id 0
		.amdhsa_user_sgpr_kernarg_preload_length 0
		.amdhsa_user_sgpr_kernarg_preload_offset 0
		.amdhsa_user_sgpr_private_segment_size 0
		.amdhsa_uses_dynamic_stack 0
		.amdhsa_enable_private_segment 0
		.amdhsa_system_sgpr_workgroup_id_x 1
		.amdhsa_system_sgpr_workgroup_id_y 0
		.amdhsa_system_sgpr_workgroup_id_z 0
		.amdhsa_system_sgpr_workgroup_info 0
		.amdhsa_system_vgpr_workitem_id 0
		.amdhsa_next_free_vgpr 1
		.amdhsa_next_free_sgpr 0
		.amdhsa_accum_offset 4
		.amdhsa_reserve_vcc 0
		.amdhsa_float_round_mode_32 0
		.amdhsa_float_round_mode_16_64 0
		.amdhsa_float_denorm_mode_32 3
		.amdhsa_float_denorm_mode_16_64 3
		.amdhsa_dx10_clamp 1
		.amdhsa_ieee_mode 1
		.amdhsa_fp16_overflow 0
		.amdhsa_tg_split 0
		.amdhsa_exception_fp_ieee_invalid_op 0
		.amdhsa_exception_fp_denorm_src 0
		.amdhsa_exception_fp_ieee_div_zero 0
		.amdhsa_exception_fp_ieee_overflow 0
		.amdhsa_exception_fp_ieee_underflow 0
		.amdhsa_exception_fp_ieee_inexact 0
		.amdhsa_exception_int_div_zero 0
	.end_amdhsa_kernel
	.section	.text._ZN7rocprim17ROCPRIM_400000_NS6detail17trampoline_kernelINS0_14default_configENS1_27scan_by_key_config_selectorIssEEZZNS1_16scan_by_key_implILNS1_25lookback_scan_determinismE0ELb1ES3_N6thrust23THRUST_200600_302600_NS6detail15normal_iteratorINS9_10device_ptrIsEEEESE_SE_sNS9_4plusIvEENS9_8equal_toIvEEsEE10hipError_tPvRmT2_T3_T4_T5_mT6_T7_P12ihipStream_tbENKUlT_T0_E_clISt17integral_constantIbLb0EESZ_EEDaSU_SV_EUlSU_E_NS1_11comp_targetILNS1_3genE10ELNS1_11target_archE1200ELNS1_3gpuE4ELNS1_3repE0EEENS1_30default_config_static_selectorELNS0_4arch9wavefront6targetE1EEEvT1_,"axG",@progbits,_ZN7rocprim17ROCPRIM_400000_NS6detail17trampoline_kernelINS0_14default_configENS1_27scan_by_key_config_selectorIssEEZZNS1_16scan_by_key_implILNS1_25lookback_scan_determinismE0ELb1ES3_N6thrust23THRUST_200600_302600_NS6detail15normal_iteratorINS9_10device_ptrIsEEEESE_SE_sNS9_4plusIvEENS9_8equal_toIvEEsEE10hipError_tPvRmT2_T3_T4_T5_mT6_T7_P12ihipStream_tbENKUlT_T0_E_clISt17integral_constantIbLb0EESZ_EEDaSU_SV_EUlSU_E_NS1_11comp_targetILNS1_3genE10ELNS1_11target_archE1200ELNS1_3gpuE4ELNS1_3repE0EEENS1_30default_config_static_selectorELNS0_4arch9wavefront6targetE1EEEvT1_,comdat
.Lfunc_end575:
	.size	_ZN7rocprim17ROCPRIM_400000_NS6detail17trampoline_kernelINS0_14default_configENS1_27scan_by_key_config_selectorIssEEZZNS1_16scan_by_key_implILNS1_25lookback_scan_determinismE0ELb1ES3_N6thrust23THRUST_200600_302600_NS6detail15normal_iteratorINS9_10device_ptrIsEEEESE_SE_sNS9_4plusIvEENS9_8equal_toIvEEsEE10hipError_tPvRmT2_T3_T4_T5_mT6_T7_P12ihipStream_tbENKUlT_T0_E_clISt17integral_constantIbLb0EESZ_EEDaSU_SV_EUlSU_E_NS1_11comp_targetILNS1_3genE10ELNS1_11target_archE1200ELNS1_3gpuE4ELNS1_3repE0EEENS1_30default_config_static_selectorELNS0_4arch9wavefront6targetE1EEEvT1_, .Lfunc_end575-_ZN7rocprim17ROCPRIM_400000_NS6detail17trampoline_kernelINS0_14default_configENS1_27scan_by_key_config_selectorIssEEZZNS1_16scan_by_key_implILNS1_25lookback_scan_determinismE0ELb1ES3_N6thrust23THRUST_200600_302600_NS6detail15normal_iteratorINS9_10device_ptrIsEEEESE_SE_sNS9_4plusIvEENS9_8equal_toIvEEsEE10hipError_tPvRmT2_T3_T4_T5_mT6_T7_P12ihipStream_tbENKUlT_T0_E_clISt17integral_constantIbLb0EESZ_EEDaSU_SV_EUlSU_E_NS1_11comp_targetILNS1_3genE10ELNS1_11target_archE1200ELNS1_3gpuE4ELNS1_3repE0EEENS1_30default_config_static_selectorELNS0_4arch9wavefront6targetE1EEEvT1_
                                        ; -- End function
	.section	.AMDGPU.csdata,"",@progbits
; Kernel info:
; codeLenInByte = 0
; NumSgprs: 6
; NumVgprs: 0
; NumAgprs: 0
; TotalNumVgprs: 0
; ScratchSize: 0
; MemoryBound: 0
; FloatMode: 240
; IeeeMode: 1
; LDSByteSize: 0 bytes/workgroup (compile time only)
; SGPRBlocks: 0
; VGPRBlocks: 0
; NumSGPRsForWavesPerEU: 6
; NumVGPRsForWavesPerEU: 1
; AccumOffset: 4
; Occupancy: 8
; WaveLimiterHint : 0
; COMPUTE_PGM_RSRC2:SCRATCH_EN: 0
; COMPUTE_PGM_RSRC2:USER_SGPR: 2
; COMPUTE_PGM_RSRC2:TRAP_HANDLER: 0
; COMPUTE_PGM_RSRC2:TGID_X_EN: 1
; COMPUTE_PGM_RSRC2:TGID_Y_EN: 0
; COMPUTE_PGM_RSRC2:TGID_Z_EN: 0
; COMPUTE_PGM_RSRC2:TIDIG_COMP_CNT: 0
; COMPUTE_PGM_RSRC3_GFX90A:ACCUM_OFFSET: 0
; COMPUTE_PGM_RSRC3_GFX90A:TG_SPLIT: 0
	.section	.text._ZN7rocprim17ROCPRIM_400000_NS6detail17trampoline_kernelINS0_14default_configENS1_27scan_by_key_config_selectorIssEEZZNS1_16scan_by_key_implILNS1_25lookback_scan_determinismE0ELb1ES3_N6thrust23THRUST_200600_302600_NS6detail15normal_iteratorINS9_10device_ptrIsEEEESE_SE_sNS9_4plusIvEENS9_8equal_toIvEEsEE10hipError_tPvRmT2_T3_T4_T5_mT6_T7_P12ihipStream_tbENKUlT_T0_E_clISt17integral_constantIbLb0EESZ_EEDaSU_SV_EUlSU_E_NS1_11comp_targetILNS1_3genE9ELNS1_11target_archE1100ELNS1_3gpuE3ELNS1_3repE0EEENS1_30default_config_static_selectorELNS0_4arch9wavefront6targetE1EEEvT1_,"axG",@progbits,_ZN7rocprim17ROCPRIM_400000_NS6detail17trampoline_kernelINS0_14default_configENS1_27scan_by_key_config_selectorIssEEZZNS1_16scan_by_key_implILNS1_25lookback_scan_determinismE0ELb1ES3_N6thrust23THRUST_200600_302600_NS6detail15normal_iteratorINS9_10device_ptrIsEEEESE_SE_sNS9_4plusIvEENS9_8equal_toIvEEsEE10hipError_tPvRmT2_T3_T4_T5_mT6_T7_P12ihipStream_tbENKUlT_T0_E_clISt17integral_constantIbLb0EESZ_EEDaSU_SV_EUlSU_E_NS1_11comp_targetILNS1_3genE9ELNS1_11target_archE1100ELNS1_3gpuE3ELNS1_3repE0EEENS1_30default_config_static_selectorELNS0_4arch9wavefront6targetE1EEEvT1_,comdat
	.protected	_ZN7rocprim17ROCPRIM_400000_NS6detail17trampoline_kernelINS0_14default_configENS1_27scan_by_key_config_selectorIssEEZZNS1_16scan_by_key_implILNS1_25lookback_scan_determinismE0ELb1ES3_N6thrust23THRUST_200600_302600_NS6detail15normal_iteratorINS9_10device_ptrIsEEEESE_SE_sNS9_4plusIvEENS9_8equal_toIvEEsEE10hipError_tPvRmT2_T3_T4_T5_mT6_T7_P12ihipStream_tbENKUlT_T0_E_clISt17integral_constantIbLb0EESZ_EEDaSU_SV_EUlSU_E_NS1_11comp_targetILNS1_3genE9ELNS1_11target_archE1100ELNS1_3gpuE3ELNS1_3repE0EEENS1_30default_config_static_selectorELNS0_4arch9wavefront6targetE1EEEvT1_ ; -- Begin function _ZN7rocprim17ROCPRIM_400000_NS6detail17trampoline_kernelINS0_14default_configENS1_27scan_by_key_config_selectorIssEEZZNS1_16scan_by_key_implILNS1_25lookback_scan_determinismE0ELb1ES3_N6thrust23THRUST_200600_302600_NS6detail15normal_iteratorINS9_10device_ptrIsEEEESE_SE_sNS9_4plusIvEENS9_8equal_toIvEEsEE10hipError_tPvRmT2_T3_T4_T5_mT6_T7_P12ihipStream_tbENKUlT_T0_E_clISt17integral_constantIbLb0EESZ_EEDaSU_SV_EUlSU_E_NS1_11comp_targetILNS1_3genE9ELNS1_11target_archE1100ELNS1_3gpuE3ELNS1_3repE0EEENS1_30default_config_static_selectorELNS0_4arch9wavefront6targetE1EEEvT1_
	.globl	_ZN7rocprim17ROCPRIM_400000_NS6detail17trampoline_kernelINS0_14default_configENS1_27scan_by_key_config_selectorIssEEZZNS1_16scan_by_key_implILNS1_25lookback_scan_determinismE0ELb1ES3_N6thrust23THRUST_200600_302600_NS6detail15normal_iteratorINS9_10device_ptrIsEEEESE_SE_sNS9_4plusIvEENS9_8equal_toIvEEsEE10hipError_tPvRmT2_T3_T4_T5_mT6_T7_P12ihipStream_tbENKUlT_T0_E_clISt17integral_constantIbLb0EESZ_EEDaSU_SV_EUlSU_E_NS1_11comp_targetILNS1_3genE9ELNS1_11target_archE1100ELNS1_3gpuE3ELNS1_3repE0EEENS1_30default_config_static_selectorELNS0_4arch9wavefront6targetE1EEEvT1_
	.p2align	8
	.type	_ZN7rocprim17ROCPRIM_400000_NS6detail17trampoline_kernelINS0_14default_configENS1_27scan_by_key_config_selectorIssEEZZNS1_16scan_by_key_implILNS1_25lookback_scan_determinismE0ELb1ES3_N6thrust23THRUST_200600_302600_NS6detail15normal_iteratorINS9_10device_ptrIsEEEESE_SE_sNS9_4plusIvEENS9_8equal_toIvEEsEE10hipError_tPvRmT2_T3_T4_T5_mT6_T7_P12ihipStream_tbENKUlT_T0_E_clISt17integral_constantIbLb0EESZ_EEDaSU_SV_EUlSU_E_NS1_11comp_targetILNS1_3genE9ELNS1_11target_archE1100ELNS1_3gpuE3ELNS1_3repE0EEENS1_30default_config_static_selectorELNS0_4arch9wavefront6targetE1EEEvT1_,@function
_ZN7rocprim17ROCPRIM_400000_NS6detail17trampoline_kernelINS0_14default_configENS1_27scan_by_key_config_selectorIssEEZZNS1_16scan_by_key_implILNS1_25lookback_scan_determinismE0ELb1ES3_N6thrust23THRUST_200600_302600_NS6detail15normal_iteratorINS9_10device_ptrIsEEEESE_SE_sNS9_4plusIvEENS9_8equal_toIvEEsEE10hipError_tPvRmT2_T3_T4_T5_mT6_T7_P12ihipStream_tbENKUlT_T0_E_clISt17integral_constantIbLb0EESZ_EEDaSU_SV_EUlSU_E_NS1_11comp_targetILNS1_3genE9ELNS1_11target_archE1100ELNS1_3gpuE3ELNS1_3repE0EEENS1_30default_config_static_selectorELNS0_4arch9wavefront6targetE1EEEvT1_: ; @_ZN7rocprim17ROCPRIM_400000_NS6detail17trampoline_kernelINS0_14default_configENS1_27scan_by_key_config_selectorIssEEZZNS1_16scan_by_key_implILNS1_25lookback_scan_determinismE0ELb1ES3_N6thrust23THRUST_200600_302600_NS6detail15normal_iteratorINS9_10device_ptrIsEEEESE_SE_sNS9_4plusIvEENS9_8equal_toIvEEsEE10hipError_tPvRmT2_T3_T4_T5_mT6_T7_P12ihipStream_tbENKUlT_T0_E_clISt17integral_constantIbLb0EESZ_EEDaSU_SV_EUlSU_E_NS1_11comp_targetILNS1_3genE9ELNS1_11target_archE1100ELNS1_3gpuE3ELNS1_3repE0EEENS1_30default_config_static_selectorELNS0_4arch9wavefront6targetE1EEEvT1_
; %bb.0:
	.section	.rodata,"a",@progbits
	.p2align	6, 0x0
	.amdhsa_kernel _ZN7rocprim17ROCPRIM_400000_NS6detail17trampoline_kernelINS0_14default_configENS1_27scan_by_key_config_selectorIssEEZZNS1_16scan_by_key_implILNS1_25lookback_scan_determinismE0ELb1ES3_N6thrust23THRUST_200600_302600_NS6detail15normal_iteratorINS9_10device_ptrIsEEEESE_SE_sNS9_4plusIvEENS9_8equal_toIvEEsEE10hipError_tPvRmT2_T3_T4_T5_mT6_T7_P12ihipStream_tbENKUlT_T0_E_clISt17integral_constantIbLb0EESZ_EEDaSU_SV_EUlSU_E_NS1_11comp_targetILNS1_3genE9ELNS1_11target_archE1100ELNS1_3gpuE3ELNS1_3repE0EEENS1_30default_config_static_selectorELNS0_4arch9wavefront6targetE1EEEvT1_
		.amdhsa_group_segment_fixed_size 0
		.amdhsa_private_segment_fixed_size 0
		.amdhsa_kernarg_size 112
		.amdhsa_user_sgpr_count 2
		.amdhsa_user_sgpr_dispatch_ptr 0
		.amdhsa_user_sgpr_queue_ptr 0
		.amdhsa_user_sgpr_kernarg_segment_ptr 1
		.amdhsa_user_sgpr_dispatch_id 0
		.amdhsa_user_sgpr_kernarg_preload_length 0
		.amdhsa_user_sgpr_kernarg_preload_offset 0
		.amdhsa_user_sgpr_private_segment_size 0
		.amdhsa_uses_dynamic_stack 0
		.amdhsa_enable_private_segment 0
		.amdhsa_system_sgpr_workgroup_id_x 1
		.amdhsa_system_sgpr_workgroup_id_y 0
		.amdhsa_system_sgpr_workgroup_id_z 0
		.amdhsa_system_sgpr_workgroup_info 0
		.amdhsa_system_vgpr_workitem_id 0
		.amdhsa_next_free_vgpr 1
		.amdhsa_next_free_sgpr 0
		.amdhsa_accum_offset 4
		.amdhsa_reserve_vcc 0
		.amdhsa_float_round_mode_32 0
		.amdhsa_float_round_mode_16_64 0
		.amdhsa_float_denorm_mode_32 3
		.amdhsa_float_denorm_mode_16_64 3
		.amdhsa_dx10_clamp 1
		.amdhsa_ieee_mode 1
		.amdhsa_fp16_overflow 0
		.amdhsa_tg_split 0
		.amdhsa_exception_fp_ieee_invalid_op 0
		.amdhsa_exception_fp_denorm_src 0
		.amdhsa_exception_fp_ieee_div_zero 0
		.amdhsa_exception_fp_ieee_overflow 0
		.amdhsa_exception_fp_ieee_underflow 0
		.amdhsa_exception_fp_ieee_inexact 0
		.amdhsa_exception_int_div_zero 0
	.end_amdhsa_kernel
	.section	.text._ZN7rocprim17ROCPRIM_400000_NS6detail17trampoline_kernelINS0_14default_configENS1_27scan_by_key_config_selectorIssEEZZNS1_16scan_by_key_implILNS1_25lookback_scan_determinismE0ELb1ES3_N6thrust23THRUST_200600_302600_NS6detail15normal_iteratorINS9_10device_ptrIsEEEESE_SE_sNS9_4plusIvEENS9_8equal_toIvEEsEE10hipError_tPvRmT2_T3_T4_T5_mT6_T7_P12ihipStream_tbENKUlT_T0_E_clISt17integral_constantIbLb0EESZ_EEDaSU_SV_EUlSU_E_NS1_11comp_targetILNS1_3genE9ELNS1_11target_archE1100ELNS1_3gpuE3ELNS1_3repE0EEENS1_30default_config_static_selectorELNS0_4arch9wavefront6targetE1EEEvT1_,"axG",@progbits,_ZN7rocprim17ROCPRIM_400000_NS6detail17trampoline_kernelINS0_14default_configENS1_27scan_by_key_config_selectorIssEEZZNS1_16scan_by_key_implILNS1_25lookback_scan_determinismE0ELb1ES3_N6thrust23THRUST_200600_302600_NS6detail15normal_iteratorINS9_10device_ptrIsEEEESE_SE_sNS9_4plusIvEENS9_8equal_toIvEEsEE10hipError_tPvRmT2_T3_T4_T5_mT6_T7_P12ihipStream_tbENKUlT_T0_E_clISt17integral_constantIbLb0EESZ_EEDaSU_SV_EUlSU_E_NS1_11comp_targetILNS1_3genE9ELNS1_11target_archE1100ELNS1_3gpuE3ELNS1_3repE0EEENS1_30default_config_static_selectorELNS0_4arch9wavefront6targetE1EEEvT1_,comdat
.Lfunc_end576:
	.size	_ZN7rocprim17ROCPRIM_400000_NS6detail17trampoline_kernelINS0_14default_configENS1_27scan_by_key_config_selectorIssEEZZNS1_16scan_by_key_implILNS1_25lookback_scan_determinismE0ELb1ES3_N6thrust23THRUST_200600_302600_NS6detail15normal_iteratorINS9_10device_ptrIsEEEESE_SE_sNS9_4plusIvEENS9_8equal_toIvEEsEE10hipError_tPvRmT2_T3_T4_T5_mT6_T7_P12ihipStream_tbENKUlT_T0_E_clISt17integral_constantIbLb0EESZ_EEDaSU_SV_EUlSU_E_NS1_11comp_targetILNS1_3genE9ELNS1_11target_archE1100ELNS1_3gpuE3ELNS1_3repE0EEENS1_30default_config_static_selectorELNS0_4arch9wavefront6targetE1EEEvT1_, .Lfunc_end576-_ZN7rocprim17ROCPRIM_400000_NS6detail17trampoline_kernelINS0_14default_configENS1_27scan_by_key_config_selectorIssEEZZNS1_16scan_by_key_implILNS1_25lookback_scan_determinismE0ELb1ES3_N6thrust23THRUST_200600_302600_NS6detail15normal_iteratorINS9_10device_ptrIsEEEESE_SE_sNS9_4plusIvEENS9_8equal_toIvEEsEE10hipError_tPvRmT2_T3_T4_T5_mT6_T7_P12ihipStream_tbENKUlT_T0_E_clISt17integral_constantIbLb0EESZ_EEDaSU_SV_EUlSU_E_NS1_11comp_targetILNS1_3genE9ELNS1_11target_archE1100ELNS1_3gpuE3ELNS1_3repE0EEENS1_30default_config_static_selectorELNS0_4arch9wavefront6targetE1EEEvT1_
                                        ; -- End function
	.section	.AMDGPU.csdata,"",@progbits
; Kernel info:
; codeLenInByte = 0
; NumSgprs: 6
; NumVgprs: 0
; NumAgprs: 0
; TotalNumVgprs: 0
; ScratchSize: 0
; MemoryBound: 0
; FloatMode: 240
; IeeeMode: 1
; LDSByteSize: 0 bytes/workgroup (compile time only)
; SGPRBlocks: 0
; VGPRBlocks: 0
; NumSGPRsForWavesPerEU: 6
; NumVGPRsForWavesPerEU: 1
; AccumOffset: 4
; Occupancy: 8
; WaveLimiterHint : 0
; COMPUTE_PGM_RSRC2:SCRATCH_EN: 0
; COMPUTE_PGM_RSRC2:USER_SGPR: 2
; COMPUTE_PGM_RSRC2:TRAP_HANDLER: 0
; COMPUTE_PGM_RSRC2:TGID_X_EN: 1
; COMPUTE_PGM_RSRC2:TGID_Y_EN: 0
; COMPUTE_PGM_RSRC2:TGID_Z_EN: 0
; COMPUTE_PGM_RSRC2:TIDIG_COMP_CNT: 0
; COMPUTE_PGM_RSRC3_GFX90A:ACCUM_OFFSET: 0
; COMPUTE_PGM_RSRC3_GFX90A:TG_SPLIT: 0
	.section	.text._ZN7rocprim17ROCPRIM_400000_NS6detail17trampoline_kernelINS0_14default_configENS1_27scan_by_key_config_selectorIssEEZZNS1_16scan_by_key_implILNS1_25lookback_scan_determinismE0ELb1ES3_N6thrust23THRUST_200600_302600_NS6detail15normal_iteratorINS9_10device_ptrIsEEEESE_SE_sNS9_4plusIvEENS9_8equal_toIvEEsEE10hipError_tPvRmT2_T3_T4_T5_mT6_T7_P12ihipStream_tbENKUlT_T0_E_clISt17integral_constantIbLb0EESZ_EEDaSU_SV_EUlSU_E_NS1_11comp_targetILNS1_3genE8ELNS1_11target_archE1030ELNS1_3gpuE2ELNS1_3repE0EEENS1_30default_config_static_selectorELNS0_4arch9wavefront6targetE1EEEvT1_,"axG",@progbits,_ZN7rocprim17ROCPRIM_400000_NS6detail17trampoline_kernelINS0_14default_configENS1_27scan_by_key_config_selectorIssEEZZNS1_16scan_by_key_implILNS1_25lookback_scan_determinismE0ELb1ES3_N6thrust23THRUST_200600_302600_NS6detail15normal_iteratorINS9_10device_ptrIsEEEESE_SE_sNS9_4plusIvEENS9_8equal_toIvEEsEE10hipError_tPvRmT2_T3_T4_T5_mT6_T7_P12ihipStream_tbENKUlT_T0_E_clISt17integral_constantIbLb0EESZ_EEDaSU_SV_EUlSU_E_NS1_11comp_targetILNS1_3genE8ELNS1_11target_archE1030ELNS1_3gpuE2ELNS1_3repE0EEENS1_30default_config_static_selectorELNS0_4arch9wavefront6targetE1EEEvT1_,comdat
	.protected	_ZN7rocprim17ROCPRIM_400000_NS6detail17trampoline_kernelINS0_14default_configENS1_27scan_by_key_config_selectorIssEEZZNS1_16scan_by_key_implILNS1_25lookback_scan_determinismE0ELb1ES3_N6thrust23THRUST_200600_302600_NS6detail15normal_iteratorINS9_10device_ptrIsEEEESE_SE_sNS9_4plusIvEENS9_8equal_toIvEEsEE10hipError_tPvRmT2_T3_T4_T5_mT6_T7_P12ihipStream_tbENKUlT_T0_E_clISt17integral_constantIbLb0EESZ_EEDaSU_SV_EUlSU_E_NS1_11comp_targetILNS1_3genE8ELNS1_11target_archE1030ELNS1_3gpuE2ELNS1_3repE0EEENS1_30default_config_static_selectorELNS0_4arch9wavefront6targetE1EEEvT1_ ; -- Begin function _ZN7rocprim17ROCPRIM_400000_NS6detail17trampoline_kernelINS0_14default_configENS1_27scan_by_key_config_selectorIssEEZZNS1_16scan_by_key_implILNS1_25lookback_scan_determinismE0ELb1ES3_N6thrust23THRUST_200600_302600_NS6detail15normal_iteratorINS9_10device_ptrIsEEEESE_SE_sNS9_4plusIvEENS9_8equal_toIvEEsEE10hipError_tPvRmT2_T3_T4_T5_mT6_T7_P12ihipStream_tbENKUlT_T0_E_clISt17integral_constantIbLb0EESZ_EEDaSU_SV_EUlSU_E_NS1_11comp_targetILNS1_3genE8ELNS1_11target_archE1030ELNS1_3gpuE2ELNS1_3repE0EEENS1_30default_config_static_selectorELNS0_4arch9wavefront6targetE1EEEvT1_
	.globl	_ZN7rocprim17ROCPRIM_400000_NS6detail17trampoline_kernelINS0_14default_configENS1_27scan_by_key_config_selectorIssEEZZNS1_16scan_by_key_implILNS1_25lookback_scan_determinismE0ELb1ES3_N6thrust23THRUST_200600_302600_NS6detail15normal_iteratorINS9_10device_ptrIsEEEESE_SE_sNS9_4plusIvEENS9_8equal_toIvEEsEE10hipError_tPvRmT2_T3_T4_T5_mT6_T7_P12ihipStream_tbENKUlT_T0_E_clISt17integral_constantIbLb0EESZ_EEDaSU_SV_EUlSU_E_NS1_11comp_targetILNS1_3genE8ELNS1_11target_archE1030ELNS1_3gpuE2ELNS1_3repE0EEENS1_30default_config_static_selectorELNS0_4arch9wavefront6targetE1EEEvT1_
	.p2align	8
	.type	_ZN7rocprim17ROCPRIM_400000_NS6detail17trampoline_kernelINS0_14default_configENS1_27scan_by_key_config_selectorIssEEZZNS1_16scan_by_key_implILNS1_25lookback_scan_determinismE0ELb1ES3_N6thrust23THRUST_200600_302600_NS6detail15normal_iteratorINS9_10device_ptrIsEEEESE_SE_sNS9_4plusIvEENS9_8equal_toIvEEsEE10hipError_tPvRmT2_T3_T4_T5_mT6_T7_P12ihipStream_tbENKUlT_T0_E_clISt17integral_constantIbLb0EESZ_EEDaSU_SV_EUlSU_E_NS1_11comp_targetILNS1_3genE8ELNS1_11target_archE1030ELNS1_3gpuE2ELNS1_3repE0EEENS1_30default_config_static_selectorELNS0_4arch9wavefront6targetE1EEEvT1_,@function
_ZN7rocprim17ROCPRIM_400000_NS6detail17trampoline_kernelINS0_14default_configENS1_27scan_by_key_config_selectorIssEEZZNS1_16scan_by_key_implILNS1_25lookback_scan_determinismE0ELb1ES3_N6thrust23THRUST_200600_302600_NS6detail15normal_iteratorINS9_10device_ptrIsEEEESE_SE_sNS9_4plusIvEENS9_8equal_toIvEEsEE10hipError_tPvRmT2_T3_T4_T5_mT6_T7_P12ihipStream_tbENKUlT_T0_E_clISt17integral_constantIbLb0EESZ_EEDaSU_SV_EUlSU_E_NS1_11comp_targetILNS1_3genE8ELNS1_11target_archE1030ELNS1_3gpuE2ELNS1_3repE0EEENS1_30default_config_static_selectorELNS0_4arch9wavefront6targetE1EEEvT1_: ; @_ZN7rocprim17ROCPRIM_400000_NS6detail17trampoline_kernelINS0_14default_configENS1_27scan_by_key_config_selectorIssEEZZNS1_16scan_by_key_implILNS1_25lookback_scan_determinismE0ELb1ES3_N6thrust23THRUST_200600_302600_NS6detail15normal_iteratorINS9_10device_ptrIsEEEESE_SE_sNS9_4plusIvEENS9_8equal_toIvEEsEE10hipError_tPvRmT2_T3_T4_T5_mT6_T7_P12ihipStream_tbENKUlT_T0_E_clISt17integral_constantIbLb0EESZ_EEDaSU_SV_EUlSU_E_NS1_11comp_targetILNS1_3genE8ELNS1_11target_archE1030ELNS1_3gpuE2ELNS1_3repE0EEENS1_30default_config_static_selectorELNS0_4arch9wavefront6targetE1EEEvT1_
; %bb.0:
	.section	.rodata,"a",@progbits
	.p2align	6, 0x0
	.amdhsa_kernel _ZN7rocprim17ROCPRIM_400000_NS6detail17trampoline_kernelINS0_14default_configENS1_27scan_by_key_config_selectorIssEEZZNS1_16scan_by_key_implILNS1_25lookback_scan_determinismE0ELb1ES3_N6thrust23THRUST_200600_302600_NS6detail15normal_iteratorINS9_10device_ptrIsEEEESE_SE_sNS9_4plusIvEENS9_8equal_toIvEEsEE10hipError_tPvRmT2_T3_T4_T5_mT6_T7_P12ihipStream_tbENKUlT_T0_E_clISt17integral_constantIbLb0EESZ_EEDaSU_SV_EUlSU_E_NS1_11comp_targetILNS1_3genE8ELNS1_11target_archE1030ELNS1_3gpuE2ELNS1_3repE0EEENS1_30default_config_static_selectorELNS0_4arch9wavefront6targetE1EEEvT1_
		.amdhsa_group_segment_fixed_size 0
		.amdhsa_private_segment_fixed_size 0
		.amdhsa_kernarg_size 112
		.amdhsa_user_sgpr_count 2
		.amdhsa_user_sgpr_dispatch_ptr 0
		.amdhsa_user_sgpr_queue_ptr 0
		.amdhsa_user_sgpr_kernarg_segment_ptr 1
		.amdhsa_user_sgpr_dispatch_id 0
		.amdhsa_user_sgpr_kernarg_preload_length 0
		.amdhsa_user_sgpr_kernarg_preload_offset 0
		.amdhsa_user_sgpr_private_segment_size 0
		.amdhsa_uses_dynamic_stack 0
		.amdhsa_enable_private_segment 0
		.amdhsa_system_sgpr_workgroup_id_x 1
		.amdhsa_system_sgpr_workgroup_id_y 0
		.amdhsa_system_sgpr_workgroup_id_z 0
		.amdhsa_system_sgpr_workgroup_info 0
		.amdhsa_system_vgpr_workitem_id 0
		.amdhsa_next_free_vgpr 1
		.amdhsa_next_free_sgpr 0
		.amdhsa_accum_offset 4
		.amdhsa_reserve_vcc 0
		.amdhsa_float_round_mode_32 0
		.amdhsa_float_round_mode_16_64 0
		.amdhsa_float_denorm_mode_32 3
		.amdhsa_float_denorm_mode_16_64 3
		.amdhsa_dx10_clamp 1
		.amdhsa_ieee_mode 1
		.amdhsa_fp16_overflow 0
		.amdhsa_tg_split 0
		.amdhsa_exception_fp_ieee_invalid_op 0
		.amdhsa_exception_fp_denorm_src 0
		.amdhsa_exception_fp_ieee_div_zero 0
		.amdhsa_exception_fp_ieee_overflow 0
		.amdhsa_exception_fp_ieee_underflow 0
		.amdhsa_exception_fp_ieee_inexact 0
		.amdhsa_exception_int_div_zero 0
	.end_amdhsa_kernel
	.section	.text._ZN7rocprim17ROCPRIM_400000_NS6detail17trampoline_kernelINS0_14default_configENS1_27scan_by_key_config_selectorIssEEZZNS1_16scan_by_key_implILNS1_25lookback_scan_determinismE0ELb1ES3_N6thrust23THRUST_200600_302600_NS6detail15normal_iteratorINS9_10device_ptrIsEEEESE_SE_sNS9_4plusIvEENS9_8equal_toIvEEsEE10hipError_tPvRmT2_T3_T4_T5_mT6_T7_P12ihipStream_tbENKUlT_T0_E_clISt17integral_constantIbLb0EESZ_EEDaSU_SV_EUlSU_E_NS1_11comp_targetILNS1_3genE8ELNS1_11target_archE1030ELNS1_3gpuE2ELNS1_3repE0EEENS1_30default_config_static_selectorELNS0_4arch9wavefront6targetE1EEEvT1_,"axG",@progbits,_ZN7rocprim17ROCPRIM_400000_NS6detail17trampoline_kernelINS0_14default_configENS1_27scan_by_key_config_selectorIssEEZZNS1_16scan_by_key_implILNS1_25lookback_scan_determinismE0ELb1ES3_N6thrust23THRUST_200600_302600_NS6detail15normal_iteratorINS9_10device_ptrIsEEEESE_SE_sNS9_4plusIvEENS9_8equal_toIvEEsEE10hipError_tPvRmT2_T3_T4_T5_mT6_T7_P12ihipStream_tbENKUlT_T0_E_clISt17integral_constantIbLb0EESZ_EEDaSU_SV_EUlSU_E_NS1_11comp_targetILNS1_3genE8ELNS1_11target_archE1030ELNS1_3gpuE2ELNS1_3repE0EEENS1_30default_config_static_selectorELNS0_4arch9wavefront6targetE1EEEvT1_,comdat
.Lfunc_end577:
	.size	_ZN7rocprim17ROCPRIM_400000_NS6detail17trampoline_kernelINS0_14default_configENS1_27scan_by_key_config_selectorIssEEZZNS1_16scan_by_key_implILNS1_25lookback_scan_determinismE0ELb1ES3_N6thrust23THRUST_200600_302600_NS6detail15normal_iteratorINS9_10device_ptrIsEEEESE_SE_sNS9_4plusIvEENS9_8equal_toIvEEsEE10hipError_tPvRmT2_T3_T4_T5_mT6_T7_P12ihipStream_tbENKUlT_T0_E_clISt17integral_constantIbLb0EESZ_EEDaSU_SV_EUlSU_E_NS1_11comp_targetILNS1_3genE8ELNS1_11target_archE1030ELNS1_3gpuE2ELNS1_3repE0EEENS1_30default_config_static_selectorELNS0_4arch9wavefront6targetE1EEEvT1_, .Lfunc_end577-_ZN7rocprim17ROCPRIM_400000_NS6detail17trampoline_kernelINS0_14default_configENS1_27scan_by_key_config_selectorIssEEZZNS1_16scan_by_key_implILNS1_25lookback_scan_determinismE0ELb1ES3_N6thrust23THRUST_200600_302600_NS6detail15normal_iteratorINS9_10device_ptrIsEEEESE_SE_sNS9_4plusIvEENS9_8equal_toIvEEsEE10hipError_tPvRmT2_T3_T4_T5_mT6_T7_P12ihipStream_tbENKUlT_T0_E_clISt17integral_constantIbLb0EESZ_EEDaSU_SV_EUlSU_E_NS1_11comp_targetILNS1_3genE8ELNS1_11target_archE1030ELNS1_3gpuE2ELNS1_3repE0EEENS1_30default_config_static_selectorELNS0_4arch9wavefront6targetE1EEEvT1_
                                        ; -- End function
	.section	.AMDGPU.csdata,"",@progbits
; Kernel info:
; codeLenInByte = 0
; NumSgprs: 6
; NumVgprs: 0
; NumAgprs: 0
; TotalNumVgprs: 0
; ScratchSize: 0
; MemoryBound: 0
; FloatMode: 240
; IeeeMode: 1
; LDSByteSize: 0 bytes/workgroup (compile time only)
; SGPRBlocks: 0
; VGPRBlocks: 0
; NumSGPRsForWavesPerEU: 6
; NumVGPRsForWavesPerEU: 1
; AccumOffset: 4
; Occupancy: 8
; WaveLimiterHint : 0
; COMPUTE_PGM_RSRC2:SCRATCH_EN: 0
; COMPUTE_PGM_RSRC2:USER_SGPR: 2
; COMPUTE_PGM_RSRC2:TRAP_HANDLER: 0
; COMPUTE_PGM_RSRC2:TGID_X_EN: 1
; COMPUTE_PGM_RSRC2:TGID_Y_EN: 0
; COMPUTE_PGM_RSRC2:TGID_Z_EN: 0
; COMPUTE_PGM_RSRC2:TIDIG_COMP_CNT: 0
; COMPUTE_PGM_RSRC3_GFX90A:ACCUM_OFFSET: 0
; COMPUTE_PGM_RSRC3_GFX90A:TG_SPLIT: 0
	.section	.text._ZN7rocprim17ROCPRIM_400000_NS6detail17trampoline_kernelINS0_14default_configENS1_27scan_by_key_config_selectorIssEEZZNS1_16scan_by_key_implILNS1_25lookback_scan_determinismE0ELb1ES3_N6thrust23THRUST_200600_302600_NS6detail15normal_iteratorINS9_10device_ptrIsEEEESE_SE_sNS9_4plusIvEENS9_8equal_toIvEEsEE10hipError_tPvRmT2_T3_T4_T5_mT6_T7_P12ihipStream_tbENKUlT_T0_E_clISt17integral_constantIbLb1EESZ_EEDaSU_SV_EUlSU_E_NS1_11comp_targetILNS1_3genE0ELNS1_11target_archE4294967295ELNS1_3gpuE0ELNS1_3repE0EEENS1_30default_config_static_selectorELNS0_4arch9wavefront6targetE1EEEvT1_,"axG",@progbits,_ZN7rocprim17ROCPRIM_400000_NS6detail17trampoline_kernelINS0_14default_configENS1_27scan_by_key_config_selectorIssEEZZNS1_16scan_by_key_implILNS1_25lookback_scan_determinismE0ELb1ES3_N6thrust23THRUST_200600_302600_NS6detail15normal_iteratorINS9_10device_ptrIsEEEESE_SE_sNS9_4plusIvEENS9_8equal_toIvEEsEE10hipError_tPvRmT2_T3_T4_T5_mT6_T7_P12ihipStream_tbENKUlT_T0_E_clISt17integral_constantIbLb1EESZ_EEDaSU_SV_EUlSU_E_NS1_11comp_targetILNS1_3genE0ELNS1_11target_archE4294967295ELNS1_3gpuE0ELNS1_3repE0EEENS1_30default_config_static_selectorELNS0_4arch9wavefront6targetE1EEEvT1_,comdat
	.protected	_ZN7rocprim17ROCPRIM_400000_NS6detail17trampoline_kernelINS0_14default_configENS1_27scan_by_key_config_selectorIssEEZZNS1_16scan_by_key_implILNS1_25lookback_scan_determinismE0ELb1ES3_N6thrust23THRUST_200600_302600_NS6detail15normal_iteratorINS9_10device_ptrIsEEEESE_SE_sNS9_4plusIvEENS9_8equal_toIvEEsEE10hipError_tPvRmT2_T3_T4_T5_mT6_T7_P12ihipStream_tbENKUlT_T0_E_clISt17integral_constantIbLb1EESZ_EEDaSU_SV_EUlSU_E_NS1_11comp_targetILNS1_3genE0ELNS1_11target_archE4294967295ELNS1_3gpuE0ELNS1_3repE0EEENS1_30default_config_static_selectorELNS0_4arch9wavefront6targetE1EEEvT1_ ; -- Begin function _ZN7rocprim17ROCPRIM_400000_NS6detail17trampoline_kernelINS0_14default_configENS1_27scan_by_key_config_selectorIssEEZZNS1_16scan_by_key_implILNS1_25lookback_scan_determinismE0ELb1ES3_N6thrust23THRUST_200600_302600_NS6detail15normal_iteratorINS9_10device_ptrIsEEEESE_SE_sNS9_4plusIvEENS9_8equal_toIvEEsEE10hipError_tPvRmT2_T3_T4_T5_mT6_T7_P12ihipStream_tbENKUlT_T0_E_clISt17integral_constantIbLb1EESZ_EEDaSU_SV_EUlSU_E_NS1_11comp_targetILNS1_3genE0ELNS1_11target_archE4294967295ELNS1_3gpuE0ELNS1_3repE0EEENS1_30default_config_static_selectorELNS0_4arch9wavefront6targetE1EEEvT1_
	.globl	_ZN7rocprim17ROCPRIM_400000_NS6detail17trampoline_kernelINS0_14default_configENS1_27scan_by_key_config_selectorIssEEZZNS1_16scan_by_key_implILNS1_25lookback_scan_determinismE0ELb1ES3_N6thrust23THRUST_200600_302600_NS6detail15normal_iteratorINS9_10device_ptrIsEEEESE_SE_sNS9_4plusIvEENS9_8equal_toIvEEsEE10hipError_tPvRmT2_T3_T4_T5_mT6_T7_P12ihipStream_tbENKUlT_T0_E_clISt17integral_constantIbLb1EESZ_EEDaSU_SV_EUlSU_E_NS1_11comp_targetILNS1_3genE0ELNS1_11target_archE4294967295ELNS1_3gpuE0ELNS1_3repE0EEENS1_30default_config_static_selectorELNS0_4arch9wavefront6targetE1EEEvT1_
	.p2align	8
	.type	_ZN7rocprim17ROCPRIM_400000_NS6detail17trampoline_kernelINS0_14default_configENS1_27scan_by_key_config_selectorIssEEZZNS1_16scan_by_key_implILNS1_25lookback_scan_determinismE0ELb1ES3_N6thrust23THRUST_200600_302600_NS6detail15normal_iteratorINS9_10device_ptrIsEEEESE_SE_sNS9_4plusIvEENS9_8equal_toIvEEsEE10hipError_tPvRmT2_T3_T4_T5_mT6_T7_P12ihipStream_tbENKUlT_T0_E_clISt17integral_constantIbLb1EESZ_EEDaSU_SV_EUlSU_E_NS1_11comp_targetILNS1_3genE0ELNS1_11target_archE4294967295ELNS1_3gpuE0ELNS1_3repE0EEENS1_30default_config_static_selectorELNS0_4arch9wavefront6targetE1EEEvT1_,@function
_ZN7rocprim17ROCPRIM_400000_NS6detail17trampoline_kernelINS0_14default_configENS1_27scan_by_key_config_selectorIssEEZZNS1_16scan_by_key_implILNS1_25lookback_scan_determinismE0ELb1ES3_N6thrust23THRUST_200600_302600_NS6detail15normal_iteratorINS9_10device_ptrIsEEEESE_SE_sNS9_4plusIvEENS9_8equal_toIvEEsEE10hipError_tPvRmT2_T3_T4_T5_mT6_T7_P12ihipStream_tbENKUlT_T0_E_clISt17integral_constantIbLb1EESZ_EEDaSU_SV_EUlSU_E_NS1_11comp_targetILNS1_3genE0ELNS1_11target_archE4294967295ELNS1_3gpuE0ELNS1_3repE0EEENS1_30default_config_static_selectorELNS0_4arch9wavefront6targetE1EEEvT1_: ; @_ZN7rocprim17ROCPRIM_400000_NS6detail17trampoline_kernelINS0_14default_configENS1_27scan_by_key_config_selectorIssEEZZNS1_16scan_by_key_implILNS1_25lookback_scan_determinismE0ELb1ES3_N6thrust23THRUST_200600_302600_NS6detail15normal_iteratorINS9_10device_ptrIsEEEESE_SE_sNS9_4plusIvEENS9_8equal_toIvEEsEE10hipError_tPvRmT2_T3_T4_T5_mT6_T7_P12ihipStream_tbENKUlT_T0_E_clISt17integral_constantIbLb1EESZ_EEDaSU_SV_EUlSU_E_NS1_11comp_targetILNS1_3genE0ELNS1_11target_archE4294967295ELNS1_3gpuE0ELNS1_3repE0EEENS1_30default_config_static_selectorELNS0_4arch9wavefront6targetE1EEEvT1_
; %bb.0:
	.section	.rodata,"a",@progbits
	.p2align	6, 0x0
	.amdhsa_kernel _ZN7rocprim17ROCPRIM_400000_NS6detail17trampoline_kernelINS0_14default_configENS1_27scan_by_key_config_selectorIssEEZZNS1_16scan_by_key_implILNS1_25lookback_scan_determinismE0ELb1ES3_N6thrust23THRUST_200600_302600_NS6detail15normal_iteratorINS9_10device_ptrIsEEEESE_SE_sNS9_4plusIvEENS9_8equal_toIvEEsEE10hipError_tPvRmT2_T3_T4_T5_mT6_T7_P12ihipStream_tbENKUlT_T0_E_clISt17integral_constantIbLb1EESZ_EEDaSU_SV_EUlSU_E_NS1_11comp_targetILNS1_3genE0ELNS1_11target_archE4294967295ELNS1_3gpuE0ELNS1_3repE0EEENS1_30default_config_static_selectorELNS0_4arch9wavefront6targetE1EEEvT1_
		.amdhsa_group_segment_fixed_size 0
		.amdhsa_private_segment_fixed_size 0
		.amdhsa_kernarg_size 112
		.amdhsa_user_sgpr_count 2
		.amdhsa_user_sgpr_dispatch_ptr 0
		.amdhsa_user_sgpr_queue_ptr 0
		.amdhsa_user_sgpr_kernarg_segment_ptr 1
		.amdhsa_user_sgpr_dispatch_id 0
		.amdhsa_user_sgpr_kernarg_preload_length 0
		.amdhsa_user_sgpr_kernarg_preload_offset 0
		.amdhsa_user_sgpr_private_segment_size 0
		.amdhsa_uses_dynamic_stack 0
		.amdhsa_enable_private_segment 0
		.amdhsa_system_sgpr_workgroup_id_x 1
		.amdhsa_system_sgpr_workgroup_id_y 0
		.amdhsa_system_sgpr_workgroup_id_z 0
		.amdhsa_system_sgpr_workgroup_info 0
		.amdhsa_system_vgpr_workitem_id 0
		.amdhsa_next_free_vgpr 1
		.amdhsa_next_free_sgpr 0
		.amdhsa_accum_offset 4
		.amdhsa_reserve_vcc 0
		.amdhsa_float_round_mode_32 0
		.amdhsa_float_round_mode_16_64 0
		.amdhsa_float_denorm_mode_32 3
		.amdhsa_float_denorm_mode_16_64 3
		.amdhsa_dx10_clamp 1
		.amdhsa_ieee_mode 1
		.amdhsa_fp16_overflow 0
		.amdhsa_tg_split 0
		.amdhsa_exception_fp_ieee_invalid_op 0
		.amdhsa_exception_fp_denorm_src 0
		.amdhsa_exception_fp_ieee_div_zero 0
		.amdhsa_exception_fp_ieee_overflow 0
		.amdhsa_exception_fp_ieee_underflow 0
		.amdhsa_exception_fp_ieee_inexact 0
		.amdhsa_exception_int_div_zero 0
	.end_amdhsa_kernel
	.section	.text._ZN7rocprim17ROCPRIM_400000_NS6detail17trampoline_kernelINS0_14default_configENS1_27scan_by_key_config_selectorIssEEZZNS1_16scan_by_key_implILNS1_25lookback_scan_determinismE0ELb1ES3_N6thrust23THRUST_200600_302600_NS6detail15normal_iteratorINS9_10device_ptrIsEEEESE_SE_sNS9_4plusIvEENS9_8equal_toIvEEsEE10hipError_tPvRmT2_T3_T4_T5_mT6_T7_P12ihipStream_tbENKUlT_T0_E_clISt17integral_constantIbLb1EESZ_EEDaSU_SV_EUlSU_E_NS1_11comp_targetILNS1_3genE0ELNS1_11target_archE4294967295ELNS1_3gpuE0ELNS1_3repE0EEENS1_30default_config_static_selectorELNS0_4arch9wavefront6targetE1EEEvT1_,"axG",@progbits,_ZN7rocprim17ROCPRIM_400000_NS6detail17trampoline_kernelINS0_14default_configENS1_27scan_by_key_config_selectorIssEEZZNS1_16scan_by_key_implILNS1_25lookback_scan_determinismE0ELb1ES3_N6thrust23THRUST_200600_302600_NS6detail15normal_iteratorINS9_10device_ptrIsEEEESE_SE_sNS9_4plusIvEENS9_8equal_toIvEEsEE10hipError_tPvRmT2_T3_T4_T5_mT6_T7_P12ihipStream_tbENKUlT_T0_E_clISt17integral_constantIbLb1EESZ_EEDaSU_SV_EUlSU_E_NS1_11comp_targetILNS1_3genE0ELNS1_11target_archE4294967295ELNS1_3gpuE0ELNS1_3repE0EEENS1_30default_config_static_selectorELNS0_4arch9wavefront6targetE1EEEvT1_,comdat
.Lfunc_end578:
	.size	_ZN7rocprim17ROCPRIM_400000_NS6detail17trampoline_kernelINS0_14default_configENS1_27scan_by_key_config_selectorIssEEZZNS1_16scan_by_key_implILNS1_25lookback_scan_determinismE0ELb1ES3_N6thrust23THRUST_200600_302600_NS6detail15normal_iteratorINS9_10device_ptrIsEEEESE_SE_sNS9_4plusIvEENS9_8equal_toIvEEsEE10hipError_tPvRmT2_T3_T4_T5_mT6_T7_P12ihipStream_tbENKUlT_T0_E_clISt17integral_constantIbLb1EESZ_EEDaSU_SV_EUlSU_E_NS1_11comp_targetILNS1_3genE0ELNS1_11target_archE4294967295ELNS1_3gpuE0ELNS1_3repE0EEENS1_30default_config_static_selectorELNS0_4arch9wavefront6targetE1EEEvT1_, .Lfunc_end578-_ZN7rocprim17ROCPRIM_400000_NS6detail17trampoline_kernelINS0_14default_configENS1_27scan_by_key_config_selectorIssEEZZNS1_16scan_by_key_implILNS1_25lookback_scan_determinismE0ELb1ES3_N6thrust23THRUST_200600_302600_NS6detail15normal_iteratorINS9_10device_ptrIsEEEESE_SE_sNS9_4plusIvEENS9_8equal_toIvEEsEE10hipError_tPvRmT2_T3_T4_T5_mT6_T7_P12ihipStream_tbENKUlT_T0_E_clISt17integral_constantIbLb1EESZ_EEDaSU_SV_EUlSU_E_NS1_11comp_targetILNS1_3genE0ELNS1_11target_archE4294967295ELNS1_3gpuE0ELNS1_3repE0EEENS1_30default_config_static_selectorELNS0_4arch9wavefront6targetE1EEEvT1_
                                        ; -- End function
	.section	.AMDGPU.csdata,"",@progbits
; Kernel info:
; codeLenInByte = 0
; NumSgprs: 6
; NumVgprs: 0
; NumAgprs: 0
; TotalNumVgprs: 0
; ScratchSize: 0
; MemoryBound: 0
; FloatMode: 240
; IeeeMode: 1
; LDSByteSize: 0 bytes/workgroup (compile time only)
; SGPRBlocks: 0
; VGPRBlocks: 0
; NumSGPRsForWavesPerEU: 6
; NumVGPRsForWavesPerEU: 1
; AccumOffset: 4
; Occupancy: 8
; WaveLimiterHint : 0
; COMPUTE_PGM_RSRC2:SCRATCH_EN: 0
; COMPUTE_PGM_RSRC2:USER_SGPR: 2
; COMPUTE_PGM_RSRC2:TRAP_HANDLER: 0
; COMPUTE_PGM_RSRC2:TGID_X_EN: 1
; COMPUTE_PGM_RSRC2:TGID_Y_EN: 0
; COMPUTE_PGM_RSRC2:TGID_Z_EN: 0
; COMPUTE_PGM_RSRC2:TIDIG_COMP_CNT: 0
; COMPUTE_PGM_RSRC3_GFX90A:ACCUM_OFFSET: 0
; COMPUTE_PGM_RSRC3_GFX90A:TG_SPLIT: 0
	.section	.text._ZN7rocprim17ROCPRIM_400000_NS6detail17trampoline_kernelINS0_14default_configENS1_27scan_by_key_config_selectorIssEEZZNS1_16scan_by_key_implILNS1_25lookback_scan_determinismE0ELb1ES3_N6thrust23THRUST_200600_302600_NS6detail15normal_iteratorINS9_10device_ptrIsEEEESE_SE_sNS9_4plusIvEENS9_8equal_toIvEEsEE10hipError_tPvRmT2_T3_T4_T5_mT6_T7_P12ihipStream_tbENKUlT_T0_E_clISt17integral_constantIbLb1EESZ_EEDaSU_SV_EUlSU_E_NS1_11comp_targetILNS1_3genE10ELNS1_11target_archE1201ELNS1_3gpuE5ELNS1_3repE0EEENS1_30default_config_static_selectorELNS0_4arch9wavefront6targetE1EEEvT1_,"axG",@progbits,_ZN7rocprim17ROCPRIM_400000_NS6detail17trampoline_kernelINS0_14default_configENS1_27scan_by_key_config_selectorIssEEZZNS1_16scan_by_key_implILNS1_25lookback_scan_determinismE0ELb1ES3_N6thrust23THRUST_200600_302600_NS6detail15normal_iteratorINS9_10device_ptrIsEEEESE_SE_sNS9_4plusIvEENS9_8equal_toIvEEsEE10hipError_tPvRmT2_T3_T4_T5_mT6_T7_P12ihipStream_tbENKUlT_T0_E_clISt17integral_constantIbLb1EESZ_EEDaSU_SV_EUlSU_E_NS1_11comp_targetILNS1_3genE10ELNS1_11target_archE1201ELNS1_3gpuE5ELNS1_3repE0EEENS1_30default_config_static_selectorELNS0_4arch9wavefront6targetE1EEEvT1_,comdat
	.protected	_ZN7rocprim17ROCPRIM_400000_NS6detail17trampoline_kernelINS0_14default_configENS1_27scan_by_key_config_selectorIssEEZZNS1_16scan_by_key_implILNS1_25lookback_scan_determinismE0ELb1ES3_N6thrust23THRUST_200600_302600_NS6detail15normal_iteratorINS9_10device_ptrIsEEEESE_SE_sNS9_4plusIvEENS9_8equal_toIvEEsEE10hipError_tPvRmT2_T3_T4_T5_mT6_T7_P12ihipStream_tbENKUlT_T0_E_clISt17integral_constantIbLb1EESZ_EEDaSU_SV_EUlSU_E_NS1_11comp_targetILNS1_3genE10ELNS1_11target_archE1201ELNS1_3gpuE5ELNS1_3repE0EEENS1_30default_config_static_selectorELNS0_4arch9wavefront6targetE1EEEvT1_ ; -- Begin function _ZN7rocprim17ROCPRIM_400000_NS6detail17trampoline_kernelINS0_14default_configENS1_27scan_by_key_config_selectorIssEEZZNS1_16scan_by_key_implILNS1_25lookback_scan_determinismE0ELb1ES3_N6thrust23THRUST_200600_302600_NS6detail15normal_iteratorINS9_10device_ptrIsEEEESE_SE_sNS9_4plusIvEENS9_8equal_toIvEEsEE10hipError_tPvRmT2_T3_T4_T5_mT6_T7_P12ihipStream_tbENKUlT_T0_E_clISt17integral_constantIbLb1EESZ_EEDaSU_SV_EUlSU_E_NS1_11comp_targetILNS1_3genE10ELNS1_11target_archE1201ELNS1_3gpuE5ELNS1_3repE0EEENS1_30default_config_static_selectorELNS0_4arch9wavefront6targetE1EEEvT1_
	.globl	_ZN7rocprim17ROCPRIM_400000_NS6detail17trampoline_kernelINS0_14default_configENS1_27scan_by_key_config_selectorIssEEZZNS1_16scan_by_key_implILNS1_25lookback_scan_determinismE0ELb1ES3_N6thrust23THRUST_200600_302600_NS6detail15normal_iteratorINS9_10device_ptrIsEEEESE_SE_sNS9_4plusIvEENS9_8equal_toIvEEsEE10hipError_tPvRmT2_T3_T4_T5_mT6_T7_P12ihipStream_tbENKUlT_T0_E_clISt17integral_constantIbLb1EESZ_EEDaSU_SV_EUlSU_E_NS1_11comp_targetILNS1_3genE10ELNS1_11target_archE1201ELNS1_3gpuE5ELNS1_3repE0EEENS1_30default_config_static_selectorELNS0_4arch9wavefront6targetE1EEEvT1_
	.p2align	8
	.type	_ZN7rocprim17ROCPRIM_400000_NS6detail17trampoline_kernelINS0_14default_configENS1_27scan_by_key_config_selectorIssEEZZNS1_16scan_by_key_implILNS1_25lookback_scan_determinismE0ELb1ES3_N6thrust23THRUST_200600_302600_NS6detail15normal_iteratorINS9_10device_ptrIsEEEESE_SE_sNS9_4plusIvEENS9_8equal_toIvEEsEE10hipError_tPvRmT2_T3_T4_T5_mT6_T7_P12ihipStream_tbENKUlT_T0_E_clISt17integral_constantIbLb1EESZ_EEDaSU_SV_EUlSU_E_NS1_11comp_targetILNS1_3genE10ELNS1_11target_archE1201ELNS1_3gpuE5ELNS1_3repE0EEENS1_30default_config_static_selectorELNS0_4arch9wavefront6targetE1EEEvT1_,@function
_ZN7rocprim17ROCPRIM_400000_NS6detail17trampoline_kernelINS0_14default_configENS1_27scan_by_key_config_selectorIssEEZZNS1_16scan_by_key_implILNS1_25lookback_scan_determinismE0ELb1ES3_N6thrust23THRUST_200600_302600_NS6detail15normal_iteratorINS9_10device_ptrIsEEEESE_SE_sNS9_4plusIvEENS9_8equal_toIvEEsEE10hipError_tPvRmT2_T3_T4_T5_mT6_T7_P12ihipStream_tbENKUlT_T0_E_clISt17integral_constantIbLb1EESZ_EEDaSU_SV_EUlSU_E_NS1_11comp_targetILNS1_3genE10ELNS1_11target_archE1201ELNS1_3gpuE5ELNS1_3repE0EEENS1_30default_config_static_selectorELNS0_4arch9wavefront6targetE1EEEvT1_: ; @_ZN7rocprim17ROCPRIM_400000_NS6detail17trampoline_kernelINS0_14default_configENS1_27scan_by_key_config_selectorIssEEZZNS1_16scan_by_key_implILNS1_25lookback_scan_determinismE0ELb1ES3_N6thrust23THRUST_200600_302600_NS6detail15normal_iteratorINS9_10device_ptrIsEEEESE_SE_sNS9_4plusIvEENS9_8equal_toIvEEsEE10hipError_tPvRmT2_T3_T4_T5_mT6_T7_P12ihipStream_tbENKUlT_T0_E_clISt17integral_constantIbLb1EESZ_EEDaSU_SV_EUlSU_E_NS1_11comp_targetILNS1_3genE10ELNS1_11target_archE1201ELNS1_3gpuE5ELNS1_3repE0EEENS1_30default_config_static_selectorELNS0_4arch9wavefront6targetE1EEEvT1_
; %bb.0:
	.section	.rodata,"a",@progbits
	.p2align	6, 0x0
	.amdhsa_kernel _ZN7rocprim17ROCPRIM_400000_NS6detail17trampoline_kernelINS0_14default_configENS1_27scan_by_key_config_selectorIssEEZZNS1_16scan_by_key_implILNS1_25lookback_scan_determinismE0ELb1ES3_N6thrust23THRUST_200600_302600_NS6detail15normal_iteratorINS9_10device_ptrIsEEEESE_SE_sNS9_4plusIvEENS9_8equal_toIvEEsEE10hipError_tPvRmT2_T3_T4_T5_mT6_T7_P12ihipStream_tbENKUlT_T0_E_clISt17integral_constantIbLb1EESZ_EEDaSU_SV_EUlSU_E_NS1_11comp_targetILNS1_3genE10ELNS1_11target_archE1201ELNS1_3gpuE5ELNS1_3repE0EEENS1_30default_config_static_selectorELNS0_4arch9wavefront6targetE1EEEvT1_
		.amdhsa_group_segment_fixed_size 0
		.amdhsa_private_segment_fixed_size 0
		.amdhsa_kernarg_size 112
		.amdhsa_user_sgpr_count 2
		.amdhsa_user_sgpr_dispatch_ptr 0
		.amdhsa_user_sgpr_queue_ptr 0
		.amdhsa_user_sgpr_kernarg_segment_ptr 1
		.amdhsa_user_sgpr_dispatch_id 0
		.amdhsa_user_sgpr_kernarg_preload_length 0
		.amdhsa_user_sgpr_kernarg_preload_offset 0
		.amdhsa_user_sgpr_private_segment_size 0
		.amdhsa_uses_dynamic_stack 0
		.amdhsa_enable_private_segment 0
		.amdhsa_system_sgpr_workgroup_id_x 1
		.amdhsa_system_sgpr_workgroup_id_y 0
		.amdhsa_system_sgpr_workgroup_id_z 0
		.amdhsa_system_sgpr_workgroup_info 0
		.amdhsa_system_vgpr_workitem_id 0
		.amdhsa_next_free_vgpr 1
		.amdhsa_next_free_sgpr 0
		.amdhsa_accum_offset 4
		.amdhsa_reserve_vcc 0
		.amdhsa_float_round_mode_32 0
		.amdhsa_float_round_mode_16_64 0
		.amdhsa_float_denorm_mode_32 3
		.amdhsa_float_denorm_mode_16_64 3
		.amdhsa_dx10_clamp 1
		.amdhsa_ieee_mode 1
		.amdhsa_fp16_overflow 0
		.amdhsa_tg_split 0
		.amdhsa_exception_fp_ieee_invalid_op 0
		.amdhsa_exception_fp_denorm_src 0
		.amdhsa_exception_fp_ieee_div_zero 0
		.amdhsa_exception_fp_ieee_overflow 0
		.amdhsa_exception_fp_ieee_underflow 0
		.amdhsa_exception_fp_ieee_inexact 0
		.amdhsa_exception_int_div_zero 0
	.end_amdhsa_kernel
	.section	.text._ZN7rocprim17ROCPRIM_400000_NS6detail17trampoline_kernelINS0_14default_configENS1_27scan_by_key_config_selectorIssEEZZNS1_16scan_by_key_implILNS1_25lookback_scan_determinismE0ELb1ES3_N6thrust23THRUST_200600_302600_NS6detail15normal_iteratorINS9_10device_ptrIsEEEESE_SE_sNS9_4plusIvEENS9_8equal_toIvEEsEE10hipError_tPvRmT2_T3_T4_T5_mT6_T7_P12ihipStream_tbENKUlT_T0_E_clISt17integral_constantIbLb1EESZ_EEDaSU_SV_EUlSU_E_NS1_11comp_targetILNS1_3genE10ELNS1_11target_archE1201ELNS1_3gpuE5ELNS1_3repE0EEENS1_30default_config_static_selectorELNS0_4arch9wavefront6targetE1EEEvT1_,"axG",@progbits,_ZN7rocprim17ROCPRIM_400000_NS6detail17trampoline_kernelINS0_14default_configENS1_27scan_by_key_config_selectorIssEEZZNS1_16scan_by_key_implILNS1_25lookback_scan_determinismE0ELb1ES3_N6thrust23THRUST_200600_302600_NS6detail15normal_iteratorINS9_10device_ptrIsEEEESE_SE_sNS9_4plusIvEENS9_8equal_toIvEEsEE10hipError_tPvRmT2_T3_T4_T5_mT6_T7_P12ihipStream_tbENKUlT_T0_E_clISt17integral_constantIbLb1EESZ_EEDaSU_SV_EUlSU_E_NS1_11comp_targetILNS1_3genE10ELNS1_11target_archE1201ELNS1_3gpuE5ELNS1_3repE0EEENS1_30default_config_static_selectorELNS0_4arch9wavefront6targetE1EEEvT1_,comdat
.Lfunc_end579:
	.size	_ZN7rocprim17ROCPRIM_400000_NS6detail17trampoline_kernelINS0_14default_configENS1_27scan_by_key_config_selectorIssEEZZNS1_16scan_by_key_implILNS1_25lookback_scan_determinismE0ELb1ES3_N6thrust23THRUST_200600_302600_NS6detail15normal_iteratorINS9_10device_ptrIsEEEESE_SE_sNS9_4plusIvEENS9_8equal_toIvEEsEE10hipError_tPvRmT2_T3_T4_T5_mT6_T7_P12ihipStream_tbENKUlT_T0_E_clISt17integral_constantIbLb1EESZ_EEDaSU_SV_EUlSU_E_NS1_11comp_targetILNS1_3genE10ELNS1_11target_archE1201ELNS1_3gpuE5ELNS1_3repE0EEENS1_30default_config_static_selectorELNS0_4arch9wavefront6targetE1EEEvT1_, .Lfunc_end579-_ZN7rocprim17ROCPRIM_400000_NS6detail17trampoline_kernelINS0_14default_configENS1_27scan_by_key_config_selectorIssEEZZNS1_16scan_by_key_implILNS1_25lookback_scan_determinismE0ELb1ES3_N6thrust23THRUST_200600_302600_NS6detail15normal_iteratorINS9_10device_ptrIsEEEESE_SE_sNS9_4plusIvEENS9_8equal_toIvEEsEE10hipError_tPvRmT2_T3_T4_T5_mT6_T7_P12ihipStream_tbENKUlT_T0_E_clISt17integral_constantIbLb1EESZ_EEDaSU_SV_EUlSU_E_NS1_11comp_targetILNS1_3genE10ELNS1_11target_archE1201ELNS1_3gpuE5ELNS1_3repE0EEENS1_30default_config_static_selectorELNS0_4arch9wavefront6targetE1EEEvT1_
                                        ; -- End function
	.section	.AMDGPU.csdata,"",@progbits
; Kernel info:
; codeLenInByte = 0
; NumSgprs: 6
; NumVgprs: 0
; NumAgprs: 0
; TotalNumVgprs: 0
; ScratchSize: 0
; MemoryBound: 0
; FloatMode: 240
; IeeeMode: 1
; LDSByteSize: 0 bytes/workgroup (compile time only)
; SGPRBlocks: 0
; VGPRBlocks: 0
; NumSGPRsForWavesPerEU: 6
; NumVGPRsForWavesPerEU: 1
; AccumOffset: 4
; Occupancy: 8
; WaveLimiterHint : 0
; COMPUTE_PGM_RSRC2:SCRATCH_EN: 0
; COMPUTE_PGM_RSRC2:USER_SGPR: 2
; COMPUTE_PGM_RSRC2:TRAP_HANDLER: 0
; COMPUTE_PGM_RSRC2:TGID_X_EN: 1
; COMPUTE_PGM_RSRC2:TGID_Y_EN: 0
; COMPUTE_PGM_RSRC2:TGID_Z_EN: 0
; COMPUTE_PGM_RSRC2:TIDIG_COMP_CNT: 0
; COMPUTE_PGM_RSRC3_GFX90A:ACCUM_OFFSET: 0
; COMPUTE_PGM_RSRC3_GFX90A:TG_SPLIT: 0
	.section	.text._ZN7rocprim17ROCPRIM_400000_NS6detail17trampoline_kernelINS0_14default_configENS1_27scan_by_key_config_selectorIssEEZZNS1_16scan_by_key_implILNS1_25lookback_scan_determinismE0ELb1ES3_N6thrust23THRUST_200600_302600_NS6detail15normal_iteratorINS9_10device_ptrIsEEEESE_SE_sNS9_4plusIvEENS9_8equal_toIvEEsEE10hipError_tPvRmT2_T3_T4_T5_mT6_T7_P12ihipStream_tbENKUlT_T0_E_clISt17integral_constantIbLb1EESZ_EEDaSU_SV_EUlSU_E_NS1_11comp_targetILNS1_3genE5ELNS1_11target_archE942ELNS1_3gpuE9ELNS1_3repE0EEENS1_30default_config_static_selectorELNS0_4arch9wavefront6targetE1EEEvT1_,"axG",@progbits,_ZN7rocprim17ROCPRIM_400000_NS6detail17trampoline_kernelINS0_14default_configENS1_27scan_by_key_config_selectorIssEEZZNS1_16scan_by_key_implILNS1_25lookback_scan_determinismE0ELb1ES3_N6thrust23THRUST_200600_302600_NS6detail15normal_iteratorINS9_10device_ptrIsEEEESE_SE_sNS9_4plusIvEENS9_8equal_toIvEEsEE10hipError_tPvRmT2_T3_T4_T5_mT6_T7_P12ihipStream_tbENKUlT_T0_E_clISt17integral_constantIbLb1EESZ_EEDaSU_SV_EUlSU_E_NS1_11comp_targetILNS1_3genE5ELNS1_11target_archE942ELNS1_3gpuE9ELNS1_3repE0EEENS1_30default_config_static_selectorELNS0_4arch9wavefront6targetE1EEEvT1_,comdat
	.protected	_ZN7rocprim17ROCPRIM_400000_NS6detail17trampoline_kernelINS0_14default_configENS1_27scan_by_key_config_selectorIssEEZZNS1_16scan_by_key_implILNS1_25lookback_scan_determinismE0ELb1ES3_N6thrust23THRUST_200600_302600_NS6detail15normal_iteratorINS9_10device_ptrIsEEEESE_SE_sNS9_4plusIvEENS9_8equal_toIvEEsEE10hipError_tPvRmT2_T3_T4_T5_mT6_T7_P12ihipStream_tbENKUlT_T0_E_clISt17integral_constantIbLb1EESZ_EEDaSU_SV_EUlSU_E_NS1_11comp_targetILNS1_3genE5ELNS1_11target_archE942ELNS1_3gpuE9ELNS1_3repE0EEENS1_30default_config_static_selectorELNS0_4arch9wavefront6targetE1EEEvT1_ ; -- Begin function _ZN7rocprim17ROCPRIM_400000_NS6detail17trampoline_kernelINS0_14default_configENS1_27scan_by_key_config_selectorIssEEZZNS1_16scan_by_key_implILNS1_25lookback_scan_determinismE0ELb1ES3_N6thrust23THRUST_200600_302600_NS6detail15normal_iteratorINS9_10device_ptrIsEEEESE_SE_sNS9_4plusIvEENS9_8equal_toIvEEsEE10hipError_tPvRmT2_T3_T4_T5_mT6_T7_P12ihipStream_tbENKUlT_T0_E_clISt17integral_constantIbLb1EESZ_EEDaSU_SV_EUlSU_E_NS1_11comp_targetILNS1_3genE5ELNS1_11target_archE942ELNS1_3gpuE9ELNS1_3repE0EEENS1_30default_config_static_selectorELNS0_4arch9wavefront6targetE1EEEvT1_
	.globl	_ZN7rocprim17ROCPRIM_400000_NS6detail17trampoline_kernelINS0_14default_configENS1_27scan_by_key_config_selectorIssEEZZNS1_16scan_by_key_implILNS1_25lookback_scan_determinismE0ELb1ES3_N6thrust23THRUST_200600_302600_NS6detail15normal_iteratorINS9_10device_ptrIsEEEESE_SE_sNS9_4plusIvEENS9_8equal_toIvEEsEE10hipError_tPvRmT2_T3_T4_T5_mT6_T7_P12ihipStream_tbENKUlT_T0_E_clISt17integral_constantIbLb1EESZ_EEDaSU_SV_EUlSU_E_NS1_11comp_targetILNS1_3genE5ELNS1_11target_archE942ELNS1_3gpuE9ELNS1_3repE0EEENS1_30default_config_static_selectorELNS0_4arch9wavefront6targetE1EEEvT1_
	.p2align	8
	.type	_ZN7rocprim17ROCPRIM_400000_NS6detail17trampoline_kernelINS0_14default_configENS1_27scan_by_key_config_selectorIssEEZZNS1_16scan_by_key_implILNS1_25lookback_scan_determinismE0ELb1ES3_N6thrust23THRUST_200600_302600_NS6detail15normal_iteratorINS9_10device_ptrIsEEEESE_SE_sNS9_4plusIvEENS9_8equal_toIvEEsEE10hipError_tPvRmT2_T3_T4_T5_mT6_T7_P12ihipStream_tbENKUlT_T0_E_clISt17integral_constantIbLb1EESZ_EEDaSU_SV_EUlSU_E_NS1_11comp_targetILNS1_3genE5ELNS1_11target_archE942ELNS1_3gpuE9ELNS1_3repE0EEENS1_30default_config_static_selectorELNS0_4arch9wavefront6targetE1EEEvT1_,@function
_ZN7rocprim17ROCPRIM_400000_NS6detail17trampoline_kernelINS0_14default_configENS1_27scan_by_key_config_selectorIssEEZZNS1_16scan_by_key_implILNS1_25lookback_scan_determinismE0ELb1ES3_N6thrust23THRUST_200600_302600_NS6detail15normal_iteratorINS9_10device_ptrIsEEEESE_SE_sNS9_4plusIvEENS9_8equal_toIvEEsEE10hipError_tPvRmT2_T3_T4_T5_mT6_T7_P12ihipStream_tbENKUlT_T0_E_clISt17integral_constantIbLb1EESZ_EEDaSU_SV_EUlSU_E_NS1_11comp_targetILNS1_3genE5ELNS1_11target_archE942ELNS1_3gpuE9ELNS1_3repE0EEENS1_30default_config_static_selectorELNS0_4arch9wavefront6targetE1EEEvT1_: ; @_ZN7rocprim17ROCPRIM_400000_NS6detail17trampoline_kernelINS0_14default_configENS1_27scan_by_key_config_selectorIssEEZZNS1_16scan_by_key_implILNS1_25lookback_scan_determinismE0ELb1ES3_N6thrust23THRUST_200600_302600_NS6detail15normal_iteratorINS9_10device_ptrIsEEEESE_SE_sNS9_4plusIvEENS9_8equal_toIvEEsEE10hipError_tPvRmT2_T3_T4_T5_mT6_T7_P12ihipStream_tbENKUlT_T0_E_clISt17integral_constantIbLb1EESZ_EEDaSU_SV_EUlSU_E_NS1_11comp_targetILNS1_3genE5ELNS1_11target_archE942ELNS1_3gpuE9ELNS1_3repE0EEENS1_30default_config_static_selectorELNS0_4arch9wavefront6targetE1EEEvT1_
; %bb.0:
	s_load_dword s74, s[0:1], 0x20
	s_load_dwordx4 s[64:67], s[0:1], 0x28
	s_load_dwordx2 s[72:73], s[0:1], 0x38
	v_cmp_eq_u32_e64 s[52:53], 0, v0
	s_and_saveexec_b64 s[2:3], s[52:53]
	s_cbranch_execz .LBB580_4
; %bb.1:
	s_mov_b64 s[6:7], exec
	v_mbcnt_lo_u32_b32 v1, s6, 0
	v_mbcnt_hi_u32_b32 v1, s7, v1
	v_cmp_eq_u32_e32 vcc, 0, v1
                                        ; implicit-def: $vgpr2
	s_and_saveexec_b64 s[4:5], vcc
	s_cbranch_execz .LBB580_3
; %bb.2:
	s_load_dwordx2 s[8:9], s[0:1], 0x68
	s_bcnt1_i32_b64 s6, s[6:7]
	v_mov_b32_e32 v2, 0
	v_mov_b32_e32 v3, s6
	s_waitcnt lgkmcnt(0)
	global_atomic_add v2, v2, v3, s[8:9] sc0
.LBB580_3:
	s_or_b64 exec, exec, s[4:5]
	s_waitcnt vmcnt(0)
	v_readfirstlane_b32 s4, v2
	v_mov_b32_e32 v2, 0
	s_nop 0
	v_add_u32_e32 v1, s4, v1
	ds_write_b32 v2, v1
.LBB580_4:
	s_or_b64 exec, exec, s[2:3]
	s_load_dwordx8 s[56:63], s[0:1], 0x0
	s_load_dword s2, s[0:1], 0x40
	s_load_dwordx4 s[68:71], s[0:1], 0x48
	v_mov_b32_e32 v3, 0
	s_waitcnt lgkmcnt(0)
	s_lshl_b64 s[54:55], s[58:59], 1
	s_barrier
	ds_read_b32 v2, v3
	s_add_u32 s0, s56, s54
	s_addc_u32 s1, s57, s55
	s_add_u32 s4, s60, s54
	s_mul_i32 s3, s73, s2
	s_mul_hi_u32 s6, s72, s2
	s_addc_u32 s5, s61, s55
	s_add_i32 s3, s6, s3
	s_movk_i32 s6, 0x1800
	s_waitcnt lgkmcnt(0)
	v_mul_lo_u32 v4, v2, s6
	v_mov_b32_e32 v5, v3
	v_lshlrev_b64 v[26:27], 1, v[4:5]
	s_mul_i32 s2, s72, s2
	v_lshl_add_u64 v[18:19], s[4:5], 0, v[26:27]
	s_add_u32 s4, s68, -1
	v_readfirstlane_b32 s67, v2
	v_lshl_add_u64 v[2:3], s[2:3], 0, v[2:3]
	s_addc_u32 s5, s69, -1
	v_cmp_le_u64_e64 s[2:3], s[4:5], v[2:3]
	v_lshl_add_u64 v[20:21], s[0:1], 0, v[26:27]
	s_mov_b64 s[0:1], -1
	s_and_b64 vcc, exec, s[2:3]
	s_mul_i32 s33, s4, 0xffffe800
	s_barrier
	s_barrier
	s_cbranch_vccz .LBB580_130
; %bb.5:
	flat_load_ushort v2, v[20:21]
	s_add_i32 s69, s33, s66
	v_cmp_gt_u32_e32 vcc, s69, v0
	s_waitcnt vmcnt(0) lgkmcnt(0)
	v_mov_b32_e32 v3, v2
	s_and_saveexec_b64 s[0:1], vcc
	s_cbranch_execz .LBB580_7
; %bb.6:
	v_lshlrev_b32_e32 v4, 1, v0
	v_mov_b32_e32 v5, 0
	v_lshl_add_u64 v[4:5], v[20:21], 0, v[4:5]
	flat_load_ushort v3, v[4:5]
.LBB580_7:
	s_or_b64 exec, exec, s[0:1]
	v_or_b32_e32 v1, 0x100, v0
	v_cmp_gt_u32_e64 s[4:5], s69, v1
	v_mov_b32_e32 v4, v2
	s_and_saveexec_b64 s[0:1], s[4:5]
	s_cbranch_execz .LBB580_9
; %bb.8:
	v_lshlrev_b32_e32 v4, 1, v0
	v_mov_b32_e32 v5, 0
	v_lshl_add_u64 v[4:5], v[20:21], 0, v[4:5]
	flat_load_ushort v4, v[4:5] offset:512
.LBB580_9:
	s_or_b64 exec, exec, s[0:1]
	v_or_b32_e32 v1, 0x200, v0
	v_cmp_gt_u32_e64 s[6:7], s69, v1
	v_mov_b32_e32 v5, v2
	s_and_saveexec_b64 s[0:1], s[6:7]
	s_cbranch_execz .LBB580_11
; %bb.10:
	v_lshlrev_b32_e32 v6, 1, v0
	v_mov_b32_e32 v7, 0
	v_lshl_add_u64 v[6:7], v[20:21], 0, v[6:7]
	flat_load_ushort v5, v[6:7] offset:1024
.LBB580_11:
	;; [unrolled: 12-line block ×7, first 2 shown]
	s_or_b64 exec, exec, s[0:1]
	v_or_b32_e32 v1, 0x800, v0
	v_cmp_gt_u32_e64 s[18:19], s69, v1
	v_mov_b32_e32 v11, v2
	s_and_saveexec_b64 s[0:1], s[18:19]
	s_cbranch_execz .LBB580_23
; %bb.22:
	v_lshlrev_b32_e32 v12, 1, v1
	v_mov_b32_e32 v13, 0
	v_lshl_add_u64 v[12:13], v[20:21], 0, v[12:13]
	flat_load_ushort v11, v[12:13]
.LBB580_23:
	s_or_b64 exec, exec, s[0:1]
	v_or_b32_e32 v16, 0x900, v0
	v_cmp_gt_u32_e64 s[20:21], s69, v16
	v_mov_b32_e32 v12, v2
	s_and_saveexec_b64 s[0:1], s[20:21]
	s_cbranch_execz .LBB580_25
; %bb.24:
	v_lshlrev_b32_e32 v12, 1, v16
	v_mov_b32_e32 v13, 0
	v_lshl_add_u64 v[12:13], v[20:21], 0, v[12:13]
	flat_load_ushort v12, v[12:13]
.LBB580_25:
	;; [unrolled: 12-line block ×15, first 2 shown]
	s_or_b64 exec, exec, s[0:1]
	v_or_b32_e32 v37, 0x1700, v0
	v_cmp_gt_u32_e64 s[50:51], s69, v37
	s_and_saveexec_b64 s[0:1], s[50:51]
	s_cbranch_execz .LBB580_53
; %bb.52:
	v_lshlrev_b32_e32 v48, 1, v37
	v_mov_b32_e32 v49, 0
	v_lshl_add_u64 v[48:49], v[20:21], 0, v[48:49]
	flat_load_ushort v2, v[48:49]
.LBB580_53:
	s_or_b64 exec, exec, s[0:1]
	v_lshlrev_b32_e32 v14, 1, v0
	s_waitcnt vmcnt(0) lgkmcnt(0)
	ds_write_b16 v14, v3
	ds_write_b16 v14, v4 offset:512
	ds_write_b16 v14, v5 offset:1024
	ds_write_b16 v14, v6 offset:1536
	ds_write_b16 v14, v7 offset:2048
	ds_write_b16 v14, v8 offset:2560
	ds_write_b16 v14, v9 offset:3072
	ds_write_b16 v14, v10 offset:3584
	ds_write_b16 v14, v11 offset:4096
	ds_write_b16 v14, v12 offset:4608
	ds_write_b16 v14, v13 offset:5120
	ds_write_b16 v14, v15 offset:5632
	ds_write_b16 v14, v28 offset:6144
	ds_write_b16 v14, v38 offset:6656
	ds_write_b16 v14, v39 offset:7168
	ds_write_b16 v14, v40 offset:7680
	ds_write_b16 v14, v41 offset:8192
	ds_write_b16 v14, v42 offset:8704
	ds_write_b16 v14, v43 offset:9216
	ds_write_b16 v14, v44 offset:9728
	ds_write_b16 v14, v45 offset:10240
	ds_write_b16 v14, v46 offset:10752
	ds_write_b16 v14, v47 offset:11264
	ds_write_b16 v14, v2 offset:11776
	s_waitcnt lgkmcnt(0)
	s_barrier
	flat_load_ushort v28, v[20:21]
	v_mad_u32_u24 v48, v0, 46, v14
	ds_read_b128 v[10:13], v48
	ds_read_b128 v[6:9], v48 offset:16
	ds_read_b128 v[2:5], v48 offset:32
	s_movk_i32 s0, 0xffd2
	v_mad_i32_i24 v15, v0, s0, v48
	s_movk_i32 s0, 0xff
	v_cmp_ne_u32_e64 s[0:1], s0, v0
	s_waitcnt lgkmcnt(0)
	ds_write_b16 v15, v10 offset:12800
	s_waitcnt lgkmcnt(0)
	s_barrier
	s_and_saveexec_b64 s[56:57], s[0:1]
	s_cbranch_execz .LBB580_55
; %bb.54:
	s_waitcnt vmcnt(0)
	ds_read_u16 v28, v14 offset:12802
.LBB580_55:
	s_or_b64 exec, exec, s[56:57]
	v_mov_b32_e32 v15, 0
	s_waitcnt lgkmcnt(0)
	s_barrier
	s_waitcnt lgkmcnt(0)
                                        ; implicit-def: $vgpr38
	s_and_saveexec_b64 s[0:1], vcc
	s_cbranch_execz .LBB580_209
; %bb.56:
	v_lshl_add_u64 v[38:39], v[18:19], 0, v[14:15]
	flat_load_ushort v38, v[38:39]
	s_or_b64 exec, exec, s[0:1]
                                        ; implicit-def: $vgpr39
	s_and_saveexec_b64 s[0:1], s[4:5]
	s_cbranch_execnz .LBB580_210
.LBB580_57:
	s_or_b64 exec, exec, s[0:1]
                                        ; implicit-def: $vgpr40
	s_and_saveexec_b64 s[0:1], s[6:7]
	s_cbranch_execz .LBB580_211
.LBB580_58:
	v_mov_b32_e32 v15, 0
	v_lshl_add_u64 v[40:41], v[18:19], 0, v[14:15]
	flat_load_ushort v40, v[40:41] offset:1024
	s_or_b64 exec, exec, s[0:1]
                                        ; implicit-def: $vgpr41
	s_and_saveexec_b64 s[0:1], s[8:9]
	s_cbranch_execnz .LBB580_212
.LBB580_59:
	s_or_b64 exec, exec, s[0:1]
                                        ; implicit-def: $vgpr42
	s_and_saveexec_b64 s[0:1], s[10:11]
	s_cbranch_execz .LBB580_213
.LBB580_60:
	v_mov_b32_e32 v15, 0
	v_lshl_add_u64 v[42:43], v[18:19], 0, v[14:15]
	flat_load_ushort v42, v[42:43] offset:2048
	s_or_b64 exec, exec, s[0:1]
                                        ; implicit-def: $vgpr43
	s_and_saveexec_b64 s[0:1], s[12:13]
	s_cbranch_execnz .LBB580_214
.LBB580_61:
	s_or_b64 exec, exec, s[0:1]
                                        ; implicit-def: $vgpr44
	s_and_saveexec_b64 s[0:1], s[14:15]
	s_cbranch_execz .LBB580_215
.LBB580_62:
	v_mov_b32_e32 v15, 0
	v_lshl_add_u64 v[44:45], v[18:19], 0, v[14:15]
	flat_load_ushort v44, v[44:45] offset:3072
	s_or_b64 exec, exec, s[0:1]
                                        ; implicit-def: $vgpr15
	s_and_saveexec_b64 s[0:1], s[16:17]
	s_cbranch_execnz .LBB580_216
.LBB580_63:
	s_or_b64 exec, exec, s[0:1]
                                        ; implicit-def: $vgpr45
	s_and_saveexec_b64 s[0:1], s[18:19]
	s_cbranch_execz .LBB580_217
.LBB580_64:
	v_lshlrev_b32_e32 v46, 1, v1
	v_mov_b32_e32 v47, 0
	v_lshl_add_u64 v[46:47], v[18:19], 0, v[46:47]
	flat_load_ushort v45, v[46:47]
	s_or_b64 exec, exec, s[0:1]
                                        ; implicit-def: $vgpr1
	s_and_saveexec_b64 s[0:1], s[20:21]
	s_cbranch_execnz .LBB580_218
.LBB580_65:
	s_or_b64 exec, exec, s[0:1]
                                        ; implicit-def: $vgpr16
	s_and_saveexec_b64 s[0:1], s[22:23]
	s_cbranch_execz .LBB580_219
.LBB580_66:
	v_lshlrev_b32_e32 v16, 1, v17
	v_mov_b32_e32 v17, 0
	v_lshl_add_u64 v[16:17], v[18:19], 0, v[16:17]
	flat_load_ushort v16, v[16:17]
	s_or_b64 exec, exec, s[0:1]
                                        ; implicit-def: $vgpr17
	s_and_saveexec_b64 s[0:1], s[24:25]
	s_cbranch_execnz .LBB580_220
.LBB580_67:
	s_or_b64 exec, exec, s[0:1]
                                        ; implicit-def: $vgpr22
	s_and_saveexec_b64 s[0:1], s[26:27]
	s_cbranch_execz .LBB580_221
.LBB580_68:
	v_lshlrev_b32_e32 v22, 1, v23
	v_mov_b32_e32 v23, 0
	v_lshl_add_u64 v[22:23], v[18:19], 0, v[22:23]
	flat_load_ushort v22, v[22:23]
	s_or_b64 exec, exec, s[0:1]
                                        ; implicit-def: $vgpr23
	s_and_saveexec_b64 s[0:1], s[28:29]
	s_cbranch_execnz .LBB580_222
.LBB580_69:
	s_or_b64 exec, exec, s[0:1]
                                        ; implicit-def: $vgpr24
	s_and_saveexec_b64 s[0:1], s[30:31]
	s_cbranch_execz .LBB580_223
.LBB580_70:
	v_lshlrev_b32_e32 v24, 1, v25
	v_mov_b32_e32 v25, 0
	v_lshl_add_u64 v[24:25], v[18:19], 0, v[24:25]
	flat_load_ushort v24, v[24:25]
	s_or_b64 exec, exec, s[0:1]
                                        ; implicit-def: $vgpr25
	s_and_saveexec_b64 s[0:1], s[34:35]
	s_cbranch_execnz .LBB580_224
.LBB580_71:
	s_or_b64 exec, exec, s[0:1]
                                        ; implicit-def: $vgpr29
	s_and_saveexec_b64 s[0:1], s[36:37]
	s_cbranch_execz .LBB580_225
.LBB580_72:
	v_lshlrev_b32_e32 v46, 1, v30
	v_mov_b32_e32 v47, 0
	v_lshl_add_u64 v[46:47], v[18:19], 0, v[46:47]
	flat_load_ushort v29, v[46:47]
	s_or_b64 exec, exec, s[0:1]
                                        ; implicit-def: $vgpr30
	s_and_saveexec_b64 s[0:1], s[38:39]
	s_cbranch_execnz .LBB580_226
.LBB580_73:
	s_or_b64 exec, exec, s[0:1]
                                        ; implicit-def: $vgpr31
	s_and_saveexec_b64 s[0:1], s[40:41]
	s_cbranch_execz .LBB580_227
.LBB580_74:
	v_lshlrev_b32_e32 v46, 1, v32
	v_mov_b32_e32 v47, 0
	v_lshl_add_u64 v[46:47], v[18:19], 0, v[46:47]
	flat_load_ushort v31, v[46:47]
	s_or_b64 exec, exec, s[0:1]
                                        ; implicit-def: $vgpr32
	s_and_saveexec_b64 s[0:1], s[42:43]
	s_cbranch_execnz .LBB580_228
.LBB580_75:
	s_or_b64 exec, exec, s[0:1]
                                        ; implicit-def: $vgpr33
	s_and_saveexec_b64 s[0:1], s[44:45]
	s_cbranch_execz .LBB580_229
.LBB580_76:
	v_lshlrev_b32_e32 v46, 1, v34
	v_mov_b32_e32 v47, 0
	v_lshl_add_u64 v[46:47], v[18:19], 0, v[46:47]
	flat_load_ushort v33, v[46:47]
	s_or_b64 exec, exec, s[0:1]
                                        ; implicit-def: $vgpr34
	s_and_saveexec_b64 s[0:1], s[46:47]
	s_cbranch_execnz .LBB580_230
.LBB580_77:
	s_or_b64 exec, exec, s[0:1]
                                        ; implicit-def: $vgpr35
	s_and_saveexec_b64 s[0:1], s[48:49]
	s_cbranch_execz .LBB580_79
.LBB580_78:
	v_lshlrev_b32_e32 v46, 1, v36
	v_mov_b32_e32 v47, 0
	v_lshl_add_u64 v[46:47], v[18:19], 0, v[46:47]
	flat_load_ushort v35, v[46:47]
.LBB580_79:
	s_or_b64 exec, exec, s[0:1]
	v_mul_u32_u24_e32 v49, 24, v0
                                        ; implicit-def: $vgpr36
	s_and_saveexec_b64 s[0:1], s[50:51]
	s_cbranch_execz .LBB580_81
; %bb.80:
	v_lshlrev_b32_e32 v36, 1, v37
	v_mov_b32_e32 v37, 0
	v_lshl_add_u64 v[36:37], v[18:19], 0, v[36:37]
	flat_load_ushort v36, v[36:37]
.LBB580_81:
	s_or_b64 exec, exec, s[0:1]
	s_waitcnt vmcnt(0) lgkmcnt(0)
	ds_write_b16 v14, v38
	ds_write_b16 v14, v39 offset:512
	ds_write_b16 v14, v40 offset:1024
	;; [unrolled: 1-line block ×23, first 2 shown]
	v_cmp_gt_u32_e32 vcc, s69, v49
	s_mov_b64 s[0:1], 0
	s_mov_b32 s68, 0
	v_mov_b32_e32 v1, 0
	s_mov_b64 s[8:9], 0
	v_mov_b32_e32 v25, 0
	v_mov_b32_e32 v29, 0
	;; [unrolled: 1-line block ×22, first 2 shown]
	s_waitcnt lgkmcnt(0)
	s_barrier
	s_waitcnt lgkmcnt(0)
                                        ; implicit-def: $sgpr6_sgpr7
                                        ; implicit-def: $vgpr47
	s_and_saveexec_b64 s[4:5], vcc
	s_cbranch_execz .LBB580_129
; %bb.82:
	ds_read_u16 v1, v48
	v_mov_b32_e32 v15, s74
	v_cmp_eq_u16_sdwa vcc, v10, v10 src0_sel:DWORD src1_sel:WORD_1
	v_cmp_ne_u16_sdwa s[6:7], v10, v10 src0_sel:DWORD src1_sel:WORD_1
	v_or_b32_e32 v14, 1, v49
	s_waitcnt lgkmcnt(0)
	v_cndmask_b32_e32 v1, v15, v1, vcc
	v_and_b32_e32 v1, 0xffff, v1
	v_cndmask_b32_e64 v15, 0, 1, s[6:7]
	v_lshl_or_b32 v1, v15, 16, v1
	v_cmp_gt_u32_e32 vcc, s69, v14
	v_mov_b32_e32 v25, 0
	v_mov_b32_e32 v29, 0
	;; [unrolled: 1-line block ×22, first 2 shown]
                                        ; implicit-def: $sgpr10_sgpr11
                                        ; implicit-def: $vgpr47
	s_and_saveexec_b64 s[6:7], vcc
	s_cbranch_execz .LBB580_128
; %bb.83:
	ds_read_b128 v[14:17], v48 offset:2
	v_mov_b32_e32 v23, s74
	v_cmp_eq_u16_sdwa vcc, v10, v11 src0_sel:WORD_1 src1_sel:DWORD
	v_cmp_ne_u16_sdwa s[8:9], v10, v11 src0_sel:WORD_1 src1_sel:DWORD
	v_or_b32_e32 v22, 2, v49
	s_waitcnt lgkmcnt(0)
	v_cndmask_b32_e32 v23, v23, v14, vcc
	v_and_b32_e32 v23, 0xffff, v23
	v_cndmask_b32_e64 v10, 0, 1, s[8:9]
	v_lshl_or_b32 v25, v10, 16, v23
	v_cmp_gt_u32_e32 vcc, s69, v22
	s_mov_b64 s[12:13], 0
	v_mov_b32_e32 v29, 0
	v_mov_b32_e32 v30, 0
	;; [unrolled: 1-line block ×21, first 2 shown]
                                        ; implicit-def: $sgpr10_sgpr11
                                        ; implicit-def: $vgpr47
	s_and_saveexec_b64 s[8:9], vcc
	s_cbranch_execz .LBB580_127
; %bb.84:
	v_lshrrev_b32_e32 v10, 16, v14
	v_mov_b32_e32 v22, s74
	v_cmp_eq_u16_sdwa vcc, v11, v11 src0_sel:DWORD src1_sel:WORD_1
	v_cmp_ne_u16_sdwa s[10:11], v11, v11 src0_sel:DWORD src1_sel:WORD_1
	v_or_b32_e32 v14, 3, v49
	v_cndmask_b32_e32 v10, v22, v10, vcc
	v_and_b32_e32 v10, 0xffff, v10
	v_cndmask_b32_e64 v22, 0, 1, s[10:11]
	v_lshl_or_b32 v29, v22, 16, v10
	v_cmp_gt_u32_e32 vcc, s69, v14
	v_mov_b32_e32 v30, 0
	v_mov_b32_e32 v31, 0
	;; [unrolled: 1-line block ×20, first 2 shown]
                                        ; implicit-def: $sgpr14_sgpr15
                                        ; implicit-def: $vgpr47
	s_and_saveexec_b64 s[10:11], vcc
	s_cbranch_execz .LBB580_126
; %bb.85:
	v_mov_b32_e32 v14, s74
	v_cmp_eq_u16_sdwa vcc, v11, v12 src0_sel:WORD_1 src1_sel:DWORD
	v_cmp_ne_u16_sdwa s[12:13], v11, v12 src0_sel:WORD_1 src1_sel:DWORD
	v_or_b32_e32 v10, 4, v49
	v_cndmask_b32_e32 v14, v14, v15, vcc
	v_and_b32_e32 v14, 0xffff, v14
	v_cndmask_b32_e64 v11, 0, 1, s[12:13]
	v_lshl_or_b32 v30, v11, 16, v14
	v_cmp_gt_u32_e32 vcc, s69, v10
	s_mov_b64 s[16:17], 0
	v_mov_b32_e32 v31, 0
	v_mov_b32_e32 v32, 0
	;; [unrolled: 1-line block ×19, first 2 shown]
                                        ; implicit-def: $sgpr14_sgpr15
                                        ; implicit-def: $vgpr47
	s_and_saveexec_b64 s[12:13], vcc
	s_cbranch_execz .LBB580_125
; %bb.86:
	v_lshrrev_b32_e32 v10, 16, v15
	v_mov_b32_e32 v14, s74
	v_cmp_eq_u16_sdwa vcc, v12, v12 src0_sel:DWORD src1_sel:WORD_1
	v_cmp_ne_u16_sdwa s[14:15], v12, v12 src0_sel:DWORD src1_sel:WORD_1
	v_or_b32_e32 v11, 5, v49
	v_cndmask_b32_e32 v10, v14, v10, vcc
	v_and_b32_e32 v10, 0xffff, v10
	v_cndmask_b32_e64 v14, 0, 1, s[14:15]
	v_lshl_or_b32 v31, v14, 16, v10
	v_cmp_gt_u32_e32 vcc, s69, v11
	v_mov_b32_e32 v32, 0
	v_mov_b32_e32 v33, 0
	;; [unrolled: 1-line block ×18, first 2 shown]
                                        ; implicit-def: $sgpr18_sgpr19
                                        ; implicit-def: $vgpr47
	s_and_saveexec_b64 s[14:15], vcc
	s_cbranch_execz .LBB580_124
; %bb.87:
	v_mov_b32_e32 v11, s74
	v_cmp_eq_u16_sdwa vcc, v12, v13 src0_sel:WORD_1 src1_sel:DWORD
	v_cmp_ne_u16_sdwa s[16:17], v12, v13 src0_sel:WORD_1 src1_sel:DWORD
	v_or_b32_e32 v10, 6, v49
	v_cndmask_b32_e32 v11, v11, v16, vcc
	v_and_b32_e32 v11, 0xffff, v11
	v_cndmask_b32_e64 v12, 0, 1, s[16:17]
	v_lshl_or_b32 v32, v12, 16, v11
	v_cmp_gt_u32_e32 vcc, s69, v10
	s_mov_b64 s[20:21], 0
	v_mov_b32_e32 v33, 0
	v_mov_b32_e32 v34, 0
	;; [unrolled: 1-line block ×17, first 2 shown]
                                        ; implicit-def: $sgpr18_sgpr19
                                        ; implicit-def: $vgpr47
	s_and_saveexec_b64 s[16:17], vcc
	s_cbranch_execz .LBB580_123
; %bb.88:
	v_lshrrev_b32_e32 v10, 16, v16
	v_mov_b32_e32 v12, s74
	v_cmp_eq_u16_sdwa vcc, v13, v13 src0_sel:DWORD src1_sel:WORD_1
	v_cmp_ne_u16_sdwa s[18:19], v13, v13 src0_sel:DWORD src1_sel:WORD_1
	v_or_b32_e32 v11, 7, v49
	v_cndmask_b32_e32 v10, v12, v10, vcc
	v_and_b32_e32 v10, 0xffff, v10
	v_cndmask_b32_e64 v12, 0, 1, s[18:19]
	v_lshl_or_b32 v33, v12, 16, v10
	v_cmp_gt_u32_e32 vcc, s69, v11
	v_mov_b32_e32 v34, 0
	v_mov_b32_e32 v35, 0
	;; [unrolled: 1-line block ×16, first 2 shown]
                                        ; implicit-def: $sgpr22_sgpr23
                                        ; implicit-def: $vgpr47
	s_and_saveexec_b64 s[18:19], vcc
	s_cbranch_execz .LBB580_122
; %bb.89:
	v_mov_b32_e32 v11, s74
	v_cmp_eq_u16_sdwa vcc, v13, v6 src0_sel:WORD_1 src1_sel:DWORD
	v_cmp_ne_u16_sdwa s[20:21], v13, v6 src0_sel:WORD_1 src1_sel:DWORD
	v_add_u32_e32 v10, 8, v49
	v_cndmask_b32_e32 v11, v11, v17, vcc
	v_and_b32_e32 v11, 0xffff, v11
	v_cndmask_b32_e64 v12, 0, 1, s[20:21]
	v_lshl_or_b32 v34, v12, 16, v11
	v_cmp_gt_u32_e32 vcc, s69, v10
	s_mov_b64 s[24:25], 0
	v_mov_b32_e32 v35, 0
	v_mov_b32_e32 v36, 0
	;; [unrolled: 1-line block ×15, first 2 shown]
                                        ; implicit-def: $sgpr22_sgpr23
                                        ; implicit-def: $vgpr47
	s_and_saveexec_b64 s[20:21], vcc
	s_cbranch_execz .LBB580_121
; %bb.90:
	v_lshrrev_b32_e32 v10, 16, v17
	v_mov_b32_e32 v12, s74
	v_cmp_eq_u16_sdwa vcc, v6, v6 src0_sel:DWORD src1_sel:WORD_1
	v_cmp_ne_u16_sdwa s[22:23], v6, v6 src0_sel:DWORD src1_sel:WORD_1
	v_add_u32_e32 v11, 9, v49
	v_cndmask_b32_e32 v10, v12, v10, vcc
	v_and_b32_e32 v10, 0xffff, v10
	v_cndmask_b32_e64 v12, 0, 1, s[22:23]
	v_lshl_or_b32 v35, v12, 16, v10
	v_cmp_gt_u32_e32 vcc, s69, v11
	v_mov_b32_e32 v36, 0
	v_mov_b32_e32 v37, 0
	;; [unrolled: 1-line block ×14, first 2 shown]
                                        ; implicit-def: $sgpr26_sgpr27
                                        ; implicit-def: $vgpr47
	s_and_saveexec_b64 s[22:23], vcc
	s_cbranch_execz .LBB580_120
; %bb.91:
	ds_read_b128 v[10:13], v48 offset:18
	v_mov_b32_e32 v15, s74
	v_cmp_eq_u16_sdwa vcc, v6, v7 src0_sel:WORD_1 src1_sel:DWORD
	v_cmp_ne_u16_sdwa s[24:25], v6, v7 src0_sel:WORD_1 src1_sel:DWORD
	v_add_u32_e32 v14, 10, v49
	s_waitcnt lgkmcnt(0)
	v_cndmask_b32_e32 v15, v15, v10, vcc
	v_and_b32_e32 v15, 0xffff, v15
	v_cndmask_b32_e64 v6, 0, 1, s[24:25]
	v_lshl_or_b32 v36, v6, 16, v15
	v_cmp_gt_u32_e32 vcc, s69, v14
	s_mov_b64 s[28:29], 0
	v_mov_b32_e32 v37, 0
	v_mov_b32_e32 v38, 0
	;; [unrolled: 1-line block ×13, first 2 shown]
                                        ; implicit-def: $sgpr26_sgpr27
                                        ; implicit-def: $vgpr47
	s_and_saveexec_b64 s[24:25], vcc
	s_cbranch_execz .LBB580_119
; %bb.92:
	v_lshrrev_b32_e32 v6, 16, v10
	v_mov_b32_e32 v14, s74
	v_cmp_eq_u16_sdwa vcc, v7, v7 src0_sel:DWORD src1_sel:WORD_1
	v_cmp_ne_u16_sdwa s[26:27], v7, v7 src0_sel:DWORD src1_sel:WORD_1
	v_add_u32_e32 v10, 11, v49
	v_cndmask_b32_e32 v6, v14, v6, vcc
	v_and_b32_e32 v6, 0xffff, v6
	v_cndmask_b32_e64 v14, 0, 1, s[26:27]
	v_lshl_or_b32 v37, v14, 16, v6
	v_cmp_gt_u32_e32 vcc, s69, v10
	v_mov_b32_e32 v38, 0
	v_mov_b32_e32 v39, 0
	;; [unrolled: 1-line block ×12, first 2 shown]
                                        ; implicit-def: $sgpr30_sgpr31
                                        ; implicit-def: $vgpr47
	s_and_saveexec_b64 s[26:27], vcc
	s_cbranch_execz .LBB580_118
; %bb.93:
	v_mov_b32_e32 v10, s74
	v_cmp_eq_u16_sdwa vcc, v7, v8 src0_sel:WORD_1 src1_sel:DWORD
	v_cmp_ne_u16_sdwa s[28:29], v7, v8 src0_sel:WORD_1 src1_sel:DWORD
	v_add_u32_e32 v6, 12, v49
	v_cndmask_b32_e32 v10, v10, v11, vcc
	v_and_b32_e32 v10, 0xffff, v10
	v_cndmask_b32_e64 v7, 0, 1, s[28:29]
	v_lshl_or_b32 v38, v7, 16, v10
	v_cmp_gt_u32_e32 vcc, s69, v6
	s_mov_b64 s[34:35], 0
	v_mov_b32_e32 v39, 0
	v_mov_b32_e32 v40, 0
	;; [unrolled: 1-line block ×11, first 2 shown]
                                        ; implicit-def: $sgpr30_sgpr31
                                        ; implicit-def: $vgpr47
	s_and_saveexec_b64 s[28:29], vcc
	s_cbranch_execz .LBB580_117
; %bb.94:
	v_lshrrev_b32_e32 v6, 16, v11
	v_mov_b32_e32 v10, s74
	v_cmp_eq_u16_sdwa vcc, v8, v8 src0_sel:DWORD src1_sel:WORD_1
	v_cmp_ne_u16_sdwa s[30:31], v8, v8 src0_sel:DWORD src1_sel:WORD_1
	v_add_u32_e32 v7, 13, v49
	v_cndmask_b32_e32 v6, v10, v6, vcc
	v_and_b32_e32 v6, 0xffff, v6
	v_cndmask_b32_e64 v10, 0, 1, s[30:31]
	v_lshl_or_b32 v39, v10, 16, v6
	v_cmp_gt_u32_e32 vcc, s69, v7
	v_mov_b32_e32 v40, 0
	v_mov_b32_e32 v41, 0
	;; [unrolled: 1-line block ×10, first 2 shown]
                                        ; implicit-def: $sgpr36_sgpr37
                                        ; implicit-def: $vgpr47
	s_and_saveexec_b64 s[30:31], vcc
	s_cbranch_execz .LBB580_116
; %bb.95:
	v_mov_b32_e32 v7, s74
	v_cmp_eq_u16_sdwa vcc, v8, v9 src0_sel:WORD_1 src1_sel:DWORD
	v_cmp_ne_u16_sdwa s[34:35], v8, v9 src0_sel:WORD_1 src1_sel:DWORD
	v_add_u32_e32 v6, 14, v49
	v_cndmask_b32_e32 v7, v7, v12, vcc
	v_and_b32_e32 v7, 0xffff, v7
	v_cndmask_b32_e64 v8, 0, 1, s[34:35]
	v_lshl_or_b32 v40, v8, 16, v7
	v_cmp_gt_u32_e32 vcc, s69, v6
	s_mov_b64 s[38:39], 0
	v_mov_b32_e32 v41, 0
	v_mov_b32_e32 v42, 0
	;; [unrolled: 1-line block ×9, first 2 shown]
                                        ; implicit-def: $sgpr36_sgpr37
                                        ; implicit-def: $vgpr47
	s_and_saveexec_b64 s[34:35], vcc
	s_cbranch_execz .LBB580_115
; %bb.96:
	v_lshrrev_b32_e32 v6, 16, v12
	v_mov_b32_e32 v8, s74
	v_cmp_eq_u16_sdwa vcc, v9, v9 src0_sel:DWORD src1_sel:WORD_1
	v_cmp_ne_u16_sdwa s[36:37], v9, v9 src0_sel:DWORD src1_sel:WORD_1
	v_add_u32_e32 v7, 15, v49
	v_cndmask_b32_e32 v6, v8, v6, vcc
	v_and_b32_e32 v6, 0xffff, v6
	v_cndmask_b32_e64 v8, 0, 1, s[36:37]
	v_lshl_or_b32 v41, v8, 16, v6
	v_cmp_gt_u32_e32 vcc, s69, v7
	v_mov_b32_e32 v42, 0
	v_mov_b32_e32 v43, 0
	v_mov_b32_e32 v22, 0
	v_mov_b32_e32 v44, 0
	v_mov_b32_e32 v23, 0
	v_mov_b32_e32 v45, 0
	v_mov_b32_e32 v24, 0
	v_mov_b32_e32 v46, 0
                                        ; implicit-def: $sgpr40_sgpr41
                                        ; implicit-def: $vgpr47
	s_and_saveexec_b64 s[36:37], vcc
	s_cbranch_execz .LBB580_114
; %bb.97:
	v_mov_b32_e32 v7, s74
	v_cmp_eq_u16_sdwa vcc, v9, v2 src0_sel:WORD_1 src1_sel:DWORD
	v_cmp_ne_u16_sdwa s[38:39], v9, v2 src0_sel:WORD_1 src1_sel:DWORD
	v_add_u32_e32 v6, 16, v49
	v_cndmask_b32_e32 v7, v7, v13, vcc
	v_and_b32_e32 v7, 0xffff, v7
	v_cndmask_b32_e64 v8, 0, 1, s[38:39]
	v_lshl_or_b32 v42, v8, 16, v7
	v_cmp_gt_u32_e32 vcc, s69, v6
	s_mov_b64 s[42:43], 0
	v_mov_b32_e32 v43, 0
	v_mov_b32_e32 v22, 0
	;; [unrolled: 1-line block ×7, first 2 shown]
                                        ; implicit-def: $sgpr40_sgpr41
                                        ; implicit-def: $vgpr47
	s_and_saveexec_b64 s[38:39], vcc
	s_cbranch_execz .LBB580_113
; %bb.98:
	v_lshrrev_b32_e32 v6, 16, v13
	v_mov_b32_e32 v8, s74
	v_cmp_eq_u16_sdwa vcc, v2, v2 src0_sel:DWORD src1_sel:WORD_1
	v_cmp_ne_u16_sdwa s[40:41], v2, v2 src0_sel:DWORD src1_sel:WORD_1
	v_add_u32_e32 v7, 17, v49
	v_cndmask_b32_e32 v6, v8, v6, vcc
	v_and_b32_e32 v6, 0xffff, v6
	v_cndmask_b32_e64 v8, 0, 1, s[40:41]
	v_lshl_or_b32 v43, v8, 16, v6
	v_cmp_gt_u32_e32 vcc, s69, v7
	v_mov_b32_e32 v22, 0
	v_mov_b32_e32 v44, 0
	v_mov_b32_e32 v23, 0
	v_mov_b32_e32 v45, 0
	v_mov_b32_e32 v24, 0
	v_mov_b32_e32 v46, 0
                                        ; implicit-def: $sgpr44_sgpr45
                                        ; implicit-def: $vgpr47
	s_and_saveexec_b64 s[40:41], vcc
	s_cbranch_execz .LBB580_112
; %bb.99:
	ds_read_b96 v[6:8], v48 offset:34
	v_mov_b32_e32 v10, s74
	v_cmp_eq_u16_sdwa vcc, v2, v3 src0_sel:WORD_1 src1_sel:DWORD
	v_cmp_ne_u16_sdwa s[42:43], v2, v3 src0_sel:WORD_1 src1_sel:DWORD
	v_add_u32_e32 v9, 18, v49
	s_waitcnt lgkmcnt(0)
	v_cndmask_b32_e32 v10, v10, v6, vcc
	v_and_b32_e32 v10, 0xffff, v10
	v_cndmask_b32_e64 v2, 0, 1, s[42:43]
	v_lshl_or_b32 v22, v2, 16, v10
	v_cmp_gt_u32_e32 vcc, s69, v9
	s_mov_b64 s[46:47], 0
	v_mov_b32_e32 v44, 0
	v_mov_b32_e32 v23, 0
	;; [unrolled: 1-line block ×5, first 2 shown]
                                        ; implicit-def: $sgpr44_sgpr45
                                        ; implicit-def: $vgpr47
	s_and_saveexec_b64 s[42:43], vcc
	s_cbranch_execz .LBB580_111
; %bb.100:
	v_lshrrev_b32_e32 v2, 16, v6
	v_mov_b32_e32 v9, s74
	v_cmp_eq_u16_sdwa vcc, v3, v3 src0_sel:DWORD src1_sel:WORD_1
	v_cmp_ne_u16_sdwa s[44:45], v3, v3 src0_sel:DWORD src1_sel:WORD_1
	v_add_u32_e32 v6, 19, v49
	v_cndmask_b32_e32 v2, v9, v2, vcc
	v_and_b32_e32 v2, 0xffff, v2
	v_cndmask_b32_e64 v9, 0, 1, s[44:45]
	v_lshl_or_b32 v44, v9, 16, v2
	v_cmp_gt_u32_e32 vcc, s69, v6
	v_mov_b32_e32 v23, 0
	v_mov_b32_e32 v45, 0
	;; [unrolled: 1-line block ×4, first 2 shown]
                                        ; implicit-def: $sgpr48_sgpr49
                                        ; implicit-def: $vgpr47
	s_and_saveexec_b64 s[44:45], vcc
	s_cbranch_execz .LBB580_110
; %bb.101:
	v_mov_b32_e32 v6, s74
	v_cmp_eq_u16_sdwa vcc, v3, v4 src0_sel:WORD_1 src1_sel:DWORD
	v_cmp_ne_u16_sdwa s[46:47], v3, v4 src0_sel:WORD_1 src1_sel:DWORD
	v_add_u32_e32 v2, 20, v49
	v_cndmask_b32_e32 v6, v6, v7, vcc
	v_and_b32_e32 v6, 0xffff, v6
	v_cndmask_b32_e64 v3, 0, 1, s[46:47]
	v_lshl_or_b32 v23, v3, 16, v6
	v_cmp_gt_u32_e32 vcc, s69, v2
	s_mov_b64 s[50:51], 0
	v_mov_b32_e32 v45, 0
	v_mov_b32_e32 v24, 0
	;; [unrolled: 1-line block ×3, first 2 shown]
                                        ; implicit-def: $sgpr48_sgpr49
                                        ; implicit-def: $vgpr47
	s_and_saveexec_b64 s[46:47], vcc
	s_cbranch_execz .LBB580_109
; %bb.102:
	v_lshrrev_b32_e32 v2, 16, v7
	v_mov_b32_e32 v6, s74
	v_cmp_eq_u16_sdwa vcc, v4, v4 src0_sel:DWORD src1_sel:WORD_1
	v_cmp_ne_u16_sdwa s[48:49], v4, v4 src0_sel:DWORD src1_sel:WORD_1
	v_add_u32_e32 v3, 21, v49
	v_cndmask_b32_e32 v2, v6, v2, vcc
	v_and_b32_e32 v2, 0xffff, v2
	v_cndmask_b32_e64 v6, 0, 1, s[48:49]
	v_lshl_or_b32 v45, v6, 16, v2
	v_cmp_gt_u32_e32 vcc, s69, v3
	v_mov_b32_e32 v24, 0
	v_mov_b32_e32 v46, 0
                                        ; implicit-def: $sgpr56_sgpr57
                                        ; implicit-def: $vgpr47
	s_and_saveexec_b64 s[48:49], vcc
	s_cbranch_execz .LBB580_108
; %bb.103:
	v_mov_b32_e32 v3, s74
	v_cmp_eq_u16_sdwa vcc, v4, v5 src0_sel:WORD_1 src1_sel:DWORD
	v_cmp_ne_u16_sdwa s[50:51], v4, v5 src0_sel:WORD_1 src1_sel:DWORD
	v_add_u32_e32 v2, 22, v49
	v_cndmask_b32_e32 v3, v3, v8, vcc
	v_and_b32_e32 v3, 0xffff, v3
	v_cndmask_b32_e64 v4, 0, 1, s[50:51]
	v_lshl_or_b32 v24, v4, 16, v3
	v_cmp_gt_u32_e32 vcc, s69, v2
	s_mov_b64 s[58:59], 0
	v_mov_b32_e32 v46, 0
                                        ; implicit-def: $sgpr60_sgpr61
                                        ; implicit-def: $vgpr47
	s_and_saveexec_b64 s[50:51], vcc
	s_cbranch_execz .LBB580_107
; %bb.104:
	v_lshrrev_b32_e32 v2, 16, v8
	v_mov_b32_e32 v4, s74
	v_cmp_eq_u16_sdwa vcc, v5, v5 src0_sel:DWORD src1_sel:WORD_1
	v_cmp_ne_u16_sdwa s[56:57], v5, v5 src0_sel:DWORD src1_sel:WORD_1
	v_add_u32_e32 v3, 23, v49
	v_cndmask_b32_e32 v2, v4, v2, vcc
	v_and_b32_e32 v2, 0xffff, v2
	v_cndmask_b32_e64 v4, 0, 1, s[56:57]
	v_lshl_or_b32 v46, v4, 16, v2
	v_cmp_gt_u32_e32 vcc, s69, v3
	s_mov_b64 s[56:57], 0
                                        ; implicit-def: $sgpr58_sgpr59
                                        ; implicit-def: $vgpr47
	s_and_saveexec_b64 s[60:61], vcc
	s_xor_b64 s[60:61], exec, s[60:61]
	s_cbranch_execz .LBB580_106
; %bb.105:
	ds_read_u16 v2, v48 offset:46
	v_mov_b32_e32 v3, s74
	v_cmp_ne_u16_sdwa vcc, v5, v28 src0_sel:WORD_1 src1_sel:DWORD
	s_mov_b64 s[56:57], exec
	s_and_b64 s[58:59], vcc, exec
	s_waitcnt lgkmcnt(0)
	v_cndmask_b32_e32 v47, v2, v3, vcc
.LBB580_106:
	s_or_b64 exec, exec, s[60:61]
	s_and_b64 s[60:61], s[58:59], exec
	s_and_b64 s[58:59], s[56:57], exec
.LBB580_107:
	s_or_b64 exec, exec, s[50:51]
	s_and_b64 s[56:57], s[60:61], exec
	s_and_b64 s[50:51], s[58:59], exec
.LBB580_108:
	s_or_b64 exec, exec, s[48:49]
	s_and_b64 s[48:49], s[56:57], exec
	s_and_b64 s[50:51], s[50:51], exec
.LBB580_109:
	s_or_b64 exec, exec, s[46:47]
	s_and_b64 s[48:49], s[48:49], exec
	s_and_b64 s[46:47], s[50:51], exec
.LBB580_110:
	s_or_b64 exec, exec, s[44:45]
	s_and_b64 s[44:45], s[48:49], exec
	s_and_b64 s[46:47], s[46:47], exec
.LBB580_111:
	s_or_b64 exec, exec, s[42:43]
	s_and_b64 s[44:45], s[44:45], exec
	s_and_b64 s[42:43], s[46:47], exec
.LBB580_112:
	s_or_b64 exec, exec, s[40:41]
	s_and_b64 s[40:41], s[44:45], exec
	s_and_b64 s[42:43], s[42:43], exec
.LBB580_113:
	s_or_b64 exec, exec, s[38:39]
	s_and_b64 s[40:41], s[40:41], exec
	s_and_b64 s[38:39], s[42:43], exec
.LBB580_114:
	s_or_b64 exec, exec, s[36:37]
	s_and_b64 s[36:37], s[40:41], exec
	s_and_b64 s[38:39], s[38:39], exec
.LBB580_115:
	s_or_b64 exec, exec, s[34:35]
	s_and_b64 s[36:37], s[36:37], exec
	s_and_b64 s[34:35], s[38:39], exec
.LBB580_116:
	s_or_b64 exec, exec, s[30:31]
	s_and_b64 s[30:31], s[36:37], exec
	s_and_b64 s[34:35], s[34:35], exec
.LBB580_117:
	s_or_b64 exec, exec, s[28:29]
	s_and_b64 s[30:31], s[30:31], exec
	s_and_b64 s[28:29], s[34:35], exec
.LBB580_118:
	s_or_b64 exec, exec, s[26:27]
	s_and_b64 s[26:27], s[30:31], exec
	s_and_b64 s[28:29], s[28:29], exec
.LBB580_119:
	s_or_b64 exec, exec, s[24:25]
	s_and_b64 s[26:27], s[26:27], exec
	s_and_b64 s[24:25], s[28:29], exec
.LBB580_120:
	s_or_b64 exec, exec, s[22:23]
	s_and_b64 s[22:23], s[26:27], exec
	s_and_b64 s[24:25], s[24:25], exec
.LBB580_121:
	s_or_b64 exec, exec, s[20:21]
	s_and_b64 s[22:23], s[22:23], exec
	s_and_b64 s[20:21], s[24:25], exec
.LBB580_122:
	s_or_b64 exec, exec, s[18:19]
	s_and_b64 s[18:19], s[22:23], exec
	s_and_b64 s[20:21], s[20:21], exec
.LBB580_123:
	s_or_b64 exec, exec, s[16:17]
	s_and_b64 s[18:19], s[18:19], exec
	s_and_b64 s[16:17], s[20:21], exec
.LBB580_124:
	s_or_b64 exec, exec, s[14:15]
	s_and_b64 s[14:15], s[18:19], exec
	s_and_b64 s[16:17], s[16:17], exec
.LBB580_125:
	s_or_b64 exec, exec, s[12:13]
	s_and_b64 s[14:15], s[14:15], exec
	s_and_b64 s[12:13], s[16:17], exec
.LBB580_126:
	s_or_b64 exec, exec, s[10:11]
	s_and_b64 s[10:11], s[14:15], exec
	s_and_b64 s[12:13], s[12:13], exec
.LBB580_127:
	s_or_b64 exec, exec, s[8:9]
	s_and_b64 s[10:11], s[10:11], exec
	s_and_b64 s[8:9], s[12:13], exec
.LBB580_128:
	s_or_b64 exec, exec, s[6:7]
	s_and_b64 s[6:7], s[10:11], exec
	s_and_b64 s[8:9], s[8:9], exec
.LBB580_129:
	s_or_b64 exec, exec, s[4:5]
	s_and_b64 vcc, exec, s[0:1]
	v_lshlrev_b32_e32 v28, 1, v0
	s_cbranch_vccnz .LBB580_131
	s_branch .LBB580_136
.LBB580_130:
	s_mov_b64 s[8:9], 0
                                        ; implicit-def: $sgpr6_sgpr7
                                        ; implicit-def: $vgpr47
                                        ; implicit-def: $vgpr1
                                        ; implicit-def: $vgpr25
                                        ; implicit-def: $vgpr29
                                        ; implicit-def: $vgpr30
                                        ; implicit-def: $vgpr31
                                        ; implicit-def: $vgpr32
                                        ; implicit-def: $vgpr33
                                        ; implicit-def: $vgpr34
                                        ; implicit-def: $vgpr35
                                        ; implicit-def: $vgpr36
                                        ; implicit-def: $vgpr37
                                        ; implicit-def: $vgpr38
                                        ; implicit-def: $vgpr39
                                        ; implicit-def: $vgpr40
                                        ; implicit-def: $vgpr41
                                        ; implicit-def: $vgpr42
                                        ; implicit-def: $vgpr43
                                        ; implicit-def: $vgpr22
                                        ; implicit-def: $vgpr44
                                        ; implicit-def: $vgpr23
                                        ; implicit-def: $vgpr45
                                        ; implicit-def: $vgpr24
                                        ; implicit-def: $vgpr46
                                        ; implicit-def: $sgpr68
	s_and_b64 vcc, exec, s[0:1]
	v_lshlrev_b32_e32 v28, 1, v0
	s_cbranch_vccz .LBB580_136
.LBB580_131:
	v_mov_b32_e32 v29, 0
	v_lshl_add_u64 v[2:3], v[20:21], 0, v[28:29]
	v_add_co_u32_e32 v4, vcc, 0x1000, v2
	flat_load_ushort v1, v[2:3]
	flat_load_ushort v6, v[2:3] offset:512
	flat_load_ushort v7, v[2:3] offset:1024
	;; [unrolled: 1-line block ×7, first 2 shown]
	v_addc_co_u32_e32 v5, vcc, 0, v3, vcc
	v_add_co_u32_e32 v2, vcc, 0x2000, v2
	flat_load_ushort v13, v[4:5]
	flat_load_ushort v14, v[4:5] offset:512
	flat_load_ushort v15, v[4:5] offset:1024
	;; [unrolled: 1-line block ×7, first 2 shown]
	v_addc_co_u32_e32 v3, vcc, 0, v3, vcc
	flat_load_ushort v4, v[2:3]
	flat_load_ushort v5, v[2:3] offset:512
	flat_load_ushort v25, v[2:3] offset:1024
	;; [unrolled: 1-line block ×7, first 2 shown]
	v_add_co_u32_e32 v2, vcc, 0x3000, v20
	s_movk_i32 s0, 0xffd2
	s_nop 0
	v_addc_co_u32_e32 v3, vcc, 0, v21, vcc
	s_movk_i32 s5, 0x1000
	s_movk_i32 s4, 0x2000
	s_waitcnt vmcnt(0) lgkmcnt(0)
	ds_write_b16 v28, v1
	ds_write_b16 v28, v6 offset:512
	ds_write_b16 v28, v7 offset:1024
	;; [unrolled: 1-line block ×23, first 2 shown]
	s_waitcnt lgkmcnt(0)
	s_barrier
	flat_load_ushort v47, v[2:3]
	v_mad_u32_u24 v1, v0, 46, v28
	ds_read_b128 v[10:13], v1
	ds_read_b128 v[6:9], v1 offset:16
	ds_read_b128 v[2:5], v1 offset:32
	v_mad_i32_i24 v14, v0, s0, v1
	s_movk_i32 s0, 0xff
	v_cmp_ne_u32_e32 vcc, s0, v0
	s_waitcnt lgkmcnt(0)
	ds_write_b16 v14, v10 offset:12800
	s_waitcnt lgkmcnt(0)
	s_barrier
	s_and_saveexec_b64 s[0:1], vcc
	s_cbranch_execz .LBB580_133
; %bb.132:
	s_waitcnt vmcnt(0)
	ds_read_u16 v47, v28 offset:12802
.LBB580_133:
	s_or_b64 exec, exec, s[0:1]
	v_lshl_add_u64 v[14:15], v[18:19], 0, v[28:29]
	v_add_co_u32_e32 v16, vcc, s5, v14
	s_waitcnt lgkmcnt(0)
	s_nop 0
	v_addc_co_u32_e32 v17, vcc, 0, v15, vcc
	s_barrier
	flat_load_ushort v18, v[14:15]
	flat_load_ushort v19, v[14:15] offset:512
	flat_load_ushort v20, v[14:15] offset:1024
	;; [unrolled: 1-line block ×7, first 2 shown]
	v_add_co_u32_e32 v14, vcc, s4, v14
	flat_load_ushort v30, v[16:17]
	flat_load_ushort v31, v[16:17] offset:512
	flat_load_ushort v32, v[16:17] offset:1024
	flat_load_ushort v33, v[16:17] offset:1536
	flat_load_ushort v34, v[16:17] offset:2048
	flat_load_ushort v35, v[16:17] offset:2560
	flat_load_ushort v36, v[16:17] offset:3072
	flat_load_ushort v37, v[16:17] offset:3584
	v_addc_co_u32_e32 v15, vcc, 0, v15, vcc
	flat_load_ushort v16, v[14:15]
	flat_load_ushort v17, v[14:15] offset:512
	flat_load_ushort v38, v[14:15] offset:1024
	;; [unrolled: 1-line block ×7, first 2 shown]
	v_cmp_eq_u16_sdwa s[4:5], v10, v10 src0_sel:DWORD src1_sel:WORD_1
	s_waitcnt vmcnt(0) lgkmcnt(0)
	ds_write_b16 v28, v18
	ds_write_b16 v28, v19 offset:512
	ds_write_b16 v28, v20 offset:1024
	;; [unrolled: 1-line block ×23, first 2 shown]
	s_waitcnt lgkmcnt(0)
	s_barrier
	ds_read_b128 v[18:21], v1 offset:2
	ds_read_b128 v[14:17], v1 offset:18
	ds_read_b96 v[22:24], v1 offset:34
	ds_read_u16 v48, v1 offset:46
	v_mov_b32_e32 v25, 0x10000
	v_mov_b32_e32 v30, s74
	s_and_saveexec_b64 s[0:1], s[4:5]
	s_cbranch_execz .LBB580_135
; %bb.134:
	ds_read_u16 v30, v1
	v_mov_b32_e32 v25, v29
.LBB580_135:
	s_or_b64 exec, exec, s[0:1]
	v_mov_b32_e32 v49, s74
	v_cmp_eq_u16_sdwa vcc, v10, v11 src0_sel:WORD_1 src1_sel:DWORD
	s_waitcnt lgkmcnt(3)
	v_lshrrev_b32_e32 v29, 16, v18
	v_cmp_ne_u16_sdwa s[0:1], v10, v11 src0_sel:WORD_1 src1_sel:DWORD
	v_cndmask_b32_e32 v18, v49, v18, vcc
	v_and_b32_e32 v18, 0xffff, v18
	v_cndmask_b32_e64 v10, 0, 1, s[0:1]
	v_cmp_eq_u16_sdwa vcc, v11, v11 src0_sel:DWORD src1_sel:WORD_1
	s_waitcnt lgkmcnt(0)
	v_or_b32_sdwa v1, v25, v30 dst_sel:DWORD dst_unused:UNUSED_PAD src0_sel:DWORD src1_sel:WORD_0
	v_lshl_or_b32 v25, v10, 16, v18
	v_cndmask_b32_e32 v10, v49, v29, vcc
	v_cmp_ne_u16_sdwa s[0:1], v11, v11 src0_sel:DWORD src1_sel:WORD_1
	v_and_b32_e32 v10, 0xffff, v10
	v_cmp_eq_u16_sdwa vcc, v11, v12 src0_sel:WORD_1 src1_sel:DWORD
	v_cndmask_b32_e64 v18, 0, 1, s[0:1]
	v_lshl_or_b32 v29, v18, 16, v10
	v_cndmask_b32_e32 v10, v49, v19, vcc
	v_cmp_ne_u16_sdwa s[0:1], v11, v12 src0_sel:WORD_1 src1_sel:DWORD
	v_lshrrev_b32_e32 v31, 16, v19
	v_and_b32_e32 v10, 0xffff, v10
	v_cndmask_b32_e64 v11, 0, 1, s[0:1]
	v_cmp_eq_u16_sdwa vcc, v12, v12 src0_sel:DWORD src1_sel:WORD_1
	v_lshl_or_b32 v30, v11, 16, v10
	v_cmp_ne_u16_sdwa s[0:1], v12, v12 src0_sel:DWORD src1_sel:WORD_1
	v_cndmask_b32_e32 v10, v49, v31, vcc
	v_and_b32_e32 v10, 0xffff, v10
	v_cndmask_b32_e64 v11, 0, 1, s[0:1]
	v_cmp_eq_u16_sdwa vcc, v12, v13 src0_sel:WORD_1 src1_sel:DWORD
	v_lshl_or_b32 v31, v11, 16, v10
	v_cmp_ne_u16_sdwa s[0:1], v12, v13 src0_sel:WORD_1 src1_sel:DWORD
	v_cndmask_b32_e32 v10, v49, v20, vcc
	v_lshrrev_b32_e32 v33, 16, v20
	v_and_b32_e32 v10, 0xffff, v10
	v_cndmask_b32_e64 v11, 0, 1, s[0:1]
	v_cmp_eq_u16_sdwa vcc, v13, v13 src0_sel:DWORD src1_sel:WORD_1
	v_lshl_or_b32 v32, v11, 16, v10
	v_cmp_ne_u16_sdwa s[0:1], v13, v13 src0_sel:DWORD src1_sel:WORD_1
	v_cndmask_b32_e32 v10, v49, v33, vcc
	v_and_b32_e32 v10, 0xffff, v10
	v_cndmask_b32_e64 v11, 0, 1, s[0:1]
	v_cmp_eq_u16_sdwa vcc, v13, v6 src0_sel:WORD_1 src1_sel:DWORD
	v_lshl_or_b32 v33, v11, 16, v10
	v_cmp_ne_u16_sdwa s[0:1], v13, v6 src0_sel:WORD_1 src1_sel:DWORD
	v_cndmask_b32_e32 v10, v49, v21, vcc
	;; [unrolled: 13-line block ×9, first 2 shown]
	v_lshrrev_b32_e32 v46, 16, v24
	v_and_b32_e32 v2, 0xffff, v2
	v_cndmask_b32_e64 v3, 0, 1, s[0:1]
	v_cmp_eq_u16_sdwa vcc, v5, v5 src0_sel:DWORD src1_sel:WORD_1
	v_lshl_or_b32 v24, v3, 16, v2
	v_cmp_ne_u16_sdwa s[0:1], v5, v5 src0_sel:DWORD src1_sel:WORD_1
	v_cndmask_b32_e32 v2, v49, v46, vcc
	v_and_b32_e32 v2, 0xffff, v2
	v_cndmask_b32_e64 v3, 0, 1, s[0:1]
	v_cmp_ne_u16_sdwa s[6:7], v5, v47 src0_sel:WORD_1 src1_sel:DWORD
	v_lshl_or_b32 v46, v3, 16, v2
	s_mov_b64 s[8:9], -1
	v_cndmask_b32_e64 v47, v48, v49, s[6:7]
                                        ; implicit-def: $sgpr68
.LBB580_136:
	v_mov_b32_e32 v12, s68
	s_and_saveexec_b64 s[0:1], s[8:9]
; %bb.137:
	v_mov_b32_e32 v2, 0x10000
	v_cndmask_b32_e64 v2, 0, v2, s[6:7]
	v_or_b32_sdwa v12, v2, v47 dst_sel:DWORD dst_unused:UNUSED_PAD src0_sel:DWORD src1_sel:WORD_0
; %bb.138:
	s_or_b64 exec, exec, s[0:1]
	v_or3_b32 v2, v12, v46, v24
	s_cmp_lg_u32 s67, 0
	v_or3_b32 v14, v2, v45, v23
	v_mbcnt_lo_u32_b32 v13, -1, 0
	s_barrier
	s_cbranch_scc0 .LBB580_231
; %bb.139:
	s_mov_b32 s0, 0x10000
	v_cmp_gt_u32_e64 s[4:5], s0, v25
	v_cmp_gt_u32_e64 s[6:7], s0, v29
	v_cmp_gt_u32_e64 s[8:9], s0, v30
	v_cndmask_b32_e64 v2, 0, v1, s[4:5]
	v_add_u16_e32 v2, v2, v25
	v_cndmask_b32_e64 v2, 0, v2, s[6:7]
	v_add_u16_e32 v2, v2, v29
	v_cndmask_b32_e64 v2, 0, v2, s[8:9]
	v_add_u16_e32 v2, v2, v30
	v_cmp_gt_u32_e64 s[10:11], s0, v31
	v_cmp_gt_u32_e64 s[12:13], s0, v32
	v_cmp_gt_u32_e64 s[14:15], s0, v33
	v_cndmask_b32_e64 v2, 0, v2, s[10:11]
	v_add_u16_e32 v2, v2, v31
	v_cndmask_b32_e64 v2, 0, v2, s[12:13]
	v_add_u16_e32 v2, v2, v32
	v_cndmask_b32_e64 v2, 0, v2, s[14:15]
	v_add_u16_e32 v2, v2, v33
	;; [unrolled: 9-line block ×5, first 2 shown]
	v_cmp_gt_u32_e64 s[36:37], s0, v43
	v_cmp_gt_u32_e64 s[38:39], s0, v22
	;; [unrolled: 1-line block ×3, first 2 shown]
	v_cndmask_b32_e64 v2, 0, v2, s[36:37]
	v_add_u16_e32 v2, v2, v43
	v_cndmask_b32_e64 v2, 0, v2, s[38:39]
	v_add_u16_e32 v2, v2, v22
	v_cndmask_b32_e64 v2, 0, v2, s[40:41]
	v_or3_b32 v5, v14, v44, v22
	v_add_u16_e32 v2, v2, v44
	v_cmp_gt_u32_e64 s[42:43], s0, v23
	v_or3_b32 v5, v5, v43, v42
	v_or3_b32 v5, v5, v41, v40
	v_cndmask_b32_e64 v2, 0, v2, s[42:43]
	v_add_u16_e32 v2, v2, v23
	v_cmp_gt_u32_e64 s[44:45], s0, v45
	v_or3_b32 v5, v5, v39, v38
	v_or3_b32 v5, v5, v37, v36
	v_cndmask_b32_e64 v2, 0, v2, s[44:45]
	;; [unrolled: 5-line block ×4, first 2 shown]
	v_add_u16_e32 v2, v2, v46
	v_cmp_gt_u32_e32 vcc, s0, v12
	v_and_b32_e32 v5, 0x10000, v5
	v_and_b32_e32 v3, 0x10000, v1
	v_cndmask_b32_e32 v4, 0, v2, vcc
	v_mov_b32_e32 v6, 0x10000
	v_cmp_ne_u32_e32 vcc, 0, v5
	v_add_u16_e32 v2, v4, v12
	v_add_u16_e32 v4, v4, v12
	v_cndmask_b32_e32 v6, v3, v6, vcc
	v_mbcnt_hi_u32_b32 v5, -1, v13
	v_and_b32_e32 v7, 15, v5
	v_or_b32_e32 v4, v6, v4
	v_lshrrev_b32_e32 v3, 16, v6
	v_cmp_ne_u32_e32 vcc, 0, v7
	v_mov_b32_dpp v8, v4 row_shr:1 row_mask:0xf bank_mask:0xf
	s_and_saveexec_b64 s[0:1], vcc
	s_cbranch_execz .LBB580_141
; %bb.140:
	v_cmp_eq_u32_e32 vcc, 0, v6
	v_and_b32_e32 v3, 0x10000, v6
	v_mov_b32_e32 v6, 1
	v_cndmask_b32_e32 v4, 0, v8, vcc
	v_and_b32_sdwa v6, v8, v6 dst_sel:DWORD dst_unused:UNUSED_PAD src0_sel:WORD_1 src1_sel:DWORD
	v_cmp_ne_u32_e32 vcc, 0, v3
	v_add_u16_e32 v9, v4, v2
	v_add_u16_e32 v2, v4, v2
	v_cndmask_b32_e64 v3, v6, 1, vcc
	v_lshlrev_b32_e32 v6, 16, v3
	v_or_b32_e32 v4, v6, v2
	v_mov_b32_e32 v2, v9
.LBB580_141:
	s_or_b64 exec, exec, s[0:1]
	v_lshrrev_b32_e32 v6, 16, v4
	v_mov_b32_dpp v8, v4 row_shr:2 row_mask:0xf bank_mask:0xf
	v_cmp_lt_u32_e32 vcc, 1, v7
	s_and_saveexec_b64 s[0:1], vcc
	s_cbranch_execz .LBB580_143
; %bb.142:
	s_mov_b32 s50, 0x10000
	v_cmp_gt_u32_e32 vcc, s50, v4
	v_and_b32_e32 v3, 0x10000, v4
	v_mov_b32_e32 v4, 1
	v_cndmask_b32_e32 v6, 0, v8, vcc
	v_and_b32_sdwa v4, v8, v4 dst_sel:DWORD dst_unused:UNUSED_PAD src0_sel:WORD_1 src1_sel:DWORD
	v_cmp_ne_u32_e32 vcc, 0, v3
	v_add_u16_e32 v9, v6, v2
	v_add_u16_e32 v2, v6, v2
	v_cndmask_b32_e64 v3, v4, 1, vcc
	v_lshlrev_b32_e32 v4, 16, v3
	v_or_b32_e32 v4, v4, v2
	v_mov_b32_e32 v6, v3
	v_mov_b32_e32 v2, v9
.LBB580_143:
	s_or_b64 exec, exec, s[0:1]
	v_mov_b32_dpp v8, v4 row_shr:4 row_mask:0xf bank_mask:0xf
	v_cmp_lt_u32_e32 vcc, 3, v7
	s_and_saveexec_b64 s[0:1], vcc
	s_cbranch_execz .LBB580_145
; %bb.144:
	v_cmp_eq_u16_e32 vcc, 0, v6
	v_and_b32_e32 v3, 1, v6
	v_mov_b32_e32 v6, 1
	v_cndmask_b32_e32 v4, 0, v8, vcc
	v_and_b32_sdwa v6, v8, v6 dst_sel:DWORD dst_unused:UNUSED_PAD src0_sel:WORD_1 src1_sel:DWORD
	v_cmp_eq_u32_e32 vcc, 1, v3
	v_add_u16_e32 v9, v4, v2
	v_add_u16_e32 v2, v4, v2
	v_cndmask_b32_e64 v3, v6, 1, vcc
	v_lshlrev_b32_e32 v6, 16, v3
	v_or_b32_e32 v4, v6, v2
	v_mov_b32_e32 v6, v3
	v_mov_b32_e32 v2, v9
.LBB580_145:
	s_or_b64 exec, exec, s[0:1]
	v_mov_b32_dpp v8, v4 row_shr:8 row_mask:0xf bank_mask:0xf
	v_cmp_lt_u32_e32 vcc, 7, v7
	s_and_saveexec_b64 s[0:1], vcc
	s_cbranch_execz .LBB580_147
; %bb.146:
	v_cmp_eq_u16_e32 vcc, 0, v6
	v_and_b32_e32 v3, 1, v6
	v_mov_b32_e32 v6, 1
	v_cndmask_b32_e32 v4, 0, v8, vcc
	v_and_b32_sdwa v6, v8, v6 dst_sel:DWORD dst_unused:UNUSED_PAD src0_sel:WORD_1 src1_sel:DWORD
	v_cmp_eq_u32_e32 vcc, 1, v3
	v_add_u16_e32 v7, v4, v2
	v_add_u16_e32 v2, v4, v2
	v_cndmask_b32_e64 v3, v6, 1, vcc
	v_lshlrev_b32_e32 v6, 16, v3
	v_or_b32_e32 v4, v6, v2
	v_mov_b32_e32 v6, v3
	v_mov_b32_e32 v2, v7
.LBB580_147:
	s_or_b64 exec, exec, s[0:1]
	v_and_b32_e32 v8, 16, v5
	v_mov_b32_dpp v7, v4 row_bcast:15 row_mask:0xf bank_mask:0xf
	v_cmp_ne_u32_e32 vcc, 0, v8
	s_and_saveexec_b64 s[0:1], vcc
	s_cbranch_execz .LBB580_149
; %bb.148:
	v_cmp_eq_u16_e32 vcc, 0, v6
	v_and_b32_e32 v3, 1, v6
	v_mov_b32_e32 v6, 1
	v_cndmask_b32_e32 v4, 0, v7, vcc
	v_and_b32_sdwa v6, v7, v6 dst_sel:DWORD dst_unused:UNUSED_PAD src0_sel:WORD_1 src1_sel:DWORD
	v_cmp_eq_u32_e32 vcc, 1, v3
	v_add_u16_e32 v8, v4, v2
	v_add_u16_e32 v2, v4, v2
	v_cndmask_b32_e64 v3, v6, 1, vcc
	v_lshlrev_b32_e32 v6, 16, v3
	v_or_b32_e32 v4, v6, v2
	v_mov_b32_e32 v6, v3
	v_mov_b32_e32 v2, v8
.LBB580_149:
	s_or_b64 exec, exec, s[0:1]
	v_mov_b32_dpp v4, v4 row_bcast:31 row_mask:0xf bank_mask:0xf
	v_cmp_lt_u32_e32 vcc, 31, v5
	s_and_saveexec_b64 s[0:1], vcc
; %bb.150:
	v_cmp_eq_u16_e32 vcc, 0, v6
	s_nop 1
	v_cndmask_b32_e32 v3, 0, v4, vcc
	v_add_u16_e32 v2, v3, v2
	v_and_b32_e32 v3, 1, v6
	v_mov_b32_e32 v6, 1
	v_and_b32_sdwa v4, v4, v6 dst_sel:DWORD dst_unused:UNUSED_PAD src0_sel:WORD_1 src1_sel:DWORD
	v_cmp_eq_u32_e32 vcc, 1, v3
	s_nop 1
	v_cndmask_b32_e64 v3, v4, 1, vcc
; %bb.151:
	s_or_b64 exec, exec, s[0:1]
	v_or_b32_e32 v6, 63, v0
	v_lshrrev_b32_e32 v4, 6, v0
	v_cmp_eq_u32_e32 vcc, v6, v0
	s_and_saveexec_b64 s[0:1], vcc
	s_cbranch_execz .LBB580_153
; %bb.152:
	v_lshlrev_b32_e32 v6, 2, v4
	ds_write_b16 v6, v2
	ds_write_b8 v6, v3 offset:2
.LBB580_153:
	s_or_b64 exec, exec, s[0:1]
	v_cmp_gt_u32_e32 vcc, 4, v0
	s_waitcnt lgkmcnt(0)
	s_barrier
	s_and_saveexec_b64 s[0:1], vcc
	s_cbranch_execz .LBB580_159
; %bb.154:
	v_lshlrev_b32_e32 v6, 2, v0
	ds_read_b32 v7, v6
	v_and_b32_e32 v10, 3, v5
	v_cmp_ne_u32_e32 vcc, 0, v10
	s_waitcnt lgkmcnt(0)
	v_lshrrev_b32_e32 v9, 16, v7
	v_mov_b32_dpp v11, v7 row_shr:1 row_mask:0xf bank_mask:0xf
	v_mov_b32_e32 v8, v7
	s_and_saveexec_b64 s[50:51], vcc
	s_cbranch_execz .LBB580_156
; %bb.155:
	v_mov_b32_e32 v8, 0
	v_cmp_eq_u16_sdwa vcc, v9, v8 src0_sel:BYTE_0 src1_sel:DWORD
	v_and_b32_e32 v9, 0x10000, v7
	v_mov_b32_e32 v17, 1
	v_cndmask_b32_e32 v16, 0, v11, vcc
	v_and_b32_sdwa v11, v11, v17 dst_sel:DWORD dst_unused:UNUSED_PAD src0_sel:WORD_1 src1_sel:DWORD
	v_cmp_ne_u32_e32 vcc, 0, v9
	v_and_b32_e32 v15, 0xff000000, v7
	v_add_u16_e32 v8, v16, v7
	v_cndmask_b32_e64 v9, v11, 1, vcc
	v_lshlrev_b32_e32 v11, 16, v9
	v_add_u16_e32 v7, v16, v7
	v_or3_b32 v7, v11, v15, v7
.LBB580_156:
	s_or_b64 exec, exec, s[50:51]
	s_nop 0
	v_mov_b32_dpp v11, v7 row_shr:2 row_mask:0xf bank_mask:0xf
	v_cmp_lt_u32_e32 vcc, 1, v10
	s_and_saveexec_b64 s[50:51], vcc
; %bb.157:
	v_and_b32_e32 v9, 0xff0000, v7
	v_cmp_eq_u32_e32 vcc, 0, v9
	v_and_b32_e32 v7, 0x10000, v7
	s_nop 0
	v_cndmask_b32_e32 v9, 0, v11, vcc
	v_add_u16_e32 v8, v9, v8
	v_mov_b32_e32 v9, 1
	v_and_b32_sdwa v9, v11, v9 dst_sel:DWORD dst_unused:UNUSED_PAD src0_sel:WORD_1 src1_sel:DWORD
	v_cmp_eq_u32_e32 vcc, 0, v7
	s_nop 1
	v_cndmask_b32_e32 v9, 1, v9, vcc
; %bb.158:
	s_or_b64 exec, exec, s[50:51]
	ds_write_b16 v6, v8
	ds_write_b8 v6, v9 offset:2
.LBB580_159:
	s_or_b64 exec, exec, s[0:1]
	v_cmp_gt_u32_e32 vcc, 64, v0
	v_cmp_lt_u32_e64 s[0:1], 63, v0
	v_mov_b32_e32 v15, 0
	v_mov_b32_e32 v16, 0
	s_waitcnt lgkmcnt(0)
	s_barrier
	s_and_saveexec_b64 s[50:51], s[0:1]
	s_cbranch_execz .LBB580_161
; %bb.160:
	v_lshl_add_u32 v4, v4, 2, -4
	ds_read_u16 v15, v4
	ds_read_u8 v16, v4 offset:2
	v_and_b32_e32 v6, 1, v3
	v_cmp_eq_u16_e64 s[0:1], 0, v3
	s_waitcnt lgkmcnt(1)
	s_nop 0
	v_cndmask_b32_e64 v3, 0, v15, s[0:1]
	v_cmp_eq_u32_e64 s[0:1], 1, v6
	v_add_u16_e32 v2, v3, v2
	s_waitcnt lgkmcnt(0)
	v_cndmask_b32_e64 v3, v16, 1, s[0:1]
.LBB580_161:
	s_or_b64 exec, exec, s[50:51]
	v_and_b32_e32 v3, 0xff, v3
	v_and_b32_e32 v2, 0xffff, v2
	v_lshl_or_b32 v2, v3, 16, v2
	v_add_u32_e32 v3, -1, v5
	v_and_b32_e32 v4, 64, v5
	v_cmp_lt_i32_e64 s[0:1], v3, v4
	v_cmp_eq_u32_e64 s[50:51], 0, v5
	s_nop 0
	v_cndmask_b32_e64 v3, v3, v5, s[0:1]
	v_lshlrev_b32_e32 v3, 2, v3
	ds_bpermute_b32 v17, v3, v2
	s_and_saveexec_b64 s[0:1], vcc
	s_cbranch_execz .LBB580_208
; %bb.162:
	v_mov_b32_e32 v11, 0
	ds_read_b32 v2, v11 offset:12
	s_and_saveexec_b64 s[56:57], s[50:51]
	s_cbranch_execz .LBB580_164
; %bb.163:
	s_add_i32 s58, s67, 64
	s_mov_b32 s59, 0
	s_lshl_b64 s[58:59], s[58:59], 3
	s_add_u32 s58, s64, s58
	v_mov_b32_e32 v3, 1
	s_addc_u32 s59, s65, s59
	s_waitcnt lgkmcnt(0)
	global_store_dwordx2 v11, v[2:3], s[58:59] sc1
.LBB580_164:
	s_or_b64 exec, exec, s[56:57]
	v_xad_u32 v4, v5, -1, s67
	v_add_u32_e32 v10, 64, v4
	v_lshl_add_u64 v[8:9], v[10:11], 3, s[64:65]
	global_load_dwordx2 v[6:7], v[8:9], off sc1
	s_waitcnt vmcnt(0)
	v_cmp_eq_u16_sdwa s[58:59], v7, v11 src0_sel:BYTE_0 src1_sel:DWORD
	s_and_saveexec_b64 s[56:57], s[58:59]
	s_cbranch_execz .LBB580_170
; %bb.165:
	s_mov_b32 s60, 1
	s_mov_b64 s[58:59], 0
	v_mov_b32_e32 v3, 0
.LBB580_166:                            ; =>This Loop Header: Depth=1
                                        ;     Child Loop BB580_167 Depth 2
	s_max_u32 s61, s60, 1
.LBB580_167:                            ;   Parent Loop BB580_166 Depth=1
                                        ; =>  This Inner Loop Header: Depth=2
	s_add_i32 s61, s61, -1
	s_cmp_eq_u32 s61, 0
	s_sleep 1
	s_cbranch_scc0 .LBB580_167
; %bb.168:                              ;   in Loop: Header=BB580_166 Depth=1
	global_load_dwordx2 v[6:7], v[8:9], off sc1
	s_cmp_lt_u32 s60, 32
	s_cselect_b64 s[68:69], -1, 0
	s_cmp_lg_u64 s[68:69], 0
	s_addc_u32 s60, s60, 0
	s_waitcnt vmcnt(0)
	v_cmp_ne_u16_sdwa s[68:69], v7, v3 src0_sel:BYTE_0 src1_sel:DWORD
	s_or_b64 s[58:59], s[68:69], s[58:59]
	s_andn2_b64 exec, exec, s[58:59]
	s_cbranch_execnz .LBB580_166
; %bb.169:
	s_or_b64 exec, exec, s[58:59]
.LBB580_170:
	s_or_b64 exec, exec, s[56:57]
	v_mov_b32_e32 v3, 2
	v_cmp_eq_u16_sdwa s[56:57], v7, v3 src0_sel:BYTE_0 src1_sel:DWORD
	v_lshlrev_b64 v[8:9], v5, -1
	v_and_b32_e32 v54, 0xffffff, v6
	v_and_b32_e32 v3, s57, v9
	v_or_b32_e32 v3, 0x80000000, v3
	v_ffbl_b32_e32 v3, v3
	v_add_u32_e32 v11, 32, v3
	v_and_b32_e32 v3, 63, v5
	v_cmp_ne_u32_e32 vcc, 63, v3
	v_and_b32_e32 v10, s56, v8
	v_ffbl_b32_e32 v10, v10
	v_addc_co_u32_e32 v18, vcc, 0, v5, vcc
	v_lshlrev_b32_e32 v18, 2, v18
	ds_bpermute_b32 v19, v18, v54
	v_min_u32_e32 v11, v10, v11
	v_lshrrev_b32_e32 v10, 16, v6
	v_cmp_lt_u32_e32 vcc, v3, v11
	v_bfe_u32 v52, v6, 16, 8
	s_and_saveexec_b64 s[56:57], vcc
	s_cbranch_execz .LBB580_172
; %bb.171:
	v_and_b32_e32 v10, 0xff0000, v6
	v_cmp_eq_u32_e32 vcc, 0, v10
	v_and_b32_e32 v10, 0x10000, v10
	v_mov_b32_e32 v47, 1
	s_waitcnt lgkmcnt(0)
	v_cndmask_b32_e32 v20, 0, v19, vcc
	v_and_b32_sdwa v19, v19, v47 dst_sel:DWORD dst_unused:UNUSED_PAD src0_sel:WORD_1 src1_sel:DWORD
	v_cmp_ne_u32_e32 vcc, 0, v10
	v_add_u16_e32 v21, v20, v6
	v_add_u16_e32 v6, v20, v6
	v_cndmask_b32_e64 v10, v19, 1, vcc
	v_lshlrev_b32_e32 v19, 16, v10
	v_or_b32_e32 v54, v19, v6
	v_mov_b32_e32 v6, v21
	v_mov_b32_e32 v52, v10
.LBB580_172:
	s_or_b64 exec, exec, s[56:57]
	v_cmp_gt_u32_e32 vcc, 62, v3
	v_add_u32_e32 v20, 2, v3
	s_waitcnt lgkmcnt(0)
	v_cndmask_b32_e64 v19, 0, 1, vcc
	v_lshlrev_b32_e32 v19, 1, v19
	v_add_lshl_u32 v19, v19, v5, 2
	ds_bpermute_b32 v21, v19, v54
	v_cmp_le_u32_e32 vcc, v20, v11
	s_and_saveexec_b64 s[56:57], vcc
	s_cbranch_execz .LBB580_174
; %bb.173:
	v_cmp_eq_u16_e32 vcc, 0, v52
	v_and_b32_e32 v10, 1, v52
	v_mov_b32_e32 v49, 1
	s_waitcnt lgkmcnt(0)
	v_cndmask_b32_e32 v47, 0, v21, vcc
	v_and_b32_sdwa v21, v21, v49 dst_sel:DWORD dst_unused:UNUSED_PAD src0_sel:WORD_1 src1_sel:DWORD
	v_cmp_eq_u32_e32 vcc, 1, v10
	v_add_u16_e32 v48, v47, v6
	v_add_u16_e32 v6, v47, v6
	v_cndmask_b32_e64 v10, v21, 1, vcc
	v_lshlrev_b32_e32 v21, 16, v10
	v_or_b32_e32 v54, v21, v6
	v_mov_b32_e32 v6, v48
	v_mov_b32_e32 v52, v10
.LBB580_174:
	s_or_b64 exec, exec, s[56:57]
	v_cmp_gt_u32_e32 vcc, 60, v3
	v_add_u32_e32 v47, 4, v3
	s_waitcnt lgkmcnt(0)
	v_cndmask_b32_e64 v21, 0, 1, vcc
	v_lshlrev_b32_e32 v21, 2, v21
	v_add_lshl_u32 v21, v21, v5, 2
	ds_bpermute_b32 v48, v21, v54
	v_cmp_le_u32_e32 vcc, v47, v11
	s_and_saveexec_b64 s[56:57], vcc
	s_cbranch_execz .LBB580_176
; %bb.175:
	v_cmp_eq_u16_e32 vcc, 0, v52
	v_and_b32_e32 v10, 1, v52
	v_mov_b32_e32 v51, 1
	s_waitcnt lgkmcnt(0)
	v_cndmask_b32_e32 v49, 0, v48, vcc
	v_and_b32_sdwa v48, v48, v51 dst_sel:DWORD dst_unused:UNUSED_PAD src0_sel:WORD_1 src1_sel:DWORD
	v_cmp_eq_u32_e32 vcc, 1, v10
	v_add_u16_e32 v50, v49, v6
	v_add_u16_e32 v6, v49, v6
	v_cndmask_b32_e64 v10, v48, 1, vcc
	v_lshlrev_b32_e32 v48, 16, v10
	v_or_b32_e32 v54, v48, v6
	v_mov_b32_e32 v6, v50
	v_mov_b32_e32 v52, v10
.LBB580_176:
	;; [unrolled: 27-line block ×4, first 2 shown]
	s_or_b64 exec, exec, s[56:57]
	v_cmp_gt_u32_e32 vcc, 32, v3
	s_waitcnt lgkmcnt(0)
	s_nop 0
	v_cndmask_b32_e64 v53, 0, 1, vcc
	v_lshlrev_b32_e32 v53, 5, v53
	v_add_lshl_u32 v53, v53, v5, 2
	ds_bpermute_b32 v5, v53, v54
	v_add_u32_e32 v54, 32, v3
	v_cmp_le_u32_e32 vcc, v54, v11
	s_and_saveexec_b64 s[56:57], vcc
	s_cbranch_execz .LBB580_182
; %bb.181:
	v_cmp_eq_u16_e32 vcc, 0, v52
	v_mov_b32_e32 v11, 1
	s_waitcnt lgkmcnt(0)
	v_cndmask_b32_e32 v10, 0, v5, vcc
	v_add_u16_e32 v6, v10, v6
	v_and_b32_e32 v10, 1, v52
	v_and_b32_sdwa v5, v5, v11 dst_sel:DWORD dst_unused:UNUSED_PAD src0_sel:WORD_1 src1_sel:DWORD
	v_cmp_eq_u32_e32 vcc, 1, v10
	s_nop 1
	v_cndmask_b32_e64 v10, v5, 1, vcc
.LBB580_182:
	s_or_b64 exec, exec, s[56:57]
	s_waitcnt lgkmcnt(0)
	v_mov_b32_e32 v5, 0
	v_mov_b32_e32 v56, 2
	;; [unrolled: 1-line block ×3, first 2 shown]
	s_branch .LBB580_184
.LBB580_183:                            ;   in Loop: Header=BB580_184 Depth=1
	s_or_b64 exec, exec, s[56:57]
	v_cmp_eq_u16_sdwa vcc, v52, v5 src0_sel:BYTE_0 src1_sel:DWORD
	v_and_b32_e32 v10, 1, v52
	v_and_b32_e32 v11, 1, v11
	v_cndmask_b32_e32 v6, 0, v6, vcc
	v_cmp_eq_u32_e32 vcc, 1, v10
	v_subrev_u32_e32 v4, 64, v4
	v_add_u16_e32 v6, v6, v55
	v_cndmask_b32_e64 v10, v11, 1, vcc
.LBB580_184:                            ; =>This Loop Header: Depth=1
                                        ;     Child Loop BB580_187 Depth 2
                                        ;       Child Loop BB580_188 Depth 3
	v_cmp_ne_u16_sdwa s[56:57], v7, v56 src0_sel:BYTE_0 src1_sel:DWORD
	v_mov_b32_e32 v52, v10
	v_mov_b32_e32 v55, v6
	v_cndmask_b32_e64 v7, 0, 1, s[56:57]
	;;#ASMSTART
	;;#ASMEND
	s_nop 0
	v_cmp_ne_u32_e32 vcc, 0, v7
	s_cmp_lg_u64 vcc, exec
	s_cbranch_scc1 .LBB580_203
; %bb.185:                              ;   in Loop: Header=BB580_184 Depth=1
	v_lshl_add_u64 v[10:11], v[4:5], 3, s[64:65]
	global_load_dwordx2 v[6:7], v[10:11], off sc1
	s_waitcnt vmcnt(0)
	v_cmp_eq_u16_sdwa s[58:59], v7, v5 src0_sel:BYTE_0 src1_sel:DWORD
	s_and_saveexec_b64 s[56:57], s[58:59]
	s_cbranch_execz .LBB580_191
; %bb.186:                              ;   in Loop: Header=BB580_184 Depth=1
	s_mov_b32 s60, 1
	s_mov_b64 s[58:59], 0
.LBB580_187:                            ;   Parent Loop BB580_184 Depth=1
                                        ; =>  This Loop Header: Depth=2
                                        ;       Child Loop BB580_188 Depth 3
	s_max_u32 s61, s60, 1
.LBB580_188:                            ;   Parent Loop BB580_184 Depth=1
                                        ;     Parent Loop BB580_187 Depth=2
                                        ; =>    This Inner Loop Header: Depth=3
	s_add_i32 s61, s61, -1
	s_cmp_eq_u32 s61, 0
	s_sleep 1
	s_cbranch_scc0 .LBB580_188
; %bb.189:                              ;   in Loop: Header=BB580_187 Depth=2
	global_load_dwordx2 v[6:7], v[10:11], off sc1
	s_cmp_lt_u32 s60, 32
	s_cselect_b64 s[68:69], -1, 0
	s_cmp_lg_u64 s[68:69], 0
	s_addc_u32 s60, s60, 0
	s_waitcnt vmcnt(0)
	v_cmp_ne_u16_sdwa s[68:69], v7, v5 src0_sel:BYTE_0 src1_sel:DWORD
	s_or_b64 s[58:59], s[68:69], s[58:59]
	s_andn2_b64 exec, exec, s[58:59]
	s_cbranch_execnz .LBB580_187
; %bb.190:                              ;   in Loop: Header=BB580_184 Depth=1
	s_or_b64 exec, exec, s[58:59]
.LBB580_191:                            ;   in Loop: Header=BB580_184 Depth=1
	s_or_b64 exec, exec, s[56:57]
	v_cmp_eq_u16_sdwa s[56:57], v7, v56 src0_sel:BYTE_0 src1_sel:DWORD
	s_waitcnt lgkmcnt(0)
	v_and_b32_e32 v59, 0xffffff, v6
	ds_bpermute_b32 v60, v18, v59
	v_and_b32_e32 v10, s57, v9
	v_or_b32_e32 v10, 0x80000000, v10
	v_and_b32_e32 v11, s56, v8
	v_ffbl_b32_e32 v10, v10
	v_add_u32_e32 v10, 32, v10
	v_ffbl_b32_e32 v11, v11
	v_min_u32_e32 v10, v11, v10
	v_lshrrev_b32_e32 v11, 16, v6
	v_cmp_lt_u32_e32 vcc, v3, v10
	v_bfe_u32 v58, v6, 16, 8
	s_and_saveexec_b64 s[56:57], vcc
	s_cbranch_execz .LBB580_193
; %bb.192:                              ;   in Loop: Header=BB580_184 Depth=1
	v_and_b32_e32 v11, 0xff0000, v6
	v_cmp_eq_u32_e32 vcc, 0, v11
	v_and_b32_e32 v11, 0x10000, v11
	s_waitcnt lgkmcnt(0)
	v_and_b32_sdwa v59, v60, v57 dst_sel:DWORD dst_unused:UNUSED_PAD src0_sel:WORD_1 src1_sel:DWORD
	v_cndmask_b32_e32 v58, 0, v60, vcc
	v_cmp_ne_u32_e32 vcc, 0, v11
	v_add_u16_e32 v61, v58, v6
	v_add_u16_e32 v6, v58, v6
	v_cndmask_b32_e64 v11, v59, 1, vcc
	v_lshlrev_b32_e32 v59, 16, v11
	v_or_b32_e32 v59, v59, v6
	v_mov_b32_e32 v6, v61
	v_mov_b32_e32 v58, v11
.LBB580_193:                            ;   in Loop: Header=BB580_184 Depth=1
	s_or_b64 exec, exec, s[56:57]
	s_waitcnt lgkmcnt(0)
	ds_bpermute_b32 v60, v19, v59
	v_cmp_le_u32_e32 vcc, v20, v10
	s_and_saveexec_b64 s[56:57], vcc
	s_cbranch_execz .LBB580_195
; %bb.194:                              ;   in Loop: Header=BB580_184 Depth=1
	v_cmp_eq_u16_e32 vcc, 0, v58
	v_and_b32_e32 v11, 1, v58
	s_waitcnt lgkmcnt(0)
	v_and_b32_sdwa v58, v60, v57 dst_sel:DWORD dst_unused:UNUSED_PAD src0_sel:WORD_1 src1_sel:DWORD
	v_cndmask_b32_e32 v59, 0, v60, vcc
	v_cmp_eq_u32_e32 vcc, 1, v11
	v_add_u16_e32 v61, v59, v6
	v_add_u16_e32 v6, v59, v6
	v_cndmask_b32_e64 v11, v58, 1, vcc
	v_lshlrev_b32_e32 v58, 16, v11
	v_or_b32_e32 v59, v58, v6
	v_mov_b32_e32 v6, v61
	v_mov_b32_e32 v58, v11
.LBB580_195:                            ;   in Loop: Header=BB580_184 Depth=1
	s_or_b64 exec, exec, s[56:57]
	s_waitcnt lgkmcnt(0)
	ds_bpermute_b32 v60, v21, v59
	v_cmp_le_u32_e32 vcc, v47, v10
	s_and_saveexec_b64 s[56:57], vcc
	s_cbranch_execz .LBB580_197
; %bb.196:                              ;   in Loop: Header=BB580_184 Depth=1
	v_cmp_eq_u16_e32 vcc, 0, v58
	v_and_b32_e32 v11, 1, v58
	s_waitcnt lgkmcnt(0)
	v_and_b32_sdwa v58, v60, v57 dst_sel:DWORD dst_unused:UNUSED_PAD src0_sel:WORD_1 src1_sel:DWORD
	v_cndmask_b32_e32 v59, 0, v60, vcc
	v_cmp_eq_u32_e32 vcc, 1, v11
	v_add_u16_e32 v61, v59, v6
	v_add_u16_e32 v6, v59, v6
	v_cndmask_b32_e64 v11, v58, 1, vcc
	v_lshlrev_b32_e32 v58, 16, v11
	v_or_b32_e32 v59, v58, v6
	v_mov_b32_e32 v6, v61
	v_mov_b32_e32 v58, v11
.LBB580_197:                            ;   in Loop: Header=BB580_184 Depth=1
	;; [unrolled: 21-line block ×4, first 2 shown]
	s_or_b64 exec, exec, s[56:57]
	ds_bpermute_b32 v59, v53, v59
	v_cmp_le_u32_e32 vcc, v54, v10
	s_and_saveexec_b64 s[56:57], vcc
	s_cbranch_execz .LBB580_183
; %bb.202:                              ;   in Loop: Header=BB580_184 Depth=1
	v_cmp_eq_u16_e32 vcc, 0, v58
	s_waitcnt lgkmcnt(0)
	v_lshrrev_b32_e32 v11, 16, v59
	v_cndmask_b32_e32 v10, 0, v59, vcc
	v_add_u16_e32 v6, v10, v6
	v_and_b32_e32 v10, 1, v58
	v_cmp_eq_u32_e32 vcc, 1, v10
	s_nop 1
	v_cndmask_b32_e64 v11, v11, 1, vcc
	s_branch .LBB580_183
.LBB580_203:                            ;   in Loop: Header=BB580_184 Depth=1
                                        ; implicit-def: $vgpr10
                                        ; implicit-def: $vgpr6
	s_cbranch_execz .LBB580_184
; %bb.204:
	s_and_saveexec_b64 s[56:57], s[50:51]
	s_cbranch_execz .LBB580_206
; %bb.205:
	v_and_b32_e32 v3, 0xff0000, v2
	s_mov_b32 s59, 0
	v_cmp_eq_u32_e32 vcc, 0, v3
	v_and_b32_e32 v4, 0x10000, v2
	v_mov_b32_e32 v5, 1
	s_add_i32 s58, s67, 64
	v_cndmask_b32_e32 v3, 0, v55, vcc
	v_and_b32_sdwa v5, v52, v5 dst_sel:WORD_1 dst_unused:UNUSED_PAD src0_sel:DWORD src1_sel:DWORD
	v_mov_b32_e32 v6, 0x10000
	v_cmp_eq_u32_e32 vcc, 0, v4
	s_lshl_b64 s[58:59], s[58:59], 3
	s_add_u32 s58, s64, s58
	v_cndmask_b32_e32 v4, v6, v5, vcc
	v_add_u16_e32 v2, v3, v2
	s_addc_u32 s59, s65, s59
	v_mov_b32_e32 v5, 0
	v_or_b32_e32 v2, v4, v2
	v_mov_b32_e32 v3, 2
	global_store_dwordx2 v5, v[2:3], s[58:59] sc1
.LBB580_206:
	s_or_b64 exec, exec, s[56:57]
	s_and_b64 exec, exec, s[52:53]
	s_cbranch_execz .LBB580_208
; %bb.207:
	v_mov_b32_e32 v2, 0
	ds_write_b16 v2, v55 offset:12
	ds_write_b8 v2, v52 offset:14
.LBB580_208:
	s_or_b64 exec, exec, s[0:1]
	v_mov_b32_e32 v2, 0
	s_waitcnt lgkmcnt(0)
	s_barrier
	ds_read_b32 v3, v2 offset:12
	v_lshrrev_b32_e32 v4, 16, v17
	v_cndmask_b32_e64 v4, v4, v16, s[50:51]
	v_cmp_eq_u16_sdwa vcc, v4, v2 src0_sel:BYTE_0 src1_sel:DWORD
	v_cndmask_b32_e64 v5, v17, v15, s[50:51]
	s_waitcnt lgkmcnt(0)
	v_cndmask_b32_e32 v2, 0, v3, vcc
	v_add_u16_e32 v2, v2, v5
	v_cndmask_b32_e64 v8, v2, v3, s[52:53]
	v_and_b32_e32 v2, 0xff0000, v1
	v_cmp_eq_u32_e32 vcc, 0, v2
	s_nop 1
	v_cndmask_b32_e32 v2, 0, v8, vcc
	v_add_u16_e32 v6, v2, v1
	v_cndmask_b32_e64 v2, 0, v6, s[4:5]
	v_add_u16_e32 v7, v2, v25
	v_cndmask_b32_e64 v2, 0, v7, s[6:7]
	v_add_u16_e32 v9, v2, v29
	v_cndmask_b32_e64 v2, 0, v9, s[8:9]
	v_add_u16_e32 v10, v2, v30
	v_cndmask_b32_e64 v2, 0, v10, s[10:11]
	v_add_u16_e32 v11, v2, v31
	v_cndmask_b32_e64 v2, 0, v11, s[12:13]
	v_add_u16_e32 v16, v2, v32
	v_cndmask_b32_e64 v2, 0, v16, s[14:15]
	v_add_u16_e32 v18, v2, v33
	v_cndmask_b32_e64 v2, 0, v18, s[16:17]
	v_add_u16_e32 v15, v2, v34
	v_cndmask_b32_e64 v2, 0, v15, s[18:19]
	v_add_u16_e32 v17, v2, v35
	v_cndmask_b32_e64 v2, 0, v17, s[20:21]
	v_add_u16_e32 v19, v2, v36
	v_cndmask_b32_e64 v2, 0, v19, s[22:23]
	v_add_u16_e32 v20, v2, v37
	v_cndmask_b32_e64 v2, 0, v20, s[24:25]
	v_add_u16_e32 v21, v2, v38
	v_cndmask_b32_e64 v2, 0, v21, s[26:27]
	v_add_u16_e32 v47, v2, v39
	v_cndmask_b32_e64 v2, 0, v47, s[28:29]
	v_add_u16_e32 v49, v2, v40
	v_cndmask_b32_e64 v2, 0, v49, s[30:31]
	v_add_u16_e32 v51, v2, v41
	v_cndmask_b32_e64 v2, 0, v51, s[34:35]
	v_add_u16_e32 v48, v2, v42
	v_cndmask_b32_e64 v2, 0, v48, s[36:37]
	v_add_u16_e32 v50, v2, v43
	v_cndmask_b32_e64 v2, 0, v50, s[38:39]
	v_add_u16_e32 v52, v2, v22
	v_cndmask_b32_e64 v2, 0, v52, s[40:41]
	v_add_u16_e32 v53, v2, v44
	v_cndmask_b32_e64 v2, 0, v53, s[42:43]
	v_add_u16_e32 v54, v2, v23
	v_cndmask_b32_e64 v2, 0, v54, s[44:45]
	v_add_u16_e32 v55, v2, v45
	v_cndmask_b32_e64 v2, 0, v55, s[46:47]
	v_add_u16_e32 v56, v2, v24
	v_cndmask_b32_e64 v2, 0, v56, s[48:49]
	v_add_u16_e32 v57, v2, v46
	s_branch .LBB580_259
.LBB580_209:
	s_or_b64 exec, exec, s[0:1]
                                        ; implicit-def: $vgpr39
	s_and_saveexec_b64 s[0:1], s[4:5]
	s_cbranch_execz .LBB580_57
.LBB580_210:
	v_mov_b32_e32 v15, 0
	v_lshl_add_u64 v[40:41], v[18:19], 0, v[14:15]
	flat_load_ushort v39, v[40:41] offset:512
	s_or_b64 exec, exec, s[0:1]
                                        ; implicit-def: $vgpr40
	s_and_saveexec_b64 s[0:1], s[6:7]
	s_cbranch_execnz .LBB580_58
.LBB580_211:
	s_or_b64 exec, exec, s[0:1]
                                        ; implicit-def: $vgpr41
	s_and_saveexec_b64 s[0:1], s[8:9]
	s_cbranch_execz .LBB580_59
.LBB580_212:
	v_mov_b32_e32 v15, 0
	v_lshl_add_u64 v[42:43], v[18:19], 0, v[14:15]
	flat_load_ushort v41, v[42:43] offset:1536
	s_or_b64 exec, exec, s[0:1]
                                        ; implicit-def: $vgpr42
	s_and_saveexec_b64 s[0:1], s[10:11]
	s_cbranch_execnz .LBB580_60
.LBB580_213:
	s_or_b64 exec, exec, s[0:1]
                                        ; implicit-def: $vgpr43
	s_and_saveexec_b64 s[0:1], s[12:13]
	s_cbranch_execz .LBB580_61
.LBB580_214:
	v_mov_b32_e32 v15, 0
	v_lshl_add_u64 v[44:45], v[18:19], 0, v[14:15]
	flat_load_ushort v43, v[44:45] offset:2560
	s_or_b64 exec, exec, s[0:1]
                                        ; implicit-def: $vgpr44
	s_and_saveexec_b64 s[0:1], s[14:15]
	s_cbranch_execnz .LBB580_62
.LBB580_215:
	s_or_b64 exec, exec, s[0:1]
                                        ; implicit-def: $vgpr15
	s_and_saveexec_b64 s[0:1], s[16:17]
	s_cbranch_execz .LBB580_63
.LBB580_216:
	v_mov_b32_e32 v15, 0
	v_lshl_add_u64 v[46:47], v[18:19], 0, v[14:15]
	flat_load_ushort v15, v[46:47] offset:3584
	s_or_b64 exec, exec, s[0:1]
                                        ; implicit-def: $vgpr45
	s_and_saveexec_b64 s[0:1], s[18:19]
	s_cbranch_execnz .LBB580_64
.LBB580_217:
	s_or_b64 exec, exec, s[0:1]
                                        ; implicit-def: $vgpr1
	s_and_saveexec_b64 s[0:1], s[20:21]
	s_cbranch_execz .LBB580_65
.LBB580_218:
	v_lshlrev_b32_e32 v46, 1, v16
	v_mov_b32_e32 v47, 0
	v_lshl_add_u64 v[46:47], v[18:19], 0, v[46:47]
	flat_load_ushort v1, v[46:47]
	s_or_b64 exec, exec, s[0:1]
                                        ; implicit-def: $vgpr16
	s_and_saveexec_b64 s[0:1], s[22:23]
	s_cbranch_execnz .LBB580_66
.LBB580_219:
	s_or_b64 exec, exec, s[0:1]
                                        ; implicit-def: $vgpr17
	s_and_saveexec_b64 s[0:1], s[24:25]
	s_cbranch_execz .LBB580_67
.LBB580_220:
	v_lshlrev_b32_e32 v46, 1, v22
	v_mov_b32_e32 v47, 0
	v_lshl_add_u64 v[46:47], v[18:19], 0, v[46:47]
	flat_load_ushort v17, v[46:47]
	s_or_b64 exec, exec, s[0:1]
                                        ; implicit-def: $vgpr22
	s_and_saveexec_b64 s[0:1], s[26:27]
	s_cbranch_execnz .LBB580_68
.LBB580_221:
	s_or_b64 exec, exec, s[0:1]
                                        ; implicit-def: $vgpr23
	s_and_saveexec_b64 s[0:1], s[28:29]
	s_cbranch_execz .LBB580_69
.LBB580_222:
	v_lshlrev_b32_e32 v46, 1, v24
	v_mov_b32_e32 v47, 0
	v_lshl_add_u64 v[46:47], v[18:19], 0, v[46:47]
	flat_load_ushort v23, v[46:47]
	s_or_b64 exec, exec, s[0:1]
                                        ; implicit-def: $vgpr24
	s_and_saveexec_b64 s[0:1], s[30:31]
	s_cbranch_execnz .LBB580_70
.LBB580_223:
	s_or_b64 exec, exec, s[0:1]
                                        ; implicit-def: $vgpr25
	s_and_saveexec_b64 s[0:1], s[34:35]
	s_cbranch_execz .LBB580_71
.LBB580_224:
	v_lshlrev_b32_e32 v46, 1, v29
	v_mov_b32_e32 v47, 0
	v_lshl_add_u64 v[46:47], v[18:19], 0, v[46:47]
	flat_load_ushort v25, v[46:47]
	s_or_b64 exec, exec, s[0:1]
                                        ; implicit-def: $vgpr29
	s_and_saveexec_b64 s[0:1], s[36:37]
	s_cbranch_execnz .LBB580_72
.LBB580_225:
	s_or_b64 exec, exec, s[0:1]
                                        ; implicit-def: $vgpr30
	s_and_saveexec_b64 s[0:1], s[38:39]
	s_cbranch_execz .LBB580_73
.LBB580_226:
	v_lshlrev_b32_e32 v30, 1, v31
	v_mov_b32_e32 v31, 0
	v_lshl_add_u64 v[30:31], v[18:19], 0, v[30:31]
	flat_load_ushort v30, v[30:31]
	s_or_b64 exec, exec, s[0:1]
                                        ; implicit-def: $vgpr31
	s_and_saveexec_b64 s[0:1], s[40:41]
	s_cbranch_execnz .LBB580_74
.LBB580_227:
	s_or_b64 exec, exec, s[0:1]
                                        ; implicit-def: $vgpr32
	s_and_saveexec_b64 s[0:1], s[42:43]
	s_cbranch_execz .LBB580_75
.LBB580_228:
	v_lshlrev_b32_e32 v32, 1, v33
	v_mov_b32_e32 v33, 0
	v_lshl_add_u64 v[32:33], v[18:19], 0, v[32:33]
	flat_load_ushort v32, v[32:33]
	s_or_b64 exec, exec, s[0:1]
                                        ; implicit-def: $vgpr33
	s_and_saveexec_b64 s[0:1], s[44:45]
	s_cbranch_execnz .LBB580_76
.LBB580_229:
	s_or_b64 exec, exec, s[0:1]
                                        ; implicit-def: $vgpr34
	s_and_saveexec_b64 s[0:1], s[46:47]
	s_cbranch_execz .LBB580_77
.LBB580_230:
	v_lshlrev_b32_e32 v34, 1, v35
	v_mov_b32_e32 v35, 0
	v_lshl_add_u64 v[34:35], v[18:19], 0, v[34:35]
	flat_load_ushort v34, v[34:35]
	s_or_b64 exec, exec, s[0:1]
                                        ; implicit-def: $vgpr35
	s_and_saveexec_b64 s[0:1], s[48:49]
	s_cbranch_execz .LBB580_79
	s_branch .LBB580_78
.LBB580_231:
                                        ; implicit-def: $vgpr8
                                        ; implicit-def: $vgpr6
                                        ; implicit-def: $vgpr7
                                        ; implicit-def: $vgpr9
                                        ; implicit-def: $vgpr10
                                        ; implicit-def: $vgpr11
                                        ; implicit-def: $vgpr16
                                        ; implicit-def: $vgpr18
                                        ; implicit-def: $vgpr15
                                        ; implicit-def: $vgpr17
                                        ; implicit-def: $vgpr19
                                        ; implicit-def: $vgpr20
                                        ; implicit-def: $vgpr21
                                        ; implicit-def: $vgpr47
                                        ; implicit-def: $vgpr49
                                        ; implicit-def: $vgpr51
                                        ; implicit-def: $vgpr48
                                        ; implicit-def: $vgpr50
                                        ; implicit-def: $vgpr52
                                        ; implicit-def: $vgpr53
                                        ; implicit-def: $vgpr54
                                        ; implicit-def: $vgpr55
                                        ; implicit-def: $vgpr56
                                        ; implicit-def: $vgpr57
	s_cbranch_execz .LBB580_259
; %bb.232:
	s_cmp_lg_u64 s[72:73], 0
	s_cselect_b32 s1, s71, 0
	s_cselect_b32 s0, s70, 0
	s_cmp_eq_u64 s[0:1], 0
	v_mov_b32_e32 v2, s74
	s_cbranch_scc1 .LBB580_234
; %bb.233:
	v_mov_b32_e32 v2, 0
	global_load_ushort v2, v2, s[0:1]
.LBB580_234:
	s_mov_b32 s0, 0x10000
	v_cmp_gt_u32_e32 vcc, s0, v25
	v_cmp_gt_u32_e64 s[4:5], s0, v29
	v_cmp_gt_u32_e64 s[6:7], s0, v30
	v_cndmask_b32_e32 v3, 0, v1, vcc
	v_add_u16_e32 v3, v3, v25
	v_cndmask_b32_e64 v3, 0, v3, s[4:5]
	v_add_u16_e32 v3, v3, v29
	v_cndmask_b32_e64 v3, 0, v3, s[6:7]
	v_add_u16_e32 v3, v3, v30
	v_cmp_gt_u32_e64 s[8:9], s0, v31
	v_cmp_gt_u32_e64 s[10:11], s0, v32
	v_cmp_gt_u32_e64 s[12:13], s0, v33
	v_cndmask_b32_e64 v3, 0, v3, s[8:9]
	v_add_u16_e32 v3, v3, v31
	v_cndmask_b32_e64 v3, 0, v3, s[10:11]
	v_add_u16_e32 v3, v3, v32
	v_cndmask_b32_e64 v3, 0, v3, s[12:13]
	v_add_u16_e32 v3, v3, v33
	v_cmp_gt_u32_e64 s[14:15], s0, v34
	v_cmp_gt_u32_e64 s[16:17], s0, v35
	v_cmp_gt_u32_e64 s[18:19], s0, v36
	v_cndmask_b32_e64 v3, 0, v3, s[14:15]
	;; [unrolled: 9-line block ×5, first 2 shown]
	v_add_u16_e32 v3, v3, v43
	v_cndmask_b32_e64 v3, 0, v3, s[36:37]
	v_add_u16_e32 v3, v3, v22
	v_cndmask_b32_e64 v3, 0, v3, s[38:39]
	v_or3_b32 v6, v14, v44, v22
	v_add_u16_e32 v3, v3, v44
	v_cmp_gt_u32_e64 s[40:41], s0, v23
	v_or3_b32 v6, v6, v43, v42
	v_or3_b32 v6, v6, v41, v40
	v_cndmask_b32_e64 v3, 0, v3, s[40:41]
	v_add_u16_e32 v3, v3, v23
	v_cmp_gt_u32_e64 s[42:43], s0, v45
	v_or3_b32 v6, v6, v39, v38
	v_or3_b32 v6, v6, v37, v36
	v_cndmask_b32_e64 v3, 0, v3, s[42:43]
	;; [unrolled: 5-line block ×4, first 2 shown]
	v_add_u16_e32 v3, v3, v46
	v_cmp_gt_u32_e64 s[0:1], s0, v12
	v_and_b32_e32 v6, 0x10000, v6
	v_and_b32_e32 v5, 0x10000, v1
	v_cndmask_b32_e64 v3, 0, v3, s[0:1]
	v_mov_b32_e32 v7, 0x10000
	v_cmp_ne_u32_e64 s[0:1], 0, v6
	v_add_u16_e32 v4, v3, v12
	v_add_u16_e32 v6, v3, v12
	v_cndmask_b32_e64 v7, v5, v7, s[0:1]
	v_mbcnt_hi_u32_b32 v3, -1, v13
	v_and_b32_e32 v8, 15, v3
	v_or_b32_e32 v6, v7, v6
	v_lshrrev_b32_e32 v5, 16, v7
	v_cmp_ne_u32_e64 s[0:1], 0, v8
	v_mov_b32_dpp v9, v6 row_shr:1 row_mask:0xf bank_mask:0xf
	s_and_saveexec_b64 s[48:49], s[0:1]
	s_cbranch_execz .LBB580_236
; %bb.235:
	v_cmp_eq_u32_e64 s[0:1], 0, v7
	v_and_b32_e32 v5, 0x10000, v7
	v_mov_b32_e32 v7, 1
	v_cndmask_b32_e64 v6, 0, v9, s[0:1]
	v_and_b32_sdwa v7, v9, v7 dst_sel:DWORD dst_unused:UNUSED_PAD src0_sel:WORD_1 src1_sel:DWORD
	v_cmp_ne_u32_e64 s[0:1], 0, v5
	v_add_u16_e32 v10, v6, v4
	v_add_u16_e32 v4, v6, v4
	v_cndmask_b32_e64 v5, v7, 1, s[0:1]
	v_lshlrev_b32_e32 v7, 16, v5
	v_or_b32_e32 v6, v7, v4
	v_mov_b32_e32 v4, v10
.LBB580_236:
	s_or_b64 exec, exec, s[48:49]
	v_lshrrev_b32_e32 v7, 16, v6
	v_mov_b32_dpp v9, v6 row_shr:2 row_mask:0xf bank_mask:0xf
	v_cmp_lt_u32_e64 s[0:1], 1, v8
	s_and_saveexec_b64 s[48:49], s[0:1]
	s_cbranch_execz .LBB580_238
; %bb.237:
	s_mov_b32 s0, 0x10000
	v_cmp_gt_u32_e64 s[0:1], s0, v6
	v_and_b32_e32 v5, 0x10000, v6
	v_mov_b32_e32 v6, 1
	v_cndmask_b32_e64 v7, 0, v9, s[0:1]
	v_and_b32_sdwa v6, v9, v6 dst_sel:DWORD dst_unused:UNUSED_PAD src0_sel:WORD_1 src1_sel:DWORD
	v_cmp_ne_u32_e64 s[0:1], 0, v5
	v_add_u16_e32 v10, v7, v4
	v_add_u16_e32 v4, v7, v4
	v_cndmask_b32_e64 v5, v6, 1, s[0:1]
	v_lshlrev_b32_e32 v6, 16, v5
	v_or_b32_e32 v6, v6, v4
	v_mov_b32_e32 v7, v5
	v_mov_b32_e32 v4, v10
.LBB580_238:
	s_or_b64 exec, exec, s[48:49]
	v_mov_b32_dpp v9, v6 row_shr:4 row_mask:0xf bank_mask:0xf
	v_cmp_lt_u32_e64 s[0:1], 3, v8
	s_and_saveexec_b64 s[48:49], s[0:1]
	s_cbranch_execz .LBB580_240
; %bb.239:
	v_cmp_eq_u16_e64 s[0:1], 0, v7
	v_and_b32_e32 v5, 1, v7
	v_mov_b32_e32 v7, 1
	v_cndmask_b32_e64 v6, 0, v9, s[0:1]
	v_and_b32_sdwa v7, v9, v7 dst_sel:DWORD dst_unused:UNUSED_PAD src0_sel:WORD_1 src1_sel:DWORD
	v_cmp_eq_u32_e64 s[0:1], 1, v5
	v_add_u16_e32 v10, v6, v4
	v_add_u16_e32 v4, v6, v4
	v_cndmask_b32_e64 v5, v7, 1, s[0:1]
	v_lshlrev_b32_e32 v7, 16, v5
	v_or_b32_e32 v6, v7, v4
	v_mov_b32_e32 v7, v5
	v_mov_b32_e32 v4, v10
.LBB580_240:
	s_or_b64 exec, exec, s[48:49]
	v_mov_b32_dpp v9, v6 row_shr:8 row_mask:0xf bank_mask:0xf
	v_cmp_lt_u32_e64 s[0:1], 7, v8
	s_and_saveexec_b64 s[48:49], s[0:1]
	s_cbranch_execz .LBB580_242
; %bb.241:
	v_cmp_eq_u16_e64 s[0:1], 0, v7
	v_and_b32_e32 v5, 1, v7
	v_mov_b32_e32 v7, 1
	v_cndmask_b32_e64 v6, 0, v9, s[0:1]
	v_and_b32_sdwa v7, v9, v7 dst_sel:DWORD dst_unused:UNUSED_PAD src0_sel:WORD_1 src1_sel:DWORD
	v_cmp_eq_u32_e64 s[0:1], 1, v5
	v_add_u16_e32 v8, v6, v4
	v_add_u16_e32 v4, v6, v4
	v_cndmask_b32_e64 v5, v7, 1, s[0:1]
	v_lshlrev_b32_e32 v7, 16, v5
	v_or_b32_e32 v6, v7, v4
	v_mov_b32_e32 v7, v5
	v_mov_b32_e32 v4, v8
.LBB580_242:
	s_or_b64 exec, exec, s[48:49]
	v_and_b32_e32 v9, 16, v3
	v_mov_b32_dpp v8, v6 row_bcast:15 row_mask:0xf bank_mask:0xf
	v_cmp_ne_u32_e64 s[0:1], 0, v9
	s_and_saveexec_b64 s[48:49], s[0:1]
	s_cbranch_execz .LBB580_244
; %bb.243:
	v_cmp_eq_u16_e64 s[0:1], 0, v7
	v_and_b32_e32 v5, 1, v7
	v_mov_b32_e32 v7, 1
	v_cndmask_b32_e64 v6, 0, v8, s[0:1]
	v_and_b32_sdwa v7, v8, v7 dst_sel:DWORD dst_unused:UNUSED_PAD src0_sel:WORD_1 src1_sel:DWORD
	v_cmp_eq_u32_e64 s[0:1], 1, v5
	v_add_u16_e32 v9, v6, v4
	v_add_u16_e32 v4, v6, v4
	v_cndmask_b32_e64 v5, v7, 1, s[0:1]
	v_lshlrev_b32_e32 v7, 16, v5
	v_or_b32_e32 v6, v7, v4
	v_mov_b32_e32 v7, v5
	v_mov_b32_e32 v4, v9
.LBB580_244:
	s_or_b64 exec, exec, s[48:49]
	v_mov_b32_dpp v6, v6 row_bcast:31 row_mask:0xf bank_mask:0xf
	v_cmp_lt_u32_e64 s[0:1], 31, v3
	s_and_saveexec_b64 s[48:49], s[0:1]
; %bb.245:
	v_cmp_eq_u16_e64 s[0:1], 0, v7
	s_nop 1
	v_cndmask_b32_e64 v5, 0, v6, s[0:1]
	v_add_u16_e32 v4, v5, v4
	v_and_b32_e32 v5, 1, v7
	v_mov_b32_e32 v7, 1
	v_and_b32_sdwa v6, v6, v7 dst_sel:DWORD dst_unused:UNUSED_PAD src0_sel:WORD_1 src1_sel:DWORD
	v_cmp_eq_u32_e64 s[0:1], 1, v5
	s_nop 1
	v_cndmask_b32_e64 v5, v6, 1, s[0:1]
; %bb.246:
	s_or_b64 exec, exec, s[48:49]
	v_or_b32_e32 v7, 63, v0
	v_lshrrev_b32_e32 v6, 6, v0
	v_cmp_eq_u32_e64 s[0:1], v7, v0
	s_and_saveexec_b64 s[48:49], s[0:1]
	s_cbranch_execz .LBB580_248
; %bb.247:
	v_lshlrev_b32_e32 v7, 2, v6
	ds_write_b16 v7, v4
	ds_write_b8 v7, v5 offset:2
.LBB580_248:
	s_or_b64 exec, exec, s[48:49]
	v_cmp_gt_u32_e64 s[0:1], 4, v0
	s_waitcnt lgkmcnt(0)
	s_barrier
	s_and_saveexec_b64 s[48:49], s[0:1]
	s_cbranch_execz .LBB580_254
; %bb.249:
	v_lshlrev_b32_e32 v7, 2, v0
	ds_read_b32 v8, v7
	v_and_b32_e32 v11, 3, v3
	v_cmp_ne_u32_e64 s[0:1], 0, v11
	s_waitcnt lgkmcnt(0)
	v_lshrrev_b32_e32 v10, 16, v8
	v_mov_b32_dpp v12, v8 row_shr:1 row_mask:0xf bank_mask:0xf
	v_mov_b32_e32 v9, v8
	s_and_saveexec_b64 s[50:51], s[0:1]
	s_cbranch_execz .LBB580_251
; %bb.250:
	v_mov_b32_e32 v9, 0
	v_cmp_eq_u16_sdwa s[0:1], v10, v9 src0_sel:BYTE_0 src1_sel:DWORD
	v_and_b32_e32 v10, 0x10000, v8
	v_mov_b32_e32 v15, 1
	v_cndmask_b32_e64 v14, 0, v12, s[0:1]
	v_and_b32_sdwa v12, v12, v15 dst_sel:DWORD dst_unused:UNUSED_PAD src0_sel:WORD_1 src1_sel:DWORD
	v_cmp_ne_u32_e64 s[0:1], 0, v10
	v_and_b32_e32 v13, 0xff000000, v8
	v_add_u16_e32 v9, v14, v8
	v_cndmask_b32_e64 v10, v12, 1, s[0:1]
	v_lshlrev_b32_e32 v12, 16, v10
	v_add_u16_e32 v8, v14, v8
	v_or3_b32 v8, v12, v13, v8
.LBB580_251:
	s_or_b64 exec, exec, s[50:51]
	s_nop 0
	v_mov_b32_dpp v12, v8 row_shr:2 row_mask:0xf bank_mask:0xf
	v_cmp_lt_u32_e64 s[0:1], 1, v11
	s_and_saveexec_b64 s[50:51], s[0:1]
; %bb.252:
	v_and_b32_e32 v10, 0xff0000, v8
	v_cmp_eq_u32_e64 s[0:1], 0, v10
	v_and_b32_e32 v8, 0x10000, v8
	s_nop 0
	v_cndmask_b32_e64 v10, 0, v12, s[0:1]
	v_add_u16_e32 v9, v10, v9
	v_mov_b32_e32 v10, 1
	v_and_b32_sdwa v10, v12, v10 dst_sel:DWORD dst_unused:UNUSED_PAD src0_sel:WORD_1 src1_sel:DWORD
	v_cmp_eq_u32_e64 s[0:1], 0, v8
	s_nop 1
	v_cndmask_b32_e64 v10, 1, v10, s[0:1]
; %bb.253:
	s_or_b64 exec, exec, s[50:51]
	ds_write_b16 v7, v9
	ds_write_b8 v7, v10 offset:2
.LBB580_254:
	s_or_b64 exec, exec, s[48:49]
	v_cmp_lt_u32_e64 s[0:1], 63, v0
	v_mov_b32_e32 v8, 0
	s_waitcnt vmcnt(0)
	v_mov_b32_e32 v7, v2
	s_waitcnt lgkmcnt(0)
	s_barrier
	s_and_saveexec_b64 s[48:49], s[0:1]
	s_cbranch_execz .LBB580_256
; %bb.255:
	v_lshl_add_u32 v6, v6, 2, -4
	ds_read_u8 v8, v6 offset:2
	ds_read_u16 v6, v6
	s_waitcnt lgkmcnt(1)
	v_cmp_eq_u16_e64 s[0:1], 0, v8
	s_nop 1
	v_cndmask_b32_e64 v7, 0, v2, s[0:1]
	s_waitcnt lgkmcnt(0)
	v_add_u16_e32 v7, v7, v6
.LBB580_256:
	s_or_b64 exec, exec, s[48:49]
	v_cmp_eq_u16_e64 s[0:1], 0, v5
	v_and_b32_e32 v5, 1, v5
	v_lshlrev_b32_e32 v8, 16, v8
	v_cndmask_b32_e64 v6, 0, v7, s[0:1]
	v_mov_b32_e32 v9, 0x10000
	v_cmp_eq_u32_e64 s[0:1], 1, v5
	v_add_u16_e32 v4, v6, v4
	v_and_b32_e32 v6, 64, v3
	v_cndmask_b32_e64 v5, v8, v9, s[0:1]
	v_or_b32_e32 v4, v5, v4
	v_add_u32_e32 v5, -1, v3
	v_cmp_lt_i32_e64 s[0:1], v5, v6
	s_nop 1
	v_cndmask_b32_e64 v5, v5, v3, s[0:1]
	v_lshlrev_b32_e32 v5, 2, v5
	ds_bpermute_b32 v4, v5, v4
	v_cmp_eq_u32_e64 s[0:1], 0, v3
	s_waitcnt lgkmcnt(0)
	s_nop 0
	v_cndmask_b32_e64 v8, v4, v7, s[0:1]
	v_and_b32_e32 v4, 0xff0000, v1
	v_cndmask_b32_e64 v3, v8, v2, s[52:53]
	v_cmp_eq_u32_e64 s[0:1], 0, v4
	s_nop 1
	v_cndmask_b32_e64 v3, 0, v3, s[0:1]
	v_add_u16_e32 v6, v3, v1
	v_cndmask_b32_e32 v1, 0, v6, vcc
	v_add_u16_e32 v7, v1, v25
	v_cndmask_b32_e64 v1, 0, v7, s[4:5]
	v_add_u16_e32 v9, v1, v29
	v_cndmask_b32_e64 v1, 0, v9, s[6:7]
	;; [unrolled: 2-line block ×21, first 2 shown]
	s_and_saveexec_b64 s[0:1], s[52:53]
	s_cbranch_execz .LBB580_258
; %bb.257:
	v_mov_b32_e32 v3, 0
	ds_read_u8 v4, v3 offset:14
	ds_read_u16 v8, v3 offset:12
	v_mov_b32_e32 v5, 2
	s_waitcnt lgkmcnt(1)
	v_cmp_eq_u32_e32 vcc, 0, v4
	v_lshlrev_b32_e32 v12, 16, v4
	s_nop 0
	v_cndmask_b32_e32 v4, 0, v2, vcc
	s_waitcnt lgkmcnt(0)
	v_add_u32_e32 v4, v4, v8
	v_or_b32_sdwa v4, v12, v4 dst_sel:DWORD dst_unused:UNUSED_PAD src0_sel:DWORD src1_sel:WORD_0
	v_mov_b32_e32 v8, v2
	global_store_dwordx2 v3, v[4:5], s[64:65] offset:512 sc1
.LBB580_258:
	s_or_b64 exec, exec, s[0:1]
	v_add_u16_e32 v57, v1, v46
.LBB580_259:
	s_add_u32 s0, s62, s54
	s_addc_u32 s1, s63, s55
	v_mul_u32_u24_e32 v1, 24, v0
	v_lshl_add_u64 v[2:3], s[0:1], 0, v[26:27]
	s_and_b64 vcc, exec, s[2:3]
	v_lshlrev_b32_e32 v12, 1, v1
	s_cbranch_vccz .LBB580_307
; %bb.260:
	s_mov_b32 s0, 0x5040100
	v_perm_b32 v25, v18, v16, s0
	v_perm_b32 v24, v11, v10, s0
	;; [unrolled: 1-line block ×4, first 2 shown]
	s_barrier
	ds_write_b128 v12, v[22:25]
	v_perm_b32 v25, v51, v49, s0
	v_perm_b32 v24, v47, v21, s0
	;; [unrolled: 1-line block ×4, first 2 shown]
	ds_write_b128 v12, v[22:25] offset:16
	v_perm_b32 v25, v57, v56, s0
	v_perm_b32 v24, v55, v54, s0
	;; [unrolled: 1-line block ×4, first 2 shown]
	s_movk_i32 s0, 0xffd2
	v_mad_i32_i24 v4, v0, s0, v12
	ds_write_b128 v12, v[22:25] offset:32
	s_waitcnt lgkmcnt(0)
	s_barrier
	ds_read_u16 v43, v4 offset:512
	ds_read_u16 v42, v4 offset:1024
	;; [unrolled: 1-line block ×23, first 2 shown]
	s_add_i32 s33, s33, s66
	v_mov_b32_e32 v29, 0
	v_lshl_add_u64 v[4:5], v[2:3], 0, v[28:29]
	v_cmp_gt_u32_e32 vcc, s33, v0
	s_and_saveexec_b64 s[0:1], vcc
	s_cbranch_execz .LBB580_262
; %bb.261:
	v_mul_i32_i24_e32 v44, 0xffffffd2, v0
	v_add_u32_e32 v44, v12, v44
	ds_read_u16 v44, v44
	s_waitcnt lgkmcnt(0)
	flat_store_short v[4:5], v44
.LBB580_262:
	s_or_b64 exec, exec, s[0:1]
	v_or_b32_e32 v44, 0x100, v0
	v_cmp_gt_u32_e32 vcc, s33, v44
	s_and_saveexec_b64 s[0:1], vcc
	s_cbranch_execz .LBB580_264
; %bb.263:
	s_waitcnt lgkmcnt(0)
	flat_store_short v[4:5], v43 offset:512
.LBB580_264:
	s_or_b64 exec, exec, s[0:1]
	s_waitcnt lgkmcnt(0)
	v_or_b32_e32 v43, 0x200, v0
	v_cmp_gt_u32_e32 vcc, s33, v43
	s_and_saveexec_b64 s[0:1], vcc
	s_cbranch_execz .LBB580_266
; %bb.265:
	flat_store_short v[4:5], v42 offset:1024
.LBB580_266:
	s_or_b64 exec, exec, s[0:1]
	v_or_b32_e32 v42, 0x300, v0
	v_cmp_gt_u32_e32 vcc, s33, v42
	s_and_saveexec_b64 s[0:1], vcc
	s_cbranch_execz .LBB580_268
; %bb.267:
	flat_store_short v[4:5], v41 offset:1536
.LBB580_268:
	s_or_b64 exec, exec, s[0:1]
	;; [unrolled: 8-line block ×6, first 2 shown]
	v_or_b32_e32 v37, 0x800, v0
	v_cmp_gt_u32_e32 vcc, s33, v37
	s_and_saveexec_b64 s[0:1], vcc
	s_cbranch_execz .LBB580_278
; %bb.277:
	v_add_co_u32_e32 v38, vcc, 0x1000, v4
	s_nop 1
	v_addc_co_u32_e32 v39, vcc, 0, v5, vcc
	flat_store_short v[38:39], v36
.LBB580_278:
	s_or_b64 exec, exec, s[0:1]
	v_or_b32_e32 v36, 0x900, v0
	v_cmp_gt_u32_e32 vcc, s33, v36
	s_and_saveexec_b64 s[0:1], vcc
	s_cbranch_execz .LBB580_280
; %bb.279:
	v_add_co_u32_e32 v36, vcc, 0x1000, v4
	s_nop 1
	v_addc_co_u32_e32 v37, vcc, 0, v5, vcc
	flat_store_short v[36:37], v35 offset:512
.LBB580_280:
	s_or_b64 exec, exec, s[0:1]
	v_or_b32_e32 v35, 0xa00, v0
	v_cmp_gt_u32_e32 vcc, s33, v35
	s_and_saveexec_b64 s[0:1], vcc
	s_cbranch_execz .LBB580_282
; %bb.281:
	v_add_co_u32_e32 v36, vcc, 0x1000, v4
	s_nop 1
	v_addc_co_u32_e32 v37, vcc, 0, v5, vcc
	flat_store_short v[36:37], v34 offset:1024
.LBB580_282:
	;; [unrolled: 11-line block ×7, first 2 shown]
	s_or_b64 exec, exec, s[0:1]
	v_or_b32_e32 v27, 0x1000, v0
	v_cmp_gt_u32_e32 vcc, s33, v27
	s_and_saveexec_b64 s[0:1], vcc
	s_cbranch_execz .LBB580_294
; %bb.293:
	v_add_co_u32_e32 v30, vcc, 0x2000, v4
	s_nop 1
	v_addc_co_u32_e32 v31, vcc, 0, v5, vcc
	flat_store_short v[30:31], v26
.LBB580_294:
	s_or_b64 exec, exec, s[0:1]
	v_or_b32_e32 v26, 0x1100, v0
	v_cmp_gt_u32_e32 vcc, s33, v26
	s_and_saveexec_b64 s[0:1], vcc
	s_cbranch_execz .LBB580_296
; %bb.295:
	v_add_co_u32_e32 v26, vcc, 0x2000, v4
	s_nop 1
	v_addc_co_u32_e32 v27, vcc, 0, v5, vcc
	flat_store_short v[26:27], v25 offset:512
.LBB580_296:
	s_or_b64 exec, exec, s[0:1]
	v_or_b32_e32 v25, 0x1200, v0
	v_cmp_gt_u32_e32 vcc, s33, v25
	s_and_saveexec_b64 s[0:1], vcc
	s_cbranch_execz .LBB580_298
; %bb.297:
	v_add_co_u32_e32 v26, vcc, 0x2000, v4
	s_nop 1
	v_addc_co_u32_e32 v27, vcc, 0, v5, vcc
	flat_store_short v[26:27], v24 offset:1024
.LBB580_298:
	;; [unrolled: 11-line block ×6, first 2 shown]
	s_or_b64 exec, exec, s[0:1]
	v_or_b32_e32 v4, 0x1700, v0
	v_mov_b32_e32 v1, v29
	v_cmp_gt_u32_e64 s[0:1], s33, v4
	s_branch .LBB580_309
.LBB580_307:
	s_mov_b64 s[0:1], 0
                                        ; implicit-def: $vgpr13
	s_cbranch_execz .LBB580_309
; %bb.308:
	s_mov_b32 s2, 0x5040100
	v_perm_b32 v23, v9, v7, s2
	v_perm_b32 v22, v6, v8, s2
	;; [unrolled: 1-line block ×6, first 2 shown]
	s_waitcnt lgkmcnt(0)
	s_barrier
	v_perm_b32 v25, v18, v16, s2
	v_perm_b32 v24, v11, v10, s2
	ds_write_b128 v12, v[4:7] offset:16
	v_perm_b32 v7, v57, v56, s2
	v_perm_b32 v6, v55, v54, s2
	;; [unrolled: 1-line block ×4, first 2 shown]
	v_mov_b32_e32 v1, 0
	s_movk_i32 s2, 0xffd2
	ds_write_b128 v12, v[4:7] offset:32
	v_mad_i32_i24 v4, v0, s2, v12
	v_mov_b32_e32 v29, v1
	ds_write_b128 v12, v[22:25]
	s_waitcnt lgkmcnt(0)
	s_barrier
	ds_read_u16 v6, v4
	ds_read_u16 v7, v4 offset:512
	ds_read_u16 v8, v4 offset:1024
	;; [unrolled: 1-line block ×23, first 2 shown]
	v_lshl_add_u64 v[4:5], v[2:3], 0, v[28:29]
	s_movk_i32 s2, 0x1000
	s_waitcnt lgkmcnt(0)
	flat_store_short v[4:5], v6
	flat_store_short v[4:5], v7 offset:512
	flat_store_short v[4:5], v8 offset:1024
	;; [unrolled: 1-line block ×7, first 2 shown]
	v_add_co_u32_e32 v6, vcc, s2, v4
	s_or_b64 s[0:1], s[0:1], exec
	s_nop 0
	v_addc_co_u32_e32 v7, vcc, 0, v5, vcc
	v_add_co_u32_e32 v4, vcc, 0x2000, v4
	flat_store_short v[6:7], v15
	flat_store_short v[6:7], v16 offset:512
	flat_store_short v[6:7], v17 offset:1024
	;; [unrolled: 1-line block ×7, first 2 shown]
	v_addc_co_u32_e32 v5, vcc, 0, v5, vcc
	flat_store_short v[4:5], v23
	flat_store_short v[4:5], v24 offset:512
	flat_store_short v[4:5], v25 offset:1024
	;; [unrolled: 1-line block ×6, first 2 shown]
.LBB580_309:
	s_and_saveexec_b64 s[2:3], s[0:1]
	s_cbranch_execz .LBB580_311
; %bb.310:
	v_lshl_add_u64 v[0:1], v[0:1], 1, v[2:3]
	v_add_co_u32_e32 v0, vcc, 0x2000, v0
	s_nop 1
	v_addc_co_u32_e32 v1, vcc, 0, v1, vcc
	flat_store_short v[0:1], v13 offset:3584
	s_endpgm
.LBB580_311:
	s_endpgm
	.section	.rodata,"a",@progbits
	.p2align	6, 0x0
	.amdhsa_kernel _ZN7rocprim17ROCPRIM_400000_NS6detail17trampoline_kernelINS0_14default_configENS1_27scan_by_key_config_selectorIssEEZZNS1_16scan_by_key_implILNS1_25lookback_scan_determinismE0ELb1ES3_N6thrust23THRUST_200600_302600_NS6detail15normal_iteratorINS9_10device_ptrIsEEEESE_SE_sNS9_4plusIvEENS9_8equal_toIvEEsEE10hipError_tPvRmT2_T3_T4_T5_mT6_T7_P12ihipStream_tbENKUlT_T0_E_clISt17integral_constantIbLb1EESZ_EEDaSU_SV_EUlSU_E_NS1_11comp_targetILNS1_3genE5ELNS1_11target_archE942ELNS1_3gpuE9ELNS1_3repE0EEENS1_30default_config_static_selectorELNS0_4arch9wavefront6targetE1EEEvT1_
		.amdhsa_group_segment_fixed_size 13312
		.amdhsa_private_segment_fixed_size 0
		.amdhsa_kernarg_size 112
		.amdhsa_user_sgpr_count 2
		.amdhsa_user_sgpr_dispatch_ptr 0
		.amdhsa_user_sgpr_queue_ptr 0
		.amdhsa_user_sgpr_kernarg_segment_ptr 1
		.amdhsa_user_sgpr_dispatch_id 0
		.amdhsa_user_sgpr_kernarg_preload_length 0
		.amdhsa_user_sgpr_kernarg_preload_offset 0
		.amdhsa_user_sgpr_private_segment_size 0
		.amdhsa_uses_dynamic_stack 0
		.amdhsa_enable_private_segment 0
		.amdhsa_system_sgpr_workgroup_id_x 1
		.amdhsa_system_sgpr_workgroup_id_y 0
		.amdhsa_system_sgpr_workgroup_id_z 0
		.amdhsa_system_sgpr_workgroup_info 0
		.amdhsa_system_vgpr_workitem_id 0
		.amdhsa_next_free_vgpr 62
		.amdhsa_next_free_sgpr 75
		.amdhsa_accum_offset 64
		.amdhsa_reserve_vcc 1
		.amdhsa_float_round_mode_32 0
		.amdhsa_float_round_mode_16_64 0
		.amdhsa_float_denorm_mode_32 3
		.amdhsa_float_denorm_mode_16_64 3
		.amdhsa_dx10_clamp 1
		.amdhsa_ieee_mode 1
		.amdhsa_fp16_overflow 0
		.amdhsa_tg_split 0
		.amdhsa_exception_fp_ieee_invalid_op 0
		.amdhsa_exception_fp_denorm_src 0
		.amdhsa_exception_fp_ieee_div_zero 0
		.amdhsa_exception_fp_ieee_overflow 0
		.amdhsa_exception_fp_ieee_underflow 0
		.amdhsa_exception_fp_ieee_inexact 0
		.amdhsa_exception_int_div_zero 0
	.end_amdhsa_kernel
	.section	.text._ZN7rocprim17ROCPRIM_400000_NS6detail17trampoline_kernelINS0_14default_configENS1_27scan_by_key_config_selectorIssEEZZNS1_16scan_by_key_implILNS1_25lookback_scan_determinismE0ELb1ES3_N6thrust23THRUST_200600_302600_NS6detail15normal_iteratorINS9_10device_ptrIsEEEESE_SE_sNS9_4plusIvEENS9_8equal_toIvEEsEE10hipError_tPvRmT2_T3_T4_T5_mT6_T7_P12ihipStream_tbENKUlT_T0_E_clISt17integral_constantIbLb1EESZ_EEDaSU_SV_EUlSU_E_NS1_11comp_targetILNS1_3genE5ELNS1_11target_archE942ELNS1_3gpuE9ELNS1_3repE0EEENS1_30default_config_static_selectorELNS0_4arch9wavefront6targetE1EEEvT1_,"axG",@progbits,_ZN7rocprim17ROCPRIM_400000_NS6detail17trampoline_kernelINS0_14default_configENS1_27scan_by_key_config_selectorIssEEZZNS1_16scan_by_key_implILNS1_25lookback_scan_determinismE0ELb1ES3_N6thrust23THRUST_200600_302600_NS6detail15normal_iteratorINS9_10device_ptrIsEEEESE_SE_sNS9_4plusIvEENS9_8equal_toIvEEsEE10hipError_tPvRmT2_T3_T4_T5_mT6_T7_P12ihipStream_tbENKUlT_T0_E_clISt17integral_constantIbLb1EESZ_EEDaSU_SV_EUlSU_E_NS1_11comp_targetILNS1_3genE5ELNS1_11target_archE942ELNS1_3gpuE9ELNS1_3repE0EEENS1_30default_config_static_selectorELNS0_4arch9wavefront6targetE1EEEvT1_,comdat
.Lfunc_end580:
	.size	_ZN7rocprim17ROCPRIM_400000_NS6detail17trampoline_kernelINS0_14default_configENS1_27scan_by_key_config_selectorIssEEZZNS1_16scan_by_key_implILNS1_25lookback_scan_determinismE0ELb1ES3_N6thrust23THRUST_200600_302600_NS6detail15normal_iteratorINS9_10device_ptrIsEEEESE_SE_sNS9_4plusIvEENS9_8equal_toIvEEsEE10hipError_tPvRmT2_T3_T4_T5_mT6_T7_P12ihipStream_tbENKUlT_T0_E_clISt17integral_constantIbLb1EESZ_EEDaSU_SV_EUlSU_E_NS1_11comp_targetILNS1_3genE5ELNS1_11target_archE942ELNS1_3gpuE9ELNS1_3repE0EEENS1_30default_config_static_selectorELNS0_4arch9wavefront6targetE1EEEvT1_, .Lfunc_end580-_ZN7rocprim17ROCPRIM_400000_NS6detail17trampoline_kernelINS0_14default_configENS1_27scan_by_key_config_selectorIssEEZZNS1_16scan_by_key_implILNS1_25lookback_scan_determinismE0ELb1ES3_N6thrust23THRUST_200600_302600_NS6detail15normal_iteratorINS9_10device_ptrIsEEEESE_SE_sNS9_4plusIvEENS9_8equal_toIvEEsEE10hipError_tPvRmT2_T3_T4_T5_mT6_T7_P12ihipStream_tbENKUlT_T0_E_clISt17integral_constantIbLb1EESZ_EEDaSU_SV_EUlSU_E_NS1_11comp_targetILNS1_3genE5ELNS1_11target_archE942ELNS1_3gpuE9ELNS1_3repE0EEENS1_30default_config_static_selectorELNS0_4arch9wavefront6targetE1EEEvT1_
                                        ; -- End function
	.section	.AMDGPU.csdata,"",@progbits
; Kernel info:
; codeLenInByte = 16668
; NumSgprs: 81
; NumVgprs: 62
; NumAgprs: 0
; TotalNumVgprs: 62
; ScratchSize: 0
; MemoryBound: 0
; FloatMode: 240
; IeeeMode: 1
; LDSByteSize: 13312 bytes/workgroup (compile time only)
; SGPRBlocks: 10
; VGPRBlocks: 7
; NumSGPRsForWavesPerEU: 81
; NumVGPRsForWavesPerEU: 62
; AccumOffset: 64
; Occupancy: 4
; WaveLimiterHint : 1
; COMPUTE_PGM_RSRC2:SCRATCH_EN: 0
; COMPUTE_PGM_RSRC2:USER_SGPR: 2
; COMPUTE_PGM_RSRC2:TRAP_HANDLER: 0
; COMPUTE_PGM_RSRC2:TGID_X_EN: 1
; COMPUTE_PGM_RSRC2:TGID_Y_EN: 0
; COMPUTE_PGM_RSRC2:TGID_Z_EN: 0
; COMPUTE_PGM_RSRC2:TIDIG_COMP_CNT: 0
; COMPUTE_PGM_RSRC3_GFX90A:ACCUM_OFFSET: 15
; COMPUTE_PGM_RSRC3_GFX90A:TG_SPLIT: 0
	.section	.text._ZN7rocprim17ROCPRIM_400000_NS6detail17trampoline_kernelINS0_14default_configENS1_27scan_by_key_config_selectorIssEEZZNS1_16scan_by_key_implILNS1_25lookback_scan_determinismE0ELb1ES3_N6thrust23THRUST_200600_302600_NS6detail15normal_iteratorINS9_10device_ptrIsEEEESE_SE_sNS9_4plusIvEENS9_8equal_toIvEEsEE10hipError_tPvRmT2_T3_T4_T5_mT6_T7_P12ihipStream_tbENKUlT_T0_E_clISt17integral_constantIbLb1EESZ_EEDaSU_SV_EUlSU_E_NS1_11comp_targetILNS1_3genE4ELNS1_11target_archE910ELNS1_3gpuE8ELNS1_3repE0EEENS1_30default_config_static_selectorELNS0_4arch9wavefront6targetE1EEEvT1_,"axG",@progbits,_ZN7rocprim17ROCPRIM_400000_NS6detail17trampoline_kernelINS0_14default_configENS1_27scan_by_key_config_selectorIssEEZZNS1_16scan_by_key_implILNS1_25lookback_scan_determinismE0ELb1ES3_N6thrust23THRUST_200600_302600_NS6detail15normal_iteratorINS9_10device_ptrIsEEEESE_SE_sNS9_4plusIvEENS9_8equal_toIvEEsEE10hipError_tPvRmT2_T3_T4_T5_mT6_T7_P12ihipStream_tbENKUlT_T0_E_clISt17integral_constantIbLb1EESZ_EEDaSU_SV_EUlSU_E_NS1_11comp_targetILNS1_3genE4ELNS1_11target_archE910ELNS1_3gpuE8ELNS1_3repE0EEENS1_30default_config_static_selectorELNS0_4arch9wavefront6targetE1EEEvT1_,comdat
	.protected	_ZN7rocprim17ROCPRIM_400000_NS6detail17trampoline_kernelINS0_14default_configENS1_27scan_by_key_config_selectorIssEEZZNS1_16scan_by_key_implILNS1_25lookback_scan_determinismE0ELb1ES3_N6thrust23THRUST_200600_302600_NS6detail15normal_iteratorINS9_10device_ptrIsEEEESE_SE_sNS9_4plusIvEENS9_8equal_toIvEEsEE10hipError_tPvRmT2_T3_T4_T5_mT6_T7_P12ihipStream_tbENKUlT_T0_E_clISt17integral_constantIbLb1EESZ_EEDaSU_SV_EUlSU_E_NS1_11comp_targetILNS1_3genE4ELNS1_11target_archE910ELNS1_3gpuE8ELNS1_3repE0EEENS1_30default_config_static_selectorELNS0_4arch9wavefront6targetE1EEEvT1_ ; -- Begin function _ZN7rocprim17ROCPRIM_400000_NS6detail17trampoline_kernelINS0_14default_configENS1_27scan_by_key_config_selectorIssEEZZNS1_16scan_by_key_implILNS1_25lookback_scan_determinismE0ELb1ES3_N6thrust23THRUST_200600_302600_NS6detail15normal_iteratorINS9_10device_ptrIsEEEESE_SE_sNS9_4plusIvEENS9_8equal_toIvEEsEE10hipError_tPvRmT2_T3_T4_T5_mT6_T7_P12ihipStream_tbENKUlT_T0_E_clISt17integral_constantIbLb1EESZ_EEDaSU_SV_EUlSU_E_NS1_11comp_targetILNS1_3genE4ELNS1_11target_archE910ELNS1_3gpuE8ELNS1_3repE0EEENS1_30default_config_static_selectorELNS0_4arch9wavefront6targetE1EEEvT1_
	.globl	_ZN7rocprim17ROCPRIM_400000_NS6detail17trampoline_kernelINS0_14default_configENS1_27scan_by_key_config_selectorIssEEZZNS1_16scan_by_key_implILNS1_25lookback_scan_determinismE0ELb1ES3_N6thrust23THRUST_200600_302600_NS6detail15normal_iteratorINS9_10device_ptrIsEEEESE_SE_sNS9_4plusIvEENS9_8equal_toIvEEsEE10hipError_tPvRmT2_T3_T4_T5_mT6_T7_P12ihipStream_tbENKUlT_T0_E_clISt17integral_constantIbLb1EESZ_EEDaSU_SV_EUlSU_E_NS1_11comp_targetILNS1_3genE4ELNS1_11target_archE910ELNS1_3gpuE8ELNS1_3repE0EEENS1_30default_config_static_selectorELNS0_4arch9wavefront6targetE1EEEvT1_
	.p2align	8
	.type	_ZN7rocprim17ROCPRIM_400000_NS6detail17trampoline_kernelINS0_14default_configENS1_27scan_by_key_config_selectorIssEEZZNS1_16scan_by_key_implILNS1_25lookback_scan_determinismE0ELb1ES3_N6thrust23THRUST_200600_302600_NS6detail15normal_iteratorINS9_10device_ptrIsEEEESE_SE_sNS9_4plusIvEENS9_8equal_toIvEEsEE10hipError_tPvRmT2_T3_T4_T5_mT6_T7_P12ihipStream_tbENKUlT_T0_E_clISt17integral_constantIbLb1EESZ_EEDaSU_SV_EUlSU_E_NS1_11comp_targetILNS1_3genE4ELNS1_11target_archE910ELNS1_3gpuE8ELNS1_3repE0EEENS1_30default_config_static_selectorELNS0_4arch9wavefront6targetE1EEEvT1_,@function
_ZN7rocprim17ROCPRIM_400000_NS6detail17trampoline_kernelINS0_14default_configENS1_27scan_by_key_config_selectorIssEEZZNS1_16scan_by_key_implILNS1_25lookback_scan_determinismE0ELb1ES3_N6thrust23THRUST_200600_302600_NS6detail15normal_iteratorINS9_10device_ptrIsEEEESE_SE_sNS9_4plusIvEENS9_8equal_toIvEEsEE10hipError_tPvRmT2_T3_T4_T5_mT6_T7_P12ihipStream_tbENKUlT_T0_E_clISt17integral_constantIbLb1EESZ_EEDaSU_SV_EUlSU_E_NS1_11comp_targetILNS1_3genE4ELNS1_11target_archE910ELNS1_3gpuE8ELNS1_3repE0EEENS1_30default_config_static_selectorELNS0_4arch9wavefront6targetE1EEEvT1_: ; @_ZN7rocprim17ROCPRIM_400000_NS6detail17trampoline_kernelINS0_14default_configENS1_27scan_by_key_config_selectorIssEEZZNS1_16scan_by_key_implILNS1_25lookback_scan_determinismE0ELb1ES3_N6thrust23THRUST_200600_302600_NS6detail15normal_iteratorINS9_10device_ptrIsEEEESE_SE_sNS9_4plusIvEENS9_8equal_toIvEEsEE10hipError_tPvRmT2_T3_T4_T5_mT6_T7_P12ihipStream_tbENKUlT_T0_E_clISt17integral_constantIbLb1EESZ_EEDaSU_SV_EUlSU_E_NS1_11comp_targetILNS1_3genE4ELNS1_11target_archE910ELNS1_3gpuE8ELNS1_3repE0EEENS1_30default_config_static_selectorELNS0_4arch9wavefront6targetE1EEEvT1_
; %bb.0:
	.section	.rodata,"a",@progbits
	.p2align	6, 0x0
	.amdhsa_kernel _ZN7rocprim17ROCPRIM_400000_NS6detail17trampoline_kernelINS0_14default_configENS1_27scan_by_key_config_selectorIssEEZZNS1_16scan_by_key_implILNS1_25lookback_scan_determinismE0ELb1ES3_N6thrust23THRUST_200600_302600_NS6detail15normal_iteratorINS9_10device_ptrIsEEEESE_SE_sNS9_4plusIvEENS9_8equal_toIvEEsEE10hipError_tPvRmT2_T3_T4_T5_mT6_T7_P12ihipStream_tbENKUlT_T0_E_clISt17integral_constantIbLb1EESZ_EEDaSU_SV_EUlSU_E_NS1_11comp_targetILNS1_3genE4ELNS1_11target_archE910ELNS1_3gpuE8ELNS1_3repE0EEENS1_30default_config_static_selectorELNS0_4arch9wavefront6targetE1EEEvT1_
		.amdhsa_group_segment_fixed_size 0
		.amdhsa_private_segment_fixed_size 0
		.amdhsa_kernarg_size 112
		.amdhsa_user_sgpr_count 2
		.amdhsa_user_sgpr_dispatch_ptr 0
		.amdhsa_user_sgpr_queue_ptr 0
		.amdhsa_user_sgpr_kernarg_segment_ptr 1
		.amdhsa_user_sgpr_dispatch_id 0
		.amdhsa_user_sgpr_kernarg_preload_length 0
		.amdhsa_user_sgpr_kernarg_preload_offset 0
		.amdhsa_user_sgpr_private_segment_size 0
		.amdhsa_uses_dynamic_stack 0
		.amdhsa_enable_private_segment 0
		.amdhsa_system_sgpr_workgroup_id_x 1
		.amdhsa_system_sgpr_workgroup_id_y 0
		.amdhsa_system_sgpr_workgroup_id_z 0
		.amdhsa_system_sgpr_workgroup_info 0
		.amdhsa_system_vgpr_workitem_id 0
		.amdhsa_next_free_vgpr 1
		.amdhsa_next_free_sgpr 0
		.amdhsa_accum_offset 4
		.amdhsa_reserve_vcc 0
		.amdhsa_float_round_mode_32 0
		.amdhsa_float_round_mode_16_64 0
		.amdhsa_float_denorm_mode_32 3
		.amdhsa_float_denorm_mode_16_64 3
		.amdhsa_dx10_clamp 1
		.amdhsa_ieee_mode 1
		.amdhsa_fp16_overflow 0
		.amdhsa_tg_split 0
		.amdhsa_exception_fp_ieee_invalid_op 0
		.amdhsa_exception_fp_denorm_src 0
		.amdhsa_exception_fp_ieee_div_zero 0
		.amdhsa_exception_fp_ieee_overflow 0
		.amdhsa_exception_fp_ieee_underflow 0
		.amdhsa_exception_fp_ieee_inexact 0
		.amdhsa_exception_int_div_zero 0
	.end_amdhsa_kernel
	.section	.text._ZN7rocprim17ROCPRIM_400000_NS6detail17trampoline_kernelINS0_14default_configENS1_27scan_by_key_config_selectorIssEEZZNS1_16scan_by_key_implILNS1_25lookback_scan_determinismE0ELb1ES3_N6thrust23THRUST_200600_302600_NS6detail15normal_iteratorINS9_10device_ptrIsEEEESE_SE_sNS9_4plusIvEENS9_8equal_toIvEEsEE10hipError_tPvRmT2_T3_T4_T5_mT6_T7_P12ihipStream_tbENKUlT_T0_E_clISt17integral_constantIbLb1EESZ_EEDaSU_SV_EUlSU_E_NS1_11comp_targetILNS1_3genE4ELNS1_11target_archE910ELNS1_3gpuE8ELNS1_3repE0EEENS1_30default_config_static_selectorELNS0_4arch9wavefront6targetE1EEEvT1_,"axG",@progbits,_ZN7rocprim17ROCPRIM_400000_NS6detail17trampoline_kernelINS0_14default_configENS1_27scan_by_key_config_selectorIssEEZZNS1_16scan_by_key_implILNS1_25lookback_scan_determinismE0ELb1ES3_N6thrust23THRUST_200600_302600_NS6detail15normal_iteratorINS9_10device_ptrIsEEEESE_SE_sNS9_4plusIvEENS9_8equal_toIvEEsEE10hipError_tPvRmT2_T3_T4_T5_mT6_T7_P12ihipStream_tbENKUlT_T0_E_clISt17integral_constantIbLb1EESZ_EEDaSU_SV_EUlSU_E_NS1_11comp_targetILNS1_3genE4ELNS1_11target_archE910ELNS1_3gpuE8ELNS1_3repE0EEENS1_30default_config_static_selectorELNS0_4arch9wavefront6targetE1EEEvT1_,comdat
.Lfunc_end581:
	.size	_ZN7rocprim17ROCPRIM_400000_NS6detail17trampoline_kernelINS0_14default_configENS1_27scan_by_key_config_selectorIssEEZZNS1_16scan_by_key_implILNS1_25lookback_scan_determinismE0ELb1ES3_N6thrust23THRUST_200600_302600_NS6detail15normal_iteratorINS9_10device_ptrIsEEEESE_SE_sNS9_4plusIvEENS9_8equal_toIvEEsEE10hipError_tPvRmT2_T3_T4_T5_mT6_T7_P12ihipStream_tbENKUlT_T0_E_clISt17integral_constantIbLb1EESZ_EEDaSU_SV_EUlSU_E_NS1_11comp_targetILNS1_3genE4ELNS1_11target_archE910ELNS1_3gpuE8ELNS1_3repE0EEENS1_30default_config_static_selectorELNS0_4arch9wavefront6targetE1EEEvT1_, .Lfunc_end581-_ZN7rocprim17ROCPRIM_400000_NS6detail17trampoline_kernelINS0_14default_configENS1_27scan_by_key_config_selectorIssEEZZNS1_16scan_by_key_implILNS1_25lookback_scan_determinismE0ELb1ES3_N6thrust23THRUST_200600_302600_NS6detail15normal_iteratorINS9_10device_ptrIsEEEESE_SE_sNS9_4plusIvEENS9_8equal_toIvEEsEE10hipError_tPvRmT2_T3_T4_T5_mT6_T7_P12ihipStream_tbENKUlT_T0_E_clISt17integral_constantIbLb1EESZ_EEDaSU_SV_EUlSU_E_NS1_11comp_targetILNS1_3genE4ELNS1_11target_archE910ELNS1_3gpuE8ELNS1_3repE0EEENS1_30default_config_static_selectorELNS0_4arch9wavefront6targetE1EEEvT1_
                                        ; -- End function
	.section	.AMDGPU.csdata,"",@progbits
; Kernel info:
; codeLenInByte = 0
; NumSgprs: 6
; NumVgprs: 0
; NumAgprs: 0
; TotalNumVgprs: 0
; ScratchSize: 0
; MemoryBound: 0
; FloatMode: 240
; IeeeMode: 1
; LDSByteSize: 0 bytes/workgroup (compile time only)
; SGPRBlocks: 0
; VGPRBlocks: 0
; NumSGPRsForWavesPerEU: 6
; NumVGPRsForWavesPerEU: 1
; AccumOffset: 4
; Occupancy: 8
; WaveLimiterHint : 0
; COMPUTE_PGM_RSRC2:SCRATCH_EN: 0
; COMPUTE_PGM_RSRC2:USER_SGPR: 2
; COMPUTE_PGM_RSRC2:TRAP_HANDLER: 0
; COMPUTE_PGM_RSRC2:TGID_X_EN: 1
; COMPUTE_PGM_RSRC2:TGID_Y_EN: 0
; COMPUTE_PGM_RSRC2:TGID_Z_EN: 0
; COMPUTE_PGM_RSRC2:TIDIG_COMP_CNT: 0
; COMPUTE_PGM_RSRC3_GFX90A:ACCUM_OFFSET: 0
; COMPUTE_PGM_RSRC3_GFX90A:TG_SPLIT: 0
	.section	.text._ZN7rocprim17ROCPRIM_400000_NS6detail17trampoline_kernelINS0_14default_configENS1_27scan_by_key_config_selectorIssEEZZNS1_16scan_by_key_implILNS1_25lookback_scan_determinismE0ELb1ES3_N6thrust23THRUST_200600_302600_NS6detail15normal_iteratorINS9_10device_ptrIsEEEESE_SE_sNS9_4plusIvEENS9_8equal_toIvEEsEE10hipError_tPvRmT2_T3_T4_T5_mT6_T7_P12ihipStream_tbENKUlT_T0_E_clISt17integral_constantIbLb1EESZ_EEDaSU_SV_EUlSU_E_NS1_11comp_targetILNS1_3genE3ELNS1_11target_archE908ELNS1_3gpuE7ELNS1_3repE0EEENS1_30default_config_static_selectorELNS0_4arch9wavefront6targetE1EEEvT1_,"axG",@progbits,_ZN7rocprim17ROCPRIM_400000_NS6detail17trampoline_kernelINS0_14default_configENS1_27scan_by_key_config_selectorIssEEZZNS1_16scan_by_key_implILNS1_25lookback_scan_determinismE0ELb1ES3_N6thrust23THRUST_200600_302600_NS6detail15normal_iteratorINS9_10device_ptrIsEEEESE_SE_sNS9_4plusIvEENS9_8equal_toIvEEsEE10hipError_tPvRmT2_T3_T4_T5_mT6_T7_P12ihipStream_tbENKUlT_T0_E_clISt17integral_constantIbLb1EESZ_EEDaSU_SV_EUlSU_E_NS1_11comp_targetILNS1_3genE3ELNS1_11target_archE908ELNS1_3gpuE7ELNS1_3repE0EEENS1_30default_config_static_selectorELNS0_4arch9wavefront6targetE1EEEvT1_,comdat
	.protected	_ZN7rocprim17ROCPRIM_400000_NS6detail17trampoline_kernelINS0_14default_configENS1_27scan_by_key_config_selectorIssEEZZNS1_16scan_by_key_implILNS1_25lookback_scan_determinismE0ELb1ES3_N6thrust23THRUST_200600_302600_NS6detail15normal_iteratorINS9_10device_ptrIsEEEESE_SE_sNS9_4plusIvEENS9_8equal_toIvEEsEE10hipError_tPvRmT2_T3_T4_T5_mT6_T7_P12ihipStream_tbENKUlT_T0_E_clISt17integral_constantIbLb1EESZ_EEDaSU_SV_EUlSU_E_NS1_11comp_targetILNS1_3genE3ELNS1_11target_archE908ELNS1_3gpuE7ELNS1_3repE0EEENS1_30default_config_static_selectorELNS0_4arch9wavefront6targetE1EEEvT1_ ; -- Begin function _ZN7rocprim17ROCPRIM_400000_NS6detail17trampoline_kernelINS0_14default_configENS1_27scan_by_key_config_selectorIssEEZZNS1_16scan_by_key_implILNS1_25lookback_scan_determinismE0ELb1ES3_N6thrust23THRUST_200600_302600_NS6detail15normal_iteratorINS9_10device_ptrIsEEEESE_SE_sNS9_4plusIvEENS9_8equal_toIvEEsEE10hipError_tPvRmT2_T3_T4_T5_mT6_T7_P12ihipStream_tbENKUlT_T0_E_clISt17integral_constantIbLb1EESZ_EEDaSU_SV_EUlSU_E_NS1_11comp_targetILNS1_3genE3ELNS1_11target_archE908ELNS1_3gpuE7ELNS1_3repE0EEENS1_30default_config_static_selectorELNS0_4arch9wavefront6targetE1EEEvT1_
	.globl	_ZN7rocprim17ROCPRIM_400000_NS6detail17trampoline_kernelINS0_14default_configENS1_27scan_by_key_config_selectorIssEEZZNS1_16scan_by_key_implILNS1_25lookback_scan_determinismE0ELb1ES3_N6thrust23THRUST_200600_302600_NS6detail15normal_iteratorINS9_10device_ptrIsEEEESE_SE_sNS9_4plusIvEENS9_8equal_toIvEEsEE10hipError_tPvRmT2_T3_T4_T5_mT6_T7_P12ihipStream_tbENKUlT_T0_E_clISt17integral_constantIbLb1EESZ_EEDaSU_SV_EUlSU_E_NS1_11comp_targetILNS1_3genE3ELNS1_11target_archE908ELNS1_3gpuE7ELNS1_3repE0EEENS1_30default_config_static_selectorELNS0_4arch9wavefront6targetE1EEEvT1_
	.p2align	8
	.type	_ZN7rocprim17ROCPRIM_400000_NS6detail17trampoline_kernelINS0_14default_configENS1_27scan_by_key_config_selectorIssEEZZNS1_16scan_by_key_implILNS1_25lookback_scan_determinismE0ELb1ES3_N6thrust23THRUST_200600_302600_NS6detail15normal_iteratorINS9_10device_ptrIsEEEESE_SE_sNS9_4plusIvEENS9_8equal_toIvEEsEE10hipError_tPvRmT2_T3_T4_T5_mT6_T7_P12ihipStream_tbENKUlT_T0_E_clISt17integral_constantIbLb1EESZ_EEDaSU_SV_EUlSU_E_NS1_11comp_targetILNS1_3genE3ELNS1_11target_archE908ELNS1_3gpuE7ELNS1_3repE0EEENS1_30default_config_static_selectorELNS0_4arch9wavefront6targetE1EEEvT1_,@function
_ZN7rocprim17ROCPRIM_400000_NS6detail17trampoline_kernelINS0_14default_configENS1_27scan_by_key_config_selectorIssEEZZNS1_16scan_by_key_implILNS1_25lookback_scan_determinismE0ELb1ES3_N6thrust23THRUST_200600_302600_NS6detail15normal_iteratorINS9_10device_ptrIsEEEESE_SE_sNS9_4plusIvEENS9_8equal_toIvEEsEE10hipError_tPvRmT2_T3_T4_T5_mT6_T7_P12ihipStream_tbENKUlT_T0_E_clISt17integral_constantIbLb1EESZ_EEDaSU_SV_EUlSU_E_NS1_11comp_targetILNS1_3genE3ELNS1_11target_archE908ELNS1_3gpuE7ELNS1_3repE0EEENS1_30default_config_static_selectorELNS0_4arch9wavefront6targetE1EEEvT1_: ; @_ZN7rocprim17ROCPRIM_400000_NS6detail17trampoline_kernelINS0_14default_configENS1_27scan_by_key_config_selectorIssEEZZNS1_16scan_by_key_implILNS1_25lookback_scan_determinismE0ELb1ES3_N6thrust23THRUST_200600_302600_NS6detail15normal_iteratorINS9_10device_ptrIsEEEESE_SE_sNS9_4plusIvEENS9_8equal_toIvEEsEE10hipError_tPvRmT2_T3_T4_T5_mT6_T7_P12ihipStream_tbENKUlT_T0_E_clISt17integral_constantIbLb1EESZ_EEDaSU_SV_EUlSU_E_NS1_11comp_targetILNS1_3genE3ELNS1_11target_archE908ELNS1_3gpuE7ELNS1_3repE0EEENS1_30default_config_static_selectorELNS0_4arch9wavefront6targetE1EEEvT1_
; %bb.0:
	.section	.rodata,"a",@progbits
	.p2align	6, 0x0
	.amdhsa_kernel _ZN7rocprim17ROCPRIM_400000_NS6detail17trampoline_kernelINS0_14default_configENS1_27scan_by_key_config_selectorIssEEZZNS1_16scan_by_key_implILNS1_25lookback_scan_determinismE0ELb1ES3_N6thrust23THRUST_200600_302600_NS6detail15normal_iteratorINS9_10device_ptrIsEEEESE_SE_sNS9_4plusIvEENS9_8equal_toIvEEsEE10hipError_tPvRmT2_T3_T4_T5_mT6_T7_P12ihipStream_tbENKUlT_T0_E_clISt17integral_constantIbLb1EESZ_EEDaSU_SV_EUlSU_E_NS1_11comp_targetILNS1_3genE3ELNS1_11target_archE908ELNS1_3gpuE7ELNS1_3repE0EEENS1_30default_config_static_selectorELNS0_4arch9wavefront6targetE1EEEvT1_
		.amdhsa_group_segment_fixed_size 0
		.amdhsa_private_segment_fixed_size 0
		.amdhsa_kernarg_size 112
		.amdhsa_user_sgpr_count 2
		.amdhsa_user_sgpr_dispatch_ptr 0
		.amdhsa_user_sgpr_queue_ptr 0
		.amdhsa_user_sgpr_kernarg_segment_ptr 1
		.amdhsa_user_sgpr_dispatch_id 0
		.amdhsa_user_sgpr_kernarg_preload_length 0
		.amdhsa_user_sgpr_kernarg_preload_offset 0
		.amdhsa_user_sgpr_private_segment_size 0
		.amdhsa_uses_dynamic_stack 0
		.amdhsa_enable_private_segment 0
		.amdhsa_system_sgpr_workgroup_id_x 1
		.amdhsa_system_sgpr_workgroup_id_y 0
		.amdhsa_system_sgpr_workgroup_id_z 0
		.amdhsa_system_sgpr_workgroup_info 0
		.amdhsa_system_vgpr_workitem_id 0
		.amdhsa_next_free_vgpr 1
		.amdhsa_next_free_sgpr 0
		.amdhsa_accum_offset 4
		.amdhsa_reserve_vcc 0
		.amdhsa_float_round_mode_32 0
		.amdhsa_float_round_mode_16_64 0
		.amdhsa_float_denorm_mode_32 3
		.amdhsa_float_denorm_mode_16_64 3
		.amdhsa_dx10_clamp 1
		.amdhsa_ieee_mode 1
		.amdhsa_fp16_overflow 0
		.amdhsa_tg_split 0
		.amdhsa_exception_fp_ieee_invalid_op 0
		.amdhsa_exception_fp_denorm_src 0
		.amdhsa_exception_fp_ieee_div_zero 0
		.amdhsa_exception_fp_ieee_overflow 0
		.amdhsa_exception_fp_ieee_underflow 0
		.amdhsa_exception_fp_ieee_inexact 0
		.amdhsa_exception_int_div_zero 0
	.end_amdhsa_kernel
	.section	.text._ZN7rocprim17ROCPRIM_400000_NS6detail17trampoline_kernelINS0_14default_configENS1_27scan_by_key_config_selectorIssEEZZNS1_16scan_by_key_implILNS1_25lookback_scan_determinismE0ELb1ES3_N6thrust23THRUST_200600_302600_NS6detail15normal_iteratorINS9_10device_ptrIsEEEESE_SE_sNS9_4plusIvEENS9_8equal_toIvEEsEE10hipError_tPvRmT2_T3_T4_T5_mT6_T7_P12ihipStream_tbENKUlT_T0_E_clISt17integral_constantIbLb1EESZ_EEDaSU_SV_EUlSU_E_NS1_11comp_targetILNS1_3genE3ELNS1_11target_archE908ELNS1_3gpuE7ELNS1_3repE0EEENS1_30default_config_static_selectorELNS0_4arch9wavefront6targetE1EEEvT1_,"axG",@progbits,_ZN7rocprim17ROCPRIM_400000_NS6detail17trampoline_kernelINS0_14default_configENS1_27scan_by_key_config_selectorIssEEZZNS1_16scan_by_key_implILNS1_25lookback_scan_determinismE0ELb1ES3_N6thrust23THRUST_200600_302600_NS6detail15normal_iteratorINS9_10device_ptrIsEEEESE_SE_sNS9_4plusIvEENS9_8equal_toIvEEsEE10hipError_tPvRmT2_T3_T4_T5_mT6_T7_P12ihipStream_tbENKUlT_T0_E_clISt17integral_constantIbLb1EESZ_EEDaSU_SV_EUlSU_E_NS1_11comp_targetILNS1_3genE3ELNS1_11target_archE908ELNS1_3gpuE7ELNS1_3repE0EEENS1_30default_config_static_selectorELNS0_4arch9wavefront6targetE1EEEvT1_,comdat
.Lfunc_end582:
	.size	_ZN7rocprim17ROCPRIM_400000_NS6detail17trampoline_kernelINS0_14default_configENS1_27scan_by_key_config_selectorIssEEZZNS1_16scan_by_key_implILNS1_25lookback_scan_determinismE0ELb1ES3_N6thrust23THRUST_200600_302600_NS6detail15normal_iteratorINS9_10device_ptrIsEEEESE_SE_sNS9_4plusIvEENS9_8equal_toIvEEsEE10hipError_tPvRmT2_T3_T4_T5_mT6_T7_P12ihipStream_tbENKUlT_T0_E_clISt17integral_constantIbLb1EESZ_EEDaSU_SV_EUlSU_E_NS1_11comp_targetILNS1_3genE3ELNS1_11target_archE908ELNS1_3gpuE7ELNS1_3repE0EEENS1_30default_config_static_selectorELNS0_4arch9wavefront6targetE1EEEvT1_, .Lfunc_end582-_ZN7rocprim17ROCPRIM_400000_NS6detail17trampoline_kernelINS0_14default_configENS1_27scan_by_key_config_selectorIssEEZZNS1_16scan_by_key_implILNS1_25lookback_scan_determinismE0ELb1ES3_N6thrust23THRUST_200600_302600_NS6detail15normal_iteratorINS9_10device_ptrIsEEEESE_SE_sNS9_4plusIvEENS9_8equal_toIvEEsEE10hipError_tPvRmT2_T3_T4_T5_mT6_T7_P12ihipStream_tbENKUlT_T0_E_clISt17integral_constantIbLb1EESZ_EEDaSU_SV_EUlSU_E_NS1_11comp_targetILNS1_3genE3ELNS1_11target_archE908ELNS1_3gpuE7ELNS1_3repE0EEENS1_30default_config_static_selectorELNS0_4arch9wavefront6targetE1EEEvT1_
                                        ; -- End function
	.section	.AMDGPU.csdata,"",@progbits
; Kernel info:
; codeLenInByte = 0
; NumSgprs: 6
; NumVgprs: 0
; NumAgprs: 0
; TotalNumVgprs: 0
; ScratchSize: 0
; MemoryBound: 0
; FloatMode: 240
; IeeeMode: 1
; LDSByteSize: 0 bytes/workgroup (compile time only)
; SGPRBlocks: 0
; VGPRBlocks: 0
; NumSGPRsForWavesPerEU: 6
; NumVGPRsForWavesPerEU: 1
; AccumOffset: 4
; Occupancy: 8
; WaveLimiterHint : 0
; COMPUTE_PGM_RSRC2:SCRATCH_EN: 0
; COMPUTE_PGM_RSRC2:USER_SGPR: 2
; COMPUTE_PGM_RSRC2:TRAP_HANDLER: 0
; COMPUTE_PGM_RSRC2:TGID_X_EN: 1
; COMPUTE_PGM_RSRC2:TGID_Y_EN: 0
; COMPUTE_PGM_RSRC2:TGID_Z_EN: 0
; COMPUTE_PGM_RSRC2:TIDIG_COMP_CNT: 0
; COMPUTE_PGM_RSRC3_GFX90A:ACCUM_OFFSET: 0
; COMPUTE_PGM_RSRC3_GFX90A:TG_SPLIT: 0
	.section	.text._ZN7rocprim17ROCPRIM_400000_NS6detail17trampoline_kernelINS0_14default_configENS1_27scan_by_key_config_selectorIssEEZZNS1_16scan_by_key_implILNS1_25lookback_scan_determinismE0ELb1ES3_N6thrust23THRUST_200600_302600_NS6detail15normal_iteratorINS9_10device_ptrIsEEEESE_SE_sNS9_4plusIvEENS9_8equal_toIvEEsEE10hipError_tPvRmT2_T3_T4_T5_mT6_T7_P12ihipStream_tbENKUlT_T0_E_clISt17integral_constantIbLb1EESZ_EEDaSU_SV_EUlSU_E_NS1_11comp_targetILNS1_3genE2ELNS1_11target_archE906ELNS1_3gpuE6ELNS1_3repE0EEENS1_30default_config_static_selectorELNS0_4arch9wavefront6targetE1EEEvT1_,"axG",@progbits,_ZN7rocprim17ROCPRIM_400000_NS6detail17trampoline_kernelINS0_14default_configENS1_27scan_by_key_config_selectorIssEEZZNS1_16scan_by_key_implILNS1_25lookback_scan_determinismE0ELb1ES3_N6thrust23THRUST_200600_302600_NS6detail15normal_iteratorINS9_10device_ptrIsEEEESE_SE_sNS9_4plusIvEENS9_8equal_toIvEEsEE10hipError_tPvRmT2_T3_T4_T5_mT6_T7_P12ihipStream_tbENKUlT_T0_E_clISt17integral_constantIbLb1EESZ_EEDaSU_SV_EUlSU_E_NS1_11comp_targetILNS1_3genE2ELNS1_11target_archE906ELNS1_3gpuE6ELNS1_3repE0EEENS1_30default_config_static_selectorELNS0_4arch9wavefront6targetE1EEEvT1_,comdat
	.protected	_ZN7rocprim17ROCPRIM_400000_NS6detail17trampoline_kernelINS0_14default_configENS1_27scan_by_key_config_selectorIssEEZZNS1_16scan_by_key_implILNS1_25lookback_scan_determinismE0ELb1ES3_N6thrust23THRUST_200600_302600_NS6detail15normal_iteratorINS9_10device_ptrIsEEEESE_SE_sNS9_4plusIvEENS9_8equal_toIvEEsEE10hipError_tPvRmT2_T3_T4_T5_mT6_T7_P12ihipStream_tbENKUlT_T0_E_clISt17integral_constantIbLb1EESZ_EEDaSU_SV_EUlSU_E_NS1_11comp_targetILNS1_3genE2ELNS1_11target_archE906ELNS1_3gpuE6ELNS1_3repE0EEENS1_30default_config_static_selectorELNS0_4arch9wavefront6targetE1EEEvT1_ ; -- Begin function _ZN7rocprim17ROCPRIM_400000_NS6detail17trampoline_kernelINS0_14default_configENS1_27scan_by_key_config_selectorIssEEZZNS1_16scan_by_key_implILNS1_25lookback_scan_determinismE0ELb1ES3_N6thrust23THRUST_200600_302600_NS6detail15normal_iteratorINS9_10device_ptrIsEEEESE_SE_sNS9_4plusIvEENS9_8equal_toIvEEsEE10hipError_tPvRmT2_T3_T4_T5_mT6_T7_P12ihipStream_tbENKUlT_T0_E_clISt17integral_constantIbLb1EESZ_EEDaSU_SV_EUlSU_E_NS1_11comp_targetILNS1_3genE2ELNS1_11target_archE906ELNS1_3gpuE6ELNS1_3repE0EEENS1_30default_config_static_selectorELNS0_4arch9wavefront6targetE1EEEvT1_
	.globl	_ZN7rocprim17ROCPRIM_400000_NS6detail17trampoline_kernelINS0_14default_configENS1_27scan_by_key_config_selectorIssEEZZNS1_16scan_by_key_implILNS1_25lookback_scan_determinismE0ELb1ES3_N6thrust23THRUST_200600_302600_NS6detail15normal_iteratorINS9_10device_ptrIsEEEESE_SE_sNS9_4plusIvEENS9_8equal_toIvEEsEE10hipError_tPvRmT2_T3_T4_T5_mT6_T7_P12ihipStream_tbENKUlT_T0_E_clISt17integral_constantIbLb1EESZ_EEDaSU_SV_EUlSU_E_NS1_11comp_targetILNS1_3genE2ELNS1_11target_archE906ELNS1_3gpuE6ELNS1_3repE0EEENS1_30default_config_static_selectorELNS0_4arch9wavefront6targetE1EEEvT1_
	.p2align	8
	.type	_ZN7rocprim17ROCPRIM_400000_NS6detail17trampoline_kernelINS0_14default_configENS1_27scan_by_key_config_selectorIssEEZZNS1_16scan_by_key_implILNS1_25lookback_scan_determinismE0ELb1ES3_N6thrust23THRUST_200600_302600_NS6detail15normal_iteratorINS9_10device_ptrIsEEEESE_SE_sNS9_4plusIvEENS9_8equal_toIvEEsEE10hipError_tPvRmT2_T3_T4_T5_mT6_T7_P12ihipStream_tbENKUlT_T0_E_clISt17integral_constantIbLb1EESZ_EEDaSU_SV_EUlSU_E_NS1_11comp_targetILNS1_3genE2ELNS1_11target_archE906ELNS1_3gpuE6ELNS1_3repE0EEENS1_30default_config_static_selectorELNS0_4arch9wavefront6targetE1EEEvT1_,@function
_ZN7rocprim17ROCPRIM_400000_NS6detail17trampoline_kernelINS0_14default_configENS1_27scan_by_key_config_selectorIssEEZZNS1_16scan_by_key_implILNS1_25lookback_scan_determinismE0ELb1ES3_N6thrust23THRUST_200600_302600_NS6detail15normal_iteratorINS9_10device_ptrIsEEEESE_SE_sNS9_4plusIvEENS9_8equal_toIvEEsEE10hipError_tPvRmT2_T3_T4_T5_mT6_T7_P12ihipStream_tbENKUlT_T0_E_clISt17integral_constantIbLb1EESZ_EEDaSU_SV_EUlSU_E_NS1_11comp_targetILNS1_3genE2ELNS1_11target_archE906ELNS1_3gpuE6ELNS1_3repE0EEENS1_30default_config_static_selectorELNS0_4arch9wavefront6targetE1EEEvT1_: ; @_ZN7rocprim17ROCPRIM_400000_NS6detail17trampoline_kernelINS0_14default_configENS1_27scan_by_key_config_selectorIssEEZZNS1_16scan_by_key_implILNS1_25lookback_scan_determinismE0ELb1ES3_N6thrust23THRUST_200600_302600_NS6detail15normal_iteratorINS9_10device_ptrIsEEEESE_SE_sNS9_4plusIvEENS9_8equal_toIvEEsEE10hipError_tPvRmT2_T3_T4_T5_mT6_T7_P12ihipStream_tbENKUlT_T0_E_clISt17integral_constantIbLb1EESZ_EEDaSU_SV_EUlSU_E_NS1_11comp_targetILNS1_3genE2ELNS1_11target_archE906ELNS1_3gpuE6ELNS1_3repE0EEENS1_30default_config_static_selectorELNS0_4arch9wavefront6targetE1EEEvT1_
; %bb.0:
	.section	.rodata,"a",@progbits
	.p2align	6, 0x0
	.amdhsa_kernel _ZN7rocprim17ROCPRIM_400000_NS6detail17trampoline_kernelINS0_14default_configENS1_27scan_by_key_config_selectorIssEEZZNS1_16scan_by_key_implILNS1_25lookback_scan_determinismE0ELb1ES3_N6thrust23THRUST_200600_302600_NS6detail15normal_iteratorINS9_10device_ptrIsEEEESE_SE_sNS9_4plusIvEENS9_8equal_toIvEEsEE10hipError_tPvRmT2_T3_T4_T5_mT6_T7_P12ihipStream_tbENKUlT_T0_E_clISt17integral_constantIbLb1EESZ_EEDaSU_SV_EUlSU_E_NS1_11comp_targetILNS1_3genE2ELNS1_11target_archE906ELNS1_3gpuE6ELNS1_3repE0EEENS1_30default_config_static_selectorELNS0_4arch9wavefront6targetE1EEEvT1_
		.amdhsa_group_segment_fixed_size 0
		.amdhsa_private_segment_fixed_size 0
		.amdhsa_kernarg_size 112
		.amdhsa_user_sgpr_count 2
		.amdhsa_user_sgpr_dispatch_ptr 0
		.amdhsa_user_sgpr_queue_ptr 0
		.amdhsa_user_sgpr_kernarg_segment_ptr 1
		.amdhsa_user_sgpr_dispatch_id 0
		.amdhsa_user_sgpr_kernarg_preload_length 0
		.amdhsa_user_sgpr_kernarg_preload_offset 0
		.amdhsa_user_sgpr_private_segment_size 0
		.amdhsa_uses_dynamic_stack 0
		.amdhsa_enable_private_segment 0
		.amdhsa_system_sgpr_workgroup_id_x 1
		.amdhsa_system_sgpr_workgroup_id_y 0
		.amdhsa_system_sgpr_workgroup_id_z 0
		.amdhsa_system_sgpr_workgroup_info 0
		.amdhsa_system_vgpr_workitem_id 0
		.amdhsa_next_free_vgpr 1
		.amdhsa_next_free_sgpr 0
		.amdhsa_accum_offset 4
		.amdhsa_reserve_vcc 0
		.amdhsa_float_round_mode_32 0
		.amdhsa_float_round_mode_16_64 0
		.amdhsa_float_denorm_mode_32 3
		.amdhsa_float_denorm_mode_16_64 3
		.amdhsa_dx10_clamp 1
		.amdhsa_ieee_mode 1
		.amdhsa_fp16_overflow 0
		.amdhsa_tg_split 0
		.amdhsa_exception_fp_ieee_invalid_op 0
		.amdhsa_exception_fp_denorm_src 0
		.amdhsa_exception_fp_ieee_div_zero 0
		.amdhsa_exception_fp_ieee_overflow 0
		.amdhsa_exception_fp_ieee_underflow 0
		.amdhsa_exception_fp_ieee_inexact 0
		.amdhsa_exception_int_div_zero 0
	.end_amdhsa_kernel
	.section	.text._ZN7rocprim17ROCPRIM_400000_NS6detail17trampoline_kernelINS0_14default_configENS1_27scan_by_key_config_selectorIssEEZZNS1_16scan_by_key_implILNS1_25lookback_scan_determinismE0ELb1ES3_N6thrust23THRUST_200600_302600_NS6detail15normal_iteratorINS9_10device_ptrIsEEEESE_SE_sNS9_4plusIvEENS9_8equal_toIvEEsEE10hipError_tPvRmT2_T3_T4_T5_mT6_T7_P12ihipStream_tbENKUlT_T0_E_clISt17integral_constantIbLb1EESZ_EEDaSU_SV_EUlSU_E_NS1_11comp_targetILNS1_3genE2ELNS1_11target_archE906ELNS1_3gpuE6ELNS1_3repE0EEENS1_30default_config_static_selectorELNS0_4arch9wavefront6targetE1EEEvT1_,"axG",@progbits,_ZN7rocprim17ROCPRIM_400000_NS6detail17trampoline_kernelINS0_14default_configENS1_27scan_by_key_config_selectorIssEEZZNS1_16scan_by_key_implILNS1_25lookback_scan_determinismE0ELb1ES3_N6thrust23THRUST_200600_302600_NS6detail15normal_iteratorINS9_10device_ptrIsEEEESE_SE_sNS9_4plusIvEENS9_8equal_toIvEEsEE10hipError_tPvRmT2_T3_T4_T5_mT6_T7_P12ihipStream_tbENKUlT_T0_E_clISt17integral_constantIbLb1EESZ_EEDaSU_SV_EUlSU_E_NS1_11comp_targetILNS1_3genE2ELNS1_11target_archE906ELNS1_3gpuE6ELNS1_3repE0EEENS1_30default_config_static_selectorELNS0_4arch9wavefront6targetE1EEEvT1_,comdat
.Lfunc_end583:
	.size	_ZN7rocprim17ROCPRIM_400000_NS6detail17trampoline_kernelINS0_14default_configENS1_27scan_by_key_config_selectorIssEEZZNS1_16scan_by_key_implILNS1_25lookback_scan_determinismE0ELb1ES3_N6thrust23THRUST_200600_302600_NS6detail15normal_iteratorINS9_10device_ptrIsEEEESE_SE_sNS9_4plusIvEENS9_8equal_toIvEEsEE10hipError_tPvRmT2_T3_T4_T5_mT6_T7_P12ihipStream_tbENKUlT_T0_E_clISt17integral_constantIbLb1EESZ_EEDaSU_SV_EUlSU_E_NS1_11comp_targetILNS1_3genE2ELNS1_11target_archE906ELNS1_3gpuE6ELNS1_3repE0EEENS1_30default_config_static_selectorELNS0_4arch9wavefront6targetE1EEEvT1_, .Lfunc_end583-_ZN7rocprim17ROCPRIM_400000_NS6detail17trampoline_kernelINS0_14default_configENS1_27scan_by_key_config_selectorIssEEZZNS1_16scan_by_key_implILNS1_25lookback_scan_determinismE0ELb1ES3_N6thrust23THRUST_200600_302600_NS6detail15normal_iteratorINS9_10device_ptrIsEEEESE_SE_sNS9_4plusIvEENS9_8equal_toIvEEsEE10hipError_tPvRmT2_T3_T4_T5_mT6_T7_P12ihipStream_tbENKUlT_T0_E_clISt17integral_constantIbLb1EESZ_EEDaSU_SV_EUlSU_E_NS1_11comp_targetILNS1_3genE2ELNS1_11target_archE906ELNS1_3gpuE6ELNS1_3repE0EEENS1_30default_config_static_selectorELNS0_4arch9wavefront6targetE1EEEvT1_
                                        ; -- End function
	.section	.AMDGPU.csdata,"",@progbits
; Kernel info:
; codeLenInByte = 0
; NumSgprs: 6
; NumVgprs: 0
; NumAgprs: 0
; TotalNumVgprs: 0
; ScratchSize: 0
; MemoryBound: 0
; FloatMode: 240
; IeeeMode: 1
; LDSByteSize: 0 bytes/workgroup (compile time only)
; SGPRBlocks: 0
; VGPRBlocks: 0
; NumSGPRsForWavesPerEU: 6
; NumVGPRsForWavesPerEU: 1
; AccumOffset: 4
; Occupancy: 8
; WaveLimiterHint : 0
; COMPUTE_PGM_RSRC2:SCRATCH_EN: 0
; COMPUTE_PGM_RSRC2:USER_SGPR: 2
; COMPUTE_PGM_RSRC2:TRAP_HANDLER: 0
; COMPUTE_PGM_RSRC2:TGID_X_EN: 1
; COMPUTE_PGM_RSRC2:TGID_Y_EN: 0
; COMPUTE_PGM_RSRC2:TGID_Z_EN: 0
; COMPUTE_PGM_RSRC2:TIDIG_COMP_CNT: 0
; COMPUTE_PGM_RSRC3_GFX90A:ACCUM_OFFSET: 0
; COMPUTE_PGM_RSRC3_GFX90A:TG_SPLIT: 0
	.section	.text._ZN7rocprim17ROCPRIM_400000_NS6detail17trampoline_kernelINS0_14default_configENS1_27scan_by_key_config_selectorIssEEZZNS1_16scan_by_key_implILNS1_25lookback_scan_determinismE0ELb1ES3_N6thrust23THRUST_200600_302600_NS6detail15normal_iteratorINS9_10device_ptrIsEEEESE_SE_sNS9_4plusIvEENS9_8equal_toIvEEsEE10hipError_tPvRmT2_T3_T4_T5_mT6_T7_P12ihipStream_tbENKUlT_T0_E_clISt17integral_constantIbLb1EESZ_EEDaSU_SV_EUlSU_E_NS1_11comp_targetILNS1_3genE10ELNS1_11target_archE1200ELNS1_3gpuE4ELNS1_3repE0EEENS1_30default_config_static_selectorELNS0_4arch9wavefront6targetE1EEEvT1_,"axG",@progbits,_ZN7rocprim17ROCPRIM_400000_NS6detail17trampoline_kernelINS0_14default_configENS1_27scan_by_key_config_selectorIssEEZZNS1_16scan_by_key_implILNS1_25lookback_scan_determinismE0ELb1ES3_N6thrust23THRUST_200600_302600_NS6detail15normal_iteratorINS9_10device_ptrIsEEEESE_SE_sNS9_4plusIvEENS9_8equal_toIvEEsEE10hipError_tPvRmT2_T3_T4_T5_mT6_T7_P12ihipStream_tbENKUlT_T0_E_clISt17integral_constantIbLb1EESZ_EEDaSU_SV_EUlSU_E_NS1_11comp_targetILNS1_3genE10ELNS1_11target_archE1200ELNS1_3gpuE4ELNS1_3repE0EEENS1_30default_config_static_selectorELNS0_4arch9wavefront6targetE1EEEvT1_,comdat
	.protected	_ZN7rocprim17ROCPRIM_400000_NS6detail17trampoline_kernelINS0_14default_configENS1_27scan_by_key_config_selectorIssEEZZNS1_16scan_by_key_implILNS1_25lookback_scan_determinismE0ELb1ES3_N6thrust23THRUST_200600_302600_NS6detail15normal_iteratorINS9_10device_ptrIsEEEESE_SE_sNS9_4plusIvEENS9_8equal_toIvEEsEE10hipError_tPvRmT2_T3_T4_T5_mT6_T7_P12ihipStream_tbENKUlT_T0_E_clISt17integral_constantIbLb1EESZ_EEDaSU_SV_EUlSU_E_NS1_11comp_targetILNS1_3genE10ELNS1_11target_archE1200ELNS1_3gpuE4ELNS1_3repE0EEENS1_30default_config_static_selectorELNS0_4arch9wavefront6targetE1EEEvT1_ ; -- Begin function _ZN7rocprim17ROCPRIM_400000_NS6detail17trampoline_kernelINS0_14default_configENS1_27scan_by_key_config_selectorIssEEZZNS1_16scan_by_key_implILNS1_25lookback_scan_determinismE0ELb1ES3_N6thrust23THRUST_200600_302600_NS6detail15normal_iteratorINS9_10device_ptrIsEEEESE_SE_sNS9_4plusIvEENS9_8equal_toIvEEsEE10hipError_tPvRmT2_T3_T4_T5_mT6_T7_P12ihipStream_tbENKUlT_T0_E_clISt17integral_constantIbLb1EESZ_EEDaSU_SV_EUlSU_E_NS1_11comp_targetILNS1_3genE10ELNS1_11target_archE1200ELNS1_3gpuE4ELNS1_3repE0EEENS1_30default_config_static_selectorELNS0_4arch9wavefront6targetE1EEEvT1_
	.globl	_ZN7rocprim17ROCPRIM_400000_NS6detail17trampoline_kernelINS0_14default_configENS1_27scan_by_key_config_selectorIssEEZZNS1_16scan_by_key_implILNS1_25lookback_scan_determinismE0ELb1ES3_N6thrust23THRUST_200600_302600_NS6detail15normal_iteratorINS9_10device_ptrIsEEEESE_SE_sNS9_4plusIvEENS9_8equal_toIvEEsEE10hipError_tPvRmT2_T3_T4_T5_mT6_T7_P12ihipStream_tbENKUlT_T0_E_clISt17integral_constantIbLb1EESZ_EEDaSU_SV_EUlSU_E_NS1_11comp_targetILNS1_3genE10ELNS1_11target_archE1200ELNS1_3gpuE4ELNS1_3repE0EEENS1_30default_config_static_selectorELNS0_4arch9wavefront6targetE1EEEvT1_
	.p2align	8
	.type	_ZN7rocprim17ROCPRIM_400000_NS6detail17trampoline_kernelINS0_14default_configENS1_27scan_by_key_config_selectorIssEEZZNS1_16scan_by_key_implILNS1_25lookback_scan_determinismE0ELb1ES3_N6thrust23THRUST_200600_302600_NS6detail15normal_iteratorINS9_10device_ptrIsEEEESE_SE_sNS9_4plusIvEENS9_8equal_toIvEEsEE10hipError_tPvRmT2_T3_T4_T5_mT6_T7_P12ihipStream_tbENKUlT_T0_E_clISt17integral_constantIbLb1EESZ_EEDaSU_SV_EUlSU_E_NS1_11comp_targetILNS1_3genE10ELNS1_11target_archE1200ELNS1_3gpuE4ELNS1_3repE0EEENS1_30default_config_static_selectorELNS0_4arch9wavefront6targetE1EEEvT1_,@function
_ZN7rocprim17ROCPRIM_400000_NS6detail17trampoline_kernelINS0_14default_configENS1_27scan_by_key_config_selectorIssEEZZNS1_16scan_by_key_implILNS1_25lookback_scan_determinismE0ELb1ES3_N6thrust23THRUST_200600_302600_NS6detail15normal_iteratorINS9_10device_ptrIsEEEESE_SE_sNS9_4plusIvEENS9_8equal_toIvEEsEE10hipError_tPvRmT2_T3_T4_T5_mT6_T7_P12ihipStream_tbENKUlT_T0_E_clISt17integral_constantIbLb1EESZ_EEDaSU_SV_EUlSU_E_NS1_11comp_targetILNS1_3genE10ELNS1_11target_archE1200ELNS1_3gpuE4ELNS1_3repE0EEENS1_30default_config_static_selectorELNS0_4arch9wavefront6targetE1EEEvT1_: ; @_ZN7rocprim17ROCPRIM_400000_NS6detail17trampoline_kernelINS0_14default_configENS1_27scan_by_key_config_selectorIssEEZZNS1_16scan_by_key_implILNS1_25lookback_scan_determinismE0ELb1ES3_N6thrust23THRUST_200600_302600_NS6detail15normal_iteratorINS9_10device_ptrIsEEEESE_SE_sNS9_4plusIvEENS9_8equal_toIvEEsEE10hipError_tPvRmT2_T3_T4_T5_mT6_T7_P12ihipStream_tbENKUlT_T0_E_clISt17integral_constantIbLb1EESZ_EEDaSU_SV_EUlSU_E_NS1_11comp_targetILNS1_3genE10ELNS1_11target_archE1200ELNS1_3gpuE4ELNS1_3repE0EEENS1_30default_config_static_selectorELNS0_4arch9wavefront6targetE1EEEvT1_
; %bb.0:
	.section	.rodata,"a",@progbits
	.p2align	6, 0x0
	.amdhsa_kernel _ZN7rocprim17ROCPRIM_400000_NS6detail17trampoline_kernelINS0_14default_configENS1_27scan_by_key_config_selectorIssEEZZNS1_16scan_by_key_implILNS1_25lookback_scan_determinismE0ELb1ES3_N6thrust23THRUST_200600_302600_NS6detail15normal_iteratorINS9_10device_ptrIsEEEESE_SE_sNS9_4plusIvEENS9_8equal_toIvEEsEE10hipError_tPvRmT2_T3_T4_T5_mT6_T7_P12ihipStream_tbENKUlT_T0_E_clISt17integral_constantIbLb1EESZ_EEDaSU_SV_EUlSU_E_NS1_11comp_targetILNS1_3genE10ELNS1_11target_archE1200ELNS1_3gpuE4ELNS1_3repE0EEENS1_30default_config_static_selectorELNS0_4arch9wavefront6targetE1EEEvT1_
		.amdhsa_group_segment_fixed_size 0
		.amdhsa_private_segment_fixed_size 0
		.amdhsa_kernarg_size 112
		.amdhsa_user_sgpr_count 2
		.amdhsa_user_sgpr_dispatch_ptr 0
		.amdhsa_user_sgpr_queue_ptr 0
		.amdhsa_user_sgpr_kernarg_segment_ptr 1
		.amdhsa_user_sgpr_dispatch_id 0
		.amdhsa_user_sgpr_kernarg_preload_length 0
		.amdhsa_user_sgpr_kernarg_preload_offset 0
		.amdhsa_user_sgpr_private_segment_size 0
		.amdhsa_uses_dynamic_stack 0
		.amdhsa_enable_private_segment 0
		.amdhsa_system_sgpr_workgroup_id_x 1
		.amdhsa_system_sgpr_workgroup_id_y 0
		.amdhsa_system_sgpr_workgroup_id_z 0
		.amdhsa_system_sgpr_workgroup_info 0
		.amdhsa_system_vgpr_workitem_id 0
		.amdhsa_next_free_vgpr 1
		.amdhsa_next_free_sgpr 0
		.amdhsa_accum_offset 4
		.amdhsa_reserve_vcc 0
		.amdhsa_float_round_mode_32 0
		.amdhsa_float_round_mode_16_64 0
		.amdhsa_float_denorm_mode_32 3
		.amdhsa_float_denorm_mode_16_64 3
		.amdhsa_dx10_clamp 1
		.amdhsa_ieee_mode 1
		.amdhsa_fp16_overflow 0
		.amdhsa_tg_split 0
		.amdhsa_exception_fp_ieee_invalid_op 0
		.amdhsa_exception_fp_denorm_src 0
		.amdhsa_exception_fp_ieee_div_zero 0
		.amdhsa_exception_fp_ieee_overflow 0
		.amdhsa_exception_fp_ieee_underflow 0
		.amdhsa_exception_fp_ieee_inexact 0
		.amdhsa_exception_int_div_zero 0
	.end_amdhsa_kernel
	.section	.text._ZN7rocprim17ROCPRIM_400000_NS6detail17trampoline_kernelINS0_14default_configENS1_27scan_by_key_config_selectorIssEEZZNS1_16scan_by_key_implILNS1_25lookback_scan_determinismE0ELb1ES3_N6thrust23THRUST_200600_302600_NS6detail15normal_iteratorINS9_10device_ptrIsEEEESE_SE_sNS9_4plusIvEENS9_8equal_toIvEEsEE10hipError_tPvRmT2_T3_T4_T5_mT6_T7_P12ihipStream_tbENKUlT_T0_E_clISt17integral_constantIbLb1EESZ_EEDaSU_SV_EUlSU_E_NS1_11comp_targetILNS1_3genE10ELNS1_11target_archE1200ELNS1_3gpuE4ELNS1_3repE0EEENS1_30default_config_static_selectorELNS0_4arch9wavefront6targetE1EEEvT1_,"axG",@progbits,_ZN7rocprim17ROCPRIM_400000_NS6detail17trampoline_kernelINS0_14default_configENS1_27scan_by_key_config_selectorIssEEZZNS1_16scan_by_key_implILNS1_25lookback_scan_determinismE0ELb1ES3_N6thrust23THRUST_200600_302600_NS6detail15normal_iteratorINS9_10device_ptrIsEEEESE_SE_sNS9_4plusIvEENS9_8equal_toIvEEsEE10hipError_tPvRmT2_T3_T4_T5_mT6_T7_P12ihipStream_tbENKUlT_T0_E_clISt17integral_constantIbLb1EESZ_EEDaSU_SV_EUlSU_E_NS1_11comp_targetILNS1_3genE10ELNS1_11target_archE1200ELNS1_3gpuE4ELNS1_3repE0EEENS1_30default_config_static_selectorELNS0_4arch9wavefront6targetE1EEEvT1_,comdat
.Lfunc_end584:
	.size	_ZN7rocprim17ROCPRIM_400000_NS6detail17trampoline_kernelINS0_14default_configENS1_27scan_by_key_config_selectorIssEEZZNS1_16scan_by_key_implILNS1_25lookback_scan_determinismE0ELb1ES3_N6thrust23THRUST_200600_302600_NS6detail15normal_iteratorINS9_10device_ptrIsEEEESE_SE_sNS9_4plusIvEENS9_8equal_toIvEEsEE10hipError_tPvRmT2_T3_T4_T5_mT6_T7_P12ihipStream_tbENKUlT_T0_E_clISt17integral_constantIbLb1EESZ_EEDaSU_SV_EUlSU_E_NS1_11comp_targetILNS1_3genE10ELNS1_11target_archE1200ELNS1_3gpuE4ELNS1_3repE0EEENS1_30default_config_static_selectorELNS0_4arch9wavefront6targetE1EEEvT1_, .Lfunc_end584-_ZN7rocprim17ROCPRIM_400000_NS6detail17trampoline_kernelINS0_14default_configENS1_27scan_by_key_config_selectorIssEEZZNS1_16scan_by_key_implILNS1_25lookback_scan_determinismE0ELb1ES3_N6thrust23THRUST_200600_302600_NS6detail15normal_iteratorINS9_10device_ptrIsEEEESE_SE_sNS9_4plusIvEENS9_8equal_toIvEEsEE10hipError_tPvRmT2_T3_T4_T5_mT6_T7_P12ihipStream_tbENKUlT_T0_E_clISt17integral_constantIbLb1EESZ_EEDaSU_SV_EUlSU_E_NS1_11comp_targetILNS1_3genE10ELNS1_11target_archE1200ELNS1_3gpuE4ELNS1_3repE0EEENS1_30default_config_static_selectorELNS0_4arch9wavefront6targetE1EEEvT1_
                                        ; -- End function
	.section	.AMDGPU.csdata,"",@progbits
; Kernel info:
; codeLenInByte = 0
; NumSgprs: 6
; NumVgprs: 0
; NumAgprs: 0
; TotalNumVgprs: 0
; ScratchSize: 0
; MemoryBound: 0
; FloatMode: 240
; IeeeMode: 1
; LDSByteSize: 0 bytes/workgroup (compile time only)
; SGPRBlocks: 0
; VGPRBlocks: 0
; NumSGPRsForWavesPerEU: 6
; NumVGPRsForWavesPerEU: 1
; AccumOffset: 4
; Occupancy: 8
; WaveLimiterHint : 0
; COMPUTE_PGM_RSRC2:SCRATCH_EN: 0
; COMPUTE_PGM_RSRC2:USER_SGPR: 2
; COMPUTE_PGM_RSRC2:TRAP_HANDLER: 0
; COMPUTE_PGM_RSRC2:TGID_X_EN: 1
; COMPUTE_PGM_RSRC2:TGID_Y_EN: 0
; COMPUTE_PGM_RSRC2:TGID_Z_EN: 0
; COMPUTE_PGM_RSRC2:TIDIG_COMP_CNT: 0
; COMPUTE_PGM_RSRC3_GFX90A:ACCUM_OFFSET: 0
; COMPUTE_PGM_RSRC3_GFX90A:TG_SPLIT: 0
	.section	.text._ZN7rocprim17ROCPRIM_400000_NS6detail17trampoline_kernelINS0_14default_configENS1_27scan_by_key_config_selectorIssEEZZNS1_16scan_by_key_implILNS1_25lookback_scan_determinismE0ELb1ES3_N6thrust23THRUST_200600_302600_NS6detail15normal_iteratorINS9_10device_ptrIsEEEESE_SE_sNS9_4plusIvEENS9_8equal_toIvEEsEE10hipError_tPvRmT2_T3_T4_T5_mT6_T7_P12ihipStream_tbENKUlT_T0_E_clISt17integral_constantIbLb1EESZ_EEDaSU_SV_EUlSU_E_NS1_11comp_targetILNS1_3genE9ELNS1_11target_archE1100ELNS1_3gpuE3ELNS1_3repE0EEENS1_30default_config_static_selectorELNS0_4arch9wavefront6targetE1EEEvT1_,"axG",@progbits,_ZN7rocprim17ROCPRIM_400000_NS6detail17trampoline_kernelINS0_14default_configENS1_27scan_by_key_config_selectorIssEEZZNS1_16scan_by_key_implILNS1_25lookback_scan_determinismE0ELb1ES3_N6thrust23THRUST_200600_302600_NS6detail15normal_iteratorINS9_10device_ptrIsEEEESE_SE_sNS9_4plusIvEENS9_8equal_toIvEEsEE10hipError_tPvRmT2_T3_T4_T5_mT6_T7_P12ihipStream_tbENKUlT_T0_E_clISt17integral_constantIbLb1EESZ_EEDaSU_SV_EUlSU_E_NS1_11comp_targetILNS1_3genE9ELNS1_11target_archE1100ELNS1_3gpuE3ELNS1_3repE0EEENS1_30default_config_static_selectorELNS0_4arch9wavefront6targetE1EEEvT1_,comdat
	.protected	_ZN7rocprim17ROCPRIM_400000_NS6detail17trampoline_kernelINS0_14default_configENS1_27scan_by_key_config_selectorIssEEZZNS1_16scan_by_key_implILNS1_25lookback_scan_determinismE0ELb1ES3_N6thrust23THRUST_200600_302600_NS6detail15normal_iteratorINS9_10device_ptrIsEEEESE_SE_sNS9_4plusIvEENS9_8equal_toIvEEsEE10hipError_tPvRmT2_T3_T4_T5_mT6_T7_P12ihipStream_tbENKUlT_T0_E_clISt17integral_constantIbLb1EESZ_EEDaSU_SV_EUlSU_E_NS1_11comp_targetILNS1_3genE9ELNS1_11target_archE1100ELNS1_3gpuE3ELNS1_3repE0EEENS1_30default_config_static_selectorELNS0_4arch9wavefront6targetE1EEEvT1_ ; -- Begin function _ZN7rocprim17ROCPRIM_400000_NS6detail17trampoline_kernelINS0_14default_configENS1_27scan_by_key_config_selectorIssEEZZNS1_16scan_by_key_implILNS1_25lookback_scan_determinismE0ELb1ES3_N6thrust23THRUST_200600_302600_NS6detail15normal_iteratorINS9_10device_ptrIsEEEESE_SE_sNS9_4plusIvEENS9_8equal_toIvEEsEE10hipError_tPvRmT2_T3_T4_T5_mT6_T7_P12ihipStream_tbENKUlT_T0_E_clISt17integral_constantIbLb1EESZ_EEDaSU_SV_EUlSU_E_NS1_11comp_targetILNS1_3genE9ELNS1_11target_archE1100ELNS1_3gpuE3ELNS1_3repE0EEENS1_30default_config_static_selectorELNS0_4arch9wavefront6targetE1EEEvT1_
	.globl	_ZN7rocprim17ROCPRIM_400000_NS6detail17trampoline_kernelINS0_14default_configENS1_27scan_by_key_config_selectorIssEEZZNS1_16scan_by_key_implILNS1_25lookback_scan_determinismE0ELb1ES3_N6thrust23THRUST_200600_302600_NS6detail15normal_iteratorINS9_10device_ptrIsEEEESE_SE_sNS9_4plusIvEENS9_8equal_toIvEEsEE10hipError_tPvRmT2_T3_T4_T5_mT6_T7_P12ihipStream_tbENKUlT_T0_E_clISt17integral_constantIbLb1EESZ_EEDaSU_SV_EUlSU_E_NS1_11comp_targetILNS1_3genE9ELNS1_11target_archE1100ELNS1_3gpuE3ELNS1_3repE0EEENS1_30default_config_static_selectorELNS0_4arch9wavefront6targetE1EEEvT1_
	.p2align	8
	.type	_ZN7rocprim17ROCPRIM_400000_NS6detail17trampoline_kernelINS0_14default_configENS1_27scan_by_key_config_selectorIssEEZZNS1_16scan_by_key_implILNS1_25lookback_scan_determinismE0ELb1ES3_N6thrust23THRUST_200600_302600_NS6detail15normal_iteratorINS9_10device_ptrIsEEEESE_SE_sNS9_4plusIvEENS9_8equal_toIvEEsEE10hipError_tPvRmT2_T3_T4_T5_mT6_T7_P12ihipStream_tbENKUlT_T0_E_clISt17integral_constantIbLb1EESZ_EEDaSU_SV_EUlSU_E_NS1_11comp_targetILNS1_3genE9ELNS1_11target_archE1100ELNS1_3gpuE3ELNS1_3repE0EEENS1_30default_config_static_selectorELNS0_4arch9wavefront6targetE1EEEvT1_,@function
_ZN7rocprim17ROCPRIM_400000_NS6detail17trampoline_kernelINS0_14default_configENS1_27scan_by_key_config_selectorIssEEZZNS1_16scan_by_key_implILNS1_25lookback_scan_determinismE0ELb1ES3_N6thrust23THRUST_200600_302600_NS6detail15normal_iteratorINS9_10device_ptrIsEEEESE_SE_sNS9_4plusIvEENS9_8equal_toIvEEsEE10hipError_tPvRmT2_T3_T4_T5_mT6_T7_P12ihipStream_tbENKUlT_T0_E_clISt17integral_constantIbLb1EESZ_EEDaSU_SV_EUlSU_E_NS1_11comp_targetILNS1_3genE9ELNS1_11target_archE1100ELNS1_3gpuE3ELNS1_3repE0EEENS1_30default_config_static_selectorELNS0_4arch9wavefront6targetE1EEEvT1_: ; @_ZN7rocprim17ROCPRIM_400000_NS6detail17trampoline_kernelINS0_14default_configENS1_27scan_by_key_config_selectorIssEEZZNS1_16scan_by_key_implILNS1_25lookback_scan_determinismE0ELb1ES3_N6thrust23THRUST_200600_302600_NS6detail15normal_iteratorINS9_10device_ptrIsEEEESE_SE_sNS9_4plusIvEENS9_8equal_toIvEEsEE10hipError_tPvRmT2_T3_T4_T5_mT6_T7_P12ihipStream_tbENKUlT_T0_E_clISt17integral_constantIbLb1EESZ_EEDaSU_SV_EUlSU_E_NS1_11comp_targetILNS1_3genE9ELNS1_11target_archE1100ELNS1_3gpuE3ELNS1_3repE0EEENS1_30default_config_static_selectorELNS0_4arch9wavefront6targetE1EEEvT1_
; %bb.0:
	.section	.rodata,"a",@progbits
	.p2align	6, 0x0
	.amdhsa_kernel _ZN7rocprim17ROCPRIM_400000_NS6detail17trampoline_kernelINS0_14default_configENS1_27scan_by_key_config_selectorIssEEZZNS1_16scan_by_key_implILNS1_25lookback_scan_determinismE0ELb1ES3_N6thrust23THRUST_200600_302600_NS6detail15normal_iteratorINS9_10device_ptrIsEEEESE_SE_sNS9_4plusIvEENS9_8equal_toIvEEsEE10hipError_tPvRmT2_T3_T4_T5_mT6_T7_P12ihipStream_tbENKUlT_T0_E_clISt17integral_constantIbLb1EESZ_EEDaSU_SV_EUlSU_E_NS1_11comp_targetILNS1_3genE9ELNS1_11target_archE1100ELNS1_3gpuE3ELNS1_3repE0EEENS1_30default_config_static_selectorELNS0_4arch9wavefront6targetE1EEEvT1_
		.amdhsa_group_segment_fixed_size 0
		.amdhsa_private_segment_fixed_size 0
		.amdhsa_kernarg_size 112
		.amdhsa_user_sgpr_count 2
		.amdhsa_user_sgpr_dispatch_ptr 0
		.amdhsa_user_sgpr_queue_ptr 0
		.amdhsa_user_sgpr_kernarg_segment_ptr 1
		.amdhsa_user_sgpr_dispatch_id 0
		.amdhsa_user_sgpr_kernarg_preload_length 0
		.amdhsa_user_sgpr_kernarg_preload_offset 0
		.amdhsa_user_sgpr_private_segment_size 0
		.amdhsa_uses_dynamic_stack 0
		.amdhsa_enable_private_segment 0
		.amdhsa_system_sgpr_workgroup_id_x 1
		.amdhsa_system_sgpr_workgroup_id_y 0
		.amdhsa_system_sgpr_workgroup_id_z 0
		.amdhsa_system_sgpr_workgroup_info 0
		.amdhsa_system_vgpr_workitem_id 0
		.amdhsa_next_free_vgpr 1
		.amdhsa_next_free_sgpr 0
		.amdhsa_accum_offset 4
		.amdhsa_reserve_vcc 0
		.amdhsa_float_round_mode_32 0
		.amdhsa_float_round_mode_16_64 0
		.amdhsa_float_denorm_mode_32 3
		.amdhsa_float_denorm_mode_16_64 3
		.amdhsa_dx10_clamp 1
		.amdhsa_ieee_mode 1
		.amdhsa_fp16_overflow 0
		.amdhsa_tg_split 0
		.amdhsa_exception_fp_ieee_invalid_op 0
		.amdhsa_exception_fp_denorm_src 0
		.amdhsa_exception_fp_ieee_div_zero 0
		.amdhsa_exception_fp_ieee_overflow 0
		.amdhsa_exception_fp_ieee_underflow 0
		.amdhsa_exception_fp_ieee_inexact 0
		.amdhsa_exception_int_div_zero 0
	.end_amdhsa_kernel
	.section	.text._ZN7rocprim17ROCPRIM_400000_NS6detail17trampoline_kernelINS0_14default_configENS1_27scan_by_key_config_selectorIssEEZZNS1_16scan_by_key_implILNS1_25lookback_scan_determinismE0ELb1ES3_N6thrust23THRUST_200600_302600_NS6detail15normal_iteratorINS9_10device_ptrIsEEEESE_SE_sNS9_4plusIvEENS9_8equal_toIvEEsEE10hipError_tPvRmT2_T3_T4_T5_mT6_T7_P12ihipStream_tbENKUlT_T0_E_clISt17integral_constantIbLb1EESZ_EEDaSU_SV_EUlSU_E_NS1_11comp_targetILNS1_3genE9ELNS1_11target_archE1100ELNS1_3gpuE3ELNS1_3repE0EEENS1_30default_config_static_selectorELNS0_4arch9wavefront6targetE1EEEvT1_,"axG",@progbits,_ZN7rocprim17ROCPRIM_400000_NS6detail17trampoline_kernelINS0_14default_configENS1_27scan_by_key_config_selectorIssEEZZNS1_16scan_by_key_implILNS1_25lookback_scan_determinismE0ELb1ES3_N6thrust23THRUST_200600_302600_NS6detail15normal_iteratorINS9_10device_ptrIsEEEESE_SE_sNS9_4plusIvEENS9_8equal_toIvEEsEE10hipError_tPvRmT2_T3_T4_T5_mT6_T7_P12ihipStream_tbENKUlT_T0_E_clISt17integral_constantIbLb1EESZ_EEDaSU_SV_EUlSU_E_NS1_11comp_targetILNS1_3genE9ELNS1_11target_archE1100ELNS1_3gpuE3ELNS1_3repE0EEENS1_30default_config_static_selectorELNS0_4arch9wavefront6targetE1EEEvT1_,comdat
.Lfunc_end585:
	.size	_ZN7rocprim17ROCPRIM_400000_NS6detail17trampoline_kernelINS0_14default_configENS1_27scan_by_key_config_selectorIssEEZZNS1_16scan_by_key_implILNS1_25lookback_scan_determinismE0ELb1ES3_N6thrust23THRUST_200600_302600_NS6detail15normal_iteratorINS9_10device_ptrIsEEEESE_SE_sNS9_4plusIvEENS9_8equal_toIvEEsEE10hipError_tPvRmT2_T3_T4_T5_mT6_T7_P12ihipStream_tbENKUlT_T0_E_clISt17integral_constantIbLb1EESZ_EEDaSU_SV_EUlSU_E_NS1_11comp_targetILNS1_3genE9ELNS1_11target_archE1100ELNS1_3gpuE3ELNS1_3repE0EEENS1_30default_config_static_selectorELNS0_4arch9wavefront6targetE1EEEvT1_, .Lfunc_end585-_ZN7rocprim17ROCPRIM_400000_NS6detail17trampoline_kernelINS0_14default_configENS1_27scan_by_key_config_selectorIssEEZZNS1_16scan_by_key_implILNS1_25lookback_scan_determinismE0ELb1ES3_N6thrust23THRUST_200600_302600_NS6detail15normal_iteratorINS9_10device_ptrIsEEEESE_SE_sNS9_4plusIvEENS9_8equal_toIvEEsEE10hipError_tPvRmT2_T3_T4_T5_mT6_T7_P12ihipStream_tbENKUlT_T0_E_clISt17integral_constantIbLb1EESZ_EEDaSU_SV_EUlSU_E_NS1_11comp_targetILNS1_3genE9ELNS1_11target_archE1100ELNS1_3gpuE3ELNS1_3repE0EEENS1_30default_config_static_selectorELNS0_4arch9wavefront6targetE1EEEvT1_
                                        ; -- End function
	.section	.AMDGPU.csdata,"",@progbits
; Kernel info:
; codeLenInByte = 0
; NumSgprs: 6
; NumVgprs: 0
; NumAgprs: 0
; TotalNumVgprs: 0
; ScratchSize: 0
; MemoryBound: 0
; FloatMode: 240
; IeeeMode: 1
; LDSByteSize: 0 bytes/workgroup (compile time only)
; SGPRBlocks: 0
; VGPRBlocks: 0
; NumSGPRsForWavesPerEU: 6
; NumVGPRsForWavesPerEU: 1
; AccumOffset: 4
; Occupancy: 8
; WaveLimiterHint : 0
; COMPUTE_PGM_RSRC2:SCRATCH_EN: 0
; COMPUTE_PGM_RSRC2:USER_SGPR: 2
; COMPUTE_PGM_RSRC2:TRAP_HANDLER: 0
; COMPUTE_PGM_RSRC2:TGID_X_EN: 1
; COMPUTE_PGM_RSRC2:TGID_Y_EN: 0
; COMPUTE_PGM_RSRC2:TGID_Z_EN: 0
; COMPUTE_PGM_RSRC2:TIDIG_COMP_CNT: 0
; COMPUTE_PGM_RSRC3_GFX90A:ACCUM_OFFSET: 0
; COMPUTE_PGM_RSRC3_GFX90A:TG_SPLIT: 0
	.section	.text._ZN7rocprim17ROCPRIM_400000_NS6detail17trampoline_kernelINS0_14default_configENS1_27scan_by_key_config_selectorIssEEZZNS1_16scan_by_key_implILNS1_25lookback_scan_determinismE0ELb1ES3_N6thrust23THRUST_200600_302600_NS6detail15normal_iteratorINS9_10device_ptrIsEEEESE_SE_sNS9_4plusIvEENS9_8equal_toIvEEsEE10hipError_tPvRmT2_T3_T4_T5_mT6_T7_P12ihipStream_tbENKUlT_T0_E_clISt17integral_constantIbLb1EESZ_EEDaSU_SV_EUlSU_E_NS1_11comp_targetILNS1_3genE8ELNS1_11target_archE1030ELNS1_3gpuE2ELNS1_3repE0EEENS1_30default_config_static_selectorELNS0_4arch9wavefront6targetE1EEEvT1_,"axG",@progbits,_ZN7rocprim17ROCPRIM_400000_NS6detail17trampoline_kernelINS0_14default_configENS1_27scan_by_key_config_selectorIssEEZZNS1_16scan_by_key_implILNS1_25lookback_scan_determinismE0ELb1ES3_N6thrust23THRUST_200600_302600_NS6detail15normal_iteratorINS9_10device_ptrIsEEEESE_SE_sNS9_4plusIvEENS9_8equal_toIvEEsEE10hipError_tPvRmT2_T3_T4_T5_mT6_T7_P12ihipStream_tbENKUlT_T0_E_clISt17integral_constantIbLb1EESZ_EEDaSU_SV_EUlSU_E_NS1_11comp_targetILNS1_3genE8ELNS1_11target_archE1030ELNS1_3gpuE2ELNS1_3repE0EEENS1_30default_config_static_selectorELNS0_4arch9wavefront6targetE1EEEvT1_,comdat
	.protected	_ZN7rocprim17ROCPRIM_400000_NS6detail17trampoline_kernelINS0_14default_configENS1_27scan_by_key_config_selectorIssEEZZNS1_16scan_by_key_implILNS1_25lookback_scan_determinismE0ELb1ES3_N6thrust23THRUST_200600_302600_NS6detail15normal_iteratorINS9_10device_ptrIsEEEESE_SE_sNS9_4plusIvEENS9_8equal_toIvEEsEE10hipError_tPvRmT2_T3_T4_T5_mT6_T7_P12ihipStream_tbENKUlT_T0_E_clISt17integral_constantIbLb1EESZ_EEDaSU_SV_EUlSU_E_NS1_11comp_targetILNS1_3genE8ELNS1_11target_archE1030ELNS1_3gpuE2ELNS1_3repE0EEENS1_30default_config_static_selectorELNS0_4arch9wavefront6targetE1EEEvT1_ ; -- Begin function _ZN7rocprim17ROCPRIM_400000_NS6detail17trampoline_kernelINS0_14default_configENS1_27scan_by_key_config_selectorIssEEZZNS1_16scan_by_key_implILNS1_25lookback_scan_determinismE0ELb1ES3_N6thrust23THRUST_200600_302600_NS6detail15normal_iteratorINS9_10device_ptrIsEEEESE_SE_sNS9_4plusIvEENS9_8equal_toIvEEsEE10hipError_tPvRmT2_T3_T4_T5_mT6_T7_P12ihipStream_tbENKUlT_T0_E_clISt17integral_constantIbLb1EESZ_EEDaSU_SV_EUlSU_E_NS1_11comp_targetILNS1_3genE8ELNS1_11target_archE1030ELNS1_3gpuE2ELNS1_3repE0EEENS1_30default_config_static_selectorELNS0_4arch9wavefront6targetE1EEEvT1_
	.globl	_ZN7rocprim17ROCPRIM_400000_NS6detail17trampoline_kernelINS0_14default_configENS1_27scan_by_key_config_selectorIssEEZZNS1_16scan_by_key_implILNS1_25lookback_scan_determinismE0ELb1ES3_N6thrust23THRUST_200600_302600_NS6detail15normal_iteratorINS9_10device_ptrIsEEEESE_SE_sNS9_4plusIvEENS9_8equal_toIvEEsEE10hipError_tPvRmT2_T3_T4_T5_mT6_T7_P12ihipStream_tbENKUlT_T0_E_clISt17integral_constantIbLb1EESZ_EEDaSU_SV_EUlSU_E_NS1_11comp_targetILNS1_3genE8ELNS1_11target_archE1030ELNS1_3gpuE2ELNS1_3repE0EEENS1_30default_config_static_selectorELNS0_4arch9wavefront6targetE1EEEvT1_
	.p2align	8
	.type	_ZN7rocprim17ROCPRIM_400000_NS6detail17trampoline_kernelINS0_14default_configENS1_27scan_by_key_config_selectorIssEEZZNS1_16scan_by_key_implILNS1_25lookback_scan_determinismE0ELb1ES3_N6thrust23THRUST_200600_302600_NS6detail15normal_iteratorINS9_10device_ptrIsEEEESE_SE_sNS9_4plusIvEENS9_8equal_toIvEEsEE10hipError_tPvRmT2_T3_T4_T5_mT6_T7_P12ihipStream_tbENKUlT_T0_E_clISt17integral_constantIbLb1EESZ_EEDaSU_SV_EUlSU_E_NS1_11comp_targetILNS1_3genE8ELNS1_11target_archE1030ELNS1_3gpuE2ELNS1_3repE0EEENS1_30default_config_static_selectorELNS0_4arch9wavefront6targetE1EEEvT1_,@function
_ZN7rocprim17ROCPRIM_400000_NS6detail17trampoline_kernelINS0_14default_configENS1_27scan_by_key_config_selectorIssEEZZNS1_16scan_by_key_implILNS1_25lookback_scan_determinismE0ELb1ES3_N6thrust23THRUST_200600_302600_NS6detail15normal_iteratorINS9_10device_ptrIsEEEESE_SE_sNS9_4plusIvEENS9_8equal_toIvEEsEE10hipError_tPvRmT2_T3_T4_T5_mT6_T7_P12ihipStream_tbENKUlT_T0_E_clISt17integral_constantIbLb1EESZ_EEDaSU_SV_EUlSU_E_NS1_11comp_targetILNS1_3genE8ELNS1_11target_archE1030ELNS1_3gpuE2ELNS1_3repE0EEENS1_30default_config_static_selectorELNS0_4arch9wavefront6targetE1EEEvT1_: ; @_ZN7rocprim17ROCPRIM_400000_NS6detail17trampoline_kernelINS0_14default_configENS1_27scan_by_key_config_selectorIssEEZZNS1_16scan_by_key_implILNS1_25lookback_scan_determinismE0ELb1ES3_N6thrust23THRUST_200600_302600_NS6detail15normal_iteratorINS9_10device_ptrIsEEEESE_SE_sNS9_4plusIvEENS9_8equal_toIvEEsEE10hipError_tPvRmT2_T3_T4_T5_mT6_T7_P12ihipStream_tbENKUlT_T0_E_clISt17integral_constantIbLb1EESZ_EEDaSU_SV_EUlSU_E_NS1_11comp_targetILNS1_3genE8ELNS1_11target_archE1030ELNS1_3gpuE2ELNS1_3repE0EEENS1_30default_config_static_selectorELNS0_4arch9wavefront6targetE1EEEvT1_
; %bb.0:
	.section	.rodata,"a",@progbits
	.p2align	6, 0x0
	.amdhsa_kernel _ZN7rocprim17ROCPRIM_400000_NS6detail17trampoline_kernelINS0_14default_configENS1_27scan_by_key_config_selectorIssEEZZNS1_16scan_by_key_implILNS1_25lookback_scan_determinismE0ELb1ES3_N6thrust23THRUST_200600_302600_NS6detail15normal_iteratorINS9_10device_ptrIsEEEESE_SE_sNS9_4plusIvEENS9_8equal_toIvEEsEE10hipError_tPvRmT2_T3_T4_T5_mT6_T7_P12ihipStream_tbENKUlT_T0_E_clISt17integral_constantIbLb1EESZ_EEDaSU_SV_EUlSU_E_NS1_11comp_targetILNS1_3genE8ELNS1_11target_archE1030ELNS1_3gpuE2ELNS1_3repE0EEENS1_30default_config_static_selectorELNS0_4arch9wavefront6targetE1EEEvT1_
		.amdhsa_group_segment_fixed_size 0
		.amdhsa_private_segment_fixed_size 0
		.amdhsa_kernarg_size 112
		.amdhsa_user_sgpr_count 2
		.amdhsa_user_sgpr_dispatch_ptr 0
		.amdhsa_user_sgpr_queue_ptr 0
		.amdhsa_user_sgpr_kernarg_segment_ptr 1
		.amdhsa_user_sgpr_dispatch_id 0
		.amdhsa_user_sgpr_kernarg_preload_length 0
		.amdhsa_user_sgpr_kernarg_preload_offset 0
		.amdhsa_user_sgpr_private_segment_size 0
		.amdhsa_uses_dynamic_stack 0
		.amdhsa_enable_private_segment 0
		.amdhsa_system_sgpr_workgroup_id_x 1
		.amdhsa_system_sgpr_workgroup_id_y 0
		.amdhsa_system_sgpr_workgroup_id_z 0
		.amdhsa_system_sgpr_workgroup_info 0
		.amdhsa_system_vgpr_workitem_id 0
		.amdhsa_next_free_vgpr 1
		.amdhsa_next_free_sgpr 0
		.amdhsa_accum_offset 4
		.amdhsa_reserve_vcc 0
		.amdhsa_float_round_mode_32 0
		.amdhsa_float_round_mode_16_64 0
		.amdhsa_float_denorm_mode_32 3
		.amdhsa_float_denorm_mode_16_64 3
		.amdhsa_dx10_clamp 1
		.amdhsa_ieee_mode 1
		.amdhsa_fp16_overflow 0
		.amdhsa_tg_split 0
		.amdhsa_exception_fp_ieee_invalid_op 0
		.amdhsa_exception_fp_denorm_src 0
		.amdhsa_exception_fp_ieee_div_zero 0
		.amdhsa_exception_fp_ieee_overflow 0
		.amdhsa_exception_fp_ieee_underflow 0
		.amdhsa_exception_fp_ieee_inexact 0
		.amdhsa_exception_int_div_zero 0
	.end_amdhsa_kernel
	.section	.text._ZN7rocprim17ROCPRIM_400000_NS6detail17trampoline_kernelINS0_14default_configENS1_27scan_by_key_config_selectorIssEEZZNS1_16scan_by_key_implILNS1_25lookback_scan_determinismE0ELb1ES3_N6thrust23THRUST_200600_302600_NS6detail15normal_iteratorINS9_10device_ptrIsEEEESE_SE_sNS9_4plusIvEENS9_8equal_toIvEEsEE10hipError_tPvRmT2_T3_T4_T5_mT6_T7_P12ihipStream_tbENKUlT_T0_E_clISt17integral_constantIbLb1EESZ_EEDaSU_SV_EUlSU_E_NS1_11comp_targetILNS1_3genE8ELNS1_11target_archE1030ELNS1_3gpuE2ELNS1_3repE0EEENS1_30default_config_static_selectorELNS0_4arch9wavefront6targetE1EEEvT1_,"axG",@progbits,_ZN7rocprim17ROCPRIM_400000_NS6detail17trampoline_kernelINS0_14default_configENS1_27scan_by_key_config_selectorIssEEZZNS1_16scan_by_key_implILNS1_25lookback_scan_determinismE0ELb1ES3_N6thrust23THRUST_200600_302600_NS6detail15normal_iteratorINS9_10device_ptrIsEEEESE_SE_sNS9_4plusIvEENS9_8equal_toIvEEsEE10hipError_tPvRmT2_T3_T4_T5_mT6_T7_P12ihipStream_tbENKUlT_T0_E_clISt17integral_constantIbLb1EESZ_EEDaSU_SV_EUlSU_E_NS1_11comp_targetILNS1_3genE8ELNS1_11target_archE1030ELNS1_3gpuE2ELNS1_3repE0EEENS1_30default_config_static_selectorELNS0_4arch9wavefront6targetE1EEEvT1_,comdat
.Lfunc_end586:
	.size	_ZN7rocprim17ROCPRIM_400000_NS6detail17trampoline_kernelINS0_14default_configENS1_27scan_by_key_config_selectorIssEEZZNS1_16scan_by_key_implILNS1_25lookback_scan_determinismE0ELb1ES3_N6thrust23THRUST_200600_302600_NS6detail15normal_iteratorINS9_10device_ptrIsEEEESE_SE_sNS9_4plusIvEENS9_8equal_toIvEEsEE10hipError_tPvRmT2_T3_T4_T5_mT6_T7_P12ihipStream_tbENKUlT_T0_E_clISt17integral_constantIbLb1EESZ_EEDaSU_SV_EUlSU_E_NS1_11comp_targetILNS1_3genE8ELNS1_11target_archE1030ELNS1_3gpuE2ELNS1_3repE0EEENS1_30default_config_static_selectorELNS0_4arch9wavefront6targetE1EEEvT1_, .Lfunc_end586-_ZN7rocprim17ROCPRIM_400000_NS6detail17trampoline_kernelINS0_14default_configENS1_27scan_by_key_config_selectorIssEEZZNS1_16scan_by_key_implILNS1_25lookback_scan_determinismE0ELb1ES3_N6thrust23THRUST_200600_302600_NS6detail15normal_iteratorINS9_10device_ptrIsEEEESE_SE_sNS9_4plusIvEENS9_8equal_toIvEEsEE10hipError_tPvRmT2_T3_T4_T5_mT6_T7_P12ihipStream_tbENKUlT_T0_E_clISt17integral_constantIbLb1EESZ_EEDaSU_SV_EUlSU_E_NS1_11comp_targetILNS1_3genE8ELNS1_11target_archE1030ELNS1_3gpuE2ELNS1_3repE0EEENS1_30default_config_static_selectorELNS0_4arch9wavefront6targetE1EEEvT1_
                                        ; -- End function
	.section	.AMDGPU.csdata,"",@progbits
; Kernel info:
; codeLenInByte = 0
; NumSgprs: 6
; NumVgprs: 0
; NumAgprs: 0
; TotalNumVgprs: 0
; ScratchSize: 0
; MemoryBound: 0
; FloatMode: 240
; IeeeMode: 1
; LDSByteSize: 0 bytes/workgroup (compile time only)
; SGPRBlocks: 0
; VGPRBlocks: 0
; NumSGPRsForWavesPerEU: 6
; NumVGPRsForWavesPerEU: 1
; AccumOffset: 4
; Occupancy: 8
; WaveLimiterHint : 0
; COMPUTE_PGM_RSRC2:SCRATCH_EN: 0
; COMPUTE_PGM_RSRC2:USER_SGPR: 2
; COMPUTE_PGM_RSRC2:TRAP_HANDLER: 0
; COMPUTE_PGM_RSRC2:TGID_X_EN: 1
; COMPUTE_PGM_RSRC2:TGID_Y_EN: 0
; COMPUTE_PGM_RSRC2:TGID_Z_EN: 0
; COMPUTE_PGM_RSRC2:TIDIG_COMP_CNT: 0
; COMPUTE_PGM_RSRC3_GFX90A:ACCUM_OFFSET: 0
; COMPUTE_PGM_RSRC3_GFX90A:TG_SPLIT: 0
	.section	.text._ZN7rocprim17ROCPRIM_400000_NS6detail17trampoline_kernelINS0_14default_configENS1_27scan_by_key_config_selectorIssEEZZNS1_16scan_by_key_implILNS1_25lookback_scan_determinismE0ELb1ES3_N6thrust23THRUST_200600_302600_NS6detail15normal_iteratorINS9_10device_ptrIsEEEESE_SE_sNS9_4plusIvEENS9_8equal_toIvEEsEE10hipError_tPvRmT2_T3_T4_T5_mT6_T7_P12ihipStream_tbENKUlT_T0_E_clISt17integral_constantIbLb1EESY_IbLb0EEEEDaSU_SV_EUlSU_E_NS1_11comp_targetILNS1_3genE0ELNS1_11target_archE4294967295ELNS1_3gpuE0ELNS1_3repE0EEENS1_30default_config_static_selectorELNS0_4arch9wavefront6targetE1EEEvT1_,"axG",@progbits,_ZN7rocprim17ROCPRIM_400000_NS6detail17trampoline_kernelINS0_14default_configENS1_27scan_by_key_config_selectorIssEEZZNS1_16scan_by_key_implILNS1_25lookback_scan_determinismE0ELb1ES3_N6thrust23THRUST_200600_302600_NS6detail15normal_iteratorINS9_10device_ptrIsEEEESE_SE_sNS9_4plusIvEENS9_8equal_toIvEEsEE10hipError_tPvRmT2_T3_T4_T5_mT6_T7_P12ihipStream_tbENKUlT_T0_E_clISt17integral_constantIbLb1EESY_IbLb0EEEEDaSU_SV_EUlSU_E_NS1_11comp_targetILNS1_3genE0ELNS1_11target_archE4294967295ELNS1_3gpuE0ELNS1_3repE0EEENS1_30default_config_static_selectorELNS0_4arch9wavefront6targetE1EEEvT1_,comdat
	.protected	_ZN7rocprim17ROCPRIM_400000_NS6detail17trampoline_kernelINS0_14default_configENS1_27scan_by_key_config_selectorIssEEZZNS1_16scan_by_key_implILNS1_25lookback_scan_determinismE0ELb1ES3_N6thrust23THRUST_200600_302600_NS6detail15normal_iteratorINS9_10device_ptrIsEEEESE_SE_sNS9_4plusIvEENS9_8equal_toIvEEsEE10hipError_tPvRmT2_T3_T4_T5_mT6_T7_P12ihipStream_tbENKUlT_T0_E_clISt17integral_constantIbLb1EESY_IbLb0EEEEDaSU_SV_EUlSU_E_NS1_11comp_targetILNS1_3genE0ELNS1_11target_archE4294967295ELNS1_3gpuE0ELNS1_3repE0EEENS1_30default_config_static_selectorELNS0_4arch9wavefront6targetE1EEEvT1_ ; -- Begin function _ZN7rocprim17ROCPRIM_400000_NS6detail17trampoline_kernelINS0_14default_configENS1_27scan_by_key_config_selectorIssEEZZNS1_16scan_by_key_implILNS1_25lookback_scan_determinismE0ELb1ES3_N6thrust23THRUST_200600_302600_NS6detail15normal_iteratorINS9_10device_ptrIsEEEESE_SE_sNS9_4plusIvEENS9_8equal_toIvEEsEE10hipError_tPvRmT2_T3_T4_T5_mT6_T7_P12ihipStream_tbENKUlT_T0_E_clISt17integral_constantIbLb1EESY_IbLb0EEEEDaSU_SV_EUlSU_E_NS1_11comp_targetILNS1_3genE0ELNS1_11target_archE4294967295ELNS1_3gpuE0ELNS1_3repE0EEENS1_30default_config_static_selectorELNS0_4arch9wavefront6targetE1EEEvT1_
	.globl	_ZN7rocprim17ROCPRIM_400000_NS6detail17trampoline_kernelINS0_14default_configENS1_27scan_by_key_config_selectorIssEEZZNS1_16scan_by_key_implILNS1_25lookback_scan_determinismE0ELb1ES3_N6thrust23THRUST_200600_302600_NS6detail15normal_iteratorINS9_10device_ptrIsEEEESE_SE_sNS9_4plusIvEENS9_8equal_toIvEEsEE10hipError_tPvRmT2_T3_T4_T5_mT6_T7_P12ihipStream_tbENKUlT_T0_E_clISt17integral_constantIbLb1EESY_IbLb0EEEEDaSU_SV_EUlSU_E_NS1_11comp_targetILNS1_3genE0ELNS1_11target_archE4294967295ELNS1_3gpuE0ELNS1_3repE0EEENS1_30default_config_static_selectorELNS0_4arch9wavefront6targetE1EEEvT1_
	.p2align	8
	.type	_ZN7rocprim17ROCPRIM_400000_NS6detail17trampoline_kernelINS0_14default_configENS1_27scan_by_key_config_selectorIssEEZZNS1_16scan_by_key_implILNS1_25lookback_scan_determinismE0ELb1ES3_N6thrust23THRUST_200600_302600_NS6detail15normal_iteratorINS9_10device_ptrIsEEEESE_SE_sNS9_4plusIvEENS9_8equal_toIvEEsEE10hipError_tPvRmT2_T3_T4_T5_mT6_T7_P12ihipStream_tbENKUlT_T0_E_clISt17integral_constantIbLb1EESY_IbLb0EEEEDaSU_SV_EUlSU_E_NS1_11comp_targetILNS1_3genE0ELNS1_11target_archE4294967295ELNS1_3gpuE0ELNS1_3repE0EEENS1_30default_config_static_selectorELNS0_4arch9wavefront6targetE1EEEvT1_,@function
_ZN7rocprim17ROCPRIM_400000_NS6detail17trampoline_kernelINS0_14default_configENS1_27scan_by_key_config_selectorIssEEZZNS1_16scan_by_key_implILNS1_25lookback_scan_determinismE0ELb1ES3_N6thrust23THRUST_200600_302600_NS6detail15normal_iteratorINS9_10device_ptrIsEEEESE_SE_sNS9_4plusIvEENS9_8equal_toIvEEsEE10hipError_tPvRmT2_T3_T4_T5_mT6_T7_P12ihipStream_tbENKUlT_T0_E_clISt17integral_constantIbLb1EESY_IbLb0EEEEDaSU_SV_EUlSU_E_NS1_11comp_targetILNS1_3genE0ELNS1_11target_archE4294967295ELNS1_3gpuE0ELNS1_3repE0EEENS1_30default_config_static_selectorELNS0_4arch9wavefront6targetE1EEEvT1_: ; @_ZN7rocprim17ROCPRIM_400000_NS6detail17trampoline_kernelINS0_14default_configENS1_27scan_by_key_config_selectorIssEEZZNS1_16scan_by_key_implILNS1_25lookback_scan_determinismE0ELb1ES3_N6thrust23THRUST_200600_302600_NS6detail15normal_iteratorINS9_10device_ptrIsEEEESE_SE_sNS9_4plusIvEENS9_8equal_toIvEEsEE10hipError_tPvRmT2_T3_T4_T5_mT6_T7_P12ihipStream_tbENKUlT_T0_E_clISt17integral_constantIbLb1EESY_IbLb0EEEEDaSU_SV_EUlSU_E_NS1_11comp_targetILNS1_3genE0ELNS1_11target_archE4294967295ELNS1_3gpuE0ELNS1_3repE0EEENS1_30default_config_static_selectorELNS0_4arch9wavefront6targetE1EEEvT1_
; %bb.0:
	.section	.rodata,"a",@progbits
	.p2align	6, 0x0
	.amdhsa_kernel _ZN7rocprim17ROCPRIM_400000_NS6detail17trampoline_kernelINS0_14default_configENS1_27scan_by_key_config_selectorIssEEZZNS1_16scan_by_key_implILNS1_25lookback_scan_determinismE0ELb1ES3_N6thrust23THRUST_200600_302600_NS6detail15normal_iteratorINS9_10device_ptrIsEEEESE_SE_sNS9_4plusIvEENS9_8equal_toIvEEsEE10hipError_tPvRmT2_T3_T4_T5_mT6_T7_P12ihipStream_tbENKUlT_T0_E_clISt17integral_constantIbLb1EESY_IbLb0EEEEDaSU_SV_EUlSU_E_NS1_11comp_targetILNS1_3genE0ELNS1_11target_archE4294967295ELNS1_3gpuE0ELNS1_3repE0EEENS1_30default_config_static_selectorELNS0_4arch9wavefront6targetE1EEEvT1_
		.amdhsa_group_segment_fixed_size 0
		.amdhsa_private_segment_fixed_size 0
		.amdhsa_kernarg_size 112
		.amdhsa_user_sgpr_count 2
		.amdhsa_user_sgpr_dispatch_ptr 0
		.amdhsa_user_sgpr_queue_ptr 0
		.amdhsa_user_sgpr_kernarg_segment_ptr 1
		.amdhsa_user_sgpr_dispatch_id 0
		.amdhsa_user_sgpr_kernarg_preload_length 0
		.amdhsa_user_sgpr_kernarg_preload_offset 0
		.amdhsa_user_sgpr_private_segment_size 0
		.amdhsa_uses_dynamic_stack 0
		.amdhsa_enable_private_segment 0
		.amdhsa_system_sgpr_workgroup_id_x 1
		.amdhsa_system_sgpr_workgroup_id_y 0
		.amdhsa_system_sgpr_workgroup_id_z 0
		.amdhsa_system_sgpr_workgroup_info 0
		.amdhsa_system_vgpr_workitem_id 0
		.amdhsa_next_free_vgpr 1
		.amdhsa_next_free_sgpr 0
		.amdhsa_accum_offset 4
		.amdhsa_reserve_vcc 0
		.amdhsa_float_round_mode_32 0
		.amdhsa_float_round_mode_16_64 0
		.amdhsa_float_denorm_mode_32 3
		.amdhsa_float_denorm_mode_16_64 3
		.amdhsa_dx10_clamp 1
		.amdhsa_ieee_mode 1
		.amdhsa_fp16_overflow 0
		.amdhsa_tg_split 0
		.amdhsa_exception_fp_ieee_invalid_op 0
		.amdhsa_exception_fp_denorm_src 0
		.amdhsa_exception_fp_ieee_div_zero 0
		.amdhsa_exception_fp_ieee_overflow 0
		.amdhsa_exception_fp_ieee_underflow 0
		.amdhsa_exception_fp_ieee_inexact 0
		.amdhsa_exception_int_div_zero 0
	.end_amdhsa_kernel
	.section	.text._ZN7rocprim17ROCPRIM_400000_NS6detail17trampoline_kernelINS0_14default_configENS1_27scan_by_key_config_selectorIssEEZZNS1_16scan_by_key_implILNS1_25lookback_scan_determinismE0ELb1ES3_N6thrust23THRUST_200600_302600_NS6detail15normal_iteratorINS9_10device_ptrIsEEEESE_SE_sNS9_4plusIvEENS9_8equal_toIvEEsEE10hipError_tPvRmT2_T3_T4_T5_mT6_T7_P12ihipStream_tbENKUlT_T0_E_clISt17integral_constantIbLb1EESY_IbLb0EEEEDaSU_SV_EUlSU_E_NS1_11comp_targetILNS1_3genE0ELNS1_11target_archE4294967295ELNS1_3gpuE0ELNS1_3repE0EEENS1_30default_config_static_selectorELNS0_4arch9wavefront6targetE1EEEvT1_,"axG",@progbits,_ZN7rocprim17ROCPRIM_400000_NS6detail17trampoline_kernelINS0_14default_configENS1_27scan_by_key_config_selectorIssEEZZNS1_16scan_by_key_implILNS1_25lookback_scan_determinismE0ELb1ES3_N6thrust23THRUST_200600_302600_NS6detail15normal_iteratorINS9_10device_ptrIsEEEESE_SE_sNS9_4plusIvEENS9_8equal_toIvEEsEE10hipError_tPvRmT2_T3_T4_T5_mT6_T7_P12ihipStream_tbENKUlT_T0_E_clISt17integral_constantIbLb1EESY_IbLb0EEEEDaSU_SV_EUlSU_E_NS1_11comp_targetILNS1_3genE0ELNS1_11target_archE4294967295ELNS1_3gpuE0ELNS1_3repE0EEENS1_30default_config_static_selectorELNS0_4arch9wavefront6targetE1EEEvT1_,comdat
.Lfunc_end587:
	.size	_ZN7rocprim17ROCPRIM_400000_NS6detail17trampoline_kernelINS0_14default_configENS1_27scan_by_key_config_selectorIssEEZZNS1_16scan_by_key_implILNS1_25lookback_scan_determinismE0ELb1ES3_N6thrust23THRUST_200600_302600_NS6detail15normal_iteratorINS9_10device_ptrIsEEEESE_SE_sNS9_4plusIvEENS9_8equal_toIvEEsEE10hipError_tPvRmT2_T3_T4_T5_mT6_T7_P12ihipStream_tbENKUlT_T0_E_clISt17integral_constantIbLb1EESY_IbLb0EEEEDaSU_SV_EUlSU_E_NS1_11comp_targetILNS1_3genE0ELNS1_11target_archE4294967295ELNS1_3gpuE0ELNS1_3repE0EEENS1_30default_config_static_selectorELNS0_4arch9wavefront6targetE1EEEvT1_, .Lfunc_end587-_ZN7rocprim17ROCPRIM_400000_NS6detail17trampoline_kernelINS0_14default_configENS1_27scan_by_key_config_selectorIssEEZZNS1_16scan_by_key_implILNS1_25lookback_scan_determinismE0ELb1ES3_N6thrust23THRUST_200600_302600_NS6detail15normal_iteratorINS9_10device_ptrIsEEEESE_SE_sNS9_4plusIvEENS9_8equal_toIvEEsEE10hipError_tPvRmT2_T3_T4_T5_mT6_T7_P12ihipStream_tbENKUlT_T0_E_clISt17integral_constantIbLb1EESY_IbLb0EEEEDaSU_SV_EUlSU_E_NS1_11comp_targetILNS1_3genE0ELNS1_11target_archE4294967295ELNS1_3gpuE0ELNS1_3repE0EEENS1_30default_config_static_selectorELNS0_4arch9wavefront6targetE1EEEvT1_
                                        ; -- End function
	.section	.AMDGPU.csdata,"",@progbits
; Kernel info:
; codeLenInByte = 0
; NumSgprs: 6
; NumVgprs: 0
; NumAgprs: 0
; TotalNumVgprs: 0
; ScratchSize: 0
; MemoryBound: 0
; FloatMode: 240
; IeeeMode: 1
; LDSByteSize: 0 bytes/workgroup (compile time only)
; SGPRBlocks: 0
; VGPRBlocks: 0
; NumSGPRsForWavesPerEU: 6
; NumVGPRsForWavesPerEU: 1
; AccumOffset: 4
; Occupancy: 8
; WaveLimiterHint : 0
; COMPUTE_PGM_RSRC2:SCRATCH_EN: 0
; COMPUTE_PGM_RSRC2:USER_SGPR: 2
; COMPUTE_PGM_RSRC2:TRAP_HANDLER: 0
; COMPUTE_PGM_RSRC2:TGID_X_EN: 1
; COMPUTE_PGM_RSRC2:TGID_Y_EN: 0
; COMPUTE_PGM_RSRC2:TGID_Z_EN: 0
; COMPUTE_PGM_RSRC2:TIDIG_COMP_CNT: 0
; COMPUTE_PGM_RSRC3_GFX90A:ACCUM_OFFSET: 0
; COMPUTE_PGM_RSRC3_GFX90A:TG_SPLIT: 0
	.section	.text._ZN7rocprim17ROCPRIM_400000_NS6detail17trampoline_kernelINS0_14default_configENS1_27scan_by_key_config_selectorIssEEZZNS1_16scan_by_key_implILNS1_25lookback_scan_determinismE0ELb1ES3_N6thrust23THRUST_200600_302600_NS6detail15normal_iteratorINS9_10device_ptrIsEEEESE_SE_sNS9_4plusIvEENS9_8equal_toIvEEsEE10hipError_tPvRmT2_T3_T4_T5_mT6_T7_P12ihipStream_tbENKUlT_T0_E_clISt17integral_constantIbLb1EESY_IbLb0EEEEDaSU_SV_EUlSU_E_NS1_11comp_targetILNS1_3genE10ELNS1_11target_archE1201ELNS1_3gpuE5ELNS1_3repE0EEENS1_30default_config_static_selectorELNS0_4arch9wavefront6targetE1EEEvT1_,"axG",@progbits,_ZN7rocprim17ROCPRIM_400000_NS6detail17trampoline_kernelINS0_14default_configENS1_27scan_by_key_config_selectorIssEEZZNS1_16scan_by_key_implILNS1_25lookback_scan_determinismE0ELb1ES3_N6thrust23THRUST_200600_302600_NS6detail15normal_iteratorINS9_10device_ptrIsEEEESE_SE_sNS9_4plusIvEENS9_8equal_toIvEEsEE10hipError_tPvRmT2_T3_T4_T5_mT6_T7_P12ihipStream_tbENKUlT_T0_E_clISt17integral_constantIbLb1EESY_IbLb0EEEEDaSU_SV_EUlSU_E_NS1_11comp_targetILNS1_3genE10ELNS1_11target_archE1201ELNS1_3gpuE5ELNS1_3repE0EEENS1_30default_config_static_selectorELNS0_4arch9wavefront6targetE1EEEvT1_,comdat
	.protected	_ZN7rocprim17ROCPRIM_400000_NS6detail17trampoline_kernelINS0_14default_configENS1_27scan_by_key_config_selectorIssEEZZNS1_16scan_by_key_implILNS1_25lookback_scan_determinismE0ELb1ES3_N6thrust23THRUST_200600_302600_NS6detail15normal_iteratorINS9_10device_ptrIsEEEESE_SE_sNS9_4plusIvEENS9_8equal_toIvEEsEE10hipError_tPvRmT2_T3_T4_T5_mT6_T7_P12ihipStream_tbENKUlT_T0_E_clISt17integral_constantIbLb1EESY_IbLb0EEEEDaSU_SV_EUlSU_E_NS1_11comp_targetILNS1_3genE10ELNS1_11target_archE1201ELNS1_3gpuE5ELNS1_3repE0EEENS1_30default_config_static_selectorELNS0_4arch9wavefront6targetE1EEEvT1_ ; -- Begin function _ZN7rocprim17ROCPRIM_400000_NS6detail17trampoline_kernelINS0_14default_configENS1_27scan_by_key_config_selectorIssEEZZNS1_16scan_by_key_implILNS1_25lookback_scan_determinismE0ELb1ES3_N6thrust23THRUST_200600_302600_NS6detail15normal_iteratorINS9_10device_ptrIsEEEESE_SE_sNS9_4plusIvEENS9_8equal_toIvEEsEE10hipError_tPvRmT2_T3_T4_T5_mT6_T7_P12ihipStream_tbENKUlT_T0_E_clISt17integral_constantIbLb1EESY_IbLb0EEEEDaSU_SV_EUlSU_E_NS1_11comp_targetILNS1_3genE10ELNS1_11target_archE1201ELNS1_3gpuE5ELNS1_3repE0EEENS1_30default_config_static_selectorELNS0_4arch9wavefront6targetE1EEEvT1_
	.globl	_ZN7rocprim17ROCPRIM_400000_NS6detail17trampoline_kernelINS0_14default_configENS1_27scan_by_key_config_selectorIssEEZZNS1_16scan_by_key_implILNS1_25lookback_scan_determinismE0ELb1ES3_N6thrust23THRUST_200600_302600_NS6detail15normal_iteratorINS9_10device_ptrIsEEEESE_SE_sNS9_4plusIvEENS9_8equal_toIvEEsEE10hipError_tPvRmT2_T3_T4_T5_mT6_T7_P12ihipStream_tbENKUlT_T0_E_clISt17integral_constantIbLb1EESY_IbLb0EEEEDaSU_SV_EUlSU_E_NS1_11comp_targetILNS1_3genE10ELNS1_11target_archE1201ELNS1_3gpuE5ELNS1_3repE0EEENS1_30default_config_static_selectorELNS0_4arch9wavefront6targetE1EEEvT1_
	.p2align	8
	.type	_ZN7rocprim17ROCPRIM_400000_NS6detail17trampoline_kernelINS0_14default_configENS1_27scan_by_key_config_selectorIssEEZZNS1_16scan_by_key_implILNS1_25lookback_scan_determinismE0ELb1ES3_N6thrust23THRUST_200600_302600_NS6detail15normal_iteratorINS9_10device_ptrIsEEEESE_SE_sNS9_4plusIvEENS9_8equal_toIvEEsEE10hipError_tPvRmT2_T3_T4_T5_mT6_T7_P12ihipStream_tbENKUlT_T0_E_clISt17integral_constantIbLb1EESY_IbLb0EEEEDaSU_SV_EUlSU_E_NS1_11comp_targetILNS1_3genE10ELNS1_11target_archE1201ELNS1_3gpuE5ELNS1_3repE0EEENS1_30default_config_static_selectorELNS0_4arch9wavefront6targetE1EEEvT1_,@function
_ZN7rocprim17ROCPRIM_400000_NS6detail17trampoline_kernelINS0_14default_configENS1_27scan_by_key_config_selectorIssEEZZNS1_16scan_by_key_implILNS1_25lookback_scan_determinismE0ELb1ES3_N6thrust23THRUST_200600_302600_NS6detail15normal_iteratorINS9_10device_ptrIsEEEESE_SE_sNS9_4plusIvEENS9_8equal_toIvEEsEE10hipError_tPvRmT2_T3_T4_T5_mT6_T7_P12ihipStream_tbENKUlT_T0_E_clISt17integral_constantIbLb1EESY_IbLb0EEEEDaSU_SV_EUlSU_E_NS1_11comp_targetILNS1_3genE10ELNS1_11target_archE1201ELNS1_3gpuE5ELNS1_3repE0EEENS1_30default_config_static_selectorELNS0_4arch9wavefront6targetE1EEEvT1_: ; @_ZN7rocprim17ROCPRIM_400000_NS6detail17trampoline_kernelINS0_14default_configENS1_27scan_by_key_config_selectorIssEEZZNS1_16scan_by_key_implILNS1_25lookback_scan_determinismE0ELb1ES3_N6thrust23THRUST_200600_302600_NS6detail15normal_iteratorINS9_10device_ptrIsEEEESE_SE_sNS9_4plusIvEENS9_8equal_toIvEEsEE10hipError_tPvRmT2_T3_T4_T5_mT6_T7_P12ihipStream_tbENKUlT_T0_E_clISt17integral_constantIbLb1EESY_IbLb0EEEEDaSU_SV_EUlSU_E_NS1_11comp_targetILNS1_3genE10ELNS1_11target_archE1201ELNS1_3gpuE5ELNS1_3repE0EEENS1_30default_config_static_selectorELNS0_4arch9wavefront6targetE1EEEvT1_
; %bb.0:
	.section	.rodata,"a",@progbits
	.p2align	6, 0x0
	.amdhsa_kernel _ZN7rocprim17ROCPRIM_400000_NS6detail17trampoline_kernelINS0_14default_configENS1_27scan_by_key_config_selectorIssEEZZNS1_16scan_by_key_implILNS1_25lookback_scan_determinismE0ELb1ES3_N6thrust23THRUST_200600_302600_NS6detail15normal_iteratorINS9_10device_ptrIsEEEESE_SE_sNS9_4plusIvEENS9_8equal_toIvEEsEE10hipError_tPvRmT2_T3_T4_T5_mT6_T7_P12ihipStream_tbENKUlT_T0_E_clISt17integral_constantIbLb1EESY_IbLb0EEEEDaSU_SV_EUlSU_E_NS1_11comp_targetILNS1_3genE10ELNS1_11target_archE1201ELNS1_3gpuE5ELNS1_3repE0EEENS1_30default_config_static_selectorELNS0_4arch9wavefront6targetE1EEEvT1_
		.amdhsa_group_segment_fixed_size 0
		.amdhsa_private_segment_fixed_size 0
		.amdhsa_kernarg_size 112
		.amdhsa_user_sgpr_count 2
		.amdhsa_user_sgpr_dispatch_ptr 0
		.amdhsa_user_sgpr_queue_ptr 0
		.amdhsa_user_sgpr_kernarg_segment_ptr 1
		.amdhsa_user_sgpr_dispatch_id 0
		.amdhsa_user_sgpr_kernarg_preload_length 0
		.amdhsa_user_sgpr_kernarg_preload_offset 0
		.amdhsa_user_sgpr_private_segment_size 0
		.amdhsa_uses_dynamic_stack 0
		.amdhsa_enable_private_segment 0
		.amdhsa_system_sgpr_workgroup_id_x 1
		.amdhsa_system_sgpr_workgroup_id_y 0
		.amdhsa_system_sgpr_workgroup_id_z 0
		.amdhsa_system_sgpr_workgroup_info 0
		.amdhsa_system_vgpr_workitem_id 0
		.amdhsa_next_free_vgpr 1
		.amdhsa_next_free_sgpr 0
		.amdhsa_accum_offset 4
		.amdhsa_reserve_vcc 0
		.amdhsa_float_round_mode_32 0
		.amdhsa_float_round_mode_16_64 0
		.amdhsa_float_denorm_mode_32 3
		.amdhsa_float_denorm_mode_16_64 3
		.amdhsa_dx10_clamp 1
		.amdhsa_ieee_mode 1
		.amdhsa_fp16_overflow 0
		.amdhsa_tg_split 0
		.amdhsa_exception_fp_ieee_invalid_op 0
		.amdhsa_exception_fp_denorm_src 0
		.amdhsa_exception_fp_ieee_div_zero 0
		.amdhsa_exception_fp_ieee_overflow 0
		.amdhsa_exception_fp_ieee_underflow 0
		.amdhsa_exception_fp_ieee_inexact 0
		.amdhsa_exception_int_div_zero 0
	.end_amdhsa_kernel
	.section	.text._ZN7rocprim17ROCPRIM_400000_NS6detail17trampoline_kernelINS0_14default_configENS1_27scan_by_key_config_selectorIssEEZZNS1_16scan_by_key_implILNS1_25lookback_scan_determinismE0ELb1ES3_N6thrust23THRUST_200600_302600_NS6detail15normal_iteratorINS9_10device_ptrIsEEEESE_SE_sNS9_4plusIvEENS9_8equal_toIvEEsEE10hipError_tPvRmT2_T3_T4_T5_mT6_T7_P12ihipStream_tbENKUlT_T0_E_clISt17integral_constantIbLb1EESY_IbLb0EEEEDaSU_SV_EUlSU_E_NS1_11comp_targetILNS1_3genE10ELNS1_11target_archE1201ELNS1_3gpuE5ELNS1_3repE0EEENS1_30default_config_static_selectorELNS0_4arch9wavefront6targetE1EEEvT1_,"axG",@progbits,_ZN7rocprim17ROCPRIM_400000_NS6detail17trampoline_kernelINS0_14default_configENS1_27scan_by_key_config_selectorIssEEZZNS1_16scan_by_key_implILNS1_25lookback_scan_determinismE0ELb1ES3_N6thrust23THRUST_200600_302600_NS6detail15normal_iteratorINS9_10device_ptrIsEEEESE_SE_sNS9_4plusIvEENS9_8equal_toIvEEsEE10hipError_tPvRmT2_T3_T4_T5_mT6_T7_P12ihipStream_tbENKUlT_T0_E_clISt17integral_constantIbLb1EESY_IbLb0EEEEDaSU_SV_EUlSU_E_NS1_11comp_targetILNS1_3genE10ELNS1_11target_archE1201ELNS1_3gpuE5ELNS1_3repE0EEENS1_30default_config_static_selectorELNS0_4arch9wavefront6targetE1EEEvT1_,comdat
.Lfunc_end588:
	.size	_ZN7rocprim17ROCPRIM_400000_NS6detail17trampoline_kernelINS0_14default_configENS1_27scan_by_key_config_selectorIssEEZZNS1_16scan_by_key_implILNS1_25lookback_scan_determinismE0ELb1ES3_N6thrust23THRUST_200600_302600_NS6detail15normal_iteratorINS9_10device_ptrIsEEEESE_SE_sNS9_4plusIvEENS9_8equal_toIvEEsEE10hipError_tPvRmT2_T3_T4_T5_mT6_T7_P12ihipStream_tbENKUlT_T0_E_clISt17integral_constantIbLb1EESY_IbLb0EEEEDaSU_SV_EUlSU_E_NS1_11comp_targetILNS1_3genE10ELNS1_11target_archE1201ELNS1_3gpuE5ELNS1_3repE0EEENS1_30default_config_static_selectorELNS0_4arch9wavefront6targetE1EEEvT1_, .Lfunc_end588-_ZN7rocprim17ROCPRIM_400000_NS6detail17trampoline_kernelINS0_14default_configENS1_27scan_by_key_config_selectorIssEEZZNS1_16scan_by_key_implILNS1_25lookback_scan_determinismE0ELb1ES3_N6thrust23THRUST_200600_302600_NS6detail15normal_iteratorINS9_10device_ptrIsEEEESE_SE_sNS9_4plusIvEENS9_8equal_toIvEEsEE10hipError_tPvRmT2_T3_T4_T5_mT6_T7_P12ihipStream_tbENKUlT_T0_E_clISt17integral_constantIbLb1EESY_IbLb0EEEEDaSU_SV_EUlSU_E_NS1_11comp_targetILNS1_3genE10ELNS1_11target_archE1201ELNS1_3gpuE5ELNS1_3repE0EEENS1_30default_config_static_selectorELNS0_4arch9wavefront6targetE1EEEvT1_
                                        ; -- End function
	.section	.AMDGPU.csdata,"",@progbits
; Kernel info:
; codeLenInByte = 0
; NumSgprs: 6
; NumVgprs: 0
; NumAgprs: 0
; TotalNumVgprs: 0
; ScratchSize: 0
; MemoryBound: 0
; FloatMode: 240
; IeeeMode: 1
; LDSByteSize: 0 bytes/workgroup (compile time only)
; SGPRBlocks: 0
; VGPRBlocks: 0
; NumSGPRsForWavesPerEU: 6
; NumVGPRsForWavesPerEU: 1
; AccumOffset: 4
; Occupancy: 8
; WaveLimiterHint : 0
; COMPUTE_PGM_RSRC2:SCRATCH_EN: 0
; COMPUTE_PGM_RSRC2:USER_SGPR: 2
; COMPUTE_PGM_RSRC2:TRAP_HANDLER: 0
; COMPUTE_PGM_RSRC2:TGID_X_EN: 1
; COMPUTE_PGM_RSRC2:TGID_Y_EN: 0
; COMPUTE_PGM_RSRC2:TGID_Z_EN: 0
; COMPUTE_PGM_RSRC2:TIDIG_COMP_CNT: 0
; COMPUTE_PGM_RSRC3_GFX90A:ACCUM_OFFSET: 0
; COMPUTE_PGM_RSRC3_GFX90A:TG_SPLIT: 0
	.section	.text._ZN7rocprim17ROCPRIM_400000_NS6detail17trampoline_kernelINS0_14default_configENS1_27scan_by_key_config_selectorIssEEZZNS1_16scan_by_key_implILNS1_25lookback_scan_determinismE0ELb1ES3_N6thrust23THRUST_200600_302600_NS6detail15normal_iteratorINS9_10device_ptrIsEEEESE_SE_sNS9_4plusIvEENS9_8equal_toIvEEsEE10hipError_tPvRmT2_T3_T4_T5_mT6_T7_P12ihipStream_tbENKUlT_T0_E_clISt17integral_constantIbLb1EESY_IbLb0EEEEDaSU_SV_EUlSU_E_NS1_11comp_targetILNS1_3genE5ELNS1_11target_archE942ELNS1_3gpuE9ELNS1_3repE0EEENS1_30default_config_static_selectorELNS0_4arch9wavefront6targetE1EEEvT1_,"axG",@progbits,_ZN7rocprim17ROCPRIM_400000_NS6detail17trampoline_kernelINS0_14default_configENS1_27scan_by_key_config_selectorIssEEZZNS1_16scan_by_key_implILNS1_25lookback_scan_determinismE0ELb1ES3_N6thrust23THRUST_200600_302600_NS6detail15normal_iteratorINS9_10device_ptrIsEEEESE_SE_sNS9_4plusIvEENS9_8equal_toIvEEsEE10hipError_tPvRmT2_T3_T4_T5_mT6_T7_P12ihipStream_tbENKUlT_T0_E_clISt17integral_constantIbLb1EESY_IbLb0EEEEDaSU_SV_EUlSU_E_NS1_11comp_targetILNS1_3genE5ELNS1_11target_archE942ELNS1_3gpuE9ELNS1_3repE0EEENS1_30default_config_static_selectorELNS0_4arch9wavefront6targetE1EEEvT1_,comdat
	.protected	_ZN7rocprim17ROCPRIM_400000_NS6detail17trampoline_kernelINS0_14default_configENS1_27scan_by_key_config_selectorIssEEZZNS1_16scan_by_key_implILNS1_25lookback_scan_determinismE0ELb1ES3_N6thrust23THRUST_200600_302600_NS6detail15normal_iteratorINS9_10device_ptrIsEEEESE_SE_sNS9_4plusIvEENS9_8equal_toIvEEsEE10hipError_tPvRmT2_T3_T4_T5_mT6_T7_P12ihipStream_tbENKUlT_T0_E_clISt17integral_constantIbLb1EESY_IbLb0EEEEDaSU_SV_EUlSU_E_NS1_11comp_targetILNS1_3genE5ELNS1_11target_archE942ELNS1_3gpuE9ELNS1_3repE0EEENS1_30default_config_static_selectorELNS0_4arch9wavefront6targetE1EEEvT1_ ; -- Begin function _ZN7rocprim17ROCPRIM_400000_NS6detail17trampoline_kernelINS0_14default_configENS1_27scan_by_key_config_selectorIssEEZZNS1_16scan_by_key_implILNS1_25lookback_scan_determinismE0ELb1ES3_N6thrust23THRUST_200600_302600_NS6detail15normal_iteratorINS9_10device_ptrIsEEEESE_SE_sNS9_4plusIvEENS9_8equal_toIvEEsEE10hipError_tPvRmT2_T3_T4_T5_mT6_T7_P12ihipStream_tbENKUlT_T0_E_clISt17integral_constantIbLb1EESY_IbLb0EEEEDaSU_SV_EUlSU_E_NS1_11comp_targetILNS1_3genE5ELNS1_11target_archE942ELNS1_3gpuE9ELNS1_3repE0EEENS1_30default_config_static_selectorELNS0_4arch9wavefront6targetE1EEEvT1_
	.globl	_ZN7rocprim17ROCPRIM_400000_NS6detail17trampoline_kernelINS0_14default_configENS1_27scan_by_key_config_selectorIssEEZZNS1_16scan_by_key_implILNS1_25lookback_scan_determinismE0ELb1ES3_N6thrust23THRUST_200600_302600_NS6detail15normal_iteratorINS9_10device_ptrIsEEEESE_SE_sNS9_4plusIvEENS9_8equal_toIvEEsEE10hipError_tPvRmT2_T3_T4_T5_mT6_T7_P12ihipStream_tbENKUlT_T0_E_clISt17integral_constantIbLb1EESY_IbLb0EEEEDaSU_SV_EUlSU_E_NS1_11comp_targetILNS1_3genE5ELNS1_11target_archE942ELNS1_3gpuE9ELNS1_3repE0EEENS1_30default_config_static_selectorELNS0_4arch9wavefront6targetE1EEEvT1_
	.p2align	8
	.type	_ZN7rocprim17ROCPRIM_400000_NS6detail17trampoline_kernelINS0_14default_configENS1_27scan_by_key_config_selectorIssEEZZNS1_16scan_by_key_implILNS1_25lookback_scan_determinismE0ELb1ES3_N6thrust23THRUST_200600_302600_NS6detail15normal_iteratorINS9_10device_ptrIsEEEESE_SE_sNS9_4plusIvEENS9_8equal_toIvEEsEE10hipError_tPvRmT2_T3_T4_T5_mT6_T7_P12ihipStream_tbENKUlT_T0_E_clISt17integral_constantIbLb1EESY_IbLb0EEEEDaSU_SV_EUlSU_E_NS1_11comp_targetILNS1_3genE5ELNS1_11target_archE942ELNS1_3gpuE9ELNS1_3repE0EEENS1_30default_config_static_selectorELNS0_4arch9wavefront6targetE1EEEvT1_,@function
_ZN7rocprim17ROCPRIM_400000_NS6detail17trampoline_kernelINS0_14default_configENS1_27scan_by_key_config_selectorIssEEZZNS1_16scan_by_key_implILNS1_25lookback_scan_determinismE0ELb1ES3_N6thrust23THRUST_200600_302600_NS6detail15normal_iteratorINS9_10device_ptrIsEEEESE_SE_sNS9_4plusIvEENS9_8equal_toIvEEsEE10hipError_tPvRmT2_T3_T4_T5_mT6_T7_P12ihipStream_tbENKUlT_T0_E_clISt17integral_constantIbLb1EESY_IbLb0EEEEDaSU_SV_EUlSU_E_NS1_11comp_targetILNS1_3genE5ELNS1_11target_archE942ELNS1_3gpuE9ELNS1_3repE0EEENS1_30default_config_static_selectorELNS0_4arch9wavefront6targetE1EEEvT1_: ; @_ZN7rocprim17ROCPRIM_400000_NS6detail17trampoline_kernelINS0_14default_configENS1_27scan_by_key_config_selectorIssEEZZNS1_16scan_by_key_implILNS1_25lookback_scan_determinismE0ELb1ES3_N6thrust23THRUST_200600_302600_NS6detail15normal_iteratorINS9_10device_ptrIsEEEESE_SE_sNS9_4plusIvEENS9_8equal_toIvEEsEE10hipError_tPvRmT2_T3_T4_T5_mT6_T7_P12ihipStream_tbENKUlT_T0_E_clISt17integral_constantIbLb1EESY_IbLb0EEEEDaSU_SV_EUlSU_E_NS1_11comp_targetILNS1_3genE5ELNS1_11target_archE942ELNS1_3gpuE9ELNS1_3repE0EEENS1_30default_config_static_selectorELNS0_4arch9wavefront6targetE1EEEvT1_
; %bb.0:
	s_load_dwordx8 s[48:55], s[0:1], 0x0
	s_load_dword s78, s[0:1], 0x20
	s_load_dwordx4 s[56:59], s[0:1], 0x28
	s_load_dwordx2 s[68:69], s[0:1], 0x38
	s_load_dword s3, s[0:1], 0x40
	s_load_dwordx4 s[60:63], s[0:1], 0x48
	s_waitcnt lgkmcnt(0)
	s_lshl_b64 s[64:65], s[50:51], 1
	s_add_u32 s4, s48, s64
	s_addc_u32 s5, s49, s65
	s_add_u32 s6, s52, s64
	s_mul_i32 s0, s69, s3
	s_mul_hi_u32 s1, s68, s3
	s_addc_u32 s7, s53, s65
	s_add_i32 s8, s1, s0
	s_mul_i32 s0, s2, 0x1800
	s_mov_b32 s1, 0
	s_lshl_b64 s[66:67], s[0:1], 1
	s_add_u32 s72, s4, s66
	s_addc_u32 s73, s5, s67
	s_add_u32 s70, s6, s66
	s_mul_i32 s3, s68, s3
	s_addc_u32 s71, s7, s67
	s_add_u32 s0, s3, s2
	s_addc_u32 s1, s8, 0
	s_add_u32 s6, s60, -1
	s_addc_u32 s7, s61, -1
	v_mov_b64_e32 v[2:3], s[6:7]
	v_cmp_ge_u64_e64 s[0:1], s[0:1], v[2:3]
	s_mov_b64 s[4:5], -1
	s_and_b64 vcc, exec, s[0:1]
	s_mul_i32 s33, s6, 0xffffe800
	s_barrier
	s_cbranch_vccz .LBB589_126
; %bb.1:
	v_mov_b64_e32 v[2:3], s[72:73]
	flat_load_ushort v2, v[2:3]
	s_add_i32 s59, s33, s58
	v_cmp_gt_u32_e32 vcc, s59, v0
	s_waitcnt vmcnt(0) lgkmcnt(0)
	v_mov_b32_e32 v3, v2
	s_and_saveexec_b64 s[4:5], vcc
	s_cbranch_execz .LBB589_3
; %bb.2:
	v_lshlrev_b32_e32 v4, 1, v0
	v_mov_b32_e32 v5, 0
	v_lshl_add_u64 v[4:5], s[72:73], 0, v[4:5]
	flat_load_ushort v3, v[4:5]
.LBB589_3:
	s_or_b64 exec, exec, s[4:5]
	v_or_b32_e32 v1, 0x100, v0
	v_cmp_gt_u32_e64 s[50:51], s59, v1
	v_mov_b32_e32 v4, v2
	s_and_saveexec_b64 s[4:5], s[50:51]
	s_cbranch_execz .LBB589_5
; %bb.4:
	v_lshlrev_b32_e32 v4, 1, v0
	v_mov_b32_e32 v5, 0
	v_lshl_add_u64 v[4:5], s[72:73], 0, v[4:5]
	flat_load_ushort v4, v[4:5] offset:512
.LBB589_5:
	s_or_b64 exec, exec, s[4:5]
	v_or_b32_e32 v1, 0x200, v0
	v_cmp_gt_u32_e64 s[4:5], s59, v1
	v_mov_b32_e32 v5, v2
	s_and_saveexec_b64 s[6:7], s[4:5]
	s_cbranch_execz .LBB589_7
; %bb.6:
	v_lshlrev_b32_e32 v6, 1, v0
	v_mov_b32_e32 v7, 0
	v_lshl_add_u64 v[6:7], s[72:73], 0, v[6:7]
	flat_load_ushort v5, v[6:7] offset:1024
.LBB589_7:
	;; [unrolled: 12-line block ×7, first 2 shown]
	s_or_b64 exec, exec, s[16:17]
	v_or_b32_e32 v1, 0x800, v0
	v_cmp_gt_u32_e64 s[16:17], s59, v1
	v_mov_b32_e32 v11, v2
	s_and_saveexec_b64 s[18:19], s[16:17]
	s_cbranch_execz .LBB589_19
; %bb.18:
	v_lshlrev_b32_e32 v12, 1, v1
	v_mov_b32_e32 v13, 0
	v_lshl_add_u64 v[12:13], s[72:73], 0, v[12:13]
	flat_load_ushort v11, v[12:13]
.LBB589_19:
	s_or_b64 exec, exec, s[18:19]
	v_or_b32_e32 v16, 0x900, v0
	v_cmp_gt_u32_e64 s[18:19], s59, v16
	v_mov_b32_e32 v12, v2
	s_and_saveexec_b64 s[20:21], s[18:19]
	s_cbranch_execz .LBB589_21
; %bb.20:
	v_lshlrev_b32_e32 v12, 1, v16
	v_mov_b32_e32 v13, 0
	v_lshl_add_u64 v[12:13], s[72:73], 0, v[12:13]
	flat_load_ushort v12, v[12:13]
.LBB589_21:
	;; [unrolled: 12-line block ×15, first 2 shown]
	s_or_b64 exec, exec, s[48:49]
	v_or_b32_e32 v31, 0x1700, v0
	v_cmp_gt_u32_e64 s[48:49], s59, v31
	s_and_saveexec_b64 s[52:53], s[48:49]
	s_cbranch_execz .LBB589_49
; %bb.48:
	v_lshlrev_b32_e32 v42, 1, v31
	v_mov_b32_e32 v43, 0
	v_lshl_add_u64 v[42:43], s[72:73], 0, v[42:43]
	flat_load_ushort v2, v[42:43]
.LBB589_49:
	s_or_b64 exec, exec, s[52:53]
	v_lshlrev_b32_e32 v14, 1, v0
	s_waitcnt vmcnt(0) lgkmcnt(0)
	ds_write_b16 v14, v3
	ds_write_b16 v14, v4 offset:512
	ds_write_b16 v14, v5 offset:1024
	;; [unrolled: 1-line block ×23, first 2 shown]
	v_mov_b64_e32 v[2:3], s[72:73]
	s_waitcnt lgkmcnt(0)
	s_barrier
	flat_load_ushort v26, v[2:3]
	v_mad_u32_u24 v42, v0, 46, v14
	ds_read_b128 v[10:13], v42
	ds_read_b128 v[6:9], v42 offset:16
	ds_read_b128 v[2:5], v42 offset:32
	s_movk_i32 s3, 0xffd2
	v_mad_i32_i24 v15, v0, s3, v42
	s_movk_i32 s3, 0xff
	v_cmp_ne_u32_e64 s[52:53], s3, v0
	s_waitcnt lgkmcnt(0)
	ds_write_b16 v15, v10 offset:12800
	s_waitcnt lgkmcnt(0)
	s_barrier
	s_and_saveexec_b64 s[60:61], s[52:53]
	s_cbranch_execz .LBB589_51
; %bb.50:
	s_waitcnt vmcnt(0)
	ds_read_u16 v26, v14 offset:12802
.LBB589_51:
	s_or_b64 exec, exec, s[60:61]
	v_mov_b32_e32 v15, 0
	s_waitcnt lgkmcnt(0)
	s_barrier
	s_waitcnt lgkmcnt(0)
                                        ; implicit-def: $vgpr32
	s_and_saveexec_b64 s[52:53], vcc
	s_cbranch_execz .LBB589_205
; %bb.52:
	v_lshl_add_u64 v[32:33], s[70:71], 0, v[14:15]
	flat_load_ushort v32, v[32:33]
	s_or_b64 exec, exec, s[52:53]
                                        ; implicit-def: $vgpr33
	s_and_saveexec_b64 s[52:53], s[50:51]
	s_cbranch_execnz .LBB589_206
.LBB589_53:
	s_or_b64 exec, exec, s[52:53]
                                        ; implicit-def: $vgpr34
	s_and_saveexec_b64 s[50:51], s[4:5]
	s_cbranch_execz .LBB589_207
.LBB589_54:
	v_mov_b32_e32 v15, 0
	v_lshl_add_u64 v[34:35], s[70:71], 0, v[14:15]
	flat_load_ushort v34, v[34:35] offset:1024
	s_or_b64 exec, exec, s[50:51]
                                        ; implicit-def: $vgpr35
	s_and_saveexec_b64 s[4:5], s[6:7]
	s_cbranch_execnz .LBB589_208
.LBB589_55:
	s_or_b64 exec, exec, s[4:5]
                                        ; implicit-def: $vgpr36
	s_and_saveexec_b64 s[4:5], s[8:9]
	s_cbranch_execz .LBB589_209
.LBB589_56:
	v_mov_b32_e32 v15, 0
	v_lshl_add_u64 v[36:37], s[70:71], 0, v[14:15]
	flat_load_ushort v36, v[36:37] offset:2048
	s_or_b64 exec, exec, s[4:5]
                                        ; implicit-def: $vgpr37
	s_and_saveexec_b64 s[4:5], s[10:11]
	s_cbranch_execnz .LBB589_210
.LBB589_57:
	s_or_b64 exec, exec, s[4:5]
                                        ; implicit-def: $vgpr38
	s_and_saveexec_b64 s[4:5], s[12:13]
	s_cbranch_execz .LBB589_211
.LBB589_58:
	v_mov_b32_e32 v15, 0
	v_lshl_add_u64 v[38:39], s[70:71], 0, v[14:15]
	flat_load_ushort v38, v[38:39] offset:3072
	s_or_b64 exec, exec, s[4:5]
                                        ; implicit-def: $vgpr15
	s_and_saveexec_b64 s[4:5], s[14:15]
	s_cbranch_execnz .LBB589_212
.LBB589_59:
	s_or_b64 exec, exec, s[4:5]
                                        ; implicit-def: $vgpr39
	s_and_saveexec_b64 s[4:5], s[16:17]
	s_cbranch_execz .LBB589_213
.LBB589_60:
	v_lshlrev_b32_e32 v40, 1, v1
	v_mov_b32_e32 v41, 0
	v_lshl_add_u64 v[40:41], s[70:71], 0, v[40:41]
	flat_load_ushort v39, v[40:41]
	s_or_b64 exec, exec, s[4:5]
                                        ; implicit-def: $vgpr1
	s_and_saveexec_b64 s[4:5], s[18:19]
	s_cbranch_execnz .LBB589_214
.LBB589_61:
	s_or_b64 exec, exec, s[4:5]
                                        ; implicit-def: $vgpr16
	s_and_saveexec_b64 s[4:5], s[20:21]
	s_cbranch_execz .LBB589_215
.LBB589_62:
	v_lshlrev_b32_e32 v16, 1, v17
	v_mov_b32_e32 v17, 0
	v_lshl_add_u64 v[16:17], s[70:71], 0, v[16:17]
	flat_load_ushort v16, v[16:17]
	s_or_b64 exec, exec, s[4:5]
                                        ; implicit-def: $vgpr17
	s_and_saveexec_b64 s[4:5], s[22:23]
	s_cbranch_execnz .LBB589_216
.LBB589_63:
	s_or_b64 exec, exec, s[4:5]
                                        ; implicit-def: $vgpr18
	s_and_saveexec_b64 s[4:5], s[24:25]
	s_cbranch_execz .LBB589_217
.LBB589_64:
	v_lshlrev_b32_e32 v18, 1, v19
	v_mov_b32_e32 v19, 0
	v_lshl_add_u64 v[18:19], s[70:71], 0, v[18:19]
	flat_load_ushort v18, v[18:19]
	s_or_b64 exec, exec, s[4:5]
                                        ; implicit-def: $vgpr19
	s_and_saveexec_b64 s[4:5], s[26:27]
	s_cbranch_execnz .LBB589_218
.LBB589_65:
	s_or_b64 exec, exec, s[4:5]
                                        ; implicit-def: $vgpr20
	s_and_saveexec_b64 s[4:5], s[28:29]
	s_cbranch_execz .LBB589_219
.LBB589_66:
	v_lshlrev_b32_e32 v20, 1, v21
	v_mov_b32_e32 v21, 0
	v_lshl_add_u64 v[20:21], s[70:71], 0, v[20:21]
	flat_load_ushort v20, v[20:21]
	s_or_b64 exec, exec, s[4:5]
                                        ; implicit-def: $vgpr21
	s_and_saveexec_b64 s[4:5], s[30:31]
	s_cbranch_execnz .LBB589_220
.LBB589_67:
	s_or_b64 exec, exec, s[4:5]
                                        ; implicit-def: $vgpr22
	s_and_saveexec_b64 s[4:5], s[34:35]
	s_cbranch_execz .LBB589_221
.LBB589_68:
	v_lshlrev_b32_e32 v22, 1, v23
	v_mov_b32_e32 v23, 0
	v_lshl_add_u64 v[22:23], s[70:71], 0, v[22:23]
	flat_load_ushort v22, v[22:23]
	s_or_b64 exec, exec, s[4:5]
                                        ; implicit-def: $vgpr23
	s_and_saveexec_b64 s[4:5], s[36:37]
	s_cbranch_execnz .LBB589_222
.LBB589_69:
	s_or_b64 exec, exec, s[4:5]
                                        ; implicit-def: $vgpr24
	s_and_saveexec_b64 s[4:5], s[38:39]
	s_cbranch_execz .LBB589_223
.LBB589_70:
	v_lshlrev_b32_e32 v24, 1, v25
	v_mov_b32_e32 v25, 0
	v_lshl_add_u64 v[24:25], s[70:71], 0, v[24:25]
	flat_load_ushort v24, v[24:25]
	s_or_b64 exec, exec, s[4:5]
                                        ; implicit-def: $vgpr25
	s_and_saveexec_b64 s[4:5], s[40:41]
	s_cbranch_execnz .LBB589_224
.LBB589_71:
	s_or_b64 exec, exec, s[4:5]
                                        ; implicit-def: $vgpr27
	s_and_saveexec_b64 s[4:5], s[42:43]
	s_cbranch_execz .LBB589_225
.LBB589_72:
	v_lshlrev_b32_e32 v40, 1, v28
	v_mov_b32_e32 v41, 0
	v_lshl_add_u64 v[40:41], s[70:71], 0, v[40:41]
	flat_load_ushort v27, v[40:41]
	s_or_b64 exec, exec, s[4:5]
                                        ; implicit-def: $vgpr28
	s_and_saveexec_b64 s[4:5], s[44:45]
	s_cbranch_execnz .LBB589_226
.LBB589_73:
	s_or_b64 exec, exec, s[4:5]
                                        ; implicit-def: $vgpr29
	s_and_saveexec_b64 s[4:5], s[46:47]
	s_cbranch_execz .LBB589_75
.LBB589_74:
	v_lshlrev_b32_e32 v40, 1, v30
	v_mov_b32_e32 v41, 0
	v_lshl_add_u64 v[40:41], s[70:71], 0, v[40:41]
	flat_load_ushort v29, v[40:41]
.LBB589_75:
	s_or_b64 exec, exec, s[4:5]
	v_mul_u32_u24_e32 v43, 24, v0
                                        ; implicit-def: $vgpr30
	s_and_saveexec_b64 s[4:5], s[48:49]
	s_cbranch_execz .LBB589_77
; %bb.76:
	v_lshlrev_b32_e32 v30, 1, v31
	v_mov_b32_e32 v31, 0
	v_lshl_add_u64 v[30:31], s[70:71], 0, v[30:31]
	flat_load_ushort v30, v[30:31]
.LBB589_77:
	s_or_b64 exec, exec, s[4:5]
	s_waitcnt vmcnt(0) lgkmcnt(0)
	ds_write_b16 v14, v32
	ds_write_b16 v14, v33 offset:512
	ds_write_b16 v14, v34 offset:1024
	;; [unrolled: 1-line block ×23, first 2 shown]
	v_cmp_gt_u32_e32 vcc, s59, v43
	s_mov_b64 s[4:5], 0
	s_mov_b32 s3, 0
	v_mov_b32_e32 v1, 0
	s_mov_b64 s[10:11], 0
	v_mov_b32_e32 v18, 0
	v_mov_b32_e32 v25, 0
	;; [unrolled: 1-line block ×22, first 2 shown]
	s_waitcnt lgkmcnt(0)
	s_barrier
	s_waitcnt lgkmcnt(0)
                                        ; implicit-def: $sgpr8_sgpr9
                                        ; implicit-def: $vgpr41
	s_and_saveexec_b64 s[6:7], vcc
	s_cbranch_execz .LBB589_125
; %bb.78:
	ds_read_u16 v1, v42
	v_mov_b32_e32 v15, s78
	v_cmp_eq_u16_sdwa vcc, v10, v10 src0_sel:DWORD src1_sel:WORD_1
	v_cmp_ne_u16_sdwa s[8:9], v10, v10 src0_sel:DWORD src1_sel:WORD_1
	v_or_b32_e32 v14, 1, v43
	s_waitcnt lgkmcnt(0)
	v_cndmask_b32_e32 v1, v15, v1, vcc
	v_and_b32_e32 v1, 0xffff, v1
	v_cndmask_b32_e64 v15, 0, 1, s[8:9]
	v_lshl_or_b32 v1, v15, 16, v1
	v_cmp_gt_u32_e32 vcc, s59, v14
	v_mov_b32_e32 v18, 0
	v_mov_b32_e32 v25, 0
	;; [unrolled: 1-line block ×22, first 2 shown]
                                        ; implicit-def: $sgpr12_sgpr13
                                        ; implicit-def: $vgpr41
	s_and_saveexec_b64 s[8:9], vcc
	s_cbranch_execz .LBB589_124
; %bb.79:
	ds_read_b128 v[14:17], v42 offset:2
	v_mov_b32_e32 v18, s78
	v_cmp_eq_u16_sdwa vcc, v10, v11 src0_sel:WORD_1 src1_sel:DWORD
	v_cmp_ne_u16_sdwa s[10:11], v10, v11 src0_sel:WORD_1 src1_sel:DWORD
	v_or_b32_e32 v19, 2, v43
	s_waitcnt lgkmcnt(0)
	v_cndmask_b32_e32 v18, v18, v14, vcc
	v_and_b32_e32 v18, 0xffff, v18
	v_cndmask_b32_e64 v10, 0, 1, s[10:11]
	v_lshl_or_b32 v18, v10, 16, v18
	v_cmp_gt_u32_e32 vcc, s59, v19
	s_mov_b64 s[14:15], 0
	v_mov_b32_e32 v25, 0
	v_mov_b32_e32 v19, 0
	;; [unrolled: 1-line block ×21, first 2 shown]
                                        ; implicit-def: $sgpr12_sgpr13
                                        ; implicit-def: $vgpr41
	s_and_saveexec_b64 s[10:11], vcc
	s_cbranch_execz .LBB589_123
; %bb.80:
	v_lshrrev_b32_e32 v10, 16, v14
	v_mov_b32_e32 v19, s78
	v_cmp_eq_u16_sdwa vcc, v11, v11 src0_sel:DWORD src1_sel:WORD_1
	v_cmp_ne_u16_sdwa s[12:13], v11, v11 src0_sel:DWORD src1_sel:WORD_1
	v_or_b32_e32 v14, 3, v43
	v_cndmask_b32_e32 v10, v19, v10, vcc
	v_and_b32_e32 v10, 0xffff, v10
	v_cndmask_b32_e64 v19, 0, 1, s[12:13]
	v_lshl_or_b32 v25, v19, 16, v10
	v_cmp_gt_u32_e32 vcc, s59, v14
	v_mov_b32_e32 v19, 0
	v_mov_b32_e32 v27, 0
	;; [unrolled: 1-line block ×20, first 2 shown]
                                        ; implicit-def: $sgpr16_sgpr17
                                        ; implicit-def: $vgpr41
	s_and_saveexec_b64 s[12:13], vcc
	s_cbranch_execz .LBB589_122
; %bb.81:
	v_mov_b32_e32 v14, s78
	v_cmp_eq_u16_sdwa vcc, v11, v12 src0_sel:WORD_1 src1_sel:DWORD
	v_cmp_ne_u16_sdwa s[14:15], v11, v12 src0_sel:WORD_1 src1_sel:DWORD
	v_or_b32_e32 v10, 4, v43
	v_cndmask_b32_e32 v14, v14, v15, vcc
	v_and_b32_e32 v14, 0xffff, v14
	v_cndmask_b32_e64 v11, 0, 1, s[14:15]
	v_lshl_or_b32 v19, v11, 16, v14
	v_cmp_gt_u32_e32 vcc, s59, v10
	s_mov_b64 s[18:19], 0
	v_mov_b32_e32 v27, 0
	v_mov_b32_e32 v20, 0
	;; [unrolled: 1-line block ×19, first 2 shown]
                                        ; implicit-def: $sgpr16_sgpr17
                                        ; implicit-def: $vgpr41
	s_and_saveexec_b64 s[14:15], vcc
	s_cbranch_execz .LBB589_121
; %bb.82:
	v_lshrrev_b32_e32 v10, 16, v15
	v_mov_b32_e32 v14, s78
	v_cmp_eq_u16_sdwa vcc, v12, v12 src0_sel:DWORD src1_sel:WORD_1
	v_cmp_ne_u16_sdwa s[16:17], v12, v12 src0_sel:DWORD src1_sel:WORD_1
	v_or_b32_e32 v11, 5, v43
	v_cndmask_b32_e32 v10, v14, v10, vcc
	v_and_b32_e32 v10, 0xffff, v10
	v_cndmask_b32_e64 v14, 0, 1, s[16:17]
	v_lshl_or_b32 v27, v14, 16, v10
	v_cmp_gt_u32_e32 vcc, s59, v11
	v_mov_b32_e32 v20, 0
	v_mov_b32_e32 v28, 0
	;; [unrolled: 1-line block ×18, first 2 shown]
                                        ; implicit-def: $sgpr20_sgpr21
                                        ; implicit-def: $vgpr41
	s_and_saveexec_b64 s[16:17], vcc
	s_cbranch_execz .LBB589_120
; %bb.83:
	v_mov_b32_e32 v11, s78
	v_cmp_eq_u16_sdwa vcc, v12, v13 src0_sel:WORD_1 src1_sel:DWORD
	v_cmp_ne_u16_sdwa s[18:19], v12, v13 src0_sel:WORD_1 src1_sel:DWORD
	v_or_b32_e32 v10, 6, v43
	v_cndmask_b32_e32 v11, v11, v16, vcc
	v_and_b32_e32 v11, 0xffff, v11
	v_cndmask_b32_e64 v12, 0, 1, s[18:19]
	v_lshl_or_b32 v20, v12, 16, v11
	v_cmp_gt_u32_e32 vcc, s59, v10
	s_mov_b64 s[22:23], 0
	v_mov_b32_e32 v28, 0
	v_mov_b32_e32 v21, 0
	;; [unrolled: 1-line block ×17, first 2 shown]
                                        ; implicit-def: $sgpr20_sgpr21
                                        ; implicit-def: $vgpr41
	s_and_saveexec_b64 s[18:19], vcc
	s_cbranch_execz .LBB589_119
; %bb.84:
	v_lshrrev_b32_e32 v10, 16, v16
	v_mov_b32_e32 v12, s78
	v_cmp_eq_u16_sdwa vcc, v13, v13 src0_sel:DWORD src1_sel:WORD_1
	v_cmp_ne_u16_sdwa s[20:21], v13, v13 src0_sel:DWORD src1_sel:WORD_1
	v_or_b32_e32 v11, 7, v43
	v_cndmask_b32_e32 v10, v12, v10, vcc
	v_and_b32_e32 v10, 0xffff, v10
	v_cndmask_b32_e64 v12, 0, 1, s[20:21]
	v_lshl_or_b32 v28, v12, 16, v10
	v_cmp_gt_u32_e32 vcc, s59, v11
	v_mov_b32_e32 v21, 0
	v_mov_b32_e32 v29, 0
	;; [unrolled: 1-line block ×16, first 2 shown]
                                        ; implicit-def: $sgpr24_sgpr25
                                        ; implicit-def: $vgpr41
	s_and_saveexec_b64 s[20:21], vcc
	s_cbranch_execz .LBB589_118
; %bb.85:
	v_mov_b32_e32 v11, s78
	v_cmp_eq_u16_sdwa vcc, v13, v6 src0_sel:WORD_1 src1_sel:DWORD
	v_cmp_ne_u16_sdwa s[22:23], v13, v6 src0_sel:WORD_1 src1_sel:DWORD
	v_add_u32_e32 v10, 8, v43
	v_cndmask_b32_e32 v11, v11, v17, vcc
	v_and_b32_e32 v11, 0xffff, v11
	v_cndmask_b32_e64 v12, 0, 1, s[22:23]
	v_lshl_or_b32 v21, v12, 16, v11
	v_cmp_gt_u32_e32 vcc, s59, v10
	s_mov_b64 s[26:27], 0
	v_mov_b32_e32 v29, 0
	v_mov_b32_e32 v30, 0
	;; [unrolled: 1-line block ×15, first 2 shown]
                                        ; implicit-def: $sgpr24_sgpr25
                                        ; implicit-def: $vgpr41
	s_and_saveexec_b64 s[22:23], vcc
	s_cbranch_execz .LBB589_117
; %bb.86:
	v_lshrrev_b32_e32 v10, 16, v17
	v_mov_b32_e32 v12, s78
	v_cmp_eq_u16_sdwa vcc, v6, v6 src0_sel:DWORD src1_sel:WORD_1
	v_cmp_ne_u16_sdwa s[24:25], v6, v6 src0_sel:DWORD src1_sel:WORD_1
	v_add_u32_e32 v11, 9, v43
	v_cndmask_b32_e32 v10, v12, v10, vcc
	v_and_b32_e32 v10, 0xffff, v10
	v_cndmask_b32_e64 v12, 0, 1, s[24:25]
	v_lshl_or_b32 v29, v12, 16, v10
	v_cmp_gt_u32_e32 vcc, s59, v11
	v_mov_b32_e32 v30, 0
	v_mov_b32_e32 v31, 0
	;; [unrolled: 1-line block ×14, first 2 shown]
                                        ; implicit-def: $sgpr28_sgpr29
                                        ; implicit-def: $vgpr41
	s_and_saveexec_b64 s[24:25], vcc
	s_cbranch_execz .LBB589_116
; %bb.87:
	ds_read_b128 v[10:13], v42 offset:18
	v_mov_b32_e32 v15, s78
	v_cmp_eq_u16_sdwa vcc, v6, v7 src0_sel:WORD_1 src1_sel:DWORD
	v_cmp_ne_u16_sdwa s[26:27], v6, v7 src0_sel:WORD_1 src1_sel:DWORD
	v_add_u32_e32 v14, 10, v43
	s_waitcnt lgkmcnt(0)
	v_cndmask_b32_e32 v15, v15, v10, vcc
	v_and_b32_e32 v15, 0xffff, v15
	v_cndmask_b32_e64 v6, 0, 1, s[26:27]
	v_lshl_or_b32 v30, v6, 16, v15
	v_cmp_gt_u32_e32 vcc, s59, v14
	s_mov_b64 s[30:31], 0
	v_mov_b32_e32 v31, 0
	v_mov_b32_e32 v32, 0
	;; [unrolled: 1-line block ×13, first 2 shown]
                                        ; implicit-def: $sgpr28_sgpr29
                                        ; implicit-def: $vgpr41
	s_and_saveexec_b64 s[26:27], vcc
	s_cbranch_execz .LBB589_115
; %bb.88:
	v_lshrrev_b32_e32 v6, 16, v10
	v_mov_b32_e32 v14, s78
	v_cmp_eq_u16_sdwa vcc, v7, v7 src0_sel:DWORD src1_sel:WORD_1
	v_cmp_ne_u16_sdwa s[28:29], v7, v7 src0_sel:DWORD src1_sel:WORD_1
	v_add_u32_e32 v10, 11, v43
	v_cndmask_b32_e32 v6, v14, v6, vcc
	v_and_b32_e32 v6, 0xffff, v6
	v_cndmask_b32_e64 v14, 0, 1, s[28:29]
	v_lshl_or_b32 v31, v14, 16, v6
	v_cmp_gt_u32_e32 vcc, s59, v10
	v_mov_b32_e32 v32, 0
	v_mov_b32_e32 v33, 0
	;; [unrolled: 1-line block ×12, first 2 shown]
                                        ; implicit-def: $sgpr34_sgpr35
                                        ; implicit-def: $vgpr41
	s_and_saveexec_b64 s[28:29], vcc
	s_cbranch_execz .LBB589_114
; %bb.89:
	v_mov_b32_e32 v10, s78
	v_cmp_eq_u16_sdwa vcc, v7, v8 src0_sel:WORD_1 src1_sel:DWORD
	v_cmp_ne_u16_sdwa s[30:31], v7, v8 src0_sel:WORD_1 src1_sel:DWORD
	v_add_u32_e32 v6, 12, v43
	v_cndmask_b32_e32 v10, v10, v11, vcc
	v_and_b32_e32 v10, 0xffff, v10
	v_cndmask_b32_e64 v7, 0, 1, s[30:31]
	v_lshl_or_b32 v32, v7, 16, v10
	v_cmp_gt_u32_e32 vcc, s59, v6
	s_mov_b64 s[36:37], 0
	v_mov_b32_e32 v33, 0
	v_mov_b32_e32 v34, 0
	;; [unrolled: 1-line block ×11, first 2 shown]
                                        ; implicit-def: $sgpr34_sgpr35
                                        ; implicit-def: $vgpr41
	s_and_saveexec_b64 s[30:31], vcc
	s_cbranch_execz .LBB589_113
; %bb.90:
	v_lshrrev_b32_e32 v6, 16, v11
	v_mov_b32_e32 v10, s78
	v_cmp_eq_u16_sdwa vcc, v8, v8 src0_sel:DWORD src1_sel:WORD_1
	v_cmp_ne_u16_sdwa s[34:35], v8, v8 src0_sel:DWORD src1_sel:WORD_1
	v_add_u32_e32 v7, 13, v43
	v_cndmask_b32_e32 v6, v10, v6, vcc
	v_and_b32_e32 v6, 0xffff, v6
	v_cndmask_b32_e64 v10, 0, 1, s[34:35]
	v_lshl_or_b32 v33, v10, 16, v6
	v_cmp_gt_u32_e32 vcc, s59, v7
	v_mov_b32_e32 v34, 0
	v_mov_b32_e32 v35, 0
	;; [unrolled: 1-line block ×10, first 2 shown]
                                        ; implicit-def: $sgpr38_sgpr39
                                        ; implicit-def: $vgpr41
	s_and_saveexec_b64 s[34:35], vcc
	s_cbranch_execz .LBB589_112
; %bb.91:
	v_mov_b32_e32 v7, s78
	v_cmp_eq_u16_sdwa vcc, v8, v9 src0_sel:WORD_1 src1_sel:DWORD
	v_cmp_ne_u16_sdwa s[36:37], v8, v9 src0_sel:WORD_1 src1_sel:DWORD
	v_add_u32_e32 v6, 14, v43
	v_cndmask_b32_e32 v7, v7, v12, vcc
	v_and_b32_e32 v7, 0xffff, v7
	v_cndmask_b32_e64 v8, 0, 1, s[36:37]
	v_lshl_or_b32 v34, v8, 16, v7
	v_cmp_gt_u32_e32 vcc, s59, v6
	s_mov_b64 s[40:41], 0
	v_mov_b32_e32 v35, 0
	v_mov_b32_e32 v36, 0
	;; [unrolled: 1-line block ×9, first 2 shown]
                                        ; implicit-def: $sgpr38_sgpr39
                                        ; implicit-def: $vgpr41
	s_and_saveexec_b64 s[36:37], vcc
	s_cbranch_execz .LBB589_111
; %bb.92:
	v_lshrrev_b32_e32 v6, 16, v12
	v_mov_b32_e32 v8, s78
	v_cmp_eq_u16_sdwa vcc, v9, v9 src0_sel:DWORD src1_sel:WORD_1
	v_cmp_ne_u16_sdwa s[38:39], v9, v9 src0_sel:DWORD src1_sel:WORD_1
	v_add_u32_e32 v7, 15, v43
	v_cndmask_b32_e32 v6, v8, v6, vcc
	v_and_b32_e32 v6, 0xffff, v6
	v_cndmask_b32_e64 v8, 0, 1, s[38:39]
	v_lshl_or_b32 v35, v8, 16, v6
	v_cmp_gt_u32_e32 vcc, s59, v7
	v_mov_b32_e32 v36, 0
	v_mov_b32_e32 v37, 0
	;; [unrolled: 1-line block ×8, first 2 shown]
                                        ; implicit-def: $sgpr42_sgpr43
                                        ; implicit-def: $vgpr41
	s_and_saveexec_b64 s[38:39], vcc
	s_cbranch_execz .LBB589_110
; %bb.93:
	v_mov_b32_e32 v7, s78
	v_cmp_eq_u16_sdwa vcc, v9, v2 src0_sel:WORD_1 src1_sel:DWORD
	v_cmp_ne_u16_sdwa s[40:41], v9, v2 src0_sel:WORD_1 src1_sel:DWORD
	v_add_u32_e32 v6, 16, v43
	v_cndmask_b32_e32 v7, v7, v13, vcc
	v_and_b32_e32 v7, 0xffff, v7
	v_cndmask_b32_e64 v8, 0, 1, s[40:41]
	v_lshl_or_b32 v36, v8, 16, v7
	v_cmp_gt_u32_e32 vcc, s59, v6
	s_mov_b64 s[44:45], 0
	v_mov_b32_e32 v37, 0
	v_mov_b32_e32 v22, 0
	;; [unrolled: 1-line block ×7, first 2 shown]
                                        ; implicit-def: $sgpr42_sgpr43
                                        ; implicit-def: $vgpr41
	s_and_saveexec_b64 s[40:41], vcc
	s_cbranch_execz .LBB589_109
; %bb.94:
	v_lshrrev_b32_e32 v6, 16, v13
	v_mov_b32_e32 v8, s78
	v_cmp_eq_u16_sdwa vcc, v2, v2 src0_sel:DWORD src1_sel:WORD_1
	v_cmp_ne_u16_sdwa s[42:43], v2, v2 src0_sel:DWORD src1_sel:WORD_1
	v_add_u32_e32 v7, 17, v43
	v_cndmask_b32_e32 v6, v8, v6, vcc
	v_and_b32_e32 v6, 0xffff, v6
	v_cndmask_b32_e64 v8, 0, 1, s[42:43]
	v_lshl_or_b32 v37, v8, 16, v6
	v_cmp_gt_u32_e32 vcc, s59, v7
	v_mov_b32_e32 v22, 0
	v_mov_b32_e32 v38, 0
	;; [unrolled: 1-line block ×6, first 2 shown]
                                        ; implicit-def: $sgpr46_sgpr47
                                        ; implicit-def: $vgpr41
	s_and_saveexec_b64 s[42:43], vcc
	s_cbranch_execz .LBB589_108
; %bb.95:
	ds_read_b96 v[6:8], v42 offset:34
	v_mov_b32_e32 v10, s78
	v_cmp_eq_u16_sdwa vcc, v2, v3 src0_sel:WORD_1 src1_sel:DWORD
	v_cmp_ne_u16_sdwa s[44:45], v2, v3 src0_sel:WORD_1 src1_sel:DWORD
	v_add_u32_e32 v9, 18, v43
	s_waitcnt lgkmcnt(0)
	v_cndmask_b32_e32 v10, v10, v6, vcc
	v_and_b32_e32 v10, 0xffff, v10
	v_cndmask_b32_e64 v2, 0, 1, s[44:45]
	v_lshl_or_b32 v22, v2, 16, v10
	v_cmp_gt_u32_e32 vcc, s59, v9
	s_mov_b64 s[48:49], 0
	v_mov_b32_e32 v38, 0
	v_mov_b32_e32 v23, 0
	;; [unrolled: 1-line block ×5, first 2 shown]
                                        ; implicit-def: $sgpr46_sgpr47
                                        ; implicit-def: $vgpr41
	s_and_saveexec_b64 s[44:45], vcc
	s_cbranch_execz .LBB589_107
; %bb.96:
	v_lshrrev_b32_e32 v2, 16, v6
	v_mov_b32_e32 v9, s78
	v_cmp_eq_u16_sdwa vcc, v3, v3 src0_sel:DWORD src1_sel:WORD_1
	v_cmp_ne_u16_sdwa s[46:47], v3, v3 src0_sel:DWORD src1_sel:WORD_1
	v_add_u32_e32 v6, 19, v43
	v_cndmask_b32_e32 v2, v9, v2, vcc
	v_and_b32_e32 v2, 0xffff, v2
	v_cndmask_b32_e64 v9, 0, 1, s[46:47]
	v_lshl_or_b32 v38, v9, 16, v2
	v_cmp_gt_u32_e32 vcc, s59, v6
	v_mov_b32_e32 v23, 0
	v_mov_b32_e32 v39, 0
	;; [unrolled: 1-line block ×4, first 2 shown]
                                        ; implicit-def: $sgpr50_sgpr51
                                        ; implicit-def: $vgpr41
	s_and_saveexec_b64 s[46:47], vcc
	s_cbranch_execz .LBB589_106
; %bb.97:
	v_mov_b32_e32 v6, s78
	v_cmp_eq_u16_sdwa vcc, v3, v4 src0_sel:WORD_1 src1_sel:DWORD
	v_cmp_ne_u16_sdwa s[48:49], v3, v4 src0_sel:WORD_1 src1_sel:DWORD
	v_add_u32_e32 v2, 20, v43
	v_cndmask_b32_e32 v6, v6, v7, vcc
	v_and_b32_e32 v6, 0xffff, v6
	v_cndmask_b32_e64 v3, 0, 1, s[48:49]
	v_lshl_or_b32 v23, v3, 16, v6
	v_cmp_gt_u32_e32 vcc, s59, v2
	s_mov_b64 s[52:53], 0
	v_mov_b32_e32 v39, 0
	v_mov_b32_e32 v24, 0
	;; [unrolled: 1-line block ×3, first 2 shown]
                                        ; implicit-def: $sgpr50_sgpr51
                                        ; implicit-def: $vgpr41
	s_and_saveexec_b64 s[48:49], vcc
	s_cbranch_execz .LBB589_105
; %bb.98:
	v_lshrrev_b32_e32 v2, 16, v7
	v_mov_b32_e32 v6, s78
	v_cmp_eq_u16_sdwa vcc, v4, v4 src0_sel:DWORD src1_sel:WORD_1
	v_cmp_ne_u16_sdwa s[50:51], v4, v4 src0_sel:DWORD src1_sel:WORD_1
	v_add_u32_e32 v3, 21, v43
	v_cndmask_b32_e32 v2, v6, v2, vcc
	v_and_b32_e32 v2, 0xffff, v2
	v_cndmask_b32_e64 v6, 0, 1, s[50:51]
	v_lshl_or_b32 v39, v6, 16, v2
	v_cmp_gt_u32_e32 vcc, s59, v3
	v_mov_b32_e32 v24, 0
	v_mov_b32_e32 v40, 0
                                        ; implicit-def: $sgpr60_sgpr61
                                        ; implicit-def: $vgpr41
	s_and_saveexec_b64 s[50:51], vcc
	s_cbranch_execz .LBB589_104
; %bb.99:
	v_mov_b32_e32 v3, s78
	v_cmp_eq_u16_sdwa vcc, v4, v5 src0_sel:WORD_1 src1_sel:DWORD
	v_cmp_ne_u16_sdwa s[52:53], v4, v5 src0_sel:WORD_1 src1_sel:DWORD
	v_add_u32_e32 v2, 22, v43
	v_cndmask_b32_e32 v3, v3, v8, vcc
	v_and_b32_e32 v3, 0xffff, v3
	v_cndmask_b32_e64 v4, 0, 1, s[52:53]
	v_lshl_or_b32 v24, v4, 16, v3
	v_cmp_gt_u32_e32 vcc, s59, v2
	s_mov_b64 s[74:75], 0
	v_mov_b32_e32 v40, 0
                                        ; implicit-def: $sgpr76_sgpr77
                                        ; implicit-def: $vgpr41
	s_and_saveexec_b64 s[52:53], vcc
	s_cbranch_execz .LBB589_103
; %bb.100:
	v_lshrrev_b32_e32 v2, 16, v8
	v_mov_b32_e32 v4, s78
	v_cmp_eq_u16_sdwa vcc, v5, v5 src0_sel:DWORD src1_sel:WORD_1
	v_cmp_ne_u16_sdwa s[60:61], v5, v5 src0_sel:DWORD src1_sel:WORD_1
	v_add_u32_e32 v3, 23, v43
	v_cndmask_b32_e32 v2, v4, v2, vcc
	v_and_b32_e32 v2, 0xffff, v2
	v_cndmask_b32_e64 v4, 0, 1, s[60:61]
	v_lshl_or_b32 v40, v4, 16, v2
	v_cmp_gt_u32_e32 vcc, s59, v3
	s_mov_b64 s[60:61], 0
                                        ; implicit-def: $sgpr74_sgpr75
                                        ; implicit-def: $vgpr41
	s_and_saveexec_b64 s[76:77], vcc
	s_xor_b64 s[76:77], exec, s[76:77]
	s_cbranch_execz .LBB589_102
; %bb.101:
	ds_read_u16 v2, v42 offset:46
	v_mov_b32_e32 v3, s78
	v_cmp_ne_u16_sdwa vcc, v5, v26 src0_sel:WORD_1 src1_sel:DWORD
	s_mov_b64 s[60:61], exec
	s_and_b64 s[74:75], vcc, exec
	s_waitcnt lgkmcnt(0)
	v_cndmask_b32_e32 v41, v2, v3, vcc
.LBB589_102:
	s_or_b64 exec, exec, s[76:77]
	s_and_b64 s[76:77], s[74:75], exec
	s_and_b64 s[74:75], s[60:61], exec
.LBB589_103:
	s_or_b64 exec, exec, s[52:53]
	s_and_b64 s[60:61], s[76:77], exec
	s_and_b64 s[52:53], s[74:75], exec
.LBB589_104:
	s_or_b64 exec, exec, s[50:51]
	s_and_b64 s[50:51], s[60:61], exec
	s_and_b64 s[52:53], s[52:53], exec
.LBB589_105:
	s_or_b64 exec, exec, s[48:49]
	s_and_b64 s[50:51], s[50:51], exec
	s_and_b64 s[48:49], s[52:53], exec
.LBB589_106:
	s_or_b64 exec, exec, s[46:47]
	s_and_b64 s[46:47], s[50:51], exec
	s_and_b64 s[48:49], s[48:49], exec
.LBB589_107:
	s_or_b64 exec, exec, s[44:45]
	s_and_b64 s[46:47], s[46:47], exec
	s_and_b64 s[44:45], s[48:49], exec
.LBB589_108:
	s_or_b64 exec, exec, s[42:43]
	s_and_b64 s[42:43], s[46:47], exec
	s_and_b64 s[44:45], s[44:45], exec
.LBB589_109:
	s_or_b64 exec, exec, s[40:41]
	s_and_b64 s[42:43], s[42:43], exec
	s_and_b64 s[40:41], s[44:45], exec
.LBB589_110:
	s_or_b64 exec, exec, s[38:39]
	s_and_b64 s[38:39], s[42:43], exec
	s_and_b64 s[40:41], s[40:41], exec
.LBB589_111:
	s_or_b64 exec, exec, s[36:37]
	s_and_b64 s[38:39], s[38:39], exec
	s_and_b64 s[36:37], s[40:41], exec
.LBB589_112:
	s_or_b64 exec, exec, s[34:35]
	s_and_b64 s[34:35], s[38:39], exec
	s_and_b64 s[36:37], s[36:37], exec
.LBB589_113:
	s_or_b64 exec, exec, s[30:31]
	s_and_b64 s[34:35], s[34:35], exec
	s_and_b64 s[30:31], s[36:37], exec
.LBB589_114:
	s_or_b64 exec, exec, s[28:29]
	s_and_b64 s[28:29], s[34:35], exec
	s_and_b64 s[30:31], s[30:31], exec
.LBB589_115:
	s_or_b64 exec, exec, s[26:27]
	s_and_b64 s[28:29], s[28:29], exec
	s_and_b64 s[26:27], s[30:31], exec
.LBB589_116:
	s_or_b64 exec, exec, s[24:25]
	s_and_b64 s[24:25], s[28:29], exec
	s_and_b64 s[26:27], s[26:27], exec
.LBB589_117:
	s_or_b64 exec, exec, s[22:23]
	s_and_b64 s[24:25], s[24:25], exec
	s_and_b64 s[22:23], s[26:27], exec
.LBB589_118:
	s_or_b64 exec, exec, s[20:21]
	s_and_b64 s[20:21], s[24:25], exec
	s_and_b64 s[22:23], s[22:23], exec
.LBB589_119:
	s_or_b64 exec, exec, s[18:19]
	s_and_b64 s[20:21], s[20:21], exec
	s_and_b64 s[18:19], s[22:23], exec
.LBB589_120:
	s_or_b64 exec, exec, s[16:17]
	s_and_b64 s[16:17], s[20:21], exec
	s_and_b64 s[18:19], s[18:19], exec
.LBB589_121:
	s_or_b64 exec, exec, s[14:15]
	s_and_b64 s[16:17], s[16:17], exec
	s_and_b64 s[14:15], s[18:19], exec
.LBB589_122:
	s_or_b64 exec, exec, s[12:13]
	s_and_b64 s[12:13], s[16:17], exec
	s_and_b64 s[14:15], s[14:15], exec
.LBB589_123:
	s_or_b64 exec, exec, s[10:11]
	s_and_b64 s[12:13], s[12:13], exec
	s_and_b64 s[10:11], s[14:15], exec
.LBB589_124:
	s_or_b64 exec, exec, s[8:9]
	s_and_b64 s[8:9], s[12:13], exec
	s_and_b64 s[10:11], s[10:11], exec
.LBB589_125:
	s_or_b64 exec, exec, s[6:7]
	s_and_b64 vcc, exec, s[4:5]
	v_lshlrev_b32_e32 v26, 1, v0
	s_cbranch_vccnz .LBB589_127
	s_branch .LBB589_132
.LBB589_126:
	s_mov_b64 s[10:11], 0
                                        ; implicit-def: $sgpr8_sgpr9
                                        ; implicit-def: $vgpr41
                                        ; implicit-def: $vgpr1
                                        ; implicit-def: $vgpr18
                                        ; implicit-def: $vgpr25
                                        ; implicit-def: $vgpr19
                                        ; implicit-def: $vgpr27
                                        ; implicit-def: $vgpr20
                                        ; implicit-def: $vgpr28
                                        ; implicit-def: $vgpr21
                                        ; implicit-def: $vgpr29
                                        ; implicit-def: $vgpr30
                                        ; implicit-def: $vgpr31
                                        ; implicit-def: $vgpr32
                                        ; implicit-def: $vgpr33
                                        ; implicit-def: $vgpr34
                                        ; implicit-def: $vgpr35
                                        ; implicit-def: $vgpr36
                                        ; implicit-def: $vgpr37
                                        ; implicit-def: $vgpr22
                                        ; implicit-def: $vgpr38
                                        ; implicit-def: $vgpr23
                                        ; implicit-def: $vgpr39
                                        ; implicit-def: $vgpr24
                                        ; implicit-def: $vgpr40
                                        ; implicit-def: $sgpr3
	s_and_b64 vcc, exec, s[4:5]
	v_lshlrev_b32_e32 v26, 1, v0
	s_cbranch_vccz .LBB589_132
.LBB589_127:
	v_mov_b32_e32 v27, 0
	v_lshl_add_u64 v[2:3], s[72:73], 0, v[26:27]
	v_add_co_u32_e32 v4, vcc, 0x1000, v2
	flat_load_ushort v1, v[2:3]
	flat_load_ushort v6, v[2:3] offset:512
	flat_load_ushort v7, v[2:3] offset:1024
	;; [unrolled: 1-line block ×7, first 2 shown]
	v_addc_co_u32_e32 v5, vcc, 0, v3, vcc
	v_add_co_u32_e32 v2, vcc, 0x2000, v2
	flat_load_ushort v13, v[4:5]
	flat_load_ushort v14, v[4:5] offset:512
	flat_load_ushort v15, v[4:5] offset:1024
	;; [unrolled: 1-line block ×7, first 2 shown]
	v_addc_co_u32_e32 v3, vcc, 0, v3, vcc
	flat_load_ushort v4, v[2:3]
	flat_load_ushort v5, v[2:3] offset:512
	flat_load_ushort v21, v[2:3] offset:1024
	;; [unrolled: 1-line block ×7, first 2 shown]
	v_mov_b32_e32 v2, s72
	v_mov_b32_e32 v3, s73
	v_add_co_u32_e32 v2, vcc, 0x3000, v2
	s_movk_i32 s4, 0xffd2
	s_nop 0
	v_addc_co_u32_e32 v3, vcc, 0, v3, vcc
	s_movk_i32 s6, 0x1000
	s_movk_i32 s3, 0x2000
	s_waitcnt vmcnt(0) lgkmcnt(0)
	ds_write_b16 v26, v1
	ds_write_b16 v26, v6 offset:512
	ds_write_b16 v26, v7 offset:1024
	;; [unrolled: 1-line block ×23, first 2 shown]
	s_waitcnt lgkmcnt(0)
	s_barrier
	flat_load_ushort v41, v[2:3]
	v_mad_u32_u24 v1, v0, 46, v26
	ds_read_b128 v[10:13], v1
	ds_read_b128 v[6:9], v1 offset:16
	ds_read_b128 v[2:5], v1 offset:32
	v_mad_i32_i24 v14, v0, s4, v1
	s_movk_i32 s4, 0xff
	v_cmp_ne_u32_e32 vcc, s4, v0
	s_waitcnt lgkmcnt(0)
	ds_write_b16 v14, v10 offset:12800
	s_waitcnt lgkmcnt(0)
	s_barrier
	s_and_saveexec_b64 s[4:5], vcc
	s_cbranch_execz .LBB589_129
; %bb.128:
	s_waitcnt vmcnt(0)
	ds_read_u16 v41, v26 offset:12802
.LBB589_129:
	s_or_b64 exec, exec, s[4:5]
	v_lshl_add_u64 v[14:15], s[70:71], 0, v[26:27]
	v_add_co_u32_e32 v16, vcc, s6, v14
	s_waitcnt lgkmcnt(0)
	s_nop 0
	v_addc_co_u32_e32 v17, vcc, 0, v15, vcc
	s_barrier
	flat_load_ushort v18, v[14:15]
	flat_load_ushort v19, v[14:15] offset:512
	flat_load_ushort v20, v[14:15] offset:1024
	;; [unrolled: 1-line block ×7, first 2 shown]
	v_add_co_u32_e32 v14, vcc, s3, v14
	flat_load_ushort v28, v[16:17]
	flat_load_ushort v29, v[16:17] offset:512
	flat_load_ushort v30, v[16:17] offset:1024
	;; [unrolled: 1-line block ×7, first 2 shown]
	v_addc_co_u32_e32 v15, vcc, 0, v15, vcc
	flat_load_ushort v16, v[14:15]
	flat_load_ushort v17, v[14:15] offset:512
	flat_load_ushort v36, v[14:15] offset:1024
	;; [unrolled: 1-line block ×7, first 2 shown]
	v_cmp_eq_u16_sdwa s[6:7], v10, v10 src0_sel:DWORD src1_sel:WORD_1
	s_waitcnt vmcnt(0) lgkmcnt(0)
	ds_write_b16 v26, v18
	ds_write_b16 v26, v19 offset:512
	ds_write_b16 v26, v20 offset:1024
	;; [unrolled: 1-line block ×23, first 2 shown]
	s_waitcnt lgkmcnt(0)
	s_barrier
	ds_read_b128 v[18:21], v1 offset:2
	ds_read_b128 v[14:17], v1 offset:18
	ds_read_b96 v[22:24], v1 offset:34
	ds_read_u16 v42, v1 offset:46
	v_mov_b32_e32 v25, 0x10000
	v_mov_b32_e32 v28, s78
	s_and_saveexec_b64 s[4:5], s[6:7]
	s_cbranch_execz .LBB589_131
; %bb.130:
	ds_read_u16 v28, v1
	v_mov_b32_e32 v25, v27
.LBB589_131:
	s_or_b64 exec, exec, s[4:5]
	v_mov_b32_e32 v43, s78
	v_cmp_eq_u16_sdwa vcc, v10, v11 src0_sel:WORD_1 src1_sel:DWORD
	s_waitcnt lgkmcnt(3)
	v_lshrrev_b32_e32 v27, 16, v18
	v_cmp_ne_u16_sdwa s[4:5], v10, v11 src0_sel:WORD_1 src1_sel:DWORD
	v_cndmask_b32_e32 v18, v43, v18, vcc
	v_and_b32_e32 v18, 0xffff, v18
	v_cndmask_b32_e64 v10, 0, 1, s[4:5]
	v_cmp_eq_u16_sdwa vcc, v11, v11 src0_sel:DWORD src1_sel:WORD_1
	v_lshl_or_b32 v18, v10, 16, v18
	v_cmp_ne_u16_sdwa s[4:5], v11, v11 src0_sel:DWORD src1_sel:WORD_1
	v_cndmask_b32_e32 v10, v43, v27, vcc
	s_waitcnt lgkmcnt(0)
	v_or_b32_sdwa v1, v25, v28 dst_sel:DWORD dst_unused:UNUSED_PAD src0_sel:DWORD src1_sel:WORD_0
	v_and_b32_e32 v10, 0xffff, v10
	v_cndmask_b32_e64 v25, 0, 1, s[4:5]
	v_cmp_eq_u16_sdwa vcc, v11, v12 src0_sel:WORD_1 src1_sel:DWORD
	v_lshl_or_b32 v25, v25, 16, v10
	v_cmp_ne_u16_sdwa s[4:5], v11, v12 src0_sel:WORD_1 src1_sel:DWORD
	v_cndmask_b32_e32 v10, v43, v19, vcc
	v_lshrrev_b32_e32 v29, 16, v19
	v_and_b32_e32 v10, 0xffff, v10
	v_cndmask_b32_e64 v11, 0, 1, s[4:5]
	v_cmp_eq_u16_sdwa vcc, v12, v12 src0_sel:DWORD src1_sel:WORD_1
	v_lshl_or_b32 v19, v11, 16, v10
	v_cmp_ne_u16_sdwa s[4:5], v12, v12 src0_sel:DWORD src1_sel:WORD_1
	v_cndmask_b32_e32 v10, v43, v29, vcc
	v_and_b32_e32 v10, 0xffff, v10
	v_cndmask_b32_e64 v11, 0, 1, s[4:5]
	v_cmp_eq_u16_sdwa vcc, v12, v13 src0_sel:WORD_1 src1_sel:DWORD
	v_lshl_or_b32 v27, v11, 16, v10
	v_cmp_ne_u16_sdwa s[4:5], v12, v13 src0_sel:WORD_1 src1_sel:DWORD
	v_cndmask_b32_e32 v10, v43, v20, vcc
	v_lshrrev_b32_e32 v30, 16, v20
	v_and_b32_e32 v10, 0xffff, v10
	v_cndmask_b32_e64 v11, 0, 1, s[4:5]
	v_cmp_eq_u16_sdwa vcc, v13, v13 src0_sel:DWORD src1_sel:WORD_1
	v_lshl_or_b32 v20, v11, 16, v10
	v_cmp_ne_u16_sdwa s[4:5], v13, v13 src0_sel:DWORD src1_sel:WORD_1
	v_cndmask_b32_e32 v10, v43, v30, vcc
	;; [unrolled: 13-line block ×10, first 2 shown]
	v_and_b32_e32 v2, 0xffff, v2
	v_cndmask_b32_e64 v3, 0, 1, s[4:5]
	v_cmp_ne_u16_sdwa s[8:9], v5, v41 src0_sel:WORD_1 src1_sel:DWORD
	v_lshl_or_b32 v40, v3, 16, v2
	s_mov_b64 s[10:11], -1
	v_cndmask_b32_e64 v41, v42, v43, s[8:9]
                                        ; implicit-def: $sgpr3
.LBB589_132:
	v_mov_b32_e32 v12, s3
	s_and_saveexec_b64 s[4:5], s[10:11]
; %bb.133:
	v_mov_b32_e32 v2, 0x10000
	v_cndmask_b32_e64 v2, 0, v2, s[8:9]
	v_or_b32_sdwa v12, v2, v41 dst_sel:DWORD dst_unused:UNUSED_PAD src0_sel:DWORD src1_sel:WORD_0
; %bb.134:
	s_or_b64 exec, exec, s[4:5]
	v_or3_b32 v2, v12, v40, v24
	s_cmp_lg_u32 s2, 0
	v_or3_b32 v14, v2, v39, v23
	v_mbcnt_lo_u32_b32 v13, -1, 0
	s_barrier
	s_cbranch_scc0 .LBB589_227
; %bb.135:
	s_mov_b32 s3, 0x10000
	v_cmp_gt_u32_e64 s[50:51], s3, v18
	v_cmp_gt_u32_e64 s[4:5], s3, v25
	v_cmp_gt_u32_e64 s[6:7], s3, v19
	v_cndmask_b32_e64 v2, 0, v1, s[50:51]
	v_add_u16_e32 v2, v2, v18
	v_cndmask_b32_e64 v2, 0, v2, s[4:5]
	v_add_u16_e32 v2, v2, v25
	v_cndmask_b32_e64 v2, 0, v2, s[6:7]
	v_add_u16_e32 v2, v2, v19
	v_cmp_gt_u32_e64 s[8:9], s3, v27
	v_cmp_gt_u32_e64 s[10:11], s3, v20
	v_cmp_gt_u32_e64 s[12:13], s3, v28
	v_cndmask_b32_e64 v2, 0, v2, s[8:9]
	v_add_u16_e32 v2, v2, v27
	v_cndmask_b32_e64 v2, 0, v2, s[10:11]
	v_add_u16_e32 v2, v2, v20
	v_cndmask_b32_e64 v2, 0, v2, s[12:13]
	v_add_u16_e32 v2, v2, v28
	;; [unrolled: 9-line block ×5, first 2 shown]
	v_cmp_gt_u32_e64 s[34:35], s3, v37
	v_cmp_gt_u32_e64 s[36:37], s3, v22
	v_cmp_gt_u32_e64 s[38:39], s3, v38
	v_cndmask_b32_e64 v2, 0, v2, s[34:35]
	v_add_u16_e32 v2, v2, v37
	v_cndmask_b32_e64 v2, 0, v2, s[36:37]
	v_add_u16_e32 v2, v2, v22
	v_cndmask_b32_e64 v2, 0, v2, s[38:39]
	v_or3_b32 v5, v14, v38, v22
	v_add_u16_e32 v2, v2, v38
	v_cmp_gt_u32_e64 s[40:41], s3, v23
	v_or3_b32 v5, v5, v37, v36
	v_or3_b32 v5, v5, v35, v34
	v_cndmask_b32_e64 v2, 0, v2, s[40:41]
	v_add_u16_e32 v2, v2, v23
	v_cmp_gt_u32_e64 s[42:43], s3, v39
	v_or3_b32 v5, v5, v33, v32
	v_or3_b32 v5, v5, v31, v30
	v_cndmask_b32_e64 v2, 0, v2, s[42:43]
	;; [unrolled: 5-line block ×4, first 2 shown]
	v_add_u16_e32 v2, v2, v40
	v_cmp_gt_u32_e32 vcc, s3, v12
	v_and_b32_e32 v5, 0x10000, v5
	v_and_b32_e32 v3, 0x10000, v1
	v_cndmask_b32_e32 v4, 0, v2, vcc
	v_mov_b32_e32 v6, 0x10000
	v_cmp_ne_u32_e32 vcc, 0, v5
	v_add_u16_e32 v2, v4, v12
	v_add_u16_e32 v4, v4, v12
	v_cndmask_b32_e32 v6, v3, v6, vcc
	v_mbcnt_hi_u32_b32 v5, -1, v13
	v_and_b32_e32 v7, 15, v5
	v_or_b32_e32 v4, v6, v4
	v_lshrrev_b32_e32 v3, 16, v6
	v_cmp_ne_u32_e32 vcc, 0, v7
	v_mov_b32_dpp v8, v4 row_shr:1 row_mask:0xf bank_mask:0xf
	s_and_saveexec_b64 s[48:49], vcc
	s_cbranch_execz .LBB589_137
; %bb.136:
	v_cmp_eq_u32_e32 vcc, 0, v6
	v_and_b32_e32 v3, 0x10000, v6
	v_mov_b32_e32 v6, 1
	v_cndmask_b32_e32 v4, 0, v8, vcc
	v_and_b32_sdwa v6, v8, v6 dst_sel:DWORD dst_unused:UNUSED_PAD src0_sel:WORD_1 src1_sel:DWORD
	v_cmp_ne_u32_e32 vcc, 0, v3
	v_add_u16_e32 v9, v4, v2
	v_add_u16_e32 v2, v4, v2
	v_cndmask_b32_e64 v3, v6, 1, vcc
	v_lshlrev_b32_e32 v6, 16, v3
	v_or_b32_e32 v4, v6, v2
	v_mov_b32_e32 v2, v9
.LBB589_137:
	s_or_b64 exec, exec, s[48:49]
	v_lshrrev_b32_e32 v6, 16, v4
	v_mov_b32_dpp v8, v4 row_shr:2 row_mask:0xf bank_mask:0xf
	v_cmp_lt_u32_e32 vcc, 1, v7
	s_and_saveexec_b64 s[48:49], vcc
	s_cbranch_execz .LBB589_139
; %bb.138:
	v_cmp_gt_u32_e32 vcc, s3, v4
	v_and_b32_e32 v3, 0x10000, v4
	v_mov_b32_e32 v4, 1
	v_cndmask_b32_e32 v6, 0, v8, vcc
	v_and_b32_sdwa v4, v8, v4 dst_sel:DWORD dst_unused:UNUSED_PAD src0_sel:WORD_1 src1_sel:DWORD
	v_cmp_ne_u32_e32 vcc, 0, v3
	v_add_u16_e32 v9, v6, v2
	v_add_u16_e32 v2, v6, v2
	v_cndmask_b32_e64 v3, v4, 1, vcc
	v_lshlrev_b32_e32 v4, 16, v3
	v_or_b32_e32 v4, v4, v2
	v_mov_b32_e32 v6, v3
	v_mov_b32_e32 v2, v9
.LBB589_139:
	s_or_b64 exec, exec, s[48:49]
	v_mov_b32_dpp v8, v4 row_shr:4 row_mask:0xf bank_mask:0xf
	v_cmp_lt_u32_e32 vcc, 3, v7
	s_and_saveexec_b64 s[48:49], vcc
	s_cbranch_execz .LBB589_141
; %bb.140:
	v_cmp_eq_u16_e32 vcc, 0, v6
	v_and_b32_e32 v3, 1, v6
	v_mov_b32_e32 v6, 1
	v_cndmask_b32_e32 v4, 0, v8, vcc
	v_and_b32_sdwa v6, v8, v6 dst_sel:DWORD dst_unused:UNUSED_PAD src0_sel:WORD_1 src1_sel:DWORD
	v_cmp_eq_u32_e32 vcc, 1, v3
	v_add_u16_e32 v9, v4, v2
	v_add_u16_e32 v2, v4, v2
	v_cndmask_b32_e64 v3, v6, 1, vcc
	v_lshlrev_b32_e32 v6, 16, v3
	v_or_b32_e32 v4, v6, v2
	v_mov_b32_e32 v6, v3
	v_mov_b32_e32 v2, v9
.LBB589_141:
	s_or_b64 exec, exec, s[48:49]
	v_mov_b32_dpp v8, v4 row_shr:8 row_mask:0xf bank_mask:0xf
	v_cmp_lt_u32_e32 vcc, 7, v7
	s_and_saveexec_b64 s[48:49], vcc
	s_cbranch_execz .LBB589_143
; %bb.142:
	v_cmp_eq_u16_e32 vcc, 0, v6
	v_and_b32_e32 v3, 1, v6
	v_mov_b32_e32 v6, 1
	v_cndmask_b32_e32 v4, 0, v8, vcc
	v_and_b32_sdwa v6, v8, v6 dst_sel:DWORD dst_unused:UNUSED_PAD src0_sel:WORD_1 src1_sel:DWORD
	v_cmp_eq_u32_e32 vcc, 1, v3
	v_add_u16_e32 v7, v4, v2
	v_add_u16_e32 v2, v4, v2
	v_cndmask_b32_e64 v3, v6, 1, vcc
	v_lshlrev_b32_e32 v6, 16, v3
	v_or_b32_e32 v4, v6, v2
	v_mov_b32_e32 v6, v3
	v_mov_b32_e32 v2, v7
.LBB589_143:
	s_or_b64 exec, exec, s[48:49]
	v_and_b32_e32 v8, 16, v5
	v_mov_b32_dpp v7, v4 row_bcast:15 row_mask:0xf bank_mask:0xf
	v_cmp_ne_u32_e32 vcc, 0, v8
	s_and_saveexec_b64 s[48:49], vcc
	s_cbranch_execz .LBB589_145
; %bb.144:
	v_cmp_eq_u16_e32 vcc, 0, v6
	v_and_b32_e32 v3, 1, v6
	v_mov_b32_e32 v6, 1
	v_cndmask_b32_e32 v4, 0, v7, vcc
	v_and_b32_sdwa v6, v7, v6 dst_sel:DWORD dst_unused:UNUSED_PAD src0_sel:WORD_1 src1_sel:DWORD
	v_cmp_eq_u32_e32 vcc, 1, v3
	v_add_u16_e32 v8, v4, v2
	v_add_u16_e32 v2, v4, v2
	v_cndmask_b32_e64 v3, v6, 1, vcc
	v_lshlrev_b32_e32 v6, 16, v3
	v_or_b32_e32 v4, v6, v2
	v_mov_b32_e32 v6, v3
	v_mov_b32_e32 v2, v8
.LBB589_145:
	s_or_b64 exec, exec, s[48:49]
	v_mov_b32_dpp v4, v4 row_bcast:31 row_mask:0xf bank_mask:0xf
	v_cmp_lt_u32_e32 vcc, 31, v5
	s_and_saveexec_b64 s[48:49], vcc
; %bb.146:
	v_cmp_eq_u16_e32 vcc, 0, v6
	s_nop 1
	v_cndmask_b32_e32 v3, 0, v4, vcc
	v_add_u16_e32 v2, v3, v2
	v_and_b32_e32 v3, 1, v6
	v_mov_b32_e32 v6, 1
	v_and_b32_sdwa v4, v4, v6 dst_sel:DWORD dst_unused:UNUSED_PAD src0_sel:WORD_1 src1_sel:DWORD
	v_cmp_eq_u32_e32 vcc, 1, v3
	s_nop 1
	v_cndmask_b32_e64 v3, v4, 1, vcc
; %bb.147:
	s_or_b64 exec, exec, s[48:49]
	v_or_b32_e32 v6, 63, v0
	v_lshrrev_b32_e32 v4, 6, v0
	v_cmp_eq_u32_e32 vcc, v6, v0
	s_and_saveexec_b64 s[48:49], vcc
	s_cbranch_execz .LBB589_149
; %bb.148:
	v_lshlrev_b32_e32 v6, 2, v4
	ds_write_b16 v6, v2
	ds_write_b8 v6, v3 offset:2
.LBB589_149:
	s_or_b64 exec, exec, s[48:49]
	v_cmp_gt_u32_e32 vcc, 4, v0
	s_waitcnt lgkmcnt(0)
	s_barrier
	s_and_saveexec_b64 s[48:49], vcc
	s_cbranch_execz .LBB589_155
; %bb.150:
	v_lshlrev_b32_e32 v6, 2, v0
	ds_read_b32 v7, v6
	v_and_b32_e32 v10, 3, v5
	v_cmp_ne_u32_e32 vcc, 0, v10
	s_waitcnt lgkmcnt(0)
	v_lshrrev_b32_e32 v9, 16, v7
	v_mov_b32_dpp v11, v7 row_shr:1 row_mask:0xf bank_mask:0xf
	v_mov_b32_e32 v8, v7
	s_and_saveexec_b64 s[52:53], vcc
	s_cbranch_execz .LBB589_152
; %bb.151:
	v_mov_b32_e32 v8, 0
	v_cmp_eq_u16_sdwa vcc, v9, v8 src0_sel:BYTE_0 src1_sel:DWORD
	v_and_b32_e32 v9, 0x10000, v7
	v_mov_b32_e32 v17, 1
	v_cndmask_b32_e32 v16, 0, v11, vcc
	v_and_b32_sdwa v11, v11, v17 dst_sel:DWORD dst_unused:UNUSED_PAD src0_sel:WORD_1 src1_sel:DWORD
	v_cmp_ne_u32_e32 vcc, 0, v9
	v_and_b32_e32 v15, 0xff000000, v7
	v_add_u16_e32 v8, v16, v7
	v_cndmask_b32_e64 v9, v11, 1, vcc
	v_lshlrev_b32_e32 v11, 16, v9
	v_add_u16_e32 v7, v16, v7
	v_or3_b32 v7, v11, v15, v7
.LBB589_152:
	s_or_b64 exec, exec, s[52:53]
	s_nop 0
	v_mov_b32_dpp v11, v7 row_shr:2 row_mask:0xf bank_mask:0xf
	v_cmp_lt_u32_e32 vcc, 1, v10
	s_and_saveexec_b64 s[52:53], vcc
; %bb.153:
	v_and_b32_e32 v9, 0xff0000, v7
	v_cmp_eq_u32_e32 vcc, 0, v9
	v_and_b32_e32 v7, 0x10000, v7
	s_nop 0
	v_cndmask_b32_e32 v9, 0, v11, vcc
	v_add_u16_e32 v8, v9, v8
	v_mov_b32_e32 v9, 1
	v_and_b32_sdwa v9, v11, v9 dst_sel:DWORD dst_unused:UNUSED_PAD src0_sel:WORD_1 src1_sel:DWORD
	v_cmp_eq_u32_e32 vcc, 0, v7
	s_nop 1
	v_cndmask_b32_e32 v9, 1, v9, vcc
; %bb.154:
	s_or_b64 exec, exec, s[52:53]
	ds_write_b16 v6, v8
	ds_write_b8 v6, v9 offset:2
.LBB589_155:
	s_or_b64 exec, exec, s[48:49]
	v_cmp_gt_u32_e32 vcc, 64, v0
	v_cmp_lt_u32_e64 s[48:49], 63, v0
	v_mov_b32_e32 v15, 0
	v_mov_b32_e32 v16, 0
	s_waitcnt lgkmcnt(0)
	s_barrier
	s_and_saveexec_b64 s[52:53], s[48:49]
	s_cbranch_execz .LBB589_157
; %bb.156:
	v_lshl_add_u32 v4, v4, 2, -4
	ds_read_u16 v15, v4
	ds_read_u8 v16, v4 offset:2
	v_and_b32_e32 v6, 1, v3
	v_cmp_eq_u16_e64 s[48:49], 0, v3
	s_waitcnt lgkmcnt(1)
	s_nop 0
	v_cndmask_b32_e64 v3, 0, v15, s[48:49]
	v_cmp_eq_u32_e64 s[48:49], 1, v6
	v_add_u16_e32 v2, v3, v2
	s_waitcnt lgkmcnt(0)
	v_cndmask_b32_e64 v3, v16, 1, s[48:49]
.LBB589_157:
	s_or_b64 exec, exec, s[52:53]
	v_and_b32_e32 v3, 0xff, v3
	v_and_b32_e32 v2, 0xffff, v2
	v_lshl_or_b32 v2, v3, 16, v2
	v_add_u32_e32 v3, -1, v5
	v_and_b32_e32 v4, 64, v5
	v_cmp_lt_i32_e64 s[48:49], v3, v4
	s_nop 1
	v_cndmask_b32_e64 v3, v3, v5, s[48:49]
	v_lshlrev_b32_e32 v3, 2, v3
	ds_bpermute_b32 v17, v3, v2
	v_cmp_eq_u32_e64 s[48:49], 0, v5
	s_and_saveexec_b64 s[52:53], vcc
	s_cbranch_execz .LBB589_204
; %bb.158:
	v_mov_b32_e32 v11, 0
	ds_read_b32 v2, v11 offset:12
	s_and_saveexec_b64 s[60:61], s[48:49]
	s_cbranch_execz .LBB589_160
; %bb.159:
	s_add_i32 s70, s2, 64
	s_mov_b32 s71, 0
	s_lshl_b64 s[70:71], s[70:71], 3
	s_add_u32 s70, s56, s70
	v_mov_b32_e32 v3, 1
	s_addc_u32 s71, s57, s71
	s_waitcnt lgkmcnt(0)
	global_store_dwordx2 v11, v[2:3], s[70:71] sc1
.LBB589_160:
	s_or_b64 exec, exec, s[60:61]
	v_xad_u32 v4, v5, -1, s2
	v_add_u32_e32 v10, 64, v4
	v_lshl_add_u64 v[8:9], v[10:11], 3, s[56:57]
	global_load_dwordx2 v[6:7], v[8:9], off sc1
	s_waitcnt vmcnt(0)
	v_cmp_eq_u16_sdwa s[70:71], v7, v11 src0_sel:BYTE_0 src1_sel:DWORD
	s_and_saveexec_b64 s[60:61], s[70:71]
	s_cbranch_execz .LBB589_166
; %bb.161:
	s_mov_b32 s3, 1
	s_mov_b64 s[70:71], 0
	v_mov_b32_e32 v3, 0
.LBB589_162:                            ; =>This Loop Header: Depth=1
                                        ;     Child Loop BB589_163 Depth 2
	s_max_u32 s59, s3, 1
.LBB589_163:                            ;   Parent Loop BB589_162 Depth=1
                                        ; =>  This Inner Loop Header: Depth=2
	s_add_i32 s59, s59, -1
	s_cmp_eq_u32 s59, 0
	s_sleep 1
	s_cbranch_scc0 .LBB589_163
; %bb.164:                              ;   in Loop: Header=BB589_162 Depth=1
	global_load_dwordx2 v[6:7], v[8:9], off sc1
	s_cmp_lt_u32 s3, 32
	s_cselect_b64 s[72:73], -1, 0
	s_cmp_lg_u64 s[72:73], 0
	s_addc_u32 s3, s3, 0
	s_waitcnt vmcnt(0)
	v_cmp_ne_u16_sdwa s[72:73], v7, v3 src0_sel:BYTE_0 src1_sel:DWORD
	s_or_b64 s[70:71], s[72:73], s[70:71]
	s_andn2_b64 exec, exec, s[70:71]
	s_cbranch_execnz .LBB589_162
; %bb.165:
	s_or_b64 exec, exec, s[70:71]
.LBB589_166:
	s_or_b64 exec, exec, s[60:61]
	v_mov_b32_e32 v3, 2
	v_cmp_eq_u16_sdwa s[60:61], v7, v3 src0_sel:BYTE_0 src1_sel:DWORD
	v_lshlrev_b64 v[8:9], v5, -1
	v_and_b32_e32 v52, 0xffffff, v6
	v_and_b32_e32 v3, s61, v9
	v_or_b32_e32 v3, 0x80000000, v3
	v_ffbl_b32_e32 v3, v3
	v_add_u32_e32 v11, 32, v3
	v_and_b32_e32 v3, 63, v5
	v_cmp_ne_u32_e32 vcc, 63, v3
	v_and_b32_e32 v10, s60, v8
	v_ffbl_b32_e32 v10, v10
	v_addc_co_u32_e32 v41, vcc, 0, v5, vcc
	v_lshlrev_b32_e32 v41, 2, v41
	ds_bpermute_b32 v42, v41, v52
	v_min_u32_e32 v11, v10, v11
	v_lshrrev_b32_e32 v10, 16, v6
	v_cmp_lt_u32_e32 vcc, v3, v11
	v_bfe_u32 v50, v6, 16, 8
	s_and_saveexec_b64 s[60:61], vcc
	s_cbranch_execz .LBB589_168
; %bb.167:
	v_and_b32_e32 v10, 0xff0000, v6
	v_cmp_eq_u32_e32 vcc, 0, v10
	v_and_b32_e32 v10, 0x10000, v10
	v_mov_b32_e32 v45, 1
	s_waitcnt lgkmcnt(0)
	v_cndmask_b32_e32 v43, 0, v42, vcc
	v_and_b32_sdwa v42, v42, v45 dst_sel:DWORD dst_unused:UNUSED_PAD src0_sel:WORD_1 src1_sel:DWORD
	v_cmp_ne_u32_e32 vcc, 0, v10
	v_add_u16_e32 v44, v43, v6
	v_add_u16_e32 v6, v43, v6
	v_cndmask_b32_e64 v10, v42, 1, vcc
	v_lshlrev_b32_e32 v42, 16, v10
	v_or_b32_e32 v52, v42, v6
	v_mov_b32_e32 v6, v44
	v_mov_b32_e32 v50, v10
.LBB589_168:
	s_or_b64 exec, exec, s[60:61]
	v_cmp_gt_u32_e32 vcc, 62, v3
	v_add_u32_e32 v43, 2, v3
	s_waitcnt lgkmcnt(0)
	v_cndmask_b32_e64 v42, 0, 1, vcc
	v_lshlrev_b32_e32 v42, 1, v42
	v_add_lshl_u32 v42, v42, v5, 2
	ds_bpermute_b32 v44, v42, v52
	v_cmp_le_u32_e32 vcc, v43, v11
	s_and_saveexec_b64 s[60:61], vcc
	s_cbranch_execz .LBB589_170
; %bb.169:
	v_cmp_eq_u16_e32 vcc, 0, v50
	v_and_b32_e32 v10, 1, v50
	v_mov_b32_e32 v47, 1
	s_waitcnt lgkmcnt(0)
	v_cndmask_b32_e32 v45, 0, v44, vcc
	v_and_b32_sdwa v44, v44, v47 dst_sel:DWORD dst_unused:UNUSED_PAD src0_sel:WORD_1 src1_sel:DWORD
	v_cmp_eq_u32_e32 vcc, 1, v10
	v_add_u16_e32 v46, v45, v6
	v_add_u16_e32 v6, v45, v6
	v_cndmask_b32_e64 v10, v44, 1, vcc
	v_lshlrev_b32_e32 v44, 16, v10
	v_or_b32_e32 v52, v44, v6
	v_mov_b32_e32 v6, v46
	v_mov_b32_e32 v50, v10
.LBB589_170:
	s_or_b64 exec, exec, s[60:61]
	v_cmp_gt_u32_e32 vcc, 60, v3
	v_add_u32_e32 v45, 4, v3
	s_waitcnt lgkmcnt(0)
	v_cndmask_b32_e64 v44, 0, 1, vcc
	v_lshlrev_b32_e32 v44, 2, v44
	v_add_lshl_u32 v44, v44, v5, 2
	ds_bpermute_b32 v46, v44, v52
	v_cmp_le_u32_e32 vcc, v45, v11
	s_and_saveexec_b64 s[60:61], vcc
	s_cbranch_execz .LBB589_172
; %bb.171:
	v_cmp_eq_u16_e32 vcc, 0, v50
	v_and_b32_e32 v10, 1, v50
	v_mov_b32_e32 v49, 1
	s_waitcnt lgkmcnt(0)
	v_cndmask_b32_e32 v47, 0, v46, vcc
	v_and_b32_sdwa v46, v46, v49 dst_sel:DWORD dst_unused:UNUSED_PAD src0_sel:WORD_1 src1_sel:DWORD
	v_cmp_eq_u32_e32 vcc, 1, v10
	v_add_u16_e32 v48, v47, v6
	v_add_u16_e32 v6, v47, v6
	v_cndmask_b32_e64 v10, v46, 1, vcc
	v_lshlrev_b32_e32 v46, 16, v10
	v_or_b32_e32 v52, v46, v6
	v_mov_b32_e32 v6, v48
	v_mov_b32_e32 v50, v10
.LBB589_172:
	;; [unrolled: 27-line block ×4, first 2 shown]
	s_or_b64 exec, exec, s[60:61]
	v_cmp_gt_u32_e32 vcc, 32, v3
	v_add_u32_e32 v53, 32, v3
	s_waitcnt lgkmcnt(0)
	v_cndmask_b32_e64 v51, 0, 1, vcc
	v_lshlrev_b32_e32 v51, 5, v51
	v_add_lshl_u32 v51, v51, v5, 2
	ds_bpermute_b32 v5, v51, v52
	v_cmp_le_u32_e32 vcc, v53, v11
	s_and_saveexec_b64 s[60:61], vcc
	s_cbranch_execz .LBB589_178
; %bb.177:
	v_cmp_eq_u16_e32 vcc, 0, v50
	v_mov_b32_e32 v11, 1
	s_waitcnt lgkmcnt(0)
	v_cndmask_b32_e32 v10, 0, v5, vcc
	v_add_u16_e32 v6, v10, v6
	v_and_b32_e32 v10, 1, v50
	v_and_b32_sdwa v5, v5, v11 dst_sel:DWORD dst_unused:UNUSED_PAD src0_sel:WORD_1 src1_sel:DWORD
	v_cmp_eq_u32_e32 vcc, 1, v10
	s_nop 1
	v_cndmask_b32_e64 v10, v5, 1, vcc
.LBB589_178:
	s_or_b64 exec, exec, s[60:61]
	s_waitcnt lgkmcnt(0)
	v_mov_b32_e32 v5, 0
	v_mov_b32_e32 v54, 2
	;; [unrolled: 1-line block ×3, first 2 shown]
	s_branch .LBB589_180
.LBB589_179:                            ;   in Loop: Header=BB589_180 Depth=1
	s_or_b64 exec, exec, s[60:61]
	v_cmp_eq_u16_sdwa vcc, v50, v5 src0_sel:BYTE_0 src1_sel:DWORD
	v_and_b32_e32 v10, 1, v50
	v_and_b32_e32 v11, 1, v11
	v_cndmask_b32_e32 v6, 0, v6, vcc
	v_cmp_eq_u32_e32 vcc, 1, v10
	v_subrev_u32_e32 v4, 64, v4
	v_add_u16_e32 v6, v6, v52
	v_cndmask_b32_e64 v10, v11, 1, vcc
.LBB589_180:                            ; =>This Loop Header: Depth=1
                                        ;     Child Loop BB589_183 Depth 2
                                        ;       Child Loop BB589_184 Depth 3
	v_cmp_ne_u16_sdwa s[60:61], v7, v54 src0_sel:BYTE_0 src1_sel:DWORD
	v_mov_b32_e32 v50, v10
	v_mov_b32_e32 v52, v6
	v_cndmask_b32_e64 v7, 0, 1, s[60:61]
	;;#ASMSTART
	;;#ASMEND
	s_nop 0
	v_cmp_ne_u32_e32 vcc, 0, v7
	s_cmp_lg_u64 vcc, exec
	s_cbranch_scc1 .LBB589_199
; %bb.181:                              ;   in Loop: Header=BB589_180 Depth=1
	v_lshl_add_u64 v[10:11], v[4:5], 3, s[56:57]
	global_load_dwordx2 v[6:7], v[10:11], off sc1
	s_waitcnt vmcnt(0)
	v_cmp_eq_u16_sdwa s[70:71], v7, v5 src0_sel:BYTE_0 src1_sel:DWORD
	s_and_saveexec_b64 s[60:61], s[70:71]
	s_cbranch_execz .LBB589_187
; %bb.182:                              ;   in Loop: Header=BB589_180 Depth=1
	s_mov_b32 s3, 1
	s_mov_b64 s[70:71], 0
.LBB589_183:                            ;   Parent Loop BB589_180 Depth=1
                                        ; =>  This Loop Header: Depth=2
                                        ;       Child Loop BB589_184 Depth 3
	s_max_u32 s59, s3, 1
.LBB589_184:                            ;   Parent Loop BB589_180 Depth=1
                                        ;     Parent Loop BB589_183 Depth=2
                                        ; =>    This Inner Loop Header: Depth=3
	s_add_i32 s59, s59, -1
	s_cmp_eq_u32 s59, 0
	s_sleep 1
	s_cbranch_scc0 .LBB589_184
; %bb.185:                              ;   in Loop: Header=BB589_183 Depth=2
	global_load_dwordx2 v[6:7], v[10:11], off sc1
	s_cmp_lt_u32 s3, 32
	s_cselect_b64 s[72:73], -1, 0
	s_cmp_lg_u64 s[72:73], 0
	s_addc_u32 s3, s3, 0
	s_waitcnt vmcnt(0)
	v_cmp_ne_u16_sdwa s[72:73], v7, v5 src0_sel:BYTE_0 src1_sel:DWORD
	s_or_b64 s[70:71], s[72:73], s[70:71]
	s_andn2_b64 exec, exec, s[70:71]
	s_cbranch_execnz .LBB589_183
; %bb.186:                              ;   in Loop: Header=BB589_180 Depth=1
	s_or_b64 exec, exec, s[70:71]
.LBB589_187:                            ;   in Loop: Header=BB589_180 Depth=1
	s_or_b64 exec, exec, s[60:61]
	v_cmp_eq_u16_sdwa s[60:61], v7, v54 src0_sel:BYTE_0 src1_sel:DWORD
	s_waitcnt lgkmcnt(0)
	v_and_b32_e32 v57, 0xffffff, v6
	ds_bpermute_b32 v58, v41, v57
	v_and_b32_e32 v10, s61, v9
	v_or_b32_e32 v10, 0x80000000, v10
	v_and_b32_e32 v11, s60, v8
	v_ffbl_b32_e32 v10, v10
	v_add_u32_e32 v10, 32, v10
	v_ffbl_b32_e32 v11, v11
	v_min_u32_e32 v10, v11, v10
	v_lshrrev_b32_e32 v11, 16, v6
	v_cmp_lt_u32_e32 vcc, v3, v10
	v_bfe_u32 v56, v6, 16, 8
	s_and_saveexec_b64 s[60:61], vcc
	s_cbranch_execz .LBB589_189
; %bb.188:                              ;   in Loop: Header=BB589_180 Depth=1
	v_and_b32_e32 v11, 0xff0000, v6
	v_cmp_eq_u32_e32 vcc, 0, v11
	v_and_b32_e32 v11, 0x10000, v11
	s_waitcnt lgkmcnt(0)
	v_and_b32_sdwa v57, v58, v55 dst_sel:DWORD dst_unused:UNUSED_PAD src0_sel:WORD_1 src1_sel:DWORD
	v_cndmask_b32_e32 v56, 0, v58, vcc
	v_cmp_ne_u32_e32 vcc, 0, v11
	v_add_u16_e32 v59, v56, v6
	v_add_u16_e32 v6, v56, v6
	v_cndmask_b32_e64 v11, v57, 1, vcc
	v_lshlrev_b32_e32 v57, 16, v11
	v_or_b32_e32 v57, v57, v6
	v_mov_b32_e32 v6, v59
	v_mov_b32_e32 v56, v11
.LBB589_189:                            ;   in Loop: Header=BB589_180 Depth=1
	s_or_b64 exec, exec, s[60:61]
	s_waitcnt lgkmcnt(0)
	ds_bpermute_b32 v58, v42, v57
	v_cmp_le_u32_e32 vcc, v43, v10
	s_and_saveexec_b64 s[60:61], vcc
	s_cbranch_execz .LBB589_191
; %bb.190:                              ;   in Loop: Header=BB589_180 Depth=1
	v_cmp_eq_u16_e32 vcc, 0, v56
	v_and_b32_e32 v11, 1, v56
	s_waitcnt lgkmcnt(0)
	v_and_b32_sdwa v56, v58, v55 dst_sel:DWORD dst_unused:UNUSED_PAD src0_sel:WORD_1 src1_sel:DWORD
	v_cndmask_b32_e32 v57, 0, v58, vcc
	v_cmp_eq_u32_e32 vcc, 1, v11
	v_add_u16_e32 v59, v57, v6
	v_add_u16_e32 v6, v57, v6
	v_cndmask_b32_e64 v11, v56, 1, vcc
	v_lshlrev_b32_e32 v56, 16, v11
	v_or_b32_e32 v57, v56, v6
	v_mov_b32_e32 v6, v59
	v_mov_b32_e32 v56, v11
.LBB589_191:                            ;   in Loop: Header=BB589_180 Depth=1
	s_or_b64 exec, exec, s[60:61]
	s_waitcnt lgkmcnt(0)
	ds_bpermute_b32 v58, v44, v57
	v_cmp_le_u32_e32 vcc, v45, v10
	s_and_saveexec_b64 s[60:61], vcc
	s_cbranch_execz .LBB589_193
; %bb.192:                              ;   in Loop: Header=BB589_180 Depth=1
	v_cmp_eq_u16_e32 vcc, 0, v56
	v_and_b32_e32 v11, 1, v56
	s_waitcnt lgkmcnt(0)
	v_and_b32_sdwa v56, v58, v55 dst_sel:DWORD dst_unused:UNUSED_PAD src0_sel:WORD_1 src1_sel:DWORD
	v_cndmask_b32_e32 v57, 0, v58, vcc
	v_cmp_eq_u32_e32 vcc, 1, v11
	v_add_u16_e32 v59, v57, v6
	v_add_u16_e32 v6, v57, v6
	v_cndmask_b32_e64 v11, v56, 1, vcc
	v_lshlrev_b32_e32 v56, 16, v11
	v_or_b32_e32 v57, v56, v6
	v_mov_b32_e32 v6, v59
	v_mov_b32_e32 v56, v11
.LBB589_193:                            ;   in Loop: Header=BB589_180 Depth=1
	;; [unrolled: 21-line block ×4, first 2 shown]
	s_or_b64 exec, exec, s[60:61]
	ds_bpermute_b32 v57, v51, v57
	v_cmp_le_u32_e32 vcc, v53, v10
	s_and_saveexec_b64 s[60:61], vcc
	s_cbranch_execz .LBB589_179
; %bb.198:                              ;   in Loop: Header=BB589_180 Depth=1
	v_cmp_eq_u16_e32 vcc, 0, v56
	s_waitcnt lgkmcnt(0)
	v_lshrrev_b32_e32 v11, 16, v57
	v_cndmask_b32_e32 v10, 0, v57, vcc
	v_add_u16_e32 v6, v10, v6
	v_and_b32_e32 v10, 1, v56
	v_cmp_eq_u32_e32 vcc, 1, v10
	s_nop 1
	v_cndmask_b32_e64 v11, v11, 1, vcc
	s_branch .LBB589_179
.LBB589_199:                            ;   in Loop: Header=BB589_180 Depth=1
                                        ; implicit-def: $vgpr10
                                        ; implicit-def: $vgpr6
	s_cbranch_execz .LBB589_180
; %bb.200:
	s_and_saveexec_b64 s[60:61], s[48:49]
	s_cbranch_execz .LBB589_202
; %bb.201:
	v_and_b32_e32 v3, 0xff0000, v2
	s_mov_b32 s3, 0
	v_cmp_eq_u32_e32 vcc, 0, v3
	v_and_b32_e32 v4, 0x10000, v2
	v_mov_b32_e32 v5, 1
	s_add_i32 s2, s2, 64
	v_cndmask_b32_e32 v3, 0, v52, vcc
	v_and_b32_sdwa v5, v50, v5 dst_sel:WORD_1 dst_unused:UNUSED_PAD src0_sel:DWORD src1_sel:DWORD
	v_mov_b32_e32 v6, 0x10000
	v_cmp_eq_u32_e32 vcc, 0, v4
	s_lshl_b64 s[2:3], s[2:3], 3
	s_add_u32 s2, s56, s2
	v_cndmask_b32_e32 v4, v6, v5, vcc
	v_add_u16_e32 v2, v3, v2
	s_addc_u32 s3, s57, s3
	v_mov_b32_e32 v5, 0
	v_or_b32_e32 v2, v4, v2
	v_mov_b32_e32 v3, 2
	global_store_dwordx2 v5, v[2:3], s[2:3] sc1
.LBB589_202:
	s_or_b64 exec, exec, s[60:61]
	v_cmp_eq_u32_e32 vcc, 0, v0
	s_and_b64 exec, exec, vcc
	s_cbranch_execz .LBB589_204
; %bb.203:
	v_mov_b32_e32 v2, 0
	ds_write_b16 v2, v52 offset:12
	ds_write_b8 v2, v50 offset:14
.LBB589_204:
	s_or_b64 exec, exec, s[52:53]
	v_mov_b32_e32 v2, 0
	s_waitcnt lgkmcnt(0)
	s_barrier
	ds_read_b32 v3, v2 offset:12
	v_lshrrev_b32_e32 v4, 16, v17
	v_cndmask_b32_e64 v4, v4, v16, s[48:49]
	v_cmp_eq_u16_sdwa vcc, v4, v2 src0_sel:BYTE_0 src1_sel:DWORD
	v_cndmask_b32_e64 v5, v17, v15, s[48:49]
	s_waitcnt lgkmcnt(0)
	v_cndmask_b32_e32 v2, 0, v3, vcc
	v_add_u16_e32 v2, v2, v5
	v_cmp_eq_u32_e32 vcc, 0, v0
	s_nop 1
	v_cndmask_b32_e32 v6, v2, v3, vcc
	v_and_b32_e32 v2, 0xff0000, v1
	v_cmp_eq_u32_e32 vcc, 0, v2
	s_nop 1
	v_cndmask_b32_e32 v2, 0, v6, vcc
	v_add_u16_e32 v4, v2, v1
	v_cndmask_b32_e64 v2, 0, v4, s[50:51]
	v_add_u16_e32 v5, v2, v18
	v_cndmask_b32_e64 v2, 0, v5, s[4:5]
	;; [unrolled: 2-line block ×22, first 2 shown]
	v_add_u16_e32 v53, v2, v40
	s_branch .LBB589_255
.LBB589_205:
	s_or_b64 exec, exec, s[52:53]
                                        ; implicit-def: $vgpr33
	s_and_saveexec_b64 s[52:53], s[50:51]
	s_cbranch_execz .LBB589_53
.LBB589_206:
	v_mov_b32_e32 v15, 0
	v_lshl_add_u64 v[34:35], s[70:71], 0, v[14:15]
	flat_load_ushort v33, v[34:35] offset:512
	s_or_b64 exec, exec, s[52:53]
                                        ; implicit-def: $vgpr34
	s_and_saveexec_b64 s[50:51], s[4:5]
	s_cbranch_execnz .LBB589_54
.LBB589_207:
	s_or_b64 exec, exec, s[50:51]
                                        ; implicit-def: $vgpr35
	s_and_saveexec_b64 s[4:5], s[6:7]
	s_cbranch_execz .LBB589_55
.LBB589_208:
	v_mov_b32_e32 v15, 0
	v_lshl_add_u64 v[36:37], s[70:71], 0, v[14:15]
	flat_load_ushort v35, v[36:37] offset:1536
	s_or_b64 exec, exec, s[4:5]
                                        ; implicit-def: $vgpr36
	s_and_saveexec_b64 s[4:5], s[8:9]
	s_cbranch_execnz .LBB589_56
.LBB589_209:
	s_or_b64 exec, exec, s[4:5]
                                        ; implicit-def: $vgpr37
	s_and_saveexec_b64 s[4:5], s[10:11]
	s_cbranch_execz .LBB589_57
.LBB589_210:
	v_mov_b32_e32 v15, 0
	v_lshl_add_u64 v[38:39], s[70:71], 0, v[14:15]
	flat_load_ushort v37, v[38:39] offset:2560
	s_or_b64 exec, exec, s[4:5]
                                        ; implicit-def: $vgpr38
	s_and_saveexec_b64 s[4:5], s[12:13]
	s_cbranch_execnz .LBB589_58
.LBB589_211:
	s_or_b64 exec, exec, s[4:5]
                                        ; implicit-def: $vgpr15
	s_and_saveexec_b64 s[4:5], s[14:15]
	s_cbranch_execz .LBB589_59
.LBB589_212:
	v_mov_b32_e32 v15, 0
	v_lshl_add_u64 v[40:41], s[70:71], 0, v[14:15]
	flat_load_ushort v15, v[40:41] offset:3584
	s_or_b64 exec, exec, s[4:5]
                                        ; implicit-def: $vgpr39
	s_and_saveexec_b64 s[4:5], s[16:17]
	s_cbranch_execnz .LBB589_60
.LBB589_213:
	s_or_b64 exec, exec, s[4:5]
                                        ; implicit-def: $vgpr1
	s_and_saveexec_b64 s[4:5], s[18:19]
	s_cbranch_execz .LBB589_61
.LBB589_214:
	v_lshlrev_b32_e32 v40, 1, v16
	v_mov_b32_e32 v41, 0
	v_lshl_add_u64 v[40:41], s[70:71], 0, v[40:41]
	flat_load_ushort v1, v[40:41]
	s_or_b64 exec, exec, s[4:5]
                                        ; implicit-def: $vgpr16
	s_and_saveexec_b64 s[4:5], s[20:21]
	s_cbranch_execnz .LBB589_62
.LBB589_215:
	s_or_b64 exec, exec, s[4:5]
                                        ; implicit-def: $vgpr17
	s_and_saveexec_b64 s[4:5], s[22:23]
	s_cbranch_execz .LBB589_63
.LBB589_216:
	v_lshlrev_b32_e32 v40, 1, v18
	v_mov_b32_e32 v41, 0
	v_lshl_add_u64 v[40:41], s[70:71], 0, v[40:41]
	flat_load_ushort v17, v[40:41]
	s_or_b64 exec, exec, s[4:5]
                                        ; implicit-def: $vgpr18
	s_and_saveexec_b64 s[4:5], s[24:25]
	s_cbranch_execnz .LBB589_64
.LBB589_217:
	s_or_b64 exec, exec, s[4:5]
                                        ; implicit-def: $vgpr19
	s_and_saveexec_b64 s[4:5], s[26:27]
	s_cbranch_execz .LBB589_65
.LBB589_218:
	v_lshlrev_b32_e32 v40, 1, v20
	v_mov_b32_e32 v41, 0
	v_lshl_add_u64 v[40:41], s[70:71], 0, v[40:41]
	flat_load_ushort v19, v[40:41]
	s_or_b64 exec, exec, s[4:5]
                                        ; implicit-def: $vgpr20
	s_and_saveexec_b64 s[4:5], s[28:29]
	s_cbranch_execnz .LBB589_66
.LBB589_219:
	s_or_b64 exec, exec, s[4:5]
                                        ; implicit-def: $vgpr21
	s_and_saveexec_b64 s[4:5], s[30:31]
	s_cbranch_execz .LBB589_67
.LBB589_220:
	v_lshlrev_b32_e32 v40, 1, v22
	v_mov_b32_e32 v41, 0
	v_lshl_add_u64 v[40:41], s[70:71], 0, v[40:41]
	flat_load_ushort v21, v[40:41]
	s_or_b64 exec, exec, s[4:5]
                                        ; implicit-def: $vgpr22
	s_and_saveexec_b64 s[4:5], s[34:35]
	s_cbranch_execnz .LBB589_68
.LBB589_221:
	s_or_b64 exec, exec, s[4:5]
                                        ; implicit-def: $vgpr23
	s_and_saveexec_b64 s[4:5], s[36:37]
	s_cbranch_execz .LBB589_69
.LBB589_222:
	v_lshlrev_b32_e32 v40, 1, v24
	v_mov_b32_e32 v41, 0
	v_lshl_add_u64 v[40:41], s[70:71], 0, v[40:41]
	flat_load_ushort v23, v[40:41]
	s_or_b64 exec, exec, s[4:5]
                                        ; implicit-def: $vgpr24
	s_and_saveexec_b64 s[4:5], s[38:39]
	s_cbranch_execnz .LBB589_70
.LBB589_223:
	s_or_b64 exec, exec, s[4:5]
                                        ; implicit-def: $vgpr25
	s_and_saveexec_b64 s[4:5], s[40:41]
	s_cbranch_execz .LBB589_71
.LBB589_224:
	v_lshlrev_b32_e32 v40, 1, v27
	v_mov_b32_e32 v41, 0
	v_lshl_add_u64 v[40:41], s[70:71], 0, v[40:41]
	flat_load_ushort v25, v[40:41]
	s_or_b64 exec, exec, s[4:5]
                                        ; implicit-def: $vgpr27
	s_and_saveexec_b64 s[4:5], s[42:43]
	s_cbranch_execnz .LBB589_72
.LBB589_225:
	s_or_b64 exec, exec, s[4:5]
                                        ; implicit-def: $vgpr28
	s_and_saveexec_b64 s[4:5], s[44:45]
	s_cbranch_execz .LBB589_73
.LBB589_226:
	v_lshlrev_b32_e32 v28, 1, v29
	v_mov_b32_e32 v29, 0
	v_lshl_add_u64 v[28:29], s[70:71], 0, v[28:29]
	flat_load_ushort v28, v[28:29]
	s_or_b64 exec, exec, s[4:5]
                                        ; implicit-def: $vgpr29
	s_and_saveexec_b64 s[4:5], s[46:47]
	s_cbranch_execz .LBB589_75
	s_branch .LBB589_74
.LBB589_227:
                                        ; implicit-def: $vgpr6
                                        ; implicit-def: $vgpr4
                                        ; implicit-def: $vgpr5
                                        ; implicit-def: $vgpr7
                                        ; implicit-def: $vgpr8
                                        ; implicit-def: $vgpr9
                                        ; implicit-def: $vgpr11
                                        ; implicit-def: $vgpr16
                                        ; implicit-def: $vgpr10
                                        ; implicit-def: $vgpr15
                                        ; implicit-def: $vgpr17
                                        ; implicit-def: $vgpr41
                                        ; implicit-def: $vgpr42
                                        ; implicit-def: $vgpr43
                                        ; implicit-def: $vgpr45
                                        ; implicit-def: $vgpr47
                                        ; implicit-def: $vgpr44
                                        ; implicit-def: $vgpr46
                                        ; implicit-def: $vgpr48
                                        ; implicit-def: $vgpr49
                                        ; implicit-def: $vgpr50
                                        ; implicit-def: $vgpr51
                                        ; implicit-def: $vgpr52
                                        ; implicit-def: $vgpr53
	s_cbranch_execz .LBB589_255
; %bb.228:
	s_cmp_lg_u64 s[68:69], 0
	s_cselect_b32 s3, s63, 0
	s_cselect_b32 s2, s62, 0
	s_cmp_eq_u64 s[2:3], 0
	v_mov_b32_e32 v2, s78
	s_cbranch_scc1 .LBB589_230
; %bb.229:
	v_mov_b32_e32 v2, 0
	global_load_ushort v2, v2, s[2:3]
.LBB589_230:
	s_mov_b32 s46, 0x10000
	v_cmp_gt_u32_e32 vcc, s46, v18
	v_cmp_gt_u32_e64 s[2:3], s46, v25
	v_cmp_gt_u32_e64 s[4:5], s46, v19
	v_cndmask_b32_e32 v3, 0, v1, vcc
	v_add_u16_e32 v3, v3, v18
	v_cndmask_b32_e64 v3, 0, v3, s[2:3]
	v_add_u16_e32 v3, v3, v25
	v_cndmask_b32_e64 v3, 0, v3, s[4:5]
	v_add_u16_e32 v3, v3, v19
	v_cmp_gt_u32_e64 s[6:7], s46, v27
	v_cmp_gt_u32_e64 s[8:9], s46, v20
	v_cmp_gt_u32_e64 s[10:11], s46, v28
	v_cndmask_b32_e64 v3, 0, v3, s[6:7]
	v_add_u16_e32 v3, v3, v27
	v_cndmask_b32_e64 v3, 0, v3, s[8:9]
	v_add_u16_e32 v3, v3, v20
	v_cndmask_b32_e64 v3, 0, v3, s[10:11]
	v_add_u16_e32 v3, v3, v28
	v_cmp_gt_u32_e64 s[12:13], s46, v21
	v_cmp_gt_u32_e64 s[14:15], s46, v29
	v_cmp_gt_u32_e64 s[16:17], s46, v30
	v_cndmask_b32_e64 v3, 0, v3, s[12:13]
	;; [unrolled: 9-line block ×5, first 2 shown]
	v_add_u16_e32 v3, v3, v37
	v_cndmask_b32_e64 v3, 0, v3, s[34:35]
	v_add_u16_e32 v3, v3, v22
	v_cndmask_b32_e64 v3, 0, v3, s[36:37]
	v_or3_b32 v6, v14, v38, v22
	v_add_u16_e32 v3, v3, v38
	v_cmp_gt_u32_e64 s[38:39], s46, v23
	v_or3_b32 v6, v6, v37, v36
	v_or3_b32 v6, v6, v35, v34
	v_cndmask_b32_e64 v3, 0, v3, s[38:39]
	v_add_u16_e32 v3, v3, v23
	v_cmp_gt_u32_e64 s[40:41], s46, v39
	v_or3_b32 v6, v6, v33, v32
	v_or3_b32 v6, v6, v31, v30
	v_cndmask_b32_e64 v3, 0, v3, s[40:41]
	;; [unrolled: 5-line block ×4, first 2 shown]
	v_add_u16_e32 v3, v3, v40
	v_cmp_gt_u32_e64 s[46:47], s46, v12
	v_and_b32_e32 v6, 0x10000, v6
	v_and_b32_e32 v5, 0x10000, v1
	v_cndmask_b32_e64 v3, 0, v3, s[46:47]
	v_mov_b32_e32 v7, 0x10000
	v_cmp_ne_u32_e64 s[46:47], 0, v6
	v_add_u16_e32 v4, v3, v12
	v_add_u16_e32 v6, v3, v12
	v_cndmask_b32_e64 v7, v5, v7, s[46:47]
	v_mbcnt_hi_u32_b32 v3, -1, v13
	v_and_b32_e32 v8, 15, v3
	v_or_b32_e32 v6, v7, v6
	v_lshrrev_b32_e32 v5, 16, v7
	v_cmp_ne_u32_e64 s[46:47], 0, v8
	v_mov_b32_dpp v9, v6 row_shr:1 row_mask:0xf bank_mask:0xf
	s_and_saveexec_b64 s[48:49], s[46:47]
	s_cbranch_execz .LBB589_232
; %bb.231:
	v_cmp_eq_u32_e64 s[46:47], 0, v7
	v_and_b32_e32 v5, 0x10000, v7
	v_mov_b32_e32 v7, 1
	v_cndmask_b32_e64 v6, 0, v9, s[46:47]
	v_and_b32_sdwa v7, v9, v7 dst_sel:DWORD dst_unused:UNUSED_PAD src0_sel:WORD_1 src1_sel:DWORD
	v_cmp_ne_u32_e64 s[46:47], 0, v5
	v_add_u16_e32 v10, v6, v4
	v_add_u16_e32 v4, v6, v4
	v_cndmask_b32_e64 v5, v7, 1, s[46:47]
	v_lshlrev_b32_e32 v7, 16, v5
	v_or_b32_e32 v6, v7, v4
	v_mov_b32_e32 v4, v10
.LBB589_232:
	s_or_b64 exec, exec, s[48:49]
	v_lshrrev_b32_e32 v7, 16, v6
	v_mov_b32_dpp v9, v6 row_shr:2 row_mask:0xf bank_mask:0xf
	v_cmp_lt_u32_e64 s[46:47], 1, v8
	s_and_saveexec_b64 s[48:49], s[46:47]
	s_cbranch_execz .LBB589_234
; %bb.233:
	s_mov_b32 s46, 0x10000
	v_cmp_gt_u32_e64 s[46:47], s46, v6
	v_and_b32_e32 v5, 0x10000, v6
	v_mov_b32_e32 v6, 1
	v_cndmask_b32_e64 v7, 0, v9, s[46:47]
	v_and_b32_sdwa v6, v9, v6 dst_sel:DWORD dst_unused:UNUSED_PAD src0_sel:WORD_1 src1_sel:DWORD
	v_cmp_ne_u32_e64 s[46:47], 0, v5
	v_add_u16_e32 v10, v7, v4
	v_add_u16_e32 v4, v7, v4
	v_cndmask_b32_e64 v5, v6, 1, s[46:47]
	v_lshlrev_b32_e32 v6, 16, v5
	v_or_b32_e32 v6, v6, v4
	v_mov_b32_e32 v7, v5
	v_mov_b32_e32 v4, v10
.LBB589_234:
	s_or_b64 exec, exec, s[48:49]
	v_mov_b32_dpp v9, v6 row_shr:4 row_mask:0xf bank_mask:0xf
	v_cmp_lt_u32_e64 s[46:47], 3, v8
	s_and_saveexec_b64 s[48:49], s[46:47]
	s_cbranch_execz .LBB589_236
; %bb.235:
	v_cmp_eq_u16_e64 s[46:47], 0, v7
	v_and_b32_e32 v5, 1, v7
	v_mov_b32_e32 v7, 1
	v_cndmask_b32_e64 v6, 0, v9, s[46:47]
	v_and_b32_sdwa v7, v9, v7 dst_sel:DWORD dst_unused:UNUSED_PAD src0_sel:WORD_1 src1_sel:DWORD
	v_cmp_eq_u32_e64 s[46:47], 1, v5
	v_add_u16_e32 v10, v6, v4
	v_add_u16_e32 v4, v6, v4
	v_cndmask_b32_e64 v5, v7, 1, s[46:47]
	v_lshlrev_b32_e32 v7, 16, v5
	v_or_b32_e32 v6, v7, v4
	v_mov_b32_e32 v7, v5
	v_mov_b32_e32 v4, v10
.LBB589_236:
	s_or_b64 exec, exec, s[48:49]
	v_mov_b32_dpp v9, v6 row_shr:8 row_mask:0xf bank_mask:0xf
	v_cmp_lt_u32_e64 s[46:47], 7, v8
	s_and_saveexec_b64 s[48:49], s[46:47]
	s_cbranch_execz .LBB589_238
; %bb.237:
	v_cmp_eq_u16_e64 s[46:47], 0, v7
	v_and_b32_e32 v5, 1, v7
	v_mov_b32_e32 v7, 1
	v_cndmask_b32_e64 v6, 0, v9, s[46:47]
	v_and_b32_sdwa v7, v9, v7 dst_sel:DWORD dst_unused:UNUSED_PAD src0_sel:WORD_1 src1_sel:DWORD
	v_cmp_eq_u32_e64 s[46:47], 1, v5
	v_add_u16_e32 v8, v6, v4
	v_add_u16_e32 v4, v6, v4
	v_cndmask_b32_e64 v5, v7, 1, s[46:47]
	v_lshlrev_b32_e32 v7, 16, v5
	v_or_b32_e32 v6, v7, v4
	v_mov_b32_e32 v7, v5
	v_mov_b32_e32 v4, v8
.LBB589_238:
	s_or_b64 exec, exec, s[48:49]
	v_and_b32_e32 v9, 16, v3
	v_mov_b32_dpp v8, v6 row_bcast:15 row_mask:0xf bank_mask:0xf
	v_cmp_ne_u32_e64 s[46:47], 0, v9
	s_and_saveexec_b64 s[48:49], s[46:47]
	s_cbranch_execz .LBB589_240
; %bb.239:
	v_cmp_eq_u16_e64 s[46:47], 0, v7
	v_and_b32_e32 v5, 1, v7
	v_mov_b32_e32 v7, 1
	v_cndmask_b32_e64 v6, 0, v8, s[46:47]
	v_and_b32_sdwa v7, v8, v7 dst_sel:DWORD dst_unused:UNUSED_PAD src0_sel:WORD_1 src1_sel:DWORD
	v_cmp_eq_u32_e64 s[46:47], 1, v5
	v_add_u16_e32 v9, v6, v4
	v_add_u16_e32 v4, v6, v4
	v_cndmask_b32_e64 v5, v7, 1, s[46:47]
	v_lshlrev_b32_e32 v7, 16, v5
	v_or_b32_e32 v6, v7, v4
	v_mov_b32_e32 v7, v5
	v_mov_b32_e32 v4, v9
.LBB589_240:
	s_or_b64 exec, exec, s[48:49]
	v_mov_b32_dpp v6, v6 row_bcast:31 row_mask:0xf bank_mask:0xf
	v_cmp_lt_u32_e64 s[46:47], 31, v3
	s_and_saveexec_b64 s[48:49], s[46:47]
; %bb.241:
	v_cmp_eq_u16_e64 s[46:47], 0, v7
	s_nop 1
	v_cndmask_b32_e64 v5, 0, v6, s[46:47]
	v_add_u16_e32 v4, v5, v4
	v_and_b32_e32 v5, 1, v7
	v_mov_b32_e32 v7, 1
	v_and_b32_sdwa v6, v6, v7 dst_sel:DWORD dst_unused:UNUSED_PAD src0_sel:WORD_1 src1_sel:DWORD
	v_cmp_eq_u32_e64 s[46:47], 1, v5
	s_nop 1
	v_cndmask_b32_e64 v5, v6, 1, s[46:47]
; %bb.242:
	s_or_b64 exec, exec, s[48:49]
	v_or_b32_e32 v7, 63, v0
	v_lshrrev_b32_e32 v6, 6, v0
	v_cmp_eq_u32_e64 s[46:47], v7, v0
	s_and_saveexec_b64 s[48:49], s[46:47]
	s_cbranch_execz .LBB589_244
; %bb.243:
	v_lshlrev_b32_e32 v7, 2, v6
	ds_write_b16 v7, v4
	ds_write_b8 v7, v5 offset:2
.LBB589_244:
	s_or_b64 exec, exec, s[48:49]
	v_cmp_gt_u32_e64 s[46:47], 4, v0
	s_waitcnt lgkmcnt(0)
	s_barrier
	s_and_saveexec_b64 s[48:49], s[46:47]
	s_cbranch_execz .LBB589_250
; %bb.245:
	v_lshlrev_b32_e32 v7, 2, v0
	ds_read_b32 v8, v7
	v_and_b32_e32 v11, 3, v3
	v_cmp_ne_u32_e64 s[46:47], 0, v11
	s_waitcnt lgkmcnt(0)
	v_lshrrev_b32_e32 v10, 16, v8
	v_mov_b32_dpp v12, v8 row_shr:1 row_mask:0xf bank_mask:0xf
	v_mov_b32_e32 v9, v8
	s_and_saveexec_b64 s[50:51], s[46:47]
	s_cbranch_execz .LBB589_247
; %bb.246:
	v_mov_b32_e32 v9, 0
	v_cmp_eq_u16_sdwa s[46:47], v10, v9 src0_sel:BYTE_0 src1_sel:DWORD
	v_and_b32_e32 v10, 0x10000, v8
	v_mov_b32_e32 v15, 1
	v_cndmask_b32_e64 v14, 0, v12, s[46:47]
	v_and_b32_sdwa v12, v12, v15 dst_sel:DWORD dst_unused:UNUSED_PAD src0_sel:WORD_1 src1_sel:DWORD
	v_cmp_ne_u32_e64 s[46:47], 0, v10
	v_and_b32_e32 v13, 0xff000000, v8
	v_add_u16_e32 v9, v14, v8
	v_cndmask_b32_e64 v10, v12, 1, s[46:47]
	v_lshlrev_b32_e32 v12, 16, v10
	v_add_u16_e32 v8, v14, v8
	v_or3_b32 v8, v12, v13, v8
.LBB589_247:
	s_or_b64 exec, exec, s[50:51]
	s_nop 0
	v_mov_b32_dpp v12, v8 row_shr:2 row_mask:0xf bank_mask:0xf
	v_cmp_lt_u32_e64 s[46:47], 1, v11
	s_and_saveexec_b64 s[50:51], s[46:47]
; %bb.248:
	v_and_b32_e32 v10, 0xff0000, v8
	v_cmp_eq_u32_e64 s[46:47], 0, v10
	v_and_b32_e32 v8, 0x10000, v8
	s_nop 0
	v_cndmask_b32_e64 v10, 0, v12, s[46:47]
	v_add_u16_e32 v9, v10, v9
	v_mov_b32_e32 v10, 1
	v_and_b32_sdwa v10, v12, v10 dst_sel:DWORD dst_unused:UNUSED_PAD src0_sel:WORD_1 src1_sel:DWORD
	v_cmp_eq_u32_e64 s[46:47], 0, v8
	s_nop 1
	v_cndmask_b32_e64 v10, 1, v10, s[46:47]
; %bb.249:
	s_or_b64 exec, exec, s[50:51]
	ds_write_b16 v7, v9
	ds_write_b8 v7, v10 offset:2
.LBB589_250:
	s_or_b64 exec, exec, s[48:49]
	v_cmp_lt_u32_e64 s[46:47], 63, v0
	v_mov_b32_e32 v8, 0
	s_waitcnt vmcnt(0)
	v_mov_b32_e32 v7, v2
	s_waitcnt lgkmcnt(0)
	s_barrier
	s_and_saveexec_b64 s[48:49], s[46:47]
	s_cbranch_execz .LBB589_252
; %bb.251:
	v_lshl_add_u32 v6, v6, 2, -4
	ds_read_u8 v8, v6 offset:2
	ds_read_u16 v6, v6
	s_waitcnt lgkmcnt(1)
	v_cmp_eq_u16_e64 s[46:47], 0, v8
	s_nop 1
	v_cndmask_b32_e64 v7, 0, v2, s[46:47]
	s_waitcnt lgkmcnt(0)
	v_add_u16_e32 v7, v7, v6
.LBB589_252:
	s_or_b64 exec, exec, s[48:49]
	v_cmp_eq_u16_e64 s[46:47], 0, v5
	v_and_b32_e32 v5, 1, v5
	v_lshlrev_b32_e32 v8, 16, v8
	v_cndmask_b32_e64 v6, 0, v7, s[46:47]
	v_mov_b32_e32 v9, 0x10000
	v_cmp_eq_u32_e64 s[46:47], 1, v5
	v_add_u16_e32 v4, v6, v4
	v_and_b32_e32 v6, 64, v3
	v_cndmask_b32_e64 v5, v8, v9, s[46:47]
	v_or_b32_e32 v4, v5, v4
	v_add_u32_e32 v5, -1, v3
	v_cmp_lt_i32_e64 s[46:47], v5, v6
	s_nop 1
	v_cndmask_b32_e64 v5, v5, v3, s[46:47]
	v_lshlrev_b32_e32 v5, 2, v5
	ds_bpermute_b32 v4, v5, v4
	v_cmp_eq_u32_e64 s[46:47], 0, v3
	s_waitcnt lgkmcnt(0)
	s_nop 0
	v_cndmask_b32_e64 v6, v4, v7, s[46:47]
	v_cmp_eq_u32_e64 s[46:47], 0, v0
	v_and_b32_e32 v4, 0xff0000, v1
	v_cmp_eq_u32_e64 s[48:49], 0, v4
	v_cndmask_b32_e64 v3, v6, v2, s[46:47]
	s_nop 0
	v_cndmask_b32_e64 v3, 0, v3, s[48:49]
	v_add_u16_e32 v4, v3, v1
	v_cndmask_b32_e32 v1, 0, v4, vcc
	v_add_u16_e32 v5, v1, v18
	v_cndmask_b32_e64 v1, 0, v5, s[2:3]
	v_add_u16_e32 v7, v1, v25
	v_cndmask_b32_e64 v1, 0, v7, s[4:5]
	;; [unrolled: 2-line block ×21, first 2 shown]
	s_and_saveexec_b64 s[2:3], s[46:47]
	s_cbranch_execz .LBB589_254
; %bb.253:
	v_mov_b32_e32 v3, 0
	ds_read_u8 v6, v3 offset:14
	ds_read_u16 v12, v3 offset:12
	v_mov_b32_e32 v13, 2
	s_waitcnt lgkmcnt(1)
	v_cmp_eq_u32_e32 vcc, 0, v6
	v_lshlrev_b32_e32 v14, 16, v6
	s_nop 0
	v_cndmask_b32_e32 v6, 0, v2, vcc
	s_waitcnt lgkmcnt(0)
	v_add_u32_e32 v6, v6, v12
	v_or_b32_sdwa v12, v14, v6 dst_sel:DWORD dst_unused:UNUSED_PAD src0_sel:DWORD src1_sel:WORD_0
	v_mov_b32_e32 v6, v2
	global_store_dwordx2 v3, v[12:13], s[56:57] offset:512 sc1
.LBB589_254:
	s_or_b64 exec, exec, s[2:3]
	v_add_u16_e32 v53, v1, v40
.LBB589_255:
	s_add_u32 s2, s54, s64
	s_addc_u32 s3, s55, s65
	s_add_u32 s2, s2, s66
	v_mul_u32_u24_e32 v1, 24, v0
	s_addc_u32 s3, s3, s67
	s_and_b64 vcc, exec, s[0:1]
	v_lshlrev_b32_e32 v12, 1, v1
	s_cbranch_vccz .LBB589_303
; %bb.256:
	s_mov_b32 s0, 0x5040100
	v_perm_b32 v21, v16, v11, s0
	v_perm_b32 v20, v9, v8, s0
	;; [unrolled: 1-line block ×4, first 2 shown]
	s_barrier
	ds_write_b128 v12, v[18:21]
	v_perm_b32 v21, v47, v45, s0
	v_perm_b32 v20, v43, v42, s0
	;; [unrolled: 1-line block ×4, first 2 shown]
	ds_write_b128 v12, v[18:21] offset:16
	v_perm_b32 v21, v53, v52, s0
	v_perm_b32 v20, v51, v50, s0
	;; [unrolled: 1-line block ×4, first 2 shown]
	s_movk_i32 s0, 0xffd2
	v_mad_i32_i24 v2, v0, s0, v12
	ds_write_b128 v12, v[18:21] offset:32
	s_waitcnt lgkmcnt(0)
	s_barrier
	ds_read_u16 v39, v2 offset:512
	ds_read_u16 v38, v2 offset:1024
	;; [unrolled: 1-line block ×23, first 2 shown]
	s_add_i32 s33, s33, s58
	v_mov_b32_e32 v27, 0
	v_lshl_add_u64 v[2:3], s[2:3], 0, v[26:27]
	v_cmp_gt_u32_e32 vcc, s33, v0
	s_and_saveexec_b64 s[0:1], vcc
	s_cbranch_execz .LBB589_258
; %bb.257:
	v_mul_i32_i24_e32 v40, 0xffffffd2, v0
	v_add_u32_e32 v40, v12, v40
	ds_read_u16 v40, v40
	s_waitcnt lgkmcnt(0)
	flat_store_short v[2:3], v40
.LBB589_258:
	s_or_b64 exec, exec, s[0:1]
	v_or_b32_e32 v40, 0x100, v0
	v_cmp_gt_u32_e32 vcc, s33, v40
	s_and_saveexec_b64 s[0:1], vcc
	s_cbranch_execz .LBB589_260
; %bb.259:
	s_waitcnt lgkmcnt(0)
	flat_store_short v[2:3], v39 offset:512
.LBB589_260:
	s_or_b64 exec, exec, s[0:1]
	s_waitcnt lgkmcnt(0)
	v_or_b32_e32 v39, 0x200, v0
	v_cmp_gt_u32_e32 vcc, s33, v39
	s_and_saveexec_b64 s[0:1], vcc
	s_cbranch_execz .LBB589_262
; %bb.261:
	flat_store_short v[2:3], v38 offset:1024
.LBB589_262:
	s_or_b64 exec, exec, s[0:1]
	v_or_b32_e32 v38, 0x300, v0
	v_cmp_gt_u32_e32 vcc, s33, v38
	s_and_saveexec_b64 s[0:1], vcc
	s_cbranch_execz .LBB589_264
; %bb.263:
	flat_store_short v[2:3], v37 offset:1536
.LBB589_264:
	s_or_b64 exec, exec, s[0:1]
	;; [unrolled: 8-line block ×6, first 2 shown]
	v_or_b32_e32 v33, 0x800, v0
	v_cmp_gt_u32_e32 vcc, s33, v33
	s_and_saveexec_b64 s[0:1], vcc
	s_cbranch_execz .LBB589_274
; %bb.273:
	v_add_co_u32_e32 v34, vcc, 0x1000, v2
	s_nop 1
	v_addc_co_u32_e32 v35, vcc, 0, v3, vcc
	flat_store_short v[34:35], v32
.LBB589_274:
	s_or_b64 exec, exec, s[0:1]
	v_or_b32_e32 v32, 0x900, v0
	v_cmp_gt_u32_e32 vcc, s33, v32
	s_and_saveexec_b64 s[0:1], vcc
	s_cbranch_execz .LBB589_276
; %bb.275:
	v_add_co_u32_e32 v32, vcc, 0x1000, v2
	s_nop 1
	v_addc_co_u32_e32 v33, vcc, 0, v3, vcc
	flat_store_short v[32:33], v31 offset:512
.LBB589_276:
	s_or_b64 exec, exec, s[0:1]
	v_or_b32_e32 v31, 0xa00, v0
	v_cmp_gt_u32_e32 vcc, s33, v31
	s_and_saveexec_b64 s[0:1], vcc
	s_cbranch_execz .LBB589_278
; %bb.277:
	v_add_co_u32_e32 v32, vcc, 0x1000, v2
	s_nop 1
	v_addc_co_u32_e32 v33, vcc, 0, v3, vcc
	flat_store_short v[32:33], v30 offset:1024
.LBB589_278:
	;; [unrolled: 11-line block ×7, first 2 shown]
	s_or_b64 exec, exec, s[0:1]
	v_or_b32_e32 v23, 0x1000, v0
	v_cmp_gt_u32_e32 vcc, s33, v23
	s_and_saveexec_b64 s[0:1], vcc
	s_cbranch_execz .LBB589_290
; %bb.289:
	v_add_co_u32_e32 v24, vcc, 0x2000, v2
	s_nop 1
	v_addc_co_u32_e32 v25, vcc, 0, v3, vcc
	flat_store_short v[24:25], v22
.LBB589_290:
	s_or_b64 exec, exec, s[0:1]
	v_or_b32_e32 v22, 0x1100, v0
	v_cmp_gt_u32_e32 vcc, s33, v22
	s_and_saveexec_b64 s[0:1], vcc
	s_cbranch_execz .LBB589_292
; %bb.291:
	v_add_co_u32_e32 v22, vcc, 0x2000, v2
	s_nop 1
	v_addc_co_u32_e32 v23, vcc, 0, v3, vcc
	flat_store_short v[22:23], v21 offset:512
.LBB589_292:
	s_or_b64 exec, exec, s[0:1]
	v_or_b32_e32 v21, 0x1200, v0
	v_cmp_gt_u32_e32 vcc, s33, v21
	s_and_saveexec_b64 s[0:1], vcc
	s_cbranch_execz .LBB589_294
; %bb.293:
	v_add_co_u32_e32 v22, vcc, 0x2000, v2
	s_nop 1
	v_addc_co_u32_e32 v23, vcc, 0, v3, vcc
	flat_store_short v[22:23], v20 offset:1024
.LBB589_294:
	;; [unrolled: 11-line block ×6, first 2 shown]
	s_or_b64 exec, exec, s[0:1]
	v_or_b32_e32 v2, 0x1700, v0
	v_mov_b32_e32 v1, v27
	v_cmp_gt_u32_e64 s[0:1], s33, v2
	s_branch .LBB589_305
.LBB589_303:
	s_mov_b64 s[0:1], 0
                                        ; implicit-def: $vgpr13
	s_cbranch_execz .LBB589_305
; %bb.304:
	s_mov_b32 s4, 0x5040100
	v_perm_b32 v19, v7, v5, s4
	v_perm_b32 v18, v4, v6, s4
	;; [unrolled: 1-line block ×6, first 2 shown]
	s_waitcnt lgkmcnt(0)
	s_barrier
	v_perm_b32 v21, v16, v11, s4
	v_perm_b32 v20, v9, v8, s4
	ds_write_b128 v12, v[2:5] offset:16
	v_perm_b32 v5, v53, v52, s4
	v_perm_b32 v4, v51, v50, s4
	;; [unrolled: 1-line block ×4, first 2 shown]
	v_mov_b32_e32 v1, 0
	s_movk_i32 s4, 0xffd2
	ds_write_b128 v12, v[2:5] offset:32
	v_mad_i32_i24 v2, v0, s4, v12
	v_mov_b32_e32 v27, v1
	ds_write_b128 v12, v[18:21]
	s_waitcnt lgkmcnt(0)
	s_barrier
	ds_read_u16 v4, v2
	ds_read_u16 v5, v2 offset:512
	ds_read_u16 v6, v2 offset:1024
	;; [unrolled: 1-line block ×23, first 2 shown]
	v_lshl_add_u64 v[2:3], s[2:3], 0, v[26:27]
	s_movk_i32 s4, 0x1000
	s_waitcnt lgkmcnt(0)
	flat_store_short v[2:3], v4
	flat_store_short v[2:3], v5 offset:512
	flat_store_short v[2:3], v6 offset:1024
	;; [unrolled: 1-line block ×7, first 2 shown]
	v_add_co_u32_e32 v4, vcc, s4, v2
	s_or_b64 s[0:1], s[0:1], exec
	s_nop 0
	v_addc_co_u32_e32 v5, vcc, 0, v3, vcc
	v_add_co_u32_e32 v2, vcc, 0x2000, v2
	flat_store_short v[4:5], v12
	flat_store_short v[4:5], v14 offset:512
	flat_store_short v[4:5], v15 offset:1024
	;; [unrolled: 1-line block ×7, first 2 shown]
	v_addc_co_u32_e32 v3, vcc, 0, v3, vcc
	flat_store_short v[2:3], v21
	flat_store_short v[2:3], v22 offset:512
	flat_store_short v[2:3], v23 offset:1024
	;; [unrolled: 1-line block ×6, first 2 shown]
.LBB589_305:
	s_and_saveexec_b64 s[4:5], s[0:1]
	s_cbranch_execz .LBB589_307
; %bb.306:
	v_lshl_add_u64 v[0:1], v[0:1], 1, s[2:3]
	v_add_co_u32_e32 v0, vcc, 0x2000, v0
	s_nop 1
	v_addc_co_u32_e32 v1, vcc, 0, v1, vcc
	flat_store_short v[0:1], v13 offset:3584
	s_endpgm
.LBB589_307:
	s_endpgm
	.section	.rodata,"a",@progbits
	.p2align	6, 0x0
	.amdhsa_kernel _ZN7rocprim17ROCPRIM_400000_NS6detail17trampoline_kernelINS0_14default_configENS1_27scan_by_key_config_selectorIssEEZZNS1_16scan_by_key_implILNS1_25lookback_scan_determinismE0ELb1ES3_N6thrust23THRUST_200600_302600_NS6detail15normal_iteratorINS9_10device_ptrIsEEEESE_SE_sNS9_4plusIvEENS9_8equal_toIvEEsEE10hipError_tPvRmT2_T3_T4_T5_mT6_T7_P12ihipStream_tbENKUlT_T0_E_clISt17integral_constantIbLb1EESY_IbLb0EEEEDaSU_SV_EUlSU_E_NS1_11comp_targetILNS1_3genE5ELNS1_11target_archE942ELNS1_3gpuE9ELNS1_3repE0EEENS1_30default_config_static_selectorELNS0_4arch9wavefront6targetE1EEEvT1_
		.amdhsa_group_segment_fixed_size 13312
		.amdhsa_private_segment_fixed_size 0
		.amdhsa_kernarg_size 112
		.amdhsa_user_sgpr_count 2
		.amdhsa_user_sgpr_dispatch_ptr 0
		.amdhsa_user_sgpr_queue_ptr 0
		.amdhsa_user_sgpr_kernarg_segment_ptr 1
		.amdhsa_user_sgpr_dispatch_id 0
		.amdhsa_user_sgpr_kernarg_preload_length 0
		.amdhsa_user_sgpr_kernarg_preload_offset 0
		.amdhsa_user_sgpr_private_segment_size 0
		.amdhsa_uses_dynamic_stack 0
		.amdhsa_enable_private_segment 0
		.amdhsa_system_sgpr_workgroup_id_x 1
		.amdhsa_system_sgpr_workgroup_id_y 0
		.amdhsa_system_sgpr_workgroup_id_z 0
		.amdhsa_system_sgpr_workgroup_info 0
		.amdhsa_system_vgpr_workitem_id 0
		.amdhsa_next_free_vgpr 60
		.amdhsa_next_free_sgpr 79
		.amdhsa_accum_offset 60
		.amdhsa_reserve_vcc 1
		.amdhsa_float_round_mode_32 0
		.amdhsa_float_round_mode_16_64 0
		.amdhsa_float_denorm_mode_32 3
		.amdhsa_float_denorm_mode_16_64 3
		.amdhsa_dx10_clamp 1
		.amdhsa_ieee_mode 1
		.amdhsa_fp16_overflow 0
		.amdhsa_tg_split 0
		.amdhsa_exception_fp_ieee_invalid_op 0
		.amdhsa_exception_fp_denorm_src 0
		.amdhsa_exception_fp_ieee_div_zero 0
		.amdhsa_exception_fp_ieee_overflow 0
		.amdhsa_exception_fp_ieee_underflow 0
		.amdhsa_exception_fp_ieee_inexact 0
		.amdhsa_exception_int_div_zero 0
	.end_amdhsa_kernel
	.section	.text._ZN7rocprim17ROCPRIM_400000_NS6detail17trampoline_kernelINS0_14default_configENS1_27scan_by_key_config_selectorIssEEZZNS1_16scan_by_key_implILNS1_25lookback_scan_determinismE0ELb1ES3_N6thrust23THRUST_200600_302600_NS6detail15normal_iteratorINS9_10device_ptrIsEEEESE_SE_sNS9_4plusIvEENS9_8equal_toIvEEsEE10hipError_tPvRmT2_T3_T4_T5_mT6_T7_P12ihipStream_tbENKUlT_T0_E_clISt17integral_constantIbLb1EESY_IbLb0EEEEDaSU_SV_EUlSU_E_NS1_11comp_targetILNS1_3genE5ELNS1_11target_archE942ELNS1_3gpuE9ELNS1_3repE0EEENS1_30default_config_static_selectorELNS0_4arch9wavefront6targetE1EEEvT1_,"axG",@progbits,_ZN7rocprim17ROCPRIM_400000_NS6detail17trampoline_kernelINS0_14default_configENS1_27scan_by_key_config_selectorIssEEZZNS1_16scan_by_key_implILNS1_25lookback_scan_determinismE0ELb1ES3_N6thrust23THRUST_200600_302600_NS6detail15normal_iteratorINS9_10device_ptrIsEEEESE_SE_sNS9_4plusIvEENS9_8equal_toIvEEsEE10hipError_tPvRmT2_T3_T4_T5_mT6_T7_P12ihipStream_tbENKUlT_T0_E_clISt17integral_constantIbLb1EESY_IbLb0EEEEDaSU_SV_EUlSU_E_NS1_11comp_targetILNS1_3genE5ELNS1_11target_archE942ELNS1_3gpuE9ELNS1_3repE0EEENS1_30default_config_static_selectorELNS0_4arch9wavefront6targetE1EEEvT1_,comdat
.Lfunc_end589:
	.size	_ZN7rocprim17ROCPRIM_400000_NS6detail17trampoline_kernelINS0_14default_configENS1_27scan_by_key_config_selectorIssEEZZNS1_16scan_by_key_implILNS1_25lookback_scan_determinismE0ELb1ES3_N6thrust23THRUST_200600_302600_NS6detail15normal_iteratorINS9_10device_ptrIsEEEESE_SE_sNS9_4plusIvEENS9_8equal_toIvEEsEE10hipError_tPvRmT2_T3_T4_T5_mT6_T7_P12ihipStream_tbENKUlT_T0_E_clISt17integral_constantIbLb1EESY_IbLb0EEEEDaSU_SV_EUlSU_E_NS1_11comp_targetILNS1_3genE5ELNS1_11target_archE942ELNS1_3gpuE9ELNS1_3repE0EEENS1_30default_config_static_selectorELNS0_4arch9wavefront6targetE1EEEvT1_, .Lfunc_end589-_ZN7rocprim17ROCPRIM_400000_NS6detail17trampoline_kernelINS0_14default_configENS1_27scan_by_key_config_selectorIssEEZZNS1_16scan_by_key_implILNS1_25lookback_scan_determinismE0ELb1ES3_N6thrust23THRUST_200600_302600_NS6detail15normal_iteratorINS9_10device_ptrIsEEEESE_SE_sNS9_4plusIvEENS9_8equal_toIvEEsEE10hipError_tPvRmT2_T3_T4_T5_mT6_T7_P12ihipStream_tbENKUlT_T0_E_clISt17integral_constantIbLb1EESY_IbLb0EEEEDaSU_SV_EUlSU_E_NS1_11comp_targetILNS1_3genE5ELNS1_11target_archE942ELNS1_3gpuE9ELNS1_3repE0EEENS1_30default_config_static_selectorELNS0_4arch9wavefront6targetE1EEEvT1_
                                        ; -- End function
	.section	.AMDGPU.csdata,"",@progbits
; Kernel info:
; codeLenInByte = 16540
; NumSgprs: 85
; NumVgprs: 60
; NumAgprs: 0
; TotalNumVgprs: 60
; ScratchSize: 0
; MemoryBound: 0
; FloatMode: 240
; IeeeMode: 1
; LDSByteSize: 13312 bytes/workgroup (compile time only)
; SGPRBlocks: 10
; VGPRBlocks: 7
; NumSGPRsForWavesPerEU: 85
; NumVGPRsForWavesPerEU: 60
; AccumOffset: 60
; Occupancy: 4
; WaveLimiterHint : 1
; COMPUTE_PGM_RSRC2:SCRATCH_EN: 0
; COMPUTE_PGM_RSRC2:USER_SGPR: 2
; COMPUTE_PGM_RSRC2:TRAP_HANDLER: 0
; COMPUTE_PGM_RSRC2:TGID_X_EN: 1
; COMPUTE_PGM_RSRC2:TGID_Y_EN: 0
; COMPUTE_PGM_RSRC2:TGID_Z_EN: 0
; COMPUTE_PGM_RSRC2:TIDIG_COMP_CNT: 0
; COMPUTE_PGM_RSRC3_GFX90A:ACCUM_OFFSET: 14
; COMPUTE_PGM_RSRC3_GFX90A:TG_SPLIT: 0
	.section	.text._ZN7rocprim17ROCPRIM_400000_NS6detail17trampoline_kernelINS0_14default_configENS1_27scan_by_key_config_selectorIssEEZZNS1_16scan_by_key_implILNS1_25lookback_scan_determinismE0ELb1ES3_N6thrust23THRUST_200600_302600_NS6detail15normal_iteratorINS9_10device_ptrIsEEEESE_SE_sNS9_4plusIvEENS9_8equal_toIvEEsEE10hipError_tPvRmT2_T3_T4_T5_mT6_T7_P12ihipStream_tbENKUlT_T0_E_clISt17integral_constantIbLb1EESY_IbLb0EEEEDaSU_SV_EUlSU_E_NS1_11comp_targetILNS1_3genE4ELNS1_11target_archE910ELNS1_3gpuE8ELNS1_3repE0EEENS1_30default_config_static_selectorELNS0_4arch9wavefront6targetE1EEEvT1_,"axG",@progbits,_ZN7rocprim17ROCPRIM_400000_NS6detail17trampoline_kernelINS0_14default_configENS1_27scan_by_key_config_selectorIssEEZZNS1_16scan_by_key_implILNS1_25lookback_scan_determinismE0ELb1ES3_N6thrust23THRUST_200600_302600_NS6detail15normal_iteratorINS9_10device_ptrIsEEEESE_SE_sNS9_4plusIvEENS9_8equal_toIvEEsEE10hipError_tPvRmT2_T3_T4_T5_mT6_T7_P12ihipStream_tbENKUlT_T0_E_clISt17integral_constantIbLb1EESY_IbLb0EEEEDaSU_SV_EUlSU_E_NS1_11comp_targetILNS1_3genE4ELNS1_11target_archE910ELNS1_3gpuE8ELNS1_3repE0EEENS1_30default_config_static_selectorELNS0_4arch9wavefront6targetE1EEEvT1_,comdat
	.protected	_ZN7rocprim17ROCPRIM_400000_NS6detail17trampoline_kernelINS0_14default_configENS1_27scan_by_key_config_selectorIssEEZZNS1_16scan_by_key_implILNS1_25lookback_scan_determinismE0ELb1ES3_N6thrust23THRUST_200600_302600_NS6detail15normal_iteratorINS9_10device_ptrIsEEEESE_SE_sNS9_4plusIvEENS9_8equal_toIvEEsEE10hipError_tPvRmT2_T3_T4_T5_mT6_T7_P12ihipStream_tbENKUlT_T0_E_clISt17integral_constantIbLb1EESY_IbLb0EEEEDaSU_SV_EUlSU_E_NS1_11comp_targetILNS1_3genE4ELNS1_11target_archE910ELNS1_3gpuE8ELNS1_3repE0EEENS1_30default_config_static_selectorELNS0_4arch9wavefront6targetE1EEEvT1_ ; -- Begin function _ZN7rocprim17ROCPRIM_400000_NS6detail17trampoline_kernelINS0_14default_configENS1_27scan_by_key_config_selectorIssEEZZNS1_16scan_by_key_implILNS1_25lookback_scan_determinismE0ELb1ES3_N6thrust23THRUST_200600_302600_NS6detail15normal_iteratorINS9_10device_ptrIsEEEESE_SE_sNS9_4plusIvEENS9_8equal_toIvEEsEE10hipError_tPvRmT2_T3_T4_T5_mT6_T7_P12ihipStream_tbENKUlT_T0_E_clISt17integral_constantIbLb1EESY_IbLb0EEEEDaSU_SV_EUlSU_E_NS1_11comp_targetILNS1_3genE4ELNS1_11target_archE910ELNS1_3gpuE8ELNS1_3repE0EEENS1_30default_config_static_selectorELNS0_4arch9wavefront6targetE1EEEvT1_
	.globl	_ZN7rocprim17ROCPRIM_400000_NS6detail17trampoline_kernelINS0_14default_configENS1_27scan_by_key_config_selectorIssEEZZNS1_16scan_by_key_implILNS1_25lookback_scan_determinismE0ELb1ES3_N6thrust23THRUST_200600_302600_NS6detail15normal_iteratorINS9_10device_ptrIsEEEESE_SE_sNS9_4plusIvEENS9_8equal_toIvEEsEE10hipError_tPvRmT2_T3_T4_T5_mT6_T7_P12ihipStream_tbENKUlT_T0_E_clISt17integral_constantIbLb1EESY_IbLb0EEEEDaSU_SV_EUlSU_E_NS1_11comp_targetILNS1_3genE4ELNS1_11target_archE910ELNS1_3gpuE8ELNS1_3repE0EEENS1_30default_config_static_selectorELNS0_4arch9wavefront6targetE1EEEvT1_
	.p2align	8
	.type	_ZN7rocprim17ROCPRIM_400000_NS6detail17trampoline_kernelINS0_14default_configENS1_27scan_by_key_config_selectorIssEEZZNS1_16scan_by_key_implILNS1_25lookback_scan_determinismE0ELb1ES3_N6thrust23THRUST_200600_302600_NS6detail15normal_iteratorINS9_10device_ptrIsEEEESE_SE_sNS9_4plusIvEENS9_8equal_toIvEEsEE10hipError_tPvRmT2_T3_T4_T5_mT6_T7_P12ihipStream_tbENKUlT_T0_E_clISt17integral_constantIbLb1EESY_IbLb0EEEEDaSU_SV_EUlSU_E_NS1_11comp_targetILNS1_3genE4ELNS1_11target_archE910ELNS1_3gpuE8ELNS1_3repE0EEENS1_30default_config_static_selectorELNS0_4arch9wavefront6targetE1EEEvT1_,@function
_ZN7rocprim17ROCPRIM_400000_NS6detail17trampoline_kernelINS0_14default_configENS1_27scan_by_key_config_selectorIssEEZZNS1_16scan_by_key_implILNS1_25lookback_scan_determinismE0ELb1ES3_N6thrust23THRUST_200600_302600_NS6detail15normal_iteratorINS9_10device_ptrIsEEEESE_SE_sNS9_4plusIvEENS9_8equal_toIvEEsEE10hipError_tPvRmT2_T3_T4_T5_mT6_T7_P12ihipStream_tbENKUlT_T0_E_clISt17integral_constantIbLb1EESY_IbLb0EEEEDaSU_SV_EUlSU_E_NS1_11comp_targetILNS1_3genE4ELNS1_11target_archE910ELNS1_3gpuE8ELNS1_3repE0EEENS1_30default_config_static_selectorELNS0_4arch9wavefront6targetE1EEEvT1_: ; @_ZN7rocprim17ROCPRIM_400000_NS6detail17trampoline_kernelINS0_14default_configENS1_27scan_by_key_config_selectorIssEEZZNS1_16scan_by_key_implILNS1_25lookback_scan_determinismE0ELb1ES3_N6thrust23THRUST_200600_302600_NS6detail15normal_iteratorINS9_10device_ptrIsEEEESE_SE_sNS9_4plusIvEENS9_8equal_toIvEEsEE10hipError_tPvRmT2_T3_T4_T5_mT6_T7_P12ihipStream_tbENKUlT_T0_E_clISt17integral_constantIbLb1EESY_IbLb0EEEEDaSU_SV_EUlSU_E_NS1_11comp_targetILNS1_3genE4ELNS1_11target_archE910ELNS1_3gpuE8ELNS1_3repE0EEENS1_30default_config_static_selectorELNS0_4arch9wavefront6targetE1EEEvT1_
; %bb.0:
	.section	.rodata,"a",@progbits
	.p2align	6, 0x0
	.amdhsa_kernel _ZN7rocprim17ROCPRIM_400000_NS6detail17trampoline_kernelINS0_14default_configENS1_27scan_by_key_config_selectorIssEEZZNS1_16scan_by_key_implILNS1_25lookback_scan_determinismE0ELb1ES3_N6thrust23THRUST_200600_302600_NS6detail15normal_iteratorINS9_10device_ptrIsEEEESE_SE_sNS9_4plusIvEENS9_8equal_toIvEEsEE10hipError_tPvRmT2_T3_T4_T5_mT6_T7_P12ihipStream_tbENKUlT_T0_E_clISt17integral_constantIbLb1EESY_IbLb0EEEEDaSU_SV_EUlSU_E_NS1_11comp_targetILNS1_3genE4ELNS1_11target_archE910ELNS1_3gpuE8ELNS1_3repE0EEENS1_30default_config_static_selectorELNS0_4arch9wavefront6targetE1EEEvT1_
		.amdhsa_group_segment_fixed_size 0
		.amdhsa_private_segment_fixed_size 0
		.amdhsa_kernarg_size 112
		.amdhsa_user_sgpr_count 2
		.amdhsa_user_sgpr_dispatch_ptr 0
		.amdhsa_user_sgpr_queue_ptr 0
		.amdhsa_user_sgpr_kernarg_segment_ptr 1
		.amdhsa_user_sgpr_dispatch_id 0
		.amdhsa_user_sgpr_kernarg_preload_length 0
		.amdhsa_user_sgpr_kernarg_preload_offset 0
		.amdhsa_user_sgpr_private_segment_size 0
		.amdhsa_uses_dynamic_stack 0
		.amdhsa_enable_private_segment 0
		.amdhsa_system_sgpr_workgroup_id_x 1
		.amdhsa_system_sgpr_workgroup_id_y 0
		.amdhsa_system_sgpr_workgroup_id_z 0
		.amdhsa_system_sgpr_workgroup_info 0
		.amdhsa_system_vgpr_workitem_id 0
		.amdhsa_next_free_vgpr 1
		.amdhsa_next_free_sgpr 0
		.amdhsa_accum_offset 4
		.amdhsa_reserve_vcc 0
		.amdhsa_float_round_mode_32 0
		.amdhsa_float_round_mode_16_64 0
		.amdhsa_float_denorm_mode_32 3
		.amdhsa_float_denorm_mode_16_64 3
		.amdhsa_dx10_clamp 1
		.amdhsa_ieee_mode 1
		.amdhsa_fp16_overflow 0
		.amdhsa_tg_split 0
		.amdhsa_exception_fp_ieee_invalid_op 0
		.amdhsa_exception_fp_denorm_src 0
		.amdhsa_exception_fp_ieee_div_zero 0
		.amdhsa_exception_fp_ieee_overflow 0
		.amdhsa_exception_fp_ieee_underflow 0
		.amdhsa_exception_fp_ieee_inexact 0
		.amdhsa_exception_int_div_zero 0
	.end_amdhsa_kernel
	.section	.text._ZN7rocprim17ROCPRIM_400000_NS6detail17trampoline_kernelINS0_14default_configENS1_27scan_by_key_config_selectorIssEEZZNS1_16scan_by_key_implILNS1_25lookback_scan_determinismE0ELb1ES3_N6thrust23THRUST_200600_302600_NS6detail15normal_iteratorINS9_10device_ptrIsEEEESE_SE_sNS9_4plusIvEENS9_8equal_toIvEEsEE10hipError_tPvRmT2_T3_T4_T5_mT6_T7_P12ihipStream_tbENKUlT_T0_E_clISt17integral_constantIbLb1EESY_IbLb0EEEEDaSU_SV_EUlSU_E_NS1_11comp_targetILNS1_3genE4ELNS1_11target_archE910ELNS1_3gpuE8ELNS1_3repE0EEENS1_30default_config_static_selectorELNS0_4arch9wavefront6targetE1EEEvT1_,"axG",@progbits,_ZN7rocprim17ROCPRIM_400000_NS6detail17trampoline_kernelINS0_14default_configENS1_27scan_by_key_config_selectorIssEEZZNS1_16scan_by_key_implILNS1_25lookback_scan_determinismE0ELb1ES3_N6thrust23THRUST_200600_302600_NS6detail15normal_iteratorINS9_10device_ptrIsEEEESE_SE_sNS9_4plusIvEENS9_8equal_toIvEEsEE10hipError_tPvRmT2_T3_T4_T5_mT6_T7_P12ihipStream_tbENKUlT_T0_E_clISt17integral_constantIbLb1EESY_IbLb0EEEEDaSU_SV_EUlSU_E_NS1_11comp_targetILNS1_3genE4ELNS1_11target_archE910ELNS1_3gpuE8ELNS1_3repE0EEENS1_30default_config_static_selectorELNS0_4arch9wavefront6targetE1EEEvT1_,comdat
.Lfunc_end590:
	.size	_ZN7rocprim17ROCPRIM_400000_NS6detail17trampoline_kernelINS0_14default_configENS1_27scan_by_key_config_selectorIssEEZZNS1_16scan_by_key_implILNS1_25lookback_scan_determinismE0ELb1ES3_N6thrust23THRUST_200600_302600_NS6detail15normal_iteratorINS9_10device_ptrIsEEEESE_SE_sNS9_4plusIvEENS9_8equal_toIvEEsEE10hipError_tPvRmT2_T3_T4_T5_mT6_T7_P12ihipStream_tbENKUlT_T0_E_clISt17integral_constantIbLb1EESY_IbLb0EEEEDaSU_SV_EUlSU_E_NS1_11comp_targetILNS1_3genE4ELNS1_11target_archE910ELNS1_3gpuE8ELNS1_3repE0EEENS1_30default_config_static_selectorELNS0_4arch9wavefront6targetE1EEEvT1_, .Lfunc_end590-_ZN7rocprim17ROCPRIM_400000_NS6detail17trampoline_kernelINS0_14default_configENS1_27scan_by_key_config_selectorIssEEZZNS1_16scan_by_key_implILNS1_25lookback_scan_determinismE0ELb1ES3_N6thrust23THRUST_200600_302600_NS6detail15normal_iteratorINS9_10device_ptrIsEEEESE_SE_sNS9_4plusIvEENS9_8equal_toIvEEsEE10hipError_tPvRmT2_T3_T4_T5_mT6_T7_P12ihipStream_tbENKUlT_T0_E_clISt17integral_constantIbLb1EESY_IbLb0EEEEDaSU_SV_EUlSU_E_NS1_11comp_targetILNS1_3genE4ELNS1_11target_archE910ELNS1_3gpuE8ELNS1_3repE0EEENS1_30default_config_static_selectorELNS0_4arch9wavefront6targetE1EEEvT1_
                                        ; -- End function
	.section	.AMDGPU.csdata,"",@progbits
; Kernel info:
; codeLenInByte = 0
; NumSgprs: 6
; NumVgprs: 0
; NumAgprs: 0
; TotalNumVgprs: 0
; ScratchSize: 0
; MemoryBound: 0
; FloatMode: 240
; IeeeMode: 1
; LDSByteSize: 0 bytes/workgroup (compile time only)
; SGPRBlocks: 0
; VGPRBlocks: 0
; NumSGPRsForWavesPerEU: 6
; NumVGPRsForWavesPerEU: 1
; AccumOffset: 4
; Occupancy: 8
; WaveLimiterHint : 0
; COMPUTE_PGM_RSRC2:SCRATCH_EN: 0
; COMPUTE_PGM_RSRC2:USER_SGPR: 2
; COMPUTE_PGM_RSRC2:TRAP_HANDLER: 0
; COMPUTE_PGM_RSRC2:TGID_X_EN: 1
; COMPUTE_PGM_RSRC2:TGID_Y_EN: 0
; COMPUTE_PGM_RSRC2:TGID_Z_EN: 0
; COMPUTE_PGM_RSRC2:TIDIG_COMP_CNT: 0
; COMPUTE_PGM_RSRC3_GFX90A:ACCUM_OFFSET: 0
; COMPUTE_PGM_RSRC3_GFX90A:TG_SPLIT: 0
	.section	.text._ZN7rocprim17ROCPRIM_400000_NS6detail17trampoline_kernelINS0_14default_configENS1_27scan_by_key_config_selectorIssEEZZNS1_16scan_by_key_implILNS1_25lookback_scan_determinismE0ELb1ES3_N6thrust23THRUST_200600_302600_NS6detail15normal_iteratorINS9_10device_ptrIsEEEESE_SE_sNS9_4plusIvEENS9_8equal_toIvEEsEE10hipError_tPvRmT2_T3_T4_T5_mT6_T7_P12ihipStream_tbENKUlT_T0_E_clISt17integral_constantIbLb1EESY_IbLb0EEEEDaSU_SV_EUlSU_E_NS1_11comp_targetILNS1_3genE3ELNS1_11target_archE908ELNS1_3gpuE7ELNS1_3repE0EEENS1_30default_config_static_selectorELNS0_4arch9wavefront6targetE1EEEvT1_,"axG",@progbits,_ZN7rocprim17ROCPRIM_400000_NS6detail17trampoline_kernelINS0_14default_configENS1_27scan_by_key_config_selectorIssEEZZNS1_16scan_by_key_implILNS1_25lookback_scan_determinismE0ELb1ES3_N6thrust23THRUST_200600_302600_NS6detail15normal_iteratorINS9_10device_ptrIsEEEESE_SE_sNS9_4plusIvEENS9_8equal_toIvEEsEE10hipError_tPvRmT2_T3_T4_T5_mT6_T7_P12ihipStream_tbENKUlT_T0_E_clISt17integral_constantIbLb1EESY_IbLb0EEEEDaSU_SV_EUlSU_E_NS1_11comp_targetILNS1_3genE3ELNS1_11target_archE908ELNS1_3gpuE7ELNS1_3repE0EEENS1_30default_config_static_selectorELNS0_4arch9wavefront6targetE1EEEvT1_,comdat
	.protected	_ZN7rocprim17ROCPRIM_400000_NS6detail17trampoline_kernelINS0_14default_configENS1_27scan_by_key_config_selectorIssEEZZNS1_16scan_by_key_implILNS1_25lookback_scan_determinismE0ELb1ES3_N6thrust23THRUST_200600_302600_NS6detail15normal_iteratorINS9_10device_ptrIsEEEESE_SE_sNS9_4plusIvEENS9_8equal_toIvEEsEE10hipError_tPvRmT2_T3_T4_T5_mT6_T7_P12ihipStream_tbENKUlT_T0_E_clISt17integral_constantIbLb1EESY_IbLb0EEEEDaSU_SV_EUlSU_E_NS1_11comp_targetILNS1_3genE3ELNS1_11target_archE908ELNS1_3gpuE7ELNS1_3repE0EEENS1_30default_config_static_selectorELNS0_4arch9wavefront6targetE1EEEvT1_ ; -- Begin function _ZN7rocprim17ROCPRIM_400000_NS6detail17trampoline_kernelINS0_14default_configENS1_27scan_by_key_config_selectorIssEEZZNS1_16scan_by_key_implILNS1_25lookback_scan_determinismE0ELb1ES3_N6thrust23THRUST_200600_302600_NS6detail15normal_iteratorINS9_10device_ptrIsEEEESE_SE_sNS9_4plusIvEENS9_8equal_toIvEEsEE10hipError_tPvRmT2_T3_T4_T5_mT6_T7_P12ihipStream_tbENKUlT_T0_E_clISt17integral_constantIbLb1EESY_IbLb0EEEEDaSU_SV_EUlSU_E_NS1_11comp_targetILNS1_3genE3ELNS1_11target_archE908ELNS1_3gpuE7ELNS1_3repE0EEENS1_30default_config_static_selectorELNS0_4arch9wavefront6targetE1EEEvT1_
	.globl	_ZN7rocprim17ROCPRIM_400000_NS6detail17trampoline_kernelINS0_14default_configENS1_27scan_by_key_config_selectorIssEEZZNS1_16scan_by_key_implILNS1_25lookback_scan_determinismE0ELb1ES3_N6thrust23THRUST_200600_302600_NS6detail15normal_iteratorINS9_10device_ptrIsEEEESE_SE_sNS9_4plusIvEENS9_8equal_toIvEEsEE10hipError_tPvRmT2_T3_T4_T5_mT6_T7_P12ihipStream_tbENKUlT_T0_E_clISt17integral_constantIbLb1EESY_IbLb0EEEEDaSU_SV_EUlSU_E_NS1_11comp_targetILNS1_3genE3ELNS1_11target_archE908ELNS1_3gpuE7ELNS1_3repE0EEENS1_30default_config_static_selectorELNS0_4arch9wavefront6targetE1EEEvT1_
	.p2align	8
	.type	_ZN7rocprim17ROCPRIM_400000_NS6detail17trampoline_kernelINS0_14default_configENS1_27scan_by_key_config_selectorIssEEZZNS1_16scan_by_key_implILNS1_25lookback_scan_determinismE0ELb1ES3_N6thrust23THRUST_200600_302600_NS6detail15normal_iteratorINS9_10device_ptrIsEEEESE_SE_sNS9_4plusIvEENS9_8equal_toIvEEsEE10hipError_tPvRmT2_T3_T4_T5_mT6_T7_P12ihipStream_tbENKUlT_T0_E_clISt17integral_constantIbLb1EESY_IbLb0EEEEDaSU_SV_EUlSU_E_NS1_11comp_targetILNS1_3genE3ELNS1_11target_archE908ELNS1_3gpuE7ELNS1_3repE0EEENS1_30default_config_static_selectorELNS0_4arch9wavefront6targetE1EEEvT1_,@function
_ZN7rocprim17ROCPRIM_400000_NS6detail17trampoline_kernelINS0_14default_configENS1_27scan_by_key_config_selectorIssEEZZNS1_16scan_by_key_implILNS1_25lookback_scan_determinismE0ELb1ES3_N6thrust23THRUST_200600_302600_NS6detail15normal_iteratorINS9_10device_ptrIsEEEESE_SE_sNS9_4plusIvEENS9_8equal_toIvEEsEE10hipError_tPvRmT2_T3_T4_T5_mT6_T7_P12ihipStream_tbENKUlT_T0_E_clISt17integral_constantIbLb1EESY_IbLb0EEEEDaSU_SV_EUlSU_E_NS1_11comp_targetILNS1_3genE3ELNS1_11target_archE908ELNS1_3gpuE7ELNS1_3repE0EEENS1_30default_config_static_selectorELNS0_4arch9wavefront6targetE1EEEvT1_: ; @_ZN7rocprim17ROCPRIM_400000_NS6detail17trampoline_kernelINS0_14default_configENS1_27scan_by_key_config_selectorIssEEZZNS1_16scan_by_key_implILNS1_25lookback_scan_determinismE0ELb1ES3_N6thrust23THRUST_200600_302600_NS6detail15normal_iteratorINS9_10device_ptrIsEEEESE_SE_sNS9_4plusIvEENS9_8equal_toIvEEsEE10hipError_tPvRmT2_T3_T4_T5_mT6_T7_P12ihipStream_tbENKUlT_T0_E_clISt17integral_constantIbLb1EESY_IbLb0EEEEDaSU_SV_EUlSU_E_NS1_11comp_targetILNS1_3genE3ELNS1_11target_archE908ELNS1_3gpuE7ELNS1_3repE0EEENS1_30default_config_static_selectorELNS0_4arch9wavefront6targetE1EEEvT1_
; %bb.0:
	.section	.rodata,"a",@progbits
	.p2align	6, 0x0
	.amdhsa_kernel _ZN7rocprim17ROCPRIM_400000_NS6detail17trampoline_kernelINS0_14default_configENS1_27scan_by_key_config_selectorIssEEZZNS1_16scan_by_key_implILNS1_25lookback_scan_determinismE0ELb1ES3_N6thrust23THRUST_200600_302600_NS6detail15normal_iteratorINS9_10device_ptrIsEEEESE_SE_sNS9_4plusIvEENS9_8equal_toIvEEsEE10hipError_tPvRmT2_T3_T4_T5_mT6_T7_P12ihipStream_tbENKUlT_T0_E_clISt17integral_constantIbLb1EESY_IbLb0EEEEDaSU_SV_EUlSU_E_NS1_11comp_targetILNS1_3genE3ELNS1_11target_archE908ELNS1_3gpuE7ELNS1_3repE0EEENS1_30default_config_static_selectorELNS0_4arch9wavefront6targetE1EEEvT1_
		.amdhsa_group_segment_fixed_size 0
		.amdhsa_private_segment_fixed_size 0
		.amdhsa_kernarg_size 112
		.amdhsa_user_sgpr_count 2
		.amdhsa_user_sgpr_dispatch_ptr 0
		.amdhsa_user_sgpr_queue_ptr 0
		.amdhsa_user_sgpr_kernarg_segment_ptr 1
		.amdhsa_user_sgpr_dispatch_id 0
		.amdhsa_user_sgpr_kernarg_preload_length 0
		.amdhsa_user_sgpr_kernarg_preload_offset 0
		.amdhsa_user_sgpr_private_segment_size 0
		.amdhsa_uses_dynamic_stack 0
		.amdhsa_enable_private_segment 0
		.amdhsa_system_sgpr_workgroup_id_x 1
		.amdhsa_system_sgpr_workgroup_id_y 0
		.amdhsa_system_sgpr_workgroup_id_z 0
		.amdhsa_system_sgpr_workgroup_info 0
		.amdhsa_system_vgpr_workitem_id 0
		.amdhsa_next_free_vgpr 1
		.amdhsa_next_free_sgpr 0
		.amdhsa_accum_offset 4
		.amdhsa_reserve_vcc 0
		.amdhsa_float_round_mode_32 0
		.amdhsa_float_round_mode_16_64 0
		.amdhsa_float_denorm_mode_32 3
		.amdhsa_float_denorm_mode_16_64 3
		.amdhsa_dx10_clamp 1
		.amdhsa_ieee_mode 1
		.amdhsa_fp16_overflow 0
		.amdhsa_tg_split 0
		.amdhsa_exception_fp_ieee_invalid_op 0
		.amdhsa_exception_fp_denorm_src 0
		.amdhsa_exception_fp_ieee_div_zero 0
		.amdhsa_exception_fp_ieee_overflow 0
		.amdhsa_exception_fp_ieee_underflow 0
		.amdhsa_exception_fp_ieee_inexact 0
		.amdhsa_exception_int_div_zero 0
	.end_amdhsa_kernel
	.section	.text._ZN7rocprim17ROCPRIM_400000_NS6detail17trampoline_kernelINS0_14default_configENS1_27scan_by_key_config_selectorIssEEZZNS1_16scan_by_key_implILNS1_25lookback_scan_determinismE0ELb1ES3_N6thrust23THRUST_200600_302600_NS6detail15normal_iteratorINS9_10device_ptrIsEEEESE_SE_sNS9_4plusIvEENS9_8equal_toIvEEsEE10hipError_tPvRmT2_T3_T4_T5_mT6_T7_P12ihipStream_tbENKUlT_T0_E_clISt17integral_constantIbLb1EESY_IbLb0EEEEDaSU_SV_EUlSU_E_NS1_11comp_targetILNS1_3genE3ELNS1_11target_archE908ELNS1_3gpuE7ELNS1_3repE0EEENS1_30default_config_static_selectorELNS0_4arch9wavefront6targetE1EEEvT1_,"axG",@progbits,_ZN7rocprim17ROCPRIM_400000_NS6detail17trampoline_kernelINS0_14default_configENS1_27scan_by_key_config_selectorIssEEZZNS1_16scan_by_key_implILNS1_25lookback_scan_determinismE0ELb1ES3_N6thrust23THRUST_200600_302600_NS6detail15normal_iteratorINS9_10device_ptrIsEEEESE_SE_sNS9_4plusIvEENS9_8equal_toIvEEsEE10hipError_tPvRmT2_T3_T4_T5_mT6_T7_P12ihipStream_tbENKUlT_T0_E_clISt17integral_constantIbLb1EESY_IbLb0EEEEDaSU_SV_EUlSU_E_NS1_11comp_targetILNS1_3genE3ELNS1_11target_archE908ELNS1_3gpuE7ELNS1_3repE0EEENS1_30default_config_static_selectorELNS0_4arch9wavefront6targetE1EEEvT1_,comdat
.Lfunc_end591:
	.size	_ZN7rocprim17ROCPRIM_400000_NS6detail17trampoline_kernelINS0_14default_configENS1_27scan_by_key_config_selectorIssEEZZNS1_16scan_by_key_implILNS1_25lookback_scan_determinismE0ELb1ES3_N6thrust23THRUST_200600_302600_NS6detail15normal_iteratorINS9_10device_ptrIsEEEESE_SE_sNS9_4plusIvEENS9_8equal_toIvEEsEE10hipError_tPvRmT2_T3_T4_T5_mT6_T7_P12ihipStream_tbENKUlT_T0_E_clISt17integral_constantIbLb1EESY_IbLb0EEEEDaSU_SV_EUlSU_E_NS1_11comp_targetILNS1_3genE3ELNS1_11target_archE908ELNS1_3gpuE7ELNS1_3repE0EEENS1_30default_config_static_selectorELNS0_4arch9wavefront6targetE1EEEvT1_, .Lfunc_end591-_ZN7rocprim17ROCPRIM_400000_NS6detail17trampoline_kernelINS0_14default_configENS1_27scan_by_key_config_selectorIssEEZZNS1_16scan_by_key_implILNS1_25lookback_scan_determinismE0ELb1ES3_N6thrust23THRUST_200600_302600_NS6detail15normal_iteratorINS9_10device_ptrIsEEEESE_SE_sNS9_4plusIvEENS9_8equal_toIvEEsEE10hipError_tPvRmT2_T3_T4_T5_mT6_T7_P12ihipStream_tbENKUlT_T0_E_clISt17integral_constantIbLb1EESY_IbLb0EEEEDaSU_SV_EUlSU_E_NS1_11comp_targetILNS1_3genE3ELNS1_11target_archE908ELNS1_3gpuE7ELNS1_3repE0EEENS1_30default_config_static_selectorELNS0_4arch9wavefront6targetE1EEEvT1_
                                        ; -- End function
	.section	.AMDGPU.csdata,"",@progbits
; Kernel info:
; codeLenInByte = 0
; NumSgprs: 6
; NumVgprs: 0
; NumAgprs: 0
; TotalNumVgprs: 0
; ScratchSize: 0
; MemoryBound: 0
; FloatMode: 240
; IeeeMode: 1
; LDSByteSize: 0 bytes/workgroup (compile time only)
; SGPRBlocks: 0
; VGPRBlocks: 0
; NumSGPRsForWavesPerEU: 6
; NumVGPRsForWavesPerEU: 1
; AccumOffset: 4
; Occupancy: 8
; WaveLimiterHint : 0
; COMPUTE_PGM_RSRC2:SCRATCH_EN: 0
; COMPUTE_PGM_RSRC2:USER_SGPR: 2
; COMPUTE_PGM_RSRC2:TRAP_HANDLER: 0
; COMPUTE_PGM_RSRC2:TGID_X_EN: 1
; COMPUTE_PGM_RSRC2:TGID_Y_EN: 0
; COMPUTE_PGM_RSRC2:TGID_Z_EN: 0
; COMPUTE_PGM_RSRC2:TIDIG_COMP_CNT: 0
; COMPUTE_PGM_RSRC3_GFX90A:ACCUM_OFFSET: 0
; COMPUTE_PGM_RSRC3_GFX90A:TG_SPLIT: 0
	.section	.text._ZN7rocprim17ROCPRIM_400000_NS6detail17trampoline_kernelINS0_14default_configENS1_27scan_by_key_config_selectorIssEEZZNS1_16scan_by_key_implILNS1_25lookback_scan_determinismE0ELb1ES3_N6thrust23THRUST_200600_302600_NS6detail15normal_iteratorINS9_10device_ptrIsEEEESE_SE_sNS9_4plusIvEENS9_8equal_toIvEEsEE10hipError_tPvRmT2_T3_T4_T5_mT6_T7_P12ihipStream_tbENKUlT_T0_E_clISt17integral_constantIbLb1EESY_IbLb0EEEEDaSU_SV_EUlSU_E_NS1_11comp_targetILNS1_3genE2ELNS1_11target_archE906ELNS1_3gpuE6ELNS1_3repE0EEENS1_30default_config_static_selectorELNS0_4arch9wavefront6targetE1EEEvT1_,"axG",@progbits,_ZN7rocprim17ROCPRIM_400000_NS6detail17trampoline_kernelINS0_14default_configENS1_27scan_by_key_config_selectorIssEEZZNS1_16scan_by_key_implILNS1_25lookback_scan_determinismE0ELb1ES3_N6thrust23THRUST_200600_302600_NS6detail15normal_iteratorINS9_10device_ptrIsEEEESE_SE_sNS9_4plusIvEENS9_8equal_toIvEEsEE10hipError_tPvRmT2_T3_T4_T5_mT6_T7_P12ihipStream_tbENKUlT_T0_E_clISt17integral_constantIbLb1EESY_IbLb0EEEEDaSU_SV_EUlSU_E_NS1_11comp_targetILNS1_3genE2ELNS1_11target_archE906ELNS1_3gpuE6ELNS1_3repE0EEENS1_30default_config_static_selectorELNS0_4arch9wavefront6targetE1EEEvT1_,comdat
	.protected	_ZN7rocprim17ROCPRIM_400000_NS6detail17trampoline_kernelINS0_14default_configENS1_27scan_by_key_config_selectorIssEEZZNS1_16scan_by_key_implILNS1_25lookback_scan_determinismE0ELb1ES3_N6thrust23THRUST_200600_302600_NS6detail15normal_iteratorINS9_10device_ptrIsEEEESE_SE_sNS9_4plusIvEENS9_8equal_toIvEEsEE10hipError_tPvRmT2_T3_T4_T5_mT6_T7_P12ihipStream_tbENKUlT_T0_E_clISt17integral_constantIbLb1EESY_IbLb0EEEEDaSU_SV_EUlSU_E_NS1_11comp_targetILNS1_3genE2ELNS1_11target_archE906ELNS1_3gpuE6ELNS1_3repE0EEENS1_30default_config_static_selectorELNS0_4arch9wavefront6targetE1EEEvT1_ ; -- Begin function _ZN7rocprim17ROCPRIM_400000_NS6detail17trampoline_kernelINS0_14default_configENS1_27scan_by_key_config_selectorIssEEZZNS1_16scan_by_key_implILNS1_25lookback_scan_determinismE0ELb1ES3_N6thrust23THRUST_200600_302600_NS6detail15normal_iteratorINS9_10device_ptrIsEEEESE_SE_sNS9_4plusIvEENS9_8equal_toIvEEsEE10hipError_tPvRmT2_T3_T4_T5_mT6_T7_P12ihipStream_tbENKUlT_T0_E_clISt17integral_constantIbLb1EESY_IbLb0EEEEDaSU_SV_EUlSU_E_NS1_11comp_targetILNS1_3genE2ELNS1_11target_archE906ELNS1_3gpuE6ELNS1_3repE0EEENS1_30default_config_static_selectorELNS0_4arch9wavefront6targetE1EEEvT1_
	.globl	_ZN7rocprim17ROCPRIM_400000_NS6detail17trampoline_kernelINS0_14default_configENS1_27scan_by_key_config_selectorIssEEZZNS1_16scan_by_key_implILNS1_25lookback_scan_determinismE0ELb1ES3_N6thrust23THRUST_200600_302600_NS6detail15normal_iteratorINS9_10device_ptrIsEEEESE_SE_sNS9_4plusIvEENS9_8equal_toIvEEsEE10hipError_tPvRmT2_T3_T4_T5_mT6_T7_P12ihipStream_tbENKUlT_T0_E_clISt17integral_constantIbLb1EESY_IbLb0EEEEDaSU_SV_EUlSU_E_NS1_11comp_targetILNS1_3genE2ELNS1_11target_archE906ELNS1_3gpuE6ELNS1_3repE0EEENS1_30default_config_static_selectorELNS0_4arch9wavefront6targetE1EEEvT1_
	.p2align	8
	.type	_ZN7rocprim17ROCPRIM_400000_NS6detail17trampoline_kernelINS0_14default_configENS1_27scan_by_key_config_selectorIssEEZZNS1_16scan_by_key_implILNS1_25lookback_scan_determinismE0ELb1ES3_N6thrust23THRUST_200600_302600_NS6detail15normal_iteratorINS9_10device_ptrIsEEEESE_SE_sNS9_4plusIvEENS9_8equal_toIvEEsEE10hipError_tPvRmT2_T3_T4_T5_mT6_T7_P12ihipStream_tbENKUlT_T0_E_clISt17integral_constantIbLb1EESY_IbLb0EEEEDaSU_SV_EUlSU_E_NS1_11comp_targetILNS1_3genE2ELNS1_11target_archE906ELNS1_3gpuE6ELNS1_3repE0EEENS1_30default_config_static_selectorELNS0_4arch9wavefront6targetE1EEEvT1_,@function
_ZN7rocprim17ROCPRIM_400000_NS6detail17trampoline_kernelINS0_14default_configENS1_27scan_by_key_config_selectorIssEEZZNS1_16scan_by_key_implILNS1_25lookback_scan_determinismE0ELb1ES3_N6thrust23THRUST_200600_302600_NS6detail15normal_iteratorINS9_10device_ptrIsEEEESE_SE_sNS9_4plusIvEENS9_8equal_toIvEEsEE10hipError_tPvRmT2_T3_T4_T5_mT6_T7_P12ihipStream_tbENKUlT_T0_E_clISt17integral_constantIbLb1EESY_IbLb0EEEEDaSU_SV_EUlSU_E_NS1_11comp_targetILNS1_3genE2ELNS1_11target_archE906ELNS1_3gpuE6ELNS1_3repE0EEENS1_30default_config_static_selectorELNS0_4arch9wavefront6targetE1EEEvT1_: ; @_ZN7rocprim17ROCPRIM_400000_NS6detail17trampoline_kernelINS0_14default_configENS1_27scan_by_key_config_selectorIssEEZZNS1_16scan_by_key_implILNS1_25lookback_scan_determinismE0ELb1ES3_N6thrust23THRUST_200600_302600_NS6detail15normal_iteratorINS9_10device_ptrIsEEEESE_SE_sNS9_4plusIvEENS9_8equal_toIvEEsEE10hipError_tPvRmT2_T3_T4_T5_mT6_T7_P12ihipStream_tbENKUlT_T0_E_clISt17integral_constantIbLb1EESY_IbLb0EEEEDaSU_SV_EUlSU_E_NS1_11comp_targetILNS1_3genE2ELNS1_11target_archE906ELNS1_3gpuE6ELNS1_3repE0EEENS1_30default_config_static_selectorELNS0_4arch9wavefront6targetE1EEEvT1_
; %bb.0:
	.section	.rodata,"a",@progbits
	.p2align	6, 0x0
	.amdhsa_kernel _ZN7rocprim17ROCPRIM_400000_NS6detail17trampoline_kernelINS0_14default_configENS1_27scan_by_key_config_selectorIssEEZZNS1_16scan_by_key_implILNS1_25lookback_scan_determinismE0ELb1ES3_N6thrust23THRUST_200600_302600_NS6detail15normal_iteratorINS9_10device_ptrIsEEEESE_SE_sNS9_4plusIvEENS9_8equal_toIvEEsEE10hipError_tPvRmT2_T3_T4_T5_mT6_T7_P12ihipStream_tbENKUlT_T0_E_clISt17integral_constantIbLb1EESY_IbLb0EEEEDaSU_SV_EUlSU_E_NS1_11comp_targetILNS1_3genE2ELNS1_11target_archE906ELNS1_3gpuE6ELNS1_3repE0EEENS1_30default_config_static_selectorELNS0_4arch9wavefront6targetE1EEEvT1_
		.amdhsa_group_segment_fixed_size 0
		.amdhsa_private_segment_fixed_size 0
		.amdhsa_kernarg_size 112
		.amdhsa_user_sgpr_count 2
		.amdhsa_user_sgpr_dispatch_ptr 0
		.amdhsa_user_sgpr_queue_ptr 0
		.amdhsa_user_sgpr_kernarg_segment_ptr 1
		.amdhsa_user_sgpr_dispatch_id 0
		.amdhsa_user_sgpr_kernarg_preload_length 0
		.amdhsa_user_sgpr_kernarg_preload_offset 0
		.amdhsa_user_sgpr_private_segment_size 0
		.amdhsa_uses_dynamic_stack 0
		.amdhsa_enable_private_segment 0
		.amdhsa_system_sgpr_workgroup_id_x 1
		.amdhsa_system_sgpr_workgroup_id_y 0
		.amdhsa_system_sgpr_workgroup_id_z 0
		.amdhsa_system_sgpr_workgroup_info 0
		.amdhsa_system_vgpr_workitem_id 0
		.amdhsa_next_free_vgpr 1
		.amdhsa_next_free_sgpr 0
		.amdhsa_accum_offset 4
		.amdhsa_reserve_vcc 0
		.amdhsa_float_round_mode_32 0
		.amdhsa_float_round_mode_16_64 0
		.amdhsa_float_denorm_mode_32 3
		.amdhsa_float_denorm_mode_16_64 3
		.amdhsa_dx10_clamp 1
		.amdhsa_ieee_mode 1
		.amdhsa_fp16_overflow 0
		.amdhsa_tg_split 0
		.amdhsa_exception_fp_ieee_invalid_op 0
		.amdhsa_exception_fp_denorm_src 0
		.amdhsa_exception_fp_ieee_div_zero 0
		.amdhsa_exception_fp_ieee_overflow 0
		.amdhsa_exception_fp_ieee_underflow 0
		.amdhsa_exception_fp_ieee_inexact 0
		.amdhsa_exception_int_div_zero 0
	.end_amdhsa_kernel
	.section	.text._ZN7rocprim17ROCPRIM_400000_NS6detail17trampoline_kernelINS0_14default_configENS1_27scan_by_key_config_selectorIssEEZZNS1_16scan_by_key_implILNS1_25lookback_scan_determinismE0ELb1ES3_N6thrust23THRUST_200600_302600_NS6detail15normal_iteratorINS9_10device_ptrIsEEEESE_SE_sNS9_4plusIvEENS9_8equal_toIvEEsEE10hipError_tPvRmT2_T3_T4_T5_mT6_T7_P12ihipStream_tbENKUlT_T0_E_clISt17integral_constantIbLb1EESY_IbLb0EEEEDaSU_SV_EUlSU_E_NS1_11comp_targetILNS1_3genE2ELNS1_11target_archE906ELNS1_3gpuE6ELNS1_3repE0EEENS1_30default_config_static_selectorELNS0_4arch9wavefront6targetE1EEEvT1_,"axG",@progbits,_ZN7rocprim17ROCPRIM_400000_NS6detail17trampoline_kernelINS0_14default_configENS1_27scan_by_key_config_selectorIssEEZZNS1_16scan_by_key_implILNS1_25lookback_scan_determinismE0ELb1ES3_N6thrust23THRUST_200600_302600_NS6detail15normal_iteratorINS9_10device_ptrIsEEEESE_SE_sNS9_4plusIvEENS9_8equal_toIvEEsEE10hipError_tPvRmT2_T3_T4_T5_mT6_T7_P12ihipStream_tbENKUlT_T0_E_clISt17integral_constantIbLb1EESY_IbLb0EEEEDaSU_SV_EUlSU_E_NS1_11comp_targetILNS1_3genE2ELNS1_11target_archE906ELNS1_3gpuE6ELNS1_3repE0EEENS1_30default_config_static_selectorELNS0_4arch9wavefront6targetE1EEEvT1_,comdat
.Lfunc_end592:
	.size	_ZN7rocprim17ROCPRIM_400000_NS6detail17trampoline_kernelINS0_14default_configENS1_27scan_by_key_config_selectorIssEEZZNS1_16scan_by_key_implILNS1_25lookback_scan_determinismE0ELb1ES3_N6thrust23THRUST_200600_302600_NS6detail15normal_iteratorINS9_10device_ptrIsEEEESE_SE_sNS9_4plusIvEENS9_8equal_toIvEEsEE10hipError_tPvRmT2_T3_T4_T5_mT6_T7_P12ihipStream_tbENKUlT_T0_E_clISt17integral_constantIbLb1EESY_IbLb0EEEEDaSU_SV_EUlSU_E_NS1_11comp_targetILNS1_3genE2ELNS1_11target_archE906ELNS1_3gpuE6ELNS1_3repE0EEENS1_30default_config_static_selectorELNS0_4arch9wavefront6targetE1EEEvT1_, .Lfunc_end592-_ZN7rocprim17ROCPRIM_400000_NS6detail17trampoline_kernelINS0_14default_configENS1_27scan_by_key_config_selectorIssEEZZNS1_16scan_by_key_implILNS1_25lookback_scan_determinismE0ELb1ES3_N6thrust23THRUST_200600_302600_NS6detail15normal_iteratorINS9_10device_ptrIsEEEESE_SE_sNS9_4plusIvEENS9_8equal_toIvEEsEE10hipError_tPvRmT2_T3_T4_T5_mT6_T7_P12ihipStream_tbENKUlT_T0_E_clISt17integral_constantIbLb1EESY_IbLb0EEEEDaSU_SV_EUlSU_E_NS1_11comp_targetILNS1_3genE2ELNS1_11target_archE906ELNS1_3gpuE6ELNS1_3repE0EEENS1_30default_config_static_selectorELNS0_4arch9wavefront6targetE1EEEvT1_
                                        ; -- End function
	.section	.AMDGPU.csdata,"",@progbits
; Kernel info:
; codeLenInByte = 0
; NumSgprs: 6
; NumVgprs: 0
; NumAgprs: 0
; TotalNumVgprs: 0
; ScratchSize: 0
; MemoryBound: 0
; FloatMode: 240
; IeeeMode: 1
; LDSByteSize: 0 bytes/workgroup (compile time only)
; SGPRBlocks: 0
; VGPRBlocks: 0
; NumSGPRsForWavesPerEU: 6
; NumVGPRsForWavesPerEU: 1
; AccumOffset: 4
; Occupancy: 8
; WaveLimiterHint : 0
; COMPUTE_PGM_RSRC2:SCRATCH_EN: 0
; COMPUTE_PGM_RSRC2:USER_SGPR: 2
; COMPUTE_PGM_RSRC2:TRAP_HANDLER: 0
; COMPUTE_PGM_RSRC2:TGID_X_EN: 1
; COMPUTE_PGM_RSRC2:TGID_Y_EN: 0
; COMPUTE_PGM_RSRC2:TGID_Z_EN: 0
; COMPUTE_PGM_RSRC2:TIDIG_COMP_CNT: 0
; COMPUTE_PGM_RSRC3_GFX90A:ACCUM_OFFSET: 0
; COMPUTE_PGM_RSRC3_GFX90A:TG_SPLIT: 0
	.section	.text._ZN7rocprim17ROCPRIM_400000_NS6detail17trampoline_kernelINS0_14default_configENS1_27scan_by_key_config_selectorIssEEZZNS1_16scan_by_key_implILNS1_25lookback_scan_determinismE0ELb1ES3_N6thrust23THRUST_200600_302600_NS6detail15normal_iteratorINS9_10device_ptrIsEEEESE_SE_sNS9_4plusIvEENS9_8equal_toIvEEsEE10hipError_tPvRmT2_T3_T4_T5_mT6_T7_P12ihipStream_tbENKUlT_T0_E_clISt17integral_constantIbLb1EESY_IbLb0EEEEDaSU_SV_EUlSU_E_NS1_11comp_targetILNS1_3genE10ELNS1_11target_archE1200ELNS1_3gpuE4ELNS1_3repE0EEENS1_30default_config_static_selectorELNS0_4arch9wavefront6targetE1EEEvT1_,"axG",@progbits,_ZN7rocprim17ROCPRIM_400000_NS6detail17trampoline_kernelINS0_14default_configENS1_27scan_by_key_config_selectorIssEEZZNS1_16scan_by_key_implILNS1_25lookback_scan_determinismE0ELb1ES3_N6thrust23THRUST_200600_302600_NS6detail15normal_iteratorINS9_10device_ptrIsEEEESE_SE_sNS9_4plusIvEENS9_8equal_toIvEEsEE10hipError_tPvRmT2_T3_T4_T5_mT6_T7_P12ihipStream_tbENKUlT_T0_E_clISt17integral_constantIbLb1EESY_IbLb0EEEEDaSU_SV_EUlSU_E_NS1_11comp_targetILNS1_3genE10ELNS1_11target_archE1200ELNS1_3gpuE4ELNS1_3repE0EEENS1_30default_config_static_selectorELNS0_4arch9wavefront6targetE1EEEvT1_,comdat
	.protected	_ZN7rocprim17ROCPRIM_400000_NS6detail17trampoline_kernelINS0_14default_configENS1_27scan_by_key_config_selectorIssEEZZNS1_16scan_by_key_implILNS1_25lookback_scan_determinismE0ELb1ES3_N6thrust23THRUST_200600_302600_NS6detail15normal_iteratorINS9_10device_ptrIsEEEESE_SE_sNS9_4plusIvEENS9_8equal_toIvEEsEE10hipError_tPvRmT2_T3_T4_T5_mT6_T7_P12ihipStream_tbENKUlT_T0_E_clISt17integral_constantIbLb1EESY_IbLb0EEEEDaSU_SV_EUlSU_E_NS1_11comp_targetILNS1_3genE10ELNS1_11target_archE1200ELNS1_3gpuE4ELNS1_3repE0EEENS1_30default_config_static_selectorELNS0_4arch9wavefront6targetE1EEEvT1_ ; -- Begin function _ZN7rocprim17ROCPRIM_400000_NS6detail17trampoline_kernelINS0_14default_configENS1_27scan_by_key_config_selectorIssEEZZNS1_16scan_by_key_implILNS1_25lookback_scan_determinismE0ELb1ES3_N6thrust23THRUST_200600_302600_NS6detail15normal_iteratorINS9_10device_ptrIsEEEESE_SE_sNS9_4plusIvEENS9_8equal_toIvEEsEE10hipError_tPvRmT2_T3_T4_T5_mT6_T7_P12ihipStream_tbENKUlT_T0_E_clISt17integral_constantIbLb1EESY_IbLb0EEEEDaSU_SV_EUlSU_E_NS1_11comp_targetILNS1_3genE10ELNS1_11target_archE1200ELNS1_3gpuE4ELNS1_3repE0EEENS1_30default_config_static_selectorELNS0_4arch9wavefront6targetE1EEEvT1_
	.globl	_ZN7rocprim17ROCPRIM_400000_NS6detail17trampoline_kernelINS0_14default_configENS1_27scan_by_key_config_selectorIssEEZZNS1_16scan_by_key_implILNS1_25lookback_scan_determinismE0ELb1ES3_N6thrust23THRUST_200600_302600_NS6detail15normal_iteratorINS9_10device_ptrIsEEEESE_SE_sNS9_4plusIvEENS9_8equal_toIvEEsEE10hipError_tPvRmT2_T3_T4_T5_mT6_T7_P12ihipStream_tbENKUlT_T0_E_clISt17integral_constantIbLb1EESY_IbLb0EEEEDaSU_SV_EUlSU_E_NS1_11comp_targetILNS1_3genE10ELNS1_11target_archE1200ELNS1_3gpuE4ELNS1_3repE0EEENS1_30default_config_static_selectorELNS0_4arch9wavefront6targetE1EEEvT1_
	.p2align	8
	.type	_ZN7rocprim17ROCPRIM_400000_NS6detail17trampoline_kernelINS0_14default_configENS1_27scan_by_key_config_selectorIssEEZZNS1_16scan_by_key_implILNS1_25lookback_scan_determinismE0ELb1ES3_N6thrust23THRUST_200600_302600_NS6detail15normal_iteratorINS9_10device_ptrIsEEEESE_SE_sNS9_4plusIvEENS9_8equal_toIvEEsEE10hipError_tPvRmT2_T3_T4_T5_mT6_T7_P12ihipStream_tbENKUlT_T0_E_clISt17integral_constantIbLb1EESY_IbLb0EEEEDaSU_SV_EUlSU_E_NS1_11comp_targetILNS1_3genE10ELNS1_11target_archE1200ELNS1_3gpuE4ELNS1_3repE0EEENS1_30default_config_static_selectorELNS0_4arch9wavefront6targetE1EEEvT1_,@function
_ZN7rocprim17ROCPRIM_400000_NS6detail17trampoline_kernelINS0_14default_configENS1_27scan_by_key_config_selectorIssEEZZNS1_16scan_by_key_implILNS1_25lookback_scan_determinismE0ELb1ES3_N6thrust23THRUST_200600_302600_NS6detail15normal_iteratorINS9_10device_ptrIsEEEESE_SE_sNS9_4plusIvEENS9_8equal_toIvEEsEE10hipError_tPvRmT2_T3_T4_T5_mT6_T7_P12ihipStream_tbENKUlT_T0_E_clISt17integral_constantIbLb1EESY_IbLb0EEEEDaSU_SV_EUlSU_E_NS1_11comp_targetILNS1_3genE10ELNS1_11target_archE1200ELNS1_3gpuE4ELNS1_3repE0EEENS1_30default_config_static_selectorELNS0_4arch9wavefront6targetE1EEEvT1_: ; @_ZN7rocprim17ROCPRIM_400000_NS6detail17trampoline_kernelINS0_14default_configENS1_27scan_by_key_config_selectorIssEEZZNS1_16scan_by_key_implILNS1_25lookback_scan_determinismE0ELb1ES3_N6thrust23THRUST_200600_302600_NS6detail15normal_iteratorINS9_10device_ptrIsEEEESE_SE_sNS9_4plusIvEENS9_8equal_toIvEEsEE10hipError_tPvRmT2_T3_T4_T5_mT6_T7_P12ihipStream_tbENKUlT_T0_E_clISt17integral_constantIbLb1EESY_IbLb0EEEEDaSU_SV_EUlSU_E_NS1_11comp_targetILNS1_3genE10ELNS1_11target_archE1200ELNS1_3gpuE4ELNS1_3repE0EEENS1_30default_config_static_selectorELNS0_4arch9wavefront6targetE1EEEvT1_
; %bb.0:
	.section	.rodata,"a",@progbits
	.p2align	6, 0x0
	.amdhsa_kernel _ZN7rocprim17ROCPRIM_400000_NS6detail17trampoline_kernelINS0_14default_configENS1_27scan_by_key_config_selectorIssEEZZNS1_16scan_by_key_implILNS1_25lookback_scan_determinismE0ELb1ES3_N6thrust23THRUST_200600_302600_NS6detail15normal_iteratorINS9_10device_ptrIsEEEESE_SE_sNS9_4plusIvEENS9_8equal_toIvEEsEE10hipError_tPvRmT2_T3_T4_T5_mT6_T7_P12ihipStream_tbENKUlT_T0_E_clISt17integral_constantIbLb1EESY_IbLb0EEEEDaSU_SV_EUlSU_E_NS1_11comp_targetILNS1_3genE10ELNS1_11target_archE1200ELNS1_3gpuE4ELNS1_3repE0EEENS1_30default_config_static_selectorELNS0_4arch9wavefront6targetE1EEEvT1_
		.amdhsa_group_segment_fixed_size 0
		.amdhsa_private_segment_fixed_size 0
		.amdhsa_kernarg_size 112
		.amdhsa_user_sgpr_count 2
		.amdhsa_user_sgpr_dispatch_ptr 0
		.amdhsa_user_sgpr_queue_ptr 0
		.amdhsa_user_sgpr_kernarg_segment_ptr 1
		.amdhsa_user_sgpr_dispatch_id 0
		.amdhsa_user_sgpr_kernarg_preload_length 0
		.amdhsa_user_sgpr_kernarg_preload_offset 0
		.amdhsa_user_sgpr_private_segment_size 0
		.amdhsa_uses_dynamic_stack 0
		.amdhsa_enable_private_segment 0
		.amdhsa_system_sgpr_workgroup_id_x 1
		.amdhsa_system_sgpr_workgroup_id_y 0
		.amdhsa_system_sgpr_workgroup_id_z 0
		.amdhsa_system_sgpr_workgroup_info 0
		.amdhsa_system_vgpr_workitem_id 0
		.amdhsa_next_free_vgpr 1
		.amdhsa_next_free_sgpr 0
		.amdhsa_accum_offset 4
		.amdhsa_reserve_vcc 0
		.amdhsa_float_round_mode_32 0
		.amdhsa_float_round_mode_16_64 0
		.amdhsa_float_denorm_mode_32 3
		.amdhsa_float_denorm_mode_16_64 3
		.amdhsa_dx10_clamp 1
		.amdhsa_ieee_mode 1
		.amdhsa_fp16_overflow 0
		.amdhsa_tg_split 0
		.amdhsa_exception_fp_ieee_invalid_op 0
		.amdhsa_exception_fp_denorm_src 0
		.amdhsa_exception_fp_ieee_div_zero 0
		.amdhsa_exception_fp_ieee_overflow 0
		.amdhsa_exception_fp_ieee_underflow 0
		.amdhsa_exception_fp_ieee_inexact 0
		.amdhsa_exception_int_div_zero 0
	.end_amdhsa_kernel
	.section	.text._ZN7rocprim17ROCPRIM_400000_NS6detail17trampoline_kernelINS0_14default_configENS1_27scan_by_key_config_selectorIssEEZZNS1_16scan_by_key_implILNS1_25lookback_scan_determinismE0ELb1ES3_N6thrust23THRUST_200600_302600_NS6detail15normal_iteratorINS9_10device_ptrIsEEEESE_SE_sNS9_4plusIvEENS9_8equal_toIvEEsEE10hipError_tPvRmT2_T3_T4_T5_mT6_T7_P12ihipStream_tbENKUlT_T0_E_clISt17integral_constantIbLb1EESY_IbLb0EEEEDaSU_SV_EUlSU_E_NS1_11comp_targetILNS1_3genE10ELNS1_11target_archE1200ELNS1_3gpuE4ELNS1_3repE0EEENS1_30default_config_static_selectorELNS0_4arch9wavefront6targetE1EEEvT1_,"axG",@progbits,_ZN7rocprim17ROCPRIM_400000_NS6detail17trampoline_kernelINS0_14default_configENS1_27scan_by_key_config_selectorIssEEZZNS1_16scan_by_key_implILNS1_25lookback_scan_determinismE0ELb1ES3_N6thrust23THRUST_200600_302600_NS6detail15normal_iteratorINS9_10device_ptrIsEEEESE_SE_sNS9_4plusIvEENS9_8equal_toIvEEsEE10hipError_tPvRmT2_T3_T4_T5_mT6_T7_P12ihipStream_tbENKUlT_T0_E_clISt17integral_constantIbLb1EESY_IbLb0EEEEDaSU_SV_EUlSU_E_NS1_11comp_targetILNS1_3genE10ELNS1_11target_archE1200ELNS1_3gpuE4ELNS1_3repE0EEENS1_30default_config_static_selectorELNS0_4arch9wavefront6targetE1EEEvT1_,comdat
.Lfunc_end593:
	.size	_ZN7rocprim17ROCPRIM_400000_NS6detail17trampoline_kernelINS0_14default_configENS1_27scan_by_key_config_selectorIssEEZZNS1_16scan_by_key_implILNS1_25lookback_scan_determinismE0ELb1ES3_N6thrust23THRUST_200600_302600_NS6detail15normal_iteratorINS9_10device_ptrIsEEEESE_SE_sNS9_4plusIvEENS9_8equal_toIvEEsEE10hipError_tPvRmT2_T3_T4_T5_mT6_T7_P12ihipStream_tbENKUlT_T0_E_clISt17integral_constantIbLb1EESY_IbLb0EEEEDaSU_SV_EUlSU_E_NS1_11comp_targetILNS1_3genE10ELNS1_11target_archE1200ELNS1_3gpuE4ELNS1_3repE0EEENS1_30default_config_static_selectorELNS0_4arch9wavefront6targetE1EEEvT1_, .Lfunc_end593-_ZN7rocprim17ROCPRIM_400000_NS6detail17trampoline_kernelINS0_14default_configENS1_27scan_by_key_config_selectorIssEEZZNS1_16scan_by_key_implILNS1_25lookback_scan_determinismE0ELb1ES3_N6thrust23THRUST_200600_302600_NS6detail15normal_iteratorINS9_10device_ptrIsEEEESE_SE_sNS9_4plusIvEENS9_8equal_toIvEEsEE10hipError_tPvRmT2_T3_T4_T5_mT6_T7_P12ihipStream_tbENKUlT_T0_E_clISt17integral_constantIbLb1EESY_IbLb0EEEEDaSU_SV_EUlSU_E_NS1_11comp_targetILNS1_3genE10ELNS1_11target_archE1200ELNS1_3gpuE4ELNS1_3repE0EEENS1_30default_config_static_selectorELNS0_4arch9wavefront6targetE1EEEvT1_
                                        ; -- End function
	.section	.AMDGPU.csdata,"",@progbits
; Kernel info:
; codeLenInByte = 0
; NumSgprs: 6
; NumVgprs: 0
; NumAgprs: 0
; TotalNumVgprs: 0
; ScratchSize: 0
; MemoryBound: 0
; FloatMode: 240
; IeeeMode: 1
; LDSByteSize: 0 bytes/workgroup (compile time only)
; SGPRBlocks: 0
; VGPRBlocks: 0
; NumSGPRsForWavesPerEU: 6
; NumVGPRsForWavesPerEU: 1
; AccumOffset: 4
; Occupancy: 8
; WaveLimiterHint : 0
; COMPUTE_PGM_RSRC2:SCRATCH_EN: 0
; COMPUTE_PGM_RSRC2:USER_SGPR: 2
; COMPUTE_PGM_RSRC2:TRAP_HANDLER: 0
; COMPUTE_PGM_RSRC2:TGID_X_EN: 1
; COMPUTE_PGM_RSRC2:TGID_Y_EN: 0
; COMPUTE_PGM_RSRC2:TGID_Z_EN: 0
; COMPUTE_PGM_RSRC2:TIDIG_COMP_CNT: 0
; COMPUTE_PGM_RSRC3_GFX90A:ACCUM_OFFSET: 0
; COMPUTE_PGM_RSRC3_GFX90A:TG_SPLIT: 0
	.section	.text._ZN7rocprim17ROCPRIM_400000_NS6detail17trampoline_kernelINS0_14default_configENS1_27scan_by_key_config_selectorIssEEZZNS1_16scan_by_key_implILNS1_25lookback_scan_determinismE0ELb1ES3_N6thrust23THRUST_200600_302600_NS6detail15normal_iteratorINS9_10device_ptrIsEEEESE_SE_sNS9_4plusIvEENS9_8equal_toIvEEsEE10hipError_tPvRmT2_T3_T4_T5_mT6_T7_P12ihipStream_tbENKUlT_T0_E_clISt17integral_constantIbLb1EESY_IbLb0EEEEDaSU_SV_EUlSU_E_NS1_11comp_targetILNS1_3genE9ELNS1_11target_archE1100ELNS1_3gpuE3ELNS1_3repE0EEENS1_30default_config_static_selectorELNS0_4arch9wavefront6targetE1EEEvT1_,"axG",@progbits,_ZN7rocprim17ROCPRIM_400000_NS6detail17trampoline_kernelINS0_14default_configENS1_27scan_by_key_config_selectorIssEEZZNS1_16scan_by_key_implILNS1_25lookback_scan_determinismE0ELb1ES3_N6thrust23THRUST_200600_302600_NS6detail15normal_iteratorINS9_10device_ptrIsEEEESE_SE_sNS9_4plusIvEENS9_8equal_toIvEEsEE10hipError_tPvRmT2_T3_T4_T5_mT6_T7_P12ihipStream_tbENKUlT_T0_E_clISt17integral_constantIbLb1EESY_IbLb0EEEEDaSU_SV_EUlSU_E_NS1_11comp_targetILNS1_3genE9ELNS1_11target_archE1100ELNS1_3gpuE3ELNS1_3repE0EEENS1_30default_config_static_selectorELNS0_4arch9wavefront6targetE1EEEvT1_,comdat
	.protected	_ZN7rocprim17ROCPRIM_400000_NS6detail17trampoline_kernelINS0_14default_configENS1_27scan_by_key_config_selectorIssEEZZNS1_16scan_by_key_implILNS1_25lookback_scan_determinismE0ELb1ES3_N6thrust23THRUST_200600_302600_NS6detail15normal_iteratorINS9_10device_ptrIsEEEESE_SE_sNS9_4plusIvEENS9_8equal_toIvEEsEE10hipError_tPvRmT2_T3_T4_T5_mT6_T7_P12ihipStream_tbENKUlT_T0_E_clISt17integral_constantIbLb1EESY_IbLb0EEEEDaSU_SV_EUlSU_E_NS1_11comp_targetILNS1_3genE9ELNS1_11target_archE1100ELNS1_3gpuE3ELNS1_3repE0EEENS1_30default_config_static_selectorELNS0_4arch9wavefront6targetE1EEEvT1_ ; -- Begin function _ZN7rocprim17ROCPRIM_400000_NS6detail17trampoline_kernelINS0_14default_configENS1_27scan_by_key_config_selectorIssEEZZNS1_16scan_by_key_implILNS1_25lookback_scan_determinismE0ELb1ES3_N6thrust23THRUST_200600_302600_NS6detail15normal_iteratorINS9_10device_ptrIsEEEESE_SE_sNS9_4plusIvEENS9_8equal_toIvEEsEE10hipError_tPvRmT2_T3_T4_T5_mT6_T7_P12ihipStream_tbENKUlT_T0_E_clISt17integral_constantIbLb1EESY_IbLb0EEEEDaSU_SV_EUlSU_E_NS1_11comp_targetILNS1_3genE9ELNS1_11target_archE1100ELNS1_3gpuE3ELNS1_3repE0EEENS1_30default_config_static_selectorELNS0_4arch9wavefront6targetE1EEEvT1_
	.globl	_ZN7rocprim17ROCPRIM_400000_NS6detail17trampoline_kernelINS0_14default_configENS1_27scan_by_key_config_selectorIssEEZZNS1_16scan_by_key_implILNS1_25lookback_scan_determinismE0ELb1ES3_N6thrust23THRUST_200600_302600_NS6detail15normal_iteratorINS9_10device_ptrIsEEEESE_SE_sNS9_4plusIvEENS9_8equal_toIvEEsEE10hipError_tPvRmT2_T3_T4_T5_mT6_T7_P12ihipStream_tbENKUlT_T0_E_clISt17integral_constantIbLb1EESY_IbLb0EEEEDaSU_SV_EUlSU_E_NS1_11comp_targetILNS1_3genE9ELNS1_11target_archE1100ELNS1_3gpuE3ELNS1_3repE0EEENS1_30default_config_static_selectorELNS0_4arch9wavefront6targetE1EEEvT1_
	.p2align	8
	.type	_ZN7rocprim17ROCPRIM_400000_NS6detail17trampoline_kernelINS0_14default_configENS1_27scan_by_key_config_selectorIssEEZZNS1_16scan_by_key_implILNS1_25lookback_scan_determinismE0ELb1ES3_N6thrust23THRUST_200600_302600_NS6detail15normal_iteratorINS9_10device_ptrIsEEEESE_SE_sNS9_4plusIvEENS9_8equal_toIvEEsEE10hipError_tPvRmT2_T3_T4_T5_mT6_T7_P12ihipStream_tbENKUlT_T0_E_clISt17integral_constantIbLb1EESY_IbLb0EEEEDaSU_SV_EUlSU_E_NS1_11comp_targetILNS1_3genE9ELNS1_11target_archE1100ELNS1_3gpuE3ELNS1_3repE0EEENS1_30default_config_static_selectorELNS0_4arch9wavefront6targetE1EEEvT1_,@function
_ZN7rocprim17ROCPRIM_400000_NS6detail17trampoline_kernelINS0_14default_configENS1_27scan_by_key_config_selectorIssEEZZNS1_16scan_by_key_implILNS1_25lookback_scan_determinismE0ELb1ES3_N6thrust23THRUST_200600_302600_NS6detail15normal_iteratorINS9_10device_ptrIsEEEESE_SE_sNS9_4plusIvEENS9_8equal_toIvEEsEE10hipError_tPvRmT2_T3_T4_T5_mT6_T7_P12ihipStream_tbENKUlT_T0_E_clISt17integral_constantIbLb1EESY_IbLb0EEEEDaSU_SV_EUlSU_E_NS1_11comp_targetILNS1_3genE9ELNS1_11target_archE1100ELNS1_3gpuE3ELNS1_3repE0EEENS1_30default_config_static_selectorELNS0_4arch9wavefront6targetE1EEEvT1_: ; @_ZN7rocprim17ROCPRIM_400000_NS6detail17trampoline_kernelINS0_14default_configENS1_27scan_by_key_config_selectorIssEEZZNS1_16scan_by_key_implILNS1_25lookback_scan_determinismE0ELb1ES3_N6thrust23THRUST_200600_302600_NS6detail15normal_iteratorINS9_10device_ptrIsEEEESE_SE_sNS9_4plusIvEENS9_8equal_toIvEEsEE10hipError_tPvRmT2_T3_T4_T5_mT6_T7_P12ihipStream_tbENKUlT_T0_E_clISt17integral_constantIbLb1EESY_IbLb0EEEEDaSU_SV_EUlSU_E_NS1_11comp_targetILNS1_3genE9ELNS1_11target_archE1100ELNS1_3gpuE3ELNS1_3repE0EEENS1_30default_config_static_selectorELNS0_4arch9wavefront6targetE1EEEvT1_
; %bb.0:
	.section	.rodata,"a",@progbits
	.p2align	6, 0x0
	.amdhsa_kernel _ZN7rocprim17ROCPRIM_400000_NS6detail17trampoline_kernelINS0_14default_configENS1_27scan_by_key_config_selectorIssEEZZNS1_16scan_by_key_implILNS1_25lookback_scan_determinismE0ELb1ES3_N6thrust23THRUST_200600_302600_NS6detail15normal_iteratorINS9_10device_ptrIsEEEESE_SE_sNS9_4plusIvEENS9_8equal_toIvEEsEE10hipError_tPvRmT2_T3_T4_T5_mT6_T7_P12ihipStream_tbENKUlT_T0_E_clISt17integral_constantIbLb1EESY_IbLb0EEEEDaSU_SV_EUlSU_E_NS1_11comp_targetILNS1_3genE9ELNS1_11target_archE1100ELNS1_3gpuE3ELNS1_3repE0EEENS1_30default_config_static_selectorELNS0_4arch9wavefront6targetE1EEEvT1_
		.amdhsa_group_segment_fixed_size 0
		.amdhsa_private_segment_fixed_size 0
		.amdhsa_kernarg_size 112
		.amdhsa_user_sgpr_count 2
		.amdhsa_user_sgpr_dispatch_ptr 0
		.amdhsa_user_sgpr_queue_ptr 0
		.amdhsa_user_sgpr_kernarg_segment_ptr 1
		.amdhsa_user_sgpr_dispatch_id 0
		.amdhsa_user_sgpr_kernarg_preload_length 0
		.amdhsa_user_sgpr_kernarg_preload_offset 0
		.amdhsa_user_sgpr_private_segment_size 0
		.amdhsa_uses_dynamic_stack 0
		.amdhsa_enable_private_segment 0
		.amdhsa_system_sgpr_workgroup_id_x 1
		.amdhsa_system_sgpr_workgroup_id_y 0
		.amdhsa_system_sgpr_workgroup_id_z 0
		.amdhsa_system_sgpr_workgroup_info 0
		.amdhsa_system_vgpr_workitem_id 0
		.amdhsa_next_free_vgpr 1
		.amdhsa_next_free_sgpr 0
		.amdhsa_accum_offset 4
		.amdhsa_reserve_vcc 0
		.amdhsa_float_round_mode_32 0
		.amdhsa_float_round_mode_16_64 0
		.amdhsa_float_denorm_mode_32 3
		.amdhsa_float_denorm_mode_16_64 3
		.amdhsa_dx10_clamp 1
		.amdhsa_ieee_mode 1
		.amdhsa_fp16_overflow 0
		.amdhsa_tg_split 0
		.amdhsa_exception_fp_ieee_invalid_op 0
		.amdhsa_exception_fp_denorm_src 0
		.amdhsa_exception_fp_ieee_div_zero 0
		.amdhsa_exception_fp_ieee_overflow 0
		.amdhsa_exception_fp_ieee_underflow 0
		.amdhsa_exception_fp_ieee_inexact 0
		.amdhsa_exception_int_div_zero 0
	.end_amdhsa_kernel
	.section	.text._ZN7rocprim17ROCPRIM_400000_NS6detail17trampoline_kernelINS0_14default_configENS1_27scan_by_key_config_selectorIssEEZZNS1_16scan_by_key_implILNS1_25lookback_scan_determinismE0ELb1ES3_N6thrust23THRUST_200600_302600_NS6detail15normal_iteratorINS9_10device_ptrIsEEEESE_SE_sNS9_4plusIvEENS9_8equal_toIvEEsEE10hipError_tPvRmT2_T3_T4_T5_mT6_T7_P12ihipStream_tbENKUlT_T0_E_clISt17integral_constantIbLb1EESY_IbLb0EEEEDaSU_SV_EUlSU_E_NS1_11comp_targetILNS1_3genE9ELNS1_11target_archE1100ELNS1_3gpuE3ELNS1_3repE0EEENS1_30default_config_static_selectorELNS0_4arch9wavefront6targetE1EEEvT1_,"axG",@progbits,_ZN7rocprim17ROCPRIM_400000_NS6detail17trampoline_kernelINS0_14default_configENS1_27scan_by_key_config_selectorIssEEZZNS1_16scan_by_key_implILNS1_25lookback_scan_determinismE0ELb1ES3_N6thrust23THRUST_200600_302600_NS6detail15normal_iteratorINS9_10device_ptrIsEEEESE_SE_sNS9_4plusIvEENS9_8equal_toIvEEsEE10hipError_tPvRmT2_T3_T4_T5_mT6_T7_P12ihipStream_tbENKUlT_T0_E_clISt17integral_constantIbLb1EESY_IbLb0EEEEDaSU_SV_EUlSU_E_NS1_11comp_targetILNS1_3genE9ELNS1_11target_archE1100ELNS1_3gpuE3ELNS1_3repE0EEENS1_30default_config_static_selectorELNS0_4arch9wavefront6targetE1EEEvT1_,comdat
.Lfunc_end594:
	.size	_ZN7rocprim17ROCPRIM_400000_NS6detail17trampoline_kernelINS0_14default_configENS1_27scan_by_key_config_selectorIssEEZZNS1_16scan_by_key_implILNS1_25lookback_scan_determinismE0ELb1ES3_N6thrust23THRUST_200600_302600_NS6detail15normal_iteratorINS9_10device_ptrIsEEEESE_SE_sNS9_4plusIvEENS9_8equal_toIvEEsEE10hipError_tPvRmT2_T3_T4_T5_mT6_T7_P12ihipStream_tbENKUlT_T0_E_clISt17integral_constantIbLb1EESY_IbLb0EEEEDaSU_SV_EUlSU_E_NS1_11comp_targetILNS1_3genE9ELNS1_11target_archE1100ELNS1_3gpuE3ELNS1_3repE0EEENS1_30default_config_static_selectorELNS0_4arch9wavefront6targetE1EEEvT1_, .Lfunc_end594-_ZN7rocprim17ROCPRIM_400000_NS6detail17trampoline_kernelINS0_14default_configENS1_27scan_by_key_config_selectorIssEEZZNS1_16scan_by_key_implILNS1_25lookback_scan_determinismE0ELb1ES3_N6thrust23THRUST_200600_302600_NS6detail15normal_iteratorINS9_10device_ptrIsEEEESE_SE_sNS9_4plusIvEENS9_8equal_toIvEEsEE10hipError_tPvRmT2_T3_T4_T5_mT6_T7_P12ihipStream_tbENKUlT_T0_E_clISt17integral_constantIbLb1EESY_IbLb0EEEEDaSU_SV_EUlSU_E_NS1_11comp_targetILNS1_3genE9ELNS1_11target_archE1100ELNS1_3gpuE3ELNS1_3repE0EEENS1_30default_config_static_selectorELNS0_4arch9wavefront6targetE1EEEvT1_
                                        ; -- End function
	.section	.AMDGPU.csdata,"",@progbits
; Kernel info:
; codeLenInByte = 0
; NumSgprs: 6
; NumVgprs: 0
; NumAgprs: 0
; TotalNumVgprs: 0
; ScratchSize: 0
; MemoryBound: 0
; FloatMode: 240
; IeeeMode: 1
; LDSByteSize: 0 bytes/workgroup (compile time only)
; SGPRBlocks: 0
; VGPRBlocks: 0
; NumSGPRsForWavesPerEU: 6
; NumVGPRsForWavesPerEU: 1
; AccumOffset: 4
; Occupancy: 8
; WaveLimiterHint : 0
; COMPUTE_PGM_RSRC2:SCRATCH_EN: 0
; COMPUTE_PGM_RSRC2:USER_SGPR: 2
; COMPUTE_PGM_RSRC2:TRAP_HANDLER: 0
; COMPUTE_PGM_RSRC2:TGID_X_EN: 1
; COMPUTE_PGM_RSRC2:TGID_Y_EN: 0
; COMPUTE_PGM_RSRC2:TGID_Z_EN: 0
; COMPUTE_PGM_RSRC2:TIDIG_COMP_CNT: 0
; COMPUTE_PGM_RSRC3_GFX90A:ACCUM_OFFSET: 0
; COMPUTE_PGM_RSRC3_GFX90A:TG_SPLIT: 0
	.section	.text._ZN7rocprim17ROCPRIM_400000_NS6detail17trampoline_kernelINS0_14default_configENS1_27scan_by_key_config_selectorIssEEZZNS1_16scan_by_key_implILNS1_25lookback_scan_determinismE0ELb1ES3_N6thrust23THRUST_200600_302600_NS6detail15normal_iteratorINS9_10device_ptrIsEEEESE_SE_sNS9_4plusIvEENS9_8equal_toIvEEsEE10hipError_tPvRmT2_T3_T4_T5_mT6_T7_P12ihipStream_tbENKUlT_T0_E_clISt17integral_constantIbLb1EESY_IbLb0EEEEDaSU_SV_EUlSU_E_NS1_11comp_targetILNS1_3genE8ELNS1_11target_archE1030ELNS1_3gpuE2ELNS1_3repE0EEENS1_30default_config_static_selectorELNS0_4arch9wavefront6targetE1EEEvT1_,"axG",@progbits,_ZN7rocprim17ROCPRIM_400000_NS6detail17trampoline_kernelINS0_14default_configENS1_27scan_by_key_config_selectorIssEEZZNS1_16scan_by_key_implILNS1_25lookback_scan_determinismE0ELb1ES3_N6thrust23THRUST_200600_302600_NS6detail15normal_iteratorINS9_10device_ptrIsEEEESE_SE_sNS9_4plusIvEENS9_8equal_toIvEEsEE10hipError_tPvRmT2_T3_T4_T5_mT6_T7_P12ihipStream_tbENKUlT_T0_E_clISt17integral_constantIbLb1EESY_IbLb0EEEEDaSU_SV_EUlSU_E_NS1_11comp_targetILNS1_3genE8ELNS1_11target_archE1030ELNS1_3gpuE2ELNS1_3repE0EEENS1_30default_config_static_selectorELNS0_4arch9wavefront6targetE1EEEvT1_,comdat
	.protected	_ZN7rocprim17ROCPRIM_400000_NS6detail17trampoline_kernelINS0_14default_configENS1_27scan_by_key_config_selectorIssEEZZNS1_16scan_by_key_implILNS1_25lookback_scan_determinismE0ELb1ES3_N6thrust23THRUST_200600_302600_NS6detail15normal_iteratorINS9_10device_ptrIsEEEESE_SE_sNS9_4plusIvEENS9_8equal_toIvEEsEE10hipError_tPvRmT2_T3_T4_T5_mT6_T7_P12ihipStream_tbENKUlT_T0_E_clISt17integral_constantIbLb1EESY_IbLb0EEEEDaSU_SV_EUlSU_E_NS1_11comp_targetILNS1_3genE8ELNS1_11target_archE1030ELNS1_3gpuE2ELNS1_3repE0EEENS1_30default_config_static_selectorELNS0_4arch9wavefront6targetE1EEEvT1_ ; -- Begin function _ZN7rocprim17ROCPRIM_400000_NS6detail17trampoline_kernelINS0_14default_configENS1_27scan_by_key_config_selectorIssEEZZNS1_16scan_by_key_implILNS1_25lookback_scan_determinismE0ELb1ES3_N6thrust23THRUST_200600_302600_NS6detail15normal_iteratorINS9_10device_ptrIsEEEESE_SE_sNS9_4plusIvEENS9_8equal_toIvEEsEE10hipError_tPvRmT2_T3_T4_T5_mT6_T7_P12ihipStream_tbENKUlT_T0_E_clISt17integral_constantIbLb1EESY_IbLb0EEEEDaSU_SV_EUlSU_E_NS1_11comp_targetILNS1_3genE8ELNS1_11target_archE1030ELNS1_3gpuE2ELNS1_3repE0EEENS1_30default_config_static_selectorELNS0_4arch9wavefront6targetE1EEEvT1_
	.globl	_ZN7rocprim17ROCPRIM_400000_NS6detail17trampoline_kernelINS0_14default_configENS1_27scan_by_key_config_selectorIssEEZZNS1_16scan_by_key_implILNS1_25lookback_scan_determinismE0ELb1ES3_N6thrust23THRUST_200600_302600_NS6detail15normal_iteratorINS9_10device_ptrIsEEEESE_SE_sNS9_4plusIvEENS9_8equal_toIvEEsEE10hipError_tPvRmT2_T3_T4_T5_mT6_T7_P12ihipStream_tbENKUlT_T0_E_clISt17integral_constantIbLb1EESY_IbLb0EEEEDaSU_SV_EUlSU_E_NS1_11comp_targetILNS1_3genE8ELNS1_11target_archE1030ELNS1_3gpuE2ELNS1_3repE0EEENS1_30default_config_static_selectorELNS0_4arch9wavefront6targetE1EEEvT1_
	.p2align	8
	.type	_ZN7rocprim17ROCPRIM_400000_NS6detail17trampoline_kernelINS0_14default_configENS1_27scan_by_key_config_selectorIssEEZZNS1_16scan_by_key_implILNS1_25lookback_scan_determinismE0ELb1ES3_N6thrust23THRUST_200600_302600_NS6detail15normal_iteratorINS9_10device_ptrIsEEEESE_SE_sNS9_4plusIvEENS9_8equal_toIvEEsEE10hipError_tPvRmT2_T3_T4_T5_mT6_T7_P12ihipStream_tbENKUlT_T0_E_clISt17integral_constantIbLb1EESY_IbLb0EEEEDaSU_SV_EUlSU_E_NS1_11comp_targetILNS1_3genE8ELNS1_11target_archE1030ELNS1_3gpuE2ELNS1_3repE0EEENS1_30default_config_static_selectorELNS0_4arch9wavefront6targetE1EEEvT1_,@function
_ZN7rocprim17ROCPRIM_400000_NS6detail17trampoline_kernelINS0_14default_configENS1_27scan_by_key_config_selectorIssEEZZNS1_16scan_by_key_implILNS1_25lookback_scan_determinismE0ELb1ES3_N6thrust23THRUST_200600_302600_NS6detail15normal_iteratorINS9_10device_ptrIsEEEESE_SE_sNS9_4plusIvEENS9_8equal_toIvEEsEE10hipError_tPvRmT2_T3_T4_T5_mT6_T7_P12ihipStream_tbENKUlT_T0_E_clISt17integral_constantIbLb1EESY_IbLb0EEEEDaSU_SV_EUlSU_E_NS1_11comp_targetILNS1_3genE8ELNS1_11target_archE1030ELNS1_3gpuE2ELNS1_3repE0EEENS1_30default_config_static_selectorELNS0_4arch9wavefront6targetE1EEEvT1_: ; @_ZN7rocprim17ROCPRIM_400000_NS6detail17trampoline_kernelINS0_14default_configENS1_27scan_by_key_config_selectorIssEEZZNS1_16scan_by_key_implILNS1_25lookback_scan_determinismE0ELb1ES3_N6thrust23THRUST_200600_302600_NS6detail15normal_iteratorINS9_10device_ptrIsEEEESE_SE_sNS9_4plusIvEENS9_8equal_toIvEEsEE10hipError_tPvRmT2_T3_T4_T5_mT6_T7_P12ihipStream_tbENKUlT_T0_E_clISt17integral_constantIbLb1EESY_IbLb0EEEEDaSU_SV_EUlSU_E_NS1_11comp_targetILNS1_3genE8ELNS1_11target_archE1030ELNS1_3gpuE2ELNS1_3repE0EEENS1_30default_config_static_selectorELNS0_4arch9wavefront6targetE1EEEvT1_
; %bb.0:
	.section	.rodata,"a",@progbits
	.p2align	6, 0x0
	.amdhsa_kernel _ZN7rocprim17ROCPRIM_400000_NS6detail17trampoline_kernelINS0_14default_configENS1_27scan_by_key_config_selectorIssEEZZNS1_16scan_by_key_implILNS1_25lookback_scan_determinismE0ELb1ES3_N6thrust23THRUST_200600_302600_NS6detail15normal_iteratorINS9_10device_ptrIsEEEESE_SE_sNS9_4plusIvEENS9_8equal_toIvEEsEE10hipError_tPvRmT2_T3_T4_T5_mT6_T7_P12ihipStream_tbENKUlT_T0_E_clISt17integral_constantIbLb1EESY_IbLb0EEEEDaSU_SV_EUlSU_E_NS1_11comp_targetILNS1_3genE8ELNS1_11target_archE1030ELNS1_3gpuE2ELNS1_3repE0EEENS1_30default_config_static_selectorELNS0_4arch9wavefront6targetE1EEEvT1_
		.amdhsa_group_segment_fixed_size 0
		.amdhsa_private_segment_fixed_size 0
		.amdhsa_kernarg_size 112
		.amdhsa_user_sgpr_count 2
		.amdhsa_user_sgpr_dispatch_ptr 0
		.amdhsa_user_sgpr_queue_ptr 0
		.amdhsa_user_sgpr_kernarg_segment_ptr 1
		.amdhsa_user_sgpr_dispatch_id 0
		.amdhsa_user_sgpr_kernarg_preload_length 0
		.amdhsa_user_sgpr_kernarg_preload_offset 0
		.amdhsa_user_sgpr_private_segment_size 0
		.amdhsa_uses_dynamic_stack 0
		.amdhsa_enable_private_segment 0
		.amdhsa_system_sgpr_workgroup_id_x 1
		.amdhsa_system_sgpr_workgroup_id_y 0
		.amdhsa_system_sgpr_workgroup_id_z 0
		.amdhsa_system_sgpr_workgroup_info 0
		.amdhsa_system_vgpr_workitem_id 0
		.amdhsa_next_free_vgpr 1
		.amdhsa_next_free_sgpr 0
		.amdhsa_accum_offset 4
		.amdhsa_reserve_vcc 0
		.amdhsa_float_round_mode_32 0
		.amdhsa_float_round_mode_16_64 0
		.amdhsa_float_denorm_mode_32 3
		.amdhsa_float_denorm_mode_16_64 3
		.amdhsa_dx10_clamp 1
		.amdhsa_ieee_mode 1
		.amdhsa_fp16_overflow 0
		.amdhsa_tg_split 0
		.amdhsa_exception_fp_ieee_invalid_op 0
		.amdhsa_exception_fp_denorm_src 0
		.amdhsa_exception_fp_ieee_div_zero 0
		.amdhsa_exception_fp_ieee_overflow 0
		.amdhsa_exception_fp_ieee_underflow 0
		.amdhsa_exception_fp_ieee_inexact 0
		.amdhsa_exception_int_div_zero 0
	.end_amdhsa_kernel
	.section	.text._ZN7rocprim17ROCPRIM_400000_NS6detail17trampoline_kernelINS0_14default_configENS1_27scan_by_key_config_selectorIssEEZZNS1_16scan_by_key_implILNS1_25lookback_scan_determinismE0ELb1ES3_N6thrust23THRUST_200600_302600_NS6detail15normal_iteratorINS9_10device_ptrIsEEEESE_SE_sNS9_4plusIvEENS9_8equal_toIvEEsEE10hipError_tPvRmT2_T3_T4_T5_mT6_T7_P12ihipStream_tbENKUlT_T0_E_clISt17integral_constantIbLb1EESY_IbLb0EEEEDaSU_SV_EUlSU_E_NS1_11comp_targetILNS1_3genE8ELNS1_11target_archE1030ELNS1_3gpuE2ELNS1_3repE0EEENS1_30default_config_static_selectorELNS0_4arch9wavefront6targetE1EEEvT1_,"axG",@progbits,_ZN7rocprim17ROCPRIM_400000_NS6detail17trampoline_kernelINS0_14default_configENS1_27scan_by_key_config_selectorIssEEZZNS1_16scan_by_key_implILNS1_25lookback_scan_determinismE0ELb1ES3_N6thrust23THRUST_200600_302600_NS6detail15normal_iteratorINS9_10device_ptrIsEEEESE_SE_sNS9_4plusIvEENS9_8equal_toIvEEsEE10hipError_tPvRmT2_T3_T4_T5_mT6_T7_P12ihipStream_tbENKUlT_T0_E_clISt17integral_constantIbLb1EESY_IbLb0EEEEDaSU_SV_EUlSU_E_NS1_11comp_targetILNS1_3genE8ELNS1_11target_archE1030ELNS1_3gpuE2ELNS1_3repE0EEENS1_30default_config_static_selectorELNS0_4arch9wavefront6targetE1EEEvT1_,comdat
.Lfunc_end595:
	.size	_ZN7rocprim17ROCPRIM_400000_NS6detail17trampoline_kernelINS0_14default_configENS1_27scan_by_key_config_selectorIssEEZZNS1_16scan_by_key_implILNS1_25lookback_scan_determinismE0ELb1ES3_N6thrust23THRUST_200600_302600_NS6detail15normal_iteratorINS9_10device_ptrIsEEEESE_SE_sNS9_4plusIvEENS9_8equal_toIvEEsEE10hipError_tPvRmT2_T3_T4_T5_mT6_T7_P12ihipStream_tbENKUlT_T0_E_clISt17integral_constantIbLb1EESY_IbLb0EEEEDaSU_SV_EUlSU_E_NS1_11comp_targetILNS1_3genE8ELNS1_11target_archE1030ELNS1_3gpuE2ELNS1_3repE0EEENS1_30default_config_static_selectorELNS0_4arch9wavefront6targetE1EEEvT1_, .Lfunc_end595-_ZN7rocprim17ROCPRIM_400000_NS6detail17trampoline_kernelINS0_14default_configENS1_27scan_by_key_config_selectorIssEEZZNS1_16scan_by_key_implILNS1_25lookback_scan_determinismE0ELb1ES3_N6thrust23THRUST_200600_302600_NS6detail15normal_iteratorINS9_10device_ptrIsEEEESE_SE_sNS9_4plusIvEENS9_8equal_toIvEEsEE10hipError_tPvRmT2_T3_T4_T5_mT6_T7_P12ihipStream_tbENKUlT_T0_E_clISt17integral_constantIbLb1EESY_IbLb0EEEEDaSU_SV_EUlSU_E_NS1_11comp_targetILNS1_3genE8ELNS1_11target_archE1030ELNS1_3gpuE2ELNS1_3repE0EEENS1_30default_config_static_selectorELNS0_4arch9wavefront6targetE1EEEvT1_
                                        ; -- End function
	.section	.AMDGPU.csdata,"",@progbits
; Kernel info:
; codeLenInByte = 0
; NumSgprs: 6
; NumVgprs: 0
; NumAgprs: 0
; TotalNumVgprs: 0
; ScratchSize: 0
; MemoryBound: 0
; FloatMode: 240
; IeeeMode: 1
; LDSByteSize: 0 bytes/workgroup (compile time only)
; SGPRBlocks: 0
; VGPRBlocks: 0
; NumSGPRsForWavesPerEU: 6
; NumVGPRsForWavesPerEU: 1
; AccumOffset: 4
; Occupancy: 8
; WaveLimiterHint : 0
; COMPUTE_PGM_RSRC2:SCRATCH_EN: 0
; COMPUTE_PGM_RSRC2:USER_SGPR: 2
; COMPUTE_PGM_RSRC2:TRAP_HANDLER: 0
; COMPUTE_PGM_RSRC2:TGID_X_EN: 1
; COMPUTE_PGM_RSRC2:TGID_Y_EN: 0
; COMPUTE_PGM_RSRC2:TGID_Z_EN: 0
; COMPUTE_PGM_RSRC2:TIDIG_COMP_CNT: 0
; COMPUTE_PGM_RSRC3_GFX90A:ACCUM_OFFSET: 0
; COMPUTE_PGM_RSRC3_GFX90A:TG_SPLIT: 0
	.section	.text._ZN7rocprim17ROCPRIM_400000_NS6detail17trampoline_kernelINS0_14default_configENS1_27scan_by_key_config_selectorIssEEZZNS1_16scan_by_key_implILNS1_25lookback_scan_determinismE0ELb1ES3_N6thrust23THRUST_200600_302600_NS6detail15normal_iteratorINS9_10device_ptrIsEEEESE_SE_sNS9_4plusIvEENS9_8equal_toIvEEsEE10hipError_tPvRmT2_T3_T4_T5_mT6_T7_P12ihipStream_tbENKUlT_T0_E_clISt17integral_constantIbLb0EESY_IbLb1EEEEDaSU_SV_EUlSU_E_NS1_11comp_targetILNS1_3genE0ELNS1_11target_archE4294967295ELNS1_3gpuE0ELNS1_3repE0EEENS1_30default_config_static_selectorELNS0_4arch9wavefront6targetE1EEEvT1_,"axG",@progbits,_ZN7rocprim17ROCPRIM_400000_NS6detail17trampoline_kernelINS0_14default_configENS1_27scan_by_key_config_selectorIssEEZZNS1_16scan_by_key_implILNS1_25lookback_scan_determinismE0ELb1ES3_N6thrust23THRUST_200600_302600_NS6detail15normal_iteratorINS9_10device_ptrIsEEEESE_SE_sNS9_4plusIvEENS9_8equal_toIvEEsEE10hipError_tPvRmT2_T3_T4_T5_mT6_T7_P12ihipStream_tbENKUlT_T0_E_clISt17integral_constantIbLb0EESY_IbLb1EEEEDaSU_SV_EUlSU_E_NS1_11comp_targetILNS1_3genE0ELNS1_11target_archE4294967295ELNS1_3gpuE0ELNS1_3repE0EEENS1_30default_config_static_selectorELNS0_4arch9wavefront6targetE1EEEvT1_,comdat
	.protected	_ZN7rocprim17ROCPRIM_400000_NS6detail17trampoline_kernelINS0_14default_configENS1_27scan_by_key_config_selectorIssEEZZNS1_16scan_by_key_implILNS1_25lookback_scan_determinismE0ELb1ES3_N6thrust23THRUST_200600_302600_NS6detail15normal_iteratorINS9_10device_ptrIsEEEESE_SE_sNS9_4plusIvEENS9_8equal_toIvEEsEE10hipError_tPvRmT2_T3_T4_T5_mT6_T7_P12ihipStream_tbENKUlT_T0_E_clISt17integral_constantIbLb0EESY_IbLb1EEEEDaSU_SV_EUlSU_E_NS1_11comp_targetILNS1_3genE0ELNS1_11target_archE4294967295ELNS1_3gpuE0ELNS1_3repE0EEENS1_30default_config_static_selectorELNS0_4arch9wavefront6targetE1EEEvT1_ ; -- Begin function _ZN7rocprim17ROCPRIM_400000_NS6detail17trampoline_kernelINS0_14default_configENS1_27scan_by_key_config_selectorIssEEZZNS1_16scan_by_key_implILNS1_25lookback_scan_determinismE0ELb1ES3_N6thrust23THRUST_200600_302600_NS6detail15normal_iteratorINS9_10device_ptrIsEEEESE_SE_sNS9_4plusIvEENS9_8equal_toIvEEsEE10hipError_tPvRmT2_T3_T4_T5_mT6_T7_P12ihipStream_tbENKUlT_T0_E_clISt17integral_constantIbLb0EESY_IbLb1EEEEDaSU_SV_EUlSU_E_NS1_11comp_targetILNS1_3genE0ELNS1_11target_archE4294967295ELNS1_3gpuE0ELNS1_3repE0EEENS1_30default_config_static_selectorELNS0_4arch9wavefront6targetE1EEEvT1_
	.globl	_ZN7rocprim17ROCPRIM_400000_NS6detail17trampoline_kernelINS0_14default_configENS1_27scan_by_key_config_selectorIssEEZZNS1_16scan_by_key_implILNS1_25lookback_scan_determinismE0ELb1ES3_N6thrust23THRUST_200600_302600_NS6detail15normal_iteratorINS9_10device_ptrIsEEEESE_SE_sNS9_4plusIvEENS9_8equal_toIvEEsEE10hipError_tPvRmT2_T3_T4_T5_mT6_T7_P12ihipStream_tbENKUlT_T0_E_clISt17integral_constantIbLb0EESY_IbLb1EEEEDaSU_SV_EUlSU_E_NS1_11comp_targetILNS1_3genE0ELNS1_11target_archE4294967295ELNS1_3gpuE0ELNS1_3repE0EEENS1_30default_config_static_selectorELNS0_4arch9wavefront6targetE1EEEvT1_
	.p2align	8
	.type	_ZN7rocprim17ROCPRIM_400000_NS6detail17trampoline_kernelINS0_14default_configENS1_27scan_by_key_config_selectorIssEEZZNS1_16scan_by_key_implILNS1_25lookback_scan_determinismE0ELb1ES3_N6thrust23THRUST_200600_302600_NS6detail15normal_iteratorINS9_10device_ptrIsEEEESE_SE_sNS9_4plusIvEENS9_8equal_toIvEEsEE10hipError_tPvRmT2_T3_T4_T5_mT6_T7_P12ihipStream_tbENKUlT_T0_E_clISt17integral_constantIbLb0EESY_IbLb1EEEEDaSU_SV_EUlSU_E_NS1_11comp_targetILNS1_3genE0ELNS1_11target_archE4294967295ELNS1_3gpuE0ELNS1_3repE0EEENS1_30default_config_static_selectorELNS0_4arch9wavefront6targetE1EEEvT1_,@function
_ZN7rocprim17ROCPRIM_400000_NS6detail17trampoline_kernelINS0_14default_configENS1_27scan_by_key_config_selectorIssEEZZNS1_16scan_by_key_implILNS1_25lookback_scan_determinismE0ELb1ES3_N6thrust23THRUST_200600_302600_NS6detail15normal_iteratorINS9_10device_ptrIsEEEESE_SE_sNS9_4plusIvEENS9_8equal_toIvEEsEE10hipError_tPvRmT2_T3_T4_T5_mT6_T7_P12ihipStream_tbENKUlT_T0_E_clISt17integral_constantIbLb0EESY_IbLb1EEEEDaSU_SV_EUlSU_E_NS1_11comp_targetILNS1_3genE0ELNS1_11target_archE4294967295ELNS1_3gpuE0ELNS1_3repE0EEENS1_30default_config_static_selectorELNS0_4arch9wavefront6targetE1EEEvT1_: ; @_ZN7rocprim17ROCPRIM_400000_NS6detail17trampoline_kernelINS0_14default_configENS1_27scan_by_key_config_selectorIssEEZZNS1_16scan_by_key_implILNS1_25lookback_scan_determinismE0ELb1ES3_N6thrust23THRUST_200600_302600_NS6detail15normal_iteratorINS9_10device_ptrIsEEEESE_SE_sNS9_4plusIvEENS9_8equal_toIvEEsEE10hipError_tPvRmT2_T3_T4_T5_mT6_T7_P12ihipStream_tbENKUlT_T0_E_clISt17integral_constantIbLb0EESY_IbLb1EEEEDaSU_SV_EUlSU_E_NS1_11comp_targetILNS1_3genE0ELNS1_11target_archE4294967295ELNS1_3gpuE0ELNS1_3repE0EEENS1_30default_config_static_selectorELNS0_4arch9wavefront6targetE1EEEvT1_
; %bb.0:
	.section	.rodata,"a",@progbits
	.p2align	6, 0x0
	.amdhsa_kernel _ZN7rocprim17ROCPRIM_400000_NS6detail17trampoline_kernelINS0_14default_configENS1_27scan_by_key_config_selectorIssEEZZNS1_16scan_by_key_implILNS1_25lookback_scan_determinismE0ELb1ES3_N6thrust23THRUST_200600_302600_NS6detail15normal_iteratorINS9_10device_ptrIsEEEESE_SE_sNS9_4plusIvEENS9_8equal_toIvEEsEE10hipError_tPvRmT2_T3_T4_T5_mT6_T7_P12ihipStream_tbENKUlT_T0_E_clISt17integral_constantIbLb0EESY_IbLb1EEEEDaSU_SV_EUlSU_E_NS1_11comp_targetILNS1_3genE0ELNS1_11target_archE4294967295ELNS1_3gpuE0ELNS1_3repE0EEENS1_30default_config_static_selectorELNS0_4arch9wavefront6targetE1EEEvT1_
		.amdhsa_group_segment_fixed_size 0
		.amdhsa_private_segment_fixed_size 0
		.amdhsa_kernarg_size 112
		.amdhsa_user_sgpr_count 2
		.amdhsa_user_sgpr_dispatch_ptr 0
		.amdhsa_user_sgpr_queue_ptr 0
		.amdhsa_user_sgpr_kernarg_segment_ptr 1
		.amdhsa_user_sgpr_dispatch_id 0
		.amdhsa_user_sgpr_kernarg_preload_length 0
		.amdhsa_user_sgpr_kernarg_preload_offset 0
		.amdhsa_user_sgpr_private_segment_size 0
		.amdhsa_uses_dynamic_stack 0
		.amdhsa_enable_private_segment 0
		.amdhsa_system_sgpr_workgroup_id_x 1
		.amdhsa_system_sgpr_workgroup_id_y 0
		.amdhsa_system_sgpr_workgroup_id_z 0
		.amdhsa_system_sgpr_workgroup_info 0
		.amdhsa_system_vgpr_workitem_id 0
		.amdhsa_next_free_vgpr 1
		.amdhsa_next_free_sgpr 0
		.amdhsa_accum_offset 4
		.amdhsa_reserve_vcc 0
		.amdhsa_float_round_mode_32 0
		.amdhsa_float_round_mode_16_64 0
		.amdhsa_float_denorm_mode_32 3
		.amdhsa_float_denorm_mode_16_64 3
		.amdhsa_dx10_clamp 1
		.amdhsa_ieee_mode 1
		.amdhsa_fp16_overflow 0
		.amdhsa_tg_split 0
		.amdhsa_exception_fp_ieee_invalid_op 0
		.amdhsa_exception_fp_denorm_src 0
		.amdhsa_exception_fp_ieee_div_zero 0
		.amdhsa_exception_fp_ieee_overflow 0
		.amdhsa_exception_fp_ieee_underflow 0
		.amdhsa_exception_fp_ieee_inexact 0
		.amdhsa_exception_int_div_zero 0
	.end_amdhsa_kernel
	.section	.text._ZN7rocprim17ROCPRIM_400000_NS6detail17trampoline_kernelINS0_14default_configENS1_27scan_by_key_config_selectorIssEEZZNS1_16scan_by_key_implILNS1_25lookback_scan_determinismE0ELb1ES3_N6thrust23THRUST_200600_302600_NS6detail15normal_iteratorINS9_10device_ptrIsEEEESE_SE_sNS9_4plusIvEENS9_8equal_toIvEEsEE10hipError_tPvRmT2_T3_T4_T5_mT6_T7_P12ihipStream_tbENKUlT_T0_E_clISt17integral_constantIbLb0EESY_IbLb1EEEEDaSU_SV_EUlSU_E_NS1_11comp_targetILNS1_3genE0ELNS1_11target_archE4294967295ELNS1_3gpuE0ELNS1_3repE0EEENS1_30default_config_static_selectorELNS0_4arch9wavefront6targetE1EEEvT1_,"axG",@progbits,_ZN7rocprim17ROCPRIM_400000_NS6detail17trampoline_kernelINS0_14default_configENS1_27scan_by_key_config_selectorIssEEZZNS1_16scan_by_key_implILNS1_25lookback_scan_determinismE0ELb1ES3_N6thrust23THRUST_200600_302600_NS6detail15normal_iteratorINS9_10device_ptrIsEEEESE_SE_sNS9_4plusIvEENS9_8equal_toIvEEsEE10hipError_tPvRmT2_T3_T4_T5_mT6_T7_P12ihipStream_tbENKUlT_T0_E_clISt17integral_constantIbLb0EESY_IbLb1EEEEDaSU_SV_EUlSU_E_NS1_11comp_targetILNS1_3genE0ELNS1_11target_archE4294967295ELNS1_3gpuE0ELNS1_3repE0EEENS1_30default_config_static_selectorELNS0_4arch9wavefront6targetE1EEEvT1_,comdat
.Lfunc_end596:
	.size	_ZN7rocprim17ROCPRIM_400000_NS6detail17trampoline_kernelINS0_14default_configENS1_27scan_by_key_config_selectorIssEEZZNS1_16scan_by_key_implILNS1_25lookback_scan_determinismE0ELb1ES3_N6thrust23THRUST_200600_302600_NS6detail15normal_iteratorINS9_10device_ptrIsEEEESE_SE_sNS9_4plusIvEENS9_8equal_toIvEEsEE10hipError_tPvRmT2_T3_T4_T5_mT6_T7_P12ihipStream_tbENKUlT_T0_E_clISt17integral_constantIbLb0EESY_IbLb1EEEEDaSU_SV_EUlSU_E_NS1_11comp_targetILNS1_3genE0ELNS1_11target_archE4294967295ELNS1_3gpuE0ELNS1_3repE0EEENS1_30default_config_static_selectorELNS0_4arch9wavefront6targetE1EEEvT1_, .Lfunc_end596-_ZN7rocprim17ROCPRIM_400000_NS6detail17trampoline_kernelINS0_14default_configENS1_27scan_by_key_config_selectorIssEEZZNS1_16scan_by_key_implILNS1_25lookback_scan_determinismE0ELb1ES3_N6thrust23THRUST_200600_302600_NS6detail15normal_iteratorINS9_10device_ptrIsEEEESE_SE_sNS9_4plusIvEENS9_8equal_toIvEEsEE10hipError_tPvRmT2_T3_T4_T5_mT6_T7_P12ihipStream_tbENKUlT_T0_E_clISt17integral_constantIbLb0EESY_IbLb1EEEEDaSU_SV_EUlSU_E_NS1_11comp_targetILNS1_3genE0ELNS1_11target_archE4294967295ELNS1_3gpuE0ELNS1_3repE0EEENS1_30default_config_static_selectorELNS0_4arch9wavefront6targetE1EEEvT1_
                                        ; -- End function
	.section	.AMDGPU.csdata,"",@progbits
; Kernel info:
; codeLenInByte = 0
; NumSgprs: 6
; NumVgprs: 0
; NumAgprs: 0
; TotalNumVgprs: 0
; ScratchSize: 0
; MemoryBound: 0
; FloatMode: 240
; IeeeMode: 1
; LDSByteSize: 0 bytes/workgroup (compile time only)
; SGPRBlocks: 0
; VGPRBlocks: 0
; NumSGPRsForWavesPerEU: 6
; NumVGPRsForWavesPerEU: 1
; AccumOffset: 4
; Occupancy: 8
; WaveLimiterHint : 0
; COMPUTE_PGM_RSRC2:SCRATCH_EN: 0
; COMPUTE_PGM_RSRC2:USER_SGPR: 2
; COMPUTE_PGM_RSRC2:TRAP_HANDLER: 0
; COMPUTE_PGM_RSRC2:TGID_X_EN: 1
; COMPUTE_PGM_RSRC2:TGID_Y_EN: 0
; COMPUTE_PGM_RSRC2:TGID_Z_EN: 0
; COMPUTE_PGM_RSRC2:TIDIG_COMP_CNT: 0
; COMPUTE_PGM_RSRC3_GFX90A:ACCUM_OFFSET: 0
; COMPUTE_PGM_RSRC3_GFX90A:TG_SPLIT: 0
	.section	.text._ZN7rocprim17ROCPRIM_400000_NS6detail17trampoline_kernelINS0_14default_configENS1_27scan_by_key_config_selectorIssEEZZNS1_16scan_by_key_implILNS1_25lookback_scan_determinismE0ELb1ES3_N6thrust23THRUST_200600_302600_NS6detail15normal_iteratorINS9_10device_ptrIsEEEESE_SE_sNS9_4plusIvEENS9_8equal_toIvEEsEE10hipError_tPvRmT2_T3_T4_T5_mT6_T7_P12ihipStream_tbENKUlT_T0_E_clISt17integral_constantIbLb0EESY_IbLb1EEEEDaSU_SV_EUlSU_E_NS1_11comp_targetILNS1_3genE10ELNS1_11target_archE1201ELNS1_3gpuE5ELNS1_3repE0EEENS1_30default_config_static_selectorELNS0_4arch9wavefront6targetE1EEEvT1_,"axG",@progbits,_ZN7rocprim17ROCPRIM_400000_NS6detail17trampoline_kernelINS0_14default_configENS1_27scan_by_key_config_selectorIssEEZZNS1_16scan_by_key_implILNS1_25lookback_scan_determinismE0ELb1ES3_N6thrust23THRUST_200600_302600_NS6detail15normal_iteratorINS9_10device_ptrIsEEEESE_SE_sNS9_4plusIvEENS9_8equal_toIvEEsEE10hipError_tPvRmT2_T3_T4_T5_mT6_T7_P12ihipStream_tbENKUlT_T0_E_clISt17integral_constantIbLb0EESY_IbLb1EEEEDaSU_SV_EUlSU_E_NS1_11comp_targetILNS1_3genE10ELNS1_11target_archE1201ELNS1_3gpuE5ELNS1_3repE0EEENS1_30default_config_static_selectorELNS0_4arch9wavefront6targetE1EEEvT1_,comdat
	.protected	_ZN7rocprim17ROCPRIM_400000_NS6detail17trampoline_kernelINS0_14default_configENS1_27scan_by_key_config_selectorIssEEZZNS1_16scan_by_key_implILNS1_25lookback_scan_determinismE0ELb1ES3_N6thrust23THRUST_200600_302600_NS6detail15normal_iteratorINS9_10device_ptrIsEEEESE_SE_sNS9_4plusIvEENS9_8equal_toIvEEsEE10hipError_tPvRmT2_T3_T4_T5_mT6_T7_P12ihipStream_tbENKUlT_T0_E_clISt17integral_constantIbLb0EESY_IbLb1EEEEDaSU_SV_EUlSU_E_NS1_11comp_targetILNS1_3genE10ELNS1_11target_archE1201ELNS1_3gpuE5ELNS1_3repE0EEENS1_30default_config_static_selectorELNS0_4arch9wavefront6targetE1EEEvT1_ ; -- Begin function _ZN7rocprim17ROCPRIM_400000_NS6detail17trampoline_kernelINS0_14default_configENS1_27scan_by_key_config_selectorIssEEZZNS1_16scan_by_key_implILNS1_25lookback_scan_determinismE0ELb1ES3_N6thrust23THRUST_200600_302600_NS6detail15normal_iteratorINS9_10device_ptrIsEEEESE_SE_sNS9_4plusIvEENS9_8equal_toIvEEsEE10hipError_tPvRmT2_T3_T4_T5_mT6_T7_P12ihipStream_tbENKUlT_T0_E_clISt17integral_constantIbLb0EESY_IbLb1EEEEDaSU_SV_EUlSU_E_NS1_11comp_targetILNS1_3genE10ELNS1_11target_archE1201ELNS1_3gpuE5ELNS1_3repE0EEENS1_30default_config_static_selectorELNS0_4arch9wavefront6targetE1EEEvT1_
	.globl	_ZN7rocprim17ROCPRIM_400000_NS6detail17trampoline_kernelINS0_14default_configENS1_27scan_by_key_config_selectorIssEEZZNS1_16scan_by_key_implILNS1_25lookback_scan_determinismE0ELb1ES3_N6thrust23THRUST_200600_302600_NS6detail15normal_iteratorINS9_10device_ptrIsEEEESE_SE_sNS9_4plusIvEENS9_8equal_toIvEEsEE10hipError_tPvRmT2_T3_T4_T5_mT6_T7_P12ihipStream_tbENKUlT_T0_E_clISt17integral_constantIbLb0EESY_IbLb1EEEEDaSU_SV_EUlSU_E_NS1_11comp_targetILNS1_3genE10ELNS1_11target_archE1201ELNS1_3gpuE5ELNS1_3repE0EEENS1_30default_config_static_selectorELNS0_4arch9wavefront6targetE1EEEvT1_
	.p2align	8
	.type	_ZN7rocprim17ROCPRIM_400000_NS6detail17trampoline_kernelINS0_14default_configENS1_27scan_by_key_config_selectorIssEEZZNS1_16scan_by_key_implILNS1_25lookback_scan_determinismE0ELb1ES3_N6thrust23THRUST_200600_302600_NS6detail15normal_iteratorINS9_10device_ptrIsEEEESE_SE_sNS9_4plusIvEENS9_8equal_toIvEEsEE10hipError_tPvRmT2_T3_T4_T5_mT6_T7_P12ihipStream_tbENKUlT_T0_E_clISt17integral_constantIbLb0EESY_IbLb1EEEEDaSU_SV_EUlSU_E_NS1_11comp_targetILNS1_3genE10ELNS1_11target_archE1201ELNS1_3gpuE5ELNS1_3repE0EEENS1_30default_config_static_selectorELNS0_4arch9wavefront6targetE1EEEvT1_,@function
_ZN7rocprim17ROCPRIM_400000_NS6detail17trampoline_kernelINS0_14default_configENS1_27scan_by_key_config_selectorIssEEZZNS1_16scan_by_key_implILNS1_25lookback_scan_determinismE0ELb1ES3_N6thrust23THRUST_200600_302600_NS6detail15normal_iteratorINS9_10device_ptrIsEEEESE_SE_sNS9_4plusIvEENS9_8equal_toIvEEsEE10hipError_tPvRmT2_T3_T4_T5_mT6_T7_P12ihipStream_tbENKUlT_T0_E_clISt17integral_constantIbLb0EESY_IbLb1EEEEDaSU_SV_EUlSU_E_NS1_11comp_targetILNS1_3genE10ELNS1_11target_archE1201ELNS1_3gpuE5ELNS1_3repE0EEENS1_30default_config_static_selectorELNS0_4arch9wavefront6targetE1EEEvT1_: ; @_ZN7rocprim17ROCPRIM_400000_NS6detail17trampoline_kernelINS0_14default_configENS1_27scan_by_key_config_selectorIssEEZZNS1_16scan_by_key_implILNS1_25lookback_scan_determinismE0ELb1ES3_N6thrust23THRUST_200600_302600_NS6detail15normal_iteratorINS9_10device_ptrIsEEEESE_SE_sNS9_4plusIvEENS9_8equal_toIvEEsEE10hipError_tPvRmT2_T3_T4_T5_mT6_T7_P12ihipStream_tbENKUlT_T0_E_clISt17integral_constantIbLb0EESY_IbLb1EEEEDaSU_SV_EUlSU_E_NS1_11comp_targetILNS1_3genE10ELNS1_11target_archE1201ELNS1_3gpuE5ELNS1_3repE0EEENS1_30default_config_static_selectorELNS0_4arch9wavefront6targetE1EEEvT1_
; %bb.0:
	.section	.rodata,"a",@progbits
	.p2align	6, 0x0
	.amdhsa_kernel _ZN7rocprim17ROCPRIM_400000_NS6detail17trampoline_kernelINS0_14default_configENS1_27scan_by_key_config_selectorIssEEZZNS1_16scan_by_key_implILNS1_25lookback_scan_determinismE0ELb1ES3_N6thrust23THRUST_200600_302600_NS6detail15normal_iteratorINS9_10device_ptrIsEEEESE_SE_sNS9_4plusIvEENS9_8equal_toIvEEsEE10hipError_tPvRmT2_T3_T4_T5_mT6_T7_P12ihipStream_tbENKUlT_T0_E_clISt17integral_constantIbLb0EESY_IbLb1EEEEDaSU_SV_EUlSU_E_NS1_11comp_targetILNS1_3genE10ELNS1_11target_archE1201ELNS1_3gpuE5ELNS1_3repE0EEENS1_30default_config_static_selectorELNS0_4arch9wavefront6targetE1EEEvT1_
		.amdhsa_group_segment_fixed_size 0
		.amdhsa_private_segment_fixed_size 0
		.amdhsa_kernarg_size 112
		.amdhsa_user_sgpr_count 2
		.amdhsa_user_sgpr_dispatch_ptr 0
		.amdhsa_user_sgpr_queue_ptr 0
		.amdhsa_user_sgpr_kernarg_segment_ptr 1
		.amdhsa_user_sgpr_dispatch_id 0
		.amdhsa_user_sgpr_kernarg_preload_length 0
		.amdhsa_user_sgpr_kernarg_preload_offset 0
		.amdhsa_user_sgpr_private_segment_size 0
		.amdhsa_uses_dynamic_stack 0
		.amdhsa_enable_private_segment 0
		.amdhsa_system_sgpr_workgroup_id_x 1
		.amdhsa_system_sgpr_workgroup_id_y 0
		.amdhsa_system_sgpr_workgroup_id_z 0
		.amdhsa_system_sgpr_workgroup_info 0
		.amdhsa_system_vgpr_workitem_id 0
		.amdhsa_next_free_vgpr 1
		.amdhsa_next_free_sgpr 0
		.amdhsa_accum_offset 4
		.amdhsa_reserve_vcc 0
		.amdhsa_float_round_mode_32 0
		.amdhsa_float_round_mode_16_64 0
		.amdhsa_float_denorm_mode_32 3
		.amdhsa_float_denorm_mode_16_64 3
		.amdhsa_dx10_clamp 1
		.amdhsa_ieee_mode 1
		.amdhsa_fp16_overflow 0
		.amdhsa_tg_split 0
		.amdhsa_exception_fp_ieee_invalid_op 0
		.amdhsa_exception_fp_denorm_src 0
		.amdhsa_exception_fp_ieee_div_zero 0
		.amdhsa_exception_fp_ieee_overflow 0
		.amdhsa_exception_fp_ieee_underflow 0
		.amdhsa_exception_fp_ieee_inexact 0
		.amdhsa_exception_int_div_zero 0
	.end_amdhsa_kernel
	.section	.text._ZN7rocprim17ROCPRIM_400000_NS6detail17trampoline_kernelINS0_14default_configENS1_27scan_by_key_config_selectorIssEEZZNS1_16scan_by_key_implILNS1_25lookback_scan_determinismE0ELb1ES3_N6thrust23THRUST_200600_302600_NS6detail15normal_iteratorINS9_10device_ptrIsEEEESE_SE_sNS9_4plusIvEENS9_8equal_toIvEEsEE10hipError_tPvRmT2_T3_T4_T5_mT6_T7_P12ihipStream_tbENKUlT_T0_E_clISt17integral_constantIbLb0EESY_IbLb1EEEEDaSU_SV_EUlSU_E_NS1_11comp_targetILNS1_3genE10ELNS1_11target_archE1201ELNS1_3gpuE5ELNS1_3repE0EEENS1_30default_config_static_selectorELNS0_4arch9wavefront6targetE1EEEvT1_,"axG",@progbits,_ZN7rocprim17ROCPRIM_400000_NS6detail17trampoline_kernelINS0_14default_configENS1_27scan_by_key_config_selectorIssEEZZNS1_16scan_by_key_implILNS1_25lookback_scan_determinismE0ELb1ES3_N6thrust23THRUST_200600_302600_NS6detail15normal_iteratorINS9_10device_ptrIsEEEESE_SE_sNS9_4plusIvEENS9_8equal_toIvEEsEE10hipError_tPvRmT2_T3_T4_T5_mT6_T7_P12ihipStream_tbENKUlT_T0_E_clISt17integral_constantIbLb0EESY_IbLb1EEEEDaSU_SV_EUlSU_E_NS1_11comp_targetILNS1_3genE10ELNS1_11target_archE1201ELNS1_3gpuE5ELNS1_3repE0EEENS1_30default_config_static_selectorELNS0_4arch9wavefront6targetE1EEEvT1_,comdat
.Lfunc_end597:
	.size	_ZN7rocprim17ROCPRIM_400000_NS6detail17trampoline_kernelINS0_14default_configENS1_27scan_by_key_config_selectorIssEEZZNS1_16scan_by_key_implILNS1_25lookback_scan_determinismE0ELb1ES3_N6thrust23THRUST_200600_302600_NS6detail15normal_iteratorINS9_10device_ptrIsEEEESE_SE_sNS9_4plusIvEENS9_8equal_toIvEEsEE10hipError_tPvRmT2_T3_T4_T5_mT6_T7_P12ihipStream_tbENKUlT_T0_E_clISt17integral_constantIbLb0EESY_IbLb1EEEEDaSU_SV_EUlSU_E_NS1_11comp_targetILNS1_3genE10ELNS1_11target_archE1201ELNS1_3gpuE5ELNS1_3repE0EEENS1_30default_config_static_selectorELNS0_4arch9wavefront6targetE1EEEvT1_, .Lfunc_end597-_ZN7rocprim17ROCPRIM_400000_NS6detail17trampoline_kernelINS0_14default_configENS1_27scan_by_key_config_selectorIssEEZZNS1_16scan_by_key_implILNS1_25lookback_scan_determinismE0ELb1ES3_N6thrust23THRUST_200600_302600_NS6detail15normal_iteratorINS9_10device_ptrIsEEEESE_SE_sNS9_4plusIvEENS9_8equal_toIvEEsEE10hipError_tPvRmT2_T3_T4_T5_mT6_T7_P12ihipStream_tbENKUlT_T0_E_clISt17integral_constantIbLb0EESY_IbLb1EEEEDaSU_SV_EUlSU_E_NS1_11comp_targetILNS1_3genE10ELNS1_11target_archE1201ELNS1_3gpuE5ELNS1_3repE0EEENS1_30default_config_static_selectorELNS0_4arch9wavefront6targetE1EEEvT1_
                                        ; -- End function
	.section	.AMDGPU.csdata,"",@progbits
; Kernel info:
; codeLenInByte = 0
; NumSgprs: 6
; NumVgprs: 0
; NumAgprs: 0
; TotalNumVgprs: 0
; ScratchSize: 0
; MemoryBound: 0
; FloatMode: 240
; IeeeMode: 1
; LDSByteSize: 0 bytes/workgroup (compile time only)
; SGPRBlocks: 0
; VGPRBlocks: 0
; NumSGPRsForWavesPerEU: 6
; NumVGPRsForWavesPerEU: 1
; AccumOffset: 4
; Occupancy: 8
; WaveLimiterHint : 0
; COMPUTE_PGM_RSRC2:SCRATCH_EN: 0
; COMPUTE_PGM_RSRC2:USER_SGPR: 2
; COMPUTE_PGM_RSRC2:TRAP_HANDLER: 0
; COMPUTE_PGM_RSRC2:TGID_X_EN: 1
; COMPUTE_PGM_RSRC2:TGID_Y_EN: 0
; COMPUTE_PGM_RSRC2:TGID_Z_EN: 0
; COMPUTE_PGM_RSRC2:TIDIG_COMP_CNT: 0
; COMPUTE_PGM_RSRC3_GFX90A:ACCUM_OFFSET: 0
; COMPUTE_PGM_RSRC3_GFX90A:TG_SPLIT: 0
	.section	.text._ZN7rocprim17ROCPRIM_400000_NS6detail17trampoline_kernelINS0_14default_configENS1_27scan_by_key_config_selectorIssEEZZNS1_16scan_by_key_implILNS1_25lookback_scan_determinismE0ELb1ES3_N6thrust23THRUST_200600_302600_NS6detail15normal_iteratorINS9_10device_ptrIsEEEESE_SE_sNS9_4plusIvEENS9_8equal_toIvEEsEE10hipError_tPvRmT2_T3_T4_T5_mT6_T7_P12ihipStream_tbENKUlT_T0_E_clISt17integral_constantIbLb0EESY_IbLb1EEEEDaSU_SV_EUlSU_E_NS1_11comp_targetILNS1_3genE5ELNS1_11target_archE942ELNS1_3gpuE9ELNS1_3repE0EEENS1_30default_config_static_selectorELNS0_4arch9wavefront6targetE1EEEvT1_,"axG",@progbits,_ZN7rocprim17ROCPRIM_400000_NS6detail17trampoline_kernelINS0_14default_configENS1_27scan_by_key_config_selectorIssEEZZNS1_16scan_by_key_implILNS1_25lookback_scan_determinismE0ELb1ES3_N6thrust23THRUST_200600_302600_NS6detail15normal_iteratorINS9_10device_ptrIsEEEESE_SE_sNS9_4plusIvEENS9_8equal_toIvEEsEE10hipError_tPvRmT2_T3_T4_T5_mT6_T7_P12ihipStream_tbENKUlT_T0_E_clISt17integral_constantIbLb0EESY_IbLb1EEEEDaSU_SV_EUlSU_E_NS1_11comp_targetILNS1_3genE5ELNS1_11target_archE942ELNS1_3gpuE9ELNS1_3repE0EEENS1_30default_config_static_selectorELNS0_4arch9wavefront6targetE1EEEvT1_,comdat
	.protected	_ZN7rocprim17ROCPRIM_400000_NS6detail17trampoline_kernelINS0_14default_configENS1_27scan_by_key_config_selectorIssEEZZNS1_16scan_by_key_implILNS1_25lookback_scan_determinismE0ELb1ES3_N6thrust23THRUST_200600_302600_NS6detail15normal_iteratorINS9_10device_ptrIsEEEESE_SE_sNS9_4plusIvEENS9_8equal_toIvEEsEE10hipError_tPvRmT2_T3_T4_T5_mT6_T7_P12ihipStream_tbENKUlT_T0_E_clISt17integral_constantIbLb0EESY_IbLb1EEEEDaSU_SV_EUlSU_E_NS1_11comp_targetILNS1_3genE5ELNS1_11target_archE942ELNS1_3gpuE9ELNS1_3repE0EEENS1_30default_config_static_selectorELNS0_4arch9wavefront6targetE1EEEvT1_ ; -- Begin function _ZN7rocprim17ROCPRIM_400000_NS6detail17trampoline_kernelINS0_14default_configENS1_27scan_by_key_config_selectorIssEEZZNS1_16scan_by_key_implILNS1_25lookback_scan_determinismE0ELb1ES3_N6thrust23THRUST_200600_302600_NS6detail15normal_iteratorINS9_10device_ptrIsEEEESE_SE_sNS9_4plusIvEENS9_8equal_toIvEEsEE10hipError_tPvRmT2_T3_T4_T5_mT6_T7_P12ihipStream_tbENKUlT_T0_E_clISt17integral_constantIbLb0EESY_IbLb1EEEEDaSU_SV_EUlSU_E_NS1_11comp_targetILNS1_3genE5ELNS1_11target_archE942ELNS1_3gpuE9ELNS1_3repE0EEENS1_30default_config_static_selectorELNS0_4arch9wavefront6targetE1EEEvT1_
	.globl	_ZN7rocprim17ROCPRIM_400000_NS6detail17trampoline_kernelINS0_14default_configENS1_27scan_by_key_config_selectorIssEEZZNS1_16scan_by_key_implILNS1_25lookback_scan_determinismE0ELb1ES3_N6thrust23THRUST_200600_302600_NS6detail15normal_iteratorINS9_10device_ptrIsEEEESE_SE_sNS9_4plusIvEENS9_8equal_toIvEEsEE10hipError_tPvRmT2_T3_T4_T5_mT6_T7_P12ihipStream_tbENKUlT_T0_E_clISt17integral_constantIbLb0EESY_IbLb1EEEEDaSU_SV_EUlSU_E_NS1_11comp_targetILNS1_3genE5ELNS1_11target_archE942ELNS1_3gpuE9ELNS1_3repE0EEENS1_30default_config_static_selectorELNS0_4arch9wavefront6targetE1EEEvT1_
	.p2align	8
	.type	_ZN7rocprim17ROCPRIM_400000_NS6detail17trampoline_kernelINS0_14default_configENS1_27scan_by_key_config_selectorIssEEZZNS1_16scan_by_key_implILNS1_25lookback_scan_determinismE0ELb1ES3_N6thrust23THRUST_200600_302600_NS6detail15normal_iteratorINS9_10device_ptrIsEEEESE_SE_sNS9_4plusIvEENS9_8equal_toIvEEsEE10hipError_tPvRmT2_T3_T4_T5_mT6_T7_P12ihipStream_tbENKUlT_T0_E_clISt17integral_constantIbLb0EESY_IbLb1EEEEDaSU_SV_EUlSU_E_NS1_11comp_targetILNS1_3genE5ELNS1_11target_archE942ELNS1_3gpuE9ELNS1_3repE0EEENS1_30default_config_static_selectorELNS0_4arch9wavefront6targetE1EEEvT1_,@function
_ZN7rocprim17ROCPRIM_400000_NS6detail17trampoline_kernelINS0_14default_configENS1_27scan_by_key_config_selectorIssEEZZNS1_16scan_by_key_implILNS1_25lookback_scan_determinismE0ELb1ES3_N6thrust23THRUST_200600_302600_NS6detail15normal_iteratorINS9_10device_ptrIsEEEESE_SE_sNS9_4plusIvEENS9_8equal_toIvEEsEE10hipError_tPvRmT2_T3_T4_T5_mT6_T7_P12ihipStream_tbENKUlT_T0_E_clISt17integral_constantIbLb0EESY_IbLb1EEEEDaSU_SV_EUlSU_E_NS1_11comp_targetILNS1_3genE5ELNS1_11target_archE942ELNS1_3gpuE9ELNS1_3repE0EEENS1_30default_config_static_selectorELNS0_4arch9wavefront6targetE1EEEvT1_: ; @_ZN7rocprim17ROCPRIM_400000_NS6detail17trampoline_kernelINS0_14default_configENS1_27scan_by_key_config_selectorIssEEZZNS1_16scan_by_key_implILNS1_25lookback_scan_determinismE0ELb1ES3_N6thrust23THRUST_200600_302600_NS6detail15normal_iteratorINS9_10device_ptrIsEEEESE_SE_sNS9_4plusIvEENS9_8equal_toIvEEsEE10hipError_tPvRmT2_T3_T4_T5_mT6_T7_P12ihipStream_tbENKUlT_T0_E_clISt17integral_constantIbLb0EESY_IbLb1EEEEDaSU_SV_EUlSU_E_NS1_11comp_targetILNS1_3genE5ELNS1_11target_archE942ELNS1_3gpuE9ELNS1_3repE0EEENS1_30default_config_static_selectorELNS0_4arch9wavefront6targetE1EEEvT1_
; %bb.0:
	s_load_dword s74, s[0:1], 0x20
	s_load_dwordx4 s[64:67], s[0:1], 0x28
	s_load_dwordx2 s[72:73], s[0:1], 0x38
	v_cmp_eq_u32_e64 s[52:53], 0, v0
	s_and_saveexec_b64 s[2:3], s[52:53]
	s_cbranch_execz .LBB598_4
; %bb.1:
	s_mov_b64 s[6:7], exec
	v_mbcnt_lo_u32_b32 v1, s6, 0
	v_mbcnt_hi_u32_b32 v1, s7, v1
	v_cmp_eq_u32_e32 vcc, 0, v1
                                        ; implicit-def: $vgpr2
	s_and_saveexec_b64 s[4:5], vcc
	s_cbranch_execz .LBB598_3
; %bb.2:
	s_load_dwordx2 s[8:9], s[0:1], 0x68
	s_bcnt1_i32_b64 s6, s[6:7]
	v_mov_b32_e32 v2, 0
	v_mov_b32_e32 v3, s6
	s_waitcnt lgkmcnt(0)
	global_atomic_add v2, v2, v3, s[8:9] sc0
.LBB598_3:
	s_or_b64 exec, exec, s[4:5]
	s_waitcnt vmcnt(0)
	v_readfirstlane_b32 s4, v2
	v_mov_b32_e32 v2, 0
	s_nop 0
	v_add_u32_e32 v1, s4, v1
	ds_write_b32 v2, v1
.LBB598_4:
	s_or_b64 exec, exec, s[2:3]
	s_load_dwordx8 s[56:63], s[0:1], 0x0
	s_load_dword s2, s[0:1], 0x40
	s_load_dwordx4 s[68:71], s[0:1], 0x48
	v_mov_b32_e32 v3, 0
	s_waitcnt lgkmcnt(0)
	s_lshl_b64 s[54:55], s[58:59], 1
	s_barrier
	ds_read_b32 v2, v3
	s_add_u32 s0, s56, s54
	s_addc_u32 s1, s57, s55
	s_add_u32 s4, s60, s54
	s_mul_i32 s3, s73, s2
	s_mul_hi_u32 s6, s72, s2
	s_addc_u32 s5, s61, s55
	s_add_i32 s3, s6, s3
	s_movk_i32 s6, 0x1800
	s_waitcnt lgkmcnt(0)
	v_mul_lo_u32 v4, v2, s6
	v_mov_b32_e32 v5, v3
	v_lshlrev_b64 v[26:27], 1, v[4:5]
	s_mul_i32 s2, s72, s2
	v_lshl_add_u64 v[18:19], s[4:5], 0, v[26:27]
	s_add_u32 s4, s68, -1
	v_readfirstlane_b32 s67, v2
	v_lshl_add_u64 v[2:3], s[2:3], 0, v[2:3]
	s_addc_u32 s5, s69, -1
	v_cmp_le_u64_e64 s[2:3], s[4:5], v[2:3]
	v_lshl_add_u64 v[20:21], s[0:1], 0, v[26:27]
	s_mov_b64 s[0:1], -1
	s_and_b64 vcc, exec, s[2:3]
	s_mul_i32 s33, s4, 0xffffe800
	s_barrier
	s_barrier
	s_cbranch_vccz .LBB598_130
; %bb.5:
	flat_load_ushort v1, v[20:21]
	s_add_i32 s69, s33, s66
	v_cmp_gt_u32_e32 vcc, s69, v0
	s_waitcnt vmcnt(0) lgkmcnt(0)
	v_mov_b32_e32 v2, v1
	s_and_saveexec_b64 s[0:1], vcc
	s_cbranch_execz .LBB598_7
; %bb.6:
	v_lshlrev_b32_e32 v2, 1, v0
	v_mov_b32_e32 v3, 0
	v_lshl_add_u64 v[2:3], v[20:21], 0, v[2:3]
	flat_load_ushort v2, v[2:3]
.LBB598_7:
	s_or_b64 exec, exec, s[0:1]
	v_or_b32_e32 v3, 0x100, v0
	v_cmp_gt_u32_e64 s[4:5], s69, v3
	v_mov_b32_e32 v3, v1
	s_and_saveexec_b64 s[0:1], s[4:5]
	s_cbranch_execz .LBB598_9
; %bb.8:
	v_lshlrev_b32_e32 v4, 1, v0
	v_mov_b32_e32 v5, 0
	v_lshl_add_u64 v[4:5], v[20:21], 0, v[4:5]
	flat_load_ushort v3, v[4:5] offset:512
.LBB598_9:
	s_or_b64 exec, exec, s[0:1]
	v_or_b32_e32 v4, 0x200, v0
	v_cmp_gt_u32_e64 s[6:7], s69, v4
	v_mov_b32_e32 v4, v1
	s_and_saveexec_b64 s[0:1], s[6:7]
	s_cbranch_execz .LBB598_11
; %bb.10:
	v_lshlrev_b32_e32 v4, 1, v0
	v_mov_b32_e32 v5, 0
	v_lshl_add_u64 v[4:5], v[20:21], 0, v[4:5]
	flat_load_ushort v4, v[4:5] offset:1024
.LBB598_11:
	;; [unrolled: 12-line block ×7, first 2 shown]
	s_or_b64 exec, exec, s[0:1]
	v_or_b32_e32 v10, 0x800, v0
	v_cmp_gt_u32_e64 s[18:19], s69, v10
	v_lshlrev_b32_e32 v14, 1, v10
	v_mov_b32_e32 v10, v1
	s_and_saveexec_b64 s[0:1], s[18:19]
	s_cbranch_execz .LBB598_23
; %bb.22:
	v_mov_b32_e32 v15, 0
	v_lshl_add_u64 v[10:11], v[20:21], 0, v[14:15]
	flat_load_ushort v10, v[10:11]
.LBB598_23:
	s_or_b64 exec, exec, s[0:1]
	v_or_b32_e32 v11, 0x900, v0
	v_cmp_gt_u32_e64 s[20:21], s69, v11
	v_lshlrev_b32_e32 v16, 1, v11
	v_mov_b32_e32 v11, v1
	s_and_saveexec_b64 s[0:1], s[20:21]
	s_cbranch_execz .LBB598_25
; %bb.24:
	v_mov_b32_e32 v17, 0
	v_lshl_add_u64 v[12:13], v[20:21], 0, v[16:17]
	flat_load_ushort v11, v[12:13]
.LBB598_25:
	;; [unrolled: 12-line block ×15, first 2 shown]
	s_or_b64 exec, exec, s[0:1]
	v_or_b32_e32 v42, 0x1700, v0
	v_cmp_gt_u32_e64 s[50:51], s69, v42
	v_lshlrev_b32_e32 v52, 1, v42
	s_and_saveexec_b64 s[0:1], s[50:51]
	s_cbranch_execz .LBB598_53
; %bb.52:
	v_mov_b32_e32 v53, 0
	v_lshl_add_u64 v[42:43], v[20:21], 0, v[52:53]
	flat_load_ushort v1, v[42:43]
.LBB598_53:
	s_or_b64 exec, exec, s[0:1]
	v_lshlrev_b32_e32 v42, 1, v0
	s_waitcnt vmcnt(0) lgkmcnt(0)
	ds_write_b16 v42, v2
	ds_write_b16 v42, v3 offset:512
	ds_write_b16 v42, v4 offset:1024
	;; [unrolled: 1-line block ×23, first 2 shown]
	s_waitcnt lgkmcnt(0)
	s_barrier
	flat_load_ushort v54, v[20:21]
	v_mad_u32_u24 v55, v0, 46, v42
	ds_read_b128 v[10:13], v55
	ds_read_b128 v[6:9], v55 offset:16
	ds_read_b128 v[2:5], v55 offset:32
	s_movk_i32 s0, 0xffd2
	v_mad_i32_i24 v1, v0, s0, v55
	s_movk_i32 s0, 0xff
	v_cmp_ne_u32_e64 s[0:1], s0, v0
	s_waitcnt lgkmcnt(0)
	ds_write_b16 v1, v10 offset:12800
	s_waitcnt lgkmcnt(0)
	s_barrier
	s_and_saveexec_b64 s[56:57], s[0:1]
	s_cbranch_execz .LBB598_55
; %bb.54:
	s_waitcnt vmcnt(0)
	ds_read_u16 v54, v42 offset:12802
.LBB598_55:
	s_or_b64 exec, exec, s[56:57]
	v_mov_b32_e32 v43, 0
	s_waitcnt lgkmcnt(0)
	s_barrier
	s_waitcnt lgkmcnt(0)
                                        ; implicit-def: $vgpr1
	s_and_saveexec_b64 s[0:1], vcc
	s_cbranch_execz .LBB598_205
; %bb.56:
	v_lshl_add_u64 v[56:57], v[18:19], 0, v[42:43]
	flat_load_ushort v1, v[56:57]
	s_or_b64 exec, exec, s[0:1]
                                        ; implicit-def: $vgpr56
	s_and_saveexec_b64 s[0:1], s[4:5]
	s_cbranch_execnz .LBB598_206
.LBB598_57:
	s_or_b64 exec, exec, s[0:1]
                                        ; implicit-def: $vgpr57
	s_and_saveexec_b64 s[0:1], s[6:7]
	s_cbranch_execz .LBB598_207
.LBB598_58:
	v_mov_b32_e32 v43, 0
	v_lshl_add_u64 v[58:59], v[18:19], 0, v[42:43]
	flat_load_ushort v57, v[58:59] offset:1024
	s_or_b64 exec, exec, s[0:1]
                                        ; implicit-def: $vgpr58
	s_and_saveexec_b64 s[0:1], s[8:9]
	s_cbranch_execnz .LBB598_208
.LBB598_59:
	s_or_b64 exec, exec, s[0:1]
                                        ; implicit-def: $vgpr59
	s_and_saveexec_b64 s[0:1], s[10:11]
	s_cbranch_execz .LBB598_209
.LBB598_60:
	v_mov_b32_e32 v43, 0
	v_lshl_add_u64 v[60:61], v[18:19], 0, v[42:43]
	flat_load_ushort v59, v[60:61] offset:2048
	s_or_b64 exec, exec, s[0:1]
                                        ; implicit-def: $vgpr60
	s_and_saveexec_b64 s[0:1], s[12:13]
	s_cbranch_execnz .LBB598_210
.LBB598_61:
	s_or_b64 exec, exec, s[0:1]
                                        ; implicit-def: $vgpr61
	s_and_saveexec_b64 s[0:1], s[14:15]
	s_cbranch_execz .LBB598_211
.LBB598_62:
	v_mov_b32_e32 v43, 0
	v_lshl_add_u64 v[62:63], v[18:19], 0, v[42:43]
	flat_load_ushort v61, v[62:63] offset:3072
	s_or_b64 exec, exec, s[0:1]
                                        ; implicit-def: $vgpr43
	s_and_saveexec_b64 s[0:1], s[16:17]
	s_cbranch_execnz .LBB598_212
.LBB598_63:
	s_or_b64 exec, exec, s[0:1]
                                        ; implicit-def: $vgpr15
	s_and_saveexec_b64 s[0:1], s[18:19]
	s_cbranch_execz .LBB598_213
.LBB598_64:
	v_mov_b32_e32 v15, 0
	v_lshl_add_u64 v[14:15], v[18:19], 0, v[14:15]
	flat_load_ushort v15, v[14:15]
	s_or_b64 exec, exec, s[0:1]
                                        ; implicit-def: $vgpr14
	s_and_saveexec_b64 s[0:1], s[20:21]
	s_cbranch_execnz .LBB598_214
.LBB598_65:
	s_or_b64 exec, exec, s[0:1]
                                        ; implicit-def: $vgpr16
	s_and_saveexec_b64 s[0:1], s[22:23]
	s_cbranch_execz .LBB598_215
.LBB598_66:
	v_mov_b32_e32 v23, 0
	v_lshl_add_u64 v[16:17], v[18:19], 0, v[22:23]
	flat_load_ushort v16, v[16:17]
	s_or_b64 exec, exec, s[0:1]
                                        ; implicit-def: $vgpr17
	s_and_saveexec_b64 s[0:1], s[24:25]
	s_cbranch_execnz .LBB598_216
.LBB598_67:
	s_or_b64 exec, exec, s[0:1]
                                        ; implicit-def: $vgpr22
	s_and_saveexec_b64 s[0:1], s[26:27]
	s_cbranch_execz .LBB598_217
.LBB598_68:
	v_mov_b32_e32 v29, 0
	v_lshl_add_u64 v[22:23], v[18:19], 0, v[28:29]
	flat_load_ushort v22, v[22:23]
	s_or_b64 exec, exec, s[0:1]
                                        ; implicit-def: $vgpr23
	s_and_saveexec_b64 s[0:1], s[28:29]
	s_cbranch_execnz .LBB598_218
.LBB598_69:
	s_or_b64 exec, exec, s[0:1]
                                        ; implicit-def: $vgpr24
	s_and_saveexec_b64 s[0:1], s[30:31]
	s_cbranch_execz .LBB598_219
.LBB598_70:
	v_mov_b32_e32 v33, 0
	v_lshl_add_u64 v[24:25], v[18:19], 0, v[32:33]
	flat_load_ushort v24, v[24:25]
	s_or_b64 exec, exec, s[0:1]
                                        ; implicit-def: $vgpr25
	s_and_saveexec_b64 s[0:1], s[34:35]
	s_cbranch_execnz .LBB598_220
.LBB598_71:
	s_or_b64 exec, exec, s[0:1]
                                        ; implicit-def: $vgpr29
	s_and_saveexec_b64 s[0:1], s[36:37]
	s_cbranch_execz .LBB598_221
.LBB598_72:
	v_mov_b32_e32 v37, 0
	v_lshl_add_u64 v[28:29], v[18:19], 0, v[36:37]
	flat_load_ushort v29, v[28:29]
	s_or_b64 exec, exec, s[0:1]
                                        ; implicit-def: $vgpr30
	s_and_saveexec_b64 s[0:1], s[38:39]
	s_cbranch_execnz .LBB598_222
.LBB598_73:
	s_or_b64 exec, exec, s[0:1]
                                        ; implicit-def: $vgpr31
	s_and_saveexec_b64 s[0:1], s[40:41]
	s_cbranch_execz .LBB598_223
.LBB598_74:
	v_mov_b32_e32 v41, 0
	v_lshl_add_u64 v[32:33], v[18:19], 0, v[40:41]
	flat_load_ushort v31, v[32:33]
	s_or_b64 exec, exec, s[0:1]
                                        ; implicit-def: $vgpr32
	s_and_saveexec_b64 s[0:1], s[42:43]
	s_cbranch_execnz .LBB598_224
.LBB598_75:
	s_or_b64 exec, exec, s[0:1]
                                        ; implicit-def: $vgpr33
	s_and_saveexec_b64 s[0:1], s[44:45]
	s_cbranch_execz .LBB598_225
.LBB598_76:
	v_mov_b32_e32 v47, 0
	v_lshl_add_u64 v[34:35], v[18:19], 0, v[46:47]
	flat_load_ushort v33, v[34:35]
	s_or_b64 exec, exec, s[0:1]
                                        ; implicit-def: $vgpr34
	s_and_saveexec_b64 s[0:1], s[46:47]
	s_cbranch_execnz .LBB598_226
.LBB598_77:
	s_or_b64 exec, exec, s[0:1]
                                        ; implicit-def: $vgpr35
	s_and_saveexec_b64 s[0:1], s[48:49]
	s_cbranch_execz .LBB598_79
.LBB598_78:
	v_mov_b32_e32 v51, 0
	v_lshl_add_u64 v[36:37], v[18:19], 0, v[50:51]
	flat_load_ushort v35, v[36:37]
.LBB598_79:
	s_or_b64 exec, exec, s[0:1]
	v_mul_u32_u24_e32 v28, 24, v0
                                        ; implicit-def: $vgpr36
	s_and_saveexec_b64 s[0:1], s[50:51]
	s_cbranch_execz .LBB598_81
; %bb.80:
	v_mov_b32_e32 v53, 0
	v_lshl_add_u64 v[36:37], v[18:19], 0, v[52:53]
	flat_load_ushort v36, v[36:37]
.LBB598_81:
	s_or_b64 exec, exec, s[0:1]
	s_waitcnt vmcnt(0) lgkmcnt(0)
	ds_write_b16 v42, v1
	ds_write_b16 v42, v56 offset:512
	ds_write_b16 v42, v57 offset:1024
	;; [unrolled: 1-line block ×23, first 2 shown]
	v_cmp_gt_u32_e32 vcc, s69, v28
	s_mov_b64 s[0:1], 0
	s_mov_b32 s68, 0
	v_mov_b32_e32 v1, 0
	s_mov_b64 s[8:9], 0
	v_mov_b32_e32 v25, 0
	v_mov_b32_e32 v29, 0
	;; [unrolled: 1-line block ×22, first 2 shown]
	s_waitcnt lgkmcnt(0)
	s_barrier
	s_waitcnt lgkmcnt(0)
                                        ; implicit-def: $sgpr6_sgpr7
                                        ; implicit-def: $vgpr47
	s_and_saveexec_b64 s[4:5], vcc
	s_cbranch_execz .LBB598_129
; %bb.82:
	ds_read_u16 v1, v55
	v_mov_b32_e32 v15, s74
	v_cmp_eq_u16_sdwa vcc, v10, v10 src0_sel:DWORD src1_sel:WORD_1
	v_cmp_ne_u16_sdwa s[6:7], v10, v10 src0_sel:DWORD src1_sel:WORD_1
	v_or_b32_e32 v14, 1, v28
	s_waitcnt lgkmcnt(0)
	v_cndmask_b32_e32 v1, v15, v1, vcc
	v_and_b32_e32 v1, 0xffff, v1
	v_cndmask_b32_e64 v15, 0, 1, s[6:7]
	v_lshl_or_b32 v1, v15, 16, v1
	v_cmp_gt_u32_e32 vcc, s69, v14
	v_mov_b32_e32 v25, 0
	v_mov_b32_e32 v29, 0
	;; [unrolled: 1-line block ×22, first 2 shown]
                                        ; implicit-def: $sgpr10_sgpr11
                                        ; implicit-def: $vgpr47
	s_and_saveexec_b64 s[6:7], vcc
	s_cbranch_execz .LBB598_128
; %bb.83:
	ds_read_b128 v[14:17], v55 offset:2
	v_mov_b32_e32 v23, s74
	v_cmp_eq_u16_sdwa vcc, v10, v11 src0_sel:WORD_1 src1_sel:DWORD
	v_cmp_ne_u16_sdwa s[8:9], v10, v11 src0_sel:WORD_1 src1_sel:DWORD
	v_or_b32_e32 v22, 2, v28
	s_waitcnt lgkmcnt(0)
	v_cndmask_b32_e32 v23, v23, v14, vcc
	v_and_b32_e32 v23, 0xffff, v23
	v_cndmask_b32_e64 v10, 0, 1, s[8:9]
	v_lshl_or_b32 v25, v10, 16, v23
	v_cmp_gt_u32_e32 vcc, s69, v22
	s_mov_b64 s[12:13], 0
	v_mov_b32_e32 v29, 0
	v_mov_b32_e32 v30, 0
	;; [unrolled: 1-line block ×21, first 2 shown]
                                        ; implicit-def: $sgpr10_sgpr11
                                        ; implicit-def: $vgpr47
	s_and_saveexec_b64 s[8:9], vcc
	s_cbranch_execz .LBB598_127
; %bb.84:
	v_lshrrev_b32_e32 v10, 16, v14
	v_mov_b32_e32 v22, s74
	v_cmp_eq_u16_sdwa vcc, v11, v11 src0_sel:DWORD src1_sel:WORD_1
	v_cmp_ne_u16_sdwa s[10:11], v11, v11 src0_sel:DWORD src1_sel:WORD_1
	v_or_b32_e32 v14, 3, v28
	v_cndmask_b32_e32 v10, v22, v10, vcc
	v_and_b32_e32 v10, 0xffff, v10
	v_cndmask_b32_e64 v22, 0, 1, s[10:11]
	v_lshl_or_b32 v29, v22, 16, v10
	v_cmp_gt_u32_e32 vcc, s69, v14
	v_mov_b32_e32 v30, 0
	v_mov_b32_e32 v31, 0
	;; [unrolled: 1-line block ×20, first 2 shown]
                                        ; implicit-def: $sgpr14_sgpr15
                                        ; implicit-def: $vgpr47
	s_and_saveexec_b64 s[10:11], vcc
	s_cbranch_execz .LBB598_126
; %bb.85:
	v_mov_b32_e32 v14, s74
	v_cmp_eq_u16_sdwa vcc, v11, v12 src0_sel:WORD_1 src1_sel:DWORD
	v_cmp_ne_u16_sdwa s[12:13], v11, v12 src0_sel:WORD_1 src1_sel:DWORD
	v_or_b32_e32 v10, 4, v28
	v_cndmask_b32_e32 v14, v14, v15, vcc
	v_and_b32_e32 v14, 0xffff, v14
	v_cndmask_b32_e64 v11, 0, 1, s[12:13]
	v_lshl_or_b32 v30, v11, 16, v14
	v_cmp_gt_u32_e32 vcc, s69, v10
	s_mov_b64 s[16:17], 0
	v_mov_b32_e32 v31, 0
	v_mov_b32_e32 v32, 0
	;; [unrolled: 1-line block ×19, first 2 shown]
                                        ; implicit-def: $sgpr14_sgpr15
                                        ; implicit-def: $vgpr47
	s_and_saveexec_b64 s[12:13], vcc
	s_cbranch_execz .LBB598_125
; %bb.86:
	v_lshrrev_b32_e32 v10, 16, v15
	v_mov_b32_e32 v14, s74
	v_cmp_eq_u16_sdwa vcc, v12, v12 src0_sel:DWORD src1_sel:WORD_1
	v_cmp_ne_u16_sdwa s[14:15], v12, v12 src0_sel:DWORD src1_sel:WORD_1
	v_or_b32_e32 v11, 5, v28
	v_cndmask_b32_e32 v10, v14, v10, vcc
	v_and_b32_e32 v10, 0xffff, v10
	v_cndmask_b32_e64 v14, 0, 1, s[14:15]
	v_lshl_or_b32 v31, v14, 16, v10
	v_cmp_gt_u32_e32 vcc, s69, v11
	v_mov_b32_e32 v32, 0
	v_mov_b32_e32 v33, 0
	;; [unrolled: 1-line block ×18, first 2 shown]
                                        ; implicit-def: $sgpr18_sgpr19
                                        ; implicit-def: $vgpr47
	s_and_saveexec_b64 s[14:15], vcc
	s_cbranch_execz .LBB598_124
; %bb.87:
	v_mov_b32_e32 v11, s74
	v_cmp_eq_u16_sdwa vcc, v12, v13 src0_sel:WORD_1 src1_sel:DWORD
	v_cmp_ne_u16_sdwa s[16:17], v12, v13 src0_sel:WORD_1 src1_sel:DWORD
	v_or_b32_e32 v10, 6, v28
	v_cndmask_b32_e32 v11, v11, v16, vcc
	v_and_b32_e32 v11, 0xffff, v11
	v_cndmask_b32_e64 v12, 0, 1, s[16:17]
	v_lshl_or_b32 v32, v12, 16, v11
	v_cmp_gt_u32_e32 vcc, s69, v10
	s_mov_b64 s[20:21], 0
	v_mov_b32_e32 v33, 0
	v_mov_b32_e32 v34, 0
	;; [unrolled: 1-line block ×17, first 2 shown]
                                        ; implicit-def: $sgpr18_sgpr19
                                        ; implicit-def: $vgpr47
	s_and_saveexec_b64 s[16:17], vcc
	s_cbranch_execz .LBB598_123
; %bb.88:
	v_lshrrev_b32_e32 v10, 16, v16
	v_mov_b32_e32 v12, s74
	v_cmp_eq_u16_sdwa vcc, v13, v13 src0_sel:DWORD src1_sel:WORD_1
	v_cmp_ne_u16_sdwa s[18:19], v13, v13 src0_sel:DWORD src1_sel:WORD_1
	v_or_b32_e32 v11, 7, v28
	v_cndmask_b32_e32 v10, v12, v10, vcc
	v_and_b32_e32 v10, 0xffff, v10
	v_cndmask_b32_e64 v12, 0, 1, s[18:19]
	v_lshl_or_b32 v33, v12, 16, v10
	v_cmp_gt_u32_e32 vcc, s69, v11
	v_mov_b32_e32 v34, 0
	v_mov_b32_e32 v35, 0
	;; [unrolled: 1-line block ×16, first 2 shown]
                                        ; implicit-def: $sgpr22_sgpr23
                                        ; implicit-def: $vgpr47
	s_and_saveexec_b64 s[18:19], vcc
	s_cbranch_execz .LBB598_122
; %bb.89:
	v_mov_b32_e32 v11, s74
	v_cmp_eq_u16_sdwa vcc, v13, v6 src0_sel:WORD_1 src1_sel:DWORD
	v_cmp_ne_u16_sdwa s[20:21], v13, v6 src0_sel:WORD_1 src1_sel:DWORD
	v_add_u32_e32 v10, 8, v28
	v_cndmask_b32_e32 v11, v11, v17, vcc
	v_and_b32_e32 v11, 0xffff, v11
	v_cndmask_b32_e64 v12, 0, 1, s[20:21]
	v_lshl_or_b32 v34, v12, 16, v11
	v_cmp_gt_u32_e32 vcc, s69, v10
	s_mov_b64 s[24:25], 0
	v_mov_b32_e32 v35, 0
	v_mov_b32_e32 v36, 0
	v_mov_b32_e32 v37, 0
	v_mov_b32_e32 v38, 0
	v_mov_b32_e32 v39, 0
	v_mov_b32_e32 v40, 0
	v_mov_b32_e32 v41, 0
	v_mov_b32_e32 v42, 0
	v_mov_b32_e32 v43, 0
	v_mov_b32_e32 v22, 0
	v_mov_b32_e32 v44, 0
	v_mov_b32_e32 v23, 0
	v_mov_b32_e32 v45, 0
	v_mov_b32_e32 v24, 0
	v_mov_b32_e32 v46, 0
                                        ; implicit-def: $sgpr22_sgpr23
                                        ; implicit-def: $vgpr47
	s_and_saveexec_b64 s[20:21], vcc
	s_cbranch_execz .LBB598_121
; %bb.90:
	v_lshrrev_b32_e32 v10, 16, v17
	v_mov_b32_e32 v12, s74
	v_cmp_eq_u16_sdwa vcc, v6, v6 src0_sel:DWORD src1_sel:WORD_1
	v_cmp_ne_u16_sdwa s[22:23], v6, v6 src0_sel:DWORD src1_sel:WORD_1
	v_add_u32_e32 v11, 9, v28
	v_cndmask_b32_e32 v10, v12, v10, vcc
	v_and_b32_e32 v10, 0xffff, v10
	v_cndmask_b32_e64 v12, 0, 1, s[22:23]
	v_lshl_or_b32 v35, v12, 16, v10
	v_cmp_gt_u32_e32 vcc, s69, v11
	v_mov_b32_e32 v36, 0
	v_mov_b32_e32 v37, 0
	;; [unrolled: 1-line block ×14, first 2 shown]
                                        ; implicit-def: $sgpr26_sgpr27
                                        ; implicit-def: $vgpr47
	s_and_saveexec_b64 s[22:23], vcc
	s_cbranch_execz .LBB598_120
; %bb.91:
	ds_read_b128 v[10:13], v55 offset:18
	v_mov_b32_e32 v15, s74
	v_cmp_eq_u16_sdwa vcc, v6, v7 src0_sel:WORD_1 src1_sel:DWORD
	v_cmp_ne_u16_sdwa s[24:25], v6, v7 src0_sel:WORD_1 src1_sel:DWORD
	v_add_u32_e32 v14, 10, v28
	s_waitcnt lgkmcnt(0)
	v_cndmask_b32_e32 v15, v15, v10, vcc
	v_and_b32_e32 v15, 0xffff, v15
	v_cndmask_b32_e64 v6, 0, 1, s[24:25]
	v_lshl_or_b32 v36, v6, 16, v15
	v_cmp_gt_u32_e32 vcc, s69, v14
	s_mov_b64 s[28:29], 0
	v_mov_b32_e32 v37, 0
	v_mov_b32_e32 v38, 0
	;; [unrolled: 1-line block ×13, first 2 shown]
                                        ; implicit-def: $sgpr26_sgpr27
                                        ; implicit-def: $vgpr47
	s_and_saveexec_b64 s[24:25], vcc
	s_cbranch_execz .LBB598_119
; %bb.92:
	v_lshrrev_b32_e32 v6, 16, v10
	v_mov_b32_e32 v14, s74
	v_cmp_eq_u16_sdwa vcc, v7, v7 src0_sel:DWORD src1_sel:WORD_1
	v_cmp_ne_u16_sdwa s[26:27], v7, v7 src0_sel:DWORD src1_sel:WORD_1
	v_add_u32_e32 v10, 11, v28
	v_cndmask_b32_e32 v6, v14, v6, vcc
	v_and_b32_e32 v6, 0xffff, v6
	v_cndmask_b32_e64 v14, 0, 1, s[26:27]
	v_lshl_or_b32 v37, v14, 16, v6
	v_cmp_gt_u32_e32 vcc, s69, v10
	v_mov_b32_e32 v38, 0
	v_mov_b32_e32 v39, 0
	;; [unrolled: 1-line block ×12, first 2 shown]
                                        ; implicit-def: $sgpr30_sgpr31
                                        ; implicit-def: $vgpr47
	s_and_saveexec_b64 s[26:27], vcc
	s_cbranch_execz .LBB598_118
; %bb.93:
	v_mov_b32_e32 v10, s74
	v_cmp_eq_u16_sdwa vcc, v7, v8 src0_sel:WORD_1 src1_sel:DWORD
	v_cmp_ne_u16_sdwa s[28:29], v7, v8 src0_sel:WORD_1 src1_sel:DWORD
	v_add_u32_e32 v6, 12, v28
	v_cndmask_b32_e32 v10, v10, v11, vcc
	v_and_b32_e32 v10, 0xffff, v10
	v_cndmask_b32_e64 v7, 0, 1, s[28:29]
	v_lshl_or_b32 v38, v7, 16, v10
	v_cmp_gt_u32_e32 vcc, s69, v6
	s_mov_b64 s[34:35], 0
	v_mov_b32_e32 v39, 0
	v_mov_b32_e32 v40, 0
	;; [unrolled: 1-line block ×11, first 2 shown]
                                        ; implicit-def: $sgpr30_sgpr31
                                        ; implicit-def: $vgpr47
	s_and_saveexec_b64 s[28:29], vcc
	s_cbranch_execz .LBB598_117
; %bb.94:
	v_lshrrev_b32_e32 v6, 16, v11
	v_mov_b32_e32 v10, s74
	v_cmp_eq_u16_sdwa vcc, v8, v8 src0_sel:DWORD src1_sel:WORD_1
	v_cmp_ne_u16_sdwa s[30:31], v8, v8 src0_sel:DWORD src1_sel:WORD_1
	v_add_u32_e32 v7, 13, v28
	v_cndmask_b32_e32 v6, v10, v6, vcc
	v_and_b32_e32 v6, 0xffff, v6
	v_cndmask_b32_e64 v10, 0, 1, s[30:31]
	v_lshl_or_b32 v39, v10, 16, v6
	v_cmp_gt_u32_e32 vcc, s69, v7
	v_mov_b32_e32 v40, 0
	v_mov_b32_e32 v41, 0
	;; [unrolled: 1-line block ×10, first 2 shown]
                                        ; implicit-def: $sgpr36_sgpr37
                                        ; implicit-def: $vgpr47
	s_and_saveexec_b64 s[30:31], vcc
	s_cbranch_execz .LBB598_116
; %bb.95:
	v_mov_b32_e32 v7, s74
	v_cmp_eq_u16_sdwa vcc, v8, v9 src0_sel:WORD_1 src1_sel:DWORD
	v_cmp_ne_u16_sdwa s[34:35], v8, v9 src0_sel:WORD_1 src1_sel:DWORD
	v_add_u32_e32 v6, 14, v28
	v_cndmask_b32_e32 v7, v7, v12, vcc
	v_and_b32_e32 v7, 0xffff, v7
	v_cndmask_b32_e64 v8, 0, 1, s[34:35]
	v_lshl_or_b32 v40, v8, 16, v7
	v_cmp_gt_u32_e32 vcc, s69, v6
	s_mov_b64 s[38:39], 0
	v_mov_b32_e32 v41, 0
	v_mov_b32_e32 v42, 0
	v_mov_b32_e32 v43, 0
	v_mov_b32_e32 v22, 0
	v_mov_b32_e32 v44, 0
	v_mov_b32_e32 v23, 0
	v_mov_b32_e32 v45, 0
	v_mov_b32_e32 v24, 0
	v_mov_b32_e32 v46, 0
                                        ; implicit-def: $sgpr36_sgpr37
                                        ; implicit-def: $vgpr47
	s_and_saveexec_b64 s[34:35], vcc
	s_cbranch_execz .LBB598_115
; %bb.96:
	v_lshrrev_b32_e32 v6, 16, v12
	v_mov_b32_e32 v8, s74
	v_cmp_eq_u16_sdwa vcc, v9, v9 src0_sel:DWORD src1_sel:WORD_1
	v_cmp_ne_u16_sdwa s[36:37], v9, v9 src0_sel:DWORD src1_sel:WORD_1
	v_add_u32_e32 v7, 15, v28
	v_cndmask_b32_e32 v6, v8, v6, vcc
	v_and_b32_e32 v6, 0xffff, v6
	v_cndmask_b32_e64 v8, 0, 1, s[36:37]
	v_lshl_or_b32 v41, v8, 16, v6
	v_cmp_gt_u32_e32 vcc, s69, v7
	v_mov_b32_e32 v42, 0
	v_mov_b32_e32 v43, 0
	;; [unrolled: 1-line block ×8, first 2 shown]
                                        ; implicit-def: $sgpr40_sgpr41
                                        ; implicit-def: $vgpr47
	s_and_saveexec_b64 s[36:37], vcc
	s_cbranch_execz .LBB598_114
; %bb.97:
	v_mov_b32_e32 v7, s74
	v_cmp_eq_u16_sdwa vcc, v9, v2 src0_sel:WORD_1 src1_sel:DWORD
	v_cmp_ne_u16_sdwa s[38:39], v9, v2 src0_sel:WORD_1 src1_sel:DWORD
	v_add_u32_e32 v6, 16, v28
	v_cndmask_b32_e32 v7, v7, v13, vcc
	v_and_b32_e32 v7, 0xffff, v7
	v_cndmask_b32_e64 v8, 0, 1, s[38:39]
	v_lshl_or_b32 v42, v8, 16, v7
	v_cmp_gt_u32_e32 vcc, s69, v6
	s_mov_b64 s[42:43], 0
	v_mov_b32_e32 v43, 0
	v_mov_b32_e32 v22, 0
	;; [unrolled: 1-line block ×7, first 2 shown]
                                        ; implicit-def: $sgpr40_sgpr41
                                        ; implicit-def: $vgpr47
	s_and_saveexec_b64 s[38:39], vcc
	s_cbranch_execz .LBB598_113
; %bb.98:
	v_lshrrev_b32_e32 v6, 16, v13
	v_mov_b32_e32 v8, s74
	v_cmp_eq_u16_sdwa vcc, v2, v2 src0_sel:DWORD src1_sel:WORD_1
	v_cmp_ne_u16_sdwa s[40:41], v2, v2 src0_sel:DWORD src1_sel:WORD_1
	v_add_u32_e32 v7, 17, v28
	v_cndmask_b32_e32 v6, v8, v6, vcc
	v_and_b32_e32 v6, 0xffff, v6
	v_cndmask_b32_e64 v8, 0, 1, s[40:41]
	v_lshl_or_b32 v43, v8, 16, v6
	v_cmp_gt_u32_e32 vcc, s69, v7
	v_mov_b32_e32 v22, 0
	v_mov_b32_e32 v44, 0
	;; [unrolled: 1-line block ×6, first 2 shown]
                                        ; implicit-def: $sgpr44_sgpr45
                                        ; implicit-def: $vgpr47
	s_and_saveexec_b64 s[40:41], vcc
	s_cbranch_execz .LBB598_112
; %bb.99:
	ds_read_b96 v[6:8], v55 offset:34
	v_mov_b32_e32 v10, s74
	v_cmp_eq_u16_sdwa vcc, v2, v3 src0_sel:WORD_1 src1_sel:DWORD
	v_cmp_ne_u16_sdwa s[42:43], v2, v3 src0_sel:WORD_1 src1_sel:DWORD
	v_add_u32_e32 v9, 18, v28
	s_waitcnt lgkmcnt(0)
	v_cndmask_b32_e32 v10, v10, v6, vcc
	v_and_b32_e32 v10, 0xffff, v10
	v_cndmask_b32_e64 v2, 0, 1, s[42:43]
	v_lshl_or_b32 v22, v2, 16, v10
	v_cmp_gt_u32_e32 vcc, s69, v9
	s_mov_b64 s[46:47], 0
	v_mov_b32_e32 v44, 0
	v_mov_b32_e32 v23, 0
	;; [unrolled: 1-line block ×5, first 2 shown]
                                        ; implicit-def: $sgpr44_sgpr45
                                        ; implicit-def: $vgpr47
	s_and_saveexec_b64 s[42:43], vcc
	s_cbranch_execz .LBB598_111
; %bb.100:
	v_lshrrev_b32_e32 v2, 16, v6
	v_mov_b32_e32 v9, s74
	v_cmp_eq_u16_sdwa vcc, v3, v3 src0_sel:DWORD src1_sel:WORD_1
	v_cmp_ne_u16_sdwa s[44:45], v3, v3 src0_sel:DWORD src1_sel:WORD_1
	v_add_u32_e32 v6, 19, v28
	v_cndmask_b32_e32 v2, v9, v2, vcc
	v_and_b32_e32 v2, 0xffff, v2
	v_cndmask_b32_e64 v9, 0, 1, s[44:45]
	v_lshl_or_b32 v44, v9, 16, v2
	v_cmp_gt_u32_e32 vcc, s69, v6
	v_mov_b32_e32 v23, 0
	v_mov_b32_e32 v45, 0
	;; [unrolled: 1-line block ×4, first 2 shown]
                                        ; implicit-def: $sgpr48_sgpr49
                                        ; implicit-def: $vgpr47
	s_and_saveexec_b64 s[44:45], vcc
	s_cbranch_execz .LBB598_110
; %bb.101:
	v_mov_b32_e32 v6, s74
	v_cmp_eq_u16_sdwa vcc, v3, v4 src0_sel:WORD_1 src1_sel:DWORD
	v_cmp_ne_u16_sdwa s[46:47], v3, v4 src0_sel:WORD_1 src1_sel:DWORD
	v_add_u32_e32 v2, 20, v28
	v_cndmask_b32_e32 v6, v6, v7, vcc
	v_and_b32_e32 v6, 0xffff, v6
	v_cndmask_b32_e64 v3, 0, 1, s[46:47]
	v_lshl_or_b32 v23, v3, 16, v6
	v_cmp_gt_u32_e32 vcc, s69, v2
	s_mov_b64 s[50:51], 0
	v_mov_b32_e32 v45, 0
	v_mov_b32_e32 v24, 0
	;; [unrolled: 1-line block ×3, first 2 shown]
                                        ; implicit-def: $sgpr48_sgpr49
                                        ; implicit-def: $vgpr47
	s_and_saveexec_b64 s[46:47], vcc
	s_cbranch_execz .LBB598_109
; %bb.102:
	v_lshrrev_b32_e32 v2, 16, v7
	v_mov_b32_e32 v6, s74
	v_cmp_eq_u16_sdwa vcc, v4, v4 src0_sel:DWORD src1_sel:WORD_1
	v_cmp_ne_u16_sdwa s[48:49], v4, v4 src0_sel:DWORD src1_sel:WORD_1
	v_add_u32_e32 v3, 21, v28
	v_cndmask_b32_e32 v2, v6, v2, vcc
	v_and_b32_e32 v2, 0xffff, v2
	v_cndmask_b32_e64 v6, 0, 1, s[48:49]
	v_lshl_or_b32 v45, v6, 16, v2
	v_cmp_gt_u32_e32 vcc, s69, v3
	v_mov_b32_e32 v24, 0
	v_mov_b32_e32 v46, 0
                                        ; implicit-def: $sgpr56_sgpr57
                                        ; implicit-def: $vgpr47
	s_and_saveexec_b64 s[48:49], vcc
	s_cbranch_execz .LBB598_108
; %bb.103:
	v_mov_b32_e32 v3, s74
	v_cmp_eq_u16_sdwa vcc, v4, v5 src0_sel:WORD_1 src1_sel:DWORD
	v_cmp_ne_u16_sdwa s[50:51], v4, v5 src0_sel:WORD_1 src1_sel:DWORD
	v_add_u32_e32 v2, 22, v28
	v_cndmask_b32_e32 v3, v3, v8, vcc
	v_and_b32_e32 v3, 0xffff, v3
	v_cndmask_b32_e64 v4, 0, 1, s[50:51]
	v_lshl_or_b32 v24, v4, 16, v3
	v_cmp_gt_u32_e32 vcc, s69, v2
	s_mov_b64 s[58:59], 0
	v_mov_b32_e32 v46, 0
                                        ; implicit-def: $sgpr60_sgpr61
                                        ; implicit-def: $vgpr47
	s_and_saveexec_b64 s[50:51], vcc
	s_cbranch_execz .LBB598_107
; %bb.104:
	v_lshrrev_b32_e32 v2, 16, v8
	v_mov_b32_e32 v4, s74
	v_cmp_eq_u16_sdwa vcc, v5, v5 src0_sel:DWORD src1_sel:WORD_1
	v_cmp_ne_u16_sdwa s[56:57], v5, v5 src0_sel:DWORD src1_sel:WORD_1
	v_add_u32_e32 v3, 23, v28
	v_cndmask_b32_e32 v2, v4, v2, vcc
	v_and_b32_e32 v2, 0xffff, v2
	v_cndmask_b32_e64 v4, 0, 1, s[56:57]
	v_lshl_or_b32 v46, v4, 16, v2
	v_cmp_gt_u32_e32 vcc, s69, v3
	s_mov_b64 s[56:57], 0
                                        ; implicit-def: $sgpr58_sgpr59
                                        ; implicit-def: $vgpr47
	s_and_saveexec_b64 s[60:61], vcc
	s_xor_b64 s[60:61], exec, s[60:61]
	s_cbranch_execz .LBB598_106
; %bb.105:
	ds_read_u16 v2, v55 offset:46
	v_mov_b32_e32 v3, s74
	v_cmp_ne_u16_sdwa vcc, v5, v54 src0_sel:WORD_1 src1_sel:DWORD
	s_mov_b64 s[56:57], exec
	s_and_b64 s[58:59], vcc, exec
	s_waitcnt lgkmcnt(0)
	v_cndmask_b32_e32 v47, v2, v3, vcc
.LBB598_106:
	s_or_b64 exec, exec, s[60:61]
	s_and_b64 s[60:61], s[58:59], exec
	s_and_b64 s[58:59], s[56:57], exec
.LBB598_107:
	s_or_b64 exec, exec, s[50:51]
	s_and_b64 s[56:57], s[60:61], exec
	s_and_b64 s[50:51], s[58:59], exec
.LBB598_108:
	s_or_b64 exec, exec, s[48:49]
	s_and_b64 s[48:49], s[56:57], exec
	s_and_b64 s[50:51], s[50:51], exec
.LBB598_109:
	s_or_b64 exec, exec, s[46:47]
	s_and_b64 s[48:49], s[48:49], exec
	s_and_b64 s[46:47], s[50:51], exec
.LBB598_110:
	s_or_b64 exec, exec, s[44:45]
	s_and_b64 s[44:45], s[48:49], exec
	s_and_b64 s[46:47], s[46:47], exec
.LBB598_111:
	s_or_b64 exec, exec, s[42:43]
	s_and_b64 s[44:45], s[44:45], exec
	s_and_b64 s[42:43], s[46:47], exec
.LBB598_112:
	s_or_b64 exec, exec, s[40:41]
	s_and_b64 s[40:41], s[44:45], exec
	s_and_b64 s[42:43], s[42:43], exec
.LBB598_113:
	s_or_b64 exec, exec, s[38:39]
	s_and_b64 s[40:41], s[40:41], exec
	s_and_b64 s[38:39], s[42:43], exec
.LBB598_114:
	s_or_b64 exec, exec, s[36:37]
	s_and_b64 s[36:37], s[40:41], exec
	s_and_b64 s[38:39], s[38:39], exec
.LBB598_115:
	s_or_b64 exec, exec, s[34:35]
	s_and_b64 s[36:37], s[36:37], exec
	s_and_b64 s[34:35], s[38:39], exec
.LBB598_116:
	s_or_b64 exec, exec, s[30:31]
	s_and_b64 s[30:31], s[36:37], exec
	s_and_b64 s[34:35], s[34:35], exec
.LBB598_117:
	s_or_b64 exec, exec, s[28:29]
	s_and_b64 s[30:31], s[30:31], exec
	s_and_b64 s[28:29], s[34:35], exec
.LBB598_118:
	s_or_b64 exec, exec, s[26:27]
	s_and_b64 s[26:27], s[30:31], exec
	s_and_b64 s[28:29], s[28:29], exec
.LBB598_119:
	s_or_b64 exec, exec, s[24:25]
	s_and_b64 s[26:27], s[26:27], exec
	s_and_b64 s[24:25], s[28:29], exec
.LBB598_120:
	s_or_b64 exec, exec, s[22:23]
	s_and_b64 s[22:23], s[26:27], exec
	s_and_b64 s[24:25], s[24:25], exec
.LBB598_121:
	s_or_b64 exec, exec, s[20:21]
	s_and_b64 s[22:23], s[22:23], exec
	s_and_b64 s[20:21], s[24:25], exec
.LBB598_122:
	s_or_b64 exec, exec, s[18:19]
	s_and_b64 s[18:19], s[22:23], exec
	s_and_b64 s[20:21], s[20:21], exec
.LBB598_123:
	s_or_b64 exec, exec, s[16:17]
	s_and_b64 s[18:19], s[18:19], exec
	s_and_b64 s[16:17], s[20:21], exec
.LBB598_124:
	s_or_b64 exec, exec, s[14:15]
	s_and_b64 s[14:15], s[18:19], exec
	s_and_b64 s[16:17], s[16:17], exec
.LBB598_125:
	s_or_b64 exec, exec, s[12:13]
	s_and_b64 s[14:15], s[14:15], exec
	s_and_b64 s[12:13], s[16:17], exec
.LBB598_126:
	s_or_b64 exec, exec, s[10:11]
	s_and_b64 s[10:11], s[14:15], exec
	s_and_b64 s[12:13], s[12:13], exec
.LBB598_127:
	s_or_b64 exec, exec, s[8:9]
	s_and_b64 s[10:11], s[10:11], exec
	s_and_b64 s[8:9], s[12:13], exec
.LBB598_128:
	s_or_b64 exec, exec, s[6:7]
	s_and_b64 s[6:7], s[10:11], exec
	s_and_b64 s[8:9], s[8:9], exec
.LBB598_129:
	s_or_b64 exec, exec, s[4:5]
	s_and_b64 vcc, exec, s[0:1]
	v_lshlrev_b32_e32 v28, 1, v0
	s_cbranch_vccnz .LBB598_131
	s_branch .LBB598_136
.LBB598_130:
	s_mov_b64 s[8:9], 0
                                        ; implicit-def: $sgpr6_sgpr7
                                        ; implicit-def: $vgpr47
                                        ; implicit-def: $vgpr1
                                        ; implicit-def: $vgpr25
                                        ; implicit-def: $vgpr29
                                        ; implicit-def: $vgpr30
                                        ; implicit-def: $vgpr31
                                        ; implicit-def: $vgpr32
                                        ; implicit-def: $vgpr33
                                        ; implicit-def: $vgpr34
                                        ; implicit-def: $vgpr35
                                        ; implicit-def: $vgpr36
                                        ; implicit-def: $vgpr37
                                        ; implicit-def: $vgpr38
                                        ; implicit-def: $vgpr39
                                        ; implicit-def: $vgpr40
                                        ; implicit-def: $vgpr41
                                        ; implicit-def: $vgpr42
                                        ; implicit-def: $vgpr43
                                        ; implicit-def: $vgpr22
                                        ; implicit-def: $vgpr44
                                        ; implicit-def: $vgpr23
                                        ; implicit-def: $vgpr45
                                        ; implicit-def: $vgpr24
                                        ; implicit-def: $vgpr46
                                        ; implicit-def: $sgpr68
	s_and_b64 vcc, exec, s[0:1]
	v_lshlrev_b32_e32 v28, 1, v0
	s_cbranch_vccz .LBB598_136
.LBB598_131:
	v_mov_b32_e32 v29, 0
	v_lshl_add_u64 v[2:3], v[20:21], 0, v[28:29]
	v_add_co_u32_e32 v4, vcc, 0x1000, v2
	flat_load_ushort v1, v[2:3]
	flat_load_ushort v6, v[2:3] offset:512
	flat_load_ushort v7, v[2:3] offset:1024
	;; [unrolled: 1-line block ×7, first 2 shown]
	v_addc_co_u32_e32 v5, vcc, 0, v3, vcc
	v_add_co_u32_e32 v2, vcc, 0x2000, v2
	flat_load_ushort v13, v[4:5]
	flat_load_ushort v14, v[4:5] offset:512
	flat_load_ushort v15, v[4:5] offset:1024
	;; [unrolled: 1-line block ×7, first 2 shown]
	v_addc_co_u32_e32 v3, vcc, 0, v3, vcc
	flat_load_ushort v4, v[2:3]
	flat_load_ushort v5, v[2:3] offset:512
	flat_load_ushort v25, v[2:3] offset:1024
	;; [unrolled: 1-line block ×7, first 2 shown]
	v_add_co_u32_e32 v2, vcc, 0x3000, v20
	s_movk_i32 s0, 0xffd2
	s_nop 0
	v_addc_co_u32_e32 v3, vcc, 0, v21, vcc
	s_movk_i32 s5, 0x1000
	s_movk_i32 s4, 0x2000
	s_waitcnt vmcnt(0) lgkmcnt(0)
	ds_write_b16 v28, v1
	ds_write_b16 v28, v6 offset:512
	ds_write_b16 v28, v7 offset:1024
	;; [unrolled: 1-line block ×23, first 2 shown]
	s_waitcnt lgkmcnt(0)
	s_barrier
	flat_load_ushort v47, v[2:3]
	v_mad_u32_u24 v1, v0, 46, v28
	ds_read_b128 v[10:13], v1
	ds_read_b128 v[6:9], v1 offset:16
	ds_read_b128 v[2:5], v1 offset:32
	v_mad_i32_i24 v14, v0, s0, v1
	s_movk_i32 s0, 0xff
	v_cmp_ne_u32_e32 vcc, s0, v0
	s_waitcnt lgkmcnt(0)
	ds_write_b16 v14, v10 offset:12800
	s_waitcnt lgkmcnt(0)
	s_barrier
	s_and_saveexec_b64 s[0:1], vcc
	s_cbranch_execz .LBB598_133
; %bb.132:
	s_waitcnt vmcnt(0)
	ds_read_u16 v47, v28 offset:12802
.LBB598_133:
	s_or_b64 exec, exec, s[0:1]
	v_lshl_add_u64 v[14:15], v[18:19], 0, v[28:29]
	v_add_co_u32_e32 v16, vcc, s5, v14
	s_waitcnt lgkmcnt(0)
	s_nop 0
	v_addc_co_u32_e32 v17, vcc, 0, v15, vcc
	s_barrier
	flat_load_ushort v18, v[14:15]
	flat_load_ushort v19, v[14:15] offset:512
	flat_load_ushort v20, v[14:15] offset:1024
	;; [unrolled: 1-line block ×7, first 2 shown]
	v_add_co_u32_e32 v14, vcc, s4, v14
	flat_load_ushort v30, v[16:17]
	flat_load_ushort v31, v[16:17] offset:512
	flat_load_ushort v32, v[16:17] offset:1024
	flat_load_ushort v33, v[16:17] offset:1536
	flat_load_ushort v34, v[16:17] offset:2048
	flat_load_ushort v35, v[16:17] offset:2560
	flat_load_ushort v36, v[16:17] offset:3072
	flat_load_ushort v37, v[16:17] offset:3584
	v_addc_co_u32_e32 v15, vcc, 0, v15, vcc
	flat_load_ushort v16, v[14:15]
	flat_load_ushort v17, v[14:15] offset:512
	flat_load_ushort v38, v[14:15] offset:1024
	;; [unrolled: 1-line block ×7, first 2 shown]
	v_cmp_eq_u16_sdwa s[4:5], v10, v10 src0_sel:DWORD src1_sel:WORD_1
	s_waitcnt vmcnt(0) lgkmcnt(0)
	ds_write_b16 v28, v18
	ds_write_b16 v28, v19 offset:512
	ds_write_b16 v28, v20 offset:1024
	;; [unrolled: 1-line block ×23, first 2 shown]
	s_waitcnt lgkmcnt(0)
	s_barrier
	ds_read_b128 v[18:21], v1 offset:2
	ds_read_b128 v[14:17], v1 offset:18
	ds_read_b96 v[22:24], v1 offset:34
	ds_read_u16 v48, v1 offset:46
	v_mov_b32_e32 v25, 0x10000
	v_mov_b32_e32 v30, s74
	s_and_saveexec_b64 s[0:1], s[4:5]
	s_cbranch_execz .LBB598_135
; %bb.134:
	ds_read_u16 v30, v1
	v_mov_b32_e32 v25, v29
.LBB598_135:
	s_or_b64 exec, exec, s[0:1]
	v_mov_b32_e32 v49, s74
	v_cmp_eq_u16_sdwa vcc, v10, v11 src0_sel:WORD_1 src1_sel:DWORD
	s_waitcnt lgkmcnt(3)
	v_lshrrev_b32_e32 v29, 16, v18
	v_cmp_ne_u16_sdwa s[0:1], v10, v11 src0_sel:WORD_1 src1_sel:DWORD
	v_cndmask_b32_e32 v18, v49, v18, vcc
	v_and_b32_e32 v18, 0xffff, v18
	v_cndmask_b32_e64 v10, 0, 1, s[0:1]
	v_cmp_eq_u16_sdwa vcc, v11, v11 src0_sel:DWORD src1_sel:WORD_1
	s_waitcnt lgkmcnt(0)
	v_or_b32_sdwa v1, v25, v30 dst_sel:DWORD dst_unused:UNUSED_PAD src0_sel:DWORD src1_sel:WORD_0
	v_lshl_or_b32 v25, v10, 16, v18
	v_cndmask_b32_e32 v10, v49, v29, vcc
	v_cmp_ne_u16_sdwa s[0:1], v11, v11 src0_sel:DWORD src1_sel:WORD_1
	v_and_b32_e32 v10, 0xffff, v10
	v_cmp_eq_u16_sdwa vcc, v11, v12 src0_sel:WORD_1 src1_sel:DWORD
	v_cndmask_b32_e64 v18, 0, 1, s[0:1]
	v_lshl_or_b32 v29, v18, 16, v10
	v_cndmask_b32_e32 v10, v49, v19, vcc
	v_cmp_ne_u16_sdwa s[0:1], v11, v12 src0_sel:WORD_1 src1_sel:DWORD
	v_lshrrev_b32_e32 v31, 16, v19
	v_and_b32_e32 v10, 0xffff, v10
	v_cndmask_b32_e64 v11, 0, 1, s[0:1]
	v_cmp_eq_u16_sdwa vcc, v12, v12 src0_sel:DWORD src1_sel:WORD_1
	v_lshl_or_b32 v30, v11, 16, v10
	v_cmp_ne_u16_sdwa s[0:1], v12, v12 src0_sel:DWORD src1_sel:WORD_1
	v_cndmask_b32_e32 v10, v49, v31, vcc
	v_and_b32_e32 v10, 0xffff, v10
	v_cndmask_b32_e64 v11, 0, 1, s[0:1]
	v_cmp_eq_u16_sdwa vcc, v12, v13 src0_sel:WORD_1 src1_sel:DWORD
	v_lshl_or_b32 v31, v11, 16, v10
	v_cmp_ne_u16_sdwa s[0:1], v12, v13 src0_sel:WORD_1 src1_sel:DWORD
	v_cndmask_b32_e32 v10, v49, v20, vcc
	v_lshrrev_b32_e32 v33, 16, v20
	v_and_b32_e32 v10, 0xffff, v10
	v_cndmask_b32_e64 v11, 0, 1, s[0:1]
	v_cmp_eq_u16_sdwa vcc, v13, v13 src0_sel:DWORD src1_sel:WORD_1
	v_lshl_or_b32 v32, v11, 16, v10
	v_cmp_ne_u16_sdwa s[0:1], v13, v13 src0_sel:DWORD src1_sel:WORD_1
	v_cndmask_b32_e32 v10, v49, v33, vcc
	v_and_b32_e32 v10, 0xffff, v10
	v_cndmask_b32_e64 v11, 0, 1, s[0:1]
	v_cmp_eq_u16_sdwa vcc, v13, v6 src0_sel:WORD_1 src1_sel:DWORD
	v_lshl_or_b32 v33, v11, 16, v10
	v_cmp_ne_u16_sdwa s[0:1], v13, v6 src0_sel:WORD_1 src1_sel:DWORD
	v_cndmask_b32_e32 v10, v49, v21, vcc
	;; [unrolled: 13-line block ×9, first 2 shown]
	v_lshrrev_b32_e32 v46, 16, v24
	v_and_b32_e32 v2, 0xffff, v2
	v_cndmask_b32_e64 v3, 0, 1, s[0:1]
	v_cmp_eq_u16_sdwa vcc, v5, v5 src0_sel:DWORD src1_sel:WORD_1
	v_lshl_or_b32 v24, v3, 16, v2
	v_cmp_ne_u16_sdwa s[0:1], v5, v5 src0_sel:DWORD src1_sel:WORD_1
	v_cndmask_b32_e32 v2, v49, v46, vcc
	v_and_b32_e32 v2, 0xffff, v2
	v_cndmask_b32_e64 v3, 0, 1, s[0:1]
	v_cmp_ne_u16_sdwa s[6:7], v5, v47 src0_sel:WORD_1 src1_sel:DWORD
	v_lshl_or_b32 v46, v3, 16, v2
	s_mov_b64 s[8:9], -1
	v_cndmask_b32_e64 v47, v48, v49, s[6:7]
                                        ; implicit-def: $sgpr68
.LBB598_136:
	v_mov_b32_e32 v12, s68
	s_and_saveexec_b64 s[0:1], s[8:9]
; %bb.137:
	v_mov_b32_e32 v2, 0x10000
	v_cndmask_b32_e64 v2, 0, v2, s[6:7]
	v_or_b32_sdwa v12, v2, v47 dst_sel:DWORD dst_unused:UNUSED_PAD src0_sel:DWORD src1_sel:WORD_0
; %bb.138:
	s_or_b64 exec, exec, s[0:1]
	v_or3_b32 v2, v12, v46, v24
	s_cmp_lg_u32 s67, 0
	v_or3_b32 v14, v2, v45, v23
	v_mbcnt_lo_u32_b32 v13, -1, 0
	s_barrier
	s_cbranch_scc0 .LBB598_227
; %bb.139:
	s_mov_b32 s0, 0x10000
	v_cmp_gt_u32_e64 s[4:5], s0, v25
	v_cmp_gt_u32_e64 s[6:7], s0, v29
	v_cmp_gt_u32_e64 s[8:9], s0, v30
	v_cndmask_b32_e64 v2, 0, v1, s[4:5]
	v_add_u16_e32 v2, v2, v25
	v_cndmask_b32_e64 v2, 0, v2, s[6:7]
	v_add_u16_e32 v2, v2, v29
	v_cndmask_b32_e64 v2, 0, v2, s[8:9]
	v_add_u16_e32 v2, v2, v30
	v_cmp_gt_u32_e64 s[10:11], s0, v31
	v_cmp_gt_u32_e64 s[12:13], s0, v32
	v_cmp_gt_u32_e64 s[14:15], s0, v33
	v_cndmask_b32_e64 v2, 0, v2, s[10:11]
	v_add_u16_e32 v2, v2, v31
	v_cndmask_b32_e64 v2, 0, v2, s[12:13]
	v_add_u16_e32 v2, v2, v32
	v_cndmask_b32_e64 v2, 0, v2, s[14:15]
	v_add_u16_e32 v2, v2, v33
	;; [unrolled: 9-line block ×5, first 2 shown]
	v_cmp_gt_u32_e64 s[36:37], s0, v43
	v_cmp_gt_u32_e64 s[38:39], s0, v22
	;; [unrolled: 1-line block ×3, first 2 shown]
	v_cndmask_b32_e64 v2, 0, v2, s[36:37]
	v_add_u16_e32 v2, v2, v43
	v_cndmask_b32_e64 v2, 0, v2, s[38:39]
	v_add_u16_e32 v2, v2, v22
	v_cndmask_b32_e64 v2, 0, v2, s[40:41]
	v_or3_b32 v5, v14, v44, v22
	v_add_u16_e32 v2, v2, v44
	v_cmp_gt_u32_e64 s[42:43], s0, v23
	v_or3_b32 v5, v5, v43, v42
	v_or3_b32 v5, v5, v41, v40
	v_cndmask_b32_e64 v2, 0, v2, s[42:43]
	v_add_u16_e32 v2, v2, v23
	v_cmp_gt_u32_e64 s[44:45], s0, v45
	v_or3_b32 v5, v5, v39, v38
	v_or3_b32 v5, v5, v37, v36
	v_cndmask_b32_e64 v2, 0, v2, s[44:45]
	;; [unrolled: 5-line block ×4, first 2 shown]
	v_add_u16_e32 v2, v2, v46
	v_cmp_gt_u32_e32 vcc, s0, v12
	v_and_b32_e32 v5, 0x10000, v5
	v_and_b32_e32 v3, 0x10000, v1
	v_cndmask_b32_e32 v4, 0, v2, vcc
	v_mov_b32_e32 v6, 0x10000
	v_cmp_ne_u32_e32 vcc, 0, v5
	v_add_u16_e32 v2, v4, v12
	v_add_u16_e32 v4, v4, v12
	v_cndmask_b32_e32 v6, v3, v6, vcc
	v_mbcnt_hi_u32_b32 v5, -1, v13
	v_and_b32_e32 v7, 15, v5
	v_or_b32_e32 v4, v6, v4
	v_lshrrev_b32_e32 v3, 16, v6
	v_cmp_ne_u32_e32 vcc, 0, v7
	v_mov_b32_dpp v8, v4 row_shr:1 row_mask:0xf bank_mask:0xf
	s_and_saveexec_b64 s[0:1], vcc
	s_cbranch_execz .LBB598_141
; %bb.140:
	v_cmp_eq_u32_e32 vcc, 0, v6
	v_and_b32_e32 v3, 0x10000, v6
	v_mov_b32_e32 v6, 1
	v_cndmask_b32_e32 v4, 0, v8, vcc
	v_and_b32_sdwa v6, v8, v6 dst_sel:DWORD dst_unused:UNUSED_PAD src0_sel:WORD_1 src1_sel:DWORD
	v_cmp_ne_u32_e32 vcc, 0, v3
	v_add_u16_e32 v9, v4, v2
	v_add_u16_e32 v2, v4, v2
	v_cndmask_b32_e64 v3, v6, 1, vcc
	v_lshlrev_b32_e32 v6, 16, v3
	v_or_b32_e32 v4, v6, v2
	v_mov_b32_e32 v2, v9
.LBB598_141:
	s_or_b64 exec, exec, s[0:1]
	v_lshrrev_b32_e32 v6, 16, v4
	v_mov_b32_dpp v8, v4 row_shr:2 row_mask:0xf bank_mask:0xf
	v_cmp_lt_u32_e32 vcc, 1, v7
	s_and_saveexec_b64 s[0:1], vcc
	s_cbranch_execz .LBB598_143
; %bb.142:
	s_mov_b32 s50, 0x10000
	v_cmp_gt_u32_e32 vcc, s50, v4
	v_and_b32_e32 v3, 0x10000, v4
	v_mov_b32_e32 v4, 1
	v_cndmask_b32_e32 v6, 0, v8, vcc
	v_and_b32_sdwa v4, v8, v4 dst_sel:DWORD dst_unused:UNUSED_PAD src0_sel:WORD_1 src1_sel:DWORD
	v_cmp_ne_u32_e32 vcc, 0, v3
	v_add_u16_e32 v9, v6, v2
	v_add_u16_e32 v2, v6, v2
	v_cndmask_b32_e64 v3, v4, 1, vcc
	v_lshlrev_b32_e32 v4, 16, v3
	v_or_b32_e32 v4, v4, v2
	v_mov_b32_e32 v6, v3
	v_mov_b32_e32 v2, v9
.LBB598_143:
	s_or_b64 exec, exec, s[0:1]
	v_mov_b32_dpp v8, v4 row_shr:4 row_mask:0xf bank_mask:0xf
	v_cmp_lt_u32_e32 vcc, 3, v7
	s_and_saveexec_b64 s[0:1], vcc
	s_cbranch_execz .LBB598_145
; %bb.144:
	v_cmp_eq_u16_e32 vcc, 0, v6
	v_and_b32_e32 v3, 1, v6
	v_mov_b32_e32 v6, 1
	v_cndmask_b32_e32 v4, 0, v8, vcc
	v_and_b32_sdwa v6, v8, v6 dst_sel:DWORD dst_unused:UNUSED_PAD src0_sel:WORD_1 src1_sel:DWORD
	v_cmp_eq_u32_e32 vcc, 1, v3
	v_add_u16_e32 v9, v4, v2
	v_add_u16_e32 v2, v4, v2
	v_cndmask_b32_e64 v3, v6, 1, vcc
	v_lshlrev_b32_e32 v6, 16, v3
	v_or_b32_e32 v4, v6, v2
	v_mov_b32_e32 v6, v3
	v_mov_b32_e32 v2, v9
.LBB598_145:
	s_or_b64 exec, exec, s[0:1]
	v_mov_b32_dpp v8, v4 row_shr:8 row_mask:0xf bank_mask:0xf
	v_cmp_lt_u32_e32 vcc, 7, v7
	s_and_saveexec_b64 s[0:1], vcc
	s_cbranch_execz .LBB598_147
; %bb.146:
	v_cmp_eq_u16_e32 vcc, 0, v6
	v_and_b32_e32 v3, 1, v6
	v_mov_b32_e32 v6, 1
	v_cndmask_b32_e32 v4, 0, v8, vcc
	v_and_b32_sdwa v6, v8, v6 dst_sel:DWORD dst_unused:UNUSED_PAD src0_sel:WORD_1 src1_sel:DWORD
	v_cmp_eq_u32_e32 vcc, 1, v3
	v_add_u16_e32 v7, v4, v2
	v_add_u16_e32 v2, v4, v2
	v_cndmask_b32_e64 v3, v6, 1, vcc
	v_lshlrev_b32_e32 v6, 16, v3
	v_or_b32_e32 v4, v6, v2
	v_mov_b32_e32 v6, v3
	v_mov_b32_e32 v2, v7
.LBB598_147:
	s_or_b64 exec, exec, s[0:1]
	v_and_b32_e32 v8, 16, v5
	v_mov_b32_dpp v7, v4 row_bcast:15 row_mask:0xf bank_mask:0xf
	v_cmp_ne_u32_e32 vcc, 0, v8
	s_and_saveexec_b64 s[0:1], vcc
	s_cbranch_execz .LBB598_149
; %bb.148:
	v_cmp_eq_u16_e32 vcc, 0, v6
	v_and_b32_e32 v3, 1, v6
	v_mov_b32_e32 v6, 1
	v_cndmask_b32_e32 v4, 0, v7, vcc
	v_and_b32_sdwa v6, v7, v6 dst_sel:DWORD dst_unused:UNUSED_PAD src0_sel:WORD_1 src1_sel:DWORD
	v_cmp_eq_u32_e32 vcc, 1, v3
	v_add_u16_e32 v8, v4, v2
	v_add_u16_e32 v2, v4, v2
	v_cndmask_b32_e64 v3, v6, 1, vcc
	v_lshlrev_b32_e32 v6, 16, v3
	v_or_b32_e32 v4, v6, v2
	v_mov_b32_e32 v6, v3
	v_mov_b32_e32 v2, v8
.LBB598_149:
	s_or_b64 exec, exec, s[0:1]
	v_mov_b32_dpp v4, v4 row_bcast:31 row_mask:0xf bank_mask:0xf
	v_cmp_lt_u32_e32 vcc, 31, v5
	s_and_saveexec_b64 s[0:1], vcc
; %bb.150:
	v_cmp_eq_u16_e32 vcc, 0, v6
	s_nop 1
	v_cndmask_b32_e32 v3, 0, v4, vcc
	v_add_u16_e32 v2, v3, v2
	v_and_b32_e32 v3, 1, v6
	v_mov_b32_e32 v6, 1
	v_and_b32_sdwa v4, v4, v6 dst_sel:DWORD dst_unused:UNUSED_PAD src0_sel:WORD_1 src1_sel:DWORD
	v_cmp_eq_u32_e32 vcc, 1, v3
	s_nop 1
	v_cndmask_b32_e64 v3, v4, 1, vcc
; %bb.151:
	s_or_b64 exec, exec, s[0:1]
	v_or_b32_e32 v6, 63, v0
	v_lshrrev_b32_e32 v4, 6, v0
	v_cmp_eq_u32_e32 vcc, v6, v0
	s_and_saveexec_b64 s[0:1], vcc
	s_cbranch_execz .LBB598_153
; %bb.152:
	v_lshlrev_b32_e32 v6, 2, v4
	ds_write_b16 v6, v2
	ds_write_b8 v6, v3 offset:2
.LBB598_153:
	s_or_b64 exec, exec, s[0:1]
	v_cmp_gt_u32_e32 vcc, 4, v0
	s_waitcnt lgkmcnt(0)
	s_barrier
	s_and_saveexec_b64 s[0:1], vcc
	s_cbranch_execz .LBB598_159
; %bb.154:
	v_lshlrev_b32_e32 v6, 2, v0
	ds_read_b32 v7, v6
	v_and_b32_e32 v10, 3, v5
	v_cmp_ne_u32_e32 vcc, 0, v10
	s_waitcnt lgkmcnt(0)
	v_lshrrev_b32_e32 v9, 16, v7
	v_mov_b32_dpp v11, v7 row_shr:1 row_mask:0xf bank_mask:0xf
	v_mov_b32_e32 v8, v7
	s_and_saveexec_b64 s[50:51], vcc
	s_cbranch_execz .LBB598_156
; %bb.155:
	v_mov_b32_e32 v8, 0
	v_cmp_eq_u16_sdwa vcc, v9, v8 src0_sel:BYTE_0 src1_sel:DWORD
	v_and_b32_e32 v9, 0x10000, v7
	v_mov_b32_e32 v17, 1
	v_cndmask_b32_e32 v16, 0, v11, vcc
	v_and_b32_sdwa v11, v11, v17 dst_sel:DWORD dst_unused:UNUSED_PAD src0_sel:WORD_1 src1_sel:DWORD
	v_cmp_ne_u32_e32 vcc, 0, v9
	v_and_b32_e32 v15, 0xff000000, v7
	v_add_u16_e32 v8, v16, v7
	v_cndmask_b32_e64 v9, v11, 1, vcc
	v_lshlrev_b32_e32 v11, 16, v9
	v_add_u16_e32 v7, v16, v7
	v_or3_b32 v7, v11, v15, v7
.LBB598_156:
	s_or_b64 exec, exec, s[50:51]
	s_nop 0
	v_mov_b32_dpp v11, v7 row_shr:2 row_mask:0xf bank_mask:0xf
	v_cmp_lt_u32_e32 vcc, 1, v10
	s_and_saveexec_b64 s[50:51], vcc
; %bb.157:
	v_and_b32_e32 v9, 0xff0000, v7
	v_cmp_eq_u32_e32 vcc, 0, v9
	v_and_b32_e32 v7, 0x10000, v7
	s_nop 0
	v_cndmask_b32_e32 v9, 0, v11, vcc
	v_add_u16_e32 v8, v9, v8
	v_mov_b32_e32 v9, 1
	v_and_b32_sdwa v9, v11, v9 dst_sel:DWORD dst_unused:UNUSED_PAD src0_sel:WORD_1 src1_sel:DWORD
	v_cmp_eq_u32_e32 vcc, 0, v7
	s_nop 1
	v_cndmask_b32_e32 v9, 1, v9, vcc
; %bb.158:
	s_or_b64 exec, exec, s[50:51]
	ds_write_b16 v6, v8
	ds_write_b8 v6, v9 offset:2
.LBB598_159:
	s_or_b64 exec, exec, s[0:1]
	v_cmp_gt_u32_e32 vcc, 64, v0
	v_cmp_lt_u32_e64 s[0:1], 63, v0
	v_mov_b32_e32 v15, 0
	v_mov_b32_e32 v16, 0
	s_waitcnt lgkmcnt(0)
	s_barrier
	s_and_saveexec_b64 s[50:51], s[0:1]
	s_cbranch_execz .LBB598_161
; %bb.160:
	v_lshl_add_u32 v4, v4, 2, -4
	ds_read_u16 v15, v4
	ds_read_u8 v16, v4 offset:2
	v_and_b32_e32 v6, 1, v3
	v_cmp_eq_u16_e64 s[0:1], 0, v3
	s_waitcnt lgkmcnt(1)
	s_nop 0
	v_cndmask_b32_e64 v3, 0, v15, s[0:1]
	v_cmp_eq_u32_e64 s[0:1], 1, v6
	v_add_u16_e32 v2, v3, v2
	s_waitcnt lgkmcnt(0)
	v_cndmask_b32_e64 v3, v16, 1, s[0:1]
.LBB598_161:
	s_or_b64 exec, exec, s[50:51]
	v_and_b32_e32 v3, 0xff, v3
	v_and_b32_e32 v2, 0xffff, v2
	v_lshl_or_b32 v2, v3, 16, v2
	v_add_u32_e32 v3, -1, v5
	v_and_b32_e32 v4, 64, v5
	v_cmp_lt_i32_e64 s[0:1], v3, v4
	v_cmp_eq_u32_e64 s[50:51], 0, v5
	s_nop 0
	v_cndmask_b32_e64 v3, v3, v5, s[0:1]
	v_lshlrev_b32_e32 v3, 2, v3
	ds_bpermute_b32 v17, v3, v2
	s_and_saveexec_b64 s[0:1], vcc
	s_cbranch_execz .LBB598_204
; %bb.162:
	v_mov_b32_e32 v9, 0
	ds_read_b32 v2, v9 offset:12
	s_and_saveexec_b64 s[56:57], s[50:51]
	s_cbranch_execz .LBB598_164
; %bb.163:
	s_add_i32 s58, s67, 64
	s_mov_b32 s59, 0
	s_lshl_b64 s[58:59], s[58:59], 3
	s_add_u32 s58, s64, s58
	v_mov_b32_e32 v3, 1
	s_addc_u32 s59, s65, s59
	s_waitcnt lgkmcnt(0)
	global_store_dwordx2 v9, v[2:3], s[58:59] sc1
.LBB598_164:
	s_or_b64 exec, exec, s[56:57]
	v_xad_u32 v4, v5, -1, s67
	v_add_u32_e32 v8, 64, v4
	v_lshl_add_u64 v[10:11], v[8:9], 3, s[64:65]
	global_load_dwordx2 v[6:7], v[10:11], off sc1
	s_waitcnt vmcnt(0)
	v_cmp_eq_u16_sdwa s[58:59], v7, v9 src0_sel:BYTE_0 src1_sel:DWORD
	s_and_saveexec_b64 s[56:57], s[58:59]
	s_cbranch_execz .LBB598_168
; %bb.165:
	s_mov_b64 s[58:59], 0
	v_mov_b32_e32 v3, 0
.LBB598_166:                            ; =>This Inner Loop Header: Depth=1
	global_load_dwordx2 v[6:7], v[10:11], off sc1
	s_waitcnt vmcnt(0)
	v_cmp_ne_u16_sdwa s[60:61], v7, v3 src0_sel:BYTE_0 src1_sel:DWORD
	s_or_b64 s[58:59], s[60:61], s[58:59]
	s_andn2_b64 exec, exec, s[58:59]
	s_cbranch_execnz .LBB598_166
; %bb.167:
	s_or_b64 exec, exec, s[58:59]
.LBB598_168:
	s_or_b64 exec, exec, s[56:57]
	v_mov_b32_e32 v3, 2
	v_cmp_eq_u16_sdwa s[56:57], v7, v3 src0_sel:BYTE_0 src1_sel:DWORD
	v_lshlrev_b64 v[8:9], v5, -1
	v_and_b32_e32 v54, 0xffffff, v6
	v_and_b32_e32 v3, s57, v9
	v_or_b32_e32 v3, 0x80000000, v3
	v_ffbl_b32_e32 v3, v3
	v_add_u32_e32 v11, 32, v3
	v_and_b32_e32 v3, 63, v5
	v_cmp_ne_u32_e32 vcc, 63, v3
	v_and_b32_e32 v10, s56, v8
	v_ffbl_b32_e32 v10, v10
	v_addc_co_u32_e32 v18, vcc, 0, v5, vcc
	v_lshlrev_b32_e32 v18, 2, v18
	ds_bpermute_b32 v19, v18, v54
	v_min_u32_e32 v11, v10, v11
	v_lshrrev_b32_e32 v10, 16, v6
	v_cmp_lt_u32_e32 vcc, v3, v11
	v_bfe_u32 v52, v6, 16, 8
	s_and_saveexec_b64 s[56:57], vcc
	s_cbranch_execz .LBB598_170
; %bb.169:
	v_and_b32_e32 v10, 0xff0000, v6
	v_cmp_eq_u32_e32 vcc, 0, v10
	v_and_b32_e32 v10, 0x10000, v10
	v_mov_b32_e32 v47, 1
	s_waitcnt lgkmcnt(0)
	v_cndmask_b32_e32 v20, 0, v19, vcc
	v_and_b32_sdwa v19, v19, v47 dst_sel:DWORD dst_unused:UNUSED_PAD src0_sel:WORD_1 src1_sel:DWORD
	v_cmp_ne_u32_e32 vcc, 0, v10
	v_add_u16_e32 v21, v20, v6
	v_add_u16_e32 v6, v20, v6
	v_cndmask_b32_e64 v10, v19, 1, vcc
	v_lshlrev_b32_e32 v19, 16, v10
	v_or_b32_e32 v54, v19, v6
	v_mov_b32_e32 v6, v21
	v_mov_b32_e32 v52, v10
.LBB598_170:
	s_or_b64 exec, exec, s[56:57]
	v_cmp_gt_u32_e32 vcc, 62, v3
	v_add_u32_e32 v20, 2, v3
	s_waitcnt lgkmcnt(0)
	v_cndmask_b32_e64 v19, 0, 1, vcc
	v_lshlrev_b32_e32 v19, 1, v19
	v_add_lshl_u32 v19, v19, v5, 2
	ds_bpermute_b32 v21, v19, v54
	v_cmp_le_u32_e32 vcc, v20, v11
	s_and_saveexec_b64 s[56:57], vcc
	s_cbranch_execz .LBB598_172
; %bb.171:
	v_cmp_eq_u16_e32 vcc, 0, v52
	v_and_b32_e32 v10, 1, v52
	v_mov_b32_e32 v49, 1
	s_waitcnt lgkmcnt(0)
	v_cndmask_b32_e32 v47, 0, v21, vcc
	v_and_b32_sdwa v21, v21, v49 dst_sel:DWORD dst_unused:UNUSED_PAD src0_sel:WORD_1 src1_sel:DWORD
	v_cmp_eq_u32_e32 vcc, 1, v10
	v_add_u16_e32 v48, v47, v6
	v_add_u16_e32 v6, v47, v6
	v_cndmask_b32_e64 v10, v21, 1, vcc
	v_lshlrev_b32_e32 v21, 16, v10
	v_or_b32_e32 v54, v21, v6
	v_mov_b32_e32 v6, v48
	v_mov_b32_e32 v52, v10
.LBB598_172:
	s_or_b64 exec, exec, s[56:57]
	v_cmp_gt_u32_e32 vcc, 60, v3
	v_add_u32_e32 v47, 4, v3
	s_waitcnt lgkmcnt(0)
	v_cndmask_b32_e64 v21, 0, 1, vcc
	v_lshlrev_b32_e32 v21, 2, v21
	v_add_lshl_u32 v21, v21, v5, 2
	ds_bpermute_b32 v48, v21, v54
	v_cmp_le_u32_e32 vcc, v47, v11
	s_and_saveexec_b64 s[56:57], vcc
	s_cbranch_execz .LBB598_174
; %bb.173:
	v_cmp_eq_u16_e32 vcc, 0, v52
	v_and_b32_e32 v10, 1, v52
	v_mov_b32_e32 v51, 1
	s_waitcnt lgkmcnt(0)
	v_cndmask_b32_e32 v49, 0, v48, vcc
	v_and_b32_sdwa v48, v48, v51 dst_sel:DWORD dst_unused:UNUSED_PAD src0_sel:WORD_1 src1_sel:DWORD
	v_cmp_eq_u32_e32 vcc, 1, v10
	v_add_u16_e32 v50, v49, v6
	v_add_u16_e32 v6, v49, v6
	v_cndmask_b32_e64 v10, v48, 1, vcc
	v_lshlrev_b32_e32 v48, 16, v10
	v_or_b32_e32 v54, v48, v6
	v_mov_b32_e32 v6, v50
	v_mov_b32_e32 v52, v10
.LBB598_174:
	;; [unrolled: 27-line block ×4, first 2 shown]
	s_or_b64 exec, exec, s[56:57]
	v_cmp_gt_u32_e32 vcc, 32, v3
	s_waitcnt lgkmcnt(0)
	s_nop 0
	v_cndmask_b32_e64 v53, 0, 1, vcc
	v_lshlrev_b32_e32 v53, 5, v53
	v_add_lshl_u32 v53, v53, v5, 2
	ds_bpermute_b32 v5, v53, v54
	v_add_u32_e32 v54, 32, v3
	v_cmp_le_u32_e32 vcc, v54, v11
	s_and_saveexec_b64 s[56:57], vcc
	s_cbranch_execz .LBB598_180
; %bb.179:
	v_cmp_eq_u16_e32 vcc, 0, v52
	v_mov_b32_e32 v11, 1
	s_waitcnt lgkmcnt(0)
	v_cndmask_b32_e32 v10, 0, v5, vcc
	v_add_u16_e32 v6, v10, v6
	v_and_b32_e32 v10, 1, v52
	v_and_b32_sdwa v5, v5, v11 dst_sel:DWORD dst_unused:UNUSED_PAD src0_sel:WORD_1 src1_sel:DWORD
	v_cmp_eq_u32_e32 vcc, 1, v10
	s_nop 1
	v_cndmask_b32_e64 v10, v5, 1, vcc
.LBB598_180:
	s_or_b64 exec, exec, s[56:57]
	s_waitcnt lgkmcnt(0)
	v_mov_b32_e32 v5, 0
	v_mov_b32_e32 v56, 2
	;; [unrolled: 1-line block ×3, first 2 shown]
	s_branch .LBB598_182
.LBB598_181:                            ;   in Loop: Header=BB598_182 Depth=1
	s_or_b64 exec, exec, s[56:57]
	v_cmp_eq_u16_sdwa vcc, v52, v5 src0_sel:BYTE_0 src1_sel:DWORD
	v_and_b32_e32 v10, 1, v52
	v_and_b32_e32 v11, 1, v11
	v_cndmask_b32_e32 v6, 0, v6, vcc
	v_cmp_eq_u32_e32 vcc, 1, v10
	v_subrev_u32_e32 v4, 64, v4
	v_add_u16_e32 v6, v6, v55
	v_cndmask_b32_e64 v10, v11, 1, vcc
.LBB598_182:                            ; =>This Loop Header: Depth=1
                                        ;     Child Loop BB598_185 Depth 2
	v_cmp_ne_u16_sdwa s[56:57], v7, v56 src0_sel:BYTE_0 src1_sel:DWORD
	v_mov_b32_e32 v52, v10
	v_mov_b32_e32 v55, v6
	v_cndmask_b32_e64 v7, 0, 1, s[56:57]
	;;#ASMSTART
	;;#ASMEND
	s_nop 0
	v_cmp_ne_u32_e32 vcc, 0, v7
	s_cmp_lg_u64 vcc, exec
	s_cbranch_scc1 .LBB598_199
; %bb.183:                              ;   in Loop: Header=BB598_182 Depth=1
	v_lshl_add_u64 v[10:11], v[4:5], 3, s[64:65]
	global_load_dwordx2 v[6:7], v[10:11], off sc1
	s_waitcnt vmcnt(0)
	v_cmp_eq_u16_sdwa s[58:59], v7, v5 src0_sel:BYTE_0 src1_sel:DWORD
	s_and_saveexec_b64 s[56:57], s[58:59]
	s_cbranch_execz .LBB598_187
; %bb.184:                              ;   in Loop: Header=BB598_182 Depth=1
	s_mov_b64 s[58:59], 0
.LBB598_185:                            ;   Parent Loop BB598_182 Depth=1
                                        ; =>  This Inner Loop Header: Depth=2
	global_load_dwordx2 v[6:7], v[10:11], off sc1
	s_waitcnt vmcnt(0)
	v_cmp_ne_u16_sdwa s[60:61], v7, v5 src0_sel:BYTE_0 src1_sel:DWORD
	s_or_b64 s[58:59], s[60:61], s[58:59]
	s_andn2_b64 exec, exec, s[58:59]
	s_cbranch_execnz .LBB598_185
; %bb.186:                              ;   in Loop: Header=BB598_182 Depth=1
	s_or_b64 exec, exec, s[58:59]
.LBB598_187:                            ;   in Loop: Header=BB598_182 Depth=1
	s_or_b64 exec, exec, s[56:57]
	v_cmp_eq_u16_sdwa s[56:57], v7, v56 src0_sel:BYTE_0 src1_sel:DWORD
	s_waitcnt lgkmcnt(0)
	v_and_b32_e32 v59, 0xffffff, v6
	ds_bpermute_b32 v60, v18, v59
	v_and_b32_e32 v10, s57, v9
	v_or_b32_e32 v10, 0x80000000, v10
	v_and_b32_e32 v11, s56, v8
	v_ffbl_b32_e32 v10, v10
	v_add_u32_e32 v10, 32, v10
	v_ffbl_b32_e32 v11, v11
	v_min_u32_e32 v10, v11, v10
	v_lshrrev_b32_e32 v11, 16, v6
	v_cmp_lt_u32_e32 vcc, v3, v10
	v_bfe_u32 v58, v6, 16, 8
	s_and_saveexec_b64 s[56:57], vcc
	s_cbranch_execz .LBB598_189
; %bb.188:                              ;   in Loop: Header=BB598_182 Depth=1
	v_and_b32_e32 v11, 0xff0000, v6
	v_cmp_eq_u32_e32 vcc, 0, v11
	v_and_b32_e32 v11, 0x10000, v11
	s_waitcnt lgkmcnt(0)
	v_and_b32_sdwa v59, v60, v57 dst_sel:DWORD dst_unused:UNUSED_PAD src0_sel:WORD_1 src1_sel:DWORD
	v_cndmask_b32_e32 v58, 0, v60, vcc
	v_cmp_ne_u32_e32 vcc, 0, v11
	v_add_u16_e32 v61, v58, v6
	v_add_u16_e32 v6, v58, v6
	v_cndmask_b32_e64 v11, v59, 1, vcc
	v_lshlrev_b32_e32 v59, 16, v11
	v_or_b32_e32 v59, v59, v6
	v_mov_b32_e32 v6, v61
	v_mov_b32_e32 v58, v11
.LBB598_189:                            ;   in Loop: Header=BB598_182 Depth=1
	s_or_b64 exec, exec, s[56:57]
	s_waitcnt lgkmcnt(0)
	ds_bpermute_b32 v60, v19, v59
	v_cmp_le_u32_e32 vcc, v20, v10
	s_and_saveexec_b64 s[56:57], vcc
	s_cbranch_execz .LBB598_191
; %bb.190:                              ;   in Loop: Header=BB598_182 Depth=1
	v_cmp_eq_u16_e32 vcc, 0, v58
	v_and_b32_e32 v11, 1, v58
	s_waitcnt lgkmcnt(0)
	v_and_b32_sdwa v58, v60, v57 dst_sel:DWORD dst_unused:UNUSED_PAD src0_sel:WORD_1 src1_sel:DWORD
	v_cndmask_b32_e32 v59, 0, v60, vcc
	v_cmp_eq_u32_e32 vcc, 1, v11
	v_add_u16_e32 v61, v59, v6
	v_add_u16_e32 v6, v59, v6
	v_cndmask_b32_e64 v11, v58, 1, vcc
	v_lshlrev_b32_e32 v58, 16, v11
	v_or_b32_e32 v59, v58, v6
	v_mov_b32_e32 v6, v61
	v_mov_b32_e32 v58, v11
.LBB598_191:                            ;   in Loop: Header=BB598_182 Depth=1
	s_or_b64 exec, exec, s[56:57]
	s_waitcnt lgkmcnt(0)
	ds_bpermute_b32 v60, v21, v59
	v_cmp_le_u32_e32 vcc, v47, v10
	s_and_saveexec_b64 s[56:57], vcc
	s_cbranch_execz .LBB598_193
; %bb.192:                              ;   in Loop: Header=BB598_182 Depth=1
	v_cmp_eq_u16_e32 vcc, 0, v58
	v_and_b32_e32 v11, 1, v58
	s_waitcnt lgkmcnt(0)
	v_and_b32_sdwa v58, v60, v57 dst_sel:DWORD dst_unused:UNUSED_PAD src0_sel:WORD_1 src1_sel:DWORD
	v_cndmask_b32_e32 v59, 0, v60, vcc
	v_cmp_eq_u32_e32 vcc, 1, v11
	v_add_u16_e32 v61, v59, v6
	v_add_u16_e32 v6, v59, v6
	v_cndmask_b32_e64 v11, v58, 1, vcc
	v_lshlrev_b32_e32 v58, 16, v11
	v_or_b32_e32 v59, v58, v6
	v_mov_b32_e32 v6, v61
	v_mov_b32_e32 v58, v11
.LBB598_193:                            ;   in Loop: Header=BB598_182 Depth=1
	;; [unrolled: 21-line block ×4, first 2 shown]
	s_or_b64 exec, exec, s[56:57]
	ds_bpermute_b32 v59, v53, v59
	v_cmp_le_u32_e32 vcc, v54, v10
	s_and_saveexec_b64 s[56:57], vcc
	s_cbranch_execz .LBB598_181
; %bb.198:                              ;   in Loop: Header=BB598_182 Depth=1
	v_cmp_eq_u16_e32 vcc, 0, v58
	s_waitcnt lgkmcnt(0)
	v_lshrrev_b32_e32 v11, 16, v59
	v_cndmask_b32_e32 v10, 0, v59, vcc
	v_add_u16_e32 v6, v10, v6
	v_and_b32_e32 v10, 1, v58
	v_cmp_eq_u32_e32 vcc, 1, v10
	s_nop 1
	v_cndmask_b32_e64 v11, v11, 1, vcc
	s_branch .LBB598_181
.LBB598_199:                            ;   in Loop: Header=BB598_182 Depth=1
                                        ; implicit-def: $vgpr10
                                        ; implicit-def: $vgpr6
	s_cbranch_execz .LBB598_182
; %bb.200:
	s_and_saveexec_b64 s[56:57], s[50:51]
	s_cbranch_execz .LBB598_202
; %bb.201:
	v_and_b32_e32 v3, 0xff0000, v2
	s_mov_b32 s59, 0
	v_cmp_eq_u32_e32 vcc, 0, v3
	v_and_b32_e32 v4, 0x10000, v2
	v_mov_b32_e32 v5, 1
	s_add_i32 s58, s67, 64
	v_cndmask_b32_e32 v3, 0, v55, vcc
	v_and_b32_sdwa v5, v52, v5 dst_sel:WORD_1 dst_unused:UNUSED_PAD src0_sel:DWORD src1_sel:DWORD
	v_mov_b32_e32 v6, 0x10000
	v_cmp_eq_u32_e32 vcc, 0, v4
	s_lshl_b64 s[58:59], s[58:59], 3
	s_add_u32 s58, s64, s58
	v_cndmask_b32_e32 v4, v6, v5, vcc
	v_add_u16_e32 v2, v3, v2
	s_addc_u32 s59, s65, s59
	v_mov_b32_e32 v5, 0
	v_or_b32_e32 v2, v4, v2
	v_mov_b32_e32 v3, 2
	global_store_dwordx2 v5, v[2:3], s[58:59] sc1
.LBB598_202:
	s_or_b64 exec, exec, s[56:57]
	s_and_b64 exec, exec, s[52:53]
	s_cbranch_execz .LBB598_204
; %bb.203:
	v_mov_b32_e32 v2, 0
	ds_write_b16 v2, v55 offset:12
	ds_write_b8 v2, v52 offset:14
.LBB598_204:
	s_or_b64 exec, exec, s[0:1]
	v_mov_b32_e32 v2, 0
	s_waitcnt lgkmcnt(0)
	s_barrier
	ds_read_b32 v3, v2 offset:12
	v_lshrrev_b32_e32 v4, 16, v17
	v_cndmask_b32_e64 v4, v4, v16, s[50:51]
	v_cmp_eq_u16_sdwa vcc, v4, v2 src0_sel:BYTE_0 src1_sel:DWORD
	v_cndmask_b32_e64 v5, v17, v15, s[50:51]
	s_waitcnt lgkmcnt(0)
	v_cndmask_b32_e32 v2, 0, v3, vcc
	v_add_u16_e32 v2, v2, v5
	v_cndmask_b32_e64 v8, v2, v3, s[52:53]
	v_and_b32_e32 v2, 0xff0000, v1
	v_cmp_eq_u32_e32 vcc, 0, v2
	s_nop 1
	v_cndmask_b32_e32 v2, 0, v8, vcc
	v_add_u16_e32 v6, v2, v1
	v_cndmask_b32_e64 v2, 0, v6, s[4:5]
	v_add_u16_e32 v7, v2, v25
	v_cndmask_b32_e64 v2, 0, v7, s[6:7]
	;; [unrolled: 2-line block ×22, first 2 shown]
	v_add_u16_e32 v57, v2, v46
	s_branch .LBB598_255
.LBB598_205:
	s_or_b64 exec, exec, s[0:1]
                                        ; implicit-def: $vgpr56
	s_and_saveexec_b64 s[0:1], s[4:5]
	s_cbranch_execz .LBB598_57
.LBB598_206:
	v_mov_b32_e32 v43, 0
	v_lshl_add_u64 v[56:57], v[18:19], 0, v[42:43]
	flat_load_ushort v56, v[56:57] offset:512
	s_or_b64 exec, exec, s[0:1]
                                        ; implicit-def: $vgpr57
	s_and_saveexec_b64 s[0:1], s[6:7]
	s_cbranch_execnz .LBB598_58
.LBB598_207:
	s_or_b64 exec, exec, s[0:1]
                                        ; implicit-def: $vgpr58
	s_and_saveexec_b64 s[0:1], s[8:9]
	s_cbranch_execz .LBB598_59
.LBB598_208:
	v_mov_b32_e32 v43, 0
	v_lshl_add_u64 v[58:59], v[18:19], 0, v[42:43]
	flat_load_ushort v58, v[58:59] offset:1536
	s_or_b64 exec, exec, s[0:1]
                                        ; implicit-def: $vgpr59
	s_and_saveexec_b64 s[0:1], s[10:11]
	s_cbranch_execnz .LBB598_60
.LBB598_209:
	s_or_b64 exec, exec, s[0:1]
                                        ; implicit-def: $vgpr60
	s_and_saveexec_b64 s[0:1], s[12:13]
	s_cbranch_execz .LBB598_61
.LBB598_210:
	v_mov_b32_e32 v43, 0
	v_lshl_add_u64 v[60:61], v[18:19], 0, v[42:43]
	flat_load_ushort v60, v[60:61] offset:2560
	s_or_b64 exec, exec, s[0:1]
                                        ; implicit-def: $vgpr61
	s_and_saveexec_b64 s[0:1], s[14:15]
	s_cbranch_execnz .LBB598_62
.LBB598_211:
	s_or_b64 exec, exec, s[0:1]
                                        ; implicit-def: $vgpr43
	s_and_saveexec_b64 s[0:1], s[16:17]
	s_cbranch_execz .LBB598_63
.LBB598_212:
	v_mov_b32_e32 v43, 0
	v_lshl_add_u64 v[62:63], v[18:19], 0, v[42:43]
	flat_load_ushort v43, v[62:63] offset:3584
	s_or_b64 exec, exec, s[0:1]
                                        ; implicit-def: $vgpr15
	s_and_saveexec_b64 s[0:1], s[18:19]
	s_cbranch_execnz .LBB598_64
.LBB598_213:
	s_or_b64 exec, exec, s[0:1]
                                        ; implicit-def: $vgpr14
	s_and_saveexec_b64 s[0:1], s[20:21]
	s_cbranch_execz .LBB598_65
.LBB598_214:
	v_mov_b32_e32 v17, 0
	v_lshl_add_u64 v[16:17], v[18:19], 0, v[16:17]
	flat_load_ushort v14, v[16:17]
	s_or_b64 exec, exec, s[0:1]
                                        ; implicit-def: $vgpr16
	s_and_saveexec_b64 s[0:1], s[22:23]
	s_cbranch_execnz .LBB598_66
.LBB598_215:
	s_or_b64 exec, exec, s[0:1]
                                        ; implicit-def: $vgpr17
	s_and_saveexec_b64 s[0:1], s[24:25]
	s_cbranch_execz .LBB598_67
.LBB598_216:
	v_mov_b32_e32 v25, 0
	v_lshl_add_u64 v[22:23], v[18:19], 0, v[24:25]
	flat_load_ushort v17, v[22:23]
	s_or_b64 exec, exec, s[0:1]
                                        ; implicit-def: $vgpr22
	s_and_saveexec_b64 s[0:1], s[26:27]
	s_cbranch_execnz .LBB598_68
.LBB598_217:
	s_or_b64 exec, exec, s[0:1]
                                        ; implicit-def: $vgpr23
	s_and_saveexec_b64 s[0:1], s[28:29]
	s_cbranch_execz .LBB598_69
.LBB598_218:
	v_mov_b32_e32 v31, 0
	v_lshl_add_u64 v[24:25], v[18:19], 0, v[30:31]
	flat_load_ushort v23, v[24:25]
	s_or_b64 exec, exec, s[0:1]
                                        ; implicit-def: $vgpr24
	s_and_saveexec_b64 s[0:1], s[30:31]
	s_cbranch_execnz .LBB598_70
.LBB598_219:
	s_or_b64 exec, exec, s[0:1]
                                        ; implicit-def: $vgpr25
	s_and_saveexec_b64 s[0:1], s[34:35]
	s_cbranch_execz .LBB598_71
.LBB598_220:
	v_mov_b32_e32 v35, 0
	v_lshl_add_u64 v[28:29], v[18:19], 0, v[34:35]
	flat_load_ushort v25, v[28:29]
	s_or_b64 exec, exec, s[0:1]
                                        ; implicit-def: $vgpr29
	s_and_saveexec_b64 s[0:1], s[36:37]
	s_cbranch_execnz .LBB598_72
.LBB598_221:
	s_or_b64 exec, exec, s[0:1]
                                        ; implicit-def: $vgpr30
	s_and_saveexec_b64 s[0:1], s[38:39]
	s_cbranch_execz .LBB598_73
.LBB598_222:
	v_mov_b32_e32 v39, 0
	v_lshl_add_u64 v[30:31], v[18:19], 0, v[38:39]
	flat_load_ushort v30, v[30:31]
	s_or_b64 exec, exec, s[0:1]
                                        ; implicit-def: $vgpr31
	s_and_saveexec_b64 s[0:1], s[40:41]
	s_cbranch_execnz .LBB598_74
.LBB598_223:
	s_or_b64 exec, exec, s[0:1]
                                        ; implicit-def: $vgpr32
	s_and_saveexec_b64 s[0:1], s[42:43]
	s_cbranch_execz .LBB598_75
.LBB598_224:
	v_mov_b32_e32 v45, 0
	v_lshl_add_u64 v[32:33], v[18:19], 0, v[44:45]
	flat_load_ushort v32, v[32:33]
	s_or_b64 exec, exec, s[0:1]
                                        ; implicit-def: $vgpr33
	s_and_saveexec_b64 s[0:1], s[44:45]
	s_cbranch_execnz .LBB598_76
.LBB598_225:
	s_or_b64 exec, exec, s[0:1]
                                        ; implicit-def: $vgpr34
	s_and_saveexec_b64 s[0:1], s[46:47]
	s_cbranch_execz .LBB598_77
.LBB598_226:
	v_mov_b32_e32 v49, 0
	v_lshl_add_u64 v[34:35], v[18:19], 0, v[48:49]
	flat_load_ushort v34, v[34:35]
	s_or_b64 exec, exec, s[0:1]
                                        ; implicit-def: $vgpr35
	s_and_saveexec_b64 s[0:1], s[48:49]
	s_cbranch_execz .LBB598_79
	s_branch .LBB598_78
.LBB598_227:
                                        ; implicit-def: $vgpr8
                                        ; implicit-def: $vgpr6
                                        ; implicit-def: $vgpr7
                                        ; implicit-def: $vgpr9
                                        ; implicit-def: $vgpr10
                                        ; implicit-def: $vgpr11
                                        ; implicit-def: $vgpr16
                                        ; implicit-def: $vgpr18
                                        ; implicit-def: $vgpr15
                                        ; implicit-def: $vgpr17
                                        ; implicit-def: $vgpr19
                                        ; implicit-def: $vgpr20
                                        ; implicit-def: $vgpr21
                                        ; implicit-def: $vgpr47
                                        ; implicit-def: $vgpr49
                                        ; implicit-def: $vgpr51
                                        ; implicit-def: $vgpr48
                                        ; implicit-def: $vgpr50
                                        ; implicit-def: $vgpr52
                                        ; implicit-def: $vgpr53
                                        ; implicit-def: $vgpr54
                                        ; implicit-def: $vgpr55
                                        ; implicit-def: $vgpr56
                                        ; implicit-def: $vgpr57
	s_cbranch_execz .LBB598_255
; %bb.228:
	s_cmp_lg_u64 s[72:73], 0
	s_cselect_b32 s1, s71, 0
	s_cselect_b32 s0, s70, 0
	s_cmp_eq_u64 s[0:1], 0
	v_mov_b32_e32 v2, s74
	s_cbranch_scc1 .LBB598_230
; %bb.229:
	v_mov_b32_e32 v2, 0
	global_load_ushort v2, v2, s[0:1]
.LBB598_230:
	s_mov_b32 s0, 0x10000
	v_cmp_gt_u32_e32 vcc, s0, v25
	v_cmp_gt_u32_e64 s[4:5], s0, v29
	v_cmp_gt_u32_e64 s[6:7], s0, v30
	v_cndmask_b32_e32 v3, 0, v1, vcc
	v_add_u16_e32 v3, v3, v25
	v_cndmask_b32_e64 v3, 0, v3, s[4:5]
	v_add_u16_e32 v3, v3, v29
	v_cndmask_b32_e64 v3, 0, v3, s[6:7]
	v_add_u16_e32 v3, v3, v30
	v_cmp_gt_u32_e64 s[8:9], s0, v31
	v_cmp_gt_u32_e64 s[10:11], s0, v32
	v_cmp_gt_u32_e64 s[12:13], s0, v33
	v_cndmask_b32_e64 v3, 0, v3, s[8:9]
	v_add_u16_e32 v3, v3, v31
	v_cndmask_b32_e64 v3, 0, v3, s[10:11]
	v_add_u16_e32 v3, v3, v32
	v_cndmask_b32_e64 v3, 0, v3, s[12:13]
	v_add_u16_e32 v3, v3, v33
	v_cmp_gt_u32_e64 s[14:15], s0, v34
	v_cmp_gt_u32_e64 s[16:17], s0, v35
	v_cmp_gt_u32_e64 s[18:19], s0, v36
	v_cndmask_b32_e64 v3, 0, v3, s[14:15]
	v_add_u16_e32 v3, v3, v34
	v_cndmask_b32_e64 v3, 0, v3, s[16:17]
	v_add_u16_e32 v3, v3, v35
	v_cndmask_b32_e64 v3, 0, v3, s[18:19]
	v_add_u16_e32 v3, v3, v36
	v_cmp_gt_u32_e64 s[20:21], s0, v37
	v_cmp_gt_u32_e64 s[22:23], s0, v38
	v_cmp_gt_u32_e64 s[24:25], s0, v39
	v_cndmask_b32_e64 v3, 0, v3, s[20:21]
	v_add_u16_e32 v3, v3, v37
	v_cndmask_b32_e64 v3, 0, v3, s[22:23]
	v_add_u16_e32 v3, v3, v38
	v_cndmask_b32_e64 v3, 0, v3, s[24:25]
	v_add_u16_e32 v3, v3, v39
	v_cmp_gt_u32_e64 s[26:27], s0, v40
	v_cmp_gt_u32_e64 s[28:29], s0, v41
	v_cmp_gt_u32_e64 s[30:31], s0, v42
	v_cndmask_b32_e64 v3, 0, v3, s[26:27]
	v_add_u16_e32 v3, v3, v40
	v_cndmask_b32_e64 v3, 0, v3, s[28:29]
	v_add_u16_e32 v3, v3, v41
	v_cndmask_b32_e64 v3, 0, v3, s[30:31]
	v_add_u16_e32 v3, v3, v42
	v_cmp_gt_u32_e64 s[34:35], s0, v43
	v_cmp_gt_u32_e64 s[36:37], s0, v22
	v_cmp_gt_u32_e64 s[38:39], s0, v44
	v_cndmask_b32_e64 v3, 0, v3, s[34:35]
	v_add_u16_e32 v3, v3, v43
	v_cndmask_b32_e64 v3, 0, v3, s[36:37]
	v_add_u16_e32 v3, v3, v22
	v_cndmask_b32_e64 v3, 0, v3, s[38:39]
	v_or3_b32 v6, v14, v44, v22
	v_add_u16_e32 v3, v3, v44
	v_cmp_gt_u32_e64 s[40:41], s0, v23
	v_or3_b32 v6, v6, v43, v42
	v_or3_b32 v6, v6, v41, v40
	v_cndmask_b32_e64 v3, 0, v3, s[40:41]
	v_add_u16_e32 v3, v3, v23
	v_cmp_gt_u32_e64 s[42:43], s0, v45
	v_or3_b32 v6, v6, v39, v38
	v_or3_b32 v6, v6, v37, v36
	v_cndmask_b32_e64 v3, 0, v3, s[42:43]
	;; [unrolled: 5-line block ×4, first 2 shown]
	v_add_u16_e32 v3, v3, v46
	v_cmp_gt_u32_e64 s[0:1], s0, v12
	v_and_b32_e32 v6, 0x10000, v6
	v_and_b32_e32 v5, 0x10000, v1
	v_cndmask_b32_e64 v3, 0, v3, s[0:1]
	v_mov_b32_e32 v7, 0x10000
	v_cmp_ne_u32_e64 s[0:1], 0, v6
	v_add_u16_e32 v4, v3, v12
	v_add_u16_e32 v6, v3, v12
	v_cndmask_b32_e64 v7, v5, v7, s[0:1]
	v_mbcnt_hi_u32_b32 v3, -1, v13
	v_and_b32_e32 v8, 15, v3
	v_or_b32_e32 v6, v7, v6
	v_lshrrev_b32_e32 v5, 16, v7
	v_cmp_ne_u32_e64 s[0:1], 0, v8
	v_mov_b32_dpp v9, v6 row_shr:1 row_mask:0xf bank_mask:0xf
	s_and_saveexec_b64 s[48:49], s[0:1]
	s_cbranch_execz .LBB598_232
; %bb.231:
	v_cmp_eq_u32_e64 s[0:1], 0, v7
	v_and_b32_e32 v5, 0x10000, v7
	v_mov_b32_e32 v7, 1
	v_cndmask_b32_e64 v6, 0, v9, s[0:1]
	v_and_b32_sdwa v7, v9, v7 dst_sel:DWORD dst_unused:UNUSED_PAD src0_sel:WORD_1 src1_sel:DWORD
	v_cmp_ne_u32_e64 s[0:1], 0, v5
	v_add_u16_e32 v10, v6, v4
	v_add_u16_e32 v4, v6, v4
	v_cndmask_b32_e64 v5, v7, 1, s[0:1]
	v_lshlrev_b32_e32 v7, 16, v5
	v_or_b32_e32 v6, v7, v4
	v_mov_b32_e32 v4, v10
.LBB598_232:
	s_or_b64 exec, exec, s[48:49]
	v_lshrrev_b32_e32 v7, 16, v6
	v_mov_b32_dpp v9, v6 row_shr:2 row_mask:0xf bank_mask:0xf
	v_cmp_lt_u32_e64 s[0:1], 1, v8
	s_and_saveexec_b64 s[48:49], s[0:1]
	s_cbranch_execz .LBB598_234
; %bb.233:
	s_mov_b32 s0, 0x10000
	v_cmp_gt_u32_e64 s[0:1], s0, v6
	v_and_b32_e32 v5, 0x10000, v6
	v_mov_b32_e32 v6, 1
	v_cndmask_b32_e64 v7, 0, v9, s[0:1]
	v_and_b32_sdwa v6, v9, v6 dst_sel:DWORD dst_unused:UNUSED_PAD src0_sel:WORD_1 src1_sel:DWORD
	v_cmp_ne_u32_e64 s[0:1], 0, v5
	v_add_u16_e32 v10, v7, v4
	v_add_u16_e32 v4, v7, v4
	v_cndmask_b32_e64 v5, v6, 1, s[0:1]
	v_lshlrev_b32_e32 v6, 16, v5
	v_or_b32_e32 v6, v6, v4
	v_mov_b32_e32 v7, v5
	v_mov_b32_e32 v4, v10
.LBB598_234:
	s_or_b64 exec, exec, s[48:49]
	v_mov_b32_dpp v9, v6 row_shr:4 row_mask:0xf bank_mask:0xf
	v_cmp_lt_u32_e64 s[0:1], 3, v8
	s_and_saveexec_b64 s[48:49], s[0:1]
	s_cbranch_execz .LBB598_236
; %bb.235:
	v_cmp_eq_u16_e64 s[0:1], 0, v7
	v_and_b32_e32 v5, 1, v7
	v_mov_b32_e32 v7, 1
	v_cndmask_b32_e64 v6, 0, v9, s[0:1]
	v_and_b32_sdwa v7, v9, v7 dst_sel:DWORD dst_unused:UNUSED_PAD src0_sel:WORD_1 src1_sel:DWORD
	v_cmp_eq_u32_e64 s[0:1], 1, v5
	v_add_u16_e32 v10, v6, v4
	v_add_u16_e32 v4, v6, v4
	v_cndmask_b32_e64 v5, v7, 1, s[0:1]
	v_lshlrev_b32_e32 v7, 16, v5
	v_or_b32_e32 v6, v7, v4
	v_mov_b32_e32 v7, v5
	v_mov_b32_e32 v4, v10
.LBB598_236:
	s_or_b64 exec, exec, s[48:49]
	v_mov_b32_dpp v9, v6 row_shr:8 row_mask:0xf bank_mask:0xf
	v_cmp_lt_u32_e64 s[0:1], 7, v8
	s_and_saveexec_b64 s[48:49], s[0:1]
	s_cbranch_execz .LBB598_238
; %bb.237:
	v_cmp_eq_u16_e64 s[0:1], 0, v7
	v_and_b32_e32 v5, 1, v7
	v_mov_b32_e32 v7, 1
	v_cndmask_b32_e64 v6, 0, v9, s[0:1]
	v_and_b32_sdwa v7, v9, v7 dst_sel:DWORD dst_unused:UNUSED_PAD src0_sel:WORD_1 src1_sel:DWORD
	v_cmp_eq_u32_e64 s[0:1], 1, v5
	v_add_u16_e32 v8, v6, v4
	v_add_u16_e32 v4, v6, v4
	v_cndmask_b32_e64 v5, v7, 1, s[0:1]
	v_lshlrev_b32_e32 v7, 16, v5
	v_or_b32_e32 v6, v7, v4
	v_mov_b32_e32 v7, v5
	v_mov_b32_e32 v4, v8
.LBB598_238:
	s_or_b64 exec, exec, s[48:49]
	v_and_b32_e32 v9, 16, v3
	v_mov_b32_dpp v8, v6 row_bcast:15 row_mask:0xf bank_mask:0xf
	v_cmp_ne_u32_e64 s[0:1], 0, v9
	s_and_saveexec_b64 s[48:49], s[0:1]
	s_cbranch_execz .LBB598_240
; %bb.239:
	v_cmp_eq_u16_e64 s[0:1], 0, v7
	v_and_b32_e32 v5, 1, v7
	v_mov_b32_e32 v7, 1
	v_cndmask_b32_e64 v6, 0, v8, s[0:1]
	v_and_b32_sdwa v7, v8, v7 dst_sel:DWORD dst_unused:UNUSED_PAD src0_sel:WORD_1 src1_sel:DWORD
	v_cmp_eq_u32_e64 s[0:1], 1, v5
	v_add_u16_e32 v9, v6, v4
	v_add_u16_e32 v4, v6, v4
	v_cndmask_b32_e64 v5, v7, 1, s[0:1]
	v_lshlrev_b32_e32 v7, 16, v5
	v_or_b32_e32 v6, v7, v4
	v_mov_b32_e32 v7, v5
	v_mov_b32_e32 v4, v9
.LBB598_240:
	s_or_b64 exec, exec, s[48:49]
	v_mov_b32_dpp v6, v6 row_bcast:31 row_mask:0xf bank_mask:0xf
	v_cmp_lt_u32_e64 s[0:1], 31, v3
	s_and_saveexec_b64 s[48:49], s[0:1]
; %bb.241:
	v_cmp_eq_u16_e64 s[0:1], 0, v7
	s_nop 1
	v_cndmask_b32_e64 v5, 0, v6, s[0:1]
	v_add_u16_e32 v4, v5, v4
	v_and_b32_e32 v5, 1, v7
	v_mov_b32_e32 v7, 1
	v_and_b32_sdwa v6, v6, v7 dst_sel:DWORD dst_unused:UNUSED_PAD src0_sel:WORD_1 src1_sel:DWORD
	v_cmp_eq_u32_e64 s[0:1], 1, v5
	s_nop 1
	v_cndmask_b32_e64 v5, v6, 1, s[0:1]
; %bb.242:
	s_or_b64 exec, exec, s[48:49]
	v_or_b32_e32 v7, 63, v0
	v_lshrrev_b32_e32 v6, 6, v0
	v_cmp_eq_u32_e64 s[0:1], v7, v0
	s_and_saveexec_b64 s[48:49], s[0:1]
	s_cbranch_execz .LBB598_244
; %bb.243:
	v_lshlrev_b32_e32 v7, 2, v6
	ds_write_b16 v7, v4
	ds_write_b8 v7, v5 offset:2
.LBB598_244:
	s_or_b64 exec, exec, s[48:49]
	v_cmp_gt_u32_e64 s[0:1], 4, v0
	s_waitcnt lgkmcnt(0)
	s_barrier
	s_and_saveexec_b64 s[48:49], s[0:1]
	s_cbranch_execz .LBB598_250
; %bb.245:
	v_lshlrev_b32_e32 v7, 2, v0
	ds_read_b32 v8, v7
	v_and_b32_e32 v11, 3, v3
	v_cmp_ne_u32_e64 s[0:1], 0, v11
	s_waitcnt lgkmcnt(0)
	v_lshrrev_b32_e32 v10, 16, v8
	v_mov_b32_dpp v12, v8 row_shr:1 row_mask:0xf bank_mask:0xf
	v_mov_b32_e32 v9, v8
	s_and_saveexec_b64 s[50:51], s[0:1]
	s_cbranch_execz .LBB598_247
; %bb.246:
	v_mov_b32_e32 v9, 0
	v_cmp_eq_u16_sdwa s[0:1], v10, v9 src0_sel:BYTE_0 src1_sel:DWORD
	v_and_b32_e32 v10, 0x10000, v8
	v_mov_b32_e32 v15, 1
	v_cndmask_b32_e64 v14, 0, v12, s[0:1]
	v_and_b32_sdwa v12, v12, v15 dst_sel:DWORD dst_unused:UNUSED_PAD src0_sel:WORD_1 src1_sel:DWORD
	v_cmp_ne_u32_e64 s[0:1], 0, v10
	v_and_b32_e32 v13, 0xff000000, v8
	v_add_u16_e32 v9, v14, v8
	v_cndmask_b32_e64 v10, v12, 1, s[0:1]
	v_lshlrev_b32_e32 v12, 16, v10
	v_add_u16_e32 v8, v14, v8
	v_or3_b32 v8, v12, v13, v8
.LBB598_247:
	s_or_b64 exec, exec, s[50:51]
	s_nop 0
	v_mov_b32_dpp v12, v8 row_shr:2 row_mask:0xf bank_mask:0xf
	v_cmp_lt_u32_e64 s[0:1], 1, v11
	s_and_saveexec_b64 s[50:51], s[0:1]
; %bb.248:
	v_and_b32_e32 v10, 0xff0000, v8
	v_cmp_eq_u32_e64 s[0:1], 0, v10
	v_and_b32_e32 v8, 0x10000, v8
	s_nop 0
	v_cndmask_b32_e64 v10, 0, v12, s[0:1]
	v_add_u16_e32 v9, v10, v9
	v_mov_b32_e32 v10, 1
	v_and_b32_sdwa v10, v12, v10 dst_sel:DWORD dst_unused:UNUSED_PAD src0_sel:WORD_1 src1_sel:DWORD
	v_cmp_eq_u32_e64 s[0:1], 0, v8
	s_nop 1
	v_cndmask_b32_e64 v10, 1, v10, s[0:1]
; %bb.249:
	s_or_b64 exec, exec, s[50:51]
	ds_write_b16 v7, v9
	ds_write_b8 v7, v10 offset:2
.LBB598_250:
	s_or_b64 exec, exec, s[48:49]
	v_cmp_lt_u32_e64 s[0:1], 63, v0
	v_mov_b32_e32 v8, 0
	s_waitcnt vmcnt(0)
	v_mov_b32_e32 v7, v2
	s_waitcnt lgkmcnt(0)
	s_barrier
	s_and_saveexec_b64 s[48:49], s[0:1]
	s_cbranch_execz .LBB598_252
; %bb.251:
	v_lshl_add_u32 v6, v6, 2, -4
	ds_read_u8 v8, v6 offset:2
	ds_read_u16 v6, v6
	s_waitcnt lgkmcnt(1)
	v_cmp_eq_u16_e64 s[0:1], 0, v8
	s_nop 1
	v_cndmask_b32_e64 v7, 0, v2, s[0:1]
	s_waitcnt lgkmcnt(0)
	v_add_u16_e32 v7, v7, v6
.LBB598_252:
	s_or_b64 exec, exec, s[48:49]
	v_cmp_eq_u16_e64 s[0:1], 0, v5
	v_and_b32_e32 v5, 1, v5
	v_lshlrev_b32_e32 v8, 16, v8
	v_cndmask_b32_e64 v6, 0, v7, s[0:1]
	v_mov_b32_e32 v9, 0x10000
	v_cmp_eq_u32_e64 s[0:1], 1, v5
	v_add_u16_e32 v4, v6, v4
	v_and_b32_e32 v6, 64, v3
	v_cndmask_b32_e64 v5, v8, v9, s[0:1]
	v_or_b32_e32 v4, v5, v4
	v_add_u32_e32 v5, -1, v3
	v_cmp_lt_i32_e64 s[0:1], v5, v6
	s_nop 1
	v_cndmask_b32_e64 v5, v5, v3, s[0:1]
	v_lshlrev_b32_e32 v5, 2, v5
	ds_bpermute_b32 v4, v5, v4
	v_cmp_eq_u32_e64 s[0:1], 0, v3
	s_waitcnt lgkmcnt(0)
	s_nop 0
	v_cndmask_b32_e64 v8, v4, v7, s[0:1]
	v_and_b32_e32 v4, 0xff0000, v1
	v_cndmask_b32_e64 v3, v8, v2, s[52:53]
	v_cmp_eq_u32_e64 s[0:1], 0, v4
	s_nop 1
	v_cndmask_b32_e64 v3, 0, v3, s[0:1]
	v_add_u16_e32 v6, v3, v1
	v_cndmask_b32_e32 v1, 0, v6, vcc
	v_add_u16_e32 v7, v1, v25
	v_cndmask_b32_e64 v1, 0, v7, s[4:5]
	v_add_u16_e32 v9, v1, v29
	v_cndmask_b32_e64 v1, 0, v9, s[6:7]
	;; [unrolled: 2-line block ×21, first 2 shown]
	s_and_saveexec_b64 s[0:1], s[52:53]
	s_cbranch_execz .LBB598_254
; %bb.253:
	v_mov_b32_e32 v3, 0
	ds_read_u8 v4, v3 offset:14
	ds_read_u16 v8, v3 offset:12
	v_mov_b32_e32 v5, 2
	s_waitcnt lgkmcnt(1)
	v_cmp_eq_u32_e32 vcc, 0, v4
	v_lshlrev_b32_e32 v12, 16, v4
	s_nop 0
	v_cndmask_b32_e32 v4, 0, v2, vcc
	s_waitcnt lgkmcnt(0)
	v_add_u32_e32 v4, v4, v8
	v_or_b32_sdwa v4, v12, v4 dst_sel:DWORD dst_unused:UNUSED_PAD src0_sel:DWORD src1_sel:WORD_0
	v_mov_b32_e32 v8, v2
	global_store_dwordx2 v3, v[4:5], s[64:65] offset:512 sc1
.LBB598_254:
	s_or_b64 exec, exec, s[0:1]
	v_add_u16_e32 v57, v1, v46
.LBB598_255:
	s_add_u32 s0, s62, s54
	s_addc_u32 s1, s63, s55
	v_mul_u32_u24_e32 v1, 24, v0
	v_lshl_add_u64 v[2:3], s[0:1], 0, v[26:27]
	s_and_b64 vcc, exec, s[2:3]
	v_lshlrev_b32_e32 v12, 1, v1
	s_cbranch_vccz .LBB598_303
; %bb.256:
	s_mov_b32 s0, 0x5040100
	v_perm_b32 v25, v18, v16, s0
	v_perm_b32 v24, v11, v10, s0
	;; [unrolled: 1-line block ×4, first 2 shown]
	s_barrier
	ds_write_b128 v12, v[22:25]
	v_perm_b32 v25, v51, v49, s0
	v_perm_b32 v24, v47, v21, s0
	;; [unrolled: 1-line block ×4, first 2 shown]
	ds_write_b128 v12, v[22:25] offset:16
	v_perm_b32 v25, v57, v56, s0
	v_perm_b32 v24, v55, v54, s0
	;; [unrolled: 1-line block ×4, first 2 shown]
	s_movk_i32 s0, 0xffd2
	v_mad_i32_i24 v4, v0, s0, v12
	ds_write_b128 v12, v[22:25] offset:32
	s_waitcnt lgkmcnt(0)
	s_barrier
	ds_read_u16 v43, v4 offset:512
	ds_read_u16 v42, v4 offset:1024
	;; [unrolled: 1-line block ×23, first 2 shown]
	s_add_i32 s33, s33, s66
	v_mov_b32_e32 v29, 0
	v_lshl_add_u64 v[4:5], v[2:3], 0, v[28:29]
	v_cmp_gt_u32_e32 vcc, s33, v0
	s_and_saveexec_b64 s[0:1], vcc
	s_cbranch_execz .LBB598_258
; %bb.257:
	v_mul_i32_i24_e32 v44, 0xffffffd2, v0
	v_add_u32_e32 v44, v12, v44
	ds_read_u16 v44, v44
	s_waitcnt lgkmcnt(0)
	flat_store_short v[4:5], v44
.LBB598_258:
	s_or_b64 exec, exec, s[0:1]
	v_or_b32_e32 v44, 0x100, v0
	v_cmp_gt_u32_e32 vcc, s33, v44
	s_and_saveexec_b64 s[0:1], vcc
	s_cbranch_execz .LBB598_260
; %bb.259:
	s_waitcnt lgkmcnt(0)
	flat_store_short v[4:5], v43 offset:512
.LBB598_260:
	s_or_b64 exec, exec, s[0:1]
	s_waitcnt lgkmcnt(0)
	v_or_b32_e32 v43, 0x200, v0
	v_cmp_gt_u32_e32 vcc, s33, v43
	s_and_saveexec_b64 s[0:1], vcc
	s_cbranch_execz .LBB598_262
; %bb.261:
	flat_store_short v[4:5], v42 offset:1024
.LBB598_262:
	s_or_b64 exec, exec, s[0:1]
	v_or_b32_e32 v42, 0x300, v0
	v_cmp_gt_u32_e32 vcc, s33, v42
	s_and_saveexec_b64 s[0:1], vcc
	s_cbranch_execz .LBB598_264
; %bb.263:
	flat_store_short v[4:5], v41 offset:1536
.LBB598_264:
	s_or_b64 exec, exec, s[0:1]
	;; [unrolled: 8-line block ×6, first 2 shown]
	v_or_b32_e32 v37, 0x800, v0
	v_cmp_gt_u32_e32 vcc, s33, v37
	s_and_saveexec_b64 s[0:1], vcc
	s_cbranch_execz .LBB598_274
; %bb.273:
	v_add_co_u32_e32 v38, vcc, 0x1000, v4
	s_nop 1
	v_addc_co_u32_e32 v39, vcc, 0, v5, vcc
	flat_store_short v[38:39], v36
.LBB598_274:
	s_or_b64 exec, exec, s[0:1]
	v_or_b32_e32 v36, 0x900, v0
	v_cmp_gt_u32_e32 vcc, s33, v36
	s_and_saveexec_b64 s[0:1], vcc
	s_cbranch_execz .LBB598_276
; %bb.275:
	v_add_co_u32_e32 v36, vcc, 0x1000, v4
	s_nop 1
	v_addc_co_u32_e32 v37, vcc, 0, v5, vcc
	flat_store_short v[36:37], v35 offset:512
.LBB598_276:
	s_or_b64 exec, exec, s[0:1]
	v_or_b32_e32 v35, 0xa00, v0
	v_cmp_gt_u32_e32 vcc, s33, v35
	s_and_saveexec_b64 s[0:1], vcc
	s_cbranch_execz .LBB598_278
; %bb.277:
	v_add_co_u32_e32 v36, vcc, 0x1000, v4
	s_nop 1
	v_addc_co_u32_e32 v37, vcc, 0, v5, vcc
	flat_store_short v[36:37], v34 offset:1024
.LBB598_278:
	;; [unrolled: 11-line block ×7, first 2 shown]
	s_or_b64 exec, exec, s[0:1]
	v_or_b32_e32 v27, 0x1000, v0
	v_cmp_gt_u32_e32 vcc, s33, v27
	s_and_saveexec_b64 s[0:1], vcc
	s_cbranch_execz .LBB598_290
; %bb.289:
	v_add_co_u32_e32 v30, vcc, 0x2000, v4
	s_nop 1
	v_addc_co_u32_e32 v31, vcc, 0, v5, vcc
	flat_store_short v[30:31], v26
.LBB598_290:
	s_or_b64 exec, exec, s[0:1]
	v_or_b32_e32 v26, 0x1100, v0
	v_cmp_gt_u32_e32 vcc, s33, v26
	s_and_saveexec_b64 s[0:1], vcc
	s_cbranch_execz .LBB598_292
; %bb.291:
	v_add_co_u32_e32 v26, vcc, 0x2000, v4
	s_nop 1
	v_addc_co_u32_e32 v27, vcc, 0, v5, vcc
	flat_store_short v[26:27], v25 offset:512
.LBB598_292:
	s_or_b64 exec, exec, s[0:1]
	v_or_b32_e32 v25, 0x1200, v0
	v_cmp_gt_u32_e32 vcc, s33, v25
	s_and_saveexec_b64 s[0:1], vcc
	s_cbranch_execz .LBB598_294
; %bb.293:
	v_add_co_u32_e32 v26, vcc, 0x2000, v4
	s_nop 1
	v_addc_co_u32_e32 v27, vcc, 0, v5, vcc
	flat_store_short v[26:27], v24 offset:1024
.LBB598_294:
	;; [unrolled: 11-line block ×6, first 2 shown]
	s_or_b64 exec, exec, s[0:1]
	v_or_b32_e32 v4, 0x1700, v0
	v_mov_b32_e32 v1, v29
	v_cmp_gt_u32_e64 s[0:1], s33, v4
	s_branch .LBB598_305
.LBB598_303:
	s_mov_b64 s[0:1], 0
                                        ; implicit-def: $vgpr13
	s_cbranch_execz .LBB598_305
; %bb.304:
	s_mov_b32 s2, 0x5040100
	v_perm_b32 v23, v9, v7, s2
	v_perm_b32 v22, v6, v8, s2
	;; [unrolled: 1-line block ×6, first 2 shown]
	s_waitcnt lgkmcnt(0)
	s_barrier
	v_perm_b32 v25, v18, v16, s2
	v_perm_b32 v24, v11, v10, s2
	ds_write_b128 v12, v[4:7] offset:16
	v_perm_b32 v7, v57, v56, s2
	v_perm_b32 v6, v55, v54, s2
	v_perm_b32 v5, v53, v52, s2
	v_perm_b32 v4, v50, v48, s2
	v_mov_b32_e32 v1, 0
	s_movk_i32 s2, 0xffd2
	ds_write_b128 v12, v[4:7] offset:32
	v_mad_i32_i24 v4, v0, s2, v12
	v_mov_b32_e32 v29, v1
	ds_write_b128 v12, v[22:25]
	s_waitcnt lgkmcnt(0)
	s_barrier
	ds_read_u16 v6, v4
	ds_read_u16 v7, v4 offset:512
	ds_read_u16 v8, v4 offset:1024
	;; [unrolled: 1-line block ×23, first 2 shown]
	v_lshl_add_u64 v[4:5], v[2:3], 0, v[28:29]
	s_movk_i32 s2, 0x1000
	s_waitcnt lgkmcnt(0)
	flat_store_short v[4:5], v6
	flat_store_short v[4:5], v7 offset:512
	flat_store_short v[4:5], v8 offset:1024
	;; [unrolled: 1-line block ×7, first 2 shown]
	v_add_co_u32_e32 v6, vcc, s2, v4
	s_or_b64 s[0:1], s[0:1], exec
	s_nop 0
	v_addc_co_u32_e32 v7, vcc, 0, v5, vcc
	v_add_co_u32_e32 v4, vcc, 0x2000, v4
	flat_store_short v[6:7], v15
	flat_store_short v[6:7], v16 offset:512
	flat_store_short v[6:7], v17 offset:1024
	;; [unrolled: 1-line block ×7, first 2 shown]
	v_addc_co_u32_e32 v5, vcc, 0, v5, vcc
	flat_store_short v[4:5], v23
	flat_store_short v[4:5], v24 offset:512
	flat_store_short v[4:5], v25 offset:1024
	;; [unrolled: 1-line block ×6, first 2 shown]
.LBB598_305:
	s_and_saveexec_b64 s[2:3], s[0:1]
	s_cbranch_execz .LBB598_307
; %bb.306:
	v_lshl_add_u64 v[0:1], v[0:1], 1, v[2:3]
	v_add_co_u32_e32 v0, vcc, 0x2000, v0
	s_nop 1
	v_addc_co_u32_e32 v1, vcc, 0, v1, vcc
	flat_store_short v[0:1], v13 offset:3584
	s_endpgm
.LBB598_307:
	s_endpgm
	.section	.rodata,"a",@progbits
	.p2align	6, 0x0
	.amdhsa_kernel _ZN7rocprim17ROCPRIM_400000_NS6detail17trampoline_kernelINS0_14default_configENS1_27scan_by_key_config_selectorIssEEZZNS1_16scan_by_key_implILNS1_25lookback_scan_determinismE0ELb1ES3_N6thrust23THRUST_200600_302600_NS6detail15normal_iteratorINS9_10device_ptrIsEEEESE_SE_sNS9_4plusIvEENS9_8equal_toIvEEsEE10hipError_tPvRmT2_T3_T4_T5_mT6_T7_P12ihipStream_tbENKUlT_T0_E_clISt17integral_constantIbLb0EESY_IbLb1EEEEDaSU_SV_EUlSU_E_NS1_11comp_targetILNS1_3genE5ELNS1_11target_archE942ELNS1_3gpuE9ELNS1_3repE0EEENS1_30default_config_static_selectorELNS0_4arch9wavefront6targetE1EEEvT1_
		.amdhsa_group_segment_fixed_size 13312
		.amdhsa_private_segment_fixed_size 0
		.amdhsa_kernarg_size 112
		.amdhsa_user_sgpr_count 2
		.amdhsa_user_sgpr_dispatch_ptr 0
		.amdhsa_user_sgpr_queue_ptr 0
		.amdhsa_user_sgpr_kernarg_segment_ptr 1
		.amdhsa_user_sgpr_dispatch_id 0
		.amdhsa_user_sgpr_kernarg_preload_length 0
		.amdhsa_user_sgpr_kernarg_preload_offset 0
		.amdhsa_user_sgpr_private_segment_size 0
		.amdhsa_uses_dynamic_stack 0
		.amdhsa_enable_private_segment 0
		.amdhsa_system_sgpr_workgroup_id_x 1
		.amdhsa_system_sgpr_workgroup_id_y 0
		.amdhsa_system_sgpr_workgroup_id_z 0
		.amdhsa_system_sgpr_workgroup_info 0
		.amdhsa_system_vgpr_workitem_id 0
		.amdhsa_next_free_vgpr 64
		.amdhsa_next_free_sgpr 75
		.amdhsa_accum_offset 64
		.amdhsa_reserve_vcc 1
		.amdhsa_float_round_mode_32 0
		.amdhsa_float_round_mode_16_64 0
		.amdhsa_float_denorm_mode_32 3
		.amdhsa_float_denorm_mode_16_64 3
		.amdhsa_dx10_clamp 1
		.amdhsa_ieee_mode 1
		.amdhsa_fp16_overflow 0
		.amdhsa_tg_split 0
		.amdhsa_exception_fp_ieee_invalid_op 0
		.amdhsa_exception_fp_denorm_src 0
		.amdhsa_exception_fp_ieee_div_zero 0
		.amdhsa_exception_fp_ieee_overflow 0
		.amdhsa_exception_fp_ieee_underflow 0
		.amdhsa_exception_fp_ieee_inexact 0
		.amdhsa_exception_int_div_zero 0
	.end_amdhsa_kernel
	.section	.text._ZN7rocprim17ROCPRIM_400000_NS6detail17trampoline_kernelINS0_14default_configENS1_27scan_by_key_config_selectorIssEEZZNS1_16scan_by_key_implILNS1_25lookback_scan_determinismE0ELb1ES3_N6thrust23THRUST_200600_302600_NS6detail15normal_iteratorINS9_10device_ptrIsEEEESE_SE_sNS9_4plusIvEENS9_8equal_toIvEEsEE10hipError_tPvRmT2_T3_T4_T5_mT6_T7_P12ihipStream_tbENKUlT_T0_E_clISt17integral_constantIbLb0EESY_IbLb1EEEEDaSU_SV_EUlSU_E_NS1_11comp_targetILNS1_3genE5ELNS1_11target_archE942ELNS1_3gpuE9ELNS1_3repE0EEENS1_30default_config_static_selectorELNS0_4arch9wavefront6targetE1EEEvT1_,"axG",@progbits,_ZN7rocprim17ROCPRIM_400000_NS6detail17trampoline_kernelINS0_14default_configENS1_27scan_by_key_config_selectorIssEEZZNS1_16scan_by_key_implILNS1_25lookback_scan_determinismE0ELb1ES3_N6thrust23THRUST_200600_302600_NS6detail15normal_iteratorINS9_10device_ptrIsEEEESE_SE_sNS9_4plusIvEENS9_8equal_toIvEEsEE10hipError_tPvRmT2_T3_T4_T5_mT6_T7_P12ihipStream_tbENKUlT_T0_E_clISt17integral_constantIbLb0EESY_IbLb1EEEEDaSU_SV_EUlSU_E_NS1_11comp_targetILNS1_3genE5ELNS1_11target_archE942ELNS1_3gpuE9ELNS1_3repE0EEENS1_30default_config_static_selectorELNS0_4arch9wavefront6targetE1EEEvT1_,comdat
.Lfunc_end598:
	.size	_ZN7rocprim17ROCPRIM_400000_NS6detail17trampoline_kernelINS0_14default_configENS1_27scan_by_key_config_selectorIssEEZZNS1_16scan_by_key_implILNS1_25lookback_scan_determinismE0ELb1ES3_N6thrust23THRUST_200600_302600_NS6detail15normal_iteratorINS9_10device_ptrIsEEEESE_SE_sNS9_4plusIvEENS9_8equal_toIvEEsEE10hipError_tPvRmT2_T3_T4_T5_mT6_T7_P12ihipStream_tbENKUlT_T0_E_clISt17integral_constantIbLb0EESY_IbLb1EEEEDaSU_SV_EUlSU_E_NS1_11comp_targetILNS1_3genE5ELNS1_11target_archE942ELNS1_3gpuE9ELNS1_3repE0EEENS1_30default_config_static_selectorELNS0_4arch9wavefront6targetE1EEEvT1_, .Lfunc_end598-_ZN7rocprim17ROCPRIM_400000_NS6detail17trampoline_kernelINS0_14default_configENS1_27scan_by_key_config_selectorIssEEZZNS1_16scan_by_key_implILNS1_25lookback_scan_determinismE0ELb1ES3_N6thrust23THRUST_200600_302600_NS6detail15normal_iteratorINS9_10device_ptrIsEEEESE_SE_sNS9_4plusIvEENS9_8equal_toIvEEsEE10hipError_tPvRmT2_T3_T4_T5_mT6_T7_P12ihipStream_tbENKUlT_T0_E_clISt17integral_constantIbLb0EESY_IbLb1EEEEDaSU_SV_EUlSU_E_NS1_11comp_targetILNS1_3genE5ELNS1_11target_archE942ELNS1_3gpuE9ELNS1_3repE0EEENS1_30default_config_static_selectorELNS0_4arch9wavefront6targetE1EEEvT1_
                                        ; -- End function
	.section	.AMDGPU.csdata,"",@progbits
; Kernel info:
; codeLenInByte = 16524
; NumSgprs: 81
; NumVgprs: 64
; NumAgprs: 0
; TotalNumVgprs: 64
; ScratchSize: 0
; MemoryBound: 0
; FloatMode: 240
; IeeeMode: 1
; LDSByteSize: 13312 bytes/workgroup (compile time only)
; SGPRBlocks: 10
; VGPRBlocks: 7
; NumSGPRsForWavesPerEU: 81
; NumVGPRsForWavesPerEU: 64
; AccumOffset: 64
; Occupancy: 4
; WaveLimiterHint : 1
; COMPUTE_PGM_RSRC2:SCRATCH_EN: 0
; COMPUTE_PGM_RSRC2:USER_SGPR: 2
; COMPUTE_PGM_RSRC2:TRAP_HANDLER: 0
; COMPUTE_PGM_RSRC2:TGID_X_EN: 1
; COMPUTE_PGM_RSRC2:TGID_Y_EN: 0
; COMPUTE_PGM_RSRC2:TGID_Z_EN: 0
; COMPUTE_PGM_RSRC2:TIDIG_COMP_CNT: 0
; COMPUTE_PGM_RSRC3_GFX90A:ACCUM_OFFSET: 15
; COMPUTE_PGM_RSRC3_GFX90A:TG_SPLIT: 0
	.section	.text._ZN7rocprim17ROCPRIM_400000_NS6detail17trampoline_kernelINS0_14default_configENS1_27scan_by_key_config_selectorIssEEZZNS1_16scan_by_key_implILNS1_25lookback_scan_determinismE0ELb1ES3_N6thrust23THRUST_200600_302600_NS6detail15normal_iteratorINS9_10device_ptrIsEEEESE_SE_sNS9_4plusIvEENS9_8equal_toIvEEsEE10hipError_tPvRmT2_T3_T4_T5_mT6_T7_P12ihipStream_tbENKUlT_T0_E_clISt17integral_constantIbLb0EESY_IbLb1EEEEDaSU_SV_EUlSU_E_NS1_11comp_targetILNS1_3genE4ELNS1_11target_archE910ELNS1_3gpuE8ELNS1_3repE0EEENS1_30default_config_static_selectorELNS0_4arch9wavefront6targetE1EEEvT1_,"axG",@progbits,_ZN7rocprim17ROCPRIM_400000_NS6detail17trampoline_kernelINS0_14default_configENS1_27scan_by_key_config_selectorIssEEZZNS1_16scan_by_key_implILNS1_25lookback_scan_determinismE0ELb1ES3_N6thrust23THRUST_200600_302600_NS6detail15normal_iteratorINS9_10device_ptrIsEEEESE_SE_sNS9_4plusIvEENS9_8equal_toIvEEsEE10hipError_tPvRmT2_T3_T4_T5_mT6_T7_P12ihipStream_tbENKUlT_T0_E_clISt17integral_constantIbLb0EESY_IbLb1EEEEDaSU_SV_EUlSU_E_NS1_11comp_targetILNS1_3genE4ELNS1_11target_archE910ELNS1_3gpuE8ELNS1_3repE0EEENS1_30default_config_static_selectorELNS0_4arch9wavefront6targetE1EEEvT1_,comdat
	.protected	_ZN7rocprim17ROCPRIM_400000_NS6detail17trampoline_kernelINS0_14default_configENS1_27scan_by_key_config_selectorIssEEZZNS1_16scan_by_key_implILNS1_25lookback_scan_determinismE0ELb1ES3_N6thrust23THRUST_200600_302600_NS6detail15normal_iteratorINS9_10device_ptrIsEEEESE_SE_sNS9_4plusIvEENS9_8equal_toIvEEsEE10hipError_tPvRmT2_T3_T4_T5_mT6_T7_P12ihipStream_tbENKUlT_T0_E_clISt17integral_constantIbLb0EESY_IbLb1EEEEDaSU_SV_EUlSU_E_NS1_11comp_targetILNS1_3genE4ELNS1_11target_archE910ELNS1_3gpuE8ELNS1_3repE0EEENS1_30default_config_static_selectorELNS0_4arch9wavefront6targetE1EEEvT1_ ; -- Begin function _ZN7rocprim17ROCPRIM_400000_NS6detail17trampoline_kernelINS0_14default_configENS1_27scan_by_key_config_selectorIssEEZZNS1_16scan_by_key_implILNS1_25lookback_scan_determinismE0ELb1ES3_N6thrust23THRUST_200600_302600_NS6detail15normal_iteratorINS9_10device_ptrIsEEEESE_SE_sNS9_4plusIvEENS9_8equal_toIvEEsEE10hipError_tPvRmT2_T3_T4_T5_mT6_T7_P12ihipStream_tbENKUlT_T0_E_clISt17integral_constantIbLb0EESY_IbLb1EEEEDaSU_SV_EUlSU_E_NS1_11comp_targetILNS1_3genE4ELNS1_11target_archE910ELNS1_3gpuE8ELNS1_3repE0EEENS1_30default_config_static_selectorELNS0_4arch9wavefront6targetE1EEEvT1_
	.globl	_ZN7rocprim17ROCPRIM_400000_NS6detail17trampoline_kernelINS0_14default_configENS1_27scan_by_key_config_selectorIssEEZZNS1_16scan_by_key_implILNS1_25lookback_scan_determinismE0ELb1ES3_N6thrust23THRUST_200600_302600_NS6detail15normal_iteratorINS9_10device_ptrIsEEEESE_SE_sNS9_4plusIvEENS9_8equal_toIvEEsEE10hipError_tPvRmT2_T3_T4_T5_mT6_T7_P12ihipStream_tbENKUlT_T0_E_clISt17integral_constantIbLb0EESY_IbLb1EEEEDaSU_SV_EUlSU_E_NS1_11comp_targetILNS1_3genE4ELNS1_11target_archE910ELNS1_3gpuE8ELNS1_3repE0EEENS1_30default_config_static_selectorELNS0_4arch9wavefront6targetE1EEEvT1_
	.p2align	8
	.type	_ZN7rocprim17ROCPRIM_400000_NS6detail17trampoline_kernelINS0_14default_configENS1_27scan_by_key_config_selectorIssEEZZNS1_16scan_by_key_implILNS1_25lookback_scan_determinismE0ELb1ES3_N6thrust23THRUST_200600_302600_NS6detail15normal_iteratorINS9_10device_ptrIsEEEESE_SE_sNS9_4plusIvEENS9_8equal_toIvEEsEE10hipError_tPvRmT2_T3_T4_T5_mT6_T7_P12ihipStream_tbENKUlT_T0_E_clISt17integral_constantIbLb0EESY_IbLb1EEEEDaSU_SV_EUlSU_E_NS1_11comp_targetILNS1_3genE4ELNS1_11target_archE910ELNS1_3gpuE8ELNS1_3repE0EEENS1_30default_config_static_selectorELNS0_4arch9wavefront6targetE1EEEvT1_,@function
_ZN7rocprim17ROCPRIM_400000_NS6detail17trampoline_kernelINS0_14default_configENS1_27scan_by_key_config_selectorIssEEZZNS1_16scan_by_key_implILNS1_25lookback_scan_determinismE0ELb1ES3_N6thrust23THRUST_200600_302600_NS6detail15normal_iteratorINS9_10device_ptrIsEEEESE_SE_sNS9_4plusIvEENS9_8equal_toIvEEsEE10hipError_tPvRmT2_T3_T4_T5_mT6_T7_P12ihipStream_tbENKUlT_T0_E_clISt17integral_constantIbLb0EESY_IbLb1EEEEDaSU_SV_EUlSU_E_NS1_11comp_targetILNS1_3genE4ELNS1_11target_archE910ELNS1_3gpuE8ELNS1_3repE0EEENS1_30default_config_static_selectorELNS0_4arch9wavefront6targetE1EEEvT1_: ; @_ZN7rocprim17ROCPRIM_400000_NS6detail17trampoline_kernelINS0_14default_configENS1_27scan_by_key_config_selectorIssEEZZNS1_16scan_by_key_implILNS1_25lookback_scan_determinismE0ELb1ES3_N6thrust23THRUST_200600_302600_NS6detail15normal_iteratorINS9_10device_ptrIsEEEESE_SE_sNS9_4plusIvEENS9_8equal_toIvEEsEE10hipError_tPvRmT2_T3_T4_T5_mT6_T7_P12ihipStream_tbENKUlT_T0_E_clISt17integral_constantIbLb0EESY_IbLb1EEEEDaSU_SV_EUlSU_E_NS1_11comp_targetILNS1_3genE4ELNS1_11target_archE910ELNS1_3gpuE8ELNS1_3repE0EEENS1_30default_config_static_selectorELNS0_4arch9wavefront6targetE1EEEvT1_
; %bb.0:
	.section	.rodata,"a",@progbits
	.p2align	6, 0x0
	.amdhsa_kernel _ZN7rocprim17ROCPRIM_400000_NS6detail17trampoline_kernelINS0_14default_configENS1_27scan_by_key_config_selectorIssEEZZNS1_16scan_by_key_implILNS1_25lookback_scan_determinismE0ELb1ES3_N6thrust23THRUST_200600_302600_NS6detail15normal_iteratorINS9_10device_ptrIsEEEESE_SE_sNS9_4plusIvEENS9_8equal_toIvEEsEE10hipError_tPvRmT2_T3_T4_T5_mT6_T7_P12ihipStream_tbENKUlT_T0_E_clISt17integral_constantIbLb0EESY_IbLb1EEEEDaSU_SV_EUlSU_E_NS1_11comp_targetILNS1_3genE4ELNS1_11target_archE910ELNS1_3gpuE8ELNS1_3repE0EEENS1_30default_config_static_selectorELNS0_4arch9wavefront6targetE1EEEvT1_
		.amdhsa_group_segment_fixed_size 0
		.amdhsa_private_segment_fixed_size 0
		.amdhsa_kernarg_size 112
		.amdhsa_user_sgpr_count 2
		.amdhsa_user_sgpr_dispatch_ptr 0
		.amdhsa_user_sgpr_queue_ptr 0
		.amdhsa_user_sgpr_kernarg_segment_ptr 1
		.amdhsa_user_sgpr_dispatch_id 0
		.amdhsa_user_sgpr_kernarg_preload_length 0
		.amdhsa_user_sgpr_kernarg_preload_offset 0
		.amdhsa_user_sgpr_private_segment_size 0
		.amdhsa_uses_dynamic_stack 0
		.amdhsa_enable_private_segment 0
		.amdhsa_system_sgpr_workgroup_id_x 1
		.amdhsa_system_sgpr_workgroup_id_y 0
		.amdhsa_system_sgpr_workgroup_id_z 0
		.amdhsa_system_sgpr_workgroup_info 0
		.amdhsa_system_vgpr_workitem_id 0
		.amdhsa_next_free_vgpr 1
		.amdhsa_next_free_sgpr 0
		.amdhsa_accum_offset 4
		.amdhsa_reserve_vcc 0
		.amdhsa_float_round_mode_32 0
		.amdhsa_float_round_mode_16_64 0
		.amdhsa_float_denorm_mode_32 3
		.amdhsa_float_denorm_mode_16_64 3
		.amdhsa_dx10_clamp 1
		.amdhsa_ieee_mode 1
		.amdhsa_fp16_overflow 0
		.amdhsa_tg_split 0
		.amdhsa_exception_fp_ieee_invalid_op 0
		.amdhsa_exception_fp_denorm_src 0
		.amdhsa_exception_fp_ieee_div_zero 0
		.amdhsa_exception_fp_ieee_overflow 0
		.amdhsa_exception_fp_ieee_underflow 0
		.amdhsa_exception_fp_ieee_inexact 0
		.amdhsa_exception_int_div_zero 0
	.end_amdhsa_kernel
	.section	.text._ZN7rocprim17ROCPRIM_400000_NS6detail17trampoline_kernelINS0_14default_configENS1_27scan_by_key_config_selectorIssEEZZNS1_16scan_by_key_implILNS1_25lookback_scan_determinismE0ELb1ES3_N6thrust23THRUST_200600_302600_NS6detail15normal_iteratorINS9_10device_ptrIsEEEESE_SE_sNS9_4plusIvEENS9_8equal_toIvEEsEE10hipError_tPvRmT2_T3_T4_T5_mT6_T7_P12ihipStream_tbENKUlT_T0_E_clISt17integral_constantIbLb0EESY_IbLb1EEEEDaSU_SV_EUlSU_E_NS1_11comp_targetILNS1_3genE4ELNS1_11target_archE910ELNS1_3gpuE8ELNS1_3repE0EEENS1_30default_config_static_selectorELNS0_4arch9wavefront6targetE1EEEvT1_,"axG",@progbits,_ZN7rocprim17ROCPRIM_400000_NS6detail17trampoline_kernelINS0_14default_configENS1_27scan_by_key_config_selectorIssEEZZNS1_16scan_by_key_implILNS1_25lookback_scan_determinismE0ELb1ES3_N6thrust23THRUST_200600_302600_NS6detail15normal_iteratorINS9_10device_ptrIsEEEESE_SE_sNS9_4plusIvEENS9_8equal_toIvEEsEE10hipError_tPvRmT2_T3_T4_T5_mT6_T7_P12ihipStream_tbENKUlT_T0_E_clISt17integral_constantIbLb0EESY_IbLb1EEEEDaSU_SV_EUlSU_E_NS1_11comp_targetILNS1_3genE4ELNS1_11target_archE910ELNS1_3gpuE8ELNS1_3repE0EEENS1_30default_config_static_selectorELNS0_4arch9wavefront6targetE1EEEvT1_,comdat
.Lfunc_end599:
	.size	_ZN7rocprim17ROCPRIM_400000_NS6detail17trampoline_kernelINS0_14default_configENS1_27scan_by_key_config_selectorIssEEZZNS1_16scan_by_key_implILNS1_25lookback_scan_determinismE0ELb1ES3_N6thrust23THRUST_200600_302600_NS6detail15normal_iteratorINS9_10device_ptrIsEEEESE_SE_sNS9_4plusIvEENS9_8equal_toIvEEsEE10hipError_tPvRmT2_T3_T4_T5_mT6_T7_P12ihipStream_tbENKUlT_T0_E_clISt17integral_constantIbLb0EESY_IbLb1EEEEDaSU_SV_EUlSU_E_NS1_11comp_targetILNS1_3genE4ELNS1_11target_archE910ELNS1_3gpuE8ELNS1_3repE0EEENS1_30default_config_static_selectorELNS0_4arch9wavefront6targetE1EEEvT1_, .Lfunc_end599-_ZN7rocprim17ROCPRIM_400000_NS6detail17trampoline_kernelINS0_14default_configENS1_27scan_by_key_config_selectorIssEEZZNS1_16scan_by_key_implILNS1_25lookback_scan_determinismE0ELb1ES3_N6thrust23THRUST_200600_302600_NS6detail15normal_iteratorINS9_10device_ptrIsEEEESE_SE_sNS9_4plusIvEENS9_8equal_toIvEEsEE10hipError_tPvRmT2_T3_T4_T5_mT6_T7_P12ihipStream_tbENKUlT_T0_E_clISt17integral_constantIbLb0EESY_IbLb1EEEEDaSU_SV_EUlSU_E_NS1_11comp_targetILNS1_3genE4ELNS1_11target_archE910ELNS1_3gpuE8ELNS1_3repE0EEENS1_30default_config_static_selectorELNS0_4arch9wavefront6targetE1EEEvT1_
                                        ; -- End function
	.section	.AMDGPU.csdata,"",@progbits
; Kernel info:
; codeLenInByte = 0
; NumSgprs: 6
; NumVgprs: 0
; NumAgprs: 0
; TotalNumVgprs: 0
; ScratchSize: 0
; MemoryBound: 0
; FloatMode: 240
; IeeeMode: 1
; LDSByteSize: 0 bytes/workgroup (compile time only)
; SGPRBlocks: 0
; VGPRBlocks: 0
; NumSGPRsForWavesPerEU: 6
; NumVGPRsForWavesPerEU: 1
; AccumOffset: 4
; Occupancy: 8
; WaveLimiterHint : 0
; COMPUTE_PGM_RSRC2:SCRATCH_EN: 0
; COMPUTE_PGM_RSRC2:USER_SGPR: 2
; COMPUTE_PGM_RSRC2:TRAP_HANDLER: 0
; COMPUTE_PGM_RSRC2:TGID_X_EN: 1
; COMPUTE_PGM_RSRC2:TGID_Y_EN: 0
; COMPUTE_PGM_RSRC2:TGID_Z_EN: 0
; COMPUTE_PGM_RSRC2:TIDIG_COMP_CNT: 0
; COMPUTE_PGM_RSRC3_GFX90A:ACCUM_OFFSET: 0
; COMPUTE_PGM_RSRC3_GFX90A:TG_SPLIT: 0
	.section	.text._ZN7rocprim17ROCPRIM_400000_NS6detail17trampoline_kernelINS0_14default_configENS1_27scan_by_key_config_selectorIssEEZZNS1_16scan_by_key_implILNS1_25lookback_scan_determinismE0ELb1ES3_N6thrust23THRUST_200600_302600_NS6detail15normal_iteratorINS9_10device_ptrIsEEEESE_SE_sNS9_4plusIvEENS9_8equal_toIvEEsEE10hipError_tPvRmT2_T3_T4_T5_mT6_T7_P12ihipStream_tbENKUlT_T0_E_clISt17integral_constantIbLb0EESY_IbLb1EEEEDaSU_SV_EUlSU_E_NS1_11comp_targetILNS1_3genE3ELNS1_11target_archE908ELNS1_3gpuE7ELNS1_3repE0EEENS1_30default_config_static_selectorELNS0_4arch9wavefront6targetE1EEEvT1_,"axG",@progbits,_ZN7rocprim17ROCPRIM_400000_NS6detail17trampoline_kernelINS0_14default_configENS1_27scan_by_key_config_selectorIssEEZZNS1_16scan_by_key_implILNS1_25lookback_scan_determinismE0ELb1ES3_N6thrust23THRUST_200600_302600_NS6detail15normal_iteratorINS9_10device_ptrIsEEEESE_SE_sNS9_4plusIvEENS9_8equal_toIvEEsEE10hipError_tPvRmT2_T3_T4_T5_mT6_T7_P12ihipStream_tbENKUlT_T0_E_clISt17integral_constantIbLb0EESY_IbLb1EEEEDaSU_SV_EUlSU_E_NS1_11comp_targetILNS1_3genE3ELNS1_11target_archE908ELNS1_3gpuE7ELNS1_3repE0EEENS1_30default_config_static_selectorELNS0_4arch9wavefront6targetE1EEEvT1_,comdat
	.protected	_ZN7rocprim17ROCPRIM_400000_NS6detail17trampoline_kernelINS0_14default_configENS1_27scan_by_key_config_selectorIssEEZZNS1_16scan_by_key_implILNS1_25lookback_scan_determinismE0ELb1ES3_N6thrust23THRUST_200600_302600_NS6detail15normal_iteratorINS9_10device_ptrIsEEEESE_SE_sNS9_4plusIvEENS9_8equal_toIvEEsEE10hipError_tPvRmT2_T3_T4_T5_mT6_T7_P12ihipStream_tbENKUlT_T0_E_clISt17integral_constantIbLb0EESY_IbLb1EEEEDaSU_SV_EUlSU_E_NS1_11comp_targetILNS1_3genE3ELNS1_11target_archE908ELNS1_3gpuE7ELNS1_3repE0EEENS1_30default_config_static_selectorELNS0_4arch9wavefront6targetE1EEEvT1_ ; -- Begin function _ZN7rocprim17ROCPRIM_400000_NS6detail17trampoline_kernelINS0_14default_configENS1_27scan_by_key_config_selectorIssEEZZNS1_16scan_by_key_implILNS1_25lookback_scan_determinismE0ELb1ES3_N6thrust23THRUST_200600_302600_NS6detail15normal_iteratorINS9_10device_ptrIsEEEESE_SE_sNS9_4plusIvEENS9_8equal_toIvEEsEE10hipError_tPvRmT2_T3_T4_T5_mT6_T7_P12ihipStream_tbENKUlT_T0_E_clISt17integral_constantIbLb0EESY_IbLb1EEEEDaSU_SV_EUlSU_E_NS1_11comp_targetILNS1_3genE3ELNS1_11target_archE908ELNS1_3gpuE7ELNS1_3repE0EEENS1_30default_config_static_selectorELNS0_4arch9wavefront6targetE1EEEvT1_
	.globl	_ZN7rocprim17ROCPRIM_400000_NS6detail17trampoline_kernelINS0_14default_configENS1_27scan_by_key_config_selectorIssEEZZNS1_16scan_by_key_implILNS1_25lookback_scan_determinismE0ELb1ES3_N6thrust23THRUST_200600_302600_NS6detail15normal_iteratorINS9_10device_ptrIsEEEESE_SE_sNS9_4plusIvEENS9_8equal_toIvEEsEE10hipError_tPvRmT2_T3_T4_T5_mT6_T7_P12ihipStream_tbENKUlT_T0_E_clISt17integral_constantIbLb0EESY_IbLb1EEEEDaSU_SV_EUlSU_E_NS1_11comp_targetILNS1_3genE3ELNS1_11target_archE908ELNS1_3gpuE7ELNS1_3repE0EEENS1_30default_config_static_selectorELNS0_4arch9wavefront6targetE1EEEvT1_
	.p2align	8
	.type	_ZN7rocprim17ROCPRIM_400000_NS6detail17trampoline_kernelINS0_14default_configENS1_27scan_by_key_config_selectorIssEEZZNS1_16scan_by_key_implILNS1_25lookback_scan_determinismE0ELb1ES3_N6thrust23THRUST_200600_302600_NS6detail15normal_iteratorINS9_10device_ptrIsEEEESE_SE_sNS9_4plusIvEENS9_8equal_toIvEEsEE10hipError_tPvRmT2_T3_T4_T5_mT6_T7_P12ihipStream_tbENKUlT_T0_E_clISt17integral_constantIbLb0EESY_IbLb1EEEEDaSU_SV_EUlSU_E_NS1_11comp_targetILNS1_3genE3ELNS1_11target_archE908ELNS1_3gpuE7ELNS1_3repE0EEENS1_30default_config_static_selectorELNS0_4arch9wavefront6targetE1EEEvT1_,@function
_ZN7rocprim17ROCPRIM_400000_NS6detail17trampoline_kernelINS0_14default_configENS1_27scan_by_key_config_selectorIssEEZZNS1_16scan_by_key_implILNS1_25lookback_scan_determinismE0ELb1ES3_N6thrust23THRUST_200600_302600_NS6detail15normal_iteratorINS9_10device_ptrIsEEEESE_SE_sNS9_4plusIvEENS9_8equal_toIvEEsEE10hipError_tPvRmT2_T3_T4_T5_mT6_T7_P12ihipStream_tbENKUlT_T0_E_clISt17integral_constantIbLb0EESY_IbLb1EEEEDaSU_SV_EUlSU_E_NS1_11comp_targetILNS1_3genE3ELNS1_11target_archE908ELNS1_3gpuE7ELNS1_3repE0EEENS1_30default_config_static_selectorELNS0_4arch9wavefront6targetE1EEEvT1_: ; @_ZN7rocprim17ROCPRIM_400000_NS6detail17trampoline_kernelINS0_14default_configENS1_27scan_by_key_config_selectorIssEEZZNS1_16scan_by_key_implILNS1_25lookback_scan_determinismE0ELb1ES3_N6thrust23THRUST_200600_302600_NS6detail15normal_iteratorINS9_10device_ptrIsEEEESE_SE_sNS9_4plusIvEENS9_8equal_toIvEEsEE10hipError_tPvRmT2_T3_T4_T5_mT6_T7_P12ihipStream_tbENKUlT_T0_E_clISt17integral_constantIbLb0EESY_IbLb1EEEEDaSU_SV_EUlSU_E_NS1_11comp_targetILNS1_3genE3ELNS1_11target_archE908ELNS1_3gpuE7ELNS1_3repE0EEENS1_30default_config_static_selectorELNS0_4arch9wavefront6targetE1EEEvT1_
; %bb.0:
	.section	.rodata,"a",@progbits
	.p2align	6, 0x0
	.amdhsa_kernel _ZN7rocprim17ROCPRIM_400000_NS6detail17trampoline_kernelINS0_14default_configENS1_27scan_by_key_config_selectorIssEEZZNS1_16scan_by_key_implILNS1_25lookback_scan_determinismE0ELb1ES3_N6thrust23THRUST_200600_302600_NS6detail15normal_iteratorINS9_10device_ptrIsEEEESE_SE_sNS9_4plusIvEENS9_8equal_toIvEEsEE10hipError_tPvRmT2_T3_T4_T5_mT6_T7_P12ihipStream_tbENKUlT_T0_E_clISt17integral_constantIbLb0EESY_IbLb1EEEEDaSU_SV_EUlSU_E_NS1_11comp_targetILNS1_3genE3ELNS1_11target_archE908ELNS1_3gpuE7ELNS1_3repE0EEENS1_30default_config_static_selectorELNS0_4arch9wavefront6targetE1EEEvT1_
		.amdhsa_group_segment_fixed_size 0
		.amdhsa_private_segment_fixed_size 0
		.amdhsa_kernarg_size 112
		.amdhsa_user_sgpr_count 2
		.amdhsa_user_sgpr_dispatch_ptr 0
		.amdhsa_user_sgpr_queue_ptr 0
		.amdhsa_user_sgpr_kernarg_segment_ptr 1
		.amdhsa_user_sgpr_dispatch_id 0
		.amdhsa_user_sgpr_kernarg_preload_length 0
		.amdhsa_user_sgpr_kernarg_preload_offset 0
		.amdhsa_user_sgpr_private_segment_size 0
		.amdhsa_uses_dynamic_stack 0
		.amdhsa_enable_private_segment 0
		.amdhsa_system_sgpr_workgroup_id_x 1
		.amdhsa_system_sgpr_workgroup_id_y 0
		.amdhsa_system_sgpr_workgroup_id_z 0
		.amdhsa_system_sgpr_workgroup_info 0
		.amdhsa_system_vgpr_workitem_id 0
		.amdhsa_next_free_vgpr 1
		.amdhsa_next_free_sgpr 0
		.amdhsa_accum_offset 4
		.amdhsa_reserve_vcc 0
		.amdhsa_float_round_mode_32 0
		.amdhsa_float_round_mode_16_64 0
		.amdhsa_float_denorm_mode_32 3
		.amdhsa_float_denorm_mode_16_64 3
		.amdhsa_dx10_clamp 1
		.amdhsa_ieee_mode 1
		.amdhsa_fp16_overflow 0
		.amdhsa_tg_split 0
		.amdhsa_exception_fp_ieee_invalid_op 0
		.amdhsa_exception_fp_denorm_src 0
		.amdhsa_exception_fp_ieee_div_zero 0
		.amdhsa_exception_fp_ieee_overflow 0
		.amdhsa_exception_fp_ieee_underflow 0
		.amdhsa_exception_fp_ieee_inexact 0
		.amdhsa_exception_int_div_zero 0
	.end_amdhsa_kernel
	.section	.text._ZN7rocprim17ROCPRIM_400000_NS6detail17trampoline_kernelINS0_14default_configENS1_27scan_by_key_config_selectorIssEEZZNS1_16scan_by_key_implILNS1_25lookback_scan_determinismE0ELb1ES3_N6thrust23THRUST_200600_302600_NS6detail15normal_iteratorINS9_10device_ptrIsEEEESE_SE_sNS9_4plusIvEENS9_8equal_toIvEEsEE10hipError_tPvRmT2_T3_T4_T5_mT6_T7_P12ihipStream_tbENKUlT_T0_E_clISt17integral_constantIbLb0EESY_IbLb1EEEEDaSU_SV_EUlSU_E_NS1_11comp_targetILNS1_3genE3ELNS1_11target_archE908ELNS1_3gpuE7ELNS1_3repE0EEENS1_30default_config_static_selectorELNS0_4arch9wavefront6targetE1EEEvT1_,"axG",@progbits,_ZN7rocprim17ROCPRIM_400000_NS6detail17trampoline_kernelINS0_14default_configENS1_27scan_by_key_config_selectorIssEEZZNS1_16scan_by_key_implILNS1_25lookback_scan_determinismE0ELb1ES3_N6thrust23THRUST_200600_302600_NS6detail15normal_iteratorINS9_10device_ptrIsEEEESE_SE_sNS9_4plusIvEENS9_8equal_toIvEEsEE10hipError_tPvRmT2_T3_T4_T5_mT6_T7_P12ihipStream_tbENKUlT_T0_E_clISt17integral_constantIbLb0EESY_IbLb1EEEEDaSU_SV_EUlSU_E_NS1_11comp_targetILNS1_3genE3ELNS1_11target_archE908ELNS1_3gpuE7ELNS1_3repE0EEENS1_30default_config_static_selectorELNS0_4arch9wavefront6targetE1EEEvT1_,comdat
.Lfunc_end600:
	.size	_ZN7rocprim17ROCPRIM_400000_NS6detail17trampoline_kernelINS0_14default_configENS1_27scan_by_key_config_selectorIssEEZZNS1_16scan_by_key_implILNS1_25lookback_scan_determinismE0ELb1ES3_N6thrust23THRUST_200600_302600_NS6detail15normal_iteratorINS9_10device_ptrIsEEEESE_SE_sNS9_4plusIvEENS9_8equal_toIvEEsEE10hipError_tPvRmT2_T3_T4_T5_mT6_T7_P12ihipStream_tbENKUlT_T0_E_clISt17integral_constantIbLb0EESY_IbLb1EEEEDaSU_SV_EUlSU_E_NS1_11comp_targetILNS1_3genE3ELNS1_11target_archE908ELNS1_3gpuE7ELNS1_3repE0EEENS1_30default_config_static_selectorELNS0_4arch9wavefront6targetE1EEEvT1_, .Lfunc_end600-_ZN7rocprim17ROCPRIM_400000_NS6detail17trampoline_kernelINS0_14default_configENS1_27scan_by_key_config_selectorIssEEZZNS1_16scan_by_key_implILNS1_25lookback_scan_determinismE0ELb1ES3_N6thrust23THRUST_200600_302600_NS6detail15normal_iteratorINS9_10device_ptrIsEEEESE_SE_sNS9_4plusIvEENS9_8equal_toIvEEsEE10hipError_tPvRmT2_T3_T4_T5_mT6_T7_P12ihipStream_tbENKUlT_T0_E_clISt17integral_constantIbLb0EESY_IbLb1EEEEDaSU_SV_EUlSU_E_NS1_11comp_targetILNS1_3genE3ELNS1_11target_archE908ELNS1_3gpuE7ELNS1_3repE0EEENS1_30default_config_static_selectorELNS0_4arch9wavefront6targetE1EEEvT1_
                                        ; -- End function
	.section	.AMDGPU.csdata,"",@progbits
; Kernel info:
; codeLenInByte = 0
; NumSgprs: 6
; NumVgprs: 0
; NumAgprs: 0
; TotalNumVgprs: 0
; ScratchSize: 0
; MemoryBound: 0
; FloatMode: 240
; IeeeMode: 1
; LDSByteSize: 0 bytes/workgroup (compile time only)
; SGPRBlocks: 0
; VGPRBlocks: 0
; NumSGPRsForWavesPerEU: 6
; NumVGPRsForWavesPerEU: 1
; AccumOffset: 4
; Occupancy: 8
; WaveLimiterHint : 0
; COMPUTE_PGM_RSRC2:SCRATCH_EN: 0
; COMPUTE_PGM_RSRC2:USER_SGPR: 2
; COMPUTE_PGM_RSRC2:TRAP_HANDLER: 0
; COMPUTE_PGM_RSRC2:TGID_X_EN: 1
; COMPUTE_PGM_RSRC2:TGID_Y_EN: 0
; COMPUTE_PGM_RSRC2:TGID_Z_EN: 0
; COMPUTE_PGM_RSRC2:TIDIG_COMP_CNT: 0
; COMPUTE_PGM_RSRC3_GFX90A:ACCUM_OFFSET: 0
; COMPUTE_PGM_RSRC3_GFX90A:TG_SPLIT: 0
	.section	.text._ZN7rocprim17ROCPRIM_400000_NS6detail17trampoline_kernelINS0_14default_configENS1_27scan_by_key_config_selectorIssEEZZNS1_16scan_by_key_implILNS1_25lookback_scan_determinismE0ELb1ES3_N6thrust23THRUST_200600_302600_NS6detail15normal_iteratorINS9_10device_ptrIsEEEESE_SE_sNS9_4plusIvEENS9_8equal_toIvEEsEE10hipError_tPvRmT2_T3_T4_T5_mT6_T7_P12ihipStream_tbENKUlT_T0_E_clISt17integral_constantIbLb0EESY_IbLb1EEEEDaSU_SV_EUlSU_E_NS1_11comp_targetILNS1_3genE2ELNS1_11target_archE906ELNS1_3gpuE6ELNS1_3repE0EEENS1_30default_config_static_selectorELNS0_4arch9wavefront6targetE1EEEvT1_,"axG",@progbits,_ZN7rocprim17ROCPRIM_400000_NS6detail17trampoline_kernelINS0_14default_configENS1_27scan_by_key_config_selectorIssEEZZNS1_16scan_by_key_implILNS1_25lookback_scan_determinismE0ELb1ES3_N6thrust23THRUST_200600_302600_NS6detail15normal_iteratorINS9_10device_ptrIsEEEESE_SE_sNS9_4plusIvEENS9_8equal_toIvEEsEE10hipError_tPvRmT2_T3_T4_T5_mT6_T7_P12ihipStream_tbENKUlT_T0_E_clISt17integral_constantIbLb0EESY_IbLb1EEEEDaSU_SV_EUlSU_E_NS1_11comp_targetILNS1_3genE2ELNS1_11target_archE906ELNS1_3gpuE6ELNS1_3repE0EEENS1_30default_config_static_selectorELNS0_4arch9wavefront6targetE1EEEvT1_,comdat
	.protected	_ZN7rocprim17ROCPRIM_400000_NS6detail17trampoline_kernelINS0_14default_configENS1_27scan_by_key_config_selectorIssEEZZNS1_16scan_by_key_implILNS1_25lookback_scan_determinismE0ELb1ES3_N6thrust23THRUST_200600_302600_NS6detail15normal_iteratorINS9_10device_ptrIsEEEESE_SE_sNS9_4plusIvEENS9_8equal_toIvEEsEE10hipError_tPvRmT2_T3_T4_T5_mT6_T7_P12ihipStream_tbENKUlT_T0_E_clISt17integral_constantIbLb0EESY_IbLb1EEEEDaSU_SV_EUlSU_E_NS1_11comp_targetILNS1_3genE2ELNS1_11target_archE906ELNS1_3gpuE6ELNS1_3repE0EEENS1_30default_config_static_selectorELNS0_4arch9wavefront6targetE1EEEvT1_ ; -- Begin function _ZN7rocprim17ROCPRIM_400000_NS6detail17trampoline_kernelINS0_14default_configENS1_27scan_by_key_config_selectorIssEEZZNS1_16scan_by_key_implILNS1_25lookback_scan_determinismE0ELb1ES3_N6thrust23THRUST_200600_302600_NS6detail15normal_iteratorINS9_10device_ptrIsEEEESE_SE_sNS9_4plusIvEENS9_8equal_toIvEEsEE10hipError_tPvRmT2_T3_T4_T5_mT6_T7_P12ihipStream_tbENKUlT_T0_E_clISt17integral_constantIbLb0EESY_IbLb1EEEEDaSU_SV_EUlSU_E_NS1_11comp_targetILNS1_3genE2ELNS1_11target_archE906ELNS1_3gpuE6ELNS1_3repE0EEENS1_30default_config_static_selectorELNS0_4arch9wavefront6targetE1EEEvT1_
	.globl	_ZN7rocprim17ROCPRIM_400000_NS6detail17trampoline_kernelINS0_14default_configENS1_27scan_by_key_config_selectorIssEEZZNS1_16scan_by_key_implILNS1_25lookback_scan_determinismE0ELb1ES3_N6thrust23THRUST_200600_302600_NS6detail15normal_iteratorINS9_10device_ptrIsEEEESE_SE_sNS9_4plusIvEENS9_8equal_toIvEEsEE10hipError_tPvRmT2_T3_T4_T5_mT6_T7_P12ihipStream_tbENKUlT_T0_E_clISt17integral_constantIbLb0EESY_IbLb1EEEEDaSU_SV_EUlSU_E_NS1_11comp_targetILNS1_3genE2ELNS1_11target_archE906ELNS1_3gpuE6ELNS1_3repE0EEENS1_30default_config_static_selectorELNS0_4arch9wavefront6targetE1EEEvT1_
	.p2align	8
	.type	_ZN7rocprim17ROCPRIM_400000_NS6detail17trampoline_kernelINS0_14default_configENS1_27scan_by_key_config_selectorIssEEZZNS1_16scan_by_key_implILNS1_25lookback_scan_determinismE0ELb1ES3_N6thrust23THRUST_200600_302600_NS6detail15normal_iteratorINS9_10device_ptrIsEEEESE_SE_sNS9_4plusIvEENS9_8equal_toIvEEsEE10hipError_tPvRmT2_T3_T4_T5_mT6_T7_P12ihipStream_tbENKUlT_T0_E_clISt17integral_constantIbLb0EESY_IbLb1EEEEDaSU_SV_EUlSU_E_NS1_11comp_targetILNS1_3genE2ELNS1_11target_archE906ELNS1_3gpuE6ELNS1_3repE0EEENS1_30default_config_static_selectorELNS0_4arch9wavefront6targetE1EEEvT1_,@function
_ZN7rocprim17ROCPRIM_400000_NS6detail17trampoline_kernelINS0_14default_configENS1_27scan_by_key_config_selectorIssEEZZNS1_16scan_by_key_implILNS1_25lookback_scan_determinismE0ELb1ES3_N6thrust23THRUST_200600_302600_NS6detail15normal_iteratorINS9_10device_ptrIsEEEESE_SE_sNS9_4plusIvEENS9_8equal_toIvEEsEE10hipError_tPvRmT2_T3_T4_T5_mT6_T7_P12ihipStream_tbENKUlT_T0_E_clISt17integral_constantIbLb0EESY_IbLb1EEEEDaSU_SV_EUlSU_E_NS1_11comp_targetILNS1_3genE2ELNS1_11target_archE906ELNS1_3gpuE6ELNS1_3repE0EEENS1_30default_config_static_selectorELNS0_4arch9wavefront6targetE1EEEvT1_: ; @_ZN7rocprim17ROCPRIM_400000_NS6detail17trampoline_kernelINS0_14default_configENS1_27scan_by_key_config_selectorIssEEZZNS1_16scan_by_key_implILNS1_25lookback_scan_determinismE0ELb1ES3_N6thrust23THRUST_200600_302600_NS6detail15normal_iteratorINS9_10device_ptrIsEEEESE_SE_sNS9_4plusIvEENS9_8equal_toIvEEsEE10hipError_tPvRmT2_T3_T4_T5_mT6_T7_P12ihipStream_tbENKUlT_T0_E_clISt17integral_constantIbLb0EESY_IbLb1EEEEDaSU_SV_EUlSU_E_NS1_11comp_targetILNS1_3genE2ELNS1_11target_archE906ELNS1_3gpuE6ELNS1_3repE0EEENS1_30default_config_static_selectorELNS0_4arch9wavefront6targetE1EEEvT1_
; %bb.0:
	.section	.rodata,"a",@progbits
	.p2align	6, 0x0
	.amdhsa_kernel _ZN7rocprim17ROCPRIM_400000_NS6detail17trampoline_kernelINS0_14default_configENS1_27scan_by_key_config_selectorIssEEZZNS1_16scan_by_key_implILNS1_25lookback_scan_determinismE0ELb1ES3_N6thrust23THRUST_200600_302600_NS6detail15normal_iteratorINS9_10device_ptrIsEEEESE_SE_sNS9_4plusIvEENS9_8equal_toIvEEsEE10hipError_tPvRmT2_T3_T4_T5_mT6_T7_P12ihipStream_tbENKUlT_T0_E_clISt17integral_constantIbLb0EESY_IbLb1EEEEDaSU_SV_EUlSU_E_NS1_11comp_targetILNS1_3genE2ELNS1_11target_archE906ELNS1_3gpuE6ELNS1_3repE0EEENS1_30default_config_static_selectorELNS0_4arch9wavefront6targetE1EEEvT1_
		.amdhsa_group_segment_fixed_size 0
		.amdhsa_private_segment_fixed_size 0
		.amdhsa_kernarg_size 112
		.amdhsa_user_sgpr_count 2
		.amdhsa_user_sgpr_dispatch_ptr 0
		.amdhsa_user_sgpr_queue_ptr 0
		.amdhsa_user_sgpr_kernarg_segment_ptr 1
		.amdhsa_user_sgpr_dispatch_id 0
		.amdhsa_user_sgpr_kernarg_preload_length 0
		.amdhsa_user_sgpr_kernarg_preload_offset 0
		.amdhsa_user_sgpr_private_segment_size 0
		.amdhsa_uses_dynamic_stack 0
		.amdhsa_enable_private_segment 0
		.amdhsa_system_sgpr_workgroup_id_x 1
		.amdhsa_system_sgpr_workgroup_id_y 0
		.amdhsa_system_sgpr_workgroup_id_z 0
		.amdhsa_system_sgpr_workgroup_info 0
		.amdhsa_system_vgpr_workitem_id 0
		.amdhsa_next_free_vgpr 1
		.amdhsa_next_free_sgpr 0
		.amdhsa_accum_offset 4
		.amdhsa_reserve_vcc 0
		.amdhsa_float_round_mode_32 0
		.amdhsa_float_round_mode_16_64 0
		.amdhsa_float_denorm_mode_32 3
		.amdhsa_float_denorm_mode_16_64 3
		.amdhsa_dx10_clamp 1
		.amdhsa_ieee_mode 1
		.amdhsa_fp16_overflow 0
		.amdhsa_tg_split 0
		.amdhsa_exception_fp_ieee_invalid_op 0
		.amdhsa_exception_fp_denorm_src 0
		.amdhsa_exception_fp_ieee_div_zero 0
		.amdhsa_exception_fp_ieee_overflow 0
		.amdhsa_exception_fp_ieee_underflow 0
		.amdhsa_exception_fp_ieee_inexact 0
		.amdhsa_exception_int_div_zero 0
	.end_amdhsa_kernel
	.section	.text._ZN7rocprim17ROCPRIM_400000_NS6detail17trampoline_kernelINS0_14default_configENS1_27scan_by_key_config_selectorIssEEZZNS1_16scan_by_key_implILNS1_25lookback_scan_determinismE0ELb1ES3_N6thrust23THRUST_200600_302600_NS6detail15normal_iteratorINS9_10device_ptrIsEEEESE_SE_sNS9_4plusIvEENS9_8equal_toIvEEsEE10hipError_tPvRmT2_T3_T4_T5_mT6_T7_P12ihipStream_tbENKUlT_T0_E_clISt17integral_constantIbLb0EESY_IbLb1EEEEDaSU_SV_EUlSU_E_NS1_11comp_targetILNS1_3genE2ELNS1_11target_archE906ELNS1_3gpuE6ELNS1_3repE0EEENS1_30default_config_static_selectorELNS0_4arch9wavefront6targetE1EEEvT1_,"axG",@progbits,_ZN7rocprim17ROCPRIM_400000_NS6detail17trampoline_kernelINS0_14default_configENS1_27scan_by_key_config_selectorIssEEZZNS1_16scan_by_key_implILNS1_25lookback_scan_determinismE0ELb1ES3_N6thrust23THRUST_200600_302600_NS6detail15normal_iteratorINS9_10device_ptrIsEEEESE_SE_sNS9_4plusIvEENS9_8equal_toIvEEsEE10hipError_tPvRmT2_T3_T4_T5_mT6_T7_P12ihipStream_tbENKUlT_T0_E_clISt17integral_constantIbLb0EESY_IbLb1EEEEDaSU_SV_EUlSU_E_NS1_11comp_targetILNS1_3genE2ELNS1_11target_archE906ELNS1_3gpuE6ELNS1_3repE0EEENS1_30default_config_static_selectorELNS0_4arch9wavefront6targetE1EEEvT1_,comdat
.Lfunc_end601:
	.size	_ZN7rocprim17ROCPRIM_400000_NS6detail17trampoline_kernelINS0_14default_configENS1_27scan_by_key_config_selectorIssEEZZNS1_16scan_by_key_implILNS1_25lookback_scan_determinismE0ELb1ES3_N6thrust23THRUST_200600_302600_NS6detail15normal_iteratorINS9_10device_ptrIsEEEESE_SE_sNS9_4plusIvEENS9_8equal_toIvEEsEE10hipError_tPvRmT2_T3_T4_T5_mT6_T7_P12ihipStream_tbENKUlT_T0_E_clISt17integral_constantIbLb0EESY_IbLb1EEEEDaSU_SV_EUlSU_E_NS1_11comp_targetILNS1_3genE2ELNS1_11target_archE906ELNS1_3gpuE6ELNS1_3repE0EEENS1_30default_config_static_selectorELNS0_4arch9wavefront6targetE1EEEvT1_, .Lfunc_end601-_ZN7rocprim17ROCPRIM_400000_NS6detail17trampoline_kernelINS0_14default_configENS1_27scan_by_key_config_selectorIssEEZZNS1_16scan_by_key_implILNS1_25lookback_scan_determinismE0ELb1ES3_N6thrust23THRUST_200600_302600_NS6detail15normal_iteratorINS9_10device_ptrIsEEEESE_SE_sNS9_4plusIvEENS9_8equal_toIvEEsEE10hipError_tPvRmT2_T3_T4_T5_mT6_T7_P12ihipStream_tbENKUlT_T0_E_clISt17integral_constantIbLb0EESY_IbLb1EEEEDaSU_SV_EUlSU_E_NS1_11comp_targetILNS1_3genE2ELNS1_11target_archE906ELNS1_3gpuE6ELNS1_3repE0EEENS1_30default_config_static_selectorELNS0_4arch9wavefront6targetE1EEEvT1_
                                        ; -- End function
	.section	.AMDGPU.csdata,"",@progbits
; Kernel info:
; codeLenInByte = 0
; NumSgprs: 6
; NumVgprs: 0
; NumAgprs: 0
; TotalNumVgprs: 0
; ScratchSize: 0
; MemoryBound: 0
; FloatMode: 240
; IeeeMode: 1
; LDSByteSize: 0 bytes/workgroup (compile time only)
; SGPRBlocks: 0
; VGPRBlocks: 0
; NumSGPRsForWavesPerEU: 6
; NumVGPRsForWavesPerEU: 1
; AccumOffset: 4
; Occupancy: 8
; WaveLimiterHint : 0
; COMPUTE_PGM_RSRC2:SCRATCH_EN: 0
; COMPUTE_PGM_RSRC2:USER_SGPR: 2
; COMPUTE_PGM_RSRC2:TRAP_HANDLER: 0
; COMPUTE_PGM_RSRC2:TGID_X_EN: 1
; COMPUTE_PGM_RSRC2:TGID_Y_EN: 0
; COMPUTE_PGM_RSRC2:TGID_Z_EN: 0
; COMPUTE_PGM_RSRC2:TIDIG_COMP_CNT: 0
; COMPUTE_PGM_RSRC3_GFX90A:ACCUM_OFFSET: 0
; COMPUTE_PGM_RSRC3_GFX90A:TG_SPLIT: 0
	.section	.text._ZN7rocprim17ROCPRIM_400000_NS6detail17trampoline_kernelINS0_14default_configENS1_27scan_by_key_config_selectorIssEEZZNS1_16scan_by_key_implILNS1_25lookback_scan_determinismE0ELb1ES3_N6thrust23THRUST_200600_302600_NS6detail15normal_iteratorINS9_10device_ptrIsEEEESE_SE_sNS9_4plusIvEENS9_8equal_toIvEEsEE10hipError_tPvRmT2_T3_T4_T5_mT6_T7_P12ihipStream_tbENKUlT_T0_E_clISt17integral_constantIbLb0EESY_IbLb1EEEEDaSU_SV_EUlSU_E_NS1_11comp_targetILNS1_3genE10ELNS1_11target_archE1200ELNS1_3gpuE4ELNS1_3repE0EEENS1_30default_config_static_selectorELNS0_4arch9wavefront6targetE1EEEvT1_,"axG",@progbits,_ZN7rocprim17ROCPRIM_400000_NS6detail17trampoline_kernelINS0_14default_configENS1_27scan_by_key_config_selectorIssEEZZNS1_16scan_by_key_implILNS1_25lookback_scan_determinismE0ELb1ES3_N6thrust23THRUST_200600_302600_NS6detail15normal_iteratorINS9_10device_ptrIsEEEESE_SE_sNS9_4plusIvEENS9_8equal_toIvEEsEE10hipError_tPvRmT2_T3_T4_T5_mT6_T7_P12ihipStream_tbENKUlT_T0_E_clISt17integral_constantIbLb0EESY_IbLb1EEEEDaSU_SV_EUlSU_E_NS1_11comp_targetILNS1_3genE10ELNS1_11target_archE1200ELNS1_3gpuE4ELNS1_3repE0EEENS1_30default_config_static_selectorELNS0_4arch9wavefront6targetE1EEEvT1_,comdat
	.protected	_ZN7rocprim17ROCPRIM_400000_NS6detail17trampoline_kernelINS0_14default_configENS1_27scan_by_key_config_selectorIssEEZZNS1_16scan_by_key_implILNS1_25lookback_scan_determinismE0ELb1ES3_N6thrust23THRUST_200600_302600_NS6detail15normal_iteratorINS9_10device_ptrIsEEEESE_SE_sNS9_4plusIvEENS9_8equal_toIvEEsEE10hipError_tPvRmT2_T3_T4_T5_mT6_T7_P12ihipStream_tbENKUlT_T0_E_clISt17integral_constantIbLb0EESY_IbLb1EEEEDaSU_SV_EUlSU_E_NS1_11comp_targetILNS1_3genE10ELNS1_11target_archE1200ELNS1_3gpuE4ELNS1_3repE0EEENS1_30default_config_static_selectorELNS0_4arch9wavefront6targetE1EEEvT1_ ; -- Begin function _ZN7rocprim17ROCPRIM_400000_NS6detail17trampoline_kernelINS0_14default_configENS1_27scan_by_key_config_selectorIssEEZZNS1_16scan_by_key_implILNS1_25lookback_scan_determinismE0ELb1ES3_N6thrust23THRUST_200600_302600_NS6detail15normal_iteratorINS9_10device_ptrIsEEEESE_SE_sNS9_4plusIvEENS9_8equal_toIvEEsEE10hipError_tPvRmT2_T3_T4_T5_mT6_T7_P12ihipStream_tbENKUlT_T0_E_clISt17integral_constantIbLb0EESY_IbLb1EEEEDaSU_SV_EUlSU_E_NS1_11comp_targetILNS1_3genE10ELNS1_11target_archE1200ELNS1_3gpuE4ELNS1_3repE0EEENS1_30default_config_static_selectorELNS0_4arch9wavefront6targetE1EEEvT1_
	.globl	_ZN7rocprim17ROCPRIM_400000_NS6detail17trampoline_kernelINS0_14default_configENS1_27scan_by_key_config_selectorIssEEZZNS1_16scan_by_key_implILNS1_25lookback_scan_determinismE0ELb1ES3_N6thrust23THRUST_200600_302600_NS6detail15normal_iteratorINS9_10device_ptrIsEEEESE_SE_sNS9_4plusIvEENS9_8equal_toIvEEsEE10hipError_tPvRmT2_T3_T4_T5_mT6_T7_P12ihipStream_tbENKUlT_T0_E_clISt17integral_constantIbLb0EESY_IbLb1EEEEDaSU_SV_EUlSU_E_NS1_11comp_targetILNS1_3genE10ELNS1_11target_archE1200ELNS1_3gpuE4ELNS1_3repE0EEENS1_30default_config_static_selectorELNS0_4arch9wavefront6targetE1EEEvT1_
	.p2align	8
	.type	_ZN7rocprim17ROCPRIM_400000_NS6detail17trampoline_kernelINS0_14default_configENS1_27scan_by_key_config_selectorIssEEZZNS1_16scan_by_key_implILNS1_25lookback_scan_determinismE0ELb1ES3_N6thrust23THRUST_200600_302600_NS6detail15normal_iteratorINS9_10device_ptrIsEEEESE_SE_sNS9_4plusIvEENS9_8equal_toIvEEsEE10hipError_tPvRmT2_T3_T4_T5_mT6_T7_P12ihipStream_tbENKUlT_T0_E_clISt17integral_constantIbLb0EESY_IbLb1EEEEDaSU_SV_EUlSU_E_NS1_11comp_targetILNS1_3genE10ELNS1_11target_archE1200ELNS1_3gpuE4ELNS1_3repE0EEENS1_30default_config_static_selectorELNS0_4arch9wavefront6targetE1EEEvT1_,@function
_ZN7rocprim17ROCPRIM_400000_NS6detail17trampoline_kernelINS0_14default_configENS1_27scan_by_key_config_selectorIssEEZZNS1_16scan_by_key_implILNS1_25lookback_scan_determinismE0ELb1ES3_N6thrust23THRUST_200600_302600_NS6detail15normal_iteratorINS9_10device_ptrIsEEEESE_SE_sNS9_4plusIvEENS9_8equal_toIvEEsEE10hipError_tPvRmT2_T3_T4_T5_mT6_T7_P12ihipStream_tbENKUlT_T0_E_clISt17integral_constantIbLb0EESY_IbLb1EEEEDaSU_SV_EUlSU_E_NS1_11comp_targetILNS1_3genE10ELNS1_11target_archE1200ELNS1_3gpuE4ELNS1_3repE0EEENS1_30default_config_static_selectorELNS0_4arch9wavefront6targetE1EEEvT1_: ; @_ZN7rocprim17ROCPRIM_400000_NS6detail17trampoline_kernelINS0_14default_configENS1_27scan_by_key_config_selectorIssEEZZNS1_16scan_by_key_implILNS1_25lookback_scan_determinismE0ELb1ES3_N6thrust23THRUST_200600_302600_NS6detail15normal_iteratorINS9_10device_ptrIsEEEESE_SE_sNS9_4plusIvEENS9_8equal_toIvEEsEE10hipError_tPvRmT2_T3_T4_T5_mT6_T7_P12ihipStream_tbENKUlT_T0_E_clISt17integral_constantIbLb0EESY_IbLb1EEEEDaSU_SV_EUlSU_E_NS1_11comp_targetILNS1_3genE10ELNS1_11target_archE1200ELNS1_3gpuE4ELNS1_3repE0EEENS1_30default_config_static_selectorELNS0_4arch9wavefront6targetE1EEEvT1_
; %bb.0:
	.section	.rodata,"a",@progbits
	.p2align	6, 0x0
	.amdhsa_kernel _ZN7rocprim17ROCPRIM_400000_NS6detail17trampoline_kernelINS0_14default_configENS1_27scan_by_key_config_selectorIssEEZZNS1_16scan_by_key_implILNS1_25lookback_scan_determinismE0ELb1ES3_N6thrust23THRUST_200600_302600_NS6detail15normal_iteratorINS9_10device_ptrIsEEEESE_SE_sNS9_4plusIvEENS9_8equal_toIvEEsEE10hipError_tPvRmT2_T3_T4_T5_mT6_T7_P12ihipStream_tbENKUlT_T0_E_clISt17integral_constantIbLb0EESY_IbLb1EEEEDaSU_SV_EUlSU_E_NS1_11comp_targetILNS1_3genE10ELNS1_11target_archE1200ELNS1_3gpuE4ELNS1_3repE0EEENS1_30default_config_static_selectorELNS0_4arch9wavefront6targetE1EEEvT1_
		.amdhsa_group_segment_fixed_size 0
		.amdhsa_private_segment_fixed_size 0
		.amdhsa_kernarg_size 112
		.amdhsa_user_sgpr_count 2
		.amdhsa_user_sgpr_dispatch_ptr 0
		.amdhsa_user_sgpr_queue_ptr 0
		.amdhsa_user_sgpr_kernarg_segment_ptr 1
		.amdhsa_user_sgpr_dispatch_id 0
		.amdhsa_user_sgpr_kernarg_preload_length 0
		.amdhsa_user_sgpr_kernarg_preload_offset 0
		.amdhsa_user_sgpr_private_segment_size 0
		.amdhsa_uses_dynamic_stack 0
		.amdhsa_enable_private_segment 0
		.amdhsa_system_sgpr_workgroup_id_x 1
		.amdhsa_system_sgpr_workgroup_id_y 0
		.amdhsa_system_sgpr_workgroup_id_z 0
		.amdhsa_system_sgpr_workgroup_info 0
		.amdhsa_system_vgpr_workitem_id 0
		.amdhsa_next_free_vgpr 1
		.amdhsa_next_free_sgpr 0
		.amdhsa_accum_offset 4
		.amdhsa_reserve_vcc 0
		.amdhsa_float_round_mode_32 0
		.amdhsa_float_round_mode_16_64 0
		.amdhsa_float_denorm_mode_32 3
		.amdhsa_float_denorm_mode_16_64 3
		.amdhsa_dx10_clamp 1
		.amdhsa_ieee_mode 1
		.amdhsa_fp16_overflow 0
		.amdhsa_tg_split 0
		.amdhsa_exception_fp_ieee_invalid_op 0
		.amdhsa_exception_fp_denorm_src 0
		.amdhsa_exception_fp_ieee_div_zero 0
		.amdhsa_exception_fp_ieee_overflow 0
		.amdhsa_exception_fp_ieee_underflow 0
		.amdhsa_exception_fp_ieee_inexact 0
		.amdhsa_exception_int_div_zero 0
	.end_amdhsa_kernel
	.section	.text._ZN7rocprim17ROCPRIM_400000_NS6detail17trampoline_kernelINS0_14default_configENS1_27scan_by_key_config_selectorIssEEZZNS1_16scan_by_key_implILNS1_25lookback_scan_determinismE0ELb1ES3_N6thrust23THRUST_200600_302600_NS6detail15normal_iteratorINS9_10device_ptrIsEEEESE_SE_sNS9_4plusIvEENS9_8equal_toIvEEsEE10hipError_tPvRmT2_T3_T4_T5_mT6_T7_P12ihipStream_tbENKUlT_T0_E_clISt17integral_constantIbLb0EESY_IbLb1EEEEDaSU_SV_EUlSU_E_NS1_11comp_targetILNS1_3genE10ELNS1_11target_archE1200ELNS1_3gpuE4ELNS1_3repE0EEENS1_30default_config_static_selectorELNS0_4arch9wavefront6targetE1EEEvT1_,"axG",@progbits,_ZN7rocprim17ROCPRIM_400000_NS6detail17trampoline_kernelINS0_14default_configENS1_27scan_by_key_config_selectorIssEEZZNS1_16scan_by_key_implILNS1_25lookback_scan_determinismE0ELb1ES3_N6thrust23THRUST_200600_302600_NS6detail15normal_iteratorINS9_10device_ptrIsEEEESE_SE_sNS9_4plusIvEENS9_8equal_toIvEEsEE10hipError_tPvRmT2_T3_T4_T5_mT6_T7_P12ihipStream_tbENKUlT_T0_E_clISt17integral_constantIbLb0EESY_IbLb1EEEEDaSU_SV_EUlSU_E_NS1_11comp_targetILNS1_3genE10ELNS1_11target_archE1200ELNS1_3gpuE4ELNS1_3repE0EEENS1_30default_config_static_selectorELNS0_4arch9wavefront6targetE1EEEvT1_,comdat
.Lfunc_end602:
	.size	_ZN7rocprim17ROCPRIM_400000_NS6detail17trampoline_kernelINS0_14default_configENS1_27scan_by_key_config_selectorIssEEZZNS1_16scan_by_key_implILNS1_25lookback_scan_determinismE0ELb1ES3_N6thrust23THRUST_200600_302600_NS6detail15normal_iteratorINS9_10device_ptrIsEEEESE_SE_sNS9_4plusIvEENS9_8equal_toIvEEsEE10hipError_tPvRmT2_T3_T4_T5_mT6_T7_P12ihipStream_tbENKUlT_T0_E_clISt17integral_constantIbLb0EESY_IbLb1EEEEDaSU_SV_EUlSU_E_NS1_11comp_targetILNS1_3genE10ELNS1_11target_archE1200ELNS1_3gpuE4ELNS1_3repE0EEENS1_30default_config_static_selectorELNS0_4arch9wavefront6targetE1EEEvT1_, .Lfunc_end602-_ZN7rocprim17ROCPRIM_400000_NS6detail17trampoline_kernelINS0_14default_configENS1_27scan_by_key_config_selectorIssEEZZNS1_16scan_by_key_implILNS1_25lookback_scan_determinismE0ELb1ES3_N6thrust23THRUST_200600_302600_NS6detail15normal_iteratorINS9_10device_ptrIsEEEESE_SE_sNS9_4plusIvEENS9_8equal_toIvEEsEE10hipError_tPvRmT2_T3_T4_T5_mT6_T7_P12ihipStream_tbENKUlT_T0_E_clISt17integral_constantIbLb0EESY_IbLb1EEEEDaSU_SV_EUlSU_E_NS1_11comp_targetILNS1_3genE10ELNS1_11target_archE1200ELNS1_3gpuE4ELNS1_3repE0EEENS1_30default_config_static_selectorELNS0_4arch9wavefront6targetE1EEEvT1_
                                        ; -- End function
	.section	.AMDGPU.csdata,"",@progbits
; Kernel info:
; codeLenInByte = 0
; NumSgprs: 6
; NumVgprs: 0
; NumAgprs: 0
; TotalNumVgprs: 0
; ScratchSize: 0
; MemoryBound: 0
; FloatMode: 240
; IeeeMode: 1
; LDSByteSize: 0 bytes/workgroup (compile time only)
; SGPRBlocks: 0
; VGPRBlocks: 0
; NumSGPRsForWavesPerEU: 6
; NumVGPRsForWavesPerEU: 1
; AccumOffset: 4
; Occupancy: 8
; WaveLimiterHint : 0
; COMPUTE_PGM_RSRC2:SCRATCH_EN: 0
; COMPUTE_PGM_RSRC2:USER_SGPR: 2
; COMPUTE_PGM_RSRC2:TRAP_HANDLER: 0
; COMPUTE_PGM_RSRC2:TGID_X_EN: 1
; COMPUTE_PGM_RSRC2:TGID_Y_EN: 0
; COMPUTE_PGM_RSRC2:TGID_Z_EN: 0
; COMPUTE_PGM_RSRC2:TIDIG_COMP_CNT: 0
; COMPUTE_PGM_RSRC3_GFX90A:ACCUM_OFFSET: 0
; COMPUTE_PGM_RSRC3_GFX90A:TG_SPLIT: 0
	.section	.text._ZN7rocprim17ROCPRIM_400000_NS6detail17trampoline_kernelINS0_14default_configENS1_27scan_by_key_config_selectorIssEEZZNS1_16scan_by_key_implILNS1_25lookback_scan_determinismE0ELb1ES3_N6thrust23THRUST_200600_302600_NS6detail15normal_iteratorINS9_10device_ptrIsEEEESE_SE_sNS9_4plusIvEENS9_8equal_toIvEEsEE10hipError_tPvRmT2_T3_T4_T5_mT6_T7_P12ihipStream_tbENKUlT_T0_E_clISt17integral_constantIbLb0EESY_IbLb1EEEEDaSU_SV_EUlSU_E_NS1_11comp_targetILNS1_3genE9ELNS1_11target_archE1100ELNS1_3gpuE3ELNS1_3repE0EEENS1_30default_config_static_selectorELNS0_4arch9wavefront6targetE1EEEvT1_,"axG",@progbits,_ZN7rocprim17ROCPRIM_400000_NS6detail17trampoline_kernelINS0_14default_configENS1_27scan_by_key_config_selectorIssEEZZNS1_16scan_by_key_implILNS1_25lookback_scan_determinismE0ELb1ES3_N6thrust23THRUST_200600_302600_NS6detail15normal_iteratorINS9_10device_ptrIsEEEESE_SE_sNS9_4plusIvEENS9_8equal_toIvEEsEE10hipError_tPvRmT2_T3_T4_T5_mT6_T7_P12ihipStream_tbENKUlT_T0_E_clISt17integral_constantIbLb0EESY_IbLb1EEEEDaSU_SV_EUlSU_E_NS1_11comp_targetILNS1_3genE9ELNS1_11target_archE1100ELNS1_3gpuE3ELNS1_3repE0EEENS1_30default_config_static_selectorELNS0_4arch9wavefront6targetE1EEEvT1_,comdat
	.protected	_ZN7rocprim17ROCPRIM_400000_NS6detail17trampoline_kernelINS0_14default_configENS1_27scan_by_key_config_selectorIssEEZZNS1_16scan_by_key_implILNS1_25lookback_scan_determinismE0ELb1ES3_N6thrust23THRUST_200600_302600_NS6detail15normal_iteratorINS9_10device_ptrIsEEEESE_SE_sNS9_4plusIvEENS9_8equal_toIvEEsEE10hipError_tPvRmT2_T3_T4_T5_mT6_T7_P12ihipStream_tbENKUlT_T0_E_clISt17integral_constantIbLb0EESY_IbLb1EEEEDaSU_SV_EUlSU_E_NS1_11comp_targetILNS1_3genE9ELNS1_11target_archE1100ELNS1_3gpuE3ELNS1_3repE0EEENS1_30default_config_static_selectorELNS0_4arch9wavefront6targetE1EEEvT1_ ; -- Begin function _ZN7rocprim17ROCPRIM_400000_NS6detail17trampoline_kernelINS0_14default_configENS1_27scan_by_key_config_selectorIssEEZZNS1_16scan_by_key_implILNS1_25lookback_scan_determinismE0ELb1ES3_N6thrust23THRUST_200600_302600_NS6detail15normal_iteratorINS9_10device_ptrIsEEEESE_SE_sNS9_4plusIvEENS9_8equal_toIvEEsEE10hipError_tPvRmT2_T3_T4_T5_mT6_T7_P12ihipStream_tbENKUlT_T0_E_clISt17integral_constantIbLb0EESY_IbLb1EEEEDaSU_SV_EUlSU_E_NS1_11comp_targetILNS1_3genE9ELNS1_11target_archE1100ELNS1_3gpuE3ELNS1_3repE0EEENS1_30default_config_static_selectorELNS0_4arch9wavefront6targetE1EEEvT1_
	.globl	_ZN7rocprim17ROCPRIM_400000_NS6detail17trampoline_kernelINS0_14default_configENS1_27scan_by_key_config_selectorIssEEZZNS1_16scan_by_key_implILNS1_25lookback_scan_determinismE0ELb1ES3_N6thrust23THRUST_200600_302600_NS6detail15normal_iteratorINS9_10device_ptrIsEEEESE_SE_sNS9_4plusIvEENS9_8equal_toIvEEsEE10hipError_tPvRmT2_T3_T4_T5_mT6_T7_P12ihipStream_tbENKUlT_T0_E_clISt17integral_constantIbLb0EESY_IbLb1EEEEDaSU_SV_EUlSU_E_NS1_11comp_targetILNS1_3genE9ELNS1_11target_archE1100ELNS1_3gpuE3ELNS1_3repE0EEENS1_30default_config_static_selectorELNS0_4arch9wavefront6targetE1EEEvT1_
	.p2align	8
	.type	_ZN7rocprim17ROCPRIM_400000_NS6detail17trampoline_kernelINS0_14default_configENS1_27scan_by_key_config_selectorIssEEZZNS1_16scan_by_key_implILNS1_25lookback_scan_determinismE0ELb1ES3_N6thrust23THRUST_200600_302600_NS6detail15normal_iteratorINS9_10device_ptrIsEEEESE_SE_sNS9_4plusIvEENS9_8equal_toIvEEsEE10hipError_tPvRmT2_T3_T4_T5_mT6_T7_P12ihipStream_tbENKUlT_T0_E_clISt17integral_constantIbLb0EESY_IbLb1EEEEDaSU_SV_EUlSU_E_NS1_11comp_targetILNS1_3genE9ELNS1_11target_archE1100ELNS1_3gpuE3ELNS1_3repE0EEENS1_30default_config_static_selectorELNS0_4arch9wavefront6targetE1EEEvT1_,@function
_ZN7rocprim17ROCPRIM_400000_NS6detail17trampoline_kernelINS0_14default_configENS1_27scan_by_key_config_selectorIssEEZZNS1_16scan_by_key_implILNS1_25lookback_scan_determinismE0ELb1ES3_N6thrust23THRUST_200600_302600_NS6detail15normal_iteratorINS9_10device_ptrIsEEEESE_SE_sNS9_4plusIvEENS9_8equal_toIvEEsEE10hipError_tPvRmT2_T3_T4_T5_mT6_T7_P12ihipStream_tbENKUlT_T0_E_clISt17integral_constantIbLb0EESY_IbLb1EEEEDaSU_SV_EUlSU_E_NS1_11comp_targetILNS1_3genE9ELNS1_11target_archE1100ELNS1_3gpuE3ELNS1_3repE0EEENS1_30default_config_static_selectorELNS0_4arch9wavefront6targetE1EEEvT1_: ; @_ZN7rocprim17ROCPRIM_400000_NS6detail17trampoline_kernelINS0_14default_configENS1_27scan_by_key_config_selectorIssEEZZNS1_16scan_by_key_implILNS1_25lookback_scan_determinismE0ELb1ES3_N6thrust23THRUST_200600_302600_NS6detail15normal_iteratorINS9_10device_ptrIsEEEESE_SE_sNS9_4plusIvEENS9_8equal_toIvEEsEE10hipError_tPvRmT2_T3_T4_T5_mT6_T7_P12ihipStream_tbENKUlT_T0_E_clISt17integral_constantIbLb0EESY_IbLb1EEEEDaSU_SV_EUlSU_E_NS1_11comp_targetILNS1_3genE9ELNS1_11target_archE1100ELNS1_3gpuE3ELNS1_3repE0EEENS1_30default_config_static_selectorELNS0_4arch9wavefront6targetE1EEEvT1_
; %bb.0:
	.section	.rodata,"a",@progbits
	.p2align	6, 0x0
	.amdhsa_kernel _ZN7rocprim17ROCPRIM_400000_NS6detail17trampoline_kernelINS0_14default_configENS1_27scan_by_key_config_selectorIssEEZZNS1_16scan_by_key_implILNS1_25lookback_scan_determinismE0ELb1ES3_N6thrust23THRUST_200600_302600_NS6detail15normal_iteratorINS9_10device_ptrIsEEEESE_SE_sNS9_4plusIvEENS9_8equal_toIvEEsEE10hipError_tPvRmT2_T3_T4_T5_mT6_T7_P12ihipStream_tbENKUlT_T0_E_clISt17integral_constantIbLb0EESY_IbLb1EEEEDaSU_SV_EUlSU_E_NS1_11comp_targetILNS1_3genE9ELNS1_11target_archE1100ELNS1_3gpuE3ELNS1_3repE0EEENS1_30default_config_static_selectorELNS0_4arch9wavefront6targetE1EEEvT1_
		.amdhsa_group_segment_fixed_size 0
		.amdhsa_private_segment_fixed_size 0
		.amdhsa_kernarg_size 112
		.amdhsa_user_sgpr_count 2
		.amdhsa_user_sgpr_dispatch_ptr 0
		.amdhsa_user_sgpr_queue_ptr 0
		.amdhsa_user_sgpr_kernarg_segment_ptr 1
		.amdhsa_user_sgpr_dispatch_id 0
		.amdhsa_user_sgpr_kernarg_preload_length 0
		.amdhsa_user_sgpr_kernarg_preload_offset 0
		.amdhsa_user_sgpr_private_segment_size 0
		.amdhsa_uses_dynamic_stack 0
		.amdhsa_enable_private_segment 0
		.amdhsa_system_sgpr_workgroup_id_x 1
		.amdhsa_system_sgpr_workgroup_id_y 0
		.amdhsa_system_sgpr_workgroup_id_z 0
		.amdhsa_system_sgpr_workgroup_info 0
		.amdhsa_system_vgpr_workitem_id 0
		.amdhsa_next_free_vgpr 1
		.amdhsa_next_free_sgpr 0
		.amdhsa_accum_offset 4
		.amdhsa_reserve_vcc 0
		.amdhsa_float_round_mode_32 0
		.amdhsa_float_round_mode_16_64 0
		.amdhsa_float_denorm_mode_32 3
		.amdhsa_float_denorm_mode_16_64 3
		.amdhsa_dx10_clamp 1
		.amdhsa_ieee_mode 1
		.amdhsa_fp16_overflow 0
		.amdhsa_tg_split 0
		.amdhsa_exception_fp_ieee_invalid_op 0
		.amdhsa_exception_fp_denorm_src 0
		.amdhsa_exception_fp_ieee_div_zero 0
		.amdhsa_exception_fp_ieee_overflow 0
		.amdhsa_exception_fp_ieee_underflow 0
		.amdhsa_exception_fp_ieee_inexact 0
		.amdhsa_exception_int_div_zero 0
	.end_amdhsa_kernel
	.section	.text._ZN7rocprim17ROCPRIM_400000_NS6detail17trampoline_kernelINS0_14default_configENS1_27scan_by_key_config_selectorIssEEZZNS1_16scan_by_key_implILNS1_25lookback_scan_determinismE0ELb1ES3_N6thrust23THRUST_200600_302600_NS6detail15normal_iteratorINS9_10device_ptrIsEEEESE_SE_sNS9_4plusIvEENS9_8equal_toIvEEsEE10hipError_tPvRmT2_T3_T4_T5_mT6_T7_P12ihipStream_tbENKUlT_T0_E_clISt17integral_constantIbLb0EESY_IbLb1EEEEDaSU_SV_EUlSU_E_NS1_11comp_targetILNS1_3genE9ELNS1_11target_archE1100ELNS1_3gpuE3ELNS1_3repE0EEENS1_30default_config_static_selectorELNS0_4arch9wavefront6targetE1EEEvT1_,"axG",@progbits,_ZN7rocprim17ROCPRIM_400000_NS6detail17trampoline_kernelINS0_14default_configENS1_27scan_by_key_config_selectorIssEEZZNS1_16scan_by_key_implILNS1_25lookback_scan_determinismE0ELb1ES3_N6thrust23THRUST_200600_302600_NS6detail15normal_iteratorINS9_10device_ptrIsEEEESE_SE_sNS9_4plusIvEENS9_8equal_toIvEEsEE10hipError_tPvRmT2_T3_T4_T5_mT6_T7_P12ihipStream_tbENKUlT_T0_E_clISt17integral_constantIbLb0EESY_IbLb1EEEEDaSU_SV_EUlSU_E_NS1_11comp_targetILNS1_3genE9ELNS1_11target_archE1100ELNS1_3gpuE3ELNS1_3repE0EEENS1_30default_config_static_selectorELNS0_4arch9wavefront6targetE1EEEvT1_,comdat
.Lfunc_end603:
	.size	_ZN7rocprim17ROCPRIM_400000_NS6detail17trampoline_kernelINS0_14default_configENS1_27scan_by_key_config_selectorIssEEZZNS1_16scan_by_key_implILNS1_25lookback_scan_determinismE0ELb1ES3_N6thrust23THRUST_200600_302600_NS6detail15normal_iteratorINS9_10device_ptrIsEEEESE_SE_sNS9_4plusIvEENS9_8equal_toIvEEsEE10hipError_tPvRmT2_T3_T4_T5_mT6_T7_P12ihipStream_tbENKUlT_T0_E_clISt17integral_constantIbLb0EESY_IbLb1EEEEDaSU_SV_EUlSU_E_NS1_11comp_targetILNS1_3genE9ELNS1_11target_archE1100ELNS1_3gpuE3ELNS1_3repE0EEENS1_30default_config_static_selectorELNS0_4arch9wavefront6targetE1EEEvT1_, .Lfunc_end603-_ZN7rocprim17ROCPRIM_400000_NS6detail17trampoline_kernelINS0_14default_configENS1_27scan_by_key_config_selectorIssEEZZNS1_16scan_by_key_implILNS1_25lookback_scan_determinismE0ELb1ES3_N6thrust23THRUST_200600_302600_NS6detail15normal_iteratorINS9_10device_ptrIsEEEESE_SE_sNS9_4plusIvEENS9_8equal_toIvEEsEE10hipError_tPvRmT2_T3_T4_T5_mT6_T7_P12ihipStream_tbENKUlT_T0_E_clISt17integral_constantIbLb0EESY_IbLb1EEEEDaSU_SV_EUlSU_E_NS1_11comp_targetILNS1_3genE9ELNS1_11target_archE1100ELNS1_3gpuE3ELNS1_3repE0EEENS1_30default_config_static_selectorELNS0_4arch9wavefront6targetE1EEEvT1_
                                        ; -- End function
	.section	.AMDGPU.csdata,"",@progbits
; Kernel info:
; codeLenInByte = 0
; NumSgprs: 6
; NumVgprs: 0
; NumAgprs: 0
; TotalNumVgprs: 0
; ScratchSize: 0
; MemoryBound: 0
; FloatMode: 240
; IeeeMode: 1
; LDSByteSize: 0 bytes/workgroup (compile time only)
; SGPRBlocks: 0
; VGPRBlocks: 0
; NumSGPRsForWavesPerEU: 6
; NumVGPRsForWavesPerEU: 1
; AccumOffset: 4
; Occupancy: 8
; WaveLimiterHint : 0
; COMPUTE_PGM_RSRC2:SCRATCH_EN: 0
; COMPUTE_PGM_RSRC2:USER_SGPR: 2
; COMPUTE_PGM_RSRC2:TRAP_HANDLER: 0
; COMPUTE_PGM_RSRC2:TGID_X_EN: 1
; COMPUTE_PGM_RSRC2:TGID_Y_EN: 0
; COMPUTE_PGM_RSRC2:TGID_Z_EN: 0
; COMPUTE_PGM_RSRC2:TIDIG_COMP_CNT: 0
; COMPUTE_PGM_RSRC3_GFX90A:ACCUM_OFFSET: 0
; COMPUTE_PGM_RSRC3_GFX90A:TG_SPLIT: 0
	.section	.text._ZN7rocprim17ROCPRIM_400000_NS6detail17trampoline_kernelINS0_14default_configENS1_27scan_by_key_config_selectorIssEEZZNS1_16scan_by_key_implILNS1_25lookback_scan_determinismE0ELb1ES3_N6thrust23THRUST_200600_302600_NS6detail15normal_iteratorINS9_10device_ptrIsEEEESE_SE_sNS9_4plusIvEENS9_8equal_toIvEEsEE10hipError_tPvRmT2_T3_T4_T5_mT6_T7_P12ihipStream_tbENKUlT_T0_E_clISt17integral_constantIbLb0EESY_IbLb1EEEEDaSU_SV_EUlSU_E_NS1_11comp_targetILNS1_3genE8ELNS1_11target_archE1030ELNS1_3gpuE2ELNS1_3repE0EEENS1_30default_config_static_selectorELNS0_4arch9wavefront6targetE1EEEvT1_,"axG",@progbits,_ZN7rocprim17ROCPRIM_400000_NS6detail17trampoline_kernelINS0_14default_configENS1_27scan_by_key_config_selectorIssEEZZNS1_16scan_by_key_implILNS1_25lookback_scan_determinismE0ELb1ES3_N6thrust23THRUST_200600_302600_NS6detail15normal_iteratorINS9_10device_ptrIsEEEESE_SE_sNS9_4plusIvEENS9_8equal_toIvEEsEE10hipError_tPvRmT2_T3_T4_T5_mT6_T7_P12ihipStream_tbENKUlT_T0_E_clISt17integral_constantIbLb0EESY_IbLb1EEEEDaSU_SV_EUlSU_E_NS1_11comp_targetILNS1_3genE8ELNS1_11target_archE1030ELNS1_3gpuE2ELNS1_3repE0EEENS1_30default_config_static_selectorELNS0_4arch9wavefront6targetE1EEEvT1_,comdat
	.protected	_ZN7rocprim17ROCPRIM_400000_NS6detail17trampoline_kernelINS0_14default_configENS1_27scan_by_key_config_selectorIssEEZZNS1_16scan_by_key_implILNS1_25lookback_scan_determinismE0ELb1ES3_N6thrust23THRUST_200600_302600_NS6detail15normal_iteratorINS9_10device_ptrIsEEEESE_SE_sNS9_4plusIvEENS9_8equal_toIvEEsEE10hipError_tPvRmT2_T3_T4_T5_mT6_T7_P12ihipStream_tbENKUlT_T0_E_clISt17integral_constantIbLb0EESY_IbLb1EEEEDaSU_SV_EUlSU_E_NS1_11comp_targetILNS1_3genE8ELNS1_11target_archE1030ELNS1_3gpuE2ELNS1_3repE0EEENS1_30default_config_static_selectorELNS0_4arch9wavefront6targetE1EEEvT1_ ; -- Begin function _ZN7rocprim17ROCPRIM_400000_NS6detail17trampoline_kernelINS0_14default_configENS1_27scan_by_key_config_selectorIssEEZZNS1_16scan_by_key_implILNS1_25lookback_scan_determinismE0ELb1ES3_N6thrust23THRUST_200600_302600_NS6detail15normal_iteratorINS9_10device_ptrIsEEEESE_SE_sNS9_4plusIvEENS9_8equal_toIvEEsEE10hipError_tPvRmT2_T3_T4_T5_mT6_T7_P12ihipStream_tbENKUlT_T0_E_clISt17integral_constantIbLb0EESY_IbLb1EEEEDaSU_SV_EUlSU_E_NS1_11comp_targetILNS1_3genE8ELNS1_11target_archE1030ELNS1_3gpuE2ELNS1_3repE0EEENS1_30default_config_static_selectorELNS0_4arch9wavefront6targetE1EEEvT1_
	.globl	_ZN7rocprim17ROCPRIM_400000_NS6detail17trampoline_kernelINS0_14default_configENS1_27scan_by_key_config_selectorIssEEZZNS1_16scan_by_key_implILNS1_25lookback_scan_determinismE0ELb1ES3_N6thrust23THRUST_200600_302600_NS6detail15normal_iteratorINS9_10device_ptrIsEEEESE_SE_sNS9_4plusIvEENS9_8equal_toIvEEsEE10hipError_tPvRmT2_T3_T4_T5_mT6_T7_P12ihipStream_tbENKUlT_T0_E_clISt17integral_constantIbLb0EESY_IbLb1EEEEDaSU_SV_EUlSU_E_NS1_11comp_targetILNS1_3genE8ELNS1_11target_archE1030ELNS1_3gpuE2ELNS1_3repE0EEENS1_30default_config_static_selectorELNS0_4arch9wavefront6targetE1EEEvT1_
	.p2align	8
	.type	_ZN7rocprim17ROCPRIM_400000_NS6detail17trampoline_kernelINS0_14default_configENS1_27scan_by_key_config_selectorIssEEZZNS1_16scan_by_key_implILNS1_25lookback_scan_determinismE0ELb1ES3_N6thrust23THRUST_200600_302600_NS6detail15normal_iteratorINS9_10device_ptrIsEEEESE_SE_sNS9_4plusIvEENS9_8equal_toIvEEsEE10hipError_tPvRmT2_T3_T4_T5_mT6_T7_P12ihipStream_tbENKUlT_T0_E_clISt17integral_constantIbLb0EESY_IbLb1EEEEDaSU_SV_EUlSU_E_NS1_11comp_targetILNS1_3genE8ELNS1_11target_archE1030ELNS1_3gpuE2ELNS1_3repE0EEENS1_30default_config_static_selectorELNS0_4arch9wavefront6targetE1EEEvT1_,@function
_ZN7rocprim17ROCPRIM_400000_NS6detail17trampoline_kernelINS0_14default_configENS1_27scan_by_key_config_selectorIssEEZZNS1_16scan_by_key_implILNS1_25lookback_scan_determinismE0ELb1ES3_N6thrust23THRUST_200600_302600_NS6detail15normal_iteratorINS9_10device_ptrIsEEEESE_SE_sNS9_4plusIvEENS9_8equal_toIvEEsEE10hipError_tPvRmT2_T3_T4_T5_mT6_T7_P12ihipStream_tbENKUlT_T0_E_clISt17integral_constantIbLb0EESY_IbLb1EEEEDaSU_SV_EUlSU_E_NS1_11comp_targetILNS1_3genE8ELNS1_11target_archE1030ELNS1_3gpuE2ELNS1_3repE0EEENS1_30default_config_static_selectorELNS0_4arch9wavefront6targetE1EEEvT1_: ; @_ZN7rocprim17ROCPRIM_400000_NS6detail17trampoline_kernelINS0_14default_configENS1_27scan_by_key_config_selectorIssEEZZNS1_16scan_by_key_implILNS1_25lookback_scan_determinismE0ELb1ES3_N6thrust23THRUST_200600_302600_NS6detail15normal_iteratorINS9_10device_ptrIsEEEESE_SE_sNS9_4plusIvEENS9_8equal_toIvEEsEE10hipError_tPvRmT2_T3_T4_T5_mT6_T7_P12ihipStream_tbENKUlT_T0_E_clISt17integral_constantIbLb0EESY_IbLb1EEEEDaSU_SV_EUlSU_E_NS1_11comp_targetILNS1_3genE8ELNS1_11target_archE1030ELNS1_3gpuE2ELNS1_3repE0EEENS1_30default_config_static_selectorELNS0_4arch9wavefront6targetE1EEEvT1_
; %bb.0:
	.section	.rodata,"a",@progbits
	.p2align	6, 0x0
	.amdhsa_kernel _ZN7rocprim17ROCPRIM_400000_NS6detail17trampoline_kernelINS0_14default_configENS1_27scan_by_key_config_selectorIssEEZZNS1_16scan_by_key_implILNS1_25lookback_scan_determinismE0ELb1ES3_N6thrust23THRUST_200600_302600_NS6detail15normal_iteratorINS9_10device_ptrIsEEEESE_SE_sNS9_4plusIvEENS9_8equal_toIvEEsEE10hipError_tPvRmT2_T3_T4_T5_mT6_T7_P12ihipStream_tbENKUlT_T0_E_clISt17integral_constantIbLb0EESY_IbLb1EEEEDaSU_SV_EUlSU_E_NS1_11comp_targetILNS1_3genE8ELNS1_11target_archE1030ELNS1_3gpuE2ELNS1_3repE0EEENS1_30default_config_static_selectorELNS0_4arch9wavefront6targetE1EEEvT1_
		.amdhsa_group_segment_fixed_size 0
		.amdhsa_private_segment_fixed_size 0
		.amdhsa_kernarg_size 112
		.amdhsa_user_sgpr_count 2
		.amdhsa_user_sgpr_dispatch_ptr 0
		.amdhsa_user_sgpr_queue_ptr 0
		.amdhsa_user_sgpr_kernarg_segment_ptr 1
		.amdhsa_user_sgpr_dispatch_id 0
		.amdhsa_user_sgpr_kernarg_preload_length 0
		.amdhsa_user_sgpr_kernarg_preload_offset 0
		.amdhsa_user_sgpr_private_segment_size 0
		.amdhsa_uses_dynamic_stack 0
		.amdhsa_enable_private_segment 0
		.amdhsa_system_sgpr_workgroup_id_x 1
		.amdhsa_system_sgpr_workgroup_id_y 0
		.amdhsa_system_sgpr_workgroup_id_z 0
		.amdhsa_system_sgpr_workgroup_info 0
		.amdhsa_system_vgpr_workitem_id 0
		.amdhsa_next_free_vgpr 1
		.amdhsa_next_free_sgpr 0
		.amdhsa_accum_offset 4
		.amdhsa_reserve_vcc 0
		.amdhsa_float_round_mode_32 0
		.amdhsa_float_round_mode_16_64 0
		.amdhsa_float_denorm_mode_32 3
		.amdhsa_float_denorm_mode_16_64 3
		.amdhsa_dx10_clamp 1
		.amdhsa_ieee_mode 1
		.amdhsa_fp16_overflow 0
		.amdhsa_tg_split 0
		.amdhsa_exception_fp_ieee_invalid_op 0
		.amdhsa_exception_fp_denorm_src 0
		.amdhsa_exception_fp_ieee_div_zero 0
		.amdhsa_exception_fp_ieee_overflow 0
		.amdhsa_exception_fp_ieee_underflow 0
		.amdhsa_exception_fp_ieee_inexact 0
		.amdhsa_exception_int_div_zero 0
	.end_amdhsa_kernel
	.section	.text._ZN7rocprim17ROCPRIM_400000_NS6detail17trampoline_kernelINS0_14default_configENS1_27scan_by_key_config_selectorIssEEZZNS1_16scan_by_key_implILNS1_25lookback_scan_determinismE0ELb1ES3_N6thrust23THRUST_200600_302600_NS6detail15normal_iteratorINS9_10device_ptrIsEEEESE_SE_sNS9_4plusIvEENS9_8equal_toIvEEsEE10hipError_tPvRmT2_T3_T4_T5_mT6_T7_P12ihipStream_tbENKUlT_T0_E_clISt17integral_constantIbLb0EESY_IbLb1EEEEDaSU_SV_EUlSU_E_NS1_11comp_targetILNS1_3genE8ELNS1_11target_archE1030ELNS1_3gpuE2ELNS1_3repE0EEENS1_30default_config_static_selectorELNS0_4arch9wavefront6targetE1EEEvT1_,"axG",@progbits,_ZN7rocprim17ROCPRIM_400000_NS6detail17trampoline_kernelINS0_14default_configENS1_27scan_by_key_config_selectorIssEEZZNS1_16scan_by_key_implILNS1_25lookback_scan_determinismE0ELb1ES3_N6thrust23THRUST_200600_302600_NS6detail15normal_iteratorINS9_10device_ptrIsEEEESE_SE_sNS9_4plusIvEENS9_8equal_toIvEEsEE10hipError_tPvRmT2_T3_T4_T5_mT6_T7_P12ihipStream_tbENKUlT_T0_E_clISt17integral_constantIbLb0EESY_IbLb1EEEEDaSU_SV_EUlSU_E_NS1_11comp_targetILNS1_3genE8ELNS1_11target_archE1030ELNS1_3gpuE2ELNS1_3repE0EEENS1_30default_config_static_selectorELNS0_4arch9wavefront6targetE1EEEvT1_,comdat
.Lfunc_end604:
	.size	_ZN7rocprim17ROCPRIM_400000_NS6detail17trampoline_kernelINS0_14default_configENS1_27scan_by_key_config_selectorIssEEZZNS1_16scan_by_key_implILNS1_25lookback_scan_determinismE0ELb1ES3_N6thrust23THRUST_200600_302600_NS6detail15normal_iteratorINS9_10device_ptrIsEEEESE_SE_sNS9_4plusIvEENS9_8equal_toIvEEsEE10hipError_tPvRmT2_T3_T4_T5_mT6_T7_P12ihipStream_tbENKUlT_T0_E_clISt17integral_constantIbLb0EESY_IbLb1EEEEDaSU_SV_EUlSU_E_NS1_11comp_targetILNS1_3genE8ELNS1_11target_archE1030ELNS1_3gpuE2ELNS1_3repE0EEENS1_30default_config_static_selectorELNS0_4arch9wavefront6targetE1EEEvT1_, .Lfunc_end604-_ZN7rocprim17ROCPRIM_400000_NS6detail17trampoline_kernelINS0_14default_configENS1_27scan_by_key_config_selectorIssEEZZNS1_16scan_by_key_implILNS1_25lookback_scan_determinismE0ELb1ES3_N6thrust23THRUST_200600_302600_NS6detail15normal_iteratorINS9_10device_ptrIsEEEESE_SE_sNS9_4plusIvEENS9_8equal_toIvEEsEE10hipError_tPvRmT2_T3_T4_T5_mT6_T7_P12ihipStream_tbENKUlT_T0_E_clISt17integral_constantIbLb0EESY_IbLb1EEEEDaSU_SV_EUlSU_E_NS1_11comp_targetILNS1_3genE8ELNS1_11target_archE1030ELNS1_3gpuE2ELNS1_3repE0EEENS1_30default_config_static_selectorELNS0_4arch9wavefront6targetE1EEEvT1_
                                        ; -- End function
	.section	.AMDGPU.csdata,"",@progbits
; Kernel info:
; codeLenInByte = 0
; NumSgprs: 6
; NumVgprs: 0
; NumAgprs: 0
; TotalNumVgprs: 0
; ScratchSize: 0
; MemoryBound: 0
; FloatMode: 240
; IeeeMode: 1
; LDSByteSize: 0 bytes/workgroup (compile time only)
; SGPRBlocks: 0
; VGPRBlocks: 0
; NumSGPRsForWavesPerEU: 6
; NumVGPRsForWavesPerEU: 1
; AccumOffset: 4
; Occupancy: 8
; WaveLimiterHint : 0
; COMPUTE_PGM_RSRC2:SCRATCH_EN: 0
; COMPUTE_PGM_RSRC2:USER_SGPR: 2
; COMPUTE_PGM_RSRC2:TRAP_HANDLER: 0
; COMPUTE_PGM_RSRC2:TGID_X_EN: 1
; COMPUTE_PGM_RSRC2:TGID_Y_EN: 0
; COMPUTE_PGM_RSRC2:TGID_Z_EN: 0
; COMPUTE_PGM_RSRC2:TIDIG_COMP_CNT: 0
; COMPUTE_PGM_RSRC3_GFX90A:ACCUM_OFFSET: 0
; COMPUTE_PGM_RSRC3_GFX90A:TG_SPLIT: 0
	.section	.text._ZN7rocprim17ROCPRIM_400000_NS6detail17trampoline_kernelINS0_14default_configENS1_27scan_by_key_config_selectorIssEEZZNS1_16scan_by_key_implILNS1_25lookback_scan_determinismE0ELb1ES3_N6thrust23THRUST_200600_302600_NS6detail15normal_iteratorINS9_10device_ptrIsEEEESE_SE_sNS9_10multipliesIsEENS9_8equal_toIsEEsEE10hipError_tPvRmT2_T3_T4_T5_mT6_T7_P12ihipStream_tbENKUlT_T0_E_clISt17integral_constantIbLb0EESZ_EEDaSU_SV_EUlSU_E_NS1_11comp_targetILNS1_3genE0ELNS1_11target_archE4294967295ELNS1_3gpuE0ELNS1_3repE0EEENS1_30default_config_static_selectorELNS0_4arch9wavefront6targetE1EEEvT1_,"axG",@progbits,_ZN7rocprim17ROCPRIM_400000_NS6detail17trampoline_kernelINS0_14default_configENS1_27scan_by_key_config_selectorIssEEZZNS1_16scan_by_key_implILNS1_25lookback_scan_determinismE0ELb1ES3_N6thrust23THRUST_200600_302600_NS6detail15normal_iteratorINS9_10device_ptrIsEEEESE_SE_sNS9_10multipliesIsEENS9_8equal_toIsEEsEE10hipError_tPvRmT2_T3_T4_T5_mT6_T7_P12ihipStream_tbENKUlT_T0_E_clISt17integral_constantIbLb0EESZ_EEDaSU_SV_EUlSU_E_NS1_11comp_targetILNS1_3genE0ELNS1_11target_archE4294967295ELNS1_3gpuE0ELNS1_3repE0EEENS1_30default_config_static_selectorELNS0_4arch9wavefront6targetE1EEEvT1_,comdat
	.protected	_ZN7rocprim17ROCPRIM_400000_NS6detail17trampoline_kernelINS0_14default_configENS1_27scan_by_key_config_selectorIssEEZZNS1_16scan_by_key_implILNS1_25lookback_scan_determinismE0ELb1ES3_N6thrust23THRUST_200600_302600_NS6detail15normal_iteratorINS9_10device_ptrIsEEEESE_SE_sNS9_10multipliesIsEENS9_8equal_toIsEEsEE10hipError_tPvRmT2_T3_T4_T5_mT6_T7_P12ihipStream_tbENKUlT_T0_E_clISt17integral_constantIbLb0EESZ_EEDaSU_SV_EUlSU_E_NS1_11comp_targetILNS1_3genE0ELNS1_11target_archE4294967295ELNS1_3gpuE0ELNS1_3repE0EEENS1_30default_config_static_selectorELNS0_4arch9wavefront6targetE1EEEvT1_ ; -- Begin function _ZN7rocprim17ROCPRIM_400000_NS6detail17trampoline_kernelINS0_14default_configENS1_27scan_by_key_config_selectorIssEEZZNS1_16scan_by_key_implILNS1_25lookback_scan_determinismE0ELb1ES3_N6thrust23THRUST_200600_302600_NS6detail15normal_iteratorINS9_10device_ptrIsEEEESE_SE_sNS9_10multipliesIsEENS9_8equal_toIsEEsEE10hipError_tPvRmT2_T3_T4_T5_mT6_T7_P12ihipStream_tbENKUlT_T0_E_clISt17integral_constantIbLb0EESZ_EEDaSU_SV_EUlSU_E_NS1_11comp_targetILNS1_3genE0ELNS1_11target_archE4294967295ELNS1_3gpuE0ELNS1_3repE0EEENS1_30default_config_static_selectorELNS0_4arch9wavefront6targetE1EEEvT1_
	.globl	_ZN7rocprim17ROCPRIM_400000_NS6detail17trampoline_kernelINS0_14default_configENS1_27scan_by_key_config_selectorIssEEZZNS1_16scan_by_key_implILNS1_25lookback_scan_determinismE0ELb1ES3_N6thrust23THRUST_200600_302600_NS6detail15normal_iteratorINS9_10device_ptrIsEEEESE_SE_sNS9_10multipliesIsEENS9_8equal_toIsEEsEE10hipError_tPvRmT2_T3_T4_T5_mT6_T7_P12ihipStream_tbENKUlT_T0_E_clISt17integral_constantIbLb0EESZ_EEDaSU_SV_EUlSU_E_NS1_11comp_targetILNS1_3genE0ELNS1_11target_archE4294967295ELNS1_3gpuE0ELNS1_3repE0EEENS1_30default_config_static_selectorELNS0_4arch9wavefront6targetE1EEEvT1_
	.p2align	8
	.type	_ZN7rocprim17ROCPRIM_400000_NS6detail17trampoline_kernelINS0_14default_configENS1_27scan_by_key_config_selectorIssEEZZNS1_16scan_by_key_implILNS1_25lookback_scan_determinismE0ELb1ES3_N6thrust23THRUST_200600_302600_NS6detail15normal_iteratorINS9_10device_ptrIsEEEESE_SE_sNS9_10multipliesIsEENS9_8equal_toIsEEsEE10hipError_tPvRmT2_T3_T4_T5_mT6_T7_P12ihipStream_tbENKUlT_T0_E_clISt17integral_constantIbLb0EESZ_EEDaSU_SV_EUlSU_E_NS1_11comp_targetILNS1_3genE0ELNS1_11target_archE4294967295ELNS1_3gpuE0ELNS1_3repE0EEENS1_30default_config_static_selectorELNS0_4arch9wavefront6targetE1EEEvT1_,@function
_ZN7rocprim17ROCPRIM_400000_NS6detail17trampoline_kernelINS0_14default_configENS1_27scan_by_key_config_selectorIssEEZZNS1_16scan_by_key_implILNS1_25lookback_scan_determinismE0ELb1ES3_N6thrust23THRUST_200600_302600_NS6detail15normal_iteratorINS9_10device_ptrIsEEEESE_SE_sNS9_10multipliesIsEENS9_8equal_toIsEEsEE10hipError_tPvRmT2_T3_T4_T5_mT6_T7_P12ihipStream_tbENKUlT_T0_E_clISt17integral_constantIbLb0EESZ_EEDaSU_SV_EUlSU_E_NS1_11comp_targetILNS1_3genE0ELNS1_11target_archE4294967295ELNS1_3gpuE0ELNS1_3repE0EEENS1_30default_config_static_selectorELNS0_4arch9wavefront6targetE1EEEvT1_: ; @_ZN7rocprim17ROCPRIM_400000_NS6detail17trampoline_kernelINS0_14default_configENS1_27scan_by_key_config_selectorIssEEZZNS1_16scan_by_key_implILNS1_25lookback_scan_determinismE0ELb1ES3_N6thrust23THRUST_200600_302600_NS6detail15normal_iteratorINS9_10device_ptrIsEEEESE_SE_sNS9_10multipliesIsEENS9_8equal_toIsEEsEE10hipError_tPvRmT2_T3_T4_T5_mT6_T7_P12ihipStream_tbENKUlT_T0_E_clISt17integral_constantIbLb0EESZ_EEDaSU_SV_EUlSU_E_NS1_11comp_targetILNS1_3genE0ELNS1_11target_archE4294967295ELNS1_3gpuE0ELNS1_3repE0EEENS1_30default_config_static_selectorELNS0_4arch9wavefront6targetE1EEEvT1_
; %bb.0:
	.section	.rodata,"a",@progbits
	.p2align	6, 0x0
	.amdhsa_kernel _ZN7rocprim17ROCPRIM_400000_NS6detail17trampoline_kernelINS0_14default_configENS1_27scan_by_key_config_selectorIssEEZZNS1_16scan_by_key_implILNS1_25lookback_scan_determinismE0ELb1ES3_N6thrust23THRUST_200600_302600_NS6detail15normal_iteratorINS9_10device_ptrIsEEEESE_SE_sNS9_10multipliesIsEENS9_8equal_toIsEEsEE10hipError_tPvRmT2_T3_T4_T5_mT6_T7_P12ihipStream_tbENKUlT_T0_E_clISt17integral_constantIbLb0EESZ_EEDaSU_SV_EUlSU_E_NS1_11comp_targetILNS1_3genE0ELNS1_11target_archE4294967295ELNS1_3gpuE0ELNS1_3repE0EEENS1_30default_config_static_selectorELNS0_4arch9wavefront6targetE1EEEvT1_
		.amdhsa_group_segment_fixed_size 0
		.amdhsa_private_segment_fixed_size 0
		.amdhsa_kernarg_size 112
		.amdhsa_user_sgpr_count 2
		.amdhsa_user_sgpr_dispatch_ptr 0
		.amdhsa_user_sgpr_queue_ptr 0
		.amdhsa_user_sgpr_kernarg_segment_ptr 1
		.amdhsa_user_sgpr_dispatch_id 0
		.amdhsa_user_sgpr_kernarg_preload_length 0
		.amdhsa_user_sgpr_kernarg_preload_offset 0
		.amdhsa_user_sgpr_private_segment_size 0
		.amdhsa_uses_dynamic_stack 0
		.amdhsa_enable_private_segment 0
		.amdhsa_system_sgpr_workgroup_id_x 1
		.amdhsa_system_sgpr_workgroup_id_y 0
		.amdhsa_system_sgpr_workgroup_id_z 0
		.amdhsa_system_sgpr_workgroup_info 0
		.amdhsa_system_vgpr_workitem_id 0
		.amdhsa_next_free_vgpr 1
		.amdhsa_next_free_sgpr 0
		.amdhsa_accum_offset 4
		.amdhsa_reserve_vcc 0
		.amdhsa_float_round_mode_32 0
		.amdhsa_float_round_mode_16_64 0
		.amdhsa_float_denorm_mode_32 3
		.amdhsa_float_denorm_mode_16_64 3
		.amdhsa_dx10_clamp 1
		.amdhsa_ieee_mode 1
		.amdhsa_fp16_overflow 0
		.amdhsa_tg_split 0
		.amdhsa_exception_fp_ieee_invalid_op 0
		.amdhsa_exception_fp_denorm_src 0
		.amdhsa_exception_fp_ieee_div_zero 0
		.amdhsa_exception_fp_ieee_overflow 0
		.amdhsa_exception_fp_ieee_underflow 0
		.amdhsa_exception_fp_ieee_inexact 0
		.amdhsa_exception_int_div_zero 0
	.end_amdhsa_kernel
	.section	.text._ZN7rocprim17ROCPRIM_400000_NS6detail17trampoline_kernelINS0_14default_configENS1_27scan_by_key_config_selectorIssEEZZNS1_16scan_by_key_implILNS1_25lookback_scan_determinismE0ELb1ES3_N6thrust23THRUST_200600_302600_NS6detail15normal_iteratorINS9_10device_ptrIsEEEESE_SE_sNS9_10multipliesIsEENS9_8equal_toIsEEsEE10hipError_tPvRmT2_T3_T4_T5_mT6_T7_P12ihipStream_tbENKUlT_T0_E_clISt17integral_constantIbLb0EESZ_EEDaSU_SV_EUlSU_E_NS1_11comp_targetILNS1_3genE0ELNS1_11target_archE4294967295ELNS1_3gpuE0ELNS1_3repE0EEENS1_30default_config_static_selectorELNS0_4arch9wavefront6targetE1EEEvT1_,"axG",@progbits,_ZN7rocprim17ROCPRIM_400000_NS6detail17trampoline_kernelINS0_14default_configENS1_27scan_by_key_config_selectorIssEEZZNS1_16scan_by_key_implILNS1_25lookback_scan_determinismE0ELb1ES3_N6thrust23THRUST_200600_302600_NS6detail15normal_iteratorINS9_10device_ptrIsEEEESE_SE_sNS9_10multipliesIsEENS9_8equal_toIsEEsEE10hipError_tPvRmT2_T3_T4_T5_mT6_T7_P12ihipStream_tbENKUlT_T0_E_clISt17integral_constantIbLb0EESZ_EEDaSU_SV_EUlSU_E_NS1_11comp_targetILNS1_3genE0ELNS1_11target_archE4294967295ELNS1_3gpuE0ELNS1_3repE0EEENS1_30default_config_static_selectorELNS0_4arch9wavefront6targetE1EEEvT1_,comdat
.Lfunc_end605:
	.size	_ZN7rocprim17ROCPRIM_400000_NS6detail17trampoline_kernelINS0_14default_configENS1_27scan_by_key_config_selectorIssEEZZNS1_16scan_by_key_implILNS1_25lookback_scan_determinismE0ELb1ES3_N6thrust23THRUST_200600_302600_NS6detail15normal_iteratorINS9_10device_ptrIsEEEESE_SE_sNS9_10multipliesIsEENS9_8equal_toIsEEsEE10hipError_tPvRmT2_T3_T4_T5_mT6_T7_P12ihipStream_tbENKUlT_T0_E_clISt17integral_constantIbLb0EESZ_EEDaSU_SV_EUlSU_E_NS1_11comp_targetILNS1_3genE0ELNS1_11target_archE4294967295ELNS1_3gpuE0ELNS1_3repE0EEENS1_30default_config_static_selectorELNS0_4arch9wavefront6targetE1EEEvT1_, .Lfunc_end605-_ZN7rocprim17ROCPRIM_400000_NS6detail17trampoline_kernelINS0_14default_configENS1_27scan_by_key_config_selectorIssEEZZNS1_16scan_by_key_implILNS1_25lookback_scan_determinismE0ELb1ES3_N6thrust23THRUST_200600_302600_NS6detail15normal_iteratorINS9_10device_ptrIsEEEESE_SE_sNS9_10multipliesIsEENS9_8equal_toIsEEsEE10hipError_tPvRmT2_T3_T4_T5_mT6_T7_P12ihipStream_tbENKUlT_T0_E_clISt17integral_constantIbLb0EESZ_EEDaSU_SV_EUlSU_E_NS1_11comp_targetILNS1_3genE0ELNS1_11target_archE4294967295ELNS1_3gpuE0ELNS1_3repE0EEENS1_30default_config_static_selectorELNS0_4arch9wavefront6targetE1EEEvT1_
                                        ; -- End function
	.section	.AMDGPU.csdata,"",@progbits
; Kernel info:
; codeLenInByte = 0
; NumSgprs: 6
; NumVgprs: 0
; NumAgprs: 0
; TotalNumVgprs: 0
; ScratchSize: 0
; MemoryBound: 0
; FloatMode: 240
; IeeeMode: 1
; LDSByteSize: 0 bytes/workgroup (compile time only)
; SGPRBlocks: 0
; VGPRBlocks: 0
; NumSGPRsForWavesPerEU: 6
; NumVGPRsForWavesPerEU: 1
; AccumOffset: 4
; Occupancy: 8
; WaveLimiterHint : 0
; COMPUTE_PGM_RSRC2:SCRATCH_EN: 0
; COMPUTE_PGM_RSRC2:USER_SGPR: 2
; COMPUTE_PGM_RSRC2:TRAP_HANDLER: 0
; COMPUTE_PGM_RSRC2:TGID_X_EN: 1
; COMPUTE_PGM_RSRC2:TGID_Y_EN: 0
; COMPUTE_PGM_RSRC2:TGID_Z_EN: 0
; COMPUTE_PGM_RSRC2:TIDIG_COMP_CNT: 0
; COMPUTE_PGM_RSRC3_GFX90A:ACCUM_OFFSET: 0
; COMPUTE_PGM_RSRC3_GFX90A:TG_SPLIT: 0
	.section	.text._ZN7rocprim17ROCPRIM_400000_NS6detail17trampoline_kernelINS0_14default_configENS1_27scan_by_key_config_selectorIssEEZZNS1_16scan_by_key_implILNS1_25lookback_scan_determinismE0ELb1ES3_N6thrust23THRUST_200600_302600_NS6detail15normal_iteratorINS9_10device_ptrIsEEEESE_SE_sNS9_10multipliesIsEENS9_8equal_toIsEEsEE10hipError_tPvRmT2_T3_T4_T5_mT6_T7_P12ihipStream_tbENKUlT_T0_E_clISt17integral_constantIbLb0EESZ_EEDaSU_SV_EUlSU_E_NS1_11comp_targetILNS1_3genE10ELNS1_11target_archE1201ELNS1_3gpuE5ELNS1_3repE0EEENS1_30default_config_static_selectorELNS0_4arch9wavefront6targetE1EEEvT1_,"axG",@progbits,_ZN7rocprim17ROCPRIM_400000_NS6detail17trampoline_kernelINS0_14default_configENS1_27scan_by_key_config_selectorIssEEZZNS1_16scan_by_key_implILNS1_25lookback_scan_determinismE0ELb1ES3_N6thrust23THRUST_200600_302600_NS6detail15normal_iteratorINS9_10device_ptrIsEEEESE_SE_sNS9_10multipliesIsEENS9_8equal_toIsEEsEE10hipError_tPvRmT2_T3_T4_T5_mT6_T7_P12ihipStream_tbENKUlT_T0_E_clISt17integral_constantIbLb0EESZ_EEDaSU_SV_EUlSU_E_NS1_11comp_targetILNS1_3genE10ELNS1_11target_archE1201ELNS1_3gpuE5ELNS1_3repE0EEENS1_30default_config_static_selectorELNS0_4arch9wavefront6targetE1EEEvT1_,comdat
	.protected	_ZN7rocprim17ROCPRIM_400000_NS6detail17trampoline_kernelINS0_14default_configENS1_27scan_by_key_config_selectorIssEEZZNS1_16scan_by_key_implILNS1_25lookback_scan_determinismE0ELb1ES3_N6thrust23THRUST_200600_302600_NS6detail15normal_iteratorINS9_10device_ptrIsEEEESE_SE_sNS9_10multipliesIsEENS9_8equal_toIsEEsEE10hipError_tPvRmT2_T3_T4_T5_mT6_T7_P12ihipStream_tbENKUlT_T0_E_clISt17integral_constantIbLb0EESZ_EEDaSU_SV_EUlSU_E_NS1_11comp_targetILNS1_3genE10ELNS1_11target_archE1201ELNS1_3gpuE5ELNS1_3repE0EEENS1_30default_config_static_selectorELNS0_4arch9wavefront6targetE1EEEvT1_ ; -- Begin function _ZN7rocprim17ROCPRIM_400000_NS6detail17trampoline_kernelINS0_14default_configENS1_27scan_by_key_config_selectorIssEEZZNS1_16scan_by_key_implILNS1_25lookback_scan_determinismE0ELb1ES3_N6thrust23THRUST_200600_302600_NS6detail15normal_iteratorINS9_10device_ptrIsEEEESE_SE_sNS9_10multipliesIsEENS9_8equal_toIsEEsEE10hipError_tPvRmT2_T3_T4_T5_mT6_T7_P12ihipStream_tbENKUlT_T0_E_clISt17integral_constantIbLb0EESZ_EEDaSU_SV_EUlSU_E_NS1_11comp_targetILNS1_3genE10ELNS1_11target_archE1201ELNS1_3gpuE5ELNS1_3repE0EEENS1_30default_config_static_selectorELNS0_4arch9wavefront6targetE1EEEvT1_
	.globl	_ZN7rocprim17ROCPRIM_400000_NS6detail17trampoline_kernelINS0_14default_configENS1_27scan_by_key_config_selectorIssEEZZNS1_16scan_by_key_implILNS1_25lookback_scan_determinismE0ELb1ES3_N6thrust23THRUST_200600_302600_NS6detail15normal_iteratorINS9_10device_ptrIsEEEESE_SE_sNS9_10multipliesIsEENS9_8equal_toIsEEsEE10hipError_tPvRmT2_T3_T4_T5_mT6_T7_P12ihipStream_tbENKUlT_T0_E_clISt17integral_constantIbLb0EESZ_EEDaSU_SV_EUlSU_E_NS1_11comp_targetILNS1_3genE10ELNS1_11target_archE1201ELNS1_3gpuE5ELNS1_3repE0EEENS1_30default_config_static_selectorELNS0_4arch9wavefront6targetE1EEEvT1_
	.p2align	8
	.type	_ZN7rocprim17ROCPRIM_400000_NS6detail17trampoline_kernelINS0_14default_configENS1_27scan_by_key_config_selectorIssEEZZNS1_16scan_by_key_implILNS1_25lookback_scan_determinismE0ELb1ES3_N6thrust23THRUST_200600_302600_NS6detail15normal_iteratorINS9_10device_ptrIsEEEESE_SE_sNS9_10multipliesIsEENS9_8equal_toIsEEsEE10hipError_tPvRmT2_T3_T4_T5_mT6_T7_P12ihipStream_tbENKUlT_T0_E_clISt17integral_constantIbLb0EESZ_EEDaSU_SV_EUlSU_E_NS1_11comp_targetILNS1_3genE10ELNS1_11target_archE1201ELNS1_3gpuE5ELNS1_3repE0EEENS1_30default_config_static_selectorELNS0_4arch9wavefront6targetE1EEEvT1_,@function
_ZN7rocprim17ROCPRIM_400000_NS6detail17trampoline_kernelINS0_14default_configENS1_27scan_by_key_config_selectorIssEEZZNS1_16scan_by_key_implILNS1_25lookback_scan_determinismE0ELb1ES3_N6thrust23THRUST_200600_302600_NS6detail15normal_iteratorINS9_10device_ptrIsEEEESE_SE_sNS9_10multipliesIsEENS9_8equal_toIsEEsEE10hipError_tPvRmT2_T3_T4_T5_mT6_T7_P12ihipStream_tbENKUlT_T0_E_clISt17integral_constantIbLb0EESZ_EEDaSU_SV_EUlSU_E_NS1_11comp_targetILNS1_3genE10ELNS1_11target_archE1201ELNS1_3gpuE5ELNS1_3repE0EEENS1_30default_config_static_selectorELNS0_4arch9wavefront6targetE1EEEvT1_: ; @_ZN7rocprim17ROCPRIM_400000_NS6detail17trampoline_kernelINS0_14default_configENS1_27scan_by_key_config_selectorIssEEZZNS1_16scan_by_key_implILNS1_25lookback_scan_determinismE0ELb1ES3_N6thrust23THRUST_200600_302600_NS6detail15normal_iteratorINS9_10device_ptrIsEEEESE_SE_sNS9_10multipliesIsEENS9_8equal_toIsEEsEE10hipError_tPvRmT2_T3_T4_T5_mT6_T7_P12ihipStream_tbENKUlT_T0_E_clISt17integral_constantIbLb0EESZ_EEDaSU_SV_EUlSU_E_NS1_11comp_targetILNS1_3genE10ELNS1_11target_archE1201ELNS1_3gpuE5ELNS1_3repE0EEENS1_30default_config_static_selectorELNS0_4arch9wavefront6targetE1EEEvT1_
; %bb.0:
	.section	.rodata,"a",@progbits
	.p2align	6, 0x0
	.amdhsa_kernel _ZN7rocprim17ROCPRIM_400000_NS6detail17trampoline_kernelINS0_14default_configENS1_27scan_by_key_config_selectorIssEEZZNS1_16scan_by_key_implILNS1_25lookback_scan_determinismE0ELb1ES3_N6thrust23THRUST_200600_302600_NS6detail15normal_iteratorINS9_10device_ptrIsEEEESE_SE_sNS9_10multipliesIsEENS9_8equal_toIsEEsEE10hipError_tPvRmT2_T3_T4_T5_mT6_T7_P12ihipStream_tbENKUlT_T0_E_clISt17integral_constantIbLb0EESZ_EEDaSU_SV_EUlSU_E_NS1_11comp_targetILNS1_3genE10ELNS1_11target_archE1201ELNS1_3gpuE5ELNS1_3repE0EEENS1_30default_config_static_selectorELNS0_4arch9wavefront6targetE1EEEvT1_
		.amdhsa_group_segment_fixed_size 0
		.amdhsa_private_segment_fixed_size 0
		.amdhsa_kernarg_size 112
		.amdhsa_user_sgpr_count 2
		.amdhsa_user_sgpr_dispatch_ptr 0
		.amdhsa_user_sgpr_queue_ptr 0
		.amdhsa_user_sgpr_kernarg_segment_ptr 1
		.amdhsa_user_sgpr_dispatch_id 0
		.amdhsa_user_sgpr_kernarg_preload_length 0
		.amdhsa_user_sgpr_kernarg_preload_offset 0
		.amdhsa_user_sgpr_private_segment_size 0
		.amdhsa_uses_dynamic_stack 0
		.amdhsa_enable_private_segment 0
		.amdhsa_system_sgpr_workgroup_id_x 1
		.amdhsa_system_sgpr_workgroup_id_y 0
		.amdhsa_system_sgpr_workgroup_id_z 0
		.amdhsa_system_sgpr_workgroup_info 0
		.amdhsa_system_vgpr_workitem_id 0
		.amdhsa_next_free_vgpr 1
		.amdhsa_next_free_sgpr 0
		.amdhsa_accum_offset 4
		.amdhsa_reserve_vcc 0
		.amdhsa_float_round_mode_32 0
		.amdhsa_float_round_mode_16_64 0
		.amdhsa_float_denorm_mode_32 3
		.amdhsa_float_denorm_mode_16_64 3
		.amdhsa_dx10_clamp 1
		.amdhsa_ieee_mode 1
		.amdhsa_fp16_overflow 0
		.amdhsa_tg_split 0
		.amdhsa_exception_fp_ieee_invalid_op 0
		.amdhsa_exception_fp_denorm_src 0
		.amdhsa_exception_fp_ieee_div_zero 0
		.amdhsa_exception_fp_ieee_overflow 0
		.amdhsa_exception_fp_ieee_underflow 0
		.amdhsa_exception_fp_ieee_inexact 0
		.amdhsa_exception_int_div_zero 0
	.end_amdhsa_kernel
	.section	.text._ZN7rocprim17ROCPRIM_400000_NS6detail17trampoline_kernelINS0_14default_configENS1_27scan_by_key_config_selectorIssEEZZNS1_16scan_by_key_implILNS1_25lookback_scan_determinismE0ELb1ES3_N6thrust23THRUST_200600_302600_NS6detail15normal_iteratorINS9_10device_ptrIsEEEESE_SE_sNS9_10multipliesIsEENS9_8equal_toIsEEsEE10hipError_tPvRmT2_T3_T4_T5_mT6_T7_P12ihipStream_tbENKUlT_T0_E_clISt17integral_constantIbLb0EESZ_EEDaSU_SV_EUlSU_E_NS1_11comp_targetILNS1_3genE10ELNS1_11target_archE1201ELNS1_3gpuE5ELNS1_3repE0EEENS1_30default_config_static_selectorELNS0_4arch9wavefront6targetE1EEEvT1_,"axG",@progbits,_ZN7rocprim17ROCPRIM_400000_NS6detail17trampoline_kernelINS0_14default_configENS1_27scan_by_key_config_selectorIssEEZZNS1_16scan_by_key_implILNS1_25lookback_scan_determinismE0ELb1ES3_N6thrust23THRUST_200600_302600_NS6detail15normal_iteratorINS9_10device_ptrIsEEEESE_SE_sNS9_10multipliesIsEENS9_8equal_toIsEEsEE10hipError_tPvRmT2_T3_T4_T5_mT6_T7_P12ihipStream_tbENKUlT_T0_E_clISt17integral_constantIbLb0EESZ_EEDaSU_SV_EUlSU_E_NS1_11comp_targetILNS1_3genE10ELNS1_11target_archE1201ELNS1_3gpuE5ELNS1_3repE0EEENS1_30default_config_static_selectorELNS0_4arch9wavefront6targetE1EEEvT1_,comdat
.Lfunc_end606:
	.size	_ZN7rocprim17ROCPRIM_400000_NS6detail17trampoline_kernelINS0_14default_configENS1_27scan_by_key_config_selectorIssEEZZNS1_16scan_by_key_implILNS1_25lookback_scan_determinismE0ELb1ES3_N6thrust23THRUST_200600_302600_NS6detail15normal_iteratorINS9_10device_ptrIsEEEESE_SE_sNS9_10multipliesIsEENS9_8equal_toIsEEsEE10hipError_tPvRmT2_T3_T4_T5_mT6_T7_P12ihipStream_tbENKUlT_T0_E_clISt17integral_constantIbLb0EESZ_EEDaSU_SV_EUlSU_E_NS1_11comp_targetILNS1_3genE10ELNS1_11target_archE1201ELNS1_3gpuE5ELNS1_3repE0EEENS1_30default_config_static_selectorELNS0_4arch9wavefront6targetE1EEEvT1_, .Lfunc_end606-_ZN7rocprim17ROCPRIM_400000_NS6detail17trampoline_kernelINS0_14default_configENS1_27scan_by_key_config_selectorIssEEZZNS1_16scan_by_key_implILNS1_25lookback_scan_determinismE0ELb1ES3_N6thrust23THRUST_200600_302600_NS6detail15normal_iteratorINS9_10device_ptrIsEEEESE_SE_sNS9_10multipliesIsEENS9_8equal_toIsEEsEE10hipError_tPvRmT2_T3_T4_T5_mT6_T7_P12ihipStream_tbENKUlT_T0_E_clISt17integral_constantIbLb0EESZ_EEDaSU_SV_EUlSU_E_NS1_11comp_targetILNS1_3genE10ELNS1_11target_archE1201ELNS1_3gpuE5ELNS1_3repE0EEENS1_30default_config_static_selectorELNS0_4arch9wavefront6targetE1EEEvT1_
                                        ; -- End function
	.section	.AMDGPU.csdata,"",@progbits
; Kernel info:
; codeLenInByte = 0
; NumSgprs: 6
; NumVgprs: 0
; NumAgprs: 0
; TotalNumVgprs: 0
; ScratchSize: 0
; MemoryBound: 0
; FloatMode: 240
; IeeeMode: 1
; LDSByteSize: 0 bytes/workgroup (compile time only)
; SGPRBlocks: 0
; VGPRBlocks: 0
; NumSGPRsForWavesPerEU: 6
; NumVGPRsForWavesPerEU: 1
; AccumOffset: 4
; Occupancy: 8
; WaveLimiterHint : 0
; COMPUTE_PGM_RSRC2:SCRATCH_EN: 0
; COMPUTE_PGM_RSRC2:USER_SGPR: 2
; COMPUTE_PGM_RSRC2:TRAP_HANDLER: 0
; COMPUTE_PGM_RSRC2:TGID_X_EN: 1
; COMPUTE_PGM_RSRC2:TGID_Y_EN: 0
; COMPUTE_PGM_RSRC2:TGID_Z_EN: 0
; COMPUTE_PGM_RSRC2:TIDIG_COMP_CNT: 0
; COMPUTE_PGM_RSRC3_GFX90A:ACCUM_OFFSET: 0
; COMPUTE_PGM_RSRC3_GFX90A:TG_SPLIT: 0
	.section	.text._ZN7rocprim17ROCPRIM_400000_NS6detail17trampoline_kernelINS0_14default_configENS1_27scan_by_key_config_selectorIssEEZZNS1_16scan_by_key_implILNS1_25lookback_scan_determinismE0ELb1ES3_N6thrust23THRUST_200600_302600_NS6detail15normal_iteratorINS9_10device_ptrIsEEEESE_SE_sNS9_10multipliesIsEENS9_8equal_toIsEEsEE10hipError_tPvRmT2_T3_T4_T5_mT6_T7_P12ihipStream_tbENKUlT_T0_E_clISt17integral_constantIbLb0EESZ_EEDaSU_SV_EUlSU_E_NS1_11comp_targetILNS1_3genE5ELNS1_11target_archE942ELNS1_3gpuE9ELNS1_3repE0EEENS1_30default_config_static_selectorELNS0_4arch9wavefront6targetE1EEEvT1_,"axG",@progbits,_ZN7rocprim17ROCPRIM_400000_NS6detail17trampoline_kernelINS0_14default_configENS1_27scan_by_key_config_selectorIssEEZZNS1_16scan_by_key_implILNS1_25lookback_scan_determinismE0ELb1ES3_N6thrust23THRUST_200600_302600_NS6detail15normal_iteratorINS9_10device_ptrIsEEEESE_SE_sNS9_10multipliesIsEENS9_8equal_toIsEEsEE10hipError_tPvRmT2_T3_T4_T5_mT6_T7_P12ihipStream_tbENKUlT_T0_E_clISt17integral_constantIbLb0EESZ_EEDaSU_SV_EUlSU_E_NS1_11comp_targetILNS1_3genE5ELNS1_11target_archE942ELNS1_3gpuE9ELNS1_3repE0EEENS1_30default_config_static_selectorELNS0_4arch9wavefront6targetE1EEEvT1_,comdat
	.protected	_ZN7rocprim17ROCPRIM_400000_NS6detail17trampoline_kernelINS0_14default_configENS1_27scan_by_key_config_selectorIssEEZZNS1_16scan_by_key_implILNS1_25lookback_scan_determinismE0ELb1ES3_N6thrust23THRUST_200600_302600_NS6detail15normal_iteratorINS9_10device_ptrIsEEEESE_SE_sNS9_10multipliesIsEENS9_8equal_toIsEEsEE10hipError_tPvRmT2_T3_T4_T5_mT6_T7_P12ihipStream_tbENKUlT_T0_E_clISt17integral_constantIbLb0EESZ_EEDaSU_SV_EUlSU_E_NS1_11comp_targetILNS1_3genE5ELNS1_11target_archE942ELNS1_3gpuE9ELNS1_3repE0EEENS1_30default_config_static_selectorELNS0_4arch9wavefront6targetE1EEEvT1_ ; -- Begin function _ZN7rocprim17ROCPRIM_400000_NS6detail17trampoline_kernelINS0_14default_configENS1_27scan_by_key_config_selectorIssEEZZNS1_16scan_by_key_implILNS1_25lookback_scan_determinismE0ELb1ES3_N6thrust23THRUST_200600_302600_NS6detail15normal_iteratorINS9_10device_ptrIsEEEESE_SE_sNS9_10multipliesIsEENS9_8equal_toIsEEsEE10hipError_tPvRmT2_T3_T4_T5_mT6_T7_P12ihipStream_tbENKUlT_T0_E_clISt17integral_constantIbLb0EESZ_EEDaSU_SV_EUlSU_E_NS1_11comp_targetILNS1_3genE5ELNS1_11target_archE942ELNS1_3gpuE9ELNS1_3repE0EEENS1_30default_config_static_selectorELNS0_4arch9wavefront6targetE1EEEvT1_
	.globl	_ZN7rocprim17ROCPRIM_400000_NS6detail17trampoline_kernelINS0_14default_configENS1_27scan_by_key_config_selectorIssEEZZNS1_16scan_by_key_implILNS1_25lookback_scan_determinismE0ELb1ES3_N6thrust23THRUST_200600_302600_NS6detail15normal_iteratorINS9_10device_ptrIsEEEESE_SE_sNS9_10multipliesIsEENS9_8equal_toIsEEsEE10hipError_tPvRmT2_T3_T4_T5_mT6_T7_P12ihipStream_tbENKUlT_T0_E_clISt17integral_constantIbLb0EESZ_EEDaSU_SV_EUlSU_E_NS1_11comp_targetILNS1_3genE5ELNS1_11target_archE942ELNS1_3gpuE9ELNS1_3repE0EEENS1_30default_config_static_selectorELNS0_4arch9wavefront6targetE1EEEvT1_
	.p2align	8
	.type	_ZN7rocprim17ROCPRIM_400000_NS6detail17trampoline_kernelINS0_14default_configENS1_27scan_by_key_config_selectorIssEEZZNS1_16scan_by_key_implILNS1_25lookback_scan_determinismE0ELb1ES3_N6thrust23THRUST_200600_302600_NS6detail15normal_iteratorINS9_10device_ptrIsEEEESE_SE_sNS9_10multipliesIsEENS9_8equal_toIsEEsEE10hipError_tPvRmT2_T3_T4_T5_mT6_T7_P12ihipStream_tbENKUlT_T0_E_clISt17integral_constantIbLb0EESZ_EEDaSU_SV_EUlSU_E_NS1_11comp_targetILNS1_3genE5ELNS1_11target_archE942ELNS1_3gpuE9ELNS1_3repE0EEENS1_30default_config_static_selectorELNS0_4arch9wavefront6targetE1EEEvT1_,@function
_ZN7rocprim17ROCPRIM_400000_NS6detail17trampoline_kernelINS0_14default_configENS1_27scan_by_key_config_selectorIssEEZZNS1_16scan_by_key_implILNS1_25lookback_scan_determinismE0ELb1ES3_N6thrust23THRUST_200600_302600_NS6detail15normal_iteratorINS9_10device_ptrIsEEEESE_SE_sNS9_10multipliesIsEENS9_8equal_toIsEEsEE10hipError_tPvRmT2_T3_T4_T5_mT6_T7_P12ihipStream_tbENKUlT_T0_E_clISt17integral_constantIbLb0EESZ_EEDaSU_SV_EUlSU_E_NS1_11comp_targetILNS1_3genE5ELNS1_11target_archE942ELNS1_3gpuE9ELNS1_3repE0EEENS1_30default_config_static_selectorELNS0_4arch9wavefront6targetE1EEEvT1_: ; @_ZN7rocprim17ROCPRIM_400000_NS6detail17trampoline_kernelINS0_14default_configENS1_27scan_by_key_config_selectorIssEEZZNS1_16scan_by_key_implILNS1_25lookback_scan_determinismE0ELb1ES3_N6thrust23THRUST_200600_302600_NS6detail15normal_iteratorINS9_10device_ptrIsEEEESE_SE_sNS9_10multipliesIsEENS9_8equal_toIsEEsEE10hipError_tPvRmT2_T3_T4_T5_mT6_T7_P12ihipStream_tbENKUlT_T0_E_clISt17integral_constantIbLb0EESZ_EEDaSU_SV_EUlSU_E_NS1_11comp_targetILNS1_3genE5ELNS1_11target_archE942ELNS1_3gpuE9ELNS1_3repE0EEENS1_30default_config_static_selectorELNS0_4arch9wavefront6targetE1EEEvT1_
; %bb.0:
	s_load_dwordx8 s[48:55], s[0:1], 0x0
	s_load_dword s78, s[0:1], 0x20
	s_load_dwordx4 s[56:59], s[0:1], 0x28
	s_load_dwordx2 s[68:69], s[0:1], 0x38
	s_load_dword s3, s[0:1], 0x40
	s_load_dwordx4 s[60:63], s[0:1], 0x48
	s_waitcnt lgkmcnt(0)
	s_lshl_b64 s[64:65], s[50:51], 1
	s_add_u32 s4, s48, s64
	s_addc_u32 s5, s49, s65
	s_add_u32 s6, s52, s64
	s_mul_i32 s0, s69, s3
	s_mul_hi_u32 s1, s68, s3
	s_addc_u32 s7, s53, s65
	s_add_i32 s8, s1, s0
	s_mul_i32 s0, s2, 0x1800
	s_mov_b32 s1, 0
	s_lshl_b64 s[66:67], s[0:1], 1
	s_add_u32 s72, s4, s66
	s_addc_u32 s73, s5, s67
	s_add_u32 s70, s6, s66
	s_mul_i32 s3, s68, s3
	s_addc_u32 s71, s7, s67
	s_add_u32 s0, s3, s2
	s_addc_u32 s1, s8, 0
	s_add_u32 s6, s60, -1
	s_addc_u32 s7, s61, -1
	v_mov_b64_e32 v[2:3], s[6:7]
	v_cmp_ge_u64_e64 s[0:1], s[0:1], v[2:3]
	s_mov_b64 s[4:5], -1
	s_and_b64 vcc, exec, s[0:1]
	s_mul_i32 s33, s6, 0xffffe800
	s_barrier
	s_cbranch_vccz .LBB607_126
; %bb.1:
	v_mov_b64_e32 v[2:3], s[72:73]
	flat_load_ushort v1, v[2:3]
	s_add_i32 s59, s33, s58
	v_cmp_gt_u32_e32 vcc, s59, v0
	s_waitcnt vmcnt(0) lgkmcnt(0)
	v_mov_b32_e32 v2, v1
	s_and_saveexec_b64 s[4:5], vcc
	s_cbranch_execz .LBB607_3
; %bb.2:
	v_lshlrev_b32_e32 v2, 1, v0
	v_mov_b32_e32 v3, 0
	v_lshl_add_u64 v[2:3], s[72:73], 0, v[2:3]
	flat_load_ushort v2, v[2:3]
.LBB607_3:
	s_or_b64 exec, exec, s[4:5]
	v_or_b32_e32 v3, 0x100, v0
	v_cmp_gt_u32_e64 s[50:51], s59, v3
	v_mov_b32_e32 v3, v1
	s_and_saveexec_b64 s[4:5], s[50:51]
	s_cbranch_execz .LBB607_5
; %bb.4:
	v_lshlrev_b32_e32 v4, 1, v0
	v_mov_b32_e32 v5, 0
	v_lshl_add_u64 v[4:5], s[72:73], 0, v[4:5]
	flat_load_ushort v3, v[4:5] offset:512
.LBB607_5:
	s_or_b64 exec, exec, s[4:5]
	v_or_b32_e32 v4, 0x200, v0
	v_cmp_gt_u32_e64 s[4:5], s59, v4
	v_mov_b32_e32 v4, v1
	s_and_saveexec_b64 s[6:7], s[4:5]
	s_cbranch_execz .LBB607_7
; %bb.6:
	v_lshlrev_b32_e32 v4, 1, v0
	v_mov_b32_e32 v5, 0
	v_lshl_add_u64 v[4:5], s[72:73], 0, v[4:5]
	flat_load_ushort v4, v[4:5] offset:1024
.LBB607_7:
	;; [unrolled: 12-line block ×7, first 2 shown]
	s_or_b64 exec, exec, s[16:17]
	v_or_b32_e32 v10, 0x800, v0
	v_cmp_gt_u32_e64 s[16:17], s59, v10
	v_lshlrev_b32_e32 v14, 1, v10
	v_mov_b32_e32 v10, v1
	s_and_saveexec_b64 s[18:19], s[16:17]
	s_cbranch_execz .LBB607_19
; %bb.18:
	v_mov_b32_e32 v15, 0
	v_lshl_add_u64 v[10:11], s[72:73], 0, v[14:15]
	flat_load_ushort v10, v[10:11]
.LBB607_19:
	s_or_b64 exec, exec, s[18:19]
	v_or_b32_e32 v11, 0x900, v0
	v_cmp_gt_u32_e64 s[18:19], s59, v11
	v_lshlrev_b32_e32 v16, 1, v11
	v_mov_b32_e32 v11, v1
	s_and_saveexec_b64 s[20:21], s[18:19]
	s_cbranch_execz .LBB607_21
; %bb.20:
	v_mov_b32_e32 v17, 0
	v_lshl_add_u64 v[12:13], s[72:73], 0, v[16:17]
	flat_load_ushort v11, v[12:13]
.LBB607_21:
	;; [unrolled: 12-line block ×15, first 2 shown]
	s_or_b64 exec, exec, s[48:49]
	v_or_b32_e32 v36, 0x1700, v0
	v_cmp_gt_u32_e64 s[48:49], s59, v36
	v_lshlrev_b32_e32 v46, 1, v36
	s_and_saveexec_b64 s[52:53], s[48:49]
	s_cbranch_execz .LBB607_49
; %bb.48:
	v_mov_b32_e32 v47, 0
	v_lshl_add_u64 v[36:37], s[72:73], 0, v[46:47]
	flat_load_ushort v1, v[36:37]
.LBB607_49:
	s_or_b64 exec, exec, s[52:53]
	v_lshlrev_b32_e32 v36, 1, v0
	s_waitcnt vmcnt(0) lgkmcnt(0)
	ds_write_b16 v36, v2
	ds_write_b16 v36, v3 offset:512
	ds_write_b16 v36, v4 offset:1024
	;; [unrolled: 1-line block ×23, first 2 shown]
	v_mov_b64_e32 v[2:3], s[72:73]
	s_waitcnt lgkmcnt(0)
	s_barrier
	flat_load_ushort v48, v[2:3]
	v_mad_u32_u24 v49, v0, 46, v36
	ds_read_b128 v[10:13], v49
	ds_read_b128 v[6:9], v49 offset:16
	ds_read_b128 v[2:5], v49 offset:32
	s_movk_i32 s3, 0xffd2
	v_mad_i32_i24 v1, v0, s3, v49
	s_movk_i32 s3, 0xff
	v_cmp_ne_u32_e64 s[52:53], s3, v0
	s_waitcnt lgkmcnt(0)
	ds_write_b16 v1, v10 offset:12800
	s_waitcnt lgkmcnt(0)
	s_barrier
	s_and_saveexec_b64 s[60:61], s[52:53]
	s_cbranch_execz .LBB607_51
; %bb.50:
	s_waitcnt vmcnt(0)
	ds_read_u16 v48, v36 offset:12802
.LBB607_51:
	s_or_b64 exec, exec, s[60:61]
	v_mov_b32_e32 v37, 0
	s_waitcnt lgkmcnt(0)
	s_barrier
	s_waitcnt lgkmcnt(0)
                                        ; implicit-def: $vgpr1
	s_and_saveexec_b64 s[52:53], vcc
	s_cbranch_execz .LBB607_201
; %bb.52:
	v_lshl_add_u64 v[50:51], s[70:71], 0, v[36:37]
	flat_load_ushort v1, v[50:51]
	s_or_b64 exec, exec, s[52:53]
                                        ; implicit-def: $vgpr50
	s_and_saveexec_b64 s[52:53], s[50:51]
	s_cbranch_execnz .LBB607_202
.LBB607_53:
	s_or_b64 exec, exec, s[52:53]
                                        ; implicit-def: $vgpr51
	s_and_saveexec_b64 s[50:51], s[4:5]
	s_cbranch_execz .LBB607_203
.LBB607_54:
	v_mov_b32_e32 v37, 0
	v_lshl_add_u64 v[52:53], s[70:71], 0, v[36:37]
	flat_load_ushort v51, v[52:53] offset:1024
	s_or_b64 exec, exec, s[50:51]
                                        ; implicit-def: $vgpr52
	s_and_saveexec_b64 s[4:5], s[6:7]
	s_cbranch_execnz .LBB607_204
.LBB607_55:
	s_or_b64 exec, exec, s[4:5]
                                        ; implicit-def: $vgpr53
	s_and_saveexec_b64 s[4:5], s[8:9]
	s_cbranch_execz .LBB607_205
.LBB607_56:
	v_mov_b32_e32 v37, 0
	v_lshl_add_u64 v[54:55], s[70:71], 0, v[36:37]
	flat_load_ushort v53, v[54:55] offset:2048
	s_or_b64 exec, exec, s[4:5]
                                        ; implicit-def: $vgpr54
	s_and_saveexec_b64 s[4:5], s[10:11]
	s_cbranch_execnz .LBB607_206
.LBB607_57:
	s_or_b64 exec, exec, s[4:5]
                                        ; implicit-def: $vgpr55
	s_and_saveexec_b64 s[4:5], s[12:13]
	s_cbranch_execz .LBB607_207
.LBB607_58:
	v_mov_b32_e32 v37, 0
	v_lshl_add_u64 v[56:57], s[70:71], 0, v[36:37]
	flat_load_ushort v55, v[56:57] offset:3072
	s_or_b64 exec, exec, s[4:5]
                                        ; implicit-def: $vgpr37
	s_and_saveexec_b64 s[4:5], s[14:15]
	s_cbranch_execnz .LBB607_208
.LBB607_59:
	s_or_b64 exec, exec, s[4:5]
                                        ; implicit-def: $vgpr15
	s_and_saveexec_b64 s[4:5], s[16:17]
	s_cbranch_execz .LBB607_209
.LBB607_60:
	v_mov_b32_e32 v15, 0
	v_lshl_add_u64 v[14:15], s[70:71], 0, v[14:15]
	flat_load_ushort v15, v[14:15]
	s_or_b64 exec, exec, s[4:5]
                                        ; implicit-def: $vgpr14
	s_and_saveexec_b64 s[4:5], s[18:19]
	s_cbranch_execnz .LBB607_210
.LBB607_61:
	s_or_b64 exec, exec, s[4:5]
                                        ; implicit-def: $vgpr16
	s_and_saveexec_b64 s[4:5], s[20:21]
	s_cbranch_execz .LBB607_211
.LBB607_62:
	v_mov_b32_e32 v19, 0
	v_lshl_add_u64 v[16:17], s[70:71], 0, v[18:19]
	flat_load_ushort v16, v[16:17]
	s_or_b64 exec, exec, s[4:5]
                                        ; implicit-def: $vgpr17
	s_and_saveexec_b64 s[4:5], s[22:23]
	s_cbranch_execnz .LBB607_212
.LBB607_63:
	s_or_b64 exec, exec, s[4:5]
                                        ; implicit-def: $vgpr18
	s_and_saveexec_b64 s[4:5], s[24:25]
	s_cbranch_execz .LBB607_213
.LBB607_64:
	v_mov_b32_e32 v23, 0
	v_lshl_add_u64 v[18:19], s[70:71], 0, v[22:23]
	flat_load_ushort v18, v[18:19]
	s_or_b64 exec, exec, s[4:5]
                                        ; implicit-def: $vgpr19
	s_and_saveexec_b64 s[4:5], s[26:27]
	s_cbranch_execnz .LBB607_214
.LBB607_65:
	s_or_b64 exec, exec, s[4:5]
                                        ; implicit-def: $vgpr20
	s_and_saveexec_b64 s[4:5], s[28:29]
	s_cbranch_execz .LBB607_215
.LBB607_66:
	v_mov_b32_e32 v27, 0
	v_lshl_add_u64 v[20:21], s[70:71], 0, v[26:27]
	flat_load_ushort v20, v[20:21]
	s_or_b64 exec, exec, s[4:5]
                                        ; implicit-def: $vgpr21
	s_and_saveexec_b64 s[4:5], s[30:31]
	s_cbranch_execnz .LBB607_216
.LBB607_67:
	s_or_b64 exec, exec, s[4:5]
                                        ; implicit-def: $vgpr22
	s_and_saveexec_b64 s[4:5], s[34:35]
	s_cbranch_execz .LBB607_217
.LBB607_68:
	v_mov_b32_e32 v31, 0
	v_lshl_add_u64 v[22:23], s[70:71], 0, v[30:31]
	flat_load_ushort v22, v[22:23]
	s_or_b64 exec, exec, s[4:5]
                                        ; implicit-def: $vgpr23
	s_and_saveexec_b64 s[4:5], s[36:37]
	s_cbranch_execnz .LBB607_218
.LBB607_69:
	s_or_b64 exec, exec, s[4:5]
                                        ; implicit-def: $vgpr24
	s_and_saveexec_b64 s[4:5], s[38:39]
	s_cbranch_execz .LBB607_219
.LBB607_70:
	v_mov_b32_e32 v35, 0
	v_lshl_add_u64 v[24:25], s[70:71], 0, v[34:35]
	flat_load_ushort v24, v[24:25]
	s_or_b64 exec, exec, s[4:5]
                                        ; implicit-def: $vgpr25
	s_and_saveexec_b64 s[4:5], s[40:41]
	s_cbranch_execnz .LBB607_220
.LBB607_71:
	s_or_b64 exec, exec, s[4:5]
                                        ; implicit-def: $vgpr27
	s_and_saveexec_b64 s[4:5], s[42:43]
	s_cbranch_execz .LBB607_221
.LBB607_72:
	v_mov_b32_e32 v41, 0
	v_lshl_add_u64 v[26:27], s[70:71], 0, v[40:41]
	flat_load_ushort v27, v[26:27]
	s_or_b64 exec, exec, s[4:5]
                                        ; implicit-def: $vgpr28
	s_and_saveexec_b64 s[4:5], s[44:45]
	s_cbranch_execnz .LBB607_222
.LBB607_73:
	s_or_b64 exec, exec, s[4:5]
                                        ; implicit-def: $vgpr29
	s_and_saveexec_b64 s[4:5], s[46:47]
	s_cbranch_execz .LBB607_75
.LBB607_74:
	v_mov_b32_e32 v45, 0
	v_lshl_add_u64 v[30:31], s[70:71], 0, v[44:45]
	flat_load_ushort v29, v[30:31]
.LBB607_75:
	s_or_b64 exec, exec, s[4:5]
	v_mul_u32_u24_e32 v26, 24, v0
                                        ; implicit-def: $vgpr30
	s_and_saveexec_b64 s[4:5], s[48:49]
	s_cbranch_execz .LBB607_77
; %bb.76:
	v_mov_b32_e32 v47, 0
	v_lshl_add_u64 v[30:31], s[70:71], 0, v[46:47]
	flat_load_ushort v30, v[30:31]
.LBB607_77:
	s_or_b64 exec, exec, s[4:5]
	s_waitcnt vmcnt(0) lgkmcnt(0)
	ds_write_b16 v36, v1
	ds_write_b16 v36, v50 offset:512
	ds_write_b16 v36, v51 offset:1024
	ds_write_b16 v36, v52 offset:1536
	ds_write_b16 v36, v53 offset:2048
	ds_write_b16 v36, v54 offset:2560
	ds_write_b16 v36, v55 offset:3072
	ds_write_b16 v36, v37 offset:3584
	ds_write_b16 v36, v15 offset:4096
	ds_write_b16 v36, v14 offset:4608
	ds_write_b16 v36, v16 offset:5120
	ds_write_b16 v36, v17 offset:5632
	ds_write_b16 v36, v18 offset:6144
	ds_write_b16 v36, v19 offset:6656
	ds_write_b16 v36, v20 offset:7168
	ds_write_b16 v36, v21 offset:7680
	ds_write_b16 v36, v22 offset:8192
	ds_write_b16 v36, v23 offset:8704
	ds_write_b16 v36, v24 offset:9216
	ds_write_b16 v36, v25 offset:9728
	ds_write_b16 v36, v27 offset:10240
	ds_write_b16 v36, v28 offset:10752
	ds_write_b16 v36, v29 offset:11264
	ds_write_b16 v36, v30 offset:11776
	v_cmp_gt_u32_e32 vcc, s59, v26
	s_mov_b64 s[4:5], 0
	s_mov_b32 s3, 0
	v_mov_b32_e32 v1, 0
	s_mov_b64 s[10:11], 0
	v_mov_b32_e32 v18, 0
	v_mov_b32_e32 v25, 0
	v_mov_b32_e32 v19, 0
	v_mov_b32_e32 v27, 0
	v_mov_b32_e32 v20, 0
	v_mov_b32_e32 v28, 0
	v_mov_b32_e32 v21, 0
	v_mov_b32_e32 v29, 0
	v_mov_b32_e32 v30, 0
	v_mov_b32_e32 v31, 0
	v_mov_b32_e32 v32, 0
	v_mov_b32_e32 v33, 0
	v_mov_b32_e32 v34, 0
	v_mov_b32_e32 v35, 0
	v_mov_b32_e32 v36, 0
	v_mov_b32_e32 v37, 0
	v_mov_b32_e32 v22, 0
	v_mov_b32_e32 v38, 0
	v_mov_b32_e32 v23, 0
	v_mov_b32_e32 v39, 0
	v_mov_b32_e32 v24, 0
	v_mov_b32_e32 v40, 0
	s_waitcnt lgkmcnt(0)
	s_barrier
	s_waitcnt lgkmcnt(0)
                                        ; implicit-def: $sgpr8_sgpr9
                                        ; implicit-def: $vgpr41
	s_and_saveexec_b64 s[6:7], vcc
	s_cbranch_execz .LBB607_125
; %bb.78:
	ds_read_u16 v1, v49
	v_mov_b32_e32 v15, s78
	v_cmp_eq_u16_sdwa vcc, v10, v10 src0_sel:DWORD src1_sel:WORD_1
	v_cmp_ne_u16_sdwa s[8:9], v10, v10 src0_sel:DWORD src1_sel:WORD_1
	v_or_b32_e32 v14, 1, v26
	s_waitcnt lgkmcnt(0)
	v_cndmask_b32_e32 v1, v15, v1, vcc
	v_and_b32_e32 v1, 0xffff, v1
	v_cndmask_b32_e64 v15, 0, 1, s[8:9]
	v_lshl_or_b32 v1, v15, 16, v1
	v_cmp_gt_u32_e32 vcc, s59, v14
	v_mov_b32_e32 v18, 0
	v_mov_b32_e32 v25, 0
	;; [unrolled: 1-line block ×22, first 2 shown]
                                        ; implicit-def: $sgpr12_sgpr13
                                        ; implicit-def: $vgpr41
	s_and_saveexec_b64 s[8:9], vcc
	s_cbranch_execz .LBB607_124
; %bb.79:
	ds_read_b128 v[14:17], v49 offset:2
	v_mov_b32_e32 v18, s78
	v_cmp_eq_u16_sdwa vcc, v10, v11 src0_sel:WORD_1 src1_sel:DWORD
	v_cmp_ne_u16_sdwa s[10:11], v10, v11 src0_sel:WORD_1 src1_sel:DWORD
	v_or_b32_e32 v19, 2, v26
	s_waitcnt lgkmcnt(0)
	v_cndmask_b32_e32 v18, v18, v14, vcc
	v_and_b32_e32 v18, 0xffff, v18
	v_cndmask_b32_e64 v10, 0, 1, s[10:11]
	v_lshl_or_b32 v18, v10, 16, v18
	v_cmp_gt_u32_e32 vcc, s59, v19
	s_mov_b64 s[14:15], 0
	v_mov_b32_e32 v25, 0
	v_mov_b32_e32 v19, 0
	;; [unrolled: 1-line block ×21, first 2 shown]
                                        ; implicit-def: $sgpr12_sgpr13
                                        ; implicit-def: $vgpr41
	s_and_saveexec_b64 s[10:11], vcc
	s_cbranch_execz .LBB607_123
; %bb.80:
	v_lshrrev_b32_e32 v10, 16, v14
	v_mov_b32_e32 v19, s78
	v_cmp_eq_u16_sdwa vcc, v11, v11 src0_sel:DWORD src1_sel:WORD_1
	v_cmp_ne_u16_sdwa s[12:13], v11, v11 src0_sel:DWORD src1_sel:WORD_1
	v_or_b32_e32 v14, 3, v26
	v_cndmask_b32_e32 v10, v19, v10, vcc
	v_and_b32_e32 v10, 0xffff, v10
	v_cndmask_b32_e64 v19, 0, 1, s[12:13]
	v_lshl_or_b32 v25, v19, 16, v10
	v_cmp_gt_u32_e32 vcc, s59, v14
	v_mov_b32_e32 v19, 0
	v_mov_b32_e32 v27, 0
	;; [unrolled: 1-line block ×20, first 2 shown]
                                        ; implicit-def: $sgpr16_sgpr17
                                        ; implicit-def: $vgpr41
	s_and_saveexec_b64 s[12:13], vcc
	s_cbranch_execz .LBB607_122
; %bb.81:
	v_mov_b32_e32 v14, s78
	v_cmp_eq_u16_sdwa vcc, v11, v12 src0_sel:WORD_1 src1_sel:DWORD
	v_cmp_ne_u16_sdwa s[14:15], v11, v12 src0_sel:WORD_1 src1_sel:DWORD
	v_or_b32_e32 v10, 4, v26
	v_cndmask_b32_e32 v14, v14, v15, vcc
	v_and_b32_e32 v14, 0xffff, v14
	v_cndmask_b32_e64 v11, 0, 1, s[14:15]
	v_lshl_or_b32 v19, v11, 16, v14
	v_cmp_gt_u32_e32 vcc, s59, v10
	s_mov_b64 s[18:19], 0
	v_mov_b32_e32 v27, 0
	v_mov_b32_e32 v20, 0
	;; [unrolled: 1-line block ×19, first 2 shown]
                                        ; implicit-def: $sgpr16_sgpr17
                                        ; implicit-def: $vgpr41
	s_and_saveexec_b64 s[14:15], vcc
	s_cbranch_execz .LBB607_121
; %bb.82:
	v_lshrrev_b32_e32 v10, 16, v15
	v_mov_b32_e32 v14, s78
	v_cmp_eq_u16_sdwa vcc, v12, v12 src0_sel:DWORD src1_sel:WORD_1
	v_cmp_ne_u16_sdwa s[16:17], v12, v12 src0_sel:DWORD src1_sel:WORD_1
	v_or_b32_e32 v11, 5, v26
	v_cndmask_b32_e32 v10, v14, v10, vcc
	v_and_b32_e32 v10, 0xffff, v10
	v_cndmask_b32_e64 v14, 0, 1, s[16:17]
	v_lshl_or_b32 v27, v14, 16, v10
	v_cmp_gt_u32_e32 vcc, s59, v11
	v_mov_b32_e32 v20, 0
	v_mov_b32_e32 v28, 0
	v_mov_b32_e32 v21, 0
	v_mov_b32_e32 v29, 0
	v_mov_b32_e32 v30, 0
	v_mov_b32_e32 v31, 0
	v_mov_b32_e32 v32, 0
	v_mov_b32_e32 v33, 0
	v_mov_b32_e32 v34, 0
	v_mov_b32_e32 v35, 0
	v_mov_b32_e32 v36, 0
	v_mov_b32_e32 v37, 0
	v_mov_b32_e32 v22, 0
	v_mov_b32_e32 v38, 0
	v_mov_b32_e32 v23, 0
	v_mov_b32_e32 v39, 0
	v_mov_b32_e32 v24, 0
	v_mov_b32_e32 v40, 0
                                        ; implicit-def: $sgpr20_sgpr21
                                        ; implicit-def: $vgpr41
	s_and_saveexec_b64 s[16:17], vcc
	s_cbranch_execz .LBB607_120
; %bb.83:
	v_mov_b32_e32 v11, s78
	v_cmp_eq_u16_sdwa vcc, v12, v13 src0_sel:WORD_1 src1_sel:DWORD
	v_cmp_ne_u16_sdwa s[18:19], v12, v13 src0_sel:WORD_1 src1_sel:DWORD
	v_or_b32_e32 v10, 6, v26
	v_cndmask_b32_e32 v11, v11, v16, vcc
	v_and_b32_e32 v11, 0xffff, v11
	v_cndmask_b32_e64 v12, 0, 1, s[18:19]
	v_lshl_or_b32 v20, v12, 16, v11
	v_cmp_gt_u32_e32 vcc, s59, v10
	s_mov_b64 s[22:23], 0
	v_mov_b32_e32 v28, 0
	v_mov_b32_e32 v21, 0
	;; [unrolled: 1-line block ×17, first 2 shown]
                                        ; implicit-def: $sgpr20_sgpr21
                                        ; implicit-def: $vgpr41
	s_and_saveexec_b64 s[18:19], vcc
	s_cbranch_execz .LBB607_119
; %bb.84:
	v_lshrrev_b32_e32 v10, 16, v16
	v_mov_b32_e32 v12, s78
	v_cmp_eq_u16_sdwa vcc, v13, v13 src0_sel:DWORD src1_sel:WORD_1
	v_cmp_ne_u16_sdwa s[20:21], v13, v13 src0_sel:DWORD src1_sel:WORD_1
	v_or_b32_e32 v11, 7, v26
	v_cndmask_b32_e32 v10, v12, v10, vcc
	v_and_b32_e32 v10, 0xffff, v10
	v_cndmask_b32_e64 v12, 0, 1, s[20:21]
	v_lshl_or_b32 v28, v12, 16, v10
	v_cmp_gt_u32_e32 vcc, s59, v11
	v_mov_b32_e32 v21, 0
	v_mov_b32_e32 v29, 0
	v_mov_b32_e32 v30, 0
	v_mov_b32_e32 v31, 0
	v_mov_b32_e32 v32, 0
	v_mov_b32_e32 v33, 0
	v_mov_b32_e32 v34, 0
	v_mov_b32_e32 v35, 0
	v_mov_b32_e32 v36, 0
	v_mov_b32_e32 v37, 0
	v_mov_b32_e32 v22, 0
	v_mov_b32_e32 v38, 0
	v_mov_b32_e32 v23, 0
	v_mov_b32_e32 v39, 0
	v_mov_b32_e32 v24, 0
	v_mov_b32_e32 v40, 0
                                        ; implicit-def: $sgpr24_sgpr25
                                        ; implicit-def: $vgpr41
	s_and_saveexec_b64 s[20:21], vcc
	s_cbranch_execz .LBB607_118
; %bb.85:
	v_mov_b32_e32 v11, s78
	v_cmp_eq_u16_sdwa vcc, v13, v6 src0_sel:WORD_1 src1_sel:DWORD
	v_cmp_ne_u16_sdwa s[22:23], v13, v6 src0_sel:WORD_1 src1_sel:DWORD
	v_add_u32_e32 v10, 8, v26
	v_cndmask_b32_e32 v11, v11, v17, vcc
	v_and_b32_e32 v11, 0xffff, v11
	v_cndmask_b32_e64 v12, 0, 1, s[22:23]
	v_lshl_or_b32 v21, v12, 16, v11
	v_cmp_gt_u32_e32 vcc, s59, v10
	s_mov_b64 s[26:27], 0
	v_mov_b32_e32 v29, 0
	v_mov_b32_e32 v30, 0
	;; [unrolled: 1-line block ×15, first 2 shown]
                                        ; implicit-def: $sgpr24_sgpr25
                                        ; implicit-def: $vgpr41
	s_and_saveexec_b64 s[22:23], vcc
	s_cbranch_execz .LBB607_117
; %bb.86:
	v_lshrrev_b32_e32 v10, 16, v17
	v_mov_b32_e32 v12, s78
	v_cmp_eq_u16_sdwa vcc, v6, v6 src0_sel:DWORD src1_sel:WORD_1
	v_cmp_ne_u16_sdwa s[24:25], v6, v6 src0_sel:DWORD src1_sel:WORD_1
	v_add_u32_e32 v11, 9, v26
	v_cndmask_b32_e32 v10, v12, v10, vcc
	v_and_b32_e32 v10, 0xffff, v10
	v_cndmask_b32_e64 v12, 0, 1, s[24:25]
	v_lshl_or_b32 v29, v12, 16, v10
	v_cmp_gt_u32_e32 vcc, s59, v11
	v_mov_b32_e32 v30, 0
	v_mov_b32_e32 v31, 0
	;; [unrolled: 1-line block ×14, first 2 shown]
                                        ; implicit-def: $sgpr28_sgpr29
                                        ; implicit-def: $vgpr41
	s_and_saveexec_b64 s[24:25], vcc
	s_cbranch_execz .LBB607_116
; %bb.87:
	ds_read_b128 v[10:13], v49 offset:18
	v_mov_b32_e32 v15, s78
	v_cmp_eq_u16_sdwa vcc, v6, v7 src0_sel:WORD_1 src1_sel:DWORD
	v_cmp_ne_u16_sdwa s[26:27], v6, v7 src0_sel:WORD_1 src1_sel:DWORD
	v_add_u32_e32 v14, 10, v26
	s_waitcnt lgkmcnt(0)
	v_cndmask_b32_e32 v15, v15, v10, vcc
	v_and_b32_e32 v15, 0xffff, v15
	v_cndmask_b32_e64 v6, 0, 1, s[26:27]
	v_lshl_or_b32 v30, v6, 16, v15
	v_cmp_gt_u32_e32 vcc, s59, v14
	s_mov_b64 s[30:31], 0
	v_mov_b32_e32 v31, 0
	v_mov_b32_e32 v32, 0
	;; [unrolled: 1-line block ×13, first 2 shown]
                                        ; implicit-def: $sgpr28_sgpr29
                                        ; implicit-def: $vgpr41
	s_and_saveexec_b64 s[26:27], vcc
	s_cbranch_execz .LBB607_115
; %bb.88:
	v_lshrrev_b32_e32 v6, 16, v10
	v_mov_b32_e32 v14, s78
	v_cmp_eq_u16_sdwa vcc, v7, v7 src0_sel:DWORD src1_sel:WORD_1
	v_cmp_ne_u16_sdwa s[28:29], v7, v7 src0_sel:DWORD src1_sel:WORD_1
	v_add_u32_e32 v10, 11, v26
	v_cndmask_b32_e32 v6, v14, v6, vcc
	v_and_b32_e32 v6, 0xffff, v6
	v_cndmask_b32_e64 v14, 0, 1, s[28:29]
	v_lshl_or_b32 v31, v14, 16, v6
	v_cmp_gt_u32_e32 vcc, s59, v10
	v_mov_b32_e32 v32, 0
	v_mov_b32_e32 v33, 0
	;; [unrolled: 1-line block ×12, first 2 shown]
                                        ; implicit-def: $sgpr34_sgpr35
                                        ; implicit-def: $vgpr41
	s_and_saveexec_b64 s[28:29], vcc
	s_cbranch_execz .LBB607_114
; %bb.89:
	v_mov_b32_e32 v10, s78
	v_cmp_eq_u16_sdwa vcc, v7, v8 src0_sel:WORD_1 src1_sel:DWORD
	v_cmp_ne_u16_sdwa s[30:31], v7, v8 src0_sel:WORD_1 src1_sel:DWORD
	v_add_u32_e32 v6, 12, v26
	v_cndmask_b32_e32 v10, v10, v11, vcc
	v_and_b32_e32 v10, 0xffff, v10
	v_cndmask_b32_e64 v7, 0, 1, s[30:31]
	v_lshl_or_b32 v32, v7, 16, v10
	v_cmp_gt_u32_e32 vcc, s59, v6
	s_mov_b64 s[36:37], 0
	v_mov_b32_e32 v33, 0
	v_mov_b32_e32 v34, 0
	v_mov_b32_e32 v35, 0
	v_mov_b32_e32 v36, 0
	v_mov_b32_e32 v37, 0
	v_mov_b32_e32 v22, 0
	v_mov_b32_e32 v38, 0
	v_mov_b32_e32 v23, 0
	v_mov_b32_e32 v39, 0
	v_mov_b32_e32 v24, 0
	v_mov_b32_e32 v40, 0
                                        ; implicit-def: $sgpr34_sgpr35
                                        ; implicit-def: $vgpr41
	s_and_saveexec_b64 s[30:31], vcc
	s_cbranch_execz .LBB607_113
; %bb.90:
	v_lshrrev_b32_e32 v6, 16, v11
	v_mov_b32_e32 v10, s78
	v_cmp_eq_u16_sdwa vcc, v8, v8 src0_sel:DWORD src1_sel:WORD_1
	v_cmp_ne_u16_sdwa s[34:35], v8, v8 src0_sel:DWORD src1_sel:WORD_1
	v_add_u32_e32 v7, 13, v26
	v_cndmask_b32_e32 v6, v10, v6, vcc
	v_and_b32_e32 v6, 0xffff, v6
	v_cndmask_b32_e64 v10, 0, 1, s[34:35]
	v_lshl_or_b32 v33, v10, 16, v6
	v_cmp_gt_u32_e32 vcc, s59, v7
	v_mov_b32_e32 v34, 0
	v_mov_b32_e32 v35, 0
	;; [unrolled: 1-line block ×10, first 2 shown]
                                        ; implicit-def: $sgpr38_sgpr39
                                        ; implicit-def: $vgpr41
	s_and_saveexec_b64 s[34:35], vcc
	s_cbranch_execz .LBB607_112
; %bb.91:
	v_mov_b32_e32 v7, s78
	v_cmp_eq_u16_sdwa vcc, v8, v9 src0_sel:WORD_1 src1_sel:DWORD
	v_cmp_ne_u16_sdwa s[36:37], v8, v9 src0_sel:WORD_1 src1_sel:DWORD
	v_add_u32_e32 v6, 14, v26
	v_cndmask_b32_e32 v7, v7, v12, vcc
	v_and_b32_e32 v7, 0xffff, v7
	v_cndmask_b32_e64 v8, 0, 1, s[36:37]
	v_lshl_or_b32 v34, v8, 16, v7
	v_cmp_gt_u32_e32 vcc, s59, v6
	s_mov_b64 s[40:41], 0
	v_mov_b32_e32 v35, 0
	v_mov_b32_e32 v36, 0
	;; [unrolled: 1-line block ×9, first 2 shown]
                                        ; implicit-def: $sgpr38_sgpr39
                                        ; implicit-def: $vgpr41
	s_and_saveexec_b64 s[36:37], vcc
	s_cbranch_execz .LBB607_111
; %bb.92:
	v_lshrrev_b32_e32 v6, 16, v12
	v_mov_b32_e32 v8, s78
	v_cmp_eq_u16_sdwa vcc, v9, v9 src0_sel:DWORD src1_sel:WORD_1
	v_cmp_ne_u16_sdwa s[38:39], v9, v9 src0_sel:DWORD src1_sel:WORD_1
	v_add_u32_e32 v7, 15, v26
	v_cndmask_b32_e32 v6, v8, v6, vcc
	v_and_b32_e32 v6, 0xffff, v6
	v_cndmask_b32_e64 v8, 0, 1, s[38:39]
	v_lshl_or_b32 v35, v8, 16, v6
	v_cmp_gt_u32_e32 vcc, s59, v7
	v_mov_b32_e32 v36, 0
	v_mov_b32_e32 v37, 0
	;; [unrolled: 1-line block ×8, first 2 shown]
                                        ; implicit-def: $sgpr42_sgpr43
                                        ; implicit-def: $vgpr41
	s_and_saveexec_b64 s[38:39], vcc
	s_cbranch_execz .LBB607_110
; %bb.93:
	v_mov_b32_e32 v7, s78
	v_cmp_eq_u16_sdwa vcc, v9, v2 src0_sel:WORD_1 src1_sel:DWORD
	v_cmp_ne_u16_sdwa s[40:41], v9, v2 src0_sel:WORD_1 src1_sel:DWORD
	v_add_u32_e32 v6, 16, v26
	v_cndmask_b32_e32 v7, v7, v13, vcc
	v_and_b32_e32 v7, 0xffff, v7
	v_cndmask_b32_e64 v8, 0, 1, s[40:41]
	v_lshl_or_b32 v36, v8, 16, v7
	v_cmp_gt_u32_e32 vcc, s59, v6
	s_mov_b64 s[44:45], 0
	v_mov_b32_e32 v37, 0
	v_mov_b32_e32 v22, 0
	;; [unrolled: 1-line block ×7, first 2 shown]
                                        ; implicit-def: $sgpr42_sgpr43
                                        ; implicit-def: $vgpr41
	s_and_saveexec_b64 s[40:41], vcc
	s_cbranch_execz .LBB607_109
; %bb.94:
	v_lshrrev_b32_e32 v6, 16, v13
	v_mov_b32_e32 v8, s78
	v_cmp_eq_u16_sdwa vcc, v2, v2 src0_sel:DWORD src1_sel:WORD_1
	v_cmp_ne_u16_sdwa s[42:43], v2, v2 src0_sel:DWORD src1_sel:WORD_1
	v_add_u32_e32 v7, 17, v26
	v_cndmask_b32_e32 v6, v8, v6, vcc
	v_and_b32_e32 v6, 0xffff, v6
	v_cndmask_b32_e64 v8, 0, 1, s[42:43]
	v_lshl_or_b32 v37, v8, 16, v6
	v_cmp_gt_u32_e32 vcc, s59, v7
	v_mov_b32_e32 v22, 0
	v_mov_b32_e32 v38, 0
	;; [unrolled: 1-line block ×6, first 2 shown]
                                        ; implicit-def: $sgpr46_sgpr47
                                        ; implicit-def: $vgpr41
	s_and_saveexec_b64 s[42:43], vcc
	s_cbranch_execz .LBB607_108
; %bb.95:
	ds_read_b96 v[6:8], v49 offset:34
	v_mov_b32_e32 v10, s78
	v_cmp_eq_u16_sdwa vcc, v2, v3 src0_sel:WORD_1 src1_sel:DWORD
	v_cmp_ne_u16_sdwa s[44:45], v2, v3 src0_sel:WORD_1 src1_sel:DWORD
	v_add_u32_e32 v9, 18, v26
	s_waitcnt lgkmcnt(0)
	v_cndmask_b32_e32 v10, v10, v6, vcc
	v_and_b32_e32 v10, 0xffff, v10
	v_cndmask_b32_e64 v2, 0, 1, s[44:45]
	v_lshl_or_b32 v22, v2, 16, v10
	v_cmp_gt_u32_e32 vcc, s59, v9
	s_mov_b64 s[48:49], 0
	v_mov_b32_e32 v38, 0
	v_mov_b32_e32 v23, 0
	;; [unrolled: 1-line block ×5, first 2 shown]
                                        ; implicit-def: $sgpr46_sgpr47
                                        ; implicit-def: $vgpr41
	s_and_saveexec_b64 s[44:45], vcc
	s_cbranch_execz .LBB607_107
; %bb.96:
	v_lshrrev_b32_e32 v2, 16, v6
	v_mov_b32_e32 v9, s78
	v_cmp_eq_u16_sdwa vcc, v3, v3 src0_sel:DWORD src1_sel:WORD_1
	v_cmp_ne_u16_sdwa s[46:47], v3, v3 src0_sel:DWORD src1_sel:WORD_1
	v_add_u32_e32 v6, 19, v26
	v_cndmask_b32_e32 v2, v9, v2, vcc
	v_and_b32_e32 v2, 0xffff, v2
	v_cndmask_b32_e64 v9, 0, 1, s[46:47]
	v_lshl_or_b32 v38, v9, 16, v2
	v_cmp_gt_u32_e32 vcc, s59, v6
	v_mov_b32_e32 v23, 0
	v_mov_b32_e32 v39, 0
	;; [unrolled: 1-line block ×4, first 2 shown]
                                        ; implicit-def: $sgpr50_sgpr51
                                        ; implicit-def: $vgpr41
	s_and_saveexec_b64 s[46:47], vcc
	s_cbranch_execz .LBB607_106
; %bb.97:
	v_mov_b32_e32 v6, s78
	v_cmp_eq_u16_sdwa vcc, v3, v4 src0_sel:WORD_1 src1_sel:DWORD
	v_cmp_ne_u16_sdwa s[48:49], v3, v4 src0_sel:WORD_1 src1_sel:DWORD
	v_add_u32_e32 v2, 20, v26
	v_cndmask_b32_e32 v6, v6, v7, vcc
	v_and_b32_e32 v6, 0xffff, v6
	v_cndmask_b32_e64 v3, 0, 1, s[48:49]
	v_lshl_or_b32 v23, v3, 16, v6
	v_cmp_gt_u32_e32 vcc, s59, v2
	s_mov_b64 s[52:53], 0
	v_mov_b32_e32 v39, 0
	v_mov_b32_e32 v24, 0
	;; [unrolled: 1-line block ×3, first 2 shown]
                                        ; implicit-def: $sgpr50_sgpr51
                                        ; implicit-def: $vgpr41
	s_and_saveexec_b64 s[48:49], vcc
	s_cbranch_execz .LBB607_105
; %bb.98:
	v_lshrrev_b32_e32 v2, 16, v7
	v_mov_b32_e32 v6, s78
	v_cmp_eq_u16_sdwa vcc, v4, v4 src0_sel:DWORD src1_sel:WORD_1
	v_cmp_ne_u16_sdwa s[50:51], v4, v4 src0_sel:DWORD src1_sel:WORD_1
	v_add_u32_e32 v3, 21, v26
	v_cndmask_b32_e32 v2, v6, v2, vcc
	v_and_b32_e32 v2, 0xffff, v2
	v_cndmask_b32_e64 v6, 0, 1, s[50:51]
	v_lshl_or_b32 v39, v6, 16, v2
	v_cmp_gt_u32_e32 vcc, s59, v3
	v_mov_b32_e32 v24, 0
	v_mov_b32_e32 v40, 0
                                        ; implicit-def: $sgpr60_sgpr61
                                        ; implicit-def: $vgpr41
	s_and_saveexec_b64 s[50:51], vcc
	s_cbranch_execz .LBB607_104
; %bb.99:
	v_mov_b32_e32 v3, s78
	v_cmp_eq_u16_sdwa vcc, v4, v5 src0_sel:WORD_1 src1_sel:DWORD
	v_cmp_ne_u16_sdwa s[52:53], v4, v5 src0_sel:WORD_1 src1_sel:DWORD
	v_add_u32_e32 v2, 22, v26
	v_cndmask_b32_e32 v3, v3, v8, vcc
	v_and_b32_e32 v3, 0xffff, v3
	v_cndmask_b32_e64 v4, 0, 1, s[52:53]
	v_lshl_or_b32 v24, v4, 16, v3
	v_cmp_gt_u32_e32 vcc, s59, v2
	s_mov_b64 s[74:75], 0
	v_mov_b32_e32 v40, 0
                                        ; implicit-def: $sgpr76_sgpr77
                                        ; implicit-def: $vgpr41
	s_and_saveexec_b64 s[52:53], vcc
	s_cbranch_execz .LBB607_103
; %bb.100:
	v_lshrrev_b32_e32 v2, 16, v8
	v_mov_b32_e32 v4, s78
	v_cmp_eq_u16_sdwa vcc, v5, v5 src0_sel:DWORD src1_sel:WORD_1
	v_cmp_ne_u16_sdwa s[60:61], v5, v5 src0_sel:DWORD src1_sel:WORD_1
	v_add_u32_e32 v3, 23, v26
	v_cndmask_b32_e32 v2, v4, v2, vcc
	v_and_b32_e32 v2, 0xffff, v2
	v_cndmask_b32_e64 v4, 0, 1, s[60:61]
	v_lshl_or_b32 v40, v4, 16, v2
	v_cmp_gt_u32_e32 vcc, s59, v3
	s_mov_b64 s[60:61], 0
                                        ; implicit-def: $sgpr74_sgpr75
                                        ; implicit-def: $vgpr41
	s_and_saveexec_b64 s[76:77], vcc
	s_xor_b64 s[76:77], exec, s[76:77]
	s_cbranch_execz .LBB607_102
; %bb.101:
	ds_read_u16 v2, v49 offset:46
	v_mov_b32_e32 v3, s78
	v_cmp_ne_u16_sdwa vcc, v5, v48 src0_sel:WORD_1 src1_sel:DWORD
	s_mov_b64 s[60:61], exec
	s_and_b64 s[74:75], vcc, exec
	s_waitcnt lgkmcnt(0)
	v_cndmask_b32_e32 v41, v2, v3, vcc
.LBB607_102:
	s_or_b64 exec, exec, s[76:77]
	s_and_b64 s[76:77], s[74:75], exec
	s_and_b64 s[74:75], s[60:61], exec
.LBB607_103:
	s_or_b64 exec, exec, s[52:53]
	s_and_b64 s[60:61], s[76:77], exec
	s_and_b64 s[52:53], s[74:75], exec
.LBB607_104:
	s_or_b64 exec, exec, s[50:51]
	s_and_b64 s[50:51], s[60:61], exec
	s_and_b64 s[52:53], s[52:53], exec
.LBB607_105:
	s_or_b64 exec, exec, s[48:49]
	s_and_b64 s[50:51], s[50:51], exec
	s_and_b64 s[48:49], s[52:53], exec
.LBB607_106:
	s_or_b64 exec, exec, s[46:47]
	s_and_b64 s[46:47], s[50:51], exec
	s_and_b64 s[48:49], s[48:49], exec
.LBB607_107:
	s_or_b64 exec, exec, s[44:45]
	s_and_b64 s[46:47], s[46:47], exec
	s_and_b64 s[44:45], s[48:49], exec
.LBB607_108:
	s_or_b64 exec, exec, s[42:43]
	s_and_b64 s[42:43], s[46:47], exec
	s_and_b64 s[44:45], s[44:45], exec
.LBB607_109:
	s_or_b64 exec, exec, s[40:41]
	s_and_b64 s[42:43], s[42:43], exec
	s_and_b64 s[40:41], s[44:45], exec
.LBB607_110:
	s_or_b64 exec, exec, s[38:39]
	s_and_b64 s[38:39], s[42:43], exec
	s_and_b64 s[40:41], s[40:41], exec
.LBB607_111:
	s_or_b64 exec, exec, s[36:37]
	s_and_b64 s[38:39], s[38:39], exec
	s_and_b64 s[36:37], s[40:41], exec
.LBB607_112:
	s_or_b64 exec, exec, s[34:35]
	s_and_b64 s[34:35], s[38:39], exec
	s_and_b64 s[36:37], s[36:37], exec
.LBB607_113:
	s_or_b64 exec, exec, s[30:31]
	s_and_b64 s[34:35], s[34:35], exec
	s_and_b64 s[30:31], s[36:37], exec
.LBB607_114:
	s_or_b64 exec, exec, s[28:29]
	s_and_b64 s[28:29], s[34:35], exec
	s_and_b64 s[30:31], s[30:31], exec
.LBB607_115:
	s_or_b64 exec, exec, s[26:27]
	s_and_b64 s[28:29], s[28:29], exec
	s_and_b64 s[26:27], s[30:31], exec
.LBB607_116:
	s_or_b64 exec, exec, s[24:25]
	s_and_b64 s[24:25], s[28:29], exec
	s_and_b64 s[26:27], s[26:27], exec
.LBB607_117:
	s_or_b64 exec, exec, s[22:23]
	s_and_b64 s[24:25], s[24:25], exec
	s_and_b64 s[22:23], s[26:27], exec
.LBB607_118:
	s_or_b64 exec, exec, s[20:21]
	s_and_b64 s[20:21], s[24:25], exec
	s_and_b64 s[22:23], s[22:23], exec
.LBB607_119:
	s_or_b64 exec, exec, s[18:19]
	s_and_b64 s[20:21], s[20:21], exec
	s_and_b64 s[18:19], s[22:23], exec
.LBB607_120:
	s_or_b64 exec, exec, s[16:17]
	s_and_b64 s[16:17], s[20:21], exec
	s_and_b64 s[18:19], s[18:19], exec
.LBB607_121:
	s_or_b64 exec, exec, s[14:15]
	s_and_b64 s[16:17], s[16:17], exec
	s_and_b64 s[14:15], s[18:19], exec
.LBB607_122:
	s_or_b64 exec, exec, s[12:13]
	s_and_b64 s[12:13], s[16:17], exec
	s_and_b64 s[14:15], s[14:15], exec
.LBB607_123:
	s_or_b64 exec, exec, s[10:11]
	s_and_b64 s[12:13], s[12:13], exec
	s_and_b64 s[10:11], s[14:15], exec
.LBB607_124:
	s_or_b64 exec, exec, s[8:9]
	s_and_b64 s[8:9], s[12:13], exec
	s_and_b64 s[10:11], s[10:11], exec
.LBB607_125:
	s_or_b64 exec, exec, s[6:7]
	s_and_b64 vcc, exec, s[4:5]
	v_lshlrev_b32_e32 v26, 1, v0
	s_cbranch_vccnz .LBB607_127
	s_branch .LBB607_132
.LBB607_126:
	s_mov_b64 s[10:11], 0
                                        ; implicit-def: $sgpr8_sgpr9
                                        ; implicit-def: $vgpr41
                                        ; implicit-def: $vgpr1
                                        ; implicit-def: $vgpr18
                                        ; implicit-def: $vgpr25
                                        ; implicit-def: $vgpr19
                                        ; implicit-def: $vgpr27
                                        ; implicit-def: $vgpr20
                                        ; implicit-def: $vgpr28
                                        ; implicit-def: $vgpr21
                                        ; implicit-def: $vgpr29
                                        ; implicit-def: $vgpr30
                                        ; implicit-def: $vgpr31
                                        ; implicit-def: $vgpr32
                                        ; implicit-def: $vgpr33
                                        ; implicit-def: $vgpr34
                                        ; implicit-def: $vgpr35
                                        ; implicit-def: $vgpr36
                                        ; implicit-def: $vgpr37
                                        ; implicit-def: $vgpr22
                                        ; implicit-def: $vgpr38
                                        ; implicit-def: $vgpr23
                                        ; implicit-def: $vgpr39
                                        ; implicit-def: $vgpr24
                                        ; implicit-def: $vgpr40
                                        ; implicit-def: $sgpr3
	s_and_b64 vcc, exec, s[4:5]
	v_lshlrev_b32_e32 v26, 1, v0
	s_cbranch_vccz .LBB607_132
.LBB607_127:
	v_mov_b32_e32 v27, 0
	v_lshl_add_u64 v[2:3], s[72:73], 0, v[26:27]
	v_add_co_u32_e32 v4, vcc, 0x1000, v2
	flat_load_ushort v1, v[2:3]
	flat_load_ushort v6, v[2:3] offset:512
	flat_load_ushort v7, v[2:3] offset:1024
	flat_load_ushort v8, v[2:3] offset:1536
	flat_load_ushort v9, v[2:3] offset:2048
	flat_load_ushort v10, v[2:3] offset:2560
	flat_load_ushort v11, v[2:3] offset:3072
	flat_load_ushort v12, v[2:3] offset:3584
	v_addc_co_u32_e32 v5, vcc, 0, v3, vcc
	v_add_co_u32_e32 v2, vcc, 0x2000, v2
	flat_load_ushort v13, v[4:5]
	flat_load_ushort v14, v[4:5] offset:512
	flat_load_ushort v15, v[4:5] offset:1024
	;; [unrolled: 1-line block ×7, first 2 shown]
	v_addc_co_u32_e32 v3, vcc, 0, v3, vcc
	flat_load_ushort v4, v[2:3]
	flat_load_ushort v5, v[2:3] offset:512
	flat_load_ushort v21, v[2:3] offset:1024
	;; [unrolled: 1-line block ×7, first 2 shown]
	v_mov_b32_e32 v2, s72
	v_mov_b32_e32 v3, s73
	v_add_co_u32_e32 v2, vcc, 0x3000, v2
	s_movk_i32 s4, 0xffd2
	s_nop 0
	v_addc_co_u32_e32 v3, vcc, 0, v3, vcc
	s_movk_i32 s6, 0x1000
	s_movk_i32 s3, 0x2000
	s_waitcnt vmcnt(0) lgkmcnt(0)
	ds_write_b16 v26, v1
	ds_write_b16 v26, v6 offset:512
	ds_write_b16 v26, v7 offset:1024
	;; [unrolled: 1-line block ×23, first 2 shown]
	s_waitcnt lgkmcnt(0)
	s_barrier
	flat_load_ushort v41, v[2:3]
	v_mad_u32_u24 v1, v0, 46, v26
	ds_read_b128 v[10:13], v1
	ds_read_b128 v[6:9], v1 offset:16
	ds_read_b128 v[2:5], v1 offset:32
	v_mad_i32_i24 v14, v0, s4, v1
	s_movk_i32 s4, 0xff
	v_cmp_ne_u32_e32 vcc, s4, v0
	s_waitcnt lgkmcnt(0)
	ds_write_b16 v14, v10 offset:12800
	s_waitcnt lgkmcnt(0)
	s_barrier
	s_and_saveexec_b64 s[4:5], vcc
	s_cbranch_execz .LBB607_129
; %bb.128:
	s_waitcnt vmcnt(0)
	ds_read_u16 v41, v26 offset:12802
.LBB607_129:
	s_or_b64 exec, exec, s[4:5]
	v_lshl_add_u64 v[14:15], s[70:71], 0, v[26:27]
	v_add_co_u32_e32 v16, vcc, s6, v14
	s_waitcnt lgkmcnt(0)
	s_nop 0
	v_addc_co_u32_e32 v17, vcc, 0, v15, vcc
	s_barrier
	flat_load_ushort v18, v[14:15]
	flat_load_ushort v19, v[14:15] offset:512
	flat_load_ushort v20, v[14:15] offset:1024
	;; [unrolled: 1-line block ×7, first 2 shown]
	v_add_co_u32_e32 v14, vcc, s3, v14
	flat_load_ushort v28, v[16:17]
	flat_load_ushort v29, v[16:17] offset:512
	flat_load_ushort v30, v[16:17] offset:1024
	;; [unrolled: 1-line block ×7, first 2 shown]
	v_addc_co_u32_e32 v15, vcc, 0, v15, vcc
	flat_load_ushort v16, v[14:15]
	flat_load_ushort v17, v[14:15] offset:512
	flat_load_ushort v36, v[14:15] offset:1024
	;; [unrolled: 1-line block ×7, first 2 shown]
	v_cmp_eq_u16_sdwa s[6:7], v10, v10 src0_sel:DWORD src1_sel:WORD_1
	s_waitcnt vmcnt(0) lgkmcnt(0)
	ds_write_b16 v26, v18
	ds_write_b16 v26, v19 offset:512
	ds_write_b16 v26, v20 offset:1024
	;; [unrolled: 1-line block ×23, first 2 shown]
	s_waitcnt lgkmcnt(0)
	s_barrier
	ds_read_b128 v[18:21], v1 offset:2
	ds_read_b128 v[14:17], v1 offset:18
	ds_read_b96 v[22:24], v1 offset:34
	ds_read_u16 v42, v1 offset:46
	v_mov_b32_e32 v25, 0x10000
	v_mov_b32_e32 v28, s78
	s_and_saveexec_b64 s[4:5], s[6:7]
	s_cbranch_execz .LBB607_131
; %bb.130:
	ds_read_u16 v28, v1
	v_mov_b32_e32 v25, v27
.LBB607_131:
	s_or_b64 exec, exec, s[4:5]
	v_mov_b32_e32 v43, s78
	v_cmp_eq_u16_sdwa vcc, v10, v11 src0_sel:WORD_1 src1_sel:DWORD
	s_waitcnt lgkmcnt(3)
	v_lshrrev_b32_e32 v27, 16, v18
	v_cmp_ne_u16_sdwa s[4:5], v10, v11 src0_sel:WORD_1 src1_sel:DWORD
	v_cndmask_b32_e32 v18, v43, v18, vcc
	v_and_b32_e32 v18, 0xffff, v18
	v_cndmask_b32_e64 v10, 0, 1, s[4:5]
	v_cmp_eq_u16_sdwa vcc, v11, v11 src0_sel:DWORD src1_sel:WORD_1
	v_lshl_or_b32 v18, v10, 16, v18
	v_cmp_ne_u16_sdwa s[4:5], v11, v11 src0_sel:DWORD src1_sel:WORD_1
	v_cndmask_b32_e32 v10, v43, v27, vcc
	s_waitcnt lgkmcnt(0)
	v_or_b32_sdwa v1, v25, v28 dst_sel:DWORD dst_unused:UNUSED_PAD src0_sel:DWORD src1_sel:WORD_0
	v_and_b32_e32 v10, 0xffff, v10
	v_cndmask_b32_e64 v25, 0, 1, s[4:5]
	v_cmp_eq_u16_sdwa vcc, v11, v12 src0_sel:WORD_1 src1_sel:DWORD
	v_lshl_or_b32 v25, v25, 16, v10
	v_cmp_ne_u16_sdwa s[4:5], v11, v12 src0_sel:WORD_1 src1_sel:DWORD
	v_cndmask_b32_e32 v10, v43, v19, vcc
	v_lshrrev_b32_e32 v29, 16, v19
	v_and_b32_e32 v10, 0xffff, v10
	v_cndmask_b32_e64 v11, 0, 1, s[4:5]
	v_cmp_eq_u16_sdwa vcc, v12, v12 src0_sel:DWORD src1_sel:WORD_1
	v_lshl_or_b32 v19, v11, 16, v10
	v_cmp_ne_u16_sdwa s[4:5], v12, v12 src0_sel:DWORD src1_sel:WORD_1
	v_cndmask_b32_e32 v10, v43, v29, vcc
	v_and_b32_e32 v10, 0xffff, v10
	v_cndmask_b32_e64 v11, 0, 1, s[4:5]
	v_cmp_eq_u16_sdwa vcc, v12, v13 src0_sel:WORD_1 src1_sel:DWORD
	v_lshl_or_b32 v27, v11, 16, v10
	v_cmp_ne_u16_sdwa s[4:5], v12, v13 src0_sel:WORD_1 src1_sel:DWORD
	v_cndmask_b32_e32 v10, v43, v20, vcc
	v_lshrrev_b32_e32 v30, 16, v20
	v_and_b32_e32 v10, 0xffff, v10
	v_cndmask_b32_e64 v11, 0, 1, s[4:5]
	v_cmp_eq_u16_sdwa vcc, v13, v13 src0_sel:DWORD src1_sel:WORD_1
	v_lshl_or_b32 v20, v11, 16, v10
	v_cmp_ne_u16_sdwa s[4:5], v13, v13 src0_sel:DWORD src1_sel:WORD_1
	v_cndmask_b32_e32 v10, v43, v30, vcc
	;; [unrolled: 13-line block ×10, first 2 shown]
	v_and_b32_e32 v2, 0xffff, v2
	v_cndmask_b32_e64 v3, 0, 1, s[4:5]
	v_cmp_ne_u16_sdwa s[8:9], v5, v41 src0_sel:WORD_1 src1_sel:DWORD
	v_lshl_or_b32 v40, v3, 16, v2
	s_mov_b64 s[10:11], -1
	v_cndmask_b32_e64 v41, v42, v43, s[8:9]
                                        ; implicit-def: $sgpr3
.LBB607_132:
	v_mov_b32_e32 v12, s3
	s_and_saveexec_b64 s[4:5], s[10:11]
; %bb.133:
	v_mov_b32_e32 v2, 0x10000
	v_cndmask_b32_e64 v2, 0, v2, s[8:9]
	v_or_b32_sdwa v12, v2, v41 dst_sel:DWORD dst_unused:UNUSED_PAD src0_sel:DWORD src1_sel:WORD_0
; %bb.134:
	s_or_b64 exec, exec, s[4:5]
	v_or3_b32 v2, v12, v40, v24
	s_cmp_lg_u32 s2, 0
	v_or3_b32 v14, v2, v39, v23
	v_mbcnt_lo_u32_b32 v13, -1, 0
	s_barrier
	s_cbranch_scc0 .LBB607_223
; %bb.135:
	s_mov_b32 s3, 0x10000
	v_cmp_gt_u32_e64 s[50:51], s3, v18
	v_cmp_gt_u32_e64 s[4:5], s3, v25
	v_cmp_gt_u32_e64 s[6:7], s3, v19
	v_cndmask_b32_e64 v2, 1, v1, s[50:51]
	v_mul_lo_u16_e32 v2, v2, v18
	v_cndmask_b32_e64 v2, 1, v2, s[4:5]
	v_mul_lo_u16_e32 v2, v2, v25
	v_cndmask_b32_e64 v2, 1, v2, s[6:7]
	v_mul_lo_u16_e32 v2, v2, v19
	v_cmp_gt_u32_e64 s[8:9], s3, v27
	v_cmp_gt_u32_e64 s[10:11], s3, v20
	v_cmp_gt_u32_e64 s[12:13], s3, v28
	v_cndmask_b32_e64 v2, 1, v2, s[8:9]
	v_mul_lo_u16_e32 v2, v2, v27
	v_cndmask_b32_e64 v2, 1, v2, s[10:11]
	v_mul_lo_u16_e32 v2, v2, v20
	v_cndmask_b32_e64 v2, 1, v2, s[12:13]
	v_mul_lo_u16_e32 v2, v2, v28
	;; [unrolled: 9-line block ×5, first 2 shown]
	v_cmp_gt_u32_e64 s[34:35], s3, v37
	v_cmp_gt_u32_e64 s[36:37], s3, v22
	v_cmp_gt_u32_e64 s[38:39], s3, v38
	v_cndmask_b32_e64 v2, 1, v2, s[34:35]
	v_mul_lo_u16_e32 v2, v2, v37
	v_cndmask_b32_e64 v2, 1, v2, s[36:37]
	v_mul_lo_u16_e32 v2, v2, v22
	v_cndmask_b32_e64 v2, 1, v2, s[38:39]
	v_or3_b32 v5, v14, v38, v22
	v_mul_lo_u16_e32 v2, v2, v38
	v_cmp_gt_u32_e64 s[40:41], s3, v23
	v_or3_b32 v5, v5, v37, v36
	v_or3_b32 v5, v5, v35, v34
	v_cndmask_b32_e64 v2, 1, v2, s[40:41]
	v_mul_lo_u16_e32 v2, v2, v23
	v_cmp_gt_u32_e64 s[42:43], s3, v39
	v_or3_b32 v5, v5, v33, v32
	v_or3_b32 v5, v5, v31, v30
	v_cndmask_b32_e64 v2, 1, v2, s[42:43]
	;; [unrolled: 5-line block ×4, first 2 shown]
	v_mul_lo_u16_e32 v2, v2, v40
	v_cmp_gt_u32_e32 vcc, s3, v12
	v_and_b32_e32 v5, 0x10000, v5
	v_and_b32_e32 v3, 0x10000, v1
	v_cndmask_b32_e32 v4, 1, v2, vcc
	v_mov_b32_e32 v6, 0x10000
	v_cmp_ne_u32_e32 vcc, 0, v5
	v_mul_lo_u16_e32 v2, v4, v12
	v_mul_lo_u16_e32 v4, v4, v12
	v_cndmask_b32_e32 v6, v3, v6, vcc
	v_mbcnt_hi_u32_b32 v5, -1, v13
	v_and_b32_e32 v7, 15, v5
	v_or_b32_e32 v4, v6, v4
	v_lshrrev_b32_e32 v3, 16, v6
	v_cmp_ne_u32_e32 vcc, 0, v7
	v_mov_b32_dpp v8, v4 row_shr:1 row_mask:0xf bank_mask:0xf
	s_and_saveexec_b64 s[48:49], vcc
	s_cbranch_execz .LBB607_137
; %bb.136:
	v_cmp_eq_u32_e32 vcc, 0, v6
	v_and_b32_e32 v3, 0x10000, v6
	v_mov_b32_e32 v6, 1
	v_cndmask_b32_e32 v4, 1, v8, vcc
	v_and_b32_sdwa v6, v8, v6 dst_sel:DWORD dst_unused:UNUSED_PAD src0_sel:WORD_1 src1_sel:DWORD
	v_cmp_ne_u32_e32 vcc, 0, v3
	v_mul_lo_u16_e32 v9, v4, v2
	v_mul_lo_u16_e32 v2, v4, v2
	v_cndmask_b32_e64 v3, v6, 1, vcc
	v_lshlrev_b32_e32 v6, 16, v3
	v_or_b32_e32 v4, v6, v2
	v_mov_b32_e32 v2, v9
.LBB607_137:
	s_or_b64 exec, exec, s[48:49]
	v_lshrrev_b32_e32 v6, 16, v4
	v_mov_b32_dpp v8, v4 row_shr:2 row_mask:0xf bank_mask:0xf
	v_cmp_lt_u32_e32 vcc, 1, v7
	s_and_saveexec_b64 s[48:49], vcc
	s_cbranch_execz .LBB607_139
; %bb.138:
	v_cmp_gt_u32_e32 vcc, s3, v4
	v_and_b32_e32 v3, 0x10000, v4
	v_mov_b32_e32 v4, 1
	v_cndmask_b32_e32 v6, 1, v8, vcc
	v_and_b32_sdwa v4, v8, v4 dst_sel:DWORD dst_unused:UNUSED_PAD src0_sel:WORD_1 src1_sel:DWORD
	v_cmp_ne_u32_e32 vcc, 0, v3
	v_mul_lo_u16_e32 v9, v6, v2
	v_mul_lo_u16_e32 v2, v6, v2
	v_cndmask_b32_e64 v3, v4, 1, vcc
	v_lshlrev_b32_e32 v4, 16, v3
	v_or_b32_e32 v4, v4, v2
	v_mov_b32_e32 v6, v3
	v_mov_b32_e32 v2, v9
.LBB607_139:
	s_or_b64 exec, exec, s[48:49]
	v_mov_b32_dpp v8, v4 row_shr:4 row_mask:0xf bank_mask:0xf
	v_cmp_lt_u32_e32 vcc, 3, v7
	s_and_saveexec_b64 s[48:49], vcc
	s_cbranch_execz .LBB607_141
; %bb.140:
	v_cmp_eq_u16_e32 vcc, 0, v6
	v_and_b32_e32 v3, 1, v6
	v_mov_b32_e32 v6, 1
	v_cndmask_b32_e32 v4, 1, v8, vcc
	v_and_b32_sdwa v6, v8, v6 dst_sel:DWORD dst_unused:UNUSED_PAD src0_sel:WORD_1 src1_sel:DWORD
	v_cmp_eq_u32_e32 vcc, 1, v3
	v_mul_lo_u16_e32 v9, v4, v2
	v_mul_lo_u16_e32 v2, v4, v2
	v_cndmask_b32_e64 v3, v6, 1, vcc
	v_lshlrev_b32_e32 v6, 16, v3
	v_or_b32_e32 v4, v6, v2
	v_mov_b32_e32 v6, v3
	v_mov_b32_e32 v2, v9
.LBB607_141:
	s_or_b64 exec, exec, s[48:49]
	v_mov_b32_dpp v8, v4 row_shr:8 row_mask:0xf bank_mask:0xf
	v_cmp_lt_u32_e32 vcc, 7, v7
	s_and_saveexec_b64 s[48:49], vcc
	s_cbranch_execz .LBB607_143
; %bb.142:
	v_cmp_eq_u16_e32 vcc, 0, v6
	v_and_b32_e32 v3, 1, v6
	v_mov_b32_e32 v6, 1
	v_cndmask_b32_e32 v4, 1, v8, vcc
	v_and_b32_sdwa v6, v8, v6 dst_sel:DWORD dst_unused:UNUSED_PAD src0_sel:WORD_1 src1_sel:DWORD
	v_cmp_eq_u32_e32 vcc, 1, v3
	v_mul_lo_u16_e32 v7, v4, v2
	v_mul_lo_u16_e32 v2, v4, v2
	v_cndmask_b32_e64 v3, v6, 1, vcc
	v_lshlrev_b32_e32 v6, 16, v3
	v_or_b32_e32 v4, v6, v2
	v_mov_b32_e32 v6, v3
	v_mov_b32_e32 v2, v7
.LBB607_143:
	s_or_b64 exec, exec, s[48:49]
	v_and_b32_e32 v8, 16, v5
	v_mov_b32_dpp v7, v4 row_bcast:15 row_mask:0xf bank_mask:0xf
	v_cmp_ne_u32_e32 vcc, 0, v8
	s_and_saveexec_b64 s[48:49], vcc
	s_cbranch_execz .LBB607_145
; %bb.144:
	v_cmp_eq_u16_e32 vcc, 0, v6
	v_and_b32_e32 v3, 1, v6
	v_mov_b32_e32 v6, 1
	v_cndmask_b32_e32 v4, 1, v7, vcc
	v_and_b32_sdwa v6, v7, v6 dst_sel:DWORD dst_unused:UNUSED_PAD src0_sel:WORD_1 src1_sel:DWORD
	v_cmp_eq_u32_e32 vcc, 1, v3
	v_mul_lo_u16_e32 v8, v4, v2
	v_mul_lo_u16_e32 v2, v4, v2
	v_cndmask_b32_e64 v3, v6, 1, vcc
	v_lshlrev_b32_e32 v6, 16, v3
	v_or_b32_e32 v4, v6, v2
	v_mov_b32_e32 v6, v3
	v_mov_b32_e32 v2, v8
.LBB607_145:
	s_or_b64 exec, exec, s[48:49]
	v_mov_b32_dpp v4, v4 row_bcast:31 row_mask:0xf bank_mask:0xf
	v_cmp_lt_u32_e32 vcc, 31, v5
	s_and_saveexec_b64 s[48:49], vcc
; %bb.146:
	v_cmp_eq_u16_e32 vcc, 0, v6
	s_nop 1
	v_cndmask_b32_e32 v3, 1, v4, vcc
	v_mul_lo_u16_e32 v2, v3, v2
	v_and_b32_e32 v3, 1, v6
	v_mov_b32_e32 v6, 1
	v_and_b32_sdwa v4, v4, v6 dst_sel:DWORD dst_unused:UNUSED_PAD src0_sel:WORD_1 src1_sel:DWORD
	v_cmp_eq_u32_e32 vcc, 1, v3
	s_nop 1
	v_cndmask_b32_e64 v3, v4, 1, vcc
; %bb.147:
	s_or_b64 exec, exec, s[48:49]
	v_or_b32_e32 v6, 63, v0
	v_lshrrev_b32_e32 v4, 6, v0
	v_cmp_eq_u32_e32 vcc, v6, v0
	s_and_saveexec_b64 s[48:49], vcc
	s_cbranch_execz .LBB607_149
; %bb.148:
	v_lshlrev_b32_e32 v6, 2, v4
	ds_write_b16 v6, v2
	ds_write_b8 v6, v3 offset:2
.LBB607_149:
	s_or_b64 exec, exec, s[48:49]
	v_cmp_gt_u32_e32 vcc, 4, v0
	s_waitcnt lgkmcnt(0)
	s_barrier
	s_and_saveexec_b64 s[48:49], vcc
	s_cbranch_execz .LBB607_155
; %bb.150:
	v_lshlrev_b32_e32 v6, 2, v0
	ds_read_b32 v7, v6
	v_and_b32_e32 v10, 3, v5
	v_cmp_ne_u32_e32 vcc, 0, v10
	s_waitcnt lgkmcnt(0)
	v_lshrrev_b32_e32 v9, 16, v7
	v_mov_b32_dpp v11, v7 row_shr:1 row_mask:0xf bank_mask:0xf
	v_mov_b32_e32 v8, v7
	s_and_saveexec_b64 s[52:53], vcc
	s_cbranch_execz .LBB607_152
; %bb.151:
	v_mov_b32_e32 v8, 0
	v_cmp_eq_u16_sdwa vcc, v9, v8 src0_sel:BYTE_0 src1_sel:DWORD
	v_and_b32_e32 v9, 0x10000, v7
	v_mov_b32_e32 v17, 1
	v_cndmask_b32_e32 v16, 1, v11, vcc
	v_and_b32_sdwa v11, v11, v17 dst_sel:DWORD dst_unused:UNUSED_PAD src0_sel:WORD_1 src1_sel:DWORD
	v_cmp_ne_u32_e32 vcc, 0, v9
	v_and_b32_e32 v15, 0xff000000, v7
	v_mul_lo_u16_e32 v8, v16, v7
	v_cndmask_b32_e64 v9, v11, 1, vcc
	v_lshlrev_b32_e32 v11, 16, v9
	v_mul_lo_u16_e32 v7, v16, v7
	v_or3_b32 v7, v11, v15, v7
.LBB607_152:
	s_or_b64 exec, exec, s[52:53]
	s_nop 0
	v_mov_b32_dpp v11, v7 row_shr:2 row_mask:0xf bank_mask:0xf
	v_cmp_lt_u32_e32 vcc, 1, v10
	s_and_saveexec_b64 s[52:53], vcc
; %bb.153:
	v_and_b32_e32 v9, 0xff0000, v7
	v_cmp_eq_u32_e32 vcc, 0, v9
	v_and_b32_e32 v7, 0x10000, v7
	s_nop 0
	v_cndmask_b32_e32 v9, 1, v11, vcc
	v_mul_lo_u16_e32 v8, v9, v8
	v_mov_b32_e32 v9, 1
	v_and_b32_sdwa v9, v11, v9 dst_sel:DWORD dst_unused:UNUSED_PAD src0_sel:WORD_1 src1_sel:DWORD
	v_cmp_eq_u32_e32 vcc, 0, v7
	s_nop 1
	v_cndmask_b32_e32 v9, 1, v9, vcc
; %bb.154:
	s_or_b64 exec, exec, s[52:53]
	ds_write_b16 v6, v8
	ds_write_b8 v6, v9 offset:2
.LBB607_155:
	s_or_b64 exec, exec, s[48:49]
	v_cmp_gt_u32_e32 vcc, 64, v0
	v_cmp_lt_u32_e64 s[48:49], 63, v0
	v_mov_b32_e32 v15, 0
	v_mov_b32_e32 v16, 0
	s_waitcnt lgkmcnt(0)
	s_barrier
	s_and_saveexec_b64 s[52:53], s[48:49]
	s_cbranch_execz .LBB607_157
; %bb.156:
	v_lshl_add_u32 v4, v4, 2, -4
	ds_read_u16 v15, v4
	ds_read_u8 v16, v4 offset:2
	v_and_b32_e32 v6, 1, v3
	v_cmp_eq_u16_e64 s[48:49], 0, v3
	s_waitcnt lgkmcnt(1)
	s_nop 0
	v_cndmask_b32_e64 v3, 1, v15, s[48:49]
	v_cmp_eq_u32_e64 s[48:49], 1, v6
	v_mul_lo_u16_e32 v2, v3, v2
	s_waitcnt lgkmcnt(0)
	v_cndmask_b32_e64 v3, v16, 1, s[48:49]
.LBB607_157:
	s_or_b64 exec, exec, s[52:53]
	v_and_b32_e32 v3, 0xff, v3
	v_and_b32_e32 v2, 0xffff, v2
	v_lshl_or_b32 v2, v3, 16, v2
	v_add_u32_e32 v3, -1, v5
	v_and_b32_e32 v4, 64, v5
	v_cmp_lt_i32_e64 s[48:49], v3, v4
	s_nop 1
	v_cndmask_b32_e64 v3, v3, v5, s[48:49]
	v_lshlrev_b32_e32 v3, 2, v3
	ds_bpermute_b32 v17, v3, v2
	v_cmp_eq_u32_e64 s[48:49], 0, v5
	s_and_saveexec_b64 s[52:53], vcc
	s_cbranch_execz .LBB607_200
; %bb.158:
	v_mov_b32_e32 v9, 0
	ds_read_b32 v2, v9 offset:12
	s_and_saveexec_b64 s[60:61], s[48:49]
	s_cbranch_execz .LBB607_160
; %bb.159:
	s_add_i32 s70, s2, 64
	s_mov_b32 s71, 0
	s_lshl_b64 s[70:71], s[70:71], 3
	s_add_u32 s70, s56, s70
	v_mov_b32_e32 v3, 1
	s_addc_u32 s71, s57, s71
	s_waitcnt lgkmcnt(0)
	global_store_dwordx2 v9, v[2:3], s[70:71] sc1
.LBB607_160:
	s_or_b64 exec, exec, s[60:61]
	v_xad_u32 v4, v5, -1, s2
	v_add_u32_e32 v8, 64, v4
	v_lshl_add_u64 v[10:11], v[8:9], 3, s[56:57]
	global_load_dwordx2 v[6:7], v[10:11], off sc1
	s_waitcnt vmcnt(0)
	v_cmp_eq_u16_sdwa s[70:71], v7, v9 src0_sel:BYTE_0 src1_sel:DWORD
	s_and_saveexec_b64 s[60:61], s[70:71]
	s_cbranch_execz .LBB607_164
; %bb.161:
	s_mov_b64 s[70:71], 0
	v_mov_b32_e32 v3, 0
.LBB607_162:                            ; =>This Inner Loop Header: Depth=1
	global_load_dwordx2 v[6:7], v[10:11], off sc1
	s_waitcnt vmcnt(0)
	v_cmp_ne_u16_sdwa s[72:73], v7, v3 src0_sel:BYTE_0 src1_sel:DWORD
	s_or_b64 s[70:71], s[72:73], s[70:71]
	s_andn2_b64 exec, exec, s[70:71]
	s_cbranch_execnz .LBB607_162
; %bb.163:
	s_or_b64 exec, exec, s[70:71]
.LBB607_164:
	s_or_b64 exec, exec, s[60:61]
	v_mov_b32_e32 v3, 2
	v_cmp_eq_u16_sdwa s[60:61], v7, v3 src0_sel:BYTE_0 src1_sel:DWORD
	v_lshlrev_b64 v[8:9], v5, -1
	v_and_b32_e32 v52, 0xffffff, v6
	v_and_b32_e32 v3, s61, v9
	v_or_b32_e32 v3, 0x80000000, v3
	v_ffbl_b32_e32 v3, v3
	v_add_u32_e32 v11, 32, v3
	v_and_b32_e32 v3, 63, v5
	v_cmp_ne_u32_e32 vcc, 63, v3
	v_and_b32_e32 v10, s60, v8
	v_ffbl_b32_e32 v10, v10
	v_addc_co_u32_e32 v41, vcc, 0, v5, vcc
	v_lshlrev_b32_e32 v41, 2, v41
	ds_bpermute_b32 v42, v41, v52
	v_min_u32_e32 v11, v10, v11
	v_lshrrev_b32_e32 v10, 16, v6
	v_cmp_lt_u32_e32 vcc, v3, v11
	v_bfe_u32 v50, v6, 16, 8
	s_and_saveexec_b64 s[60:61], vcc
	s_cbranch_execz .LBB607_166
; %bb.165:
	v_and_b32_e32 v10, 0xff0000, v6
	v_cmp_eq_u32_e32 vcc, 0, v10
	v_and_b32_e32 v10, 0x10000, v10
	v_mov_b32_e32 v45, 1
	s_waitcnt lgkmcnt(0)
	v_cndmask_b32_e32 v43, 1, v42, vcc
	v_and_b32_sdwa v42, v42, v45 dst_sel:DWORD dst_unused:UNUSED_PAD src0_sel:WORD_1 src1_sel:DWORD
	v_cmp_ne_u32_e32 vcc, 0, v10
	v_mul_lo_u16_e32 v44, v43, v6
	v_mul_lo_u16_e32 v6, v43, v6
	v_cndmask_b32_e64 v10, v42, 1, vcc
	v_lshlrev_b32_e32 v42, 16, v10
	v_or_b32_e32 v52, v42, v6
	v_mov_b32_e32 v6, v44
	v_mov_b32_e32 v50, v10
.LBB607_166:
	s_or_b64 exec, exec, s[60:61]
	v_cmp_gt_u32_e32 vcc, 62, v3
	v_add_u32_e32 v43, 2, v3
	s_waitcnt lgkmcnt(0)
	v_cndmask_b32_e64 v42, 0, 1, vcc
	v_lshlrev_b32_e32 v42, 1, v42
	v_add_lshl_u32 v42, v42, v5, 2
	ds_bpermute_b32 v44, v42, v52
	v_cmp_le_u32_e32 vcc, v43, v11
	s_and_saveexec_b64 s[60:61], vcc
	s_cbranch_execz .LBB607_168
; %bb.167:
	v_cmp_eq_u16_e32 vcc, 0, v50
	v_and_b32_e32 v10, 1, v50
	v_mov_b32_e32 v47, 1
	s_waitcnt lgkmcnt(0)
	v_cndmask_b32_e32 v45, 1, v44, vcc
	v_and_b32_sdwa v44, v44, v47 dst_sel:DWORD dst_unused:UNUSED_PAD src0_sel:WORD_1 src1_sel:DWORD
	v_cmp_eq_u32_e32 vcc, 1, v10
	v_mul_lo_u16_e32 v46, v45, v6
	v_mul_lo_u16_e32 v6, v45, v6
	v_cndmask_b32_e64 v10, v44, 1, vcc
	v_lshlrev_b32_e32 v44, 16, v10
	v_or_b32_e32 v52, v44, v6
	v_mov_b32_e32 v6, v46
	v_mov_b32_e32 v50, v10
.LBB607_168:
	s_or_b64 exec, exec, s[60:61]
	v_cmp_gt_u32_e32 vcc, 60, v3
	v_add_u32_e32 v45, 4, v3
	s_waitcnt lgkmcnt(0)
	v_cndmask_b32_e64 v44, 0, 1, vcc
	v_lshlrev_b32_e32 v44, 2, v44
	v_add_lshl_u32 v44, v44, v5, 2
	ds_bpermute_b32 v46, v44, v52
	v_cmp_le_u32_e32 vcc, v45, v11
	s_and_saveexec_b64 s[60:61], vcc
	s_cbranch_execz .LBB607_170
; %bb.169:
	v_cmp_eq_u16_e32 vcc, 0, v50
	v_and_b32_e32 v10, 1, v50
	v_mov_b32_e32 v49, 1
	s_waitcnt lgkmcnt(0)
	v_cndmask_b32_e32 v47, 1, v46, vcc
	v_and_b32_sdwa v46, v46, v49 dst_sel:DWORD dst_unused:UNUSED_PAD src0_sel:WORD_1 src1_sel:DWORD
	v_cmp_eq_u32_e32 vcc, 1, v10
	v_mul_lo_u16_e32 v48, v47, v6
	v_mul_lo_u16_e32 v6, v47, v6
	v_cndmask_b32_e64 v10, v46, 1, vcc
	v_lshlrev_b32_e32 v46, 16, v10
	v_or_b32_e32 v52, v46, v6
	v_mov_b32_e32 v6, v48
	v_mov_b32_e32 v50, v10
.LBB607_170:
	s_or_b64 exec, exec, s[60:61]
	v_cmp_gt_u32_e32 vcc, 56, v3
	v_add_u32_e32 v47, 8, v3
	s_waitcnt lgkmcnt(0)
	v_cndmask_b32_e64 v46, 0, 1, vcc
	v_lshlrev_b32_e32 v46, 3, v46
	v_add_lshl_u32 v46, v46, v5, 2
	ds_bpermute_b32 v48, v46, v52
	v_cmp_le_u32_e32 vcc, v47, v11
	s_and_saveexec_b64 s[60:61], vcc
	s_cbranch_execz .LBB607_172
; %bb.171:
	v_cmp_eq_u16_e32 vcc, 0, v50
	v_and_b32_e32 v10, 1, v50
	v_mov_b32_e32 v50, 1
	s_waitcnt lgkmcnt(0)
	v_cndmask_b32_e32 v49, 1, v48, vcc
	v_and_b32_sdwa v48, v48, v50 dst_sel:DWORD dst_unused:UNUSED_PAD src0_sel:WORD_1 src1_sel:DWORD
	v_cmp_eq_u32_e32 vcc, 1, v10
	v_mul_lo_u16_e32 v51, v49, v6
	v_mul_lo_u16_e32 v6, v49, v6
	v_cndmask_b32_e64 v10, v48, 1, vcc
	v_lshlrev_b32_e32 v48, 16, v10
	v_or_b32_e32 v52, v48, v6
	v_mov_b32_e32 v6, v51
	v_mov_b32_e32 v50, v10
.LBB607_172:
	s_or_b64 exec, exec, s[60:61]
	v_cmp_gt_u32_e32 vcc, 48, v3
	v_add_u32_e32 v49, 16, v3
	s_waitcnt lgkmcnt(0)
	v_cndmask_b32_e64 v48, 0, 1, vcc
	v_lshlrev_b32_e32 v48, 4, v48
	v_add_lshl_u32 v48, v48, v5, 2
	ds_bpermute_b32 v51, v48, v52
	v_cmp_le_u32_e32 vcc, v49, v11
	s_and_saveexec_b64 s[60:61], vcc
	s_cbranch_execz .LBB607_174
; %bb.173:
	v_cmp_eq_u16_e32 vcc, 0, v50
	v_and_b32_e32 v10, 1, v50
	v_mov_b32_e32 v50, 1
	s_waitcnt lgkmcnt(0)
	v_cndmask_b32_e32 v52, 1, v51, vcc
	v_and_b32_sdwa v50, v51, v50 dst_sel:DWORD dst_unused:UNUSED_PAD src0_sel:WORD_1 src1_sel:DWORD
	v_cmp_eq_u32_e32 vcc, 1, v10
	v_mul_lo_u16_e32 v53, v52, v6
	v_mul_lo_u16_e32 v6, v52, v6
	v_cndmask_b32_e64 v10, v50, 1, vcc
	v_lshlrev_b32_e32 v50, 16, v10
	v_or_b32_e32 v52, v50, v6
	v_mov_b32_e32 v6, v53
	v_mov_b32_e32 v50, v10
.LBB607_174:
	s_or_b64 exec, exec, s[60:61]
	v_cmp_gt_u32_e32 vcc, 32, v3
	s_waitcnt lgkmcnt(0)
	s_nop 0
	v_cndmask_b32_e64 v51, 0, 1, vcc
	v_lshlrev_b32_e32 v51, 5, v51
	v_add_lshl_u32 v51, v51, v5, 2
	ds_bpermute_b32 v5, v51, v52
	v_add_u32_e32 v52, 32, v3
	v_cmp_le_u32_e32 vcc, v52, v11
	s_and_saveexec_b64 s[60:61], vcc
	s_cbranch_execz .LBB607_176
; %bb.175:
	v_cmp_eq_u16_e32 vcc, 0, v50
	v_mov_b32_e32 v11, 1
	s_waitcnt lgkmcnt(0)
	v_cndmask_b32_e32 v10, 1, v5, vcc
	v_mul_lo_u16_e32 v6, v10, v6
	v_and_b32_e32 v10, 1, v50
	v_and_b32_sdwa v5, v5, v11 dst_sel:DWORD dst_unused:UNUSED_PAD src0_sel:WORD_1 src1_sel:DWORD
	v_cmp_eq_u32_e32 vcc, 1, v10
	s_nop 1
	v_cndmask_b32_e64 v10, v5, 1, vcc
.LBB607_176:
	s_or_b64 exec, exec, s[60:61]
	s_waitcnt lgkmcnt(0)
	v_mov_b32_e32 v5, 0
	v_mov_b32_e32 v54, 2
	;; [unrolled: 1-line block ×3, first 2 shown]
	s_branch .LBB607_178
.LBB607_177:                            ;   in Loop: Header=BB607_178 Depth=1
	s_or_b64 exec, exec, s[60:61]
	v_cmp_eq_u16_sdwa vcc, v50, v5 src0_sel:BYTE_0 src1_sel:DWORD
	v_and_b32_e32 v10, 1, v50
	v_and_b32_e32 v11, 1, v11
	v_cndmask_b32_e32 v6, 1, v6, vcc
	v_cmp_eq_u32_e32 vcc, 1, v10
	v_subrev_u32_e32 v4, 64, v4
	v_mul_lo_u16_e32 v6, v6, v53
	v_cndmask_b32_e64 v10, v11, 1, vcc
.LBB607_178:                            ; =>This Loop Header: Depth=1
                                        ;     Child Loop BB607_181 Depth 2
	v_cmp_ne_u16_sdwa s[60:61], v7, v54 src0_sel:BYTE_0 src1_sel:DWORD
	v_mov_b32_e32 v50, v10
	v_mov_b32_e32 v53, v6
	v_cndmask_b32_e64 v7, 0, 1, s[60:61]
	;;#ASMSTART
	;;#ASMEND
	s_nop 0
	v_cmp_ne_u32_e32 vcc, 0, v7
	s_cmp_lg_u64 vcc, exec
	s_cbranch_scc1 .LBB607_195
; %bb.179:                              ;   in Loop: Header=BB607_178 Depth=1
	v_lshl_add_u64 v[10:11], v[4:5], 3, s[56:57]
	global_load_dwordx2 v[6:7], v[10:11], off sc1
	s_waitcnt vmcnt(0)
	v_cmp_eq_u16_sdwa s[70:71], v7, v5 src0_sel:BYTE_0 src1_sel:DWORD
	s_and_saveexec_b64 s[60:61], s[70:71]
	s_cbranch_execz .LBB607_183
; %bb.180:                              ;   in Loop: Header=BB607_178 Depth=1
	s_mov_b64 s[70:71], 0
.LBB607_181:                            ;   Parent Loop BB607_178 Depth=1
                                        ; =>  This Inner Loop Header: Depth=2
	global_load_dwordx2 v[6:7], v[10:11], off sc1
	s_waitcnt vmcnt(0)
	v_cmp_ne_u16_sdwa s[72:73], v7, v5 src0_sel:BYTE_0 src1_sel:DWORD
	s_or_b64 s[70:71], s[72:73], s[70:71]
	s_andn2_b64 exec, exec, s[70:71]
	s_cbranch_execnz .LBB607_181
; %bb.182:                              ;   in Loop: Header=BB607_178 Depth=1
	s_or_b64 exec, exec, s[70:71]
.LBB607_183:                            ;   in Loop: Header=BB607_178 Depth=1
	s_or_b64 exec, exec, s[60:61]
	v_cmp_eq_u16_sdwa s[60:61], v7, v54 src0_sel:BYTE_0 src1_sel:DWORD
	s_waitcnt lgkmcnt(0)
	v_and_b32_e32 v57, 0xffffff, v6
	ds_bpermute_b32 v58, v41, v57
	v_and_b32_e32 v10, s61, v9
	v_or_b32_e32 v10, 0x80000000, v10
	v_and_b32_e32 v11, s60, v8
	v_ffbl_b32_e32 v10, v10
	v_add_u32_e32 v10, 32, v10
	v_ffbl_b32_e32 v11, v11
	v_min_u32_e32 v10, v11, v10
	v_lshrrev_b32_e32 v11, 16, v6
	v_cmp_lt_u32_e32 vcc, v3, v10
	v_bfe_u32 v56, v6, 16, 8
	s_and_saveexec_b64 s[60:61], vcc
	s_cbranch_execz .LBB607_185
; %bb.184:                              ;   in Loop: Header=BB607_178 Depth=1
	v_and_b32_e32 v11, 0xff0000, v6
	v_cmp_eq_u32_e32 vcc, 0, v11
	v_and_b32_e32 v11, 0x10000, v11
	s_waitcnt lgkmcnt(0)
	v_and_b32_sdwa v57, v58, v55 dst_sel:DWORD dst_unused:UNUSED_PAD src0_sel:WORD_1 src1_sel:DWORD
	v_cndmask_b32_e32 v56, 1, v58, vcc
	v_cmp_ne_u32_e32 vcc, 0, v11
	v_mul_lo_u16_e32 v59, v56, v6
	v_mul_lo_u16_e32 v6, v56, v6
	v_cndmask_b32_e64 v11, v57, 1, vcc
	v_lshlrev_b32_e32 v57, 16, v11
	v_or_b32_e32 v57, v57, v6
	v_mov_b32_e32 v6, v59
	v_mov_b32_e32 v56, v11
.LBB607_185:                            ;   in Loop: Header=BB607_178 Depth=1
	s_or_b64 exec, exec, s[60:61]
	s_waitcnt lgkmcnt(0)
	ds_bpermute_b32 v58, v42, v57
	v_cmp_le_u32_e32 vcc, v43, v10
	s_and_saveexec_b64 s[60:61], vcc
	s_cbranch_execz .LBB607_187
; %bb.186:                              ;   in Loop: Header=BB607_178 Depth=1
	v_cmp_eq_u16_e32 vcc, 0, v56
	v_and_b32_e32 v11, 1, v56
	s_waitcnt lgkmcnt(0)
	v_and_b32_sdwa v56, v58, v55 dst_sel:DWORD dst_unused:UNUSED_PAD src0_sel:WORD_1 src1_sel:DWORD
	v_cndmask_b32_e32 v57, 1, v58, vcc
	v_cmp_eq_u32_e32 vcc, 1, v11
	v_mul_lo_u16_e32 v59, v57, v6
	v_mul_lo_u16_e32 v6, v57, v6
	v_cndmask_b32_e64 v11, v56, 1, vcc
	v_lshlrev_b32_e32 v56, 16, v11
	v_or_b32_e32 v57, v56, v6
	v_mov_b32_e32 v6, v59
	v_mov_b32_e32 v56, v11
.LBB607_187:                            ;   in Loop: Header=BB607_178 Depth=1
	s_or_b64 exec, exec, s[60:61]
	s_waitcnt lgkmcnt(0)
	ds_bpermute_b32 v58, v44, v57
	v_cmp_le_u32_e32 vcc, v45, v10
	s_and_saveexec_b64 s[60:61], vcc
	s_cbranch_execz .LBB607_189
; %bb.188:                              ;   in Loop: Header=BB607_178 Depth=1
	v_cmp_eq_u16_e32 vcc, 0, v56
	v_and_b32_e32 v11, 1, v56
	s_waitcnt lgkmcnt(0)
	v_and_b32_sdwa v56, v58, v55 dst_sel:DWORD dst_unused:UNUSED_PAD src0_sel:WORD_1 src1_sel:DWORD
	v_cndmask_b32_e32 v57, 1, v58, vcc
	v_cmp_eq_u32_e32 vcc, 1, v11
	v_mul_lo_u16_e32 v59, v57, v6
	v_mul_lo_u16_e32 v6, v57, v6
	v_cndmask_b32_e64 v11, v56, 1, vcc
	v_lshlrev_b32_e32 v56, 16, v11
	v_or_b32_e32 v57, v56, v6
	v_mov_b32_e32 v6, v59
	v_mov_b32_e32 v56, v11
.LBB607_189:                            ;   in Loop: Header=BB607_178 Depth=1
	;; [unrolled: 21-line block ×4, first 2 shown]
	s_or_b64 exec, exec, s[60:61]
	ds_bpermute_b32 v57, v51, v57
	v_cmp_le_u32_e32 vcc, v52, v10
	s_and_saveexec_b64 s[60:61], vcc
	s_cbranch_execz .LBB607_177
; %bb.194:                              ;   in Loop: Header=BB607_178 Depth=1
	v_cmp_eq_u16_e32 vcc, 0, v56
	s_waitcnt lgkmcnt(0)
	v_lshrrev_b32_e32 v11, 16, v57
	v_cndmask_b32_e32 v10, 1, v57, vcc
	v_mul_lo_u16_e32 v6, v10, v6
	v_and_b32_e32 v10, 1, v56
	v_cmp_eq_u32_e32 vcc, 1, v10
	s_nop 1
	v_cndmask_b32_e64 v11, v11, 1, vcc
	s_branch .LBB607_177
.LBB607_195:                            ;   in Loop: Header=BB607_178 Depth=1
                                        ; implicit-def: $vgpr10
                                        ; implicit-def: $vgpr6
	s_cbranch_execz .LBB607_178
; %bb.196:
	s_and_saveexec_b64 s[60:61], s[48:49]
	s_cbranch_execz .LBB607_198
; %bb.197:
	v_and_b32_e32 v3, 0xff0000, v2
	s_mov_b32 s3, 0
	v_cmp_eq_u32_e32 vcc, 0, v3
	v_and_b32_e32 v4, 0x10000, v2
	v_mov_b32_e32 v5, 1
	s_add_i32 s2, s2, 64
	v_cndmask_b32_e32 v3, 1, v53, vcc
	v_and_b32_sdwa v5, v50, v5 dst_sel:WORD_1 dst_unused:UNUSED_PAD src0_sel:DWORD src1_sel:DWORD
	v_mov_b32_e32 v6, 0x10000
	v_cmp_eq_u32_e32 vcc, 0, v4
	s_lshl_b64 s[2:3], s[2:3], 3
	s_add_u32 s2, s56, s2
	v_cndmask_b32_e32 v4, v6, v5, vcc
	v_mul_lo_u16_e32 v2, v3, v2
	s_addc_u32 s3, s57, s3
	v_mov_b32_e32 v5, 0
	v_or_b32_e32 v2, v4, v2
	v_mov_b32_e32 v3, 2
	global_store_dwordx2 v5, v[2:3], s[2:3] sc1
.LBB607_198:
	s_or_b64 exec, exec, s[60:61]
	v_cmp_eq_u32_e32 vcc, 0, v0
	s_and_b64 exec, exec, vcc
	s_cbranch_execz .LBB607_200
; %bb.199:
	v_mov_b32_e32 v2, 0
	ds_write_b16 v2, v53 offset:12
	ds_write_b8 v2, v50 offset:14
.LBB607_200:
	s_or_b64 exec, exec, s[52:53]
	v_mov_b32_e32 v2, 0
	s_waitcnt lgkmcnt(0)
	s_barrier
	ds_read_b32 v3, v2 offset:12
	v_lshrrev_b32_e32 v4, 16, v17
	v_cndmask_b32_e64 v4, v4, v16, s[48:49]
	v_cmp_eq_u16_sdwa vcc, v4, v2 src0_sel:BYTE_0 src1_sel:DWORD
	v_cndmask_b32_e64 v5, v17, v15, s[48:49]
	s_waitcnt lgkmcnt(0)
	v_cndmask_b32_e32 v2, 1, v3, vcc
	v_mul_lo_u16_e32 v2, v2, v5
	v_cmp_eq_u32_e32 vcc, 0, v0
	s_nop 1
	v_cndmask_b32_e32 v6, v2, v3, vcc
	v_and_b32_e32 v2, 0xff0000, v1
	v_cmp_eq_u32_e32 vcc, 0, v2
	s_nop 1
	v_cndmask_b32_e32 v2, 1, v6, vcc
	v_mul_lo_u16_e32 v4, v2, v1
	v_cndmask_b32_e64 v2, 1, v4, s[50:51]
	v_mul_lo_u16_e32 v5, v2, v18
	v_cndmask_b32_e64 v2, 1, v5, s[4:5]
	;; [unrolled: 2-line block ×22, first 2 shown]
	v_mul_lo_u16_e32 v53, v2, v40
	s_branch .LBB607_251
.LBB607_201:
	s_or_b64 exec, exec, s[52:53]
                                        ; implicit-def: $vgpr50
	s_and_saveexec_b64 s[52:53], s[50:51]
	s_cbranch_execz .LBB607_53
.LBB607_202:
	v_mov_b32_e32 v37, 0
	v_lshl_add_u64 v[50:51], s[70:71], 0, v[36:37]
	flat_load_ushort v50, v[50:51] offset:512
	s_or_b64 exec, exec, s[52:53]
                                        ; implicit-def: $vgpr51
	s_and_saveexec_b64 s[50:51], s[4:5]
	s_cbranch_execnz .LBB607_54
.LBB607_203:
	s_or_b64 exec, exec, s[50:51]
                                        ; implicit-def: $vgpr52
	s_and_saveexec_b64 s[4:5], s[6:7]
	s_cbranch_execz .LBB607_55
.LBB607_204:
	v_mov_b32_e32 v37, 0
	v_lshl_add_u64 v[52:53], s[70:71], 0, v[36:37]
	flat_load_ushort v52, v[52:53] offset:1536
	s_or_b64 exec, exec, s[4:5]
                                        ; implicit-def: $vgpr53
	s_and_saveexec_b64 s[4:5], s[8:9]
	s_cbranch_execnz .LBB607_56
.LBB607_205:
	s_or_b64 exec, exec, s[4:5]
                                        ; implicit-def: $vgpr54
	s_and_saveexec_b64 s[4:5], s[10:11]
	s_cbranch_execz .LBB607_57
.LBB607_206:
	v_mov_b32_e32 v37, 0
	v_lshl_add_u64 v[54:55], s[70:71], 0, v[36:37]
	flat_load_ushort v54, v[54:55] offset:2560
	s_or_b64 exec, exec, s[4:5]
                                        ; implicit-def: $vgpr55
	s_and_saveexec_b64 s[4:5], s[12:13]
	s_cbranch_execnz .LBB607_58
.LBB607_207:
	s_or_b64 exec, exec, s[4:5]
                                        ; implicit-def: $vgpr37
	s_and_saveexec_b64 s[4:5], s[14:15]
	s_cbranch_execz .LBB607_59
.LBB607_208:
	v_mov_b32_e32 v37, 0
	v_lshl_add_u64 v[56:57], s[70:71], 0, v[36:37]
	flat_load_ushort v37, v[56:57] offset:3584
	s_or_b64 exec, exec, s[4:5]
                                        ; implicit-def: $vgpr15
	s_and_saveexec_b64 s[4:5], s[16:17]
	s_cbranch_execnz .LBB607_60
.LBB607_209:
	s_or_b64 exec, exec, s[4:5]
                                        ; implicit-def: $vgpr14
	s_and_saveexec_b64 s[4:5], s[18:19]
	s_cbranch_execz .LBB607_61
.LBB607_210:
	v_mov_b32_e32 v17, 0
	v_lshl_add_u64 v[16:17], s[70:71], 0, v[16:17]
	flat_load_ushort v14, v[16:17]
	s_or_b64 exec, exec, s[4:5]
                                        ; implicit-def: $vgpr16
	s_and_saveexec_b64 s[4:5], s[20:21]
	s_cbranch_execnz .LBB607_62
.LBB607_211:
	s_or_b64 exec, exec, s[4:5]
                                        ; implicit-def: $vgpr17
	s_and_saveexec_b64 s[4:5], s[22:23]
	s_cbranch_execz .LBB607_63
.LBB607_212:
	v_mov_b32_e32 v21, 0
	v_lshl_add_u64 v[18:19], s[70:71], 0, v[20:21]
	flat_load_ushort v17, v[18:19]
	s_or_b64 exec, exec, s[4:5]
                                        ; implicit-def: $vgpr18
	s_and_saveexec_b64 s[4:5], s[24:25]
	s_cbranch_execnz .LBB607_64
.LBB607_213:
	s_or_b64 exec, exec, s[4:5]
                                        ; implicit-def: $vgpr19
	s_and_saveexec_b64 s[4:5], s[26:27]
	s_cbranch_execz .LBB607_65
.LBB607_214:
	v_mov_b32_e32 v25, 0
	v_lshl_add_u64 v[20:21], s[70:71], 0, v[24:25]
	flat_load_ushort v19, v[20:21]
	s_or_b64 exec, exec, s[4:5]
                                        ; implicit-def: $vgpr20
	s_and_saveexec_b64 s[4:5], s[28:29]
	s_cbranch_execnz .LBB607_66
.LBB607_215:
	s_or_b64 exec, exec, s[4:5]
                                        ; implicit-def: $vgpr21
	s_and_saveexec_b64 s[4:5], s[30:31]
	s_cbranch_execz .LBB607_67
.LBB607_216:
	v_mov_b32_e32 v29, 0
	v_lshl_add_u64 v[22:23], s[70:71], 0, v[28:29]
	flat_load_ushort v21, v[22:23]
	s_or_b64 exec, exec, s[4:5]
                                        ; implicit-def: $vgpr22
	s_and_saveexec_b64 s[4:5], s[34:35]
	s_cbranch_execnz .LBB607_68
.LBB607_217:
	s_or_b64 exec, exec, s[4:5]
                                        ; implicit-def: $vgpr23
	s_and_saveexec_b64 s[4:5], s[36:37]
	s_cbranch_execz .LBB607_69
.LBB607_218:
	v_mov_b32_e32 v33, 0
	v_lshl_add_u64 v[24:25], s[70:71], 0, v[32:33]
	flat_load_ushort v23, v[24:25]
	s_or_b64 exec, exec, s[4:5]
                                        ; implicit-def: $vgpr24
	s_and_saveexec_b64 s[4:5], s[38:39]
	s_cbranch_execnz .LBB607_70
.LBB607_219:
	s_or_b64 exec, exec, s[4:5]
                                        ; implicit-def: $vgpr25
	s_and_saveexec_b64 s[4:5], s[40:41]
	s_cbranch_execz .LBB607_71
.LBB607_220:
	v_mov_b32_e32 v39, 0
	v_lshl_add_u64 v[26:27], s[70:71], 0, v[38:39]
	flat_load_ushort v25, v[26:27]
	s_or_b64 exec, exec, s[4:5]
                                        ; implicit-def: $vgpr27
	s_and_saveexec_b64 s[4:5], s[42:43]
	s_cbranch_execnz .LBB607_72
.LBB607_221:
	s_or_b64 exec, exec, s[4:5]
                                        ; implicit-def: $vgpr28
	s_and_saveexec_b64 s[4:5], s[44:45]
	s_cbranch_execz .LBB607_73
.LBB607_222:
	v_mov_b32_e32 v43, 0
	v_lshl_add_u64 v[28:29], s[70:71], 0, v[42:43]
	flat_load_ushort v28, v[28:29]
	s_or_b64 exec, exec, s[4:5]
                                        ; implicit-def: $vgpr29
	s_and_saveexec_b64 s[4:5], s[46:47]
	s_cbranch_execz .LBB607_75
	s_branch .LBB607_74
.LBB607_223:
                                        ; implicit-def: $vgpr6
                                        ; implicit-def: $vgpr4
                                        ; implicit-def: $vgpr5
                                        ; implicit-def: $vgpr7
                                        ; implicit-def: $vgpr8
                                        ; implicit-def: $vgpr9
                                        ; implicit-def: $vgpr11
                                        ; implicit-def: $vgpr16
                                        ; implicit-def: $vgpr10
                                        ; implicit-def: $vgpr15
                                        ; implicit-def: $vgpr17
                                        ; implicit-def: $vgpr41
                                        ; implicit-def: $vgpr42
                                        ; implicit-def: $vgpr43
                                        ; implicit-def: $vgpr45
                                        ; implicit-def: $vgpr47
                                        ; implicit-def: $vgpr44
                                        ; implicit-def: $vgpr46
                                        ; implicit-def: $vgpr48
                                        ; implicit-def: $vgpr49
                                        ; implicit-def: $vgpr50
                                        ; implicit-def: $vgpr51
                                        ; implicit-def: $vgpr52
                                        ; implicit-def: $vgpr53
	s_cbranch_execz .LBB607_251
; %bb.224:
	s_cmp_lg_u64 s[68:69], 0
	s_cselect_b32 s3, s63, 0
	s_cselect_b32 s2, s62, 0
	s_cmp_eq_u64 s[2:3], 0
	v_mov_b32_e32 v2, s78
	s_cbranch_scc1 .LBB607_226
; %bb.225:
	v_mov_b32_e32 v2, 0
	global_load_ushort v2, v2, s[2:3]
.LBB607_226:
	s_mov_b32 s46, 0x10000
	v_cmp_gt_u32_e32 vcc, s46, v18
	v_cmp_gt_u32_e64 s[2:3], s46, v25
	v_cmp_gt_u32_e64 s[4:5], s46, v19
	v_cndmask_b32_e32 v3, 1, v1, vcc
	v_mul_lo_u16_e32 v3, v3, v18
	v_cndmask_b32_e64 v3, 1, v3, s[2:3]
	v_mul_lo_u16_e32 v3, v3, v25
	v_cndmask_b32_e64 v3, 1, v3, s[4:5]
	v_mul_lo_u16_e32 v3, v3, v19
	v_cmp_gt_u32_e64 s[6:7], s46, v27
	v_cmp_gt_u32_e64 s[8:9], s46, v20
	v_cmp_gt_u32_e64 s[10:11], s46, v28
	v_cndmask_b32_e64 v3, 1, v3, s[6:7]
	v_mul_lo_u16_e32 v3, v3, v27
	v_cndmask_b32_e64 v3, 1, v3, s[8:9]
	v_mul_lo_u16_e32 v3, v3, v20
	v_cndmask_b32_e64 v3, 1, v3, s[10:11]
	v_mul_lo_u16_e32 v3, v3, v28
	v_cmp_gt_u32_e64 s[12:13], s46, v21
	v_cmp_gt_u32_e64 s[14:15], s46, v29
	v_cmp_gt_u32_e64 s[16:17], s46, v30
	v_cndmask_b32_e64 v3, 1, v3, s[12:13]
	;; [unrolled: 9-line block ×5, first 2 shown]
	v_mul_lo_u16_e32 v3, v3, v37
	v_cndmask_b32_e64 v3, 1, v3, s[34:35]
	v_mul_lo_u16_e32 v3, v3, v22
	v_cndmask_b32_e64 v3, 1, v3, s[36:37]
	v_or3_b32 v6, v14, v38, v22
	v_mul_lo_u16_e32 v3, v3, v38
	v_cmp_gt_u32_e64 s[38:39], s46, v23
	v_or3_b32 v6, v6, v37, v36
	v_or3_b32 v6, v6, v35, v34
	v_cndmask_b32_e64 v3, 1, v3, s[38:39]
	v_mul_lo_u16_e32 v3, v3, v23
	v_cmp_gt_u32_e64 s[40:41], s46, v39
	v_or3_b32 v6, v6, v33, v32
	v_or3_b32 v6, v6, v31, v30
	v_cndmask_b32_e64 v3, 1, v3, s[40:41]
	;; [unrolled: 5-line block ×4, first 2 shown]
	v_mul_lo_u16_e32 v3, v3, v40
	v_cmp_gt_u32_e64 s[46:47], s46, v12
	v_and_b32_e32 v6, 0x10000, v6
	v_and_b32_e32 v5, 0x10000, v1
	v_cndmask_b32_e64 v3, 1, v3, s[46:47]
	v_mov_b32_e32 v7, 0x10000
	v_cmp_ne_u32_e64 s[46:47], 0, v6
	v_mul_lo_u16_e32 v4, v3, v12
	v_mul_lo_u16_e32 v6, v3, v12
	v_cndmask_b32_e64 v7, v5, v7, s[46:47]
	v_mbcnt_hi_u32_b32 v3, -1, v13
	v_and_b32_e32 v8, 15, v3
	v_or_b32_e32 v6, v7, v6
	v_lshrrev_b32_e32 v5, 16, v7
	v_cmp_ne_u32_e64 s[46:47], 0, v8
	v_mov_b32_dpp v9, v6 row_shr:1 row_mask:0xf bank_mask:0xf
	s_and_saveexec_b64 s[48:49], s[46:47]
	s_cbranch_execz .LBB607_228
; %bb.227:
	v_cmp_eq_u32_e64 s[46:47], 0, v7
	v_and_b32_e32 v5, 0x10000, v7
	v_mov_b32_e32 v7, 1
	v_cndmask_b32_e64 v6, 1, v9, s[46:47]
	v_and_b32_sdwa v7, v9, v7 dst_sel:DWORD dst_unused:UNUSED_PAD src0_sel:WORD_1 src1_sel:DWORD
	v_cmp_ne_u32_e64 s[46:47], 0, v5
	v_mul_lo_u16_e32 v10, v6, v4
	v_mul_lo_u16_e32 v4, v6, v4
	v_cndmask_b32_e64 v5, v7, 1, s[46:47]
	v_lshlrev_b32_e32 v7, 16, v5
	v_or_b32_e32 v6, v7, v4
	v_mov_b32_e32 v4, v10
.LBB607_228:
	s_or_b64 exec, exec, s[48:49]
	v_lshrrev_b32_e32 v7, 16, v6
	v_mov_b32_dpp v9, v6 row_shr:2 row_mask:0xf bank_mask:0xf
	v_cmp_lt_u32_e64 s[46:47], 1, v8
	s_and_saveexec_b64 s[48:49], s[46:47]
	s_cbranch_execz .LBB607_230
; %bb.229:
	s_mov_b32 s46, 0x10000
	v_cmp_gt_u32_e64 s[46:47], s46, v6
	v_and_b32_e32 v5, 0x10000, v6
	v_mov_b32_e32 v6, 1
	v_cndmask_b32_e64 v7, 1, v9, s[46:47]
	v_and_b32_sdwa v6, v9, v6 dst_sel:DWORD dst_unused:UNUSED_PAD src0_sel:WORD_1 src1_sel:DWORD
	v_cmp_ne_u32_e64 s[46:47], 0, v5
	v_mul_lo_u16_e32 v10, v7, v4
	v_mul_lo_u16_e32 v4, v7, v4
	v_cndmask_b32_e64 v5, v6, 1, s[46:47]
	v_lshlrev_b32_e32 v6, 16, v5
	v_or_b32_e32 v6, v6, v4
	v_mov_b32_e32 v7, v5
	v_mov_b32_e32 v4, v10
.LBB607_230:
	s_or_b64 exec, exec, s[48:49]
	v_mov_b32_dpp v9, v6 row_shr:4 row_mask:0xf bank_mask:0xf
	v_cmp_lt_u32_e64 s[46:47], 3, v8
	s_and_saveexec_b64 s[48:49], s[46:47]
	s_cbranch_execz .LBB607_232
; %bb.231:
	v_cmp_eq_u16_e64 s[46:47], 0, v7
	v_and_b32_e32 v5, 1, v7
	v_mov_b32_e32 v7, 1
	v_cndmask_b32_e64 v6, 1, v9, s[46:47]
	v_and_b32_sdwa v7, v9, v7 dst_sel:DWORD dst_unused:UNUSED_PAD src0_sel:WORD_1 src1_sel:DWORD
	v_cmp_eq_u32_e64 s[46:47], 1, v5
	v_mul_lo_u16_e32 v10, v6, v4
	v_mul_lo_u16_e32 v4, v6, v4
	v_cndmask_b32_e64 v5, v7, 1, s[46:47]
	v_lshlrev_b32_e32 v7, 16, v5
	v_or_b32_e32 v6, v7, v4
	v_mov_b32_e32 v7, v5
	v_mov_b32_e32 v4, v10
.LBB607_232:
	s_or_b64 exec, exec, s[48:49]
	v_mov_b32_dpp v9, v6 row_shr:8 row_mask:0xf bank_mask:0xf
	v_cmp_lt_u32_e64 s[46:47], 7, v8
	s_and_saveexec_b64 s[48:49], s[46:47]
	s_cbranch_execz .LBB607_234
; %bb.233:
	v_cmp_eq_u16_e64 s[46:47], 0, v7
	v_and_b32_e32 v5, 1, v7
	v_mov_b32_e32 v7, 1
	v_cndmask_b32_e64 v6, 1, v9, s[46:47]
	v_and_b32_sdwa v7, v9, v7 dst_sel:DWORD dst_unused:UNUSED_PAD src0_sel:WORD_1 src1_sel:DWORD
	v_cmp_eq_u32_e64 s[46:47], 1, v5
	v_mul_lo_u16_e32 v8, v6, v4
	v_mul_lo_u16_e32 v4, v6, v4
	v_cndmask_b32_e64 v5, v7, 1, s[46:47]
	v_lshlrev_b32_e32 v7, 16, v5
	v_or_b32_e32 v6, v7, v4
	v_mov_b32_e32 v7, v5
	v_mov_b32_e32 v4, v8
.LBB607_234:
	s_or_b64 exec, exec, s[48:49]
	v_and_b32_e32 v9, 16, v3
	v_mov_b32_dpp v8, v6 row_bcast:15 row_mask:0xf bank_mask:0xf
	v_cmp_ne_u32_e64 s[46:47], 0, v9
	s_and_saveexec_b64 s[48:49], s[46:47]
	s_cbranch_execz .LBB607_236
; %bb.235:
	v_cmp_eq_u16_e64 s[46:47], 0, v7
	v_and_b32_e32 v5, 1, v7
	v_mov_b32_e32 v7, 1
	v_cndmask_b32_e64 v6, 1, v8, s[46:47]
	v_and_b32_sdwa v7, v8, v7 dst_sel:DWORD dst_unused:UNUSED_PAD src0_sel:WORD_1 src1_sel:DWORD
	v_cmp_eq_u32_e64 s[46:47], 1, v5
	v_mul_lo_u16_e32 v9, v6, v4
	v_mul_lo_u16_e32 v4, v6, v4
	v_cndmask_b32_e64 v5, v7, 1, s[46:47]
	v_lshlrev_b32_e32 v7, 16, v5
	v_or_b32_e32 v6, v7, v4
	v_mov_b32_e32 v7, v5
	v_mov_b32_e32 v4, v9
.LBB607_236:
	s_or_b64 exec, exec, s[48:49]
	v_mov_b32_dpp v6, v6 row_bcast:31 row_mask:0xf bank_mask:0xf
	v_cmp_lt_u32_e64 s[46:47], 31, v3
	s_and_saveexec_b64 s[48:49], s[46:47]
; %bb.237:
	v_cmp_eq_u16_e64 s[46:47], 0, v7
	s_nop 1
	v_cndmask_b32_e64 v5, 1, v6, s[46:47]
	v_mul_lo_u16_e32 v4, v5, v4
	v_and_b32_e32 v5, 1, v7
	v_mov_b32_e32 v7, 1
	v_and_b32_sdwa v6, v6, v7 dst_sel:DWORD dst_unused:UNUSED_PAD src0_sel:WORD_1 src1_sel:DWORD
	v_cmp_eq_u32_e64 s[46:47], 1, v5
	s_nop 1
	v_cndmask_b32_e64 v5, v6, 1, s[46:47]
; %bb.238:
	s_or_b64 exec, exec, s[48:49]
	v_or_b32_e32 v7, 63, v0
	v_lshrrev_b32_e32 v6, 6, v0
	v_cmp_eq_u32_e64 s[46:47], v7, v0
	s_and_saveexec_b64 s[48:49], s[46:47]
	s_cbranch_execz .LBB607_240
; %bb.239:
	v_lshlrev_b32_e32 v7, 2, v6
	ds_write_b16 v7, v4
	ds_write_b8 v7, v5 offset:2
.LBB607_240:
	s_or_b64 exec, exec, s[48:49]
	v_cmp_gt_u32_e64 s[46:47], 4, v0
	s_waitcnt lgkmcnt(0)
	s_barrier
	s_and_saveexec_b64 s[48:49], s[46:47]
	s_cbranch_execz .LBB607_246
; %bb.241:
	v_lshlrev_b32_e32 v7, 2, v0
	ds_read_b32 v8, v7
	v_and_b32_e32 v11, 3, v3
	v_cmp_ne_u32_e64 s[46:47], 0, v11
	s_waitcnt lgkmcnt(0)
	v_lshrrev_b32_e32 v10, 16, v8
	v_mov_b32_dpp v12, v8 row_shr:1 row_mask:0xf bank_mask:0xf
	v_mov_b32_e32 v9, v8
	s_and_saveexec_b64 s[50:51], s[46:47]
	s_cbranch_execz .LBB607_243
; %bb.242:
	v_mov_b32_e32 v9, 0
	v_cmp_eq_u16_sdwa s[46:47], v10, v9 src0_sel:BYTE_0 src1_sel:DWORD
	v_and_b32_e32 v10, 0x10000, v8
	v_mov_b32_e32 v15, 1
	v_cndmask_b32_e64 v14, 1, v12, s[46:47]
	v_and_b32_sdwa v12, v12, v15 dst_sel:DWORD dst_unused:UNUSED_PAD src0_sel:WORD_1 src1_sel:DWORD
	v_cmp_ne_u32_e64 s[46:47], 0, v10
	v_and_b32_e32 v13, 0xff000000, v8
	v_mul_lo_u16_e32 v9, v14, v8
	v_cndmask_b32_e64 v10, v12, 1, s[46:47]
	v_lshlrev_b32_e32 v12, 16, v10
	v_mul_lo_u16_e32 v8, v14, v8
	v_or3_b32 v8, v12, v13, v8
.LBB607_243:
	s_or_b64 exec, exec, s[50:51]
	s_nop 0
	v_mov_b32_dpp v12, v8 row_shr:2 row_mask:0xf bank_mask:0xf
	v_cmp_lt_u32_e64 s[46:47], 1, v11
	s_and_saveexec_b64 s[50:51], s[46:47]
; %bb.244:
	v_and_b32_e32 v10, 0xff0000, v8
	v_cmp_eq_u32_e64 s[46:47], 0, v10
	v_and_b32_e32 v8, 0x10000, v8
	s_nop 0
	v_cndmask_b32_e64 v10, 1, v12, s[46:47]
	v_mul_lo_u16_e32 v9, v10, v9
	v_mov_b32_e32 v10, 1
	v_and_b32_sdwa v10, v12, v10 dst_sel:DWORD dst_unused:UNUSED_PAD src0_sel:WORD_1 src1_sel:DWORD
	v_cmp_eq_u32_e64 s[46:47], 0, v8
	s_nop 1
	v_cndmask_b32_e64 v10, 1, v10, s[46:47]
; %bb.245:
	s_or_b64 exec, exec, s[50:51]
	ds_write_b16 v7, v9
	ds_write_b8 v7, v10 offset:2
.LBB607_246:
	s_or_b64 exec, exec, s[48:49]
	v_cmp_lt_u32_e64 s[46:47], 63, v0
	v_mov_b32_e32 v8, 0
	s_waitcnt vmcnt(0)
	v_mov_b32_e32 v7, v2
	s_waitcnt lgkmcnt(0)
	s_barrier
	s_and_saveexec_b64 s[48:49], s[46:47]
	s_cbranch_execz .LBB607_248
; %bb.247:
	v_lshl_add_u32 v6, v6, 2, -4
	ds_read_u8 v8, v6 offset:2
	ds_read_u16 v6, v6
	s_waitcnt lgkmcnt(1)
	v_cmp_eq_u16_e64 s[46:47], 0, v8
	s_nop 1
	v_cndmask_b32_e64 v7, 1, v2, s[46:47]
	s_waitcnt lgkmcnt(0)
	v_mul_lo_u16_e32 v7, v7, v6
.LBB607_248:
	s_or_b64 exec, exec, s[48:49]
	v_cmp_eq_u16_e64 s[46:47], 0, v5
	v_and_b32_e32 v5, 1, v5
	v_lshlrev_b32_e32 v8, 16, v8
	v_cndmask_b32_e64 v6, 1, v7, s[46:47]
	v_mov_b32_e32 v9, 0x10000
	v_cmp_eq_u32_e64 s[46:47], 1, v5
	v_mul_lo_u16_e32 v4, v6, v4
	v_and_b32_e32 v6, 64, v3
	v_cndmask_b32_e64 v5, v8, v9, s[46:47]
	v_or_b32_e32 v4, v5, v4
	v_add_u32_e32 v5, -1, v3
	v_cmp_lt_i32_e64 s[46:47], v5, v6
	s_nop 1
	v_cndmask_b32_e64 v5, v5, v3, s[46:47]
	v_lshlrev_b32_e32 v5, 2, v5
	ds_bpermute_b32 v4, v5, v4
	v_cmp_eq_u32_e64 s[46:47], 0, v3
	s_waitcnt lgkmcnt(0)
	s_nop 0
	v_cndmask_b32_e64 v6, v4, v7, s[46:47]
	v_cmp_eq_u32_e64 s[46:47], 0, v0
	v_and_b32_e32 v4, 0xff0000, v1
	v_cmp_eq_u32_e64 s[48:49], 0, v4
	v_cndmask_b32_e64 v3, v6, v2, s[46:47]
	s_nop 0
	v_cndmask_b32_e64 v3, 1, v3, s[48:49]
	v_mul_lo_u16_e32 v4, v3, v1
	v_cndmask_b32_e32 v1, 1, v4, vcc
	v_mul_lo_u16_e32 v5, v1, v18
	v_cndmask_b32_e64 v1, 1, v5, s[2:3]
	v_mul_lo_u16_e32 v7, v1, v25
	v_cndmask_b32_e64 v1, 1, v7, s[4:5]
	;; [unrolled: 2-line block ×21, first 2 shown]
	s_and_saveexec_b64 s[2:3], s[46:47]
	s_cbranch_execz .LBB607_250
; %bb.249:
	v_mov_b32_e32 v3, 0
	ds_read_u8 v6, v3 offset:14
	ds_read_u16 v12, v3 offset:12
	v_mov_b32_e32 v13, 2
	s_waitcnt lgkmcnt(1)
	v_cmp_eq_u32_e32 vcc, 0, v6
	v_lshlrev_b32_e32 v14, 16, v6
	s_nop 0
	v_cndmask_b32_e32 v6, 1, v2, vcc
	s_waitcnt lgkmcnt(0)
	v_mul_lo_u32 v6, v6, v12
	v_or_b32_sdwa v12, v14, v6 dst_sel:DWORD dst_unused:UNUSED_PAD src0_sel:DWORD src1_sel:WORD_0
	v_mov_b32_e32 v6, v2
	global_store_dwordx2 v3, v[12:13], s[56:57] offset:512 sc1
.LBB607_250:
	s_or_b64 exec, exec, s[2:3]
	v_mul_lo_u16_e32 v53, v1, v40
.LBB607_251:
	s_add_u32 s2, s54, s64
	s_addc_u32 s3, s55, s65
	s_add_u32 s2, s2, s66
	v_mul_u32_u24_e32 v1, 24, v0
	s_addc_u32 s3, s3, s67
	s_and_b64 vcc, exec, s[0:1]
	v_lshlrev_b32_e32 v12, 1, v1
	s_cbranch_vccz .LBB607_299
; %bb.252:
	s_mov_b32 s0, 0x5040100
	v_perm_b32 v21, v16, v11, s0
	v_perm_b32 v20, v9, v8, s0
	;; [unrolled: 1-line block ×4, first 2 shown]
	s_barrier
	ds_write_b128 v12, v[18:21]
	v_perm_b32 v21, v47, v45, s0
	v_perm_b32 v20, v43, v42, s0
	v_perm_b32 v19, v41, v17, s0
	v_perm_b32 v18, v15, v10, s0
	ds_write_b128 v12, v[18:21] offset:16
	v_perm_b32 v21, v53, v52, s0
	v_perm_b32 v20, v51, v50, s0
	;; [unrolled: 1-line block ×4, first 2 shown]
	s_movk_i32 s0, 0xffd2
	v_mad_i32_i24 v2, v0, s0, v12
	ds_write_b128 v12, v[18:21] offset:32
	s_waitcnt lgkmcnt(0)
	s_barrier
	ds_read_u16 v39, v2 offset:512
	ds_read_u16 v38, v2 offset:1024
	;; [unrolled: 1-line block ×23, first 2 shown]
	s_add_i32 s33, s33, s58
	v_mov_b32_e32 v27, 0
	v_lshl_add_u64 v[2:3], s[2:3], 0, v[26:27]
	v_cmp_gt_u32_e32 vcc, s33, v0
	s_and_saveexec_b64 s[0:1], vcc
	s_cbranch_execz .LBB607_254
; %bb.253:
	v_mul_i32_i24_e32 v40, 0xffffffd2, v0
	v_add_u32_e32 v40, v12, v40
	ds_read_u16 v40, v40
	s_waitcnt lgkmcnt(0)
	flat_store_short v[2:3], v40
.LBB607_254:
	s_or_b64 exec, exec, s[0:1]
	v_or_b32_e32 v40, 0x100, v0
	v_cmp_gt_u32_e32 vcc, s33, v40
	s_and_saveexec_b64 s[0:1], vcc
	s_cbranch_execz .LBB607_256
; %bb.255:
	s_waitcnt lgkmcnt(0)
	flat_store_short v[2:3], v39 offset:512
.LBB607_256:
	s_or_b64 exec, exec, s[0:1]
	s_waitcnt lgkmcnt(0)
	v_or_b32_e32 v39, 0x200, v0
	v_cmp_gt_u32_e32 vcc, s33, v39
	s_and_saveexec_b64 s[0:1], vcc
	s_cbranch_execz .LBB607_258
; %bb.257:
	flat_store_short v[2:3], v38 offset:1024
.LBB607_258:
	s_or_b64 exec, exec, s[0:1]
	v_or_b32_e32 v38, 0x300, v0
	v_cmp_gt_u32_e32 vcc, s33, v38
	s_and_saveexec_b64 s[0:1], vcc
	s_cbranch_execz .LBB607_260
; %bb.259:
	flat_store_short v[2:3], v37 offset:1536
.LBB607_260:
	s_or_b64 exec, exec, s[0:1]
	v_or_b32_e32 v37, 0x400, v0
	v_cmp_gt_u32_e32 vcc, s33, v37
	s_and_saveexec_b64 s[0:1], vcc
	s_cbranch_execz .LBB607_262
; %bb.261:
	flat_store_short v[2:3], v36 offset:2048
.LBB607_262:
	s_or_b64 exec, exec, s[0:1]
	v_or_b32_e32 v36, 0x500, v0
	v_cmp_gt_u32_e32 vcc, s33, v36
	s_and_saveexec_b64 s[0:1], vcc
	s_cbranch_execz .LBB607_264
; %bb.263:
	flat_store_short v[2:3], v35 offset:2560
.LBB607_264:
	s_or_b64 exec, exec, s[0:1]
	v_or_b32_e32 v35, 0x600, v0
	v_cmp_gt_u32_e32 vcc, s33, v35
	s_and_saveexec_b64 s[0:1], vcc
	s_cbranch_execz .LBB607_266
; %bb.265:
	flat_store_short v[2:3], v34 offset:3072
.LBB607_266:
	s_or_b64 exec, exec, s[0:1]
	v_or_b32_e32 v34, 0x700, v0
	v_cmp_gt_u32_e32 vcc, s33, v34
	s_and_saveexec_b64 s[0:1], vcc
	s_cbranch_execz .LBB607_268
; %bb.267:
	flat_store_short v[2:3], v33 offset:3584
.LBB607_268:
	s_or_b64 exec, exec, s[0:1]
	v_or_b32_e32 v33, 0x800, v0
	v_cmp_gt_u32_e32 vcc, s33, v33
	s_and_saveexec_b64 s[0:1], vcc
	s_cbranch_execz .LBB607_270
; %bb.269:
	v_add_co_u32_e32 v34, vcc, 0x1000, v2
	s_nop 1
	v_addc_co_u32_e32 v35, vcc, 0, v3, vcc
	flat_store_short v[34:35], v32
.LBB607_270:
	s_or_b64 exec, exec, s[0:1]
	v_or_b32_e32 v32, 0x900, v0
	v_cmp_gt_u32_e32 vcc, s33, v32
	s_and_saveexec_b64 s[0:1], vcc
	s_cbranch_execz .LBB607_272
; %bb.271:
	v_add_co_u32_e32 v32, vcc, 0x1000, v2
	s_nop 1
	v_addc_co_u32_e32 v33, vcc, 0, v3, vcc
	flat_store_short v[32:33], v31 offset:512
.LBB607_272:
	s_or_b64 exec, exec, s[0:1]
	v_or_b32_e32 v31, 0xa00, v0
	v_cmp_gt_u32_e32 vcc, s33, v31
	s_and_saveexec_b64 s[0:1], vcc
	s_cbranch_execz .LBB607_274
; %bb.273:
	v_add_co_u32_e32 v32, vcc, 0x1000, v2
	s_nop 1
	v_addc_co_u32_e32 v33, vcc, 0, v3, vcc
	flat_store_short v[32:33], v30 offset:1024
.LBB607_274:
	;; [unrolled: 11-line block ×7, first 2 shown]
	s_or_b64 exec, exec, s[0:1]
	v_or_b32_e32 v23, 0x1000, v0
	v_cmp_gt_u32_e32 vcc, s33, v23
	s_and_saveexec_b64 s[0:1], vcc
	s_cbranch_execz .LBB607_286
; %bb.285:
	v_add_co_u32_e32 v24, vcc, 0x2000, v2
	s_nop 1
	v_addc_co_u32_e32 v25, vcc, 0, v3, vcc
	flat_store_short v[24:25], v22
.LBB607_286:
	s_or_b64 exec, exec, s[0:1]
	v_or_b32_e32 v22, 0x1100, v0
	v_cmp_gt_u32_e32 vcc, s33, v22
	s_and_saveexec_b64 s[0:1], vcc
	s_cbranch_execz .LBB607_288
; %bb.287:
	v_add_co_u32_e32 v22, vcc, 0x2000, v2
	s_nop 1
	v_addc_co_u32_e32 v23, vcc, 0, v3, vcc
	flat_store_short v[22:23], v21 offset:512
.LBB607_288:
	s_or_b64 exec, exec, s[0:1]
	v_or_b32_e32 v21, 0x1200, v0
	v_cmp_gt_u32_e32 vcc, s33, v21
	s_and_saveexec_b64 s[0:1], vcc
	s_cbranch_execz .LBB607_290
; %bb.289:
	v_add_co_u32_e32 v22, vcc, 0x2000, v2
	s_nop 1
	v_addc_co_u32_e32 v23, vcc, 0, v3, vcc
	flat_store_short v[22:23], v20 offset:1024
.LBB607_290:
	s_or_b64 exec, exec, s[0:1]
	v_or_b32_e32 v20, 0x1300, v0
	v_cmp_gt_u32_e32 vcc, s33, v20
	s_and_saveexec_b64 s[0:1], vcc
	s_cbranch_execz .LBB607_292
; %bb.291:
	v_add_co_u32_e32 v20, vcc, 0x2000, v2
	s_nop 1
	v_addc_co_u32_e32 v21, vcc, 0, v3, vcc
	flat_store_short v[20:21], v19 offset:1536
.LBB607_292:
	s_or_b64 exec, exec, s[0:1]
	v_or_b32_e32 v19, 0x1400, v0
	v_cmp_gt_u32_e32 vcc, s33, v19
	s_and_saveexec_b64 s[0:1], vcc
	s_cbranch_execz .LBB607_294
; %bb.293:
	v_add_co_u32_e32 v20, vcc, 0x2000, v2
	s_nop 1
	v_addc_co_u32_e32 v21, vcc, 0, v3, vcc
	flat_store_short v[20:21], v18 offset:2048
.LBB607_294:
	s_or_b64 exec, exec, s[0:1]
	v_or_b32_e32 v18, 0x1500, v0
	v_cmp_gt_u32_e32 vcc, s33, v18
	s_and_saveexec_b64 s[0:1], vcc
	s_cbranch_execz .LBB607_296
; %bb.295:
	v_add_co_u32_e32 v18, vcc, 0x2000, v2
	s_nop 1
	v_addc_co_u32_e32 v19, vcc, 0, v3, vcc
	flat_store_short v[18:19], v14 offset:2560
.LBB607_296:
	s_or_b64 exec, exec, s[0:1]
	v_or_b32_e32 v14, 0x1600, v0
	v_cmp_gt_u32_e32 vcc, s33, v14
	s_and_saveexec_b64 s[0:1], vcc
	s_cbranch_execz .LBB607_298
; %bb.297:
	v_add_co_u32_e32 v2, vcc, 0x2000, v2
	s_nop 1
	v_addc_co_u32_e32 v3, vcc, 0, v3, vcc
	flat_store_short v[2:3], v1 offset:3072
.LBB607_298:
	s_or_b64 exec, exec, s[0:1]
	v_or_b32_e32 v2, 0x1700, v0
	v_mov_b32_e32 v1, v27
	v_cmp_gt_u32_e64 s[0:1], s33, v2
	s_branch .LBB607_301
.LBB607_299:
	s_mov_b64 s[0:1], 0
                                        ; implicit-def: $vgpr13
	s_cbranch_execz .LBB607_301
; %bb.300:
	s_mov_b32 s4, 0x5040100
	v_perm_b32 v19, v7, v5, s4
	v_perm_b32 v18, v4, v6, s4
	;; [unrolled: 1-line block ×6, first 2 shown]
	s_waitcnt lgkmcnt(0)
	s_barrier
	v_perm_b32 v21, v16, v11, s4
	v_perm_b32 v20, v9, v8, s4
	ds_write_b128 v12, v[2:5] offset:16
	v_perm_b32 v5, v53, v52, s4
	v_perm_b32 v4, v51, v50, s4
	;; [unrolled: 1-line block ×4, first 2 shown]
	v_mov_b32_e32 v1, 0
	s_movk_i32 s4, 0xffd2
	ds_write_b128 v12, v[2:5] offset:32
	v_mad_i32_i24 v2, v0, s4, v12
	v_mov_b32_e32 v27, v1
	ds_write_b128 v12, v[18:21]
	s_waitcnt lgkmcnt(0)
	s_barrier
	ds_read_u16 v4, v2
	ds_read_u16 v5, v2 offset:512
	ds_read_u16 v6, v2 offset:1024
	;; [unrolled: 1-line block ×23, first 2 shown]
	v_lshl_add_u64 v[2:3], s[2:3], 0, v[26:27]
	s_movk_i32 s4, 0x1000
	s_waitcnt lgkmcnt(0)
	flat_store_short v[2:3], v4
	flat_store_short v[2:3], v5 offset:512
	flat_store_short v[2:3], v6 offset:1024
	;; [unrolled: 1-line block ×7, first 2 shown]
	v_add_co_u32_e32 v4, vcc, s4, v2
	s_or_b64 s[0:1], s[0:1], exec
	s_nop 0
	v_addc_co_u32_e32 v5, vcc, 0, v3, vcc
	v_add_co_u32_e32 v2, vcc, 0x2000, v2
	flat_store_short v[4:5], v12
	flat_store_short v[4:5], v14 offset:512
	flat_store_short v[4:5], v15 offset:1024
	;; [unrolled: 1-line block ×7, first 2 shown]
	v_addc_co_u32_e32 v3, vcc, 0, v3, vcc
	flat_store_short v[2:3], v21
	flat_store_short v[2:3], v22 offset:512
	flat_store_short v[2:3], v23 offset:1024
	;; [unrolled: 1-line block ×6, first 2 shown]
.LBB607_301:
	s_and_saveexec_b64 s[4:5], s[0:1]
	s_cbranch_execz .LBB607_303
; %bb.302:
	v_lshl_add_u64 v[0:1], v[0:1], 1, s[2:3]
	v_add_co_u32_e32 v0, vcc, 0x2000, v0
	s_nop 1
	v_addc_co_u32_e32 v1, vcc, 0, v1, vcc
	flat_store_short v[0:1], v13 offset:3584
	s_endpgm
.LBB607_303:
	s_endpgm
	.section	.rodata,"a",@progbits
	.p2align	6, 0x0
	.amdhsa_kernel _ZN7rocprim17ROCPRIM_400000_NS6detail17trampoline_kernelINS0_14default_configENS1_27scan_by_key_config_selectorIssEEZZNS1_16scan_by_key_implILNS1_25lookback_scan_determinismE0ELb1ES3_N6thrust23THRUST_200600_302600_NS6detail15normal_iteratorINS9_10device_ptrIsEEEESE_SE_sNS9_10multipliesIsEENS9_8equal_toIsEEsEE10hipError_tPvRmT2_T3_T4_T5_mT6_T7_P12ihipStream_tbENKUlT_T0_E_clISt17integral_constantIbLb0EESZ_EEDaSU_SV_EUlSU_E_NS1_11comp_targetILNS1_3genE5ELNS1_11target_archE942ELNS1_3gpuE9ELNS1_3repE0EEENS1_30default_config_static_selectorELNS0_4arch9wavefront6targetE1EEEvT1_
		.amdhsa_group_segment_fixed_size 13312
		.amdhsa_private_segment_fixed_size 0
		.amdhsa_kernarg_size 112
		.amdhsa_user_sgpr_count 2
		.amdhsa_user_sgpr_dispatch_ptr 0
		.amdhsa_user_sgpr_queue_ptr 0
		.amdhsa_user_sgpr_kernarg_segment_ptr 1
		.amdhsa_user_sgpr_dispatch_id 0
		.amdhsa_user_sgpr_kernarg_preload_length 0
		.amdhsa_user_sgpr_kernarg_preload_offset 0
		.amdhsa_user_sgpr_private_segment_size 0
		.amdhsa_uses_dynamic_stack 0
		.amdhsa_enable_private_segment 0
		.amdhsa_system_sgpr_workgroup_id_x 1
		.amdhsa_system_sgpr_workgroup_id_y 0
		.amdhsa_system_sgpr_workgroup_id_z 0
		.amdhsa_system_sgpr_workgroup_info 0
		.amdhsa_system_vgpr_workitem_id 0
		.amdhsa_next_free_vgpr 60
		.amdhsa_next_free_sgpr 79
		.amdhsa_accum_offset 60
		.amdhsa_reserve_vcc 1
		.amdhsa_float_round_mode_32 0
		.amdhsa_float_round_mode_16_64 0
		.amdhsa_float_denorm_mode_32 3
		.amdhsa_float_denorm_mode_16_64 3
		.amdhsa_dx10_clamp 1
		.amdhsa_ieee_mode 1
		.amdhsa_fp16_overflow 0
		.amdhsa_tg_split 0
		.amdhsa_exception_fp_ieee_invalid_op 0
		.amdhsa_exception_fp_denorm_src 0
		.amdhsa_exception_fp_ieee_div_zero 0
		.amdhsa_exception_fp_ieee_overflow 0
		.amdhsa_exception_fp_ieee_underflow 0
		.amdhsa_exception_fp_ieee_inexact 0
		.amdhsa_exception_int_div_zero 0
	.end_amdhsa_kernel
	.section	.text._ZN7rocprim17ROCPRIM_400000_NS6detail17trampoline_kernelINS0_14default_configENS1_27scan_by_key_config_selectorIssEEZZNS1_16scan_by_key_implILNS1_25lookback_scan_determinismE0ELb1ES3_N6thrust23THRUST_200600_302600_NS6detail15normal_iteratorINS9_10device_ptrIsEEEESE_SE_sNS9_10multipliesIsEENS9_8equal_toIsEEsEE10hipError_tPvRmT2_T3_T4_T5_mT6_T7_P12ihipStream_tbENKUlT_T0_E_clISt17integral_constantIbLb0EESZ_EEDaSU_SV_EUlSU_E_NS1_11comp_targetILNS1_3genE5ELNS1_11target_archE942ELNS1_3gpuE9ELNS1_3repE0EEENS1_30default_config_static_selectorELNS0_4arch9wavefront6targetE1EEEvT1_,"axG",@progbits,_ZN7rocprim17ROCPRIM_400000_NS6detail17trampoline_kernelINS0_14default_configENS1_27scan_by_key_config_selectorIssEEZZNS1_16scan_by_key_implILNS1_25lookback_scan_determinismE0ELb1ES3_N6thrust23THRUST_200600_302600_NS6detail15normal_iteratorINS9_10device_ptrIsEEEESE_SE_sNS9_10multipliesIsEENS9_8equal_toIsEEsEE10hipError_tPvRmT2_T3_T4_T5_mT6_T7_P12ihipStream_tbENKUlT_T0_E_clISt17integral_constantIbLb0EESZ_EEDaSU_SV_EUlSU_E_NS1_11comp_targetILNS1_3genE5ELNS1_11target_archE942ELNS1_3gpuE9ELNS1_3repE0EEENS1_30default_config_static_selectorELNS0_4arch9wavefront6targetE1EEEvT1_,comdat
.Lfunc_end607:
	.size	_ZN7rocprim17ROCPRIM_400000_NS6detail17trampoline_kernelINS0_14default_configENS1_27scan_by_key_config_selectorIssEEZZNS1_16scan_by_key_implILNS1_25lookback_scan_determinismE0ELb1ES3_N6thrust23THRUST_200600_302600_NS6detail15normal_iteratorINS9_10device_ptrIsEEEESE_SE_sNS9_10multipliesIsEENS9_8equal_toIsEEsEE10hipError_tPvRmT2_T3_T4_T5_mT6_T7_P12ihipStream_tbENKUlT_T0_E_clISt17integral_constantIbLb0EESZ_EEDaSU_SV_EUlSU_E_NS1_11comp_targetILNS1_3genE5ELNS1_11target_archE942ELNS1_3gpuE9ELNS1_3repE0EEENS1_30default_config_static_selectorELNS0_4arch9wavefront6targetE1EEEvT1_, .Lfunc_end607-_ZN7rocprim17ROCPRIM_400000_NS6detail17trampoline_kernelINS0_14default_configENS1_27scan_by_key_config_selectorIssEEZZNS1_16scan_by_key_implILNS1_25lookback_scan_determinismE0ELb1ES3_N6thrust23THRUST_200600_302600_NS6detail15normal_iteratorINS9_10device_ptrIsEEEESE_SE_sNS9_10multipliesIsEENS9_8equal_toIsEEsEE10hipError_tPvRmT2_T3_T4_T5_mT6_T7_P12ihipStream_tbENKUlT_T0_E_clISt17integral_constantIbLb0EESZ_EEDaSU_SV_EUlSU_E_NS1_11comp_targetILNS1_3genE5ELNS1_11target_archE942ELNS1_3gpuE9ELNS1_3repE0EEENS1_30default_config_static_selectorELNS0_4arch9wavefront6targetE1EEEvT1_
                                        ; -- End function
	.section	.AMDGPU.csdata,"",@progbits
; Kernel info:
; codeLenInByte = 16404
; NumSgprs: 85
; NumVgprs: 60
; NumAgprs: 0
; TotalNumVgprs: 60
; ScratchSize: 0
; MemoryBound: 0
; FloatMode: 240
; IeeeMode: 1
; LDSByteSize: 13312 bytes/workgroup (compile time only)
; SGPRBlocks: 10
; VGPRBlocks: 7
; NumSGPRsForWavesPerEU: 85
; NumVGPRsForWavesPerEU: 60
; AccumOffset: 60
; Occupancy: 4
; WaveLimiterHint : 1
; COMPUTE_PGM_RSRC2:SCRATCH_EN: 0
; COMPUTE_PGM_RSRC2:USER_SGPR: 2
; COMPUTE_PGM_RSRC2:TRAP_HANDLER: 0
; COMPUTE_PGM_RSRC2:TGID_X_EN: 1
; COMPUTE_PGM_RSRC2:TGID_Y_EN: 0
; COMPUTE_PGM_RSRC2:TGID_Z_EN: 0
; COMPUTE_PGM_RSRC2:TIDIG_COMP_CNT: 0
; COMPUTE_PGM_RSRC3_GFX90A:ACCUM_OFFSET: 14
; COMPUTE_PGM_RSRC3_GFX90A:TG_SPLIT: 0
	.section	.text._ZN7rocprim17ROCPRIM_400000_NS6detail17trampoline_kernelINS0_14default_configENS1_27scan_by_key_config_selectorIssEEZZNS1_16scan_by_key_implILNS1_25lookback_scan_determinismE0ELb1ES3_N6thrust23THRUST_200600_302600_NS6detail15normal_iteratorINS9_10device_ptrIsEEEESE_SE_sNS9_10multipliesIsEENS9_8equal_toIsEEsEE10hipError_tPvRmT2_T3_T4_T5_mT6_T7_P12ihipStream_tbENKUlT_T0_E_clISt17integral_constantIbLb0EESZ_EEDaSU_SV_EUlSU_E_NS1_11comp_targetILNS1_3genE4ELNS1_11target_archE910ELNS1_3gpuE8ELNS1_3repE0EEENS1_30default_config_static_selectorELNS0_4arch9wavefront6targetE1EEEvT1_,"axG",@progbits,_ZN7rocprim17ROCPRIM_400000_NS6detail17trampoline_kernelINS0_14default_configENS1_27scan_by_key_config_selectorIssEEZZNS1_16scan_by_key_implILNS1_25lookback_scan_determinismE0ELb1ES3_N6thrust23THRUST_200600_302600_NS6detail15normal_iteratorINS9_10device_ptrIsEEEESE_SE_sNS9_10multipliesIsEENS9_8equal_toIsEEsEE10hipError_tPvRmT2_T3_T4_T5_mT6_T7_P12ihipStream_tbENKUlT_T0_E_clISt17integral_constantIbLb0EESZ_EEDaSU_SV_EUlSU_E_NS1_11comp_targetILNS1_3genE4ELNS1_11target_archE910ELNS1_3gpuE8ELNS1_3repE0EEENS1_30default_config_static_selectorELNS0_4arch9wavefront6targetE1EEEvT1_,comdat
	.protected	_ZN7rocprim17ROCPRIM_400000_NS6detail17trampoline_kernelINS0_14default_configENS1_27scan_by_key_config_selectorIssEEZZNS1_16scan_by_key_implILNS1_25lookback_scan_determinismE0ELb1ES3_N6thrust23THRUST_200600_302600_NS6detail15normal_iteratorINS9_10device_ptrIsEEEESE_SE_sNS9_10multipliesIsEENS9_8equal_toIsEEsEE10hipError_tPvRmT2_T3_T4_T5_mT6_T7_P12ihipStream_tbENKUlT_T0_E_clISt17integral_constantIbLb0EESZ_EEDaSU_SV_EUlSU_E_NS1_11comp_targetILNS1_3genE4ELNS1_11target_archE910ELNS1_3gpuE8ELNS1_3repE0EEENS1_30default_config_static_selectorELNS0_4arch9wavefront6targetE1EEEvT1_ ; -- Begin function _ZN7rocprim17ROCPRIM_400000_NS6detail17trampoline_kernelINS0_14default_configENS1_27scan_by_key_config_selectorIssEEZZNS1_16scan_by_key_implILNS1_25lookback_scan_determinismE0ELb1ES3_N6thrust23THRUST_200600_302600_NS6detail15normal_iteratorINS9_10device_ptrIsEEEESE_SE_sNS9_10multipliesIsEENS9_8equal_toIsEEsEE10hipError_tPvRmT2_T3_T4_T5_mT6_T7_P12ihipStream_tbENKUlT_T0_E_clISt17integral_constantIbLb0EESZ_EEDaSU_SV_EUlSU_E_NS1_11comp_targetILNS1_3genE4ELNS1_11target_archE910ELNS1_3gpuE8ELNS1_3repE0EEENS1_30default_config_static_selectorELNS0_4arch9wavefront6targetE1EEEvT1_
	.globl	_ZN7rocprim17ROCPRIM_400000_NS6detail17trampoline_kernelINS0_14default_configENS1_27scan_by_key_config_selectorIssEEZZNS1_16scan_by_key_implILNS1_25lookback_scan_determinismE0ELb1ES3_N6thrust23THRUST_200600_302600_NS6detail15normal_iteratorINS9_10device_ptrIsEEEESE_SE_sNS9_10multipliesIsEENS9_8equal_toIsEEsEE10hipError_tPvRmT2_T3_T4_T5_mT6_T7_P12ihipStream_tbENKUlT_T0_E_clISt17integral_constantIbLb0EESZ_EEDaSU_SV_EUlSU_E_NS1_11comp_targetILNS1_3genE4ELNS1_11target_archE910ELNS1_3gpuE8ELNS1_3repE0EEENS1_30default_config_static_selectorELNS0_4arch9wavefront6targetE1EEEvT1_
	.p2align	8
	.type	_ZN7rocprim17ROCPRIM_400000_NS6detail17trampoline_kernelINS0_14default_configENS1_27scan_by_key_config_selectorIssEEZZNS1_16scan_by_key_implILNS1_25lookback_scan_determinismE0ELb1ES3_N6thrust23THRUST_200600_302600_NS6detail15normal_iteratorINS9_10device_ptrIsEEEESE_SE_sNS9_10multipliesIsEENS9_8equal_toIsEEsEE10hipError_tPvRmT2_T3_T4_T5_mT6_T7_P12ihipStream_tbENKUlT_T0_E_clISt17integral_constantIbLb0EESZ_EEDaSU_SV_EUlSU_E_NS1_11comp_targetILNS1_3genE4ELNS1_11target_archE910ELNS1_3gpuE8ELNS1_3repE0EEENS1_30default_config_static_selectorELNS0_4arch9wavefront6targetE1EEEvT1_,@function
_ZN7rocprim17ROCPRIM_400000_NS6detail17trampoline_kernelINS0_14default_configENS1_27scan_by_key_config_selectorIssEEZZNS1_16scan_by_key_implILNS1_25lookback_scan_determinismE0ELb1ES3_N6thrust23THRUST_200600_302600_NS6detail15normal_iteratorINS9_10device_ptrIsEEEESE_SE_sNS9_10multipliesIsEENS9_8equal_toIsEEsEE10hipError_tPvRmT2_T3_T4_T5_mT6_T7_P12ihipStream_tbENKUlT_T0_E_clISt17integral_constantIbLb0EESZ_EEDaSU_SV_EUlSU_E_NS1_11comp_targetILNS1_3genE4ELNS1_11target_archE910ELNS1_3gpuE8ELNS1_3repE0EEENS1_30default_config_static_selectorELNS0_4arch9wavefront6targetE1EEEvT1_: ; @_ZN7rocprim17ROCPRIM_400000_NS6detail17trampoline_kernelINS0_14default_configENS1_27scan_by_key_config_selectorIssEEZZNS1_16scan_by_key_implILNS1_25lookback_scan_determinismE0ELb1ES3_N6thrust23THRUST_200600_302600_NS6detail15normal_iteratorINS9_10device_ptrIsEEEESE_SE_sNS9_10multipliesIsEENS9_8equal_toIsEEsEE10hipError_tPvRmT2_T3_T4_T5_mT6_T7_P12ihipStream_tbENKUlT_T0_E_clISt17integral_constantIbLb0EESZ_EEDaSU_SV_EUlSU_E_NS1_11comp_targetILNS1_3genE4ELNS1_11target_archE910ELNS1_3gpuE8ELNS1_3repE0EEENS1_30default_config_static_selectorELNS0_4arch9wavefront6targetE1EEEvT1_
; %bb.0:
	.section	.rodata,"a",@progbits
	.p2align	6, 0x0
	.amdhsa_kernel _ZN7rocprim17ROCPRIM_400000_NS6detail17trampoline_kernelINS0_14default_configENS1_27scan_by_key_config_selectorIssEEZZNS1_16scan_by_key_implILNS1_25lookback_scan_determinismE0ELb1ES3_N6thrust23THRUST_200600_302600_NS6detail15normal_iteratorINS9_10device_ptrIsEEEESE_SE_sNS9_10multipliesIsEENS9_8equal_toIsEEsEE10hipError_tPvRmT2_T3_T4_T5_mT6_T7_P12ihipStream_tbENKUlT_T0_E_clISt17integral_constantIbLb0EESZ_EEDaSU_SV_EUlSU_E_NS1_11comp_targetILNS1_3genE4ELNS1_11target_archE910ELNS1_3gpuE8ELNS1_3repE0EEENS1_30default_config_static_selectorELNS0_4arch9wavefront6targetE1EEEvT1_
		.amdhsa_group_segment_fixed_size 0
		.amdhsa_private_segment_fixed_size 0
		.amdhsa_kernarg_size 112
		.amdhsa_user_sgpr_count 2
		.amdhsa_user_sgpr_dispatch_ptr 0
		.amdhsa_user_sgpr_queue_ptr 0
		.amdhsa_user_sgpr_kernarg_segment_ptr 1
		.amdhsa_user_sgpr_dispatch_id 0
		.amdhsa_user_sgpr_kernarg_preload_length 0
		.amdhsa_user_sgpr_kernarg_preload_offset 0
		.amdhsa_user_sgpr_private_segment_size 0
		.amdhsa_uses_dynamic_stack 0
		.amdhsa_enable_private_segment 0
		.amdhsa_system_sgpr_workgroup_id_x 1
		.amdhsa_system_sgpr_workgroup_id_y 0
		.amdhsa_system_sgpr_workgroup_id_z 0
		.amdhsa_system_sgpr_workgroup_info 0
		.amdhsa_system_vgpr_workitem_id 0
		.amdhsa_next_free_vgpr 1
		.amdhsa_next_free_sgpr 0
		.amdhsa_accum_offset 4
		.amdhsa_reserve_vcc 0
		.amdhsa_float_round_mode_32 0
		.amdhsa_float_round_mode_16_64 0
		.amdhsa_float_denorm_mode_32 3
		.amdhsa_float_denorm_mode_16_64 3
		.amdhsa_dx10_clamp 1
		.amdhsa_ieee_mode 1
		.amdhsa_fp16_overflow 0
		.amdhsa_tg_split 0
		.amdhsa_exception_fp_ieee_invalid_op 0
		.amdhsa_exception_fp_denorm_src 0
		.amdhsa_exception_fp_ieee_div_zero 0
		.amdhsa_exception_fp_ieee_overflow 0
		.amdhsa_exception_fp_ieee_underflow 0
		.amdhsa_exception_fp_ieee_inexact 0
		.amdhsa_exception_int_div_zero 0
	.end_amdhsa_kernel
	.section	.text._ZN7rocprim17ROCPRIM_400000_NS6detail17trampoline_kernelINS0_14default_configENS1_27scan_by_key_config_selectorIssEEZZNS1_16scan_by_key_implILNS1_25lookback_scan_determinismE0ELb1ES3_N6thrust23THRUST_200600_302600_NS6detail15normal_iteratorINS9_10device_ptrIsEEEESE_SE_sNS9_10multipliesIsEENS9_8equal_toIsEEsEE10hipError_tPvRmT2_T3_T4_T5_mT6_T7_P12ihipStream_tbENKUlT_T0_E_clISt17integral_constantIbLb0EESZ_EEDaSU_SV_EUlSU_E_NS1_11comp_targetILNS1_3genE4ELNS1_11target_archE910ELNS1_3gpuE8ELNS1_3repE0EEENS1_30default_config_static_selectorELNS0_4arch9wavefront6targetE1EEEvT1_,"axG",@progbits,_ZN7rocprim17ROCPRIM_400000_NS6detail17trampoline_kernelINS0_14default_configENS1_27scan_by_key_config_selectorIssEEZZNS1_16scan_by_key_implILNS1_25lookback_scan_determinismE0ELb1ES3_N6thrust23THRUST_200600_302600_NS6detail15normal_iteratorINS9_10device_ptrIsEEEESE_SE_sNS9_10multipliesIsEENS9_8equal_toIsEEsEE10hipError_tPvRmT2_T3_T4_T5_mT6_T7_P12ihipStream_tbENKUlT_T0_E_clISt17integral_constantIbLb0EESZ_EEDaSU_SV_EUlSU_E_NS1_11comp_targetILNS1_3genE4ELNS1_11target_archE910ELNS1_3gpuE8ELNS1_3repE0EEENS1_30default_config_static_selectorELNS0_4arch9wavefront6targetE1EEEvT1_,comdat
.Lfunc_end608:
	.size	_ZN7rocprim17ROCPRIM_400000_NS6detail17trampoline_kernelINS0_14default_configENS1_27scan_by_key_config_selectorIssEEZZNS1_16scan_by_key_implILNS1_25lookback_scan_determinismE0ELb1ES3_N6thrust23THRUST_200600_302600_NS6detail15normal_iteratorINS9_10device_ptrIsEEEESE_SE_sNS9_10multipliesIsEENS9_8equal_toIsEEsEE10hipError_tPvRmT2_T3_T4_T5_mT6_T7_P12ihipStream_tbENKUlT_T0_E_clISt17integral_constantIbLb0EESZ_EEDaSU_SV_EUlSU_E_NS1_11comp_targetILNS1_3genE4ELNS1_11target_archE910ELNS1_3gpuE8ELNS1_3repE0EEENS1_30default_config_static_selectorELNS0_4arch9wavefront6targetE1EEEvT1_, .Lfunc_end608-_ZN7rocprim17ROCPRIM_400000_NS6detail17trampoline_kernelINS0_14default_configENS1_27scan_by_key_config_selectorIssEEZZNS1_16scan_by_key_implILNS1_25lookback_scan_determinismE0ELb1ES3_N6thrust23THRUST_200600_302600_NS6detail15normal_iteratorINS9_10device_ptrIsEEEESE_SE_sNS9_10multipliesIsEENS9_8equal_toIsEEsEE10hipError_tPvRmT2_T3_T4_T5_mT6_T7_P12ihipStream_tbENKUlT_T0_E_clISt17integral_constantIbLb0EESZ_EEDaSU_SV_EUlSU_E_NS1_11comp_targetILNS1_3genE4ELNS1_11target_archE910ELNS1_3gpuE8ELNS1_3repE0EEENS1_30default_config_static_selectorELNS0_4arch9wavefront6targetE1EEEvT1_
                                        ; -- End function
	.section	.AMDGPU.csdata,"",@progbits
; Kernel info:
; codeLenInByte = 0
; NumSgprs: 6
; NumVgprs: 0
; NumAgprs: 0
; TotalNumVgprs: 0
; ScratchSize: 0
; MemoryBound: 0
; FloatMode: 240
; IeeeMode: 1
; LDSByteSize: 0 bytes/workgroup (compile time only)
; SGPRBlocks: 0
; VGPRBlocks: 0
; NumSGPRsForWavesPerEU: 6
; NumVGPRsForWavesPerEU: 1
; AccumOffset: 4
; Occupancy: 8
; WaveLimiterHint : 0
; COMPUTE_PGM_RSRC2:SCRATCH_EN: 0
; COMPUTE_PGM_RSRC2:USER_SGPR: 2
; COMPUTE_PGM_RSRC2:TRAP_HANDLER: 0
; COMPUTE_PGM_RSRC2:TGID_X_EN: 1
; COMPUTE_PGM_RSRC2:TGID_Y_EN: 0
; COMPUTE_PGM_RSRC2:TGID_Z_EN: 0
; COMPUTE_PGM_RSRC2:TIDIG_COMP_CNT: 0
; COMPUTE_PGM_RSRC3_GFX90A:ACCUM_OFFSET: 0
; COMPUTE_PGM_RSRC3_GFX90A:TG_SPLIT: 0
	.section	.text._ZN7rocprim17ROCPRIM_400000_NS6detail17trampoline_kernelINS0_14default_configENS1_27scan_by_key_config_selectorIssEEZZNS1_16scan_by_key_implILNS1_25lookback_scan_determinismE0ELb1ES3_N6thrust23THRUST_200600_302600_NS6detail15normal_iteratorINS9_10device_ptrIsEEEESE_SE_sNS9_10multipliesIsEENS9_8equal_toIsEEsEE10hipError_tPvRmT2_T3_T4_T5_mT6_T7_P12ihipStream_tbENKUlT_T0_E_clISt17integral_constantIbLb0EESZ_EEDaSU_SV_EUlSU_E_NS1_11comp_targetILNS1_3genE3ELNS1_11target_archE908ELNS1_3gpuE7ELNS1_3repE0EEENS1_30default_config_static_selectorELNS0_4arch9wavefront6targetE1EEEvT1_,"axG",@progbits,_ZN7rocprim17ROCPRIM_400000_NS6detail17trampoline_kernelINS0_14default_configENS1_27scan_by_key_config_selectorIssEEZZNS1_16scan_by_key_implILNS1_25lookback_scan_determinismE0ELb1ES3_N6thrust23THRUST_200600_302600_NS6detail15normal_iteratorINS9_10device_ptrIsEEEESE_SE_sNS9_10multipliesIsEENS9_8equal_toIsEEsEE10hipError_tPvRmT2_T3_T4_T5_mT6_T7_P12ihipStream_tbENKUlT_T0_E_clISt17integral_constantIbLb0EESZ_EEDaSU_SV_EUlSU_E_NS1_11comp_targetILNS1_3genE3ELNS1_11target_archE908ELNS1_3gpuE7ELNS1_3repE0EEENS1_30default_config_static_selectorELNS0_4arch9wavefront6targetE1EEEvT1_,comdat
	.protected	_ZN7rocprim17ROCPRIM_400000_NS6detail17trampoline_kernelINS0_14default_configENS1_27scan_by_key_config_selectorIssEEZZNS1_16scan_by_key_implILNS1_25lookback_scan_determinismE0ELb1ES3_N6thrust23THRUST_200600_302600_NS6detail15normal_iteratorINS9_10device_ptrIsEEEESE_SE_sNS9_10multipliesIsEENS9_8equal_toIsEEsEE10hipError_tPvRmT2_T3_T4_T5_mT6_T7_P12ihipStream_tbENKUlT_T0_E_clISt17integral_constantIbLb0EESZ_EEDaSU_SV_EUlSU_E_NS1_11comp_targetILNS1_3genE3ELNS1_11target_archE908ELNS1_3gpuE7ELNS1_3repE0EEENS1_30default_config_static_selectorELNS0_4arch9wavefront6targetE1EEEvT1_ ; -- Begin function _ZN7rocprim17ROCPRIM_400000_NS6detail17trampoline_kernelINS0_14default_configENS1_27scan_by_key_config_selectorIssEEZZNS1_16scan_by_key_implILNS1_25lookback_scan_determinismE0ELb1ES3_N6thrust23THRUST_200600_302600_NS6detail15normal_iteratorINS9_10device_ptrIsEEEESE_SE_sNS9_10multipliesIsEENS9_8equal_toIsEEsEE10hipError_tPvRmT2_T3_T4_T5_mT6_T7_P12ihipStream_tbENKUlT_T0_E_clISt17integral_constantIbLb0EESZ_EEDaSU_SV_EUlSU_E_NS1_11comp_targetILNS1_3genE3ELNS1_11target_archE908ELNS1_3gpuE7ELNS1_3repE0EEENS1_30default_config_static_selectorELNS0_4arch9wavefront6targetE1EEEvT1_
	.globl	_ZN7rocprim17ROCPRIM_400000_NS6detail17trampoline_kernelINS0_14default_configENS1_27scan_by_key_config_selectorIssEEZZNS1_16scan_by_key_implILNS1_25lookback_scan_determinismE0ELb1ES3_N6thrust23THRUST_200600_302600_NS6detail15normal_iteratorINS9_10device_ptrIsEEEESE_SE_sNS9_10multipliesIsEENS9_8equal_toIsEEsEE10hipError_tPvRmT2_T3_T4_T5_mT6_T7_P12ihipStream_tbENKUlT_T0_E_clISt17integral_constantIbLb0EESZ_EEDaSU_SV_EUlSU_E_NS1_11comp_targetILNS1_3genE3ELNS1_11target_archE908ELNS1_3gpuE7ELNS1_3repE0EEENS1_30default_config_static_selectorELNS0_4arch9wavefront6targetE1EEEvT1_
	.p2align	8
	.type	_ZN7rocprim17ROCPRIM_400000_NS6detail17trampoline_kernelINS0_14default_configENS1_27scan_by_key_config_selectorIssEEZZNS1_16scan_by_key_implILNS1_25lookback_scan_determinismE0ELb1ES3_N6thrust23THRUST_200600_302600_NS6detail15normal_iteratorINS9_10device_ptrIsEEEESE_SE_sNS9_10multipliesIsEENS9_8equal_toIsEEsEE10hipError_tPvRmT2_T3_T4_T5_mT6_T7_P12ihipStream_tbENKUlT_T0_E_clISt17integral_constantIbLb0EESZ_EEDaSU_SV_EUlSU_E_NS1_11comp_targetILNS1_3genE3ELNS1_11target_archE908ELNS1_3gpuE7ELNS1_3repE0EEENS1_30default_config_static_selectorELNS0_4arch9wavefront6targetE1EEEvT1_,@function
_ZN7rocprim17ROCPRIM_400000_NS6detail17trampoline_kernelINS0_14default_configENS1_27scan_by_key_config_selectorIssEEZZNS1_16scan_by_key_implILNS1_25lookback_scan_determinismE0ELb1ES3_N6thrust23THRUST_200600_302600_NS6detail15normal_iteratorINS9_10device_ptrIsEEEESE_SE_sNS9_10multipliesIsEENS9_8equal_toIsEEsEE10hipError_tPvRmT2_T3_T4_T5_mT6_T7_P12ihipStream_tbENKUlT_T0_E_clISt17integral_constantIbLb0EESZ_EEDaSU_SV_EUlSU_E_NS1_11comp_targetILNS1_3genE3ELNS1_11target_archE908ELNS1_3gpuE7ELNS1_3repE0EEENS1_30default_config_static_selectorELNS0_4arch9wavefront6targetE1EEEvT1_: ; @_ZN7rocprim17ROCPRIM_400000_NS6detail17trampoline_kernelINS0_14default_configENS1_27scan_by_key_config_selectorIssEEZZNS1_16scan_by_key_implILNS1_25lookback_scan_determinismE0ELb1ES3_N6thrust23THRUST_200600_302600_NS6detail15normal_iteratorINS9_10device_ptrIsEEEESE_SE_sNS9_10multipliesIsEENS9_8equal_toIsEEsEE10hipError_tPvRmT2_T3_T4_T5_mT6_T7_P12ihipStream_tbENKUlT_T0_E_clISt17integral_constantIbLb0EESZ_EEDaSU_SV_EUlSU_E_NS1_11comp_targetILNS1_3genE3ELNS1_11target_archE908ELNS1_3gpuE7ELNS1_3repE0EEENS1_30default_config_static_selectorELNS0_4arch9wavefront6targetE1EEEvT1_
; %bb.0:
	.section	.rodata,"a",@progbits
	.p2align	6, 0x0
	.amdhsa_kernel _ZN7rocprim17ROCPRIM_400000_NS6detail17trampoline_kernelINS0_14default_configENS1_27scan_by_key_config_selectorIssEEZZNS1_16scan_by_key_implILNS1_25lookback_scan_determinismE0ELb1ES3_N6thrust23THRUST_200600_302600_NS6detail15normal_iteratorINS9_10device_ptrIsEEEESE_SE_sNS9_10multipliesIsEENS9_8equal_toIsEEsEE10hipError_tPvRmT2_T3_T4_T5_mT6_T7_P12ihipStream_tbENKUlT_T0_E_clISt17integral_constantIbLb0EESZ_EEDaSU_SV_EUlSU_E_NS1_11comp_targetILNS1_3genE3ELNS1_11target_archE908ELNS1_3gpuE7ELNS1_3repE0EEENS1_30default_config_static_selectorELNS0_4arch9wavefront6targetE1EEEvT1_
		.amdhsa_group_segment_fixed_size 0
		.amdhsa_private_segment_fixed_size 0
		.amdhsa_kernarg_size 112
		.amdhsa_user_sgpr_count 2
		.amdhsa_user_sgpr_dispatch_ptr 0
		.amdhsa_user_sgpr_queue_ptr 0
		.amdhsa_user_sgpr_kernarg_segment_ptr 1
		.amdhsa_user_sgpr_dispatch_id 0
		.amdhsa_user_sgpr_kernarg_preload_length 0
		.amdhsa_user_sgpr_kernarg_preload_offset 0
		.amdhsa_user_sgpr_private_segment_size 0
		.amdhsa_uses_dynamic_stack 0
		.amdhsa_enable_private_segment 0
		.amdhsa_system_sgpr_workgroup_id_x 1
		.amdhsa_system_sgpr_workgroup_id_y 0
		.amdhsa_system_sgpr_workgroup_id_z 0
		.amdhsa_system_sgpr_workgroup_info 0
		.amdhsa_system_vgpr_workitem_id 0
		.amdhsa_next_free_vgpr 1
		.amdhsa_next_free_sgpr 0
		.amdhsa_accum_offset 4
		.amdhsa_reserve_vcc 0
		.amdhsa_float_round_mode_32 0
		.amdhsa_float_round_mode_16_64 0
		.amdhsa_float_denorm_mode_32 3
		.amdhsa_float_denorm_mode_16_64 3
		.amdhsa_dx10_clamp 1
		.amdhsa_ieee_mode 1
		.amdhsa_fp16_overflow 0
		.amdhsa_tg_split 0
		.amdhsa_exception_fp_ieee_invalid_op 0
		.amdhsa_exception_fp_denorm_src 0
		.amdhsa_exception_fp_ieee_div_zero 0
		.amdhsa_exception_fp_ieee_overflow 0
		.amdhsa_exception_fp_ieee_underflow 0
		.amdhsa_exception_fp_ieee_inexact 0
		.amdhsa_exception_int_div_zero 0
	.end_amdhsa_kernel
	.section	.text._ZN7rocprim17ROCPRIM_400000_NS6detail17trampoline_kernelINS0_14default_configENS1_27scan_by_key_config_selectorIssEEZZNS1_16scan_by_key_implILNS1_25lookback_scan_determinismE0ELb1ES3_N6thrust23THRUST_200600_302600_NS6detail15normal_iteratorINS9_10device_ptrIsEEEESE_SE_sNS9_10multipliesIsEENS9_8equal_toIsEEsEE10hipError_tPvRmT2_T3_T4_T5_mT6_T7_P12ihipStream_tbENKUlT_T0_E_clISt17integral_constantIbLb0EESZ_EEDaSU_SV_EUlSU_E_NS1_11comp_targetILNS1_3genE3ELNS1_11target_archE908ELNS1_3gpuE7ELNS1_3repE0EEENS1_30default_config_static_selectorELNS0_4arch9wavefront6targetE1EEEvT1_,"axG",@progbits,_ZN7rocprim17ROCPRIM_400000_NS6detail17trampoline_kernelINS0_14default_configENS1_27scan_by_key_config_selectorIssEEZZNS1_16scan_by_key_implILNS1_25lookback_scan_determinismE0ELb1ES3_N6thrust23THRUST_200600_302600_NS6detail15normal_iteratorINS9_10device_ptrIsEEEESE_SE_sNS9_10multipliesIsEENS9_8equal_toIsEEsEE10hipError_tPvRmT2_T3_T4_T5_mT6_T7_P12ihipStream_tbENKUlT_T0_E_clISt17integral_constantIbLb0EESZ_EEDaSU_SV_EUlSU_E_NS1_11comp_targetILNS1_3genE3ELNS1_11target_archE908ELNS1_3gpuE7ELNS1_3repE0EEENS1_30default_config_static_selectorELNS0_4arch9wavefront6targetE1EEEvT1_,comdat
.Lfunc_end609:
	.size	_ZN7rocprim17ROCPRIM_400000_NS6detail17trampoline_kernelINS0_14default_configENS1_27scan_by_key_config_selectorIssEEZZNS1_16scan_by_key_implILNS1_25lookback_scan_determinismE0ELb1ES3_N6thrust23THRUST_200600_302600_NS6detail15normal_iteratorINS9_10device_ptrIsEEEESE_SE_sNS9_10multipliesIsEENS9_8equal_toIsEEsEE10hipError_tPvRmT2_T3_T4_T5_mT6_T7_P12ihipStream_tbENKUlT_T0_E_clISt17integral_constantIbLb0EESZ_EEDaSU_SV_EUlSU_E_NS1_11comp_targetILNS1_3genE3ELNS1_11target_archE908ELNS1_3gpuE7ELNS1_3repE0EEENS1_30default_config_static_selectorELNS0_4arch9wavefront6targetE1EEEvT1_, .Lfunc_end609-_ZN7rocprim17ROCPRIM_400000_NS6detail17trampoline_kernelINS0_14default_configENS1_27scan_by_key_config_selectorIssEEZZNS1_16scan_by_key_implILNS1_25lookback_scan_determinismE0ELb1ES3_N6thrust23THRUST_200600_302600_NS6detail15normal_iteratorINS9_10device_ptrIsEEEESE_SE_sNS9_10multipliesIsEENS9_8equal_toIsEEsEE10hipError_tPvRmT2_T3_T4_T5_mT6_T7_P12ihipStream_tbENKUlT_T0_E_clISt17integral_constantIbLb0EESZ_EEDaSU_SV_EUlSU_E_NS1_11comp_targetILNS1_3genE3ELNS1_11target_archE908ELNS1_3gpuE7ELNS1_3repE0EEENS1_30default_config_static_selectorELNS0_4arch9wavefront6targetE1EEEvT1_
                                        ; -- End function
	.section	.AMDGPU.csdata,"",@progbits
; Kernel info:
; codeLenInByte = 0
; NumSgprs: 6
; NumVgprs: 0
; NumAgprs: 0
; TotalNumVgprs: 0
; ScratchSize: 0
; MemoryBound: 0
; FloatMode: 240
; IeeeMode: 1
; LDSByteSize: 0 bytes/workgroup (compile time only)
; SGPRBlocks: 0
; VGPRBlocks: 0
; NumSGPRsForWavesPerEU: 6
; NumVGPRsForWavesPerEU: 1
; AccumOffset: 4
; Occupancy: 8
; WaveLimiterHint : 0
; COMPUTE_PGM_RSRC2:SCRATCH_EN: 0
; COMPUTE_PGM_RSRC2:USER_SGPR: 2
; COMPUTE_PGM_RSRC2:TRAP_HANDLER: 0
; COMPUTE_PGM_RSRC2:TGID_X_EN: 1
; COMPUTE_PGM_RSRC2:TGID_Y_EN: 0
; COMPUTE_PGM_RSRC2:TGID_Z_EN: 0
; COMPUTE_PGM_RSRC2:TIDIG_COMP_CNT: 0
; COMPUTE_PGM_RSRC3_GFX90A:ACCUM_OFFSET: 0
; COMPUTE_PGM_RSRC3_GFX90A:TG_SPLIT: 0
	.section	.text._ZN7rocprim17ROCPRIM_400000_NS6detail17trampoline_kernelINS0_14default_configENS1_27scan_by_key_config_selectorIssEEZZNS1_16scan_by_key_implILNS1_25lookback_scan_determinismE0ELb1ES3_N6thrust23THRUST_200600_302600_NS6detail15normal_iteratorINS9_10device_ptrIsEEEESE_SE_sNS9_10multipliesIsEENS9_8equal_toIsEEsEE10hipError_tPvRmT2_T3_T4_T5_mT6_T7_P12ihipStream_tbENKUlT_T0_E_clISt17integral_constantIbLb0EESZ_EEDaSU_SV_EUlSU_E_NS1_11comp_targetILNS1_3genE2ELNS1_11target_archE906ELNS1_3gpuE6ELNS1_3repE0EEENS1_30default_config_static_selectorELNS0_4arch9wavefront6targetE1EEEvT1_,"axG",@progbits,_ZN7rocprim17ROCPRIM_400000_NS6detail17trampoline_kernelINS0_14default_configENS1_27scan_by_key_config_selectorIssEEZZNS1_16scan_by_key_implILNS1_25lookback_scan_determinismE0ELb1ES3_N6thrust23THRUST_200600_302600_NS6detail15normal_iteratorINS9_10device_ptrIsEEEESE_SE_sNS9_10multipliesIsEENS9_8equal_toIsEEsEE10hipError_tPvRmT2_T3_T4_T5_mT6_T7_P12ihipStream_tbENKUlT_T0_E_clISt17integral_constantIbLb0EESZ_EEDaSU_SV_EUlSU_E_NS1_11comp_targetILNS1_3genE2ELNS1_11target_archE906ELNS1_3gpuE6ELNS1_3repE0EEENS1_30default_config_static_selectorELNS0_4arch9wavefront6targetE1EEEvT1_,comdat
	.protected	_ZN7rocprim17ROCPRIM_400000_NS6detail17trampoline_kernelINS0_14default_configENS1_27scan_by_key_config_selectorIssEEZZNS1_16scan_by_key_implILNS1_25lookback_scan_determinismE0ELb1ES3_N6thrust23THRUST_200600_302600_NS6detail15normal_iteratorINS9_10device_ptrIsEEEESE_SE_sNS9_10multipliesIsEENS9_8equal_toIsEEsEE10hipError_tPvRmT2_T3_T4_T5_mT6_T7_P12ihipStream_tbENKUlT_T0_E_clISt17integral_constantIbLb0EESZ_EEDaSU_SV_EUlSU_E_NS1_11comp_targetILNS1_3genE2ELNS1_11target_archE906ELNS1_3gpuE6ELNS1_3repE0EEENS1_30default_config_static_selectorELNS0_4arch9wavefront6targetE1EEEvT1_ ; -- Begin function _ZN7rocprim17ROCPRIM_400000_NS6detail17trampoline_kernelINS0_14default_configENS1_27scan_by_key_config_selectorIssEEZZNS1_16scan_by_key_implILNS1_25lookback_scan_determinismE0ELb1ES3_N6thrust23THRUST_200600_302600_NS6detail15normal_iteratorINS9_10device_ptrIsEEEESE_SE_sNS9_10multipliesIsEENS9_8equal_toIsEEsEE10hipError_tPvRmT2_T3_T4_T5_mT6_T7_P12ihipStream_tbENKUlT_T0_E_clISt17integral_constantIbLb0EESZ_EEDaSU_SV_EUlSU_E_NS1_11comp_targetILNS1_3genE2ELNS1_11target_archE906ELNS1_3gpuE6ELNS1_3repE0EEENS1_30default_config_static_selectorELNS0_4arch9wavefront6targetE1EEEvT1_
	.globl	_ZN7rocprim17ROCPRIM_400000_NS6detail17trampoline_kernelINS0_14default_configENS1_27scan_by_key_config_selectorIssEEZZNS1_16scan_by_key_implILNS1_25lookback_scan_determinismE0ELb1ES3_N6thrust23THRUST_200600_302600_NS6detail15normal_iteratorINS9_10device_ptrIsEEEESE_SE_sNS9_10multipliesIsEENS9_8equal_toIsEEsEE10hipError_tPvRmT2_T3_T4_T5_mT6_T7_P12ihipStream_tbENKUlT_T0_E_clISt17integral_constantIbLb0EESZ_EEDaSU_SV_EUlSU_E_NS1_11comp_targetILNS1_3genE2ELNS1_11target_archE906ELNS1_3gpuE6ELNS1_3repE0EEENS1_30default_config_static_selectorELNS0_4arch9wavefront6targetE1EEEvT1_
	.p2align	8
	.type	_ZN7rocprim17ROCPRIM_400000_NS6detail17trampoline_kernelINS0_14default_configENS1_27scan_by_key_config_selectorIssEEZZNS1_16scan_by_key_implILNS1_25lookback_scan_determinismE0ELb1ES3_N6thrust23THRUST_200600_302600_NS6detail15normal_iteratorINS9_10device_ptrIsEEEESE_SE_sNS9_10multipliesIsEENS9_8equal_toIsEEsEE10hipError_tPvRmT2_T3_T4_T5_mT6_T7_P12ihipStream_tbENKUlT_T0_E_clISt17integral_constantIbLb0EESZ_EEDaSU_SV_EUlSU_E_NS1_11comp_targetILNS1_3genE2ELNS1_11target_archE906ELNS1_3gpuE6ELNS1_3repE0EEENS1_30default_config_static_selectorELNS0_4arch9wavefront6targetE1EEEvT1_,@function
_ZN7rocprim17ROCPRIM_400000_NS6detail17trampoline_kernelINS0_14default_configENS1_27scan_by_key_config_selectorIssEEZZNS1_16scan_by_key_implILNS1_25lookback_scan_determinismE0ELb1ES3_N6thrust23THRUST_200600_302600_NS6detail15normal_iteratorINS9_10device_ptrIsEEEESE_SE_sNS9_10multipliesIsEENS9_8equal_toIsEEsEE10hipError_tPvRmT2_T3_T4_T5_mT6_T7_P12ihipStream_tbENKUlT_T0_E_clISt17integral_constantIbLb0EESZ_EEDaSU_SV_EUlSU_E_NS1_11comp_targetILNS1_3genE2ELNS1_11target_archE906ELNS1_3gpuE6ELNS1_3repE0EEENS1_30default_config_static_selectorELNS0_4arch9wavefront6targetE1EEEvT1_: ; @_ZN7rocprim17ROCPRIM_400000_NS6detail17trampoline_kernelINS0_14default_configENS1_27scan_by_key_config_selectorIssEEZZNS1_16scan_by_key_implILNS1_25lookback_scan_determinismE0ELb1ES3_N6thrust23THRUST_200600_302600_NS6detail15normal_iteratorINS9_10device_ptrIsEEEESE_SE_sNS9_10multipliesIsEENS9_8equal_toIsEEsEE10hipError_tPvRmT2_T3_T4_T5_mT6_T7_P12ihipStream_tbENKUlT_T0_E_clISt17integral_constantIbLb0EESZ_EEDaSU_SV_EUlSU_E_NS1_11comp_targetILNS1_3genE2ELNS1_11target_archE906ELNS1_3gpuE6ELNS1_3repE0EEENS1_30default_config_static_selectorELNS0_4arch9wavefront6targetE1EEEvT1_
; %bb.0:
	.section	.rodata,"a",@progbits
	.p2align	6, 0x0
	.amdhsa_kernel _ZN7rocprim17ROCPRIM_400000_NS6detail17trampoline_kernelINS0_14default_configENS1_27scan_by_key_config_selectorIssEEZZNS1_16scan_by_key_implILNS1_25lookback_scan_determinismE0ELb1ES3_N6thrust23THRUST_200600_302600_NS6detail15normal_iteratorINS9_10device_ptrIsEEEESE_SE_sNS9_10multipliesIsEENS9_8equal_toIsEEsEE10hipError_tPvRmT2_T3_T4_T5_mT6_T7_P12ihipStream_tbENKUlT_T0_E_clISt17integral_constantIbLb0EESZ_EEDaSU_SV_EUlSU_E_NS1_11comp_targetILNS1_3genE2ELNS1_11target_archE906ELNS1_3gpuE6ELNS1_3repE0EEENS1_30default_config_static_selectorELNS0_4arch9wavefront6targetE1EEEvT1_
		.amdhsa_group_segment_fixed_size 0
		.amdhsa_private_segment_fixed_size 0
		.amdhsa_kernarg_size 112
		.amdhsa_user_sgpr_count 2
		.amdhsa_user_sgpr_dispatch_ptr 0
		.amdhsa_user_sgpr_queue_ptr 0
		.amdhsa_user_sgpr_kernarg_segment_ptr 1
		.amdhsa_user_sgpr_dispatch_id 0
		.amdhsa_user_sgpr_kernarg_preload_length 0
		.amdhsa_user_sgpr_kernarg_preload_offset 0
		.amdhsa_user_sgpr_private_segment_size 0
		.amdhsa_uses_dynamic_stack 0
		.amdhsa_enable_private_segment 0
		.amdhsa_system_sgpr_workgroup_id_x 1
		.amdhsa_system_sgpr_workgroup_id_y 0
		.amdhsa_system_sgpr_workgroup_id_z 0
		.amdhsa_system_sgpr_workgroup_info 0
		.amdhsa_system_vgpr_workitem_id 0
		.amdhsa_next_free_vgpr 1
		.amdhsa_next_free_sgpr 0
		.amdhsa_accum_offset 4
		.amdhsa_reserve_vcc 0
		.amdhsa_float_round_mode_32 0
		.amdhsa_float_round_mode_16_64 0
		.amdhsa_float_denorm_mode_32 3
		.amdhsa_float_denorm_mode_16_64 3
		.amdhsa_dx10_clamp 1
		.amdhsa_ieee_mode 1
		.amdhsa_fp16_overflow 0
		.amdhsa_tg_split 0
		.amdhsa_exception_fp_ieee_invalid_op 0
		.amdhsa_exception_fp_denorm_src 0
		.amdhsa_exception_fp_ieee_div_zero 0
		.amdhsa_exception_fp_ieee_overflow 0
		.amdhsa_exception_fp_ieee_underflow 0
		.amdhsa_exception_fp_ieee_inexact 0
		.amdhsa_exception_int_div_zero 0
	.end_amdhsa_kernel
	.section	.text._ZN7rocprim17ROCPRIM_400000_NS6detail17trampoline_kernelINS0_14default_configENS1_27scan_by_key_config_selectorIssEEZZNS1_16scan_by_key_implILNS1_25lookback_scan_determinismE0ELb1ES3_N6thrust23THRUST_200600_302600_NS6detail15normal_iteratorINS9_10device_ptrIsEEEESE_SE_sNS9_10multipliesIsEENS9_8equal_toIsEEsEE10hipError_tPvRmT2_T3_T4_T5_mT6_T7_P12ihipStream_tbENKUlT_T0_E_clISt17integral_constantIbLb0EESZ_EEDaSU_SV_EUlSU_E_NS1_11comp_targetILNS1_3genE2ELNS1_11target_archE906ELNS1_3gpuE6ELNS1_3repE0EEENS1_30default_config_static_selectorELNS0_4arch9wavefront6targetE1EEEvT1_,"axG",@progbits,_ZN7rocprim17ROCPRIM_400000_NS6detail17trampoline_kernelINS0_14default_configENS1_27scan_by_key_config_selectorIssEEZZNS1_16scan_by_key_implILNS1_25lookback_scan_determinismE0ELb1ES3_N6thrust23THRUST_200600_302600_NS6detail15normal_iteratorINS9_10device_ptrIsEEEESE_SE_sNS9_10multipliesIsEENS9_8equal_toIsEEsEE10hipError_tPvRmT2_T3_T4_T5_mT6_T7_P12ihipStream_tbENKUlT_T0_E_clISt17integral_constantIbLb0EESZ_EEDaSU_SV_EUlSU_E_NS1_11comp_targetILNS1_3genE2ELNS1_11target_archE906ELNS1_3gpuE6ELNS1_3repE0EEENS1_30default_config_static_selectorELNS0_4arch9wavefront6targetE1EEEvT1_,comdat
.Lfunc_end610:
	.size	_ZN7rocprim17ROCPRIM_400000_NS6detail17trampoline_kernelINS0_14default_configENS1_27scan_by_key_config_selectorIssEEZZNS1_16scan_by_key_implILNS1_25lookback_scan_determinismE0ELb1ES3_N6thrust23THRUST_200600_302600_NS6detail15normal_iteratorINS9_10device_ptrIsEEEESE_SE_sNS9_10multipliesIsEENS9_8equal_toIsEEsEE10hipError_tPvRmT2_T3_T4_T5_mT6_T7_P12ihipStream_tbENKUlT_T0_E_clISt17integral_constantIbLb0EESZ_EEDaSU_SV_EUlSU_E_NS1_11comp_targetILNS1_3genE2ELNS1_11target_archE906ELNS1_3gpuE6ELNS1_3repE0EEENS1_30default_config_static_selectorELNS0_4arch9wavefront6targetE1EEEvT1_, .Lfunc_end610-_ZN7rocprim17ROCPRIM_400000_NS6detail17trampoline_kernelINS0_14default_configENS1_27scan_by_key_config_selectorIssEEZZNS1_16scan_by_key_implILNS1_25lookback_scan_determinismE0ELb1ES3_N6thrust23THRUST_200600_302600_NS6detail15normal_iteratorINS9_10device_ptrIsEEEESE_SE_sNS9_10multipliesIsEENS9_8equal_toIsEEsEE10hipError_tPvRmT2_T3_T4_T5_mT6_T7_P12ihipStream_tbENKUlT_T0_E_clISt17integral_constantIbLb0EESZ_EEDaSU_SV_EUlSU_E_NS1_11comp_targetILNS1_3genE2ELNS1_11target_archE906ELNS1_3gpuE6ELNS1_3repE0EEENS1_30default_config_static_selectorELNS0_4arch9wavefront6targetE1EEEvT1_
                                        ; -- End function
	.section	.AMDGPU.csdata,"",@progbits
; Kernel info:
; codeLenInByte = 0
; NumSgprs: 6
; NumVgprs: 0
; NumAgprs: 0
; TotalNumVgprs: 0
; ScratchSize: 0
; MemoryBound: 0
; FloatMode: 240
; IeeeMode: 1
; LDSByteSize: 0 bytes/workgroup (compile time only)
; SGPRBlocks: 0
; VGPRBlocks: 0
; NumSGPRsForWavesPerEU: 6
; NumVGPRsForWavesPerEU: 1
; AccumOffset: 4
; Occupancy: 8
; WaveLimiterHint : 0
; COMPUTE_PGM_RSRC2:SCRATCH_EN: 0
; COMPUTE_PGM_RSRC2:USER_SGPR: 2
; COMPUTE_PGM_RSRC2:TRAP_HANDLER: 0
; COMPUTE_PGM_RSRC2:TGID_X_EN: 1
; COMPUTE_PGM_RSRC2:TGID_Y_EN: 0
; COMPUTE_PGM_RSRC2:TGID_Z_EN: 0
; COMPUTE_PGM_RSRC2:TIDIG_COMP_CNT: 0
; COMPUTE_PGM_RSRC3_GFX90A:ACCUM_OFFSET: 0
; COMPUTE_PGM_RSRC3_GFX90A:TG_SPLIT: 0
	.section	.text._ZN7rocprim17ROCPRIM_400000_NS6detail17trampoline_kernelINS0_14default_configENS1_27scan_by_key_config_selectorIssEEZZNS1_16scan_by_key_implILNS1_25lookback_scan_determinismE0ELb1ES3_N6thrust23THRUST_200600_302600_NS6detail15normal_iteratorINS9_10device_ptrIsEEEESE_SE_sNS9_10multipliesIsEENS9_8equal_toIsEEsEE10hipError_tPvRmT2_T3_T4_T5_mT6_T7_P12ihipStream_tbENKUlT_T0_E_clISt17integral_constantIbLb0EESZ_EEDaSU_SV_EUlSU_E_NS1_11comp_targetILNS1_3genE10ELNS1_11target_archE1200ELNS1_3gpuE4ELNS1_3repE0EEENS1_30default_config_static_selectorELNS0_4arch9wavefront6targetE1EEEvT1_,"axG",@progbits,_ZN7rocprim17ROCPRIM_400000_NS6detail17trampoline_kernelINS0_14default_configENS1_27scan_by_key_config_selectorIssEEZZNS1_16scan_by_key_implILNS1_25lookback_scan_determinismE0ELb1ES3_N6thrust23THRUST_200600_302600_NS6detail15normal_iteratorINS9_10device_ptrIsEEEESE_SE_sNS9_10multipliesIsEENS9_8equal_toIsEEsEE10hipError_tPvRmT2_T3_T4_T5_mT6_T7_P12ihipStream_tbENKUlT_T0_E_clISt17integral_constantIbLb0EESZ_EEDaSU_SV_EUlSU_E_NS1_11comp_targetILNS1_3genE10ELNS1_11target_archE1200ELNS1_3gpuE4ELNS1_3repE0EEENS1_30default_config_static_selectorELNS0_4arch9wavefront6targetE1EEEvT1_,comdat
	.protected	_ZN7rocprim17ROCPRIM_400000_NS6detail17trampoline_kernelINS0_14default_configENS1_27scan_by_key_config_selectorIssEEZZNS1_16scan_by_key_implILNS1_25lookback_scan_determinismE0ELb1ES3_N6thrust23THRUST_200600_302600_NS6detail15normal_iteratorINS9_10device_ptrIsEEEESE_SE_sNS9_10multipliesIsEENS9_8equal_toIsEEsEE10hipError_tPvRmT2_T3_T4_T5_mT6_T7_P12ihipStream_tbENKUlT_T0_E_clISt17integral_constantIbLb0EESZ_EEDaSU_SV_EUlSU_E_NS1_11comp_targetILNS1_3genE10ELNS1_11target_archE1200ELNS1_3gpuE4ELNS1_3repE0EEENS1_30default_config_static_selectorELNS0_4arch9wavefront6targetE1EEEvT1_ ; -- Begin function _ZN7rocprim17ROCPRIM_400000_NS6detail17trampoline_kernelINS0_14default_configENS1_27scan_by_key_config_selectorIssEEZZNS1_16scan_by_key_implILNS1_25lookback_scan_determinismE0ELb1ES3_N6thrust23THRUST_200600_302600_NS6detail15normal_iteratorINS9_10device_ptrIsEEEESE_SE_sNS9_10multipliesIsEENS9_8equal_toIsEEsEE10hipError_tPvRmT2_T3_T4_T5_mT6_T7_P12ihipStream_tbENKUlT_T0_E_clISt17integral_constantIbLb0EESZ_EEDaSU_SV_EUlSU_E_NS1_11comp_targetILNS1_3genE10ELNS1_11target_archE1200ELNS1_3gpuE4ELNS1_3repE0EEENS1_30default_config_static_selectorELNS0_4arch9wavefront6targetE1EEEvT1_
	.globl	_ZN7rocprim17ROCPRIM_400000_NS6detail17trampoline_kernelINS0_14default_configENS1_27scan_by_key_config_selectorIssEEZZNS1_16scan_by_key_implILNS1_25lookback_scan_determinismE0ELb1ES3_N6thrust23THRUST_200600_302600_NS6detail15normal_iteratorINS9_10device_ptrIsEEEESE_SE_sNS9_10multipliesIsEENS9_8equal_toIsEEsEE10hipError_tPvRmT2_T3_T4_T5_mT6_T7_P12ihipStream_tbENKUlT_T0_E_clISt17integral_constantIbLb0EESZ_EEDaSU_SV_EUlSU_E_NS1_11comp_targetILNS1_3genE10ELNS1_11target_archE1200ELNS1_3gpuE4ELNS1_3repE0EEENS1_30default_config_static_selectorELNS0_4arch9wavefront6targetE1EEEvT1_
	.p2align	8
	.type	_ZN7rocprim17ROCPRIM_400000_NS6detail17trampoline_kernelINS0_14default_configENS1_27scan_by_key_config_selectorIssEEZZNS1_16scan_by_key_implILNS1_25lookback_scan_determinismE0ELb1ES3_N6thrust23THRUST_200600_302600_NS6detail15normal_iteratorINS9_10device_ptrIsEEEESE_SE_sNS9_10multipliesIsEENS9_8equal_toIsEEsEE10hipError_tPvRmT2_T3_T4_T5_mT6_T7_P12ihipStream_tbENKUlT_T0_E_clISt17integral_constantIbLb0EESZ_EEDaSU_SV_EUlSU_E_NS1_11comp_targetILNS1_3genE10ELNS1_11target_archE1200ELNS1_3gpuE4ELNS1_3repE0EEENS1_30default_config_static_selectorELNS0_4arch9wavefront6targetE1EEEvT1_,@function
_ZN7rocprim17ROCPRIM_400000_NS6detail17trampoline_kernelINS0_14default_configENS1_27scan_by_key_config_selectorIssEEZZNS1_16scan_by_key_implILNS1_25lookback_scan_determinismE0ELb1ES3_N6thrust23THRUST_200600_302600_NS6detail15normal_iteratorINS9_10device_ptrIsEEEESE_SE_sNS9_10multipliesIsEENS9_8equal_toIsEEsEE10hipError_tPvRmT2_T3_T4_T5_mT6_T7_P12ihipStream_tbENKUlT_T0_E_clISt17integral_constantIbLb0EESZ_EEDaSU_SV_EUlSU_E_NS1_11comp_targetILNS1_3genE10ELNS1_11target_archE1200ELNS1_3gpuE4ELNS1_3repE0EEENS1_30default_config_static_selectorELNS0_4arch9wavefront6targetE1EEEvT1_: ; @_ZN7rocprim17ROCPRIM_400000_NS6detail17trampoline_kernelINS0_14default_configENS1_27scan_by_key_config_selectorIssEEZZNS1_16scan_by_key_implILNS1_25lookback_scan_determinismE0ELb1ES3_N6thrust23THRUST_200600_302600_NS6detail15normal_iteratorINS9_10device_ptrIsEEEESE_SE_sNS9_10multipliesIsEENS9_8equal_toIsEEsEE10hipError_tPvRmT2_T3_T4_T5_mT6_T7_P12ihipStream_tbENKUlT_T0_E_clISt17integral_constantIbLb0EESZ_EEDaSU_SV_EUlSU_E_NS1_11comp_targetILNS1_3genE10ELNS1_11target_archE1200ELNS1_3gpuE4ELNS1_3repE0EEENS1_30default_config_static_selectorELNS0_4arch9wavefront6targetE1EEEvT1_
; %bb.0:
	.section	.rodata,"a",@progbits
	.p2align	6, 0x0
	.amdhsa_kernel _ZN7rocprim17ROCPRIM_400000_NS6detail17trampoline_kernelINS0_14default_configENS1_27scan_by_key_config_selectorIssEEZZNS1_16scan_by_key_implILNS1_25lookback_scan_determinismE0ELb1ES3_N6thrust23THRUST_200600_302600_NS6detail15normal_iteratorINS9_10device_ptrIsEEEESE_SE_sNS9_10multipliesIsEENS9_8equal_toIsEEsEE10hipError_tPvRmT2_T3_T4_T5_mT6_T7_P12ihipStream_tbENKUlT_T0_E_clISt17integral_constantIbLb0EESZ_EEDaSU_SV_EUlSU_E_NS1_11comp_targetILNS1_3genE10ELNS1_11target_archE1200ELNS1_3gpuE4ELNS1_3repE0EEENS1_30default_config_static_selectorELNS0_4arch9wavefront6targetE1EEEvT1_
		.amdhsa_group_segment_fixed_size 0
		.amdhsa_private_segment_fixed_size 0
		.amdhsa_kernarg_size 112
		.amdhsa_user_sgpr_count 2
		.amdhsa_user_sgpr_dispatch_ptr 0
		.amdhsa_user_sgpr_queue_ptr 0
		.amdhsa_user_sgpr_kernarg_segment_ptr 1
		.amdhsa_user_sgpr_dispatch_id 0
		.amdhsa_user_sgpr_kernarg_preload_length 0
		.amdhsa_user_sgpr_kernarg_preload_offset 0
		.amdhsa_user_sgpr_private_segment_size 0
		.amdhsa_uses_dynamic_stack 0
		.amdhsa_enable_private_segment 0
		.amdhsa_system_sgpr_workgroup_id_x 1
		.amdhsa_system_sgpr_workgroup_id_y 0
		.amdhsa_system_sgpr_workgroup_id_z 0
		.amdhsa_system_sgpr_workgroup_info 0
		.amdhsa_system_vgpr_workitem_id 0
		.amdhsa_next_free_vgpr 1
		.amdhsa_next_free_sgpr 0
		.amdhsa_accum_offset 4
		.amdhsa_reserve_vcc 0
		.amdhsa_float_round_mode_32 0
		.amdhsa_float_round_mode_16_64 0
		.amdhsa_float_denorm_mode_32 3
		.amdhsa_float_denorm_mode_16_64 3
		.amdhsa_dx10_clamp 1
		.amdhsa_ieee_mode 1
		.amdhsa_fp16_overflow 0
		.amdhsa_tg_split 0
		.amdhsa_exception_fp_ieee_invalid_op 0
		.amdhsa_exception_fp_denorm_src 0
		.amdhsa_exception_fp_ieee_div_zero 0
		.amdhsa_exception_fp_ieee_overflow 0
		.amdhsa_exception_fp_ieee_underflow 0
		.amdhsa_exception_fp_ieee_inexact 0
		.amdhsa_exception_int_div_zero 0
	.end_amdhsa_kernel
	.section	.text._ZN7rocprim17ROCPRIM_400000_NS6detail17trampoline_kernelINS0_14default_configENS1_27scan_by_key_config_selectorIssEEZZNS1_16scan_by_key_implILNS1_25lookback_scan_determinismE0ELb1ES3_N6thrust23THRUST_200600_302600_NS6detail15normal_iteratorINS9_10device_ptrIsEEEESE_SE_sNS9_10multipliesIsEENS9_8equal_toIsEEsEE10hipError_tPvRmT2_T3_T4_T5_mT6_T7_P12ihipStream_tbENKUlT_T0_E_clISt17integral_constantIbLb0EESZ_EEDaSU_SV_EUlSU_E_NS1_11comp_targetILNS1_3genE10ELNS1_11target_archE1200ELNS1_3gpuE4ELNS1_3repE0EEENS1_30default_config_static_selectorELNS0_4arch9wavefront6targetE1EEEvT1_,"axG",@progbits,_ZN7rocprim17ROCPRIM_400000_NS6detail17trampoline_kernelINS0_14default_configENS1_27scan_by_key_config_selectorIssEEZZNS1_16scan_by_key_implILNS1_25lookback_scan_determinismE0ELb1ES3_N6thrust23THRUST_200600_302600_NS6detail15normal_iteratorINS9_10device_ptrIsEEEESE_SE_sNS9_10multipliesIsEENS9_8equal_toIsEEsEE10hipError_tPvRmT2_T3_T4_T5_mT6_T7_P12ihipStream_tbENKUlT_T0_E_clISt17integral_constantIbLb0EESZ_EEDaSU_SV_EUlSU_E_NS1_11comp_targetILNS1_3genE10ELNS1_11target_archE1200ELNS1_3gpuE4ELNS1_3repE0EEENS1_30default_config_static_selectorELNS0_4arch9wavefront6targetE1EEEvT1_,comdat
.Lfunc_end611:
	.size	_ZN7rocprim17ROCPRIM_400000_NS6detail17trampoline_kernelINS0_14default_configENS1_27scan_by_key_config_selectorIssEEZZNS1_16scan_by_key_implILNS1_25lookback_scan_determinismE0ELb1ES3_N6thrust23THRUST_200600_302600_NS6detail15normal_iteratorINS9_10device_ptrIsEEEESE_SE_sNS9_10multipliesIsEENS9_8equal_toIsEEsEE10hipError_tPvRmT2_T3_T4_T5_mT6_T7_P12ihipStream_tbENKUlT_T0_E_clISt17integral_constantIbLb0EESZ_EEDaSU_SV_EUlSU_E_NS1_11comp_targetILNS1_3genE10ELNS1_11target_archE1200ELNS1_3gpuE4ELNS1_3repE0EEENS1_30default_config_static_selectorELNS0_4arch9wavefront6targetE1EEEvT1_, .Lfunc_end611-_ZN7rocprim17ROCPRIM_400000_NS6detail17trampoline_kernelINS0_14default_configENS1_27scan_by_key_config_selectorIssEEZZNS1_16scan_by_key_implILNS1_25lookback_scan_determinismE0ELb1ES3_N6thrust23THRUST_200600_302600_NS6detail15normal_iteratorINS9_10device_ptrIsEEEESE_SE_sNS9_10multipliesIsEENS9_8equal_toIsEEsEE10hipError_tPvRmT2_T3_T4_T5_mT6_T7_P12ihipStream_tbENKUlT_T0_E_clISt17integral_constantIbLb0EESZ_EEDaSU_SV_EUlSU_E_NS1_11comp_targetILNS1_3genE10ELNS1_11target_archE1200ELNS1_3gpuE4ELNS1_3repE0EEENS1_30default_config_static_selectorELNS0_4arch9wavefront6targetE1EEEvT1_
                                        ; -- End function
	.section	.AMDGPU.csdata,"",@progbits
; Kernel info:
; codeLenInByte = 0
; NumSgprs: 6
; NumVgprs: 0
; NumAgprs: 0
; TotalNumVgprs: 0
; ScratchSize: 0
; MemoryBound: 0
; FloatMode: 240
; IeeeMode: 1
; LDSByteSize: 0 bytes/workgroup (compile time only)
; SGPRBlocks: 0
; VGPRBlocks: 0
; NumSGPRsForWavesPerEU: 6
; NumVGPRsForWavesPerEU: 1
; AccumOffset: 4
; Occupancy: 8
; WaveLimiterHint : 0
; COMPUTE_PGM_RSRC2:SCRATCH_EN: 0
; COMPUTE_PGM_RSRC2:USER_SGPR: 2
; COMPUTE_PGM_RSRC2:TRAP_HANDLER: 0
; COMPUTE_PGM_RSRC2:TGID_X_EN: 1
; COMPUTE_PGM_RSRC2:TGID_Y_EN: 0
; COMPUTE_PGM_RSRC2:TGID_Z_EN: 0
; COMPUTE_PGM_RSRC2:TIDIG_COMP_CNT: 0
; COMPUTE_PGM_RSRC3_GFX90A:ACCUM_OFFSET: 0
; COMPUTE_PGM_RSRC3_GFX90A:TG_SPLIT: 0
	.section	.text._ZN7rocprim17ROCPRIM_400000_NS6detail17trampoline_kernelINS0_14default_configENS1_27scan_by_key_config_selectorIssEEZZNS1_16scan_by_key_implILNS1_25lookback_scan_determinismE0ELb1ES3_N6thrust23THRUST_200600_302600_NS6detail15normal_iteratorINS9_10device_ptrIsEEEESE_SE_sNS9_10multipliesIsEENS9_8equal_toIsEEsEE10hipError_tPvRmT2_T3_T4_T5_mT6_T7_P12ihipStream_tbENKUlT_T0_E_clISt17integral_constantIbLb0EESZ_EEDaSU_SV_EUlSU_E_NS1_11comp_targetILNS1_3genE9ELNS1_11target_archE1100ELNS1_3gpuE3ELNS1_3repE0EEENS1_30default_config_static_selectorELNS0_4arch9wavefront6targetE1EEEvT1_,"axG",@progbits,_ZN7rocprim17ROCPRIM_400000_NS6detail17trampoline_kernelINS0_14default_configENS1_27scan_by_key_config_selectorIssEEZZNS1_16scan_by_key_implILNS1_25lookback_scan_determinismE0ELb1ES3_N6thrust23THRUST_200600_302600_NS6detail15normal_iteratorINS9_10device_ptrIsEEEESE_SE_sNS9_10multipliesIsEENS9_8equal_toIsEEsEE10hipError_tPvRmT2_T3_T4_T5_mT6_T7_P12ihipStream_tbENKUlT_T0_E_clISt17integral_constantIbLb0EESZ_EEDaSU_SV_EUlSU_E_NS1_11comp_targetILNS1_3genE9ELNS1_11target_archE1100ELNS1_3gpuE3ELNS1_3repE0EEENS1_30default_config_static_selectorELNS0_4arch9wavefront6targetE1EEEvT1_,comdat
	.protected	_ZN7rocprim17ROCPRIM_400000_NS6detail17trampoline_kernelINS0_14default_configENS1_27scan_by_key_config_selectorIssEEZZNS1_16scan_by_key_implILNS1_25lookback_scan_determinismE0ELb1ES3_N6thrust23THRUST_200600_302600_NS6detail15normal_iteratorINS9_10device_ptrIsEEEESE_SE_sNS9_10multipliesIsEENS9_8equal_toIsEEsEE10hipError_tPvRmT2_T3_T4_T5_mT6_T7_P12ihipStream_tbENKUlT_T0_E_clISt17integral_constantIbLb0EESZ_EEDaSU_SV_EUlSU_E_NS1_11comp_targetILNS1_3genE9ELNS1_11target_archE1100ELNS1_3gpuE3ELNS1_3repE0EEENS1_30default_config_static_selectorELNS0_4arch9wavefront6targetE1EEEvT1_ ; -- Begin function _ZN7rocprim17ROCPRIM_400000_NS6detail17trampoline_kernelINS0_14default_configENS1_27scan_by_key_config_selectorIssEEZZNS1_16scan_by_key_implILNS1_25lookback_scan_determinismE0ELb1ES3_N6thrust23THRUST_200600_302600_NS6detail15normal_iteratorINS9_10device_ptrIsEEEESE_SE_sNS9_10multipliesIsEENS9_8equal_toIsEEsEE10hipError_tPvRmT2_T3_T4_T5_mT6_T7_P12ihipStream_tbENKUlT_T0_E_clISt17integral_constantIbLb0EESZ_EEDaSU_SV_EUlSU_E_NS1_11comp_targetILNS1_3genE9ELNS1_11target_archE1100ELNS1_3gpuE3ELNS1_3repE0EEENS1_30default_config_static_selectorELNS0_4arch9wavefront6targetE1EEEvT1_
	.globl	_ZN7rocprim17ROCPRIM_400000_NS6detail17trampoline_kernelINS0_14default_configENS1_27scan_by_key_config_selectorIssEEZZNS1_16scan_by_key_implILNS1_25lookback_scan_determinismE0ELb1ES3_N6thrust23THRUST_200600_302600_NS6detail15normal_iteratorINS9_10device_ptrIsEEEESE_SE_sNS9_10multipliesIsEENS9_8equal_toIsEEsEE10hipError_tPvRmT2_T3_T4_T5_mT6_T7_P12ihipStream_tbENKUlT_T0_E_clISt17integral_constantIbLb0EESZ_EEDaSU_SV_EUlSU_E_NS1_11comp_targetILNS1_3genE9ELNS1_11target_archE1100ELNS1_3gpuE3ELNS1_3repE0EEENS1_30default_config_static_selectorELNS0_4arch9wavefront6targetE1EEEvT1_
	.p2align	8
	.type	_ZN7rocprim17ROCPRIM_400000_NS6detail17trampoline_kernelINS0_14default_configENS1_27scan_by_key_config_selectorIssEEZZNS1_16scan_by_key_implILNS1_25lookback_scan_determinismE0ELb1ES3_N6thrust23THRUST_200600_302600_NS6detail15normal_iteratorINS9_10device_ptrIsEEEESE_SE_sNS9_10multipliesIsEENS9_8equal_toIsEEsEE10hipError_tPvRmT2_T3_T4_T5_mT6_T7_P12ihipStream_tbENKUlT_T0_E_clISt17integral_constantIbLb0EESZ_EEDaSU_SV_EUlSU_E_NS1_11comp_targetILNS1_3genE9ELNS1_11target_archE1100ELNS1_3gpuE3ELNS1_3repE0EEENS1_30default_config_static_selectorELNS0_4arch9wavefront6targetE1EEEvT1_,@function
_ZN7rocprim17ROCPRIM_400000_NS6detail17trampoline_kernelINS0_14default_configENS1_27scan_by_key_config_selectorIssEEZZNS1_16scan_by_key_implILNS1_25lookback_scan_determinismE0ELb1ES3_N6thrust23THRUST_200600_302600_NS6detail15normal_iteratorINS9_10device_ptrIsEEEESE_SE_sNS9_10multipliesIsEENS9_8equal_toIsEEsEE10hipError_tPvRmT2_T3_T4_T5_mT6_T7_P12ihipStream_tbENKUlT_T0_E_clISt17integral_constantIbLb0EESZ_EEDaSU_SV_EUlSU_E_NS1_11comp_targetILNS1_3genE9ELNS1_11target_archE1100ELNS1_3gpuE3ELNS1_3repE0EEENS1_30default_config_static_selectorELNS0_4arch9wavefront6targetE1EEEvT1_: ; @_ZN7rocprim17ROCPRIM_400000_NS6detail17trampoline_kernelINS0_14default_configENS1_27scan_by_key_config_selectorIssEEZZNS1_16scan_by_key_implILNS1_25lookback_scan_determinismE0ELb1ES3_N6thrust23THRUST_200600_302600_NS6detail15normal_iteratorINS9_10device_ptrIsEEEESE_SE_sNS9_10multipliesIsEENS9_8equal_toIsEEsEE10hipError_tPvRmT2_T3_T4_T5_mT6_T7_P12ihipStream_tbENKUlT_T0_E_clISt17integral_constantIbLb0EESZ_EEDaSU_SV_EUlSU_E_NS1_11comp_targetILNS1_3genE9ELNS1_11target_archE1100ELNS1_3gpuE3ELNS1_3repE0EEENS1_30default_config_static_selectorELNS0_4arch9wavefront6targetE1EEEvT1_
; %bb.0:
	.section	.rodata,"a",@progbits
	.p2align	6, 0x0
	.amdhsa_kernel _ZN7rocprim17ROCPRIM_400000_NS6detail17trampoline_kernelINS0_14default_configENS1_27scan_by_key_config_selectorIssEEZZNS1_16scan_by_key_implILNS1_25lookback_scan_determinismE0ELb1ES3_N6thrust23THRUST_200600_302600_NS6detail15normal_iteratorINS9_10device_ptrIsEEEESE_SE_sNS9_10multipliesIsEENS9_8equal_toIsEEsEE10hipError_tPvRmT2_T3_T4_T5_mT6_T7_P12ihipStream_tbENKUlT_T0_E_clISt17integral_constantIbLb0EESZ_EEDaSU_SV_EUlSU_E_NS1_11comp_targetILNS1_3genE9ELNS1_11target_archE1100ELNS1_3gpuE3ELNS1_3repE0EEENS1_30default_config_static_selectorELNS0_4arch9wavefront6targetE1EEEvT1_
		.amdhsa_group_segment_fixed_size 0
		.amdhsa_private_segment_fixed_size 0
		.amdhsa_kernarg_size 112
		.amdhsa_user_sgpr_count 2
		.amdhsa_user_sgpr_dispatch_ptr 0
		.amdhsa_user_sgpr_queue_ptr 0
		.amdhsa_user_sgpr_kernarg_segment_ptr 1
		.amdhsa_user_sgpr_dispatch_id 0
		.amdhsa_user_sgpr_kernarg_preload_length 0
		.amdhsa_user_sgpr_kernarg_preload_offset 0
		.amdhsa_user_sgpr_private_segment_size 0
		.amdhsa_uses_dynamic_stack 0
		.amdhsa_enable_private_segment 0
		.amdhsa_system_sgpr_workgroup_id_x 1
		.amdhsa_system_sgpr_workgroup_id_y 0
		.amdhsa_system_sgpr_workgroup_id_z 0
		.amdhsa_system_sgpr_workgroup_info 0
		.amdhsa_system_vgpr_workitem_id 0
		.amdhsa_next_free_vgpr 1
		.amdhsa_next_free_sgpr 0
		.amdhsa_accum_offset 4
		.amdhsa_reserve_vcc 0
		.amdhsa_float_round_mode_32 0
		.amdhsa_float_round_mode_16_64 0
		.amdhsa_float_denorm_mode_32 3
		.amdhsa_float_denorm_mode_16_64 3
		.amdhsa_dx10_clamp 1
		.amdhsa_ieee_mode 1
		.amdhsa_fp16_overflow 0
		.amdhsa_tg_split 0
		.amdhsa_exception_fp_ieee_invalid_op 0
		.amdhsa_exception_fp_denorm_src 0
		.amdhsa_exception_fp_ieee_div_zero 0
		.amdhsa_exception_fp_ieee_overflow 0
		.amdhsa_exception_fp_ieee_underflow 0
		.amdhsa_exception_fp_ieee_inexact 0
		.amdhsa_exception_int_div_zero 0
	.end_amdhsa_kernel
	.section	.text._ZN7rocprim17ROCPRIM_400000_NS6detail17trampoline_kernelINS0_14default_configENS1_27scan_by_key_config_selectorIssEEZZNS1_16scan_by_key_implILNS1_25lookback_scan_determinismE0ELb1ES3_N6thrust23THRUST_200600_302600_NS6detail15normal_iteratorINS9_10device_ptrIsEEEESE_SE_sNS9_10multipliesIsEENS9_8equal_toIsEEsEE10hipError_tPvRmT2_T3_T4_T5_mT6_T7_P12ihipStream_tbENKUlT_T0_E_clISt17integral_constantIbLb0EESZ_EEDaSU_SV_EUlSU_E_NS1_11comp_targetILNS1_3genE9ELNS1_11target_archE1100ELNS1_3gpuE3ELNS1_3repE0EEENS1_30default_config_static_selectorELNS0_4arch9wavefront6targetE1EEEvT1_,"axG",@progbits,_ZN7rocprim17ROCPRIM_400000_NS6detail17trampoline_kernelINS0_14default_configENS1_27scan_by_key_config_selectorIssEEZZNS1_16scan_by_key_implILNS1_25lookback_scan_determinismE0ELb1ES3_N6thrust23THRUST_200600_302600_NS6detail15normal_iteratorINS9_10device_ptrIsEEEESE_SE_sNS9_10multipliesIsEENS9_8equal_toIsEEsEE10hipError_tPvRmT2_T3_T4_T5_mT6_T7_P12ihipStream_tbENKUlT_T0_E_clISt17integral_constantIbLb0EESZ_EEDaSU_SV_EUlSU_E_NS1_11comp_targetILNS1_3genE9ELNS1_11target_archE1100ELNS1_3gpuE3ELNS1_3repE0EEENS1_30default_config_static_selectorELNS0_4arch9wavefront6targetE1EEEvT1_,comdat
.Lfunc_end612:
	.size	_ZN7rocprim17ROCPRIM_400000_NS6detail17trampoline_kernelINS0_14default_configENS1_27scan_by_key_config_selectorIssEEZZNS1_16scan_by_key_implILNS1_25lookback_scan_determinismE0ELb1ES3_N6thrust23THRUST_200600_302600_NS6detail15normal_iteratorINS9_10device_ptrIsEEEESE_SE_sNS9_10multipliesIsEENS9_8equal_toIsEEsEE10hipError_tPvRmT2_T3_T4_T5_mT6_T7_P12ihipStream_tbENKUlT_T0_E_clISt17integral_constantIbLb0EESZ_EEDaSU_SV_EUlSU_E_NS1_11comp_targetILNS1_3genE9ELNS1_11target_archE1100ELNS1_3gpuE3ELNS1_3repE0EEENS1_30default_config_static_selectorELNS0_4arch9wavefront6targetE1EEEvT1_, .Lfunc_end612-_ZN7rocprim17ROCPRIM_400000_NS6detail17trampoline_kernelINS0_14default_configENS1_27scan_by_key_config_selectorIssEEZZNS1_16scan_by_key_implILNS1_25lookback_scan_determinismE0ELb1ES3_N6thrust23THRUST_200600_302600_NS6detail15normal_iteratorINS9_10device_ptrIsEEEESE_SE_sNS9_10multipliesIsEENS9_8equal_toIsEEsEE10hipError_tPvRmT2_T3_T4_T5_mT6_T7_P12ihipStream_tbENKUlT_T0_E_clISt17integral_constantIbLb0EESZ_EEDaSU_SV_EUlSU_E_NS1_11comp_targetILNS1_3genE9ELNS1_11target_archE1100ELNS1_3gpuE3ELNS1_3repE0EEENS1_30default_config_static_selectorELNS0_4arch9wavefront6targetE1EEEvT1_
                                        ; -- End function
	.section	.AMDGPU.csdata,"",@progbits
; Kernel info:
; codeLenInByte = 0
; NumSgprs: 6
; NumVgprs: 0
; NumAgprs: 0
; TotalNumVgprs: 0
; ScratchSize: 0
; MemoryBound: 0
; FloatMode: 240
; IeeeMode: 1
; LDSByteSize: 0 bytes/workgroup (compile time only)
; SGPRBlocks: 0
; VGPRBlocks: 0
; NumSGPRsForWavesPerEU: 6
; NumVGPRsForWavesPerEU: 1
; AccumOffset: 4
; Occupancy: 8
; WaveLimiterHint : 0
; COMPUTE_PGM_RSRC2:SCRATCH_EN: 0
; COMPUTE_PGM_RSRC2:USER_SGPR: 2
; COMPUTE_PGM_RSRC2:TRAP_HANDLER: 0
; COMPUTE_PGM_RSRC2:TGID_X_EN: 1
; COMPUTE_PGM_RSRC2:TGID_Y_EN: 0
; COMPUTE_PGM_RSRC2:TGID_Z_EN: 0
; COMPUTE_PGM_RSRC2:TIDIG_COMP_CNT: 0
; COMPUTE_PGM_RSRC3_GFX90A:ACCUM_OFFSET: 0
; COMPUTE_PGM_RSRC3_GFX90A:TG_SPLIT: 0
	.section	.text._ZN7rocprim17ROCPRIM_400000_NS6detail17trampoline_kernelINS0_14default_configENS1_27scan_by_key_config_selectorIssEEZZNS1_16scan_by_key_implILNS1_25lookback_scan_determinismE0ELb1ES3_N6thrust23THRUST_200600_302600_NS6detail15normal_iteratorINS9_10device_ptrIsEEEESE_SE_sNS9_10multipliesIsEENS9_8equal_toIsEEsEE10hipError_tPvRmT2_T3_T4_T5_mT6_T7_P12ihipStream_tbENKUlT_T0_E_clISt17integral_constantIbLb0EESZ_EEDaSU_SV_EUlSU_E_NS1_11comp_targetILNS1_3genE8ELNS1_11target_archE1030ELNS1_3gpuE2ELNS1_3repE0EEENS1_30default_config_static_selectorELNS0_4arch9wavefront6targetE1EEEvT1_,"axG",@progbits,_ZN7rocprim17ROCPRIM_400000_NS6detail17trampoline_kernelINS0_14default_configENS1_27scan_by_key_config_selectorIssEEZZNS1_16scan_by_key_implILNS1_25lookback_scan_determinismE0ELb1ES3_N6thrust23THRUST_200600_302600_NS6detail15normal_iteratorINS9_10device_ptrIsEEEESE_SE_sNS9_10multipliesIsEENS9_8equal_toIsEEsEE10hipError_tPvRmT2_T3_T4_T5_mT6_T7_P12ihipStream_tbENKUlT_T0_E_clISt17integral_constantIbLb0EESZ_EEDaSU_SV_EUlSU_E_NS1_11comp_targetILNS1_3genE8ELNS1_11target_archE1030ELNS1_3gpuE2ELNS1_3repE0EEENS1_30default_config_static_selectorELNS0_4arch9wavefront6targetE1EEEvT1_,comdat
	.protected	_ZN7rocprim17ROCPRIM_400000_NS6detail17trampoline_kernelINS0_14default_configENS1_27scan_by_key_config_selectorIssEEZZNS1_16scan_by_key_implILNS1_25lookback_scan_determinismE0ELb1ES3_N6thrust23THRUST_200600_302600_NS6detail15normal_iteratorINS9_10device_ptrIsEEEESE_SE_sNS9_10multipliesIsEENS9_8equal_toIsEEsEE10hipError_tPvRmT2_T3_T4_T5_mT6_T7_P12ihipStream_tbENKUlT_T0_E_clISt17integral_constantIbLb0EESZ_EEDaSU_SV_EUlSU_E_NS1_11comp_targetILNS1_3genE8ELNS1_11target_archE1030ELNS1_3gpuE2ELNS1_3repE0EEENS1_30default_config_static_selectorELNS0_4arch9wavefront6targetE1EEEvT1_ ; -- Begin function _ZN7rocprim17ROCPRIM_400000_NS6detail17trampoline_kernelINS0_14default_configENS1_27scan_by_key_config_selectorIssEEZZNS1_16scan_by_key_implILNS1_25lookback_scan_determinismE0ELb1ES3_N6thrust23THRUST_200600_302600_NS6detail15normal_iteratorINS9_10device_ptrIsEEEESE_SE_sNS9_10multipliesIsEENS9_8equal_toIsEEsEE10hipError_tPvRmT2_T3_T4_T5_mT6_T7_P12ihipStream_tbENKUlT_T0_E_clISt17integral_constantIbLb0EESZ_EEDaSU_SV_EUlSU_E_NS1_11comp_targetILNS1_3genE8ELNS1_11target_archE1030ELNS1_3gpuE2ELNS1_3repE0EEENS1_30default_config_static_selectorELNS0_4arch9wavefront6targetE1EEEvT1_
	.globl	_ZN7rocprim17ROCPRIM_400000_NS6detail17trampoline_kernelINS0_14default_configENS1_27scan_by_key_config_selectorIssEEZZNS1_16scan_by_key_implILNS1_25lookback_scan_determinismE0ELb1ES3_N6thrust23THRUST_200600_302600_NS6detail15normal_iteratorINS9_10device_ptrIsEEEESE_SE_sNS9_10multipliesIsEENS9_8equal_toIsEEsEE10hipError_tPvRmT2_T3_T4_T5_mT6_T7_P12ihipStream_tbENKUlT_T0_E_clISt17integral_constantIbLb0EESZ_EEDaSU_SV_EUlSU_E_NS1_11comp_targetILNS1_3genE8ELNS1_11target_archE1030ELNS1_3gpuE2ELNS1_3repE0EEENS1_30default_config_static_selectorELNS0_4arch9wavefront6targetE1EEEvT1_
	.p2align	8
	.type	_ZN7rocprim17ROCPRIM_400000_NS6detail17trampoline_kernelINS0_14default_configENS1_27scan_by_key_config_selectorIssEEZZNS1_16scan_by_key_implILNS1_25lookback_scan_determinismE0ELb1ES3_N6thrust23THRUST_200600_302600_NS6detail15normal_iteratorINS9_10device_ptrIsEEEESE_SE_sNS9_10multipliesIsEENS9_8equal_toIsEEsEE10hipError_tPvRmT2_T3_T4_T5_mT6_T7_P12ihipStream_tbENKUlT_T0_E_clISt17integral_constantIbLb0EESZ_EEDaSU_SV_EUlSU_E_NS1_11comp_targetILNS1_3genE8ELNS1_11target_archE1030ELNS1_3gpuE2ELNS1_3repE0EEENS1_30default_config_static_selectorELNS0_4arch9wavefront6targetE1EEEvT1_,@function
_ZN7rocprim17ROCPRIM_400000_NS6detail17trampoline_kernelINS0_14default_configENS1_27scan_by_key_config_selectorIssEEZZNS1_16scan_by_key_implILNS1_25lookback_scan_determinismE0ELb1ES3_N6thrust23THRUST_200600_302600_NS6detail15normal_iteratorINS9_10device_ptrIsEEEESE_SE_sNS9_10multipliesIsEENS9_8equal_toIsEEsEE10hipError_tPvRmT2_T3_T4_T5_mT6_T7_P12ihipStream_tbENKUlT_T0_E_clISt17integral_constantIbLb0EESZ_EEDaSU_SV_EUlSU_E_NS1_11comp_targetILNS1_3genE8ELNS1_11target_archE1030ELNS1_3gpuE2ELNS1_3repE0EEENS1_30default_config_static_selectorELNS0_4arch9wavefront6targetE1EEEvT1_: ; @_ZN7rocprim17ROCPRIM_400000_NS6detail17trampoline_kernelINS0_14default_configENS1_27scan_by_key_config_selectorIssEEZZNS1_16scan_by_key_implILNS1_25lookback_scan_determinismE0ELb1ES3_N6thrust23THRUST_200600_302600_NS6detail15normal_iteratorINS9_10device_ptrIsEEEESE_SE_sNS9_10multipliesIsEENS9_8equal_toIsEEsEE10hipError_tPvRmT2_T3_T4_T5_mT6_T7_P12ihipStream_tbENKUlT_T0_E_clISt17integral_constantIbLb0EESZ_EEDaSU_SV_EUlSU_E_NS1_11comp_targetILNS1_3genE8ELNS1_11target_archE1030ELNS1_3gpuE2ELNS1_3repE0EEENS1_30default_config_static_selectorELNS0_4arch9wavefront6targetE1EEEvT1_
; %bb.0:
	.section	.rodata,"a",@progbits
	.p2align	6, 0x0
	.amdhsa_kernel _ZN7rocprim17ROCPRIM_400000_NS6detail17trampoline_kernelINS0_14default_configENS1_27scan_by_key_config_selectorIssEEZZNS1_16scan_by_key_implILNS1_25lookback_scan_determinismE0ELb1ES3_N6thrust23THRUST_200600_302600_NS6detail15normal_iteratorINS9_10device_ptrIsEEEESE_SE_sNS9_10multipliesIsEENS9_8equal_toIsEEsEE10hipError_tPvRmT2_T3_T4_T5_mT6_T7_P12ihipStream_tbENKUlT_T0_E_clISt17integral_constantIbLb0EESZ_EEDaSU_SV_EUlSU_E_NS1_11comp_targetILNS1_3genE8ELNS1_11target_archE1030ELNS1_3gpuE2ELNS1_3repE0EEENS1_30default_config_static_selectorELNS0_4arch9wavefront6targetE1EEEvT1_
		.amdhsa_group_segment_fixed_size 0
		.amdhsa_private_segment_fixed_size 0
		.amdhsa_kernarg_size 112
		.amdhsa_user_sgpr_count 2
		.amdhsa_user_sgpr_dispatch_ptr 0
		.amdhsa_user_sgpr_queue_ptr 0
		.amdhsa_user_sgpr_kernarg_segment_ptr 1
		.amdhsa_user_sgpr_dispatch_id 0
		.amdhsa_user_sgpr_kernarg_preload_length 0
		.amdhsa_user_sgpr_kernarg_preload_offset 0
		.amdhsa_user_sgpr_private_segment_size 0
		.amdhsa_uses_dynamic_stack 0
		.amdhsa_enable_private_segment 0
		.amdhsa_system_sgpr_workgroup_id_x 1
		.amdhsa_system_sgpr_workgroup_id_y 0
		.amdhsa_system_sgpr_workgroup_id_z 0
		.amdhsa_system_sgpr_workgroup_info 0
		.amdhsa_system_vgpr_workitem_id 0
		.amdhsa_next_free_vgpr 1
		.amdhsa_next_free_sgpr 0
		.amdhsa_accum_offset 4
		.amdhsa_reserve_vcc 0
		.amdhsa_float_round_mode_32 0
		.amdhsa_float_round_mode_16_64 0
		.amdhsa_float_denorm_mode_32 3
		.amdhsa_float_denorm_mode_16_64 3
		.amdhsa_dx10_clamp 1
		.amdhsa_ieee_mode 1
		.amdhsa_fp16_overflow 0
		.amdhsa_tg_split 0
		.amdhsa_exception_fp_ieee_invalid_op 0
		.amdhsa_exception_fp_denorm_src 0
		.amdhsa_exception_fp_ieee_div_zero 0
		.amdhsa_exception_fp_ieee_overflow 0
		.amdhsa_exception_fp_ieee_underflow 0
		.amdhsa_exception_fp_ieee_inexact 0
		.amdhsa_exception_int_div_zero 0
	.end_amdhsa_kernel
	.section	.text._ZN7rocprim17ROCPRIM_400000_NS6detail17trampoline_kernelINS0_14default_configENS1_27scan_by_key_config_selectorIssEEZZNS1_16scan_by_key_implILNS1_25lookback_scan_determinismE0ELb1ES3_N6thrust23THRUST_200600_302600_NS6detail15normal_iteratorINS9_10device_ptrIsEEEESE_SE_sNS9_10multipliesIsEENS9_8equal_toIsEEsEE10hipError_tPvRmT2_T3_T4_T5_mT6_T7_P12ihipStream_tbENKUlT_T0_E_clISt17integral_constantIbLb0EESZ_EEDaSU_SV_EUlSU_E_NS1_11comp_targetILNS1_3genE8ELNS1_11target_archE1030ELNS1_3gpuE2ELNS1_3repE0EEENS1_30default_config_static_selectorELNS0_4arch9wavefront6targetE1EEEvT1_,"axG",@progbits,_ZN7rocprim17ROCPRIM_400000_NS6detail17trampoline_kernelINS0_14default_configENS1_27scan_by_key_config_selectorIssEEZZNS1_16scan_by_key_implILNS1_25lookback_scan_determinismE0ELb1ES3_N6thrust23THRUST_200600_302600_NS6detail15normal_iteratorINS9_10device_ptrIsEEEESE_SE_sNS9_10multipliesIsEENS9_8equal_toIsEEsEE10hipError_tPvRmT2_T3_T4_T5_mT6_T7_P12ihipStream_tbENKUlT_T0_E_clISt17integral_constantIbLb0EESZ_EEDaSU_SV_EUlSU_E_NS1_11comp_targetILNS1_3genE8ELNS1_11target_archE1030ELNS1_3gpuE2ELNS1_3repE0EEENS1_30default_config_static_selectorELNS0_4arch9wavefront6targetE1EEEvT1_,comdat
.Lfunc_end613:
	.size	_ZN7rocprim17ROCPRIM_400000_NS6detail17trampoline_kernelINS0_14default_configENS1_27scan_by_key_config_selectorIssEEZZNS1_16scan_by_key_implILNS1_25lookback_scan_determinismE0ELb1ES3_N6thrust23THRUST_200600_302600_NS6detail15normal_iteratorINS9_10device_ptrIsEEEESE_SE_sNS9_10multipliesIsEENS9_8equal_toIsEEsEE10hipError_tPvRmT2_T3_T4_T5_mT6_T7_P12ihipStream_tbENKUlT_T0_E_clISt17integral_constantIbLb0EESZ_EEDaSU_SV_EUlSU_E_NS1_11comp_targetILNS1_3genE8ELNS1_11target_archE1030ELNS1_3gpuE2ELNS1_3repE0EEENS1_30default_config_static_selectorELNS0_4arch9wavefront6targetE1EEEvT1_, .Lfunc_end613-_ZN7rocprim17ROCPRIM_400000_NS6detail17trampoline_kernelINS0_14default_configENS1_27scan_by_key_config_selectorIssEEZZNS1_16scan_by_key_implILNS1_25lookback_scan_determinismE0ELb1ES3_N6thrust23THRUST_200600_302600_NS6detail15normal_iteratorINS9_10device_ptrIsEEEESE_SE_sNS9_10multipliesIsEENS9_8equal_toIsEEsEE10hipError_tPvRmT2_T3_T4_T5_mT6_T7_P12ihipStream_tbENKUlT_T0_E_clISt17integral_constantIbLb0EESZ_EEDaSU_SV_EUlSU_E_NS1_11comp_targetILNS1_3genE8ELNS1_11target_archE1030ELNS1_3gpuE2ELNS1_3repE0EEENS1_30default_config_static_selectorELNS0_4arch9wavefront6targetE1EEEvT1_
                                        ; -- End function
	.section	.AMDGPU.csdata,"",@progbits
; Kernel info:
; codeLenInByte = 0
; NumSgprs: 6
; NumVgprs: 0
; NumAgprs: 0
; TotalNumVgprs: 0
; ScratchSize: 0
; MemoryBound: 0
; FloatMode: 240
; IeeeMode: 1
; LDSByteSize: 0 bytes/workgroup (compile time only)
; SGPRBlocks: 0
; VGPRBlocks: 0
; NumSGPRsForWavesPerEU: 6
; NumVGPRsForWavesPerEU: 1
; AccumOffset: 4
; Occupancy: 8
; WaveLimiterHint : 0
; COMPUTE_PGM_RSRC2:SCRATCH_EN: 0
; COMPUTE_PGM_RSRC2:USER_SGPR: 2
; COMPUTE_PGM_RSRC2:TRAP_HANDLER: 0
; COMPUTE_PGM_RSRC2:TGID_X_EN: 1
; COMPUTE_PGM_RSRC2:TGID_Y_EN: 0
; COMPUTE_PGM_RSRC2:TGID_Z_EN: 0
; COMPUTE_PGM_RSRC2:TIDIG_COMP_CNT: 0
; COMPUTE_PGM_RSRC3_GFX90A:ACCUM_OFFSET: 0
; COMPUTE_PGM_RSRC3_GFX90A:TG_SPLIT: 0
	.section	.text._ZN7rocprim17ROCPRIM_400000_NS6detail17trampoline_kernelINS0_14default_configENS1_27scan_by_key_config_selectorIssEEZZNS1_16scan_by_key_implILNS1_25lookback_scan_determinismE0ELb1ES3_N6thrust23THRUST_200600_302600_NS6detail15normal_iteratorINS9_10device_ptrIsEEEESE_SE_sNS9_10multipliesIsEENS9_8equal_toIsEEsEE10hipError_tPvRmT2_T3_T4_T5_mT6_T7_P12ihipStream_tbENKUlT_T0_E_clISt17integral_constantIbLb1EESZ_EEDaSU_SV_EUlSU_E_NS1_11comp_targetILNS1_3genE0ELNS1_11target_archE4294967295ELNS1_3gpuE0ELNS1_3repE0EEENS1_30default_config_static_selectorELNS0_4arch9wavefront6targetE1EEEvT1_,"axG",@progbits,_ZN7rocprim17ROCPRIM_400000_NS6detail17trampoline_kernelINS0_14default_configENS1_27scan_by_key_config_selectorIssEEZZNS1_16scan_by_key_implILNS1_25lookback_scan_determinismE0ELb1ES3_N6thrust23THRUST_200600_302600_NS6detail15normal_iteratorINS9_10device_ptrIsEEEESE_SE_sNS9_10multipliesIsEENS9_8equal_toIsEEsEE10hipError_tPvRmT2_T3_T4_T5_mT6_T7_P12ihipStream_tbENKUlT_T0_E_clISt17integral_constantIbLb1EESZ_EEDaSU_SV_EUlSU_E_NS1_11comp_targetILNS1_3genE0ELNS1_11target_archE4294967295ELNS1_3gpuE0ELNS1_3repE0EEENS1_30default_config_static_selectorELNS0_4arch9wavefront6targetE1EEEvT1_,comdat
	.protected	_ZN7rocprim17ROCPRIM_400000_NS6detail17trampoline_kernelINS0_14default_configENS1_27scan_by_key_config_selectorIssEEZZNS1_16scan_by_key_implILNS1_25lookback_scan_determinismE0ELb1ES3_N6thrust23THRUST_200600_302600_NS6detail15normal_iteratorINS9_10device_ptrIsEEEESE_SE_sNS9_10multipliesIsEENS9_8equal_toIsEEsEE10hipError_tPvRmT2_T3_T4_T5_mT6_T7_P12ihipStream_tbENKUlT_T0_E_clISt17integral_constantIbLb1EESZ_EEDaSU_SV_EUlSU_E_NS1_11comp_targetILNS1_3genE0ELNS1_11target_archE4294967295ELNS1_3gpuE0ELNS1_3repE0EEENS1_30default_config_static_selectorELNS0_4arch9wavefront6targetE1EEEvT1_ ; -- Begin function _ZN7rocprim17ROCPRIM_400000_NS6detail17trampoline_kernelINS0_14default_configENS1_27scan_by_key_config_selectorIssEEZZNS1_16scan_by_key_implILNS1_25lookback_scan_determinismE0ELb1ES3_N6thrust23THRUST_200600_302600_NS6detail15normal_iteratorINS9_10device_ptrIsEEEESE_SE_sNS9_10multipliesIsEENS9_8equal_toIsEEsEE10hipError_tPvRmT2_T3_T4_T5_mT6_T7_P12ihipStream_tbENKUlT_T0_E_clISt17integral_constantIbLb1EESZ_EEDaSU_SV_EUlSU_E_NS1_11comp_targetILNS1_3genE0ELNS1_11target_archE4294967295ELNS1_3gpuE0ELNS1_3repE0EEENS1_30default_config_static_selectorELNS0_4arch9wavefront6targetE1EEEvT1_
	.globl	_ZN7rocprim17ROCPRIM_400000_NS6detail17trampoline_kernelINS0_14default_configENS1_27scan_by_key_config_selectorIssEEZZNS1_16scan_by_key_implILNS1_25lookback_scan_determinismE0ELb1ES3_N6thrust23THRUST_200600_302600_NS6detail15normal_iteratorINS9_10device_ptrIsEEEESE_SE_sNS9_10multipliesIsEENS9_8equal_toIsEEsEE10hipError_tPvRmT2_T3_T4_T5_mT6_T7_P12ihipStream_tbENKUlT_T0_E_clISt17integral_constantIbLb1EESZ_EEDaSU_SV_EUlSU_E_NS1_11comp_targetILNS1_3genE0ELNS1_11target_archE4294967295ELNS1_3gpuE0ELNS1_3repE0EEENS1_30default_config_static_selectorELNS0_4arch9wavefront6targetE1EEEvT1_
	.p2align	8
	.type	_ZN7rocprim17ROCPRIM_400000_NS6detail17trampoline_kernelINS0_14default_configENS1_27scan_by_key_config_selectorIssEEZZNS1_16scan_by_key_implILNS1_25lookback_scan_determinismE0ELb1ES3_N6thrust23THRUST_200600_302600_NS6detail15normal_iteratorINS9_10device_ptrIsEEEESE_SE_sNS9_10multipliesIsEENS9_8equal_toIsEEsEE10hipError_tPvRmT2_T3_T4_T5_mT6_T7_P12ihipStream_tbENKUlT_T0_E_clISt17integral_constantIbLb1EESZ_EEDaSU_SV_EUlSU_E_NS1_11comp_targetILNS1_3genE0ELNS1_11target_archE4294967295ELNS1_3gpuE0ELNS1_3repE0EEENS1_30default_config_static_selectorELNS0_4arch9wavefront6targetE1EEEvT1_,@function
_ZN7rocprim17ROCPRIM_400000_NS6detail17trampoline_kernelINS0_14default_configENS1_27scan_by_key_config_selectorIssEEZZNS1_16scan_by_key_implILNS1_25lookback_scan_determinismE0ELb1ES3_N6thrust23THRUST_200600_302600_NS6detail15normal_iteratorINS9_10device_ptrIsEEEESE_SE_sNS9_10multipliesIsEENS9_8equal_toIsEEsEE10hipError_tPvRmT2_T3_T4_T5_mT6_T7_P12ihipStream_tbENKUlT_T0_E_clISt17integral_constantIbLb1EESZ_EEDaSU_SV_EUlSU_E_NS1_11comp_targetILNS1_3genE0ELNS1_11target_archE4294967295ELNS1_3gpuE0ELNS1_3repE0EEENS1_30default_config_static_selectorELNS0_4arch9wavefront6targetE1EEEvT1_: ; @_ZN7rocprim17ROCPRIM_400000_NS6detail17trampoline_kernelINS0_14default_configENS1_27scan_by_key_config_selectorIssEEZZNS1_16scan_by_key_implILNS1_25lookback_scan_determinismE0ELb1ES3_N6thrust23THRUST_200600_302600_NS6detail15normal_iteratorINS9_10device_ptrIsEEEESE_SE_sNS9_10multipliesIsEENS9_8equal_toIsEEsEE10hipError_tPvRmT2_T3_T4_T5_mT6_T7_P12ihipStream_tbENKUlT_T0_E_clISt17integral_constantIbLb1EESZ_EEDaSU_SV_EUlSU_E_NS1_11comp_targetILNS1_3genE0ELNS1_11target_archE4294967295ELNS1_3gpuE0ELNS1_3repE0EEENS1_30default_config_static_selectorELNS0_4arch9wavefront6targetE1EEEvT1_
; %bb.0:
	.section	.rodata,"a",@progbits
	.p2align	6, 0x0
	.amdhsa_kernel _ZN7rocprim17ROCPRIM_400000_NS6detail17trampoline_kernelINS0_14default_configENS1_27scan_by_key_config_selectorIssEEZZNS1_16scan_by_key_implILNS1_25lookback_scan_determinismE0ELb1ES3_N6thrust23THRUST_200600_302600_NS6detail15normal_iteratorINS9_10device_ptrIsEEEESE_SE_sNS9_10multipliesIsEENS9_8equal_toIsEEsEE10hipError_tPvRmT2_T3_T4_T5_mT6_T7_P12ihipStream_tbENKUlT_T0_E_clISt17integral_constantIbLb1EESZ_EEDaSU_SV_EUlSU_E_NS1_11comp_targetILNS1_3genE0ELNS1_11target_archE4294967295ELNS1_3gpuE0ELNS1_3repE0EEENS1_30default_config_static_selectorELNS0_4arch9wavefront6targetE1EEEvT1_
		.amdhsa_group_segment_fixed_size 0
		.amdhsa_private_segment_fixed_size 0
		.amdhsa_kernarg_size 112
		.amdhsa_user_sgpr_count 2
		.amdhsa_user_sgpr_dispatch_ptr 0
		.amdhsa_user_sgpr_queue_ptr 0
		.amdhsa_user_sgpr_kernarg_segment_ptr 1
		.amdhsa_user_sgpr_dispatch_id 0
		.amdhsa_user_sgpr_kernarg_preload_length 0
		.amdhsa_user_sgpr_kernarg_preload_offset 0
		.amdhsa_user_sgpr_private_segment_size 0
		.amdhsa_uses_dynamic_stack 0
		.amdhsa_enable_private_segment 0
		.amdhsa_system_sgpr_workgroup_id_x 1
		.amdhsa_system_sgpr_workgroup_id_y 0
		.amdhsa_system_sgpr_workgroup_id_z 0
		.amdhsa_system_sgpr_workgroup_info 0
		.amdhsa_system_vgpr_workitem_id 0
		.amdhsa_next_free_vgpr 1
		.amdhsa_next_free_sgpr 0
		.amdhsa_accum_offset 4
		.amdhsa_reserve_vcc 0
		.amdhsa_float_round_mode_32 0
		.amdhsa_float_round_mode_16_64 0
		.amdhsa_float_denorm_mode_32 3
		.amdhsa_float_denorm_mode_16_64 3
		.amdhsa_dx10_clamp 1
		.amdhsa_ieee_mode 1
		.amdhsa_fp16_overflow 0
		.amdhsa_tg_split 0
		.amdhsa_exception_fp_ieee_invalid_op 0
		.amdhsa_exception_fp_denorm_src 0
		.amdhsa_exception_fp_ieee_div_zero 0
		.amdhsa_exception_fp_ieee_overflow 0
		.amdhsa_exception_fp_ieee_underflow 0
		.amdhsa_exception_fp_ieee_inexact 0
		.amdhsa_exception_int_div_zero 0
	.end_amdhsa_kernel
	.section	.text._ZN7rocprim17ROCPRIM_400000_NS6detail17trampoline_kernelINS0_14default_configENS1_27scan_by_key_config_selectorIssEEZZNS1_16scan_by_key_implILNS1_25lookback_scan_determinismE0ELb1ES3_N6thrust23THRUST_200600_302600_NS6detail15normal_iteratorINS9_10device_ptrIsEEEESE_SE_sNS9_10multipliesIsEENS9_8equal_toIsEEsEE10hipError_tPvRmT2_T3_T4_T5_mT6_T7_P12ihipStream_tbENKUlT_T0_E_clISt17integral_constantIbLb1EESZ_EEDaSU_SV_EUlSU_E_NS1_11comp_targetILNS1_3genE0ELNS1_11target_archE4294967295ELNS1_3gpuE0ELNS1_3repE0EEENS1_30default_config_static_selectorELNS0_4arch9wavefront6targetE1EEEvT1_,"axG",@progbits,_ZN7rocprim17ROCPRIM_400000_NS6detail17trampoline_kernelINS0_14default_configENS1_27scan_by_key_config_selectorIssEEZZNS1_16scan_by_key_implILNS1_25lookback_scan_determinismE0ELb1ES3_N6thrust23THRUST_200600_302600_NS6detail15normal_iteratorINS9_10device_ptrIsEEEESE_SE_sNS9_10multipliesIsEENS9_8equal_toIsEEsEE10hipError_tPvRmT2_T3_T4_T5_mT6_T7_P12ihipStream_tbENKUlT_T0_E_clISt17integral_constantIbLb1EESZ_EEDaSU_SV_EUlSU_E_NS1_11comp_targetILNS1_3genE0ELNS1_11target_archE4294967295ELNS1_3gpuE0ELNS1_3repE0EEENS1_30default_config_static_selectorELNS0_4arch9wavefront6targetE1EEEvT1_,comdat
.Lfunc_end614:
	.size	_ZN7rocprim17ROCPRIM_400000_NS6detail17trampoline_kernelINS0_14default_configENS1_27scan_by_key_config_selectorIssEEZZNS1_16scan_by_key_implILNS1_25lookback_scan_determinismE0ELb1ES3_N6thrust23THRUST_200600_302600_NS6detail15normal_iteratorINS9_10device_ptrIsEEEESE_SE_sNS9_10multipliesIsEENS9_8equal_toIsEEsEE10hipError_tPvRmT2_T3_T4_T5_mT6_T7_P12ihipStream_tbENKUlT_T0_E_clISt17integral_constantIbLb1EESZ_EEDaSU_SV_EUlSU_E_NS1_11comp_targetILNS1_3genE0ELNS1_11target_archE4294967295ELNS1_3gpuE0ELNS1_3repE0EEENS1_30default_config_static_selectorELNS0_4arch9wavefront6targetE1EEEvT1_, .Lfunc_end614-_ZN7rocprim17ROCPRIM_400000_NS6detail17trampoline_kernelINS0_14default_configENS1_27scan_by_key_config_selectorIssEEZZNS1_16scan_by_key_implILNS1_25lookback_scan_determinismE0ELb1ES3_N6thrust23THRUST_200600_302600_NS6detail15normal_iteratorINS9_10device_ptrIsEEEESE_SE_sNS9_10multipliesIsEENS9_8equal_toIsEEsEE10hipError_tPvRmT2_T3_T4_T5_mT6_T7_P12ihipStream_tbENKUlT_T0_E_clISt17integral_constantIbLb1EESZ_EEDaSU_SV_EUlSU_E_NS1_11comp_targetILNS1_3genE0ELNS1_11target_archE4294967295ELNS1_3gpuE0ELNS1_3repE0EEENS1_30default_config_static_selectorELNS0_4arch9wavefront6targetE1EEEvT1_
                                        ; -- End function
	.section	.AMDGPU.csdata,"",@progbits
; Kernel info:
; codeLenInByte = 0
; NumSgprs: 6
; NumVgprs: 0
; NumAgprs: 0
; TotalNumVgprs: 0
; ScratchSize: 0
; MemoryBound: 0
; FloatMode: 240
; IeeeMode: 1
; LDSByteSize: 0 bytes/workgroup (compile time only)
; SGPRBlocks: 0
; VGPRBlocks: 0
; NumSGPRsForWavesPerEU: 6
; NumVGPRsForWavesPerEU: 1
; AccumOffset: 4
; Occupancy: 8
; WaveLimiterHint : 0
; COMPUTE_PGM_RSRC2:SCRATCH_EN: 0
; COMPUTE_PGM_RSRC2:USER_SGPR: 2
; COMPUTE_PGM_RSRC2:TRAP_HANDLER: 0
; COMPUTE_PGM_RSRC2:TGID_X_EN: 1
; COMPUTE_PGM_RSRC2:TGID_Y_EN: 0
; COMPUTE_PGM_RSRC2:TGID_Z_EN: 0
; COMPUTE_PGM_RSRC2:TIDIG_COMP_CNT: 0
; COMPUTE_PGM_RSRC3_GFX90A:ACCUM_OFFSET: 0
; COMPUTE_PGM_RSRC3_GFX90A:TG_SPLIT: 0
	.section	.text._ZN7rocprim17ROCPRIM_400000_NS6detail17trampoline_kernelINS0_14default_configENS1_27scan_by_key_config_selectorIssEEZZNS1_16scan_by_key_implILNS1_25lookback_scan_determinismE0ELb1ES3_N6thrust23THRUST_200600_302600_NS6detail15normal_iteratorINS9_10device_ptrIsEEEESE_SE_sNS9_10multipliesIsEENS9_8equal_toIsEEsEE10hipError_tPvRmT2_T3_T4_T5_mT6_T7_P12ihipStream_tbENKUlT_T0_E_clISt17integral_constantIbLb1EESZ_EEDaSU_SV_EUlSU_E_NS1_11comp_targetILNS1_3genE10ELNS1_11target_archE1201ELNS1_3gpuE5ELNS1_3repE0EEENS1_30default_config_static_selectorELNS0_4arch9wavefront6targetE1EEEvT1_,"axG",@progbits,_ZN7rocprim17ROCPRIM_400000_NS6detail17trampoline_kernelINS0_14default_configENS1_27scan_by_key_config_selectorIssEEZZNS1_16scan_by_key_implILNS1_25lookback_scan_determinismE0ELb1ES3_N6thrust23THRUST_200600_302600_NS6detail15normal_iteratorINS9_10device_ptrIsEEEESE_SE_sNS9_10multipliesIsEENS9_8equal_toIsEEsEE10hipError_tPvRmT2_T3_T4_T5_mT6_T7_P12ihipStream_tbENKUlT_T0_E_clISt17integral_constantIbLb1EESZ_EEDaSU_SV_EUlSU_E_NS1_11comp_targetILNS1_3genE10ELNS1_11target_archE1201ELNS1_3gpuE5ELNS1_3repE0EEENS1_30default_config_static_selectorELNS0_4arch9wavefront6targetE1EEEvT1_,comdat
	.protected	_ZN7rocprim17ROCPRIM_400000_NS6detail17trampoline_kernelINS0_14default_configENS1_27scan_by_key_config_selectorIssEEZZNS1_16scan_by_key_implILNS1_25lookback_scan_determinismE0ELb1ES3_N6thrust23THRUST_200600_302600_NS6detail15normal_iteratorINS9_10device_ptrIsEEEESE_SE_sNS9_10multipliesIsEENS9_8equal_toIsEEsEE10hipError_tPvRmT2_T3_T4_T5_mT6_T7_P12ihipStream_tbENKUlT_T0_E_clISt17integral_constantIbLb1EESZ_EEDaSU_SV_EUlSU_E_NS1_11comp_targetILNS1_3genE10ELNS1_11target_archE1201ELNS1_3gpuE5ELNS1_3repE0EEENS1_30default_config_static_selectorELNS0_4arch9wavefront6targetE1EEEvT1_ ; -- Begin function _ZN7rocprim17ROCPRIM_400000_NS6detail17trampoline_kernelINS0_14default_configENS1_27scan_by_key_config_selectorIssEEZZNS1_16scan_by_key_implILNS1_25lookback_scan_determinismE0ELb1ES3_N6thrust23THRUST_200600_302600_NS6detail15normal_iteratorINS9_10device_ptrIsEEEESE_SE_sNS9_10multipliesIsEENS9_8equal_toIsEEsEE10hipError_tPvRmT2_T3_T4_T5_mT6_T7_P12ihipStream_tbENKUlT_T0_E_clISt17integral_constantIbLb1EESZ_EEDaSU_SV_EUlSU_E_NS1_11comp_targetILNS1_3genE10ELNS1_11target_archE1201ELNS1_3gpuE5ELNS1_3repE0EEENS1_30default_config_static_selectorELNS0_4arch9wavefront6targetE1EEEvT1_
	.globl	_ZN7rocprim17ROCPRIM_400000_NS6detail17trampoline_kernelINS0_14default_configENS1_27scan_by_key_config_selectorIssEEZZNS1_16scan_by_key_implILNS1_25lookback_scan_determinismE0ELb1ES3_N6thrust23THRUST_200600_302600_NS6detail15normal_iteratorINS9_10device_ptrIsEEEESE_SE_sNS9_10multipliesIsEENS9_8equal_toIsEEsEE10hipError_tPvRmT2_T3_T4_T5_mT6_T7_P12ihipStream_tbENKUlT_T0_E_clISt17integral_constantIbLb1EESZ_EEDaSU_SV_EUlSU_E_NS1_11comp_targetILNS1_3genE10ELNS1_11target_archE1201ELNS1_3gpuE5ELNS1_3repE0EEENS1_30default_config_static_selectorELNS0_4arch9wavefront6targetE1EEEvT1_
	.p2align	8
	.type	_ZN7rocprim17ROCPRIM_400000_NS6detail17trampoline_kernelINS0_14default_configENS1_27scan_by_key_config_selectorIssEEZZNS1_16scan_by_key_implILNS1_25lookback_scan_determinismE0ELb1ES3_N6thrust23THRUST_200600_302600_NS6detail15normal_iteratorINS9_10device_ptrIsEEEESE_SE_sNS9_10multipliesIsEENS9_8equal_toIsEEsEE10hipError_tPvRmT2_T3_T4_T5_mT6_T7_P12ihipStream_tbENKUlT_T0_E_clISt17integral_constantIbLb1EESZ_EEDaSU_SV_EUlSU_E_NS1_11comp_targetILNS1_3genE10ELNS1_11target_archE1201ELNS1_3gpuE5ELNS1_3repE0EEENS1_30default_config_static_selectorELNS0_4arch9wavefront6targetE1EEEvT1_,@function
_ZN7rocprim17ROCPRIM_400000_NS6detail17trampoline_kernelINS0_14default_configENS1_27scan_by_key_config_selectorIssEEZZNS1_16scan_by_key_implILNS1_25lookback_scan_determinismE0ELb1ES3_N6thrust23THRUST_200600_302600_NS6detail15normal_iteratorINS9_10device_ptrIsEEEESE_SE_sNS9_10multipliesIsEENS9_8equal_toIsEEsEE10hipError_tPvRmT2_T3_T4_T5_mT6_T7_P12ihipStream_tbENKUlT_T0_E_clISt17integral_constantIbLb1EESZ_EEDaSU_SV_EUlSU_E_NS1_11comp_targetILNS1_3genE10ELNS1_11target_archE1201ELNS1_3gpuE5ELNS1_3repE0EEENS1_30default_config_static_selectorELNS0_4arch9wavefront6targetE1EEEvT1_: ; @_ZN7rocprim17ROCPRIM_400000_NS6detail17trampoline_kernelINS0_14default_configENS1_27scan_by_key_config_selectorIssEEZZNS1_16scan_by_key_implILNS1_25lookback_scan_determinismE0ELb1ES3_N6thrust23THRUST_200600_302600_NS6detail15normal_iteratorINS9_10device_ptrIsEEEESE_SE_sNS9_10multipliesIsEENS9_8equal_toIsEEsEE10hipError_tPvRmT2_T3_T4_T5_mT6_T7_P12ihipStream_tbENKUlT_T0_E_clISt17integral_constantIbLb1EESZ_EEDaSU_SV_EUlSU_E_NS1_11comp_targetILNS1_3genE10ELNS1_11target_archE1201ELNS1_3gpuE5ELNS1_3repE0EEENS1_30default_config_static_selectorELNS0_4arch9wavefront6targetE1EEEvT1_
; %bb.0:
	.section	.rodata,"a",@progbits
	.p2align	6, 0x0
	.amdhsa_kernel _ZN7rocprim17ROCPRIM_400000_NS6detail17trampoline_kernelINS0_14default_configENS1_27scan_by_key_config_selectorIssEEZZNS1_16scan_by_key_implILNS1_25lookback_scan_determinismE0ELb1ES3_N6thrust23THRUST_200600_302600_NS6detail15normal_iteratorINS9_10device_ptrIsEEEESE_SE_sNS9_10multipliesIsEENS9_8equal_toIsEEsEE10hipError_tPvRmT2_T3_T4_T5_mT6_T7_P12ihipStream_tbENKUlT_T0_E_clISt17integral_constantIbLb1EESZ_EEDaSU_SV_EUlSU_E_NS1_11comp_targetILNS1_3genE10ELNS1_11target_archE1201ELNS1_3gpuE5ELNS1_3repE0EEENS1_30default_config_static_selectorELNS0_4arch9wavefront6targetE1EEEvT1_
		.amdhsa_group_segment_fixed_size 0
		.amdhsa_private_segment_fixed_size 0
		.amdhsa_kernarg_size 112
		.amdhsa_user_sgpr_count 2
		.amdhsa_user_sgpr_dispatch_ptr 0
		.amdhsa_user_sgpr_queue_ptr 0
		.amdhsa_user_sgpr_kernarg_segment_ptr 1
		.amdhsa_user_sgpr_dispatch_id 0
		.amdhsa_user_sgpr_kernarg_preload_length 0
		.amdhsa_user_sgpr_kernarg_preload_offset 0
		.amdhsa_user_sgpr_private_segment_size 0
		.amdhsa_uses_dynamic_stack 0
		.amdhsa_enable_private_segment 0
		.amdhsa_system_sgpr_workgroup_id_x 1
		.amdhsa_system_sgpr_workgroup_id_y 0
		.amdhsa_system_sgpr_workgroup_id_z 0
		.amdhsa_system_sgpr_workgroup_info 0
		.amdhsa_system_vgpr_workitem_id 0
		.amdhsa_next_free_vgpr 1
		.amdhsa_next_free_sgpr 0
		.amdhsa_accum_offset 4
		.amdhsa_reserve_vcc 0
		.amdhsa_float_round_mode_32 0
		.amdhsa_float_round_mode_16_64 0
		.amdhsa_float_denorm_mode_32 3
		.amdhsa_float_denorm_mode_16_64 3
		.amdhsa_dx10_clamp 1
		.amdhsa_ieee_mode 1
		.amdhsa_fp16_overflow 0
		.amdhsa_tg_split 0
		.amdhsa_exception_fp_ieee_invalid_op 0
		.amdhsa_exception_fp_denorm_src 0
		.amdhsa_exception_fp_ieee_div_zero 0
		.amdhsa_exception_fp_ieee_overflow 0
		.amdhsa_exception_fp_ieee_underflow 0
		.amdhsa_exception_fp_ieee_inexact 0
		.amdhsa_exception_int_div_zero 0
	.end_amdhsa_kernel
	.section	.text._ZN7rocprim17ROCPRIM_400000_NS6detail17trampoline_kernelINS0_14default_configENS1_27scan_by_key_config_selectorIssEEZZNS1_16scan_by_key_implILNS1_25lookback_scan_determinismE0ELb1ES3_N6thrust23THRUST_200600_302600_NS6detail15normal_iteratorINS9_10device_ptrIsEEEESE_SE_sNS9_10multipliesIsEENS9_8equal_toIsEEsEE10hipError_tPvRmT2_T3_T4_T5_mT6_T7_P12ihipStream_tbENKUlT_T0_E_clISt17integral_constantIbLb1EESZ_EEDaSU_SV_EUlSU_E_NS1_11comp_targetILNS1_3genE10ELNS1_11target_archE1201ELNS1_3gpuE5ELNS1_3repE0EEENS1_30default_config_static_selectorELNS0_4arch9wavefront6targetE1EEEvT1_,"axG",@progbits,_ZN7rocprim17ROCPRIM_400000_NS6detail17trampoline_kernelINS0_14default_configENS1_27scan_by_key_config_selectorIssEEZZNS1_16scan_by_key_implILNS1_25lookback_scan_determinismE0ELb1ES3_N6thrust23THRUST_200600_302600_NS6detail15normal_iteratorINS9_10device_ptrIsEEEESE_SE_sNS9_10multipliesIsEENS9_8equal_toIsEEsEE10hipError_tPvRmT2_T3_T4_T5_mT6_T7_P12ihipStream_tbENKUlT_T0_E_clISt17integral_constantIbLb1EESZ_EEDaSU_SV_EUlSU_E_NS1_11comp_targetILNS1_3genE10ELNS1_11target_archE1201ELNS1_3gpuE5ELNS1_3repE0EEENS1_30default_config_static_selectorELNS0_4arch9wavefront6targetE1EEEvT1_,comdat
.Lfunc_end615:
	.size	_ZN7rocprim17ROCPRIM_400000_NS6detail17trampoline_kernelINS0_14default_configENS1_27scan_by_key_config_selectorIssEEZZNS1_16scan_by_key_implILNS1_25lookback_scan_determinismE0ELb1ES3_N6thrust23THRUST_200600_302600_NS6detail15normal_iteratorINS9_10device_ptrIsEEEESE_SE_sNS9_10multipliesIsEENS9_8equal_toIsEEsEE10hipError_tPvRmT2_T3_T4_T5_mT6_T7_P12ihipStream_tbENKUlT_T0_E_clISt17integral_constantIbLb1EESZ_EEDaSU_SV_EUlSU_E_NS1_11comp_targetILNS1_3genE10ELNS1_11target_archE1201ELNS1_3gpuE5ELNS1_3repE0EEENS1_30default_config_static_selectorELNS0_4arch9wavefront6targetE1EEEvT1_, .Lfunc_end615-_ZN7rocprim17ROCPRIM_400000_NS6detail17trampoline_kernelINS0_14default_configENS1_27scan_by_key_config_selectorIssEEZZNS1_16scan_by_key_implILNS1_25lookback_scan_determinismE0ELb1ES3_N6thrust23THRUST_200600_302600_NS6detail15normal_iteratorINS9_10device_ptrIsEEEESE_SE_sNS9_10multipliesIsEENS9_8equal_toIsEEsEE10hipError_tPvRmT2_T3_T4_T5_mT6_T7_P12ihipStream_tbENKUlT_T0_E_clISt17integral_constantIbLb1EESZ_EEDaSU_SV_EUlSU_E_NS1_11comp_targetILNS1_3genE10ELNS1_11target_archE1201ELNS1_3gpuE5ELNS1_3repE0EEENS1_30default_config_static_selectorELNS0_4arch9wavefront6targetE1EEEvT1_
                                        ; -- End function
	.section	.AMDGPU.csdata,"",@progbits
; Kernel info:
; codeLenInByte = 0
; NumSgprs: 6
; NumVgprs: 0
; NumAgprs: 0
; TotalNumVgprs: 0
; ScratchSize: 0
; MemoryBound: 0
; FloatMode: 240
; IeeeMode: 1
; LDSByteSize: 0 bytes/workgroup (compile time only)
; SGPRBlocks: 0
; VGPRBlocks: 0
; NumSGPRsForWavesPerEU: 6
; NumVGPRsForWavesPerEU: 1
; AccumOffset: 4
; Occupancy: 8
; WaveLimiterHint : 0
; COMPUTE_PGM_RSRC2:SCRATCH_EN: 0
; COMPUTE_PGM_RSRC2:USER_SGPR: 2
; COMPUTE_PGM_RSRC2:TRAP_HANDLER: 0
; COMPUTE_PGM_RSRC2:TGID_X_EN: 1
; COMPUTE_PGM_RSRC2:TGID_Y_EN: 0
; COMPUTE_PGM_RSRC2:TGID_Z_EN: 0
; COMPUTE_PGM_RSRC2:TIDIG_COMP_CNT: 0
; COMPUTE_PGM_RSRC3_GFX90A:ACCUM_OFFSET: 0
; COMPUTE_PGM_RSRC3_GFX90A:TG_SPLIT: 0
	.section	.text._ZN7rocprim17ROCPRIM_400000_NS6detail17trampoline_kernelINS0_14default_configENS1_27scan_by_key_config_selectorIssEEZZNS1_16scan_by_key_implILNS1_25lookback_scan_determinismE0ELb1ES3_N6thrust23THRUST_200600_302600_NS6detail15normal_iteratorINS9_10device_ptrIsEEEESE_SE_sNS9_10multipliesIsEENS9_8equal_toIsEEsEE10hipError_tPvRmT2_T3_T4_T5_mT6_T7_P12ihipStream_tbENKUlT_T0_E_clISt17integral_constantIbLb1EESZ_EEDaSU_SV_EUlSU_E_NS1_11comp_targetILNS1_3genE5ELNS1_11target_archE942ELNS1_3gpuE9ELNS1_3repE0EEENS1_30default_config_static_selectorELNS0_4arch9wavefront6targetE1EEEvT1_,"axG",@progbits,_ZN7rocprim17ROCPRIM_400000_NS6detail17trampoline_kernelINS0_14default_configENS1_27scan_by_key_config_selectorIssEEZZNS1_16scan_by_key_implILNS1_25lookback_scan_determinismE0ELb1ES3_N6thrust23THRUST_200600_302600_NS6detail15normal_iteratorINS9_10device_ptrIsEEEESE_SE_sNS9_10multipliesIsEENS9_8equal_toIsEEsEE10hipError_tPvRmT2_T3_T4_T5_mT6_T7_P12ihipStream_tbENKUlT_T0_E_clISt17integral_constantIbLb1EESZ_EEDaSU_SV_EUlSU_E_NS1_11comp_targetILNS1_3genE5ELNS1_11target_archE942ELNS1_3gpuE9ELNS1_3repE0EEENS1_30default_config_static_selectorELNS0_4arch9wavefront6targetE1EEEvT1_,comdat
	.protected	_ZN7rocprim17ROCPRIM_400000_NS6detail17trampoline_kernelINS0_14default_configENS1_27scan_by_key_config_selectorIssEEZZNS1_16scan_by_key_implILNS1_25lookback_scan_determinismE0ELb1ES3_N6thrust23THRUST_200600_302600_NS6detail15normal_iteratorINS9_10device_ptrIsEEEESE_SE_sNS9_10multipliesIsEENS9_8equal_toIsEEsEE10hipError_tPvRmT2_T3_T4_T5_mT6_T7_P12ihipStream_tbENKUlT_T0_E_clISt17integral_constantIbLb1EESZ_EEDaSU_SV_EUlSU_E_NS1_11comp_targetILNS1_3genE5ELNS1_11target_archE942ELNS1_3gpuE9ELNS1_3repE0EEENS1_30default_config_static_selectorELNS0_4arch9wavefront6targetE1EEEvT1_ ; -- Begin function _ZN7rocprim17ROCPRIM_400000_NS6detail17trampoline_kernelINS0_14default_configENS1_27scan_by_key_config_selectorIssEEZZNS1_16scan_by_key_implILNS1_25lookback_scan_determinismE0ELb1ES3_N6thrust23THRUST_200600_302600_NS6detail15normal_iteratorINS9_10device_ptrIsEEEESE_SE_sNS9_10multipliesIsEENS9_8equal_toIsEEsEE10hipError_tPvRmT2_T3_T4_T5_mT6_T7_P12ihipStream_tbENKUlT_T0_E_clISt17integral_constantIbLb1EESZ_EEDaSU_SV_EUlSU_E_NS1_11comp_targetILNS1_3genE5ELNS1_11target_archE942ELNS1_3gpuE9ELNS1_3repE0EEENS1_30default_config_static_selectorELNS0_4arch9wavefront6targetE1EEEvT1_
	.globl	_ZN7rocprim17ROCPRIM_400000_NS6detail17trampoline_kernelINS0_14default_configENS1_27scan_by_key_config_selectorIssEEZZNS1_16scan_by_key_implILNS1_25lookback_scan_determinismE0ELb1ES3_N6thrust23THRUST_200600_302600_NS6detail15normal_iteratorINS9_10device_ptrIsEEEESE_SE_sNS9_10multipliesIsEENS9_8equal_toIsEEsEE10hipError_tPvRmT2_T3_T4_T5_mT6_T7_P12ihipStream_tbENKUlT_T0_E_clISt17integral_constantIbLb1EESZ_EEDaSU_SV_EUlSU_E_NS1_11comp_targetILNS1_3genE5ELNS1_11target_archE942ELNS1_3gpuE9ELNS1_3repE0EEENS1_30default_config_static_selectorELNS0_4arch9wavefront6targetE1EEEvT1_
	.p2align	8
	.type	_ZN7rocprim17ROCPRIM_400000_NS6detail17trampoline_kernelINS0_14default_configENS1_27scan_by_key_config_selectorIssEEZZNS1_16scan_by_key_implILNS1_25lookback_scan_determinismE0ELb1ES3_N6thrust23THRUST_200600_302600_NS6detail15normal_iteratorINS9_10device_ptrIsEEEESE_SE_sNS9_10multipliesIsEENS9_8equal_toIsEEsEE10hipError_tPvRmT2_T3_T4_T5_mT6_T7_P12ihipStream_tbENKUlT_T0_E_clISt17integral_constantIbLb1EESZ_EEDaSU_SV_EUlSU_E_NS1_11comp_targetILNS1_3genE5ELNS1_11target_archE942ELNS1_3gpuE9ELNS1_3repE0EEENS1_30default_config_static_selectorELNS0_4arch9wavefront6targetE1EEEvT1_,@function
_ZN7rocprim17ROCPRIM_400000_NS6detail17trampoline_kernelINS0_14default_configENS1_27scan_by_key_config_selectorIssEEZZNS1_16scan_by_key_implILNS1_25lookback_scan_determinismE0ELb1ES3_N6thrust23THRUST_200600_302600_NS6detail15normal_iteratorINS9_10device_ptrIsEEEESE_SE_sNS9_10multipliesIsEENS9_8equal_toIsEEsEE10hipError_tPvRmT2_T3_T4_T5_mT6_T7_P12ihipStream_tbENKUlT_T0_E_clISt17integral_constantIbLb1EESZ_EEDaSU_SV_EUlSU_E_NS1_11comp_targetILNS1_3genE5ELNS1_11target_archE942ELNS1_3gpuE9ELNS1_3repE0EEENS1_30default_config_static_selectorELNS0_4arch9wavefront6targetE1EEEvT1_: ; @_ZN7rocprim17ROCPRIM_400000_NS6detail17trampoline_kernelINS0_14default_configENS1_27scan_by_key_config_selectorIssEEZZNS1_16scan_by_key_implILNS1_25lookback_scan_determinismE0ELb1ES3_N6thrust23THRUST_200600_302600_NS6detail15normal_iteratorINS9_10device_ptrIsEEEESE_SE_sNS9_10multipliesIsEENS9_8equal_toIsEEsEE10hipError_tPvRmT2_T3_T4_T5_mT6_T7_P12ihipStream_tbENKUlT_T0_E_clISt17integral_constantIbLb1EESZ_EEDaSU_SV_EUlSU_E_NS1_11comp_targetILNS1_3genE5ELNS1_11target_archE942ELNS1_3gpuE9ELNS1_3repE0EEENS1_30default_config_static_selectorELNS0_4arch9wavefront6targetE1EEEvT1_
; %bb.0:
	s_load_dword s74, s[0:1], 0x20
	s_load_dwordx4 s[64:67], s[0:1], 0x28
	s_load_dwordx2 s[72:73], s[0:1], 0x38
	v_cmp_eq_u32_e64 s[52:53], 0, v0
	s_and_saveexec_b64 s[2:3], s[52:53]
	s_cbranch_execz .LBB616_4
; %bb.1:
	s_mov_b64 s[6:7], exec
	v_mbcnt_lo_u32_b32 v1, s6, 0
	v_mbcnt_hi_u32_b32 v1, s7, v1
	v_cmp_eq_u32_e32 vcc, 0, v1
                                        ; implicit-def: $vgpr2
	s_and_saveexec_b64 s[4:5], vcc
	s_cbranch_execz .LBB616_3
; %bb.2:
	s_load_dwordx2 s[8:9], s[0:1], 0x68
	s_bcnt1_i32_b64 s6, s[6:7]
	v_mov_b32_e32 v2, 0
	v_mov_b32_e32 v3, s6
	s_waitcnt lgkmcnt(0)
	global_atomic_add v2, v2, v3, s[8:9] sc0
.LBB616_3:
	s_or_b64 exec, exec, s[4:5]
	s_waitcnt vmcnt(0)
	v_readfirstlane_b32 s4, v2
	v_mov_b32_e32 v2, 0
	s_nop 0
	v_add_u32_e32 v1, s4, v1
	ds_write_b32 v2, v1
.LBB616_4:
	s_or_b64 exec, exec, s[2:3]
	s_load_dwordx8 s[56:63], s[0:1], 0x0
	s_load_dword s2, s[0:1], 0x40
	s_load_dwordx4 s[68:71], s[0:1], 0x48
	v_mov_b32_e32 v3, 0
	s_waitcnt lgkmcnt(0)
	s_lshl_b64 s[54:55], s[58:59], 1
	s_barrier
	ds_read_b32 v2, v3
	s_add_u32 s0, s56, s54
	s_addc_u32 s1, s57, s55
	s_add_u32 s4, s60, s54
	s_mul_i32 s3, s73, s2
	s_mul_hi_u32 s6, s72, s2
	s_addc_u32 s5, s61, s55
	s_add_i32 s3, s6, s3
	s_movk_i32 s6, 0x1800
	s_waitcnt lgkmcnt(0)
	v_mul_lo_u32 v4, v2, s6
	v_mov_b32_e32 v5, v3
	v_lshlrev_b64 v[26:27], 1, v[4:5]
	s_mul_i32 s2, s72, s2
	v_lshl_add_u64 v[18:19], s[4:5], 0, v[26:27]
	s_add_u32 s4, s68, -1
	v_readfirstlane_b32 s67, v2
	v_lshl_add_u64 v[2:3], s[2:3], 0, v[2:3]
	s_addc_u32 s5, s69, -1
	v_cmp_le_u64_e64 s[2:3], s[4:5], v[2:3]
	v_lshl_add_u64 v[20:21], s[0:1], 0, v[26:27]
	s_mov_b64 s[0:1], -1
	s_and_b64 vcc, exec, s[2:3]
	s_mul_i32 s33, s4, 0xffffe800
	s_barrier
	s_barrier
	s_cbranch_vccz .LBB616_130
; %bb.5:
	flat_load_ushort v2, v[20:21]
	s_add_i32 s69, s33, s66
	v_cmp_gt_u32_e32 vcc, s69, v0
	s_waitcnt vmcnt(0) lgkmcnt(0)
	v_mov_b32_e32 v3, v2
	s_and_saveexec_b64 s[0:1], vcc
	s_cbranch_execz .LBB616_7
; %bb.6:
	v_lshlrev_b32_e32 v4, 1, v0
	v_mov_b32_e32 v5, 0
	v_lshl_add_u64 v[4:5], v[20:21], 0, v[4:5]
	flat_load_ushort v3, v[4:5]
.LBB616_7:
	s_or_b64 exec, exec, s[0:1]
	v_or_b32_e32 v1, 0x100, v0
	v_cmp_gt_u32_e64 s[4:5], s69, v1
	v_mov_b32_e32 v4, v2
	s_and_saveexec_b64 s[0:1], s[4:5]
	s_cbranch_execz .LBB616_9
; %bb.8:
	v_lshlrev_b32_e32 v4, 1, v0
	v_mov_b32_e32 v5, 0
	v_lshl_add_u64 v[4:5], v[20:21], 0, v[4:5]
	flat_load_ushort v4, v[4:5] offset:512
.LBB616_9:
	s_or_b64 exec, exec, s[0:1]
	v_or_b32_e32 v1, 0x200, v0
	v_cmp_gt_u32_e64 s[6:7], s69, v1
	v_mov_b32_e32 v5, v2
	s_and_saveexec_b64 s[0:1], s[6:7]
	s_cbranch_execz .LBB616_11
; %bb.10:
	v_lshlrev_b32_e32 v6, 1, v0
	v_mov_b32_e32 v7, 0
	v_lshl_add_u64 v[6:7], v[20:21], 0, v[6:7]
	flat_load_ushort v5, v[6:7] offset:1024
.LBB616_11:
	;; [unrolled: 12-line block ×7, first 2 shown]
	s_or_b64 exec, exec, s[0:1]
	v_or_b32_e32 v1, 0x800, v0
	v_cmp_gt_u32_e64 s[18:19], s69, v1
	v_mov_b32_e32 v11, v2
	s_and_saveexec_b64 s[0:1], s[18:19]
	s_cbranch_execz .LBB616_23
; %bb.22:
	v_lshlrev_b32_e32 v12, 1, v1
	v_mov_b32_e32 v13, 0
	v_lshl_add_u64 v[12:13], v[20:21], 0, v[12:13]
	flat_load_ushort v11, v[12:13]
.LBB616_23:
	s_or_b64 exec, exec, s[0:1]
	v_or_b32_e32 v16, 0x900, v0
	v_cmp_gt_u32_e64 s[20:21], s69, v16
	v_mov_b32_e32 v12, v2
	s_and_saveexec_b64 s[0:1], s[20:21]
	s_cbranch_execz .LBB616_25
; %bb.24:
	v_lshlrev_b32_e32 v12, 1, v16
	v_mov_b32_e32 v13, 0
	v_lshl_add_u64 v[12:13], v[20:21], 0, v[12:13]
	flat_load_ushort v12, v[12:13]
.LBB616_25:
	;; [unrolled: 12-line block ×15, first 2 shown]
	s_or_b64 exec, exec, s[0:1]
	v_or_b32_e32 v37, 0x1700, v0
	v_cmp_gt_u32_e64 s[50:51], s69, v37
	s_and_saveexec_b64 s[0:1], s[50:51]
	s_cbranch_execz .LBB616_53
; %bb.52:
	v_lshlrev_b32_e32 v48, 1, v37
	v_mov_b32_e32 v49, 0
	v_lshl_add_u64 v[48:49], v[20:21], 0, v[48:49]
	flat_load_ushort v2, v[48:49]
.LBB616_53:
	s_or_b64 exec, exec, s[0:1]
	v_lshlrev_b32_e32 v14, 1, v0
	s_waitcnt vmcnt(0) lgkmcnt(0)
	ds_write_b16 v14, v3
	ds_write_b16 v14, v4 offset:512
	ds_write_b16 v14, v5 offset:1024
	;; [unrolled: 1-line block ×23, first 2 shown]
	s_waitcnt lgkmcnt(0)
	s_barrier
	flat_load_ushort v28, v[20:21]
	v_mad_u32_u24 v48, v0, 46, v14
	ds_read_b128 v[10:13], v48
	ds_read_b128 v[6:9], v48 offset:16
	ds_read_b128 v[2:5], v48 offset:32
	s_movk_i32 s0, 0xffd2
	v_mad_i32_i24 v15, v0, s0, v48
	s_movk_i32 s0, 0xff
	v_cmp_ne_u32_e64 s[0:1], s0, v0
	s_waitcnt lgkmcnt(0)
	ds_write_b16 v15, v10 offset:12800
	s_waitcnt lgkmcnt(0)
	s_barrier
	s_and_saveexec_b64 s[56:57], s[0:1]
	s_cbranch_execz .LBB616_55
; %bb.54:
	s_waitcnt vmcnt(0)
	ds_read_u16 v28, v14 offset:12802
.LBB616_55:
	s_or_b64 exec, exec, s[56:57]
	v_mov_b32_e32 v15, 0
	s_waitcnt lgkmcnt(0)
	s_barrier
	s_waitcnt lgkmcnt(0)
                                        ; implicit-def: $vgpr38
	s_and_saveexec_b64 s[0:1], vcc
	s_cbranch_execz .LBB616_209
; %bb.56:
	v_lshl_add_u64 v[38:39], v[18:19], 0, v[14:15]
	flat_load_ushort v38, v[38:39]
	s_or_b64 exec, exec, s[0:1]
                                        ; implicit-def: $vgpr39
	s_and_saveexec_b64 s[0:1], s[4:5]
	s_cbranch_execnz .LBB616_210
.LBB616_57:
	s_or_b64 exec, exec, s[0:1]
                                        ; implicit-def: $vgpr40
	s_and_saveexec_b64 s[0:1], s[6:7]
	s_cbranch_execz .LBB616_211
.LBB616_58:
	v_mov_b32_e32 v15, 0
	v_lshl_add_u64 v[40:41], v[18:19], 0, v[14:15]
	flat_load_ushort v40, v[40:41] offset:1024
	s_or_b64 exec, exec, s[0:1]
                                        ; implicit-def: $vgpr41
	s_and_saveexec_b64 s[0:1], s[8:9]
	s_cbranch_execnz .LBB616_212
.LBB616_59:
	s_or_b64 exec, exec, s[0:1]
                                        ; implicit-def: $vgpr42
	s_and_saveexec_b64 s[0:1], s[10:11]
	s_cbranch_execz .LBB616_213
.LBB616_60:
	v_mov_b32_e32 v15, 0
	v_lshl_add_u64 v[42:43], v[18:19], 0, v[14:15]
	flat_load_ushort v42, v[42:43] offset:2048
	s_or_b64 exec, exec, s[0:1]
                                        ; implicit-def: $vgpr43
	s_and_saveexec_b64 s[0:1], s[12:13]
	s_cbranch_execnz .LBB616_214
.LBB616_61:
	s_or_b64 exec, exec, s[0:1]
                                        ; implicit-def: $vgpr44
	s_and_saveexec_b64 s[0:1], s[14:15]
	s_cbranch_execz .LBB616_215
.LBB616_62:
	v_mov_b32_e32 v15, 0
	v_lshl_add_u64 v[44:45], v[18:19], 0, v[14:15]
	flat_load_ushort v44, v[44:45] offset:3072
	s_or_b64 exec, exec, s[0:1]
                                        ; implicit-def: $vgpr15
	s_and_saveexec_b64 s[0:1], s[16:17]
	s_cbranch_execnz .LBB616_216
.LBB616_63:
	s_or_b64 exec, exec, s[0:1]
                                        ; implicit-def: $vgpr45
	s_and_saveexec_b64 s[0:1], s[18:19]
	s_cbranch_execz .LBB616_217
.LBB616_64:
	v_lshlrev_b32_e32 v46, 1, v1
	v_mov_b32_e32 v47, 0
	v_lshl_add_u64 v[46:47], v[18:19], 0, v[46:47]
	flat_load_ushort v45, v[46:47]
	s_or_b64 exec, exec, s[0:1]
                                        ; implicit-def: $vgpr1
	s_and_saveexec_b64 s[0:1], s[20:21]
	s_cbranch_execnz .LBB616_218
.LBB616_65:
	s_or_b64 exec, exec, s[0:1]
                                        ; implicit-def: $vgpr16
	s_and_saveexec_b64 s[0:1], s[22:23]
	s_cbranch_execz .LBB616_219
.LBB616_66:
	v_lshlrev_b32_e32 v16, 1, v17
	v_mov_b32_e32 v17, 0
	v_lshl_add_u64 v[16:17], v[18:19], 0, v[16:17]
	flat_load_ushort v16, v[16:17]
	s_or_b64 exec, exec, s[0:1]
                                        ; implicit-def: $vgpr17
	s_and_saveexec_b64 s[0:1], s[24:25]
	s_cbranch_execnz .LBB616_220
.LBB616_67:
	s_or_b64 exec, exec, s[0:1]
                                        ; implicit-def: $vgpr22
	s_and_saveexec_b64 s[0:1], s[26:27]
	s_cbranch_execz .LBB616_221
.LBB616_68:
	v_lshlrev_b32_e32 v22, 1, v23
	v_mov_b32_e32 v23, 0
	v_lshl_add_u64 v[22:23], v[18:19], 0, v[22:23]
	flat_load_ushort v22, v[22:23]
	s_or_b64 exec, exec, s[0:1]
                                        ; implicit-def: $vgpr23
	s_and_saveexec_b64 s[0:1], s[28:29]
	s_cbranch_execnz .LBB616_222
.LBB616_69:
	s_or_b64 exec, exec, s[0:1]
                                        ; implicit-def: $vgpr24
	s_and_saveexec_b64 s[0:1], s[30:31]
	s_cbranch_execz .LBB616_223
.LBB616_70:
	v_lshlrev_b32_e32 v24, 1, v25
	v_mov_b32_e32 v25, 0
	v_lshl_add_u64 v[24:25], v[18:19], 0, v[24:25]
	flat_load_ushort v24, v[24:25]
	s_or_b64 exec, exec, s[0:1]
                                        ; implicit-def: $vgpr25
	s_and_saveexec_b64 s[0:1], s[34:35]
	s_cbranch_execnz .LBB616_224
.LBB616_71:
	s_or_b64 exec, exec, s[0:1]
                                        ; implicit-def: $vgpr29
	s_and_saveexec_b64 s[0:1], s[36:37]
	s_cbranch_execz .LBB616_225
.LBB616_72:
	v_lshlrev_b32_e32 v46, 1, v30
	v_mov_b32_e32 v47, 0
	v_lshl_add_u64 v[46:47], v[18:19], 0, v[46:47]
	flat_load_ushort v29, v[46:47]
	s_or_b64 exec, exec, s[0:1]
                                        ; implicit-def: $vgpr30
	s_and_saveexec_b64 s[0:1], s[38:39]
	s_cbranch_execnz .LBB616_226
.LBB616_73:
	s_or_b64 exec, exec, s[0:1]
                                        ; implicit-def: $vgpr31
	s_and_saveexec_b64 s[0:1], s[40:41]
	s_cbranch_execz .LBB616_227
.LBB616_74:
	v_lshlrev_b32_e32 v46, 1, v32
	v_mov_b32_e32 v47, 0
	v_lshl_add_u64 v[46:47], v[18:19], 0, v[46:47]
	flat_load_ushort v31, v[46:47]
	s_or_b64 exec, exec, s[0:1]
                                        ; implicit-def: $vgpr32
	s_and_saveexec_b64 s[0:1], s[42:43]
	s_cbranch_execnz .LBB616_228
.LBB616_75:
	s_or_b64 exec, exec, s[0:1]
                                        ; implicit-def: $vgpr33
	s_and_saveexec_b64 s[0:1], s[44:45]
	s_cbranch_execz .LBB616_229
.LBB616_76:
	v_lshlrev_b32_e32 v46, 1, v34
	v_mov_b32_e32 v47, 0
	v_lshl_add_u64 v[46:47], v[18:19], 0, v[46:47]
	flat_load_ushort v33, v[46:47]
	s_or_b64 exec, exec, s[0:1]
                                        ; implicit-def: $vgpr34
	s_and_saveexec_b64 s[0:1], s[46:47]
	s_cbranch_execnz .LBB616_230
.LBB616_77:
	s_or_b64 exec, exec, s[0:1]
                                        ; implicit-def: $vgpr35
	s_and_saveexec_b64 s[0:1], s[48:49]
	s_cbranch_execz .LBB616_79
.LBB616_78:
	v_lshlrev_b32_e32 v46, 1, v36
	v_mov_b32_e32 v47, 0
	v_lshl_add_u64 v[46:47], v[18:19], 0, v[46:47]
	flat_load_ushort v35, v[46:47]
.LBB616_79:
	s_or_b64 exec, exec, s[0:1]
	v_mul_u32_u24_e32 v49, 24, v0
                                        ; implicit-def: $vgpr36
	s_and_saveexec_b64 s[0:1], s[50:51]
	s_cbranch_execz .LBB616_81
; %bb.80:
	v_lshlrev_b32_e32 v36, 1, v37
	v_mov_b32_e32 v37, 0
	v_lshl_add_u64 v[36:37], v[18:19], 0, v[36:37]
	flat_load_ushort v36, v[36:37]
.LBB616_81:
	s_or_b64 exec, exec, s[0:1]
	s_waitcnt vmcnt(0) lgkmcnt(0)
	ds_write_b16 v14, v38
	ds_write_b16 v14, v39 offset:512
	ds_write_b16 v14, v40 offset:1024
	;; [unrolled: 1-line block ×23, first 2 shown]
	v_cmp_gt_u32_e32 vcc, s69, v49
	s_mov_b64 s[0:1], 0
	s_mov_b32 s68, 0
	v_mov_b32_e32 v1, 0
	s_mov_b64 s[8:9], 0
	v_mov_b32_e32 v25, 0
	v_mov_b32_e32 v29, 0
	;; [unrolled: 1-line block ×22, first 2 shown]
	s_waitcnt lgkmcnt(0)
	s_barrier
	s_waitcnt lgkmcnt(0)
                                        ; implicit-def: $sgpr6_sgpr7
                                        ; implicit-def: $vgpr47
	s_and_saveexec_b64 s[4:5], vcc
	s_cbranch_execz .LBB616_129
; %bb.82:
	ds_read_u16 v1, v48
	v_mov_b32_e32 v15, s74
	v_cmp_eq_u16_sdwa vcc, v10, v10 src0_sel:DWORD src1_sel:WORD_1
	v_cmp_ne_u16_sdwa s[6:7], v10, v10 src0_sel:DWORD src1_sel:WORD_1
	v_or_b32_e32 v14, 1, v49
	s_waitcnt lgkmcnt(0)
	v_cndmask_b32_e32 v1, v15, v1, vcc
	v_and_b32_e32 v1, 0xffff, v1
	v_cndmask_b32_e64 v15, 0, 1, s[6:7]
	v_lshl_or_b32 v1, v15, 16, v1
	v_cmp_gt_u32_e32 vcc, s69, v14
	v_mov_b32_e32 v25, 0
	v_mov_b32_e32 v29, 0
	;; [unrolled: 1-line block ×22, first 2 shown]
                                        ; implicit-def: $sgpr10_sgpr11
                                        ; implicit-def: $vgpr47
	s_and_saveexec_b64 s[6:7], vcc
	s_cbranch_execz .LBB616_128
; %bb.83:
	ds_read_b128 v[14:17], v48 offset:2
	v_mov_b32_e32 v23, s74
	v_cmp_eq_u16_sdwa vcc, v10, v11 src0_sel:WORD_1 src1_sel:DWORD
	v_cmp_ne_u16_sdwa s[8:9], v10, v11 src0_sel:WORD_1 src1_sel:DWORD
	v_or_b32_e32 v22, 2, v49
	s_waitcnt lgkmcnt(0)
	v_cndmask_b32_e32 v23, v23, v14, vcc
	v_and_b32_e32 v23, 0xffff, v23
	v_cndmask_b32_e64 v10, 0, 1, s[8:9]
	v_lshl_or_b32 v25, v10, 16, v23
	v_cmp_gt_u32_e32 vcc, s69, v22
	s_mov_b64 s[12:13], 0
	v_mov_b32_e32 v29, 0
	v_mov_b32_e32 v30, 0
	;; [unrolled: 1-line block ×21, first 2 shown]
                                        ; implicit-def: $sgpr10_sgpr11
                                        ; implicit-def: $vgpr47
	s_and_saveexec_b64 s[8:9], vcc
	s_cbranch_execz .LBB616_127
; %bb.84:
	v_lshrrev_b32_e32 v10, 16, v14
	v_mov_b32_e32 v22, s74
	v_cmp_eq_u16_sdwa vcc, v11, v11 src0_sel:DWORD src1_sel:WORD_1
	v_cmp_ne_u16_sdwa s[10:11], v11, v11 src0_sel:DWORD src1_sel:WORD_1
	v_or_b32_e32 v14, 3, v49
	v_cndmask_b32_e32 v10, v22, v10, vcc
	v_and_b32_e32 v10, 0xffff, v10
	v_cndmask_b32_e64 v22, 0, 1, s[10:11]
	v_lshl_or_b32 v29, v22, 16, v10
	v_cmp_gt_u32_e32 vcc, s69, v14
	v_mov_b32_e32 v30, 0
	v_mov_b32_e32 v31, 0
	;; [unrolled: 1-line block ×20, first 2 shown]
                                        ; implicit-def: $sgpr14_sgpr15
                                        ; implicit-def: $vgpr47
	s_and_saveexec_b64 s[10:11], vcc
	s_cbranch_execz .LBB616_126
; %bb.85:
	v_mov_b32_e32 v14, s74
	v_cmp_eq_u16_sdwa vcc, v11, v12 src0_sel:WORD_1 src1_sel:DWORD
	v_cmp_ne_u16_sdwa s[12:13], v11, v12 src0_sel:WORD_1 src1_sel:DWORD
	v_or_b32_e32 v10, 4, v49
	v_cndmask_b32_e32 v14, v14, v15, vcc
	v_and_b32_e32 v14, 0xffff, v14
	v_cndmask_b32_e64 v11, 0, 1, s[12:13]
	v_lshl_or_b32 v30, v11, 16, v14
	v_cmp_gt_u32_e32 vcc, s69, v10
	s_mov_b64 s[16:17], 0
	v_mov_b32_e32 v31, 0
	v_mov_b32_e32 v32, 0
	;; [unrolled: 1-line block ×19, first 2 shown]
                                        ; implicit-def: $sgpr14_sgpr15
                                        ; implicit-def: $vgpr47
	s_and_saveexec_b64 s[12:13], vcc
	s_cbranch_execz .LBB616_125
; %bb.86:
	v_lshrrev_b32_e32 v10, 16, v15
	v_mov_b32_e32 v14, s74
	v_cmp_eq_u16_sdwa vcc, v12, v12 src0_sel:DWORD src1_sel:WORD_1
	v_cmp_ne_u16_sdwa s[14:15], v12, v12 src0_sel:DWORD src1_sel:WORD_1
	v_or_b32_e32 v11, 5, v49
	v_cndmask_b32_e32 v10, v14, v10, vcc
	v_and_b32_e32 v10, 0xffff, v10
	v_cndmask_b32_e64 v14, 0, 1, s[14:15]
	v_lshl_or_b32 v31, v14, 16, v10
	v_cmp_gt_u32_e32 vcc, s69, v11
	v_mov_b32_e32 v32, 0
	v_mov_b32_e32 v33, 0
	;; [unrolled: 1-line block ×18, first 2 shown]
                                        ; implicit-def: $sgpr18_sgpr19
                                        ; implicit-def: $vgpr47
	s_and_saveexec_b64 s[14:15], vcc
	s_cbranch_execz .LBB616_124
; %bb.87:
	v_mov_b32_e32 v11, s74
	v_cmp_eq_u16_sdwa vcc, v12, v13 src0_sel:WORD_1 src1_sel:DWORD
	v_cmp_ne_u16_sdwa s[16:17], v12, v13 src0_sel:WORD_1 src1_sel:DWORD
	v_or_b32_e32 v10, 6, v49
	v_cndmask_b32_e32 v11, v11, v16, vcc
	v_and_b32_e32 v11, 0xffff, v11
	v_cndmask_b32_e64 v12, 0, 1, s[16:17]
	v_lshl_or_b32 v32, v12, 16, v11
	v_cmp_gt_u32_e32 vcc, s69, v10
	s_mov_b64 s[20:21], 0
	v_mov_b32_e32 v33, 0
	v_mov_b32_e32 v34, 0
	;; [unrolled: 1-line block ×17, first 2 shown]
                                        ; implicit-def: $sgpr18_sgpr19
                                        ; implicit-def: $vgpr47
	s_and_saveexec_b64 s[16:17], vcc
	s_cbranch_execz .LBB616_123
; %bb.88:
	v_lshrrev_b32_e32 v10, 16, v16
	v_mov_b32_e32 v12, s74
	v_cmp_eq_u16_sdwa vcc, v13, v13 src0_sel:DWORD src1_sel:WORD_1
	v_cmp_ne_u16_sdwa s[18:19], v13, v13 src0_sel:DWORD src1_sel:WORD_1
	v_or_b32_e32 v11, 7, v49
	v_cndmask_b32_e32 v10, v12, v10, vcc
	v_and_b32_e32 v10, 0xffff, v10
	v_cndmask_b32_e64 v12, 0, 1, s[18:19]
	v_lshl_or_b32 v33, v12, 16, v10
	v_cmp_gt_u32_e32 vcc, s69, v11
	v_mov_b32_e32 v34, 0
	v_mov_b32_e32 v35, 0
	;; [unrolled: 1-line block ×16, first 2 shown]
                                        ; implicit-def: $sgpr22_sgpr23
                                        ; implicit-def: $vgpr47
	s_and_saveexec_b64 s[18:19], vcc
	s_cbranch_execz .LBB616_122
; %bb.89:
	v_mov_b32_e32 v11, s74
	v_cmp_eq_u16_sdwa vcc, v13, v6 src0_sel:WORD_1 src1_sel:DWORD
	v_cmp_ne_u16_sdwa s[20:21], v13, v6 src0_sel:WORD_1 src1_sel:DWORD
	v_add_u32_e32 v10, 8, v49
	v_cndmask_b32_e32 v11, v11, v17, vcc
	v_and_b32_e32 v11, 0xffff, v11
	v_cndmask_b32_e64 v12, 0, 1, s[20:21]
	v_lshl_or_b32 v34, v12, 16, v11
	v_cmp_gt_u32_e32 vcc, s69, v10
	s_mov_b64 s[24:25], 0
	v_mov_b32_e32 v35, 0
	v_mov_b32_e32 v36, 0
	;; [unrolled: 1-line block ×15, first 2 shown]
                                        ; implicit-def: $sgpr22_sgpr23
                                        ; implicit-def: $vgpr47
	s_and_saveexec_b64 s[20:21], vcc
	s_cbranch_execz .LBB616_121
; %bb.90:
	v_lshrrev_b32_e32 v10, 16, v17
	v_mov_b32_e32 v12, s74
	v_cmp_eq_u16_sdwa vcc, v6, v6 src0_sel:DWORD src1_sel:WORD_1
	v_cmp_ne_u16_sdwa s[22:23], v6, v6 src0_sel:DWORD src1_sel:WORD_1
	v_add_u32_e32 v11, 9, v49
	v_cndmask_b32_e32 v10, v12, v10, vcc
	v_and_b32_e32 v10, 0xffff, v10
	v_cndmask_b32_e64 v12, 0, 1, s[22:23]
	v_lshl_or_b32 v35, v12, 16, v10
	v_cmp_gt_u32_e32 vcc, s69, v11
	v_mov_b32_e32 v36, 0
	v_mov_b32_e32 v37, 0
	;; [unrolled: 1-line block ×14, first 2 shown]
                                        ; implicit-def: $sgpr26_sgpr27
                                        ; implicit-def: $vgpr47
	s_and_saveexec_b64 s[22:23], vcc
	s_cbranch_execz .LBB616_120
; %bb.91:
	ds_read_b128 v[10:13], v48 offset:18
	v_mov_b32_e32 v15, s74
	v_cmp_eq_u16_sdwa vcc, v6, v7 src0_sel:WORD_1 src1_sel:DWORD
	v_cmp_ne_u16_sdwa s[24:25], v6, v7 src0_sel:WORD_1 src1_sel:DWORD
	v_add_u32_e32 v14, 10, v49
	s_waitcnt lgkmcnt(0)
	v_cndmask_b32_e32 v15, v15, v10, vcc
	v_and_b32_e32 v15, 0xffff, v15
	v_cndmask_b32_e64 v6, 0, 1, s[24:25]
	v_lshl_or_b32 v36, v6, 16, v15
	v_cmp_gt_u32_e32 vcc, s69, v14
	s_mov_b64 s[28:29], 0
	v_mov_b32_e32 v37, 0
	v_mov_b32_e32 v38, 0
	;; [unrolled: 1-line block ×13, first 2 shown]
                                        ; implicit-def: $sgpr26_sgpr27
                                        ; implicit-def: $vgpr47
	s_and_saveexec_b64 s[24:25], vcc
	s_cbranch_execz .LBB616_119
; %bb.92:
	v_lshrrev_b32_e32 v6, 16, v10
	v_mov_b32_e32 v14, s74
	v_cmp_eq_u16_sdwa vcc, v7, v7 src0_sel:DWORD src1_sel:WORD_1
	v_cmp_ne_u16_sdwa s[26:27], v7, v7 src0_sel:DWORD src1_sel:WORD_1
	v_add_u32_e32 v10, 11, v49
	v_cndmask_b32_e32 v6, v14, v6, vcc
	v_and_b32_e32 v6, 0xffff, v6
	v_cndmask_b32_e64 v14, 0, 1, s[26:27]
	v_lshl_or_b32 v37, v14, 16, v6
	v_cmp_gt_u32_e32 vcc, s69, v10
	v_mov_b32_e32 v38, 0
	v_mov_b32_e32 v39, 0
	;; [unrolled: 1-line block ×12, first 2 shown]
                                        ; implicit-def: $sgpr30_sgpr31
                                        ; implicit-def: $vgpr47
	s_and_saveexec_b64 s[26:27], vcc
	s_cbranch_execz .LBB616_118
; %bb.93:
	v_mov_b32_e32 v10, s74
	v_cmp_eq_u16_sdwa vcc, v7, v8 src0_sel:WORD_1 src1_sel:DWORD
	v_cmp_ne_u16_sdwa s[28:29], v7, v8 src0_sel:WORD_1 src1_sel:DWORD
	v_add_u32_e32 v6, 12, v49
	v_cndmask_b32_e32 v10, v10, v11, vcc
	v_and_b32_e32 v10, 0xffff, v10
	v_cndmask_b32_e64 v7, 0, 1, s[28:29]
	v_lshl_or_b32 v38, v7, 16, v10
	v_cmp_gt_u32_e32 vcc, s69, v6
	s_mov_b64 s[34:35], 0
	v_mov_b32_e32 v39, 0
	v_mov_b32_e32 v40, 0
	;; [unrolled: 1-line block ×11, first 2 shown]
                                        ; implicit-def: $sgpr30_sgpr31
                                        ; implicit-def: $vgpr47
	s_and_saveexec_b64 s[28:29], vcc
	s_cbranch_execz .LBB616_117
; %bb.94:
	v_lshrrev_b32_e32 v6, 16, v11
	v_mov_b32_e32 v10, s74
	v_cmp_eq_u16_sdwa vcc, v8, v8 src0_sel:DWORD src1_sel:WORD_1
	v_cmp_ne_u16_sdwa s[30:31], v8, v8 src0_sel:DWORD src1_sel:WORD_1
	v_add_u32_e32 v7, 13, v49
	v_cndmask_b32_e32 v6, v10, v6, vcc
	v_and_b32_e32 v6, 0xffff, v6
	v_cndmask_b32_e64 v10, 0, 1, s[30:31]
	v_lshl_or_b32 v39, v10, 16, v6
	v_cmp_gt_u32_e32 vcc, s69, v7
	v_mov_b32_e32 v40, 0
	v_mov_b32_e32 v41, 0
	;; [unrolled: 1-line block ×10, first 2 shown]
                                        ; implicit-def: $sgpr36_sgpr37
                                        ; implicit-def: $vgpr47
	s_and_saveexec_b64 s[30:31], vcc
	s_cbranch_execz .LBB616_116
; %bb.95:
	v_mov_b32_e32 v7, s74
	v_cmp_eq_u16_sdwa vcc, v8, v9 src0_sel:WORD_1 src1_sel:DWORD
	v_cmp_ne_u16_sdwa s[34:35], v8, v9 src0_sel:WORD_1 src1_sel:DWORD
	v_add_u32_e32 v6, 14, v49
	v_cndmask_b32_e32 v7, v7, v12, vcc
	v_and_b32_e32 v7, 0xffff, v7
	v_cndmask_b32_e64 v8, 0, 1, s[34:35]
	v_lshl_or_b32 v40, v8, 16, v7
	v_cmp_gt_u32_e32 vcc, s69, v6
	s_mov_b64 s[38:39], 0
	v_mov_b32_e32 v41, 0
	v_mov_b32_e32 v42, 0
	;; [unrolled: 1-line block ×9, first 2 shown]
                                        ; implicit-def: $sgpr36_sgpr37
                                        ; implicit-def: $vgpr47
	s_and_saveexec_b64 s[34:35], vcc
	s_cbranch_execz .LBB616_115
; %bb.96:
	v_lshrrev_b32_e32 v6, 16, v12
	v_mov_b32_e32 v8, s74
	v_cmp_eq_u16_sdwa vcc, v9, v9 src0_sel:DWORD src1_sel:WORD_1
	v_cmp_ne_u16_sdwa s[36:37], v9, v9 src0_sel:DWORD src1_sel:WORD_1
	v_add_u32_e32 v7, 15, v49
	v_cndmask_b32_e32 v6, v8, v6, vcc
	v_and_b32_e32 v6, 0xffff, v6
	v_cndmask_b32_e64 v8, 0, 1, s[36:37]
	v_lshl_or_b32 v41, v8, 16, v6
	v_cmp_gt_u32_e32 vcc, s69, v7
	v_mov_b32_e32 v42, 0
	v_mov_b32_e32 v43, 0
	;; [unrolled: 1-line block ×8, first 2 shown]
                                        ; implicit-def: $sgpr40_sgpr41
                                        ; implicit-def: $vgpr47
	s_and_saveexec_b64 s[36:37], vcc
	s_cbranch_execz .LBB616_114
; %bb.97:
	v_mov_b32_e32 v7, s74
	v_cmp_eq_u16_sdwa vcc, v9, v2 src0_sel:WORD_1 src1_sel:DWORD
	v_cmp_ne_u16_sdwa s[38:39], v9, v2 src0_sel:WORD_1 src1_sel:DWORD
	v_add_u32_e32 v6, 16, v49
	v_cndmask_b32_e32 v7, v7, v13, vcc
	v_and_b32_e32 v7, 0xffff, v7
	v_cndmask_b32_e64 v8, 0, 1, s[38:39]
	v_lshl_or_b32 v42, v8, 16, v7
	v_cmp_gt_u32_e32 vcc, s69, v6
	s_mov_b64 s[42:43], 0
	v_mov_b32_e32 v43, 0
	v_mov_b32_e32 v22, 0
	v_mov_b32_e32 v44, 0
	v_mov_b32_e32 v23, 0
	v_mov_b32_e32 v45, 0
	v_mov_b32_e32 v24, 0
	v_mov_b32_e32 v46, 0
                                        ; implicit-def: $sgpr40_sgpr41
                                        ; implicit-def: $vgpr47
	s_and_saveexec_b64 s[38:39], vcc
	s_cbranch_execz .LBB616_113
; %bb.98:
	v_lshrrev_b32_e32 v6, 16, v13
	v_mov_b32_e32 v8, s74
	v_cmp_eq_u16_sdwa vcc, v2, v2 src0_sel:DWORD src1_sel:WORD_1
	v_cmp_ne_u16_sdwa s[40:41], v2, v2 src0_sel:DWORD src1_sel:WORD_1
	v_add_u32_e32 v7, 17, v49
	v_cndmask_b32_e32 v6, v8, v6, vcc
	v_and_b32_e32 v6, 0xffff, v6
	v_cndmask_b32_e64 v8, 0, 1, s[40:41]
	v_lshl_or_b32 v43, v8, 16, v6
	v_cmp_gt_u32_e32 vcc, s69, v7
	v_mov_b32_e32 v22, 0
	v_mov_b32_e32 v44, 0
	;; [unrolled: 1-line block ×6, first 2 shown]
                                        ; implicit-def: $sgpr44_sgpr45
                                        ; implicit-def: $vgpr47
	s_and_saveexec_b64 s[40:41], vcc
	s_cbranch_execz .LBB616_112
; %bb.99:
	ds_read_b96 v[6:8], v48 offset:34
	v_mov_b32_e32 v10, s74
	v_cmp_eq_u16_sdwa vcc, v2, v3 src0_sel:WORD_1 src1_sel:DWORD
	v_cmp_ne_u16_sdwa s[42:43], v2, v3 src0_sel:WORD_1 src1_sel:DWORD
	v_add_u32_e32 v9, 18, v49
	s_waitcnt lgkmcnt(0)
	v_cndmask_b32_e32 v10, v10, v6, vcc
	v_and_b32_e32 v10, 0xffff, v10
	v_cndmask_b32_e64 v2, 0, 1, s[42:43]
	v_lshl_or_b32 v22, v2, 16, v10
	v_cmp_gt_u32_e32 vcc, s69, v9
	s_mov_b64 s[46:47], 0
	v_mov_b32_e32 v44, 0
	v_mov_b32_e32 v23, 0
	;; [unrolled: 1-line block ×5, first 2 shown]
                                        ; implicit-def: $sgpr44_sgpr45
                                        ; implicit-def: $vgpr47
	s_and_saveexec_b64 s[42:43], vcc
	s_cbranch_execz .LBB616_111
; %bb.100:
	v_lshrrev_b32_e32 v2, 16, v6
	v_mov_b32_e32 v9, s74
	v_cmp_eq_u16_sdwa vcc, v3, v3 src0_sel:DWORD src1_sel:WORD_1
	v_cmp_ne_u16_sdwa s[44:45], v3, v3 src0_sel:DWORD src1_sel:WORD_1
	v_add_u32_e32 v6, 19, v49
	v_cndmask_b32_e32 v2, v9, v2, vcc
	v_and_b32_e32 v2, 0xffff, v2
	v_cndmask_b32_e64 v9, 0, 1, s[44:45]
	v_lshl_or_b32 v44, v9, 16, v2
	v_cmp_gt_u32_e32 vcc, s69, v6
	v_mov_b32_e32 v23, 0
	v_mov_b32_e32 v45, 0
	;; [unrolled: 1-line block ×4, first 2 shown]
                                        ; implicit-def: $sgpr48_sgpr49
                                        ; implicit-def: $vgpr47
	s_and_saveexec_b64 s[44:45], vcc
	s_cbranch_execz .LBB616_110
; %bb.101:
	v_mov_b32_e32 v6, s74
	v_cmp_eq_u16_sdwa vcc, v3, v4 src0_sel:WORD_1 src1_sel:DWORD
	v_cmp_ne_u16_sdwa s[46:47], v3, v4 src0_sel:WORD_1 src1_sel:DWORD
	v_add_u32_e32 v2, 20, v49
	v_cndmask_b32_e32 v6, v6, v7, vcc
	v_and_b32_e32 v6, 0xffff, v6
	v_cndmask_b32_e64 v3, 0, 1, s[46:47]
	v_lshl_or_b32 v23, v3, 16, v6
	v_cmp_gt_u32_e32 vcc, s69, v2
	s_mov_b64 s[50:51], 0
	v_mov_b32_e32 v45, 0
	v_mov_b32_e32 v24, 0
	;; [unrolled: 1-line block ×3, first 2 shown]
                                        ; implicit-def: $sgpr48_sgpr49
                                        ; implicit-def: $vgpr47
	s_and_saveexec_b64 s[46:47], vcc
	s_cbranch_execz .LBB616_109
; %bb.102:
	v_lshrrev_b32_e32 v2, 16, v7
	v_mov_b32_e32 v6, s74
	v_cmp_eq_u16_sdwa vcc, v4, v4 src0_sel:DWORD src1_sel:WORD_1
	v_cmp_ne_u16_sdwa s[48:49], v4, v4 src0_sel:DWORD src1_sel:WORD_1
	v_add_u32_e32 v3, 21, v49
	v_cndmask_b32_e32 v2, v6, v2, vcc
	v_and_b32_e32 v2, 0xffff, v2
	v_cndmask_b32_e64 v6, 0, 1, s[48:49]
	v_lshl_or_b32 v45, v6, 16, v2
	v_cmp_gt_u32_e32 vcc, s69, v3
	v_mov_b32_e32 v24, 0
	v_mov_b32_e32 v46, 0
                                        ; implicit-def: $sgpr56_sgpr57
                                        ; implicit-def: $vgpr47
	s_and_saveexec_b64 s[48:49], vcc
	s_cbranch_execz .LBB616_108
; %bb.103:
	v_mov_b32_e32 v3, s74
	v_cmp_eq_u16_sdwa vcc, v4, v5 src0_sel:WORD_1 src1_sel:DWORD
	v_cmp_ne_u16_sdwa s[50:51], v4, v5 src0_sel:WORD_1 src1_sel:DWORD
	v_add_u32_e32 v2, 22, v49
	v_cndmask_b32_e32 v3, v3, v8, vcc
	v_and_b32_e32 v3, 0xffff, v3
	v_cndmask_b32_e64 v4, 0, 1, s[50:51]
	v_lshl_or_b32 v24, v4, 16, v3
	v_cmp_gt_u32_e32 vcc, s69, v2
	s_mov_b64 s[58:59], 0
	v_mov_b32_e32 v46, 0
                                        ; implicit-def: $sgpr60_sgpr61
                                        ; implicit-def: $vgpr47
	s_and_saveexec_b64 s[50:51], vcc
	s_cbranch_execz .LBB616_107
; %bb.104:
	v_lshrrev_b32_e32 v2, 16, v8
	v_mov_b32_e32 v4, s74
	v_cmp_eq_u16_sdwa vcc, v5, v5 src0_sel:DWORD src1_sel:WORD_1
	v_cmp_ne_u16_sdwa s[56:57], v5, v5 src0_sel:DWORD src1_sel:WORD_1
	v_add_u32_e32 v3, 23, v49
	v_cndmask_b32_e32 v2, v4, v2, vcc
	v_and_b32_e32 v2, 0xffff, v2
	v_cndmask_b32_e64 v4, 0, 1, s[56:57]
	v_lshl_or_b32 v46, v4, 16, v2
	v_cmp_gt_u32_e32 vcc, s69, v3
	s_mov_b64 s[56:57], 0
                                        ; implicit-def: $sgpr58_sgpr59
                                        ; implicit-def: $vgpr47
	s_and_saveexec_b64 s[60:61], vcc
	s_xor_b64 s[60:61], exec, s[60:61]
	s_cbranch_execz .LBB616_106
; %bb.105:
	ds_read_u16 v2, v48 offset:46
	v_mov_b32_e32 v3, s74
	v_cmp_ne_u16_sdwa vcc, v5, v28 src0_sel:WORD_1 src1_sel:DWORD
	s_mov_b64 s[56:57], exec
	s_and_b64 s[58:59], vcc, exec
	s_waitcnt lgkmcnt(0)
	v_cndmask_b32_e32 v47, v2, v3, vcc
.LBB616_106:
	s_or_b64 exec, exec, s[60:61]
	s_and_b64 s[60:61], s[58:59], exec
	s_and_b64 s[58:59], s[56:57], exec
.LBB616_107:
	s_or_b64 exec, exec, s[50:51]
	s_and_b64 s[56:57], s[60:61], exec
	s_and_b64 s[50:51], s[58:59], exec
.LBB616_108:
	s_or_b64 exec, exec, s[48:49]
	s_and_b64 s[48:49], s[56:57], exec
	s_and_b64 s[50:51], s[50:51], exec
.LBB616_109:
	s_or_b64 exec, exec, s[46:47]
	s_and_b64 s[48:49], s[48:49], exec
	s_and_b64 s[46:47], s[50:51], exec
.LBB616_110:
	s_or_b64 exec, exec, s[44:45]
	s_and_b64 s[44:45], s[48:49], exec
	s_and_b64 s[46:47], s[46:47], exec
.LBB616_111:
	s_or_b64 exec, exec, s[42:43]
	s_and_b64 s[44:45], s[44:45], exec
	s_and_b64 s[42:43], s[46:47], exec
.LBB616_112:
	s_or_b64 exec, exec, s[40:41]
	s_and_b64 s[40:41], s[44:45], exec
	s_and_b64 s[42:43], s[42:43], exec
.LBB616_113:
	s_or_b64 exec, exec, s[38:39]
	s_and_b64 s[40:41], s[40:41], exec
	s_and_b64 s[38:39], s[42:43], exec
.LBB616_114:
	s_or_b64 exec, exec, s[36:37]
	s_and_b64 s[36:37], s[40:41], exec
	s_and_b64 s[38:39], s[38:39], exec
.LBB616_115:
	s_or_b64 exec, exec, s[34:35]
	s_and_b64 s[36:37], s[36:37], exec
	s_and_b64 s[34:35], s[38:39], exec
.LBB616_116:
	s_or_b64 exec, exec, s[30:31]
	s_and_b64 s[30:31], s[36:37], exec
	s_and_b64 s[34:35], s[34:35], exec
.LBB616_117:
	s_or_b64 exec, exec, s[28:29]
	s_and_b64 s[30:31], s[30:31], exec
	s_and_b64 s[28:29], s[34:35], exec
.LBB616_118:
	s_or_b64 exec, exec, s[26:27]
	s_and_b64 s[26:27], s[30:31], exec
	s_and_b64 s[28:29], s[28:29], exec
.LBB616_119:
	s_or_b64 exec, exec, s[24:25]
	s_and_b64 s[26:27], s[26:27], exec
	s_and_b64 s[24:25], s[28:29], exec
.LBB616_120:
	s_or_b64 exec, exec, s[22:23]
	s_and_b64 s[22:23], s[26:27], exec
	s_and_b64 s[24:25], s[24:25], exec
.LBB616_121:
	s_or_b64 exec, exec, s[20:21]
	s_and_b64 s[22:23], s[22:23], exec
	s_and_b64 s[20:21], s[24:25], exec
.LBB616_122:
	s_or_b64 exec, exec, s[18:19]
	s_and_b64 s[18:19], s[22:23], exec
	s_and_b64 s[20:21], s[20:21], exec
.LBB616_123:
	s_or_b64 exec, exec, s[16:17]
	s_and_b64 s[18:19], s[18:19], exec
	s_and_b64 s[16:17], s[20:21], exec
.LBB616_124:
	s_or_b64 exec, exec, s[14:15]
	s_and_b64 s[14:15], s[18:19], exec
	s_and_b64 s[16:17], s[16:17], exec
.LBB616_125:
	s_or_b64 exec, exec, s[12:13]
	s_and_b64 s[14:15], s[14:15], exec
	s_and_b64 s[12:13], s[16:17], exec
.LBB616_126:
	s_or_b64 exec, exec, s[10:11]
	s_and_b64 s[10:11], s[14:15], exec
	s_and_b64 s[12:13], s[12:13], exec
.LBB616_127:
	s_or_b64 exec, exec, s[8:9]
	s_and_b64 s[10:11], s[10:11], exec
	s_and_b64 s[8:9], s[12:13], exec
.LBB616_128:
	s_or_b64 exec, exec, s[6:7]
	s_and_b64 s[6:7], s[10:11], exec
	s_and_b64 s[8:9], s[8:9], exec
.LBB616_129:
	s_or_b64 exec, exec, s[4:5]
	s_and_b64 vcc, exec, s[0:1]
	v_lshlrev_b32_e32 v28, 1, v0
	s_cbranch_vccnz .LBB616_131
	s_branch .LBB616_136
.LBB616_130:
	s_mov_b64 s[8:9], 0
                                        ; implicit-def: $sgpr6_sgpr7
                                        ; implicit-def: $vgpr47
                                        ; implicit-def: $vgpr1
                                        ; implicit-def: $vgpr25
                                        ; implicit-def: $vgpr29
                                        ; implicit-def: $vgpr30
                                        ; implicit-def: $vgpr31
                                        ; implicit-def: $vgpr32
                                        ; implicit-def: $vgpr33
                                        ; implicit-def: $vgpr34
                                        ; implicit-def: $vgpr35
                                        ; implicit-def: $vgpr36
                                        ; implicit-def: $vgpr37
                                        ; implicit-def: $vgpr38
                                        ; implicit-def: $vgpr39
                                        ; implicit-def: $vgpr40
                                        ; implicit-def: $vgpr41
                                        ; implicit-def: $vgpr42
                                        ; implicit-def: $vgpr43
                                        ; implicit-def: $vgpr22
                                        ; implicit-def: $vgpr44
                                        ; implicit-def: $vgpr23
                                        ; implicit-def: $vgpr45
                                        ; implicit-def: $vgpr24
                                        ; implicit-def: $vgpr46
                                        ; implicit-def: $sgpr68
	s_and_b64 vcc, exec, s[0:1]
	v_lshlrev_b32_e32 v28, 1, v0
	s_cbranch_vccz .LBB616_136
.LBB616_131:
	v_mov_b32_e32 v29, 0
	v_lshl_add_u64 v[2:3], v[20:21], 0, v[28:29]
	v_add_co_u32_e32 v4, vcc, 0x1000, v2
	flat_load_ushort v1, v[2:3]
	flat_load_ushort v6, v[2:3] offset:512
	flat_load_ushort v7, v[2:3] offset:1024
	flat_load_ushort v8, v[2:3] offset:1536
	flat_load_ushort v9, v[2:3] offset:2048
	flat_load_ushort v10, v[2:3] offset:2560
	flat_load_ushort v11, v[2:3] offset:3072
	flat_load_ushort v12, v[2:3] offset:3584
	v_addc_co_u32_e32 v5, vcc, 0, v3, vcc
	v_add_co_u32_e32 v2, vcc, 0x2000, v2
	flat_load_ushort v13, v[4:5]
	flat_load_ushort v14, v[4:5] offset:512
	flat_load_ushort v15, v[4:5] offset:1024
	;; [unrolled: 1-line block ×7, first 2 shown]
	v_addc_co_u32_e32 v3, vcc, 0, v3, vcc
	flat_load_ushort v4, v[2:3]
	flat_load_ushort v5, v[2:3] offset:512
	flat_load_ushort v25, v[2:3] offset:1024
	;; [unrolled: 1-line block ×7, first 2 shown]
	v_add_co_u32_e32 v2, vcc, 0x3000, v20
	s_movk_i32 s0, 0xffd2
	s_nop 0
	v_addc_co_u32_e32 v3, vcc, 0, v21, vcc
	s_movk_i32 s5, 0x1000
	s_movk_i32 s4, 0x2000
	s_waitcnt vmcnt(0) lgkmcnt(0)
	ds_write_b16 v28, v1
	ds_write_b16 v28, v6 offset:512
	ds_write_b16 v28, v7 offset:1024
	;; [unrolled: 1-line block ×23, first 2 shown]
	s_waitcnt lgkmcnt(0)
	s_barrier
	flat_load_ushort v47, v[2:3]
	v_mad_u32_u24 v1, v0, 46, v28
	ds_read_b128 v[10:13], v1
	ds_read_b128 v[6:9], v1 offset:16
	ds_read_b128 v[2:5], v1 offset:32
	v_mad_i32_i24 v14, v0, s0, v1
	s_movk_i32 s0, 0xff
	v_cmp_ne_u32_e32 vcc, s0, v0
	s_waitcnt lgkmcnt(0)
	ds_write_b16 v14, v10 offset:12800
	s_waitcnt lgkmcnt(0)
	s_barrier
	s_and_saveexec_b64 s[0:1], vcc
	s_cbranch_execz .LBB616_133
; %bb.132:
	s_waitcnt vmcnt(0)
	ds_read_u16 v47, v28 offset:12802
.LBB616_133:
	s_or_b64 exec, exec, s[0:1]
	v_lshl_add_u64 v[14:15], v[18:19], 0, v[28:29]
	v_add_co_u32_e32 v16, vcc, s5, v14
	s_waitcnt lgkmcnt(0)
	s_nop 0
	v_addc_co_u32_e32 v17, vcc, 0, v15, vcc
	s_barrier
	flat_load_ushort v18, v[14:15]
	flat_load_ushort v19, v[14:15] offset:512
	flat_load_ushort v20, v[14:15] offset:1024
	;; [unrolled: 1-line block ×7, first 2 shown]
	v_add_co_u32_e32 v14, vcc, s4, v14
	flat_load_ushort v30, v[16:17]
	flat_load_ushort v31, v[16:17] offset:512
	flat_load_ushort v32, v[16:17] offset:1024
	;; [unrolled: 1-line block ×7, first 2 shown]
	v_addc_co_u32_e32 v15, vcc, 0, v15, vcc
	flat_load_ushort v16, v[14:15]
	flat_load_ushort v17, v[14:15] offset:512
	flat_load_ushort v38, v[14:15] offset:1024
	;; [unrolled: 1-line block ×7, first 2 shown]
	v_cmp_eq_u16_sdwa s[4:5], v10, v10 src0_sel:DWORD src1_sel:WORD_1
	s_waitcnt vmcnt(0) lgkmcnt(0)
	ds_write_b16 v28, v18
	ds_write_b16 v28, v19 offset:512
	ds_write_b16 v28, v20 offset:1024
	;; [unrolled: 1-line block ×23, first 2 shown]
	s_waitcnt lgkmcnt(0)
	s_barrier
	ds_read_b128 v[18:21], v1 offset:2
	ds_read_b128 v[14:17], v1 offset:18
	ds_read_b96 v[22:24], v1 offset:34
	ds_read_u16 v48, v1 offset:46
	v_mov_b32_e32 v25, 0x10000
	v_mov_b32_e32 v30, s74
	s_and_saveexec_b64 s[0:1], s[4:5]
	s_cbranch_execz .LBB616_135
; %bb.134:
	ds_read_u16 v30, v1
	v_mov_b32_e32 v25, v29
.LBB616_135:
	s_or_b64 exec, exec, s[0:1]
	v_mov_b32_e32 v49, s74
	v_cmp_eq_u16_sdwa vcc, v10, v11 src0_sel:WORD_1 src1_sel:DWORD
	s_waitcnt lgkmcnt(3)
	v_lshrrev_b32_e32 v29, 16, v18
	v_cmp_ne_u16_sdwa s[0:1], v10, v11 src0_sel:WORD_1 src1_sel:DWORD
	v_cndmask_b32_e32 v18, v49, v18, vcc
	v_and_b32_e32 v18, 0xffff, v18
	v_cndmask_b32_e64 v10, 0, 1, s[0:1]
	v_cmp_eq_u16_sdwa vcc, v11, v11 src0_sel:DWORD src1_sel:WORD_1
	s_waitcnt lgkmcnt(0)
	v_or_b32_sdwa v1, v25, v30 dst_sel:DWORD dst_unused:UNUSED_PAD src0_sel:DWORD src1_sel:WORD_0
	v_lshl_or_b32 v25, v10, 16, v18
	v_cndmask_b32_e32 v10, v49, v29, vcc
	v_cmp_ne_u16_sdwa s[0:1], v11, v11 src0_sel:DWORD src1_sel:WORD_1
	v_and_b32_e32 v10, 0xffff, v10
	v_cmp_eq_u16_sdwa vcc, v11, v12 src0_sel:WORD_1 src1_sel:DWORD
	v_cndmask_b32_e64 v18, 0, 1, s[0:1]
	v_lshl_or_b32 v29, v18, 16, v10
	v_cndmask_b32_e32 v10, v49, v19, vcc
	v_cmp_ne_u16_sdwa s[0:1], v11, v12 src0_sel:WORD_1 src1_sel:DWORD
	v_lshrrev_b32_e32 v31, 16, v19
	v_and_b32_e32 v10, 0xffff, v10
	v_cndmask_b32_e64 v11, 0, 1, s[0:1]
	v_cmp_eq_u16_sdwa vcc, v12, v12 src0_sel:DWORD src1_sel:WORD_1
	v_lshl_or_b32 v30, v11, 16, v10
	v_cmp_ne_u16_sdwa s[0:1], v12, v12 src0_sel:DWORD src1_sel:WORD_1
	v_cndmask_b32_e32 v10, v49, v31, vcc
	v_and_b32_e32 v10, 0xffff, v10
	v_cndmask_b32_e64 v11, 0, 1, s[0:1]
	v_cmp_eq_u16_sdwa vcc, v12, v13 src0_sel:WORD_1 src1_sel:DWORD
	v_lshl_or_b32 v31, v11, 16, v10
	v_cmp_ne_u16_sdwa s[0:1], v12, v13 src0_sel:WORD_1 src1_sel:DWORD
	v_cndmask_b32_e32 v10, v49, v20, vcc
	v_lshrrev_b32_e32 v33, 16, v20
	v_and_b32_e32 v10, 0xffff, v10
	v_cndmask_b32_e64 v11, 0, 1, s[0:1]
	v_cmp_eq_u16_sdwa vcc, v13, v13 src0_sel:DWORD src1_sel:WORD_1
	v_lshl_or_b32 v32, v11, 16, v10
	v_cmp_ne_u16_sdwa s[0:1], v13, v13 src0_sel:DWORD src1_sel:WORD_1
	v_cndmask_b32_e32 v10, v49, v33, vcc
	v_and_b32_e32 v10, 0xffff, v10
	v_cndmask_b32_e64 v11, 0, 1, s[0:1]
	v_cmp_eq_u16_sdwa vcc, v13, v6 src0_sel:WORD_1 src1_sel:DWORD
	v_lshl_or_b32 v33, v11, 16, v10
	v_cmp_ne_u16_sdwa s[0:1], v13, v6 src0_sel:WORD_1 src1_sel:DWORD
	v_cndmask_b32_e32 v10, v49, v21, vcc
	;; [unrolled: 13-line block ×9, first 2 shown]
	v_lshrrev_b32_e32 v46, 16, v24
	v_and_b32_e32 v2, 0xffff, v2
	v_cndmask_b32_e64 v3, 0, 1, s[0:1]
	v_cmp_eq_u16_sdwa vcc, v5, v5 src0_sel:DWORD src1_sel:WORD_1
	v_lshl_or_b32 v24, v3, 16, v2
	v_cmp_ne_u16_sdwa s[0:1], v5, v5 src0_sel:DWORD src1_sel:WORD_1
	v_cndmask_b32_e32 v2, v49, v46, vcc
	v_and_b32_e32 v2, 0xffff, v2
	v_cndmask_b32_e64 v3, 0, 1, s[0:1]
	v_cmp_ne_u16_sdwa s[6:7], v5, v47 src0_sel:WORD_1 src1_sel:DWORD
	v_lshl_or_b32 v46, v3, 16, v2
	s_mov_b64 s[8:9], -1
	v_cndmask_b32_e64 v47, v48, v49, s[6:7]
                                        ; implicit-def: $sgpr68
.LBB616_136:
	v_mov_b32_e32 v12, s68
	s_and_saveexec_b64 s[0:1], s[8:9]
; %bb.137:
	v_mov_b32_e32 v2, 0x10000
	v_cndmask_b32_e64 v2, 0, v2, s[6:7]
	v_or_b32_sdwa v12, v2, v47 dst_sel:DWORD dst_unused:UNUSED_PAD src0_sel:DWORD src1_sel:WORD_0
; %bb.138:
	s_or_b64 exec, exec, s[0:1]
	v_or3_b32 v2, v12, v46, v24
	s_cmp_lg_u32 s67, 0
	v_or3_b32 v14, v2, v45, v23
	v_mbcnt_lo_u32_b32 v13, -1, 0
	s_barrier
	s_cbranch_scc0 .LBB616_231
; %bb.139:
	s_mov_b32 s0, 0x10000
	v_cmp_gt_u32_e64 s[4:5], s0, v25
	v_cmp_gt_u32_e64 s[6:7], s0, v29
	v_cmp_gt_u32_e64 s[8:9], s0, v30
	v_cndmask_b32_e64 v2, 1, v1, s[4:5]
	v_mul_lo_u16_e32 v2, v2, v25
	v_cndmask_b32_e64 v2, 1, v2, s[6:7]
	v_mul_lo_u16_e32 v2, v2, v29
	v_cndmask_b32_e64 v2, 1, v2, s[8:9]
	v_mul_lo_u16_e32 v2, v2, v30
	v_cmp_gt_u32_e64 s[10:11], s0, v31
	v_cmp_gt_u32_e64 s[12:13], s0, v32
	v_cmp_gt_u32_e64 s[14:15], s0, v33
	v_cndmask_b32_e64 v2, 1, v2, s[10:11]
	v_mul_lo_u16_e32 v2, v2, v31
	v_cndmask_b32_e64 v2, 1, v2, s[12:13]
	v_mul_lo_u16_e32 v2, v2, v32
	v_cndmask_b32_e64 v2, 1, v2, s[14:15]
	v_mul_lo_u16_e32 v2, v2, v33
	;; [unrolled: 9-line block ×5, first 2 shown]
	v_cmp_gt_u32_e64 s[36:37], s0, v43
	v_cmp_gt_u32_e64 s[38:39], s0, v22
	;; [unrolled: 1-line block ×3, first 2 shown]
	v_cndmask_b32_e64 v2, 1, v2, s[36:37]
	v_mul_lo_u16_e32 v2, v2, v43
	v_cndmask_b32_e64 v2, 1, v2, s[38:39]
	v_mul_lo_u16_e32 v2, v2, v22
	v_cndmask_b32_e64 v2, 1, v2, s[40:41]
	v_or3_b32 v5, v14, v44, v22
	v_mul_lo_u16_e32 v2, v2, v44
	v_cmp_gt_u32_e64 s[42:43], s0, v23
	v_or3_b32 v5, v5, v43, v42
	v_or3_b32 v5, v5, v41, v40
	v_cndmask_b32_e64 v2, 1, v2, s[42:43]
	v_mul_lo_u16_e32 v2, v2, v23
	v_cmp_gt_u32_e64 s[44:45], s0, v45
	v_or3_b32 v5, v5, v39, v38
	v_or3_b32 v5, v5, v37, v36
	v_cndmask_b32_e64 v2, 1, v2, s[44:45]
	;; [unrolled: 5-line block ×4, first 2 shown]
	v_mul_lo_u16_e32 v2, v2, v46
	v_cmp_gt_u32_e32 vcc, s0, v12
	v_and_b32_e32 v5, 0x10000, v5
	v_and_b32_e32 v3, 0x10000, v1
	v_cndmask_b32_e32 v4, 1, v2, vcc
	v_mov_b32_e32 v6, 0x10000
	v_cmp_ne_u32_e32 vcc, 0, v5
	v_mul_lo_u16_e32 v2, v4, v12
	v_mul_lo_u16_e32 v4, v4, v12
	v_cndmask_b32_e32 v6, v3, v6, vcc
	v_mbcnt_hi_u32_b32 v5, -1, v13
	v_and_b32_e32 v7, 15, v5
	v_or_b32_e32 v4, v6, v4
	v_lshrrev_b32_e32 v3, 16, v6
	v_cmp_ne_u32_e32 vcc, 0, v7
	v_mov_b32_dpp v8, v4 row_shr:1 row_mask:0xf bank_mask:0xf
	s_and_saveexec_b64 s[0:1], vcc
	s_cbranch_execz .LBB616_141
; %bb.140:
	v_cmp_eq_u32_e32 vcc, 0, v6
	v_and_b32_e32 v3, 0x10000, v6
	v_mov_b32_e32 v6, 1
	v_cndmask_b32_e32 v4, 1, v8, vcc
	v_and_b32_sdwa v6, v8, v6 dst_sel:DWORD dst_unused:UNUSED_PAD src0_sel:WORD_1 src1_sel:DWORD
	v_cmp_ne_u32_e32 vcc, 0, v3
	v_mul_lo_u16_e32 v9, v4, v2
	v_mul_lo_u16_e32 v2, v4, v2
	v_cndmask_b32_e64 v3, v6, 1, vcc
	v_lshlrev_b32_e32 v6, 16, v3
	v_or_b32_e32 v4, v6, v2
	v_mov_b32_e32 v2, v9
.LBB616_141:
	s_or_b64 exec, exec, s[0:1]
	v_lshrrev_b32_e32 v6, 16, v4
	v_mov_b32_dpp v8, v4 row_shr:2 row_mask:0xf bank_mask:0xf
	v_cmp_lt_u32_e32 vcc, 1, v7
	s_and_saveexec_b64 s[0:1], vcc
	s_cbranch_execz .LBB616_143
; %bb.142:
	s_mov_b32 s50, 0x10000
	v_cmp_gt_u32_e32 vcc, s50, v4
	v_and_b32_e32 v3, 0x10000, v4
	v_mov_b32_e32 v4, 1
	v_cndmask_b32_e32 v6, 1, v8, vcc
	v_and_b32_sdwa v4, v8, v4 dst_sel:DWORD dst_unused:UNUSED_PAD src0_sel:WORD_1 src1_sel:DWORD
	v_cmp_ne_u32_e32 vcc, 0, v3
	v_mul_lo_u16_e32 v9, v6, v2
	v_mul_lo_u16_e32 v2, v6, v2
	v_cndmask_b32_e64 v3, v4, 1, vcc
	v_lshlrev_b32_e32 v4, 16, v3
	v_or_b32_e32 v4, v4, v2
	v_mov_b32_e32 v6, v3
	v_mov_b32_e32 v2, v9
.LBB616_143:
	s_or_b64 exec, exec, s[0:1]
	v_mov_b32_dpp v8, v4 row_shr:4 row_mask:0xf bank_mask:0xf
	v_cmp_lt_u32_e32 vcc, 3, v7
	s_and_saveexec_b64 s[0:1], vcc
	s_cbranch_execz .LBB616_145
; %bb.144:
	v_cmp_eq_u16_e32 vcc, 0, v6
	v_and_b32_e32 v3, 1, v6
	v_mov_b32_e32 v6, 1
	v_cndmask_b32_e32 v4, 1, v8, vcc
	v_and_b32_sdwa v6, v8, v6 dst_sel:DWORD dst_unused:UNUSED_PAD src0_sel:WORD_1 src1_sel:DWORD
	v_cmp_eq_u32_e32 vcc, 1, v3
	v_mul_lo_u16_e32 v9, v4, v2
	v_mul_lo_u16_e32 v2, v4, v2
	v_cndmask_b32_e64 v3, v6, 1, vcc
	v_lshlrev_b32_e32 v6, 16, v3
	v_or_b32_e32 v4, v6, v2
	v_mov_b32_e32 v6, v3
	v_mov_b32_e32 v2, v9
.LBB616_145:
	s_or_b64 exec, exec, s[0:1]
	v_mov_b32_dpp v8, v4 row_shr:8 row_mask:0xf bank_mask:0xf
	v_cmp_lt_u32_e32 vcc, 7, v7
	s_and_saveexec_b64 s[0:1], vcc
	s_cbranch_execz .LBB616_147
; %bb.146:
	v_cmp_eq_u16_e32 vcc, 0, v6
	v_and_b32_e32 v3, 1, v6
	v_mov_b32_e32 v6, 1
	v_cndmask_b32_e32 v4, 1, v8, vcc
	v_and_b32_sdwa v6, v8, v6 dst_sel:DWORD dst_unused:UNUSED_PAD src0_sel:WORD_1 src1_sel:DWORD
	v_cmp_eq_u32_e32 vcc, 1, v3
	v_mul_lo_u16_e32 v7, v4, v2
	v_mul_lo_u16_e32 v2, v4, v2
	v_cndmask_b32_e64 v3, v6, 1, vcc
	v_lshlrev_b32_e32 v6, 16, v3
	v_or_b32_e32 v4, v6, v2
	v_mov_b32_e32 v6, v3
	v_mov_b32_e32 v2, v7
.LBB616_147:
	s_or_b64 exec, exec, s[0:1]
	v_and_b32_e32 v8, 16, v5
	v_mov_b32_dpp v7, v4 row_bcast:15 row_mask:0xf bank_mask:0xf
	v_cmp_ne_u32_e32 vcc, 0, v8
	s_and_saveexec_b64 s[0:1], vcc
	s_cbranch_execz .LBB616_149
; %bb.148:
	v_cmp_eq_u16_e32 vcc, 0, v6
	v_and_b32_e32 v3, 1, v6
	v_mov_b32_e32 v6, 1
	v_cndmask_b32_e32 v4, 1, v7, vcc
	v_and_b32_sdwa v6, v7, v6 dst_sel:DWORD dst_unused:UNUSED_PAD src0_sel:WORD_1 src1_sel:DWORD
	v_cmp_eq_u32_e32 vcc, 1, v3
	v_mul_lo_u16_e32 v8, v4, v2
	v_mul_lo_u16_e32 v2, v4, v2
	v_cndmask_b32_e64 v3, v6, 1, vcc
	v_lshlrev_b32_e32 v6, 16, v3
	v_or_b32_e32 v4, v6, v2
	v_mov_b32_e32 v6, v3
	v_mov_b32_e32 v2, v8
.LBB616_149:
	s_or_b64 exec, exec, s[0:1]
	v_mov_b32_dpp v4, v4 row_bcast:31 row_mask:0xf bank_mask:0xf
	v_cmp_lt_u32_e32 vcc, 31, v5
	s_and_saveexec_b64 s[0:1], vcc
; %bb.150:
	v_cmp_eq_u16_e32 vcc, 0, v6
	s_nop 1
	v_cndmask_b32_e32 v3, 1, v4, vcc
	v_mul_lo_u16_e32 v2, v3, v2
	v_and_b32_e32 v3, 1, v6
	v_mov_b32_e32 v6, 1
	v_and_b32_sdwa v4, v4, v6 dst_sel:DWORD dst_unused:UNUSED_PAD src0_sel:WORD_1 src1_sel:DWORD
	v_cmp_eq_u32_e32 vcc, 1, v3
	s_nop 1
	v_cndmask_b32_e64 v3, v4, 1, vcc
; %bb.151:
	s_or_b64 exec, exec, s[0:1]
	v_or_b32_e32 v6, 63, v0
	v_lshrrev_b32_e32 v4, 6, v0
	v_cmp_eq_u32_e32 vcc, v6, v0
	s_and_saveexec_b64 s[0:1], vcc
	s_cbranch_execz .LBB616_153
; %bb.152:
	v_lshlrev_b32_e32 v6, 2, v4
	ds_write_b16 v6, v2
	ds_write_b8 v6, v3 offset:2
.LBB616_153:
	s_or_b64 exec, exec, s[0:1]
	v_cmp_gt_u32_e32 vcc, 4, v0
	s_waitcnt lgkmcnt(0)
	s_barrier
	s_and_saveexec_b64 s[0:1], vcc
	s_cbranch_execz .LBB616_159
; %bb.154:
	v_lshlrev_b32_e32 v6, 2, v0
	ds_read_b32 v7, v6
	v_and_b32_e32 v10, 3, v5
	v_cmp_ne_u32_e32 vcc, 0, v10
	s_waitcnt lgkmcnt(0)
	v_lshrrev_b32_e32 v9, 16, v7
	v_mov_b32_dpp v11, v7 row_shr:1 row_mask:0xf bank_mask:0xf
	v_mov_b32_e32 v8, v7
	s_and_saveexec_b64 s[50:51], vcc
	s_cbranch_execz .LBB616_156
; %bb.155:
	v_mov_b32_e32 v8, 0
	v_cmp_eq_u16_sdwa vcc, v9, v8 src0_sel:BYTE_0 src1_sel:DWORD
	v_and_b32_e32 v9, 0x10000, v7
	v_mov_b32_e32 v17, 1
	v_cndmask_b32_e32 v16, 1, v11, vcc
	v_and_b32_sdwa v11, v11, v17 dst_sel:DWORD dst_unused:UNUSED_PAD src0_sel:WORD_1 src1_sel:DWORD
	v_cmp_ne_u32_e32 vcc, 0, v9
	v_and_b32_e32 v15, 0xff000000, v7
	v_mul_lo_u16_e32 v8, v16, v7
	v_cndmask_b32_e64 v9, v11, 1, vcc
	v_lshlrev_b32_e32 v11, 16, v9
	v_mul_lo_u16_e32 v7, v16, v7
	v_or3_b32 v7, v11, v15, v7
.LBB616_156:
	s_or_b64 exec, exec, s[50:51]
	s_nop 0
	v_mov_b32_dpp v11, v7 row_shr:2 row_mask:0xf bank_mask:0xf
	v_cmp_lt_u32_e32 vcc, 1, v10
	s_and_saveexec_b64 s[50:51], vcc
; %bb.157:
	v_and_b32_e32 v9, 0xff0000, v7
	v_cmp_eq_u32_e32 vcc, 0, v9
	v_and_b32_e32 v7, 0x10000, v7
	s_nop 0
	v_cndmask_b32_e32 v9, 1, v11, vcc
	v_mul_lo_u16_e32 v8, v9, v8
	v_mov_b32_e32 v9, 1
	v_and_b32_sdwa v9, v11, v9 dst_sel:DWORD dst_unused:UNUSED_PAD src0_sel:WORD_1 src1_sel:DWORD
	v_cmp_eq_u32_e32 vcc, 0, v7
	s_nop 1
	v_cndmask_b32_e32 v9, 1, v9, vcc
; %bb.158:
	s_or_b64 exec, exec, s[50:51]
	ds_write_b16 v6, v8
	ds_write_b8 v6, v9 offset:2
.LBB616_159:
	s_or_b64 exec, exec, s[0:1]
	v_cmp_gt_u32_e32 vcc, 64, v0
	v_cmp_lt_u32_e64 s[0:1], 63, v0
	v_mov_b32_e32 v15, 0
	v_mov_b32_e32 v16, 0
	s_waitcnt lgkmcnt(0)
	s_barrier
	s_and_saveexec_b64 s[50:51], s[0:1]
	s_cbranch_execz .LBB616_161
; %bb.160:
	v_lshl_add_u32 v4, v4, 2, -4
	ds_read_u16 v15, v4
	ds_read_u8 v16, v4 offset:2
	v_and_b32_e32 v6, 1, v3
	v_cmp_eq_u16_e64 s[0:1], 0, v3
	s_waitcnt lgkmcnt(1)
	s_nop 0
	v_cndmask_b32_e64 v3, 1, v15, s[0:1]
	v_cmp_eq_u32_e64 s[0:1], 1, v6
	v_mul_lo_u16_e32 v2, v3, v2
	s_waitcnt lgkmcnt(0)
	v_cndmask_b32_e64 v3, v16, 1, s[0:1]
.LBB616_161:
	s_or_b64 exec, exec, s[50:51]
	v_and_b32_e32 v3, 0xff, v3
	v_and_b32_e32 v2, 0xffff, v2
	v_lshl_or_b32 v2, v3, 16, v2
	v_add_u32_e32 v3, -1, v5
	v_and_b32_e32 v4, 64, v5
	v_cmp_lt_i32_e64 s[0:1], v3, v4
	v_cmp_eq_u32_e64 s[50:51], 0, v5
	s_nop 0
	v_cndmask_b32_e64 v3, v3, v5, s[0:1]
	v_lshlrev_b32_e32 v3, 2, v3
	ds_bpermute_b32 v17, v3, v2
	s_and_saveexec_b64 s[0:1], vcc
	s_cbranch_execz .LBB616_208
; %bb.162:
	v_mov_b32_e32 v11, 0
	ds_read_b32 v2, v11 offset:12
	s_and_saveexec_b64 s[56:57], s[50:51]
	s_cbranch_execz .LBB616_164
; %bb.163:
	s_add_i32 s58, s67, 64
	s_mov_b32 s59, 0
	s_lshl_b64 s[58:59], s[58:59], 3
	s_add_u32 s58, s64, s58
	v_mov_b32_e32 v3, 1
	s_addc_u32 s59, s65, s59
	s_waitcnt lgkmcnt(0)
	global_store_dwordx2 v11, v[2:3], s[58:59] sc1
.LBB616_164:
	s_or_b64 exec, exec, s[56:57]
	v_xad_u32 v4, v5, -1, s67
	v_add_u32_e32 v10, 64, v4
	v_lshl_add_u64 v[8:9], v[10:11], 3, s[64:65]
	global_load_dwordx2 v[6:7], v[8:9], off sc1
	s_waitcnt vmcnt(0)
	v_cmp_eq_u16_sdwa s[58:59], v7, v11 src0_sel:BYTE_0 src1_sel:DWORD
	s_and_saveexec_b64 s[56:57], s[58:59]
	s_cbranch_execz .LBB616_170
; %bb.165:
	s_mov_b32 s60, 1
	s_mov_b64 s[58:59], 0
	v_mov_b32_e32 v3, 0
.LBB616_166:                            ; =>This Loop Header: Depth=1
                                        ;     Child Loop BB616_167 Depth 2
	s_max_u32 s61, s60, 1
.LBB616_167:                            ;   Parent Loop BB616_166 Depth=1
                                        ; =>  This Inner Loop Header: Depth=2
	s_add_i32 s61, s61, -1
	s_cmp_eq_u32 s61, 0
	s_sleep 1
	s_cbranch_scc0 .LBB616_167
; %bb.168:                              ;   in Loop: Header=BB616_166 Depth=1
	global_load_dwordx2 v[6:7], v[8:9], off sc1
	s_cmp_lt_u32 s60, 32
	s_cselect_b64 s[68:69], -1, 0
	s_cmp_lg_u64 s[68:69], 0
	s_addc_u32 s60, s60, 0
	s_waitcnt vmcnt(0)
	v_cmp_ne_u16_sdwa s[68:69], v7, v3 src0_sel:BYTE_0 src1_sel:DWORD
	s_or_b64 s[58:59], s[68:69], s[58:59]
	s_andn2_b64 exec, exec, s[58:59]
	s_cbranch_execnz .LBB616_166
; %bb.169:
	s_or_b64 exec, exec, s[58:59]
.LBB616_170:
	s_or_b64 exec, exec, s[56:57]
	v_mov_b32_e32 v3, 2
	v_cmp_eq_u16_sdwa s[56:57], v7, v3 src0_sel:BYTE_0 src1_sel:DWORD
	v_lshlrev_b64 v[8:9], v5, -1
	v_and_b32_e32 v54, 0xffffff, v6
	v_and_b32_e32 v3, s57, v9
	v_or_b32_e32 v3, 0x80000000, v3
	v_ffbl_b32_e32 v3, v3
	v_add_u32_e32 v11, 32, v3
	v_and_b32_e32 v3, 63, v5
	v_cmp_ne_u32_e32 vcc, 63, v3
	v_and_b32_e32 v10, s56, v8
	v_ffbl_b32_e32 v10, v10
	v_addc_co_u32_e32 v18, vcc, 0, v5, vcc
	v_lshlrev_b32_e32 v18, 2, v18
	ds_bpermute_b32 v19, v18, v54
	v_min_u32_e32 v11, v10, v11
	v_lshrrev_b32_e32 v10, 16, v6
	v_cmp_lt_u32_e32 vcc, v3, v11
	v_bfe_u32 v52, v6, 16, 8
	s_and_saveexec_b64 s[56:57], vcc
	s_cbranch_execz .LBB616_172
; %bb.171:
	v_and_b32_e32 v10, 0xff0000, v6
	v_cmp_eq_u32_e32 vcc, 0, v10
	v_and_b32_e32 v10, 0x10000, v10
	v_mov_b32_e32 v47, 1
	s_waitcnt lgkmcnt(0)
	v_cndmask_b32_e32 v20, 1, v19, vcc
	v_and_b32_sdwa v19, v19, v47 dst_sel:DWORD dst_unused:UNUSED_PAD src0_sel:WORD_1 src1_sel:DWORD
	v_cmp_ne_u32_e32 vcc, 0, v10
	v_mul_lo_u16_e32 v21, v20, v6
	v_mul_lo_u16_e32 v6, v20, v6
	v_cndmask_b32_e64 v10, v19, 1, vcc
	v_lshlrev_b32_e32 v19, 16, v10
	v_or_b32_e32 v54, v19, v6
	v_mov_b32_e32 v6, v21
	v_mov_b32_e32 v52, v10
.LBB616_172:
	s_or_b64 exec, exec, s[56:57]
	v_cmp_gt_u32_e32 vcc, 62, v3
	v_add_u32_e32 v20, 2, v3
	s_waitcnt lgkmcnt(0)
	v_cndmask_b32_e64 v19, 0, 1, vcc
	v_lshlrev_b32_e32 v19, 1, v19
	v_add_lshl_u32 v19, v19, v5, 2
	ds_bpermute_b32 v21, v19, v54
	v_cmp_le_u32_e32 vcc, v20, v11
	s_and_saveexec_b64 s[56:57], vcc
	s_cbranch_execz .LBB616_174
; %bb.173:
	v_cmp_eq_u16_e32 vcc, 0, v52
	v_and_b32_e32 v10, 1, v52
	v_mov_b32_e32 v49, 1
	s_waitcnt lgkmcnt(0)
	v_cndmask_b32_e32 v47, 1, v21, vcc
	v_and_b32_sdwa v21, v21, v49 dst_sel:DWORD dst_unused:UNUSED_PAD src0_sel:WORD_1 src1_sel:DWORD
	v_cmp_eq_u32_e32 vcc, 1, v10
	v_mul_lo_u16_e32 v48, v47, v6
	v_mul_lo_u16_e32 v6, v47, v6
	v_cndmask_b32_e64 v10, v21, 1, vcc
	v_lshlrev_b32_e32 v21, 16, v10
	v_or_b32_e32 v54, v21, v6
	v_mov_b32_e32 v6, v48
	v_mov_b32_e32 v52, v10
.LBB616_174:
	s_or_b64 exec, exec, s[56:57]
	v_cmp_gt_u32_e32 vcc, 60, v3
	v_add_u32_e32 v47, 4, v3
	s_waitcnt lgkmcnt(0)
	v_cndmask_b32_e64 v21, 0, 1, vcc
	v_lshlrev_b32_e32 v21, 2, v21
	v_add_lshl_u32 v21, v21, v5, 2
	ds_bpermute_b32 v48, v21, v54
	v_cmp_le_u32_e32 vcc, v47, v11
	s_and_saveexec_b64 s[56:57], vcc
	s_cbranch_execz .LBB616_176
; %bb.175:
	v_cmp_eq_u16_e32 vcc, 0, v52
	v_and_b32_e32 v10, 1, v52
	v_mov_b32_e32 v51, 1
	s_waitcnt lgkmcnt(0)
	v_cndmask_b32_e32 v49, 1, v48, vcc
	v_and_b32_sdwa v48, v48, v51 dst_sel:DWORD dst_unused:UNUSED_PAD src0_sel:WORD_1 src1_sel:DWORD
	v_cmp_eq_u32_e32 vcc, 1, v10
	v_mul_lo_u16_e32 v50, v49, v6
	v_mul_lo_u16_e32 v6, v49, v6
	v_cndmask_b32_e64 v10, v48, 1, vcc
	v_lshlrev_b32_e32 v48, 16, v10
	v_or_b32_e32 v54, v48, v6
	v_mov_b32_e32 v6, v50
	v_mov_b32_e32 v52, v10
.LBB616_176:
	;; [unrolled: 27-line block ×4, first 2 shown]
	s_or_b64 exec, exec, s[56:57]
	v_cmp_gt_u32_e32 vcc, 32, v3
	s_waitcnt lgkmcnt(0)
	s_nop 0
	v_cndmask_b32_e64 v53, 0, 1, vcc
	v_lshlrev_b32_e32 v53, 5, v53
	v_add_lshl_u32 v53, v53, v5, 2
	ds_bpermute_b32 v5, v53, v54
	v_add_u32_e32 v54, 32, v3
	v_cmp_le_u32_e32 vcc, v54, v11
	s_and_saveexec_b64 s[56:57], vcc
	s_cbranch_execz .LBB616_182
; %bb.181:
	v_cmp_eq_u16_e32 vcc, 0, v52
	v_mov_b32_e32 v11, 1
	s_waitcnt lgkmcnt(0)
	v_cndmask_b32_e32 v10, 1, v5, vcc
	v_mul_lo_u16_e32 v6, v10, v6
	v_and_b32_e32 v10, 1, v52
	v_and_b32_sdwa v5, v5, v11 dst_sel:DWORD dst_unused:UNUSED_PAD src0_sel:WORD_1 src1_sel:DWORD
	v_cmp_eq_u32_e32 vcc, 1, v10
	s_nop 1
	v_cndmask_b32_e64 v10, v5, 1, vcc
.LBB616_182:
	s_or_b64 exec, exec, s[56:57]
	s_waitcnt lgkmcnt(0)
	v_mov_b32_e32 v5, 0
	v_mov_b32_e32 v56, 2
	;; [unrolled: 1-line block ×3, first 2 shown]
	s_branch .LBB616_184
.LBB616_183:                            ;   in Loop: Header=BB616_184 Depth=1
	s_or_b64 exec, exec, s[56:57]
	v_cmp_eq_u16_sdwa vcc, v52, v5 src0_sel:BYTE_0 src1_sel:DWORD
	v_and_b32_e32 v10, 1, v52
	v_and_b32_e32 v11, 1, v11
	v_cndmask_b32_e32 v6, 1, v6, vcc
	v_cmp_eq_u32_e32 vcc, 1, v10
	v_subrev_u32_e32 v4, 64, v4
	v_mul_lo_u16_e32 v6, v6, v55
	v_cndmask_b32_e64 v10, v11, 1, vcc
.LBB616_184:                            ; =>This Loop Header: Depth=1
                                        ;     Child Loop BB616_187 Depth 2
                                        ;       Child Loop BB616_188 Depth 3
	v_cmp_ne_u16_sdwa s[56:57], v7, v56 src0_sel:BYTE_0 src1_sel:DWORD
	v_mov_b32_e32 v52, v10
	v_mov_b32_e32 v55, v6
	v_cndmask_b32_e64 v7, 0, 1, s[56:57]
	;;#ASMSTART
	;;#ASMEND
	s_nop 0
	v_cmp_ne_u32_e32 vcc, 0, v7
	s_cmp_lg_u64 vcc, exec
	s_cbranch_scc1 .LBB616_203
; %bb.185:                              ;   in Loop: Header=BB616_184 Depth=1
	v_lshl_add_u64 v[10:11], v[4:5], 3, s[64:65]
	global_load_dwordx2 v[6:7], v[10:11], off sc1
	s_waitcnt vmcnt(0)
	v_cmp_eq_u16_sdwa s[58:59], v7, v5 src0_sel:BYTE_0 src1_sel:DWORD
	s_and_saveexec_b64 s[56:57], s[58:59]
	s_cbranch_execz .LBB616_191
; %bb.186:                              ;   in Loop: Header=BB616_184 Depth=1
	s_mov_b32 s60, 1
	s_mov_b64 s[58:59], 0
.LBB616_187:                            ;   Parent Loop BB616_184 Depth=1
                                        ; =>  This Loop Header: Depth=2
                                        ;       Child Loop BB616_188 Depth 3
	s_max_u32 s61, s60, 1
.LBB616_188:                            ;   Parent Loop BB616_184 Depth=1
                                        ;     Parent Loop BB616_187 Depth=2
                                        ; =>    This Inner Loop Header: Depth=3
	s_add_i32 s61, s61, -1
	s_cmp_eq_u32 s61, 0
	s_sleep 1
	s_cbranch_scc0 .LBB616_188
; %bb.189:                              ;   in Loop: Header=BB616_187 Depth=2
	global_load_dwordx2 v[6:7], v[10:11], off sc1
	s_cmp_lt_u32 s60, 32
	s_cselect_b64 s[68:69], -1, 0
	s_cmp_lg_u64 s[68:69], 0
	s_addc_u32 s60, s60, 0
	s_waitcnt vmcnt(0)
	v_cmp_ne_u16_sdwa s[68:69], v7, v5 src0_sel:BYTE_0 src1_sel:DWORD
	s_or_b64 s[58:59], s[68:69], s[58:59]
	s_andn2_b64 exec, exec, s[58:59]
	s_cbranch_execnz .LBB616_187
; %bb.190:                              ;   in Loop: Header=BB616_184 Depth=1
	s_or_b64 exec, exec, s[58:59]
.LBB616_191:                            ;   in Loop: Header=BB616_184 Depth=1
	s_or_b64 exec, exec, s[56:57]
	v_cmp_eq_u16_sdwa s[56:57], v7, v56 src0_sel:BYTE_0 src1_sel:DWORD
	s_waitcnt lgkmcnt(0)
	v_and_b32_e32 v59, 0xffffff, v6
	ds_bpermute_b32 v60, v18, v59
	v_and_b32_e32 v10, s57, v9
	v_or_b32_e32 v10, 0x80000000, v10
	v_and_b32_e32 v11, s56, v8
	v_ffbl_b32_e32 v10, v10
	v_add_u32_e32 v10, 32, v10
	v_ffbl_b32_e32 v11, v11
	v_min_u32_e32 v10, v11, v10
	v_lshrrev_b32_e32 v11, 16, v6
	v_cmp_lt_u32_e32 vcc, v3, v10
	v_bfe_u32 v58, v6, 16, 8
	s_and_saveexec_b64 s[56:57], vcc
	s_cbranch_execz .LBB616_193
; %bb.192:                              ;   in Loop: Header=BB616_184 Depth=1
	v_and_b32_e32 v11, 0xff0000, v6
	v_cmp_eq_u32_e32 vcc, 0, v11
	v_and_b32_e32 v11, 0x10000, v11
	s_waitcnt lgkmcnt(0)
	v_and_b32_sdwa v59, v60, v57 dst_sel:DWORD dst_unused:UNUSED_PAD src0_sel:WORD_1 src1_sel:DWORD
	v_cndmask_b32_e32 v58, 1, v60, vcc
	v_cmp_ne_u32_e32 vcc, 0, v11
	v_mul_lo_u16_e32 v61, v58, v6
	v_mul_lo_u16_e32 v6, v58, v6
	v_cndmask_b32_e64 v11, v59, 1, vcc
	v_lshlrev_b32_e32 v59, 16, v11
	v_or_b32_e32 v59, v59, v6
	v_mov_b32_e32 v6, v61
	v_mov_b32_e32 v58, v11
.LBB616_193:                            ;   in Loop: Header=BB616_184 Depth=1
	s_or_b64 exec, exec, s[56:57]
	s_waitcnt lgkmcnt(0)
	ds_bpermute_b32 v60, v19, v59
	v_cmp_le_u32_e32 vcc, v20, v10
	s_and_saveexec_b64 s[56:57], vcc
	s_cbranch_execz .LBB616_195
; %bb.194:                              ;   in Loop: Header=BB616_184 Depth=1
	v_cmp_eq_u16_e32 vcc, 0, v58
	v_and_b32_e32 v11, 1, v58
	s_waitcnt lgkmcnt(0)
	v_and_b32_sdwa v58, v60, v57 dst_sel:DWORD dst_unused:UNUSED_PAD src0_sel:WORD_1 src1_sel:DWORD
	v_cndmask_b32_e32 v59, 1, v60, vcc
	v_cmp_eq_u32_e32 vcc, 1, v11
	v_mul_lo_u16_e32 v61, v59, v6
	v_mul_lo_u16_e32 v6, v59, v6
	v_cndmask_b32_e64 v11, v58, 1, vcc
	v_lshlrev_b32_e32 v58, 16, v11
	v_or_b32_e32 v59, v58, v6
	v_mov_b32_e32 v6, v61
	v_mov_b32_e32 v58, v11
.LBB616_195:                            ;   in Loop: Header=BB616_184 Depth=1
	s_or_b64 exec, exec, s[56:57]
	s_waitcnt lgkmcnt(0)
	ds_bpermute_b32 v60, v21, v59
	v_cmp_le_u32_e32 vcc, v47, v10
	s_and_saveexec_b64 s[56:57], vcc
	s_cbranch_execz .LBB616_197
; %bb.196:                              ;   in Loop: Header=BB616_184 Depth=1
	v_cmp_eq_u16_e32 vcc, 0, v58
	v_and_b32_e32 v11, 1, v58
	s_waitcnt lgkmcnt(0)
	v_and_b32_sdwa v58, v60, v57 dst_sel:DWORD dst_unused:UNUSED_PAD src0_sel:WORD_1 src1_sel:DWORD
	v_cndmask_b32_e32 v59, 1, v60, vcc
	v_cmp_eq_u32_e32 vcc, 1, v11
	v_mul_lo_u16_e32 v61, v59, v6
	v_mul_lo_u16_e32 v6, v59, v6
	v_cndmask_b32_e64 v11, v58, 1, vcc
	v_lshlrev_b32_e32 v58, 16, v11
	v_or_b32_e32 v59, v58, v6
	v_mov_b32_e32 v6, v61
	v_mov_b32_e32 v58, v11
.LBB616_197:                            ;   in Loop: Header=BB616_184 Depth=1
	;; [unrolled: 21-line block ×4, first 2 shown]
	s_or_b64 exec, exec, s[56:57]
	ds_bpermute_b32 v59, v53, v59
	v_cmp_le_u32_e32 vcc, v54, v10
	s_and_saveexec_b64 s[56:57], vcc
	s_cbranch_execz .LBB616_183
; %bb.202:                              ;   in Loop: Header=BB616_184 Depth=1
	v_cmp_eq_u16_e32 vcc, 0, v58
	s_waitcnt lgkmcnt(0)
	v_lshrrev_b32_e32 v11, 16, v59
	v_cndmask_b32_e32 v10, 1, v59, vcc
	v_mul_lo_u16_e32 v6, v10, v6
	v_and_b32_e32 v10, 1, v58
	v_cmp_eq_u32_e32 vcc, 1, v10
	s_nop 1
	v_cndmask_b32_e64 v11, v11, 1, vcc
	s_branch .LBB616_183
.LBB616_203:                            ;   in Loop: Header=BB616_184 Depth=1
                                        ; implicit-def: $vgpr10
                                        ; implicit-def: $vgpr6
	s_cbranch_execz .LBB616_184
; %bb.204:
	s_and_saveexec_b64 s[56:57], s[50:51]
	s_cbranch_execz .LBB616_206
; %bb.205:
	v_and_b32_e32 v3, 0xff0000, v2
	s_mov_b32 s59, 0
	v_cmp_eq_u32_e32 vcc, 0, v3
	v_and_b32_e32 v4, 0x10000, v2
	v_mov_b32_e32 v5, 1
	s_add_i32 s58, s67, 64
	v_cndmask_b32_e32 v3, 1, v55, vcc
	v_and_b32_sdwa v5, v52, v5 dst_sel:WORD_1 dst_unused:UNUSED_PAD src0_sel:DWORD src1_sel:DWORD
	v_mov_b32_e32 v6, 0x10000
	v_cmp_eq_u32_e32 vcc, 0, v4
	s_lshl_b64 s[58:59], s[58:59], 3
	s_add_u32 s58, s64, s58
	v_cndmask_b32_e32 v4, v6, v5, vcc
	v_mul_lo_u16_e32 v2, v3, v2
	s_addc_u32 s59, s65, s59
	v_mov_b32_e32 v5, 0
	v_or_b32_e32 v2, v4, v2
	v_mov_b32_e32 v3, 2
	global_store_dwordx2 v5, v[2:3], s[58:59] sc1
.LBB616_206:
	s_or_b64 exec, exec, s[56:57]
	s_and_b64 exec, exec, s[52:53]
	s_cbranch_execz .LBB616_208
; %bb.207:
	v_mov_b32_e32 v2, 0
	ds_write_b16 v2, v55 offset:12
	ds_write_b8 v2, v52 offset:14
.LBB616_208:
	s_or_b64 exec, exec, s[0:1]
	v_mov_b32_e32 v2, 0
	s_waitcnt lgkmcnt(0)
	s_barrier
	ds_read_b32 v3, v2 offset:12
	v_lshrrev_b32_e32 v4, 16, v17
	v_cndmask_b32_e64 v4, v4, v16, s[50:51]
	v_cmp_eq_u16_sdwa vcc, v4, v2 src0_sel:BYTE_0 src1_sel:DWORD
	v_cndmask_b32_e64 v5, v17, v15, s[50:51]
	s_waitcnt lgkmcnt(0)
	v_cndmask_b32_e32 v2, 1, v3, vcc
	v_mul_lo_u16_e32 v2, v2, v5
	v_cndmask_b32_e64 v8, v2, v3, s[52:53]
	v_and_b32_e32 v2, 0xff0000, v1
	v_cmp_eq_u32_e32 vcc, 0, v2
	s_nop 1
	v_cndmask_b32_e32 v2, 1, v8, vcc
	v_mul_lo_u16_e32 v6, v2, v1
	v_cndmask_b32_e64 v2, 1, v6, s[4:5]
	v_mul_lo_u16_e32 v7, v2, v25
	v_cndmask_b32_e64 v2, 1, v7, s[6:7]
	;; [unrolled: 2-line block ×22, first 2 shown]
	v_mul_lo_u16_e32 v57, v2, v46
	s_branch .LBB616_259
.LBB616_209:
	s_or_b64 exec, exec, s[0:1]
                                        ; implicit-def: $vgpr39
	s_and_saveexec_b64 s[0:1], s[4:5]
	s_cbranch_execz .LBB616_57
.LBB616_210:
	v_mov_b32_e32 v15, 0
	v_lshl_add_u64 v[40:41], v[18:19], 0, v[14:15]
	flat_load_ushort v39, v[40:41] offset:512
	s_or_b64 exec, exec, s[0:1]
                                        ; implicit-def: $vgpr40
	s_and_saveexec_b64 s[0:1], s[6:7]
	s_cbranch_execnz .LBB616_58
.LBB616_211:
	s_or_b64 exec, exec, s[0:1]
                                        ; implicit-def: $vgpr41
	s_and_saveexec_b64 s[0:1], s[8:9]
	s_cbranch_execz .LBB616_59
.LBB616_212:
	v_mov_b32_e32 v15, 0
	v_lshl_add_u64 v[42:43], v[18:19], 0, v[14:15]
	flat_load_ushort v41, v[42:43] offset:1536
	s_or_b64 exec, exec, s[0:1]
                                        ; implicit-def: $vgpr42
	s_and_saveexec_b64 s[0:1], s[10:11]
	s_cbranch_execnz .LBB616_60
.LBB616_213:
	s_or_b64 exec, exec, s[0:1]
                                        ; implicit-def: $vgpr43
	s_and_saveexec_b64 s[0:1], s[12:13]
	s_cbranch_execz .LBB616_61
.LBB616_214:
	v_mov_b32_e32 v15, 0
	v_lshl_add_u64 v[44:45], v[18:19], 0, v[14:15]
	flat_load_ushort v43, v[44:45] offset:2560
	s_or_b64 exec, exec, s[0:1]
                                        ; implicit-def: $vgpr44
	s_and_saveexec_b64 s[0:1], s[14:15]
	s_cbranch_execnz .LBB616_62
.LBB616_215:
	s_or_b64 exec, exec, s[0:1]
                                        ; implicit-def: $vgpr15
	s_and_saveexec_b64 s[0:1], s[16:17]
	s_cbranch_execz .LBB616_63
.LBB616_216:
	v_mov_b32_e32 v15, 0
	v_lshl_add_u64 v[46:47], v[18:19], 0, v[14:15]
	flat_load_ushort v15, v[46:47] offset:3584
	s_or_b64 exec, exec, s[0:1]
                                        ; implicit-def: $vgpr45
	s_and_saveexec_b64 s[0:1], s[18:19]
	s_cbranch_execnz .LBB616_64
.LBB616_217:
	s_or_b64 exec, exec, s[0:1]
                                        ; implicit-def: $vgpr1
	s_and_saveexec_b64 s[0:1], s[20:21]
	s_cbranch_execz .LBB616_65
.LBB616_218:
	v_lshlrev_b32_e32 v46, 1, v16
	v_mov_b32_e32 v47, 0
	v_lshl_add_u64 v[46:47], v[18:19], 0, v[46:47]
	flat_load_ushort v1, v[46:47]
	s_or_b64 exec, exec, s[0:1]
                                        ; implicit-def: $vgpr16
	s_and_saveexec_b64 s[0:1], s[22:23]
	s_cbranch_execnz .LBB616_66
.LBB616_219:
	s_or_b64 exec, exec, s[0:1]
                                        ; implicit-def: $vgpr17
	s_and_saveexec_b64 s[0:1], s[24:25]
	s_cbranch_execz .LBB616_67
.LBB616_220:
	v_lshlrev_b32_e32 v46, 1, v22
	v_mov_b32_e32 v47, 0
	v_lshl_add_u64 v[46:47], v[18:19], 0, v[46:47]
	flat_load_ushort v17, v[46:47]
	s_or_b64 exec, exec, s[0:1]
                                        ; implicit-def: $vgpr22
	s_and_saveexec_b64 s[0:1], s[26:27]
	s_cbranch_execnz .LBB616_68
.LBB616_221:
	s_or_b64 exec, exec, s[0:1]
                                        ; implicit-def: $vgpr23
	s_and_saveexec_b64 s[0:1], s[28:29]
	s_cbranch_execz .LBB616_69
.LBB616_222:
	v_lshlrev_b32_e32 v46, 1, v24
	v_mov_b32_e32 v47, 0
	v_lshl_add_u64 v[46:47], v[18:19], 0, v[46:47]
	flat_load_ushort v23, v[46:47]
	s_or_b64 exec, exec, s[0:1]
                                        ; implicit-def: $vgpr24
	s_and_saveexec_b64 s[0:1], s[30:31]
	s_cbranch_execnz .LBB616_70
.LBB616_223:
	s_or_b64 exec, exec, s[0:1]
                                        ; implicit-def: $vgpr25
	s_and_saveexec_b64 s[0:1], s[34:35]
	s_cbranch_execz .LBB616_71
.LBB616_224:
	v_lshlrev_b32_e32 v46, 1, v29
	v_mov_b32_e32 v47, 0
	v_lshl_add_u64 v[46:47], v[18:19], 0, v[46:47]
	flat_load_ushort v25, v[46:47]
	s_or_b64 exec, exec, s[0:1]
                                        ; implicit-def: $vgpr29
	s_and_saveexec_b64 s[0:1], s[36:37]
	s_cbranch_execnz .LBB616_72
.LBB616_225:
	s_or_b64 exec, exec, s[0:1]
                                        ; implicit-def: $vgpr30
	s_and_saveexec_b64 s[0:1], s[38:39]
	s_cbranch_execz .LBB616_73
.LBB616_226:
	v_lshlrev_b32_e32 v30, 1, v31
	v_mov_b32_e32 v31, 0
	v_lshl_add_u64 v[30:31], v[18:19], 0, v[30:31]
	flat_load_ushort v30, v[30:31]
	s_or_b64 exec, exec, s[0:1]
                                        ; implicit-def: $vgpr31
	s_and_saveexec_b64 s[0:1], s[40:41]
	s_cbranch_execnz .LBB616_74
.LBB616_227:
	s_or_b64 exec, exec, s[0:1]
                                        ; implicit-def: $vgpr32
	s_and_saveexec_b64 s[0:1], s[42:43]
	s_cbranch_execz .LBB616_75
.LBB616_228:
	v_lshlrev_b32_e32 v32, 1, v33
	v_mov_b32_e32 v33, 0
	v_lshl_add_u64 v[32:33], v[18:19], 0, v[32:33]
	flat_load_ushort v32, v[32:33]
	s_or_b64 exec, exec, s[0:1]
                                        ; implicit-def: $vgpr33
	s_and_saveexec_b64 s[0:1], s[44:45]
	s_cbranch_execnz .LBB616_76
.LBB616_229:
	s_or_b64 exec, exec, s[0:1]
                                        ; implicit-def: $vgpr34
	s_and_saveexec_b64 s[0:1], s[46:47]
	s_cbranch_execz .LBB616_77
.LBB616_230:
	v_lshlrev_b32_e32 v34, 1, v35
	v_mov_b32_e32 v35, 0
	v_lshl_add_u64 v[34:35], v[18:19], 0, v[34:35]
	flat_load_ushort v34, v[34:35]
	s_or_b64 exec, exec, s[0:1]
                                        ; implicit-def: $vgpr35
	s_and_saveexec_b64 s[0:1], s[48:49]
	s_cbranch_execz .LBB616_79
	s_branch .LBB616_78
.LBB616_231:
                                        ; implicit-def: $vgpr8
                                        ; implicit-def: $vgpr6
                                        ; implicit-def: $vgpr7
                                        ; implicit-def: $vgpr9
                                        ; implicit-def: $vgpr10
                                        ; implicit-def: $vgpr11
                                        ; implicit-def: $vgpr16
                                        ; implicit-def: $vgpr18
                                        ; implicit-def: $vgpr15
                                        ; implicit-def: $vgpr17
                                        ; implicit-def: $vgpr19
                                        ; implicit-def: $vgpr20
                                        ; implicit-def: $vgpr21
                                        ; implicit-def: $vgpr47
                                        ; implicit-def: $vgpr49
                                        ; implicit-def: $vgpr51
                                        ; implicit-def: $vgpr48
                                        ; implicit-def: $vgpr50
                                        ; implicit-def: $vgpr52
                                        ; implicit-def: $vgpr53
                                        ; implicit-def: $vgpr54
                                        ; implicit-def: $vgpr55
                                        ; implicit-def: $vgpr56
                                        ; implicit-def: $vgpr57
	s_cbranch_execz .LBB616_259
; %bb.232:
	s_cmp_lg_u64 s[72:73], 0
	s_cselect_b32 s1, s71, 0
	s_cselect_b32 s0, s70, 0
	s_cmp_eq_u64 s[0:1], 0
	v_mov_b32_e32 v2, s74
	s_cbranch_scc1 .LBB616_234
; %bb.233:
	v_mov_b32_e32 v2, 0
	global_load_ushort v2, v2, s[0:1]
.LBB616_234:
	s_mov_b32 s0, 0x10000
	v_cmp_gt_u32_e32 vcc, s0, v25
	v_cmp_gt_u32_e64 s[4:5], s0, v29
	v_cmp_gt_u32_e64 s[6:7], s0, v30
	v_cndmask_b32_e32 v3, 1, v1, vcc
	v_mul_lo_u16_e32 v3, v3, v25
	v_cndmask_b32_e64 v3, 1, v3, s[4:5]
	v_mul_lo_u16_e32 v3, v3, v29
	v_cndmask_b32_e64 v3, 1, v3, s[6:7]
	v_mul_lo_u16_e32 v3, v3, v30
	v_cmp_gt_u32_e64 s[8:9], s0, v31
	v_cmp_gt_u32_e64 s[10:11], s0, v32
	v_cmp_gt_u32_e64 s[12:13], s0, v33
	v_cndmask_b32_e64 v3, 1, v3, s[8:9]
	v_mul_lo_u16_e32 v3, v3, v31
	v_cndmask_b32_e64 v3, 1, v3, s[10:11]
	v_mul_lo_u16_e32 v3, v3, v32
	v_cndmask_b32_e64 v3, 1, v3, s[12:13]
	v_mul_lo_u16_e32 v3, v3, v33
	v_cmp_gt_u32_e64 s[14:15], s0, v34
	v_cmp_gt_u32_e64 s[16:17], s0, v35
	v_cmp_gt_u32_e64 s[18:19], s0, v36
	v_cndmask_b32_e64 v3, 1, v3, s[14:15]
	;; [unrolled: 9-line block ×5, first 2 shown]
	v_mul_lo_u16_e32 v3, v3, v43
	v_cndmask_b32_e64 v3, 1, v3, s[36:37]
	v_mul_lo_u16_e32 v3, v3, v22
	v_cndmask_b32_e64 v3, 1, v3, s[38:39]
	v_or3_b32 v6, v14, v44, v22
	v_mul_lo_u16_e32 v3, v3, v44
	v_cmp_gt_u32_e64 s[40:41], s0, v23
	v_or3_b32 v6, v6, v43, v42
	v_or3_b32 v6, v6, v41, v40
	v_cndmask_b32_e64 v3, 1, v3, s[40:41]
	v_mul_lo_u16_e32 v3, v3, v23
	v_cmp_gt_u32_e64 s[42:43], s0, v45
	v_or3_b32 v6, v6, v39, v38
	v_or3_b32 v6, v6, v37, v36
	v_cndmask_b32_e64 v3, 1, v3, s[42:43]
	;; [unrolled: 5-line block ×4, first 2 shown]
	v_mul_lo_u16_e32 v3, v3, v46
	v_cmp_gt_u32_e64 s[0:1], s0, v12
	v_and_b32_e32 v6, 0x10000, v6
	v_and_b32_e32 v5, 0x10000, v1
	v_cndmask_b32_e64 v3, 1, v3, s[0:1]
	v_mov_b32_e32 v7, 0x10000
	v_cmp_ne_u32_e64 s[0:1], 0, v6
	v_mul_lo_u16_e32 v4, v3, v12
	v_mul_lo_u16_e32 v6, v3, v12
	v_cndmask_b32_e64 v7, v5, v7, s[0:1]
	v_mbcnt_hi_u32_b32 v3, -1, v13
	v_and_b32_e32 v8, 15, v3
	v_or_b32_e32 v6, v7, v6
	v_lshrrev_b32_e32 v5, 16, v7
	v_cmp_ne_u32_e64 s[0:1], 0, v8
	v_mov_b32_dpp v9, v6 row_shr:1 row_mask:0xf bank_mask:0xf
	s_and_saveexec_b64 s[48:49], s[0:1]
	s_cbranch_execz .LBB616_236
; %bb.235:
	v_cmp_eq_u32_e64 s[0:1], 0, v7
	v_and_b32_e32 v5, 0x10000, v7
	v_mov_b32_e32 v7, 1
	v_cndmask_b32_e64 v6, 1, v9, s[0:1]
	v_and_b32_sdwa v7, v9, v7 dst_sel:DWORD dst_unused:UNUSED_PAD src0_sel:WORD_1 src1_sel:DWORD
	v_cmp_ne_u32_e64 s[0:1], 0, v5
	v_mul_lo_u16_e32 v10, v6, v4
	v_mul_lo_u16_e32 v4, v6, v4
	v_cndmask_b32_e64 v5, v7, 1, s[0:1]
	v_lshlrev_b32_e32 v7, 16, v5
	v_or_b32_e32 v6, v7, v4
	v_mov_b32_e32 v4, v10
.LBB616_236:
	s_or_b64 exec, exec, s[48:49]
	v_lshrrev_b32_e32 v7, 16, v6
	v_mov_b32_dpp v9, v6 row_shr:2 row_mask:0xf bank_mask:0xf
	v_cmp_lt_u32_e64 s[0:1], 1, v8
	s_and_saveexec_b64 s[48:49], s[0:1]
	s_cbranch_execz .LBB616_238
; %bb.237:
	s_mov_b32 s0, 0x10000
	v_cmp_gt_u32_e64 s[0:1], s0, v6
	v_and_b32_e32 v5, 0x10000, v6
	v_mov_b32_e32 v6, 1
	v_cndmask_b32_e64 v7, 1, v9, s[0:1]
	v_and_b32_sdwa v6, v9, v6 dst_sel:DWORD dst_unused:UNUSED_PAD src0_sel:WORD_1 src1_sel:DWORD
	v_cmp_ne_u32_e64 s[0:1], 0, v5
	v_mul_lo_u16_e32 v10, v7, v4
	v_mul_lo_u16_e32 v4, v7, v4
	v_cndmask_b32_e64 v5, v6, 1, s[0:1]
	v_lshlrev_b32_e32 v6, 16, v5
	v_or_b32_e32 v6, v6, v4
	v_mov_b32_e32 v7, v5
	v_mov_b32_e32 v4, v10
.LBB616_238:
	s_or_b64 exec, exec, s[48:49]
	v_mov_b32_dpp v9, v6 row_shr:4 row_mask:0xf bank_mask:0xf
	v_cmp_lt_u32_e64 s[0:1], 3, v8
	s_and_saveexec_b64 s[48:49], s[0:1]
	s_cbranch_execz .LBB616_240
; %bb.239:
	v_cmp_eq_u16_e64 s[0:1], 0, v7
	v_and_b32_e32 v5, 1, v7
	v_mov_b32_e32 v7, 1
	v_cndmask_b32_e64 v6, 1, v9, s[0:1]
	v_and_b32_sdwa v7, v9, v7 dst_sel:DWORD dst_unused:UNUSED_PAD src0_sel:WORD_1 src1_sel:DWORD
	v_cmp_eq_u32_e64 s[0:1], 1, v5
	v_mul_lo_u16_e32 v10, v6, v4
	v_mul_lo_u16_e32 v4, v6, v4
	v_cndmask_b32_e64 v5, v7, 1, s[0:1]
	v_lshlrev_b32_e32 v7, 16, v5
	v_or_b32_e32 v6, v7, v4
	v_mov_b32_e32 v7, v5
	v_mov_b32_e32 v4, v10
.LBB616_240:
	s_or_b64 exec, exec, s[48:49]
	v_mov_b32_dpp v9, v6 row_shr:8 row_mask:0xf bank_mask:0xf
	v_cmp_lt_u32_e64 s[0:1], 7, v8
	s_and_saveexec_b64 s[48:49], s[0:1]
	s_cbranch_execz .LBB616_242
; %bb.241:
	v_cmp_eq_u16_e64 s[0:1], 0, v7
	v_and_b32_e32 v5, 1, v7
	v_mov_b32_e32 v7, 1
	v_cndmask_b32_e64 v6, 1, v9, s[0:1]
	v_and_b32_sdwa v7, v9, v7 dst_sel:DWORD dst_unused:UNUSED_PAD src0_sel:WORD_1 src1_sel:DWORD
	v_cmp_eq_u32_e64 s[0:1], 1, v5
	v_mul_lo_u16_e32 v8, v6, v4
	v_mul_lo_u16_e32 v4, v6, v4
	v_cndmask_b32_e64 v5, v7, 1, s[0:1]
	v_lshlrev_b32_e32 v7, 16, v5
	v_or_b32_e32 v6, v7, v4
	v_mov_b32_e32 v7, v5
	v_mov_b32_e32 v4, v8
.LBB616_242:
	s_or_b64 exec, exec, s[48:49]
	v_and_b32_e32 v9, 16, v3
	v_mov_b32_dpp v8, v6 row_bcast:15 row_mask:0xf bank_mask:0xf
	v_cmp_ne_u32_e64 s[0:1], 0, v9
	s_and_saveexec_b64 s[48:49], s[0:1]
	s_cbranch_execz .LBB616_244
; %bb.243:
	v_cmp_eq_u16_e64 s[0:1], 0, v7
	v_and_b32_e32 v5, 1, v7
	v_mov_b32_e32 v7, 1
	v_cndmask_b32_e64 v6, 1, v8, s[0:1]
	v_and_b32_sdwa v7, v8, v7 dst_sel:DWORD dst_unused:UNUSED_PAD src0_sel:WORD_1 src1_sel:DWORD
	v_cmp_eq_u32_e64 s[0:1], 1, v5
	v_mul_lo_u16_e32 v9, v6, v4
	v_mul_lo_u16_e32 v4, v6, v4
	v_cndmask_b32_e64 v5, v7, 1, s[0:1]
	v_lshlrev_b32_e32 v7, 16, v5
	v_or_b32_e32 v6, v7, v4
	v_mov_b32_e32 v7, v5
	v_mov_b32_e32 v4, v9
.LBB616_244:
	s_or_b64 exec, exec, s[48:49]
	v_mov_b32_dpp v6, v6 row_bcast:31 row_mask:0xf bank_mask:0xf
	v_cmp_lt_u32_e64 s[0:1], 31, v3
	s_and_saveexec_b64 s[48:49], s[0:1]
; %bb.245:
	v_cmp_eq_u16_e64 s[0:1], 0, v7
	s_nop 1
	v_cndmask_b32_e64 v5, 1, v6, s[0:1]
	v_mul_lo_u16_e32 v4, v5, v4
	v_and_b32_e32 v5, 1, v7
	v_mov_b32_e32 v7, 1
	v_and_b32_sdwa v6, v6, v7 dst_sel:DWORD dst_unused:UNUSED_PAD src0_sel:WORD_1 src1_sel:DWORD
	v_cmp_eq_u32_e64 s[0:1], 1, v5
	s_nop 1
	v_cndmask_b32_e64 v5, v6, 1, s[0:1]
; %bb.246:
	s_or_b64 exec, exec, s[48:49]
	v_or_b32_e32 v7, 63, v0
	v_lshrrev_b32_e32 v6, 6, v0
	v_cmp_eq_u32_e64 s[0:1], v7, v0
	s_and_saveexec_b64 s[48:49], s[0:1]
	s_cbranch_execz .LBB616_248
; %bb.247:
	v_lshlrev_b32_e32 v7, 2, v6
	ds_write_b16 v7, v4
	ds_write_b8 v7, v5 offset:2
.LBB616_248:
	s_or_b64 exec, exec, s[48:49]
	v_cmp_gt_u32_e64 s[0:1], 4, v0
	s_waitcnt lgkmcnt(0)
	s_barrier
	s_and_saveexec_b64 s[48:49], s[0:1]
	s_cbranch_execz .LBB616_254
; %bb.249:
	v_lshlrev_b32_e32 v7, 2, v0
	ds_read_b32 v8, v7
	v_and_b32_e32 v11, 3, v3
	v_cmp_ne_u32_e64 s[0:1], 0, v11
	s_waitcnt lgkmcnt(0)
	v_lshrrev_b32_e32 v10, 16, v8
	v_mov_b32_dpp v12, v8 row_shr:1 row_mask:0xf bank_mask:0xf
	v_mov_b32_e32 v9, v8
	s_and_saveexec_b64 s[50:51], s[0:1]
	s_cbranch_execz .LBB616_251
; %bb.250:
	v_mov_b32_e32 v9, 0
	v_cmp_eq_u16_sdwa s[0:1], v10, v9 src0_sel:BYTE_0 src1_sel:DWORD
	v_and_b32_e32 v10, 0x10000, v8
	v_mov_b32_e32 v15, 1
	v_cndmask_b32_e64 v14, 1, v12, s[0:1]
	v_and_b32_sdwa v12, v12, v15 dst_sel:DWORD dst_unused:UNUSED_PAD src0_sel:WORD_1 src1_sel:DWORD
	v_cmp_ne_u32_e64 s[0:1], 0, v10
	v_and_b32_e32 v13, 0xff000000, v8
	v_mul_lo_u16_e32 v9, v14, v8
	v_cndmask_b32_e64 v10, v12, 1, s[0:1]
	v_lshlrev_b32_e32 v12, 16, v10
	v_mul_lo_u16_e32 v8, v14, v8
	v_or3_b32 v8, v12, v13, v8
.LBB616_251:
	s_or_b64 exec, exec, s[50:51]
	s_nop 0
	v_mov_b32_dpp v12, v8 row_shr:2 row_mask:0xf bank_mask:0xf
	v_cmp_lt_u32_e64 s[0:1], 1, v11
	s_and_saveexec_b64 s[50:51], s[0:1]
; %bb.252:
	v_and_b32_e32 v10, 0xff0000, v8
	v_cmp_eq_u32_e64 s[0:1], 0, v10
	v_and_b32_e32 v8, 0x10000, v8
	s_nop 0
	v_cndmask_b32_e64 v10, 1, v12, s[0:1]
	v_mul_lo_u16_e32 v9, v10, v9
	v_mov_b32_e32 v10, 1
	v_and_b32_sdwa v10, v12, v10 dst_sel:DWORD dst_unused:UNUSED_PAD src0_sel:WORD_1 src1_sel:DWORD
	v_cmp_eq_u32_e64 s[0:1], 0, v8
	s_nop 1
	v_cndmask_b32_e64 v10, 1, v10, s[0:1]
; %bb.253:
	s_or_b64 exec, exec, s[50:51]
	ds_write_b16 v7, v9
	ds_write_b8 v7, v10 offset:2
.LBB616_254:
	s_or_b64 exec, exec, s[48:49]
	v_cmp_lt_u32_e64 s[0:1], 63, v0
	v_mov_b32_e32 v8, 0
	s_waitcnt vmcnt(0)
	v_mov_b32_e32 v7, v2
	s_waitcnt lgkmcnt(0)
	s_barrier
	s_and_saveexec_b64 s[48:49], s[0:1]
	s_cbranch_execz .LBB616_256
; %bb.255:
	v_lshl_add_u32 v6, v6, 2, -4
	ds_read_u8 v8, v6 offset:2
	ds_read_u16 v6, v6
	s_waitcnt lgkmcnt(1)
	v_cmp_eq_u16_e64 s[0:1], 0, v8
	s_nop 1
	v_cndmask_b32_e64 v7, 1, v2, s[0:1]
	s_waitcnt lgkmcnt(0)
	v_mul_lo_u16_e32 v7, v7, v6
.LBB616_256:
	s_or_b64 exec, exec, s[48:49]
	v_cmp_eq_u16_e64 s[0:1], 0, v5
	v_and_b32_e32 v5, 1, v5
	v_lshlrev_b32_e32 v8, 16, v8
	v_cndmask_b32_e64 v6, 1, v7, s[0:1]
	v_mov_b32_e32 v9, 0x10000
	v_cmp_eq_u32_e64 s[0:1], 1, v5
	v_mul_lo_u16_e32 v4, v6, v4
	v_and_b32_e32 v6, 64, v3
	v_cndmask_b32_e64 v5, v8, v9, s[0:1]
	v_or_b32_e32 v4, v5, v4
	v_add_u32_e32 v5, -1, v3
	v_cmp_lt_i32_e64 s[0:1], v5, v6
	s_nop 1
	v_cndmask_b32_e64 v5, v5, v3, s[0:1]
	v_lshlrev_b32_e32 v5, 2, v5
	ds_bpermute_b32 v4, v5, v4
	v_cmp_eq_u32_e64 s[0:1], 0, v3
	s_waitcnt lgkmcnt(0)
	s_nop 0
	v_cndmask_b32_e64 v8, v4, v7, s[0:1]
	v_and_b32_e32 v4, 0xff0000, v1
	v_cndmask_b32_e64 v3, v8, v2, s[52:53]
	v_cmp_eq_u32_e64 s[0:1], 0, v4
	s_nop 1
	v_cndmask_b32_e64 v3, 1, v3, s[0:1]
	v_mul_lo_u16_e32 v6, v3, v1
	v_cndmask_b32_e32 v1, 1, v6, vcc
	v_mul_lo_u16_e32 v7, v1, v25
	v_cndmask_b32_e64 v1, 1, v7, s[4:5]
	v_mul_lo_u16_e32 v9, v1, v29
	v_cndmask_b32_e64 v1, 1, v9, s[6:7]
	;; [unrolled: 2-line block ×21, first 2 shown]
	s_and_saveexec_b64 s[0:1], s[52:53]
	s_cbranch_execz .LBB616_258
; %bb.257:
	v_mov_b32_e32 v3, 0
	ds_read_u8 v4, v3 offset:14
	ds_read_u16 v8, v3 offset:12
	v_mov_b32_e32 v5, 2
	s_waitcnt lgkmcnt(1)
	v_cmp_eq_u32_e32 vcc, 0, v4
	v_lshlrev_b32_e32 v12, 16, v4
	s_nop 0
	v_cndmask_b32_e32 v4, 1, v2, vcc
	s_waitcnt lgkmcnt(0)
	v_mul_lo_u32 v4, v4, v8
	v_or_b32_sdwa v4, v12, v4 dst_sel:DWORD dst_unused:UNUSED_PAD src0_sel:DWORD src1_sel:WORD_0
	v_mov_b32_e32 v8, v2
	global_store_dwordx2 v3, v[4:5], s[64:65] offset:512 sc1
.LBB616_258:
	s_or_b64 exec, exec, s[0:1]
	v_mul_lo_u16_e32 v57, v1, v46
.LBB616_259:
	s_add_u32 s0, s62, s54
	s_addc_u32 s1, s63, s55
	v_mul_u32_u24_e32 v1, 24, v0
	v_lshl_add_u64 v[2:3], s[0:1], 0, v[26:27]
	s_and_b64 vcc, exec, s[2:3]
	v_lshlrev_b32_e32 v12, 1, v1
	s_cbranch_vccz .LBB616_307
; %bb.260:
	s_mov_b32 s0, 0x5040100
	v_perm_b32 v25, v18, v16, s0
	v_perm_b32 v24, v11, v10, s0
	;; [unrolled: 1-line block ×4, first 2 shown]
	s_barrier
	ds_write_b128 v12, v[22:25]
	v_perm_b32 v25, v51, v49, s0
	v_perm_b32 v24, v47, v21, s0
	;; [unrolled: 1-line block ×4, first 2 shown]
	ds_write_b128 v12, v[22:25] offset:16
	v_perm_b32 v25, v57, v56, s0
	v_perm_b32 v24, v55, v54, s0
	;; [unrolled: 1-line block ×4, first 2 shown]
	s_movk_i32 s0, 0xffd2
	v_mad_i32_i24 v4, v0, s0, v12
	ds_write_b128 v12, v[22:25] offset:32
	s_waitcnt lgkmcnt(0)
	s_barrier
	ds_read_u16 v43, v4 offset:512
	ds_read_u16 v42, v4 offset:1024
	;; [unrolled: 1-line block ×23, first 2 shown]
	s_add_i32 s33, s33, s66
	v_mov_b32_e32 v29, 0
	v_lshl_add_u64 v[4:5], v[2:3], 0, v[28:29]
	v_cmp_gt_u32_e32 vcc, s33, v0
	s_and_saveexec_b64 s[0:1], vcc
	s_cbranch_execz .LBB616_262
; %bb.261:
	v_mul_i32_i24_e32 v44, 0xffffffd2, v0
	v_add_u32_e32 v44, v12, v44
	ds_read_u16 v44, v44
	s_waitcnt lgkmcnt(0)
	flat_store_short v[4:5], v44
.LBB616_262:
	s_or_b64 exec, exec, s[0:1]
	v_or_b32_e32 v44, 0x100, v0
	v_cmp_gt_u32_e32 vcc, s33, v44
	s_and_saveexec_b64 s[0:1], vcc
	s_cbranch_execz .LBB616_264
; %bb.263:
	s_waitcnt lgkmcnt(0)
	flat_store_short v[4:5], v43 offset:512
.LBB616_264:
	s_or_b64 exec, exec, s[0:1]
	s_waitcnt lgkmcnt(0)
	v_or_b32_e32 v43, 0x200, v0
	v_cmp_gt_u32_e32 vcc, s33, v43
	s_and_saveexec_b64 s[0:1], vcc
	s_cbranch_execz .LBB616_266
; %bb.265:
	flat_store_short v[4:5], v42 offset:1024
.LBB616_266:
	s_or_b64 exec, exec, s[0:1]
	v_or_b32_e32 v42, 0x300, v0
	v_cmp_gt_u32_e32 vcc, s33, v42
	s_and_saveexec_b64 s[0:1], vcc
	s_cbranch_execz .LBB616_268
; %bb.267:
	flat_store_short v[4:5], v41 offset:1536
.LBB616_268:
	s_or_b64 exec, exec, s[0:1]
	;; [unrolled: 8-line block ×6, first 2 shown]
	v_or_b32_e32 v37, 0x800, v0
	v_cmp_gt_u32_e32 vcc, s33, v37
	s_and_saveexec_b64 s[0:1], vcc
	s_cbranch_execz .LBB616_278
; %bb.277:
	v_add_co_u32_e32 v38, vcc, 0x1000, v4
	s_nop 1
	v_addc_co_u32_e32 v39, vcc, 0, v5, vcc
	flat_store_short v[38:39], v36
.LBB616_278:
	s_or_b64 exec, exec, s[0:1]
	v_or_b32_e32 v36, 0x900, v0
	v_cmp_gt_u32_e32 vcc, s33, v36
	s_and_saveexec_b64 s[0:1], vcc
	s_cbranch_execz .LBB616_280
; %bb.279:
	v_add_co_u32_e32 v36, vcc, 0x1000, v4
	s_nop 1
	v_addc_co_u32_e32 v37, vcc, 0, v5, vcc
	flat_store_short v[36:37], v35 offset:512
.LBB616_280:
	s_or_b64 exec, exec, s[0:1]
	v_or_b32_e32 v35, 0xa00, v0
	v_cmp_gt_u32_e32 vcc, s33, v35
	s_and_saveexec_b64 s[0:1], vcc
	s_cbranch_execz .LBB616_282
; %bb.281:
	v_add_co_u32_e32 v36, vcc, 0x1000, v4
	s_nop 1
	v_addc_co_u32_e32 v37, vcc, 0, v5, vcc
	flat_store_short v[36:37], v34 offset:1024
.LBB616_282:
	;; [unrolled: 11-line block ×7, first 2 shown]
	s_or_b64 exec, exec, s[0:1]
	v_or_b32_e32 v27, 0x1000, v0
	v_cmp_gt_u32_e32 vcc, s33, v27
	s_and_saveexec_b64 s[0:1], vcc
	s_cbranch_execz .LBB616_294
; %bb.293:
	v_add_co_u32_e32 v30, vcc, 0x2000, v4
	s_nop 1
	v_addc_co_u32_e32 v31, vcc, 0, v5, vcc
	flat_store_short v[30:31], v26
.LBB616_294:
	s_or_b64 exec, exec, s[0:1]
	v_or_b32_e32 v26, 0x1100, v0
	v_cmp_gt_u32_e32 vcc, s33, v26
	s_and_saveexec_b64 s[0:1], vcc
	s_cbranch_execz .LBB616_296
; %bb.295:
	v_add_co_u32_e32 v26, vcc, 0x2000, v4
	s_nop 1
	v_addc_co_u32_e32 v27, vcc, 0, v5, vcc
	flat_store_short v[26:27], v25 offset:512
.LBB616_296:
	s_or_b64 exec, exec, s[0:1]
	v_or_b32_e32 v25, 0x1200, v0
	v_cmp_gt_u32_e32 vcc, s33, v25
	s_and_saveexec_b64 s[0:1], vcc
	s_cbranch_execz .LBB616_298
; %bb.297:
	v_add_co_u32_e32 v26, vcc, 0x2000, v4
	s_nop 1
	v_addc_co_u32_e32 v27, vcc, 0, v5, vcc
	flat_store_short v[26:27], v24 offset:1024
.LBB616_298:
	;; [unrolled: 11-line block ×6, first 2 shown]
	s_or_b64 exec, exec, s[0:1]
	v_or_b32_e32 v4, 0x1700, v0
	v_mov_b32_e32 v1, v29
	v_cmp_gt_u32_e64 s[0:1], s33, v4
	s_branch .LBB616_309
.LBB616_307:
	s_mov_b64 s[0:1], 0
                                        ; implicit-def: $vgpr13
	s_cbranch_execz .LBB616_309
; %bb.308:
	s_mov_b32 s2, 0x5040100
	v_perm_b32 v23, v9, v7, s2
	v_perm_b32 v22, v6, v8, s2
	;; [unrolled: 1-line block ×6, first 2 shown]
	s_waitcnt lgkmcnt(0)
	s_barrier
	v_perm_b32 v25, v18, v16, s2
	v_perm_b32 v24, v11, v10, s2
	ds_write_b128 v12, v[4:7] offset:16
	v_perm_b32 v7, v57, v56, s2
	v_perm_b32 v6, v55, v54, s2
	;; [unrolled: 1-line block ×4, first 2 shown]
	v_mov_b32_e32 v1, 0
	s_movk_i32 s2, 0xffd2
	ds_write_b128 v12, v[4:7] offset:32
	v_mad_i32_i24 v4, v0, s2, v12
	v_mov_b32_e32 v29, v1
	ds_write_b128 v12, v[22:25]
	s_waitcnt lgkmcnt(0)
	s_barrier
	ds_read_u16 v6, v4
	ds_read_u16 v7, v4 offset:512
	ds_read_u16 v8, v4 offset:1024
	;; [unrolled: 1-line block ×23, first 2 shown]
	v_lshl_add_u64 v[4:5], v[2:3], 0, v[28:29]
	s_movk_i32 s2, 0x1000
	s_waitcnt lgkmcnt(0)
	flat_store_short v[4:5], v6
	flat_store_short v[4:5], v7 offset:512
	flat_store_short v[4:5], v8 offset:1024
	;; [unrolled: 1-line block ×7, first 2 shown]
	v_add_co_u32_e32 v6, vcc, s2, v4
	s_or_b64 s[0:1], s[0:1], exec
	s_nop 0
	v_addc_co_u32_e32 v7, vcc, 0, v5, vcc
	v_add_co_u32_e32 v4, vcc, 0x2000, v4
	flat_store_short v[6:7], v15
	flat_store_short v[6:7], v16 offset:512
	flat_store_short v[6:7], v17 offset:1024
	;; [unrolled: 1-line block ×7, first 2 shown]
	v_addc_co_u32_e32 v5, vcc, 0, v5, vcc
	flat_store_short v[4:5], v23
	flat_store_short v[4:5], v24 offset:512
	flat_store_short v[4:5], v25 offset:1024
	;; [unrolled: 1-line block ×6, first 2 shown]
.LBB616_309:
	s_and_saveexec_b64 s[2:3], s[0:1]
	s_cbranch_execz .LBB616_311
; %bb.310:
	v_lshl_add_u64 v[0:1], v[0:1], 1, v[2:3]
	v_add_co_u32_e32 v0, vcc, 0x2000, v0
	s_nop 1
	v_addc_co_u32_e32 v1, vcc, 0, v1, vcc
	flat_store_short v[0:1], v13 offset:3584
	s_endpgm
.LBB616_311:
	s_endpgm
	.section	.rodata,"a",@progbits
	.p2align	6, 0x0
	.amdhsa_kernel _ZN7rocprim17ROCPRIM_400000_NS6detail17trampoline_kernelINS0_14default_configENS1_27scan_by_key_config_selectorIssEEZZNS1_16scan_by_key_implILNS1_25lookback_scan_determinismE0ELb1ES3_N6thrust23THRUST_200600_302600_NS6detail15normal_iteratorINS9_10device_ptrIsEEEESE_SE_sNS9_10multipliesIsEENS9_8equal_toIsEEsEE10hipError_tPvRmT2_T3_T4_T5_mT6_T7_P12ihipStream_tbENKUlT_T0_E_clISt17integral_constantIbLb1EESZ_EEDaSU_SV_EUlSU_E_NS1_11comp_targetILNS1_3genE5ELNS1_11target_archE942ELNS1_3gpuE9ELNS1_3repE0EEENS1_30default_config_static_selectorELNS0_4arch9wavefront6targetE1EEEvT1_
		.amdhsa_group_segment_fixed_size 13312
		.amdhsa_private_segment_fixed_size 0
		.amdhsa_kernarg_size 112
		.amdhsa_user_sgpr_count 2
		.amdhsa_user_sgpr_dispatch_ptr 0
		.amdhsa_user_sgpr_queue_ptr 0
		.amdhsa_user_sgpr_kernarg_segment_ptr 1
		.amdhsa_user_sgpr_dispatch_id 0
		.amdhsa_user_sgpr_kernarg_preload_length 0
		.amdhsa_user_sgpr_kernarg_preload_offset 0
		.amdhsa_user_sgpr_private_segment_size 0
		.amdhsa_uses_dynamic_stack 0
		.amdhsa_enable_private_segment 0
		.amdhsa_system_sgpr_workgroup_id_x 1
		.amdhsa_system_sgpr_workgroup_id_y 0
		.amdhsa_system_sgpr_workgroup_id_z 0
		.amdhsa_system_sgpr_workgroup_info 0
		.amdhsa_system_vgpr_workitem_id 0
		.amdhsa_next_free_vgpr 62
		.amdhsa_next_free_sgpr 75
		.amdhsa_accum_offset 64
		.amdhsa_reserve_vcc 1
		.amdhsa_float_round_mode_32 0
		.amdhsa_float_round_mode_16_64 0
		.amdhsa_float_denorm_mode_32 3
		.amdhsa_float_denorm_mode_16_64 3
		.amdhsa_dx10_clamp 1
		.amdhsa_ieee_mode 1
		.amdhsa_fp16_overflow 0
		.amdhsa_tg_split 0
		.amdhsa_exception_fp_ieee_invalid_op 0
		.amdhsa_exception_fp_denorm_src 0
		.amdhsa_exception_fp_ieee_div_zero 0
		.amdhsa_exception_fp_ieee_overflow 0
		.amdhsa_exception_fp_ieee_underflow 0
		.amdhsa_exception_fp_ieee_inexact 0
		.amdhsa_exception_int_div_zero 0
	.end_amdhsa_kernel
	.section	.text._ZN7rocprim17ROCPRIM_400000_NS6detail17trampoline_kernelINS0_14default_configENS1_27scan_by_key_config_selectorIssEEZZNS1_16scan_by_key_implILNS1_25lookback_scan_determinismE0ELb1ES3_N6thrust23THRUST_200600_302600_NS6detail15normal_iteratorINS9_10device_ptrIsEEEESE_SE_sNS9_10multipliesIsEENS9_8equal_toIsEEsEE10hipError_tPvRmT2_T3_T4_T5_mT6_T7_P12ihipStream_tbENKUlT_T0_E_clISt17integral_constantIbLb1EESZ_EEDaSU_SV_EUlSU_E_NS1_11comp_targetILNS1_3genE5ELNS1_11target_archE942ELNS1_3gpuE9ELNS1_3repE0EEENS1_30default_config_static_selectorELNS0_4arch9wavefront6targetE1EEEvT1_,"axG",@progbits,_ZN7rocprim17ROCPRIM_400000_NS6detail17trampoline_kernelINS0_14default_configENS1_27scan_by_key_config_selectorIssEEZZNS1_16scan_by_key_implILNS1_25lookback_scan_determinismE0ELb1ES3_N6thrust23THRUST_200600_302600_NS6detail15normal_iteratorINS9_10device_ptrIsEEEESE_SE_sNS9_10multipliesIsEENS9_8equal_toIsEEsEE10hipError_tPvRmT2_T3_T4_T5_mT6_T7_P12ihipStream_tbENKUlT_T0_E_clISt17integral_constantIbLb1EESZ_EEDaSU_SV_EUlSU_E_NS1_11comp_targetILNS1_3genE5ELNS1_11target_archE942ELNS1_3gpuE9ELNS1_3repE0EEENS1_30default_config_static_selectorELNS0_4arch9wavefront6targetE1EEEvT1_,comdat
.Lfunc_end616:
	.size	_ZN7rocprim17ROCPRIM_400000_NS6detail17trampoline_kernelINS0_14default_configENS1_27scan_by_key_config_selectorIssEEZZNS1_16scan_by_key_implILNS1_25lookback_scan_determinismE0ELb1ES3_N6thrust23THRUST_200600_302600_NS6detail15normal_iteratorINS9_10device_ptrIsEEEESE_SE_sNS9_10multipliesIsEENS9_8equal_toIsEEsEE10hipError_tPvRmT2_T3_T4_T5_mT6_T7_P12ihipStream_tbENKUlT_T0_E_clISt17integral_constantIbLb1EESZ_EEDaSU_SV_EUlSU_E_NS1_11comp_targetILNS1_3genE5ELNS1_11target_archE942ELNS1_3gpuE9ELNS1_3repE0EEENS1_30default_config_static_selectorELNS0_4arch9wavefront6targetE1EEEvT1_, .Lfunc_end616-_ZN7rocprim17ROCPRIM_400000_NS6detail17trampoline_kernelINS0_14default_configENS1_27scan_by_key_config_selectorIssEEZZNS1_16scan_by_key_implILNS1_25lookback_scan_determinismE0ELb1ES3_N6thrust23THRUST_200600_302600_NS6detail15normal_iteratorINS9_10device_ptrIsEEEESE_SE_sNS9_10multipliesIsEENS9_8equal_toIsEEsEE10hipError_tPvRmT2_T3_T4_T5_mT6_T7_P12ihipStream_tbENKUlT_T0_E_clISt17integral_constantIbLb1EESZ_EEDaSU_SV_EUlSU_E_NS1_11comp_targetILNS1_3genE5ELNS1_11target_archE942ELNS1_3gpuE9ELNS1_3repE0EEENS1_30default_config_static_selectorELNS0_4arch9wavefront6targetE1EEEvT1_
                                        ; -- End function
	.section	.AMDGPU.csdata,"",@progbits
; Kernel info:
; codeLenInByte = 16672
; NumSgprs: 81
; NumVgprs: 62
; NumAgprs: 0
; TotalNumVgprs: 62
; ScratchSize: 0
; MemoryBound: 0
; FloatMode: 240
; IeeeMode: 1
; LDSByteSize: 13312 bytes/workgroup (compile time only)
; SGPRBlocks: 10
; VGPRBlocks: 7
; NumSGPRsForWavesPerEU: 81
; NumVGPRsForWavesPerEU: 62
; AccumOffset: 64
; Occupancy: 4
; WaveLimiterHint : 1
; COMPUTE_PGM_RSRC2:SCRATCH_EN: 0
; COMPUTE_PGM_RSRC2:USER_SGPR: 2
; COMPUTE_PGM_RSRC2:TRAP_HANDLER: 0
; COMPUTE_PGM_RSRC2:TGID_X_EN: 1
; COMPUTE_PGM_RSRC2:TGID_Y_EN: 0
; COMPUTE_PGM_RSRC2:TGID_Z_EN: 0
; COMPUTE_PGM_RSRC2:TIDIG_COMP_CNT: 0
; COMPUTE_PGM_RSRC3_GFX90A:ACCUM_OFFSET: 15
; COMPUTE_PGM_RSRC3_GFX90A:TG_SPLIT: 0
	.section	.text._ZN7rocprim17ROCPRIM_400000_NS6detail17trampoline_kernelINS0_14default_configENS1_27scan_by_key_config_selectorIssEEZZNS1_16scan_by_key_implILNS1_25lookback_scan_determinismE0ELb1ES3_N6thrust23THRUST_200600_302600_NS6detail15normal_iteratorINS9_10device_ptrIsEEEESE_SE_sNS9_10multipliesIsEENS9_8equal_toIsEEsEE10hipError_tPvRmT2_T3_T4_T5_mT6_T7_P12ihipStream_tbENKUlT_T0_E_clISt17integral_constantIbLb1EESZ_EEDaSU_SV_EUlSU_E_NS1_11comp_targetILNS1_3genE4ELNS1_11target_archE910ELNS1_3gpuE8ELNS1_3repE0EEENS1_30default_config_static_selectorELNS0_4arch9wavefront6targetE1EEEvT1_,"axG",@progbits,_ZN7rocprim17ROCPRIM_400000_NS6detail17trampoline_kernelINS0_14default_configENS1_27scan_by_key_config_selectorIssEEZZNS1_16scan_by_key_implILNS1_25lookback_scan_determinismE0ELb1ES3_N6thrust23THRUST_200600_302600_NS6detail15normal_iteratorINS9_10device_ptrIsEEEESE_SE_sNS9_10multipliesIsEENS9_8equal_toIsEEsEE10hipError_tPvRmT2_T3_T4_T5_mT6_T7_P12ihipStream_tbENKUlT_T0_E_clISt17integral_constantIbLb1EESZ_EEDaSU_SV_EUlSU_E_NS1_11comp_targetILNS1_3genE4ELNS1_11target_archE910ELNS1_3gpuE8ELNS1_3repE0EEENS1_30default_config_static_selectorELNS0_4arch9wavefront6targetE1EEEvT1_,comdat
	.protected	_ZN7rocprim17ROCPRIM_400000_NS6detail17trampoline_kernelINS0_14default_configENS1_27scan_by_key_config_selectorIssEEZZNS1_16scan_by_key_implILNS1_25lookback_scan_determinismE0ELb1ES3_N6thrust23THRUST_200600_302600_NS6detail15normal_iteratorINS9_10device_ptrIsEEEESE_SE_sNS9_10multipliesIsEENS9_8equal_toIsEEsEE10hipError_tPvRmT2_T3_T4_T5_mT6_T7_P12ihipStream_tbENKUlT_T0_E_clISt17integral_constantIbLb1EESZ_EEDaSU_SV_EUlSU_E_NS1_11comp_targetILNS1_3genE4ELNS1_11target_archE910ELNS1_3gpuE8ELNS1_3repE0EEENS1_30default_config_static_selectorELNS0_4arch9wavefront6targetE1EEEvT1_ ; -- Begin function _ZN7rocprim17ROCPRIM_400000_NS6detail17trampoline_kernelINS0_14default_configENS1_27scan_by_key_config_selectorIssEEZZNS1_16scan_by_key_implILNS1_25lookback_scan_determinismE0ELb1ES3_N6thrust23THRUST_200600_302600_NS6detail15normal_iteratorINS9_10device_ptrIsEEEESE_SE_sNS9_10multipliesIsEENS9_8equal_toIsEEsEE10hipError_tPvRmT2_T3_T4_T5_mT6_T7_P12ihipStream_tbENKUlT_T0_E_clISt17integral_constantIbLb1EESZ_EEDaSU_SV_EUlSU_E_NS1_11comp_targetILNS1_3genE4ELNS1_11target_archE910ELNS1_3gpuE8ELNS1_3repE0EEENS1_30default_config_static_selectorELNS0_4arch9wavefront6targetE1EEEvT1_
	.globl	_ZN7rocprim17ROCPRIM_400000_NS6detail17trampoline_kernelINS0_14default_configENS1_27scan_by_key_config_selectorIssEEZZNS1_16scan_by_key_implILNS1_25lookback_scan_determinismE0ELb1ES3_N6thrust23THRUST_200600_302600_NS6detail15normal_iteratorINS9_10device_ptrIsEEEESE_SE_sNS9_10multipliesIsEENS9_8equal_toIsEEsEE10hipError_tPvRmT2_T3_T4_T5_mT6_T7_P12ihipStream_tbENKUlT_T0_E_clISt17integral_constantIbLb1EESZ_EEDaSU_SV_EUlSU_E_NS1_11comp_targetILNS1_3genE4ELNS1_11target_archE910ELNS1_3gpuE8ELNS1_3repE0EEENS1_30default_config_static_selectorELNS0_4arch9wavefront6targetE1EEEvT1_
	.p2align	8
	.type	_ZN7rocprim17ROCPRIM_400000_NS6detail17trampoline_kernelINS0_14default_configENS1_27scan_by_key_config_selectorIssEEZZNS1_16scan_by_key_implILNS1_25lookback_scan_determinismE0ELb1ES3_N6thrust23THRUST_200600_302600_NS6detail15normal_iteratorINS9_10device_ptrIsEEEESE_SE_sNS9_10multipliesIsEENS9_8equal_toIsEEsEE10hipError_tPvRmT2_T3_T4_T5_mT6_T7_P12ihipStream_tbENKUlT_T0_E_clISt17integral_constantIbLb1EESZ_EEDaSU_SV_EUlSU_E_NS1_11comp_targetILNS1_3genE4ELNS1_11target_archE910ELNS1_3gpuE8ELNS1_3repE0EEENS1_30default_config_static_selectorELNS0_4arch9wavefront6targetE1EEEvT1_,@function
_ZN7rocprim17ROCPRIM_400000_NS6detail17trampoline_kernelINS0_14default_configENS1_27scan_by_key_config_selectorIssEEZZNS1_16scan_by_key_implILNS1_25lookback_scan_determinismE0ELb1ES3_N6thrust23THRUST_200600_302600_NS6detail15normal_iteratorINS9_10device_ptrIsEEEESE_SE_sNS9_10multipliesIsEENS9_8equal_toIsEEsEE10hipError_tPvRmT2_T3_T4_T5_mT6_T7_P12ihipStream_tbENKUlT_T0_E_clISt17integral_constantIbLb1EESZ_EEDaSU_SV_EUlSU_E_NS1_11comp_targetILNS1_3genE4ELNS1_11target_archE910ELNS1_3gpuE8ELNS1_3repE0EEENS1_30default_config_static_selectorELNS0_4arch9wavefront6targetE1EEEvT1_: ; @_ZN7rocprim17ROCPRIM_400000_NS6detail17trampoline_kernelINS0_14default_configENS1_27scan_by_key_config_selectorIssEEZZNS1_16scan_by_key_implILNS1_25lookback_scan_determinismE0ELb1ES3_N6thrust23THRUST_200600_302600_NS6detail15normal_iteratorINS9_10device_ptrIsEEEESE_SE_sNS9_10multipliesIsEENS9_8equal_toIsEEsEE10hipError_tPvRmT2_T3_T4_T5_mT6_T7_P12ihipStream_tbENKUlT_T0_E_clISt17integral_constantIbLb1EESZ_EEDaSU_SV_EUlSU_E_NS1_11comp_targetILNS1_3genE4ELNS1_11target_archE910ELNS1_3gpuE8ELNS1_3repE0EEENS1_30default_config_static_selectorELNS0_4arch9wavefront6targetE1EEEvT1_
; %bb.0:
	.section	.rodata,"a",@progbits
	.p2align	6, 0x0
	.amdhsa_kernel _ZN7rocprim17ROCPRIM_400000_NS6detail17trampoline_kernelINS0_14default_configENS1_27scan_by_key_config_selectorIssEEZZNS1_16scan_by_key_implILNS1_25lookback_scan_determinismE0ELb1ES3_N6thrust23THRUST_200600_302600_NS6detail15normal_iteratorINS9_10device_ptrIsEEEESE_SE_sNS9_10multipliesIsEENS9_8equal_toIsEEsEE10hipError_tPvRmT2_T3_T4_T5_mT6_T7_P12ihipStream_tbENKUlT_T0_E_clISt17integral_constantIbLb1EESZ_EEDaSU_SV_EUlSU_E_NS1_11comp_targetILNS1_3genE4ELNS1_11target_archE910ELNS1_3gpuE8ELNS1_3repE0EEENS1_30default_config_static_selectorELNS0_4arch9wavefront6targetE1EEEvT1_
		.amdhsa_group_segment_fixed_size 0
		.amdhsa_private_segment_fixed_size 0
		.amdhsa_kernarg_size 112
		.amdhsa_user_sgpr_count 2
		.amdhsa_user_sgpr_dispatch_ptr 0
		.amdhsa_user_sgpr_queue_ptr 0
		.amdhsa_user_sgpr_kernarg_segment_ptr 1
		.amdhsa_user_sgpr_dispatch_id 0
		.amdhsa_user_sgpr_kernarg_preload_length 0
		.amdhsa_user_sgpr_kernarg_preload_offset 0
		.amdhsa_user_sgpr_private_segment_size 0
		.amdhsa_uses_dynamic_stack 0
		.amdhsa_enable_private_segment 0
		.amdhsa_system_sgpr_workgroup_id_x 1
		.amdhsa_system_sgpr_workgroup_id_y 0
		.amdhsa_system_sgpr_workgroup_id_z 0
		.amdhsa_system_sgpr_workgroup_info 0
		.amdhsa_system_vgpr_workitem_id 0
		.amdhsa_next_free_vgpr 1
		.amdhsa_next_free_sgpr 0
		.amdhsa_accum_offset 4
		.amdhsa_reserve_vcc 0
		.amdhsa_float_round_mode_32 0
		.amdhsa_float_round_mode_16_64 0
		.amdhsa_float_denorm_mode_32 3
		.amdhsa_float_denorm_mode_16_64 3
		.amdhsa_dx10_clamp 1
		.amdhsa_ieee_mode 1
		.amdhsa_fp16_overflow 0
		.amdhsa_tg_split 0
		.amdhsa_exception_fp_ieee_invalid_op 0
		.amdhsa_exception_fp_denorm_src 0
		.amdhsa_exception_fp_ieee_div_zero 0
		.amdhsa_exception_fp_ieee_overflow 0
		.amdhsa_exception_fp_ieee_underflow 0
		.amdhsa_exception_fp_ieee_inexact 0
		.amdhsa_exception_int_div_zero 0
	.end_amdhsa_kernel
	.section	.text._ZN7rocprim17ROCPRIM_400000_NS6detail17trampoline_kernelINS0_14default_configENS1_27scan_by_key_config_selectorIssEEZZNS1_16scan_by_key_implILNS1_25lookback_scan_determinismE0ELb1ES3_N6thrust23THRUST_200600_302600_NS6detail15normal_iteratorINS9_10device_ptrIsEEEESE_SE_sNS9_10multipliesIsEENS9_8equal_toIsEEsEE10hipError_tPvRmT2_T3_T4_T5_mT6_T7_P12ihipStream_tbENKUlT_T0_E_clISt17integral_constantIbLb1EESZ_EEDaSU_SV_EUlSU_E_NS1_11comp_targetILNS1_3genE4ELNS1_11target_archE910ELNS1_3gpuE8ELNS1_3repE0EEENS1_30default_config_static_selectorELNS0_4arch9wavefront6targetE1EEEvT1_,"axG",@progbits,_ZN7rocprim17ROCPRIM_400000_NS6detail17trampoline_kernelINS0_14default_configENS1_27scan_by_key_config_selectorIssEEZZNS1_16scan_by_key_implILNS1_25lookback_scan_determinismE0ELb1ES3_N6thrust23THRUST_200600_302600_NS6detail15normal_iteratorINS9_10device_ptrIsEEEESE_SE_sNS9_10multipliesIsEENS9_8equal_toIsEEsEE10hipError_tPvRmT2_T3_T4_T5_mT6_T7_P12ihipStream_tbENKUlT_T0_E_clISt17integral_constantIbLb1EESZ_EEDaSU_SV_EUlSU_E_NS1_11comp_targetILNS1_3genE4ELNS1_11target_archE910ELNS1_3gpuE8ELNS1_3repE0EEENS1_30default_config_static_selectorELNS0_4arch9wavefront6targetE1EEEvT1_,comdat
.Lfunc_end617:
	.size	_ZN7rocprim17ROCPRIM_400000_NS6detail17trampoline_kernelINS0_14default_configENS1_27scan_by_key_config_selectorIssEEZZNS1_16scan_by_key_implILNS1_25lookback_scan_determinismE0ELb1ES3_N6thrust23THRUST_200600_302600_NS6detail15normal_iteratorINS9_10device_ptrIsEEEESE_SE_sNS9_10multipliesIsEENS9_8equal_toIsEEsEE10hipError_tPvRmT2_T3_T4_T5_mT6_T7_P12ihipStream_tbENKUlT_T0_E_clISt17integral_constantIbLb1EESZ_EEDaSU_SV_EUlSU_E_NS1_11comp_targetILNS1_3genE4ELNS1_11target_archE910ELNS1_3gpuE8ELNS1_3repE0EEENS1_30default_config_static_selectorELNS0_4arch9wavefront6targetE1EEEvT1_, .Lfunc_end617-_ZN7rocprim17ROCPRIM_400000_NS6detail17trampoline_kernelINS0_14default_configENS1_27scan_by_key_config_selectorIssEEZZNS1_16scan_by_key_implILNS1_25lookback_scan_determinismE0ELb1ES3_N6thrust23THRUST_200600_302600_NS6detail15normal_iteratorINS9_10device_ptrIsEEEESE_SE_sNS9_10multipliesIsEENS9_8equal_toIsEEsEE10hipError_tPvRmT2_T3_T4_T5_mT6_T7_P12ihipStream_tbENKUlT_T0_E_clISt17integral_constantIbLb1EESZ_EEDaSU_SV_EUlSU_E_NS1_11comp_targetILNS1_3genE4ELNS1_11target_archE910ELNS1_3gpuE8ELNS1_3repE0EEENS1_30default_config_static_selectorELNS0_4arch9wavefront6targetE1EEEvT1_
                                        ; -- End function
	.section	.AMDGPU.csdata,"",@progbits
; Kernel info:
; codeLenInByte = 0
; NumSgprs: 6
; NumVgprs: 0
; NumAgprs: 0
; TotalNumVgprs: 0
; ScratchSize: 0
; MemoryBound: 0
; FloatMode: 240
; IeeeMode: 1
; LDSByteSize: 0 bytes/workgroup (compile time only)
; SGPRBlocks: 0
; VGPRBlocks: 0
; NumSGPRsForWavesPerEU: 6
; NumVGPRsForWavesPerEU: 1
; AccumOffset: 4
; Occupancy: 8
; WaveLimiterHint : 0
; COMPUTE_PGM_RSRC2:SCRATCH_EN: 0
; COMPUTE_PGM_RSRC2:USER_SGPR: 2
; COMPUTE_PGM_RSRC2:TRAP_HANDLER: 0
; COMPUTE_PGM_RSRC2:TGID_X_EN: 1
; COMPUTE_PGM_RSRC2:TGID_Y_EN: 0
; COMPUTE_PGM_RSRC2:TGID_Z_EN: 0
; COMPUTE_PGM_RSRC2:TIDIG_COMP_CNT: 0
; COMPUTE_PGM_RSRC3_GFX90A:ACCUM_OFFSET: 0
; COMPUTE_PGM_RSRC3_GFX90A:TG_SPLIT: 0
	.section	.text._ZN7rocprim17ROCPRIM_400000_NS6detail17trampoline_kernelINS0_14default_configENS1_27scan_by_key_config_selectorIssEEZZNS1_16scan_by_key_implILNS1_25lookback_scan_determinismE0ELb1ES3_N6thrust23THRUST_200600_302600_NS6detail15normal_iteratorINS9_10device_ptrIsEEEESE_SE_sNS9_10multipliesIsEENS9_8equal_toIsEEsEE10hipError_tPvRmT2_T3_T4_T5_mT6_T7_P12ihipStream_tbENKUlT_T0_E_clISt17integral_constantIbLb1EESZ_EEDaSU_SV_EUlSU_E_NS1_11comp_targetILNS1_3genE3ELNS1_11target_archE908ELNS1_3gpuE7ELNS1_3repE0EEENS1_30default_config_static_selectorELNS0_4arch9wavefront6targetE1EEEvT1_,"axG",@progbits,_ZN7rocprim17ROCPRIM_400000_NS6detail17trampoline_kernelINS0_14default_configENS1_27scan_by_key_config_selectorIssEEZZNS1_16scan_by_key_implILNS1_25lookback_scan_determinismE0ELb1ES3_N6thrust23THRUST_200600_302600_NS6detail15normal_iteratorINS9_10device_ptrIsEEEESE_SE_sNS9_10multipliesIsEENS9_8equal_toIsEEsEE10hipError_tPvRmT2_T3_T4_T5_mT6_T7_P12ihipStream_tbENKUlT_T0_E_clISt17integral_constantIbLb1EESZ_EEDaSU_SV_EUlSU_E_NS1_11comp_targetILNS1_3genE3ELNS1_11target_archE908ELNS1_3gpuE7ELNS1_3repE0EEENS1_30default_config_static_selectorELNS0_4arch9wavefront6targetE1EEEvT1_,comdat
	.protected	_ZN7rocprim17ROCPRIM_400000_NS6detail17trampoline_kernelINS0_14default_configENS1_27scan_by_key_config_selectorIssEEZZNS1_16scan_by_key_implILNS1_25lookback_scan_determinismE0ELb1ES3_N6thrust23THRUST_200600_302600_NS6detail15normal_iteratorINS9_10device_ptrIsEEEESE_SE_sNS9_10multipliesIsEENS9_8equal_toIsEEsEE10hipError_tPvRmT2_T3_T4_T5_mT6_T7_P12ihipStream_tbENKUlT_T0_E_clISt17integral_constantIbLb1EESZ_EEDaSU_SV_EUlSU_E_NS1_11comp_targetILNS1_3genE3ELNS1_11target_archE908ELNS1_3gpuE7ELNS1_3repE0EEENS1_30default_config_static_selectorELNS0_4arch9wavefront6targetE1EEEvT1_ ; -- Begin function _ZN7rocprim17ROCPRIM_400000_NS6detail17trampoline_kernelINS0_14default_configENS1_27scan_by_key_config_selectorIssEEZZNS1_16scan_by_key_implILNS1_25lookback_scan_determinismE0ELb1ES3_N6thrust23THRUST_200600_302600_NS6detail15normal_iteratorINS9_10device_ptrIsEEEESE_SE_sNS9_10multipliesIsEENS9_8equal_toIsEEsEE10hipError_tPvRmT2_T3_T4_T5_mT6_T7_P12ihipStream_tbENKUlT_T0_E_clISt17integral_constantIbLb1EESZ_EEDaSU_SV_EUlSU_E_NS1_11comp_targetILNS1_3genE3ELNS1_11target_archE908ELNS1_3gpuE7ELNS1_3repE0EEENS1_30default_config_static_selectorELNS0_4arch9wavefront6targetE1EEEvT1_
	.globl	_ZN7rocprim17ROCPRIM_400000_NS6detail17trampoline_kernelINS0_14default_configENS1_27scan_by_key_config_selectorIssEEZZNS1_16scan_by_key_implILNS1_25lookback_scan_determinismE0ELb1ES3_N6thrust23THRUST_200600_302600_NS6detail15normal_iteratorINS9_10device_ptrIsEEEESE_SE_sNS9_10multipliesIsEENS9_8equal_toIsEEsEE10hipError_tPvRmT2_T3_T4_T5_mT6_T7_P12ihipStream_tbENKUlT_T0_E_clISt17integral_constantIbLb1EESZ_EEDaSU_SV_EUlSU_E_NS1_11comp_targetILNS1_3genE3ELNS1_11target_archE908ELNS1_3gpuE7ELNS1_3repE0EEENS1_30default_config_static_selectorELNS0_4arch9wavefront6targetE1EEEvT1_
	.p2align	8
	.type	_ZN7rocprim17ROCPRIM_400000_NS6detail17trampoline_kernelINS0_14default_configENS1_27scan_by_key_config_selectorIssEEZZNS1_16scan_by_key_implILNS1_25lookback_scan_determinismE0ELb1ES3_N6thrust23THRUST_200600_302600_NS6detail15normal_iteratorINS9_10device_ptrIsEEEESE_SE_sNS9_10multipliesIsEENS9_8equal_toIsEEsEE10hipError_tPvRmT2_T3_T4_T5_mT6_T7_P12ihipStream_tbENKUlT_T0_E_clISt17integral_constantIbLb1EESZ_EEDaSU_SV_EUlSU_E_NS1_11comp_targetILNS1_3genE3ELNS1_11target_archE908ELNS1_3gpuE7ELNS1_3repE0EEENS1_30default_config_static_selectorELNS0_4arch9wavefront6targetE1EEEvT1_,@function
_ZN7rocprim17ROCPRIM_400000_NS6detail17trampoline_kernelINS0_14default_configENS1_27scan_by_key_config_selectorIssEEZZNS1_16scan_by_key_implILNS1_25lookback_scan_determinismE0ELb1ES3_N6thrust23THRUST_200600_302600_NS6detail15normal_iteratorINS9_10device_ptrIsEEEESE_SE_sNS9_10multipliesIsEENS9_8equal_toIsEEsEE10hipError_tPvRmT2_T3_T4_T5_mT6_T7_P12ihipStream_tbENKUlT_T0_E_clISt17integral_constantIbLb1EESZ_EEDaSU_SV_EUlSU_E_NS1_11comp_targetILNS1_3genE3ELNS1_11target_archE908ELNS1_3gpuE7ELNS1_3repE0EEENS1_30default_config_static_selectorELNS0_4arch9wavefront6targetE1EEEvT1_: ; @_ZN7rocprim17ROCPRIM_400000_NS6detail17trampoline_kernelINS0_14default_configENS1_27scan_by_key_config_selectorIssEEZZNS1_16scan_by_key_implILNS1_25lookback_scan_determinismE0ELb1ES3_N6thrust23THRUST_200600_302600_NS6detail15normal_iteratorINS9_10device_ptrIsEEEESE_SE_sNS9_10multipliesIsEENS9_8equal_toIsEEsEE10hipError_tPvRmT2_T3_T4_T5_mT6_T7_P12ihipStream_tbENKUlT_T0_E_clISt17integral_constantIbLb1EESZ_EEDaSU_SV_EUlSU_E_NS1_11comp_targetILNS1_3genE3ELNS1_11target_archE908ELNS1_3gpuE7ELNS1_3repE0EEENS1_30default_config_static_selectorELNS0_4arch9wavefront6targetE1EEEvT1_
; %bb.0:
	.section	.rodata,"a",@progbits
	.p2align	6, 0x0
	.amdhsa_kernel _ZN7rocprim17ROCPRIM_400000_NS6detail17trampoline_kernelINS0_14default_configENS1_27scan_by_key_config_selectorIssEEZZNS1_16scan_by_key_implILNS1_25lookback_scan_determinismE0ELb1ES3_N6thrust23THRUST_200600_302600_NS6detail15normal_iteratorINS9_10device_ptrIsEEEESE_SE_sNS9_10multipliesIsEENS9_8equal_toIsEEsEE10hipError_tPvRmT2_T3_T4_T5_mT6_T7_P12ihipStream_tbENKUlT_T0_E_clISt17integral_constantIbLb1EESZ_EEDaSU_SV_EUlSU_E_NS1_11comp_targetILNS1_3genE3ELNS1_11target_archE908ELNS1_3gpuE7ELNS1_3repE0EEENS1_30default_config_static_selectorELNS0_4arch9wavefront6targetE1EEEvT1_
		.amdhsa_group_segment_fixed_size 0
		.amdhsa_private_segment_fixed_size 0
		.amdhsa_kernarg_size 112
		.amdhsa_user_sgpr_count 2
		.amdhsa_user_sgpr_dispatch_ptr 0
		.amdhsa_user_sgpr_queue_ptr 0
		.amdhsa_user_sgpr_kernarg_segment_ptr 1
		.amdhsa_user_sgpr_dispatch_id 0
		.amdhsa_user_sgpr_kernarg_preload_length 0
		.amdhsa_user_sgpr_kernarg_preload_offset 0
		.amdhsa_user_sgpr_private_segment_size 0
		.amdhsa_uses_dynamic_stack 0
		.amdhsa_enable_private_segment 0
		.amdhsa_system_sgpr_workgroup_id_x 1
		.amdhsa_system_sgpr_workgroup_id_y 0
		.amdhsa_system_sgpr_workgroup_id_z 0
		.amdhsa_system_sgpr_workgroup_info 0
		.amdhsa_system_vgpr_workitem_id 0
		.amdhsa_next_free_vgpr 1
		.amdhsa_next_free_sgpr 0
		.amdhsa_accum_offset 4
		.amdhsa_reserve_vcc 0
		.amdhsa_float_round_mode_32 0
		.amdhsa_float_round_mode_16_64 0
		.amdhsa_float_denorm_mode_32 3
		.amdhsa_float_denorm_mode_16_64 3
		.amdhsa_dx10_clamp 1
		.amdhsa_ieee_mode 1
		.amdhsa_fp16_overflow 0
		.amdhsa_tg_split 0
		.amdhsa_exception_fp_ieee_invalid_op 0
		.amdhsa_exception_fp_denorm_src 0
		.amdhsa_exception_fp_ieee_div_zero 0
		.amdhsa_exception_fp_ieee_overflow 0
		.amdhsa_exception_fp_ieee_underflow 0
		.amdhsa_exception_fp_ieee_inexact 0
		.amdhsa_exception_int_div_zero 0
	.end_amdhsa_kernel
	.section	.text._ZN7rocprim17ROCPRIM_400000_NS6detail17trampoline_kernelINS0_14default_configENS1_27scan_by_key_config_selectorIssEEZZNS1_16scan_by_key_implILNS1_25lookback_scan_determinismE0ELb1ES3_N6thrust23THRUST_200600_302600_NS6detail15normal_iteratorINS9_10device_ptrIsEEEESE_SE_sNS9_10multipliesIsEENS9_8equal_toIsEEsEE10hipError_tPvRmT2_T3_T4_T5_mT6_T7_P12ihipStream_tbENKUlT_T0_E_clISt17integral_constantIbLb1EESZ_EEDaSU_SV_EUlSU_E_NS1_11comp_targetILNS1_3genE3ELNS1_11target_archE908ELNS1_3gpuE7ELNS1_3repE0EEENS1_30default_config_static_selectorELNS0_4arch9wavefront6targetE1EEEvT1_,"axG",@progbits,_ZN7rocprim17ROCPRIM_400000_NS6detail17trampoline_kernelINS0_14default_configENS1_27scan_by_key_config_selectorIssEEZZNS1_16scan_by_key_implILNS1_25lookback_scan_determinismE0ELb1ES3_N6thrust23THRUST_200600_302600_NS6detail15normal_iteratorINS9_10device_ptrIsEEEESE_SE_sNS9_10multipliesIsEENS9_8equal_toIsEEsEE10hipError_tPvRmT2_T3_T4_T5_mT6_T7_P12ihipStream_tbENKUlT_T0_E_clISt17integral_constantIbLb1EESZ_EEDaSU_SV_EUlSU_E_NS1_11comp_targetILNS1_3genE3ELNS1_11target_archE908ELNS1_3gpuE7ELNS1_3repE0EEENS1_30default_config_static_selectorELNS0_4arch9wavefront6targetE1EEEvT1_,comdat
.Lfunc_end618:
	.size	_ZN7rocprim17ROCPRIM_400000_NS6detail17trampoline_kernelINS0_14default_configENS1_27scan_by_key_config_selectorIssEEZZNS1_16scan_by_key_implILNS1_25lookback_scan_determinismE0ELb1ES3_N6thrust23THRUST_200600_302600_NS6detail15normal_iteratorINS9_10device_ptrIsEEEESE_SE_sNS9_10multipliesIsEENS9_8equal_toIsEEsEE10hipError_tPvRmT2_T3_T4_T5_mT6_T7_P12ihipStream_tbENKUlT_T0_E_clISt17integral_constantIbLb1EESZ_EEDaSU_SV_EUlSU_E_NS1_11comp_targetILNS1_3genE3ELNS1_11target_archE908ELNS1_3gpuE7ELNS1_3repE0EEENS1_30default_config_static_selectorELNS0_4arch9wavefront6targetE1EEEvT1_, .Lfunc_end618-_ZN7rocprim17ROCPRIM_400000_NS6detail17trampoline_kernelINS0_14default_configENS1_27scan_by_key_config_selectorIssEEZZNS1_16scan_by_key_implILNS1_25lookback_scan_determinismE0ELb1ES3_N6thrust23THRUST_200600_302600_NS6detail15normal_iteratorINS9_10device_ptrIsEEEESE_SE_sNS9_10multipliesIsEENS9_8equal_toIsEEsEE10hipError_tPvRmT2_T3_T4_T5_mT6_T7_P12ihipStream_tbENKUlT_T0_E_clISt17integral_constantIbLb1EESZ_EEDaSU_SV_EUlSU_E_NS1_11comp_targetILNS1_3genE3ELNS1_11target_archE908ELNS1_3gpuE7ELNS1_3repE0EEENS1_30default_config_static_selectorELNS0_4arch9wavefront6targetE1EEEvT1_
                                        ; -- End function
	.section	.AMDGPU.csdata,"",@progbits
; Kernel info:
; codeLenInByte = 0
; NumSgprs: 6
; NumVgprs: 0
; NumAgprs: 0
; TotalNumVgprs: 0
; ScratchSize: 0
; MemoryBound: 0
; FloatMode: 240
; IeeeMode: 1
; LDSByteSize: 0 bytes/workgroup (compile time only)
; SGPRBlocks: 0
; VGPRBlocks: 0
; NumSGPRsForWavesPerEU: 6
; NumVGPRsForWavesPerEU: 1
; AccumOffset: 4
; Occupancy: 8
; WaveLimiterHint : 0
; COMPUTE_PGM_RSRC2:SCRATCH_EN: 0
; COMPUTE_PGM_RSRC2:USER_SGPR: 2
; COMPUTE_PGM_RSRC2:TRAP_HANDLER: 0
; COMPUTE_PGM_RSRC2:TGID_X_EN: 1
; COMPUTE_PGM_RSRC2:TGID_Y_EN: 0
; COMPUTE_PGM_RSRC2:TGID_Z_EN: 0
; COMPUTE_PGM_RSRC2:TIDIG_COMP_CNT: 0
; COMPUTE_PGM_RSRC3_GFX90A:ACCUM_OFFSET: 0
; COMPUTE_PGM_RSRC3_GFX90A:TG_SPLIT: 0
	.section	.text._ZN7rocprim17ROCPRIM_400000_NS6detail17trampoline_kernelINS0_14default_configENS1_27scan_by_key_config_selectorIssEEZZNS1_16scan_by_key_implILNS1_25lookback_scan_determinismE0ELb1ES3_N6thrust23THRUST_200600_302600_NS6detail15normal_iteratorINS9_10device_ptrIsEEEESE_SE_sNS9_10multipliesIsEENS9_8equal_toIsEEsEE10hipError_tPvRmT2_T3_T4_T5_mT6_T7_P12ihipStream_tbENKUlT_T0_E_clISt17integral_constantIbLb1EESZ_EEDaSU_SV_EUlSU_E_NS1_11comp_targetILNS1_3genE2ELNS1_11target_archE906ELNS1_3gpuE6ELNS1_3repE0EEENS1_30default_config_static_selectorELNS0_4arch9wavefront6targetE1EEEvT1_,"axG",@progbits,_ZN7rocprim17ROCPRIM_400000_NS6detail17trampoline_kernelINS0_14default_configENS1_27scan_by_key_config_selectorIssEEZZNS1_16scan_by_key_implILNS1_25lookback_scan_determinismE0ELb1ES3_N6thrust23THRUST_200600_302600_NS6detail15normal_iteratorINS9_10device_ptrIsEEEESE_SE_sNS9_10multipliesIsEENS9_8equal_toIsEEsEE10hipError_tPvRmT2_T3_T4_T5_mT6_T7_P12ihipStream_tbENKUlT_T0_E_clISt17integral_constantIbLb1EESZ_EEDaSU_SV_EUlSU_E_NS1_11comp_targetILNS1_3genE2ELNS1_11target_archE906ELNS1_3gpuE6ELNS1_3repE0EEENS1_30default_config_static_selectorELNS0_4arch9wavefront6targetE1EEEvT1_,comdat
	.protected	_ZN7rocprim17ROCPRIM_400000_NS6detail17trampoline_kernelINS0_14default_configENS1_27scan_by_key_config_selectorIssEEZZNS1_16scan_by_key_implILNS1_25lookback_scan_determinismE0ELb1ES3_N6thrust23THRUST_200600_302600_NS6detail15normal_iteratorINS9_10device_ptrIsEEEESE_SE_sNS9_10multipliesIsEENS9_8equal_toIsEEsEE10hipError_tPvRmT2_T3_T4_T5_mT6_T7_P12ihipStream_tbENKUlT_T0_E_clISt17integral_constantIbLb1EESZ_EEDaSU_SV_EUlSU_E_NS1_11comp_targetILNS1_3genE2ELNS1_11target_archE906ELNS1_3gpuE6ELNS1_3repE0EEENS1_30default_config_static_selectorELNS0_4arch9wavefront6targetE1EEEvT1_ ; -- Begin function _ZN7rocprim17ROCPRIM_400000_NS6detail17trampoline_kernelINS0_14default_configENS1_27scan_by_key_config_selectorIssEEZZNS1_16scan_by_key_implILNS1_25lookback_scan_determinismE0ELb1ES3_N6thrust23THRUST_200600_302600_NS6detail15normal_iteratorINS9_10device_ptrIsEEEESE_SE_sNS9_10multipliesIsEENS9_8equal_toIsEEsEE10hipError_tPvRmT2_T3_T4_T5_mT6_T7_P12ihipStream_tbENKUlT_T0_E_clISt17integral_constantIbLb1EESZ_EEDaSU_SV_EUlSU_E_NS1_11comp_targetILNS1_3genE2ELNS1_11target_archE906ELNS1_3gpuE6ELNS1_3repE0EEENS1_30default_config_static_selectorELNS0_4arch9wavefront6targetE1EEEvT1_
	.globl	_ZN7rocprim17ROCPRIM_400000_NS6detail17trampoline_kernelINS0_14default_configENS1_27scan_by_key_config_selectorIssEEZZNS1_16scan_by_key_implILNS1_25lookback_scan_determinismE0ELb1ES3_N6thrust23THRUST_200600_302600_NS6detail15normal_iteratorINS9_10device_ptrIsEEEESE_SE_sNS9_10multipliesIsEENS9_8equal_toIsEEsEE10hipError_tPvRmT2_T3_T4_T5_mT6_T7_P12ihipStream_tbENKUlT_T0_E_clISt17integral_constantIbLb1EESZ_EEDaSU_SV_EUlSU_E_NS1_11comp_targetILNS1_3genE2ELNS1_11target_archE906ELNS1_3gpuE6ELNS1_3repE0EEENS1_30default_config_static_selectorELNS0_4arch9wavefront6targetE1EEEvT1_
	.p2align	8
	.type	_ZN7rocprim17ROCPRIM_400000_NS6detail17trampoline_kernelINS0_14default_configENS1_27scan_by_key_config_selectorIssEEZZNS1_16scan_by_key_implILNS1_25lookback_scan_determinismE0ELb1ES3_N6thrust23THRUST_200600_302600_NS6detail15normal_iteratorINS9_10device_ptrIsEEEESE_SE_sNS9_10multipliesIsEENS9_8equal_toIsEEsEE10hipError_tPvRmT2_T3_T4_T5_mT6_T7_P12ihipStream_tbENKUlT_T0_E_clISt17integral_constantIbLb1EESZ_EEDaSU_SV_EUlSU_E_NS1_11comp_targetILNS1_3genE2ELNS1_11target_archE906ELNS1_3gpuE6ELNS1_3repE0EEENS1_30default_config_static_selectorELNS0_4arch9wavefront6targetE1EEEvT1_,@function
_ZN7rocprim17ROCPRIM_400000_NS6detail17trampoline_kernelINS0_14default_configENS1_27scan_by_key_config_selectorIssEEZZNS1_16scan_by_key_implILNS1_25lookback_scan_determinismE0ELb1ES3_N6thrust23THRUST_200600_302600_NS6detail15normal_iteratorINS9_10device_ptrIsEEEESE_SE_sNS9_10multipliesIsEENS9_8equal_toIsEEsEE10hipError_tPvRmT2_T3_T4_T5_mT6_T7_P12ihipStream_tbENKUlT_T0_E_clISt17integral_constantIbLb1EESZ_EEDaSU_SV_EUlSU_E_NS1_11comp_targetILNS1_3genE2ELNS1_11target_archE906ELNS1_3gpuE6ELNS1_3repE0EEENS1_30default_config_static_selectorELNS0_4arch9wavefront6targetE1EEEvT1_: ; @_ZN7rocprim17ROCPRIM_400000_NS6detail17trampoline_kernelINS0_14default_configENS1_27scan_by_key_config_selectorIssEEZZNS1_16scan_by_key_implILNS1_25lookback_scan_determinismE0ELb1ES3_N6thrust23THRUST_200600_302600_NS6detail15normal_iteratorINS9_10device_ptrIsEEEESE_SE_sNS9_10multipliesIsEENS9_8equal_toIsEEsEE10hipError_tPvRmT2_T3_T4_T5_mT6_T7_P12ihipStream_tbENKUlT_T0_E_clISt17integral_constantIbLb1EESZ_EEDaSU_SV_EUlSU_E_NS1_11comp_targetILNS1_3genE2ELNS1_11target_archE906ELNS1_3gpuE6ELNS1_3repE0EEENS1_30default_config_static_selectorELNS0_4arch9wavefront6targetE1EEEvT1_
; %bb.0:
	.section	.rodata,"a",@progbits
	.p2align	6, 0x0
	.amdhsa_kernel _ZN7rocprim17ROCPRIM_400000_NS6detail17trampoline_kernelINS0_14default_configENS1_27scan_by_key_config_selectorIssEEZZNS1_16scan_by_key_implILNS1_25lookback_scan_determinismE0ELb1ES3_N6thrust23THRUST_200600_302600_NS6detail15normal_iteratorINS9_10device_ptrIsEEEESE_SE_sNS9_10multipliesIsEENS9_8equal_toIsEEsEE10hipError_tPvRmT2_T3_T4_T5_mT6_T7_P12ihipStream_tbENKUlT_T0_E_clISt17integral_constantIbLb1EESZ_EEDaSU_SV_EUlSU_E_NS1_11comp_targetILNS1_3genE2ELNS1_11target_archE906ELNS1_3gpuE6ELNS1_3repE0EEENS1_30default_config_static_selectorELNS0_4arch9wavefront6targetE1EEEvT1_
		.amdhsa_group_segment_fixed_size 0
		.amdhsa_private_segment_fixed_size 0
		.amdhsa_kernarg_size 112
		.amdhsa_user_sgpr_count 2
		.amdhsa_user_sgpr_dispatch_ptr 0
		.amdhsa_user_sgpr_queue_ptr 0
		.amdhsa_user_sgpr_kernarg_segment_ptr 1
		.amdhsa_user_sgpr_dispatch_id 0
		.amdhsa_user_sgpr_kernarg_preload_length 0
		.amdhsa_user_sgpr_kernarg_preload_offset 0
		.amdhsa_user_sgpr_private_segment_size 0
		.amdhsa_uses_dynamic_stack 0
		.amdhsa_enable_private_segment 0
		.amdhsa_system_sgpr_workgroup_id_x 1
		.amdhsa_system_sgpr_workgroup_id_y 0
		.amdhsa_system_sgpr_workgroup_id_z 0
		.amdhsa_system_sgpr_workgroup_info 0
		.amdhsa_system_vgpr_workitem_id 0
		.amdhsa_next_free_vgpr 1
		.amdhsa_next_free_sgpr 0
		.amdhsa_accum_offset 4
		.amdhsa_reserve_vcc 0
		.amdhsa_float_round_mode_32 0
		.amdhsa_float_round_mode_16_64 0
		.amdhsa_float_denorm_mode_32 3
		.amdhsa_float_denorm_mode_16_64 3
		.amdhsa_dx10_clamp 1
		.amdhsa_ieee_mode 1
		.amdhsa_fp16_overflow 0
		.amdhsa_tg_split 0
		.amdhsa_exception_fp_ieee_invalid_op 0
		.amdhsa_exception_fp_denorm_src 0
		.amdhsa_exception_fp_ieee_div_zero 0
		.amdhsa_exception_fp_ieee_overflow 0
		.amdhsa_exception_fp_ieee_underflow 0
		.amdhsa_exception_fp_ieee_inexact 0
		.amdhsa_exception_int_div_zero 0
	.end_amdhsa_kernel
	.section	.text._ZN7rocprim17ROCPRIM_400000_NS6detail17trampoline_kernelINS0_14default_configENS1_27scan_by_key_config_selectorIssEEZZNS1_16scan_by_key_implILNS1_25lookback_scan_determinismE0ELb1ES3_N6thrust23THRUST_200600_302600_NS6detail15normal_iteratorINS9_10device_ptrIsEEEESE_SE_sNS9_10multipliesIsEENS9_8equal_toIsEEsEE10hipError_tPvRmT2_T3_T4_T5_mT6_T7_P12ihipStream_tbENKUlT_T0_E_clISt17integral_constantIbLb1EESZ_EEDaSU_SV_EUlSU_E_NS1_11comp_targetILNS1_3genE2ELNS1_11target_archE906ELNS1_3gpuE6ELNS1_3repE0EEENS1_30default_config_static_selectorELNS0_4arch9wavefront6targetE1EEEvT1_,"axG",@progbits,_ZN7rocprim17ROCPRIM_400000_NS6detail17trampoline_kernelINS0_14default_configENS1_27scan_by_key_config_selectorIssEEZZNS1_16scan_by_key_implILNS1_25lookback_scan_determinismE0ELb1ES3_N6thrust23THRUST_200600_302600_NS6detail15normal_iteratorINS9_10device_ptrIsEEEESE_SE_sNS9_10multipliesIsEENS9_8equal_toIsEEsEE10hipError_tPvRmT2_T3_T4_T5_mT6_T7_P12ihipStream_tbENKUlT_T0_E_clISt17integral_constantIbLb1EESZ_EEDaSU_SV_EUlSU_E_NS1_11comp_targetILNS1_3genE2ELNS1_11target_archE906ELNS1_3gpuE6ELNS1_3repE0EEENS1_30default_config_static_selectorELNS0_4arch9wavefront6targetE1EEEvT1_,comdat
.Lfunc_end619:
	.size	_ZN7rocprim17ROCPRIM_400000_NS6detail17trampoline_kernelINS0_14default_configENS1_27scan_by_key_config_selectorIssEEZZNS1_16scan_by_key_implILNS1_25lookback_scan_determinismE0ELb1ES3_N6thrust23THRUST_200600_302600_NS6detail15normal_iteratorINS9_10device_ptrIsEEEESE_SE_sNS9_10multipliesIsEENS9_8equal_toIsEEsEE10hipError_tPvRmT2_T3_T4_T5_mT6_T7_P12ihipStream_tbENKUlT_T0_E_clISt17integral_constantIbLb1EESZ_EEDaSU_SV_EUlSU_E_NS1_11comp_targetILNS1_3genE2ELNS1_11target_archE906ELNS1_3gpuE6ELNS1_3repE0EEENS1_30default_config_static_selectorELNS0_4arch9wavefront6targetE1EEEvT1_, .Lfunc_end619-_ZN7rocprim17ROCPRIM_400000_NS6detail17trampoline_kernelINS0_14default_configENS1_27scan_by_key_config_selectorIssEEZZNS1_16scan_by_key_implILNS1_25lookback_scan_determinismE0ELb1ES3_N6thrust23THRUST_200600_302600_NS6detail15normal_iteratorINS9_10device_ptrIsEEEESE_SE_sNS9_10multipliesIsEENS9_8equal_toIsEEsEE10hipError_tPvRmT2_T3_T4_T5_mT6_T7_P12ihipStream_tbENKUlT_T0_E_clISt17integral_constantIbLb1EESZ_EEDaSU_SV_EUlSU_E_NS1_11comp_targetILNS1_3genE2ELNS1_11target_archE906ELNS1_3gpuE6ELNS1_3repE0EEENS1_30default_config_static_selectorELNS0_4arch9wavefront6targetE1EEEvT1_
                                        ; -- End function
	.section	.AMDGPU.csdata,"",@progbits
; Kernel info:
; codeLenInByte = 0
; NumSgprs: 6
; NumVgprs: 0
; NumAgprs: 0
; TotalNumVgprs: 0
; ScratchSize: 0
; MemoryBound: 0
; FloatMode: 240
; IeeeMode: 1
; LDSByteSize: 0 bytes/workgroup (compile time only)
; SGPRBlocks: 0
; VGPRBlocks: 0
; NumSGPRsForWavesPerEU: 6
; NumVGPRsForWavesPerEU: 1
; AccumOffset: 4
; Occupancy: 8
; WaveLimiterHint : 0
; COMPUTE_PGM_RSRC2:SCRATCH_EN: 0
; COMPUTE_PGM_RSRC2:USER_SGPR: 2
; COMPUTE_PGM_RSRC2:TRAP_HANDLER: 0
; COMPUTE_PGM_RSRC2:TGID_X_EN: 1
; COMPUTE_PGM_RSRC2:TGID_Y_EN: 0
; COMPUTE_PGM_RSRC2:TGID_Z_EN: 0
; COMPUTE_PGM_RSRC2:TIDIG_COMP_CNT: 0
; COMPUTE_PGM_RSRC3_GFX90A:ACCUM_OFFSET: 0
; COMPUTE_PGM_RSRC3_GFX90A:TG_SPLIT: 0
	.section	.text._ZN7rocprim17ROCPRIM_400000_NS6detail17trampoline_kernelINS0_14default_configENS1_27scan_by_key_config_selectorIssEEZZNS1_16scan_by_key_implILNS1_25lookback_scan_determinismE0ELb1ES3_N6thrust23THRUST_200600_302600_NS6detail15normal_iteratorINS9_10device_ptrIsEEEESE_SE_sNS9_10multipliesIsEENS9_8equal_toIsEEsEE10hipError_tPvRmT2_T3_T4_T5_mT6_T7_P12ihipStream_tbENKUlT_T0_E_clISt17integral_constantIbLb1EESZ_EEDaSU_SV_EUlSU_E_NS1_11comp_targetILNS1_3genE10ELNS1_11target_archE1200ELNS1_3gpuE4ELNS1_3repE0EEENS1_30default_config_static_selectorELNS0_4arch9wavefront6targetE1EEEvT1_,"axG",@progbits,_ZN7rocprim17ROCPRIM_400000_NS6detail17trampoline_kernelINS0_14default_configENS1_27scan_by_key_config_selectorIssEEZZNS1_16scan_by_key_implILNS1_25lookback_scan_determinismE0ELb1ES3_N6thrust23THRUST_200600_302600_NS6detail15normal_iteratorINS9_10device_ptrIsEEEESE_SE_sNS9_10multipliesIsEENS9_8equal_toIsEEsEE10hipError_tPvRmT2_T3_T4_T5_mT6_T7_P12ihipStream_tbENKUlT_T0_E_clISt17integral_constantIbLb1EESZ_EEDaSU_SV_EUlSU_E_NS1_11comp_targetILNS1_3genE10ELNS1_11target_archE1200ELNS1_3gpuE4ELNS1_3repE0EEENS1_30default_config_static_selectorELNS0_4arch9wavefront6targetE1EEEvT1_,comdat
	.protected	_ZN7rocprim17ROCPRIM_400000_NS6detail17trampoline_kernelINS0_14default_configENS1_27scan_by_key_config_selectorIssEEZZNS1_16scan_by_key_implILNS1_25lookback_scan_determinismE0ELb1ES3_N6thrust23THRUST_200600_302600_NS6detail15normal_iteratorINS9_10device_ptrIsEEEESE_SE_sNS9_10multipliesIsEENS9_8equal_toIsEEsEE10hipError_tPvRmT2_T3_T4_T5_mT6_T7_P12ihipStream_tbENKUlT_T0_E_clISt17integral_constantIbLb1EESZ_EEDaSU_SV_EUlSU_E_NS1_11comp_targetILNS1_3genE10ELNS1_11target_archE1200ELNS1_3gpuE4ELNS1_3repE0EEENS1_30default_config_static_selectorELNS0_4arch9wavefront6targetE1EEEvT1_ ; -- Begin function _ZN7rocprim17ROCPRIM_400000_NS6detail17trampoline_kernelINS0_14default_configENS1_27scan_by_key_config_selectorIssEEZZNS1_16scan_by_key_implILNS1_25lookback_scan_determinismE0ELb1ES3_N6thrust23THRUST_200600_302600_NS6detail15normal_iteratorINS9_10device_ptrIsEEEESE_SE_sNS9_10multipliesIsEENS9_8equal_toIsEEsEE10hipError_tPvRmT2_T3_T4_T5_mT6_T7_P12ihipStream_tbENKUlT_T0_E_clISt17integral_constantIbLb1EESZ_EEDaSU_SV_EUlSU_E_NS1_11comp_targetILNS1_3genE10ELNS1_11target_archE1200ELNS1_3gpuE4ELNS1_3repE0EEENS1_30default_config_static_selectorELNS0_4arch9wavefront6targetE1EEEvT1_
	.globl	_ZN7rocprim17ROCPRIM_400000_NS6detail17trampoline_kernelINS0_14default_configENS1_27scan_by_key_config_selectorIssEEZZNS1_16scan_by_key_implILNS1_25lookback_scan_determinismE0ELb1ES3_N6thrust23THRUST_200600_302600_NS6detail15normal_iteratorINS9_10device_ptrIsEEEESE_SE_sNS9_10multipliesIsEENS9_8equal_toIsEEsEE10hipError_tPvRmT2_T3_T4_T5_mT6_T7_P12ihipStream_tbENKUlT_T0_E_clISt17integral_constantIbLb1EESZ_EEDaSU_SV_EUlSU_E_NS1_11comp_targetILNS1_3genE10ELNS1_11target_archE1200ELNS1_3gpuE4ELNS1_3repE0EEENS1_30default_config_static_selectorELNS0_4arch9wavefront6targetE1EEEvT1_
	.p2align	8
	.type	_ZN7rocprim17ROCPRIM_400000_NS6detail17trampoline_kernelINS0_14default_configENS1_27scan_by_key_config_selectorIssEEZZNS1_16scan_by_key_implILNS1_25lookback_scan_determinismE0ELb1ES3_N6thrust23THRUST_200600_302600_NS6detail15normal_iteratorINS9_10device_ptrIsEEEESE_SE_sNS9_10multipliesIsEENS9_8equal_toIsEEsEE10hipError_tPvRmT2_T3_T4_T5_mT6_T7_P12ihipStream_tbENKUlT_T0_E_clISt17integral_constantIbLb1EESZ_EEDaSU_SV_EUlSU_E_NS1_11comp_targetILNS1_3genE10ELNS1_11target_archE1200ELNS1_3gpuE4ELNS1_3repE0EEENS1_30default_config_static_selectorELNS0_4arch9wavefront6targetE1EEEvT1_,@function
_ZN7rocprim17ROCPRIM_400000_NS6detail17trampoline_kernelINS0_14default_configENS1_27scan_by_key_config_selectorIssEEZZNS1_16scan_by_key_implILNS1_25lookback_scan_determinismE0ELb1ES3_N6thrust23THRUST_200600_302600_NS6detail15normal_iteratorINS9_10device_ptrIsEEEESE_SE_sNS9_10multipliesIsEENS9_8equal_toIsEEsEE10hipError_tPvRmT2_T3_T4_T5_mT6_T7_P12ihipStream_tbENKUlT_T0_E_clISt17integral_constantIbLb1EESZ_EEDaSU_SV_EUlSU_E_NS1_11comp_targetILNS1_3genE10ELNS1_11target_archE1200ELNS1_3gpuE4ELNS1_3repE0EEENS1_30default_config_static_selectorELNS0_4arch9wavefront6targetE1EEEvT1_: ; @_ZN7rocprim17ROCPRIM_400000_NS6detail17trampoline_kernelINS0_14default_configENS1_27scan_by_key_config_selectorIssEEZZNS1_16scan_by_key_implILNS1_25lookback_scan_determinismE0ELb1ES3_N6thrust23THRUST_200600_302600_NS6detail15normal_iteratorINS9_10device_ptrIsEEEESE_SE_sNS9_10multipliesIsEENS9_8equal_toIsEEsEE10hipError_tPvRmT2_T3_T4_T5_mT6_T7_P12ihipStream_tbENKUlT_T0_E_clISt17integral_constantIbLb1EESZ_EEDaSU_SV_EUlSU_E_NS1_11comp_targetILNS1_3genE10ELNS1_11target_archE1200ELNS1_3gpuE4ELNS1_3repE0EEENS1_30default_config_static_selectorELNS0_4arch9wavefront6targetE1EEEvT1_
; %bb.0:
	.section	.rodata,"a",@progbits
	.p2align	6, 0x0
	.amdhsa_kernel _ZN7rocprim17ROCPRIM_400000_NS6detail17trampoline_kernelINS0_14default_configENS1_27scan_by_key_config_selectorIssEEZZNS1_16scan_by_key_implILNS1_25lookback_scan_determinismE0ELb1ES3_N6thrust23THRUST_200600_302600_NS6detail15normal_iteratorINS9_10device_ptrIsEEEESE_SE_sNS9_10multipliesIsEENS9_8equal_toIsEEsEE10hipError_tPvRmT2_T3_T4_T5_mT6_T7_P12ihipStream_tbENKUlT_T0_E_clISt17integral_constantIbLb1EESZ_EEDaSU_SV_EUlSU_E_NS1_11comp_targetILNS1_3genE10ELNS1_11target_archE1200ELNS1_3gpuE4ELNS1_3repE0EEENS1_30default_config_static_selectorELNS0_4arch9wavefront6targetE1EEEvT1_
		.amdhsa_group_segment_fixed_size 0
		.amdhsa_private_segment_fixed_size 0
		.amdhsa_kernarg_size 112
		.amdhsa_user_sgpr_count 2
		.amdhsa_user_sgpr_dispatch_ptr 0
		.amdhsa_user_sgpr_queue_ptr 0
		.amdhsa_user_sgpr_kernarg_segment_ptr 1
		.amdhsa_user_sgpr_dispatch_id 0
		.amdhsa_user_sgpr_kernarg_preload_length 0
		.amdhsa_user_sgpr_kernarg_preload_offset 0
		.amdhsa_user_sgpr_private_segment_size 0
		.amdhsa_uses_dynamic_stack 0
		.amdhsa_enable_private_segment 0
		.amdhsa_system_sgpr_workgroup_id_x 1
		.amdhsa_system_sgpr_workgroup_id_y 0
		.amdhsa_system_sgpr_workgroup_id_z 0
		.amdhsa_system_sgpr_workgroup_info 0
		.amdhsa_system_vgpr_workitem_id 0
		.amdhsa_next_free_vgpr 1
		.amdhsa_next_free_sgpr 0
		.amdhsa_accum_offset 4
		.amdhsa_reserve_vcc 0
		.amdhsa_float_round_mode_32 0
		.amdhsa_float_round_mode_16_64 0
		.amdhsa_float_denorm_mode_32 3
		.amdhsa_float_denorm_mode_16_64 3
		.amdhsa_dx10_clamp 1
		.amdhsa_ieee_mode 1
		.amdhsa_fp16_overflow 0
		.amdhsa_tg_split 0
		.amdhsa_exception_fp_ieee_invalid_op 0
		.amdhsa_exception_fp_denorm_src 0
		.amdhsa_exception_fp_ieee_div_zero 0
		.amdhsa_exception_fp_ieee_overflow 0
		.amdhsa_exception_fp_ieee_underflow 0
		.amdhsa_exception_fp_ieee_inexact 0
		.amdhsa_exception_int_div_zero 0
	.end_amdhsa_kernel
	.section	.text._ZN7rocprim17ROCPRIM_400000_NS6detail17trampoline_kernelINS0_14default_configENS1_27scan_by_key_config_selectorIssEEZZNS1_16scan_by_key_implILNS1_25lookback_scan_determinismE0ELb1ES3_N6thrust23THRUST_200600_302600_NS6detail15normal_iteratorINS9_10device_ptrIsEEEESE_SE_sNS9_10multipliesIsEENS9_8equal_toIsEEsEE10hipError_tPvRmT2_T3_T4_T5_mT6_T7_P12ihipStream_tbENKUlT_T0_E_clISt17integral_constantIbLb1EESZ_EEDaSU_SV_EUlSU_E_NS1_11comp_targetILNS1_3genE10ELNS1_11target_archE1200ELNS1_3gpuE4ELNS1_3repE0EEENS1_30default_config_static_selectorELNS0_4arch9wavefront6targetE1EEEvT1_,"axG",@progbits,_ZN7rocprim17ROCPRIM_400000_NS6detail17trampoline_kernelINS0_14default_configENS1_27scan_by_key_config_selectorIssEEZZNS1_16scan_by_key_implILNS1_25lookback_scan_determinismE0ELb1ES3_N6thrust23THRUST_200600_302600_NS6detail15normal_iteratorINS9_10device_ptrIsEEEESE_SE_sNS9_10multipliesIsEENS9_8equal_toIsEEsEE10hipError_tPvRmT2_T3_T4_T5_mT6_T7_P12ihipStream_tbENKUlT_T0_E_clISt17integral_constantIbLb1EESZ_EEDaSU_SV_EUlSU_E_NS1_11comp_targetILNS1_3genE10ELNS1_11target_archE1200ELNS1_3gpuE4ELNS1_3repE0EEENS1_30default_config_static_selectorELNS0_4arch9wavefront6targetE1EEEvT1_,comdat
.Lfunc_end620:
	.size	_ZN7rocprim17ROCPRIM_400000_NS6detail17trampoline_kernelINS0_14default_configENS1_27scan_by_key_config_selectorIssEEZZNS1_16scan_by_key_implILNS1_25lookback_scan_determinismE0ELb1ES3_N6thrust23THRUST_200600_302600_NS6detail15normal_iteratorINS9_10device_ptrIsEEEESE_SE_sNS9_10multipliesIsEENS9_8equal_toIsEEsEE10hipError_tPvRmT2_T3_T4_T5_mT6_T7_P12ihipStream_tbENKUlT_T0_E_clISt17integral_constantIbLb1EESZ_EEDaSU_SV_EUlSU_E_NS1_11comp_targetILNS1_3genE10ELNS1_11target_archE1200ELNS1_3gpuE4ELNS1_3repE0EEENS1_30default_config_static_selectorELNS0_4arch9wavefront6targetE1EEEvT1_, .Lfunc_end620-_ZN7rocprim17ROCPRIM_400000_NS6detail17trampoline_kernelINS0_14default_configENS1_27scan_by_key_config_selectorIssEEZZNS1_16scan_by_key_implILNS1_25lookback_scan_determinismE0ELb1ES3_N6thrust23THRUST_200600_302600_NS6detail15normal_iteratorINS9_10device_ptrIsEEEESE_SE_sNS9_10multipliesIsEENS9_8equal_toIsEEsEE10hipError_tPvRmT2_T3_T4_T5_mT6_T7_P12ihipStream_tbENKUlT_T0_E_clISt17integral_constantIbLb1EESZ_EEDaSU_SV_EUlSU_E_NS1_11comp_targetILNS1_3genE10ELNS1_11target_archE1200ELNS1_3gpuE4ELNS1_3repE0EEENS1_30default_config_static_selectorELNS0_4arch9wavefront6targetE1EEEvT1_
                                        ; -- End function
	.section	.AMDGPU.csdata,"",@progbits
; Kernel info:
; codeLenInByte = 0
; NumSgprs: 6
; NumVgprs: 0
; NumAgprs: 0
; TotalNumVgprs: 0
; ScratchSize: 0
; MemoryBound: 0
; FloatMode: 240
; IeeeMode: 1
; LDSByteSize: 0 bytes/workgroup (compile time only)
; SGPRBlocks: 0
; VGPRBlocks: 0
; NumSGPRsForWavesPerEU: 6
; NumVGPRsForWavesPerEU: 1
; AccumOffset: 4
; Occupancy: 8
; WaveLimiterHint : 0
; COMPUTE_PGM_RSRC2:SCRATCH_EN: 0
; COMPUTE_PGM_RSRC2:USER_SGPR: 2
; COMPUTE_PGM_RSRC2:TRAP_HANDLER: 0
; COMPUTE_PGM_RSRC2:TGID_X_EN: 1
; COMPUTE_PGM_RSRC2:TGID_Y_EN: 0
; COMPUTE_PGM_RSRC2:TGID_Z_EN: 0
; COMPUTE_PGM_RSRC2:TIDIG_COMP_CNT: 0
; COMPUTE_PGM_RSRC3_GFX90A:ACCUM_OFFSET: 0
; COMPUTE_PGM_RSRC3_GFX90A:TG_SPLIT: 0
	.section	.text._ZN7rocprim17ROCPRIM_400000_NS6detail17trampoline_kernelINS0_14default_configENS1_27scan_by_key_config_selectorIssEEZZNS1_16scan_by_key_implILNS1_25lookback_scan_determinismE0ELb1ES3_N6thrust23THRUST_200600_302600_NS6detail15normal_iteratorINS9_10device_ptrIsEEEESE_SE_sNS9_10multipliesIsEENS9_8equal_toIsEEsEE10hipError_tPvRmT2_T3_T4_T5_mT6_T7_P12ihipStream_tbENKUlT_T0_E_clISt17integral_constantIbLb1EESZ_EEDaSU_SV_EUlSU_E_NS1_11comp_targetILNS1_3genE9ELNS1_11target_archE1100ELNS1_3gpuE3ELNS1_3repE0EEENS1_30default_config_static_selectorELNS0_4arch9wavefront6targetE1EEEvT1_,"axG",@progbits,_ZN7rocprim17ROCPRIM_400000_NS6detail17trampoline_kernelINS0_14default_configENS1_27scan_by_key_config_selectorIssEEZZNS1_16scan_by_key_implILNS1_25lookback_scan_determinismE0ELb1ES3_N6thrust23THRUST_200600_302600_NS6detail15normal_iteratorINS9_10device_ptrIsEEEESE_SE_sNS9_10multipliesIsEENS9_8equal_toIsEEsEE10hipError_tPvRmT2_T3_T4_T5_mT6_T7_P12ihipStream_tbENKUlT_T0_E_clISt17integral_constantIbLb1EESZ_EEDaSU_SV_EUlSU_E_NS1_11comp_targetILNS1_3genE9ELNS1_11target_archE1100ELNS1_3gpuE3ELNS1_3repE0EEENS1_30default_config_static_selectorELNS0_4arch9wavefront6targetE1EEEvT1_,comdat
	.protected	_ZN7rocprim17ROCPRIM_400000_NS6detail17trampoline_kernelINS0_14default_configENS1_27scan_by_key_config_selectorIssEEZZNS1_16scan_by_key_implILNS1_25lookback_scan_determinismE0ELb1ES3_N6thrust23THRUST_200600_302600_NS6detail15normal_iteratorINS9_10device_ptrIsEEEESE_SE_sNS9_10multipliesIsEENS9_8equal_toIsEEsEE10hipError_tPvRmT2_T3_T4_T5_mT6_T7_P12ihipStream_tbENKUlT_T0_E_clISt17integral_constantIbLb1EESZ_EEDaSU_SV_EUlSU_E_NS1_11comp_targetILNS1_3genE9ELNS1_11target_archE1100ELNS1_3gpuE3ELNS1_3repE0EEENS1_30default_config_static_selectorELNS0_4arch9wavefront6targetE1EEEvT1_ ; -- Begin function _ZN7rocprim17ROCPRIM_400000_NS6detail17trampoline_kernelINS0_14default_configENS1_27scan_by_key_config_selectorIssEEZZNS1_16scan_by_key_implILNS1_25lookback_scan_determinismE0ELb1ES3_N6thrust23THRUST_200600_302600_NS6detail15normal_iteratorINS9_10device_ptrIsEEEESE_SE_sNS9_10multipliesIsEENS9_8equal_toIsEEsEE10hipError_tPvRmT2_T3_T4_T5_mT6_T7_P12ihipStream_tbENKUlT_T0_E_clISt17integral_constantIbLb1EESZ_EEDaSU_SV_EUlSU_E_NS1_11comp_targetILNS1_3genE9ELNS1_11target_archE1100ELNS1_3gpuE3ELNS1_3repE0EEENS1_30default_config_static_selectorELNS0_4arch9wavefront6targetE1EEEvT1_
	.globl	_ZN7rocprim17ROCPRIM_400000_NS6detail17trampoline_kernelINS0_14default_configENS1_27scan_by_key_config_selectorIssEEZZNS1_16scan_by_key_implILNS1_25lookback_scan_determinismE0ELb1ES3_N6thrust23THRUST_200600_302600_NS6detail15normal_iteratorINS9_10device_ptrIsEEEESE_SE_sNS9_10multipliesIsEENS9_8equal_toIsEEsEE10hipError_tPvRmT2_T3_T4_T5_mT6_T7_P12ihipStream_tbENKUlT_T0_E_clISt17integral_constantIbLb1EESZ_EEDaSU_SV_EUlSU_E_NS1_11comp_targetILNS1_3genE9ELNS1_11target_archE1100ELNS1_3gpuE3ELNS1_3repE0EEENS1_30default_config_static_selectorELNS0_4arch9wavefront6targetE1EEEvT1_
	.p2align	8
	.type	_ZN7rocprim17ROCPRIM_400000_NS6detail17trampoline_kernelINS0_14default_configENS1_27scan_by_key_config_selectorIssEEZZNS1_16scan_by_key_implILNS1_25lookback_scan_determinismE0ELb1ES3_N6thrust23THRUST_200600_302600_NS6detail15normal_iteratorINS9_10device_ptrIsEEEESE_SE_sNS9_10multipliesIsEENS9_8equal_toIsEEsEE10hipError_tPvRmT2_T3_T4_T5_mT6_T7_P12ihipStream_tbENKUlT_T0_E_clISt17integral_constantIbLb1EESZ_EEDaSU_SV_EUlSU_E_NS1_11comp_targetILNS1_3genE9ELNS1_11target_archE1100ELNS1_3gpuE3ELNS1_3repE0EEENS1_30default_config_static_selectorELNS0_4arch9wavefront6targetE1EEEvT1_,@function
_ZN7rocprim17ROCPRIM_400000_NS6detail17trampoline_kernelINS0_14default_configENS1_27scan_by_key_config_selectorIssEEZZNS1_16scan_by_key_implILNS1_25lookback_scan_determinismE0ELb1ES3_N6thrust23THRUST_200600_302600_NS6detail15normal_iteratorINS9_10device_ptrIsEEEESE_SE_sNS9_10multipliesIsEENS9_8equal_toIsEEsEE10hipError_tPvRmT2_T3_T4_T5_mT6_T7_P12ihipStream_tbENKUlT_T0_E_clISt17integral_constantIbLb1EESZ_EEDaSU_SV_EUlSU_E_NS1_11comp_targetILNS1_3genE9ELNS1_11target_archE1100ELNS1_3gpuE3ELNS1_3repE0EEENS1_30default_config_static_selectorELNS0_4arch9wavefront6targetE1EEEvT1_: ; @_ZN7rocprim17ROCPRIM_400000_NS6detail17trampoline_kernelINS0_14default_configENS1_27scan_by_key_config_selectorIssEEZZNS1_16scan_by_key_implILNS1_25lookback_scan_determinismE0ELb1ES3_N6thrust23THRUST_200600_302600_NS6detail15normal_iteratorINS9_10device_ptrIsEEEESE_SE_sNS9_10multipliesIsEENS9_8equal_toIsEEsEE10hipError_tPvRmT2_T3_T4_T5_mT6_T7_P12ihipStream_tbENKUlT_T0_E_clISt17integral_constantIbLb1EESZ_EEDaSU_SV_EUlSU_E_NS1_11comp_targetILNS1_3genE9ELNS1_11target_archE1100ELNS1_3gpuE3ELNS1_3repE0EEENS1_30default_config_static_selectorELNS0_4arch9wavefront6targetE1EEEvT1_
; %bb.0:
	.section	.rodata,"a",@progbits
	.p2align	6, 0x0
	.amdhsa_kernel _ZN7rocprim17ROCPRIM_400000_NS6detail17trampoline_kernelINS0_14default_configENS1_27scan_by_key_config_selectorIssEEZZNS1_16scan_by_key_implILNS1_25lookback_scan_determinismE0ELb1ES3_N6thrust23THRUST_200600_302600_NS6detail15normal_iteratorINS9_10device_ptrIsEEEESE_SE_sNS9_10multipliesIsEENS9_8equal_toIsEEsEE10hipError_tPvRmT2_T3_T4_T5_mT6_T7_P12ihipStream_tbENKUlT_T0_E_clISt17integral_constantIbLb1EESZ_EEDaSU_SV_EUlSU_E_NS1_11comp_targetILNS1_3genE9ELNS1_11target_archE1100ELNS1_3gpuE3ELNS1_3repE0EEENS1_30default_config_static_selectorELNS0_4arch9wavefront6targetE1EEEvT1_
		.amdhsa_group_segment_fixed_size 0
		.amdhsa_private_segment_fixed_size 0
		.amdhsa_kernarg_size 112
		.amdhsa_user_sgpr_count 2
		.amdhsa_user_sgpr_dispatch_ptr 0
		.amdhsa_user_sgpr_queue_ptr 0
		.amdhsa_user_sgpr_kernarg_segment_ptr 1
		.amdhsa_user_sgpr_dispatch_id 0
		.amdhsa_user_sgpr_kernarg_preload_length 0
		.amdhsa_user_sgpr_kernarg_preload_offset 0
		.amdhsa_user_sgpr_private_segment_size 0
		.amdhsa_uses_dynamic_stack 0
		.amdhsa_enable_private_segment 0
		.amdhsa_system_sgpr_workgroup_id_x 1
		.amdhsa_system_sgpr_workgroup_id_y 0
		.amdhsa_system_sgpr_workgroup_id_z 0
		.amdhsa_system_sgpr_workgroup_info 0
		.amdhsa_system_vgpr_workitem_id 0
		.amdhsa_next_free_vgpr 1
		.amdhsa_next_free_sgpr 0
		.amdhsa_accum_offset 4
		.amdhsa_reserve_vcc 0
		.amdhsa_float_round_mode_32 0
		.amdhsa_float_round_mode_16_64 0
		.amdhsa_float_denorm_mode_32 3
		.amdhsa_float_denorm_mode_16_64 3
		.amdhsa_dx10_clamp 1
		.amdhsa_ieee_mode 1
		.amdhsa_fp16_overflow 0
		.amdhsa_tg_split 0
		.amdhsa_exception_fp_ieee_invalid_op 0
		.amdhsa_exception_fp_denorm_src 0
		.amdhsa_exception_fp_ieee_div_zero 0
		.amdhsa_exception_fp_ieee_overflow 0
		.amdhsa_exception_fp_ieee_underflow 0
		.amdhsa_exception_fp_ieee_inexact 0
		.amdhsa_exception_int_div_zero 0
	.end_amdhsa_kernel
	.section	.text._ZN7rocprim17ROCPRIM_400000_NS6detail17trampoline_kernelINS0_14default_configENS1_27scan_by_key_config_selectorIssEEZZNS1_16scan_by_key_implILNS1_25lookback_scan_determinismE0ELb1ES3_N6thrust23THRUST_200600_302600_NS6detail15normal_iteratorINS9_10device_ptrIsEEEESE_SE_sNS9_10multipliesIsEENS9_8equal_toIsEEsEE10hipError_tPvRmT2_T3_T4_T5_mT6_T7_P12ihipStream_tbENKUlT_T0_E_clISt17integral_constantIbLb1EESZ_EEDaSU_SV_EUlSU_E_NS1_11comp_targetILNS1_3genE9ELNS1_11target_archE1100ELNS1_3gpuE3ELNS1_3repE0EEENS1_30default_config_static_selectorELNS0_4arch9wavefront6targetE1EEEvT1_,"axG",@progbits,_ZN7rocprim17ROCPRIM_400000_NS6detail17trampoline_kernelINS0_14default_configENS1_27scan_by_key_config_selectorIssEEZZNS1_16scan_by_key_implILNS1_25lookback_scan_determinismE0ELb1ES3_N6thrust23THRUST_200600_302600_NS6detail15normal_iteratorINS9_10device_ptrIsEEEESE_SE_sNS9_10multipliesIsEENS9_8equal_toIsEEsEE10hipError_tPvRmT2_T3_T4_T5_mT6_T7_P12ihipStream_tbENKUlT_T0_E_clISt17integral_constantIbLb1EESZ_EEDaSU_SV_EUlSU_E_NS1_11comp_targetILNS1_3genE9ELNS1_11target_archE1100ELNS1_3gpuE3ELNS1_3repE0EEENS1_30default_config_static_selectorELNS0_4arch9wavefront6targetE1EEEvT1_,comdat
.Lfunc_end621:
	.size	_ZN7rocprim17ROCPRIM_400000_NS6detail17trampoline_kernelINS0_14default_configENS1_27scan_by_key_config_selectorIssEEZZNS1_16scan_by_key_implILNS1_25lookback_scan_determinismE0ELb1ES3_N6thrust23THRUST_200600_302600_NS6detail15normal_iteratorINS9_10device_ptrIsEEEESE_SE_sNS9_10multipliesIsEENS9_8equal_toIsEEsEE10hipError_tPvRmT2_T3_T4_T5_mT6_T7_P12ihipStream_tbENKUlT_T0_E_clISt17integral_constantIbLb1EESZ_EEDaSU_SV_EUlSU_E_NS1_11comp_targetILNS1_3genE9ELNS1_11target_archE1100ELNS1_3gpuE3ELNS1_3repE0EEENS1_30default_config_static_selectorELNS0_4arch9wavefront6targetE1EEEvT1_, .Lfunc_end621-_ZN7rocprim17ROCPRIM_400000_NS6detail17trampoline_kernelINS0_14default_configENS1_27scan_by_key_config_selectorIssEEZZNS1_16scan_by_key_implILNS1_25lookback_scan_determinismE0ELb1ES3_N6thrust23THRUST_200600_302600_NS6detail15normal_iteratorINS9_10device_ptrIsEEEESE_SE_sNS9_10multipliesIsEENS9_8equal_toIsEEsEE10hipError_tPvRmT2_T3_T4_T5_mT6_T7_P12ihipStream_tbENKUlT_T0_E_clISt17integral_constantIbLb1EESZ_EEDaSU_SV_EUlSU_E_NS1_11comp_targetILNS1_3genE9ELNS1_11target_archE1100ELNS1_3gpuE3ELNS1_3repE0EEENS1_30default_config_static_selectorELNS0_4arch9wavefront6targetE1EEEvT1_
                                        ; -- End function
	.section	.AMDGPU.csdata,"",@progbits
; Kernel info:
; codeLenInByte = 0
; NumSgprs: 6
; NumVgprs: 0
; NumAgprs: 0
; TotalNumVgprs: 0
; ScratchSize: 0
; MemoryBound: 0
; FloatMode: 240
; IeeeMode: 1
; LDSByteSize: 0 bytes/workgroup (compile time only)
; SGPRBlocks: 0
; VGPRBlocks: 0
; NumSGPRsForWavesPerEU: 6
; NumVGPRsForWavesPerEU: 1
; AccumOffset: 4
; Occupancy: 8
; WaveLimiterHint : 0
; COMPUTE_PGM_RSRC2:SCRATCH_EN: 0
; COMPUTE_PGM_RSRC2:USER_SGPR: 2
; COMPUTE_PGM_RSRC2:TRAP_HANDLER: 0
; COMPUTE_PGM_RSRC2:TGID_X_EN: 1
; COMPUTE_PGM_RSRC2:TGID_Y_EN: 0
; COMPUTE_PGM_RSRC2:TGID_Z_EN: 0
; COMPUTE_PGM_RSRC2:TIDIG_COMP_CNT: 0
; COMPUTE_PGM_RSRC3_GFX90A:ACCUM_OFFSET: 0
; COMPUTE_PGM_RSRC3_GFX90A:TG_SPLIT: 0
	.section	.text._ZN7rocprim17ROCPRIM_400000_NS6detail17trampoline_kernelINS0_14default_configENS1_27scan_by_key_config_selectorIssEEZZNS1_16scan_by_key_implILNS1_25lookback_scan_determinismE0ELb1ES3_N6thrust23THRUST_200600_302600_NS6detail15normal_iteratorINS9_10device_ptrIsEEEESE_SE_sNS9_10multipliesIsEENS9_8equal_toIsEEsEE10hipError_tPvRmT2_T3_T4_T5_mT6_T7_P12ihipStream_tbENKUlT_T0_E_clISt17integral_constantIbLb1EESZ_EEDaSU_SV_EUlSU_E_NS1_11comp_targetILNS1_3genE8ELNS1_11target_archE1030ELNS1_3gpuE2ELNS1_3repE0EEENS1_30default_config_static_selectorELNS0_4arch9wavefront6targetE1EEEvT1_,"axG",@progbits,_ZN7rocprim17ROCPRIM_400000_NS6detail17trampoline_kernelINS0_14default_configENS1_27scan_by_key_config_selectorIssEEZZNS1_16scan_by_key_implILNS1_25lookback_scan_determinismE0ELb1ES3_N6thrust23THRUST_200600_302600_NS6detail15normal_iteratorINS9_10device_ptrIsEEEESE_SE_sNS9_10multipliesIsEENS9_8equal_toIsEEsEE10hipError_tPvRmT2_T3_T4_T5_mT6_T7_P12ihipStream_tbENKUlT_T0_E_clISt17integral_constantIbLb1EESZ_EEDaSU_SV_EUlSU_E_NS1_11comp_targetILNS1_3genE8ELNS1_11target_archE1030ELNS1_3gpuE2ELNS1_3repE0EEENS1_30default_config_static_selectorELNS0_4arch9wavefront6targetE1EEEvT1_,comdat
	.protected	_ZN7rocprim17ROCPRIM_400000_NS6detail17trampoline_kernelINS0_14default_configENS1_27scan_by_key_config_selectorIssEEZZNS1_16scan_by_key_implILNS1_25lookback_scan_determinismE0ELb1ES3_N6thrust23THRUST_200600_302600_NS6detail15normal_iteratorINS9_10device_ptrIsEEEESE_SE_sNS9_10multipliesIsEENS9_8equal_toIsEEsEE10hipError_tPvRmT2_T3_T4_T5_mT6_T7_P12ihipStream_tbENKUlT_T0_E_clISt17integral_constantIbLb1EESZ_EEDaSU_SV_EUlSU_E_NS1_11comp_targetILNS1_3genE8ELNS1_11target_archE1030ELNS1_3gpuE2ELNS1_3repE0EEENS1_30default_config_static_selectorELNS0_4arch9wavefront6targetE1EEEvT1_ ; -- Begin function _ZN7rocprim17ROCPRIM_400000_NS6detail17trampoline_kernelINS0_14default_configENS1_27scan_by_key_config_selectorIssEEZZNS1_16scan_by_key_implILNS1_25lookback_scan_determinismE0ELb1ES3_N6thrust23THRUST_200600_302600_NS6detail15normal_iteratorINS9_10device_ptrIsEEEESE_SE_sNS9_10multipliesIsEENS9_8equal_toIsEEsEE10hipError_tPvRmT2_T3_T4_T5_mT6_T7_P12ihipStream_tbENKUlT_T0_E_clISt17integral_constantIbLb1EESZ_EEDaSU_SV_EUlSU_E_NS1_11comp_targetILNS1_3genE8ELNS1_11target_archE1030ELNS1_3gpuE2ELNS1_3repE0EEENS1_30default_config_static_selectorELNS0_4arch9wavefront6targetE1EEEvT1_
	.globl	_ZN7rocprim17ROCPRIM_400000_NS6detail17trampoline_kernelINS0_14default_configENS1_27scan_by_key_config_selectorIssEEZZNS1_16scan_by_key_implILNS1_25lookback_scan_determinismE0ELb1ES3_N6thrust23THRUST_200600_302600_NS6detail15normal_iteratorINS9_10device_ptrIsEEEESE_SE_sNS9_10multipliesIsEENS9_8equal_toIsEEsEE10hipError_tPvRmT2_T3_T4_T5_mT6_T7_P12ihipStream_tbENKUlT_T0_E_clISt17integral_constantIbLb1EESZ_EEDaSU_SV_EUlSU_E_NS1_11comp_targetILNS1_3genE8ELNS1_11target_archE1030ELNS1_3gpuE2ELNS1_3repE0EEENS1_30default_config_static_selectorELNS0_4arch9wavefront6targetE1EEEvT1_
	.p2align	8
	.type	_ZN7rocprim17ROCPRIM_400000_NS6detail17trampoline_kernelINS0_14default_configENS1_27scan_by_key_config_selectorIssEEZZNS1_16scan_by_key_implILNS1_25lookback_scan_determinismE0ELb1ES3_N6thrust23THRUST_200600_302600_NS6detail15normal_iteratorINS9_10device_ptrIsEEEESE_SE_sNS9_10multipliesIsEENS9_8equal_toIsEEsEE10hipError_tPvRmT2_T3_T4_T5_mT6_T7_P12ihipStream_tbENKUlT_T0_E_clISt17integral_constantIbLb1EESZ_EEDaSU_SV_EUlSU_E_NS1_11comp_targetILNS1_3genE8ELNS1_11target_archE1030ELNS1_3gpuE2ELNS1_3repE0EEENS1_30default_config_static_selectorELNS0_4arch9wavefront6targetE1EEEvT1_,@function
_ZN7rocprim17ROCPRIM_400000_NS6detail17trampoline_kernelINS0_14default_configENS1_27scan_by_key_config_selectorIssEEZZNS1_16scan_by_key_implILNS1_25lookback_scan_determinismE0ELb1ES3_N6thrust23THRUST_200600_302600_NS6detail15normal_iteratorINS9_10device_ptrIsEEEESE_SE_sNS9_10multipliesIsEENS9_8equal_toIsEEsEE10hipError_tPvRmT2_T3_T4_T5_mT6_T7_P12ihipStream_tbENKUlT_T0_E_clISt17integral_constantIbLb1EESZ_EEDaSU_SV_EUlSU_E_NS1_11comp_targetILNS1_3genE8ELNS1_11target_archE1030ELNS1_3gpuE2ELNS1_3repE0EEENS1_30default_config_static_selectorELNS0_4arch9wavefront6targetE1EEEvT1_: ; @_ZN7rocprim17ROCPRIM_400000_NS6detail17trampoline_kernelINS0_14default_configENS1_27scan_by_key_config_selectorIssEEZZNS1_16scan_by_key_implILNS1_25lookback_scan_determinismE0ELb1ES3_N6thrust23THRUST_200600_302600_NS6detail15normal_iteratorINS9_10device_ptrIsEEEESE_SE_sNS9_10multipliesIsEENS9_8equal_toIsEEsEE10hipError_tPvRmT2_T3_T4_T5_mT6_T7_P12ihipStream_tbENKUlT_T0_E_clISt17integral_constantIbLb1EESZ_EEDaSU_SV_EUlSU_E_NS1_11comp_targetILNS1_3genE8ELNS1_11target_archE1030ELNS1_3gpuE2ELNS1_3repE0EEENS1_30default_config_static_selectorELNS0_4arch9wavefront6targetE1EEEvT1_
; %bb.0:
	.section	.rodata,"a",@progbits
	.p2align	6, 0x0
	.amdhsa_kernel _ZN7rocprim17ROCPRIM_400000_NS6detail17trampoline_kernelINS0_14default_configENS1_27scan_by_key_config_selectorIssEEZZNS1_16scan_by_key_implILNS1_25lookback_scan_determinismE0ELb1ES3_N6thrust23THRUST_200600_302600_NS6detail15normal_iteratorINS9_10device_ptrIsEEEESE_SE_sNS9_10multipliesIsEENS9_8equal_toIsEEsEE10hipError_tPvRmT2_T3_T4_T5_mT6_T7_P12ihipStream_tbENKUlT_T0_E_clISt17integral_constantIbLb1EESZ_EEDaSU_SV_EUlSU_E_NS1_11comp_targetILNS1_3genE8ELNS1_11target_archE1030ELNS1_3gpuE2ELNS1_3repE0EEENS1_30default_config_static_selectorELNS0_4arch9wavefront6targetE1EEEvT1_
		.amdhsa_group_segment_fixed_size 0
		.amdhsa_private_segment_fixed_size 0
		.amdhsa_kernarg_size 112
		.amdhsa_user_sgpr_count 2
		.amdhsa_user_sgpr_dispatch_ptr 0
		.amdhsa_user_sgpr_queue_ptr 0
		.amdhsa_user_sgpr_kernarg_segment_ptr 1
		.amdhsa_user_sgpr_dispatch_id 0
		.amdhsa_user_sgpr_kernarg_preload_length 0
		.amdhsa_user_sgpr_kernarg_preload_offset 0
		.amdhsa_user_sgpr_private_segment_size 0
		.amdhsa_uses_dynamic_stack 0
		.amdhsa_enable_private_segment 0
		.amdhsa_system_sgpr_workgroup_id_x 1
		.amdhsa_system_sgpr_workgroup_id_y 0
		.amdhsa_system_sgpr_workgroup_id_z 0
		.amdhsa_system_sgpr_workgroup_info 0
		.amdhsa_system_vgpr_workitem_id 0
		.amdhsa_next_free_vgpr 1
		.amdhsa_next_free_sgpr 0
		.amdhsa_accum_offset 4
		.amdhsa_reserve_vcc 0
		.amdhsa_float_round_mode_32 0
		.amdhsa_float_round_mode_16_64 0
		.amdhsa_float_denorm_mode_32 3
		.amdhsa_float_denorm_mode_16_64 3
		.amdhsa_dx10_clamp 1
		.amdhsa_ieee_mode 1
		.amdhsa_fp16_overflow 0
		.amdhsa_tg_split 0
		.amdhsa_exception_fp_ieee_invalid_op 0
		.amdhsa_exception_fp_denorm_src 0
		.amdhsa_exception_fp_ieee_div_zero 0
		.amdhsa_exception_fp_ieee_overflow 0
		.amdhsa_exception_fp_ieee_underflow 0
		.amdhsa_exception_fp_ieee_inexact 0
		.amdhsa_exception_int_div_zero 0
	.end_amdhsa_kernel
	.section	.text._ZN7rocprim17ROCPRIM_400000_NS6detail17trampoline_kernelINS0_14default_configENS1_27scan_by_key_config_selectorIssEEZZNS1_16scan_by_key_implILNS1_25lookback_scan_determinismE0ELb1ES3_N6thrust23THRUST_200600_302600_NS6detail15normal_iteratorINS9_10device_ptrIsEEEESE_SE_sNS9_10multipliesIsEENS9_8equal_toIsEEsEE10hipError_tPvRmT2_T3_T4_T5_mT6_T7_P12ihipStream_tbENKUlT_T0_E_clISt17integral_constantIbLb1EESZ_EEDaSU_SV_EUlSU_E_NS1_11comp_targetILNS1_3genE8ELNS1_11target_archE1030ELNS1_3gpuE2ELNS1_3repE0EEENS1_30default_config_static_selectorELNS0_4arch9wavefront6targetE1EEEvT1_,"axG",@progbits,_ZN7rocprim17ROCPRIM_400000_NS6detail17trampoline_kernelINS0_14default_configENS1_27scan_by_key_config_selectorIssEEZZNS1_16scan_by_key_implILNS1_25lookback_scan_determinismE0ELb1ES3_N6thrust23THRUST_200600_302600_NS6detail15normal_iteratorINS9_10device_ptrIsEEEESE_SE_sNS9_10multipliesIsEENS9_8equal_toIsEEsEE10hipError_tPvRmT2_T3_T4_T5_mT6_T7_P12ihipStream_tbENKUlT_T0_E_clISt17integral_constantIbLb1EESZ_EEDaSU_SV_EUlSU_E_NS1_11comp_targetILNS1_3genE8ELNS1_11target_archE1030ELNS1_3gpuE2ELNS1_3repE0EEENS1_30default_config_static_selectorELNS0_4arch9wavefront6targetE1EEEvT1_,comdat
.Lfunc_end622:
	.size	_ZN7rocprim17ROCPRIM_400000_NS6detail17trampoline_kernelINS0_14default_configENS1_27scan_by_key_config_selectorIssEEZZNS1_16scan_by_key_implILNS1_25lookback_scan_determinismE0ELb1ES3_N6thrust23THRUST_200600_302600_NS6detail15normal_iteratorINS9_10device_ptrIsEEEESE_SE_sNS9_10multipliesIsEENS9_8equal_toIsEEsEE10hipError_tPvRmT2_T3_T4_T5_mT6_T7_P12ihipStream_tbENKUlT_T0_E_clISt17integral_constantIbLb1EESZ_EEDaSU_SV_EUlSU_E_NS1_11comp_targetILNS1_3genE8ELNS1_11target_archE1030ELNS1_3gpuE2ELNS1_3repE0EEENS1_30default_config_static_selectorELNS0_4arch9wavefront6targetE1EEEvT1_, .Lfunc_end622-_ZN7rocprim17ROCPRIM_400000_NS6detail17trampoline_kernelINS0_14default_configENS1_27scan_by_key_config_selectorIssEEZZNS1_16scan_by_key_implILNS1_25lookback_scan_determinismE0ELb1ES3_N6thrust23THRUST_200600_302600_NS6detail15normal_iteratorINS9_10device_ptrIsEEEESE_SE_sNS9_10multipliesIsEENS9_8equal_toIsEEsEE10hipError_tPvRmT2_T3_T4_T5_mT6_T7_P12ihipStream_tbENKUlT_T0_E_clISt17integral_constantIbLb1EESZ_EEDaSU_SV_EUlSU_E_NS1_11comp_targetILNS1_3genE8ELNS1_11target_archE1030ELNS1_3gpuE2ELNS1_3repE0EEENS1_30default_config_static_selectorELNS0_4arch9wavefront6targetE1EEEvT1_
                                        ; -- End function
	.section	.AMDGPU.csdata,"",@progbits
; Kernel info:
; codeLenInByte = 0
; NumSgprs: 6
; NumVgprs: 0
; NumAgprs: 0
; TotalNumVgprs: 0
; ScratchSize: 0
; MemoryBound: 0
; FloatMode: 240
; IeeeMode: 1
; LDSByteSize: 0 bytes/workgroup (compile time only)
; SGPRBlocks: 0
; VGPRBlocks: 0
; NumSGPRsForWavesPerEU: 6
; NumVGPRsForWavesPerEU: 1
; AccumOffset: 4
; Occupancy: 8
; WaveLimiterHint : 0
; COMPUTE_PGM_RSRC2:SCRATCH_EN: 0
; COMPUTE_PGM_RSRC2:USER_SGPR: 2
; COMPUTE_PGM_RSRC2:TRAP_HANDLER: 0
; COMPUTE_PGM_RSRC2:TGID_X_EN: 1
; COMPUTE_PGM_RSRC2:TGID_Y_EN: 0
; COMPUTE_PGM_RSRC2:TGID_Z_EN: 0
; COMPUTE_PGM_RSRC2:TIDIG_COMP_CNT: 0
; COMPUTE_PGM_RSRC3_GFX90A:ACCUM_OFFSET: 0
; COMPUTE_PGM_RSRC3_GFX90A:TG_SPLIT: 0
	.section	.text._ZN7rocprim17ROCPRIM_400000_NS6detail17trampoline_kernelINS0_14default_configENS1_27scan_by_key_config_selectorIssEEZZNS1_16scan_by_key_implILNS1_25lookback_scan_determinismE0ELb1ES3_N6thrust23THRUST_200600_302600_NS6detail15normal_iteratorINS9_10device_ptrIsEEEESE_SE_sNS9_10multipliesIsEENS9_8equal_toIsEEsEE10hipError_tPvRmT2_T3_T4_T5_mT6_T7_P12ihipStream_tbENKUlT_T0_E_clISt17integral_constantIbLb1EESY_IbLb0EEEEDaSU_SV_EUlSU_E_NS1_11comp_targetILNS1_3genE0ELNS1_11target_archE4294967295ELNS1_3gpuE0ELNS1_3repE0EEENS1_30default_config_static_selectorELNS0_4arch9wavefront6targetE1EEEvT1_,"axG",@progbits,_ZN7rocprim17ROCPRIM_400000_NS6detail17trampoline_kernelINS0_14default_configENS1_27scan_by_key_config_selectorIssEEZZNS1_16scan_by_key_implILNS1_25lookback_scan_determinismE0ELb1ES3_N6thrust23THRUST_200600_302600_NS6detail15normal_iteratorINS9_10device_ptrIsEEEESE_SE_sNS9_10multipliesIsEENS9_8equal_toIsEEsEE10hipError_tPvRmT2_T3_T4_T5_mT6_T7_P12ihipStream_tbENKUlT_T0_E_clISt17integral_constantIbLb1EESY_IbLb0EEEEDaSU_SV_EUlSU_E_NS1_11comp_targetILNS1_3genE0ELNS1_11target_archE4294967295ELNS1_3gpuE0ELNS1_3repE0EEENS1_30default_config_static_selectorELNS0_4arch9wavefront6targetE1EEEvT1_,comdat
	.protected	_ZN7rocprim17ROCPRIM_400000_NS6detail17trampoline_kernelINS0_14default_configENS1_27scan_by_key_config_selectorIssEEZZNS1_16scan_by_key_implILNS1_25lookback_scan_determinismE0ELb1ES3_N6thrust23THRUST_200600_302600_NS6detail15normal_iteratorINS9_10device_ptrIsEEEESE_SE_sNS9_10multipliesIsEENS9_8equal_toIsEEsEE10hipError_tPvRmT2_T3_T4_T5_mT6_T7_P12ihipStream_tbENKUlT_T0_E_clISt17integral_constantIbLb1EESY_IbLb0EEEEDaSU_SV_EUlSU_E_NS1_11comp_targetILNS1_3genE0ELNS1_11target_archE4294967295ELNS1_3gpuE0ELNS1_3repE0EEENS1_30default_config_static_selectorELNS0_4arch9wavefront6targetE1EEEvT1_ ; -- Begin function _ZN7rocprim17ROCPRIM_400000_NS6detail17trampoline_kernelINS0_14default_configENS1_27scan_by_key_config_selectorIssEEZZNS1_16scan_by_key_implILNS1_25lookback_scan_determinismE0ELb1ES3_N6thrust23THRUST_200600_302600_NS6detail15normal_iteratorINS9_10device_ptrIsEEEESE_SE_sNS9_10multipliesIsEENS9_8equal_toIsEEsEE10hipError_tPvRmT2_T3_T4_T5_mT6_T7_P12ihipStream_tbENKUlT_T0_E_clISt17integral_constantIbLb1EESY_IbLb0EEEEDaSU_SV_EUlSU_E_NS1_11comp_targetILNS1_3genE0ELNS1_11target_archE4294967295ELNS1_3gpuE0ELNS1_3repE0EEENS1_30default_config_static_selectorELNS0_4arch9wavefront6targetE1EEEvT1_
	.globl	_ZN7rocprim17ROCPRIM_400000_NS6detail17trampoline_kernelINS0_14default_configENS1_27scan_by_key_config_selectorIssEEZZNS1_16scan_by_key_implILNS1_25lookback_scan_determinismE0ELb1ES3_N6thrust23THRUST_200600_302600_NS6detail15normal_iteratorINS9_10device_ptrIsEEEESE_SE_sNS9_10multipliesIsEENS9_8equal_toIsEEsEE10hipError_tPvRmT2_T3_T4_T5_mT6_T7_P12ihipStream_tbENKUlT_T0_E_clISt17integral_constantIbLb1EESY_IbLb0EEEEDaSU_SV_EUlSU_E_NS1_11comp_targetILNS1_3genE0ELNS1_11target_archE4294967295ELNS1_3gpuE0ELNS1_3repE0EEENS1_30default_config_static_selectorELNS0_4arch9wavefront6targetE1EEEvT1_
	.p2align	8
	.type	_ZN7rocprim17ROCPRIM_400000_NS6detail17trampoline_kernelINS0_14default_configENS1_27scan_by_key_config_selectorIssEEZZNS1_16scan_by_key_implILNS1_25lookback_scan_determinismE0ELb1ES3_N6thrust23THRUST_200600_302600_NS6detail15normal_iteratorINS9_10device_ptrIsEEEESE_SE_sNS9_10multipliesIsEENS9_8equal_toIsEEsEE10hipError_tPvRmT2_T3_T4_T5_mT6_T7_P12ihipStream_tbENKUlT_T0_E_clISt17integral_constantIbLb1EESY_IbLb0EEEEDaSU_SV_EUlSU_E_NS1_11comp_targetILNS1_3genE0ELNS1_11target_archE4294967295ELNS1_3gpuE0ELNS1_3repE0EEENS1_30default_config_static_selectorELNS0_4arch9wavefront6targetE1EEEvT1_,@function
_ZN7rocprim17ROCPRIM_400000_NS6detail17trampoline_kernelINS0_14default_configENS1_27scan_by_key_config_selectorIssEEZZNS1_16scan_by_key_implILNS1_25lookback_scan_determinismE0ELb1ES3_N6thrust23THRUST_200600_302600_NS6detail15normal_iteratorINS9_10device_ptrIsEEEESE_SE_sNS9_10multipliesIsEENS9_8equal_toIsEEsEE10hipError_tPvRmT2_T3_T4_T5_mT6_T7_P12ihipStream_tbENKUlT_T0_E_clISt17integral_constantIbLb1EESY_IbLb0EEEEDaSU_SV_EUlSU_E_NS1_11comp_targetILNS1_3genE0ELNS1_11target_archE4294967295ELNS1_3gpuE0ELNS1_3repE0EEENS1_30default_config_static_selectorELNS0_4arch9wavefront6targetE1EEEvT1_: ; @_ZN7rocprim17ROCPRIM_400000_NS6detail17trampoline_kernelINS0_14default_configENS1_27scan_by_key_config_selectorIssEEZZNS1_16scan_by_key_implILNS1_25lookback_scan_determinismE0ELb1ES3_N6thrust23THRUST_200600_302600_NS6detail15normal_iteratorINS9_10device_ptrIsEEEESE_SE_sNS9_10multipliesIsEENS9_8equal_toIsEEsEE10hipError_tPvRmT2_T3_T4_T5_mT6_T7_P12ihipStream_tbENKUlT_T0_E_clISt17integral_constantIbLb1EESY_IbLb0EEEEDaSU_SV_EUlSU_E_NS1_11comp_targetILNS1_3genE0ELNS1_11target_archE4294967295ELNS1_3gpuE0ELNS1_3repE0EEENS1_30default_config_static_selectorELNS0_4arch9wavefront6targetE1EEEvT1_
; %bb.0:
	.section	.rodata,"a",@progbits
	.p2align	6, 0x0
	.amdhsa_kernel _ZN7rocprim17ROCPRIM_400000_NS6detail17trampoline_kernelINS0_14default_configENS1_27scan_by_key_config_selectorIssEEZZNS1_16scan_by_key_implILNS1_25lookback_scan_determinismE0ELb1ES3_N6thrust23THRUST_200600_302600_NS6detail15normal_iteratorINS9_10device_ptrIsEEEESE_SE_sNS9_10multipliesIsEENS9_8equal_toIsEEsEE10hipError_tPvRmT2_T3_T4_T5_mT6_T7_P12ihipStream_tbENKUlT_T0_E_clISt17integral_constantIbLb1EESY_IbLb0EEEEDaSU_SV_EUlSU_E_NS1_11comp_targetILNS1_3genE0ELNS1_11target_archE4294967295ELNS1_3gpuE0ELNS1_3repE0EEENS1_30default_config_static_selectorELNS0_4arch9wavefront6targetE1EEEvT1_
		.amdhsa_group_segment_fixed_size 0
		.amdhsa_private_segment_fixed_size 0
		.amdhsa_kernarg_size 112
		.amdhsa_user_sgpr_count 2
		.amdhsa_user_sgpr_dispatch_ptr 0
		.amdhsa_user_sgpr_queue_ptr 0
		.amdhsa_user_sgpr_kernarg_segment_ptr 1
		.amdhsa_user_sgpr_dispatch_id 0
		.amdhsa_user_sgpr_kernarg_preload_length 0
		.amdhsa_user_sgpr_kernarg_preload_offset 0
		.amdhsa_user_sgpr_private_segment_size 0
		.amdhsa_uses_dynamic_stack 0
		.amdhsa_enable_private_segment 0
		.amdhsa_system_sgpr_workgroup_id_x 1
		.amdhsa_system_sgpr_workgroup_id_y 0
		.amdhsa_system_sgpr_workgroup_id_z 0
		.amdhsa_system_sgpr_workgroup_info 0
		.amdhsa_system_vgpr_workitem_id 0
		.amdhsa_next_free_vgpr 1
		.amdhsa_next_free_sgpr 0
		.amdhsa_accum_offset 4
		.amdhsa_reserve_vcc 0
		.amdhsa_float_round_mode_32 0
		.amdhsa_float_round_mode_16_64 0
		.amdhsa_float_denorm_mode_32 3
		.amdhsa_float_denorm_mode_16_64 3
		.amdhsa_dx10_clamp 1
		.amdhsa_ieee_mode 1
		.amdhsa_fp16_overflow 0
		.amdhsa_tg_split 0
		.amdhsa_exception_fp_ieee_invalid_op 0
		.amdhsa_exception_fp_denorm_src 0
		.amdhsa_exception_fp_ieee_div_zero 0
		.amdhsa_exception_fp_ieee_overflow 0
		.amdhsa_exception_fp_ieee_underflow 0
		.amdhsa_exception_fp_ieee_inexact 0
		.amdhsa_exception_int_div_zero 0
	.end_amdhsa_kernel
	.section	.text._ZN7rocprim17ROCPRIM_400000_NS6detail17trampoline_kernelINS0_14default_configENS1_27scan_by_key_config_selectorIssEEZZNS1_16scan_by_key_implILNS1_25lookback_scan_determinismE0ELb1ES3_N6thrust23THRUST_200600_302600_NS6detail15normal_iteratorINS9_10device_ptrIsEEEESE_SE_sNS9_10multipliesIsEENS9_8equal_toIsEEsEE10hipError_tPvRmT2_T3_T4_T5_mT6_T7_P12ihipStream_tbENKUlT_T0_E_clISt17integral_constantIbLb1EESY_IbLb0EEEEDaSU_SV_EUlSU_E_NS1_11comp_targetILNS1_3genE0ELNS1_11target_archE4294967295ELNS1_3gpuE0ELNS1_3repE0EEENS1_30default_config_static_selectorELNS0_4arch9wavefront6targetE1EEEvT1_,"axG",@progbits,_ZN7rocprim17ROCPRIM_400000_NS6detail17trampoline_kernelINS0_14default_configENS1_27scan_by_key_config_selectorIssEEZZNS1_16scan_by_key_implILNS1_25lookback_scan_determinismE0ELb1ES3_N6thrust23THRUST_200600_302600_NS6detail15normal_iteratorINS9_10device_ptrIsEEEESE_SE_sNS9_10multipliesIsEENS9_8equal_toIsEEsEE10hipError_tPvRmT2_T3_T4_T5_mT6_T7_P12ihipStream_tbENKUlT_T0_E_clISt17integral_constantIbLb1EESY_IbLb0EEEEDaSU_SV_EUlSU_E_NS1_11comp_targetILNS1_3genE0ELNS1_11target_archE4294967295ELNS1_3gpuE0ELNS1_3repE0EEENS1_30default_config_static_selectorELNS0_4arch9wavefront6targetE1EEEvT1_,comdat
.Lfunc_end623:
	.size	_ZN7rocprim17ROCPRIM_400000_NS6detail17trampoline_kernelINS0_14default_configENS1_27scan_by_key_config_selectorIssEEZZNS1_16scan_by_key_implILNS1_25lookback_scan_determinismE0ELb1ES3_N6thrust23THRUST_200600_302600_NS6detail15normal_iteratorINS9_10device_ptrIsEEEESE_SE_sNS9_10multipliesIsEENS9_8equal_toIsEEsEE10hipError_tPvRmT2_T3_T4_T5_mT6_T7_P12ihipStream_tbENKUlT_T0_E_clISt17integral_constantIbLb1EESY_IbLb0EEEEDaSU_SV_EUlSU_E_NS1_11comp_targetILNS1_3genE0ELNS1_11target_archE4294967295ELNS1_3gpuE0ELNS1_3repE0EEENS1_30default_config_static_selectorELNS0_4arch9wavefront6targetE1EEEvT1_, .Lfunc_end623-_ZN7rocprim17ROCPRIM_400000_NS6detail17trampoline_kernelINS0_14default_configENS1_27scan_by_key_config_selectorIssEEZZNS1_16scan_by_key_implILNS1_25lookback_scan_determinismE0ELb1ES3_N6thrust23THRUST_200600_302600_NS6detail15normal_iteratorINS9_10device_ptrIsEEEESE_SE_sNS9_10multipliesIsEENS9_8equal_toIsEEsEE10hipError_tPvRmT2_T3_T4_T5_mT6_T7_P12ihipStream_tbENKUlT_T0_E_clISt17integral_constantIbLb1EESY_IbLb0EEEEDaSU_SV_EUlSU_E_NS1_11comp_targetILNS1_3genE0ELNS1_11target_archE4294967295ELNS1_3gpuE0ELNS1_3repE0EEENS1_30default_config_static_selectorELNS0_4arch9wavefront6targetE1EEEvT1_
                                        ; -- End function
	.section	.AMDGPU.csdata,"",@progbits
; Kernel info:
; codeLenInByte = 0
; NumSgprs: 6
; NumVgprs: 0
; NumAgprs: 0
; TotalNumVgprs: 0
; ScratchSize: 0
; MemoryBound: 0
; FloatMode: 240
; IeeeMode: 1
; LDSByteSize: 0 bytes/workgroup (compile time only)
; SGPRBlocks: 0
; VGPRBlocks: 0
; NumSGPRsForWavesPerEU: 6
; NumVGPRsForWavesPerEU: 1
; AccumOffset: 4
; Occupancy: 8
; WaveLimiterHint : 0
; COMPUTE_PGM_RSRC2:SCRATCH_EN: 0
; COMPUTE_PGM_RSRC2:USER_SGPR: 2
; COMPUTE_PGM_RSRC2:TRAP_HANDLER: 0
; COMPUTE_PGM_RSRC2:TGID_X_EN: 1
; COMPUTE_PGM_RSRC2:TGID_Y_EN: 0
; COMPUTE_PGM_RSRC2:TGID_Z_EN: 0
; COMPUTE_PGM_RSRC2:TIDIG_COMP_CNT: 0
; COMPUTE_PGM_RSRC3_GFX90A:ACCUM_OFFSET: 0
; COMPUTE_PGM_RSRC3_GFX90A:TG_SPLIT: 0
	.section	.text._ZN7rocprim17ROCPRIM_400000_NS6detail17trampoline_kernelINS0_14default_configENS1_27scan_by_key_config_selectorIssEEZZNS1_16scan_by_key_implILNS1_25lookback_scan_determinismE0ELb1ES3_N6thrust23THRUST_200600_302600_NS6detail15normal_iteratorINS9_10device_ptrIsEEEESE_SE_sNS9_10multipliesIsEENS9_8equal_toIsEEsEE10hipError_tPvRmT2_T3_T4_T5_mT6_T7_P12ihipStream_tbENKUlT_T0_E_clISt17integral_constantIbLb1EESY_IbLb0EEEEDaSU_SV_EUlSU_E_NS1_11comp_targetILNS1_3genE10ELNS1_11target_archE1201ELNS1_3gpuE5ELNS1_3repE0EEENS1_30default_config_static_selectorELNS0_4arch9wavefront6targetE1EEEvT1_,"axG",@progbits,_ZN7rocprim17ROCPRIM_400000_NS6detail17trampoline_kernelINS0_14default_configENS1_27scan_by_key_config_selectorIssEEZZNS1_16scan_by_key_implILNS1_25lookback_scan_determinismE0ELb1ES3_N6thrust23THRUST_200600_302600_NS6detail15normal_iteratorINS9_10device_ptrIsEEEESE_SE_sNS9_10multipliesIsEENS9_8equal_toIsEEsEE10hipError_tPvRmT2_T3_T4_T5_mT6_T7_P12ihipStream_tbENKUlT_T0_E_clISt17integral_constantIbLb1EESY_IbLb0EEEEDaSU_SV_EUlSU_E_NS1_11comp_targetILNS1_3genE10ELNS1_11target_archE1201ELNS1_3gpuE5ELNS1_3repE0EEENS1_30default_config_static_selectorELNS0_4arch9wavefront6targetE1EEEvT1_,comdat
	.protected	_ZN7rocprim17ROCPRIM_400000_NS6detail17trampoline_kernelINS0_14default_configENS1_27scan_by_key_config_selectorIssEEZZNS1_16scan_by_key_implILNS1_25lookback_scan_determinismE0ELb1ES3_N6thrust23THRUST_200600_302600_NS6detail15normal_iteratorINS9_10device_ptrIsEEEESE_SE_sNS9_10multipliesIsEENS9_8equal_toIsEEsEE10hipError_tPvRmT2_T3_T4_T5_mT6_T7_P12ihipStream_tbENKUlT_T0_E_clISt17integral_constantIbLb1EESY_IbLb0EEEEDaSU_SV_EUlSU_E_NS1_11comp_targetILNS1_3genE10ELNS1_11target_archE1201ELNS1_3gpuE5ELNS1_3repE0EEENS1_30default_config_static_selectorELNS0_4arch9wavefront6targetE1EEEvT1_ ; -- Begin function _ZN7rocprim17ROCPRIM_400000_NS6detail17trampoline_kernelINS0_14default_configENS1_27scan_by_key_config_selectorIssEEZZNS1_16scan_by_key_implILNS1_25lookback_scan_determinismE0ELb1ES3_N6thrust23THRUST_200600_302600_NS6detail15normal_iteratorINS9_10device_ptrIsEEEESE_SE_sNS9_10multipliesIsEENS9_8equal_toIsEEsEE10hipError_tPvRmT2_T3_T4_T5_mT6_T7_P12ihipStream_tbENKUlT_T0_E_clISt17integral_constantIbLb1EESY_IbLb0EEEEDaSU_SV_EUlSU_E_NS1_11comp_targetILNS1_3genE10ELNS1_11target_archE1201ELNS1_3gpuE5ELNS1_3repE0EEENS1_30default_config_static_selectorELNS0_4arch9wavefront6targetE1EEEvT1_
	.globl	_ZN7rocprim17ROCPRIM_400000_NS6detail17trampoline_kernelINS0_14default_configENS1_27scan_by_key_config_selectorIssEEZZNS1_16scan_by_key_implILNS1_25lookback_scan_determinismE0ELb1ES3_N6thrust23THRUST_200600_302600_NS6detail15normal_iteratorINS9_10device_ptrIsEEEESE_SE_sNS9_10multipliesIsEENS9_8equal_toIsEEsEE10hipError_tPvRmT2_T3_T4_T5_mT6_T7_P12ihipStream_tbENKUlT_T0_E_clISt17integral_constantIbLb1EESY_IbLb0EEEEDaSU_SV_EUlSU_E_NS1_11comp_targetILNS1_3genE10ELNS1_11target_archE1201ELNS1_3gpuE5ELNS1_3repE0EEENS1_30default_config_static_selectorELNS0_4arch9wavefront6targetE1EEEvT1_
	.p2align	8
	.type	_ZN7rocprim17ROCPRIM_400000_NS6detail17trampoline_kernelINS0_14default_configENS1_27scan_by_key_config_selectorIssEEZZNS1_16scan_by_key_implILNS1_25lookback_scan_determinismE0ELb1ES3_N6thrust23THRUST_200600_302600_NS6detail15normal_iteratorINS9_10device_ptrIsEEEESE_SE_sNS9_10multipliesIsEENS9_8equal_toIsEEsEE10hipError_tPvRmT2_T3_T4_T5_mT6_T7_P12ihipStream_tbENKUlT_T0_E_clISt17integral_constantIbLb1EESY_IbLb0EEEEDaSU_SV_EUlSU_E_NS1_11comp_targetILNS1_3genE10ELNS1_11target_archE1201ELNS1_3gpuE5ELNS1_3repE0EEENS1_30default_config_static_selectorELNS0_4arch9wavefront6targetE1EEEvT1_,@function
_ZN7rocprim17ROCPRIM_400000_NS6detail17trampoline_kernelINS0_14default_configENS1_27scan_by_key_config_selectorIssEEZZNS1_16scan_by_key_implILNS1_25lookback_scan_determinismE0ELb1ES3_N6thrust23THRUST_200600_302600_NS6detail15normal_iteratorINS9_10device_ptrIsEEEESE_SE_sNS9_10multipliesIsEENS9_8equal_toIsEEsEE10hipError_tPvRmT2_T3_T4_T5_mT6_T7_P12ihipStream_tbENKUlT_T0_E_clISt17integral_constantIbLb1EESY_IbLb0EEEEDaSU_SV_EUlSU_E_NS1_11comp_targetILNS1_3genE10ELNS1_11target_archE1201ELNS1_3gpuE5ELNS1_3repE0EEENS1_30default_config_static_selectorELNS0_4arch9wavefront6targetE1EEEvT1_: ; @_ZN7rocprim17ROCPRIM_400000_NS6detail17trampoline_kernelINS0_14default_configENS1_27scan_by_key_config_selectorIssEEZZNS1_16scan_by_key_implILNS1_25lookback_scan_determinismE0ELb1ES3_N6thrust23THRUST_200600_302600_NS6detail15normal_iteratorINS9_10device_ptrIsEEEESE_SE_sNS9_10multipliesIsEENS9_8equal_toIsEEsEE10hipError_tPvRmT2_T3_T4_T5_mT6_T7_P12ihipStream_tbENKUlT_T0_E_clISt17integral_constantIbLb1EESY_IbLb0EEEEDaSU_SV_EUlSU_E_NS1_11comp_targetILNS1_3genE10ELNS1_11target_archE1201ELNS1_3gpuE5ELNS1_3repE0EEENS1_30default_config_static_selectorELNS0_4arch9wavefront6targetE1EEEvT1_
; %bb.0:
	.section	.rodata,"a",@progbits
	.p2align	6, 0x0
	.amdhsa_kernel _ZN7rocprim17ROCPRIM_400000_NS6detail17trampoline_kernelINS0_14default_configENS1_27scan_by_key_config_selectorIssEEZZNS1_16scan_by_key_implILNS1_25lookback_scan_determinismE0ELb1ES3_N6thrust23THRUST_200600_302600_NS6detail15normal_iteratorINS9_10device_ptrIsEEEESE_SE_sNS9_10multipliesIsEENS9_8equal_toIsEEsEE10hipError_tPvRmT2_T3_T4_T5_mT6_T7_P12ihipStream_tbENKUlT_T0_E_clISt17integral_constantIbLb1EESY_IbLb0EEEEDaSU_SV_EUlSU_E_NS1_11comp_targetILNS1_3genE10ELNS1_11target_archE1201ELNS1_3gpuE5ELNS1_3repE0EEENS1_30default_config_static_selectorELNS0_4arch9wavefront6targetE1EEEvT1_
		.amdhsa_group_segment_fixed_size 0
		.amdhsa_private_segment_fixed_size 0
		.amdhsa_kernarg_size 112
		.amdhsa_user_sgpr_count 2
		.amdhsa_user_sgpr_dispatch_ptr 0
		.amdhsa_user_sgpr_queue_ptr 0
		.amdhsa_user_sgpr_kernarg_segment_ptr 1
		.amdhsa_user_sgpr_dispatch_id 0
		.amdhsa_user_sgpr_kernarg_preload_length 0
		.amdhsa_user_sgpr_kernarg_preload_offset 0
		.amdhsa_user_sgpr_private_segment_size 0
		.amdhsa_uses_dynamic_stack 0
		.amdhsa_enable_private_segment 0
		.amdhsa_system_sgpr_workgroup_id_x 1
		.amdhsa_system_sgpr_workgroup_id_y 0
		.amdhsa_system_sgpr_workgroup_id_z 0
		.amdhsa_system_sgpr_workgroup_info 0
		.amdhsa_system_vgpr_workitem_id 0
		.amdhsa_next_free_vgpr 1
		.amdhsa_next_free_sgpr 0
		.amdhsa_accum_offset 4
		.amdhsa_reserve_vcc 0
		.amdhsa_float_round_mode_32 0
		.amdhsa_float_round_mode_16_64 0
		.amdhsa_float_denorm_mode_32 3
		.amdhsa_float_denorm_mode_16_64 3
		.amdhsa_dx10_clamp 1
		.amdhsa_ieee_mode 1
		.amdhsa_fp16_overflow 0
		.amdhsa_tg_split 0
		.amdhsa_exception_fp_ieee_invalid_op 0
		.amdhsa_exception_fp_denorm_src 0
		.amdhsa_exception_fp_ieee_div_zero 0
		.amdhsa_exception_fp_ieee_overflow 0
		.amdhsa_exception_fp_ieee_underflow 0
		.amdhsa_exception_fp_ieee_inexact 0
		.amdhsa_exception_int_div_zero 0
	.end_amdhsa_kernel
	.section	.text._ZN7rocprim17ROCPRIM_400000_NS6detail17trampoline_kernelINS0_14default_configENS1_27scan_by_key_config_selectorIssEEZZNS1_16scan_by_key_implILNS1_25lookback_scan_determinismE0ELb1ES3_N6thrust23THRUST_200600_302600_NS6detail15normal_iteratorINS9_10device_ptrIsEEEESE_SE_sNS9_10multipliesIsEENS9_8equal_toIsEEsEE10hipError_tPvRmT2_T3_T4_T5_mT6_T7_P12ihipStream_tbENKUlT_T0_E_clISt17integral_constantIbLb1EESY_IbLb0EEEEDaSU_SV_EUlSU_E_NS1_11comp_targetILNS1_3genE10ELNS1_11target_archE1201ELNS1_3gpuE5ELNS1_3repE0EEENS1_30default_config_static_selectorELNS0_4arch9wavefront6targetE1EEEvT1_,"axG",@progbits,_ZN7rocprim17ROCPRIM_400000_NS6detail17trampoline_kernelINS0_14default_configENS1_27scan_by_key_config_selectorIssEEZZNS1_16scan_by_key_implILNS1_25lookback_scan_determinismE0ELb1ES3_N6thrust23THRUST_200600_302600_NS6detail15normal_iteratorINS9_10device_ptrIsEEEESE_SE_sNS9_10multipliesIsEENS9_8equal_toIsEEsEE10hipError_tPvRmT2_T3_T4_T5_mT6_T7_P12ihipStream_tbENKUlT_T0_E_clISt17integral_constantIbLb1EESY_IbLb0EEEEDaSU_SV_EUlSU_E_NS1_11comp_targetILNS1_3genE10ELNS1_11target_archE1201ELNS1_3gpuE5ELNS1_3repE0EEENS1_30default_config_static_selectorELNS0_4arch9wavefront6targetE1EEEvT1_,comdat
.Lfunc_end624:
	.size	_ZN7rocprim17ROCPRIM_400000_NS6detail17trampoline_kernelINS0_14default_configENS1_27scan_by_key_config_selectorIssEEZZNS1_16scan_by_key_implILNS1_25lookback_scan_determinismE0ELb1ES3_N6thrust23THRUST_200600_302600_NS6detail15normal_iteratorINS9_10device_ptrIsEEEESE_SE_sNS9_10multipliesIsEENS9_8equal_toIsEEsEE10hipError_tPvRmT2_T3_T4_T5_mT6_T7_P12ihipStream_tbENKUlT_T0_E_clISt17integral_constantIbLb1EESY_IbLb0EEEEDaSU_SV_EUlSU_E_NS1_11comp_targetILNS1_3genE10ELNS1_11target_archE1201ELNS1_3gpuE5ELNS1_3repE0EEENS1_30default_config_static_selectorELNS0_4arch9wavefront6targetE1EEEvT1_, .Lfunc_end624-_ZN7rocprim17ROCPRIM_400000_NS6detail17trampoline_kernelINS0_14default_configENS1_27scan_by_key_config_selectorIssEEZZNS1_16scan_by_key_implILNS1_25lookback_scan_determinismE0ELb1ES3_N6thrust23THRUST_200600_302600_NS6detail15normal_iteratorINS9_10device_ptrIsEEEESE_SE_sNS9_10multipliesIsEENS9_8equal_toIsEEsEE10hipError_tPvRmT2_T3_T4_T5_mT6_T7_P12ihipStream_tbENKUlT_T0_E_clISt17integral_constantIbLb1EESY_IbLb0EEEEDaSU_SV_EUlSU_E_NS1_11comp_targetILNS1_3genE10ELNS1_11target_archE1201ELNS1_3gpuE5ELNS1_3repE0EEENS1_30default_config_static_selectorELNS0_4arch9wavefront6targetE1EEEvT1_
                                        ; -- End function
	.section	.AMDGPU.csdata,"",@progbits
; Kernel info:
; codeLenInByte = 0
; NumSgprs: 6
; NumVgprs: 0
; NumAgprs: 0
; TotalNumVgprs: 0
; ScratchSize: 0
; MemoryBound: 0
; FloatMode: 240
; IeeeMode: 1
; LDSByteSize: 0 bytes/workgroup (compile time only)
; SGPRBlocks: 0
; VGPRBlocks: 0
; NumSGPRsForWavesPerEU: 6
; NumVGPRsForWavesPerEU: 1
; AccumOffset: 4
; Occupancy: 8
; WaveLimiterHint : 0
; COMPUTE_PGM_RSRC2:SCRATCH_EN: 0
; COMPUTE_PGM_RSRC2:USER_SGPR: 2
; COMPUTE_PGM_RSRC2:TRAP_HANDLER: 0
; COMPUTE_PGM_RSRC2:TGID_X_EN: 1
; COMPUTE_PGM_RSRC2:TGID_Y_EN: 0
; COMPUTE_PGM_RSRC2:TGID_Z_EN: 0
; COMPUTE_PGM_RSRC2:TIDIG_COMP_CNT: 0
; COMPUTE_PGM_RSRC3_GFX90A:ACCUM_OFFSET: 0
; COMPUTE_PGM_RSRC3_GFX90A:TG_SPLIT: 0
	.section	.text._ZN7rocprim17ROCPRIM_400000_NS6detail17trampoline_kernelINS0_14default_configENS1_27scan_by_key_config_selectorIssEEZZNS1_16scan_by_key_implILNS1_25lookback_scan_determinismE0ELb1ES3_N6thrust23THRUST_200600_302600_NS6detail15normal_iteratorINS9_10device_ptrIsEEEESE_SE_sNS9_10multipliesIsEENS9_8equal_toIsEEsEE10hipError_tPvRmT2_T3_T4_T5_mT6_T7_P12ihipStream_tbENKUlT_T0_E_clISt17integral_constantIbLb1EESY_IbLb0EEEEDaSU_SV_EUlSU_E_NS1_11comp_targetILNS1_3genE5ELNS1_11target_archE942ELNS1_3gpuE9ELNS1_3repE0EEENS1_30default_config_static_selectorELNS0_4arch9wavefront6targetE1EEEvT1_,"axG",@progbits,_ZN7rocprim17ROCPRIM_400000_NS6detail17trampoline_kernelINS0_14default_configENS1_27scan_by_key_config_selectorIssEEZZNS1_16scan_by_key_implILNS1_25lookback_scan_determinismE0ELb1ES3_N6thrust23THRUST_200600_302600_NS6detail15normal_iteratorINS9_10device_ptrIsEEEESE_SE_sNS9_10multipliesIsEENS9_8equal_toIsEEsEE10hipError_tPvRmT2_T3_T4_T5_mT6_T7_P12ihipStream_tbENKUlT_T0_E_clISt17integral_constantIbLb1EESY_IbLb0EEEEDaSU_SV_EUlSU_E_NS1_11comp_targetILNS1_3genE5ELNS1_11target_archE942ELNS1_3gpuE9ELNS1_3repE0EEENS1_30default_config_static_selectorELNS0_4arch9wavefront6targetE1EEEvT1_,comdat
	.protected	_ZN7rocprim17ROCPRIM_400000_NS6detail17trampoline_kernelINS0_14default_configENS1_27scan_by_key_config_selectorIssEEZZNS1_16scan_by_key_implILNS1_25lookback_scan_determinismE0ELb1ES3_N6thrust23THRUST_200600_302600_NS6detail15normal_iteratorINS9_10device_ptrIsEEEESE_SE_sNS9_10multipliesIsEENS9_8equal_toIsEEsEE10hipError_tPvRmT2_T3_T4_T5_mT6_T7_P12ihipStream_tbENKUlT_T0_E_clISt17integral_constantIbLb1EESY_IbLb0EEEEDaSU_SV_EUlSU_E_NS1_11comp_targetILNS1_3genE5ELNS1_11target_archE942ELNS1_3gpuE9ELNS1_3repE0EEENS1_30default_config_static_selectorELNS0_4arch9wavefront6targetE1EEEvT1_ ; -- Begin function _ZN7rocprim17ROCPRIM_400000_NS6detail17trampoline_kernelINS0_14default_configENS1_27scan_by_key_config_selectorIssEEZZNS1_16scan_by_key_implILNS1_25lookback_scan_determinismE0ELb1ES3_N6thrust23THRUST_200600_302600_NS6detail15normal_iteratorINS9_10device_ptrIsEEEESE_SE_sNS9_10multipliesIsEENS9_8equal_toIsEEsEE10hipError_tPvRmT2_T3_T4_T5_mT6_T7_P12ihipStream_tbENKUlT_T0_E_clISt17integral_constantIbLb1EESY_IbLb0EEEEDaSU_SV_EUlSU_E_NS1_11comp_targetILNS1_3genE5ELNS1_11target_archE942ELNS1_3gpuE9ELNS1_3repE0EEENS1_30default_config_static_selectorELNS0_4arch9wavefront6targetE1EEEvT1_
	.globl	_ZN7rocprim17ROCPRIM_400000_NS6detail17trampoline_kernelINS0_14default_configENS1_27scan_by_key_config_selectorIssEEZZNS1_16scan_by_key_implILNS1_25lookback_scan_determinismE0ELb1ES3_N6thrust23THRUST_200600_302600_NS6detail15normal_iteratorINS9_10device_ptrIsEEEESE_SE_sNS9_10multipliesIsEENS9_8equal_toIsEEsEE10hipError_tPvRmT2_T3_T4_T5_mT6_T7_P12ihipStream_tbENKUlT_T0_E_clISt17integral_constantIbLb1EESY_IbLb0EEEEDaSU_SV_EUlSU_E_NS1_11comp_targetILNS1_3genE5ELNS1_11target_archE942ELNS1_3gpuE9ELNS1_3repE0EEENS1_30default_config_static_selectorELNS0_4arch9wavefront6targetE1EEEvT1_
	.p2align	8
	.type	_ZN7rocprim17ROCPRIM_400000_NS6detail17trampoline_kernelINS0_14default_configENS1_27scan_by_key_config_selectorIssEEZZNS1_16scan_by_key_implILNS1_25lookback_scan_determinismE0ELb1ES3_N6thrust23THRUST_200600_302600_NS6detail15normal_iteratorINS9_10device_ptrIsEEEESE_SE_sNS9_10multipliesIsEENS9_8equal_toIsEEsEE10hipError_tPvRmT2_T3_T4_T5_mT6_T7_P12ihipStream_tbENKUlT_T0_E_clISt17integral_constantIbLb1EESY_IbLb0EEEEDaSU_SV_EUlSU_E_NS1_11comp_targetILNS1_3genE5ELNS1_11target_archE942ELNS1_3gpuE9ELNS1_3repE0EEENS1_30default_config_static_selectorELNS0_4arch9wavefront6targetE1EEEvT1_,@function
_ZN7rocprim17ROCPRIM_400000_NS6detail17trampoline_kernelINS0_14default_configENS1_27scan_by_key_config_selectorIssEEZZNS1_16scan_by_key_implILNS1_25lookback_scan_determinismE0ELb1ES3_N6thrust23THRUST_200600_302600_NS6detail15normal_iteratorINS9_10device_ptrIsEEEESE_SE_sNS9_10multipliesIsEENS9_8equal_toIsEEsEE10hipError_tPvRmT2_T3_T4_T5_mT6_T7_P12ihipStream_tbENKUlT_T0_E_clISt17integral_constantIbLb1EESY_IbLb0EEEEDaSU_SV_EUlSU_E_NS1_11comp_targetILNS1_3genE5ELNS1_11target_archE942ELNS1_3gpuE9ELNS1_3repE0EEENS1_30default_config_static_selectorELNS0_4arch9wavefront6targetE1EEEvT1_: ; @_ZN7rocprim17ROCPRIM_400000_NS6detail17trampoline_kernelINS0_14default_configENS1_27scan_by_key_config_selectorIssEEZZNS1_16scan_by_key_implILNS1_25lookback_scan_determinismE0ELb1ES3_N6thrust23THRUST_200600_302600_NS6detail15normal_iteratorINS9_10device_ptrIsEEEESE_SE_sNS9_10multipliesIsEENS9_8equal_toIsEEsEE10hipError_tPvRmT2_T3_T4_T5_mT6_T7_P12ihipStream_tbENKUlT_T0_E_clISt17integral_constantIbLb1EESY_IbLb0EEEEDaSU_SV_EUlSU_E_NS1_11comp_targetILNS1_3genE5ELNS1_11target_archE942ELNS1_3gpuE9ELNS1_3repE0EEENS1_30default_config_static_selectorELNS0_4arch9wavefront6targetE1EEEvT1_
; %bb.0:
	s_load_dwordx8 s[48:55], s[0:1], 0x0
	s_load_dword s78, s[0:1], 0x20
	s_load_dwordx4 s[56:59], s[0:1], 0x28
	s_load_dwordx2 s[68:69], s[0:1], 0x38
	s_load_dword s3, s[0:1], 0x40
	s_load_dwordx4 s[60:63], s[0:1], 0x48
	s_waitcnt lgkmcnt(0)
	s_lshl_b64 s[64:65], s[50:51], 1
	s_add_u32 s4, s48, s64
	s_addc_u32 s5, s49, s65
	s_add_u32 s6, s52, s64
	s_mul_i32 s0, s69, s3
	s_mul_hi_u32 s1, s68, s3
	s_addc_u32 s7, s53, s65
	s_add_i32 s8, s1, s0
	s_mul_i32 s0, s2, 0x1800
	s_mov_b32 s1, 0
	s_lshl_b64 s[66:67], s[0:1], 1
	s_add_u32 s72, s4, s66
	s_addc_u32 s73, s5, s67
	s_add_u32 s70, s6, s66
	s_mul_i32 s3, s68, s3
	s_addc_u32 s71, s7, s67
	s_add_u32 s0, s3, s2
	s_addc_u32 s1, s8, 0
	s_add_u32 s6, s60, -1
	s_addc_u32 s7, s61, -1
	v_mov_b64_e32 v[2:3], s[6:7]
	v_cmp_ge_u64_e64 s[0:1], s[0:1], v[2:3]
	s_mov_b64 s[4:5], -1
	s_and_b64 vcc, exec, s[0:1]
	s_mul_i32 s33, s6, 0xffffe800
	s_barrier
	s_cbranch_vccz .LBB625_126
; %bb.1:
	v_mov_b64_e32 v[2:3], s[72:73]
	flat_load_ushort v2, v[2:3]
	s_add_i32 s59, s33, s58
	v_cmp_gt_u32_e32 vcc, s59, v0
	s_waitcnt vmcnt(0) lgkmcnt(0)
	v_mov_b32_e32 v3, v2
	s_and_saveexec_b64 s[4:5], vcc
	s_cbranch_execz .LBB625_3
; %bb.2:
	v_lshlrev_b32_e32 v4, 1, v0
	v_mov_b32_e32 v5, 0
	v_lshl_add_u64 v[4:5], s[72:73], 0, v[4:5]
	flat_load_ushort v3, v[4:5]
.LBB625_3:
	s_or_b64 exec, exec, s[4:5]
	v_or_b32_e32 v1, 0x100, v0
	v_cmp_gt_u32_e64 s[50:51], s59, v1
	v_mov_b32_e32 v4, v2
	s_and_saveexec_b64 s[4:5], s[50:51]
	s_cbranch_execz .LBB625_5
; %bb.4:
	v_lshlrev_b32_e32 v4, 1, v0
	v_mov_b32_e32 v5, 0
	v_lshl_add_u64 v[4:5], s[72:73], 0, v[4:5]
	flat_load_ushort v4, v[4:5] offset:512
.LBB625_5:
	s_or_b64 exec, exec, s[4:5]
	v_or_b32_e32 v1, 0x200, v0
	v_cmp_gt_u32_e64 s[4:5], s59, v1
	v_mov_b32_e32 v5, v2
	s_and_saveexec_b64 s[6:7], s[4:5]
	s_cbranch_execz .LBB625_7
; %bb.6:
	v_lshlrev_b32_e32 v6, 1, v0
	v_mov_b32_e32 v7, 0
	v_lshl_add_u64 v[6:7], s[72:73], 0, v[6:7]
	flat_load_ushort v5, v[6:7] offset:1024
.LBB625_7:
	;; [unrolled: 12-line block ×7, first 2 shown]
	s_or_b64 exec, exec, s[16:17]
	v_or_b32_e32 v1, 0x800, v0
	v_cmp_gt_u32_e64 s[16:17], s59, v1
	v_mov_b32_e32 v11, v2
	s_and_saveexec_b64 s[18:19], s[16:17]
	s_cbranch_execz .LBB625_19
; %bb.18:
	v_lshlrev_b32_e32 v12, 1, v1
	v_mov_b32_e32 v13, 0
	v_lshl_add_u64 v[12:13], s[72:73], 0, v[12:13]
	flat_load_ushort v11, v[12:13]
.LBB625_19:
	s_or_b64 exec, exec, s[18:19]
	v_or_b32_e32 v16, 0x900, v0
	v_cmp_gt_u32_e64 s[18:19], s59, v16
	v_mov_b32_e32 v12, v2
	s_and_saveexec_b64 s[20:21], s[18:19]
	s_cbranch_execz .LBB625_21
; %bb.20:
	v_lshlrev_b32_e32 v12, 1, v16
	v_mov_b32_e32 v13, 0
	v_lshl_add_u64 v[12:13], s[72:73], 0, v[12:13]
	flat_load_ushort v12, v[12:13]
.LBB625_21:
	;; [unrolled: 12-line block ×15, first 2 shown]
	s_or_b64 exec, exec, s[48:49]
	v_or_b32_e32 v31, 0x1700, v0
	v_cmp_gt_u32_e64 s[48:49], s59, v31
	s_and_saveexec_b64 s[52:53], s[48:49]
	s_cbranch_execz .LBB625_49
; %bb.48:
	v_lshlrev_b32_e32 v42, 1, v31
	v_mov_b32_e32 v43, 0
	v_lshl_add_u64 v[42:43], s[72:73], 0, v[42:43]
	flat_load_ushort v2, v[42:43]
.LBB625_49:
	s_or_b64 exec, exec, s[52:53]
	v_lshlrev_b32_e32 v14, 1, v0
	s_waitcnt vmcnt(0) lgkmcnt(0)
	ds_write_b16 v14, v3
	ds_write_b16 v14, v4 offset:512
	ds_write_b16 v14, v5 offset:1024
	;; [unrolled: 1-line block ×23, first 2 shown]
	v_mov_b64_e32 v[2:3], s[72:73]
	s_waitcnt lgkmcnt(0)
	s_barrier
	flat_load_ushort v26, v[2:3]
	v_mad_u32_u24 v42, v0, 46, v14
	ds_read_b128 v[10:13], v42
	ds_read_b128 v[6:9], v42 offset:16
	ds_read_b128 v[2:5], v42 offset:32
	s_movk_i32 s3, 0xffd2
	v_mad_i32_i24 v15, v0, s3, v42
	s_movk_i32 s3, 0xff
	v_cmp_ne_u32_e64 s[52:53], s3, v0
	s_waitcnt lgkmcnt(0)
	ds_write_b16 v15, v10 offset:12800
	s_waitcnt lgkmcnt(0)
	s_barrier
	s_and_saveexec_b64 s[60:61], s[52:53]
	s_cbranch_execz .LBB625_51
; %bb.50:
	s_waitcnt vmcnt(0)
	ds_read_u16 v26, v14 offset:12802
.LBB625_51:
	s_or_b64 exec, exec, s[60:61]
	v_mov_b32_e32 v15, 0
	s_waitcnt lgkmcnt(0)
	s_barrier
	s_waitcnt lgkmcnt(0)
                                        ; implicit-def: $vgpr32
	s_and_saveexec_b64 s[52:53], vcc
	s_cbranch_execz .LBB625_205
; %bb.52:
	v_lshl_add_u64 v[32:33], s[70:71], 0, v[14:15]
	flat_load_ushort v32, v[32:33]
	s_or_b64 exec, exec, s[52:53]
                                        ; implicit-def: $vgpr33
	s_and_saveexec_b64 s[52:53], s[50:51]
	s_cbranch_execnz .LBB625_206
.LBB625_53:
	s_or_b64 exec, exec, s[52:53]
                                        ; implicit-def: $vgpr34
	s_and_saveexec_b64 s[50:51], s[4:5]
	s_cbranch_execz .LBB625_207
.LBB625_54:
	v_mov_b32_e32 v15, 0
	v_lshl_add_u64 v[34:35], s[70:71], 0, v[14:15]
	flat_load_ushort v34, v[34:35] offset:1024
	s_or_b64 exec, exec, s[50:51]
                                        ; implicit-def: $vgpr35
	s_and_saveexec_b64 s[4:5], s[6:7]
	s_cbranch_execnz .LBB625_208
.LBB625_55:
	s_or_b64 exec, exec, s[4:5]
                                        ; implicit-def: $vgpr36
	s_and_saveexec_b64 s[4:5], s[8:9]
	s_cbranch_execz .LBB625_209
.LBB625_56:
	v_mov_b32_e32 v15, 0
	v_lshl_add_u64 v[36:37], s[70:71], 0, v[14:15]
	flat_load_ushort v36, v[36:37] offset:2048
	s_or_b64 exec, exec, s[4:5]
                                        ; implicit-def: $vgpr37
	s_and_saveexec_b64 s[4:5], s[10:11]
	s_cbranch_execnz .LBB625_210
.LBB625_57:
	s_or_b64 exec, exec, s[4:5]
                                        ; implicit-def: $vgpr38
	s_and_saveexec_b64 s[4:5], s[12:13]
	s_cbranch_execz .LBB625_211
.LBB625_58:
	v_mov_b32_e32 v15, 0
	v_lshl_add_u64 v[38:39], s[70:71], 0, v[14:15]
	flat_load_ushort v38, v[38:39] offset:3072
	s_or_b64 exec, exec, s[4:5]
                                        ; implicit-def: $vgpr15
	s_and_saveexec_b64 s[4:5], s[14:15]
	s_cbranch_execnz .LBB625_212
.LBB625_59:
	s_or_b64 exec, exec, s[4:5]
                                        ; implicit-def: $vgpr39
	s_and_saveexec_b64 s[4:5], s[16:17]
	s_cbranch_execz .LBB625_213
.LBB625_60:
	v_lshlrev_b32_e32 v40, 1, v1
	v_mov_b32_e32 v41, 0
	v_lshl_add_u64 v[40:41], s[70:71], 0, v[40:41]
	flat_load_ushort v39, v[40:41]
	s_or_b64 exec, exec, s[4:5]
                                        ; implicit-def: $vgpr1
	s_and_saveexec_b64 s[4:5], s[18:19]
	s_cbranch_execnz .LBB625_214
.LBB625_61:
	s_or_b64 exec, exec, s[4:5]
                                        ; implicit-def: $vgpr16
	s_and_saveexec_b64 s[4:5], s[20:21]
	s_cbranch_execz .LBB625_215
.LBB625_62:
	v_lshlrev_b32_e32 v16, 1, v17
	v_mov_b32_e32 v17, 0
	v_lshl_add_u64 v[16:17], s[70:71], 0, v[16:17]
	flat_load_ushort v16, v[16:17]
	s_or_b64 exec, exec, s[4:5]
                                        ; implicit-def: $vgpr17
	s_and_saveexec_b64 s[4:5], s[22:23]
	s_cbranch_execnz .LBB625_216
.LBB625_63:
	s_or_b64 exec, exec, s[4:5]
                                        ; implicit-def: $vgpr18
	s_and_saveexec_b64 s[4:5], s[24:25]
	s_cbranch_execz .LBB625_217
.LBB625_64:
	v_lshlrev_b32_e32 v18, 1, v19
	v_mov_b32_e32 v19, 0
	v_lshl_add_u64 v[18:19], s[70:71], 0, v[18:19]
	flat_load_ushort v18, v[18:19]
	s_or_b64 exec, exec, s[4:5]
                                        ; implicit-def: $vgpr19
	s_and_saveexec_b64 s[4:5], s[26:27]
	s_cbranch_execnz .LBB625_218
.LBB625_65:
	s_or_b64 exec, exec, s[4:5]
                                        ; implicit-def: $vgpr20
	s_and_saveexec_b64 s[4:5], s[28:29]
	s_cbranch_execz .LBB625_219
.LBB625_66:
	v_lshlrev_b32_e32 v20, 1, v21
	v_mov_b32_e32 v21, 0
	v_lshl_add_u64 v[20:21], s[70:71], 0, v[20:21]
	flat_load_ushort v20, v[20:21]
	s_or_b64 exec, exec, s[4:5]
                                        ; implicit-def: $vgpr21
	s_and_saveexec_b64 s[4:5], s[30:31]
	s_cbranch_execnz .LBB625_220
.LBB625_67:
	s_or_b64 exec, exec, s[4:5]
                                        ; implicit-def: $vgpr22
	s_and_saveexec_b64 s[4:5], s[34:35]
	s_cbranch_execz .LBB625_221
.LBB625_68:
	v_lshlrev_b32_e32 v22, 1, v23
	v_mov_b32_e32 v23, 0
	v_lshl_add_u64 v[22:23], s[70:71], 0, v[22:23]
	flat_load_ushort v22, v[22:23]
	s_or_b64 exec, exec, s[4:5]
                                        ; implicit-def: $vgpr23
	s_and_saveexec_b64 s[4:5], s[36:37]
	s_cbranch_execnz .LBB625_222
.LBB625_69:
	s_or_b64 exec, exec, s[4:5]
                                        ; implicit-def: $vgpr24
	s_and_saveexec_b64 s[4:5], s[38:39]
	s_cbranch_execz .LBB625_223
.LBB625_70:
	v_lshlrev_b32_e32 v24, 1, v25
	v_mov_b32_e32 v25, 0
	v_lshl_add_u64 v[24:25], s[70:71], 0, v[24:25]
	flat_load_ushort v24, v[24:25]
	s_or_b64 exec, exec, s[4:5]
                                        ; implicit-def: $vgpr25
	s_and_saveexec_b64 s[4:5], s[40:41]
	s_cbranch_execnz .LBB625_224
.LBB625_71:
	s_or_b64 exec, exec, s[4:5]
                                        ; implicit-def: $vgpr27
	s_and_saveexec_b64 s[4:5], s[42:43]
	s_cbranch_execz .LBB625_225
.LBB625_72:
	v_lshlrev_b32_e32 v40, 1, v28
	v_mov_b32_e32 v41, 0
	v_lshl_add_u64 v[40:41], s[70:71], 0, v[40:41]
	flat_load_ushort v27, v[40:41]
	s_or_b64 exec, exec, s[4:5]
                                        ; implicit-def: $vgpr28
	s_and_saveexec_b64 s[4:5], s[44:45]
	s_cbranch_execnz .LBB625_226
.LBB625_73:
	s_or_b64 exec, exec, s[4:5]
                                        ; implicit-def: $vgpr29
	s_and_saveexec_b64 s[4:5], s[46:47]
	s_cbranch_execz .LBB625_75
.LBB625_74:
	v_lshlrev_b32_e32 v40, 1, v30
	v_mov_b32_e32 v41, 0
	v_lshl_add_u64 v[40:41], s[70:71], 0, v[40:41]
	flat_load_ushort v29, v[40:41]
.LBB625_75:
	s_or_b64 exec, exec, s[4:5]
	v_mul_u32_u24_e32 v43, 24, v0
                                        ; implicit-def: $vgpr30
	s_and_saveexec_b64 s[4:5], s[48:49]
	s_cbranch_execz .LBB625_77
; %bb.76:
	v_lshlrev_b32_e32 v30, 1, v31
	v_mov_b32_e32 v31, 0
	v_lshl_add_u64 v[30:31], s[70:71], 0, v[30:31]
	flat_load_ushort v30, v[30:31]
.LBB625_77:
	s_or_b64 exec, exec, s[4:5]
	s_waitcnt vmcnt(0) lgkmcnt(0)
	ds_write_b16 v14, v32
	ds_write_b16 v14, v33 offset:512
	ds_write_b16 v14, v34 offset:1024
	ds_write_b16 v14, v35 offset:1536
	ds_write_b16 v14, v36 offset:2048
	ds_write_b16 v14, v37 offset:2560
	ds_write_b16 v14, v38 offset:3072
	ds_write_b16 v14, v15 offset:3584
	ds_write_b16 v14, v39 offset:4096
	ds_write_b16 v14, v1 offset:4608
	ds_write_b16 v14, v16 offset:5120
	ds_write_b16 v14, v17 offset:5632
	ds_write_b16 v14, v18 offset:6144
	ds_write_b16 v14, v19 offset:6656
	ds_write_b16 v14, v20 offset:7168
	ds_write_b16 v14, v21 offset:7680
	ds_write_b16 v14, v22 offset:8192
	ds_write_b16 v14, v23 offset:8704
	ds_write_b16 v14, v24 offset:9216
	ds_write_b16 v14, v25 offset:9728
	ds_write_b16 v14, v27 offset:10240
	ds_write_b16 v14, v28 offset:10752
	ds_write_b16 v14, v29 offset:11264
	ds_write_b16 v14, v30 offset:11776
	v_cmp_gt_u32_e32 vcc, s59, v43
	s_mov_b64 s[4:5], 0
	s_mov_b32 s3, 0
	v_mov_b32_e32 v1, 0
	s_mov_b64 s[10:11], 0
	v_mov_b32_e32 v18, 0
	v_mov_b32_e32 v25, 0
	;; [unrolled: 1-line block ×22, first 2 shown]
	s_waitcnt lgkmcnt(0)
	s_barrier
	s_waitcnt lgkmcnt(0)
                                        ; implicit-def: $sgpr8_sgpr9
                                        ; implicit-def: $vgpr41
	s_and_saveexec_b64 s[6:7], vcc
	s_cbranch_execz .LBB625_125
; %bb.78:
	ds_read_u16 v1, v42
	v_mov_b32_e32 v15, s78
	v_cmp_eq_u16_sdwa vcc, v10, v10 src0_sel:DWORD src1_sel:WORD_1
	v_cmp_ne_u16_sdwa s[8:9], v10, v10 src0_sel:DWORD src1_sel:WORD_1
	v_or_b32_e32 v14, 1, v43
	s_waitcnt lgkmcnt(0)
	v_cndmask_b32_e32 v1, v15, v1, vcc
	v_and_b32_e32 v1, 0xffff, v1
	v_cndmask_b32_e64 v15, 0, 1, s[8:9]
	v_lshl_or_b32 v1, v15, 16, v1
	v_cmp_gt_u32_e32 vcc, s59, v14
	v_mov_b32_e32 v18, 0
	v_mov_b32_e32 v25, 0
	;; [unrolled: 1-line block ×22, first 2 shown]
                                        ; implicit-def: $sgpr12_sgpr13
                                        ; implicit-def: $vgpr41
	s_and_saveexec_b64 s[8:9], vcc
	s_cbranch_execz .LBB625_124
; %bb.79:
	ds_read_b128 v[14:17], v42 offset:2
	v_mov_b32_e32 v18, s78
	v_cmp_eq_u16_sdwa vcc, v10, v11 src0_sel:WORD_1 src1_sel:DWORD
	v_cmp_ne_u16_sdwa s[10:11], v10, v11 src0_sel:WORD_1 src1_sel:DWORD
	v_or_b32_e32 v19, 2, v43
	s_waitcnt lgkmcnt(0)
	v_cndmask_b32_e32 v18, v18, v14, vcc
	v_and_b32_e32 v18, 0xffff, v18
	v_cndmask_b32_e64 v10, 0, 1, s[10:11]
	v_lshl_or_b32 v18, v10, 16, v18
	v_cmp_gt_u32_e32 vcc, s59, v19
	s_mov_b64 s[14:15], 0
	v_mov_b32_e32 v25, 0
	v_mov_b32_e32 v19, 0
	;; [unrolled: 1-line block ×21, first 2 shown]
                                        ; implicit-def: $sgpr12_sgpr13
                                        ; implicit-def: $vgpr41
	s_and_saveexec_b64 s[10:11], vcc
	s_cbranch_execz .LBB625_123
; %bb.80:
	v_lshrrev_b32_e32 v10, 16, v14
	v_mov_b32_e32 v19, s78
	v_cmp_eq_u16_sdwa vcc, v11, v11 src0_sel:DWORD src1_sel:WORD_1
	v_cmp_ne_u16_sdwa s[12:13], v11, v11 src0_sel:DWORD src1_sel:WORD_1
	v_or_b32_e32 v14, 3, v43
	v_cndmask_b32_e32 v10, v19, v10, vcc
	v_and_b32_e32 v10, 0xffff, v10
	v_cndmask_b32_e64 v19, 0, 1, s[12:13]
	v_lshl_or_b32 v25, v19, 16, v10
	v_cmp_gt_u32_e32 vcc, s59, v14
	v_mov_b32_e32 v19, 0
	v_mov_b32_e32 v27, 0
	;; [unrolled: 1-line block ×20, first 2 shown]
                                        ; implicit-def: $sgpr16_sgpr17
                                        ; implicit-def: $vgpr41
	s_and_saveexec_b64 s[12:13], vcc
	s_cbranch_execz .LBB625_122
; %bb.81:
	v_mov_b32_e32 v14, s78
	v_cmp_eq_u16_sdwa vcc, v11, v12 src0_sel:WORD_1 src1_sel:DWORD
	v_cmp_ne_u16_sdwa s[14:15], v11, v12 src0_sel:WORD_1 src1_sel:DWORD
	v_or_b32_e32 v10, 4, v43
	v_cndmask_b32_e32 v14, v14, v15, vcc
	v_and_b32_e32 v14, 0xffff, v14
	v_cndmask_b32_e64 v11, 0, 1, s[14:15]
	v_lshl_or_b32 v19, v11, 16, v14
	v_cmp_gt_u32_e32 vcc, s59, v10
	s_mov_b64 s[18:19], 0
	v_mov_b32_e32 v27, 0
	v_mov_b32_e32 v20, 0
	;; [unrolled: 1-line block ×19, first 2 shown]
                                        ; implicit-def: $sgpr16_sgpr17
                                        ; implicit-def: $vgpr41
	s_and_saveexec_b64 s[14:15], vcc
	s_cbranch_execz .LBB625_121
; %bb.82:
	v_lshrrev_b32_e32 v10, 16, v15
	v_mov_b32_e32 v14, s78
	v_cmp_eq_u16_sdwa vcc, v12, v12 src0_sel:DWORD src1_sel:WORD_1
	v_cmp_ne_u16_sdwa s[16:17], v12, v12 src0_sel:DWORD src1_sel:WORD_1
	v_or_b32_e32 v11, 5, v43
	v_cndmask_b32_e32 v10, v14, v10, vcc
	v_and_b32_e32 v10, 0xffff, v10
	v_cndmask_b32_e64 v14, 0, 1, s[16:17]
	v_lshl_or_b32 v27, v14, 16, v10
	v_cmp_gt_u32_e32 vcc, s59, v11
	v_mov_b32_e32 v20, 0
	v_mov_b32_e32 v28, 0
	;; [unrolled: 1-line block ×18, first 2 shown]
                                        ; implicit-def: $sgpr20_sgpr21
                                        ; implicit-def: $vgpr41
	s_and_saveexec_b64 s[16:17], vcc
	s_cbranch_execz .LBB625_120
; %bb.83:
	v_mov_b32_e32 v11, s78
	v_cmp_eq_u16_sdwa vcc, v12, v13 src0_sel:WORD_1 src1_sel:DWORD
	v_cmp_ne_u16_sdwa s[18:19], v12, v13 src0_sel:WORD_1 src1_sel:DWORD
	v_or_b32_e32 v10, 6, v43
	v_cndmask_b32_e32 v11, v11, v16, vcc
	v_and_b32_e32 v11, 0xffff, v11
	v_cndmask_b32_e64 v12, 0, 1, s[18:19]
	v_lshl_or_b32 v20, v12, 16, v11
	v_cmp_gt_u32_e32 vcc, s59, v10
	s_mov_b64 s[22:23], 0
	v_mov_b32_e32 v28, 0
	v_mov_b32_e32 v21, 0
	;; [unrolled: 1-line block ×17, first 2 shown]
                                        ; implicit-def: $sgpr20_sgpr21
                                        ; implicit-def: $vgpr41
	s_and_saveexec_b64 s[18:19], vcc
	s_cbranch_execz .LBB625_119
; %bb.84:
	v_lshrrev_b32_e32 v10, 16, v16
	v_mov_b32_e32 v12, s78
	v_cmp_eq_u16_sdwa vcc, v13, v13 src0_sel:DWORD src1_sel:WORD_1
	v_cmp_ne_u16_sdwa s[20:21], v13, v13 src0_sel:DWORD src1_sel:WORD_1
	v_or_b32_e32 v11, 7, v43
	v_cndmask_b32_e32 v10, v12, v10, vcc
	v_and_b32_e32 v10, 0xffff, v10
	v_cndmask_b32_e64 v12, 0, 1, s[20:21]
	v_lshl_or_b32 v28, v12, 16, v10
	v_cmp_gt_u32_e32 vcc, s59, v11
	v_mov_b32_e32 v21, 0
	v_mov_b32_e32 v29, 0
	;; [unrolled: 1-line block ×16, first 2 shown]
                                        ; implicit-def: $sgpr24_sgpr25
                                        ; implicit-def: $vgpr41
	s_and_saveexec_b64 s[20:21], vcc
	s_cbranch_execz .LBB625_118
; %bb.85:
	v_mov_b32_e32 v11, s78
	v_cmp_eq_u16_sdwa vcc, v13, v6 src0_sel:WORD_1 src1_sel:DWORD
	v_cmp_ne_u16_sdwa s[22:23], v13, v6 src0_sel:WORD_1 src1_sel:DWORD
	v_add_u32_e32 v10, 8, v43
	v_cndmask_b32_e32 v11, v11, v17, vcc
	v_and_b32_e32 v11, 0xffff, v11
	v_cndmask_b32_e64 v12, 0, 1, s[22:23]
	v_lshl_or_b32 v21, v12, 16, v11
	v_cmp_gt_u32_e32 vcc, s59, v10
	s_mov_b64 s[26:27], 0
	v_mov_b32_e32 v29, 0
	v_mov_b32_e32 v30, 0
	;; [unrolled: 1-line block ×15, first 2 shown]
                                        ; implicit-def: $sgpr24_sgpr25
                                        ; implicit-def: $vgpr41
	s_and_saveexec_b64 s[22:23], vcc
	s_cbranch_execz .LBB625_117
; %bb.86:
	v_lshrrev_b32_e32 v10, 16, v17
	v_mov_b32_e32 v12, s78
	v_cmp_eq_u16_sdwa vcc, v6, v6 src0_sel:DWORD src1_sel:WORD_1
	v_cmp_ne_u16_sdwa s[24:25], v6, v6 src0_sel:DWORD src1_sel:WORD_1
	v_add_u32_e32 v11, 9, v43
	v_cndmask_b32_e32 v10, v12, v10, vcc
	v_and_b32_e32 v10, 0xffff, v10
	v_cndmask_b32_e64 v12, 0, 1, s[24:25]
	v_lshl_or_b32 v29, v12, 16, v10
	v_cmp_gt_u32_e32 vcc, s59, v11
	v_mov_b32_e32 v30, 0
	v_mov_b32_e32 v31, 0
	;; [unrolled: 1-line block ×14, first 2 shown]
                                        ; implicit-def: $sgpr28_sgpr29
                                        ; implicit-def: $vgpr41
	s_and_saveexec_b64 s[24:25], vcc
	s_cbranch_execz .LBB625_116
; %bb.87:
	ds_read_b128 v[10:13], v42 offset:18
	v_mov_b32_e32 v15, s78
	v_cmp_eq_u16_sdwa vcc, v6, v7 src0_sel:WORD_1 src1_sel:DWORD
	v_cmp_ne_u16_sdwa s[26:27], v6, v7 src0_sel:WORD_1 src1_sel:DWORD
	v_add_u32_e32 v14, 10, v43
	s_waitcnt lgkmcnt(0)
	v_cndmask_b32_e32 v15, v15, v10, vcc
	v_and_b32_e32 v15, 0xffff, v15
	v_cndmask_b32_e64 v6, 0, 1, s[26:27]
	v_lshl_or_b32 v30, v6, 16, v15
	v_cmp_gt_u32_e32 vcc, s59, v14
	s_mov_b64 s[30:31], 0
	v_mov_b32_e32 v31, 0
	v_mov_b32_e32 v32, 0
	v_mov_b32_e32 v33, 0
	v_mov_b32_e32 v34, 0
	v_mov_b32_e32 v35, 0
	v_mov_b32_e32 v36, 0
	v_mov_b32_e32 v37, 0
	v_mov_b32_e32 v22, 0
	v_mov_b32_e32 v38, 0
	v_mov_b32_e32 v23, 0
	v_mov_b32_e32 v39, 0
	v_mov_b32_e32 v24, 0
	v_mov_b32_e32 v40, 0
                                        ; implicit-def: $sgpr28_sgpr29
                                        ; implicit-def: $vgpr41
	s_and_saveexec_b64 s[26:27], vcc
	s_cbranch_execz .LBB625_115
; %bb.88:
	v_lshrrev_b32_e32 v6, 16, v10
	v_mov_b32_e32 v14, s78
	v_cmp_eq_u16_sdwa vcc, v7, v7 src0_sel:DWORD src1_sel:WORD_1
	v_cmp_ne_u16_sdwa s[28:29], v7, v7 src0_sel:DWORD src1_sel:WORD_1
	v_add_u32_e32 v10, 11, v43
	v_cndmask_b32_e32 v6, v14, v6, vcc
	v_and_b32_e32 v6, 0xffff, v6
	v_cndmask_b32_e64 v14, 0, 1, s[28:29]
	v_lshl_or_b32 v31, v14, 16, v6
	v_cmp_gt_u32_e32 vcc, s59, v10
	v_mov_b32_e32 v32, 0
	v_mov_b32_e32 v33, 0
	;; [unrolled: 1-line block ×12, first 2 shown]
                                        ; implicit-def: $sgpr34_sgpr35
                                        ; implicit-def: $vgpr41
	s_and_saveexec_b64 s[28:29], vcc
	s_cbranch_execz .LBB625_114
; %bb.89:
	v_mov_b32_e32 v10, s78
	v_cmp_eq_u16_sdwa vcc, v7, v8 src0_sel:WORD_1 src1_sel:DWORD
	v_cmp_ne_u16_sdwa s[30:31], v7, v8 src0_sel:WORD_1 src1_sel:DWORD
	v_add_u32_e32 v6, 12, v43
	v_cndmask_b32_e32 v10, v10, v11, vcc
	v_and_b32_e32 v10, 0xffff, v10
	v_cndmask_b32_e64 v7, 0, 1, s[30:31]
	v_lshl_or_b32 v32, v7, 16, v10
	v_cmp_gt_u32_e32 vcc, s59, v6
	s_mov_b64 s[36:37], 0
	v_mov_b32_e32 v33, 0
	v_mov_b32_e32 v34, 0
	;; [unrolled: 1-line block ×11, first 2 shown]
                                        ; implicit-def: $sgpr34_sgpr35
                                        ; implicit-def: $vgpr41
	s_and_saveexec_b64 s[30:31], vcc
	s_cbranch_execz .LBB625_113
; %bb.90:
	v_lshrrev_b32_e32 v6, 16, v11
	v_mov_b32_e32 v10, s78
	v_cmp_eq_u16_sdwa vcc, v8, v8 src0_sel:DWORD src1_sel:WORD_1
	v_cmp_ne_u16_sdwa s[34:35], v8, v8 src0_sel:DWORD src1_sel:WORD_1
	v_add_u32_e32 v7, 13, v43
	v_cndmask_b32_e32 v6, v10, v6, vcc
	v_and_b32_e32 v6, 0xffff, v6
	v_cndmask_b32_e64 v10, 0, 1, s[34:35]
	v_lshl_or_b32 v33, v10, 16, v6
	v_cmp_gt_u32_e32 vcc, s59, v7
	v_mov_b32_e32 v34, 0
	v_mov_b32_e32 v35, 0
	v_mov_b32_e32 v36, 0
	v_mov_b32_e32 v37, 0
	v_mov_b32_e32 v22, 0
	v_mov_b32_e32 v38, 0
	v_mov_b32_e32 v23, 0
	v_mov_b32_e32 v39, 0
	v_mov_b32_e32 v24, 0
	v_mov_b32_e32 v40, 0
                                        ; implicit-def: $sgpr38_sgpr39
                                        ; implicit-def: $vgpr41
	s_and_saveexec_b64 s[34:35], vcc
	s_cbranch_execz .LBB625_112
; %bb.91:
	v_mov_b32_e32 v7, s78
	v_cmp_eq_u16_sdwa vcc, v8, v9 src0_sel:WORD_1 src1_sel:DWORD
	v_cmp_ne_u16_sdwa s[36:37], v8, v9 src0_sel:WORD_1 src1_sel:DWORD
	v_add_u32_e32 v6, 14, v43
	v_cndmask_b32_e32 v7, v7, v12, vcc
	v_and_b32_e32 v7, 0xffff, v7
	v_cndmask_b32_e64 v8, 0, 1, s[36:37]
	v_lshl_or_b32 v34, v8, 16, v7
	v_cmp_gt_u32_e32 vcc, s59, v6
	s_mov_b64 s[40:41], 0
	v_mov_b32_e32 v35, 0
	v_mov_b32_e32 v36, 0
	;; [unrolled: 1-line block ×9, first 2 shown]
                                        ; implicit-def: $sgpr38_sgpr39
                                        ; implicit-def: $vgpr41
	s_and_saveexec_b64 s[36:37], vcc
	s_cbranch_execz .LBB625_111
; %bb.92:
	v_lshrrev_b32_e32 v6, 16, v12
	v_mov_b32_e32 v8, s78
	v_cmp_eq_u16_sdwa vcc, v9, v9 src0_sel:DWORD src1_sel:WORD_1
	v_cmp_ne_u16_sdwa s[38:39], v9, v9 src0_sel:DWORD src1_sel:WORD_1
	v_add_u32_e32 v7, 15, v43
	v_cndmask_b32_e32 v6, v8, v6, vcc
	v_and_b32_e32 v6, 0xffff, v6
	v_cndmask_b32_e64 v8, 0, 1, s[38:39]
	v_lshl_or_b32 v35, v8, 16, v6
	v_cmp_gt_u32_e32 vcc, s59, v7
	v_mov_b32_e32 v36, 0
	v_mov_b32_e32 v37, 0
	;; [unrolled: 1-line block ×8, first 2 shown]
                                        ; implicit-def: $sgpr42_sgpr43
                                        ; implicit-def: $vgpr41
	s_and_saveexec_b64 s[38:39], vcc
	s_cbranch_execz .LBB625_110
; %bb.93:
	v_mov_b32_e32 v7, s78
	v_cmp_eq_u16_sdwa vcc, v9, v2 src0_sel:WORD_1 src1_sel:DWORD
	v_cmp_ne_u16_sdwa s[40:41], v9, v2 src0_sel:WORD_1 src1_sel:DWORD
	v_add_u32_e32 v6, 16, v43
	v_cndmask_b32_e32 v7, v7, v13, vcc
	v_and_b32_e32 v7, 0xffff, v7
	v_cndmask_b32_e64 v8, 0, 1, s[40:41]
	v_lshl_or_b32 v36, v8, 16, v7
	v_cmp_gt_u32_e32 vcc, s59, v6
	s_mov_b64 s[44:45], 0
	v_mov_b32_e32 v37, 0
	v_mov_b32_e32 v22, 0
	;; [unrolled: 1-line block ×7, first 2 shown]
                                        ; implicit-def: $sgpr42_sgpr43
                                        ; implicit-def: $vgpr41
	s_and_saveexec_b64 s[40:41], vcc
	s_cbranch_execz .LBB625_109
; %bb.94:
	v_lshrrev_b32_e32 v6, 16, v13
	v_mov_b32_e32 v8, s78
	v_cmp_eq_u16_sdwa vcc, v2, v2 src0_sel:DWORD src1_sel:WORD_1
	v_cmp_ne_u16_sdwa s[42:43], v2, v2 src0_sel:DWORD src1_sel:WORD_1
	v_add_u32_e32 v7, 17, v43
	v_cndmask_b32_e32 v6, v8, v6, vcc
	v_and_b32_e32 v6, 0xffff, v6
	v_cndmask_b32_e64 v8, 0, 1, s[42:43]
	v_lshl_or_b32 v37, v8, 16, v6
	v_cmp_gt_u32_e32 vcc, s59, v7
	v_mov_b32_e32 v22, 0
	v_mov_b32_e32 v38, 0
	;; [unrolled: 1-line block ×6, first 2 shown]
                                        ; implicit-def: $sgpr46_sgpr47
                                        ; implicit-def: $vgpr41
	s_and_saveexec_b64 s[42:43], vcc
	s_cbranch_execz .LBB625_108
; %bb.95:
	ds_read_b96 v[6:8], v42 offset:34
	v_mov_b32_e32 v10, s78
	v_cmp_eq_u16_sdwa vcc, v2, v3 src0_sel:WORD_1 src1_sel:DWORD
	v_cmp_ne_u16_sdwa s[44:45], v2, v3 src0_sel:WORD_1 src1_sel:DWORD
	v_add_u32_e32 v9, 18, v43
	s_waitcnt lgkmcnt(0)
	v_cndmask_b32_e32 v10, v10, v6, vcc
	v_and_b32_e32 v10, 0xffff, v10
	v_cndmask_b32_e64 v2, 0, 1, s[44:45]
	v_lshl_or_b32 v22, v2, 16, v10
	v_cmp_gt_u32_e32 vcc, s59, v9
	s_mov_b64 s[48:49], 0
	v_mov_b32_e32 v38, 0
	v_mov_b32_e32 v23, 0
	;; [unrolled: 1-line block ×5, first 2 shown]
                                        ; implicit-def: $sgpr46_sgpr47
                                        ; implicit-def: $vgpr41
	s_and_saveexec_b64 s[44:45], vcc
	s_cbranch_execz .LBB625_107
; %bb.96:
	v_lshrrev_b32_e32 v2, 16, v6
	v_mov_b32_e32 v9, s78
	v_cmp_eq_u16_sdwa vcc, v3, v3 src0_sel:DWORD src1_sel:WORD_1
	v_cmp_ne_u16_sdwa s[46:47], v3, v3 src0_sel:DWORD src1_sel:WORD_1
	v_add_u32_e32 v6, 19, v43
	v_cndmask_b32_e32 v2, v9, v2, vcc
	v_and_b32_e32 v2, 0xffff, v2
	v_cndmask_b32_e64 v9, 0, 1, s[46:47]
	v_lshl_or_b32 v38, v9, 16, v2
	v_cmp_gt_u32_e32 vcc, s59, v6
	v_mov_b32_e32 v23, 0
	v_mov_b32_e32 v39, 0
	;; [unrolled: 1-line block ×4, first 2 shown]
                                        ; implicit-def: $sgpr50_sgpr51
                                        ; implicit-def: $vgpr41
	s_and_saveexec_b64 s[46:47], vcc
	s_cbranch_execz .LBB625_106
; %bb.97:
	v_mov_b32_e32 v6, s78
	v_cmp_eq_u16_sdwa vcc, v3, v4 src0_sel:WORD_1 src1_sel:DWORD
	v_cmp_ne_u16_sdwa s[48:49], v3, v4 src0_sel:WORD_1 src1_sel:DWORD
	v_add_u32_e32 v2, 20, v43
	v_cndmask_b32_e32 v6, v6, v7, vcc
	v_and_b32_e32 v6, 0xffff, v6
	v_cndmask_b32_e64 v3, 0, 1, s[48:49]
	v_lshl_or_b32 v23, v3, 16, v6
	v_cmp_gt_u32_e32 vcc, s59, v2
	s_mov_b64 s[52:53], 0
	v_mov_b32_e32 v39, 0
	v_mov_b32_e32 v24, 0
	;; [unrolled: 1-line block ×3, first 2 shown]
                                        ; implicit-def: $sgpr50_sgpr51
                                        ; implicit-def: $vgpr41
	s_and_saveexec_b64 s[48:49], vcc
	s_cbranch_execz .LBB625_105
; %bb.98:
	v_lshrrev_b32_e32 v2, 16, v7
	v_mov_b32_e32 v6, s78
	v_cmp_eq_u16_sdwa vcc, v4, v4 src0_sel:DWORD src1_sel:WORD_1
	v_cmp_ne_u16_sdwa s[50:51], v4, v4 src0_sel:DWORD src1_sel:WORD_1
	v_add_u32_e32 v3, 21, v43
	v_cndmask_b32_e32 v2, v6, v2, vcc
	v_and_b32_e32 v2, 0xffff, v2
	v_cndmask_b32_e64 v6, 0, 1, s[50:51]
	v_lshl_or_b32 v39, v6, 16, v2
	v_cmp_gt_u32_e32 vcc, s59, v3
	v_mov_b32_e32 v24, 0
	v_mov_b32_e32 v40, 0
                                        ; implicit-def: $sgpr60_sgpr61
                                        ; implicit-def: $vgpr41
	s_and_saveexec_b64 s[50:51], vcc
	s_cbranch_execz .LBB625_104
; %bb.99:
	v_mov_b32_e32 v3, s78
	v_cmp_eq_u16_sdwa vcc, v4, v5 src0_sel:WORD_1 src1_sel:DWORD
	v_cmp_ne_u16_sdwa s[52:53], v4, v5 src0_sel:WORD_1 src1_sel:DWORD
	v_add_u32_e32 v2, 22, v43
	v_cndmask_b32_e32 v3, v3, v8, vcc
	v_and_b32_e32 v3, 0xffff, v3
	v_cndmask_b32_e64 v4, 0, 1, s[52:53]
	v_lshl_or_b32 v24, v4, 16, v3
	v_cmp_gt_u32_e32 vcc, s59, v2
	s_mov_b64 s[74:75], 0
	v_mov_b32_e32 v40, 0
                                        ; implicit-def: $sgpr76_sgpr77
                                        ; implicit-def: $vgpr41
	s_and_saveexec_b64 s[52:53], vcc
	s_cbranch_execz .LBB625_103
; %bb.100:
	v_lshrrev_b32_e32 v2, 16, v8
	v_mov_b32_e32 v4, s78
	v_cmp_eq_u16_sdwa vcc, v5, v5 src0_sel:DWORD src1_sel:WORD_1
	v_cmp_ne_u16_sdwa s[60:61], v5, v5 src0_sel:DWORD src1_sel:WORD_1
	v_add_u32_e32 v3, 23, v43
	v_cndmask_b32_e32 v2, v4, v2, vcc
	v_and_b32_e32 v2, 0xffff, v2
	v_cndmask_b32_e64 v4, 0, 1, s[60:61]
	v_lshl_or_b32 v40, v4, 16, v2
	v_cmp_gt_u32_e32 vcc, s59, v3
	s_mov_b64 s[60:61], 0
                                        ; implicit-def: $sgpr74_sgpr75
                                        ; implicit-def: $vgpr41
	s_and_saveexec_b64 s[76:77], vcc
	s_xor_b64 s[76:77], exec, s[76:77]
	s_cbranch_execz .LBB625_102
; %bb.101:
	ds_read_u16 v2, v42 offset:46
	v_mov_b32_e32 v3, s78
	v_cmp_ne_u16_sdwa vcc, v5, v26 src0_sel:WORD_1 src1_sel:DWORD
	s_mov_b64 s[60:61], exec
	s_and_b64 s[74:75], vcc, exec
	s_waitcnt lgkmcnt(0)
	v_cndmask_b32_e32 v41, v2, v3, vcc
.LBB625_102:
	s_or_b64 exec, exec, s[76:77]
	s_and_b64 s[76:77], s[74:75], exec
	s_and_b64 s[74:75], s[60:61], exec
.LBB625_103:
	s_or_b64 exec, exec, s[52:53]
	s_and_b64 s[60:61], s[76:77], exec
	s_and_b64 s[52:53], s[74:75], exec
.LBB625_104:
	s_or_b64 exec, exec, s[50:51]
	s_and_b64 s[50:51], s[60:61], exec
	s_and_b64 s[52:53], s[52:53], exec
.LBB625_105:
	s_or_b64 exec, exec, s[48:49]
	s_and_b64 s[50:51], s[50:51], exec
	s_and_b64 s[48:49], s[52:53], exec
.LBB625_106:
	s_or_b64 exec, exec, s[46:47]
	s_and_b64 s[46:47], s[50:51], exec
	s_and_b64 s[48:49], s[48:49], exec
.LBB625_107:
	s_or_b64 exec, exec, s[44:45]
	s_and_b64 s[46:47], s[46:47], exec
	s_and_b64 s[44:45], s[48:49], exec
.LBB625_108:
	s_or_b64 exec, exec, s[42:43]
	s_and_b64 s[42:43], s[46:47], exec
	s_and_b64 s[44:45], s[44:45], exec
.LBB625_109:
	s_or_b64 exec, exec, s[40:41]
	s_and_b64 s[42:43], s[42:43], exec
	s_and_b64 s[40:41], s[44:45], exec
.LBB625_110:
	s_or_b64 exec, exec, s[38:39]
	s_and_b64 s[38:39], s[42:43], exec
	s_and_b64 s[40:41], s[40:41], exec
.LBB625_111:
	s_or_b64 exec, exec, s[36:37]
	s_and_b64 s[38:39], s[38:39], exec
	s_and_b64 s[36:37], s[40:41], exec
.LBB625_112:
	s_or_b64 exec, exec, s[34:35]
	s_and_b64 s[34:35], s[38:39], exec
	s_and_b64 s[36:37], s[36:37], exec
.LBB625_113:
	s_or_b64 exec, exec, s[30:31]
	s_and_b64 s[34:35], s[34:35], exec
	s_and_b64 s[30:31], s[36:37], exec
.LBB625_114:
	s_or_b64 exec, exec, s[28:29]
	s_and_b64 s[28:29], s[34:35], exec
	s_and_b64 s[30:31], s[30:31], exec
.LBB625_115:
	s_or_b64 exec, exec, s[26:27]
	s_and_b64 s[28:29], s[28:29], exec
	s_and_b64 s[26:27], s[30:31], exec
.LBB625_116:
	s_or_b64 exec, exec, s[24:25]
	s_and_b64 s[24:25], s[28:29], exec
	s_and_b64 s[26:27], s[26:27], exec
.LBB625_117:
	s_or_b64 exec, exec, s[22:23]
	s_and_b64 s[24:25], s[24:25], exec
	s_and_b64 s[22:23], s[26:27], exec
.LBB625_118:
	s_or_b64 exec, exec, s[20:21]
	s_and_b64 s[20:21], s[24:25], exec
	s_and_b64 s[22:23], s[22:23], exec
.LBB625_119:
	s_or_b64 exec, exec, s[18:19]
	s_and_b64 s[20:21], s[20:21], exec
	s_and_b64 s[18:19], s[22:23], exec
.LBB625_120:
	s_or_b64 exec, exec, s[16:17]
	s_and_b64 s[16:17], s[20:21], exec
	s_and_b64 s[18:19], s[18:19], exec
.LBB625_121:
	s_or_b64 exec, exec, s[14:15]
	s_and_b64 s[16:17], s[16:17], exec
	s_and_b64 s[14:15], s[18:19], exec
.LBB625_122:
	s_or_b64 exec, exec, s[12:13]
	s_and_b64 s[12:13], s[16:17], exec
	s_and_b64 s[14:15], s[14:15], exec
.LBB625_123:
	s_or_b64 exec, exec, s[10:11]
	s_and_b64 s[12:13], s[12:13], exec
	s_and_b64 s[10:11], s[14:15], exec
.LBB625_124:
	s_or_b64 exec, exec, s[8:9]
	s_and_b64 s[8:9], s[12:13], exec
	s_and_b64 s[10:11], s[10:11], exec
.LBB625_125:
	s_or_b64 exec, exec, s[6:7]
	s_and_b64 vcc, exec, s[4:5]
	v_lshlrev_b32_e32 v26, 1, v0
	s_cbranch_vccnz .LBB625_127
	s_branch .LBB625_132
.LBB625_126:
	s_mov_b64 s[10:11], 0
                                        ; implicit-def: $sgpr8_sgpr9
                                        ; implicit-def: $vgpr41
                                        ; implicit-def: $vgpr1
                                        ; implicit-def: $vgpr18
                                        ; implicit-def: $vgpr25
                                        ; implicit-def: $vgpr19
                                        ; implicit-def: $vgpr27
                                        ; implicit-def: $vgpr20
                                        ; implicit-def: $vgpr28
                                        ; implicit-def: $vgpr21
                                        ; implicit-def: $vgpr29
                                        ; implicit-def: $vgpr30
                                        ; implicit-def: $vgpr31
                                        ; implicit-def: $vgpr32
                                        ; implicit-def: $vgpr33
                                        ; implicit-def: $vgpr34
                                        ; implicit-def: $vgpr35
                                        ; implicit-def: $vgpr36
                                        ; implicit-def: $vgpr37
                                        ; implicit-def: $vgpr22
                                        ; implicit-def: $vgpr38
                                        ; implicit-def: $vgpr23
                                        ; implicit-def: $vgpr39
                                        ; implicit-def: $vgpr24
                                        ; implicit-def: $vgpr40
                                        ; implicit-def: $sgpr3
	s_and_b64 vcc, exec, s[4:5]
	v_lshlrev_b32_e32 v26, 1, v0
	s_cbranch_vccz .LBB625_132
.LBB625_127:
	v_mov_b32_e32 v27, 0
	v_lshl_add_u64 v[2:3], s[72:73], 0, v[26:27]
	v_add_co_u32_e32 v4, vcc, 0x1000, v2
	flat_load_ushort v1, v[2:3]
	flat_load_ushort v6, v[2:3] offset:512
	flat_load_ushort v7, v[2:3] offset:1024
	flat_load_ushort v8, v[2:3] offset:1536
	flat_load_ushort v9, v[2:3] offset:2048
	flat_load_ushort v10, v[2:3] offset:2560
	flat_load_ushort v11, v[2:3] offset:3072
	flat_load_ushort v12, v[2:3] offset:3584
	v_addc_co_u32_e32 v5, vcc, 0, v3, vcc
	v_add_co_u32_e32 v2, vcc, 0x2000, v2
	flat_load_ushort v13, v[4:5]
	flat_load_ushort v14, v[4:5] offset:512
	flat_load_ushort v15, v[4:5] offset:1024
	;; [unrolled: 1-line block ×7, first 2 shown]
	v_addc_co_u32_e32 v3, vcc, 0, v3, vcc
	flat_load_ushort v4, v[2:3]
	flat_load_ushort v5, v[2:3] offset:512
	flat_load_ushort v21, v[2:3] offset:1024
	;; [unrolled: 1-line block ×7, first 2 shown]
	v_mov_b32_e32 v2, s72
	v_mov_b32_e32 v3, s73
	v_add_co_u32_e32 v2, vcc, 0x3000, v2
	s_movk_i32 s4, 0xffd2
	s_nop 0
	v_addc_co_u32_e32 v3, vcc, 0, v3, vcc
	s_movk_i32 s6, 0x1000
	s_movk_i32 s3, 0x2000
	s_waitcnt vmcnt(0) lgkmcnt(0)
	ds_write_b16 v26, v1
	ds_write_b16 v26, v6 offset:512
	ds_write_b16 v26, v7 offset:1024
	;; [unrolled: 1-line block ×23, first 2 shown]
	s_waitcnt lgkmcnt(0)
	s_barrier
	flat_load_ushort v41, v[2:3]
	v_mad_u32_u24 v1, v0, 46, v26
	ds_read_b128 v[10:13], v1
	ds_read_b128 v[6:9], v1 offset:16
	ds_read_b128 v[2:5], v1 offset:32
	v_mad_i32_i24 v14, v0, s4, v1
	s_movk_i32 s4, 0xff
	v_cmp_ne_u32_e32 vcc, s4, v0
	s_waitcnt lgkmcnt(0)
	ds_write_b16 v14, v10 offset:12800
	s_waitcnt lgkmcnt(0)
	s_barrier
	s_and_saveexec_b64 s[4:5], vcc
	s_cbranch_execz .LBB625_129
; %bb.128:
	s_waitcnt vmcnt(0)
	ds_read_u16 v41, v26 offset:12802
.LBB625_129:
	s_or_b64 exec, exec, s[4:5]
	v_lshl_add_u64 v[14:15], s[70:71], 0, v[26:27]
	v_add_co_u32_e32 v16, vcc, s6, v14
	s_waitcnt lgkmcnt(0)
	s_nop 0
	v_addc_co_u32_e32 v17, vcc, 0, v15, vcc
	s_barrier
	flat_load_ushort v18, v[14:15]
	flat_load_ushort v19, v[14:15] offset:512
	flat_load_ushort v20, v[14:15] offset:1024
	;; [unrolled: 1-line block ×7, first 2 shown]
	v_add_co_u32_e32 v14, vcc, s3, v14
	flat_load_ushort v28, v[16:17]
	flat_load_ushort v29, v[16:17] offset:512
	flat_load_ushort v30, v[16:17] offset:1024
	;; [unrolled: 1-line block ×7, first 2 shown]
	v_addc_co_u32_e32 v15, vcc, 0, v15, vcc
	flat_load_ushort v16, v[14:15]
	flat_load_ushort v17, v[14:15] offset:512
	flat_load_ushort v36, v[14:15] offset:1024
	;; [unrolled: 1-line block ×7, first 2 shown]
	v_cmp_eq_u16_sdwa s[6:7], v10, v10 src0_sel:DWORD src1_sel:WORD_1
	s_waitcnt vmcnt(0) lgkmcnt(0)
	ds_write_b16 v26, v18
	ds_write_b16 v26, v19 offset:512
	ds_write_b16 v26, v20 offset:1024
	;; [unrolled: 1-line block ×23, first 2 shown]
	s_waitcnt lgkmcnt(0)
	s_barrier
	ds_read_b128 v[18:21], v1 offset:2
	ds_read_b128 v[14:17], v1 offset:18
	ds_read_b96 v[22:24], v1 offset:34
	ds_read_u16 v42, v1 offset:46
	v_mov_b32_e32 v25, 0x10000
	v_mov_b32_e32 v28, s78
	s_and_saveexec_b64 s[4:5], s[6:7]
	s_cbranch_execz .LBB625_131
; %bb.130:
	ds_read_u16 v28, v1
	v_mov_b32_e32 v25, v27
.LBB625_131:
	s_or_b64 exec, exec, s[4:5]
	v_mov_b32_e32 v43, s78
	v_cmp_eq_u16_sdwa vcc, v10, v11 src0_sel:WORD_1 src1_sel:DWORD
	s_waitcnt lgkmcnt(3)
	v_lshrrev_b32_e32 v27, 16, v18
	v_cmp_ne_u16_sdwa s[4:5], v10, v11 src0_sel:WORD_1 src1_sel:DWORD
	v_cndmask_b32_e32 v18, v43, v18, vcc
	v_and_b32_e32 v18, 0xffff, v18
	v_cndmask_b32_e64 v10, 0, 1, s[4:5]
	v_cmp_eq_u16_sdwa vcc, v11, v11 src0_sel:DWORD src1_sel:WORD_1
	v_lshl_or_b32 v18, v10, 16, v18
	v_cmp_ne_u16_sdwa s[4:5], v11, v11 src0_sel:DWORD src1_sel:WORD_1
	v_cndmask_b32_e32 v10, v43, v27, vcc
	s_waitcnt lgkmcnt(0)
	v_or_b32_sdwa v1, v25, v28 dst_sel:DWORD dst_unused:UNUSED_PAD src0_sel:DWORD src1_sel:WORD_0
	v_and_b32_e32 v10, 0xffff, v10
	v_cndmask_b32_e64 v25, 0, 1, s[4:5]
	v_cmp_eq_u16_sdwa vcc, v11, v12 src0_sel:WORD_1 src1_sel:DWORD
	v_lshl_or_b32 v25, v25, 16, v10
	v_cmp_ne_u16_sdwa s[4:5], v11, v12 src0_sel:WORD_1 src1_sel:DWORD
	v_cndmask_b32_e32 v10, v43, v19, vcc
	v_lshrrev_b32_e32 v29, 16, v19
	v_and_b32_e32 v10, 0xffff, v10
	v_cndmask_b32_e64 v11, 0, 1, s[4:5]
	v_cmp_eq_u16_sdwa vcc, v12, v12 src0_sel:DWORD src1_sel:WORD_1
	v_lshl_or_b32 v19, v11, 16, v10
	v_cmp_ne_u16_sdwa s[4:5], v12, v12 src0_sel:DWORD src1_sel:WORD_1
	v_cndmask_b32_e32 v10, v43, v29, vcc
	v_and_b32_e32 v10, 0xffff, v10
	v_cndmask_b32_e64 v11, 0, 1, s[4:5]
	v_cmp_eq_u16_sdwa vcc, v12, v13 src0_sel:WORD_1 src1_sel:DWORD
	v_lshl_or_b32 v27, v11, 16, v10
	v_cmp_ne_u16_sdwa s[4:5], v12, v13 src0_sel:WORD_1 src1_sel:DWORD
	v_cndmask_b32_e32 v10, v43, v20, vcc
	v_lshrrev_b32_e32 v30, 16, v20
	v_and_b32_e32 v10, 0xffff, v10
	v_cndmask_b32_e64 v11, 0, 1, s[4:5]
	v_cmp_eq_u16_sdwa vcc, v13, v13 src0_sel:DWORD src1_sel:WORD_1
	v_lshl_or_b32 v20, v11, 16, v10
	v_cmp_ne_u16_sdwa s[4:5], v13, v13 src0_sel:DWORD src1_sel:WORD_1
	v_cndmask_b32_e32 v10, v43, v30, vcc
	v_and_b32_e32 v10, 0xffff, v10
	v_cndmask_b32_e64 v11, 0, 1, s[4:5]
	v_cmp_eq_u16_sdwa vcc, v13, v6 src0_sel:WORD_1 src1_sel:DWORD
	v_lshl_or_b32 v28, v11, 16, v10
	v_cmp_ne_u16_sdwa s[4:5], v13, v6 src0_sel:WORD_1 src1_sel:DWORD
	v_cndmask_b32_e32 v10, v43, v21, vcc
	v_lshrrev_b32_e32 v31, 16, v21
	v_and_b32_e32 v10, 0xffff, v10
	v_cndmask_b32_e64 v11, 0, 1, s[4:5]
	v_cmp_eq_u16_sdwa vcc, v6, v6 src0_sel:DWORD src1_sel:WORD_1
	v_lshl_or_b32 v21, v11, 16, v10
	v_cmp_ne_u16_sdwa s[4:5], v6, v6 src0_sel:DWORD src1_sel:WORD_1
	v_cndmask_b32_e32 v10, v43, v31, vcc
	v_and_b32_e32 v10, 0xffff, v10
	v_cndmask_b32_e64 v11, 0, 1, s[4:5]
	v_cmp_eq_u16_sdwa vcc, v6, v7 src0_sel:WORD_1 src1_sel:DWORD
	v_lshl_or_b32 v29, v11, 16, v10
	v_cmp_ne_u16_sdwa s[4:5], v6, v7 src0_sel:WORD_1 src1_sel:DWORD
	v_cndmask_b32_e32 v10, v43, v14, vcc
	v_lshrrev_b32_e32 v32, 16, v14
	v_and_b32_e32 v10, 0xffff, v10
	v_cndmask_b32_e64 v6, 0, 1, s[4:5]
	v_cmp_eq_u16_sdwa vcc, v7, v7 src0_sel:DWORD src1_sel:WORD_1
	v_lshl_or_b32 v30, v6, 16, v10
	v_cmp_ne_u16_sdwa s[4:5], v7, v7 src0_sel:DWORD src1_sel:WORD_1
	v_cndmask_b32_e32 v6, v43, v32, vcc
	v_and_b32_e32 v6, 0xffff, v6
	v_cndmask_b32_e64 v10, 0, 1, s[4:5]
	v_cmp_eq_u16_sdwa vcc, v7, v8 src0_sel:WORD_1 src1_sel:DWORD
	v_lshl_or_b32 v31, v10, 16, v6
	v_cmp_ne_u16_sdwa s[4:5], v7, v8 src0_sel:WORD_1 src1_sel:DWORD
	v_cndmask_b32_e32 v6, v43, v15, vcc
	v_lshrrev_b32_e32 v33, 16, v15
	v_and_b32_e32 v6, 0xffff, v6
	v_cndmask_b32_e64 v7, 0, 1, s[4:5]
	v_cmp_eq_u16_sdwa vcc, v8, v8 src0_sel:DWORD src1_sel:WORD_1
	v_lshl_or_b32 v32, v7, 16, v6
	v_cmp_ne_u16_sdwa s[4:5], v8, v8 src0_sel:DWORD src1_sel:WORD_1
	v_cndmask_b32_e32 v6, v43, v33, vcc
	v_and_b32_e32 v6, 0xffff, v6
	v_cndmask_b32_e64 v7, 0, 1, s[4:5]
	v_cmp_eq_u16_sdwa vcc, v8, v9 src0_sel:WORD_1 src1_sel:DWORD
	v_lshl_or_b32 v33, v7, 16, v6
	v_cmp_ne_u16_sdwa s[4:5], v8, v9 src0_sel:WORD_1 src1_sel:DWORD
	v_cndmask_b32_e32 v6, v43, v16, vcc
	v_lshrrev_b32_e32 v35, 16, v16
	v_and_b32_e32 v6, 0xffff, v6
	v_cndmask_b32_e64 v7, 0, 1, s[4:5]
	v_cmp_eq_u16_sdwa vcc, v9, v9 src0_sel:DWORD src1_sel:WORD_1
	v_lshl_or_b32 v34, v7, 16, v6
	v_cmp_ne_u16_sdwa s[4:5], v9, v9 src0_sel:DWORD src1_sel:WORD_1
	v_cndmask_b32_e32 v6, v43, v35, vcc
	v_and_b32_e32 v6, 0xffff, v6
	v_cndmask_b32_e64 v7, 0, 1, s[4:5]
	v_cmp_eq_u16_sdwa vcc, v9, v2 src0_sel:WORD_1 src1_sel:DWORD
	v_lshl_or_b32 v35, v7, 16, v6
	v_cmp_ne_u16_sdwa s[4:5], v9, v2 src0_sel:WORD_1 src1_sel:DWORD
	v_cndmask_b32_e32 v6, v43, v17, vcc
	v_lshrrev_b32_e32 v37, 16, v17
	v_and_b32_e32 v6, 0xffff, v6
	v_cndmask_b32_e64 v7, 0, 1, s[4:5]
	v_cmp_eq_u16_sdwa vcc, v2, v2 src0_sel:DWORD src1_sel:WORD_1
	v_lshl_or_b32 v36, v7, 16, v6
	v_cmp_ne_u16_sdwa s[4:5], v2, v2 src0_sel:DWORD src1_sel:WORD_1
	v_cndmask_b32_e32 v6, v43, v37, vcc
	v_and_b32_e32 v6, 0xffff, v6
	v_cndmask_b32_e64 v7, 0, 1, s[4:5]
	v_cmp_eq_u16_sdwa vcc, v2, v3 src0_sel:WORD_1 src1_sel:DWORD
	v_lshl_or_b32 v37, v7, 16, v6
	v_cmp_ne_u16_sdwa s[4:5], v2, v3 src0_sel:WORD_1 src1_sel:DWORD
	v_cndmask_b32_e32 v6, v43, v22, vcc
	v_lshrrev_b32_e32 v38, 16, v22
	v_and_b32_e32 v6, 0xffff, v6
	v_cndmask_b32_e64 v2, 0, 1, s[4:5]
	v_cmp_eq_u16_sdwa vcc, v3, v3 src0_sel:DWORD src1_sel:WORD_1
	v_lshl_or_b32 v22, v2, 16, v6
	v_cmp_ne_u16_sdwa s[4:5], v3, v3 src0_sel:DWORD src1_sel:WORD_1
	v_cndmask_b32_e32 v2, v43, v38, vcc
	v_and_b32_e32 v2, 0xffff, v2
	v_cndmask_b32_e64 v6, 0, 1, s[4:5]
	v_cmp_eq_u16_sdwa vcc, v3, v4 src0_sel:WORD_1 src1_sel:DWORD
	v_lshl_or_b32 v38, v6, 16, v2
	v_cmp_ne_u16_sdwa s[4:5], v3, v4 src0_sel:WORD_1 src1_sel:DWORD
	v_cndmask_b32_e32 v2, v43, v23, vcc
	v_lshrrev_b32_e32 v39, 16, v23
	v_and_b32_e32 v2, 0xffff, v2
	v_cndmask_b32_e64 v3, 0, 1, s[4:5]
	v_cmp_eq_u16_sdwa vcc, v4, v4 src0_sel:DWORD src1_sel:WORD_1
	v_lshl_or_b32 v23, v3, 16, v2
	v_cmp_ne_u16_sdwa s[4:5], v4, v4 src0_sel:DWORD src1_sel:WORD_1
	v_cndmask_b32_e32 v2, v43, v39, vcc
	v_and_b32_e32 v2, 0xffff, v2
	v_cndmask_b32_e64 v3, 0, 1, s[4:5]
	v_cmp_eq_u16_sdwa vcc, v4, v5 src0_sel:WORD_1 src1_sel:DWORD
	v_lshl_or_b32 v39, v3, 16, v2
	v_cmp_ne_u16_sdwa s[4:5], v4, v5 src0_sel:WORD_1 src1_sel:DWORD
	v_cndmask_b32_e32 v2, v43, v24, vcc
	v_lshrrev_b32_e32 v40, 16, v24
	v_and_b32_e32 v2, 0xffff, v2
	v_cndmask_b32_e64 v3, 0, 1, s[4:5]
	v_cmp_eq_u16_sdwa vcc, v5, v5 src0_sel:DWORD src1_sel:WORD_1
	v_lshl_or_b32 v24, v3, 16, v2
	v_cmp_ne_u16_sdwa s[4:5], v5, v5 src0_sel:DWORD src1_sel:WORD_1
	v_cndmask_b32_e32 v2, v43, v40, vcc
	v_and_b32_e32 v2, 0xffff, v2
	v_cndmask_b32_e64 v3, 0, 1, s[4:5]
	v_cmp_ne_u16_sdwa s[8:9], v5, v41 src0_sel:WORD_1 src1_sel:DWORD
	v_lshl_or_b32 v40, v3, 16, v2
	s_mov_b64 s[10:11], -1
	v_cndmask_b32_e64 v41, v42, v43, s[8:9]
                                        ; implicit-def: $sgpr3
.LBB625_132:
	v_mov_b32_e32 v12, s3
	s_and_saveexec_b64 s[4:5], s[10:11]
; %bb.133:
	v_mov_b32_e32 v2, 0x10000
	v_cndmask_b32_e64 v2, 0, v2, s[8:9]
	v_or_b32_sdwa v12, v2, v41 dst_sel:DWORD dst_unused:UNUSED_PAD src0_sel:DWORD src1_sel:WORD_0
; %bb.134:
	s_or_b64 exec, exec, s[4:5]
	v_or3_b32 v2, v12, v40, v24
	s_cmp_lg_u32 s2, 0
	v_or3_b32 v14, v2, v39, v23
	v_mbcnt_lo_u32_b32 v13, -1, 0
	s_barrier
	s_cbranch_scc0 .LBB625_227
; %bb.135:
	s_mov_b32 s3, 0x10000
	v_cmp_gt_u32_e64 s[50:51], s3, v18
	v_cmp_gt_u32_e64 s[4:5], s3, v25
	v_cmp_gt_u32_e64 s[6:7], s3, v19
	v_cndmask_b32_e64 v2, 1, v1, s[50:51]
	v_mul_lo_u16_e32 v2, v2, v18
	v_cndmask_b32_e64 v2, 1, v2, s[4:5]
	v_mul_lo_u16_e32 v2, v2, v25
	v_cndmask_b32_e64 v2, 1, v2, s[6:7]
	v_mul_lo_u16_e32 v2, v2, v19
	v_cmp_gt_u32_e64 s[8:9], s3, v27
	v_cmp_gt_u32_e64 s[10:11], s3, v20
	v_cmp_gt_u32_e64 s[12:13], s3, v28
	v_cndmask_b32_e64 v2, 1, v2, s[8:9]
	v_mul_lo_u16_e32 v2, v2, v27
	v_cndmask_b32_e64 v2, 1, v2, s[10:11]
	v_mul_lo_u16_e32 v2, v2, v20
	v_cndmask_b32_e64 v2, 1, v2, s[12:13]
	v_mul_lo_u16_e32 v2, v2, v28
	v_cmp_gt_u32_e64 s[14:15], s3, v21
	v_cmp_gt_u32_e64 s[16:17], s3, v29
	v_cmp_gt_u32_e64 s[18:19], s3, v30
	v_cndmask_b32_e64 v2, 1, v2, s[14:15]
	v_mul_lo_u16_e32 v2, v2, v21
	v_cndmask_b32_e64 v2, 1, v2, s[16:17]
	v_mul_lo_u16_e32 v2, v2, v29
	v_cndmask_b32_e64 v2, 1, v2, s[18:19]
	v_mul_lo_u16_e32 v2, v2, v30
	v_cmp_gt_u32_e64 s[20:21], s3, v31
	v_cmp_gt_u32_e64 s[22:23], s3, v32
	v_cmp_gt_u32_e64 s[24:25], s3, v33
	v_cndmask_b32_e64 v2, 1, v2, s[20:21]
	v_mul_lo_u16_e32 v2, v2, v31
	v_cndmask_b32_e64 v2, 1, v2, s[22:23]
	v_mul_lo_u16_e32 v2, v2, v32
	v_cndmask_b32_e64 v2, 1, v2, s[24:25]
	v_mul_lo_u16_e32 v2, v2, v33
	v_cmp_gt_u32_e64 s[26:27], s3, v34
	v_cmp_gt_u32_e64 s[28:29], s3, v35
	v_cmp_gt_u32_e64 s[30:31], s3, v36
	v_cndmask_b32_e64 v2, 1, v2, s[26:27]
	v_mul_lo_u16_e32 v2, v2, v34
	v_cndmask_b32_e64 v2, 1, v2, s[28:29]
	v_mul_lo_u16_e32 v2, v2, v35
	v_cndmask_b32_e64 v2, 1, v2, s[30:31]
	v_mul_lo_u16_e32 v2, v2, v36
	v_cmp_gt_u32_e64 s[34:35], s3, v37
	v_cmp_gt_u32_e64 s[36:37], s3, v22
	;; [unrolled: 1-line block ×3, first 2 shown]
	v_cndmask_b32_e64 v2, 1, v2, s[34:35]
	v_mul_lo_u16_e32 v2, v2, v37
	v_cndmask_b32_e64 v2, 1, v2, s[36:37]
	v_mul_lo_u16_e32 v2, v2, v22
	v_cndmask_b32_e64 v2, 1, v2, s[38:39]
	v_or3_b32 v5, v14, v38, v22
	v_mul_lo_u16_e32 v2, v2, v38
	v_cmp_gt_u32_e64 s[40:41], s3, v23
	v_or3_b32 v5, v5, v37, v36
	v_or3_b32 v5, v5, v35, v34
	v_cndmask_b32_e64 v2, 1, v2, s[40:41]
	v_mul_lo_u16_e32 v2, v2, v23
	v_cmp_gt_u32_e64 s[42:43], s3, v39
	v_or3_b32 v5, v5, v33, v32
	v_or3_b32 v5, v5, v31, v30
	v_cndmask_b32_e64 v2, 1, v2, s[42:43]
	;; [unrolled: 5-line block ×4, first 2 shown]
	v_mul_lo_u16_e32 v2, v2, v40
	v_cmp_gt_u32_e32 vcc, s3, v12
	v_and_b32_e32 v5, 0x10000, v5
	v_and_b32_e32 v3, 0x10000, v1
	v_cndmask_b32_e32 v4, 1, v2, vcc
	v_mov_b32_e32 v6, 0x10000
	v_cmp_ne_u32_e32 vcc, 0, v5
	v_mul_lo_u16_e32 v2, v4, v12
	v_mul_lo_u16_e32 v4, v4, v12
	v_cndmask_b32_e32 v6, v3, v6, vcc
	v_mbcnt_hi_u32_b32 v5, -1, v13
	v_and_b32_e32 v7, 15, v5
	v_or_b32_e32 v4, v6, v4
	v_lshrrev_b32_e32 v3, 16, v6
	v_cmp_ne_u32_e32 vcc, 0, v7
	v_mov_b32_dpp v8, v4 row_shr:1 row_mask:0xf bank_mask:0xf
	s_and_saveexec_b64 s[48:49], vcc
	s_cbranch_execz .LBB625_137
; %bb.136:
	v_cmp_eq_u32_e32 vcc, 0, v6
	v_and_b32_e32 v3, 0x10000, v6
	v_mov_b32_e32 v6, 1
	v_cndmask_b32_e32 v4, 1, v8, vcc
	v_and_b32_sdwa v6, v8, v6 dst_sel:DWORD dst_unused:UNUSED_PAD src0_sel:WORD_1 src1_sel:DWORD
	v_cmp_ne_u32_e32 vcc, 0, v3
	v_mul_lo_u16_e32 v9, v4, v2
	v_mul_lo_u16_e32 v2, v4, v2
	v_cndmask_b32_e64 v3, v6, 1, vcc
	v_lshlrev_b32_e32 v6, 16, v3
	v_or_b32_e32 v4, v6, v2
	v_mov_b32_e32 v2, v9
.LBB625_137:
	s_or_b64 exec, exec, s[48:49]
	v_lshrrev_b32_e32 v6, 16, v4
	v_mov_b32_dpp v8, v4 row_shr:2 row_mask:0xf bank_mask:0xf
	v_cmp_lt_u32_e32 vcc, 1, v7
	s_and_saveexec_b64 s[48:49], vcc
	s_cbranch_execz .LBB625_139
; %bb.138:
	v_cmp_gt_u32_e32 vcc, s3, v4
	v_and_b32_e32 v3, 0x10000, v4
	v_mov_b32_e32 v4, 1
	v_cndmask_b32_e32 v6, 1, v8, vcc
	v_and_b32_sdwa v4, v8, v4 dst_sel:DWORD dst_unused:UNUSED_PAD src0_sel:WORD_1 src1_sel:DWORD
	v_cmp_ne_u32_e32 vcc, 0, v3
	v_mul_lo_u16_e32 v9, v6, v2
	v_mul_lo_u16_e32 v2, v6, v2
	v_cndmask_b32_e64 v3, v4, 1, vcc
	v_lshlrev_b32_e32 v4, 16, v3
	v_or_b32_e32 v4, v4, v2
	v_mov_b32_e32 v6, v3
	v_mov_b32_e32 v2, v9
.LBB625_139:
	s_or_b64 exec, exec, s[48:49]
	v_mov_b32_dpp v8, v4 row_shr:4 row_mask:0xf bank_mask:0xf
	v_cmp_lt_u32_e32 vcc, 3, v7
	s_and_saveexec_b64 s[48:49], vcc
	s_cbranch_execz .LBB625_141
; %bb.140:
	v_cmp_eq_u16_e32 vcc, 0, v6
	v_and_b32_e32 v3, 1, v6
	v_mov_b32_e32 v6, 1
	v_cndmask_b32_e32 v4, 1, v8, vcc
	v_and_b32_sdwa v6, v8, v6 dst_sel:DWORD dst_unused:UNUSED_PAD src0_sel:WORD_1 src1_sel:DWORD
	v_cmp_eq_u32_e32 vcc, 1, v3
	v_mul_lo_u16_e32 v9, v4, v2
	v_mul_lo_u16_e32 v2, v4, v2
	v_cndmask_b32_e64 v3, v6, 1, vcc
	v_lshlrev_b32_e32 v6, 16, v3
	v_or_b32_e32 v4, v6, v2
	v_mov_b32_e32 v6, v3
	v_mov_b32_e32 v2, v9
.LBB625_141:
	s_or_b64 exec, exec, s[48:49]
	v_mov_b32_dpp v8, v4 row_shr:8 row_mask:0xf bank_mask:0xf
	v_cmp_lt_u32_e32 vcc, 7, v7
	s_and_saveexec_b64 s[48:49], vcc
	s_cbranch_execz .LBB625_143
; %bb.142:
	v_cmp_eq_u16_e32 vcc, 0, v6
	v_and_b32_e32 v3, 1, v6
	v_mov_b32_e32 v6, 1
	v_cndmask_b32_e32 v4, 1, v8, vcc
	v_and_b32_sdwa v6, v8, v6 dst_sel:DWORD dst_unused:UNUSED_PAD src0_sel:WORD_1 src1_sel:DWORD
	v_cmp_eq_u32_e32 vcc, 1, v3
	v_mul_lo_u16_e32 v7, v4, v2
	v_mul_lo_u16_e32 v2, v4, v2
	v_cndmask_b32_e64 v3, v6, 1, vcc
	v_lshlrev_b32_e32 v6, 16, v3
	v_or_b32_e32 v4, v6, v2
	v_mov_b32_e32 v6, v3
	v_mov_b32_e32 v2, v7
.LBB625_143:
	s_or_b64 exec, exec, s[48:49]
	v_and_b32_e32 v8, 16, v5
	v_mov_b32_dpp v7, v4 row_bcast:15 row_mask:0xf bank_mask:0xf
	v_cmp_ne_u32_e32 vcc, 0, v8
	s_and_saveexec_b64 s[48:49], vcc
	s_cbranch_execz .LBB625_145
; %bb.144:
	v_cmp_eq_u16_e32 vcc, 0, v6
	v_and_b32_e32 v3, 1, v6
	v_mov_b32_e32 v6, 1
	v_cndmask_b32_e32 v4, 1, v7, vcc
	v_and_b32_sdwa v6, v7, v6 dst_sel:DWORD dst_unused:UNUSED_PAD src0_sel:WORD_1 src1_sel:DWORD
	v_cmp_eq_u32_e32 vcc, 1, v3
	v_mul_lo_u16_e32 v8, v4, v2
	v_mul_lo_u16_e32 v2, v4, v2
	v_cndmask_b32_e64 v3, v6, 1, vcc
	v_lshlrev_b32_e32 v6, 16, v3
	v_or_b32_e32 v4, v6, v2
	v_mov_b32_e32 v6, v3
	v_mov_b32_e32 v2, v8
.LBB625_145:
	s_or_b64 exec, exec, s[48:49]
	v_mov_b32_dpp v4, v4 row_bcast:31 row_mask:0xf bank_mask:0xf
	v_cmp_lt_u32_e32 vcc, 31, v5
	s_and_saveexec_b64 s[48:49], vcc
; %bb.146:
	v_cmp_eq_u16_e32 vcc, 0, v6
	s_nop 1
	v_cndmask_b32_e32 v3, 1, v4, vcc
	v_mul_lo_u16_e32 v2, v3, v2
	v_and_b32_e32 v3, 1, v6
	v_mov_b32_e32 v6, 1
	v_and_b32_sdwa v4, v4, v6 dst_sel:DWORD dst_unused:UNUSED_PAD src0_sel:WORD_1 src1_sel:DWORD
	v_cmp_eq_u32_e32 vcc, 1, v3
	s_nop 1
	v_cndmask_b32_e64 v3, v4, 1, vcc
; %bb.147:
	s_or_b64 exec, exec, s[48:49]
	v_or_b32_e32 v6, 63, v0
	v_lshrrev_b32_e32 v4, 6, v0
	v_cmp_eq_u32_e32 vcc, v6, v0
	s_and_saveexec_b64 s[48:49], vcc
	s_cbranch_execz .LBB625_149
; %bb.148:
	v_lshlrev_b32_e32 v6, 2, v4
	ds_write_b16 v6, v2
	ds_write_b8 v6, v3 offset:2
.LBB625_149:
	s_or_b64 exec, exec, s[48:49]
	v_cmp_gt_u32_e32 vcc, 4, v0
	s_waitcnt lgkmcnt(0)
	s_barrier
	s_and_saveexec_b64 s[48:49], vcc
	s_cbranch_execz .LBB625_155
; %bb.150:
	v_lshlrev_b32_e32 v6, 2, v0
	ds_read_b32 v7, v6
	v_and_b32_e32 v10, 3, v5
	v_cmp_ne_u32_e32 vcc, 0, v10
	s_waitcnt lgkmcnt(0)
	v_lshrrev_b32_e32 v9, 16, v7
	v_mov_b32_dpp v11, v7 row_shr:1 row_mask:0xf bank_mask:0xf
	v_mov_b32_e32 v8, v7
	s_and_saveexec_b64 s[52:53], vcc
	s_cbranch_execz .LBB625_152
; %bb.151:
	v_mov_b32_e32 v8, 0
	v_cmp_eq_u16_sdwa vcc, v9, v8 src0_sel:BYTE_0 src1_sel:DWORD
	v_and_b32_e32 v9, 0x10000, v7
	v_mov_b32_e32 v17, 1
	v_cndmask_b32_e32 v16, 1, v11, vcc
	v_and_b32_sdwa v11, v11, v17 dst_sel:DWORD dst_unused:UNUSED_PAD src0_sel:WORD_1 src1_sel:DWORD
	v_cmp_ne_u32_e32 vcc, 0, v9
	v_and_b32_e32 v15, 0xff000000, v7
	v_mul_lo_u16_e32 v8, v16, v7
	v_cndmask_b32_e64 v9, v11, 1, vcc
	v_lshlrev_b32_e32 v11, 16, v9
	v_mul_lo_u16_e32 v7, v16, v7
	v_or3_b32 v7, v11, v15, v7
.LBB625_152:
	s_or_b64 exec, exec, s[52:53]
	s_nop 0
	v_mov_b32_dpp v11, v7 row_shr:2 row_mask:0xf bank_mask:0xf
	v_cmp_lt_u32_e32 vcc, 1, v10
	s_and_saveexec_b64 s[52:53], vcc
; %bb.153:
	v_and_b32_e32 v9, 0xff0000, v7
	v_cmp_eq_u32_e32 vcc, 0, v9
	v_and_b32_e32 v7, 0x10000, v7
	s_nop 0
	v_cndmask_b32_e32 v9, 1, v11, vcc
	v_mul_lo_u16_e32 v8, v9, v8
	v_mov_b32_e32 v9, 1
	v_and_b32_sdwa v9, v11, v9 dst_sel:DWORD dst_unused:UNUSED_PAD src0_sel:WORD_1 src1_sel:DWORD
	v_cmp_eq_u32_e32 vcc, 0, v7
	s_nop 1
	v_cndmask_b32_e32 v9, 1, v9, vcc
; %bb.154:
	s_or_b64 exec, exec, s[52:53]
	ds_write_b16 v6, v8
	ds_write_b8 v6, v9 offset:2
.LBB625_155:
	s_or_b64 exec, exec, s[48:49]
	v_cmp_gt_u32_e32 vcc, 64, v0
	v_cmp_lt_u32_e64 s[48:49], 63, v0
	v_mov_b32_e32 v15, 0
	v_mov_b32_e32 v16, 0
	s_waitcnt lgkmcnt(0)
	s_barrier
	s_and_saveexec_b64 s[52:53], s[48:49]
	s_cbranch_execz .LBB625_157
; %bb.156:
	v_lshl_add_u32 v4, v4, 2, -4
	ds_read_u16 v15, v4
	ds_read_u8 v16, v4 offset:2
	v_and_b32_e32 v6, 1, v3
	v_cmp_eq_u16_e64 s[48:49], 0, v3
	s_waitcnt lgkmcnt(1)
	s_nop 0
	v_cndmask_b32_e64 v3, 1, v15, s[48:49]
	v_cmp_eq_u32_e64 s[48:49], 1, v6
	v_mul_lo_u16_e32 v2, v3, v2
	s_waitcnt lgkmcnt(0)
	v_cndmask_b32_e64 v3, v16, 1, s[48:49]
.LBB625_157:
	s_or_b64 exec, exec, s[52:53]
	v_and_b32_e32 v3, 0xff, v3
	v_and_b32_e32 v2, 0xffff, v2
	v_lshl_or_b32 v2, v3, 16, v2
	v_add_u32_e32 v3, -1, v5
	v_and_b32_e32 v4, 64, v5
	v_cmp_lt_i32_e64 s[48:49], v3, v4
	s_nop 1
	v_cndmask_b32_e64 v3, v3, v5, s[48:49]
	v_lshlrev_b32_e32 v3, 2, v3
	ds_bpermute_b32 v17, v3, v2
	v_cmp_eq_u32_e64 s[48:49], 0, v5
	s_and_saveexec_b64 s[52:53], vcc
	s_cbranch_execz .LBB625_204
; %bb.158:
	v_mov_b32_e32 v11, 0
	ds_read_b32 v2, v11 offset:12
	s_and_saveexec_b64 s[60:61], s[48:49]
	s_cbranch_execz .LBB625_160
; %bb.159:
	s_add_i32 s70, s2, 64
	s_mov_b32 s71, 0
	s_lshl_b64 s[70:71], s[70:71], 3
	s_add_u32 s70, s56, s70
	v_mov_b32_e32 v3, 1
	s_addc_u32 s71, s57, s71
	s_waitcnt lgkmcnt(0)
	global_store_dwordx2 v11, v[2:3], s[70:71] sc1
.LBB625_160:
	s_or_b64 exec, exec, s[60:61]
	v_xad_u32 v4, v5, -1, s2
	v_add_u32_e32 v10, 64, v4
	v_lshl_add_u64 v[8:9], v[10:11], 3, s[56:57]
	global_load_dwordx2 v[6:7], v[8:9], off sc1
	s_waitcnt vmcnt(0)
	v_cmp_eq_u16_sdwa s[70:71], v7, v11 src0_sel:BYTE_0 src1_sel:DWORD
	s_and_saveexec_b64 s[60:61], s[70:71]
	s_cbranch_execz .LBB625_166
; %bb.161:
	s_mov_b32 s3, 1
	s_mov_b64 s[70:71], 0
	v_mov_b32_e32 v3, 0
.LBB625_162:                            ; =>This Loop Header: Depth=1
                                        ;     Child Loop BB625_163 Depth 2
	s_max_u32 s59, s3, 1
.LBB625_163:                            ;   Parent Loop BB625_162 Depth=1
                                        ; =>  This Inner Loop Header: Depth=2
	s_add_i32 s59, s59, -1
	s_cmp_eq_u32 s59, 0
	s_sleep 1
	s_cbranch_scc0 .LBB625_163
; %bb.164:                              ;   in Loop: Header=BB625_162 Depth=1
	global_load_dwordx2 v[6:7], v[8:9], off sc1
	s_cmp_lt_u32 s3, 32
	s_cselect_b64 s[72:73], -1, 0
	s_cmp_lg_u64 s[72:73], 0
	s_addc_u32 s3, s3, 0
	s_waitcnt vmcnt(0)
	v_cmp_ne_u16_sdwa s[72:73], v7, v3 src0_sel:BYTE_0 src1_sel:DWORD
	s_or_b64 s[70:71], s[72:73], s[70:71]
	s_andn2_b64 exec, exec, s[70:71]
	s_cbranch_execnz .LBB625_162
; %bb.165:
	s_or_b64 exec, exec, s[70:71]
.LBB625_166:
	s_or_b64 exec, exec, s[60:61]
	v_mov_b32_e32 v3, 2
	v_cmp_eq_u16_sdwa s[60:61], v7, v3 src0_sel:BYTE_0 src1_sel:DWORD
	v_lshlrev_b64 v[8:9], v5, -1
	v_and_b32_e32 v52, 0xffffff, v6
	v_and_b32_e32 v3, s61, v9
	v_or_b32_e32 v3, 0x80000000, v3
	v_ffbl_b32_e32 v3, v3
	v_add_u32_e32 v11, 32, v3
	v_and_b32_e32 v3, 63, v5
	v_cmp_ne_u32_e32 vcc, 63, v3
	v_and_b32_e32 v10, s60, v8
	v_ffbl_b32_e32 v10, v10
	v_addc_co_u32_e32 v41, vcc, 0, v5, vcc
	v_lshlrev_b32_e32 v41, 2, v41
	ds_bpermute_b32 v42, v41, v52
	v_min_u32_e32 v11, v10, v11
	v_lshrrev_b32_e32 v10, 16, v6
	v_cmp_lt_u32_e32 vcc, v3, v11
	v_bfe_u32 v50, v6, 16, 8
	s_and_saveexec_b64 s[60:61], vcc
	s_cbranch_execz .LBB625_168
; %bb.167:
	v_and_b32_e32 v10, 0xff0000, v6
	v_cmp_eq_u32_e32 vcc, 0, v10
	v_and_b32_e32 v10, 0x10000, v10
	v_mov_b32_e32 v45, 1
	s_waitcnt lgkmcnt(0)
	v_cndmask_b32_e32 v43, 1, v42, vcc
	v_and_b32_sdwa v42, v42, v45 dst_sel:DWORD dst_unused:UNUSED_PAD src0_sel:WORD_1 src1_sel:DWORD
	v_cmp_ne_u32_e32 vcc, 0, v10
	v_mul_lo_u16_e32 v44, v43, v6
	v_mul_lo_u16_e32 v6, v43, v6
	v_cndmask_b32_e64 v10, v42, 1, vcc
	v_lshlrev_b32_e32 v42, 16, v10
	v_or_b32_e32 v52, v42, v6
	v_mov_b32_e32 v6, v44
	v_mov_b32_e32 v50, v10
.LBB625_168:
	s_or_b64 exec, exec, s[60:61]
	v_cmp_gt_u32_e32 vcc, 62, v3
	v_add_u32_e32 v43, 2, v3
	s_waitcnt lgkmcnt(0)
	v_cndmask_b32_e64 v42, 0, 1, vcc
	v_lshlrev_b32_e32 v42, 1, v42
	v_add_lshl_u32 v42, v42, v5, 2
	ds_bpermute_b32 v44, v42, v52
	v_cmp_le_u32_e32 vcc, v43, v11
	s_and_saveexec_b64 s[60:61], vcc
	s_cbranch_execz .LBB625_170
; %bb.169:
	v_cmp_eq_u16_e32 vcc, 0, v50
	v_and_b32_e32 v10, 1, v50
	v_mov_b32_e32 v47, 1
	s_waitcnt lgkmcnt(0)
	v_cndmask_b32_e32 v45, 1, v44, vcc
	v_and_b32_sdwa v44, v44, v47 dst_sel:DWORD dst_unused:UNUSED_PAD src0_sel:WORD_1 src1_sel:DWORD
	v_cmp_eq_u32_e32 vcc, 1, v10
	v_mul_lo_u16_e32 v46, v45, v6
	v_mul_lo_u16_e32 v6, v45, v6
	v_cndmask_b32_e64 v10, v44, 1, vcc
	v_lshlrev_b32_e32 v44, 16, v10
	v_or_b32_e32 v52, v44, v6
	v_mov_b32_e32 v6, v46
	v_mov_b32_e32 v50, v10
.LBB625_170:
	s_or_b64 exec, exec, s[60:61]
	v_cmp_gt_u32_e32 vcc, 60, v3
	v_add_u32_e32 v45, 4, v3
	s_waitcnt lgkmcnt(0)
	v_cndmask_b32_e64 v44, 0, 1, vcc
	v_lshlrev_b32_e32 v44, 2, v44
	v_add_lshl_u32 v44, v44, v5, 2
	ds_bpermute_b32 v46, v44, v52
	v_cmp_le_u32_e32 vcc, v45, v11
	s_and_saveexec_b64 s[60:61], vcc
	s_cbranch_execz .LBB625_172
; %bb.171:
	v_cmp_eq_u16_e32 vcc, 0, v50
	v_and_b32_e32 v10, 1, v50
	v_mov_b32_e32 v49, 1
	s_waitcnt lgkmcnt(0)
	v_cndmask_b32_e32 v47, 1, v46, vcc
	v_and_b32_sdwa v46, v46, v49 dst_sel:DWORD dst_unused:UNUSED_PAD src0_sel:WORD_1 src1_sel:DWORD
	v_cmp_eq_u32_e32 vcc, 1, v10
	v_mul_lo_u16_e32 v48, v47, v6
	v_mul_lo_u16_e32 v6, v47, v6
	v_cndmask_b32_e64 v10, v46, 1, vcc
	v_lshlrev_b32_e32 v46, 16, v10
	v_or_b32_e32 v52, v46, v6
	v_mov_b32_e32 v6, v48
	v_mov_b32_e32 v50, v10
.LBB625_172:
	;; [unrolled: 27-line block ×4, first 2 shown]
	s_or_b64 exec, exec, s[60:61]
	v_cmp_gt_u32_e32 vcc, 32, v3
	s_waitcnt lgkmcnt(0)
	s_nop 0
	v_cndmask_b32_e64 v51, 0, 1, vcc
	v_lshlrev_b32_e32 v51, 5, v51
	v_add_lshl_u32 v51, v51, v5, 2
	ds_bpermute_b32 v5, v51, v52
	v_add_u32_e32 v52, 32, v3
	v_cmp_le_u32_e32 vcc, v52, v11
	s_and_saveexec_b64 s[60:61], vcc
	s_cbranch_execz .LBB625_178
; %bb.177:
	v_cmp_eq_u16_e32 vcc, 0, v50
	v_mov_b32_e32 v11, 1
	s_waitcnt lgkmcnt(0)
	v_cndmask_b32_e32 v10, 1, v5, vcc
	v_mul_lo_u16_e32 v6, v10, v6
	v_and_b32_e32 v10, 1, v50
	v_and_b32_sdwa v5, v5, v11 dst_sel:DWORD dst_unused:UNUSED_PAD src0_sel:WORD_1 src1_sel:DWORD
	v_cmp_eq_u32_e32 vcc, 1, v10
	s_nop 1
	v_cndmask_b32_e64 v10, v5, 1, vcc
.LBB625_178:
	s_or_b64 exec, exec, s[60:61]
	s_waitcnt lgkmcnt(0)
	v_mov_b32_e32 v5, 0
	v_mov_b32_e32 v54, 2
	;; [unrolled: 1-line block ×3, first 2 shown]
	s_branch .LBB625_180
.LBB625_179:                            ;   in Loop: Header=BB625_180 Depth=1
	s_or_b64 exec, exec, s[60:61]
	v_cmp_eq_u16_sdwa vcc, v50, v5 src0_sel:BYTE_0 src1_sel:DWORD
	v_and_b32_e32 v10, 1, v50
	v_and_b32_e32 v11, 1, v11
	v_cndmask_b32_e32 v6, 1, v6, vcc
	v_cmp_eq_u32_e32 vcc, 1, v10
	v_subrev_u32_e32 v4, 64, v4
	v_mul_lo_u16_e32 v6, v6, v53
	v_cndmask_b32_e64 v10, v11, 1, vcc
.LBB625_180:                            ; =>This Loop Header: Depth=1
                                        ;     Child Loop BB625_183 Depth 2
                                        ;       Child Loop BB625_184 Depth 3
	v_cmp_ne_u16_sdwa s[60:61], v7, v54 src0_sel:BYTE_0 src1_sel:DWORD
	v_mov_b32_e32 v50, v10
	v_mov_b32_e32 v53, v6
	v_cndmask_b32_e64 v7, 0, 1, s[60:61]
	;;#ASMSTART
	;;#ASMEND
	s_nop 0
	v_cmp_ne_u32_e32 vcc, 0, v7
	s_cmp_lg_u64 vcc, exec
	s_cbranch_scc1 .LBB625_199
; %bb.181:                              ;   in Loop: Header=BB625_180 Depth=1
	v_lshl_add_u64 v[10:11], v[4:5], 3, s[56:57]
	global_load_dwordx2 v[6:7], v[10:11], off sc1
	s_waitcnt vmcnt(0)
	v_cmp_eq_u16_sdwa s[70:71], v7, v5 src0_sel:BYTE_0 src1_sel:DWORD
	s_and_saveexec_b64 s[60:61], s[70:71]
	s_cbranch_execz .LBB625_187
; %bb.182:                              ;   in Loop: Header=BB625_180 Depth=1
	s_mov_b32 s3, 1
	s_mov_b64 s[70:71], 0
.LBB625_183:                            ;   Parent Loop BB625_180 Depth=1
                                        ; =>  This Loop Header: Depth=2
                                        ;       Child Loop BB625_184 Depth 3
	s_max_u32 s59, s3, 1
.LBB625_184:                            ;   Parent Loop BB625_180 Depth=1
                                        ;     Parent Loop BB625_183 Depth=2
                                        ; =>    This Inner Loop Header: Depth=3
	s_add_i32 s59, s59, -1
	s_cmp_eq_u32 s59, 0
	s_sleep 1
	s_cbranch_scc0 .LBB625_184
; %bb.185:                              ;   in Loop: Header=BB625_183 Depth=2
	global_load_dwordx2 v[6:7], v[10:11], off sc1
	s_cmp_lt_u32 s3, 32
	s_cselect_b64 s[72:73], -1, 0
	s_cmp_lg_u64 s[72:73], 0
	s_addc_u32 s3, s3, 0
	s_waitcnt vmcnt(0)
	v_cmp_ne_u16_sdwa s[72:73], v7, v5 src0_sel:BYTE_0 src1_sel:DWORD
	s_or_b64 s[70:71], s[72:73], s[70:71]
	s_andn2_b64 exec, exec, s[70:71]
	s_cbranch_execnz .LBB625_183
; %bb.186:                              ;   in Loop: Header=BB625_180 Depth=1
	s_or_b64 exec, exec, s[70:71]
.LBB625_187:                            ;   in Loop: Header=BB625_180 Depth=1
	s_or_b64 exec, exec, s[60:61]
	v_cmp_eq_u16_sdwa s[60:61], v7, v54 src0_sel:BYTE_0 src1_sel:DWORD
	s_waitcnt lgkmcnt(0)
	v_and_b32_e32 v57, 0xffffff, v6
	ds_bpermute_b32 v58, v41, v57
	v_and_b32_e32 v10, s61, v9
	v_or_b32_e32 v10, 0x80000000, v10
	v_and_b32_e32 v11, s60, v8
	v_ffbl_b32_e32 v10, v10
	v_add_u32_e32 v10, 32, v10
	v_ffbl_b32_e32 v11, v11
	v_min_u32_e32 v10, v11, v10
	v_lshrrev_b32_e32 v11, 16, v6
	v_cmp_lt_u32_e32 vcc, v3, v10
	v_bfe_u32 v56, v6, 16, 8
	s_and_saveexec_b64 s[60:61], vcc
	s_cbranch_execz .LBB625_189
; %bb.188:                              ;   in Loop: Header=BB625_180 Depth=1
	v_and_b32_e32 v11, 0xff0000, v6
	v_cmp_eq_u32_e32 vcc, 0, v11
	v_and_b32_e32 v11, 0x10000, v11
	s_waitcnt lgkmcnt(0)
	v_and_b32_sdwa v57, v58, v55 dst_sel:DWORD dst_unused:UNUSED_PAD src0_sel:WORD_1 src1_sel:DWORD
	v_cndmask_b32_e32 v56, 1, v58, vcc
	v_cmp_ne_u32_e32 vcc, 0, v11
	v_mul_lo_u16_e32 v59, v56, v6
	v_mul_lo_u16_e32 v6, v56, v6
	v_cndmask_b32_e64 v11, v57, 1, vcc
	v_lshlrev_b32_e32 v57, 16, v11
	v_or_b32_e32 v57, v57, v6
	v_mov_b32_e32 v6, v59
	v_mov_b32_e32 v56, v11
.LBB625_189:                            ;   in Loop: Header=BB625_180 Depth=1
	s_or_b64 exec, exec, s[60:61]
	s_waitcnt lgkmcnt(0)
	ds_bpermute_b32 v58, v42, v57
	v_cmp_le_u32_e32 vcc, v43, v10
	s_and_saveexec_b64 s[60:61], vcc
	s_cbranch_execz .LBB625_191
; %bb.190:                              ;   in Loop: Header=BB625_180 Depth=1
	v_cmp_eq_u16_e32 vcc, 0, v56
	v_and_b32_e32 v11, 1, v56
	s_waitcnt lgkmcnt(0)
	v_and_b32_sdwa v56, v58, v55 dst_sel:DWORD dst_unused:UNUSED_PAD src0_sel:WORD_1 src1_sel:DWORD
	v_cndmask_b32_e32 v57, 1, v58, vcc
	v_cmp_eq_u32_e32 vcc, 1, v11
	v_mul_lo_u16_e32 v59, v57, v6
	v_mul_lo_u16_e32 v6, v57, v6
	v_cndmask_b32_e64 v11, v56, 1, vcc
	v_lshlrev_b32_e32 v56, 16, v11
	v_or_b32_e32 v57, v56, v6
	v_mov_b32_e32 v6, v59
	v_mov_b32_e32 v56, v11
.LBB625_191:                            ;   in Loop: Header=BB625_180 Depth=1
	s_or_b64 exec, exec, s[60:61]
	s_waitcnt lgkmcnt(0)
	ds_bpermute_b32 v58, v44, v57
	v_cmp_le_u32_e32 vcc, v45, v10
	s_and_saveexec_b64 s[60:61], vcc
	s_cbranch_execz .LBB625_193
; %bb.192:                              ;   in Loop: Header=BB625_180 Depth=1
	v_cmp_eq_u16_e32 vcc, 0, v56
	v_and_b32_e32 v11, 1, v56
	s_waitcnt lgkmcnt(0)
	v_and_b32_sdwa v56, v58, v55 dst_sel:DWORD dst_unused:UNUSED_PAD src0_sel:WORD_1 src1_sel:DWORD
	v_cndmask_b32_e32 v57, 1, v58, vcc
	v_cmp_eq_u32_e32 vcc, 1, v11
	v_mul_lo_u16_e32 v59, v57, v6
	v_mul_lo_u16_e32 v6, v57, v6
	v_cndmask_b32_e64 v11, v56, 1, vcc
	v_lshlrev_b32_e32 v56, 16, v11
	v_or_b32_e32 v57, v56, v6
	v_mov_b32_e32 v6, v59
	v_mov_b32_e32 v56, v11
.LBB625_193:                            ;   in Loop: Header=BB625_180 Depth=1
	;; [unrolled: 21-line block ×4, first 2 shown]
	s_or_b64 exec, exec, s[60:61]
	ds_bpermute_b32 v57, v51, v57
	v_cmp_le_u32_e32 vcc, v52, v10
	s_and_saveexec_b64 s[60:61], vcc
	s_cbranch_execz .LBB625_179
; %bb.198:                              ;   in Loop: Header=BB625_180 Depth=1
	v_cmp_eq_u16_e32 vcc, 0, v56
	s_waitcnt lgkmcnt(0)
	v_lshrrev_b32_e32 v11, 16, v57
	v_cndmask_b32_e32 v10, 1, v57, vcc
	v_mul_lo_u16_e32 v6, v10, v6
	v_and_b32_e32 v10, 1, v56
	v_cmp_eq_u32_e32 vcc, 1, v10
	s_nop 1
	v_cndmask_b32_e64 v11, v11, 1, vcc
	s_branch .LBB625_179
.LBB625_199:                            ;   in Loop: Header=BB625_180 Depth=1
                                        ; implicit-def: $vgpr10
                                        ; implicit-def: $vgpr6
	s_cbranch_execz .LBB625_180
; %bb.200:
	s_and_saveexec_b64 s[60:61], s[48:49]
	s_cbranch_execz .LBB625_202
; %bb.201:
	v_and_b32_e32 v3, 0xff0000, v2
	s_mov_b32 s3, 0
	v_cmp_eq_u32_e32 vcc, 0, v3
	v_and_b32_e32 v4, 0x10000, v2
	v_mov_b32_e32 v5, 1
	s_add_i32 s2, s2, 64
	v_cndmask_b32_e32 v3, 1, v53, vcc
	v_and_b32_sdwa v5, v50, v5 dst_sel:WORD_1 dst_unused:UNUSED_PAD src0_sel:DWORD src1_sel:DWORD
	v_mov_b32_e32 v6, 0x10000
	v_cmp_eq_u32_e32 vcc, 0, v4
	s_lshl_b64 s[2:3], s[2:3], 3
	s_add_u32 s2, s56, s2
	v_cndmask_b32_e32 v4, v6, v5, vcc
	v_mul_lo_u16_e32 v2, v3, v2
	s_addc_u32 s3, s57, s3
	v_mov_b32_e32 v5, 0
	v_or_b32_e32 v2, v4, v2
	v_mov_b32_e32 v3, 2
	global_store_dwordx2 v5, v[2:3], s[2:3] sc1
.LBB625_202:
	s_or_b64 exec, exec, s[60:61]
	v_cmp_eq_u32_e32 vcc, 0, v0
	s_and_b64 exec, exec, vcc
	s_cbranch_execz .LBB625_204
; %bb.203:
	v_mov_b32_e32 v2, 0
	ds_write_b16 v2, v53 offset:12
	ds_write_b8 v2, v50 offset:14
.LBB625_204:
	s_or_b64 exec, exec, s[52:53]
	v_mov_b32_e32 v2, 0
	s_waitcnt lgkmcnt(0)
	s_barrier
	ds_read_b32 v3, v2 offset:12
	v_lshrrev_b32_e32 v4, 16, v17
	v_cndmask_b32_e64 v4, v4, v16, s[48:49]
	v_cmp_eq_u16_sdwa vcc, v4, v2 src0_sel:BYTE_0 src1_sel:DWORD
	v_cndmask_b32_e64 v5, v17, v15, s[48:49]
	s_waitcnt lgkmcnt(0)
	v_cndmask_b32_e32 v2, 1, v3, vcc
	v_mul_lo_u16_e32 v2, v2, v5
	v_cmp_eq_u32_e32 vcc, 0, v0
	s_nop 1
	v_cndmask_b32_e32 v6, v2, v3, vcc
	v_and_b32_e32 v2, 0xff0000, v1
	v_cmp_eq_u32_e32 vcc, 0, v2
	s_nop 1
	v_cndmask_b32_e32 v2, 1, v6, vcc
	v_mul_lo_u16_e32 v4, v2, v1
	v_cndmask_b32_e64 v2, 1, v4, s[50:51]
	v_mul_lo_u16_e32 v5, v2, v18
	v_cndmask_b32_e64 v2, 1, v5, s[4:5]
	;; [unrolled: 2-line block ×22, first 2 shown]
	v_mul_lo_u16_e32 v53, v2, v40
	s_branch .LBB625_255
.LBB625_205:
	s_or_b64 exec, exec, s[52:53]
                                        ; implicit-def: $vgpr33
	s_and_saveexec_b64 s[52:53], s[50:51]
	s_cbranch_execz .LBB625_53
.LBB625_206:
	v_mov_b32_e32 v15, 0
	v_lshl_add_u64 v[34:35], s[70:71], 0, v[14:15]
	flat_load_ushort v33, v[34:35] offset:512
	s_or_b64 exec, exec, s[52:53]
                                        ; implicit-def: $vgpr34
	s_and_saveexec_b64 s[50:51], s[4:5]
	s_cbranch_execnz .LBB625_54
.LBB625_207:
	s_or_b64 exec, exec, s[50:51]
                                        ; implicit-def: $vgpr35
	s_and_saveexec_b64 s[4:5], s[6:7]
	s_cbranch_execz .LBB625_55
.LBB625_208:
	v_mov_b32_e32 v15, 0
	v_lshl_add_u64 v[36:37], s[70:71], 0, v[14:15]
	flat_load_ushort v35, v[36:37] offset:1536
	s_or_b64 exec, exec, s[4:5]
                                        ; implicit-def: $vgpr36
	s_and_saveexec_b64 s[4:5], s[8:9]
	s_cbranch_execnz .LBB625_56
.LBB625_209:
	s_or_b64 exec, exec, s[4:5]
                                        ; implicit-def: $vgpr37
	s_and_saveexec_b64 s[4:5], s[10:11]
	s_cbranch_execz .LBB625_57
.LBB625_210:
	v_mov_b32_e32 v15, 0
	v_lshl_add_u64 v[38:39], s[70:71], 0, v[14:15]
	flat_load_ushort v37, v[38:39] offset:2560
	s_or_b64 exec, exec, s[4:5]
                                        ; implicit-def: $vgpr38
	s_and_saveexec_b64 s[4:5], s[12:13]
	s_cbranch_execnz .LBB625_58
.LBB625_211:
	s_or_b64 exec, exec, s[4:5]
                                        ; implicit-def: $vgpr15
	s_and_saveexec_b64 s[4:5], s[14:15]
	s_cbranch_execz .LBB625_59
.LBB625_212:
	v_mov_b32_e32 v15, 0
	v_lshl_add_u64 v[40:41], s[70:71], 0, v[14:15]
	flat_load_ushort v15, v[40:41] offset:3584
	s_or_b64 exec, exec, s[4:5]
                                        ; implicit-def: $vgpr39
	s_and_saveexec_b64 s[4:5], s[16:17]
	s_cbranch_execnz .LBB625_60
.LBB625_213:
	s_or_b64 exec, exec, s[4:5]
                                        ; implicit-def: $vgpr1
	s_and_saveexec_b64 s[4:5], s[18:19]
	s_cbranch_execz .LBB625_61
.LBB625_214:
	v_lshlrev_b32_e32 v40, 1, v16
	v_mov_b32_e32 v41, 0
	v_lshl_add_u64 v[40:41], s[70:71], 0, v[40:41]
	flat_load_ushort v1, v[40:41]
	s_or_b64 exec, exec, s[4:5]
                                        ; implicit-def: $vgpr16
	s_and_saveexec_b64 s[4:5], s[20:21]
	s_cbranch_execnz .LBB625_62
.LBB625_215:
	s_or_b64 exec, exec, s[4:5]
                                        ; implicit-def: $vgpr17
	s_and_saveexec_b64 s[4:5], s[22:23]
	s_cbranch_execz .LBB625_63
.LBB625_216:
	v_lshlrev_b32_e32 v40, 1, v18
	v_mov_b32_e32 v41, 0
	v_lshl_add_u64 v[40:41], s[70:71], 0, v[40:41]
	flat_load_ushort v17, v[40:41]
	s_or_b64 exec, exec, s[4:5]
                                        ; implicit-def: $vgpr18
	s_and_saveexec_b64 s[4:5], s[24:25]
	s_cbranch_execnz .LBB625_64
.LBB625_217:
	s_or_b64 exec, exec, s[4:5]
                                        ; implicit-def: $vgpr19
	s_and_saveexec_b64 s[4:5], s[26:27]
	s_cbranch_execz .LBB625_65
.LBB625_218:
	v_lshlrev_b32_e32 v40, 1, v20
	v_mov_b32_e32 v41, 0
	v_lshl_add_u64 v[40:41], s[70:71], 0, v[40:41]
	flat_load_ushort v19, v[40:41]
	s_or_b64 exec, exec, s[4:5]
                                        ; implicit-def: $vgpr20
	s_and_saveexec_b64 s[4:5], s[28:29]
	s_cbranch_execnz .LBB625_66
.LBB625_219:
	s_or_b64 exec, exec, s[4:5]
                                        ; implicit-def: $vgpr21
	s_and_saveexec_b64 s[4:5], s[30:31]
	s_cbranch_execz .LBB625_67
.LBB625_220:
	v_lshlrev_b32_e32 v40, 1, v22
	v_mov_b32_e32 v41, 0
	v_lshl_add_u64 v[40:41], s[70:71], 0, v[40:41]
	flat_load_ushort v21, v[40:41]
	s_or_b64 exec, exec, s[4:5]
                                        ; implicit-def: $vgpr22
	s_and_saveexec_b64 s[4:5], s[34:35]
	s_cbranch_execnz .LBB625_68
.LBB625_221:
	s_or_b64 exec, exec, s[4:5]
                                        ; implicit-def: $vgpr23
	s_and_saveexec_b64 s[4:5], s[36:37]
	s_cbranch_execz .LBB625_69
.LBB625_222:
	v_lshlrev_b32_e32 v40, 1, v24
	v_mov_b32_e32 v41, 0
	v_lshl_add_u64 v[40:41], s[70:71], 0, v[40:41]
	flat_load_ushort v23, v[40:41]
	s_or_b64 exec, exec, s[4:5]
                                        ; implicit-def: $vgpr24
	s_and_saveexec_b64 s[4:5], s[38:39]
	s_cbranch_execnz .LBB625_70
.LBB625_223:
	s_or_b64 exec, exec, s[4:5]
                                        ; implicit-def: $vgpr25
	s_and_saveexec_b64 s[4:5], s[40:41]
	s_cbranch_execz .LBB625_71
.LBB625_224:
	v_lshlrev_b32_e32 v40, 1, v27
	v_mov_b32_e32 v41, 0
	v_lshl_add_u64 v[40:41], s[70:71], 0, v[40:41]
	flat_load_ushort v25, v[40:41]
	s_or_b64 exec, exec, s[4:5]
                                        ; implicit-def: $vgpr27
	s_and_saveexec_b64 s[4:5], s[42:43]
	s_cbranch_execnz .LBB625_72
.LBB625_225:
	s_or_b64 exec, exec, s[4:5]
                                        ; implicit-def: $vgpr28
	s_and_saveexec_b64 s[4:5], s[44:45]
	s_cbranch_execz .LBB625_73
.LBB625_226:
	v_lshlrev_b32_e32 v28, 1, v29
	v_mov_b32_e32 v29, 0
	v_lshl_add_u64 v[28:29], s[70:71], 0, v[28:29]
	flat_load_ushort v28, v[28:29]
	s_or_b64 exec, exec, s[4:5]
                                        ; implicit-def: $vgpr29
	s_and_saveexec_b64 s[4:5], s[46:47]
	s_cbranch_execz .LBB625_75
	s_branch .LBB625_74
.LBB625_227:
                                        ; implicit-def: $vgpr6
                                        ; implicit-def: $vgpr4
                                        ; implicit-def: $vgpr5
                                        ; implicit-def: $vgpr7
                                        ; implicit-def: $vgpr8
                                        ; implicit-def: $vgpr9
                                        ; implicit-def: $vgpr11
                                        ; implicit-def: $vgpr16
                                        ; implicit-def: $vgpr10
                                        ; implicit-def: $vgpr15
                                        ; implicit-def: $vgpr17
                                        ; implicit-def: $vgpr41
                                        ; implicit-def: $vgpr42
                                        ; implicit-def: $vgpr43
                                        ; implicit-def: $vgpr45
                                        ; implicit-def: $vgpr47
                                        ; implicit-def: $vgpr44
                                        ; implicit-def: $vgpr46
                                        ; implicit-def: $vgpr48
                                        ; implicit-def: $vgpr49
                                        ; implicit-def: $vgpr50
                                        ; implicit-def: $vgpr51
                                        ; implicit-def: $vgpr52
                                        ; implicit-def: $vgpr53
	s_cbranch_execz .LBB625_255
; %bb.228:
	s_cmp_lg_u64 s[68:69], 0
	s_cselect_b32 s3, s63, 0
	s_cselect_b32 s2, s62, 0
	s_cmp_eq_u64 s[2:3], 0
	v_mov_b32_e32 v2, s78
	s_cbranch_scc1 .LBB625_230
; %bb.229:
	v_mov_b32_e32 v2, 0
	global_load_ushort v2, v2, s[2:3]
.LBB625_230:
	s_mov_b32 s46, 0x10000
	v_cmp_gt_u32_e32 vcc, s46, v18
	v_cmp_gt_u32_e64 s[2:3], s46, v25
	v_cmp_gt_u32_e64 s[4:5], s46, v19
	v_cndmask_b32_e32 v3, 1, v1, vcc
	v_mul_lo_u16_e32 v3, v3, v18
	v_cndmask_b32_e64 v3, 1, v3, s[2:3]
	v_mul_lo_u16_e32 v3, v3, v25
	v_cndmask_b32_e64 v3, 1, v3, s[4:5]
	v_mul_lo_u16_e32 v3, v3, v19
	v_cmp_gt_u32_e64 s[6:7], s46, v27
	v_cmp_gt_u32_e64 s[8:9], s46, v20
	v_cmp_gt_u32_e64 s[10:11], s46, v28
	v_cndmask_b32_e64 v3, 1, v3, s[6:7]
	v_mul_lo_u16_e32 v3, v3, v27
	v_cndmask_b32_e64 v3, 1, v3, s[8:9]
	v_mul_lo_u16_e32 v3, v3, v20
	v_cndmask_b32_e64 v3, 1, v3, s[10:11]
	v_mul_lo_u16_e32 v3, v3, v28
	v_cmp_gt_u32_e64 s[12:13], s46, v21
	v_cmp_gt_u32_e64 s[14:15], s46, v29
	v_cmp_gt_u32_e64 s[16:17], s46, v30
	v_cndmask_b32_e64 v3, 1, v3, s[12:13]
	;; [unrolled: 9-line block ×5, first 2 shown]
	v_mul_lo_u16_e32 v3, v3, v37
	v_cndmask_b32_e64 v3, 1, v3, s[34:35]
	v_mul_lo_u16_e32 v3, v3, v22
	v_cndmask_b32_e64 v3, 1, v3, s[36:37]
	v_or3_b32 v6, v14, v38, v22
	v_mul_lo_u16_e32 v3, v3, v38
	v_cmp_gt_u32_e64 s[38:39], s46, v23
	v_or3_b32 v6, v6, v37, v36
	v_or3_b32 v6, v6, v35, v34
	v_cndmask_b32_e64 v3, 1, v3, s[38:39]
	v_mul_lo_u16_e32 v3, v3, v23
	v_cmp_gt_u32_e64 s[40:41], s46, v39
	v_or3_b32 v6, v6, v33, v32
	v_or3_b32 v6, v6, v31, v30
	v_cndmask_b32_e64 v3, 1, v3, s[40:41]
	;; [unrolled: 5-line block ×4, first 2 shown]
	v_mul_lo_u16_e32 v3, v3, v40
	v_cmp_gt_u32_e64 s[46:47], s46, v12
	v_and_b32_e32 v6, 0x10000, v6
	v_and_b32_e32 v5, 0x10000, v1
	v_cndmask_b32_e64 v3, 1, v3, s[46:47]
	v_mov_b32_e32 v7, 0x10000
	v_cmp_ne_u32_e64 s[46:47], 0, v6
	v_mul_lo_u16_e32 v4, v3, v12
	v_mul_lo_u16_e32 v6, v3, v12
	v_cndmask_b32_e64 v7, v5, v7, s[46:47]
	v_mbcnt_hi_u32_b32 v3, -1, v13
	v_and_b32_e32 v8, 15, v3
	v_or_b32_e32 v6, v7, v6
	v_lshrrev_b32_e32 v5, 16, v7
	v_cmp_ne_u32_e64 s[46:47], 0, v8
	v_mov_b32_dpp v9, v6 row_shr:1 row_mask:0xf bank_mask:0xf
	s_and_saveexec_b64 s[48:49], s[46:47]
	s_cbranch_execz .LBB625_232
; %bb.231:
	v_cmp_eq_u32_e64 s[46:47], 0, v7
	v_and_b32_e32 v5, 0x10000, v7
	v_mov_b32_e32 v7, 1
	v_cndmask_b32_e64 v6, 1, v9, s[46:47]
	v_and_b32_sdwa v7, v9, v7 dst_sel:DWORD dst_unused:UNUSED_PAD src0_sel:WORD_1 src1_sel:DWORD
	v_cmp_ne_u32_e64 s[46:47], 0, v5
	v_mul_lo_u16_e32 v10, v6, v4
	v_mul_lo_u16_e32 v4, v6, v4
	v_cndmask_b32_e64 v5, v7, 1, s[46:47]
	v_lshlrev_b32_e32 v7, 16, v5
	v_or_b32_e32 v6, v7, v4
	v_mov_b32_e32 v4, v10
.LBB625_232:
	s_or_b64 exec, exec, s[48:49]
	v_lshrrev_b32_e32 v7, 16, v6
	v_mov_b32_dpp v9, v6 row_shr:2 row_mask:0xf bank_mask:0xf
	v_cmp_lt_u32_e64 s[46:47], 1, v8
	s_and_saveexec_b64 s[48:49], s[46:47]
	s_cbranch_execz .LBB625_234
; %bb.233:
	s_mov_b32 s46, 0x10000
	v_cmp_gt_u32_e64 s[46:47], s46, v6
	v_and_b32_e32 v5, 0x10000, v6
	v_mov_b32_e32 v6, 1
	v_cndmask_b32_e64 v7, 1, v9, s[46:47]
	v_and_b32_sdwa v6, v9, v6 dst_sel:DWORD dst_unused:UNUSED_PAD src0_sel:WORD_1 src1_sel:DWORD
	v_cmp_ne_u32_e64 s[46:47], 0, v5
	v_mul_lo_u16_e32 v10, v7, v4
	v_mul_lo_u16_e32 v4, v7, v4
	v_cndmask_b32_e64 v5, v6, 1, s[46:47]
	v_lshlrev_b32_e32 v6, 16, v5
	v_or_b32_e32 v6, v6, v4
	v_mov_b32_e32 v7, v5
	v_mov_b32_e32 v4, v10
.LBB625_234:
	s_or_b64 exec, exec, s[48:49]
	v_mov_b32_dpp v9, v6 row_shr:4 row_mask:0xf bank_mask:0xf
	v_cmp_lt_u32_e64 s[46:47], 3, v8
	s_and_saveexec_b64 s[48:49], s[46:47]
	s_cbranch_execz .LBB625_236
; %bb.235:
	v_cmp_eq_u16_e64 s[46:47], 0, v7
	v_and_b32_e32 v5, 1, v7
	v_mov_b32_e32 v7, 1
	v_cndmask_b32_e64 v6, 1, v9, s[46:47]
	v_and_b32_sdwa v7, v9, v7 dst_sel:DWORD dst_unused:UNUSED_PAD src0_sel:WORD_1 src1_sel:DWORD
	v_cmp_eq_u32_e64 s[46:47], 1, v5
	v_mul_lo_u16_e32 v10, v6, v4
	v_mul_lo_u16_e32 v4, v6, v4
	v_cndmask_b32_e64 v5, v7, 1, s[46:47]
	v_lshlrev_b32_e32 v7, 16, v5
	v_or_b32_e32 v6, v7, v4
	v_mov_b32_e32 v7, v5
	v_mov_b32_e32 v4, v10
.LBB625_236:
	s_or_b64 exec, exec, s[48:49]
	v_mov_b32_dpp v9, v6 row_shr:8 row_mask:0xf bank_mask:0xf
	v_cmp_lt_u32_e64 s[46:47], 7, v8
	s_and_saveexec_b64 s[48:49], s[46:47]
	s_cbranch_execz .LBB625_238
; %bb.237:
	v_cmp_eq_u16_e64 s[46:47], 0, v7
	v_and_b32_e32 v5, 1, v7
	v_mov_b32_e32 v7, 1
	v_cndmask_b32_e64 v6, 1, v9, s[46:47]
	v_and_b32_sdwa v7, v9, v7 dst_sel:DWORD dst_unused:UNUSED_PAD src0_sel:WORD_1 src1_sel:DWORD
	v_cmp_eq_u32_e64 s[46:47], 1, v5
	v_mul_lo_u16_e32 v8, v6, v4
	v_mul_lo_u16_e32 v4, v6, v4
	v_cndmask_b32_e64 v5, v7, 1, s[46:47]
	v_lshlrev_b32_e32 v7, 16, v5
	v_or_b32_e32 v6, v7, v4
	v_mov_b32_e32 v7, v5
	v_mov_b32_e32 v4, v8
.LBB625_238:
	s_or_b64 exec, exec, s[48:49]
	v_and_b32_e32 v9, 16, v3
	v_mov_b32_dpp v8, v6 row_bcast:15 row_mask:0xf bank_mask:0xf
	v_cmp_ne_u32_e64 s[46:47], 0, v9
	s_and_saveexec_b64 s[48:49], s[46:47]
	s_cbranch_execz .LBB625_240
; %bb.239:
	v_cmp_eq_u16_e64 s[46:47], 0, v7
	v_and_b32_e32 v5, 1, v7
	v_mov_b32_e32 v7, 1
	v_cndmask_b32_e64 v6, 1, v8, s[46:47]
	v_and_b32_sdwa v7, v8, v7 dst_sel:DWORD dst_unused:UNUSED_PAD src0_sel:WORD_1 src1_sel:DWORD
	v_cmp_eq_u32_e64 s[46:47], 1, v5
	v_mul_lo_u16_e32 v9, v6, v4
	v_mul_lo_u16_e32 v4, v6, v4
	v_cndmask_b32_e64 v5, v7, 1, s[46:47]
	v_lshlrev_b32_e32 v7, 16, v5
	v_or_b32_e32 v6, v7, v4
	v_mov_b32_e32 v7, v5
	v_mov_b32_e32 v4, v9
.LBB625_240:
	s_or_b64 exec, exec, s[48:49]
	v_mov_b32_dpp v6, v6 row_bcast:31 row_mask:0xf bank_mask:0xf
	v_cmp_lt_u32_e64 s[46:47], 31, v3
	s_and_saveexec_b64 s[48:49], s[46:47]
; %bb.241:
	v_cmp_eq_u16_e64 s[46:47], 0, v7
	s_nop 1
	v_cndmask_b32_e64 v5, 1, v6, s[46:47]
	v_mul_lo_u16_e32 v4, v5, v4
	v_and_b32_e32 v5, 1, v7
	v_mov_b32_e32 v7, 1
	v_and_b32_sdwa v6, v6, v7 dst_sel:DWORD dst_unused:UNUSED_PAD src0_sel:WORD_1 src1_sel:DWORD
	v_cmp_eq_u32_e64 s[46:47], 1, v5
	s_nop 1
	v_cndmask_b32_e64 v5, v6, 1, s[46:47]
; %bb.242:
	s_or_b64 exec, exec, s[48:49]
	v_or_b32_e32 v7, 63, v0
	v_lshrrev_b32_e32 v6, 6, v0
	v_cmp_eq_u32_e64 s[46:47], v7, v0
	s_and_saveexec_b64 s[48:49], s[46:47]
	s_cbranch_execz .LBB625_244
; %bb.243:
	v_lshlrev_b32_e32 v7, 2, v6
	ds_write_b16 v7, v4
	ds_write_b8 v7, v5 offset:2
.LBB625_244:
	s_or_b64 exec, exec, s[48:49]
	v_cmp_gt_u32_e64 s[46:47], 4, v0
	s_waitcnt lgkmcnt(0)
	s_barrier
	s_and_saveexec_b64 s[48:49], s[46:47]
	s_cbranch_execz .LBB625_250
; %bb.245:
	v_lshlrev_b32_e32 v7, 2, v0
	ds_read_b32 v8, v7
	v_and_b32_e32 v11, 3, v3
	v_cmp_ne_u32_e64 s[46:47], 0, v11
	s_waitcnt lgkmcnt(0)
	v_lshrrev_b32_e32 v10, 16, v8
	v_mov_b32_dpp v12, v8 row_shr:1 row_mask:0xf bank_mask:0xf
	v_mov_b32_e32 v9, v8
	s_and_saveexec_b64 s[50:51], s[46:47]
	s_cbranch_execz .LBB625_247
; %bb.246:
	v_mov_b32_e32 v9, 0
	v_cmp_eq_u16_sdwa s[46:47], v10, v9 src0_sel:BYTE_0 src1_sel:DWORD
	v_and_b32_e32 v10, 0x10000, v8
	v_mov_b32_e32 v15, 1
	v_cndmask_b32_e64 v14, 1, v12, s[46:47]
	v_and_b32_sdwa v12, v12, v15 dst_sel:DWORD dst_unused:UNUSED_PAD src0_sel:WORD_1 src1_sel:DWORD
	v_cmp_ne_u32_e64 s[46:47], 0, v10
	v_and_b32_e32 v13, 0xff000000, v8
	v_mul_lo_u16_e32 v9, v14, v8
	v_cndmask_b32_e64 v10, v12, 1, s[46:47]
	v_lshlrev_b32_e32 v12, 16, v10
	v_mul_lo_u16_e32 v8, v14, v8
	v_or3_b32 v8, v12, v13, v8
.LBB625_247:
	s_or_b64 exec, exec, s[50:51]
	s_nop 0
	v_mov_b32_dpp v12, v8 row_shr:2 row_mask:0xf bank_mask:0xf
	v_cmp_lt_u32_e64 s[46:47], 1, v11
	s_and_saveexec_b64 s[50:51], s[46:47]
; %bb.248:
	v_and_b32_e32 v10, 0xff0000, v8
	v_cmp_eq_u32_e64 s[46:47], 0, v10
	v_and_b32_e32 v8, 0x10000, v8
	s_nop 0
	v_cndmask_b32_e64 v10, 1, v12, s[46:47]
	v_mul_lo_u16_e32 v9, v10, v9
	v_mov_b32_e32 v10, 1
	v_and_b32_sdwa v10, v12, v10 dst_sel:DWORD dst_unused:UNUSED_PAD src0_sel:WORD_1 src1_sel:DWORD
	v_cmp_eq_u32_e64 s[46:47], 0, v8
	s_nop 1
	v_cndmask_b32_e64 v10, 1, v10, s[46:47]
; %bb.249:
	s_or_b64 exec, exec, s[50:51]
	ds_write_b16 v7, v9
	ds_write_b8 v7, v10 offset:2
.LBB625_250:
	s_or_b64 exec, exec, s[48:49]
	v_cmp_lt_u32_e64 s[46:47], 63, v0
	v_mov_b32_e32 v8, 0
	s_waitcnt vmcnt(0)
	v_mov_b32_e32 v7, v2
	s_waitcnt lgkmcnt(0)
	s_barrier
	s_and_saveexec_b64 s[48:49], s[46:47]
	s_cbranch_execz .LBB625_252
; %bb.251:
	v_lshl_add_u32 v6, v6, 2, -4
	ds_read_u8 v8, v6 offset:2
	ds_read_u16 v6, v6
	s_waitcnt lgkmcnt(1)
	v_cmp_eq_u16_e64 s[46:47], 0, v8
	s_nop 1
	v_cndmask_b32_e64 v7, 1, v2, s[46:47]
	s_waitcnt lgkmcnt(0)
	v_mul_lo_u16_e32 v7, v7, v6
.LBB625_252:
	s_or_b64 exec, exec, s[48:49]
	v_cmp_eq_u16_e64 s[46:47], 0, v5
	v_and_b32_e32 v5, 1, v5
	v_lshlrev_b32_e32 v8, 16, v8
	v_cndmask_b32_e64 v6, 1, v7, s[46:47]
	v_mov_b32_e32 v9, 0x10000
	v_cmp_eq_u32_e64 s[46:47], 1, v5
	v_mul_lo_u16_e32 v4, v6, v4
	v_and_b32_e32 v6, 64, v3
	v_cndmask_b32_e64 v5, v8, v9, s[46:47]
	v_or_b32_e32 v4, v5, v4
	v_add_u32_e32 v5, -1, v3
	v_cmp_lt_i32_e64 s[46:47], v5, v6
	s_nop 1
	v_cndmask_b32_e64 v5, v5, v3, s[46:47]
	v_lshlrev_b32_e32 v5, 2, v5
	ds_bpermute_b32 v4, v5, v4
	v_cmp_eq_u32_e64 s[46:47], 0, v3
	s_waitcnt lgkmcnt(0)
	s_nop 0
	v_cndmask_b32_e64 v6, v4, v7, s[46:47]
	v_cmp_eq_u32_e64 s[46:47], 0, v0
	v_and_b32_e32 v4, 0xff0000, v1
	v_cmp_eq_u32_e64 s[48:49], 0, v4
	v_cndmask_b32_e64 v3, v6, v2, s[46:47]
	s_nop 0
	v_cndmask_b32_e64 v3, 1, v3, s[48:49]
	v_mul_lo_u16_e32 v4, v3, v1
	v_cndmask_b32_e32 v1, 1, v4, vcc
	v_mul_lo_u16_e32 v5, v1, v18
	v_cndmask_b32_e64 v1, 1, v5, s[2:3]
	v_mul_lo_u16_e32 v7, v1, v25
	v_cndmask_b32_e64 v1, 1, v7, s[4:5]
	;; [unrolled: 2-line block ×21, first 2 shown]
	s_and_saveexec_b64 s[2:3], s[46:47]
	s_cbranch_execz .LBB625_254
; %bb.253:
	v_mov_b32_e32 v3, 0
	ds_read_u8 v6, v3 offset:14
	ds_read_u16 v12, v3 offset:12
	v_mov_b32_e32 v13, 2
	s_waitcnt lgkmcnt(1)
	v_cmp_eq_u32_e32 vcc, 0, v6
	v_lshlrev_b32_e32 v14, 16, v6
	s_nop 0
	v_cndmask_b32_e32 v6, 1, v2, vcc
	s_waitcnt lgkmcnt(0)
	v_mul_lo_u32 v6, v6, v12
	v_or_b32_sdwa v12, v14, v6 dst_sel:DWORD dst_unused:UNUSED_PAD src0_sel:DWORD src1_sel:WORD_0
	v_mov_b32_e32 v6, v2
	global_store_dwordx2 v3, v[12:13], s[56:57] offset:512 sc1
.LBB625_254:
	s_or_b64 exec, exec, s[2:3]
	v_mul_lo_u16_e32 v53, v1, v40
.LBB625_255:
	s_add_u32 s2, s54, s64
	s_addc_u32 s3, s55, s65
	s_add_u32 s2, s2, s66
	v_mul_u32_u24_e32 v1, 24, v0
	s_addc_u32 s3, s3, s67
	s_and_b64 vcc, exec, s[0:1]
	v_lshlrev_b32_e32 v12, 1, v1
	s_cbranch_vccz .LBB625_303
; %bb.256:
	s_mov_b32 s0, 0x5040100
	v_perm_b32 v21, v16, v11, s0
	v_perm_b32 v20, v9, v8, s0
	;; [unrolled: 1-line block ×4, first 2 shown]
	s_barrier
	ds_write_b128 v12, v[18:21]
	v_perm_b32 v21, v47, v45, s0
	v_perm_b32 v20, v43, v42, s0
	;; [unrolled: 1-line block ×4, first 2 shown]
	ds_write_b128 v12, v[18:21] offset:16
	v_perm_b32 v21, v53, v52, s0
	v_perm_b32 v20, v51, v50, s0
	;; [unrolled: 1-line block ×4, first 2 shown]
	s_movk_i32 s0, 0xffd2
	v_mad_i32_i24 v2, v0, s0, v12
	ds_write_b128 v12, v[18:21] offset:32
	s_waitcnt lgkmcnt(0)
	s_barrier
	ds_read_u16 v39, v2 offset:512
	ds_read_u16 v38, v2 offset:1024
	ds_read_u16 v37, v2 offset:1536
	ds_read_u16 v36, v2 offset:2048
	ds_read_u16 v35, v2 offset:2560
	ds_read_u16 v34, v2 offset:3072
	ds_read_u16 v33, v2 offset:3584
	ds_read_u16 v32, v2 offset:4096
	ds_read_u16 v31, v2 offset:4608
	ds_read_u16 v30, v2 offset:5120
	ds_read_u16 v29, v2 offset:5632
	ds_read_u16 v28, v2 offset:6144
	ds_read_u16 v25, v2 offset:6656
	ds_read_u16 v24, v2 offset:7168
	ds_read_u16 v23, v2 offset:7680
	ds_read_u16 v22, v2 offset:8192
	ds_read_u16 v21, v2 offset:8704
	ds_read_u16 v20, v2 offset:9216
	ds_read_u16 v19, v2 offset:9728
	ds_read_u16 v18, v2 offset:10240
	ds_read_u16 v14, v2 offset:10752
	ds_read_u16 v1, v2 offset:11264
	ds_read_u16 v13, v2 offset:11776
	s_add_i32 s33, s33, s58
	v_mov_b32_e32 v27, 0
	v_lshl_add_u64 v[2:3], s[2:3], 0, v[26:27]
	v_cmp_gt_u32_e32 vcc, s33, v0
	s_and_saveexec_b64 s[0:1], vcc
	s_cbranch_execz .LBB625_258
; %bb.257:
	v_mul_i32_i24_e32 v40, 0xffffffd2, v0
	v_add_u32_e32 v40, v12, v40
	ds_read_u16 v40, v40
	s_waitcnt lgkmcnt(0)
	flat_store_short v[2:3], v40
.LBB625_258:
	s_or_b64 exec, exec, s[0:1]
	v_or_b32_e32 v40, 0x100, v0
	v_cmp_gt_u32_e32 vcc, s33, v40
	s_and_saveexec_b64 s[0:1], vcc
	s_cbranch_execz .LBB625_260
; %bb.259:
	s_waitcnt lgkmcnt(0)
	flat_store_short v[2:3], v39 offset:512
.LBB625_260:
	s_or_b64 exec, exec, s[0:1]
	s_waitcnt lgkmcnt(0)
	v_or_b32_e32 v39, 0x200, v0
	v_cmp_gt_u32_e32 vcc, s33, v39
	s_and_saveexec_b64 s[0:1], vcc
	s_cbranch_execz .LBB625_262
; %bb.261:
	flat_store_short v[2:3], v38 offset:1024
.LBB625_262:
	s_or_b64 exec, exec, s[0:1]
	v_or_b32_e32 v38, 0x300, v0
	v_cmp_gt_u32_e32 vcc, s33, v38
	s_and_saveexec_b64 s[0:1], vcc
	s_cbranch_execz .LBB625_264
; %bb.263:
	flat_store_short v[2:3], v37 offset:1536
.LBB625_264:
	s_or_b64 exec, exec, s[0:1]
	;; [unrolled: 8-line block ×6, first 2 shown]
	v_or_b32_e32 v33, 0x800, v0
	v_cmp_gt_u32_e32 vcc, s33, v33
	s_and_saveexec_b64 s[0:1], vcc
	s_cbranch_execz .LBB625_274
; %bb.273:
	v_add_co_u32_e32 v34, vcc, 0x1000, v2
	s_nop 1
	v_addc_co_u32_e32 v35, vcc, 0, v3, vcc
	flat_store_short v[34:35], v32
.LBB625_274:
	s_or_b64 exec, exec, s[0:1]
	v_or_b32_e32 v32, 0x900, v0
	v_cmp_gt_u32_e32 vcc, s33, v32
	s_and_saveexec_b64 s[0:1], vcc
	s_cbranch_execz .LBB625_276
; %bb.275:
	v_add_co_u32_e32 v32, vcc, 0x1000, v2
	s_nop 1
	v_addc_co_u32_e32 v33, vcc, 0, v3, vcc
	flat_store_short v[32:33], v31 offset:512
.LBB625_276:
	s_or_b64 exec, exec, s[0:1]
	v_or_b32_e32 v31, 0xa00, v0
	v_cmp_gt_u32_e32 vcc, s33, v31
	s_and_saveexec_b64 s[0:1], vcc
	s_cbranch_execz .LBB625_278
; %bb.277:
	v_add_co_u32_e32 v32, vcc, 0x1000, v2
	s_nop 1
	v_addc_co_u32_e32 v33, vcc, 0, v3, vcc
	flat_store_short v[32:33], v30 offset:1024
.LBB625_278:
	;; [unrolled: 11-line block ×7, first 2 shown]
	s_or_b64 exec, exec, s[0:1]
	v_or_b32_e32 v23, 0x1000, v0
	v_cmp_gt_u32_e32 vcc, s33, v23
	s_and_saveexec_b64 s[0:1], vcc
	s_cbranch_execz .LBB625_290
; %bb.289:
	v_add_co_u32_e32 v24, vcc, 0x2000, v2
	s_nop 1
	v_addc_co_u32_e32 v25, vcc, 0, v3, vcc
	flat_store_short v[24:25], v22
.LBB625_290:
	s_or_b64 exec, exec, s[0:1]
	v_or_b32_e32 v22, 0x1100, v0
	v_cmp_gt_u32_e32 vcc, s33, v22
	s_and_saveexec_b64 s[0:1], vcc
	s_cbranch_execz .LBB625_292
; %bb.291:
	v_add_co_u32_e32 v22, vcc, 0x2000, v2
	s_nop 1
	v_addc_co_u32_e32 v23, vcc, 0, v3, vcc
	flat_store_short v[22:23], v21 offset:512
.LBB625_292:
	s_or_b64 exec, exec, s[0:1]
	v_or_b32_e32 v21, 0x1200, v0
	v_cmp_gt_u32_e32 vcc, s33, v21
	s_and_saveexec_b64 s[0:1], vcc
	s_cbranch_execz .LBB625_294
; %bb.293:
	v_add_co_u32_e32 v22, vcc, 0x2000, v2
	s_nop 1
	v_addc_co_u32_e32 v23, vcc, 0, v3, vcc
	flat_store_short v[22:23], v20 offset:1024
.LBB625_294:
	;; [unrolled: 11-line block ×6, first 2 shown]
	s_or_b64 exec, exec, s[0:1]
	v_or_b32_e32 v2, 0x1700, v0
	v_mov_b32_e32 v1, v27
	v_cmp_gt_u32_e64 s[0:1], s33, v2
	s_branch .LBB625_305
.LBB625_303:
	s_mov_b64 s[0:1], 0
                                        ; implicit-def: $vgpr13
	s_cbranch_execz .LBB625_305
; %bb.304:
	s_mov_b32 s4, 0x5040100
	v_perm_b32 v19, v7, v5, s4
	v_perm_b32 v18, v4, v6, s4
	v_perm_b32 v5, v47, v45, s4
	v_perm_b32 v4, v43, v42, s4
	v_perm_b32 v3, v41, v17, s4
	v_perm_b32 v2, v15, v10, s4
	s_waitcnt lgkmcnt(0)
	s_barrier
	v_perm_b32 v21, v16, v11, s4
	v_perm_b32 v20, v9, v8, s4
	ds_write_b128 v12, v[2:5] offset:16
	v_perm_b32 v5, v53, v52, s4
	v_perm_b32 v4, v51, v50, s4
	;; [unrolled: 1-line block ×4, first 2 shown]
	v_mov_b32_e32 v1, 0
	s_movk_i32 s4, 0xffd2
	ds_write_b128 v12, v[2:5] offset:32
	v_mad_i32_i24 v2, v0, s4, v12
	v_mov_b32_e32 v27, v1
	ds_write_b128 v12, v[18:21]
	s_waitcnt lgkmcnt(0)
	s_barrier
	ds_read_u16 v4, v2
	ds_read_u16 v5, v2 offset:512
	ds_read_u16 v6, v2 offset:1024
	;; [unrolled: 1-line block ×23, first 2 shown]
	v_lshl_add_u64 v[2:3], s[2:3], 0, v[26:27]
	s_movk_i32 s4, 0x1000
	s_waitcnt lgkmcnt(0)
	flat_store_short v[2:3], v4
	flat_store_short v[2:3], v5 offset:512
	flat_store_short v[2:3], v6 offset:1024
	;; [unrolled: 1-line block ×7, first 2 shown]
	v_add_co_u32_e32 v4, vcc, s4, v2
	s_or_b64 s[0:1], s[0:1], exec
	s_nop 0
	v_addc_co_u32_e32 v5, vcc, 0, v3, vcc
	v_add_co_u32_e32 v2, vcc, 0x2000, v2
	flat_store_short v[4:5], v12
	flat_store_short v[4:5], v14 offset:512
	flat_store_short v[4:5], v15 offset:1024
	;; [unrolled: 1-line block ×7, first 2 shown]
	v_addc_co_u32_e32 v3, vcc, 0, v3, vcc
	flat_store_short v[2:3], v21
	flat_store_short v[2:3], v22 offset:512
	flat_store_short v[2:3], v23 offset:1024
	;; [unrolled: 1-line block ×6, first 2 shown]
.LBB625_305:
	s_and_saveexec_b64 s[4:5], s[0:1]
	s_cbranch_execz .LBB625_307
; %bb.306:
	v_lshl_add_u64 v[0:1], v[0:1], 1, s[2:3]
	v_add_co_u32_e32 v0, vcc, 0x2000, v0
	s_nop 1
	v_addc_co_u32_e32 v1, vcc, 0, v1, vcc
	flat_store_short v[0:1], v13 offset:3584
	s_endpgm
.LBB625_307:
	s_endpgm
	.section	.rodata,"a",@progbits
	.p2align	6, 0x0
	.amdhsa_kernel _ZN7rocprim17ROCPRIM_400000_NS6detail17trampoline_kernelINS0_14default_configENS1_27scan_by_key_config_selectorIssEEZZNS1_16scan_by_key_implILNS1_25lookback_scan_determinismE0ELb1ES3_N6thrust23THRUST_200600_302600_NS6detail15normal_iteratorINS9_10device_ptrIsEEEESE_SE_sNS9_10multipliesIsEENS9_8equal_toIsEEsEE10hipError_tPvRmT2_T3_T4_T5_mT6_T7_P12ihipStream_tbENKUlT_T0_E_clISt17integral_constantIbLb1EESY_IbLb0EEEEDaSU_SV_EUlSU_E_NS1_11comp_targetILNS1_3genE5ELNS1_11target_archE942ELNS1_3gpuE9ELNS1_3repE0EEENS1_30default_config_static_selectorELNS0_4arch9wavefront6targetE1EEEvT1_
		.amdhsa_group_segment_fixed_size 13312
		.amdhsa_private_segment_fixed_size 0
		.amdhsa_kernarg_size 112
		.amdhsa_user_sgpr_count 2
		.amdhsa_user_sgpr_dispatch_ptr 0
		.amdhsa_user_sgpr_queue_ptr 0
		.amdhsa_user_sgpr_kernarg_segment_ptr 1
		.amdhsa_user_sgpr_dispatch_id 0
		.amdhsa_user_sgpr_kernarg_preload_length 0
		.amdhsa_user_sgpr_kernarg_preload_offset 0
		.amdhsa_user_sgpr_private_segment_size 0
		.amdhsa_uses_dynamic_stack 0
		.amdhsa_enable_private_segment 0
		.amdhsa_system_sgpr_workgroup_id_x 1
		.amdhsa_system_sgpr_workgroup_id_y 0
		.amdhsa_system_sgpr_workgroup_id_z 0
		.amdhsa_system_sgpr_workgroup_info 0
		.amdhsa_system_vgpr_workitem_id 0
		.amdhsa_next_free_vgpr 60
		.amdhsa_next_free_sgpr 79
		.amdhsa_accum_offset 60
		.amdhsa_reserve_vcc 1
		.amdhsa_float_round_mode_32 0
		.amdhsa_float_round_mode_16_64 0
		.amdhsa_float_denorm_mode_32 3
		.amdhsa_float_denorm_mode_16_64 3
		.amdhsa_dx10_clamp 1
		.amdhsa_ieee_mode 1
		.amdhsa_fp16_overflow 0
		.amdhsa_tg_split 0
		.amdhsa_exception_fp_ieee_invalid_op 0
		.amdhsa_exception_fp_denorm_src 0
		.amdhsa_exception_fp_ieee_div_zero 0
		.amdhsa_exception_fp_ieee_overflow 0
		.amdhsa_exception_fp_ieee_underflow 0
		.amdhsa_exception_fp_ieee_inexact 0
		.amdhsa_exception_int_div_zero 0
	.end_amdhsa_kernel
	.section	.text._ZN7rocprim17ROCPRIM_400000_NS6detail17trampoline_kernelINS0_14default_configENS1_27scan_by_key_config_selectorIssEEZZNS1_16scan_by_key_implILNS1_25lookback_scan_determinismE0ELb1ES3_N6thrust23THRUST_200600_302600_NS6detail15normal_iteratorINS9_10device_ptrIsEEEESE_SE_sNS9_10multipliesIsEENS9_8equal_toIsEEsEE10hipError_tPvRmT2_T3_T4_T5_mT6_T7_P12ihipStream_tbENKUlT_T0_E_clISt17integral_constantIbLb1EESY_IbLb0EEEEDaSU_SV_EUlSU_E_NS1_11comp_targetILNS1_3genE5ELNS1_11target_archE942ELNS1_3gpuE9ELNS1_3repE0EEENS1_30default_config_static_selectorELNS0_4arch9wavefront6targetE1EEEvT1_,"axG",@progbits,_ZN7rocprim17ROCPRIM_400000_NS6detail17trampoline_kernelINS0_14default_configENS1_27scan_by_key_config_selectorIssEEZZNS1_16scan_by_key_implILNS1_25lookback_scan_determinismE0ELb1ES3_N6thrust23THRUST_200600_302600_NS6detail15normal_iteratorINS9_10device_ptrIsEEEESE_SE_sNS9_10multipliesIsEENS9_8equal_toIsEEsEE10hipError_tPvRmT2_T3_T4_T5_mT6_T7_P12ihipStream_tbENKUlT_T0_E_clISt17integral_constantIbLb1EESY_IbLb0EEEEDaSU_SV_EUlSU_E_NS1_11comp_targetILNS1_3genE5ELNS1_11target_archE942ELNS1_3gpuE9ELNS1_3repE0EEENS1_30default_config_static_selectorELNS0_4arch9wavefront6targetE1EEEvT1_,comdat
.Lfunc_end625:
	.size	_ZN7rocprim17ROCPRIM_400000_NS6detail17trampoline_kernelINS0_14default_configENS1_27scan_by_key_config_selectorIssEEZZNS1_16scan_by_key_implILNS1_25lookback_scan_determinismE0ELb1ES3_N6thrust23THRUST_200600_302600_NS6detail15normal_iteratorINS9_10device_ptrIsEEEESE_SE_sNS9_10multipliesIsEENS9_8equal_toIsEEsEE10hipError_tPvRmT2_T3_T4_T5_mT6_T7_P12ihipStream_tbENKUlT_T0_E_clISt17integral_constantIbLb1EESY_IbLb0EEEEDaSU_SV_EUlSU_E_NS1_11comp_targetILNS1_3genE5ELNS1_11target_archE942ELNS1_3gpuE9ELNS1_3repE0EEENS1_30default_config_static_selectorELNS0_4arch9wavefront6targetE1EEEvT1_, .Lfunc_end625-_ZN7rocprim17ROCPRIM_400000_NS6detail17trampoline_kernelINS0_14default_configENS1_27scan_by_key_config_selectorIssEEZZNS1_16scan_by_key_implILNS1_25lookback_scan_determinismE0ELb1ES3_N6thrust23THRUST_200600_302600_NS6detail15normal_iteratorINS9_10device_ptrIsEEEESE_SE_sNS9_10multipliesIsEENS9_8equal_toIsEEsEE10hipError_tPvRmT2_T3_T4_T5_mT6_T7_P12ihipStream_tbENKUlT_T0_E_clISt17integral_constantIbLb1EESY_IbLb0EEEEDaSU_SV_EUlSU_E_NS1_11comp_targetILNS1_3genE5ELNS1_11target_archE942ELNS1_3gpuE9ELNS1_3repE0EEENS1_30default_config_static_selectorELNS0_4arch9wavefront6targetE1EEEvT1_
                                        ; -- End function
	.section	.AMDGPU.csdata,"",@progbits
; Kernel info:
; codeLenInByte = 16548
; NumSgprs: 85
; NumVgprs: 60
; NumAgprs: 0
; TotalNumVgprs: 60
; ScratchSize: 0
; MemoryBound: 0
; FloatMode: 240
; IeeeMode: 1
; LDSByteSize: 13312 bytes/workgroup (compile time only)
; SGPRBlocks: 10
; VGPRBlocks: 7
; NumSGPRsForWavesPerEU: 85
; NumVGPRsForWavesPerEU: 60
; AccumOffset: 60
; Occupancy: 4
; WaveLimiterHint : 1
; COMPUTE_PGM_RSRC2:SCRATCH_EN: 0
; COMPUTE_PGM_RSRC2:USER_SGPR: 2
; COMPUTE_PGM_RSRC2:TRAP_HANDLER: 0
; COMPUTE_PGM_RSRC2:TGID_X_EN: 1
; COMPUTE_PGM_RSRC2:TGID_Y_EN: 0
; COMPUTE_PGM_RSRC2:TGID_Z_EN: 0
; COMPUTE_PGM_RSRC2:TIDIG_COMP_CNT: 0
; COMPUTE_PGM_RSRC3_GFX90A:ACCUM_OFFSET: 14
; COMPUTE_PGM_RSRC3_GFX90A:TG_SPLIT: 0
	.section	.text._ZN7rocprim17ROCPRIM_400000_NS6detail17trampoline_kernelINS0_14default_configENS1_27scan_by_key_config_selectorIssEEZZNS1_16scan_by_key_implILNS1_25lookback_scan_determinismE0ELb1ES3_N6thrust23THRUST_200600_302600_NS6detail15normal_iteratorINS9_10device_ptrIsEEEESE_SE_sNS9_10multipliesIsEENS9_8equal_toIsEEsEE10hipError_tPvRmT2_T3_T4_T5_mT6_T7_P12ihipStream_tbENKUlT_T0_E_clISt17integral_constantIbLb1EESY_IbLb0EEEEDaSU_SV_EUlSU_E_NS1_11comp_targetILNS1_3genE4ELNS1_11target_archE910ELNS1_3gpuE8ELNS1_3repE0EEENS1_30default_config_static_selectorELNS0_4arch9wavefront6targetE1EEEvT1_,"axG",@progbits,_ZN7rocprim17ROCPRIM_400000_NS6detail17trampoline_kernelINS0_14default_configENS1_27scan_by_key_config_selectorIssEEZZNS1_16scan_by_key_implILNS1_25lookback_scan_determinismE0ELb1ES3_N6thrust23THRUST_200600_302600_NS6detail15normal_iteratorINS9_10device_ptrIsEEEESE_SE_sNS9_10multipliesIsEENS9_8equal_toIsEEsEE10hipError_tPvRmT2_T3_T4_T5_mT6_T7_P12ihipStream_tbENKUlT_T0_E_clISt17integral_constantIbLb1EESY_IbLb0EEEEDaSU_SV_EUlSU_E_NS1_11comp_targetILNS1_3genE4ELNS1_11target_archE910ELNS1_3gpuE8ELNS1_3repE0EEENS1_30default_config_static_selectorELNS0_4arch9wavefront6targetE1EEEvT1_,comdat
	.protected	_ZN7rocprim17ROCPRIM_400000_NS6detail17trampoline_kernelINS0_14default_configENS1_27scan_by_key_config_selectorIssEEZZNS1_16scan_by_key_implILNS1_25lookback_scan_determinismE0ELb1ES3_N6thrust23THRUST_200600_302600_NS6detail15normal_iteratorINS9_10device_ptrIsEEEESE_SE_sNS9_10multipliesIsEENS9_8equal_toIsEEsEE10hipError_tPvRmT2_T3_T4_T5_mT6_T7_P12ihipStream_tbENKUlT_T0_E_clISt17integral_constantIbLb1EESY_IbLb0EEEEDaSU_SV_EUlSU_E_NS1_11comp_targetILNS1_3genE4ELNS1_11target_archE910ELNS1_3gpuE8ELNS1_3repE0EEENS1_30default_config_static_selectorELNS0_4arch9wavefront6targetE1EEEvT1_ ; -- Begin function _ZN7rocprim17ROCPRIM_400000_NS6detail17trampoline_kernelINS0_14default_configENS1_27scan_by_key_config_selectorIssEEZZNS1_16scan_by_key_implILNS1_25lookback_scan_determinismE0ELb1ES3_N6thrust23THRUST_200600_302600_NS6detail15normal_iteratorINS9_10device_ptrIsEEEESE_SE_sNS9_10multipliesIsEENS9_8equal_toIsEEsEE10hipError_tPvRmT2_T3_T4_T5_mT6_T7_P12ihipStream_tbENKUlT_T0_E_clISt17integral_constantIbLb1EESY_IbLb0EEEEDaSU_SV_EUlSU_E_NS1_11comp_targetILNS1_3genE4ELNS1_11target_archE910ELNS1_3gpuE8ELNS1_3repE0EEENS1_30default_config_static_selectorELNS0_4arch9wavefront6targetE1EEEvT1_
	.globl	_ZN7rocprim17ROCPRIM_400000_NS6detail17trampoline_kernelINS0_14default_configENS1_27scan_by_key_config_selectorIssEEZZNS1_16scan_by_key_implILNS1_25lookback_scan_determinismE0ELb1ES3_N6thrust23THRUST_200600_302600_NS6detail15normal_iteratorINS9_10device_ptrIsEEEESE_SE_sNS9_10multipliesIsEENS9_8equal_toIsEEsEE10hipError_tPvRmT2_T3_T4_T5_mT6_T7_P12ihipStream_tbENKUlT_T0_E_clISt17integral_constantIbLb1EESY_IbLb0EEEEDaSU_SV_EUlSU_E_NS1_11comp_targetILNS1_3genE4ELNS1_11target_archE910ELNS1_3gpuE8ELNS1_3repE0EEENS1_30default_config_static_selectorELNS0_4arch9wavefront6targetE1EEEvT1_
	.p2align	8
	.type	_ZN7rocprim17ROCPRIM_400000_NS6detail17trampoline_kernelINS0_14default_configENS1_27scan_by_key_config_selectorIssEEZZNS1_16scan_by_key_implILNS1_25lookback_scan_determinismE0ELb1ES3_N6thrust23THRUST_200600_302600_NS6detail15normal_iteratorINS9_10device_ptrIsEEEESE_SE_sNS9_10multipliesIsEENS9_8equal_toIsEEsEE10hipError_tPvRmT2_T3_T4_T5_mT6_T7_P12ihipStream_tbENKUlT_T0_E_clISt17integral_constantIbLb1EESY_IbLb0EEEEDaSU_SV_EUlSU_E_NS1_11comp_targetILNS1_3genE4ELNS1_11target_archE910ELNS1_3gpuE8ELNS1_3repE0EEENS1_30default_config_static_selectorELNS0_4arch9wavefront6targetE1EEEvT1_,@function
_ZN7rocprim17ROCPRIM_400000_NS6detail17trampoline_kernelINS0_14default_configENS1_27scan_by_key_config_selectorIssEEZZNS1_16scan_by_key_implILNS1_25lookback_scan_determinismE0ELb1ES3_N6thrust23THRUST_200600_302600_NS6detail15normal_iteratorINS9_10device_ptrIsEEEESE_SE_sNS9_10multipliesIsEENS9_8equal_toIsEEsEE10hipError_tPvRmT2_T3_T4_T5_mT6_T7_P12ihipStream_tbENKUlT_T0_E_clISt17integral_constantIbLb1EESY_IbLb0EEEEDaSU_SV_EUlSU_E_NS1_11comp_targetILNS1_3genE4ELNS1_11target_archE910ELNS1_3gpuE8ELNS1_3repE0EEENS1_30default_config_static_selectorELNS0_4arch9wavefront6targetE1EEEvT1_: ; @_ZN7rocprim17ROCPRIM_400000_NS6detail17trampoline_kernelINS0_14default_configENS1_27scan_by_key_config_selectorIssEEZZNS1_16scan_by_key_implILNS1_25lookback_scan_determinismE0ELb1ES3_N6thrust23THRUST_200600_302600_NS6detail15normal_iteratorINS9_10device_ptrIsEEEESE_SE_sNS9_10multipliesIsEENS9_8equal_toIsEEsEE10hipError_tPvRmT2_T3_T4_T5_mT6_T7_P12ihipStream_tbENKUlT_T0_E_clISt17integral_constantIbLb1EESY_IbLb0EEEEDaSU_SV_EUlSU_E_NS1_11comp_targetILNS1_3genE4ELNS1_11target_archE910ELNS1_3gpuE8ELNS1_3repE0EEENS1_30default_config_static_selectorELNS0_4arch9wavefront6targetE1EEEvT1_
; %bb.0:
	.section	.rodata,"a",@progbits
	.p2align	6, 0x0
	.amdhsa_kernel _ZN7rocprim17ROCPRIM_400000_NS6detail17trampoline_kernelINS0_14default_configENS1_27scan_by_key_config_selectorIssEEZZNS1_16scan_by_key_implILNS1_25lookback_scan_determinismE0ELb1ES3_N6thrust23THRUST_200600_302600_NS6detail15normal_iteratorINS9_10device_ptrIsEEEESE_SE_sNS9_10multipliesIsEENS9_8equal_toIsEEsEE10hipError_tPvRmT2_T3_T4_T5_mT6_T7_P12ihipStream_tbENKUlT_T0_E_clISt17integral_constantIbLb1EESY_IbLb0EEEEDaSU_SV_EUlSU_E_NS1_11comp_targetILNS1_3genE4ELNS1_11target_archE910ELNS1_3gpuE8ELNS1_3repE0EEENS1_30default_config_static_selectorELNS0_4arch9wavefront6targetE1EEEvT1_
		.amdhsa_group_segment_fixed_size 0
		.amdhsa_private_segment_fixed_size 0
		.amdhsa_kernarg_size 112
		.amdhsa_user_sgpr_count 2
		.amdhsa_user_sgpr_dispatch_ptr 0
		.amdhsa_user_sgpr_queue_ptr 0
		.amdhsa_user_sgpr_kernarg_segment_ptr 1
		.amdhsa_user_sgpr_dispatch_id 0
		.amdhsa_user_sgpr_kernarg_preload_length 0
		.amdhsa_user_sgpr_kernarg_preload_offset 0
		.amdhsa_user_sgpr_private_segment_size 0
		.amdhsa_uses_dynamic_stack 0
		.amdhsa_enable_private_segment 0
		.amdhsa_system_sgpr_workgroup_id_x 1
		.amdhsa_system_sgpr_workgroup_id_y 0
		.amdhsa_system_sgpr_workgroup_id_z 0
		.amdhsa_system_sgpr_workgroup_info 0
		.amdhsa_system_vgpr_workitem_id 0
		.amdhsa_next_free_vgpr 1
		.amdhsa_next_free_sgpr 0
		.amdhsa_accum_offset 4
		.amdhsa_reserve_vcc 0
		.amdhsa_float_round_mode_32 0
		.amdhsa_float_round_mode_16_64 0
		.amdhsa_float_denorm_mode_32 3
		.amdhsa_float_denorm_mode_16_64 3
		.amdhsa_dx10_clamp 1
		.amdhsa_ieee_mode 1
		.amdhsa_fp16_overflow 0
		.amdhsa_tg_split 0
		.amdhsa_exception_fp_ieee_invalid_op 0
		.amdhsa_exception_fp_denorm_src 0
		.amdhsa_exception_fp_ieee_div_zero 0
		.amdhsa_exception_fp_ieee_overflow 0
		.amdhsa_exception_fp_ieee_underflow 0
		.amdhsa_exception_fp_ieee_inexact 0
		.amdhsa_exception_int_div_zero 0
	.end_amdhsa_kernel
	.section	.text._ZN7rocprim17ROCPRIM_400000_NS6detail17trampoline_kernelINS0_14default_configENS1_27scan_by_key_config_selectorIssEEZZNS1_16scan_by_key_implILNS1_25lookback_scan_determinismE0ELb1ES3_N6thrust23THRUST_200600_302600_NS6detail15normal_iteratorINS9_10device_ptrIsEEEESE_SE_sNS9_10multipliesIsEENS9_8equal_toIsEEsEE10hipError_tPvRmT2_T3_T4_T5_mT6_T7_P12ihipStream_tbENKUlT_T0_E_clISt17integral_constantIbLb1EESY_IbLb0EEEEDaSU_SV_EUlSU_E_NS1_11comp_targetILNS1_3genE4ELNS1_11target_archE910ELNS1_3gpuE8ELNS1_3repE0EEENS1_30default_config_static_selectorELNS0_4arch9wavefront6targetE1EEEvT1_,"axG",@progbits,_ZN7rocprim17ROCPRIM_400000_NS6detail17trampoline_kernelINS0_14default_configENS1_27scan_by_key_config_selectorIssEEZZNS1_16scan_by_key_implILNS1_25lookback_scan_determinismE0ELb1ES3_N6thrust23THRUST_200600_302600_NS6detail15normal_iteratorINS9_10device_ptrIsEEEESE_SE_sNS9_10multipliesIsEENS9_8equal_toIsEEsEE10hipError_tPvRmT2_T3_T4_T5_mT6_T7_P12ihipStream_tbENKUlT_T0_E_clISt17integral_constantIbLb1EESY_IbLb0EEEEDaSU_SV_EUlSU_E_NS1_11comp_targetILNS1_3genE4ELNS1_11target_archE910ELNS1_3gpuE8ELNS1_3repE0EEENS1_30default_config_static_selectorELNS0_4arch9wavefront6targetE1EEEvT1_,comdat
.Lfunc_end626:
	.size	_ZN7rocprim17ROCPRIM_400000_NS6detail17trampoline_kernelINS0_14default_configENS1_27scan_by_key_config_selectorIssEEZZNS1_16scan_by_key_implILNS1_25lookback_scan_determinismE0ELb1ES3_N6thrust23THRUST_200600_302600_NS6detail15normal_iteratorINS9_10device_ptrIsEEEESE_SE_sNS9_10multipliesIsEENS9_8equal_toIsEEsEE10hipError_tPvRmT2_T3_T4_T5_mT6_T7_P12ihipStream_tbENKUlT_T0_E_clISt17integral_constantIbLb1EESY_IbLb0EEEEDaSU_SV_EUlSU_E_NS1_11comp_targetILNS1_3genE4ELNS1_11target_archE910ELNS1_3gpuE8ELNS1_3repE0EEENS1_30default_config_static_selectorELNS0_4arch9wavefront6targetE1EEEvT1_, .Lfunc_end626-_ZN7rocprim17ROCPRIM_400000_NS6detail17trampoline_kernelINS0_14default_configENS1_27scan_by_key_config_selectorIssEEZZNS1_16scan_by_key_implILNS1_25lookback_scan_determinismE0ELb1ES3_N6thrust23THRUST_200600_302600_NS6detail15normal_iteratorINS9_10device_ptrIsEEEESE_SE_sNS9_10multipliesIsEENS9_8equal_toIsEEsEE10hipError_tPvRmT2_T3_T4_T5_mT6_T7_P12ihipStream_tbENKUlT_T0_E_clISt17integral_constantIbLb1EESY_IbLb0EEEEDaSU_SV_EUlSU_E_NS1_11comp_targetILNS1_3genE4ELNS1_11target_archE910ELNS1_3gpuE8ELNS1_3repE0EEENS1_30default_config_static_selectorELNS0_4arch9wavefront6targetE1EEEvT1_
                                        ; -- End function
	.section	.AMDGPU.csdata,"",@progbits
; Kernel info:
; codeLenInByte = 0
; NumSgprs: 6
; NumVgprs: 0
; NumAgprs: 0
; TotalNumVgprs: 0
; ScratchSize: 0
; MemoryBound: 0
; FloatMode: 240
; IeeeMode: 1
; LDSByteSize: 0 bytes/workgroup (compile time only)
; SGPRBlocks: 0
; VGPRBlocks: 0
; NumSGPRsForWavesPerEU: 6
; NumVGPRsForWavesPerEU: 1
; AccumOffset: 4
; Occupancy: 8
; WaveLimiterHint : 0
; COMPUTE_PGM_RSRC2:SCRATCH_EN: 0
; COMPUTE_PGM_RSRC2:USER_SGPR: 2
; COMPUTE_PGM_RSRC2:TRAP_HANDLER: 0
; COMPUTE_PGM_RSRC2:TGID_X_EN: 1
; COMPUTE_PGM_RSRC2:TGID_Y_EN: 0
; COMPUTE_PGM_RSRC2:TGID_Z_EN: 0
; COMPUTE_PGM_RSRC2:TIDIG_COMP_CNT: 0
; COMPUTE_PGM_RSRC3_GFX90A:ACCUM_OFFSET: 0
; COMPUTE_PGM_RSRC3_GFX90A:TG_SPLIT: 0
	.section	.text._ZN7rocprim17ROCPRIM_400000_NS6detail17trampoline_kernelINS0_14default_configENS1_27scan_by_key_config_selectorIssEEZZNS1_16scan_by_key_implILNS1_25lookback_scan_determinismE0ELb1ES3_N6thrust23THRUST_200600_302600_NS6detail15normal_iteratorINS9_10device_ptrIsEEEESE_SE_sNS9_10multipliesIsEENS9_8equal_toIsEEsEE10hipError_tPvRmT2_T3_T4_T5_mT6_T7_P12ihipStream_tbENKUlT_T0_E_clISt17integral_constantIbLb1EESY_IbLb0EEEEDaSU_SV_EUlSU_E_NS1_11comp_targetILNS1_3genE3ELNS1_11target_archE908ELNS1_3gpuE7ELNS1_3repE0EEENS1_30default_config_static_selectorELNS0_4arch9wavefront6targetE1EEEvT1_,"axG",@progbits,_ZN7rocprim17ROCPRIM_400000_NS6detail17trampoline_kernelINS0_14default_configENS1_27scan_by_key_config_selectorIssEEZZNS1_16scan_by_key_implILNS1_25lookback_scan_determinismE0ELb1ES3_N6thrust23THRUST_200600_302600_NS6detail15normal_iteratorINS9_10device_ptrIsEEEESE_SE_sNS9_10multipliesIsEENS9_8equal_toIsEEsEE10hipError_tPvRmT2_T3_T4_T5_mT6_T7_P12ihipStream_tbENKUlT_T0_E_clISt17integral_constantIbLb1EESY_IbLb0EEEEDaSU_SV_EUlSU_E_NS1_11comp_targetILNS1_3genE3ELNS1_11target_archE908ELNS1_3gpuE7ELNS1_3repE0EEENS1_30default_config_static_selectorELNS0_4arch9wavefront6targetE1EEEvT1_,comdat
	.protected	_ZN7rocprim17ROCPRIM_400000_NS6detail17trampoline_kernelINS0_14default_configENS1_27scan_by_key_config_selectorIssEEZZNS1_16scan_by_key_implILNS1_25lookback_scan_determinismE0ELb1ES3_N6thrust23THRUST_200600_302600_NS6detail15normal_iteratorINS9_10device_ptrIsEEEESE_SE_sNS9_10multipliesIsEENS9_8equal_toIsEEsEE10hipError_tPvRmT2_T3_T4_T5_mT6_T7_P12ihipStream_tbENKUlT_T0_E_clISt17integral_constantIbLb1EESY_IbLb0EEEEDaSU_SV_EUlSU_E_NS1_11comp_targetILNS1_3genE3ELNS1_11target_archE908ELNS1_3gpuE7ELNS1_3repE0EEENS1_30default_config_static_selectorELNS0_4arch9wavefront6targetE1EEEvT1_ ; -- Begin function _ZN7rocprim17ROCPRIM_400000_NS6detail17trampoline_kernelINS0_14default_configENS1_27scan_by_key_config_selectorIssEEZZNS1_16scan_by_key_implILNS1_25lookback_scan_determinismE0ELb1ES3_N6thrust23THRUST_200600_302600_NS6detail15normal_iteratorINS9_10device_ptrIsEEEESE_SE_sNS9_10multipliesIsEENS9_8equal_toIsEEsEE10hipError_tPvRmT2_T3_T4_T5_mT6_T7_P12ihipStream_tbENKUlT_T0_E_clISt17integral_constantIbLb1EESY_IbLb0EEEEDaSU_SV_EUlSU_E_NS1_11comp_targetILNS1_3genE3ELNS1_11target_archE908ELNS1_3gpuE7ELNS1_3repE0EEENS1_30default_config_static_selectorELNS0_4arch9wavefront6targetE1EEEvT1_
	.globl	_ZN7rocprim17ROCPRIM_400000_NS6detail17trampoline_kernelINS0_14default_configENS1_27scan_by_key_config_selectorIssEEZZNS1_16scan_by_key_implILNS1_25lookback_scan_determinismE0ELb1ES3_N6thrust23THRUST_200600_302600_NS6detail15normal_iteratorINS9_10device_ptrIsEEEESE_SE_sNS9_10multipliesIsEENS9_8equal_toIsEEsEE10hipError_tPvRmT2_T3_T4_T5_mT6_T7_P12ihipStream_tbENKUlT_T0_E_clISt17integral_constantIbLb1EESY_IbLb0EEEEDaSU_SV_EUlSU_E_NS1_11comp_targetILNS1_3genE3ELNS1_11target_archE908ELNS1_3gpuE7ELNS1_3repE0EEENS1_30default_config_static_selectorELNS0_4arch9wavefront6targetE1EEEvT1_
	.p2align	8
	.type	_ZN7rocprim17ROCPRIM_400000_NS6detail17trampoline_kernelINS0_14default_configENS1_27scan_by_key_config_selectorIssEEZZNS1_16scan_by_key_implILNS1_25lookback_scan_determinismE0ELb1ES3_N6thrust23THRUST_200600_302600_NS6detail15normal_iteratorINS9_10device_ptrIsEEEESE_SE_sNS9_10multipliesIsEENS9_8equal_toIsEEsEE10hipError_tPvRmT2_T3_T4_T5_mT6_T7_P12ihipStream_tbENKUlT_T0_E_clISt17integral_constantIbLb1EESY_IbLb0EEEEDaSU_SV_EUlSU_E_NS1_11comp_targetILNS1_3genE3ELNS1_11target_archE908ELNS1_3gpuE7ELNS1_3repE0EEENS1_30default_config_static_selectorELNS0_4arch9wavefront6targetE1EEEvT1_,@function
_ZN7rocprim17ROCPRIM_400000_NS6detail17trampoline_kernelINS0_14default_configENS1_27scan_by_key_config_selectorIssEEZZNS1_16scan_by_key_implILNS1_25lookback_scan_determinismE0ELb1ES3_N6thrust23THRUST_200600_302600_NS6detail15normal_iteratorINS9_10device_ptrIsEEEESE_SE_sNS9_10multipliesIsEENS9_8equal_toIsEEsEE10hipError_tPvRmT2_T3_T4_T5_mT6_T7_P12ihipStream_tbENKUlT_T0_E_clISt17integral_constantIbLb1EESY_IbLb0EEEEDaSU_SV_EUlSU_E_NS1_11comp_targetILNS1_3genE3ELNS1_11target_archE908ELNS1_3gpuE7ELNS1_3repE0EEENS1_30default_config_static_selectorELNS0_4arch9wavefront6targetE1EEEvT1_: ; @_ZN7rocprim17ROCPRIM_400000_NS6detail17trampoline_kernelINS0_14default_configENS1_27scan_by_key_config_selectorIssEEZZNS1_16scan_by_key_implILNS1_25lookback_scan_determinismE0ELb1ES3_N6thrust23THRUST_200600_302600_NS6detail15normal_iteratorINS9_10device_ptrIsEEEESE_SE_sNS9_10multipliesIsEENS9_8equal_toIsEEsEE10hipError_tPvRmT2_T3_T4_T5_mT6_T7_P12ihipStream_tbENKUlT_T0_E_clISt17integral_constantIbLb1EESY_IbLb0EEEEDaSU_SV_EUlSU_E_NS1_11comp_targetILNS1_3genE3ELNS1_11target_archE908ELNS1_3gpuE7ELNS1_3repE0EEENS1_30default_config_static_selectorELNS0_4arch9wavefront6targetE1EEEvT1_
; %bb.0:
	.section	.rodata,"a",@progbits
	.p2align	6, 0x0
	.amdhsa_kernel _ZN7rocprim17ROCPRIM_400000_NS6detail17trampoline_kernelINS0_14default_configENS1_27scan_by_key_config_selectorIssEEZZNS1_16scan_by_key_implILNS1_25lookback_scan_determinismE0ELb1ES3_N6thrust23THRUST_200600_302600_NS6detail15normal_iteratorINS9_10device_ptrIsEEEESE_SE_sNS9_10multipliesIsEENS9_8equal_toIsEEsEE10hipError_tPvRmT2_T3_T4_T5_mT6_T7_P12ihipStream_tbENKUlT_T0_E_clISt17integral_constantIbLb1EESY_IbLb0EEEEDaSU_SV_EUlSU_E_NS1_11comp_targetILNS1_3genE3ELNS1_11target_archE908ELNS1_3gpuE7ELNS1_3repE0EEENS1_30default_config_static_selectorELNS0_4arch9wavefront6targetE1EEEvT1_
		.amdhsa_group_segment_fixed_size 0
		.amdhsa_private_segment_fixed_size 0
		.amdhsa_kernarg_size 112
		.amdhsa_user_sgpr_count 2
		.amdhsa_user_sgpr_dispatch_ptr 0
		.amdhsa_user_sgpr_queue_ptr 0
		.amdhsa_user_sgpr_kernarg_segment_ptr 1
		.amdhsa_user_sgpr_dispatch_id 0
		.amdhsa_user_sgpr_kernarg_preload_length 0
		.amdhsa_user_sgpr_kernarg_preload_offset 0
		.amdhsa_user_sgpr_private_segment_size 0
		.amdhsa_uses_dynamic_stack 0
		.amdhsa_enable_private_segment 0
		.amdhsa_system_sgpr_workgroup_id_x 1
		.amdhsa_system_sgpr_workgroup_id_y 0
		.amdhsa_system_sgpr_workgroup_id_z 0
		.amdhsa_system_sgpr_workgroup_info 0
		.amdhsa_system_vgpr_workitem_id 0
		.amdhsa_next_free_vgpr 1
		.amdhsa_next_free_sgpr 0
		.amdhsa_accum_offset 4
		.amdhsa_reserve_vcc 0
		.amdhsa_float_round_mode_32 0
		.amdhsa_float_round_mode_16_64 0
		.amdhsa_float_denorm_mode_32 3
		.amdhsa_float_denorm_mode_16_64 3
		.amdhsa_dx10_clamp 1
		.amdhsa_ieee_mode 1
		.amdhsa_fp16_overflow 0
		.amdhsa_tg_split 0
		.amdhsa_exception_fp_ieee_invalid_op 0
		.amdhsa_exception_fp_denorm_src 0
		.amdhsa_exception_fp_ieee_div_zero 0
		.amdhsa_exception_fp_ieee_overflow 0
		.amdhsa_exception_fp_ieee_underflow 0
		.amdhsa_exception_fp_ieee_inexact 0
		.amdhsa_exception_int_div_zero 0
	.end_amdhsa_kernel
	.section	.text._ZN7rocprim17ROCPRIM_400000_NS6detail17trampoline_kernelINS0_14default_configENS1_27scan_by_key_config_selectorIssEEZZNS1_16scan_by_key_implILNS1_25lookback_scan_determinismE0ELb1ES3_N6thrust23THRUST_200600_302600_NS6detail15normal_iteratorINS9_10device_ptrIsEEEESE_SE_sNS9_10multipliesIsEENS9_8equal_toIsEEsEE10hipError_tPvRmT2_T3_T4_T5_mT6_T7_P12ihipStream_tbENKUlT_T0_E_clISt17integral_constantIbLb1EESY_IbLb0EEEEDaSU_SV_EUlSU_E_NS1_11comp_targetILNS1_3genE3ELNS1_11target_archE908ELNS1_3gpuE7ELNS1_3repE0EEENS1_30default_config_static_selectorELNS0_4arch9wavefront6targetE1EEEvT1_,"axG",@progbits,_ZN7rocprim17ROCPRIM_400000_NS6detail17trampoline_kernelINS0_14default_configENS1_27scan_by_key_config_selectorIssEEZZNS1_16scan_by_key_implILNS1_25lookback_scan_determinismE0ELb1ES3_N6thrust23THRUST_200600_302600_NS6detail15normal_iteratorINS9_10device_ptrIsEEEESE_SE_sNS9_10multipliesIsEENS9_8equal_toIsEEsEE10hipError_tPvRmT2_T3_T4_T5_mT6_T7_P12ihipStream_tbENKUlT_T0_E_clISt17integral_constantIbLb1EESY_IbLb0EEEEDaSU_SV_EUlSU_E_NS1_11comp_targetILNS1_3genE3ELNS1_11target_archE908ELNS1_3gpuE7ELNS1_3repE0EEENS1_30default_config_static_selectorELNS0_4arch9wavefront6targetE1EEEvT1_,comdat
.Lfunc_end627:
	.size	_ZN7rocprim17ROCPRIM_400000_NS6detail17trampoline_kernelINS0_14default_configENS1_27scan_by_key_config_selectorIssEEZZNS1_16scan_by_key_implILNS1_25lookback_scan_determinismE0ELb1ES3_N6thrust23THRUST_200600_302600_NS6detail15normal_iteratorINS9_10device_ptrIsEEEESE_SE_sNS9_10multipliesIsEENS9_8equal_toIsEEsEE10hipError_tPvRmT2_T3_T4_T5_mT6_T7_P12ihipStream_tbENKUlT_T0_E_clISt17integral_constantIbLb1EESY_IbLb0EEEEDaSU_SV_EUlSU_E_NS1_11comp_targetILNS1_3genE3ELNS1_11target_archE908ELNS1_3gpuE7ELNS1_3repE0EEENS1_30default_config_static_selectorELNS0_4arch9wavefront6targetE1EEEvT1_, .Lfunc_end627-_ZN7rocprim17ROCPRIM_400000_NS6detail17trampoline_kernelINS0_14default_configENS1_27scan_by_key_config_selectorIssEEZZNS1_16scan_by_key_implILNS1_25lookback_scan_determinismE0ELb1ES3_N6thrust23THRUST_200600_302600_NS6detail15normal_iteratorINS9_10device_ptrIsEEEESE_SE_sNS9_10multipliesIsEENS9_8equal_toIsEEsEE10hipError_tPvRmT2_T3_T4_T5_mT6_T7_P12ihipStream_tbENKUlT_T0_E_clISt17integral_constantIbLb1EESY_IbLb0EEEEDaSU_SV_EUlSU_E_NS1_11comp_targetILNS1_3genE3ELNS1_11target_archE908ELNS1_3gpuE7ELNS1_3repE0EEENS1_30default_config_static_selectorELNS0_4arch9wavefront6targetE1EEEvT1_
                                        ; -- End function
	.section	.AMDGPU.csdata,"",@progbits
; Kernel info:
; codeLenInByte = 0
; NumSgprs: 6
; NumVgprs: 0
; NumAgprs: 0
; TotalNumVgprs: 0
; ScratchSize: 0
; MemoryBound: 0
; FloatMode: 240
; IeeeMode: 1
; LDSByteSize: 0 bytes/workgroup (compile time only)
; SGPRBlocks: 0
; VGPRBlocks: 0
; NumSGPRsForWavesPerEU: 6
; NumVGPRsForWavesPerEU: 1
; AccumOffset: 4
; Occupancy: 8
; WaveLimiterHint : 0
; COMPUTE_PGM_RSRC2:SCRATCH_EN: 0
; COMPUTE_PGM_RSRC2:USER_SGPR: 2
; COMPUTE_PGM_RSRC2:TRAP_HANDLER: 0
; COMPUTE_PGM_RSRC2:TGID_X_EN: 1
; COMPUTE_PGM_RSRC2:TGID_Y_EN: 0
; COMPUTE_PGM_RSRC2:TGID_Z_EN: 0
; COMPUTE_PGM_RSRC2:TIDIG_COMP_CNT: 0
; COMPUTE_PGM_RSRC3_GFX90A:ACCUM_OFFSET: 0
; COMPUTE_PGM_RSRC3_GFX90A:TG_SPLIT: 0
	.section	.text._ZN7rocprim17ROCPRIM_400000_NS6detail17trampoline_kernelINS0_14default_configENS1_27scan_by_key_config_selectorIssEEZZNS1_16scan_by_key_implILNS1_25lookback_scan_determinismE0ELb1ES3_N6thrust23THRUST_200600_302600_NS6detail15normal_iteratorINS9_10device_ptrIsEEEESE_SE_sNS9_10multipliesIsEENS9_8equal_toIsEEsEE10hipError_tPvRmT2_T3_T4_T5_mT6_T7_P12ihipStream_tbENKUlT_T0_E_clISt17integral_constantIbLb1EESY_IbLb0EEEEDaSU_SV_EUlSU_E_NS1_11comp_targetILNS1_3genE2ELNS1_11target_archE906ELNS1_3gpuE6ELNS1_3repE0EEENS1_30default_config_static_selectorELNS0_4arch9wavefront6targetE1EEEvT1_,"axG",@progbits,_ZN7rocprim17ROCPRIM_400000_NS6detail17trampoline_kernelINS0_14default_configENS1_27scan_by_key_config_selectorIssEEZZNS1_16scan_by_key_implILNS1_25lookback_scan_determinismE0ELb1ES3_N6thrust23THRUST_200600_302600_NS6detail15normal_iteratorINS9_10device_ptrIsEEEESE_SE_sNS9_10multipliesIsEENS9_8equal_toIsEEsEE10hipError_tPvRmT2_T3_T4_T5_mT6_T7_P12ihipStream_tbENKUlT_T0_E_clISt17integral_constantIbLb1EESY_IbLb0EEEEDaSU_SV_EUlSU_E_NS1_11comp_targetILNS1_3genE2ELNS1_11target_archE906ELNS1_3gpuE6ELNS1_3repE0EEENS1_30default_config_static_selectorELNS0_4arch9wavefront6targetE1EEEvT1_,comdat
	.protected	_ZN7rocprim17ROCPRIM_400000_NS6detail17trampoline_kernelINS0_14default_configENS1_27scan_by_key_config_selectorIssEEZZNS1_16scan_by_key_implILNS1_25lookback_scan_determinismE0ELb1ES3_N6thrust23THRUST_200600_302600_NS6detail15normal_iteratorINS9_10device_ptrIsEEEESE_SE_sNS9_10multipliesIsEENS9_8equal_toIsEEsEE10hipError_tPvRmT2_T3_T4_T5_mT6_T7_P12ihipStream_tbENKUlT_T0_E_clISt17integral_constantIbLb1EESY_IbLb0EEEEDaSU_SV_EUlSU_E_NS1_11comp_targetILNS1_3genE2ELNS1_11target_archE906ELNS1_3gpuE6ELNS1_3repE0EEENS1_30default_config_static_selectorELNS0_4arch9wavefront6targetE1EEEvT1_ ; -- Begin function _ZN7rocprim17ROCPRIM_400000_NS6detail17trampoline_kernelINS0_14default_configENS1_27scan_by_key_config_selectorIssEEZZNS1_16scan_by_key_implILNS1_25lookback_scan_determinismE0ELb1ES3_N6thrust23THRUST_200600_302600_NS6detail15normal_iteratorINS9_10device_ptrIsEEEESE_SE_sNS9_10multipliesIsEENS9_8equal_toIsEEsEE10hipError_tPvRmT2_T3_T4_T5_mT6_T7_P12ihipStream_tbENKUlT_T0_E_clISt17integral_constantIbLb1EESY_IbLb0EEEEDaSU_SV_EUlSU_E_NS1_11comp_targetILNS1_3genE2ELNS1_11target_archE906ELNS1_3gpuE6ELNS1_3repE0EEENS1_30default_config_static_selectorELNS0_4arch9wavefront6targetE1EEEvT1_
	.globl	_ZN7rocprim17ROCPRIM_400000_NS6detail17trampoline_kernelINS0_14default_configENS1_27scan_by_key_config_selectorIssEEZZNS1_16scan_by_key_implILNS1_25lookback_scan_determinismE0ELb1ES3_N6thrust23THRUST_200600_302600_NS6detail15normal_iteratorINS9_10device_ptrIsEEEESE_SE_sNS9_10multipliesIsEENS9_8equal_toIsEEsEE10hipError_tPvRmT2_T3_T4_T5_mT6_T7_P12ihipStream_tbENKUlT_T0_E_clISt17integral_constantIbLb1EESY_IbLb0EEEEDaSU_SV_EUlSU_E_NS1_11comp_targetILNS1_3genE2ELNS1_11target_archE906ELNS1_3gpuE6ELNS1_3repE0EEENS1_30default_config_static_selectorELNS0_4arch9wavefront6targetE1EEEvT1_
	.p2align	8
	.type	_ZN7rocprim17ROCPRIM_400000_NS6detail17trampoline_kernelINS0_14default_configENS1_27scan_by_key_config_selectorIssEEZZNS1_16scan_by_key_implILNS1_25lookback_scan_determinismE0ELb1ES3_N6thrust23THRUST_200600_302600_NS6detail15normal_iteratorINS9_10device_ptrIsEEEESE_SE_sNS9_10multipliesIsEENS9_8equal_toIsEEsEE10hipError_tPvRmT2_T3_T4_T5_mT6_T7_P12ihipStream_tbENKUlT_T0_E_clISt17integral_constantIbLb1EESY_IbLb0EEEEDaSU_SV_EUlSU_E_NS1_11comp_targetILNS1_3genE2ELNS1_11target_archE906ELNS1_3gpuE6ELNS1_3repE0EEENS1_30default_config_static_selectorELNS0_4arch9wavefront6targetE1EEEvT1_,@function
_ZN7rocprim17ROCPRIM_400000_NS6detail17trampoline_kernelINS0_14default_configENS1_27scan_by_key_config_selectorIssEEZZNS1_16scan_by_key_implILNS1_25lookback_scan_determinismE0ELb1ES3_N6thrust23THRUST_200600_302600_NS6detail15normal_iteratorINS9_10device_ptrIsEEEESE_SE_sNS9_10multipliesIsEENS9_8equal_toIsEEsEE10hipError_tPvRmT2_T3_T4_T5_mT6_T7_P12ihipStream_tbENKUlT_T0_E_clISt17integral_constantIbLb1EESY_IbLb0EEEEDaSU_SV_EUlSU_E_NS1_11comp_targetILNS1_3genE2ELNS1_11target_archE906ELNS1_3gpuE6ELNS1_3repE0EEENS1_30default_config_static_selectorELNS0_4arch9wavefront6targetE1EEEvT1_: ; @_ZN7rocprim17ROCPRIM_400000_NS6detail17trampoline_kernelINS0_14default_configENS1_27scan_by_key_config_selectorIssEEZZNS1_16scan_by_key_implILNS1_25lookback_scan_determinismE0ELb1ES3_N6thrust23THRUST_200600_302600_NS6detail15normal_iteratorINS9_10device_ptrIsEEEESE_SE_sNS9_10multipliesIsEENS9_8equal_toIsEEsEE10hipError_tPvRmT2_T3_T4_T5_mT6_T7_P12ihipStream_tbENKUlT_T0_E_clISt17integral_constantIbLb1EESY_IbLb0EEEEDaSU_SV_EUlSU_E_NS1_11comp_targetILNS1_3genE2ELNS1_11target_archE906ELNS1_3gpuE6ELNS1_3repE0EEENS1_30default_config_static_selectorELNS0_4arch9wavefront6targetE1EEEvT1_
; %bb.0:
	.section	.rodata,"a",@progbits
	.p2align	6, 0x0
	.amdhsa_kernel _ZN7rocprim17ROCPRIM_400000_NS6detail17trampoline_kernelINS0_14default_configENS1_27scan_by_key_config_selectorIssEEZZNS1_16scan_by_key_implILNS1_25lookback_scan_determinismE0ELb1ES3_N6thrust23THRUST_200600_302600_NS6detail15normal_iteratorINS9_10device_ptrIsEEEESE_SE_sNS9_10multipliesIsEENS9_8equal_toIsEEsEE10hipError_tPvRmT2_T3_T4_T5_mT6_T7_P12ihipStream_tbENKUlT_T0_E_clISt17integral_constantIbLb1EESY_IbLb0EEEEDaSU_SV_EUlSU_E_NS1_11comp_targetILNS1_3genE2ELNS1_11target_archE906ELNS1_3gpuE6ELNS1_3repE0EEENS1_30default_config_static_selectorELNS0_4arch9wavefront6targetE1EEEvT1_
		.amdhsa_group_segment_fixed_size 0
		.amdhsa_private_segment_fixed_size 0
		.amdhsa_kernarg_size 112
		.amdhsa_user_sgpr_count 2
		.amdhsa_user_sgpr_dispatch_ptr 0
		.amdhsa_user_sgpr_queue_ptr 0
		.amdhsa_user_sgpr_kernarg_segment_ptr 1
		.amdhsa_user_sgpr_dispatch_id 0
		.amdhsa_user_sgpr_kernarg_preload_length 0
		.amdhsa_user_sgpr_kernarg_preload_offset 0
		.amdhsa_user_sgpr_private_segment_size 0
		.amdhsa_uses_dynamic_stack 0
		.amdhsa_enable_private_segment 0
		.amdhsa_system_sgpr_workgroup_id_x 1
		.amdhsa_system_sgpr_workgroup_id_y 0
		.amdhsa_system_sgpr_workgroup_id_z 0
		.amdhsa_system_sgpr_workgroup_info 0
		.amdhsa_system_vgpr_workitem_id 0
		.amdhsa_next_free_vgpr 1
		.amdhsa_next_free_sgpr 0
		.amdhsa_accum_offset 4
		.amdhsa_reserve_vcc 0
		.amdhsa_float_round_mode_32 0
		.amdhsa_float_round_mode_16_64 0
		.amdhsa_float_denorm_mode_32 3
		.amdhsa_float_denorm_mode_16_64 3
		.amdhsa_dx10_clamp 1
		.amdhsa_ieee_mode 1
		.amdhsa_fp16_overflow 0
		.amdhsa_tg_split 0
		.amdhsa_exception_fp_ieee_invalid_op 0
		.amdhsa_exception_fp_denorm_src 0
		.amdhsa_exception_fp_ieee_div_zero 0
		.amdhsa_exception_fp_ieee_overflow 0
		.amdhsa_exception_fp_ieee_underflow 0
		.amdhsa_exception_fp_ieee_inexact 0
		.amdhsa_exception_int_div_zero 0
	.end_amdhsa_kernel
	.section	.text._ZN7rocprim17ROCPRIM_400000_NS6detail17trampoline_kernelINS0_14default_configENS1_27scan_by_key_config_selectorIssEEZZNS1_16scan_by_key_implILNS1_25lookback_scan_determinismE0ELb1ES3_N6thrust23THRUST_200600_302600_NS6detail15normal_iteratorINS9_10device_ptrIsEEEESE_SE_sNS9_10multipliesIsEENS9_8equal_toIsEEsEE10hipError_tPvRmT2_T3_T4_T5_mT6_T7_P12ihipStream_tbENKUlT_T0_E_clISt17integral_constantIbLb1EESY_IbLb0EEEEDaSU_SV_EUlSU_E_NS1_11comp_targetILNS1_3genE2ELNS1_11target_archE906ELNS1_3gpuE6ELNS1_3repE0EEENS1_30default_config_static_selectorELNS0_4arch9wavefront6targetE1EEEvT1_,"axG",@progbits,_ZN7rocprim17ROCPRIM_400000_NS6detail17trampoline_kernelINS0_14default_configENS1_27scan_by_key_config_selectorIssEEZZNS1_16scan_by_key_implILNS1_25lookback_scan_determinismE0ELb1ES3_N6thrust23THRUST_200600_302600_NS6detail15normal_iteratorINS9_10device_ptrIsEEEESE_SE_sNS9_10multipliesIsEENS9_8equal_toIsEEsEE10hipError_tPvRmT2_T3_T4_T5_mT6_T7_P12ihipStream_tbENKUlT_T0_E_clISt17integral_constantIbLb1EESY_IbLb0EEEEDaSU_SV_EUlSU_E_NS1_11comp_targetILNS1_3genE2ELNS1_11target_archE906ELNS1_3gpuE6ELNS1_3repE0EEENS1_30default_config_static_selectorELNS0_4arch9wavefront6targetE1EEEvT1_,comdat
.Lfunc_end628:
	.size	_ZN7rocprim17ROCPRIM_400000_NS6detail17trampoline_kernelINS0_14default_configENS1_27scan_by_key_config_selectorIssEEZZNS1_16scan_by_key_implILNS1_25lookback_scan_determinismE0ELb1ES3_N6thrust23THRUST_200600_302600_NS6detail15normal_iteratorINS9_10device_ptrIsEEEESE_SE_sNS9_10multipliesIsEENS9_8equal_toIsEEsEE10hipError_tPvRmT2_T3_T4_T5_mT6_T7_P12ihipStream_tbENKUlT_T0_E_clISt17integral_constantIbLb1EESY_IbLb0EEEEDaSU_SV_EUlSU_E_NS1_11comp_targetILNS1_3genE2ELNS1_11target_archE906ELNS1_3gpuE6ELNS1_3repE0EEENS1_30default_config_static_selectorELNS0_4arch9wavefront6targetE1EEEvT1_, .Lfunc_end628-_ZN7rocprim17ROCPRIM_400000_NS6detail17trampoline_kernelINS0_14default_configENS1_27scan_by_key_config_selectorIssEEZZNS1_16scan_by_key_implILNS1_25lookback_scan_determinismE0ELb1ES3_N6thrust23THRUST_200600_302600_NS6detail15normal_iteratorINS9_10device_ptrIsEEEESE_SE_sNS9_10multipliesIsEENS9_8equal_toIsEEsEE10hipError_tPvRmT2_T3_T4_T5_mT6_T7_P12ihipStream_tbENKUlT_T0_E_clISt17integral_constantIbLb1EESY_IbLb0EEEEDaSU_SV_EUlSU_E_NS1_11comp_targetILNS1_3genE2ELNS1_11target_archE906ELNS1_3gpuE6ELNS1_3repE0EEENS1_30default_config_static_selectorELNS0_4arch9wavefront6targetE1EEEvT1_
                                        ; -- End function
	.section	.AMDGPU.csdata,"",@progbits
; Kernel info:
; codeLenInByte = 0
; NumSgprs: 6
; NumVgprs: 0
; NumAgprs: 0
; TotalNumVgprs: 0
; ScratchSize: 0
; MemoryBound: 0
; FloatMode: 240
; IeeeMode: 1
; LDSByteSize: 0 bytes/workgroup (compile time only)
; SGPRBlocks: 0
; VGPRBlocks: 0
; NumSGPRsForWavesPerEU: 6
; NumVGPRsForWavesPerEU: 1
; AccumOffset: 4
; Occupancy: 8
; WaveLimiterHint : 0
; COMPUTE_PGM_RSRC2:SCRATCH_EN: 0
; COMPUTE_PGM_RSRC2:USER_SGPR: 2
; COMPUTE_PGM_RSRC2:TRAP_HANDLER: 0
; COMPUTE_PGM_RSRC2:TGID_X_EN: 1
; COMPUTE_PGM_RSRC2:TGID_Y_EN: 0
; COMPUTE_PGM_RSRC2:TGID_Z_EN: 0
; COMPUTE_PGM_RSRC2:TIDIG_COMP_CNT: 0
; COMPUTE_PGM_RSRC3_GFX90A:ACCUM_OFFSET: 0
; COMPUTE_PGM_RSRC3_GFX90A:TG_SPLIT: 0
	.section	.text._ZN7rocprim17ROCPRIM_400000_NS6detail17trampoline_kernelINS0_14default_configENS1_27scan_by_key_config_selectorIssEEZZNS1_16scan_by_key_implILNS1_25lookback_scan_determinismE0ELb1ES3_N6thrust23THRUST_200600_302600_NS6detail15normal_iteratorINS9_10device_ptrIsEEEESE_SE_sNS9_10multipliesIsEENS9_8equal_toIsEEsEE10hipError_tPvRmT2_T3_T4_T5_mT6_T7_P12ihipStream_tbENKUlT_T0_E_clISt17integral_constantIbLb1EESY_IbLb0EEEEDaSU_SV_EUlSU_E_NS1_11comp_targetILNS1_3genE10ELNS1_11target_archE1200ELNS1_3gpuE4ELNS1_3repE0EEENS1_30default_config_static_selectorELNS0_4arch9wavefront6targetE1EEEvT1_,"axG",@progbits,_ZN7rocprim17ROCPRIM_400000_NS6detail17trampoline_kernelINS0_14default_configENS1_27scan_by_key_config_selectorIssEEZZNS1_16scan_by_key_implILNS1_25lookback_scan_determinismE0ELb1ES3_N6thrust23THRUST_200600_302600_NS6detail15normal_iteratorINS9_10device_ptrIsEEEESE_SE_sNS9_10multipliesIsEENS9_8equal_toIsEEsEE10hipError_tPvRmT2_T3_T4_T5_mT6_T7_P12ihipStream_tbENKUlT_T0_E_clISt17integral_constantIbLb1EESY_IbLb0EEEEDaSU_SV_EUlSU_E_NS1_11comp_targetILNS1_3genE10ELNS1_11target_archE1200ELNS1_3gpuE4ELNS1_3repE0EEENS1_30default_config_static_selectorELNS0_4arch9wavefront6targetE1EEEvT1_,comdat
	.protected	_ZN7rocprim17ROCPRIM_400000_NS6detail17trampoline_kernelINS0_14default_configENS1_27scan_by_key_config_selectorIssEEZZNS1_16scan_by_key_implILNS1_25lookback_scan_determinismE0ELb1ES3_N6thrust23THRUST_200600_302600_NS6detail15normal_iteratorINS9_10device_ptrIsEEEESE_SE_sNS9_10multipliesIsEENS9_8equal_toIsEEsEE10hipError_tPvRmT2_T3_T4_T5_mT6_T7_P12ihipStream_tbENKUlT_T0_E_clISt17integral_constantIbLb1EESY_IbLb0EEEEDaSU_SV_EUlSU_E_NS1_11comp_targetILNS1_3genE10ELNS1_11target_archE1200ELNS1_3gpuE4ELNS1_3repE0EEENS1_30default_config_static_selectorELNS0_4arch9wavefront6targetE1EEEvT1_ ; -- Begin function _ZN7rocprim17ROCPRIM_400000_NS6detail17trampoline_kernelINS0_14default_configENS1_27scan_by_key_config_selectorIssEEZZNS1_16scan_by_key_implILNS1_25lookback_scan_determinismE0ELb1ES3_N6thrust23THRUST_200600_302600_NS6detail15normal_iteratorINS9_10device_ptrIsEEEESE_SE_sNS9_10multipliesIsEENS9_8equal_toIsEEsEE10hipError_tPvRmT2_T3_T4_T5_mT6_T7_P12ihipStream_tbENKUlT_T0_E_clISt17integral_constantIbLb1EESY_IbLb0EEEEDaSU_SV_EUlSU_E_NS1_11comp_targetILNS1_3genE10ELNS1_11target_archE1200ELNS1_3gpuE4ELNS1_3repE0EEENS1_30default_config_static_selectorELNS0_4arch9wavefront6targetE1EEEvT1_
	.globl	_ZN7rocprim17ROCPRIM_400000_NS6detail17trampoline_kernelINS0_14default_configENS1_27scan_by_key_config_selectorIssEEZZNS1_16scan_by_key_implILNS1_25lookback_scan_determinismE0ELb1ES3_N6thrust23THRUST_200600_302600_NS6detail15normal_iteratorINS9_10device_ptrIsEEEESE_SE_sNS9_10multipliesIsEENS9_8equal_toIsEEsEE10hipError_tPvRmT2_T3_T4_T5_mT6_T7_P12ihipStream_tbENKUlT_T0_E_clISt17integral_constantIbLb1EESY_IbLb0EEEEDaSU_SV_EUlSU_E_NS1_11comp_targetILNS1_3genE10ELNS1_11target_archE1200ELNS1_3gpuE4ELNS1_3repE0EEENS1_30default_config_static_selectorELNS0_4arch9wavefront6targetE1EEEvT1_
	.p2align	8
	.type	_ZN7rocprim17ROCPRIM_400000_NS6detail17trampoline_kernelINS0_14default_configENS1_27scan_by_key_config_selectorIssEEZZNS1_16scan_by_key_implILNS1_25lookback_scan_determinismE0ELb1ES3_N6thrust23THRUST_200600_302600_NS6detail15normal_iteratorINS9_10device_ptrIsEEEESE_SE_sNS9_10multipliesIsEENS9_8equal_toIsEEsEE10hipError_tPvRmT2_T3_T4_T5_mT6_T7_P12ihipStream_tbENKUlT_T0_E_clISt17integral_constantIbLb1EESY_IbLb0EEEEDaSU_SV_EUlSU_E_NS1_11comp_targetILNS1_3genE10ELNS1_11target_archE1200ELNS1_3gpuE4ELNS1_3repE0EEENS1_30default_config_static_selectorELNS0_4arch9wavefront6targetE1EEEvT1_,@function
_ZN7rocprim17ROCPRIM_400000_NS6detail17trampoline_kernelINS0_14default_configENS1_27scan_by_key_config_selectorIssEEZZNS1_16scan_by_key_implILNS1_25lookback_scan_determinismE0ELb1ES3_N6thrust23THRUST_200600_302600_NS6detail15normal_iteratorINS9_10device_ptrIsEEEESE_SE_sNS9_10multipliesIsEENS9_8equal_toIsEEsEE10hipError_tPvRmT2_T3_T4_T5_mT6_T7_P12ihipStream_tbENKUlT_T0_E_clISt17integral_constantIbLb1EESY_IbLb0EEEEDaSU_SV_EUlSU_E_NS1_11comp_targetILNS1_3genE10ELNS1_11target_archE1200ELNS1_3gpuE4ELNS1_3repE0EEENS1_30default_config_static_selectorELNS0_4arch9wavefront6targetE1EEEvT1_: ; @_ZN7rocprim17ROCPRIM_400000_NS6detail17trampoline_kernelINS0_14default_configENS1_27scan_by_key_config_selectorIssEEZZNS1_16scan_by_key_implILNS1_25lookback_scan_determinismE0ELb1ES3_N6thrust23THRUST_200600_302600_NS6detail15normal_iteratorINS9_10device_ptrIsEEEESE_SE_sNS9_10multipliesIsEENS9_8equal_toIsEEsEE10hipError_tPvRmT2_T3_T4_T5_mT6_T7_P12ihipStream_tbENKUlT_T0_E_clISt17integral_constantIbLb1EESY_IbLb0EEEEDaSU_SV_EUlSU_E_NS1_11comp_targetILNS1_3genE10ELNS1_11target_archE1200ELNS1_3gpuE4ELNS1_3repE0EEENS1_30default_config_static_selectorELNS0_4arch9wavefront6targetE1EEEvT1_
; %bb.0:
	.section	.rodata,"a",@progbits
	.p2align	6, 0x0
	.amdhsa_kernel _ZN7rocprim17ROCPRIM_400000_NS6detail17trampoline_kernelINS0_14default_configENS1_27scan_by_key_config_selectorIssEEZZNS1_16scan_by_key_implILNS1_25lookback_scan_determinismE0ELb1ES3_N6thrust23THRUST_200600_302600_NS6detail15normal_iteratorINS9_10device_ptrIsEEEESE_SE_sNS9_10multipliesIsEENS9_8equal_toIsEEsEE10hipError_tPvRmT2_T3_T4_T5_mT6_T7_P12ihipStream_tbENKUlT_T0_E_clISt17integral_constantIbLb1EESY_IbLb0EEEEDaSU_SV_EUlSU_E_NS1_11comp_targetILNS1_3genE10ELNS1_11target_archE1200ELNS1_3gpuE4ELNS1_3repE0EEENS1_30default_config_static_selectorELNS0_4arch9wavefront6targetE1EEEvT1_
		.amdhsa_group_segment_fixed_size 0
		.amdhsa_private_segment_fixed_size 0
		.amdhsa_kernarg_size 112
		.amdhsa_user_sgpr_count 2
		.amdhsa_user_sgpr_dispatch_ptr 0
		.amdhsa_user_sgpr_queue_ptr 0
		.amdhsa_user_sgpr_kernarg_segment_ptr 1
		.amdhsa_user_sgpr_dispatch_id 0
		.amdhsa_user_sgpr_kernarg_preload_length 0
		.amdhsa_user_sgpr_kernarg_preload_offset 0
		.amdhsa_user_sgpr_private_segment_size 0
		.amdhsa_uses_dynamic_stack 0
		.amdhsa_enable_private_segment 0
		.amdhsa_system_sgpr_workgroup_id_x 1
		.amdhsa_system_sgpr_workgroup_id_y 0
		.amdhsa_system_sgpr_workgroup_id_z 0
		.amdhsa_system_sgpr_workgroup_info 0
		.amdhsa_system_vgpr_workitem_id 0
		.amdhsa_next_free_vgpr 1
		.amdhsa_next_free_sgpr 0
		.amdhsa_accum_offset 4
		.amdhsa_reserve_vcc 0
		.amdhsa_float_round_mode_32 0
		.amdhsa_float_round_mode_16_64 0
		.amdhsa_float_denorm_mode_32 3
		.amdhsa_float_denorm_mode_16_64 3
		.amdhsa_dx10_clamp 1
		.amdhsa_ieee_mode 1
		.amdhsa_fp16_overflow 0
		.amdhsa_tg_split 0
		.amdhsa_exception_fp_ieee_invalid_op 0
		.amdhsa_exception_fp_denorm_src 0
		.amdhsa_exception_fp_ieee_div_zero 0
		.amdhsa_exception_fp_ieee_overflow 0
		.amdhsa_exception_fp_ieee_underflow 0
		.amdhsa_exception_fp_ieee_inexact 0
		.amdhsa_exception_int_div_zero 0
	.end_amdhsa_kernel
	.section	.text._ZN7rocprim17ROCPRIM_400000_NS6detail17trampoline_kernelINS0_14default_configENS1_27scan_by_key_config_selectorIssEEZZNS1_16scan_by_key_implILNS1_25lookback_scan_determinismE0ELb1ES3_N6thrust23THRUST_200600_302600_NS6detail15normal_iteratorINS9_10device_ptrIsEEEESE_SE_sNS9_10multipliesIsEENS9_8equal_toIsEEsEE10hipError_tPvRmT2_T3_T4_T5_mT6_T7_P12ihipStream_tbENKUlT_T0_E_clISt17integral_constantIbLb1EESY_IbLb0EEEEDaSU_SV_EUlSU_E_NS1_11comp_targetILNS1_3genE10ELNS1_11target_archE1200ELNS1_3gpuE4ELNS1_3repE0EEENS1_30default_config_static_selectorELNS0_4arch9wavefront6targetE1EEEvT1_,"axG",@progbits,_ZN7rocprim17ROCPRIM_400000_NS6detail17trampoline_kernelINS0_14default_configENS1_27scan_by_key_config_selectorIssEEZZNS1_16scan_by_key_implILNS1_25lookback_scan_determinismE0ELb1ES3_N6thrust23THRUST_200600_302600_NS6detail15normal_iteratorINS9_10device_ptrIsEEEESE_SE_sNS9_10multipliesIsEENS9_8equal_toIsEEsEE10hipError_tPvRmT2_T3_T4_T5_mT6_T7_P12ihipStream_tbENKUlT_T0_E_clISt17integral_constantIbLb1EESY_IbLb0EEEEDaSU_SV_EUlSU_E_NS1_11comp_targetILNS1_3genE10ELNS1_11target_archE1200ELNS1_3gpuE4ELNS1_3repE0EEENS1_30default_config_static_selectorELNS0_4arch9wavefront6targetE1EEEvT1_,comdat
.Lfunc_end629:
	.size	_ZN7rocprim17ROCPRIM_400000_NS6detail17trampoline_kernelINS0_14default_configENS1_27scan_by_key_config_selectorIssEEZZNS1_16scan_by_key_implILNS1_25lookback_scan_determinismE0ELb1ES3_N6thrust23THRUST_200600_302600_NS6detail15normal_iteratorINS9_10device_ptrIsEEEESE_SE_sNS9_10multipliesIsEENS9_8equal_toIsEEsEE10hipError_tPvRmT2_T3_T4_T5_mT6_T7_P12ihipStream_tbENKUlT_T0_E_clISt17integral_constantIbLb1EESY_IbLb0EEEEDaSU_SV_EUlSU_E_NS1_11comp_targetILNS1_3genE10ELNS1_11target_archE1200ELNS1_3gpuE4ELNS1_3repE0EEENS1_30default_config_static_selectorELNS0_4arch9wavefront6targetE1EEEvT1_, .Lfunc_end629-_ZN7rocprim17ROCPRIM_400000_NS6detail17trampoline_kernelINS0_14default_configENS1_27scan_by_key_config_selectorIssEEZZNS1_16scan_by_key_implILNS1_25lookback_scan_determinismE0ELb1ES3_N6thrust23THRUST_200600_302600_NS6detail15normal_iteratorINS9_10device_ptrIsEEEESE_SE_sNS9_10multipliesIsEENS9_8equal_toIsEEsEE10hipError_tPvRmT2_T3_T4_T5_mT6_T7_P12ihipStream_tbENKUlT_T0_E_clISt17integral_constantIbLb1EESY_IbLb0EEEEDaSU_SV_EUlSU_E_NS1_11comp_targetILNS1_3genE10ELNS1_11target_archE1200ELNS1_3gpuE4ELNS1_3repE0EEENS1_30default_config_static_selectorELNS0_4arch9wavefront6targetE1EEEvT1_
                                        ; -- End function
	.section	.AMDGPU.csdata,"",@progbits
; Kernel info:
; codeLenInByte = 0
; NumSgprs: 6
; NumVgprs: 0
; NumAgprs: 0
; TotalNumVgprs: 0
; ScratchSize: 0
; MemoryBound: 0
; FloatMode: 240
; IeeeMode: 1
; LDSByteSize: 0 bytes/workgroup (compile time only)
; SGPRBlocks: 0
; VGPRBlocks: 0
; NumSGPRsForWavesPerEU: 6
; NumVGPRsForWavesPerEU: 1
; AccumOffset: 4
; Occupancy: 8
; WaveLimiterHint : 0
; COMPUTE_PGM_RSRC2:SCRATCH_EN: 0
; COMPUTE_PGM_RSRC2:USER_SGPR: 2
; COMPUTE_PGM_RSRC2:TRAP_HANDLER: 0
; COMPUTE_PGM_RSRC2:TGID_X_EN: 1
; COMPUTE_PGM_RSRC2:TGID_Y_EN: 0
; COMPUTE_PGM_RSRC2:TGID_Z_EN: 0
; COMPUTE_PGM_RSRC2:TIDIG_COMP_CNT: 0
; COMPUTE_PGM_RSRC3_GFX90A:ACCUM_OFFSET: 0
; COMPUTE_PGM_RSRC3_GFX90A:TG_SPLIT: 0
	.section	.text._ZN7rocprim17ROCPRIM_400000_NS6detail17trampoline_kernelINS0_14default_configENS1_27scan_by_key_config_selectorIssEEZZNS1_16scan_by_key_implILNS1_25lookback_scan_determinismE0ELb1ES3_N6thrust23THRUST_200600_302600_NS6detail15normal_iteratorINS9_10device_ptrIsEEEESE_SE_sNS9_10multipliesIsEENS9_8equal_toIsEEsEE10hipError_tPvRmT2_T3_T4_T5_mT6_T7_P12ihipStream_tbENKUlT_T0_E_clISt17integral_constantIbLb1EESY_IbLb0EEEEDaSU_SV_EUlSU_E_NS1_11comp_targetILNS1_3genE9ELNS1_11target_archE1100ELNS1_3gpuE3ELNS1_3repE0EEENS1_30default_config_static_selectorELNS0_4arch9wavefront6targetE1EEEvT1_,"axG",@progbits,_ZN7rocprim17ROCPRIM_400000_NS6detail17trampoline_kernelINS0_14default_configENS1_27scan_by_key_config_selectorIssEEZZNS1_16scan_by_key_implILNS1_25lookback_scan_determinismE0ELb1ES3_N6thrust23THRUST_200600_302600_NS6detail15normal_iteratorINS9_10device_ptrIsEEEESE_SE_sNS9_10multipliesIsEENS9_8equal_toIsEEsEE10hipError_tPvRmT2_T3_T4_T5_mT6_T7_P12ihipStream_tbENKUlT_T0_E_clISt17integral_constantIbLb1EESY_IbLb0EEEEDaSU_SV_EUlSU_E_NS1_11comp_targetILNS1_3genE9ELNS1_11target_archE1100ELNS1_3gpuE3ELNS1_3repE0EEENS1_30default_config_static_selectorELNS0_4arch9wavefront6targetE1EEEvT1_,comdat
	.protected	_ZN7rocprim17ROCPRIM_400000_NS6detail17trampoline_kernelINS0_14default_configENS1_27scan_by_key_config_selectorIssEEZZNS1_16scan_by_key_implILNS1_25lookback_scan_determinismE0ELb1ES3_N6thrust23THRUST_200600_302600_NS6detail15normal_iteratorINS9_10device_ptrIsEEEESE_SE_sNS9_10multipliesIsEENS9_8equal_toIsEEsEE10hipError_tPvRmT2_T3_T4_T5_mT6_T7_P12ihipStream_tbENKUlT_T0_E_clISt17integral_constantIbLb1EESY_IbLb0EEEEDaSU_SV_EUlSU_E_NS1_11comp_targetILNS1_3genE9ELNS1_11target_archE1100ELNS1_3gpuE3ELNS1_3repE0EEENS1_30default_config_static_selectorELNS0_4arch9wavefront6targetE1EEEvT1_ ; -- Begin function _ZN7rocprim17ROCPRIM_400000_NS6detail17trampoline_kernelINS0_14default_configENS1_27scan_by_key_config_selectorIssEEZZNS1_16scan_by_key_implILNS1_25lookback_scan_determinismE0ELb1ES3_N6thrust23THRUST_200600_302600_NS6detail15normal_iteratorINS9_10device_ptrIsEEEESE_SE_sNS9_10multipliesIsEENS9_8equal_toIsEEsEE10hipError_tPvRmT2_T3_T4_T5_mT6_T7_P12ihipStream_tbENKUlT_T0_E_clISt17integral_constantIbLb1EESY_IbLb0EEEEDaSU_SV_EUlSU_E_NS1_11comp_targetILNS1_3genE9ELNS1_11target_archE1100ELNS1_3gpuE3ELNS1_3repE0EEENS1_30default_config_static_selectorELNS0_4arch9wavefront6targetE1EEEvT1_
	.globl	_ZN7rocprim17ROCPRIM_400000_NS6detail17trampoline_kernelINS0_14default_configENS1_27scan_by_key_config_selectorIssEEZZNS1_16scan_by_key_implILNS1_25lookback_scan_determinismE0ELb1ES3_N6thrust23THRUST_200600_302600_NS6detail15normal_iteratorINS9_10device_ptrIsEEEESE_SE_sNS9_10multipliesIsEENS9_8equal_toIsEEsEE10hipError_tPvRmT2_T3_T4_T5_mT6_T7_P12ihipStream_tbENKUlT_T0_E_clISt17integral_constantIbLb1EESY_IbLb0EEEEDaSU_SV_EUlSU_E_NS1_11comp_targetILNS1_3genE9ELNS1_11target_archE1100ELNS1_3gpuE3ELNS1_3repE0EEENS1_30default_config_static_selectorELNS0_4arch9wavefront6targetE1EEEvT1_
	.p2align	8
	.type	_ZN7rocprim17ROCPRIM_400000_NS6detail17trampoline_kernelINS0_14default_configENS1_27scan_by_key_config_selectorIssEEZZNS1_16scan_by_key_implILNS1_25lookback_scan_determinismE0ELb1ES3_N6thrust23THRUST_200600_302600_NS6detail15normal_iteratorINS9_10device_ptrIsEEEESE_SE_sNS9_10multipliesIsEENS9_8equal_toIsEEsEE10hipError_tPvRmT2_T3_T4_T5_mT6_T7_P12ihipStream_tbENKUlT_T0_E_clISt17integral_constantIbLb1EESY_IbLb0EEEEDaSU_SV_EUlSU_E_NS1_11comp_targetILNS1_3genE9ELNS1_11target_archE1100ELNS1_3gpuE3ELNS1_3repE0EEENS1_30default_config_static_selectorELNS0_4arch9wavefront6targetE1EEEvT1_,@function
_ZN7rocprim17ROCPRIM_400000_NS6detail17trampoline_kernelINS0_14default_configENS1_27scan_by_key_config_selectorIssEEZZNS1_16scan_by_key_implILNS1_25lookback_scan_determinismE0ELb1ES3_N6thrust23THRUST_200600_302600_NS6detail15normal_iteratorINS9_10device_ptrIsEEEESE_SE_sNS9_10multipliesIsEENS9_8equal_toIsEEsEE10hipError_tPvRmT2_T3_T4_T5_mT6_T7_P12ihipStream_tbENKUlT_T0_E_clISt17integral_constantIbLb1EESY_IbLb0EEEEDaSU_SV_EUlSU_E_NS1_11comp_targetILNS1_3genE9ELNS1_11target_archE1100ELNS1_3gpuE3ELNS1_3repE0EEENS1_30default_config_static_selectorELNS0_4arch9wavefront6targetE1EEEvT1_: ; @_ZN7rocprim17ROCPRIM_400000_NS6detail17trampoline_kernelINS0_14default_configENS1_27scan_by_key_config_selectorIssEEZZNS1_16scan_by_key_implILNS1_25lookback_scan_determinismE0ELb1ES3_N6thrust23THRUST_200600_302600_NS6detail15normal_iteratorINS9_10device_ptrIsEEEESE_SE_sNS9_10multipliesIsEENS9_8equal_toIsEEsEE10hipError_tPvRmT2_T3_T4_T5_mT6_T7_P12ihipStream_tbENKUlT_T0_E_clISt17integral_constantIbLb1EESY_IbLb0EEEEDaSU_SV_EUlSU_E_NS1_11comp_targetILNS1_3genE9ELNS1_11target_archE1100ELNS1_3gpuE3ELNS1_3repE0EEENS1_30default_config_static_selectorELNS0_4arch9wavefront6targetE1EEEvT1_
; %bb.0:
	.section	.rodata,"a",@progbits
	.p2align	6, 0x0
	.amdhsa_kernel _ZN7rocprim17ROCPRIM_400000_NS6detail17trampoline_kernelINS0_14default_configENS1_27scan_by_key_config_selectorIssEEZZNS1_16scan_by_key_implILNS1_25lookback_scan_determinismE0ELb1ES3_N6thrust23THRUST_200600_302600_NS6detail15normal_iteratorINS9_10device_ptrIsEEEESE_SE_sNS9_10multipliesIsEENS9_8equal_toIsEEsEE10hipError_tPvRmT2_T3_T4_T5_mT6_T7_P12ihipStream_tbENKUlT_T0_E_clISt17integral_constantIbLb1EESY_IbLb0EEEEDaSU_SV_EUlSU_E_NS1_11comp_targetILNS1_3genE9ELNS1_11target_archE1100ELNS1_3gpuE3ELNS1_3repE0EEENS1_30default_config_static_selectorELNS0_4arch9wavefront6targetE1EEEvT1_
		.amdhsa_group_segment_fixed_size 0
		.amdhsa_private_segment_fixed_size 0
		.amdhsa_kernarg_size 112
		.amdhsa_user_sgpr_count 2
		.amdhsa_user_sgpr_dispatch_ptr 0
		.amdhsa_user_sgpr_queue_ptr 0
		.amdhsa_user_sgpr_kernarg_segment_ptr 1
		.amdhsa_user_sgpr_dispatch_id 0
		.amdhsa_user_sgpr_kernarg_preload_length 0
		.amdhsa_user_sgpr_kernarg_preload_offset 0
		.amdhsa_user_sgpr_private_segment_size 0
		.amdhsa_uses_dynamic_stack 0
		.amdhsa_enable_private_segment 0
		.amdhsa_system_sgpr_workgroup_id_x 1
		.amdhsa_system_sgpr_workgroup_id_y 0
		.amdhsa_system_sgpr_workgroup_id_z 0
		.amdhsa_system_sgpr_workgroup_info 0
		.amdhsa_system_vgpr_workitem_id 0
		.amdhsa_next_free_vgpr 1
		.amdhsa_next_free_sgpr 0
		.amdhsa_accum_offset 4
		.amdhsa_reserve_vcc 0
		.amdhsa_float_round_mode_32 0
		.amdhsa_float_round_mode_16_64 0
		.amdhsa_float_denorm_mode_32 3
		.amdhsa_float_denorm_mode_16_64 3
		.amdhsa_dx10_clamp 1
		.amdhsa_ieee_mode 1
		.amdhsa_fp16_overflow 0
		.amdhsa_tg_split 0
		.amdhsa_exception_fp_ieee_invalid_op 0
		.amdhsa_exception_fp_denorm_src 0
		.amdhsa_exception_fp_ieee_div_zero 0
		.amdhsa_exception_fp_ieee_overflow 0
		.amdhsa_exception_fp_ieee_underflow 0
		.amdhsa_exception_fp_ieee_inexact 0
		.amdhsa_exception_int_div_zero 0
	.end_amdhsa_kernel
	.section	.text._ZN7rocprim17ROCPRIM_400000_NS6detail17trampoline_kernelINS0_14default_configENS1_27scan_by_key_config_selectorIssEEZZNS1_16scan_by_key_implILNS1_25lookback_scan_determinismE0ELb1ES3_N6thrust23THRUST_200600_302600_NS6detail15normal_iteratorINS9_10device_ptrIsEEEESE_SE_sNS9_10multipliesIsEENS9_8equal_toIsEEsEE10hipError_tPvRmT2_T3_T4_T5_mT6_T7_P12ihipStream_tbENKUlT_T0_E_clISt17integral_constantIbLb1EESY_IbLb0EEEEDaSU_SV_EUlSU_E_NS1_11comp_targetILNS1_3genE9ELNS1_11target_archE1100ELNS1_3gpuE3ELNS1_3repE0EEENS1_30default_config_static_selectorELNS0_4arch9wavefront6targetE1EEEvT1_,"axG",@progbits,_ZN7rocprim17ROCPRIM_400000_NS6detail17trampoline_kernelINS0_14default_configENS1_27scan_by_key_config_selectorIssEEZZNS1_16scan_by_key_implILNS1_25lookback_scan_determinismE0ELb1ES3_N6thrust23THRUST_200600_302600_NS6detail15normal_iteratorINS9_10device_ptrIsEEEESE_SE_sNS9_10multipliesIsEENS9_8equal_toIsEEsEE10hipError_tPvRmT2_T3_T4_T5_mT6_T7_P12ihipStream_tbENKUlT_T0_E_clISt17integral_constantIbLb1EESY_IbLb0EEEEDaSU_SV_EUlSU_E_NS1_11comp_targetILNS1_3genE9ELNS1_11target_archE1100ELNS1_3gpuE3ELNS1_3repE0EEENS1_30default_config_static_selectorELNS0_4arch9wavefront6targetE1EEEvT1_,comdat
.Lfunc_end630:
	.size	_ZN7rocprim17ROCPRIM_400000_NS6detail17trampoline_kernelINS0_14default_configENS1_27scan_by_key_config_selectorIssEEZZNS1_16scan_by_key_implILNS1_25lookback_scan_determinismE0ELb1ES3_N6thrust23THRUST_200600_302600_NS6detail15normal_iteratorINS9_10device_ptrIsEEEESE_SE_sNS9_10multipliesIsEENS9_8equal_toIsEEsEE10hipError_tPvRmT2_T3_T4_T5_mT6_T7_P12ihipStream_tbENKUlT_T0_E_clISt17integral_constantIbLb1EESY_IbLb0EEEEDaSU_SV_EUlSU_E_NS1_11comp_targetILNS1_3genE9ELNS1_11target_archE1100ELNS1_3gpuE3ELNS1_3repE0EEENS1_30default_config_static_selectorELNS0_4arch9wavefront6targetE1EEEvT1_, .Lfunc_end630-_ZN7rocprim17ROCPRIM_400000_NS6detail17trampoline_kernelINS0_14default_configENS1_27scan_by_key_config_selectorIssEEZZNS1_16scan_by_key_implILNS1_25lookback_scan_determinismE0ELb1ES3_N6thrust23THRUST_200600_302600_NS6detail15normal_iteratorINS9_10device_ptrIsEEEESE_SE_sNS9_10multipliesIsEENS9_8equal_toIsEEsEE10hipError_tPvRmT2_T3_T4_T5_mT6_T7_P12ihipStream_tbENKUlT_T0_E_clISt17integral_constantIbLb1EESY_IbLb0EEEEDaSU_SV_EUlSU_E_NS1_11comp_targetILNS1_3genE9ELNS1_11target_archE1100ELNS1_3gpuE3ELNS1_3repE0EEENS1_30default_config_static_selectorELNS0_4arch9wavefront6targetE1EEEvT1_
                                        ; -- End function
	.section	.AMDGPU.csdata,"",@progbits
; Kernel info:
; codeLenInByte = 0
; NumSgprs: 6
; NumVgprs: 0
; NumAgprs: 0
; TotalNumVgprs: 0
; ScratchSize: 0
; MemoryBound: 0
; FloatMode: 240
; IeeeMode: 1
; LDSByteSize: 0 bytes/workgroup (compile time only)
; SGPRBlocks: 0
; VGPRBlocks: 0
; NumSGPRsForWavesPerEU: 6
; NumVGPRsForWavesPerEU: 1
; AccumOffset: 4
; Occupancy: 8
; WaveLimiterHint : 0
; COMPUTE_PGM_RSRC2:SCRATCH_EN: 0
; COMPUTE_PGM_RSRC2:USER_SGPR: 2
; COMPUTE_PGM_RSRC2:TRAP_HANDLER: 0
; COMPUTE_PGM_RSRC2:TGID_X_EN: 1
; COMPUTE_PGM_RSRC2:TGID_Y_EN: 0
; COMPUTE_PGM_RSRC2:TGID_Z_EN: 0
; COMPUTE_PGM_RSRC2:TIDIG_COMP_CNT: 0
; COMPUTE_PGM_RSRC3_GFX90A:ACCUM_OFFSET: 0
; COMPUTE_PGM_RSRC3_GFX90A:TG_SPLIT: 0
	.section	.text._ZN7rocprim17ROCPRIM_400000_NS6detail17trampoline_kernelINS0_14default_configENS1_27scan_by_key_config_selectorIssEEZZNS1_16scan_by_key_implILNS1_25lookback_scan_determinismE0ELb1ES3_N6thrust23THRUST_200600_302600_NS6detail15normal_iteratorINS9_10device_ptrIsEEEESE_SE_sNS9_10multipliesIsEENS9_8equal_toIsEEsEE10hipError_tPvRmT2_T3_T4_T5_mT6_T7_P12ihipStream_tbENKUlT_T0_E_clISt17integral_constantIbLb1EESY_IbLb0EEEEDaSU_SV_EUlSU_E_NS1_11comp_targetILNS1_3genE8ELNS1_11target_archE1030ELNS1_3gpuE2ELNS1_3repE0EEENS1_30default_config_static_selectorELNS0_4arch9wavefront6targetE1EEEvT1_,"axG",@progbits,_ZN7rocprim17ROCPRIM_400000_NS6detail17trampoline_kernelINS0_14default_configENS1_27scan_by_key_config_selectorIssEEZZNS1_16scan_by_key_implILNS1_25lookback_scan_determinismE0ELb1ES3_N6thrust23THRUST_200600_302600_NS6detail15normal_iteratorINS9_10device_ptrIsEEEESE_SE_sNS9_10multipliesIsEENS9_8equal_toIsEEsEE10hipError_tPvRmT2_T3_T4_T5_mT6_T7_P12ihipStream_tbENKUlT_T0_E_clISt17integral_constantIbLb1EESY_IbLb0EEEEDaSU_SV_EUlSU_E_NS1_11comp_targetILNS1_3genE8ELNS1_11target_archE1030ELNS1_3gpuE2ELNS1_3repE0EEENS1_30default_config_static_selectorELNS0_4arch9wavefront6targetE1EEEvT1_,comdat
	.protected	_ZN7rocprim17ROCPRIM_400000_NS6detail17trampoline_kernelINS0_14default_configENS1_27scan_by_key_config_selectorIssEEZZNS1_16scan_by_key_implILNS1_25lookback_scan_determinismE0ELb1ES3_N6thrust23THRUST_200600_302600_NS6detail15normal_iteratorINS9_10device_ptrIsEEEESE_SE_sNS9_10multipliesIsEENS9_8equal_toIsEEsEE10hipError_tPvRmT2_T3_T4_T5_mT6_T7_P12ihipStream_tbENKUlT_T0_E_clISt17integral_constantIbLb1EESY_IbLb0EEEEDaSU_SV_EUlSU_E_NS1_11comp_targetILNS1_3genE8ELNS1_11target_archE1030ELNS1_3gpuE2ELNS1_3repE0EEENS1_30default_config_static_selectorELNS0_4arch9wavefront6targetE1EEEvT1_ ; -- Begin function _ZN7rocprim17ROCPRIM_400000_NS6detail17trampoline_kernelINS0_14default_configENS1_27scan_by_key_config_selectorIssEEZZNS1_16scan_by_key_implILNS1_25lookback_scan_determinismE0ELb1ES3_N6thrust23THRUST_200600_302600_NS6detail15normal_iteratorINS9_10device_ptrIsEEEESE_SE_sNS9_10multipliesIsEENS9_8equal_toIsEEsEE10hipError_tPvRmT2_T3_T4_T5_mT6_T7_P12ihipStream_tbENKUlT_T0_E_clISt17integral_constantIbLb1EESY_IbLb0EEEEDaSU_SV_EUlSU_E_NS1_11comp_targetILNS1_3genE8ELNS1_11target_archE1030ELNS1_3gpuE2ELNS1_3repE0EEENS1_30default_config_static_selectorELNS0_4arch9wavefront6targetE1EEEvT1_
	.globl	_ZN7rocprim17ROCPRIM_400000_NS6detail17trampoline_kernelINS0_14default_configENS1_27scan_by_key_config_selectorIssEEZZNS1_16scan_by_key_implILNS1_25lookback_scan_determinismE0ELb1ES3_N6thrust23THRUST_200600_302600_NS6detail15normal_iteratorINS9_10device_ptrIsEEEESE_SE_sNS9_10multipliesIsEENS9_8equal_toIsEEsEE10hipError_tPvRmT2_T3_T4_T5_mT6_T7_P12ihipStream_tbENKUlT_T0_E_clISt17integral_constantIbLb1EESY_IbLb0EEEEDaSU_SV_EUlSU_E_NS1_11comp_targetILNS1_3genE8ELNS1_11target_archE1030ELNS1_3gpuE2ELNS1_3repE0EEENS1_30default_config_static_selectorELNS0_4arch9wavefront6targetE1EEEvT1_
	.p2align	8
	.type	_ZN7rocprim17ROCPRIM_400000_NS6detail17trampoline_kernelINS0_14default_configENS1_27scan_by_key_config_selectorIssEEZZNS1_16scan_by_key_implILNS1_25lookback_scan_determinismE0ELb1ES3_N6thrust23THRUST_200600_302600_NS6detail15normal_iteratorINS9_10device_ptrIsEEEESE_SE_sNS9_10multipliesIsEENS9_8equal_toIsEEsEE10hipError_tPvRmT2_T3_T4_T5_mT6_T7_P12ihipStream_tbENKUlT_T0_E_clISt17integral_constantIbLb1EESY_IbLb0EEEEDaSU_SV_EUlSU_E_NS1_11comp_targetILNS1_3genE8ELNS1_11target_archE1030ELNS1_3gpuE2ELNS1_3repE0EEENS1_30default_config_static_selectorELNS0_4arch9wavefront6targetE1EEEvT1_,@function
_ZN7rocprim17ROCPRIM_400000_NS6detail17trampoline_kernelINS0_14default_configENS1_27scan_by_key_config_selectorIssEEZZNS1_16scan_by_key_implILNS1_25lookback_scan_determinismE0ELb1ES3_N6thrust23THRUST_200600_302600_NS6detail15normal_iteratorINS9_10device_ptrIsEEEESE_SE_sNS9_10multipliesIsEENS9_8equal_toIsEEsEE10hipError_tPvRmT2_T3_T4_T5_mT6_T7_P12ihipStream_tbENKUlT_T0_E_clISt17integral_constantIbLb1EESY_IbLb0EEEEDaSU_SV_EUlSU_E_NS1_11comp_targetILNS1_3genE8ELNS1_11target_archE1030ELNS1_3gpuE2ELNS1_3repE0EEENS1_30default_config_static_selectorELNS0_4arch9wavefront6targetE1EEEvT1_: ; @_ZN7rocprim17ROCPRIM_400000_NS6detail17trampoline_kernelINS0_14default_configENS1_27scan_by_key_config_selectorIssEEZZNS1_16scan_by_key_implILNS1_25lookback_scan_determinismE0ELb1ES3_N6thrust23THRUST_200600_302600_NS6detail15normal_iteratorINS9_10device_ptrIsEEEESE_SE_sNS9_10multipliesIsEENS9_8equal_toIsEEsEE10hipError_tPvRmT2_T3_T4_T5_mT6_T7_P12ihipStream_tbENKUlT_T0_E_clISt17integral_constantIbLb1EESY_IbLb0EEEEDaSU_SV_EUlSU_E_NS1_11comp_targetILNS1_3genE8ELNS1_11target_archE1030ELNS1_3gpuE2ELNS1_3repE0EEENS1_30default_config_static_selectorELNS0_4arch9wavefront6targetE1EEEvT1_
; %bb.0:
	.section	.rodata,"a",@progbits
	.p2align	6, 0x0
	.amdhsa_kernel _ZN7rocprim17ROCPRIM_400000_NS6detail17trampoline_kernelINS0_14default_configENS1_27scan_by_key_config_selectorIssEEZZNS1_16scan_by_key_implILNS1_25lookback_scan_determinismE0ELb1ES3_N6thrust23THRUST_200600_302600_NS6detail15normal_iteratorINS9_10device_ptrIsEEEESE_SE_sNS9_10multipliesIsEENS9_8equal_toIsEEsEE10hipError_tPvRmT2_T3_T4_T5_mT6_T7_P12ihipStream_tbENKUlT_T0_E_clISt17integral_constantIbLb1EESY_IbLb0EEEEDaSU_SV_EUlSU_E_NS1_11comp_targetILNS1_3genE8ELNS1_11target_archE1030ELNS1_3gpuE2ELNS1_3repE0EEENS1_30default_config_static_selectorELNS0_4arch9wavefront6targetE1EEEvT1_
		.amdhsa_group_segment_fixed_size 0
		.amdhsa_private_segment_fixed_size 0
		.amdhsa_kernarg_size 112
		.amdhsa_user_sgpr_count 2
		.amdhsa_user_sgpr_dispatch_ptr 0
		.amdhsa_user_sgpr_queue_ptr 0
		.amdhsa_user_sgpr_kernarg_segment_ptr 1
		.amdhsa_user_sgpr_dispatch_id 0
		.amdhsa_user_sgpr_kernarg_preload_length 0
		.amdhsa_user_sgpr_kernarg_preload_offset 0
		.amdhsa_user_sgpr_private_segment_size 0
		.amdhsa_uses_dynamic_stack 0
		.amdhsa_enable_private_segment 0
		.amdhsa_system_sgpr_workgroup_id_x 1
		.amdhsa_system_sgpr_workgroup_id_y 0
		.amdhsa_system_sgpr_workgroup_id_z 0
		.amdhsa_system_sgpr_workgroup_info 0
		.amdhsa_system_vgpr_workitem_id 0
		.amdhsa_next_free_vgpr 1
		.amdhsa_next_free_sgpr 0
		.amdhsa_accum_offset 4
		.amdhsa_reserve_vcc 0
		.amdhsa_float_round_mode_32 0
		.amdhsa_float_round_mode_16_64 0
		.amdhsa_float_denorm_mode_32 3
		.amdhsa_float_denorm_mode_16_64 3
		.amdhsa_dx10_clamp 1
		.amdhsa_ieee_mode 1
		.amdhsa_fp16_overflow 0
		.amdhsa_tg_split 0
		.amdhsa_exception_fp_ieee_invalid_op 0
		.amdhsa_exception_fp_denorm_src 0
		.amdhsa_exception_fp_ieee_div_zero 0
		.amdhsa_exception_fp_ieee_overflow 0
		.amdhsa_exception_fp_ieee_underflow 0
		.amdhsa_exception_fp_ieee_inexact 0
		.amdhsa_exception_int_div_zero 0
	.end_amdhsa_kernel
	.section	.text._ZN7rocprim17ROCPRIM_400000_NS6detail17trampoline_kernelINS0_14default_configENS1_27scan_by_key_config_selectorIssEEZZNS1_16scan_by_key_implILNS1_25lookback_scan_determinismE0ELb1ES3_N6thrust23THRUST_200600_302600_NS6detail15normal_iteratorINS9_10device_ptrIsEEEESE_SE_sNS9_10multipliesIsEENS9_8equal_toIsEEsEE10hipError_tPvRmT2_T3_T4_T5_mT6_T7_P12ihipStream_tbENKUlT_T0_E_clISt17integral_constantIbLb1EESY_IbLb0EEEEDaSU_SV_EUlSU_E_NS1_11comp_targetILNS1_3genE8ELNS1_11target_archE1030ELNS1_3gpuE2ELNS1_3repE0EEENS1_30default_config_static_selectorELNS0_4arch9wavefront6targetE1EEEvT1_,"axG",@progbits,_ZN7rocprim17ROCPRIM_400000_NS6detail17trampoline_kernelINS0_14default_configENS1_27scan_by_key_config_selectorIssEEZZNS1_16scan_by_key_implILNS1_25lookback_scan_determinismE0ELb1ES3_N6thrust23THRUST_200600_302600_NS6detail15normal_iteratorINS9_10device_ptrIsEEEESE_SE_sNS9_10multipliesIsEENS9_8equal_toIsEEsEE10hipError_tPvRmT2_T3_T4_T5_mT6_T7_P12ihipStream_tbENKUlT_T0_E_clISt17integral_constantIbLb1EESY_IbLb0EEEEDaSU_SV_EUlSU_E_NS1_11comp_targetILNS1_3genE8ELNS1_11target_archE1030ELNS1_3gpuE2ELNS1_3repE0EEENS1_30default_config_static_selectorELNS0_4arch9wavefront6targetE1EEEvT1_,comdat
.Lfunc_end631:
	.size	_ZN7rocprim17ROCPRIM_400000_NS6detail17trampoline_kernelINS0_14default_configENS1_27scan_by_key_config_selectorIssEEZZNS1_16scan_by_key_implILNS1_25lookback_scan_determinismE0ELb1ES3_N6thrust23THRUST_200600_302600_NS6detail15normal_iteratorINS9_10device_ptrIsEEEESE_SE_sNS9_10multipliesIsEENS9_8equal_toIsEEsEE10hipError_tPvRmT2_T3_T4_T5_mT6_T7_P12ihipStream_tbENKUlT_T0_E_clISt17integral_constantIbLb1EESY_IbLb0EEEEDaSU_SV_EUlSU_E_NS1_11comp_targetILNS1_3genE8ELNS1_11target_archE1030ELNS1_3gpuE2ELNS1_3repE0EEENS1_30default_config_static_selectorELNS0_4arch9wavefront6targetE1EEEvT1_, .Lfunc_end631-_ZN7rocprim17ROCPRIM_400000_NS6detail17trampoline_kernelINS0_14default_configENS1_27scan_by_key_config_selectorIssEEZZNS1_16scan_by_key_implILNS1_25lookback_scan_determinismE0ELb1ES3_N6thrust23THRUST_200600_302600_NS6detail15normal_iteratorINS9_10device_ptrIsEEEESE_SE_sNS9_10multipliesIsEENS9_8equal_toIsEEsEE10hipError_tPvRmT2_T3_T4_T5_mT6_T7_P12ihipStream_tbENKUlT_T0_E_clISt17integral_constantIbLb1EESY_IbLb0EEEEDaSU_SV_EUlSU_E_NS1_11comp_targetILNS1_3genE8ELNS1_11target_archE1030ELNS1_3gpuE2ELNS1_3repE0EEENS1_30default_config_static_selectorELNS0_4arch9wavefront6targetE1EEEvT1_
                                        ; -- End function
	.section	.AMDGPU.csdata,"",@progbits
; Kernel info:
; codeLenInByte = 0
; NumSgprs: 6
; NumVgprs: 0
; NumAgprs: 0
; TotalNumVgprs: 0
; ScratchSize: 0
; MemoryBound: 0
; FloatMode: 240
; IeeeMode: 1
; LDSByteSize: 0 bytes/workgroup (compile time only)
; SGPRBlocks: 0
; VGPRBlocks: 0
; NumSGPRsForWavesPerEU: 6
; NumVGPRsForWavesPerEU: 1
; AccumOffset: 4
; Occupancy: 8
; WaveLimiterHint : 0
; COMPUTE_PGM_RSRC2:SCRATCH_EN: 0
; COMPUTE_PGM_RSRC2:USER_SGPR: 2
; COMPUTE_PGM_RSRC2:TRAP_HANDLER: 0
; COMPUTE_PGM_RSRC2:TGID_X_EN: 1
; COMPUTE_PGM_RSRC2:TGID_Y_EN: 0
; COMPUTE_PGM_RSRC2:TGID_Z_EN: 0
; COMPUTE_PGM_RSRC2:TIDIG_COMP_CNT: 0
; COMPUTE_PGM_RSRC3_GFX90A:ACCUM_OFFSET: 0
; COMPUTE_PGM_RSRC3_GFX90A:TG_SPLIT: 0
	.section	.text._ZN7rocprim17ROCPRIM_400000_NS6detail17trampoline_kernelINS0_14default_configENS1_27scan_by_key_config_selectorIssEEZZNS1_16scan_by_key_implILNS1_25lookback_scan_determinismE0ELb1ES3_N6thrust23THRUST_200600_302600_NS6detail15normal_iteratorINS9_10device_ptrIsEEEESE_SE_sNS9_10multipliesIsEENS9_8equal_toIsEEsEE10hipError_tPvRmT2_T3_T4_T5_mT6_T7_P12ihipStream_tbENKUlT_T0_E_clISt17integral_constantIbLb0EESY_IbLb1EEEEDaSU_SV_EUlSU_E_NS1_11comp_targetILNS1_3genE0ELNS1_11target_archE4294967295ELNS1_3gpuE0ELNS1_3repE0EEENS1_30default_config_static_selectorELNS0_4arch9wavefront6targetE1EEEvT1_,"axG",@progbits,_ZN7rocprim17ROCPRIM_400000_NS6detail17trampoline_kernelINS0_14default_configENS1_27scan_by_key_config_selectorIssEEZZNS1_16scan_by_key_implILNS1_25lookback_scan_determinismE0ELb1ES3_N6thrust23THRUST_200600_302600_NS6detail15normal_iteratorINS9_10device_ptrIsEEEESE_SE_sNS9_10multipliesIsEENS9_8equal_toIsEEsEE10hipError_tPvRmT2_T3_T4_T5_mT6_T7_P12ihipStream_tbENKUlT_T0_E_clISt17integral_constantIbLb0EESY_IbLb1EEEEDaSU_SV_EUlSU_E_NS1_11comp_targetILNS1_3genE0ELNS1_11target_archE4294967295ELNS1_3gpuE0ELNS1_3repE0EEENS1_30default_config_static_selectorELNS0_4arch9wavefront6targetE1EEEvT1_,comdat
	.protected	_ZN7rocprim17ROCPRIM_400000_NS6detail17trampoline_kernelINS0_14default_configENS1_27scan_by_key_config_selectorIssEEZZNS1_16scan_by_key_implILNS1_25lookback_scan_determinismE0ELb1ES3_N6thrust23THRUST_200600_302600_NS6detail15normal_iteratorINS9_10device_ptrIsEEEESE_SE_sNS9_10multipliesIsEENS9_8equal_toIsEEsEE10hipError_tPvRmT2_T3_T4_T5_mT6_T7_P12ihipStream_tbENKUlT_T0_E_clISt17integral_constantIbLb0EESY_IbLb1EEEEDaSU_SV_EUlSU_E_NS1_11comp_targetILNS1_3genE0ELNS1_11target_archE4294967295ELNS1_3gpuE0ELNS1_3repE0EEENS1_30default_config_static_selectorELNS0_4arch9wavefront6targetE1EEEvT1_ ; -- Begin function _ZN7rocprim17ROCPRIM_400000_NS6detail17trampoline_kernelINS0_14default_configENS1_27scan_by_key_config_selectorIssEEZZNS1_16scan_by_key_implILNS1_25lookback_scan_determinismE0ELb1ES3_N6thrust23THRUST_200600_302600_NS6detail15normal_iteratorINS9_10device_ptrIsEEEESE_SE_sNS9_10multipliesIsEENS9_8equal_toIsEEsEE10hipError_tPvRmT2_T3_T4_T5_mT6_T7_P12ihipStream_tbENKUlT_T0_E_clISt17integral_constantIbLb0EESY_IbLb1EEEEDaSU_SV_EUlSU_E_NS1_11comp_targetILNS1_3genE0ELNS1_11target_archE4294967295ELNS1_3gpuE0ELNS1_3repE0EEENS1_30default_config_static_selectorELNS0_4arch9wavefront6targetE1EEEvT1_
	.globl	_ZN7rocprim17ROCPRIM_400000_NS6detail17trampoline_kernelINS0_14default_configENS1_27scan_by_key_config_selectorIssEEZZNS1_16scan_by_key_implILNS1_25lookback_scan_determinismE0ELb1ES3_N6thrust23THRUST_200600_302600_NS6detail15normal_iteratorINS9_10device_ptrIsEEEESE_SE_sNS9_10multipliesIsEENS9_8equal_toIsEEsEE10hipError_tPvRmT2_T3_T4_T5_mT6_T7_P12ihipStream_tbENKUlT_T0_E_clISt17integral_constantIbLb0EESY_IbLb1EEEEDaSU_SV_EUlSU_E_NS1_11comp_targetILNS1_3genE0ELNS1_11target_archE4294967295ELNS1_3gpuE0ELNS1_3repE0EEENS1_30default_config_static_selectorELNS0_4arch9wavefront6targetE1EEEvT1_
	.p2align	8
	.type	_ZN7rocprim17ROCPRIM_400000_NS6detail17trampoline_kernelINS0_14default_configENS1_27scan_by_key_config_selectorIssEEZZNS1_16scan_by_key_implILNS1_25lookback_scan_determinismE0ELb1ES3_N6thrust23THRUST_200600_302600_NS6detail15normal_iteratorINS9_10device_ptrIsEEEESE_SE_sNS9_10multipliesIsEENS9_8equal_toIsEEsEE10hipError_tPvRmT2_T3_T4_T5_mT6_T7_P12ihipStream_tbENKUlT_T0_E_clISt17integral_constantIbLb0EESY_IbLb1EEEEDaSU_SV_EUlSU_E_NS1_11comp_targetILNS1_3genE0ELNS1_11target_archE4294967295ELNS1_3gpuE0ELNS1_3repE0EEENS1_30default_config_static_selectorELNS0_4arch9wavefront6targetE1EEEvT1_,@function
_ZN7rocprim17ROCPRIM_400000_NS6detail17trampoline_kernelINS0_14default_configENS1_27scan_by_key_config_selectorIssEEZZNS1_16scan_by_key_implILNS1_25lookback_scan_determinismE0ELb1ES3_N6thrust23THRUST_200600_302600_NS6detail15normal_iteratorINS9_10device_ptrIsEEEESE_SE_sNS9_10multipliesIsEENS9_8equal_toIsEEsEE10hipError_tPvRmT2_T3_T4_T5_mT6_T7_P12ihipStream_tbENKUlT_T0_E_clISt17integral_constantIbLb0EESY_IbLb1EEEEDaSU_SV_EUlSU_E_NS1_11comp_targetILNS1_3genE0ELNS1_11target_archE4294967295ELNS1_3gpuE0ELNS1_3repE0EEENS1_30default_config_static_selectorELNS0_4arch9wavefront6targetE1EEEvT1_: ; @_ZN7rocprim17ROCPRIM_400000_NS6detail17trampoline_kernelINS0_14default_configENS1_27scan_by_key_config_selectorIssEEZZNS1_16scan_by_key_implILNS1_25lookback_scan_determinismE0ELb1ES3_N6thrust23THRUST_200600_302600_NS6detail15normal_iteratorINS9_10device_ptrIsEEEESE_SE_sNS9_10multipliesIsEENS9_8equal_toIsEEsEE10hipError_tPvRmT2_T3_T4_T5_mT6_T7_P12ihipStream_tbENKUlT_T0_E_clISt17integral_constantIbLb0EESY_IbLb1EEEEDaSU_SV_EUlSU_E_NS1_11comp_targetILNS1_3genE0ELNS1_11target_archE4294967295ELNS1_3gpuE0ELNS1_3repE0EEENS1_30default_config_static_selectorELNS0_4arch9wavefront6targetE1EEEvT1_
; %bb.0:
	.section	.rodata,"a",@progbits
	.p2align	6, 0x0
	.amdhsa_kernel _ZN7rocprim17ROCPRIM_400000_NS6detail17trampoline_kernelINS0_14default_configENS1_27scan_by_key_config_selectorIssEEZZNS1_16scan_by_key_implILNS1_25lookback_scan_determinismE0ELb1ES3_N6thrust23THRUST_200600_302600_NS6detail15normal_iteratorINS9_10device_ptrIsEEEESE_SE_sNS9_10multipliesIsEENS9_8equal_toIsEEsEE10hipError_tPvRmT2_T3_T4_T5_mT6_T7_P12ihipStream_tbENKUlT_T0_E_clISt17integral_constantIbLb0EESY_IbLb1EEEEDaSU_SV_EUlSU_E_NS1_11comp_targetILNS1_3genE0ELNS1_11target_archE4294967295ELNS1_3gpuE0ELNS1_3repE0EEENS1_30default_config_static_selectorELNS0_4arch9wavefront6targetE1EEEvT1_
		.amdhsa_group_segment_fixed_size 0
		.amdhsa_private_segment_fixed_size 0
		.amdhsa_kernarg_size 112
		.amdhsa_user_sgpr_count 2
		.amdhsa_user_sgpr_dispatch_ptr 0
		.amdhsa_user_sgpr_queue_ptr 0
		.amdhsa_user_sgpr_kernarg_segment_ptr 1
		.amdhsa_user_sgpr_dispatch_id 0
		.amdhsa_user_sgpr_kernarg_preload_length 0
		.amdhsa_user_sgpr_kernarg_preload_offset 0
		.amdhsa_user_sgpr_private_segment_size 0
		.amdhsa_uses_dynamic_stack 0
		.amdhsa_enable_private_segment 0
		.amdhsa_system_sgpr_workgroup_id_x 1
		.amdhsa_system_sgpr_workgroup_id_y 0
		.amdhsa_system_sgpr_workgroup_id_z 0
		.amdhsa_system_sgpr_workgroup_info 0
		.amdhsa_system_vgpr_workitem_id 0
		.amdhsa_next_free_vgpr 1
		.amdhsa_next_free_sgpr 0
		.amdhsa_accum_offset 4
		.amdhsa_reserve_vcc 0
		.amdhsa_float_round_mode_32 0
		.amdhsa_float_round_mode_16_64 0
		.amdhsa_float_denorm_mode_32 3
		.amdhsa_float_denorm_mode_16_64 3
		.amdhsa_dx10_clamp 1
		.amdhsa_ieee_mode 1
		.amdhsa_fp16_overflow 0
		.amdhsa_tg_split 0
		.amdhsa_exception_fp_ieee_invalid_op 0
		.amdhsa_exception_fp_denorm_src 0
		.amdhsa_exception_fp_ieee_div_zero 0
		.amdhsa_exception_fp_ieee_overflow 0
		.amdhsa_exception_fp_ieee_underflow 0
		.amdhsa_exception_fp_ieee_inexact 0
		.amdhsa_exception_int_div_zero 0
	.end_amdhsa_kernel
	.section	.text._ZN7rocprim17ROCPRIM_400000_NS6detail17trampoline_kernelINS0_14default_configENS1_27scan_by_key_config_selectorIssEEZZNS1_16scan_by_key_implILNS1_25lookback_scan_determinismE0ELb1ES3_N6thrust23THRUST_200600_302600_NS6detail15normal_iteratorINS9_10device_ptrIsEEEESE_SE_sNS9_10multipliesIsEENS9_8equal_toIsEEsEE10hipError_tPvRmT2_T3_T4_T5_mT6_T7_P12ihipStream_tbENKUlT_T0_E_clISt17integral_constantIbLb0EESY_IbLb1EEEEDaSU_SV_EUlSU_E_NS1_11comp_targetILNS1_3genE0ELNS1_11target_archE4294967295ELNS1_3gpuE0ELNS1_3repE0EEENS1_30default_config_static_selectorELNS0_4arch9wavefront6targetE1EEEvT1_,"axG",@progbits,_ZN7rocprim17ROCPRIM_400000_NS6detail17trampoline_kernelINS0_14default_configENS1_27scan_by_key_config_selectorIssEEZZNS1_16scan_by_key_implILNS1_25lookback_scan_determinismE0ELb1ES3_N6thrust23THRUST_200600_302600_NS6detail15normal_iteratorINS9_10device_ptrIsEEEESE_SE_sNS9_10multipliesIsEENS9_8equal_toIsEEsEE10hipError_tPvRmT2_T3_T4_T5_mT6_T7_P12ihipStream_tbENKUlT_T0_E_clISt17integral_constantIbLb0EESY_IbLb1EEEEDaSU_SV_EUlSU_E_NS1_11comp_targetILNS1_3genE0ELNS1_11target_archE4294967295ELNS1_3gpuE0ELNS1_3repE0EEENS1_30default_config_static_selectorELNS0_4arch9wavefront6targetE1EEEvT1_,comdat
.Lfunc_end632:
	.size	_ZN7rocprim17ROCPRIM_400000_NS6detail17trampoline_kernelINS0_14default_configENS1_27scan_by_key_config_selectorIssEEZZNS1_16scan_by_key_implILNS1_25lookback_scan_determinismE0ELb1ES3_N6thrust23THRUST_200600_302600_NS6detail15normal_iteratorINS9_10device_ptrIsEEEESE_SE_sNS9_10multipliesIsEENS9_8equal_toIsEEsEE10hipError_tPvRmT2_T3_T4_T5_mT6_T7_P12ihipStream_tbENKUlT_T0_E_clISt17integral_constantIbLb0EESY_IbLb1EEEEDaSU_SV_EUlSU_E_NS1_11comp_targetILNS1_3genE0ELNS1_11target_archE4294967295ELNS1_3gpuE0ELNS1_3repE0EEENS1_30default_config_static_selectorELNS0_4arch9wavefront6targetE1EEEvT1_, .Lfunc_end632-_ZN7rocprim17ROCPRIM_400000_NS6detail17trampoline_kernelINS0_14default_configENS1_27scan_by_key_config_selectorIssEEZZNS1_16scan_by_key_implILNS1_25lookback_scan_determinismE0ELb1ES3_N6thrust23THRUST_200600_302600_NS6detail15normal_iteratorINS9_10device_ptrIsEEEESE_SE_sNS9_10multipliesIsEENS9_8equal_toIsEEsEE10hipError_tPvRmT2_T3_T4_T5_mT6_T7_P12ihipStream_tbENKUlT_T0_E_clISt17integral_constantIbLb0EESY_IbLb1EEEEDaSU_SV_EUlSU_E_NS1_11comp_targetILNS1_3genE0ELNS1_11target_archE4294967295ELNS1_3gpuE0ELNS1_3repE0EEENS1_30default_config_static_selectorELNS0_4arch9wavefront6targetE1EEEvT1_
                                        ; -- End function
	.section	.AMDGPU.csdata,"",@progbits
; Kernel info:
; codeLenInByte = 0
; NumSgprs: 6
; NumVgprs: 0
; NumAgprs: 0
; TotalNumVgprs: 0
; ScratchSize: 0
; MemoryBound: 0
; FloatMode: 240
; IeeeMode: 1
; LDSByteSize: 0 bytes/workgroup (compile time only)
; SGPRBlocks: 0
; VGPRBlocks: 0
; NumSGPRsForWavesPerEU: 6
; NumVGPRsForWavesPerEU: 1
; AccumOffset: 4
; Occupancy: 8
; WaveLimiterHint : 0
; COMPUTE_PGM_RSRC2:SCRATCH_EN: 0
; COMPUTE_PGM_RSRC2:USER_SGPR: 2
; COMPUTE_PGM_RSRC2:TRAP_HANDLER: 0
; COMPUTE_PGM_RSRC2:TGID_X_EN: 1
; COMPUTE_PGM_RSRC2:TGID_Y_EN: 0
; COMPUTE_PGM_RSRC2:TGID_Z_EN: 0
; COMPUTE_PGM_RSRC2:TIDIG_COMP_CNT: 0
; COMPUTE_PGM_RSRC3_GFX90A:ACCUM_OFFSET: 0
; COMPUTE_PGM_RSRC3_GFX90A:TG_SPLIT: 0
	.section	.text._ZN7rocprim17ROCPRIM_400000_NS6detail17trampoline_kernelINS0_14default_configENS1_27scan_by_key_config_selectorIssEEZZNS1_16scan_by_key_implILNS1_25lookback_scan_determinismE0ELb1ES3_N6thrust23THRUST_200600_302600_NS6detail15normal_iteratorINS9_10device_ptrIsEEEESE_SE_sNS9_10multipliesIsEENS9_8equal_toIsEEsEE10hipError_tPvRmT2_T3_T4_T5_mT6_T7_P12ihipStream_tbENKUlT_T0_E_clISt17integral_constantIbLb0EESY_IbLb1EEEEDaSU_SV_EUlSU_E_NS1_11comp_targetILNS1_3genE10ELNS1_11target_archE1201ELNS1_3gpuE5ELNS1_3repE0EEENS1_30default_config_static_selectorELNS0_4arch9wavefront6targetE1EEEvT1_,"axG",@progbits,_ZN7rocprim17ROCPRIM_400000_NS6detail17trampoline_kernelINS0_14default_configENS1_27scan_by_key_config_selectorIssEEZZNS1_16scan_by_key_implILNS1_25lookback_scan_determinismE0ELb1ES3_N6thrust23THRUST_200600_302600_NS6detail15normal_iteratorINS9_10device_ptrIsEEEESE_SE_sNS9_10multipliesIsEENS9_8equal_toIsEEsEE10hipError_tPvRmT2_T3_T4_T5_mT6_T7_P12ihipStream_tbENKUlT_T0_E_clISt17integral_constantIbLb0EESY_IbLb1EEEEDaSU_SV_EUlSU_E_NS1_11comp_targetILNS1_3genE10ELNS1_11target_archE1201ELNS1_3gpuE5ELNS1_3repE0EEENS1_30default_config_static_selectorELNS0_4arch9wavefront6targetE1EEEvT1_,comdat
	.protected	_ZN7rocprim17ROCPRIM_400000_NS6detail17trampoline_kernelINS0_14default_configENS1_27scan_by_key_config_selectorIssEEZZNS1_16scan_by_key_implILNS1_25lookback_scan_determinismE0ELb1ES3_N6thrust23THRUST_200600_302600_NS6detail15normal_iteratorINS9_10device_ptrIsEEEESE_SE_sNS9_10multipliesIsEENS9_8equal_toIsEEsEE10hipError_tPvRmT2_T3_T4_T5_mT6_T7_P12ihipStream_tbENKUlT_T0_E_clISt17integral_constantIbLb0EESY_IbLb1EEEEDaSU_SV_EUlSU_E_NS1_11comp_targetILNS1_3genE10ELNS1_11target_archE1201ELNS1_3gpuE5ELNS1_3repE0EEENS1_30default_config_static_selectorELNS0_4arch9wavefront6targetE1EEEvT1_ ; -- Begin function _ZN7rocprim17ROCPRIM_400000_NS6detail17trampoline_kernelINS0_14default_configENS1_27scan_by_key_config_selectorIssEEZZNS1_16scan_by_key_implILNS1_25lookback_scan_determinismE0ELb1ES3_N6thrust23THRUST_200600_302600_NS6detail15normal_iteratorINS9_10device_ptrIsEEEESE_SE_sNS9_10multipliesIsEENS9_8equal_toIsEEsEE10hipError_tPvRmT2_T3_T4_T5_mT6_T7_P12ihipStream_tbENKUlT_T0_E_clISt17integral_constantIbLb0EESY_IbLb1EEEEDaSU_SV_EUlSU_E_NS1_11comp_targetILNS1_3genE10ELNS1_11target_archE1201ELNS1_3gpuE5ELNS1_3repE0EEENS1_30default_config_static_selectorELNS0_4arch9wavefront6targetE1EEEvT1_
	.globl	_ZN7rocprim17ROCPRIM_400000_NS6detail17trampoline_kernelINS0_14default_configENS1_27scan_by_key_config_selectorIssEEZZNS1_16scan_by_key_implILNS1_25lookback_scan_determinismE0ELb1ES3_N6thrust23THRUST_200600_302600_NS6detail15normal_iteratorINS9_10device_ptrIsEEEESE_SE_sNS9_10multipliesIsEENS9_8equal_toIsEEsEE10hipError_tPvRmT2_T3_T4_T5_mT6_T7_P12ihipStream_tbENKUlT_T0_E_clISt17integral_constantIbLb0EESY_IbLb1EEEEDaSU_SV_EUlSU_E_NS1_11comp_targetILNS1_3genE10ELNS1_11target_archE1201ELNS1_3gpuE5ELNS1_3repE0EEENS1_30default_config_static_selectorELNS0_4arch9wavefront6targetE1EEEvT1_
	.p2align	8
	.type	_ZN7rocprim17ROCPRIM_400000_NS6detail17trampoline_kernelINS0_14default_configENS1_27scan_by_key_config_selectorIssEEZZNS1_16scan_by_key_implILNS1_25lookback_scan_determinismE0ELb1ES3_N6thrust23THRUST_200600_302600_NS6detail15normal_iteratorINS9_10device_ptrIsEEEESE_SE_sNS9_10multipliesIsEENS9_8equal_toIsEEsEE10hipError_tPvRmT2_T3_T4_T5_mT6_T7_P12ihipStream_tbENKUlT_T0_E_clISt17integral_constantIbLb0EESY_IbLb1EEEEDaSU_SV_EUlSU_E_NS1_11comp_targetILNS1_3genE10ELNS1_11target_archE1201ELNS1_3gpuE5ELNS1_3repE0EEENS1_30default_config_static_selectorELNS0_4arch9wavefront6targetE1EEEvT1_,@function
_ZN7rocprim17ROCPRIM_400000_NS6detail17trampoline_kernelINS0_14default_configENS1_27scan_by_key_config_selectorIssEEZZNS1_16scan_by_key_implILNS1_25lookback_scan_determinismE0ELb1ES3_N6thrust23THRUST_200600_302600_NS6detail15normal_iteratorINS9_10device_ptrIsEEEESE_SE_sNS9_10multipliesIsEENS9_8equal_toIsEEsEE10hipError_tPvRmT2_T3_T4_T5_mT6_T7_P12ihipStream_tbENKUlT_T0_E_clISt17integral_constantIbLb0EESY_IbLb1EEEEDaSU_SV_EUlSU_E_NS1_11comp_targetILNS1_3genE10ELNS1_11target_archE1201ELNS1_3gpuE5ELNS1_3repE0EEENS1_30default_config_static_selectorELNS0_4arch9wavefront6targetE1EEEvT1_: ; @_ZN7rocprim17ROCPRIM_400000_NS6detail17trampoline_kernelINS0_14default_configENS1_27scan_by_key_config_selectorIssEEZZNS1_16scan_by_key_implILNS1_25lookback_scan_determinismE0ELb1ES3_N6thrust23THRUST_200600_302600_NS6detail15normal_iteratorINS9_10device_ptrIsEEEESE_SE_sNS9_10multipliesIsEENS9_8equal_toIsEEsEE10hipError_tPvRmT2_T3_T4_T5_mT6_T7_P12ihipStream_tbENKUlT_T0_E_clISt17integral_constantIbLb0EESY_IbLb1EEEEDaSU_SV_EUlSU_E_NS1_11comp_targetILNS1_3genE10ELNS1_11target_archE1201ELNS1_3gpuE5ELNS1_3repE0EEENS1_30default_config_static_selectorELNS0_4arch9wavefront6targetE1EEEvT1_
; %bb.0:
	.section	.rodata,"a",@progbits
	.p2align	6, 0x0
	.amdhsa_kernel _ZN7rocprim17ROCPRIM_400000_NS6detail17trampoline_kernelINS0_14default_configENS1_27scan_by_key_config_selectorIssEEZZNS1_16scan_by_key_implILNS1_25lookback_scan_determinismE0ELb1ES3_N6thrust23THRUST_200600_302600_NS6detail15normal_iteratorINS9_10device_ptrIsEEEESE_SE_sNS9_10multipliesIsEENS9_8equal_toIsEEsEE10hipError_tPvRmT2_T3_T4_T5_mT6_T7_P12ihipStream_tbENKUlT_T0_E_clISt17integral_constantIbLb0EESY_IbLb1EEEEDaSU_SV_EUlSU_E_NS1_11comp_targetILNS1_3genE10ELNS1_11target_archE1201ELNS1_3gpuE5ELNS1_3repE0EEENS1_30default_config_static_selectorELNS0_4arch9wavefront6targetE1EEEvT1_
		.amdhsa_group_segment_fixed_size 0
		.amdhsa_private_segment_fixed_size 0
		.amdhsa_kernarg_size 112
		.amdhsa_user_sgpr_count 2
		.amdhsa_user_sgpr_dispatch_ptr 0
		.amdhsa_user_sgpr_queue_ptr 0
		.amdhsa_user_sgpr_kernarg_segment_ptr 1
		.amdhsa_user_sgpr_dispatch_id 0
		.amdhsa_user_sgpr_kernarg_preload_length 0
		.amdhsa_user_sgpr_kernarg_preload_offset 0
		.amdhsa_user_sgpr_private_segment_size 0
		.amdhsa_uses_dynamic_stack 0
		.amdhsa_enable_private_segment 0
		.amdhsa_system_sgpr_workgroup_id_x 1
		.amdhsa_system_sgpr_workgroup_id_y 0
		.amdhsa_system_sgpr_workgroup_id_z 0
		.amdhsa_system_sgpr_workgroup_info 0
		.amdhsa_system_vgpr_workitem_id 0
		.amdhsa_next_free_vgpr 1
		.amdhsa_next_free_sgpr 0
		.amdhsa_accum_offset 4
		.amdhsa_reserve_vcc 0
		.amdhsa_float_round_mode_32 0
		.amdhsa_float_round_mode_16_64 0
		.amdhsa_float_denorm_mode_32 3
		.amdhsa_float_denorm_mode_16_64 3
		.amdhsa_dx10_clamp 1
		.amdhsa_ieee_mode 1
		.amdhsa_fp16_overflow 0
		.amdhsa_tg_split 0
		.amdhsa_exception_fp_ieee_invalid_op 0
		.amdhsa_exception_fp_denorm_src 0
		.amdhsa_exception_fp_ieee_div_zero 0
		.amdhsa_exception_fp_ieee_overflow 0
		.amdhsa_exception_fp_ieee_underflow 0
		.amdhsa_exception_fp_ieee_inexact 0
		.amdhsa_exception_int_div_zero 0
	.end_amdhsa_kernel
	.section	.text._ZN7rocprim17ROCPRIM_400000_NS6detail17trampoline_kernelINS0_14default_configENS1_27scan_by_key_config_selectorIssEEZZNS1_16scan_by_key_implILNS1_25lookback_scan_determinismE0ELb1ES3_N6thrust23THRUST_200600_302600_NS6detail15normal_iteratorINS9_10device_ptrIsEEEESE_SE_sNS9_10multipliesIsEENS9_8equal_toIsEEsEE10hipError_tPvRmT2_T3_T4_T5_mT6_T7_P12ihipStream_tbENKUlT_T0_E_clISt17integral_constantIbLb0EESY_IbLb1EEEEDaSU_SV_EUlSU_E_NS1_11comp_targetILNS1_3genE10ELNS1_11target_archE1201ELNS1_3gpuE5ELNS1_3repE0EEENS1_30default_config_static_selectorELNS0_4arch9wavefront6targetE1EEEvT1_,"axG",@progbits,_ZN7rocprim17ROCPRIM_400000_NS6detail17trampoline_kernelINS0_14default_configENS1_27scan_by_key_config_selectorIssEEZZNS1_16scan_by_key_implILNS1_25lookback_scan_determinismE0ELb1ES3_N6thrust23THRUST_200600_302600_NS6detail15normal_iteratorINS9_10device_ptrIsEEEESE_SE_sNS9_10multipliesIsEENS9_8equal_toIsEEsEE10hipError_tPvRmT2_T3_T4_T5_mT6_T7_P12ihipStream_tbENKUlT_T0_E_clISt17integral_constantIbLb0EESY_IbLb1EEEEDaSU_SV_EUlSU_E_NS1_11comp_targetILNS1_3genE10ELNS1_11target_archE1201ELNS1_3gpuE5ELNS1_3repE0EEENS1_30default_config_static_selectorELNS0_4arch9wavefront6targetE1EEEvT1_,comdat
.Lfunc_end633:
	.size	_ZN7rocprim17ROCPRIM_400000_NS6detail17trampoline_kernelINS0_14default_configENS1_27scan_by_key_config_selectorIssEEZZNS1_16scan_by_key_implILNS1_25lookback_scan_determinismE0ELb1ES3_N6thrust23THRUST_200600_302600_NS6detail15normal_iteratorINS9_10device_ptrIsEEEESE_SE_sNS9_10multipliesIsEENS9_8equal_toIsEEsEE10hipError_tPvRmT2_T3_T4_T5_mT6_T7_P12ihipStream_tbENKUlT_T0_E_clISt17integral_constantIbLb0EESY_IbLb1EEEEDaSU_SV_EUlSU_E_NS1_11comp_targetILNS1_3genE10ELNS1_11target_archE1201ELNS1_3gpuE5ELNS1_3repE0EEENS1_30default_config_static_selectorELNS0_4arch9wavefront6targetE1EEEvT1_, .Lfunc_end633-_ZN7rocprim17ROCPRIM_400000_NS6detail17trampoline_kernelINS0_14default_configENS1_27scan_by_key_config_selectorIssEEZZNS1_16scan_by_key_implILNS1_25lookback_scan_determinismE0ELb1ES3_N6thrust23THRUST_200600_302600_NS6detail15normal_iteratorINS9_10device_ptrIsEEEESE_SE_sNS9_10multipliesIsEENS9_8equal_toIsEEsEE10hipError_tPvRmT2_T3_T4_T5_mT6_T7_P12ihipStream_tbENKUlT_T0_E_clISt17integral_constantIbLb0EESY_IbLb1EEEEDaSU_SV_EUlSU_E_NS1_11comp_targetILNS1_3genE10ELNS1_11target_archE1201ELNS1_3gpuE5ELNS1_3repE0EEENS1_30default_config_static_selectorELNS0_4arch9wavefront6targetE1EEEvT1_
                                        ; -- End function
	.section	.AMDGPU.csdata,"",@progbits
; Kernel info:
; codeLenInByte = 0
; NumSgprs: 6
; NumVgprs: 0
; NumAgprs: 0
; TotalNumVgprs: 0
; ScratchSize: 0
; MemoryBound: 0
; FloatMode: 240
; IeeeMode: 1
; LDSByteSize: 0 bytes/workgroup (compile time only)
; SGPRBlocks: 0
; VGPRBlocks: 0
; NumSGPRsForWavesPerEU: 6
; NumVGPRsForWavesPerEU: 1
; AccumOffset: 4
; Occupancy: 8
; WaveLimiterHint : 0
; COMPUTE_PGM_RSRC2:SCRATCH_EN: 0
; COMPUTE_PGM_RSRC2:USER_SGPR: 2
; COMPUTE_PGM_RSRC2:TRAP_HANDLER: 0
; COMPUTE_PGM_RSRC2:TGID_X_EN: 1
; COMPUTE_PGM_RSRC2:TGID_Y_EN: 0
; COMPUTE_PGM_RSRC2:TGID_Z_EN: 0
; COMPUTE_PGM_RSRC2:TIDIG_COMP_CNT: 0
; COMPUTE_PGM_RSRC3_GFX90A:ACCUM_OFFSET: 0
; COMPUTE_PGM_RSRC3_GFX90A:TG_SPLIT: 0
	.section	.text._ZN7rocprim17ROCPRIM_400000_NS6detail17trampoline_kernelINS0_14default_configENS1_27scan_by_key_config_selectorIssEEZZNS1_16scan_by_key_implILNS1_25lookback_scan_determinismE0ELb1ES3_N6thrust23THRUST_200600_302600_NS6detail15normal_iteratorINS9_10device_ptrIsEEEESE_SE_sNS9_10multipliesIsEENS9_8equal_toIsEEsEE10hipError_tPvRmT2_T3_T4_T5_mT6_T7_P12ihipStream_tbENKUlT_T0_E_clISt17integral_constantIbLb0EESY_IbLb1EEEEDaSU_SV_EUlSU_E_NS1_11comp_targetILNS1_3genE5ELNS1_11target_archE942ELNS1_3gpuE9ELNS1_3repE0EEENS1_30default_config_static_selectorELNS0_4arch9wavefront6targetE1EEEvT1_,"axG",@progbits,_ZN7rocprim17ROCPRIM_400000_NS6detail17trampoline_kernelINS0_14default_configENS1_27scan_by_key_config_selectorIssEEZZNS1_16scan_by_key_implILNS1_25lookback_scan_determinismE0ELb1ES3_N6thrust23THRUST_200600_302600_NS6detail15normal_iteratorINS9_10device_ptrIsEEEESE_SE_sNS9_10multipliesIsEENS9_8equal_toIsEEsEE10hipError_tPvRmT2_T3_T4_T5_mT6_T7_P12ihipStream_tbENKUlT_T0_E_clISt17integral_constantIbLb0EESY_IbLb1EEEEDaSU_SV_EUlSU_E_NS1_11comp_targetILNS1_3genE5ELNS1_11target_archE942ELNS1_3gpuE9ELNS1_3repE0EEENS1_30default_config_static_selectorELNS0_4arch9wavefront6targetE1EEEvT1_,comdat
	.protected	_ZN7rocprim17ROCPRIM_400000_NS6detail17trampoline_kernelINS0_14default_configENS1_27scan_by_key_config_selectorIssEEZZNS1_16scan_by_key_implILNS1_25lookback_scan_determinismE0ELb1ES3_N6thrust23THRUST_200600_302600_NS6detail15normal_iteratorINS9_10device_ptrIsEEEESE_SE_sNS9_10multipliesIsEENS9_8equal_toIsEEsEE10hipError_tPvRmT2_T3_T4_T5_mT6_T7_P12ihipStream_tbENKUlT_T0_E_clISt17integral_constantIbLb0EESY_IbLb1EEEEDaSU_SV_EUlSU_E_NS1_11comp_targetILNS1_3genE5ELNS1_11target_archE942ELNS1_3gpuE9ELNS1_3repE0EEENS1_30default_config_static_selectorELNS0_4arch9wavefront6targetE1EEEvT1_ ; -- Begin function _ZN7rocprim17ROCPRIM_400000_NS6detail17trampoline_kernelINS0_14default_configENS1_27scan_by_key_config_selectorIssEEZZNS1_16scan_by_key_implILNS1_25lookback_scan_determinismE0ELb1ES3_N6thrust23THRUST_200600_302600_NS6detail15normal_iteratorINS9_10device_ptrIsEEEESE_SE_sNS9_10multipliesIsEENS9_8equal_toIsEEsEE10hipError_tPvRmT2_T3_T4_T5_mT6_T7_P12ihipStream_tbENKUlT_T0_E_clISt17integral_constantIbLb0EESY_IbLb1EEEEDaSU_SV_EUlSU_E_NS1_11comp_targetILNS1_3genE5ELNS1_11target_archE942ELNS1_3gpuE9ELNS1_3repE0EEENS1_30default_config_static_selectorELNS0_4arch9wavefront6targetE1EEEvT1_
	.globl	_ZN7rocprim17ROCPRIM_400000_NS6detail17trampoline_kernelINS0_14default_configENS1_27scan_by_key_config_selectorIssEEZZNS1_16scan_by_key_implILNS1_25lookback_scan_determinismE0ELb1ES3_N6thrust23THRUST_200600_302600_NS6detail15normal_iteratorINS9_10device_ptrIsEEEESE_SE_sNS9_10multipliesIsEENS9_8equal_toIsEEsEE10hipError_tPvRmT2_T3_T4_T5_mT6_T7_P12ihipStream_tbENKUlT_T0_E_clISt17integral_constantIbLb0EESY_IbLb1EEEEDaSU_SV_EUlSU_E_NS1_11comp_targetILNS1_3genE5ELNS1_11target_archE942ELNS1_3gpuE9ELNS1_3repE0EEENS1_30default_config_static_selectorELNS0_4arch9wavefront6targetE1EEEvT1_
	.p2align	8
	.type	_ZN7rocprim17ROCPRIM_400000_NS6detail17trampoline_kernelINS0_14default_configENS1_27scan_by_key_config_selectorIssEEZZNS1_16scan_by_key_implILNS1_25lookback_scan_determinismE0ELb1ES3_N6thrust23THRUST_200600_302600_NS6detail15normal_iteratorINS9_10device_ptrIsEEEESE_SE_sNS9_10multipliesIsEENS9_8equal_toIsEEsEE10hipError_tPvRmT2_T3_T4_T5_mT6_T7_P12ihipStream_tbENKUlT_T0_E_clISt17integral_constantIbLb0EESY_IbLb1EEEEDaSU_SV_EUlSU_E_NS1_11comp_targetILNS1_3genE5ELNS1_11target_archE942ELNS1_3gpuE9ELNS1_3repE0EEENS1_30default_config_static_selectorELNS0_4arch9wavefront6targetE1EEEvT1_,@function
_ZN7rocprim17ROCPRIM_400000_NS6detail17trampoline_kernelINS0_14default_configENS1_27scan_by_key_config_selectorIssEEZZNS1_16scan_by_key_implILNS1_25lookback_scan_determinismE0ELb1ES3_N6thrust23THRUST_200600_302600_NS6detail15normal_iteratorINS9_10device_ptrIsEEEESE_SE_sNS9_10multipliesIsEENS9_8equal_toIsEEsEE10hipError_tPvRmT2_T3_T4_T5_mT6_T7_P12ihipStream_tbENKUlT_T0_E_clISt17integral_constantIbLb0EESY_IbLb1EEEEDaSU_SV_EUlSU_E_NS1_11comp_targetILNS1_3genE5ELNS1_11target_archE942ELNS1_3gpuE9ELNS1_3repE0EEENS1_30default_config_static_selectorELNS0_4arch9wavefront6targetE1EEEvT1_: ; @_ZN7rocprim17ROCPRIM_400000_NS6detail17trampoline_kernelINS0_14default_configENS1_27scan_by_key_config_selectorIssEEZZNS1_16scan_by_key_implILNS1_25lookback_scan_determinismE0ELb1ES3_N6thrust23THRUST_200600_302600_NS6detail15normal_iteratorINS9_10device_ptrIsEEEESE_SE_sNS9_10multipliesIsEENS9_8equal_toIsEEsEE10hipError_tPvRmT2_T3_T4_T5_mT6_T7_P12ihipStream_tbENKUlT_T0_E_clISt17integral_constantIbLb0EESY_IbLb1EEEEDaSU_SV_EUlSU_E_NS1_11comp_targetILNS1_3genE5ELNS1_11target_archE942ELNS1_3gpuE9ELNS1_3repE0EEENS1_30default_config_static_selectorELNS0_4arch9wavefront6targetE1EEEvT1_
; %bb.0:
	s_load_dword s74, s[0:1], 0x20
	s_load_dwordx4 s[64:67], s[0:1], 0x28
	s_load_dwordx2 s[72:73], s[0:1], 0x38
	v_cmp_eq_u32_e64 s[52:53], 0, v0
	s_and_saveexec_b64 s[2:3], s[52:53]
	s_cbranch_execz .LBB634_4
; %bb.1:
	s_mov_b64 s[6:7], exec
	v_mbcnt_lo_u32_b32 v1, s6, 0
	v_mbcnt_hi_u32_b32 v1, s7, v1
	v_cmp_eq_u32_e32 vcc, 0, v1
                                        ; implicit-def: $vgpr2
	s_and_saveexec_b64 s[4:5], vcc
	s_cbranch_execz .LBB634_3
; %bb.2:
	s_load_dwordx2 s[8:9], s[0:1], 0x68
	s_bcnt1_i32_b64 s6, s[6:7]
	v_mov_b32_e32 v2, 0
	v_mov_b32_e32 v3, s6
	s_waitcnt lgkmcnt(0)
	global_atomic_add v2, v2, v3, s[8:9] sc0
.LBB634_3:
	s_or_b64 exec, exec, s[4:5]
	s_waitcnt vmcnt(0)
	v_readfirstlane_b32 s4, v2
	v_mov_b32_e32 v2, 0
	s_nop 0
	v_add_u32_e32 v1, s4, v1
	ds_write_b32 v2, v1
.LBB634_4:
	s_or_b64 exec, exec, s[2:3]
	s_load_dwordx8 s[56:63], s[0:1], 0x0
	s_load_dword s2, s[0:1], 0x40
	s_load_dwordx4 s[68:71], s[0:1], 0x48
	v_mov_b32_e32 v3, 0
	s_waitcnt lgkmcnt(0)
	s_lshl_b64 s[54:55], s[58:59], 1
	s_barrier
	ds_read_b32 v2, v3
	s_add_u32 s0, s56, s54
	s_addc_u32 s1, s57, s55
	s_add_u32 s4, s60, s54
	s_mul_i32 s3, s73, s2
	s_mul_hi_u32 s6, s72, s2
	s_addc_u32 s5, s61, s55
	s_add_i32 s3, s6, s3
	s_movk_i32 s6, 0x1800
	s_waitcnt lgkmcnt(0)
	v_mul_lo_u32 v4, v2, s6
	v_mov_b32_e32 v5, v3
	v_lshlrev_b64 v[26:27], 1, v[4:5]
	s_mul_i32 s2, s72, s2
	v_lshl_add_u64 v[18:19], s[4:5], 0, v[26:27]
	s_add_u32 s4, s68, -1
	v_readfirstlane_b32 s67, v2
	v_lshl_add_u64 v[2:3], s[2:3], 0, v[2:3]
	s_addc_u32 s5, s69, -1
	v_cmp_le_u64_e64 s[2:3], s[4:5], v[2:3]
	v_lshl_add_u64 v[20:21], s[0:1], 0, v[26:27]
	s_mov_b64 s[0:1], -1
	s_and_b64 vcc, exec, s[2:3]
	s_mul_i32 s33, s4, 0xffffe800
	s_barrier
	s_barrier
	s_cbranch_vccz .LBB634_130
; %bb.5:
	flat_load_ushort v1, v[20:21]
	s_add_i32 s69, s33, s66
	v_cmp_gt_u32_e32 vcc, s69, v0
	s_waitcnt vmcnt(0) lgkmcnt(0)
	v_mov_b32_e32 v2, v1
	s_and_saveexec_b64 s[0:1], vcc
	s_cbranch_execz .LBB634_7
; %bb.6:
	v_lshlrev_b32_e32 v2, 1, v0
	v_mov_b32_e32 v3, 0
	v_lshl_add_u64 v[2:3], v[20:21], 0, v[2:3]
	flat_load_ushort v2, v[2:3]
.LBB634_7:
	s_or_b64 exec, exec, s[0:1]
	v_or_b32_e32 v3, 0x100, v0
	v_cmp_gt_u32_e64 s[4:5], s69, v3
	v_mov_b32_e32 v3, v1
	s_and_saveexec_b64 s[0:1], s[4:5]
	s_cbranch_execz .LBB634_9
; %bb.8:
	v_lshlrev_b32_e32 v4, 1, v0
	v_mov_b32_e32 v5, 0
	v_lshl_add_u64 v[4:5], v[20:21], 0, v[4:5]
	flat_load_ushort v3, v[4:5] offset:512
.LBB634_9:
	s_or_b64 exec, exec, s[0:1]
	v_or_b32_e32 v4, 0x200, v0
	v_cmp_gt_u32_e64 s[6:7], s69, v4
	v_mov_b32_e32 v4, v1
	s_and_saveexec_b64 s[0:1], s[6:7]
	s_cbranch_execz .LBB634_11
; %bb.10:
	v_lshlrev_b32_e32 v4, 1, v0
	v_mov_b32_e32 v5, 0
	v_lshl_add_u64 v[4:5], v[20:21], 0, v[4:5]
	flat_load_ushort v4, v[4:5] offset:1024
.LBB634_11:
	;; [unrolled: 12-line block ×7, first 2 shown]
	s_or_b64 exec, exec, s[0:1]
	v_or_b32_e32 v10, 0x800, v0
	v_cmp_gt_u32_e64 s[18:19], s69, v10
	v_lshlrev_b32_e32 v14, 1, v10
	v_mov_b32_e32 v10, v1
	s_and_saveexec_b64 s[0:1], s[18:19]
	s_cbranch_execz .LBB634_23
; %bb.22:
	v_mov_b32_e32 v15, 0
	v_lshl_add_u64 v[10:11], v[20:21], 0, v[14:15]
	flat_load_ushort v10, v[10:11]
.LBB634_23:
	s_or_b64 exec, exec, s[0:1]
	v_or_b32_e32 v11, 0x900, v0
	v_cmp_gt_u32_e64 s[20:21], s69, v11
	v_lshlrev_b32_e32 v16, 1, v11
	v_mov_b32_e32 v11, v1
	s_and_saveexec_b64 s[0:1], s[20:21]
	s_cbranch_execz .LBB634_25
; %bb.24:
	v_mov_b32_e32 v17, 0
	v_lshl_add_u64 v[12:13], v[20:21], 0, v[16:17]
	flat_load_ushort v11, v[12:13]
.LBB634_25:
	;; [unrolled: 12-line block ×15, first 2 shown]
	s_or_b64 exec, exec, s[0:1]
	v_or_b32_e32 v42, 0x1700, v0
	v_cmp_gt_u32_e64 s[50:51], s69, v42
	v_lshlrev_b32_e32 v52, 1, v42
	s_and_saveexec_b64 s[0:1], s[50:51]
	s_cbranch_execz .LBB634_53
; %bb.52:
	v_mov_b32_e32 v53, 0
	v_lshl_add_u64 v[42:43], v[20:21], 0, v[52:53]
	flat_load_ushort v1, v[42:43]
.LBB634_53:
	s_or_b64 exec, exec, s[0:1]
	v_lshlrev_b32_e32 v42, 1, v0
	s_waitcnt vmcnt(0) lgkmcnt(0)
	ds_write_b16 v42, v2
	ds_write_b16 v42, v3 offset:512
	ds_write_b16 v42, v4 offset:1024
	;; [unrolled: 1-line block ×23, first 2 shown]
	s_waitcnt lgkmcnt(0)
	s_barrier
	flat_load_ushort v54, v[20:21]
	v_mad_u32_u24 v55, v0, 46, v42
	ds_read_b128 v[10:13], v55
	ds_read_b128 v[6:9], v55 offset:16
	ds_read_b128 v[2:5], v55 offset:32
	s_movk_i32 s0, 0xffd2
	v_mad_i32_i24 v1, v0, s0, v55
	s_movk_i32 s0, 0xff
	v_cmp_ne_u32_e64 s[0:1], s0, v0
	s_waitcnt lgkmcnt(0)
	ds_write_b16 v1, v10 offset:12800
	s_waitcnt lgkmcnt(0)
	s_barrier
	s_and_saveexec_b64 s[56:57], s[0:1]
	s_cbranch_execz .LBB634_55
; %bb.54:
	s_waitcnt vmcnt(0)
	ds_read_u16 v54, v42 offset:12802
.LBB634_55:
	s_or_b64 exec, exec, s[56:57]
	v_mov_b32_e32 v43, 0
	s_waitcnt lgkmcnt(0)
	s_barrier
	s_waitcnt lgkmcnt(0)
                                        ; implicit-def: $vgpr1
	s_and_saveexec_b64 s[0:1], vcc
	s_cbranch_execz .LBB634_205
; %bb.56:
	v_lshl_add_u64 v[56:57], v[18:19], 0, v[42:43]
	flat_load_ushort v1, v[56:57]
	s_or_b64 exec, exec, s[0:1]
                                        ; implicit-def: $vgpr56
	s_and_saveexec_b64 s[0:1], s[4:5]
	s_cbranch_execnz .LBB634_206
.LBB634_57:
	s_or_b64 exec, exec, s[0:1]
                                        ; implicit-def: $vgpr57
	s_and_saveexec_b64 s[0:1], s[6:7]
	s_cbranch_execz .LBB634_207
.LBB634_58:
	v_mov_b32_e32 v43, 0
	v_lshl_add_u64 v[58:59], v[18:19], 0, v[42:43]
	flat_load_ushort v57, v[58:59] offset:1024
	s_or_b64 exec, exec, s[0:1]
                                        ; implicit-def: $vgpr58
	s_and_saveexec_b64 s[0:1], s[8:9]
	s_cbranch_execnz .LBB634_208
.LBB634_59:
	s_or_b64 exec, exec, s[0:1]
                                        ; implicit-def: $vgpr59
	s_and_saveexec_b64 s[0:1], s[10:11]
	s_cbranch_execz .LBB634_209
.LBB634_60:
	v_mov_b32_e32 v43, 0
	v_lshl_add_u64 v[60:61], v[18:19], 0, v[42:43]
	flat_load_ushort v59, v[60:61] offset:2048
	s_or_b64 exec, exec, s[0:1]
                                        ; implicit-def: $vgpr60
	s_and_saveexec_b64 s[0:1], s[12:13]
	s_cbranch_execnz .LBB634_210
.LBB634_61:
	s_or_b64 exec, exec, s[0:1]
                                        ; implicit-def: $vgpr61
	s_and_saveexec_b64 s[0:1], s[14:15]
	s_cbranch_execz .LBB634_211
.LBB634_62:
	v_mov_b32_e32 v43, 0
	v_lshl_add_u64 v[62:63], v[18:19], 0, v[42:43]
	flat_load_ushort v61, v[62:63] offset:3072
	s_or_b64 exec, exec, s[0:1]
                                        ; implicit-def: $vgpr43
	s_and_saveexec_b64 s[0:1], s[16:17]
	s_cbranch_execnz .LBB634_212
.LBB634_63:
	s_or_b64 exec, exec, s[0:1]
                                        ; implicit-def: $vgpr15
	s_and_saveexec_b64 s[0:1], s[18:19]
	s_cbranch_execz .LBB634_213
.LBB634_64:
	v_mov_b32_e32 v15, 0
	v_lshl_add_u64 v[14:15], v[18:19], 0, v[14:15]
	flat_load_ushort v15, v[14:15]
	s_or_b64 exec, exec, s[0:1]
                                        ; implicit-def: $vgpr14
	s_and_saveexec_b64 s[0:1], s[20:21]
	s_cbranch_execnz .LBB634_214
.LBB634_65:
	s_or_b64 exec, exec, s[0:1]
                                        ; implicit-def: $vgpr16
	s_and_saveexec_b64 s[0:1], s[22:23]
	s_cbranch_execz .LBB634_215
.LBB634_66:
	v_mov_b32_e32 v23, 0
	v_lshl_add_u64 v[16:17], v[18:19], 0, v[22:23]
	flat_load_ushort v16, v[16:17]
	s_or_b64 exec, exec, s[0:1]
                                        ; implicit-def: $vgpr17
	s_and_saveexec_b64 s[0:1], s[24:25]
	s_cbranch_execnz .LBB634_216
.LBB634_67:
	s_or_b64 exec, exec, s[0:1]
                                        ; implicit-def: $vgpr22
	s_and_saveexec_b64 s[0:1], s[26:27]
	s_cbranch_execz .LBB634_217
.LBB634_68:
	v_mov_b32_e32 v29, 0
	v_lshl_add_u64 v[22:23], v[18:19], 0, v[28:29]
	flat_load_ushort v22, v[22:23]
	s_or_b64 exec, exec, s[0:1]
                                        ; implicit-def: $vgpr23
	s_and_saveexec_b64 s[0:1], s[28:29]
	s_cbranch_execnz .LBB634_218
.LBB634_69:
	s_or_b64 exec, exec, s[0:1]
                                        ; implicit-def: $vgpr24
	s_and_saveexec_b64 s[0:1], s[30:31]
	s_cbranch_execz .LBB634_219
.LBB634_70:
	v_mov_b32_e32 v33, 0
	v_lshl_add_u64 v[24:25], v[18:19], 0, v[32:33]
	flat_load_ushort v24, v[24:25]
	s_or_b64 exec, exec, s[0:1]
                                        ; implicit-def: $vgpr25
	s_and_saveexec_b64 s[0:1], s[34:35]
	s_cbranch_execnz .LBB634_220
.LBB634_71:
	s_or_b64 exec, exec, s[0:1]
                                        ; implicit-def: $vgpr29
	s_and_saveexec_b64 s[0:1], s[36:37]
	s_cbranch_execz .LBB634_221
.LBB634_72:
	v_mov_b32_e32 v37, 0
	v_lshl_add_u64 v[28:29], v[18:19], 0, v[36:37]
	flat_load_ushort v29, v[28:29]
	s_or_b64 exec, exec, s[0:1]
                                        ; implicit-def: $vgpr30
	s_and_saveexec_b64 s[0:1], s[38:39]
	s_cbranch_execnz .LBB634_222
.LBB634_73:
	s_or_b64 exec, exec, s[0:1]
                                        ; implicit-def: $vgpr31
	s_and_saveexec_b64 s[0:1], s[40:41]
	s_cbranch_execz .LBB634_223
.LBB634_74:
	v_mov_b32_e32 v41, 0
	v_lshl_add_u64 v[32:33], v[18:19], 0, v[40:41]
	flat_load_ushort v31, v[32:33]
	s_or_b64 exec, exec, s[0:1]
                                        ; implicit-def: $vgpr32
	s_and_saveexec_b64 s[0:1], s[42:43]
	s_cbranch_execnz .LBB634_224
.LBB634_75:
	s_or_b64 exec, exec, s[0:1]
                                        ; implicit-def: $vgpr33
	s_and_saveexec_b64 s[0:1], s[44:45]
	s_cbranch_execz .LBB634_225
.LBB634_76:
	v_mov_b32_e32 v47, 0
	v_lshl_add_u64 v[34:35], v[18:19], 0, v[46:47]
	flat_load_ushort v33, v[34:35]
	s_or_b64 exec, exec, s[0:1]
                                        ; implicit-def: $vgpr34
	s_and_saveexec_b64 s[0:1], s[46:47]
	s_cbranch_execnz .LBB634_226
.LBB634_77:
	s_or_b64 exec, exec, s[0:1]
                                        ; implicit-def: $vgpr35
	s_and_saveexec_b64 s[0:1], s[48:49]
	s_cbranch_execz .LBB634_79
.LBB634_78:
	v_mov_b32_e32 v51, 0
	v_lshl_add_u64 v[36:37], v[18:19], 0, v[50:51]
	flat_load_ushort v35, v[36:37]
.LBB634_79:
	s_or_b64 exec, exec, s[0:1]
	v_mul_u32_u24_e32 v28, 24, v0
                                        ; implicit-def: $vgpr36
	s_and_saveexec_b64 s[0:1], s[50:51]
	s_cbranch_execz .LBB634_81
; %bb.80:
	v_mov_b32_e32 v53, 0
	v_lshl_add_u64 v[36:37], v[18:19], 0, v[52:53]
	flat_load_ushort v36, v[36:37]
.LBB634_81:
	s_or_b64 exec, exec, s[0:1]
	s_waitcnt vmcnt(0) lgkmcnt(0)
	ds_write_b16 v42, v1
	ds_write_b16 v42, v56 offset:512
	ds_write_b16 v42, v57 offset:1024
	;; [unrolled: 1-line block ×23, first 2 shown]
	v_cmp_gt_u32_e32 vcc, s69, v28
	s_mov_b64 s[0:1], 0
	s_mov_b32 s68, 0
	v_mov_b32_e32 v1, 0
	s_mov_b64 s[8:9], 0
	v_mov_b32_e32 v25, 0
	v_mov_b32_e32 v29, 0
	;; [unrolled: 1-line block ×22, first 2 shown]
	s_waitcnt lgkmcnt(0)
	s_barrier
	s_waitcnt lgkmcnt(0)
                                        ; implicit-def: $sgpr6_sgpr7
                                        ; implicit-def: $vgpr47
	s_and_saveexec_b64 s[4:5], vcc
	s_cbranch_execz .LBB634_129
; %bb.82:
	ds_read_u16 v1, v55
	v_mov_b32_e32 v15, s74
	v_cmp_eq_u16_sdwa vcc, v10, v10 src0_sel:DWORD src1_sel:WORD_1
	v_cmp_ne_u16_sdwa s[6:7], v10, v10 src0_sel:DWORD src1_sel:WORD_1
	v_or_b32_e32 v14, 1, v28
	s_waitcnt lgkmcnt(0)
	v_cndmask_b32_e32 v1, v15, v1, vcc
	v_and_b32_e32 v1, 0xffff, v1
	v_cndmask_b32_e64 v15, 0, 1, s[6:7]
	v_lshl_or_b32 v1, v15, 16, v1
	v_cmp_gt_u32_e32 vcc, s69, v14
	v_mov_b32_e32 v25, 0
	v_mov_b32_e32 v29, 0
	;; [unrolled: 1-line block ×22, first 2 shown]
                                        ; implicit-def: $sgpr10_sgpr11
                                        ; implicit-def: $vgpr47
	s_and_saveexec_b64 s[6:7], vcc
	s_cbranch_execz .LBB634_128
; %bb.83:
	ds_read_b128 v[14:17], v55 offset:2
	v_mov_b32_e32 v23, s74
	v_cmp_eq_u16_sdwa vcc, v10, v11 src0_sel:WORD_1 src1_sel:DWORD
	v_cmp_ne_u16_sdwa s[8:9], v10, v11 src0_sel:WORD_1 src1_sel:DWORD
	v_or_b32_e32 v22, 2, v28
	s_waitcnt lgkmcnt(0)
	v_cndmask_b32_e32 v23, v23, v14, vcc
	v_and_b32_e32 v23, 0xffff, v23
	v_cndmask_b32_e64 v10, 0, 1, s[8:9]
	v_lshl_or_b32 v25, v10, 16, v23
	v_cmp_gt_u32_e32 vcc, s69, v22
	s_mov_b64 s[12:13], 0
	v_mov_b32_e32 v29, 0
	v_mov_b32_e32 v30, 0
	v_mov_b32_e32 v31, 0
	v_mov_b32_e32 v32, 0
	v_mov_b32_e32 v33, 0
	v_mov_b32_e32 v34, 0
	v_mov_b32_e32 v35, 0
	v_mov_b32_e32 v36, 0
	v_mov_b32_e32 v37, 0
	v_mov_b32_e32 v38, 0
	v_mov_b32_e32 v39, 0
	v_mov_b32_e32 v40, 0
	v_mov_b32_e32 v41, 0
	v_mov_b32_e32 v42, 0
	v_mov_b32_e32 v43, 0
	v_mov_b32_e32 v22, 0
	v_mov_b32_e32 v44, 0
	v_mov_b32_e32 v23, 0
	v_mov_b32_e32 v45, 0
	v_mov_b32_e32 v24, 0
	v_mov_b32_e32 v46, 0
                                        ; implicit-def: $sgpr10_sgpr11
                                        ; implicit-def: $vgpr47
	s_and_saveexec_b64 s[8:9], vcc
	s_cbranch_execz .LBB634_127
; %bb.84:
	v_lshrrev_b32_e32 v10, 16, v14
	v_mov_b32_e32 v22, s74
	v_cmp_eq_u16_sdwa vcc, v11, v11 src0_sel:DWORD src1_sel:WORD_1
	v_cmp_ne_u16_sdwa s[10:11], v11, v11 src0_sel:DWORD src1_sel:WORD_1
	v_or_b32_e32 v14, 3, v28
	v_cndmask_b32_e32 v10, v22, v10, vcc
	v_and_b32_e32 v10, 0xffff, v10
	v_cndmask_b32_e64 v22, 0, 1, s[10:11]
	v_lshl_or_b32 v29, v22, 16, v10
	v_cmp_gt_u32_e32 vcc, s69, v14
	v_mov_b32_e32 v30, 0
	v_mov_b32_e32 v31, 0
	;; [unrolled: 1-line block ×20, first 2 shown]
                                        ; implicit-def: $sgpr14_sgpr15
                                        ; implicit-def: $vgpr47
	s_and_saveexec_b64 s[10:11], vcc
	s_cbranch_execz .LBB634_126
; %bb.85:
	v_mov_b32_e32 v14, s74
	v_cmp_eq_u16_sdwa vcc, v11, v12 src0_sel:WORD_1 src1_sel:DWORD
	v_cmp_ne_u16_sdwa s[12:13], v11, v12 src0_sel:WORD_1 src1_sel:DWORD
	v_or_b32_e32 v10, 4, v28
	v_cndmask_b32_e32 v14, v14, v15, vcc
	v_and_b32_e32 v14, 0xffff, v14
	v_cndmask_b32_e64 v11, 0, 1, s[12:13]
	v_lshl_or_b32 v30, v11, 16, v14
	v_cmp_gt_u32_e32 vcc, s69, v10
	s_mov_b64 s[16:17], 0
	v_mov_b32_e32 v31, 0
	v_mov_b32_e32 v32, 0
	;; [unrolled: 1-line block ×19, first 2 shown]
                                        ; implicit-def: $sgpr14_sgpr15
                                        ; implicit-def: $vgpr47
	s_and_saveexec_b64 s[12:13], vcc
	s_cbranch_execz .LBB634_125
; %bb.86:
	v_lshrrev_b32_e32 v10, 16, v15
	v_mov_b32_e32 v14, s74
	v_cmp_eq_u16_sdwa vcc, v12, v12 src0_sel:DWORD src1_sel:WORD_1
	v_cmp_ne_u16_sdwa s[14:15], v12, v12 src0_sel:DWORD src1_sel:WORD_1
	v_or_b32_e32 v11, 5, v28
	v_cndmask_b32_e32 v10, v14, v10, vcc
	v_and_b32_e32 v10, 0xffff, v10
	v_cndmask_b32_e64 v14, 0, 1, s[14:15]
	v_lshl_or_b32 v31, v14, 16, v10
	v_cmp_gt_u32_e32 vcc, s69, v11
	v_mov_b32_e32 v32, 0
	v_mov_b32_e32 v33, 0
	;; [unrolled: 1-line block ×18, first 2 shown]
                                        ; implicit-def: $sgpr18_sgpr19
                                        ; implicit-def: $vgpr47
	s_and_saveexec_b64 s[14:15], vcc
	s_cbranch_execz .LBB634_124
; %bb.87:
	v_mov_b32_e32 v11, s74
	v_cmp_eq_u16_sdwa vcc, v12, v13 src0_sel:WORD_1 src1_sel:DWORD
	v_cmp_ne_u16_sdwa s[16:17], v12, v13 src0_sel:WORD_1 src1_sel:DWORD
	v_or_b32_e32 v10, 6, v28
	v_cndmask_b32_e32 v11, v11, v16, vcc
	v_and_b32_e32 v11, 0xffff, v11
	v_cndmask_b32_e64 v12, 0, 1, s[16:17]
	v_lshl_or_b32 v32, v12, 16, v11
	v_cmp_gt_u32_e32 vcc, s69, v10
	s_mov_b64 s[20:21], 0
	v_mov_b32_e32 v33, 0
	v_mov_b32_e32 v34, 0
	;; [unrolled: 1-line block ×17, first 2 shown]
                                        ; implicit-def: $sgpr18_sgpr19
                                        ; implicit-def: $vgpr47
	s_and_saveexec_b64 s[16:17], vcc
	s_cbranch_execz .LBB634_123
; %bb.88:
	v_lshrrev_b32_e32 v10, 16, v16
	v_mov_b32_e32 v12, s74
	v_cmp_eq_u16_sdwa vcc, v13, v13 src0_sel:DWORD src1_sel:WORD_1
	v_cmp_ne_u16_sdwa s[18:19], v13, v13 src0_sel:DWORD src1_sel:WORD_1
	v_or_b32_e32 v11, 7, v28
	v_cndmask_b32_e32 v10, v12, v10, vcc
	v_and_b32_e32 v10, 0xffff, v10
	v_cndmask_b32_e64 v12, 0, 1, s[18:19]
	v_lshl_or_b32 v33, v12, 16, v10
	v_cmp_gt_u32_e32 vcc, s69, v11
	v_mov_b32_e32 v34, 0
	v_mov_b32_e32 v35, 0
	;; [unrolled: 1-line block ×16, first 2 shown]
                                        ; implicit-def: $sgpr22_sgpr23
                                        ; implicit-def: $vgpr47
	s_and_saveexec_b64 s[18:19], vcc
	s_cbranch_execz .LBB634_122
; %bb.89:
	v_mov_b32_e32 v11, s74
	v_cmp_eq_u16_sdwa vcc, v13, v6 src0_sel:WORD_1 src1_sel:DWORD
	v_cmp_ne_u16_sdwa s[20:21], v13, v6 src0_sel:WORD_1 src1_sel:DWORD
	v_add_u32_e32 v10, 8, v28
	v_cndmask_b32_e32 v11, v11, v17, vcc
	v_and_b32_e32 v11, 0xffff, v11
	v_cndmask_b32_e64 v12, 0, 1, s[20:21]
	v_lshl_or_b32 v34, v12, 16, v11
	v_cmp_gt_u32_e32 vcc, s69, v10
	s_mov_b64 s[24:25], 0
	v_mov_b32_e32 v35, 0
	v_mov_b32_e32 v36, 0
	;; [unrolled: 1-line block ×15, first 2 shown]
                                        ; implicit-def: $sgpr22_sgpr23
                                        ; implicit-def: $vgpr47
	s_and_saveexec_b64 s[20:21], vcc
	s_cbranch_execz .LBB634_121
; %bb.90:
	v_lshrrev_b32_e32 v10, 16, v17
	v_mov_b32_e32 v12, s74
	v_cmp_eq_u16_sdwa vcc, v6, v6 src0_sel:DWORD src1_sel:WORD_1
	v_cmp_ne_u16_sdwa s[22:23], v6, v6 src0_sel:DWORD src1_sel:WORD_1
	v_add_u32_e32 v11, 9, v28
	v_cndmask_b32_e32 v10, v12, v10, vcc
	v_and_b32_e32 v10, 0xffff, v10
	v_cndmask_b32_e64 v12, 0, 1, s[22:23]
	v_lshl_or_b32 v35, v12, 16, v10
	v_cmp_gt_u32_e32 vcc, s69, v11
	v_mov_b32_e32 v36, 0
	v_mov_b32_e32 v37, 0
	;; [unrolled: 1-line block ×14, first 2 shown]
                                        ; implicit-def: $sgpr26_sgpr27
                                        ; implicit-def: $vgpr47
	s_and_saveexec_b64 s[22:23], vcc
	s_cbranch_execz .LBB634_120
; %bb.91:
	ds_read_b128 v[10:13], v55 offset:18
	v_mov_b32_e32 v15, s74
	v_cmp_eq_u16_sdwa vcc, v6, v7 src0_sel:WORD_1 src1_sel:DWORD
	v_cmp_ne_u16_sdwa s[24:25], v6, v7 src0_sel:WORD_1 src1_sel:DWORD
	v_add_u32_e32 v14, 10, v28
	s_waitcnt lgkmcnt(0)
	v_cndmask_b32_e32 v15, v15, v10, vcc
	v_and_b32_e32 v15, 0xffff, v15
	v_cndmask_b32_e64 v6, 0, 1, s[24:25]
	v_lshl_or_b32 v36, v6, 16, v15
	v_cmp_gt_u32_e32 vcc, s69, v14
	s_mov_b64 s[28:29], 0
	v_mov_b32_e32 v37, 0
	v_mov_b32_e32 v38, 0
	;; [unrolled: 1-line block ×13, first 2 shown]
                                        ; implicit-def: $sgpr26_sgpr27
                                        ; implicit-def: $vgpr47
	s_and_saveexec_b64 s[24:25], vcc
	s_cbranch_execz .LBB634_119
; %bb.92:
	v_lshrrev_b32_e32 v6, 16, v10
	v_mov_b32_e32 v14, s74
	v_cmp_eq_u16_sdwa vcc, v7, v7 src0_sel:DWORD src1_sel:WORD_1
	v_cmp_ne_u16_sdwa s[26:27], v7, v7 src0_sel:DWORD src1_sel:WORD_1
	v_add_u32_e32 v10, 11, v28
	v_cndmask_b32_e32 v6, v14, v6, vcc
	v_and_b32_e32 v6, 0xffff, v6
	v_cndmask_b32_e64 v14, 0, 1, s[26:27]
	v_lshl_or_b32 v37, v14, 16, v6
	v_cmp_gt_u32_e32 vcc, s69, v10
	v_mov_b32_e32 v38, 0
	v_mov_b32_e32 v39, 0
	;; [unrolled: 1-line block ×12, first 2 shown]
                                        ; implicit-def: $sgpr30_sgpr31
                                        ; implicit-def: $vgpr47
	s_and_saveexec_b64 s[26:27], vcc
	s_cbranch_execz .LBB634_118
; %bb.93:
	v_mov_b32_e32 v10, s74
	v_cmp_eq_u16_sdwa vcc, v7, v8 src0_sel:WORD_1 src1_sel:DWORD
	v_cmp_ne_u16_sdwa s[28:29], v7, v8 src0_sel:WORD_1 src1_sel:DWORD
	v_add_u32_e32 v6, 12, v28
	v_cndmask_b32_e32 v10, v10, v11, vcc
	v_and_b32_e32 v10, 0xffff, v10
	v_cndmask_b32_e64 v7, 0, 1, s[28:29]
	v_lshl_or_b32 v38, v7, 16, v10
	v_cmp_gt_u32_e32 vcc, s69, v6
	s_mov_b64 s[34:35], 0
	v_mov_b32_e32 v39, 0
	v_mov_b32_e32 v40, 0
	;; [unrolled: 1-line block ×11, first 2 shown]
                                        ; implicit-def: $sgpr30_sgpr31
                                        ; implicit-def: $vgpr47
	s_and_saveexec_b64 s[28:29], vcc
	s_cbranch_execz .LBB634_117
; %bb.94:
	v_lshrrev_b32_e32 v6, 16, v11
	v_mov_b32_e32 v10, s74
	v_cmp_eq_u16_sdwa vcc, v8, v8 src0_sel:DWORD src1_sel:WORD_1
	v_cmp_ne_u16_sdwa s[30:31], v8, v8 src0_sel:DWORD src1_sel:WORD_1
	v_add_u32_e32 v7, 13, v28
	v_cndmask_b32_e32 v6, v10, v6, vcc
	v_and_b32_e32 v6, 0xffff, v6
	v_cndmask_b32_e64 v10, 0, 1, s[30:31]
	v_lshl_or_b32 v39, v10, 16, v6
	v_cmp_gt_u32_e32 vcc, s69, v7
	v_mov_b32_e32 v40, 0
	v_mov_b32_e32 v41, 0
	;; [unrolled: 1-line block ×10, first 2 shown]
                                        ; implicit-def: $sgpr36_sgpr37
                                        ; implicit-def: $vgpr47
	s_and_saveexec_b64 s[30:31], vcc
	s_cbranch_execz .LBB634_116
; %bb.95:
	v_mov_b32_e32 v7, s74
	v_cmp_eq_u16_sdwa vcc, v8, v9 src0_sel:WORD_1 src1_sel:DWORD
	v_cmp_ne_u16_sdwa s[34:35], v8, v9 src0_sel:WORD_1 src1_sel:DWORD
	v_add_u32_e32 v6, 14, v28
	v_cndmask_b32_e32 v7, v7, v12, vcc
	v_and_b32_e32 v7, 0xffff, v7
	v_cndmask_b32_e64 v8, 0, 1, s[34:35]
	v_lshl_or_b32 v40, v8, 16, v7
	v_cmp_gt_u32_e32 vcc, s69, v6
	s_mov_b64 s[38:39], 0
	v_mov_b32_e32 v41, 0
	v_mov_b32_e32 v42, 0
	;; [unrolled: 1-line block ×9, first 2 shown]
                                        ; implicit-def: $sgpr36_sgpr37
                                        ; implicit-def: $vgpr47
	s_and_saveexec_b64 s[34:35], vcc
	s_cbranch_execz .LBB634_115
; %bb.96:
	v_lshrrev_b32_e32 v6, 16, v12
	v_mov_b32_e32 v8, s74
	v_cmp_eq_u16_sdwa vcc, v9, v9 src0_sel:DWORD src1_sel:WORD_1
	v_cmp_ne_u16_sdwa s[36:37], v9, v9 src0_sel:DWORD src1_sel:WORD_1
	v_add_u32_e32 v7, 15, v28
	v_cndmask_b32_e32 v6, v8, v6, vcc
	v_and_b32_e32 v6, 0xffff, v6
	v_cndmask_b32_e64 v8, 0, 1, s[36:37]
	v_lshl_or_b32 v41, v8, 16, v6
	v_cmp_gt_u32_e32 vcc, s69, v7
	v_mov_b32_e32 v42, 0
	v_mov_b32_e32 v43, 0
	;; [unrolled: 1-line block ×8, first 2 shown]
                                        ; implicit-def: $sgpr40_sgpr41
                                        ; implicit-def: $vgpr47
	s_and_saveexec_b64 s[36:37], vcc
	s_cbranch_execz .LBB634_114
; %bb.97:
	v_mov_b32_e32 v7, s74
	v_cmp_eq_u16_sdwa vcc, v9, v2 src0_sel:WORD_1 src1_sel:DWORD
	v_cmp_ne_u16_sdwa s[38:39], v9, v2 src0_sel:WORD_1 src1_sel:DWORD
	v_add_u32_e32 v6, 16, v28
	v_cndmask_b32_e32 v7, v7, v13, vcc
	v_and_b32_e32 v7, 0xffff, v7
	v_cndmask_b32_e64 v8, 0, 1, s[38:39]
	v_lshl_or_b32 v42, v8, 16, v7
	v_cmp_gt_u32_e32 vcc, s69, v6
	s_mov_b64 s[42:43], 0
	v_mov_b32_e32 v43, 0
	v_mov_b32_e32 v22, 0
	;; [unrolled: 1-line block ×7, first 2 shown]
                                        ; implicit-def: $sgpr40_sgpr41
                                        ; implicit-def: $vgpr47
	s_and_saveexec_b64 s[38:39], vcc
	s_cbranch_execz .LBB634_113
; %bb.98:
	v_lshrrev_b32_e32 v6, 16, v13
	v_mov_b32_e32 v8, s74
	v_cmp_eq_u16_sdwa vcc, v2, v2 src0_sel:DWORD src1_sel:WORD_1
	v_cmp_ne_u16_sdwa s[40:41], v2, v2 src0_sel:DWORD src1_sel:WORD_1
	v_add_u32_e32 v7, 17, v28
	v_cndmask_b32_e32 v6, v8, v6, vcc
	v_and_b32_e32 v6, 0xffff, v6
	v_cndmask_b32_e64 v8, 0, 1, s[40:41]
	v_lshl_or_b32 v43, v8, 16, v6
	v_cmp_gt_u32_e32 vcc, s69, v7
	v_mov_b32_e32 v22, 0
	v_mov_b32_e32 v44, 0
	;; [unrolled: 1-line block ×6, first 2 shown]
                                        ; implicit-def: $sgpr44_sgpr45
                                        ; implicit-def: $vgpr47
	s_and_saveexec_b64 s[40:41], vcc
	s_cbranch_execz .LBB634_112
; %bb.99:
	ds_read_b96 v[6:8], v55 offset:34
	v_mov_b32_e32 v10, s74
	v_cmp_eq_u16_sdwa vcc, v2, v3 src0_sel:WORD_1 src1_sel:DWORD
	v_cmp_ne_u16_sdwa s[42:43], v2, v3 src0_sel:WORD_1 src1_sel:DWORD
	v_add_u32_e32 v9, 18, v28
	s_waitcnt lgkmcnt(0)
	v_cndmask_b32_e32 v10, v10, v6, vcc
	v_and_b32_e32 v10, 0xffff, v10
	v_cndmask_b32_e64 v2, 0, 1, s[42:43]
	v_lshl_or_b32 v22, v2, 16, v10
	v_cmp_gt_u32_e32 vcc, s69, v9
	s_mov_b64 s[46:47], 0
	v_mov_b32_e32 v44, 0
	v_mov_b32_e32 v23, 0
	;; [unrolled: 1-line block ×5, first 2 shown]
                                        ; implicit-def: $sgpr44_sgpr45
                                        ; implicit-def: $vgpr47
	s_and_saveexec_b64 s[42:43], vcc
	s_cbranch_execz .LBB634_111
; %bb.100:
	v_lshrrev_b32_e32 v2, 16, v6
	v_mov_b32_e32 v9, s74
	v_cmp_eq_u16_sdwa vcc, v3, v3 src0_sel:DWORD src1_sel:WORD_1
	v_cmp_ne_u16_sdwa s[44:45], v3, v3 src0_sel:DWORD src1_sel:WORD_1
	v_add_u32_e32 v6, 19, v28
	v_cndmask_b32_e32 v2, v9, v2, vcc
	v_and_b32_e32 v2, 0xffff, v2
	v_cndmask_b32_e64 v9, 0, 1, s[44:45]
	v_lshl_or_b32 v44, v9, 16, v2
	v_cmp_gt_u32_e32 vcc, s69, v6
	v_mov_b32_e32 v23, 0
	v_mov_b32_e32 v45, 0
	;; [unrolled: 1-line block ×4, first 2 shown]
                                        ; implicit-def: $sgpr48_sgpr49
                                        ; implicit-def: $vgpr47
	s_and_saveexec_b64 s[44:45], vcc
	s_cbranch_execz .LBB634_110
; %bb.101:
	v_mov_b32_e32 v6, s74
	v_cmp_eq_u16_sdwa vcc, v3, v4 src0_sel:WORD_1 src1_sel:DWORD
	v_cmp_ne_u16_sdwa s[46:47], v3, v4 src0_sel:WORD_1 src1_sel:DWORD
	v_add_u32_e32 v2, 20, v28
	v_cndmask_b32_e32 v6, v6, v7, vcc
	v_and_b32_e32 v6, 0xffff, v6
	v_cndmask_b32_e64 v3, 0, 1, s[46:47]
	v_lshl_or_b32 v23, v3, 16, v6
	v_cmp_gt_u32_e32 vcc, s69, v2
	s_mov_b64 s[50:51], 0
	v_mov_b32_e32 v45, 0
	v_mov_b32_e32 v24, 0
	;; [unrolled: 1-line block ×3, first 2 shown]
                                        ; implicit-def: $sgpr48_sgpr49
                                        ; implicit-def: $vgpr47
	s_and_saveexec_b64 s[46:47], vcc
	s_cbranch_execz .LBB634_109
; %bb.102:
	v_lshrrev_b32_e32 v2, 16, v7
	v_mov_b32_e32 v6, s74
	v_cmp_eq_u16_sdwa vcc, v4, v4 src0_sel:DWORD src1_sel:WORD_1
	v_cmp_ne_u16_sdwa s[48:49], v4, v4 src0_sel:DWORD src1_sel:WORD_1
	v_add_u32_e32 v3, 21, v28
	v_cndmask_b32_e32 v2, v6, v2, vcc
	v_and_b32_e32 v2, 0xffff, v2
	v_cndmask_b32_e64 v6, 0, 1, s[48:49]
	v_lshl_or_b32 v45, v6, 16, v2
	v_cmp_gt_u32_e32 vcc, s69, v3
	v_mov_b32_e32 v24, 0
	v_mov_b32_e32 v46, 0
                                        ; implicit-def: $sgpr56_sgpr57
                                        ; implicit-def: $vgpr47
	s_and_saveexec_b64 s[48:49], vcc
	s_cbranch_execz .LBB634_108
; %bb.103:
	v_mov_b32_e32 v3, s74
	v_cmp_eq_u16_sdwa vcc, v4, v5 src0_sel:WORD_1 src1_sel:DWORD
	v_cmp_ne_u16_sdwa s[50:51], v4, v5 src0_sel:WORD_1 src1_sel:DWORD
	v_add_u32_e32 v2, 22, v28
	v_cndmask_b32_e32 v3, v3, v8, vcc
	v_and_b32_e32 v3, 0xffff, v3
	v_cndmask_b32_e64 v4, 0, 1, s[50:51]
	v_lshl_or_b32 v24, v4, 16, v3
	v_cmp_gt_u32_e32 vcc, s69, v2
	s_mov_b64 s[58:59], 0
	v_mov_b32_e32 v46, 0
                                        ; implicit-def: $sgpr60_sgpr61
                                        ; implicit-def: $vgpr47
	s_and_saveexec_b64 s[50:51], vcc
	s_cbranch_execz .LBB634_107
; %bb.104:
	v_lshrrev_b32_e32 v2, 16, v8
	v_mov_b32_e32 v4, s74
	v_cmp_eq_u16_sdwa vcc, v5, v5 src0_sel:DWORD src1_sel:WORD_1
	v_cmp_ne_u16_sdwa s[56:57], v5, v5 src0_sel:DWORD src1_sel:WORD_1
	v_add_u32_e32 v3, 23, v28
	v_cndmask_b32_e32 v2, v4, v2, vcc
	v_and_b32_e32 v2, 0xffff, v2
	v_cndmask_b32_e64 v4, 0, 1, s[56:57]
	v_lshl_or_b32 v46, v4, 16, v2
	v_cmp_gt_u32_e32 vcc, s69, v3
	s_mov_b64 s[56:57], 0
                                        ; implicit-def: $sgpr58_sgpr59
                                        ; implicit-def: $vgpr47
	s_and_saveexec_b64 s[60:61], vcc
	s_xor_b64 s[60:61], exec, s[60:61]
	s_cbranch_execz .LBB634_106
; %bb.105:
	ds_read_u16 v2, v55 offset:46
	v_mov_b32_e32 v3, s74
	v_cmp_ne_u16_sdwa vcc, v5, v54 src0_sel:WORD_1 src1_sel:DWORD
	s_mov_b64 s[56:57], exec
	s_and_b64 s[58:59], vcc, exec
	s_waitcnt lgkmcnt(0)
	v_cndmask_b32_e32 v47, v2, v3, vcc
.LBB634_106:
	s_or_b64 exec, exec, s[60:61]
	s_and_b64 s[60:61], s[58:59], exec
	s_and_b64 s[58:59], s[56:57], exec
.LBB634_107:
	s_or_b64 exec, exec, s[50:51]
	s_and_b64 s[56:57], s[60:61], exec
	s_and_b64 s[50:51], s[58:59], exec
.LBB634_108:
	s_or_b64 exec, exec, s[48:49]
	s_and_b64 s[48:49], s[56:57], exec
	s_and_b64 s[50:51], s[50:51], exec
.LBB634_109:
	s_or_b64 exec, exec, s[46:47]
	s_and_b64 s[48:49], s[48:49], exec
	s_and_b64 s[46:47], s[50:51], exec
.LBB634_110:
	s_or_b64 exec, exec, s[44:45]
	s_and_b64 s[44:45], s[48:49], exec
	s_and_b64 s[46:47], s[46:47], exec
.LBB634_111:
	s_or_b64 exec, exec, s[42:43]
	s_and_b64 s[44:45], s[44:45], exec
	s_and_b64 s[42:43], s[46:47], exec
.LBB634_112:
	s_or_b64 exec, exec, s[40:41]
	s_and_b64 s[40:41], s[44:45], exec
	s_and_b64 s[42:43], s[42:43], exec
.LBB634_113:
	s_or_b64 exec, exec, s[38:39]
	s_and_b64 s[40:41], s[40:41], exec
	s_and_b64 s[38:39], s[42:43], exec
.LBB634_114:
	s_or_b64 exec, exec, s[36:37]
	s_and_b64 s[36:37], s[40:41], exec
	s_and_b64 s[38:39], s[38:39], exec
.LBB634_115:
	s_or_b64 exec, exec, s[34:35]
	s_and_b64 s[36:37], s[36:37], exec
	s_and_b64 s[34:35], s[38:39], exec
.LBB634_116:
	s_or_b64 exec, exec, s[30:31]
	s_and_b64 s[30:31], s[36:37], exec
	s_and_b64 s[34:35], s[34:35], exec
.LBB634_117:
	s_or_b64 exec, exec, s[28:29]
	s_and_b64 s[30:31], s[30:31], exec
	s_and_b64 s[28:29], s[34:35], exec
.LBB634_118:
	s_or_b64 exec, exec, s[26:27]
	s_and_b64 s[26:27], s[30:31], exec
	s_and_b64 s[28:29], s[28:29], exec
.LBB634_119:
	s_or_b64 exec, exec, s[24:25]
	s_and_b64 s[26:27], s[26:27], exec
	s_and_b64 s[24:25], s[28:29], exec
.LBB634_120:
	s_or_b64 exec, exec, s[22:23]
	s_and_b64 s[22:23], s[26:27], exec
	s_and_b64 s[24:25], s[24:25], exec
.LBB634_121:
	s_or_b64 exec, exec, s[20:21]
	s_and_b64 s[22:23], s[22:23], exec
	s_and_b64 s[20:21], s[24:25], exec
.LBB634_122:
	s_or_b64 exec, exec, s[18:19]
	s_and_b64 s[18:19], s[22:23], exec
	s_and_b64 s[20:21], s[20:21], exec
.LBB634_123:
	s_or_b64 exec, exec, s[16:17]
	s_and_b64 s[18:19], s[18:19], exec
	s_and_b64 s[16:17], s[20:21], exec
.LBB634_124:
	s_or_b64 exec, exec, s[14:15]
	s_and_b64 s[14:15], s[18:19], exec
	s_and_b64 s[16:17], s[16:17], exec
.LBB634_125:
	s_or_b64 exec, exec, s[12:13]
	s_and_b64 s[14:15], s[14:15], exec
	s_and_b64 s[12:13], s[16:17], exec
.LBB634_126:
	s_or_b64 exec, exec, s[10:11]
	s_and_b64 s[10:11], s[14:15], exec
	s_and_b64 s[12:13], s[12:13], exec
.LBB634_127:
	s_or_b64 exec, exec, s[8:9]
	s_and_b64 s[10:11], s[10:11], exec
	s_and_b64 s[8:9], s[12:13], exec
.LBB634_128:
	s_or_b64 exec, exec, s[6:7]
	s_and_b64 s[6:7], s[10:11], exec
	s_and_b64 s[8:9], s[8:9], exec
.LBB634_129:
	s_or_b64 exec, exec, s[4:5]
	s_and_b64 vcc, exec, s[0:1]
	v_lshlrev_b32_e32 v28, 1, v0
	s_cbranch_vccnz .LBB634_131
	s_branch .LBB634_136
.LBB634_130:
	s_mov_b64 s[8:9], 0
                                        ; implicit-def: $sgpr6_sgpr7
                                        ; implicit-def: $vgpr47
                                        ; implicit-def: $vgpr1
                                        ; implicit-def: $vgpr25
                                        ; implicit-def: $vgpr29
                                        ; implicit-def: $vgpr30
                                        ; implicit-def: $vgpr31
                                        ; implicit-def: $vgpr32
                                        ; implicit-def: $vgpr33
                                        ; implicit-def: $vgpr34
                                        ; implicit-def: $vgpr35
                                        ; implicit-def: $vgpr36
                                        ; implicit-def: $vgpr37
                                        ; implicit-def: $vgpr38
                                        ; implicit-def: $vgpr39
                                        ; implicit-def: $vgpr40
                                        ; implicit-def: $vgpr41
                                        ; implicit-def: $vgpr42
                                        ; implicit-def: $vgpr43
                                        ; implicit-def: $vgpr22
                                        ; implicit-def: $vgpr44
                                        ; implicit-def: $vgpr23
                                        ; implicit-def: $vgpr45
                                        ; implicit-def: $vgpr24
                                        ; implicit-def: $vgpr46
                                        ; implicit-def: $sgpr68
	s_and_b64 vcc, exec, s[0:1]
	v_lshlrev_b32_e32 v28, 1, v0
	s_cbranch_vccz .LBB634_136
.LBB634_131:
	v_mov_b32_e32 v29, 0
	v_lshl_add_u64 v[2:3], v[20:21], 0, v[28:29]
	v_add_co_u32_e32 v4, vcc, 0x1000, v2
	flat_load_ushort v1, v[2:3]
	flat_load_ushort v6, v[2:3] offset:512
	flat_load_ushort v7, v[2:3] offset:1024
	;; [unrolled: 1-line block ×7, first 2 shown]
	v_addc_co_u32_e32 v5, vcc, 0, v3, vcc
	v_add_co_u32_e32 v2, vcc, 0x2000, v2
	flat_load_ushort v13, v[4:5]
	flat_load_ushort v14, v[4:5] offset:512
	flat_load_ushort v15, v[4:5] offset:1024
	;; [unrolled: 1-line block ×7, first 2 shown]
	v_addc_co_u32_e32 v3, vcc, 0, v3, vcc
	flat_load_ushort v4, v[2:3]
	flat_load_ushort v5, v[2:3] offset:512
	flat_load_ushort v25, v[2:3] offset:1024
	;; [unrolled: 1-line block ×7, first 2 shown]
	v_add_co_u32_e32 v2, vcc, 0x3000, v20
	s_movk_i32 s0, 0xffd2
	s_nop 0
	v_addc_co_u32_e32 v3, vcc, 0, v21, vcc
	s_movk_i32 s5, 0x1000
	s_movk_i32 s4, 0x2000
	s_waitcnt vmcnt(0) lgkmcnt(0)
	ds_write_b16 v28, v1
	ds_write_b16 v28, v6 offset:512
	ds_write_b16 v28, v7 offset:1024
	;; [unrolled: 1-line block ×23, first 2 shown]
	s_waitcnt lgkmcnt(0)
	s_barrier
	flat_load_ushort v47, v[2:3]
	v_mad_u32_u24 v1, v0, 46, v28
	ds_read_b128 v[10:13], v1
	ds_read_b128 v[6:9], v1 offset:16
	ds_read_b128 v[2:5], v1 offset:32
	v_mad_i32_i24 v14, v0, s0, v1
	s_movk_i32 s0, 0xff
	v_cmp_ne_u32_e32 vcc, s0, v0
	s_waitcnt lgkmcnt(0)
	ds_write_b16 v14, v10 offset:12800
	s_waitcnt lgkmcnt(0)
	s_barrier
	s_and_saveexec_b64 s[0:1], vcc
	s_cbranch_execz .LBB634_133
; %bb.132:
	s_waitcnt vmcnt(0)
	ds_read_u16 v47, v28 offset:12802
.LBB634_133:
	s_or_b64 exec, exec, s[0:1]
	v_lshl_add_u64 v[14:15], v[18:19], 0, v[28:29]
	v_add_co_u32_e32 v16, vcc, s5, v14
	s_waitcnt lgkmcnt(0)
	s_nop 0
	v_addc_co_u32_e32 v17, vcc, 0, v15, vcc
	s_barrier
	flat_load_ushort v18, v[14:15]
	flat_load_ushort v19, v[14:15] offset:512
	flat_load_ushort v20, v[14:15] offset:1024
	;; [unrolled: 1-line block ×7, first 2 shown]
	v_add_co_u32_e32 v14, vcc, s4, v14
	flat_load_ushort v30, v[16:17]
	flat_load_ushort v31, v[16:17] offset:512
	flat_load_ushort v32, v[16:17] offset:1024
	;; [unrolled: 1-line block ×7, first 2 shown]
	v_addc_co_u32_e32 v15, vcc, 0, v15, vcc
	flat_load_ushort v16, v[14:15]
	flat_load_ushort v17, v[14:15] offset:512
	flat_load_ushort v38, v[14:15] offset:1024
	;; [unrolled: 1-line block ×7, first 2 shown]
	v_cmp_eq_u16_sdwa s[4:5], v10, v10 src0_sel:DWORD src1_sel:WORD_1
	s_waitcnt vmcnt(0) lgkmcnt(0)
	ds_write_b16 v28, v18
	ds_write_b16 v28, v19 offset:512
	ds_write_b16 v28, v20 offset:1024
	;; [unrolled: 1-line block ×23, first 2 shown]
	s_waitcnt lgkmcnt(0)
	s_barrier
	ds_read_b128 v[18:21], v1 offset:2
	ds_read_b128 v[14:17], v1 offset:18
	ds_read_b96 v[22:24], v1 offset:34
	ds_read_u16 v48, v1 offset:46
	v_mov_b32_e32 v25, 0x10000
	v_mov_b32_e32 v30, s74
	s_and_saveexec_b64 s[0:1], s[4:5]
	s_cbranch_execz .LBB634_135
; %bb.134:
	ds_read_u16 v30, v1
	v_mov_b32_e32 v25, v29
.LBB634_135:
	s_or_b64 exec, exec, s[0:1]
	v_mov_b32_e32 v49, s74
	v_cmp_eq_u16_sdwa vcc, v10, v11 src0_sel:WORD_1 src1_sel:DWORD
	s_waitcnt lgkmcnt(3)
	v_lshrrev_b32_e32 v29, 16, v18
	v_cmp_ne_u16_sdwa s[0:1], v10, v11 src0_sel:WORD_1 src1_sel:DWORD
	v_cndmask_b32_e32 v18, v49, v18, vcc
	v_and_b32_e32 v18, 0xffff, v18
	v_cndmask_b32_e64 v10, 0, 1, s[0:1]
	v_cmp_eq_u16_sdwa vcc, v11, v11 src0_sel:DWORD src1_sel:WORD_1
	s_waitcnt lgkmcnt(0)
	v_or_b32_sdwa v1, v25, v30 dst_sel:DWORD dst_unused:UNUSED_PAD src0_sel:DWORD src1_sel:WORD_0
	v_lshl_or_b32 v25, v10, 16, v18
	v_cndmask_b32_e32 v10, v49, v29, vcc
	v_cmp_ne_u16_sdwa s[0:1], v11, v11 src0_sel:DWORD src1_sel:WORD_1
	v_and_b32_e32 v10, 0xffff, v10
	v_cmp_eq_u16_sdwa vcc, v11, v12 src0_sel:WORD_1 src1_sel:DWORD
	v_cndmask_b32_e64 v18, 0, 1, s[0:1]
	v_lshl_or_b32 v29, v18, 16, v10
	v_cndmask_b32_e32 v10, v49, v19, vcc
	v_cmp_ne_u16_sdwa s[0:1], v11, v12 src0_sel:WORD_1 src1_sel:DWORD
	v_lshrrev_b32_e32 v31, 16, v19
	v_and_b32_e32 v10, 0xffff, v10
	v_cndmask_b32_e64 v11, 0, 1, s[0:1]
	v_cmp_eq_u16_sdwa vcc, v12, v12 src0_sel:DWORD src1_sel:WORD_1
	v_lshl_or_b32 v30, v11, 16, v10
	v_cmp_ne_u16_sdwa s[0:1], v12, v12 src0_sel:DWORD src1_sel:WORD_1
	v_cndmask_b32_e32 v10, v49, v31, vcc
	v_and_b32_e32 v10, 0xffff, v10
	v_cndmask_b32_e64 v11, 0, 1, s[0:1]
	v_cmp_eq_u16_sdwa vcc, v12, v13 src0_sel:WORD_1 src1_sel:DWORD
	v_lshl_or_b32 v31, v11, 16, v10
	v_cmp_ne_u16_sdwa s[0:1], v12, v13 src0_sel:WORD_1 src1_sel:DWORD
	v_cndmask_b32_e32 v10, v49, v20, vcc
	v_lshrrev_b32_e32 v33, 16, v20
	v_and_b32_e32 v10, 0xffff, v10
	v_cndmask_b32_e64 v11, 0, 1, s[0:1]
	v_cmp_eq_u16_sdwa vcc, v13, v13 src0_sel:DWORD src1_sel:WORD_1
	v_lshl_or_b32 v32, v11, 16, v10
	v_cmp_ne_u16_sdwa s[0:1], v13, v13 src0_sel:DWORD src1_sel:WORD_1
	v_cndmask_b32_e32 v10, v49, v33, vcc
	v_and_b32_e32 v10, 0xffff, v10
	v_cndmask_b32_e64 v11, 0, 1, s[0:1]
	v_cmp_eq_u16_sdwa vcc, v13, v6 src0_sel:WORD_1 src1_sel:DWORD
	v_lshl_or_b32 v33, v11, 16, v10
	v_cmp_ne_u16_sdwa s[0:1], v13, v6 src0_sel:WORD_1 src1_sel:DWORD
	v_cndmask_b32_e32 v10, v49, v21, vcc
	;; [unrolled: 13-line block ×9, first 2 shown]
	v_lshrrev_b32_e32 v46, 16, v24
	v_and_b32_e32 v2, 0xffff, v2
	v_cndmask_b32_e64 v3, 0, 1, s[0:1]
	v_cmp_eq_u16_sdwa vcc, v5, v5 src0_sel:DWORD src1_sel:WORD_1
	v_lshl_or_b32 v24, v3, 16, v2
	v_cmp_ne_u16_sdwa s[0:1], v5, v5 src0_sel:DWORD src1_sel:WORD_1
	v_cndmask_b32_e32 v2, v49, v46, vcc
	v_and_b32_e32 v2, 0xffff, v2
	v_cndmask_b32_e64 v3, 0, 1, s[0:1]
	v_cmp_ne_u16_sdwa s[6:7], v5, v47 src0_sel:WORD_1 src1_sel:DWORD
	v_lshl_or_b32 v46, v3, 16, v2
	s_mov_b64 s[8:9], -1
	v_cndmask_b32_e64 v47, v48, v49, s[6:7]
                                        ; implicit-def: $sgpr68
.LBB634_136:
	v_mov_b32_e32 v12, s68
	s_and_saveexec_b64 s[0:1], s[8:9]
; %bb.137:
	v_mov_b32_e32 v2, 0x10000
	v_cndmask_b32_e64 v2, 0, v2, s[6:7]
	v_or_b32_sdwa v12, v2, v47 dst_sel:DWORD dst_unused:UNUSED_PAD src0_sel:DWORD src1_sel:WORD_0
; %bb.138:
	s_or_b64 exec, exec, s[0:1]
	v_or3_b32 v2, v12, v46, v24
	s_cmp_lg_u32 s67, 0
	v_or3_b32 v14, v2, v45, v23
	v_mbcnt_lo_u32_b32 v13, -1, 0
	s_barrier
	s_cbranch_scc0 .LBB634_227
; %bb.139:
	s_mov_b32 s0, 0x10000
	v_cmp_gt_u32_e64 s[4:5], s0, v25
	v_cmp_gt_u32_e64 s[6:7], s0, v29
	v_cmp_gt_u32_e64 s[8:9], s0, v30
	v_cndmask_b32_e64 v2, 1, v1, s[4:5]
	v_mul_lo_u16_e32 v2, v2, v25
	v_cndmask_b32_e64 v2, 1, v2, s[6:7]
	v_mul_lo_u16_e32 v2, v2, v29
	v_cndmask_b32_e64 v2, 1, v2, s[8:9]
	v_mul_lo_u16_e32 v2, v2, v30
	v_cmp_gt_u32_e64 s[10:11], s0, v31
	v_cmp_gt_u32_e64 s[12:13], s0, v32
	v_cmp_gt_u32_e64 s[14:15], s0, v33
	v_cndmask_b32_e64 v2, 1, v2, s[10:11]
	v_mul_lo_u16_e32 v2, v2, v31
	v_cndmask_b32_e64 v2, 1, v2, s[12:13]
	v_mul_lo_u16_e32 v2, v2, v32
	v_cndmask_b32_e64 v2, 1, v2, s[14:15]
	v_mul_lo_u16_e32 v2, v2, v33
	;; [unrolled: 9-line block ×5, first 2 shown]
	v_cmp_gt_u32_e64 s[36:37], s0, v43
	v_cmp_gt_u32_e64 s[38:39], s0, v22
	;; [unrolled: 1-line block ×3, first 2 shown]
	v_cndmask_b32_e64 v2, 1, v2, s[36:37]
	v_mul_lo_u16_e32 v2, v2, v43
	v_cndmask_b32_e64 v2, 1, v2, s[38:39]
	v_mul_lo_u16_e32 v2, v2, v22
	v_cndmask_b32_e64 v2, 1, v2, s[40:41]
	v_or3_b32 v5, v14, v44, v22
	v_mul_lo_u16_e32 v2, v2, v44
	v_cmp_gt_u32_e64 s[42:43], s0, v23
	v_or3_b32 v5, v5, v43, v42
	v_or3_b32 v5, v5, v41, v40
	v_cndmask_b32_e64 v2, 1, v2, s[42:43]
	v_mul_lo_u16_e32 v2, v2, v23
	v_cmp_gt_u32_e64 s[44:45], s0, v45
	v_or3_b32 v5, v5, v39, v38
	v_or3_b32 v5, v5, v37, v36
	v_cndmask_b32_e64 v2, 1, v2, s[44:45]
	;; [unrolled: 5-line block ×4, first 2 shown]
	v_mul_lo_u16_e32 v2, v2, v46
	v_cmp_gt_u32_e32 vcc, s0, v12
	v_and_b32_e32 v5, 0x10000, v5
	v_and_b32_e32 v3, 0x10000, v1
	v_cndmask_b32_e32 v4, 1, v2, vcc
	v_mov_b32_e32 v6, 0x10000
	v_cmp_ne_u32_e32 vcc, 0, v5
	v_mul_lo_u16_e32 v2, v4, v12
	v_mul_lo_u16_e32 v4, v4, v12
	v_cndmask_b32_e32 v6, v3, v6, vcc
	v_mbcnt_hi_u32_b32 v5, -1, v13
	v_and_b32_e32 v7, 15, v5
	v_or_b32_e32 v4, v6, v4
	v_lshrrev_b32_e32 v3, 16, v6
	v_cmp_ne_u32_e32 vcc, 0, v7
	v_mov_b32_dpp v8, v4 row_shr:1 row_mask:0xf bank_mask:0xf
	s_and_saveexec_b64 s[0:1], vcc
	s_cbranch_execz .LBB634_141
; %bb.140:
	v_cmp_eq_u32_e32 vcc, 0, v6
	v_and_b32_e32 v3, 0x10000, v6
	v_mov_b32_e32 v6, 1
	v_cndmask_b32_e32 v4, 1, v8, vcc
	v_and_b32_sdwa v6, v8, v6 dst_sel:DWORD dst_unused:UNUSED_PAD src0_sel:WORD_1 src1_sel:DWORD
	v_cmp_ne_u32_e32 vcc, 0, v3
	v_mul_lo_u16_e32 v9, v4, v2
	v_mul_lo_u16_e32 v2, v4, v2
	v_cndmask_b32_e64 v3, v6, 1, vcc
	v_lshlrev_b32_e32 v6, 16, v3
	v_or_b32_e32 v4, v6, v2
	v_mov_b32_e32 v2, v9
.LBB634_141:
	s_or_b64 exec, exec, s[0:1]
	v_lshrrev_b32_e32 v6, 16, v4
	v_mov_b32_dpp v8, v4 row_shr:2 row_mask:0xf bank_mask:0xf
	v_cmp_lt_u32_e32 vcc, 1, v7
	s_and_saveexec_b64 s[0:1], vcc
	s_cbranch_execz .LBB634_143
; %bb.142:
	s_mov_b32 s50, 0x10000
	v_cmp_gt_u32_e32 vcc, s50, v4
	v_and_b32_e32 v3, 0x10000, v4
	v_mov_b32_e32 v4, 1
	v_cndmask_b32_e32 v6, 1, v8, vcc
	v_and_b32_sdwa v4, v8, v4 dst_sel:DWORD dst_unused:UNUSED_PAD src0_sel:WORD_1 src1_sel:DWORD
	v_cmp_ne_u32_e32 vcc, 0, v3
	v_mul_lo_u16_e32 v9, v6, v2
	v_mul_lo_u16_e32 v2, v6, v2
	v_cndmask_b32_e64 v3, v4, 1, vcc
	v_lshlrev_b32_e32 v4, 16, v3
	v_or_b32_e32 v4, v4, v2
	v_mov_b32_e32 v6, v3
	v_mov_b32_e32 v2, v9
.LBB634_143:
	s_or_b64 exec, exec, s[0:1]
	v_mov_b32_dpp v8, v4 row_shr:4 row_mask:0xf bank_mask:0xf
	v_cmp_lt_u32_e32 vcc, 3, v7
	s_and_saveexec_b64 s[0:1], vcc
	s_cbranch_execz .LBB634_145
; %bb.144:
	v_cmp_eq_u16_e32 vcc, 0, v6
	v_and_b32_e32 v3, 1, v6
	v_mov_b32_e32 v6, 1
	v_cndmask_b32_e32 v4, 1, v8, vcc
	v_and_b32_sdwa v6, v8, v6 dst_sel:DWORD dst_unused:UNUSED_PAD src0_sel:WORD_1 src1_sel:DWORD
	v_cmp_eq_u32_e32 vcc, 1, v3
	v_mul_lo_u16_e32 v9, v4, v2
	v_mul_lo_u16_e32 v2, v4, v2
	v_cndmask_b32_e64 v3, v6, 1, vcc
	v_lshlrev_b32_e32 v6, 16, v3
	v_or_b32_e32 v4, v6, v2
	v_mov_b32_e32 v6, v3
	v_mov_b32_e32 v2, v9
.LBB634_145:
	s_or_b64 exec, exec, s[0:1]
	v_mov_b32_dpp v8, v4 row_shr:8 row_mask:0xf bank_mask:0xf
	v_cmp_lt_u32_e32 vcc, 7, v7
	s_and_saveexec_b64 s[0:1], vcc
	s_cbranch_execz .LBB634_147
; %bb.146:
	v_cmp_eq_u16_e32 vcc, 0, v6
	v_and_b32_e32 v3, 1, v6
	v_mov_b32_e32 v6, 1
	v_cndmask_b32_e32 v4, 1, v8, vcc
	v_and_b32_sdwa v6, v8, v6 dst_sel:DWORD dst_unused:UNUSED_PAD src0_sel:WORD_1 src1_sel:DWORD
	v_cmp_eq_u32_e32 vcc, 1, v3
	v_mul_lo_u16_e32 v7, v4, v2
	v_mul_lo_u16_e32 v2, v4, v2
	v_cndmask_b32_e64 v3, v6, 1, vcc
	v_lshlrev_b32_e32 v6, 16, v3
	v_or_b32_e32 v4, v6, v2
	v_mov_b32_e32 v6, v3
	v_mov_b32_e32 v2, v7
.LBB634_147:
	s_or_b64 exec, exec, s[0:1]
	v_and_b32_e32 v8, 16, v5
	v_mov_b32_dpp v7, v4 row_bcast:15 row_mask:0xf bank_mask:0xf
	v_cmp_ne_u32_e32 vcc, 0, v8
	s_and_saveexec_b64 s[0:1], vcc
	s_cbranch_execz .LBB634_149
; %bb.148:
	v_cmp_eq_u16_e32 vcc, 0, v6
	v_and_b32_e32 v3, 1, v6
	v_mov_b32_e32 v6, 1
	v_cndmask_b32_e32 v4, 1, v7, vcc
	v_and_b32_sdwa v6, v7, v6 dst_sel:DWORD dst_unused:UNUSED_PAD src0_sel:WORD_1 src1_sel:DWORD
	v_cmp_eq_u32_e32 vcc, 1, v3
	v_mul_lo_u16_e32 v8, v4, v2
	v_mul_lo_u16_e32 v2, v4, v2
	v_cndmask_b32_e64 v3, v6, 1, vcc
	v_lshlrev_b32_e32 v6, 16, v3
	v_or_b32_e32 v4, v6, v2
	v_mov_b32_e32 v6, v3
	v_mov_b32_e32 v2, v8
.LBB634_149:
	s_or_b64 exec, exec, s[0:1]
	v_mov_b32_dpp v4, v4 row_bcast:31 row_mask:0xf bank_mask:0xf
	v_cmp_lt_u32_e32 vcc, 31, v5
	s_and_saveexec_b64 s[0:1], vcc
; %bb.150:
	v_cmp_eq_u16_e32 vcc, 0, v6
	s_nop 1
	v_cndmask_b32_e32 v3, 1, v4, vcc
	v_mul_lo_u16_e32 v2, v3, v2
	v_and_b32_e32 v3, 1, v6
	v_mov_b32_e32 v6, 1
	v_and_b32_sdwa v4, v4, v6 dst_sel:DWORD dst_unused:UNUSED_PAD src0_sel:WORD_1 src1_sel:DWORD
	v_cmp_eq_u32_e32 vcc, 1, v3
	s_nop 1
	v_cndmask_b32_e64 v3, v4, 1, vcc
; %bb.151:
	s_or_b64 exec, exec, s[0:1]
	v_or_b32_e32 v6, 63, v0
	v_lshrrev_b32_e32 v4, 6, v0
	v_cmp_eq_u32_e32 vcc, v6, v0
	s_and_saveexec_b64 s[0:1], vcc
	s_cbranch_execz .LBB634_153
; %bb.152:
	v_lshlrev_b32_e32 v6, 2, v4
	ds_write_b16 v6, v2
	ds_write_b8 v6, v3 offset:2
.LBB634_153:
	s_or_b64 exec, exec, s[0:1]
	v_cmp_gt_u32_e32 vcc, 4, v0
	s_waitcnt lgkmcnt(0)
	s_barrier
	s_and_saveexec_b64 s[0:1], vcc
	s_cbranch_execz .LBB634_159
; %bb.154:
	v_lshlrev_b32_e32 v6, 2, v0
	ds_read_b32 v7, v6
	v_and_b32_e32 v10, 3, v5
	v_cmp_ne_u32_e32 vcc, 0, v10
	s_waitcnt lgkmcnt(0)
	v_lshrrev_b32_e32 v9, 16, v7
	v_mov_b32_dpp v11, v7 row_shr:1 row_mask:0xf bank_mask:0xf
	v_mov_b32_e32 v8, v7
	s_and_saveexec_b64 s[50:51], vcc
	s_cbranch_execz .LBB634_156
; %bb.155:
	v_mov_b32_e32 v8, 0
	v_cmp_eq_u16_sdwa vcc, v9, v8 src0_sel:BYTE_0 src1_sel:DWORD
	v_and_b32_e32 v9, 0x10000, v7
	v_mov_b32_e32 v17, 1
	v_cndmask_b32_e32 v16, 1, v11, vcc
	v_and_b32_sdwa v11, v11, v17 dst_sel:DWORD dst_unused:UNUSED_PAD src0_sel:WORD_1 src1_sel:DWORD
	v_cmp_ne_u32_e32 vcc, 0, v9
	v_and_b32_e32 v15, 0xff000000, v7
	v_mul_lo_u16_e32 v8, v16, v7
	v_cndmask_b32_e64 v9, v11, 1, vcc
	v_lshlrev_b32_e32 v11, 16, v9
	v_mul_lo_u16_e32 v7, v16, v7
	v_or3_b32 v7, v11, v15, v7
.LBB634_156:
	s_or_b64 exec, exec, s[50:51]
	s_nop 0
	v_mov_b32_dpp v11, v7 row_shr:2 row_mask:0xf bank_mask:0xf
	v_cmp_lt_u32_e32 vcc, 1, v10
	s_and_saveexec_b64 s[50:51], vcc
; %bb.157:
	v_and_b32_e32 v9, 0xff0000, v7
	v_cmp_eq_u32_e32 vcc, 0, v9
	v_and_b32_e32 v7, 0x10000, v7
	s_nop 0
	v_cndmask_b32_e32 v9, 1, v11, vcc
	v_mul_lo_u16_e32 v8, v9, v8
	v_mov_b32_e32 v9, 1
	v_and_b32_sdwa v9, v11, v9 dst_sel:DWORD dst_unused:UNUSED_PAD src0_sel:WORD_1 src1_sel:DWORD
	v_cmp_eq_u32_e32 vcc, 0, v7
	s_nop 1
	v_cndmask_b32_e32 v9, 1, v9, vcc
; %bb.158:
	s_or_b64 exec, exec, s[50:51]
	ds_write_b16 v6, v8
	ds_write_b8 v6, v9 offset:2
.LBB634_159:
	s_or_b64 exec, exec, s[0:1]
	v_cmp_gt_u32_e32 vcc, 64, v0
	v_cmp_lt_u32_e64 s[0:1], 63, v0
	v_mov_b32_e32 v15, 0
	v_mov_b32_e32 v16, 0
	s_waitcnt lgkmcnt(0)
	s_barrier
	s_and_saveexec_b64 s[50:51], s[0:1]
	s_cbranch_execz .LBB634_161
; %bb.160:
	v_lshl_add_u32 v4, v4, 2, -4
	ds_read_u16 v15, v4
	ds_read_u8 v16, v4 offset:2
	v_and_b32_e32 v6, 1, v3
	v_cmp_eq_u16_e64 s[0:1], 0, v3
	s_waitcnt lgkmcnt(1)
	s_nop 0
	v_cndmask_b32_e64 v3, 1, v15, s[0:1]
	v_cmp_eq_u32_e64 s[0:1], 1, v6
	v_mul_lo_u16_e32 v2, v3, v2
	s_waitcnt lgkmcnt(0)
	v_cndmask_b32_e64 v3, v16, 1, s[0:1]
.LBB634_161:
	s_or_b64 exec, exec, s[50:51]
	v_and_b32_e32 v3, 0xff, v3
	v_and_b32_e32 v2, 0xffff, v2
	v_lshl_or_b32 v2, v3, 16, v2
	v_add_u32_e32 v3, -1, v5
	v_and_b32_e32 v4, 64, v5
	v_cmp_lt_i32_e64 s[0:1], v3, v4
	v_cmp_eq_u32_e64 s[50:51], 0, v5
	s_nop 0
	v_cndmask_b32_e64 v3, v3, v5, s[0:1]
	v_lshlrev_b32_e32 v3, 2, v3
	ds_bpermute_b32 v17, v3, v2
	s_and_saveexec_b64 s[0:1], vcc
	s_cbranch_execz .LBB634_204
; %bb.162:
	v_mov_b32_e32 v9, 0
	ds_read_b32 v2, v9 offset:12
	s_and_saveexec_b64 s[56:57], s[50:51]
	s_cbranch_execz .LBB634_164
; %bb.163:
	s_add_i32 s58, s67, 64
	s_mov_b32 s59, 0
	s_lshl_b64 s[58:59], s[58:59], 3
	s_add_u32 s58, s64, s58
	v_mov_b32_e32 v3, 1
	s_addc_u32 s59, s65, s59
	s_waitcnt lgkmcnt(0)
	global_store_dwordx2 v9, v[2:3], s[58:59] sc1
.LBB634_164:
	s_or_b64 exec, exec, s[56:57]
	v_xad_u32 v4, v5, -1, s67
	v_add_u32_e32 v8, 64, v4
	v_lshl_add_u64 v[10:11], v[8:9], 3, s[64:65]
	global_load_dwordx2 v[6:7], v[10:11], off sc1
	s_waitcnt vmcnt(0)
	v_cmp_eq_u16_sdwa s[58:59], v7, v9 src0_sel:BYTE_0 src1_sel:DWORD
	s_and_saveexec_b64 s[56:57], s[58:59]
	s_cbranch_execz .LBB634_168
; %bb.165:
	s_mov_b64 s[58:59], 0
	v_mov_b32_e32 v3, 0
.LBB634_166:                            ; =>This Inner Loop Header: Depth=1
	global_load_dwordx2 v[6:7], v[10:11], off sc1
	s_waitcnt vmcnt(0)
	v_cmp_ne_u16_sdwa s[60:61], v7, v3 src0_sel:BYTE_0 src1_sel:DWORD
	s_or_b64 s[58:59], s[60:61], s[58:59]
	s_andn2_b64 exec, exec, s[58:59]
	s_cbranch_execnz .LBB634_166
; %bb.167:
	s_or_b64 exec, exec, s[58:59]
.LBB634_168:
	s_or_b64 exec, exec, s[56:57]
	v_mov_b32_e32 v3, 2
	v_cmp_eq_u16_sdwa s[56:57], v7, v3 src0_sel:BYTE_0 src1_sel:DWORD
	v_lshlrev_b64 v[8:9], v5, -1
	v_and_b32_e32 v54, 0xffffff, v6
	v_and_b32_e32 v3, s57, v9
	v_or_b32_e32 v3, 0x80000000, v3
	v_ffbl_b32_e32 v3, v3
	v_add_u32_e32 v11, 32, v3
	v_and_b32_e32 v3, 63, v5
	v_cmp_ne_u32_e32 vcc, 63, v3
	v_and_b32_e32 v10, s56, v8
	v_ffbl_b32_e32 v10, v10
	v_addc_co_u32_e32 v18, vcc, 0, v5, vcc
	v_lshlrev_b32_e32 v18, 2, v18
	ds_bpermute_b32 v19, v18, v54
	v_min_u32_e32 v11, v10, v11
	v_lshrrev_b32_e32 v10, 16, v6
	v_cmp_lt_u32_e32 vcc, v3, v11
	v_bfe_u32 v52, v6, 16, 8
	s_and_saveexec_b64 s[56:57], vcc
	s_cbranch_execz .LBB634_170
; %bb.169:
	v_and_b32_e32 v10, 0xff0000, v6
	v_cmp_eq_u32_e32 vcc, 0, v10
	v_and_b32_e32 v10, 0x10000, v10
	v_mov_b32_e32 v47, 1
	s_waitcnt lgkmcnt(0)
	v_cndmask_b32_e32 v20, 1, v19, vcc
	v_and_b32_sdwa v19, v19, v47 dst_sel:DWORD dst_unused:UNUSED_PAD src0_sel:WORD_1 src1_sel:DWORD
	v_cmp_ne_u32_e32 vcc, 0, v10
	v_mul_lo_u16_e32 v21, v20, v6
	v_mul_lo_u16_e32 v6, v20, v6
	v_cndmask_b32_e64 v10, v19, 1, vcc
	v_lshlrev_b32_e32 v19, 16, v10
	v_or_b32_e32 v54, v19, v6
	v_mov_b32_e32 v6, v21
	v_mov_b32_e32 v52, v10
.LBB634_170:
	s_or_b64 exec, exec, s[56:57]
	v_cmp_gt_u32_e32 vcc, 62, v3
	v_add_u32_e32 v20, 2, v3
	s_waitcnt lgkmcnt(0)
	v_cndmask_b32_e64 v19, 0, 1, vcc
	v_lshlrev_b32_e32 v19, 1, v19
	v_add_lshl_u32 v19, v19, v5, 2
	ds_bpermute_b32 v21, v19, v54
	v_cmp_le_u32_e32 vcc, v20, v11
	s_and_saveexec_b64 s[56:57], vcc
	s_cbranch_execz .LBB634_172
; %bb.171:
	v_cmp_eq_u16_e32 vcc, 0, v52
	v_and_b32_e32 v10, 1, v52
	v_mov_b32_e32 v49, 1
	s_waitcnt lgkmcnt(0)
	v_cndmask_b32_e32 v47, 1, v21, vcc
	v_and_b32_sdwa v21, v21, v49 dst_sel:DWORD dst_unused:UNUSED_PAD src0_sel:WORD_1 src1_sel:DWORD
	v_cmp_eq_u32_e32 vcc, 1, v10
	v_mul_lo_u16_e32 v48, v47, v6
	v_mul_lo_u16_e32 v6, v47, v6
	v_cndmask_b32_e64 v10, v21, 1, vcc
	v_lshlrev_b32_e32 v21, 16, v10
	v_or_b32_e32 v54, v21, v6
	v_mov_b32_e32 v6, v48
	v_mov_b32_e32 v52, v10
.LBB634_172:
	s_or_b64 exec, exec, s[56:57]
	v_cmp_gt_u32_e32 vcc, 60, v3
	v_add_u32_e32 v47, 4, v3
	s_waitcnt lgkmcnt(0)
	v_cndmask_b32_e64 v21, 0, 1, vcc
	v_lshlrev_b32_e32 v21, 2, v21
	v_add_lshl_u32 v21, v21, v5, 2
	ds_bpermute_b32 v48, v21, v54
	v_cmp_le_u32_e32 vcc, v47, v11
	s_and_saveexec_b64 s[56:57], vcc
	s_cbranch_execz .LBB634_174
; %bb.173:
	v_cmp_eq_u16_e32 vcc, 0, v52
	v_and_b32_e32 v10, 1, v52
	v_mov_b32_e32 v51, 1
	s_waitcnt lgkmcnt(0)
	v_cndmask_b32_e32 v49, 1, v48, vcc
	v_and_b32_sdwa v48, v48, v51 dst_sel:DWORD dst_unused:UNUSED_PAD src0_sel:WORD_1 src1_sel:DWORD
	v_cmp_eq_u32_e32 vcc, 1, v10
	v_mul_lo_u16_e32 v50, v49, v6
	v_mul_lo_u16_e32 v6, v49, v6
	v_cndmask_b32_e64 v10, v48, 1, vcc
	v_lshlrev_b32_e32 v48, 16, v10
	v_or_b32_e32 v54, v48, v6
	v_mov_b32_e32 v6, v50
	v_mov_b32_e32 v52, v10
.LBB634_174:
	;; [unrolled: 27-line block ×4, first 2 shown]
	s_or_b64 exec, exec, s[56:57]
	v_cmp_gt_u32_e32 vcc, 32, v3
	s_waitcnt lgkmcnt(0)
	s_nop 0
	v_cndmask_b32_e64 v53, 0, 1, vcc
	v_lshlrev_b32_e32 v53, 5, v53
	v_add_lshl_u32 v53, v53, v5, 2
	ds_bpermute_b32 v5, v53, v54
	v_add_u32_e32 v54, 32, v3
	v_cmp_le_u32_e32 vcc, v54, v11
	s_and_saveexec_b64 s[56:57], vcc
	s_cbranch_execz .LBB634_180
; %bb.179:
	v_cmp_eq_u16_e32 vcc, 0, v52
	v_mov_b32_e32 v11, 1
	s_waitcnt lgkmcnt(0)
	v_cndmask_b32_e32 v10, 1, v5, vcc
	v_mul_lo_u16_e32 v6, v10, v6
	v_and_b32_e32 v10, 1, v52
	v_and_b32_sdwa v5, v5, v11 dst_sel:DWORD dst_unused:UNUSED_PAD src0_sel:WORD_1 src1_sel:DWORD
	v_cmp_eq_u32_e32 vcc, 1, v10
	s_nop 1
	v_cndmask_b32_e64 v10, v5, 1, vcc
.LBB634_180:
	s_or_b64 exec, exec, s[56:57]
	s_waitcnt lgkmcnt(0)
	v_mov_b32_e32 v5, 0
	v_mov_b32_e32 v56, 2
	;; [unrolled: 1-line block ×3, first 2 shown]
	s_branch .LBB634_182
.LBB634_181:                            ;   in Loop: Header=BB634_182 Depth=1
	s_or_b64 exec, exec, s[56:57]
	v_cmp_eq_u16_sdwa vcc, v52, v5 src0_sel:BYTE_0 src1_sel:DWORD
	v_and_b32_e32 v10, 1, v52
	v_and_b32_e32 v11, 1, v11
	v_cndmask_b32_e32 v6, 1, v6, vcc
	v_cmp_eq_u32_e32 vcc, 1, v10
	v_subrev_u32_e32 v4, 64, v4
	v_mul_lo_u16_e32 v6, v6, v55
	v_cndmask_b32_e64 v10, v11, 1, vcc
.LBB634_182:                            ; =>This Loop Header: Depth=1
                                        ;     Child Loop BB634_185 Depth 2
	v_cmp_ne_u16_sdwa s[56:57], v7, v56 src0_sel:BYTE_0 src1_sel:DWORD
	v_mov_b32_e32 v52, v10
	v_mov_b32_e32 v55, v6
	v_cndmask_b32_e64 v7, 0, 1, s[56:57]
	;;#ASMSTART
	;;#ASMEND
	s_nop 0
	v_cmp_ne_u32_e32 vcc, 0, v7
	s_cmp_lg_u64 vcc, exec
	s_cbranch_scc1 .LBB634_199
; %bb.183:                              ;   in Loop: Header=BB634_182 Depth=1
	v_lshl_add_u64 v[10:11], v[4:5], 3, s[64:65]
	global_load_dwordx2 v[6:7], v[10:11], off sc1
	s_waitcnt vmcnt(0)
	v_cmp_eq_u16_sdwa s[58:59], v7, v5 src0_sel:BYTE_0 src1_sel:DWORD
	s_and_saveexec_b64 s[56:57], s[58:59]
	s_cbranch_execz .LBB634_187
; %bb.184:                              ;   in Loop: Header=BB634_182 Depth=1
	s_mov_b64 s[58:59], 0
.LBB634_185:                            ;   Parent Loop BB634_182 Depth=1
                                        ; =>  This Inner Loop Header: Depth=2
	global_load_dwordx2 v[6:7], v[10:11], off sc1
	s_waitcnt vmcnt(0)
	v_cmp_ne_u16_sdwa s[60:61], v7, v5 src0_sel:BYTE_0 src1_sel:DWORD
	s_or_b64 s[58:59], s[60:61], s[58:59]
	s_andn2_b64 exec, exec, s[58:59]
	s_cbranch_execnz .LBB634_185
; %bb.186:                              ;   in Loop: Header=BB634_182 Depth=1
	s_or_b64 exec, exec, s[58:59]
.LBB634_187:                            ;   in Loop: Header=BB634_182 Depth=1
	s_or_b64 exec, exec, s[56:57]
	v_cmp_eq_u16_sdwa s[56:57], v7, v56 src0_sel:BYTE_0 src1_sel:DWORD
	s_waitcnt lgkmcnt(0)
	v_and_b32_e32 v59, 0xffffff, v6
	ds_bpermute_b32 v60, v18, v59
	v_and_b32_e32 v10, s57, v9
	v_or_b32_e32 v10, 0x80000000, v10
	v_and_b32_e32 v11, s56, v8
	v_ffbl_b32_e32 v10, v10
	v_add_u32_e32 v10, 32, v10
	v_ffbl_b32_e32 v11, v11
	v_min_u32_e32 v10, v11, v10
	v_lshrrev_b32_e32 v11, 16, v6
	v_cmp_lt_u32_e32 vcc, v3, v10
	v_bfe_u32 v58, v6, 16, 8
	s_and_saveexec_b64 s[56:57], vcc
	s_cbranch_execz .LBB634_189
; %bb.188:                              ;   in Loop: Header=BB634_182 Depth=1
	v_and_b32_e32 v11, 0xff0000, v6
	v_cmp_eq_u32_e32 vcc, 0, v11
	v_and_b32_e32 v11, 0x10000, v11
	s_waitcnt lgkmcnt(0)
	v_and_b32_sdwa v59, v60, v57 dst_sel:DWORD dst_unused:UNUSED_PAD src0_sel:WORD_1 src1_sel:DWORD
	v_cndmask_b32_e32 v58, 1, v60, vcc
	v_cmp_ne_u32_e32 vcc, 0, v11
	v_mul_lo_u16_e32 v61, v58, v6
	v_mul_lo_u16_e32 v6, v58, v6
	v_cndmask_b32_e64 v11, v59, 1, vcc
	v_lshlrev_b32_e32 v59, 16, v11
	v_or_b32_e32 v59, v59, v6
	v_mov_b32_e32 v6, v61
	v_mov_b32_e32 v58, v11
.LBB634_189:                            ;   in Loop: Header=BB634_182 Depth=1
	s_or_b64 exec, exec, s[56:57]
	s_waitcnt lgkmcnt(0)
	ds_bpermute_b32 v60, v19, v59
	v_cmp_le_u32_e32 vcc, v20, v10
	s_and_saveexec_b64 s[56:57], vcc
	s_cbranch_execz .LBB634_191
; %bb.190:                              ;   in Loop: Header=BB634_182 Depth=1
	v_cmp_eq_u16_e32 vcc, 0, v58
	v_and_b32_e32 v11, 1, v58
	s_waitcnt lgkmcnt(0)
	v_and_b32_sdwa v58, v60, v57 dst_sel:DWORD dst_unused:UNUSED_PAD src0_sel:WORD_1 src1_sel:DWORD
	v_cndmask_b32_e32 v59, 1, v60, vcc
	v_cmp_eq_u32_e32 vcc, 1, v11
	v_mul_lo_u16_e32 v61, v59, v6
	v_mul_lo_u16_e32 v6, v59, v6
	v_cndmask_b32_e64 v11, v58, 1, vcc
	v_lshlrev_b32_e32 v58, 16, v11
	v_or_b32_e32 v59, v58, v6
	v_mov_b32_e32 v6, v61
	v_mov_b32_e32 v58, v11
.LBB634_191:                            ;   in Loop: Header=BB634_182 Depth=1
	s_or_b64 exec, exec, s[56:57]
	s_waitcnt lgkmcnt(0)
	ds_bpermute_b32 v60, v21, v59
	v_cmp_le_u32_e32 vcc, v47, v10
	s_and_saveexec_b64 s[56:57], vcc
	s_cbranch_execz .LBB634_193
; %bb.192:                              ;   in Loop: Header=BB634_182 Depth=1
	v_cmp_eq_u16_e32 vcc, 0, v58
	v_and_b32_e32 v11, 1, v58
	s_waitcnt lgkmcnt(0)
	v_and_b32_sdwa v58, v60, v57 dst_sel:DWORD dst_unused:UNUSED_PAD src0_sel:WORD_1 src1_sel:DWORD
	v_cndmask_b32_e32 v59, 1, v60, vcc
	v_cmp_eq_u32_e32 vcc, 1, v11
	v_mul_lo_u16_e32 v61, v59, v6
	v_mul_lo_u16_e32 v6, v59, v6
	v_cndmask_b32_e64 v11, v58, 1, vcc
	v_lshlrev_b32_e32 v58, 16, v11
	v_or_b32_e32 v59, v58, v6
	v_mov_b32_e32 v6, v61
	v_mov_b32_e32 v58, v11
.LBB634_193:                            ;   in Loop: Header=BB634_182 Depth=1
	;; [unrolled: 21-line block ×4, first 2 shown]
	s_or_b64 exec, exec, s[56:57]
	ds_bpermute_b32 v59, v53, v59
	v_cmp_le_u32_e32 vcc, v54, v10
	s_and_saveexec_b64 s[56:57], vcc
	s_cbranch_execz .LBB634_181
; %bb.198:                              ;   in Loop: Header=BB634_182 Depth=1
	v_cmp_eq_u16_e32 vcc, 0, v58
	s_waitcnt lgkmcnt(0)
	v_lshrrev_b32_e32 v11, 16, v59
	v_cndmask_b32_e32 v10, 1, v59, vcc
	v_mul_lo_u16_e32 v6, v10, v6
	v_and_b32_e32 v10, 1, v58
	v_cmp_eq_u32_e32 vcc, 1, v10
	s_nop 1
	v_cndmask_b32_e64 v11, v11, 1, vcc
	s_branch .LBB634_181
.LBB634_199:                            ;   in Loop: Header=BB634_182 Depth=1
                                        ; implicit-def: $vgpr10
                                        ; implicit-def: $vgpr6
	s_cbranch_execz .LBB634_182
; %bb.200:
	s_and_saveexec_b64 s[56:57], s[50:51]
	s_cbranch_execz .LBB634_202
; %bb.201:
	v_and_b32_e32 v3, 0xff0000, v2
	s_mov_b32 s59, 0
	v_cmp_eq_u32_e32 vcc, 0, v3
	v_and_b32_e32 v4, 0x10000, v2
	v_mov_b32_e32 v5, 1
	s_add_i32 s58, s67, 64
	v_cndmask_b32_e32 v3, 1, v55, vcc
	v_and_b32_sdwa v5, v52, v5 dst_sel:WORD_1 dst_unused:UNUSED_PAD src0_sel:DWORD src1_sel:DWORD
	v_mov_b32_e32 v6, 0x10000
	v_cmp_eq_u32_e32 vcc, 0, v4
	s_lshl_b64 s[58:59], s[58:59], 3
	s_add_u32 s58, s64, s58
	v_cndmask_b32_e32 v4, v6, v5, vcc
	v_mul_lo_u16_e32 v2, v3, v2
	s_addc_u32 s59, s65, s59
	v_mov_b32_e32 v5, 0
	v_or_b32_e32 v2, v4, v2
	v_mov_b32_e32 v3, 2
	global_store_dwordx2 v5, v[2:3], s[58:59] sc1
.LBB634_202:
	s_or_b64 exec, exec, s[56:57]
	s_and_b64 exec, exec, s[52:53]
	s_cbranch_execz .LBB634_204
; %bb.203:
	v_mov_b32_e32 v2, 0
	ds_write_b16 v2, v55 offset:12
	ds_write_b8 v2, v52 offset:14
.LBB634_204:
	s_or_b64 exec, exec, s[0:1]
	v_mov_b32_e32 v2, 0
	s_waitcnt lgkmcnt(0)
	s_barrier
	ds_read_b32 v3, v2 offset:12
	v_lshrrev_b32_e32 v4, 16, v17
	v_cndmask_b32_e64 v4, v4, v16, s[50:51]
	v_cmp_eq_u16_sdwa vcc, v4, v2 src0_sel:BYTE_0 src1_sel:DWORD
	v_cndmask_b32_e64 v5, v17, v15, s[50:51]
	s_waitcnt lgkmcnt(0)
	v_cndmask_b32_e32 v2, 1, v3, vcc
	v_mul_lo_u16_e32 v2, v2, v5
	v_cndmask_b32_e64 v8, v2, v3, s[52:53]
	v_and_b32_e32 v2, 0xff0000, v1
	v_cmp_eq_u32_e32 vcc, 0, v2
	s_nop 1
	v_cndmask_b32_e32 v2, 1, v8, vcc
	v_mul_lo_u16_e32 v6, v2, v1
	v_cndmask_b32_e64 v2, 1, v6, s[4:5]
	v_mul_lo_u16_e32 v7, v2, v25
	v_cndmask_b32_e64 v2, 1, v7, s[6:7]
	;; [unrolled: 2-line block ×22, first 2 shown]
	v_mul_lo_u16_e32 v57, v2, v46
	s_branch .LBB634_255
.LBB634_205:
	s_or_b64 exec, exec, s[0:1]
                                        ; implicit-def: $vgpr56
	s_and_saveexec_b64 s[0:1], s[4:5]
	s_cbranch_execz .LBB634_57
.LBB634_206:
	v_mov_b32_e32 v43, 0
	v_lshl_add_u64 v[56:57], v[18:19], 0, v[42:43]
	flat_load_ushort v56, v[56:57] offset:512
	s_or_b64 exec, exec, s[0:1]
                                        ; implicit-def: $vgpr57
	s_and_saveexec_b64 s[0:1], s[6:7]
	s_cbranch_execnz .LBB634_58
.LBB634_207:
	s_or_b64 exec, exec, s[0:1]
                                        ; implicit-def: $vgpr58
	s_and_saveexec_b64 s[0:1], s[8:9]
	s_cbranch_execz .LBB634_59
.LBB634_208:
	v_mov_b32_e32 v43, 0
	v_lshl_add_u64 v[58:59], v[18:19], 0, v[42:43]
	flat_load_ushort v58, v[58:59] offset:1536
	s_or_b64 exec, exec, s[0:1]
                                        ; implicit-def: $vgpr59
	s_and_saveexec_b64 s[0:1], s[10:11]
	s_cbranch_execnz .LBB634_60
.LBB634_209:
	s_or_b64 exec, exec, s[0:1]
                                        ; implicit-def: $vgpr60
	s_and_saveexec_b64 s[0:1], s[12:13]
	s_cbranch_execz .LBB634_61
.LBB634_210:
	v_mov_b32_e32 v43, 0
	v_lshl_add_u64 v[60:61], v[18:19], 0, v[42:43]
	flat_load_ushort v60, v[60:61] offset:2560
	s_or_b64 exec, exec, s[0:1]
                                        ; implicit-def: $vgpr61
	s_and_saveexec_b64 s[0:1], s[14:15]
	s_cbranch_execnz .LBB634_62
.LBB634_211:
	s_or_b64 exec, exec, s[0:1]
                                        ; implicit-def: $vgpr43
	s_and_saveexec_b64 s[0:1], s[16:17]
	s_cbranch_execz .LBB634_63
.LBB634_212:
	v_mov_b32_e32 v43, 0
	v_lshl_add_u64 v[62:63], v[18:19], 0, v[42:43]
	flat_load_ushort v43, v[62:63] offset:3584
	s_or_b64 exec, exec, s[0:1]
                                        ; implicit-def: $vgpr15
	s_and_saveexec_b64 s[0:1], s[18:19]
	s_cbranch_execnz .LBB634_64
.LBB634_213:
	s_or_b64 exec, exec, s[0:1]
                                        ; implicit-def: $vgpr14
	s_and_saveexec_b64 s[0:1], s[20:21]
	s_cbranch_execz .LBB634_65
.LBB634_214:
	v_mov_b32_e32 v17, 0
	v_lshl_add_u64 v[16:17], v[18:19], 0, v[16:17]
	flat_load_ushort v14, v[16:17]
	s_or_b64 exec, exec, s[0:1]
                                        ; implicit-def: $vgpr16
	s_and_saveexec_b64 s[0:1], s[22:23]
	s_cbranch_execnz .LBB634_66
.LBB634_215:
	s_or_b64 exec, exec, s[0:1]
                                        ; implicit-def: $vgpr17
	s_and_saveexec_b64 s[0:1], s[24:25]
	s_cbranch_execz .LBB634_67
.LBB634_216:
	v_mov_b32_e32 v25, 0
	v_lshl_add_u64 v[22:23], v[18:19], 0, v[24:25]
	flat_load_ushort v17, v[22:23]
	s_or_b64 exec, exec, s[0:1]
                                        ; implicit-def: $vgpr22
	s_and_saveexec_b64 s[0:1], s[26:27]
	s_cbranch_execnz .LBB634_68
.LBB634_217:
	s_or_b64 exec, exec, s[0:1]
                                        ; implicit-def: $vgpr23
	s_and_saveexec_b64 s[0:1], s[28:29]
	s_cbranch_execz .LBB634_69
.LBB634_218:
	v_mov_b32_e32 v31, 0
	v_lshl_add_u64 v[24:25], v[18:19], 0, v[30:31]
	flat_load_ushort v23, v[24:25]
	s_or_b64 exec, exec, s[0:1]
                                        ; implicit-def: $vgpr24
	s_and_saveexec_b64 s[0:1], s[30:31]
	s_cbranch_execnz .LBB634_70
.LBB634_219:
	s_or_b64 exec, exec, s[0:1]
                                        ; implicit-def: $vgpr25
	s_and_saveexec_b64 s[0:1], s[34:35]
	s_cbranch_execz .LBB634_71
.LBB634_220:
	v_mov_b32_e32 v35, 0
	v_lshl_add_u64 v[28:29], v[18:19], 0, v[34:35]
	flat_load_ushort v25, v[28:29]
	s_or_b64 exec, exec, s[0:1]
                                        ; implicit-def: $vgpr29
	s_and_saveexec_b64 s[0:1], s[36:37]
	s_cbranch_execnz .LBB634_72
.LBB634_221:
	s_or_b64 exec, exec, s[0:1]
                                        ; implicit-def: $vgpr30
	s_and_saveexec_b64 s[0:1], s[38:39]
	s_cbranch_execz .LBB634_73
.LBB634_222:
	v_mov_b32_e32 v39, 0
	v_lshl_add_u64 v[30:31], v[18:19], 0, v[38:39]
	flat_load_ushort v30, v[30:31]
	s_or_b64 exec, exec, s[0:1]
                                        ; implicit-def: $vgpr31
	s_and_saveexec_b64 s[0:1], s[40:41]
	s_cbranch_execnz .LBB634_74
.LBB634_223:
	s_or_b64 exec, exec, s[0:1]
                                        ; implicit-def: $vgpr32
	s_and_saveexec_b64 s[0:1], s[42:43]
	s_cbranch_execz .LBB634_75
.LBB634_224:
	v_mov_b32_e32 v45, 0
	v_lshl_add_u64 v[32:33], v[18:19], 0, v[44:45]
	flat_load_ushort v32, v[32:33]
	s_or_b64 exec, exec, s[0:1]
                                        ; implicit-def: $vgpr33
	s_and_saveexec_b64 s[0:1], s[44:45]
	s_cbranch_execnz .LBB634_76
.LBB634_225:
	s_or_b64 exec, exec, s[0:1]
                                        ; implicit-def: $vgpr34
	s_and_saveexec_b64 s[0:1], s[46:47]
	s_cbranch_execz .LBB634_77
.LBB634_226:
	v_mov_b32_e32 v49, 0
	v_lshl_add_u64 v[34:35], v[18:19], 0, v[48:49]
	flat_load_ushort v34, v[34:35]
	s_or_b64 exec, exec, s[0:1]
                                        ; implicit-def: $vgpr35
	s_and_saveexec_b64 s[0:1], s[48:49]
	s_cbranch_execz .LBB634_79
	s_branch .LBB634_78
.LBB634_227:
                                        ; implicit-def: $vgpr8
                                        ; implicit-def: $vgpr6
                                        ; implicit-def: $vgpr7
                                        ; implicit-def: $vgpr9
                                        ; implicit-def: $vgpr10
                                        ; implicit-def: $vgpr11
                                        ; implicit-def: $vgpr16
                                        ; implicit-def: $vgpr18
                                        ; implicit-def: $vgpr15
                                        ; implicit-def: $vgpr17
                                        ; implicit-def: $vgpr19
                                        ; implicit-def: $vgpr20
                                        ; implicit-def: $vgpr21
                                        ; implicit-def: $vgpr47
                                        ; implicit-def: $vgpr49
                                        ; implicit-def: $vgpr51
                                        ; implicit-def: $vgpr48
                                        ; implicit-def: $vgpr50
                                        ; implicit-def: $vgpr52
                                        ; implicit-def: $vgpr53
                                        ; implicit-def: $vgpr54
                                        ; implicit-def: $vgpr55
                                        ; implicit-def: $vgpr56
                                        ; implicit-def: $vgpr57
	s_cbranch_execz .LBB634_255
; %bb.228:
	s_cmp_lg_u64 s[72:73], 0
	s_cselect_b32 s1, s71, 0
	s_cselect_b32 s0, s70, 0
	s_cmp_eq_u64 s[0:1], 0
	v_mov_b32_e32 v2, s74
	s_cbranch_scc1 .LBB634_230
; %bb.229:
	v_mov_b32_e32 v2, 0
	global_load_ushort v2, v2, s[0:1]
.LBB634_230:
	s_mov_b32 s0, 0x10000
	v_cmp_gt_u32_e32 vcc, s0, v25
	v_cmp_gt_u32_e64 s[4:5], s0, v29
	v_cmp_gt_u32_e64 s[6:7], s0, v30
	v_cndmask_b32_e32 v3, 1, v1, vcc
	v_mul_lo_u16_e32 v3, v3, v25
	v_cndmask_b32_e64 v3, 1, v3, s[4:5]
	v_mul_lo_u16_e32 v3, v3, v29
	v_cndmask_b32_e64 v3, 1, v3, s[6:7]
	v_mul_lo_u16_e32 v3, v3, v30
	v_cmp_gt_u32_e64 s[8:9], s0, v31
	v_cmp_gt_u32_e64 s[10:11], s0, v32
	v_cmp_gt_u32_e64 s[12:13], s0, v33
	v_cndmask_b32_e64 v3, 1, v3, s[8:9]
	v_mul_lo_u16_e32 v3, v3, v31
	v_cndmask_b32_e64 v3, 1, v3, s[10:11]
	v_mul_lo_u16_e32 v3, v3, v32
	v_cndmask_b32_e64 v3, 1, v3, s[12:13]
	v_mul_lo_u16_e32 v3, v3, v33
	v_cmp_gt_u32_e64 s[14:15], s0, v34
	v_cmp_gt_u32_e64 s[16:17], s0, v35
	v_cmp_gt_u32_e64 s[18:19], s0, v36
	v_cndmask_b32_e64 v3, 1, v3, s[14:15]
	;; [unrolled: 9-line block ×5, first 2 shown]
	v_mul_lo_u16_e32 v3, v3, v43
	v_cndmask_b32_e64 v3, 1, v3, s[36:37]
	v_mul_lo_u16_e32 v3, v3, v22
	v_cndmask_b32_e64 v3, 1, v3, s[38:39]
	v_or3_b32 v6, v14, v44, v22
	v_mul_lo_u16_e32 v3, v3, v44
	v_cmp_gt_u32_e64 s[40:41], s0, v23
	v_or3_b32 v6, v6, v43, v42
	v_or3_b32 v6, v6, v41, v40
	v_cndmask_b32_e64 v3, 1, v3, s[40:41]
	v_mul_lo_u16_e32 v3, v3, v23
	v_cmp_gt_u32_e64 s[42:43], s0, v45
	v_or3_b32 v6, v6, v39, v38
	v_or3_b32 v6, v6, v37, v36
	v_cndmask_b32_e64 v3, 1, v3, s[42:43]
	;; [unrolled: 5-line block ×4, first 2 shown]
	v_mul_lo_u16_e32 v3, v3, v46
	v_cmp_gt_u32_e64 s[0:1], s0, v12
	v_and_b32_e32 v6, 0x10000, v6
	v_and_b32_e32 v5, 0x10000, v1
	v_cndmask_b32_e64 v3, 1, v3, s[0:1]
	v_mov_b32_e32 v7, 0x10000
	v_cmp_ne_u32_e64 s[0:1], 0, v6
	v_mul_lo_u16_e32 v4, v3, v12
	v_mul_lo_u16_e32 v6, v3, v12
	v_cndmask_b32_e64 v7, v5, v7, s[0:1]
	v_mbcnt_hi_u32_b32 v3, -1, v13
	v_and_b32_e32 v8, 15, v3
	v_or_b32_e32 v6, v7, v6
	v_lshrrev_b32_e32 v5, 16, v7
	v_cmp_ne_u32_e64 s[0:1], 0, v8
	v_mov_b32_dpp v9, v6 row_shr:1 row_mask:0xf bank_mask:0xf
	s_and_saveexec_b64 s[48:49], s[0:1]
	s_cbranch_execz .LBB634_232
; %bb.231:
	v_cmp_eq_u32_e64 s[0:1], 0, v7
	v_and_b32_e32 v5, 0x10000, v7
	v_mov_b32_e32 v7, 1
	v_cndmask_b32_e64 v6, 1, v9, s[0:1]
	v_and_b32_sdwa v7, v9, v7 dst_sel:DWORD dst_unused:UNUSED_PAD src0_sel:WORD_1 src1_sel:DWORD
	v_cmp_ne_u32_e64 s[0:1], 0, v5
	v_mul_lo_u16_e32 v10, v6, v4
	v_mul_lo_u16_e32 v4, v6, v4
	v_cndmask_b32_e64 v5, v7, 1, s[0:1]
	v_lshlrev_b32_e32 v7, 16, v5
	v_or_b32_e32 v6, v7, v4
	v_mov_b32_e32 v4, v10
.LBB634_232:
	s_or_b64 exec, exec, s[48:49]
	v_lshrrev_b32_e32 v7, 16, v6
	v_mov_b32_dpp v9, v6 row_shr:2 row_mask:0xf bank_mask:0xf
	v_cmp_lt_u32_e64 s[0:1], 1, v8
	s_and_saveexec_b64 s[48:49], s[0:1]
	s_cbranch_execz .LBB634_234
; %bb.233:
	s_mov_b32 s0, 0x10000
	v_cmp_gt_u32_e64 s[0:1], s0, v6
	v_and_b32_e32 v5, 0x10000, v6
	v_mov_b32_e32 v6, 1
	v_cndmask_b32_e64 v7, 1, v9, s[0:1]
	v_and_b32_sdwa v6, v9, v6 dst_sel:DWORD dst_unused:UNUSED_PAD src0_sel:WORD_1 src1_sel:DWORD
	v_cmp_ne_u32_e64 s[0:1], 0, v5
	v_mul_lo_u16_e32 v10, v7, v4
	v_mul_lo_u16_e32 v4, v7, v4
	v_cndmask_b32_e64 v5, v6, 1, s[0:1]
	v_lshlrev_b32_e32 v6, 16, v5
	v_or_b32_e32 v6, v6, v4
	v_mov_b32_e32 v7, v5
	v_mov_b32_e32 v4, v10
.LBB634_234:
	s_or_b64 exec, exec, s[48:49]
	v_mov_b32_dpp v9, v6 row_shr:4 row_mask:0xf bank_mask:0xf
	v_cmp_lt_u32_e64 s[0:1], 3, v8
	s_and_saveexec_b64 s[48:49], s[0:1]
	s_cbranch_execz .LBB634_236
; %bb.235:
	v_cmp_eq_u16_e64 s[0:1], 0, v7
	v_and_b32_e32 v5, 1, v7
	v_mov_b32_e32 v7, 1
	v_cndmask_b32_e64 v6, 1, v9, s[0:1]
	v_and_b32_sdwa v7, v9, v7 dst_sel:DWORD dst_unused:UNUSED_PAD src0_sel:WORD_1 src1_sel:DWORD
	v_cmp_eq_u32_e64 s[0:1], 1, v5
	v_mul_lo_u16_e32 v10, v6, v4
	v_mul_lo_u16_e32 v4, v6, v4
	v_cndmask_b32_e64 v5, v7, 1, s[0:1]
	v_lshlrev_b32_e32 v7, 16, v5
	v_or_b32_e32 v6, v7, v4
	v_mov_b32_e32 v7, v5
	v_mov_b32_e32 v4, v10
.LBB634_236:
	s_or_b64 exec, exec, s[48:49]
	v_mov_b32_dpp v9, v6 row_shr:8 row_mask:0xf bank_mask:0xf
	v_cmp_lt_u32_e64 s[0:1], 7, v8
	s_and_saveexec_b64 s[48:49], s[0:1]
	s_cbranch_execz .LBB634_238
; %bb.237:
	v_cmp_eq_u16_e64 s[0:1], 0, v7
	v_and_b32_e32 v5, 1, v7
	v_mov_b32_e32 v7, 1
	v_cndmask_b32_e64 v6, 1, v9, s[0:1]
	v_and_b32_sdwa v7, v9, v7 dst_sel:DWORD dst_unused:UNUSED_PAD src0_sel:WORD_1 src1_sel:DWORD
	v_cmp_eq_u32_e64 s[0:1], 1, v5
	v_mul_lo_u16_e32 v8, v6, v4
	v_mul_lo_u16_e32 v4, v6, v4
	v_cndmask_b32_e64 v5, v7, 1, s[0:1]
	v_lshlrev_b32_e32 v7, 16, v5
	v_or_b32_e32 v6, v7, v4
	v_mov_b32_e32 v7, v5
	v_mov_b32_e32 v4, v8
.LBB634_238:
	s_or_b64 exec, exec, s[48:49]
	v_and_b32_e32 v9, 16, v3
	v_mov_b32_dpp v8, v6 row_bcast:15 row_mask:0xf bank_mask:0xf
	v_cmp_ne_u32_e64 s[0:1], 0, v9
	s_and_saveexec_b64 s[48:49], s[0:1]
	s_cbranch_execz .LBB634_240
; %bb.239:
	v_cmp_eq_u16_e64 s[0:1], 0, v7
	v_and_b32_e32 v5, 1, v7
	v_mov_b32_e32 v7, 1
	v_cndmask_b32_e64 v6, 1, v8, s[0:1]
	v_and_b32_sdwa v7, v8, v7 dst_sel:DWORD dst_unused:UNUSED_PAD src0_sel:WORD_1 src1_sel:DWORD
	v_cmp_eq_u32_e64 s[0:1], 1, v5
	v_mul_lo_u16_e32 v9, v6, v4
	v_mul_lo_u16_e32 v4, v6, v4
	v_cndmask_b32_e64 v5, v7, 1, s[0:1]
	v_lshlrev_b32_e32 v7, 16, v5
	v_or_b32_e32 v6, v7, v4
	v_mov_b32_e32 v7, v5
	v_mov_b32_e32 v4, v9
.LBB634_240:
	s_or_b64 exec, exec, s[48:49]
	v_mov_b32_dpp v6, v6 row_bcast:31 row_mask:0xf bank_mask:0xf
	v_cmp_lt_u32_e64 s[0:1], 31, v3
	s_and_saveexec_b64 s[48:49], s[0:1]
; %bb.241:
	v_cmp_eq_u16_e64 s[0:1], 0, v7
	s_nop 1
	v_cndmask_b32_e64 v5, 1, v6, s[0:1]
	v_mul_lo_u16_e32 v4, v5, v4
	v_and_b32_e32 v5, 1, v7
	v_mov_b32_e32 v7, 1
	v_and_b32_sdwa v6, v6, v7 dst_sel:DWORD dst_unused:UNUSED_PAD src0_sel:WORD_1 src1_sel:DWORD
	v_cmp_eq_u32_e64 s[0:1], 1, v5
	s_nop 1
	v_cndmask_b32_e64 v5, v6, 1, s[0:1]
; %bb.242:
	s_or_b64 exec, exec, s[48:49]
	v_or_b32_e32 v7, 63, v0
	v_lshrrev_b32_e32 v6, 6, v0
	v_cmp_eq_u32_e64 s[0:1], v7, v0
	s_and_saveexec_b64 s[48:49], s[0:1]
	s_cbranch_execz .LBB634_244
; %bb.243:
	v_lshlrev_b32_e32 v7, 2, v6
	ds_write_b16 v7, v4
	ds_write_b8 v7, v5 offset:2
.LBB634_244:
	s_or_b64 exec, exec, s[48:49]
	v_cmp_gt_u32_e64 s[0:1], 4, v0
	s_waitcnt lgkmcnt(0)
	s_barrier
	s_and_saveexec_b64 s[48:49], s[0:1]
	s_cbranch_execz .LBB634_250
; %bb.245:
	v_lshlrev_b32_e32 v7, 2, v0
	ds_read_b32 v8, v7
	v_and_b32_e32 v11, 3, v3
	v_cmp_ne_u32_e64 s[0:1], 0, v11
	s_waitcnt lgkmcnt(0)
	v_lshrrev_b32_e32 v10, 16, v8
	v_mov_b32_dpp v12, v8 row_shr:1 row_mask:0xf bank_mask:0xf
	v_mov_b32_e32 v9, v8
	s_and_saveexec_b64 s[50:51], s[0:1]
	s_cbranch_execz .LBB634_247
; %bb.246:
	v_mov_b32_e32 v9, 0
	v_cmp_eq_u16_sdwa s[0:1], v10, v9 src0_sel:BYTE_0 src1_sel:DWORD
	v_and_b32_e32 v10, 0x10000, v8
	v_mov_b32_e32 v15, 1
	v_cndmask_b32_e64 v14, 1, v12, s[0:1]
	v_and_b32_sdwa v12, v12, v15 dst_sel:DWORD dst_unused:UNUSED_PAD src0_sel:WORD_1 src1_sel:DWORD
	v_cmp_ne_u32_e64 s[0:1], 0, v10
	v_and_b32_e32 v13, 0xff000000, v8
	v_mul_lo_u16_e32 v9, v14, v8
	v_cndmask_b32_e64 v10, v12, 1, s[0:1]
	v_lshlrev_b32_e32 v12, 16, v10
	v_mul_lo_u16_e32 v8, v14, v8
	v_or3_b32 v8, v12, v13, v8
.LBB634_247:
	s_or_b64 exec, exec, s[50:51]
	s_nop 0
	v_mov_b32_dpp v12, v8 row_shr:2 row_mask:0xf bank_mask:0xf
	v_cmp_lt_u32_e64 s[0:1], 1, v11
	s_and_saveexec_b64 s[50:51], s[0:1]
; %bb.248:
	v_and_b32_e32 v10, 0xff0000, v8
	v_cmp_eq_u32_e64 s[0:1], 0, v10
	v_and_b32_e32 v8, 0x10000, v8
	s_nop 0
	v_cndmask_b32_e64 v10, 1, v12, s[0:1]
	v_mul_lo_u16_e32 v9, v10, v9
	v_mov_b32_e32 v10, 1
	v_and_b32_sdwa v10, v12, v10 dst_sel:DWORD dst_unused:UNUSED_PAD src0_sel:WORD_1 src1_sel:DWORD
	v_cmp_eq_u32_e64 s[0:1], 0, v8
	s_nop 1
	v_cndmask_b32_e64 v10, 1, v10, s[0:1]
; %bb.249:
	s_or_b64 exec, exec, s[50:51]
	ds_write_b16 v7, v9
	ds_write_b8 v7, v10 offset:2
.LBB634_250:
	s_or_b64 exec, exec, s[48:49]
	v_cmp_lt_u32_e64 s[0:1], 63, v0
	v_mov_b32_e32 v8, 0
	s_waitcnt vmcnt(0)
	v_mov_b32_e32 v7, v2
	s_waitcnt lgkmcnt(0)
	s_barrier
	s_and_saveexec_b64 s[48:49], s[0:1]
	s_cbranch_execz .LBB634_252
; %bb.251:
	v_lshl_add_u32 v6, v6, 2, -4
	ds_read_u8 v8, v6 offset:2
	ds_read_u16 v6, v6
	s_waitcnt lgkmcnt(1)
	v_cmp_eq_u16_e64 s[0:1], 0, v8
	s_nop 1
	v_cndmask_b32_e64 v7, 1, v2, s[0:1]
	s_waitcnt lgkmcnt(0)
	v_mul_lo_u16_e32 v7, v7, v6
.LBB634_252:
	s_or_b64 exec, exec, s[48:49]
	v_cmp_eq_u16_e64 s[0:1], 0, v5
	v_and_b32_e32 v5, 1, v5
	v_lshlrev_b32_e32 v8, 16, v8
	v_cndmask_b32_e64 v6, 1, v7, s[0:1]
	v_mov_b32_e32 v9, 0x10000
	v_cmp_eq_u32_e64 s[0:1], 1, v5
	v_mul_lo_u16_e32 v4, v6, v4
	v_and_b32_e32 v6, 64, v3
	v_cndmask_b32_e64 v5, v8, v9, s[0:1]
	v_or_b32_e32 v4, v5, v4
	v_add_u32_e32 v5, -1, v3
	v_cmp_lt_i32_e64 s[0:1], v5, v6
	s_nop 1
	v_cndmask_b32_e64 v5, v5, v3, s[0:1]
	v_lshlrev_b32_e32 v5, 2, v5
	ds_bpermute_b32 v4, v5, v4
	v_cmp_eq_u32_e64 s[0:1], 0, v3
	s_waitcnt lgkmcnt(0)
	s_nop 0
	v_cndmask_b32_e64 v8, v4, v7, s[0:1]
	v_and_b32_e32 v4, 0xff0000, v1
	v_cndmask_b32_e64 v3, v8, v2, s[52:53]
	v_cmp_eq_u32_e64 s[0:1], 0, v4
	s_nop 1
	v_cndmask_b32_e64 v3, 1, v3, s[0:1]
	v_mul_lo_u16_e32 v6, v3, v1
	v_cndmask_b32_e32 v1, 1, v6, vcc
	v_mul_lo_u16_e32 v7, v1, v25
	v_cndmask_b32_e64 v1, 1, v7, s[4:5]
	v_mul_lo_u16_e32 v9, v1, v29
	v_cndmask_b32_e64 v1, 1, v9, s[6:7]
	;; [unrolled: 2-line block ×21, first 2 shown]
	s_and_saveexec_b64 s[0:1], s[52:53]
	s_cbranch_execz .LBB634_254
; %bb.253:
	v_mov_b32_e32 v3, 0
	ds_read_u8 v4, v3 offset:14
	ds_read_u16 v8, v3 offset:12
	v_mov_b32_e32 v5, 2
	s_waitcnt lgkmcnt(1)
	v_cmp_eq_u32_e32 vcc, 0, v4
	v_lshlrev_b32_e32 v12, 16, v4
	s_nop 0
	v_cndmask_b32_e32 v4, 1, v2, vcc
	s_waitcnt lgkmcnt(0)
	v_mul_lo_u32 v4, v4, v8
	v_or_b32_sdwa v4, v12, v4 dst_sel:DWORD dst_unused:UNUSED_PAD src0_sel:DWORD src1_sel:WORD_0
	v_mov_b32_e32 v8, v2
	global_store_dwordx2 v3, v[4:5], s[64:65] offset:512 sc1
.LBB634_254:
	s_or_b64 exec, exec, s[0:1]
	v_mul_lo_u16_e32 v57, v1, v46
.LBB634_255:
	s_add_u32 s0, s62, s54
	s_addc_u32 s1, s63, s55
	v_mul_u32_u24_e32 v1, 24, v0
	v_lshl_add_u64 v[2:3], s[0:1], 0, v[26:27]
	s_and_b64 vcc, exec, s[2:3]
	v_lshlrev_b32_e32 v12, 1, v1
	s_cbranch_vccz .LBB634_303
; %bb.256:
	s_mov_b32 s0, 0x5040100
	v_perm_b32 v25, v18, v16, s0
	v_perm_b32 v24, v11, v10, s0
	v_perm_b32 v23, v9, v7, s0
	v_perm_b32 v22, v6, v8, s0
	s_barrier
	ds_write_b128 v12, v[22:25]
	v_perm_b32 v25, v51, v49, s0
	v_perm_b32 v24, v47, v21, s0
	;; [unrolled: 1-line block ×4, first 2 shown]
	ds_write_b128 v12, v[22:25] offset:16
	v_perm_b32 v25, v57, v56, s0
	v_perm_b32 v24, v55, v54, s0
	;; [unrolled: 1-line block ×4, first 2 shown]
	s_movk_i32 s0, 0xffd2
	v_mad_i32_i24 v4, v0, s0, v12
	ds_write_b128 v12, v[22:25] offset:32
	s_waitcnt lgkmcnt(0)
	s_barrier
	ds_read_u16 v43, v4 offset:512
	ds_read_u16 v42, v4 offset:1024
	ds_read_u16 v41, v4 offset:1536
	ds_read_u16 v40, v4 offset:2048
	ds_read_u16 v39, v4 offset:2560
	ds_read_u16 v38, v4 offset:3072
	ds_read_u16 v37, v4 offset:3584
	ds_read_u16 v36, v4 offset:4096
	ds_read_u16 v35, v4 offset:4608
	ds_read_u16 v34, v4 offset:5120
	ds_read_u16 v33, v4 offset:5632
	ds_read_u16 v32, v4 offset:6144
	ds_read_u16 v31, v4 offset:6656
	ds_read_u16 v30, v4 offset:7168
	ds_read_u16 v27, v4 offset:7680
	ds_read_u16 v26, v4 offset:8192
	ds_read_u16 v25, v4 offset:8704
	ds_read_u16 v24, v4 offset:9216
	ds_read_u16 v23, v4 offset:9728
	ds_read_u16 v22, v4 offset:10240
	ds_read_u16 v14, v4 offset:10752
	ds_read_u16 v1, v4 offset:11264
	ds_read_u16 v13, v4 offset:11776
	s_add_i32 s33, s33, s66
	v_mov_b32_e32 v29, 0
	v_lshl_add_u64 v[4:5], v[2:3], 0, v[28:29]
	v_cmp_gt_u32_e32 vcc, s33, v0
	s_and_saveexec_b64 s[0:1], vcc
	s_cbranch_execz .LBB634_258
; %bb.257:
	v_mul_i32_i24_e32 v44, 0xffffffd2, v0
	v_add_u32_e32 v44, v12, v44
	ds_read_u16 v44, v44
	s_waitcnt lgkmcnt(0)
	flat_store_short v[4:5], v44
.LBB634_258:
	s_or_b64 exec, exec, s[0:1]
	v_or_b32_e32 v44, 0x100, v0
	v_cmp_gt_u32_e32 vcc, s33, v44
	s_and_saveexec_b64 s[0:1], vcc
	s_cbranch_execz .LBB634_260
; %bb.259:
	s_waitcnt lgkmcnt(0)
	flat_store_short v[4:5], v43 offset:512
.LBB634_260:
	s_or_b64 exec, exec, s[0:1]
	s_waitcnt lgkmcnt(0)
	v_or_b32_e32 v43, 0x200, v0
	v_cmp_gt_u32_e32 vcc, s33, v43
	s_and_saveexec_b64 s[0:1], vcc
	s_cbranch_execz .LBB634_262
; %bb.261:
	flat_store_short v[4:5], v42 offset:1024
.LBB634_262:
	s_or_b64 exec, exec, s[0:1]
	v_or_b32_e32 v42, 0x300, v0
	v_cmp_gt_u32_e32 vcc, s33, v42
	s_and_saveexec_b64 s[0:1], vcc
	s_cbranch_execz .LBB634_264
; %bb.263:
	flat_store_short v[4:5], v41 offset:1536
.LBB634_264:
	s_or_b64 exec, exec, s[0:1]
	;; [unrolled: 8-line block ×6, first 2 shown]
	v_or_b32_e32 v37, 0x800, v0
	v_cmp_gt_u32_e32 vcc, s33, v37
	s_and_saveexec_b64 s[0:1], vcc
	s_cbranch_execz .LBB634_274
; %bb.273:
	v_add_co_u32_e32 v38, vcc, 0x1000, v4
	s_nop 1
	v_addc_co_u32_e32 v39, vcc, 0, v5, vcc
	flat_store_short v[38:39], v36
.LBB634_274:
	s_or_b64 exec, exec, s[0:1]
	v_or_b32_e32 v36, 0x900, v0
	v_cmp_gt_u32_e32 vcc, s33, v36
	s_and_saveexec_b64 s[0:1], vcc
	s_cbranch_execz .LBB634_276
; %bb.275:
	v_add_co_u32_e32 v36, vcc, 0x1000, v4
	s_nop 1
	v_addc_co_u32_e32 v37, vcc, 0, v5, vcc
	flat_store_short v[36:37], v35 offset:512
.LBB634_276:
	s_or_b64 exec, exec, s[0:1]
	v_or_b32_e32 v35, 0xa00, v0
	v_cmp_gt_u32_e32 vcc, s33, v35
	s_and_saveexec_b64 s[0:1], vcc
	s_cbranch_execz .LBB634_278
; %bb.277:
	v_add_co_u32_e32 v36, vcc, 0x1000, v4
	s_nop 1
	v_addc_co_u32_e32 v37, vcc, 0, v5, vcc
	flat_store_short v[36:37], v34 offset:1024
.LBB634_278:
	;; [unrolled: 11-line block ×7, first 2 shown]
	s_or_b64 exec, exec, s[0:1]
	v_or_b32_e32 v27, 0x1000, v0
	v_cmp_gt_u32_e32 vcc, s33, v27
	s_and_saveexec_b64 s[0:1], vcc
	s_cbranch_execz .LBB634_290
; %bb.289:
	v_add_co_u32_e32 v30, vcc, 0x2000, v4
	s_nop 1
	v_addc_co_u32_e32 v31, vcc, 0, v5, vcc
	flat_store_short v[30:31], v26
.LBB634_290:
	s_or_b64 exec, exec, s[0:1]
	v_or_b32_e32 v26, 0x1100, v0
	v_cmp_gt_u32_e32 vcc, s33, v26
	s_and_saveexec_b64 s[0:1], vcc
	s_cbranch_execz .LBB634_292
; %bb.291:
	v_add_co_u32_e32 v26, vcc, 0x2000, v4
	s_nop 1
	v_addc_co_u32_e32 v27, vcc, 0, v5, vcc
	flat_store_short v[26:27], v25 offset:512
.LBB634_292:
	s_or_b64 exec, exec, s[0:1]
	v_or_b32_e32 v25, 0x1200, v0
	v_cmp_gt_u32_e32 vcc, s33, v25
	s_and_saveexec_b64 s[0:1], vcc
	s_cbranch_execz .LBB634_294
; %bb.293:
	v_add_co_u32_e32 v26, vcc, 0x2000, v4
	s_nop 1
	v_addc_co_u32_e32 v27, vcc, 0, v5, vcc
	flat_store_short v[26:27], v24 offset:1024
.LBB634_294:
	;; [unrolled: 11-line block ×6, first 2 shown]
	s_or_b64 exec, exec, s[0:1]
	v_or_b32_e32 v4, 0x1700, v0
	v_mov_b32_e32 v1, v29
	v_cmp_gt_u32_e64 s[0:1], s33, v4
	s_branch .LBB634_305
.LBB634_303:
	s_mov_b64 s[0:1], 0
                                        ; implicit-def: $vgpr13
	s_cbranch_execz .LBB634_305
; %bb.304:
	s_mov_b32 s2, 0x5040100
	v_perm_b32 v23, v9, v7, s2
	v_perm_b32 v22, v6, v8, s2
	;; [unrolled: 1-line block ×6, first 2 shown]
	s_waitcnt lgkmcnt(0)
	s_barrier
	v_perm_b32 v25, v18, v16, s2
	v_perm_b32 v24, v11, v10, s2
	ds_write_b128 v12, v[4:7] offset:16
	v_perm_b32 v7, v57, v56, s2
	v_perm_b32 v6, v55, v54, s2
	;; [unrolled: 1-line block ×4, first 2 shown]
	v_mov_b32_e32 v1, 0
	s_movk_i32 s2, 0xffd2
	ds_write_b128 v12, v[4:7] offset:32
	v_mad_i32_i24 v4, v0, s2, v12
	v_mov_b32_e32 v29, v1
	ds_write_b128 v12, v[22:25]
	s_waitcnt lgkmcnt(0)
	s_barrier
	ds_read_u16 v6, v4
	ds_read_u16 v7, v4 offset:512
	ds_read_u16 v8, v4 offset:1024
	;; [unrolled: 1-line block ×23, first 2 shown]
	v_lshl_add_u64 v[4:5], v[2:3], 0, v[28:29]
	s_movk_i32 s2, 0x1000
	s_waitcnt lgkmcnt(0)
	flat_store_short v[4:5], v6
	flat_store_short v[4:5], v7 offset:512
	flat_store_short v[4:5], v8 offset:1024
	;; [unrolled: 1-line block ×7, first 2 shown]
	v_add_co_u32_e32 v6, vcc, s2, v4
	s_or_b64 s[0:1], s[0:1], exec
	s_nop 0
	v_addc_co_u32_e32 v7, vcc, 0, v5, vcc
	v_add_co_u32_e32 v4, vcc, 0x2000, v4
	flat_store_short v[6:7], v15
	flat_store_short v[6:7], v16 offset:512
	flat_store_short v[6:7], v17 offset:1024
	;; [unrolled: 1-line block ×7, first 2 shown]
	v_addc_co_u32_e32 v5, vcc, 0, v5, vcc
	flat_store_short v[4:5], v23
	flat_store_short v[4:5], v24 offset:512
	flat_store_short v[4:5], v25 offset:1024
	;; [unrolled: 1-line block ×6, first 2 shown]
.LBB634_305:
	s_and_saveexec_b64 s[2:3], s[0:1]
	s_cbranch_execz .LBB634_307
; %bb.306:
	v_lshl_add_u64 v[0:1], v[0:1], 1, v[2:3]
	v_add_co_u32_e32 v0, vcc, 0x2000, v0
	s_nop 1
	v_addc_co_u32_e32 v1, vcc, 0, v1, vcc
	flat_store_short v[0:1], v13 offset:3584
	s_endpgm
.LBB634_307:
	s_endpgm
	.section	.rodata,"a",@progbits
	.p2align	6, 0x0
	.amdhsa_kernel _ZN7rocprim17ROCPRIM_400000_NS6detail17trampoline_kernelINS0_14default_configENS1_27scan_by_key_config_selectorIssEEZZNS1_16scan_by_key_implILNS1_25lookback_scan_determinismE0ELb1ES3_N6thrust23THRUST_200600_302600_NS6detail15normal_iteratorINS9_10device_ptrIsEEEESE_SE_sNS9_10multipliesIsEENS9_8equal_toIsEEsEE10hipError_tPvRmT2_T3_T4_T5_mT6_T7_P12ihipStream_tbENKUlT_T0_E_clISt17integral_constantIbLb0EESY_IbLb1EEEEDaSU_SV_EUlSU_E_NS1_11comp_targetILNS1_3genE5ELNS1_11target_archE942ELNS1_3gpuE9ELNS1_3repE0EEENS1_30default_config_static_selectorELNS0_4arch9wavefront6targetE1EEEvT1_
		.amdhsa_group_segment_fixed_size 13312
		.amdhsa_private_segment_fixed_size 0
		.amdhsa_kernarg_size 112
		.amdhsa_user_sgpr_count 2
		.amdhsa_user_sgpr_dispatch_ptr 0
		.amdhsa_user_sgpr_queue_ptr 0
		.amdhsa_user_sgpr_kernarg_segment_ptr 1
		.amdhsa_user_sgpr_dispatch_id 0
		.amdhsa_user_sgpr_kernarg_preload_length 0
		.amdhsa_user_sgpr_kernarg_preload_offset 0
		.amdhsa_user_sgpr_private_segment_size 0
		.amdhsa_uses_dynamic_stack 0
		.amdhsa_enable_private_segment 0
		.amdhsa_system_sgpr_workgroup_id_x 1
		.amdhsa_system_sgpr_workgroup_id_y 0
		.amdhsa_system_sgpr_workgroup_id_z 0
		.amdhsa_system_sgpr_workgroup_info 0
		.amdhsa_system_vgpr_workitem_id 0
		.amdhsa_next_free_vgpr 64
		.amdhsa_next_free_sgpr 75
		.amdhsa_accum_offset 64
		.amdhsa_reserve_vcc 1
		.amdhsa_float_round_mode_32 0
		.amdhsa_float_round_mode_16_64 0
		.amdhsa_float_denorm_mode_32 3
		.amdhsa_float_denorm_mode_16_64 3
		.amdhsa_dx10_clamp 1
		.amdhsa_ieee_mode 1
		.amdhsa_fp16_overflow 0
		.amdhsa_tg_split 0
		.amdhsa_exception_fp_ieee_invalid_op 0
		.amdhsa_exception_fp_denorm_src 0
		.amdhsa_exception_fp_ieee_div_zero 0
		.amdhsa_exception_fp_ieee_overflow 0
		.amdhsa_exception_fp_ieee_underflow 0
		.amdhsa_exception_fp_ieee_inexact 0
		.amdhsa_exception_int_div_zero 0
	.end_amdhsa_kernel
	.section	.text._ZN7rocprim17ROCPRIM_400000_NS6detail17trampoline_kernelINS0_14default_configENS1_27scan_by_key_config_selectorIssEEZZNS1_16scan_by_key_implILNS1_25lookback_scan_determinismE0ELb1ES3_N6thrust23THRUST_200600_302600_NS6detail15normal_iteratorINS9_10device_ptrIsEEEESE_SE_sNS9_10multipliesIsEENS9_8equal_toIsEEsEE10hipError_tPvRmT2_T3_T4_T5_mT6_T7_P12ihipStream_tbENKUlT_T0_E_clISt17integral_constantIbLb0EESY_IbLb1EEEEDaSU_SV_EUlSU_E_NS1_11comp_targetILNS1_3genE5ELNS1_11target_archE942ELNS1_3gpuE9ELNS1_3repE0EEENS1_30default_config_static_selectorELNS0_4arch9wavefront6targetE1EEEvT1_,"axG",@progbits,_ZN7rocprim17ROCPRIM_400000_NS6detail17trampoline_kernelINS0_14default_configENS1_27scan_by_key_config_selectorIssEEZZNS1_16scan_by_key_implILNS1_25lookback_scan_determinismE0ELb1ES3_N6thrust23THRUST_200600_302600_NS6detail15normal_iteratorINS9_10device_ptrIsEEEESE_SE_sNS9_10multipliesIsEENS9_8equal_toIsEEsEE10hipError_tPvRmT2_T3_T4_T5_mT6_T7_P12ihipStream_tbENKUlT_T0_E_clISt17integral_constantIbLb0EESY_IbLb1EEEEDaSU_SV_EUlSU_E_NS1_11comp_targetILNS1_3genE5ELNS1_11target_archE942ELNS1_3gpuE9ELNS1_3repE0EEENS1_30default_config_static_selectorELNS0_4arch9wavefront6targetE1EEEvT1_,comdat
.Lfunc_end634:
	.size	_ZN7rocprim17ROCPRIM_400000_NS6detail17trampoline_kernelINS0_14default_configENS1_27scan_by_key_config_selectorIssEEZZNS1_16scan_by_key_implILNS1_25lookback_scan_determinismE0ELb1ES3_N6thrust23THRUST_200600_302600_NS6detail15normal_iteratorINS9_10device_ptrIsEEEESE_SE_sNS9_10multipliesIsEENS9_8equal_toIsEEsEE10hipError_tPvRmT2_T3_T4_T5_mT6_T7_P12ihipStream_tbENKUlT_T0_E_clISt17integral_constantIbLb0EESY_IbLb1EEEEDaSU_SV_EUlSU_E_NS1_11comp_targetILNS1_3genE5ELNS1_11target_archE942ELNS1_3gpuE9ELNS1_3repE0EEENS1_30default_config_static_selectorELNS0_4arch9wavefront6targetE1EEEvT1_, .Lfunc_end634-_ZN7rocprim17ROCPRIM_400000_NS6detail17trampoline_kernelINS0_14default_configENS1_27scan_by_key_config_selectorIssEEZZNS1_16scan_by_key_implILNS1_25lookback_scan_determinismE0ELb1ES3_N6thrust23THRUST_200600_302600_NS6detail15normal_iteratorINS9_10device_ptrIsEEEESE_SE_sNS9_10multipliesIsEENS9_8equal_toIsEEsEE10hipError_tPvRmT2_T3_T4_T5_mT6_T7_P12ihipStream_tbENKUlT_T0_E_clISt17integral_constantIbLb0EESY_IbLb1EEEEDaSU_SV_EUlSU_E_NS1_11comp_targetILNS1_3genE5ELNS1_11target_archE942ELNS1_3gpuE9ELNS1_3repE0EEENS1_30default_config_static_selectorELNS0_4arch9wavefront6targetE1EEEvT1_
                                        ; -- End function
	.section	.AMDGPU.csdata,"",@progbits
; Kernel info:
; codeLenInByte = 16528
; NumSgprs: 81
; NumVgprs: 64
; NumAgprs: 0
; TotalNumVgprs: 64
; ScratchSize: 0
; MemoryBound: 0
; FloatMode: 240
; IeeeMode: 1
; LDSByteSize: 13312 bytes/workgroup (compile time only)
; SGPRBlocks: 10
; VGPRBlocks: 7
; NumSGPRsForWavesPerEU: 81
; NumVGPRsForWavesPerEU: 64
; AccumOffset: 64
; Occupancy: 4
; WaveLimiterHint : 1
; COMPUTE_PGM_RSRC2:SCRATCH_EN: 0
; COMPUTE_PGM_RSRC2:USER_SGPR: 2
; COMPUTE_PGM_RSRC2:TRAP_HANDLER: 0
; COMPUTE_PGM_RSRC2:TGID_X_EN: 1
; COMPUTE_PGM_RSRC2:TGID_Y_EN: 0
; COMPUTE_PGM_RSRC2:TGID_Z_EN: 0
; COMPUTE_PGM_RSRC2:TIDIG_COMP_CNT: 0
; COMPUTE_PGM_RSRC3_GFX90A:ACCUM_OFFSET: 15
; COMPUTE_PGM_RSRC3_GFX90A:TG_SPLIT: 0
	.section	.text._ZN7rocprim17ROCPRIM_400000_NS6detail17trampoline_kernelINS0_14default_configENS1_27scan_by_key_config_selectorIssEEZZNS1_16scan_by_key_implILNS1_25lookback_scan_determinismE0ELb1ES3_N6thrust23THRUST_200600_302600_NS6detail15normal_iteratorINS9_10device_ptrIsEEEESE_SE_sNS9_10multipliesIsEENS9_8equal_toIsEEsEE10hipError_tPvRmT2_T3_T4_T5_mT6_T7_P12ihipStream_tbENKUlT_T0_E_clISt17integral_constantIbLb0EESY_IbLb1EEEEDaSU_SV_EUlSU_E_NS1_11comp_targetILNS1_3genE4ELNS1_11target_archE910ELNS1_3gpuE8ELNS1_3repE0EEENS1_30default_config_static_selectorELNS0_4arch9wavefront6targetE1EEEvT1_,"axG",@progbits,_ZN7rocprim17ROCPRIM_400000_NS6detail17trampoline_kernelINS0_14default_configENS1_27scan_by_key_config_selectorIssEEZZNS1_16scan_by_key_implILNS1_25lookback_scan_determinismE0ELb1ES3_N6thrust23THRUST_200600_302600_NS6detail15normal_iteratorINS9_10device_ptrIsEEEESE_SE_sNS9_10multipliesIsEENS9_8equal_toIsEEsEE10hipError_tPvRmT2_T3_T4_T5_mT6_T7_P12ihipStream_tbENKUlT_T0_E_clISt17integral_constantIbLb0EESY_IbLb1EEEEDaSU_SV_EUlSU_E_NS1_11comp_targetILNS1_3genE4ELNS1_11target_archE910ELNS1_3gpuE8ELNS1_3repE0EEENS1_30default_config_static_selectorELNS0_4arch9wavefront6targetE1EEEvT1_,comdat
	.protected	_ZN7rocprim17ROCPRIM_400000_NS6detail17trampoline_kernelINS0_14default_configENS1_27scan_by_key_config_selectorIssEEZZNS1_16scan_by_key_implILNS1_25lookback_scan_determinismE0ELb1ES3_N6thrust23THRUST_200600_302600_NS6detail15normal_iteratorINS9_10device_ptrIsEEEESE_SE_sNS9_10multipliesIsEENS9_8equal_toIsEEsEE10hipError_tPvRmT2_T3_T4_T5_mT6_T7_P12ihipStream_tbENKUlT_T0_E_clISt17integral_constantIbLb0EESY_IbLb1EEEEDaSU_SV_EUlSU_E_NS1_11comp_targetILNS1_3genE4ELNS1_11target_archE910ELNS1_3gpuE8ELNS1_3repE0EEENS1_30default_config_static_selectorELNS0_4arch9wavefront6targetE1EEEvT1_ ; -- Begin function _ZN7rocprim17ROCPRIM_400000_NS6detail17trampoline_kernelINS0_14default_configENS1_27scan_by_key_config_selectorIssEEZZNS1_16scan_by_key_implILNS1_25lookback_scan_determinismE0ELb1ES3_N6thrust23THRUST_200600_302600_NS6detail15normal_iteratorINS9_10device_ptrIsEEEESE_SE_sNS9_10multipliesIsEENS9_8equal_toIsEEsEE10hipError_tPvRmT2_T3_T4_T5_mT6_T7_P12ihipStream_tbENKUlT_T0_E_clISt17integral_constantIbLb0EESY_IbLb1EEEEDaSU_SV_EUlSU_E_NS1_11comp_targetILNS1_3genE4ELNS1_11target_archE910ELNS1_3gpuE8ELNS1_3repE0EEENS1_30default_config_static_selectorELNS0_4arch9wavefront6targetE1EEEvT1_
	.globl	_ZN7rocprim17ROCPRIM_400000_NS6detail17trampoline_kernelINS0_14default_configENS1_27scan_by_key_config_selectorIssEEZZNS1_16scan_by_key_implILNS1_25lookback_scan_determinismE0ELb1ES3_N6thrust23THRUST_200600_302600_NS6detail15normal_iteratorINS9_10device_ptrIsEEEESE_SE_sNS9_10multipliesIsEENS9_8equal_toIsEEsEE10hipError_tPvRmT2_T3_T4_T5_mT6_T7_P12ihipStream_tbENKUlT_T0_E_clISt17integral_constantIbLb0EESY_IbLb1EEEEDaSU_SV_EUlSU_E_NS1_11comp_targetILNS1_3genE4ELNS1_11target_archE910ELNS1_3gpuE8ELNS1_3repE0EEENS1_30default_config_static_selectorELNS0_4arch9wavefront6targetE1EEEvT1_
	.p2align	8
	.type	_ZN7rocprim17ROCPRIM_400000_NS6detail17trampoline_kernelINS0_14default_configENS1_27scan_by_key_config_selectorIssEEZZNS1_16scan_by_key_implILNS1_25lookback_scan_determinismE0ELb1ES3_N6thrust23THRUST_200600_302600_NS6detail15normal_iteratorINS9_10device_ptrIsEEEESE_SE_sNS9_10multipliesIsEENS9_8equal_toIsEEsEE10hipError_tPvRmT2_T3_T4_T5_mT6_T7_P12ihipStream_tbENKUlT_T0_E_clISt17integral_constantIbLb0EESY_IbLb1EEEEDaSU_SV_EUlSU_E_NS1_11comp_targetILNS1_3genE4ELNS1_11target_archE910ELNS1_3gpuE8ELNS1_3repE0EEENS1_30default_config_static_selectorELNS0_4arch9wavefront6targetE1EEEvT1_,@function
_ZN7rocprim17ROCPRIM_400000_NS6detail17trampoline_kernelINS0_14default_configENS1_27scan_by_key_config_selectorIssEEZZNS1_16scan_by_key_implILNS1_25lookback_scan_determinismE0ELb1ES3_N6thrust23THRUST_200600_302600_NS6detail15normal_iteratorINS9_10device_ptrIsEEEESE_SE_sNS9_10multipliesIsEENS9_8equal_toIsEEsEE10hipError_tPvRmT2_T3_T4_T5_mT6_T7_P12ihipStream_tbENKUlT_T0_E_clISt17integral_constantIbLb0EESY_IbLb1EEEEDaSU_SV_EUlSU_E_NS1_11comp_targetILNS1_3genE4ELNS1_11target_archE910ELNS1_3gpuE8ELNS1_3repE0EEENS1_30default_config_static_selectorELNS0_4arch9wavefront6targetE1EEEvT1_: ; @_ZN7rocprim17ROCPRIM_400000_NS6detail17trampoline_kernelINS0_14default_configENS1_27scan_by_key_config_selectorIssEEZZNS1_16scan_by_key_implILNS1_25lookback_scan_determinismE0ELb1ES3_N6thrust23THRUST_200600_302600_NS6detail15normal_iteratorINS9_10device_ptrIsEEEESE_SE_sNS9_10multipliesIsEENS9_8equal_toIsEEsEE10hipError_tPvRmT2_T3_T4_T5_mT6_T7_P12ihipStream_tbENKUlT_T0_E_clISt17integral_constantIbLb0EESY_IbLb1EEEEDaSU_SV_EUlSU_E_NS1_11comp_targetILNS1_3genE4ELNS1_11target_archE910ELNS1_3gpuE8ELNS1_3repE0EEENS1_30default_config_static_selectorELNS0_4arch9wavefront6targetE1EEEvT1_
; %bb.0:
	.section	.rodata,"a",@progbits
	.p2align	6, 0x0
	.amdhsa_kernel _ZN7rocprim17ROCPRIM_400000_NS6detail17trampoline_kernelINS0_14default_configENS1_27scan_by_key_config_selectorIssEEZZNS1_16scan_by_key_implILNS1_25lookback_scan_determinismE0ELb1ES3_N6thrust23THRUST_200600_302600_NS6detail15normal_iteratorINS9_10device_ptrIsEEEESE_SE_sNS9_10multipliesIsEENS9_8equal_toIsEEsEE10hipError_tPvRmT2_T3_T4_T5_mT6_T7_P12ihipStream_tbENKUlT_T0_E_clISt17integral_constantIbLb0EESY_IbLb1EEEEDaSU_SV_EUlSU_E_NS1_11comp_targetILNS1_3genE4ELNS1_11target_archE910ELNS1_3gpuE8ELNS1_3repE0EEENS1_30default_config_static_selectorELNS0_4arch9wavefront6targetE1EEEvT1_
		.amdhsa_group_segment_fixed_size 0
		.amdhsa_private_segment_fixed_size 0
		.amdhsa_kernarg_size 112
		.amdhsa_user_sgpr_count 2
		.amdhsa_user_sgpr_dispatch_ptr 0
		.amdhsa_user_sgpr_queue_ptr 0
		.amdhsa_user_sgpr_kernarg_segment_ptr 1
		.amdhsa_user_sgpr_dispatch_id 0
		.amdhsa_user_sgpr_kernarg_preload_length 0
		.amdhsa_user_sgpr_kernarg_preload_offset 0
		.amdhsa_user_sgpr_private_segment_size 0
		.amdhsa_uses_dynamic_stack 0
		.amdhsa_enable_private_segment 0
		.amdhsa_system_sgpr_workgroup_id_x 1
		.amdhsa_system_sgpr_workgroup_id_y 0
		.amdhsa_system_sgpr_workgroup_id_z 0
		.amdhsa_system_sgpr_workgroup_info 0
		.amdhsa_system_vgpr_workitem_id 0
		.amdhsa_next_free_vgpr 1
		.amdhsa_next_free_sgpr 0
		.amdhsa_accum_offset 4
		.amdhsa_reserve_vcc 0
		.amdhsa_float_round_mode_32 0
		.amdhsa_float_round_mode_16_64 0
		.amdhsa_float_denorm_mode_32 3
		.amdhsa_float_denorm_mode_16_64 3
		.amdhsa_dx10_clamp 1
		.amdhsa_ieee_mode 1
		.amdhsa_fp16_overflow 0
		.amdhsa_tg_split 0
		.amdhsa_exception_fp_ieee_invalid_op 0
		.amdhsa_exception_fp_denorm_src 0
		.amdhsa_exception_fp_ieee_div_zero 0
		.amdhsa_exception_fp_ieee_overflow 0
		.amdhsa_exception_fp_ieee_underflow 0
		.amdhsa_exception_fp_ieee_inexact 0
		.amdhsa_exception_int_div_zero 0
	.end_amdhsa_kernel
	.section	.text._ZN7rocprim17ROCPRIM_400000_NS6detail17trampoline_kernelINS0_14default_configENS1_27scan_by_key_config_selectorIssEEZZNS1_16scan_by_key_implILNS1_25lookback_scan_determinismE0ELb1ES3_N6thrust23THRUST_200600_302600_NS6detail15normal_iteratorINS9_10device_ptrIsEEEESE_SE_sNS9_10multipliesIsEENS9_8equal_toIsEEsEE10hipError_tPvRmT2_T3_T4_T5_mT6_T7_P12ihipStream_tbENKUlT_T0_E_clISt17integral_constantIbLb0EESY_IbLb1EEEEDaSU_SV_EUlSU_E_NS1_11comp_targetILNS1_3genE4ELNS1_11target_archE910ELNS1_3gpuE8ELNS1_3repE0EEENS1_30default_config_static_selectorELNS0_4arch9wavefront6targetE1EEEvT1_,"axG",@progbits,_ZN7rocprim17ROCPRIM_400000_NS6detail17trampoline_kernelINS0_14default_configENS1_27scan_by_key_config_selectorIssEEZZNS1_16scan_by_key_implILNS1_25lookback_scan_determinismE0ELb1ES3_N6thrust23THRUST_200600_302600_NS6detail15normal_iteratorINS9_10device_ptrIsEEEESE_SE_sNS9_10multipliesIsEENS9_8equal_toIsEEsEE10hipError_tPvRmT2_T3_T4_T5_mT6_T7_P12ihipStream_tbENKUlT_T0_E_clISt17integral_constantIbLb0EESY_IbLb1EEEEDaSU_SV_EUlSU_E_NS1_11comp_targetILNS1_3genE4ELNS1_11target_archE910ELNS1_3gpuE8ELNS1_3repE0EEENS1_30default_config_static_selectorELNS0_4arch9wavefront6targetE1EEEvT1_,comdat
.Lfunc_end635:
	.size	_ZN7rocprim17ROCPRIM_400000_NS6detail17trampoline_kernelINS0_14default_configENS1_27scan_by_key_config_selectorIssEEZZNS1_16scan_by_key_implILNS1_25lookback_scan_determinismE0ELb1ES3_N6thrust23THRUST_200600_302600_NS6detail15normal_iteratorINS9_10device_ptrIsEEEESE_SE_sNS9_10multipliesIsEENS9_8equal_toIsEEsEE10hipError_tPvRmT2_T3_T4_T5_mT6_T7_P12ihipStream_tbENKUlT_T0_E_clISt17integral_constantIbLb0EESY_IbLb1EEEEDaSU_SV_EUlSU_E_NS1_11comp_targetILNS1_3genE4ELNS1_11target_archE910ELNS1_3gpuE8ELNS1_3repE0EEENS1_30default_config_static_selectorELNS0_4arch9wavefront6targetE1EEEvT1_, .Lfunc_end635-_ZN7rocprim17ROCPRIM_400000_NS6detail17trampoline_kernelINS0_14default_configENS1_27scan_by_key_config_selectorIssEEZZNS1_16scan_by_key_implILNS1_25lookback_scan_determinismE0ELb1ES3_N6thrust23THRUST_200600_302600_NS6detail15normal_iteratorINS9_10device_ptrIsEEEESE_SE_sNS9_10multipliesIsEENS9_8equal_toIsEEsEE10hipError_tPvRmT2_T3_T4_T5_mT6_T7_P12ihipStream_tbENKUlT_T0_E_clISt17integral_constantIbLb0EESY_IbLb1EEEEDaSU_SV_EUlSU_E_NS1_11comp_targetILNS1_3genE4ELNS1_11target_archE910ELNS1_3gpuE8ELNS1_3repE0EEENS1_30default_config_static_selectorELNS0_4arch9wavefront6targetE1EEEvT1_
                                        ; -- End function
	.section	.AMDGPU.csdata,"",@progbits
; Kernel info:
; codeLenInByte = 0
; NumSgprs: 6
; NumVgprs: 0
; NumAgprs: 0
; TotalNumVgprs: 0
; ScratchSize: 0
; MemoryBound: 0
; FloatMode: 240
; IeeeMode: 1
; LDSByteSize: 0 bytes/workgroup (compile time only)
; SGPRBlocks: 0
; VGPRBlocks: 0
; NumSGPRsForWavesPerEU: 6
; NumVGPRsForWavesPerEU: 1
; AccumOffset: 4
; Occupancy: 8
; WaveLimiterHint : 0
; COMPUTE_PGM_RSRC2:SCRATCH_EN: 0
; COMPUTE_PGM_RSRC2:USER_SGPR: 2
; COMPUTE_PGM_RSRC2:TRAP_HANDLER: 0
; COMPUTE_PGM_RSRC2:TGID_X_EN: 1
; COMPUTE_PGM_RSRC2:TGID_Y_EN: 0
; COMPUTE_PGM_RSRC2:TGID_Z_EN: 0
; COMPUTE_PGM_RSRC2:TIDIG_COMP_CNT: 0
; COMPUTE_PGM_RSRC3_GFX90A:ACCUM_OFFSET: 0
; COMPUTE_PGM_RSRC3_GFX90A:TG_SPLIT: 0
	.section	.text._ZN7rocprim17ROCPRIM_400000_NS6detail17trampoline_kernelINS0_14default_configENS1_27scan_by_key_config_selectorIssEEZZNS1_16scan_by_key_implILNS1_25lookback_scan_determinismE0ELb1ES3_N6thrust23THRUST_200600_302600_NS6detail15normal_iteratorINS9_10device_ptrIsEEEESE_SE_sNS9_10multipliesIsEENS9_8equal_toIsEEsEE10hipError_tPvRmT2_T3_T4_T5_mT6_T7_P12ihipStream_tbENKUlT_T0_E_clISt17integral_constantIbLb0EESY_IbLb1EEEEDaSU_SV_EUlSU_E_NS1_11comp_targetILNS1_3genE3ELNS1_11target_archE908ELNS1_3gpuE7ELNS1_3repE0EEENS1_30default_config_static_selectorELNS0_4arch9wavefront6targetE1EEEvT1_,"axG",@progbits,_ZN7rocprim17ROCPRIM_400000_NS6detail17trampoline_kernelINS0_14default_configENS1_27scan_by_key_config_selectorIssEEZZNS1_16scan_by_key_implILNS1_25lookback_scan_determinismE0ELb1ES3_N6thrust23THRUST_200600_302600_NS6detail15normal_iteratorINS9_10device_ptrIsEEEESE_SE_sNS9_10multipliesIsEENS9_8equal_toIsEEsEE10hipError_tPvRmT2_T3_T4_T5_mT6_T7_P12ihipStream_tbENKUlT_T0_E_clISt17integral_constantIbLb0EESY_IbLb1EEEEDaSU_SV_EUlSU_E_NS1_11comp_targetILNS1_3genE3ELNS1_11target_archE908ELNS1_3gpuE7ELNS1_3repE0EEENS1_30default_config_static_selectorELNS0_4arch9wavefront6targetE1EEEvT1_,comdat
	.protected	_ZN7rocprim17ROCPRIM_400000_NS6detail17trampoline_kernelINS0_14default_configENS1_27scan_by_key_config_selectorIssEEZZNS1_16scan_by_key_implILNS1_25lookback_scan_determinismE0ELb1ES3_N6thrust23THRUST_200600_302600_NS6detail15normal_iteratorINS9_10device_ptrIsEEEESE_SE_sNS9_10multipliesIsEENS9_8equal_toIsEEsEE10hipError_tPvRmT2_T3_T4_T5_mT6_T7_P12ihipStream_tbENKUlT_T0_E_clISt17integral_constantIbLb0EESY_IbLb1EEEEDaSU_SV_EUlSU_E_NS1_11comp_targetILNS1_3genE3ELNS1_11target_archE908ELNS1_3gpuE7ELNS1_3repE0EEENS1_30default_config_static_selectorELNS0_4arch9wavefront6targetE1EEEvT1_ ; -- Begin function _ZN7rocprim17ROCPRIM_400000_NS6detail17trampoline_kernelINS0_14default_configENS1_27scan_by_key_config_selectorIssEEZZNS1_16scan_by_key_implILNS1_25lookback_scan_determinismE0ELb1ES3_N6thrust23THRUST_200600_302600_NS6detail15normal_iteratorINS9_10device_ptrIsEEEESE_SE_sNS9_10multipliesIsEENS9_8equal_toIsEEsEE10hipError_tPvRmT2_T3_T4_T5_mT6_T7_P12ihipStream_tbENKUlT_T0_E_clISt17integral_constantIbLb0EESY_IbLb1EEEEDaSU_SV_EUlSU_E_NS1_11comp_targetILNS1_3genE3ELNS1_11target_archE908ELNS1_3gpuE7ELNS1_3repE0EEENS1_30default_config_static_selectorELNS0_4arch9wavefront6targetE1EEEvT1_
	.globl	_ZN7rocprim17ROCPRIM_400000_NS6detail17trampoline_kernelINS0_14default_configENS1_27scan_by_key_config_selectorIssEEZZNS1_16scan_by_key_implILNS1_25lookback_scan_determinismE0ELb1ES3_N6thrust23THRUST_200600_302600_NS6detail15normal_iteratorINS9_10device_ptrIsEEEESE_SE_sNS9_10multipliesIsEENS9_8equal_toIsEEsEE10hipError_tPvRmT2_T3_T4_T5_mT6_T7_P12ihipStream_tbENKUlT_T0_E_clISt17integral_constantIbLb0EESY_IbLb1EEEEDaSU_SV_EUlSU_E_NS1_11comp_targetILNS1_3genE3ELNS1_11target_archE908ELNS1_3gpuE7ELNS1_3repE0EEENS1_30default_config_static_selectorELNS0_4arch9wavefront6targetE1EEEvT1_
	.p2align	8
	.type	_ZN7rocprim17ROCPRIM_400000_NS6detail17trampoline_kernelINS0_14default_configENS1_27scan_by_key_config_selectorIssEEZZNS1_16scan_by_key_implILNS1_25lookback_scan_determinismE0ELb1ES3_N6thrust23THRUST_200600_302600_NS6detail15normal_iteratorINS9_10device_ptrIsEEEESE_SE_sNS9_10multipliesIsEENS9_8equal_toIsEEsEE10hipError_tPvRmT2_T3_T4_T5_mT6_T7_P12ihipStream_tbENKUlT_T0_E_clISt17integral_constantIbLb0EESY_IbLb1EEEEDaSU_SV_EUlSU_E_NS1_11comp_targetILNS1_3genE3ELNS1_11target_archE908ELNS1_3gpuE7ELNS1_3repE0EEENS1_30default_config_static_selectorELNS0_4arch9wavefront6targetE1EEEvT1_,@function
_ZN7rocprim17ROCPRIM_400000_NS6detail17trampoline_kernelINS0_14default_configENS1_27scan_by_key_config_selectorIssEEZZNS1_16scan_by_key_implILNS1_25lookback_scan_determinismE0ELb1ES3_N6thrust23THRUST_200600_302600_NS6detail15normal_iteratorINS9_10device_ptrIsEEEESE_SE_sNS9_10multipliesIsEENS9_8equal_toIsEEsEE10hipError_tPvRmT2_T3_T4_T5_mT6_T7_P12ihipStream_tbENKUlT_T0_E_clISt17integral_constantIbLb0EESY_IbLb1EEEEDaSU_SV_EUlSU_E_NS1_11comp_targetILNS1_3genE3ELNS1_11target_archE908ELNS1_3gpuE7ELNS1_3repE0EEENS1_30default_config_static_selectorELNS0_4arch9wavefront6targetE1EEEvT1_: ; @_ZN7rocprim17ROCPRIM_400000_NS6detail17trampoline_kernelINS0_14default_configENS1_27scan_by_key_config_selectorIssEEZZNS1_16scan_by_key_implILNS1_25lookback_scan_determinismE0ELb1ES3_N6thrust23THRUST_200600_302600_NS6detail15normal_iteratorINS9_10device_ptrIsEEEESE_SE_sNS9_10multipliesIsEENS9_8equal_toIsEEsEE10hipError_tPvRmT2_T3_T4_T5_mT6_T7_P12ihipStream_tbENKUlT_T0_E_clISt17integral_constantIbLb0EESY_IbLb1EEEEDaSU_SV_EUlSU_E_NS1_11comp_targetILNS1_3genE3ELNS1_11target_archE908ELNS1_3gpuE7ELNS1_3repE0EEENS1_30default_config_static_selectorELNS0_4arch9wavefront6targetE1EEEvT1_
; %bb.0:
	.section	.rodata,"a",@progbits
	.p2align	6, 0x0
	.amdhsa_kernel _ZN7rocprim17ROCPRIM_400000_NS6detail17trampoline_kernelINS0_14default_configENS1_27scan_by_key_config_selectorIssEEZZNS1_16scan_by_key_implILNS1_25lookback_scan_determinismE0ELb1ES3_N6thrust23THRUST_200600_302600_NS6detail15normal_iteratorINS9_10device_ptrIsEEEESE_SE_sNS9_10multipliesIsEENS9_8equal_toIsEEsEE10hipError_tPvRmT2_T3_T4_T5_mT6_T7_P12ihipStream_tbENKUlT_T0_E_clISt17integral_constantIbLb0EESY_IbLb1EEEEDaSU_SV_EUlSU_E_NS1_11comp_targetILNS1_3genE3ELNS1_11target_archE908ELNS1_3gpuE7ELNS1_3repE0EEENS1_30default_config_static_selectorELNS0_4arch9wavefront6targetE1EEEvT1_
		.amdhsa_group_segment_fixed_size 0
		.amdhsa_private_segment_fixed_size 0
		.amdhsa_kernarg_size 112
		.amdhsa_user_sgpr_count 2
		.amdhsa_user_sgpr_dispatch_ptr 0
		.amdhsa_user_sgpr_queue_ptr 0
		.amdhsa_user_sgpr_kernarg_segment_ptr 1
		.amdhsa_user_sgpr_dispatch_id 0
		.amdhsa_user_sgpr_kernarg_preload_length 0
		.amdhsa_user_sgpr_kernarg_preload_offset 0
		.amdhsa_user_sgpr_private_segment_size 0
		.amdhsa_uses_dynamic_stack 0
		.amdhsa_enable_private_segment 0
		.amdhsa_system_sgpr_workgroup_id_x 1
		.amdhsa_system_sgpr_workgroup_id_y 0
		.amdhsa_system_sgpr_workgroup_id_z 0
		.amdhsa_system_sgpr_workgroup_info 0
		.amdhsa_system_vgpr_workitem_id 0
		.amdhsa_next_free_vgpr 1
		.amdhsa_next_free_sgpr 0
		.amdhsa_accum_offset 4
		.amdhsa_reserve_vcc 0
		.amdhsa_float_round_mode_32 0
		.amdhsa_float_round_mode_16_64 0
		.amdhsa_float_denorm_mode_32 3
		.amdhsa_float_denorm_mode_16_64 3
		.amdhsa_dx10_clamp 1
		.amdhsa_ieee_mode 1
		.amdhsa_fp16_overflow 0
		.amdhsa_tg_split 0
		.amdhsa_exception_fp_ieee_invalid_op 0
		.amdhsa_exception_fp_denorm_src 0
		.amdhsa_exception_fp_ieee_div_zero 0
		.amdhsa_exception_fp_ieee_overflow 0
		.amdhsa_exception_fp_ieee_underflow 0
		.amdhsa_exception_fp_ieee_inexact 0
		.amdhsa_exception_int_div_zero 0
	.end_amdhsa_kernel
	.section	.text._ZN7rocprim17ROCPRIM_400000_NS6detail17trampoline_kernelINS0_14default_configENS1_27scan_by_key_config_selectorIssEEZZNS1_16scan_by_key_implILNS1_25lookback_scan_determinismE0ELb1ES3_N6thrust23THRUST_200600_302600_NS6detail15normal_iteratorINS9_10device_ptrIsEEEESE_SE_sNS9_10multipliesIsEENS9_8equal_toIsEEsEE10hipError_tPvRmT2_T3_T4_T5_mT6_T7_P12ihipStream_tbENKUlT_T0_E_clISt17integral_constantIbLb0EESY_IbLb1EEEEDaSU_SV_EUlSU_E_NS1_11comp_targetILNS1_3genE3ELNS1_11target_archE908ELNS1_3gpuE7ELNS1_3repE0EEENS1_30default_config_static_selectorELNS0_4arch9wavefront6targetE1EEEvT1_,"axG",@progbits,_ZN7rocprim17ROCPRIM_400000_NS6detail17trampoline_kernelINS0_14default_configENS1_27scan_by_key_config_selectorIssEEZZNS1_16scan_by_key_implILNS1_25lookback_scan_determinismE0ELb1ES3_N6thrust23THRUST_200600_302600_NS6detail15normal_iteratorINS9_10device_ptrIsEEEESE_SE_sNS9_10multipliesIsEENS9_8equal_toIsEEsEE10hipError_tPvRmT2_T3_T4_T5_mT6_T7_P12ihipStream_tbENKUlT_T0_E_clISt17integral_constantIbLb0EESY_IbLb1EEEEDaSU_SV_EUlSU_E_NS1_11comp_targetILNS1_3genE3ELNS1_11target_archE908ELNS1_3gpuE7ELNS1_3repE0EEENS1_30default_config_static_selectorELNS0_4arch9wavefront6targetE1EEEvT1_,comdat
.Lfunc_end636:
	.size	_ZN7rocprim17ROCPRIM_400000_NS6detail17trampoline_kernelINS0_14default_configENS1_27scan_by_key_config_selectorIssEEZZNS1_16scan_by_key_implILNS1_25lookback_scan_determinismE0ELb1ES3_N6thrust23THRUST_200600_302600_NS6detail15normal_iteratorINS9_10device_ptrIsEEEESE_SE_sNS9_10multipliesIsEENS9_8equal_toIsEEsEE10hipError_tPvRmT2_T3_T4_T5_mT6_T7_P12ihipStream_tbENKUlT_T0_E_clISt17integral_constantIbLb0EESY_IbLb1EEEEDaSU_SV_EUlSU_E_NS1_11comp_targetILNS1_3genE3ELNS1_11target_archE908ELNS1_3gpuE7ELNS1_3repE0EEENS1_30default_config_static_selectorELNS0_4arch9wavefront6targetE1EEEvT1_, .Lfunc_end636-_ZN7rocprim17ROCPRIM_400000_NS6detail17trampoline_kernelINS0_14default_configENS1_27scan_by_key_config_selectorIssEEZZNS1_16scan_by_key_implILNS1_25lookback_scan_determinismE0ELb1ES3_N6thrust23THRUST_200600_302600_NS6detail15normal_iteratorINS9_10device_ptrIsEEEESE_SE_sNS9_10multipliesIsEENS9_8equal_toIsEEsEE10hipError_tPvRmT2_T3_T4_T5_mT6_T7_P12ihipStream_tbENKUlT_T0_E_clISt17integral_constantIbLb0EESY_IbLb1EEEEDaSU_SV_EUlSU_E_NS1_11comp_targetILNS1_3genE3ELNS1_11target_archE908ELNS1_3gpuE7ELNS1_3repE0EEENS1_30default_config_static_selectorELNS0_4arch9wavefront6targetE1EEEvT1_
                                        ; -- End function
	.section	.AMDGPU.csdata,"",@progbits
; Kernel info:
; codeLenInByte = 0
; NumSgprs: 6
; NumVgprs: 0
; NumAgprs: 0
; TotalNumVgprs: 0
; ScratchSize: 0
; MemoryBound: 0
; FloatMode: 240
; IeeeMode: 1
; LDSByteSize: 0 bytes/workgroup (compile time only)
; SGPRBlocks: 0
; VGPRBlocks: 0
; NumSGPRsForWavesPerEU: 6
; NumVGPRsForWavesPerEU: 1
; AccumOffset: 4
; Occupancy: 8
; WaveLimiterHint : 0
; COMPUTE_PGM_RSRC2:SCRATCH_EN: 0
; COMPUTE_PGM_RSRC2:USER_SGPR: 2
; COMPUTE_PGM_RSRC2:TRAP_HANDLER: 0
; COMPUTE_PGM_RSRC2:TGID_X_EN: 1
; COMPUTE_PGM_RSRC2:TGID_Y_EN: 0
; COMPUTE_PGM_RSRC2:TGID_Z_EN: 0
; COMPUTE_PGM_RSRC2:TIDIG_COMP_CNT: 0
; COMPUTE_PGM_RSRC3_GFX90A:ACCUM_OFFSET: 0
; COMPUTE_PGM_RSRC3_GFX90A:TG_SPLIT: 0
	.section	.text._ZN7rocprim17ROCPRIM_400000_NS6detail17trampoline_kernelINS0_14default_configENS1_27scan_by_key_config_selectorIssEEZZNS1_16scan_by_key_implILNS1_25lookback_scan_determinismE0ELb1ES3_N6thrust23THRUST_200600_302600_NS6detail15normal_iteratorINS9_10device_ptrIsEEEESE_SE_sNS9_10multipliesIsEENS9_8equal_toIsEEsEE10hipError_tPvRmT2_T3_T4_T5_mT6_T7_P12ihipStream_tbENKUlT_T0_E_clISt17integral_constantIbLb0EESY_IbLb1EEEEDaSU_SV_EUlSU_E_NS1_11comp_targetILNS1_3genE2ELNS1_11target_archE906ELNS1_3gpuE6ELNS1_3repE0EEENS1_30default_config_static_selectorELNS0_4arch9wavefront6targetE1EEEvT1_,"axG",@progbits,_ZN7rocprim17ROCPRIM_400000_NS6detail17trampoline_kernelINS0_14default_configENS1_27scan_by_key_config_selectorIssEEZZNS1_16scan_by_key_implILNS1_25lookback_scan_determinismE0ELb1ES3_N6thrust23THRUST_200600_302600_NS6detail15normal_iteratorINS9_10device_ptrIsEEEESE_SE_sNS9_10multipliesIsEENS9_8equal_toIsEEsEE10hipError_tPvRmT2_T3_T4_T5_mT6_T7_P12ihipStream_tbENKUlT_T0_E_clISt17integral_constantIbLb0EESY_IbLb1EEEEDaSU_SV_EUlSU_E_NS1_11comp_targetILNS1_3genE2ELNS1_11target_archE906ELNS1_3gpuE6ELNS1_3repE0EEENS1_30default_config_static_selectorELNS0_4arch9wavefront6targetE1EEEvT1_,comdat
	.protected	_ZN7rocprim17ROCPRIM_400000_NS6detail17trampoline_kernelINS0_14default_configENS1_27scan_by_key_config_selectorIssEEZZNS1_16scan_by_key_implILNS1_25lookback_scan_determinismE0ELb1ES3_N6thrust23THRUST_200600_302600_NS6detail15normal_iteratorINS9_10device_ptrIsEEEESE_SE_sNS9_10multipliesIsEENS9_8equal_toIsEEsEE10hipError_tPvRmT2_T3_T4_T5_mT6_T7_P12ihipStream_tbENKUlT_T0_E_clISt17integral_constantIbLb0EESY_IbLb1EEEEDaSU_SV_EUlSU_E_NS1_11comp_targetILNS1_3genE2ELNS1_11target_archE906ELNS1_3gpuE6ELNS1_3repE0EEENS1_30default_config_static_selectorELNS0_4arch9wavefront6targetE1EEEvT1_ ; -- Begin function _ZN7rocprim17ROCPRIM_400000_NS6detail17trampoline_kernelINS0_14default_configENS1_27scan_by_key_config_selectorIssEEZZNS1_16scan_by_key_implILNS1_25lookback_scan_determinismE0ELb1ES3_N6thrust23THRUST_200600_302600_NS6detail15normal_iteratorINS9_10device_ptrIsEEEESE_SE_sNS9_10multipliesIsEENS9_8equal_toIsEEsEE10hipError_tPvRmT2_T3_T4_T5_mT6_T7_P12ihipStream_tbENKUlT_T0_E_clISt17integral_constantIbLb0EESY_IbLb1EEEEDaSU_SV_EUlSU_E_NS1_11comp_targetILNS1_3genE2ELNS1_11target_archE906ELNS1_3gpuE6ELNS1_3repE0EEENS1_30default_config_static_selectorELNS0_4arch9wavefront6targetE1EEEvT1_
	.globl	_ZN7rocprim17ROCPRIM_400000_NS6detail17trampoline_kernelINS0_14default_configENS1_27scan_by_key_config_selectorIssEEZZNS1_16scan_by_key_implILNS1_25lookback_scan_determinismE0ELb1ES3_N6thrust23THRUST_200600_302600_NS6detail15normal_iteratorINS9_10device_ptrIsEEEESE_SE_sNS9_10multipliesIsEENS9_8equal_toIsEEsEE10hipError_tPvRmT2_T3_T4_T5_mT6_T7_P12ihipStream_tbENKUlT_T0_E_clISt17integral_constantIbLb0EESY_IbLb1EEEEDaSU_SV_EUlSU_E_NS1_11comp_targetILNS1_3genE2ELNS1_11target_archE906ELNS1_3gpuE6ELNS1_3repE0EEENS1_30default_config_static_selectorELNS0_4arch9wavefront6targetE1EEEvT1_
	.p2align	8
	.type	_ZN7rocprim17ROCPRIM_400000_NS6detail17trampoline_kernelINS0_14default_configENS1_27scan_by_key_config_selectorIssEEZZNS1_16scan_by_key_implILNS1_25lookback_scan_determinismE0ELb1ES3_N6thrust23THRUST_200600_302600_NS6detail15normal_iteratorINS9_10device_ptrIsEEEESE_SE_sNS9_10multipliesIsEENS9_8equal_toIsEEsEE10hipError_tPvRmT2_T3_T4_T5_mT6_T7_P12ihipStream_tbENKUlT_T0_E_clISt17integral_constantIbLb0EESY_IbLb1EEEEDaSU_SV_EUlSU_E_NS1_11comp_targetILNS1_3genE2ELNS1_11target_archE906ELNS1_3gpuE6ELNS1_3repE0EEENS1_30default_config_static_selectorELNS0_4arch9wavefront6targetE1EEEvT1_,@function
_ZN7rocprim17ROCPRIM_400000_NS6detail17trampoline_kernelINS0_14default_configENS1_27scan_by_key_config_selectorIssEEZZNS1_16scan_by_key_implILNS1_25lookback_scan_determinismE0ELb1ES3_N6thrust23THRUST_200600_302600_NS6detail15normal_iteratorINS9_10device_ptrIsEEEESE_SE_sNS9_10multipliesIsEENS9_8equal_toIsEEsEE10hipError_tPvRmT2_T3_T4_T5_mT6_T7_P12ihipStream_tbENKUlT_T0_E_clISt17integral_constantIbLb0EESY_IbLb1EEEEDaSU_SV_EUlSU_E_NS1_11comp_targetILNS1_3genE2ELNS1_11target_archE906ELNS1_3gpuE6ELNS1_3repE0EEENS1_30default_config_static_selectorELNS0_4arch9wavefront6targetE1EEEvT1_: ; @_ZN7rocprim17ROCPRIM_400000_NS6detail17trampoline_kernelINS0_14default_configENS1_27scan_by_key_config_selectorIssEEZZNS1_16scan_by_key_implILNS1_25lookback_scan_determinismE0ELb1ES3_N6thrust23THRUST_200600_302600_NS6detail15normal_iteratorINS9_10device_ptrIsEEEESE_SE_sNS9_10multipliesIsEENS9_8equal_toIsEEsEE10hipError_tPvRmT2_T3_T4_T5_mT6_T7_P12ihipStream_tbENKUlT_T0_E_clISt17integral_constantIbLb0EESY_IbLb1EEEEDaSU_SV_EUlSU_E_NS1_11comp_targetILNS1_3genE2ELNS1_11target_archE906ELNS1_3gpuE6ELNS1_3repE0EEENS1_30default_config_static_selectorELNS0_4arch9wavefront6targetE1EEEvT1_
; %bb.0:
	.section	.rodata,"a",@progbits
	.p2align	6, 0x0
	.amdhsa_kernel _ZN7rocprim17ROCPRIM_400000_NS6detail17trampoline_kernelINS0_14default_configENS1_27scan_by_key_config_selectorIssEEZZNS1_16scan_by_key_implILNS1_25lookback_scan_determinismE0ELb1ES3_N6thrust23THRUST_200600_302600_NS6detail15normal_iteratorINS9_10device_ptrIsEEEESE_SE_sNS9_10multipliesIsEENS9_8equal_toIsEEsEE10hipError_tPvRmT2_T3_T4_T5_mT6_T7_P12ihipStream_tbENKUlT_T0_E_clISt17integral_constantIbLb0EESY_IbLb1EEEEDaSU_SV_EUlSU_E_NS1_11comp_targetILNS1_3genE2ELNS1_11target_archE906ELNS1_3gpuE6ELNS1_3repE0EEENS1_30default_config_static_selectorELNS0_4arch9wavefront6targetE1EEEvT1_
		.amdhsa_group_segment_fixed_size 0
		.amdhsa_private_segment_fixed_size 0
		.amdhsa_kernarg_size 112
		.amdhsa_user_sgpr_count 2
		.amdhsa_user_sgpr_dispatch_ptr 0
		.amdhsa_user_sgpr_queue_ptr 0
		.amdhsa_user_sgpr_kernarg_segment_ptr 1
		.amdhsa_user_sgpr_dispatch_id 0
		.amdhsa_user_sgpr_kernarg_preload_length 0
		.amdhsa_user_sgpr_kernarg_preload_offset 0
		.amdhsa_user_sgpr_private_segment_size 0
		.amdhsa_uses_dynamic_stack 0
		.amdhsa_enable_private_segment 0
		.amdhsa_system_sgpr_workgroup_id_x 1
		.amdhsa_system_sgpr_workgroup_id_y 0
		.amdhsa_system_sgpr_workgroup_id_z 0
		.amdhsa_system_sgpr_workgroup_info 0
		.amdhsa_system_vgpr_workitem_id 0
		.amdhsa_next_free_vgpr 1
		.amdhsa_next_free_sgpr 0
		.amdhsa_accum_offset 4
		.amdhsa_reserve_vcc 0
		.amdhsa_float_round_mode_32 0
		.amdhsa_float_round_mode_16_64 0
		.amdhsa_float_denorm_mode_32 3
		.amdhsa_float_denorm_mode_16_64 3
		.amdhsa_dx10_clamp 1
		.amdhsa_ieee_mode 1
		.amdhsa_fp16_overflow 0
		.amdhsa_tg_split 0
		.amdhsa_exception_fp_ieee_invalid_op 0
		.amdhsa_exception_fp_denorm_src 0
		.amdhsa_exception_fp_ieee_div_zero 0
		.amdhsa_exception_fp_ieee_overflow 0
		.amdhsa_exception_fp_ieee_underflow 0
		.amdhsa_exception_fp_ieee_inexact 0
		.amdhsa_exception_int_div_zero 0
	.end_amdhsa_kernel
	.section	.text._ZN7rocprim17ROCPRIM_400000_NS6detail17trampoline_kernelINS0_14default_configENS1_27scan_by_key_config_selectorIssEEZZNS1_16scan_by_key_implILNS1_25lookback_scan_determinismE0ELb1ES3_N6thrust23THRUST_200600_302600_NS6detail15normal_iteratorINS9_10device_ptrIsEEEESE_SE_sNS9_10multipliesIsEENS9_8equal_toIsEEsEE10hipError_tPvRmT2_T3_T4_T5_mT6_T7_P12ihipStream_tbENKUlT_T0_E_clISt17integral_constantIbLb0EESY_IbLb1EEEEDaSU_SV_EUlSU_E_NS1_11comp_targetILNS1_3genE2ELNS1_11target_archE906ELNS1_3gpuE6ELNS1_3repE0EEENS1_30default_config_static_selectorELNS0_4arch9wavefront6targetE1EEEvT1_,"axG",@progbits,_ZN7rocprim17ROCPRIM_400000_NS6detail17trampoline_kernelINS0_14default_configENS1_27scan_by_key_config_selectorIssEEZZNS1_16scan_by_key_implILNS1_25lookback_scan_determinismE0ELb1ES3_N6thrust23THRUST_200600_302600_NS6detail15normal_iteratorINS9_10device_ptrIsEEEESE_SE_sNS9_10multipliesIsEENS9_8equal_toIsEEsEE10hipError_tPvRmT2_T3_T4_T5_mT6_T7_P12ihipStream_tbENKUlT_T0_E_clISt17integral_constantIbLb0EESY_IbLb1EEEEDaSU_SV_EUlSU_E_NS1_11comp_targetILNS1_3genE2ELNS1_11target_archE906ELNS1_3gpuE6ELNS1_3repE0EEENS1_30default_config_static_selectorELNS0_4arch9wavefront6targetE1EEEvT1_,comdat
.Lfunc_end637:
	.size	_ZN7rocprim17ROCPRIM_400000_NS6detail17trampoline_kernelINS0_14default_configENS1_27scan_by_key_config_selectorIssEEZZNS1_16scan_by_key_implILNS1_25lookback_scan_determinismE0ELb1ES3_N6thrust23THRUST_200600_302600_NS6detail15normal_iteratorINS9_10device_ptrIsEEEESE_SE_sNS9_10multipliesIsEENS9_8equal_toIsEEsEE10hipError_tPvRmT2_T3_T4_T5_mT6_T7_P12ihipStream_tbENKUlT_T0_E_clISt17integral_constantIbLb0EESY_IbLb1EEEEDaSU_SV_EUlSU_E_NS1_11comp_targetILNS1_3genE2ELNS1_11target_archE906ELNS1_3gpuE6ELNS1_3repE0EEENS1_30default_config_static_selectorELNS0_4arch9wavefront6targetE1EEEvT1_, .Lfunc_end637-_ZN7rocprim17ROCPRIM_400000_NS6detail17trampoline_kernelINS0_14default_configENS1_27scan_by_key_config_selectorIssEEZZNS1_16scan_by_key_implILNS1_25lookback_scan_determinismE0ELb1ES3_N6thrust23THRUST_200600_302600_NS6detail15normal_iteratorINS9_10device_ptrIsEEEESE_SE_sNS9_10multipliesIsEENS9_8equal_toIsEEsEE10hipError_tPvRmT2_T3_T4_T5_mT6_T7_P12ihipStream_tbENKUlT_T0_E_clISt17integral_constantIbLb0EESY_IbLb1EEEEDaSU_SV_EUlSU_E_NS1_11comp_targetILNS1_3genE2ELNS1_11target_archE906ELNS1_3gpuE6ELNS1_3repE0EEENS1_30default_config_static_selectorELNS0_4arch9wavefront6targetE1EEEvT1_
                                        ; -- End function
	.section	.AMDGPU.csdata,"",@progbits
; Kernel info:
; codeLenInByte = 0
; NumSgprs: 6
; NumVgprs: 0
; NumAgprs: 0
; TotalNumVgprs: 0
; ScratchSize: 0
; MemoryBound: 0
; FloatMode: 240
; IeeeMode: 1
; LDSByteSize: 0 bytes/workgroup (compile time only)
; SGPRBlocks: 0
; VGPRBlocks: 0
; NumSGPRsForWavesPerEU: 6
; NumVGPRsForWavesPerEU: 1
; AccumOffset: 4
; Occupancy: 8
; WaveLimiterHint : 0
; COMPUTE_PGM_RSRC2:SCRATCH_EN: 0
; COMPUTE_PGM_RSRC2:USER_SGPR: 2
; COMPUTE_PGM_RSRC2:TRAP_HANDLER: 0
; COMPUTE_PGM_RSRC2:TGID_X_EN: 1
; COMPUTE_PGM_RSRC2:TGID_Y_EN: 0
; COMPUTE_PGM_RSRC2:TGID_Z_EN: 0
; COMPUTE_PGM_RSRC2:TIDIG_COMP_CNT: 0
; COMPUTE_PGM_RSRC3_GFX90A:ACCUM_OFFSET: 0
; COMPUTE_PGM_RSRC3_GFX90A:TG_SPLIT: 0
	.section	.text._ZN7rocprim17ROCPRIM_400000_NS6detail17trampoline_kernelINS0_14default_configENS1_27scan_by_key_config_selectorIssEEZZNS1_16scan_by_key_implILNS1_25lookback_scan_determinismE0ELb1ES3_N6thrust23THRUST_200600_302600_NS6detail15normal_iteratorINS9_10device_ptrIsEEEESE_SE_sNS9_10multipliesIsEENS9_8equal_toIsEEsEE10hipError_tPvRmT2_T3_T4_T5_mT6_T7_P12ihipStream_tbENKUlT_T0_E_clISt17integral_constantIbLb0EESY_IbLb1EEEEDaSU_SV_EUlSU_E_NS1_11comp_targetILNS1_3genE10ELNS1_11target_archE1200ELNS1_3gpuE4ELNS1_3repE0EEENS1_30default_config_static_selectorELNS0_4arch9wavefront6targetE1EEEvT1_,"axG",@progbits,_ZN7rocprim17ROCPRIM_400000_NS6detail17trampoline_kernelINS0_14default_configENS1_27scan_by_key_config_selectorIssEEZZNS1_16scan_by_key_implILNS1_25lookback_scan_determinismE0ELb1ES3_N6thrust23THRUST_200600_302600_NS6detail15normal_iteratorINS9_10device_ptrIsEEEESE_SE_sNS9_10multipliesIsEENS9_8equal_toIsEEsEE10hipError_tPvRmT2_T3_T4_T5_mT6_T7_P12ihipStream_tbENKUlT_T0_E_clISt17integral_constantIbLb0EESY_IbLb1EEEEDaSU_SV_EUlSU_E_NS1_11comp_targetILNS1_3genE10ELNS1_11target_archE1200ELNS1_3gpuE4ELNS1_3repE0EEENS1_30default_config_static_selectorELNS0_4arch9wavefront6targetE1EEEvT1_,comdat
	.protected	_ZN7rocprim17ROCPRIM_400000_NS6detail17trampoline_kernelINS0_14default_configENS1_27scan_by_key_config_selectorIssEEZZNS1_16scan_by_key_implILNS1_25lookback_scan_determinismE0ELb1ES3_N6thrust23THRUST_200600_302600_NS6detail15normal_iteratorINS9_10device_ptrIsEEEESE_SE_sNS9_10multipliesIsEENS9_8equal_toIsEEsEE10hipError_tPvRmT2_T3_T4_T5_mT6_T7_P12ihipStream_tbENKUlT_T0_E_clISt17integral_constantIbLb0EESY_IbLb1EEEEDaSU_SV_EUlSU_E_NS1_11comp_targetILNS1_3genE10ELNS1_11target_archE1200ELNS1_3gpuE4ELNS1_3repE0EEENS1_30default_config_static_selectorELNS0_4arch9wavefront6targetE1EEEvT1_ ; -- Begin function _ZN7rocprim17ROCPRIM_400000_NS6detail17trampoline_kernelINS0_14default_configENS1_27scan_by_key_config_selectorIssEEZZNS1_16scan_by_key_implILNS1_25lookback_scan_determinismE0ELb1ES3_N6thrust23THRUST_200600_302600_NS6detail15normal_iteratorINS9_10device_ptrIsEEEESE_SE_sNS9_10multipliesIsEENS9_8equal_toIsEEsEE10hipError_tPvRmT2_T3_T4_T5_mT6_T7_P12ihipStream_tbENKUlT_T0_E_clISt17integral_constantIbLb0EESY_IbLb1EEEEDaSU_SV_EUlSU_E_NS1_11comp_targetILNS1_3genE10ELNS1_11target_archE1200ELNS1_3gpuE4ELNS1_3repE0EEENS1_30default_config_static_selectorELNS0_4arch9wavefront6targetE1EEEvT1_
	.globl	_ZN7rocprim17ROCPRIM_400000_NS6detail17trampoline_kernelINS0_14default_configENS1_27scan_by_key_config_selectorIssEEZZNS1_16scan_by_key_implILNS1_25lookback_scan_determinismE0ELb1ES3_N6thrust23THRUST_200600_302600_NS6detail15normal_iteratorINS9_10device_ptrIsEEEESE_SE_sNS9_10multipliesIsEENS9_8equal_toIsEEsEE10hipError_tPvRmT2_T3_T4_T5_mT6_T7_P12ihipStream_tbENKUlT_T0_E_clISt17integral_constantIbLb0EESY_IbLb1EEEEDaSU_SV_EUlSU_E_NS1_11comp_targetILNS1_3genE10ELNS1_11target_archE1200ELNS1_3gpuE4ELNS1_3repE0EEENS1_30default_config_static_selectorELNS0_4arch9wavefront6targetE1EEEvT1_
	.p2align	8
	.type	_ZN7rocprim17ROCPRIM_400000_NS6detail17trampoline_kernelINS0_14default_configENS1_27scan_by_key_config_selectorIssEEZZNS1_16scan_by_key_implILNS1_25lookback_scan_determinismE0ELb1ES3_N6thrust23THRUST_200600_302600_NS6detail15normal_iteratorINS9_10device_ptrIsEEEESE_SE_sNS9_10multipliesIsEENS9_8equal_toIsEEsEE10hipError_tPvRmT2_T3_T4_T5_mT6_T7_P12ihipStream_tbENKUlT_T0_E_clISt17integral_constantIbLb0EESY_IbLb1EEEEDaSU_SV_EUlSU_E_NS1_11comp_targetILNS1_3genE10ELNS1_11target_archE1200ELNS1_3gpuE4ELNS1_3repE0EEENS1_30default_config_static_selectorELNS0_4arch9wavefront6targetE1EEEvT1_,@function
_ZN7rocprim17ROCPRIM_400000_NS6detail17trampoline_kernelINS0_14default_configENS1_27scan_by_key_config_selectorIssEEZZNS1_16scan_by_key_implILNS1_25lookback_scan_determinismE0ELb1ES3_N6thrust23THRUST_200600_302600_NS6detail15normal_iteratorINS9_10device_ptrIsEEEESE_SE_sNS9_10multipliesIsEENS9_8equal_toIsEEsEE10hipError_tPvRmT2_T3_T4_T5_mT6_T7_P12ihipStream_tbENKUlT_T0_E_clISt17integral_constantIbLb0EESY_IbLb1EEEEDaSU_SV_EUlSU_E_NS1_11comp_targetILNS1_3genE10ELNS1_11target_archE1200ELNS1_3gpuE4ELNS1_3repE0EEENS1_30default_config_static_selectorELNS0_4arch9wavefront6targetE1EEEvT1_: ; @_ZN7rocprim17ROCPRIM_400000_NS6detail17trampoline_kernelINS0_14default_configENS1_27scan_by_key_config_selectorIssEEZZNS1_16scan_by_key_implILNS1_25lookback_scan_determinismE0ELb1ES3_N6thrust23THRUST_200600_302600_NS6detail15normal_iteratorINS9_10device_ptrIsEEEESE_SE_sNS9_10multipliesIsEENS9_8equal_toIsEEsEE10hipError_tPvRmT2_T3_T4_T5_mT6_T7_P12ihipStream_tbENKUlT_T0_E_clISt17integral_constantIbLb0EESY_IbLb1EEEEDaSU_SV_EUlSU_E_NS1_11comp_targetILNS1_3genE10ELNS1_11target_archE1200ELNS1_3gpuE4ELNS1_3repE0EEENS1_30default_config_static_selectorELNS0_4arch9wavefront6targetE1EEEvT1_
; %bb.0:
	.section	.rodata,"a",@progbits
	.p2align	6, 0x0
	.amdhsa_kernel _ZN7rocprim17ROCPRIM_400000_NS6detail17trampoline_kernelINS0_14default_configENS1_27scan_by_key_config_selectorIssEEZZNS1_16scan_by_key_implILNS1_25lookback_scan_determinismE0ELb1ES3_N6thrust23THRUST_200600_302600_NS6detail15normal_iteratorINS9_10device_ptrIsEEEESE_SE_sNS9_10multipliesIsEENS9_8equal_toIsEEsEE10hipError_tPvRmT2_T3_T4_T5_mT6_T7_P12ihipStream_tbENKUlT_T0_E_clISt17integral_constantIbLb0EESY_IbLb1EEEEDaSU_SV_EUlSU_E_NS1_11comp_targetILNS1_3genE10ELNS1_11target_archE1200ELNS1_3gpuE4ELNS1_3repE0EEENS1_30default_config_static_selectorELNS0_4arch9wavefront6targetE1EEEvT1_
		.amdhsa_group_segment_fixed_size 0
		.amdhsa_private_segment_fixed_size 0
		.amdhsa_kernarg_size 112
		.amdhsa_user_sgpr_count 2
		.amdhsa_user_sgpr_dispatch_ptr 0
		.amdhsa_user_sgpr_queue_ptr 0
		.amdhsa_user_sgpr_kernarg_segment_ptr 1
		.amdhsa_user_sgpr_dispatch_id 0
		.amdhsa_user_sgpr_kernarg_preload_length 0
		.amdhsa_user_sgpr_kernarg_preload_offset 0
		.amdhsa_user_sgpr_private_segment_size 0
		.amdhsa_uses_dynamic_stack 0
		.amdhsa_enable_private_segment 0
		.amdhsa_system_sgpr_workgroup_id_x 1
		.amdhsa_system_sgpr_workgroup_id_y 0
		.amdhsa_system_sgpr_workgroup_id_z 0
		.amdhsa_system_sgpr_workgroup_info 0
		.amdhsa_system_vgpr_workitem_id 0
		.amdhsa_next_free_vgpr 1
		.amdhsa_next_free_sgpr 0
		.amdhsa_accum_offset 4
		.amdhsa_reserve_vcc 0
		.amdhsa_float_round_mode_32 0
		.amdhsa_float_round_mode_16_64 0
		.amdhsa_float_denorm_mode_32 3
		.amdhsa_float_denorm_mode_16_64 3
		.amdhsa_dx10_clamp 1
		.amdhsa_ieee_mode 1
		.amdhsa_fp16_overflow 0
		.amdhsa_tg_split 0
		.amdhsa_exception_fp_ieee_invalid_op 0
		.amdhsa_exception_fp_denorm_src 0
		.amdhsa_exception_fp_ieee_div_zero 0
		.amdhsa_exception_fp_ieee_overflow 0
		.amdhsa_exception_fp_ieee_underflow 0
		.amdhsa_exception_fp_ieee_inexact 0
		.amdhsa_exception_int_div_zero 0
	.end_amdhsa_kernel
	.section	.text._ZN7rocprim17ROCPRIM_400000_NS6detail17trampoline_kernelINS0_14default_configENS1_27scan_by_key_config_selectorIssEEZZNS1_16scan_by_key_implILNS1_25lookback_scan_determinismE0ELb1ES3_N6thrust23THRUST_200600_302600_NS6detail15normal_iteratorINS9_10device_ptrIsEEEESE_SE_sNS9_10multipliesIsEENS9_8equal_toIsEEsEE10hipError_tPvRmT2_T3_T4_T5_mT6_T7_P12ihipStream_tbENKUlT_T0_E_clISt17integral_constantIbLb0EESY_IbLb1EEEEDaSU_SV_EUlSU_E_NS1_11comp_targetILNS1_3genE10ELNS1_11target_archE1200ELNS1_3gpuE4ELNS1_3repE0EEENS1_30default_config_static_selectorELNS0_4arch9wavefront6targetE1EEEvT1_,"axG",@progbits,_ZN7rocprim17ROCPRIM_400000_NS6detail17trampoline_kernelINS0_14default_configENS1_27scan_by_key_config_selectorIssEEZZNS1_16scan_by_key_implILNS1_25lookback_scan_determinismE0ELb1ES3_N6thrust23THRUST_200600_302600_NS6detail15normal_iteratorINS9_10device_ptrIsEEEESE_SE_sNS9_10multipliesIsEENS9_8equal_toIsEEsEE10hipError_tPvRmT2_T3_T4_T5_mT6_T7_P12ihipStream_tbENKUlT_T0_E_clISt17integral_constantIbLb0EESY_IbLb1EEEEDaSU_SV_EUlSU_E_NS1_11comp_targetILNS1_3genE10ELNS1_11target_archE1200ELNS1_3gpuE4ELNS1_3repE0EEENS1_30default_config_static_selectorELNS0_4arch9wavefront6targetE1EEEvT1_,comdat
.Lfunc_end638:
	.size	_ZN7rocprim17ROCPRIM_400000_NS6detail17trampoline_kernelINS0_14default_configENS1_27scan_by_key_config_selectorIssEEZZNS1_16scan_by_key_implILNS1_25lookback_scan_determinismE0ELb1ES3_N6thrust23THRUST_200600_302600_NS6detail15normal_iteratorINS9_10device_ptrIsEEEESE_SE_sNS9_10multipliesIsEENS9_8equal_toIsEEsEE10hipError_tPvRmT2_T3_T4_T5_mT6_T7_P12ihipStream_tbENKUlT_T0_E_clISt17integral_constantIbLb0EESY_IbLb1EEEEDaSU_SV_EUlSU_E_NS1_11comp_targetILNS1_3genE10ELNS1_11target_archE1200ELNS1_3gpuE4ELNS1_3repE0EEENS1_30default_config_static_selectorELNS0_4arch9wavefront6targetE1EEEvT1_, .Lfunc_end638-_ZN7rocprim17ROCPRIM_400000_NS6detail17trampoline_kernelINS0_14default_configENS1_27scan_by_key_config_selectorIssEEZZNS1_16scan_by_key_implILNS1_25lookback_scan_determinismE0ELb1ES3_N6thrust23THRUST_200600_302600_NS6detail15normal_iteratorINS9_10device_ptrIsEEEESE_SE_sNS9_10multipliesIsEENS9_8equal_toIsEEsEE10hipError_tPvRmT2_T3_T4_T5_mT6_T7_P12ihipStream_tbENKUlT_T0_E_clISt17integral_constantIbLb0EESY_IbLb1EEEEDaSU_SV_EUlSU_E_NS1_11comp_targetILNS1_3genE10ELNS1_11target_archE1200ELNS1_3gpuE4ELNS1_3repE0EEENS1_30default_config_static_selectorELNS0_4arch9wavefront6targetE1EEEvT1_
                                        ; -- End function
	.section	.AMDGPU.csdata,"",@progbits
; Kernel info:
; codeLenInByte = 0
; NumSgprs: 6
; NumVgprs: 0
; NumAgprs: 0
; TotalNumVgprs: 0
; ScratchSize: 0
; MemoryBound: 0
; FloatMode: 240
; IeeeMode: 1
; LDSByteSize: 0 bytes/workgroup (compile time only)
; SGPRBlocks: 0
; VGPRBlocks: 0
; NumSGPRsForWavesPerEU: 6
; NumVGPRsForWavesPerEU: 1
; AccumOffset: 4
; Occupancy: 8
; WaveLimiterHint : 0
; COMPUTE_PGM_RSRC2:SCRATCH_EN: 0
; COMPUTE_PGM_RSRC2:USER_SGPR: 2
; COMPUTE_PGM_RSRC2:TRAP_HANDLER: 0
; COMPUTE_PGM_RSRC2:TGID_X_EN: 1
; COMPUTE_PGM_RSRC2:TGID_Y_EN: 0
; COMPUTE_PGM_RSRC2:TGID_Z_EN: 0
; COMPUTE_PGM_RSRC2:TIDIG_COMP_CNT: 0
; COMPUTE_PGM_RSRC3_GFX90A:ACCUM_OFFSET: 0
; COMPUTE_PGM_RSRC3_GFX90A:TG_SPLIT: 0
	.section	.text._ZN7rocprim17ROCPRIM_400000_NS6detail17trampoline_kernelINS0_14default_configENS1_27scan_by_key_config_selectorIssEEZZNS1_16scan_by_key_implILNS1_25lookback_scan_determinismE0ELb1ES3_N6thrust23THRUST_200600_302600_NS6detail15normal_iteratorINS9_10device_ptrIsEEEESE_SE_sNS9_10multipliesIsEENS9_8equal_toIsEEsEE10hipError_tPvRmT2_T3_T4_T5_mT6_T7_P12ihipStream_tbENKUlT_T0_E_clISt17integral_constantIbLb0EESY_IbLb1EEEEDaSU_SV_EUlSU_E_NS1_11comp_targetILNS1_3genE9ELNS1_11target_archE1100ELNS1_3gpuE3ELNS1_3repE0EEENS1_30default_config_static_selectorELNS0_4arch9wavefront6targetE1EEEvT1_,"axG",@progbits,_ZN7rocprim17ROCPRIM_400000_NS6detail17trampoline_kernelINS0_14default_configENS1_27scan_by_key_config_selectorIssEEZZNS1_16scan_by_key_implILNS1_25lookback_scan_determinismE0ELb1ES3_N6thrust23THRUST_200600_302600_NS6detail15normal_iteratorINS9_10device_ptrIsEEEESE_SE_sNS9_10multipliesIsEENS9_8equal_toIsEEsEE10hipError_tPvRmT2_T3_T4_T5_mT6_T7_P12ihipStream_tbENKUlT_T0_E_clISt17integral_constantIbLb0EESY_IbLb1EEEEDaSU_SV_EUlSU_E_NS1_11comp_targetILNS1_3genE9ELNS1_11target_archE1100ELNS1_3gpuE3ELNS1_3repE0EEENS1_30default_config_static_selectorELNS0_4arch9wavefront6targetE1EEEvT1_,comdat
	.protected	_ZN7rocprim17ROCPRIM_400000_NS6detail17trampoline_kernelINS0_14default_configENS1_27scan_by_key_config_selectorIssEEZZNS1_16scan_by_key_implILNS1_25lookback_scan_determinismE0ELb1ES3_N6thrust23THRUST_200600_302600_NS6detail15normal_iteratorINS9_10device_ptrIsEEEESE_SE_sNS9_10multipliesIsEENS9_8equal_toIsEEsEE10hipError_tPvRmT2_T3_T4_T5_mT6_T7_P12ihipStream_tbENKUlT_T0_E_clISt17integral_constantIbLb0EESY_IbLb1EEEEDaSU_SV_EUlSU_E_NS1_11comp_targetILNS1_3genE9ELNS1_11target_archE1100ELNS1_3gpuE3ELNS1_3repE0EEENS1_30default_config_static_selectorELNS0_4arch9wavefront6targetE1EEEvT1_ ; -- Begin function _ZN7rocprim17ROCPRIM_400000_NS6detail17trampoline_kernelINS0_14default_configENS1_27scan_by_key_config_selectorIssEEZZNS1_16scan_by_key_implILNS1_25lookback_scan_determinismE0ELb1ES3_N6thrust23THRUST_200600_302600_NS6detail15normal_iteratorINS9_10device_ptrIsEEEESE_SE_sNS9_10multipliesIsEENS9_8equal_toIsEEsEE10hipError_tPvRmT2_T3_T4_T5_mT6_T7_P12ihipStream_tbENKUlT_T0_E_clISt17integral_constantIbLb0EESY_IbLb1EEEEDaSU_SV_EUlSU_E_NS1_11comp_targetILNS1_3genE9ELNS1_11target_archE1100ELNS1_3gpuE3ELNS1_3repE0EEENS1_30default_config_static_selectorELNS0_4arch9wavefront6targetE1EEEvT1_
	.globl	_ZN7rocprim17ROCPRIM_400000_NS6detail17trampoline_kernelINS0_14default_configENS1_27scan_by_key_config_selectorIssEEZZNS1_16scan_by_key_implILNS1_25lookback_scan_determinismE0ELb1ES3_N6thrust23THRUST_200600_302600_NS6detail15normal_iteratorINS9_10device_ptrIsEEEESE_SE_sNS9_10multipliesIsEENS9_8equal_toIsEEsEE10hipError_tPvRmT2_T3_T4_T5_mT6_T7_P12ihipStream_tbENKUlT_T0_E_clISt17integral_constantIbLb0EESY_IbLb1EEEEDaSU_SV_EUlSU_E_NS1_11comp_targetILNS1_3genE9ELNS1_11target_archE1100ELNS1_3gpuE3ELNS1_3repE0EEENS1_30default_config_static_selectorELNS0_4arch9wavefront6targetE1EEEvT1_
	.p2align	8
	.type	_ZN7rocprim17ROCPRIM_400000_NS6detail17trampoline_kernelINS0_14default_configENS1_27scan_by_key_config_selectorIssEEZZNS1_16scan_by_key_implILNS1_25lookback_scan_determinismE0ELb1ES3_N6thrust23THRUST_200600_302600_NS6detail15normal_iteratorINS9_10device_ptrIsEEEESE_SE_sNS9_10multipliesIsEENS9_8equal_toIsEEsEE10hipError_tPvRmT2_T3_T4_T5_mT6_T7_P12ihipStream_tbENKUlT_T0_E_clISt17integral_constantIbLb0EESY_IbLb1EEEEDaSU_SV_EUlSU_E_NS1_11comp_targetILNS1_3genE9ELNS1_11target_archE1100ELNS1_3gpuE3ELNS1_3repE0EEENS1_30default_config_static_selectorELNS0_4arch9wavefront6targetE1EEEvT1_,@function
_ZN7rocprim17ROCPRIM_400000_NS6detail17trampoline_kernelINS0_14default_configENS1_27scan_by_key_config_selectorIssEEZZNS1_16scan_by_key_implILNS1_25lookback_scan_determinismE0ELb1ES3_N6thrust23THRUST_200600_302600_NS6detail15normal_iteratorINS9_10device_ptrIsEEEESE_SE_sNS9_10multipliesIsEENS9_8equal_toIsEEsEE10hipError_tPvRmT2_T3_T4_T5_mT6_T7_P12ihipStream_tbENKUlT_T0_E_clISt17integral_constantIbLb0EESY_IbLb1EEEEDaSU_SV_EUlSU_E_NS1_11comp_targetILNS1_3genE9ELNS1_11target_archE1100ELNS1_3gpuE3ELNS1_3repE0EEENS1_30default_config_static_selectorELNS0_4arch9wavefront6targetE1EEEvT1_: ; @_ZN7rocprim17ROCPRIM_400000_NS6detail17trampoline_kernelINS0_14default_configENS1_27scan_by_key_config_selectorIssEEZZNS1_16scan_by_key_implILNS1_25lookback_scan_determinismE0ELb1ES3_N6thrust23THRUST_200600_302600_NS6detail15normal_iteratorINS9_10device_ptrIsEEEESE_SE_sNS9_10multipliesIsEENS9_8equal_toIsEEsEE10hipError_tPvRmT2_T3_T4_T5_mT6_T7_P12ihipStream_tbENKUlT_T0_E_clISt17integral_constantIbLb0EESY_IbLb1EEEEDaSU_SV_EUlSU_E_NS1_11comp_targetILNS1_3genE9ELNS1_11target_archE1100ELNS1_3gpuE3ELNS1_3repE0EEENS1_30default_config_static_selectorELNS0_4arch9wavefront6targetE1EEEvT1_
; %bb.0:
	.section	.rodata,"a",@progbits
	.p2align	6, 0x0
	.amdhsa_kernel _ZN7rocprim17ROCPRIM_400000_NS6detail17trampoline_kernelINS0_14default_configENS1_27scan_by_key_config_selectorIssEEZZNS1_16scan_by_key_implILNS1_25lookback_scan_determinismE0ELb1ES3_N6thrust23THRUST_200600_302600_NS6detail15normal_iteratorINS9_10device_ptrIsEEEESE_SE_sNS9_10multipliesIsEENS9_8equal_toIsEEsEE10hipError_tPvRmT2_T3_T4_T5_mT6_T7_P12ihipStream_tbENKUlT_T0_E_clISt17integral_constantIbLb0EESY_IbLb1EEEEDaSU_SV_EUlSU_E_NS1_11comp_targetILNS1_3genE9ELNS1_11target_archE1100ELNS1_3gpuE3ELNS1_3repE0EEENS1_30default_config_static_selectorELNS0_4arch9wavefront6targetE1EEEvT1_
		.amdhsa_group_segment_fixed_size 0
		.amdhsa_private_segment_fixed_size 0
		.amdhsa_kernarg_size 112
		.amdhsa_user_sgpr_count 2
		.amdhsa_user_sgpr_dispatch_ptr 0
		.amdhsa_user_sgpr_queue_ptr 0
		.amdhsa_user_sgpr_kernarg_segment_ptr 1
		.amdhsa_user_sgpr_dispatch_id 0
		.amdhsa_user_sgpr_kernarg_preload_length 0
		.amdhsa_user_sgpr_kernarg_preload_offset 0
		.amdhsa_user_sgpr_private_segment_size 0
		.amdhsa_uses_dynamic_stack 0
		.amdhsa_enable_private_segment 0
		.amdhsa_system_sgpr_workgroup_id_x 1
		.amdhsa_system_sgpr_workgroup_id_y 0
		.amdhsa_system_sgpr_workgroup_id_z 0
		.amdhsa_system_sgpr_workgroup_info 0
		.amdhsa_system_vgpr_workitem_id 0
		.amdhsa_next_free_vgpr 1
		.amdhsa_next_free_sgpr 0
		.amdhsa_accum_offset 4
		.amdhsa_reserve_vcc 0
		.amdhsa_float_round_mode_32 0
		.amdhsa_float_round_mode_16_64 0
		.amdhsa_float_denorm_mode_32 3
		.amdhsa_float_denorm_mode_16_64 3
		.amdhsa_dx10_clamp 1
		.amdhsa_ieee_mode 1
		.amdhsa_fp16_overflow 0
		.amdhsa_tg_split 0
		.amdhsa_exception_fp_ieee_invalid_op 0
		.amdhsa_exception_fp_denorm_src 0
		.amdhsa_exception_fp_ieee_div_zero 0
		.amdhsa_exception_fp_ieee_overflow 0
		.amdhsa_exception_fp_ieee_underflow 0
		.amdhsa_exception_fp_ieee_inexact 0
		.amdhsa_exception_int_div_zero 0
	.end_amdhsa_kernel
	.section	.text._ZN7rocprim17ROCPRIM_400000_NS6detail17trampoline_kernelINS0_14default_configENS1_27scan_by_key_config_selectorIssEEZZNS1_16scan_by_key_implILNS1_25lookback_scan_determinismE0ELb1ES3_N6thrust23THRUST_200600_302600_NS6detail15normal_iteratorINS9_10device_ptrIsEEEESE_SE_sNS9_10multipliesIsEENS9_8equal_toIsEEsEE10hipError_tPvRmT2_T3_T4_T5_mT6_T7_P12ihipStream_tbENKUlT_T0_E_clISt17integral_constantIbLb0EESY_IbLb1EEEEDaSU_SV_EUlSU_E_NS1_11comp_targetILNS1_3genE9ELNS1_11target_archE1100ELNS1_3gpuE3ELNS1_3repE0EEENS1_30default_config_static_selectorELNS0_4arch9wavefront6targetE1EEEvT1_,"axG",@progbits,_ZN7rocprim17ROCPRIM_400000_NS6detail17trampoline_kernelINS0_14default_configENS1_27scan_by_key_config_selectorIssEEZZNS1_16scan_by_key_implILNS1_25lookback_scan_determinismE0ELb1ES3_N6thrust23THRUST_200600_302600_NS6detail15normal_iteratorINS9_10device_ptrIsEEEESE_SE_sNS9_10multipliesIsEENS9_8equal_toIsEEsEE10hipError_tPvRmT2_T3_T4_T5_mT6_T7_P12ihipStream_tbENKUlT_T0_E_clISt17integral_constantIbLb0EESY_IbLb1EEEEDaSU_SV_EUlSU_E_NS1_11comp_targetILNS1_3genE9ELNS1_11target_archE1100ELNS1_3gpuE3ELNS1_3repE0EEENS1_30default_config_static_selectorELNS0_4arch9wavefront6targetE1EEEvT1_,comdat
.Lfunc_end639:
	.size	_ZN7rocprim17ROCPRIM_400000_NS6detail17trampoline_kernelINS0_14default_configENS1_27scan_by_key_config_selectorIssEEZZNS1_16scan_by_key_implILNS1_25lookback_scan_determinismE0ELb1ES3_N6thrust23THRUST_200600_302600_NS6detail15normal_iteratorINS9_10device_ptrIsEEEESE_SE_sNS9_10multipliesIsEENS9_8equal_toIsEEsEE10hipError_tPvRmT2_T3_T4_T5_mT6_T7_P12ihipStream_tbENKUlT_T0_E_clISt17integral_constantIbLb0EESY_IbLb1EEEEDaSU_SV_EUlSU_E_NS1_11comp_targetILNS1_3genE9ELNS1_11target_archE1100ELNS1_3gpuE3ELNS1_3repE0EEENS1_30default_config_static_selectorELNS0_4arch9wavefront6targetE1EEEvT1_, .Lfunc_end639-_ZN7rocprim17ROCPRIM_400000_NS6detail17trampoline_kernelINS0_14default_configENS1_27scan_by_key_config_selectorIssEEZZNS1_16scan_by_key_implILNS1_25lookback_scan_determinismE0ELb1ES3_N6thrust23THRUST_200600_302600_NS6detail15normal_iteratorINS9_10device_ptrIsEEEESE_SE_sNS9_10multipliesIsEENS9_8equal_toIsEEsEE10hipError_tPvRmT2_T3_T4_T5_mT6_T7_P12ihipStream_tbENKUlT_T0_E_clISt17integral_constantIbLb0EESY_IbLb1EEEEDaSU_SV_EUlSU_E_NS1_11comp_targetILNS1_3genE9ELNS1_11target_archE1100ELNS1_3gpuE3ELNS1_3repE0EEENS1_30default_config_static_selectorELNS0_4arch9wavefront6targetE1EEEvT1_
                                        ; -- End function
	.section	.AMDGPU.csdata,"",@progbits
; Kernel info:
; codeLenInByte = 0
; NumSgprs: 6
; NumVgprs: 0
; NumAgprs: 0
; TotalNumVgprs: 0
; ScratchSize: 0
; MemoryBound: 0
; FloatMode: 240
; IeeeMode: 1
; LDSByteSize: 0 bytes/workgroup (compile time only)
; SGPRBlocks: 0
; VGPRBlocks: 0
; NumSGPRsForWavesPerEU: 6
; NumVGPRsForWavesPerEU: 1
; AccumOffset: 4
; Occupancy: 8
; WaveLimiterHint : 0
; COMPUTE_PGM_RSRC2:SCRATCH_EN: 0
; COMPUTE_PGM_RSRC2:USER_SGPR: 2
; COMPUTE_PGM_RSRC2:TRAP_HANDLER: 0
; COMPUTE_PGM_RSRC2:TGID_X_EN: 1
; COMPUTE_PGM_RSRC2:TGID_Y_EN: 0
; COMPUTE_PGM_RSRC2:TGID_Z_EN: 0
; COMPUTE_PGM_RSRC2:TIDIG_COMP_CNT: 0
; COMPUTE_PGM_RSRC3_GFX90A:ACCUM_OFFSET: 0
; COMPUTE_PGM_RSRC3_GFX90A:TG_SPLIT: 0
	.section	.text._ZN7rocprim17ROCPRIM_400000_NS6detail17trampoline_kernelINS0_14default_configENS1_27scan_by_key_config_selectorIssEEZZNS1_16scan_by_key_implILNS1_25lookback_scan_determinismE0ELb1ES3_N6thrust23THRUST_200600_302600_NS6detail15normal_iteratorINS9_10device_ptrIsEEEESE_SE_sNS9_10multipliesIsEENS9_8equal_toIsEEsEE10hipError_tPvRmT2_T3_T4_T5_mT6_T7_P12ihipStream_tbENKUlT_T0_E_clISt17integral_constantIbLb0EESY_IbLb1EEEEDaSU_SV_EUlSU_E_NS1_11comp_targetILNS1_3genE8ELNS1_11target_archE1030ELNS1_3gpuE2ELNS1_3repE0EEENS1_30default_config_static_selectorELNS0_4arch9wavefront6targetE1EEEvT1_,"axG",@progbits,_ZN7rocprim17ROCPRIM_400000_NS6detail17trampoline_kernelINS0_14default_configENS1_27scan_by_key_config_selectorIssEEZZNS1_16scan_by_key_implILNS1_25lookback_scan_determinismE0ELb1ES3_N6thrust23THRUST_200600_302600_NS6detail15normal_iteratorINS9_10device_ptrIsEEEESE_SE_sNS9_10multipliesIsEENS9_8equal_toIsEEsEE10hipError_tPvRmT2_T3_T4_T5_mT6_T7_P12ihipStream_tbENKUlT_T0_E_clISt17integral_constantIbLb0EESY_IbLb1EEEEDaSU_SV_EUlSU_E_NS1_11comp_targetILNS1_3genE8ELNS1_11target_archE1030ELNS1_3gpuE2ELNS1_3repE0EEENS1_30default_config_static_selectorELNS0_4arch9wavefront6targetE1EEEvT1_,comdat
	.protected	_ZN7rocprim17ROCPRIM_400000_NS6detail17trampoline_kernelINS0_14default_configENS1_27scan_by_key_config_selectorIssEEZZNS1_16scan_by_key_implILNS1_25lookback_scan_determinismE0ELb1ES3_N6thrust23THRUST_200600_302600_NS6detail15normal_iteratorINS9_10device_ptrIsEEEESE_SE_sNS9_10multipliesIsEENS9_8equal_toIsEEsEE10hipError_tPvRmT2_T3_T4_T5_mT6_T7_P12ihipStream_tbENKUlT_T0_E_clISt17integral_constantIbLb0EESY_IbLb1EEEEDaSU_SV_EUlSU_E_NS1_11comp_targetILNS1_3genE8ELNS1_11target_archE1030ELNS1_3gpuE2ELNS1_3repE0EEENS1_30default_config_static_selectorELNS0_4arch9wavefront6targetE1EEEvT1_ ; -- Begin function _ZN7rocprim17ROCPRIM_400000_NS6detail17trampoline_kernelINS0_14default_configENS1_27scan_by_key_config_selectorIssEEZZNS1_16scan_by_key_implILNS1_25lookback_scan_determinismE0ELb1ES3_N6thrust23THRUST_200600_302600_NS6detail15normal_iteratorINS9_10device_ptrIsEEEESE_SE_sNS9_10multipliesIsEENS9_8equal_toIsEEsEE10hipError_tPvRmT2_T3_T4_T5_mT6_T7_P12ihipStream_tbENKUlT_T0_E_clISt17integral_constantIbLb0EESY_IbLb1EEEEDaSU_SV_EUlSU_E_NS1_11comp_targetILNS1_3genE8ELNS1_11target_archE1030ELNS1_3gpuE2ELNS1_3repE0EEENS1_30default_config_static_selectorELNS0_4arch9wavefront6targetE1EEEvT1_
	.globl	_ZN7rocprim17ROCPRIM_400000_NS6detail17trampoline_kernelINS0_14default_configENS1_27scan_by_key_config_selectorIssEEZZNS1_16scan_by_key_implILNS1_25lookback_scan_determinismE0ELb1ES3_N6thrust23THRUST_200600_302600_NS6detail15normal_iteratorINS9_10device_ptrIsEEEESE_SE_sNS9_10multipliesIsEENS9_8equal_toIsEEsEE10hipError_tPvRmT2_T3_T4_T5_mT6_T7_P12ihipStream_tbENKUlT_T0_E_clISt17integral_constantIbLb0EESY_IbLb1EEEEDaSU_SV_EUlSU_E_NS1_11comp_targetILNS1_3genE8ELNS1_11target_archE1030ELNS1_3gpuE2ELNS1_3repE0EEENS1_30default_config_static_selectorELNS0_4arch9wavefront6targetE1EEEvT1_
	.p2align	8
	.type	_ZN7rocprim17ROCPRIM_400000_NS6detail17trampoline_kernelINS0_14default_configENS1_27scan_by_key_config_selectorIssEEZZNS1_16scan_by_key_implILNS1_25lookback_scan_determinismE0ELb1ES3_N6thrust23THRUST_200600_302600_NS6detail15normal_iteratorINS9_10device_ptrIsEEEESE_SE_sNS9_10multipliesIsEENS9_8equal_toIsEEsEE10hipError_tPvRmT2_T3_T4_T5_mT6_T7_P12ihipStream_tbENKUlT_T0_E_clISt17integral_constantIbLb0EESY_IbLb1EEEEDaSU_SV_EUlSU_E_NS1_11comp_targetILNS1_3genE8ELNS1_11target_archE1030ELNS1_3gpuE2ELNS1_3repE0EEENS1_30default_config_static_selectorELNS0_4arch9wavefront6targetE1EEEvT1_,@function
_ZN7rocprim17ROCPRIM_400000_NS6detail17trampoline_kernelINS0_14default_configENS1_27scan_by_key_config_selectorIssEEZZNS1_16scan_by_key_implILNS1_25lookback_scan_determinismE0ELb1ES3_N6thrust23THRUST_200600_302600_NS6detail15normal_iteratorINS9_10device_ptrIsEEEESE_SE_sNS9_10multipliesIsEENS9_8equal_toIsEEsEE10hipError_tPvRmT2_T3_T4_T5_mT6_T7_P12ihipStream_tbENKUlT_T0_E_clISt17integral_constantIbLb0EESY_IbLb1EEEEDaSU_SV_EUlSU_E_NS1_11comp_targetILNS1_3genE8ELNS1_11target_archE1030ELNS1_3gpuE2ELNS1_3repE0EEENS1_30default_config_static_selectorELNS0_4arch9wavefront6targetE1EEEvT1_: ; @_ZN7rocprim17ROCPRIM_400000_NS6detail17trampoline_kernelINS0_14default_configENS1_27scan_by_key_config_selectorIssEEZZNS1_16scan_by_key_implILNS1_25lookback_scan_determinismE0ELb1ES3_N6thrust23THRUST_200600_302600_NS6detail15normal_iteratorINS9_10device_ptrIsEEEESE_SE_sNS9_10multipliesIsEENS9_8equal_toIsEEsEE10hipError_tPvRmT2_T3_T4_T5_mT6_T7_P12ihipStream_tbENKUlT_T0_E_clISt17integral_constantIbLb0EESY_IbLb1EEEEDaSU_SV_EUlSU_E_NS1_11comp_targetILNS1_3genE8ELNS1_11target_archE1030ELNS1_3gpuE2ELNS1_3repE0EEENS1_30default_config_static_selectorELNS0_4arch9wavefront6targetE1EEEvT1_
; %bb.0:
	.section	.rodata,"a",@progbits
	.p2align	6, 0x0
	.amdhsa_kernel _ZN7rocprim17ROCPRIM_400000_NS6detail17trampoline_kernelINS0_14default_configENS1_27scan_by_key_config_selectorIssEEZZNS1_16scan_by_key_implILNS1_25lookback_scan_determinismE0ELb1ES3_N6thrust23THRUST_200600_302600_NS6detail15normal_iteratorINS9_10device_ptrIsEEEESE_SE_sNS9_10multipliesIsEENS9_8equal_toIsEEsEE10hipError_tPvRmT2_T3_T4_T5_mT6_T7_P12ihipStream_tbENKUlT_T0_E_clISt17integral_constantIbLb0EESY_IbLb1EEEEDaSU_SV_EUlSU_E_NS1_11comp_targetILNS1_3genE8ELNS1_11target_archE1030ELNS1_3gpuE2ELNS1_3repE0EEENS1_30default_config_static_selectorELNS0_4arch9wavefront6targetE1EEEvT1_
		.amdhsa_group_segment_fixed_size 0
		.amdhsa_private_segment_fixed_size 0
		.amdhsa_kernarg_size 112
		.amdhsa_user_sgpr_count 2
		.amdhsa_user_sgpr_dispatch_ptr 0
		.amdhsa_user_sgpr_queue_ptr 0
		.amdhsa_user_sgpr_kernarg_segment_ptr 1
		.amdhsa_user_sgpr_dispatch_id 0
		.amdhsa_user_sgpr_kernarg_preload_length 0
		.amdhsa_user_sgpr_kernarg_preload_offset 0
		.amdhsa_user_sgpr_private_segment_size 0
		.amdhsa_uses_dynamic_stack 0
		.amdhsa_enable_private_segment 0
		.amdhsa_system_sgpr_workgroup_id_x 1
		.amdhsa_system_sgpr_workgroup_id_y 0
		.amdhsa_system_sgpr_workgroup_id_z 0
		.amdhsa_system_sgpr_workgroup_info 0
		.amdhsa_system_vgpr_workitem_id 0
		.amdhsa_next_free_vgpr 1
		.amdhsa_next_free_sgpr 0
		.amdhsa_accum_offset 4
		.amdhsa_reserve_vcc 0
		.amdhsa_float_round_mode_32 0
		.amdhsa_float_round_mode_16_64 0
		.amdhsa_float_denorm_mode_32 3
		.amdhsa_float_denorm_mode_16_64 3
		.amdhsa_dx10_clamp 1
		.amdhsa_ieee_mode 1
		.amdhsa_fp16_overflow 0
		.amdhsa_tg_split 0
		.amdhsa_exception_fp_ieee_invalid_op 0
		.amdhsa_exception_fp_denorm_src 0
		.amdhsa_exception_fp_ieee_div_zero 0
		.amdhsa_exception_fp_ieee_overflow 0
		.amdhsa_exception_fp_ieee_underflow 0
		.amdhsa_exception_fp_ieee_inexact 0
		.amdhsa_exception_int_div_zero 0
	.end_amdhsa_kernel
	.section	.text._ZN7rocprim17ROCPRIM_400000_NS6detail17trampoline_kernelINS0_14default_configENS1_27scan_by_key_config_selectorIssEEZZNS1_16scan_by_key_implILNS1_25lookback_scan_determinismE0ELb1ES3_N6thrust23THRUST_200600_302600_NS6detail15normal_iteratorINS9_10device_ptrIsEEEESE_SE_sNS9_10multipliesIsEENS9_8equal_toIsEEsEE10hipError_tPvRmT2_T3_T4_T5_mT6_T7_P12ihipStream_tbENKUlT_T0_E_clISt17integral_constantIbLb0EESY_IbLb1EEEEDaSU_SV_EUlSU_E_NS1_11comp_targetILNS1_3genE8ELNS1_11target_archE1030ELNS1_3gpuE2ELNS1_3repE0EEENS1_30default_config_static_selectorELNS0_4arch9wavefront6targetE1EEEvT1_,"axG",@progbits,_ZN7rocprim17ROCPRIM_400000_NS6detail17trampoline_kernelINS0_14default_configENS1_27scan_by_key_config_selectorIssEEZZNS1_16scan_by_key_implILNS1_25lookback_scan_determinismE0ELb1ES3_N6thrust23THRUST_200600_302600_NS6detail15normal_iteratorINS9_10device_ptrIsEEEESE_SE_sNS9_10multipliesIsEENS9_8equal_toIsEEsEE10hipError_tPvRmT2_T3_T4_T5_mT6_T7_P12ihipStream_tbENKUlT_T0_E_clISt17integral_constantIbLb0EESY_IbLb1EEEEDaSU_SV_EUlSU_E_NS1_11comp_targetILNS1_3genE8ELNS1_11target_archE1030ELNS1_3gpuE2ELNS1_3repE0EEENS1_30default_config_static_selectorELNS0_4arch9wavefront6targetE1EEEvT1_,comdat
.Lfunc_end640:
	.size	_ZN7rocprim17ROCPRIM_400000_NS6detail17trampoline_kernelINS0_14default_configENS1_27scan_by_key_config_selectorIssEEZZNS1_16scan_by_key_implILNS1_25lookback_scan_determinismE0ELb1ES3_N6thrust23THRUST_200600_302600_NS6detail15normal_iteratorINS9_10device_ptrIsEEEESE_SE_sNS9_10multipliesIsEENS9_8equal_toIsEEsEE10hipError_tPvRmT2_T3_T4_T5_mT6_T7_P12ihipStream_tbENKUlT_T0_E_clISt17integral_constantIbLb0EESY_IbLb1EEEEDaSU_SV_EUlSU_E_NS1_11comp_targetILNS1_3genE8ELNS1_11target_archE1030ELNS1_3gpuE2ELNS1_3repE0EEENS1_30default_config_static_selectorELNS0_4arch9wavefront6targetE1EEEvT1_, .Lfunc_end640-_ZN7rocprim17ROCPRIM_400000_NS6detail17trampoline_kernelINS0_14default_configENS1_27scan_by_key_config_selectorIssEEZZNS1_16scan_by_key_implILNS1_25lookback_scan_determinismE0ELb1ES3_N6thrust23THRUST_200600_302600_NS6detail15normal_iteratorINS9_10device_ptrIsEEEESE_SE_sNS9_10multipliesIsEENS9_8equal_toIsEEsEE10hipError_tPvRmT2_T3_T4_T5_mT6_T7_P12ihipStream_tbENKUlT_T0_E_clISt17integral_constantIbLb0EESY_IbLb1EEEEDaSU_SV_EUlSU_E_NS1_11comp_targetILNS1_3genE8ELNS1_11target_archE1030ELNS1_3gpuE2ELNS1_3repE0EEENS1_30default_config_static_selectorELNS0_4arch9wavefront6targetE1EEEvT1_
                                        ; -- End function
	.section	.AMDGPU.csdata,"",@progbits
; Kernel info:
; codeLenInByte = 0
; NumSgprs: 6
; NumVgprs: 0
; NumAgprs: 0
; TotalNumVgprs: 0
; ScratchSize: 0
; MemoryBound: 0
; FloatMode: 240
; IeeeMode: 1
; LDSByteSize: 0 bytes/workgroup (compile time only)
; SGPRBlocks: 0
; VGPRBlocks: 0
; NumSGPRsForWavesPerEU: 6
; NumVGPRsForWavesPerEU: 1
; AccumOffset: 4
; Occupancy: 8
; WaveLimiterHint : 0
; COMPUTE_PGM_RSRC2:SCRATCH_EN: 0
; COMPUTE_PGM_RSRC2:USER_SGPR: 2
; COMPUTE_PGM_RSRC2:TRAP_HANDLER: 0
; COMPUTE_PGM_RSRC2:TGID_X_EN: 1
; COMPUTE_PGM_RSRC2:TGID_Y_EN: 0
; COMPUTE_PGM_RSRC2:TGID_Z_EN: 0
; COMPUTE_PGM_RSRC2:TIDIG_COMP_CNT: 0
; COMPUTE_PGM_RSRC3_GFX90A:ACCUM_OFFSET: 0
; COMPUTE_PGM_RSRC3_GFX90A:TG_SPLIT: 0
	.section	.text._ZN7rocprim17ROCPRIM_400000_NS6detail17trampoline_kernelINS0_14default_configENS1_27scan_by_key_config_selectorIssEEZZNS1_16scan_by_key_implILNS1_25lookback_scan_determinismE0ELb1ES3_N6thrust23THRUST_200600_302600_NS6detail15normal_iteratorINS9_10device_ptrIsEEEESE_SE_sNS9_4plusIvEENS9_8equal_toIsEEsEE10hipError_tPvRmT2_T3_T4_T5_mT6_T7_P12ihipStream_tbENKUlT_T0_E_clISt17integral_constantIbLb0EESZ_EEDaSU_SV_EUlSU_E_NS1_11comp_targetILNS1_3genE0ELNS1_11target_archE4294967295ELNS1_3gpuE0ELNS1_3repE0EEENS1_30default_config_static_selectorELNS0_4arch9wavefront6targetE1EEEvT1_,"axG",@progbits,_ZN7rocprim17ROCPRIM_400000_NS6detail17trampoline_kernelINS0_14default_configENS1_27scan_by_key_config_selectorIssEEZZNS1_16scan_by_key_implILNS1_25lookback_scan_determinismE0ELb1ES3_N6thrust23THRUST_200600_302600_NS6detail15normal_iteratorINS9_10device_ptrIsEEEESE_SE_sNS9_4plusIvEENS9_8equal_toIsEEsEE10hipError_tPvRmT2_T3_T4_T5_mT6_T7_P12ihipStream_tbENKUlT_T0_E_clISt17integral_constantIbLb0EESZ_EEDaSU_SV_EUlSU_E_NS1_11comp_targetILNS1_3genE0ELNS1_11target_archE4294967295ELNS1_3gpuE0ELNS1_3repE0EEENS1_30default_config_static_selectorELNS0_4arch9wavefront6targetE1EEEvT1_,comdat
	.protected	_ZN7rocprim17ROCPRIM_400000_NS6detail17trampoline_kernelINS0_14default_configENS1_27scan_by_key_config_selectorIssEEZZNS1_16scan_by_key_implILNS1_25lookback_scan_determinismE0ELb1ES3_N6thrust23THRUST_200600_302600_NS6detail15normal_iteratorINS9_10device_ptrIsEEEESE_SE_sNS9_4plusIvEENS9_8equal_toIsEEsEE10hipError_tPvRmT2_T3_T4_T5_mT6_T7_P12ihipStream_tbENKUlT_T0_E_clISt17integral_constantIbLb0EESZ_EEDaSU_SV_EUlSU_E_NS1_11comp_targetILNS1_3genE0ELNS1_11target_archE4294967295ELNS1_3gpuE0ELNS1_3repE0EEENS1_30default_config_static_selectorELNS0_4arch9wavefront6targetE1EEEvT1_ ; -- Begin function _ZN7rocprim17ROCPRIM_400000_NS6detail17trampoline_kernelINS0_14default_configENS1_27scan_by_key_config_selectorIssEEZZNS1_16scan_by_key_implILNS1_25lookback_scan_determinismE0ELb1ES3_N6thrust23THRUST_200600_302600_NS6detail15normal_iteratorINS9_10device_ptrIsEEEESE_SE_sNS9_4plusIvEENS9_8equal_toIsEEsEE10hipError_tPvRmT2_T3_T4_T5_mT6_T7_P12ihipStream_tbENKUlT_T0_E_clISt17integral_constantIbLb0EESZ_EEDaSU_SV_EUlSU_E_NS1_11comp_targetILNS1_3genE0ELNS1_11target_archE4294967295ELNS1_3gpuE0ELNS1_3repE0EEENS1_30default_config_static_selectorELNS0_4arch9wavefront6targetE1EEEvT1_
	.globl	_ZN7rocprim17ROCPRIM_400000_NS6detail17trampoline_kernelINS0_14default_configENS1_27scan_by_key_config_selectorIssEEZZNS1_16scan_by_key_implILNS1_25lookback_scan_determinismE0ELb1ES3_N6thrust23THRUST_200600_302600_NS6detail15normal_iteratorINS9_10device_ptrIsEEEESE_SE_sNS9_4plusIvEENS9_8equal_toIsEEsEE10hipError_tPvRmT2_T3_T4_T5_mT6_T7_P12ihipStream_tbENKUlT_T0_E_clISt17integral_constantIbLb0EESZ_EEDaSU_SV_EUlSU_E_NS1_11comp_targetILNS1_3genE0ELNS1_11target_archE4294967295ELNS1_3gpuE0ELNS1_3repE0EEENS1_30default_config_static_selectorELNS0_4arch9wavefront6targetE1EEEvT1_
	.p2align	8
	.type	_ZN7rocprim17ROCPRIM_400000_NS6detail17trampoline_kernelINS0_14default_configENS1_27scan_by_key_config_selectorIssEEZZNS1_16scan_by_key_implILNS1_25lookback_scan_determinismE0ELb1ES3_N6thrust23THRUST_200600_302600_NS6detail15normal_iteratorINS9_10device_ptrIsEEEESE_SE_sNS9_4plusIvEENS9_8equal_toIsEEsEE10hipError_tPvRmT2_T3_T4_T5_mT6_T7_P12ihipStream_tbENKUlT_T0_E_clISt17integral_constantIbLb0EESZ_EEDaSU_SV_EUlSU_E_NS1_11comp_targetILNS1_3genE0ELNS1_11target_archE4294967295ELNS1_3gpuE0ELNS1_3repE0EEENS1_30default_config_static_selectorELNS0_4arch9wavefront6targetE1EEEvT1_,@function
_ZN7rocprim17ROCPRIM_400000_NS6detail17trampoline_kernelINS0_14default_configENS1_27scan_by_key_config_selectorIssEEZZNS1_16scan_by_key_implILNS1_25lookback_scan_determinismE0ELb1ES3_N6thrust23THRUST_200600_302600_NS6detail15normal_iteratorINS9_10device_ptrIsEEEESE_SE_sNS9_4plusIvEENS9_8equal_toIsEEsEE10hipError_tPvRmT2_T3_T4_T5_mT6_T7_P12ihipStream_tbENKUlT_T0_E_clISt17integral_constantIbLb0EESZ_EEDaSU_SV_EUlSU_E_NS1_11comp_targetILNS1_3genE0ELNS1_11target_archE4294967295ELNS1_3gpuE0ELNS1_3repE0EEENS1_30default_config_static_selectorELNS0_4arch9wavefront6targetE1EEEvT1_: ; @_ZN7rocprim17ROCPRIM_400000_NS6detail17trampoline_kernelINS0_14default_configENS1_27scan_by_key_config_selectorIssEEZZNS1_16scan_by_key_implILNS1_25lookback_scan_determinismE0ELb1ES3_N6thrust23THRUST_200600_302600_NS6detail15normal_iteratorINS9_10device_ptrIsEEEESE_SE_sNS9_4plusIvEENS9_8equal_toIsEEsEE10hipError_tPvRmT2_T3_T4_T5_mT6_T7_P12ihipStream_tbENKUlT_T0_E_clISt17integral_constantIbLb0EESZ_EEDaSU_SV_EUlSU_E_NS1_11comp_targetILNS1_3genE0ELNS1_11target_archE4294967295ELNS1_3gpuE0ELNS1_3repE0EEENS1_30default_config_static_selectorELNS0_4arch9wavefront6targetE1EEEvT1_
; %bb.0:
	.section	.rodata,"a",@progbits
	.p2align	6, 0x0
	.amdhsa_kernel _ZN7rocprim17ROCPRIM_400000_NS6detail17trampoline_kernelINS0_14default_configENS1_27scan_by_key_config_selectorIssEEZZNS1_16scan_by_key_implILNS1_25lookback_scan_determinismE0ELb1ES3_N6thrust23THRUST_200600_302600_NS6detail15normal_iteratorINS9_10device_ptrIsEEEESE_SE_sNS9_4plusIvEENS9_8equal_toIsEEsEE10hipError_tPvRmT2_T3_T4_T5_mT6_T7_P12ihipStream_tbENKUlT_T0_E_clISt17integral_constantIbLb0EESZ_EEDaSU_SV_EUlSU_E_NS1_11comp_targetILNS1_3genE0ELNS1_11target_archE4294967295ELNS1_3gpuE0ELNS1_3repE0EEENS1_30default_config_static_selectorELNS0_4arch9wavefront6targetE1EEEvT1_
		.amdhsa_group_segment_fixed_size 0
		.amdhsa_private_segment_fixed_size 0
		.amdhsa_kernarg_size 112
		.amdhsa_user_sgpr_count 2
		.amdhsa_user_sgpr_dispatch_ptr 0
		.amdhsa_user_sgpr_queue_ptr 0
		.amdhsa_user_sgpr_kernarg_segment_ptr 1
		.amdhsa_user_sgpr_dispatch_id 0
		.amdhsa_user_sgpr_kernarg_preload_length 0
		.amdhsa_user_sgpr_kernarg_preload_offset 0
		.amdhsa_user_sgpr_private_segment_size 0
		.amdhsa_uses_dynamic_stack 0
		.amdhsa_enable_private_segment 0
		.amdhsa_system_sgpr_workgroup_id_x 1
		.amdhsa_system_sgpr_workgroup_id_y 0
		.amdhsa_system_sgpr_workgroup_id_z 0
		.amdhsa_system_sgpr_workgroup_info 0
		.amdhsa_system_vgpr_workitem_id 0
		.amdhsa_next_free_vgpr 1
		.amdhsa_next_free_sgpr 0
		.amdhsa_accum_offset 4
		.amdhsa_reserve_vcc 0
		.amdhsa_float_round_mode_32 0
		.amdhsa_float_round_mode_16_64 0
		.amdhsa_float_denorm_mode_32 3
		.amdhsa_float_denorm_mode_16_64 3
		.amdhsa_dx10_clamp 1
		.amdhsa_ieee_mode 1
		.amdhsa_fp16_overflow 0
		.amdhsa_tg_split 0
		.amdhsa_exception_fp_ieee_invalid_op 0
		.amdhsa_exception_fp_denorm_src 0
		.amdhsa_exception_fp_ieee_div_zero 0
		.amdhsa_exception_fp_ieee_overflow 0
		.amdhsa_exception_fp_ieee_underflow 0
		.amdhsa_exception_fp_ieee_inexact 0
		.amdhsa_exception_int_div_zero 0
	.end_amdhsa_kernel
	.section	.text._ZN7rocprim17ROCPRIM_400000_NS6detail17trampoline_kernelINS0_14default_configENS1_27scan_by_key_config_selectorIssEEZZNS1_16scan_by_key_implILNS1_25lookback_scan_determinismE0ELb1ES3_N6thrust23THRUST_200600_302600_NS6detail15normal_iteratorINS9_10device_ptrIsEEEESE_SE_sNS9_4plusIvEENS9_8equal_toIsEEsEE10hipError_tPvRmT2_T3_T4_T5_mT6_T7_P12ihipStream_tbENKUlT_T0_E_clISt17integral_constantIbLb0EESZ_EEDaSU_SV_EUlSU_E_NS1_11comp_targetILNS1_3genE0ELNS1_11target_archE4294967295ELNS1_3gpuE0ELNS1_3repE0EEENS1_30default_config_static_selectorELNS0_4arch9wavefront6targetE1EEEvT1_,"axG",@progbits,_ZN7rocprim17ROCPRIM_400000_NS6detail17trampoline_kernelINS0_14default_configENS1_27scan_by_key_config_selectorIssEEZZNS1_16scan_by_key_implILNS1_25lookback_scan_determinismE0ELb1ES3_N6thrust23THRUST_200600_302600_NS6detail15normal_iteratorINS9_10device_ptrIsEEEESE_SE_sNS9_4plusIvEENS9_8equal_toIsEEsEE10hipError_tPvRmT2_T3_T4_T5_mT6_T7_P12ihipStream_tbENKUlT_T0_E_clISt17integral_constantIbLb0EESZ_EEDaSU_SV_EUlSU_E_NS1_11comp_targetILNS1_3genE0ELNS1_11target_archE4294967295ELNS1_3gpuE0ELNS1_3repE0EEENS1_30default_config_static_selectorELNS0_4arch9wavefront6targetE1EEEvT1_,comdat
.Lfunc_end641:
	.size	_ZN7rocprim17ROCPRIM_400000_NS6detail17trampoline_kernelINS0_14default_configENS1_27scan_by_key_config_selectorIssEEZZNS1_16scan_by_key_implILNS1_25lookback_scan_determinismE0ELb1ES3_N6thrust23THRUST_200600_302600_NS6detail15normal_iteratorINS9_10device_ptrIsEEEESE_SE_sNS9_4plusIvEENS9_8equal_toIsEEsEE10hipError_tPvRmT2_T3_T4_T5_mT6_T7_P12ihipStream_tbENKUlT_T0_E_clISt17integral_constantIbLb0EESZ_EEDaSU_SV_EUlSU_E_NS1_11comp_targetILNS1_3genE0ELNS1_11target_archE4294967295ELNS1_3gpuE0ELNS1_3repE0EEENS1_30default_config_static_selectorELNS0_4arch9wavefront6targetE1EEEvT1_, .Lfunc_end641-_ZN7rocprim17ROCPRIM_400000_NS6detail17trampoline_kernelINS0_14default_configENS1_27scan_by_key_config_selectorIssEEZZNS1_16scan_by_key_implILNS1_25lookback_scan_determinismE0ELb1ES3_N6thrust23THRUST_200600_302600_NS6detail15normal_iteratorINS9_10device_ptrIsEEEESE_SE_sNS9_4plusIvEENS9_8equal_toIsEEsEE10hipError_tPvRmT2_T3_T4_T5_mT6_T7_P12ihipStream_tbENKUlT_T0_E_clISt17integral_constantIbLb0EESZ_EEDaSU_SV_EUlSU_E_NS1_11comp_targetILNS1_3genE0ELNS1_11target_archE4294967295ELNS1_3gpuE0ELNS1_3repE0EEENS1_30default_config_static_selectorELNS0_4arch9wavefront6targetE1EEEvT1_
                                        ; -- End function
	.section	.AMDGPU.csdata,"",@progbits
; Kernel info:
; codeLenInByte = 0
; NumSgprs: 6
; NumVgprs: 0
; NumAgprs: 0
; TotalNumVgprs: 0
; ScratchSize: 0
; MemoryBound: 0
; FloatMode: 240
; IeeeMode: 1
; LDSByteSize: 0 bytes/workgroup (compile time only)
; SGPRBlocks: 0
; VGPRBlocks: 0
; NumSGPRsForWavesPerEU: 6
; NumVGPRsForWavesPerEU: 1
; AccumOffset: 4
; Occupancy: 8
; WaveLimiterHint : 0
; COMPUTE_PGM_RSRC2:SCRATCH_EN: 0
; COMPUTE_PGM_RSRC2:USER_SGPR: 2
; COMPUTE_PGM_RSRC2:TRAP_HANDLER: 0
; COMPUTE_PGM_RSRC2:TGID_X_EN: 1
; COMPUTE_PGM_RSRC2:TGID_Y_EN: 0
; COMPUTE_PGM_RSRC2:TGID_Z_EN: 0
; COMPUTE_PGM_RSRC2:TIDIG_COMP_CNT: 0
; COMPUTE_PGM_RSRC3_GFX90A:ACCUM_OFFSET: 0
; COMPUTE_PGM_RSRC3_GFX90A:TG_SPLIT: 0
	.section	.text._ZN7rocprim17ROCPRIM_400000_NS6detail17trampoline_kernelINS0_14default_configENS1_27scan_by_key_config_selectorIssEEZZNS1_16scan_by_key_implILNS1_25lookback_scan_determinismE0ELb1ES3_N6thrust23THRUST_200600_302600_NS6detail15normal_iteratorINS9_10device_ptrIsEEEESE_SE_sNS9_4plusIvEENS9_8equal_toIsEEsEE10hipError_tPvRmT2_T3_T4_T5_mT6_T7_P12ihipStream_tbENKUlT_T0_E_clISt17integral_constantIbLb0EESZ_EEDaSU_SV_EUlSU_E_NS1_11comp_targetILNS1_3genE10ELNS1_11target_archE1201ELNS1_3gpuE5ELNS1_3repE0EEENS1_30default_config_static_selectorELNS0_4arch9wavefront6targetE1EEEvT1_,"axG",@progbits,_ZN7rocprim17ROCPRIM_400000_NS6detail17trampoline_kernelINS0_14default_configENS1_27scan_by_key_config_selectorIssEEZZNS1_16scan_by_key_implILNS1_25lookback_scan_determinismE0ELb1ES3_N6thrust23THRUST_200600_302600_NS6detail15normal_iteratorINS9_10device_ptrIsEEEESE_SE_sNS9_4plusIvEENS9_8equal_toIsEEsEE10hipError_tPvRmT2_T3_T4_T5_mT6_T7_P12ihipStream_tbENKUlT_T0_E_clISt17integral_constantIbLb0EESZ_EEDaSU_SV_EUlSU_E_NS1_11comp_targetILNS1_3genE10ELNS1_11target_archE1201ELNS1_3gpuE5ELNS1_3repE0EEENS1_30default_config_static_selectorELNS0_4arch9wavefront6targetE1EEEvT1_,comdat
	.protected	_ZN7rocprim17ROCPRIM_400000_NS6detail17trampoline_kernelINS0_14default_configENS1_27scan_by_key_config_selectorIssEEZZNS1_16scan_by_key_implILNS1_25lookback_scan_determinismE0ELb1ES3_N6thrust23THRUST_200600_302600_NS6detail15normal_iteratorINS9_10device_ptrIsEEEESE_SE_sNS9_4plusIvEENS9_8equal_toIsEEsEE10hipError_tPvRmT2_T3_T4_T5_mT6_T7_P12ihipStream_tbENKUlT_T0_E_clISt17integral_constantIbLb0EESZ_EEDaSU_SV_EUlSU_E_NS1_11comp_targetILNS1_3genE10ELNS1_11target_archE1201ELNS1_3gpuE5ELNS1_3repE0EEENS1_30default_config_static_selectorELNS0_4arch9wavefront6targetE1EEEvT1_ ; -- Begin function _ZN7rocprim17ROCPRIM_400000_NS6detail17trampoline_kernelINS0_14default_configENS1_27scan_by_key_config_selectorIssEEZZNS1_16scan_by_key_implILNS1_25lookback_scan_determinismE0ELb1ES3_N6thrust23THRUST_200600_302600_NS6detail15normal_iteratorINS9_10device_ptrIsEEEESE_SE_sNS9_4plusIvEENS9_8equal_toIsEEsEE10hipError_tPvRmT2_T3_T4_T5_mT6_T7_P12ihipStream_tbENKUlT_T0_E_clISt17integral_constantIbLb0EESZ_EEDaSU_SV_EUlSU_E_NS1_11comp_targetILNS1_3genE10ELNS1_11target_archE1201ELNS1_3gpuE5ELNS1_3repE0EEENS1_30default_config_static_selectorELNS0_4arch9wavefront6targetE1EEEvT1_
	.globl	_ZN7rocprim17ROCPRIM_400000_NS6detail17trampoline_kernelINS0_14default_configENS1_27scan_by_key_config_selectorIssEEZZNS1_16scan_by_key_implILNS1_25lookback_scan_determinismE0ELb1ES3_N6thrust23THRUST_200600_302600_NS6detail15normal_iteratorINS9_10device_ptrIsEEEESE_SE_sNS9_4plusIvEENS9_8equal_toIsEEsEE10hipError_tPvRmT2_T3_T4_T5_mT6_T7_P12ihipStream_tbENKUlT_T0_E_clISt17integral_constantIbLb0EESZ_EEDaSU_SV_EUlSU_E_NS1_11comp_targetILNS1_3genE10ELNS1_11target_archE1201ELNS1_3gpuE5ELNS1_3repE0EEENS1_30default_config_static_selectorELNS0_4arch9wavefront6targetE1EEEvT1_
	.p2align	8
	.type	_ZN7rocprim17ROCPRIM_400000_NS6detail17trampoline_kernelINS0_14default_configENS1_27scan_by_key_config_selectorIssEEZZNS1_16scan_by_key_implILNS1_25lookback_scan_determinismE0ELb1ES3_N6thrust23THRUST_200600_302600_NS6detail15normal_iteratorINS9_10device_ptrIsEEEESE_SE_sNS9_4plusIvEENS9_8equal_toIsEEsEE10hipError_tPvRmT2_T3_T4_T5_mT6_T7_P12ihipStream_tbENKUlT_T0_E_clISt17integral_constantIbLb0EESZ_EEDaSU_SV_EUlSU_E_NS1_11comp_targetILNS1_3genE10ELNS1_11target_archE1201ELNS1_3gpuE5ELNS1_3repE0EEENS1_30default_config_static_selectorELNS0_4arch9wavefront6targetE1EEEvT1_,@function
_ZN7rocprim17ROCPRIM_400000_NS6detail17trampoline_kernelINS0_14default_configENS1_27scan_by_key_config_selectorIssEEZZNS1_16scan_by_key_implILNS1_25lookback_scan_determinismE0ELb1ES3_N6thrust23THRUST_200600_302600_NS6detail15normal_iteratorINS9_10device_ptrIsEEEESE_SE_sNS9_4plusIvEENS9_8equal_toIsEEsEE10hipError_tPvRmT2_T3_T4_T5_mT6_T7_P12ihipStream_tbENKUlT_T0_E_clISt17integral_constantIbLb0EESZ_EEDaSU_SV_EUlSU_E_NS1_11comp_targetILNS1_3genE10ELNS1_11target_archE1201ELNS1_3gpuE5ELNS1_3repE0EEENS1_30default_config_static_selectorELNS0_4arch9wavefront6targetE1EEEvT1_: ; @_ZN7rocprim17ROCPRIM_400000_NS6detail17trampoline_kernelINS0_14default_configENS1_27scan_by_key_config_selectorIssEEZZNS1_16scan_by_key_implILNS1_25lookback_scan_determinismE0ELb1ES3_N6thrust23THRUST_200600_302600_NS6detail15normal_iteratorINS9_10device_ptrIsEEEESE_SE_sNS9_4plusIvEENS9_8equal_toIsEEsEE10hipError_tPvRmT2_T3_T4_T5_mT6_T7_P12ihipStream_tbENKUlT_T0_E_clISt17integral_constantIbLb0EESZ_EEDaSU_SV_EUlSU_E_NS1_11comp_targetILNS1_3genE10ELNS1_11target_archE1201ELNS1_3gpuE5ELNS1_3repE0EEENS1_30default_config_static_selectorELNS0_4arch9wavefront6targetE1EEEvT1_
; %bb.0:
	.section	.rodata,"a",@progbits
	.p2align	6, 0x0
	.amdhsa_kernel _ZN7rocprim17ROCPRIM_400000_NS6detail17trampoline_kernelINS0_14default_configENS1_27scan_by_key_config_selectorIssEEZZNS1_16scan_by_key_implILNS1_25lookback_scan_determinismE0ELb1ES3_N6thrust23THRUST_200600_302600_NS6detail15normal_iteratorINS9_10device_ptrIsEEEESE_SE_sNS9_4plusIvEENS9_8equal_toIsEEsEE10hipError_tPvRmT2_T3_T4_T5_mT6_T7_P12ihipStream_tbENKUlT_T0_E_clISt17integral_constantIbLb0EESZ_EEDaSU_SV_EUlSU_E_NS1_11comp_targetILNS1_3genE10ELNS1_11target_archE1201ELNS1_3gpuE5ELNS1_3repE0EEENS1_30default_config_static_selectorELNS0_4arch9wavefront6targetE1EEEvT1_
		.amdhsa_group_segment_fixed_size 0
		.amdhsa_private_segment_fixed_size 0
		.amdhsa_kernarg_size 112
		.amdhsa_user_sgpr_count 2
		.amdhsa_user_sgpr_dispatch_ptr 0
		.amdhsa_user_sgpr_queue_ptr 0
		.amdhsa_user_sgpr_kernarg_segment_ptr 1
		.amdhsa_user_sgpr_dispatch_id 0
		.amdhsa_user_sgpr_kernarg_preload_length 0
		.amdhsa_user_sgpr_kernarg_preload_offset 0
		.amdhsa_user_sgpr_private_segment_size 0
		.amdhsa_uses_dynamic_stack 0
		.amdhsa_enable_private_segment 0
		.amdhsa_system_sgpr_workgroup_id_x 1
		.amdhsa_system_sgpr_workgroup_id_y 0
		.amdhsa_system_sgpr_workgroup_id_z 0
		.amdhsa_system_sgpr_workgroup_info 0
		.amdhsa_system_vgpr_workitem_id 0
		.amdhsa_next_free_vgpr 1
		.amdhsa_next_free_sgpr 0
		.amdhsa_accum_offset 4
		.amdhsa_reserve_vcc 0
		.amdhsa_float_round_mode_32 0
		.amdhsa_float_round_mode_16_64 0
		.amdhsa_float_denorm_mode_32 3
		.amdhsa_float_denorm_mode_16_64 3
		.amdhsa_dx10_clamp 1
		.amdhsa_ieee_mode 1
		.amdhsa_fp16_overflow 0
		.amdhsa_tg_split 0
		.amdhsa_exception_fp_ieee_invalid_op 0
		.amdhsa_exception_fp_denorm_src 0
		.amdhsa_exception_fp_ieee_div_zero 0
		.amdhsa_exception_fp_ieee_overflow 0
		.amdhsa_exception_fp_ieee_underflow 0
		.amdhsa_exception_fp_ieee_inexact 0
		.amdhsa_exception_int_div_zero 0
	.end_amdhsa_kernel
	.section	.text._ZN7rocprim17ROCPRIM_400000_NS6detail17trampoline_kernelINS0_14default_configENS1_27scan_by_key_config_selectorIssEEZZNS1_16scan_by_key_implILNS1_25lookback_scan_determinismE0ELb1ES3_N6thrust23THRUST_200600_302600_NS6detail15normal_iteratorINS9_10device_ptrIsEEEESE_SE_sNS9_4plusIvEENS9_8equal_toIsEEsEE10hipError_tPvRmT2_T3_T4_T5_mT6_T7_P12ihipStream_tbENKUlT_T0_E_clISt17integral_constantIbLb0EESZ_EEDaSU_SV_EUlSU_E_NS1_11comp_targetILNS1_3genE10ELNS1_11target_archE1201ELNS1_3gpuE5ELNS1_3repE0EEENS1_30default_config_static_selectorELNS0_4arch9wavefront6targetE1EEEvT1_,"axG",@progbits,_ZN7rocprim17ROCPRIM_400000_NS6detail17trampoline_kernelINS0_14default_configENS1_27scan_by_key_config_selectorIssEEZZNS1_16scan_by_key_implILNS1_25lookback_scan_determinismE0ELb1ES3_N6thrust23THRUST_200600_302600_NS6detail15normal_iteratorINS9_10device_ptrIsEEEESE_SE_sNS9_4plusIvEENS9_8equal_toIsEEsEE10hipError_tPvRmT2_T3_T4_T5_mT6_T7_P12ihipStream_tbENKUlT_T0_E_clISt17integral_constantIbLb0EESZ_EEDaSU_SV_EUlSU_E_NS1_11comp_targetILNS1_3genE10ELNS1_11target_archE1201ELNS1_3gpuE5ELNS1_3repE0EEENS1_30default_config_static_selectorELNS0_4arch9wavefront6targetE1EEEvT1_,comdat
.Lfunc_end642:
	.size	_ZN7rocprim17ROCPRIM_400000_NS6detail17trampoline_kernelINS0_14default_configENS1_27scan_by_key_config_selectorIssEEZZNS1_16scan_by_key_implILNS1_25lookback_scan_determinismE0ELb1ES3_N6thrust23THRUST_200600_302600_NS6detail15normal_iteratorINS9_10device_ptrIsEEEESE_SE_sNS9_4plusIvEENS9_8equal_toIsEEsEE10hipError_tPvRmT2_T3_T4_T5_mT6_T7_P12ihipStream_tbENKUlT_T0_E_clISt17integral_constantIbLb0EESZ_EEDaSU_SV_EUlSU_E_NS1_11comp_targetILNS1_3genE10ELNS1_11target_archE1201ELNS1_3gpuE5ELNS1_3repE0EEENS1_30default_config_static_selectorELNS0_4arch9wavefront6targetE1EEEvT1_, .Lfunc_end642-_ZN7rocprim17ROCPRIM_400000_NS6detail17trampoline_kernelINS0_14default_configENS1_27scan_by_key_config_selectorIssEEZZNS1_16scan_by_key_implILNS1_25lookback_scan_determinismE0ELb1ES3_N6thrust23THRUST_200600_302600_NS6detail15normal_iteratorINS9_10device_ptrIsEEEESE_SE_sNS9_4plusIvEENS9_8equal_toIsEEsEE10hipError_tPvRmT2_T3_T4_T5_mT6_T7_P12ihipStream_tbENKUlT_T0_E_clISt17integral_constantIbLb0EESZ_EEDaSU_SV_EUlSU_E_NS1_11comp_targetILNS1_3genE10ELNS1_11target_archE1201ELNS1_3gpuE5ELNS1_3repE0EEENS1_30default_config_static_selectorELNS0_4arch9wavefront6targetE1EEEvT1_
                                        ; -- End function
	.section	.AMDGPU.csdata,"",@progbits
; Kernel info:
; codeLenInByte = 0
; NumSgprs: 6
; NumVgprs: 0
; NumAgprs: 0
; TotalNumVgprs: 0
; ScratchSize: 0
; MemoryBound: 0
; FloatMode: 240
; IeeeMode: 1
; LDSByteSize: 0 bytes/workgroup (compile time only)
; SGPRBlocks: 0
; VGPRBlocks: 0
; NumSGPRsForWavesPerEU: 6
; NumVGPRsForWavesPerEU: 1
; AccumOffset: 4
; Occupancy: 8
; WaveLimiterHint : 0
; COMPUTE_PGM_RSRC2:SCRATCH_EN: 0
; COMPUTE_PGM_RSRC2:USER_SGPR: 2
; COMPUTE_PGM_RSRC2:TRAP_HANDLER: 0
; COMPUTE_PGM_RSRC2:TGID_X_EN: 1
; COMPUTE_PGM_RSRC2:TGID_Y_EN: 0
; COMPUTE_PGM_RSRC2:TGID_Z_EN: 0
; COMPUTE_PGM_RSRC2:TIDIG_COMP_CNT: 0
; COMPUTE_PGM_RSRC3_GFX90A:ACCUM_OFFSET: 0
; COMPUTE_PGM_RSRC3_GFX90A:TG_SPLIT: 0
	.section	.text._ZN7rocprim17ROCPRIM_400000_NS6detail17trampoline_kernelINS0_14default_configENS1_27scan_by_key_config_selectorIssEEZZNS1_16scan_by_key_implILNS1_25lookback_scan_determinismE0ELb1ES3_N6thrust23THRUST_200600_302600_NS6detail15normal_iteratorINS9_10device_ptrIsEEEESE_SE_sNS9_4plusIvEENS9_8equal_toIsEEsEE10hipError_tPvRmT2_T3_T4_T5_mT6_T7_P12ihipStream_tbENKUlT_T0_E_clISt17integral_constantIbLb0EESZ_EEDaSU_SV_EUlSU_E_NS1_11comp_targetILNS1_3genE5ELNS1_11target_archE942ELNS1_3gpuE9ELNS1_3repE0EEENS1_30default_config_static_selectorELNS0_4arch9wavefront6targetE1EEEvT1_,"axG",@progbits,_ZN7rocprim17ROCPRIM_400000_NS6detail17trampoline_kernelINS0_14default_configENS1_27scan_by_key_config_selectorIssEEZZNS1_16scan_by_key_implILNS1_25lookback_scan_determinismE0ELb1ES3_N6thrust23THRUST_200600_302600_NS6detail15normal_iteratorINS9_10device_ptrIsEEEESE_SE_sNS9_4plusIvEENS9_8equal_toIsEEsEE10hipError_tPvRmT2_T3_T4_T5_mT6_T7_P12ihipStream_tbENKUlT_T0_E_clISt17integral_constantIbLb0EESZ_EEDaSU_SV_EUlSU_E_NS1_11comp_targetILNS1_3genE5ELNS1_11target_archE942ELNS1_3gpuE9ELNS1_3repE0EEENS1_30default_config_static_selectorELNS0_4arch9wavefront6targetE1EEEvT1_,comdat
	.protected	_ZN7rocprim17ROCPRIM_400000_NS6detail17trampoline_kernelINS0_14default_configENS1_27scan_by_key_config_selectorIssEEZZNS1_16scan_by_key_implILNS1_25lookback_scan_determinismE0ELb1ES3_N6thrust23THRUST_200600_302600_NS6detail15normal_iteratorINS9_10device_ptrIsEEEESE_SE_sNS9_4plusIvEENS9_8equal_toIsEEsEE10hipError_tPvRmT2_T3_T4_T5_mT6_T7_P12ihipStream_tbENKUlT_T0_E_clISt17integral_constantIbLb0EESZ_EEDaSU_SV_EUlSU_E_NS1_11comp_targetILNS1_3genE5ELNS1_11target_archE942ELNS1_3gpuE9ELNS1_3repE0EEENS1_30default_config_static_selectorELNS0_4arch9wavefront6targetE1EEEvT1_ ; -- Begin function _ZN7rocprim17ROCPRIM_400000_NS6detail17trampoline_kernelINS0_14default_configENS1_27scan_by_key_config_selectorIssEEZZNS1_16scan_by_key_implILNS1_25lookback_scan_determinismE0ELb1ES3_N6thrust23THRUST_200600_302600_NS6detail15normal_iteratorINS9_10device_ptrIsEEEESE_SE_sNS9_4plusIvEENS9_8equal_toIsEEsEE10hipError_tPvRmT2_T3_T4_T5_mT6_T7_P12ihipStream_tbENKUlT_T0_E_clISt17integral_constantIbLb0EESZ_EEDaSU_SV_EUlSU_E_NS1_11comp_targetILNS1_3genE5ELNS1_11target_archE942ELNS1_3gpuE9ELNS1_3repE0EEENS1_30default_config_static_selectorELNS0_4arch9wavefront6targetE1EEEvT1_
	.globl	_ZN7rocprim17ROCPRIM_400000_NS6detail17trampoline_kernelINS0_14default_configENS1_27scan_by_key_config_selectorIssEEZZNS1_16scan_by_key_implILNS1_25lookback_scan_determinismE0ELb1ES3_N6thrust23THRUST_200600_302600_NS6detail15normal_iteratorINS9_10device_ptrIsEEEESE_SE_sNS9_4plusIvEENS9_8equal_toIsEEsEE10hipError_tPvRmT2_T3_T4_T5_mT6_T7_P12ihipStream_tbENKUlT_T0_E_clISt17integral_constantIbLb0EESZ_EEDaSU_SV_EUlSU_E_NS1_11comp_targetILNS1_3genE5ELNS1_11target_archE942ELNS1_3gpuE9ELNS1_3repE0EEENS1_30default_config_static_selectorELNS0_4arch9wavefront6targetE1EEEvT1_
	.p2align	8
	.type	_ZN7rocprim17ROCPRIM_400000_NS6detail17trampoline_kernelINS0_14default_configENS1_27scan_by_key_config_selectorIssEEZZNS1_16scan_by_key_implILNS1_25lookback_scan_determinismE0ELb1ES3_N6thrust23THRUST_200600_302600_NS6detail15normal_iteratorINS9_10device_ptrIsEEEESE_SE_sNS9_4plusIvEENS9_8equal_toIsEEsEE10hipError_tPvRmT2_T3_T4_T5_mT6_T7_P12ihipStream_tbENKUlT_T0_E_clISt17integral_constantIbLb0EESZ_EEDaSU_SV_EUlSU_E_NS1_11comp_targetILNS1_3genE5ELNS1_11target_archE942ELNS1_3gpuE9ELNS1_3repE0EEENS1_30default_config_static_selectorELNS0_4arch9wavefront6targetE1EEEvT1_,@function
_ZN7rocprim17ROCPRIM_400000_NS6detail17trampoline_kernelINS0_14default_configENS1_27scan_by_key_config_selectorIssEEZZNS1_16scan_by_key_implILNS1_25lookback_scan_determinismE0ELb1ES3_N6thrust23THRUST_200600_302600_NS6detail15normal_iteratorINS9_10device_ptrIsEEEESE_SE_sNS9_4plusIvEENS9_8equal_toIsEEsEE10hipError_tPvRmT2_T3_T4_T5_mT6_T7_P12ihipStream_tbENKUlT_T0_E_clISt17integral_constantIbLb0EESZ_EEDaSU_SV_EUlSU_E_NS1_11comp_targetILNS1_3genE5ELNS1_11target_archE942ELNS1_3gpuE9ELNS1_3repE0EEENS1_30default_config_static_selectorELNS0_4arch9wavefront6targetE1EEEvT1_: ; @_ZN7rocprim17ROCPRIM_400000_NS6detail17trampoline_kernelINS0_14default_configENS1_27scan_by_key_config_selectorIssEEZZNS1_16scan_by_key_implILNS1_25lookback_scan_determinismE0ELb1ES3_N6thrust23THRUST_200600_302600_NS6detail15normal_iteratorINS9_10device_ptrIsEEEESE_SE_sNS9_4plusIvEENS9_8equal_toIsEEsEE10hipError_tPvRmT2_T3_T4_T5_mT6_T7_P12ihipStream_tbENKUlT_T0_E_clISt17integral_constantIbLb0EESZ_EEDaSU_SV_EUlSU_E_NS1_11comp_targetILNS1_3genE5ELNS1_11target_archE942ELNS1_3gpuE9ELNS1_3repE0EEENS1_30default_config_static_selectorELNS0_4arch9wavefront6targetE1EEEvT1_
; %bb.0:
	s_load_dwordx8 s[48:55], s[0:1], 0x0
	s_load_dword s78, s[0:1], 0x20
	s_load_dwordx4 s[56:59], s[0:1], 0x28
	s_load_dwordx2 s[68:69], s[0:1], 0x38
	s_load_dword s3, s[0:1], 0x40
	s_load_dwordx4 s[60:63], s[0:1], 0x48
	s_waitcnt lgkmcnt(0)
	s_lshl_b64 s[64:65], s[50:51], 1
	s_add_u32 s4, s48, s64
	s_addc_u32 s5, s49, s65
	s_add_u32 s6, s52, s64
	s_mul_i32 s0, s69, s3
	s_mul_hi_u32 s1, s68, s3
	s_addc_u32 s7, s53, s65
	s_add_i32 s8, s1, s0
	s_mul_i32 s0, s2, 0x1800
	s_mov_b32 s1, 0
	s_lshl_b64 s[66:67], s[0:1], 1
	s_add_u32 s72, s4, s66
	s_addc_u32 s73, s5, s67
	s_add_u32 s70, s6, s66
	s_mul_i32 s3, s68, s3
	s_addc_u32 s71, s7, s67
	s_add_u32 s0, s3, s2
	s_addc_u32 s1, s8, 0
	s_add_u32 s6, s60, -1
	s_addc_u32 s7, s61, -1
	v_mov_b64_e32 v[2:3], s[6:7]
	v_cmp_ge_u64_e64 s[0:1], s[0:1], v[2:3]
	s_mov_b64 s[4:5], -1
	s_and_b64 vcc, exec, s[0:1]
	s_mul_i32 s33, s6, 0xffffe800
	s_barrier
	s_cbranch_vccz .LBB643_126
; %bb.1:
	v_mov_b64_e32 v[2:3], s[72:73]
	flat_load_ushort v1, v[2:3]
	s_add_i32 s59, s33, s58
	v_cmp_gt_u32_e32 vcc, s59, v0
	s_waitcnt vmcnt(0) lgkmcnt(0)
	v_mov_b32_e32 v2, v1
	s_and_saveexec_b64 s[4:5], vcc
	s_cbranch_execz .LBB643_3
; %bb.2:
	v_lshlrev_b32_e32 v2, 1, v0
	v_mov_b32_e32 v3, 0
	v_lshl_add_u64 v[2:3], s[72:73], 0, v[2:3]
	flat_load_ushort v2, v[2:3]
.LBB643_3:
	s_or_b64 exec, exec, s[4:5]
	v_or_b32_e32 v3, 0x100, v0
	v_cmp_gt_u32_e64 s[50:51], s59, v3
	v_mov_b32_e32 v3, v1
	s_and_saveexec_b64 s[4:5], s[50:51]
	s_cbranch_execz .LBB643_5
; %bb.4:
	v_lshlrev_b32_e32 v4, 1, v0
	v_mov_b32_e32 v5, 0
	v_lshl_add_u64 v[4:5], s[72:73], 0, v[4:5]
	flat_load_ushort v3, v[4:5] offset:512
.LBB643_5:
	s_or_b64 exec, exec, s[4:5]
	v_or_b32_e32 v4, 0x200, v0
	v_cmp_gt_u32_e64 s[4:5], s59, v4
	v_mov_b32_e32 v4, v1
	s_and_saveexec_b64 s[6:7], s[4:5]
	s_cbranch_execz .LBB643_7
; %bb.6:
	v_lshlrev_b32_e32 v4, 1, v0
	v_mov_b32_e32 v5, 0
	v_lshl_add_u64 v[4:5], s[72:73], 0, v[4:5]
	flat_load_ushort v4, v[4:5] offset:1024
.LBB643_7:
	;; [unrolled: 12-line block ×7, first 2 shown]
	s_or_b64 exec, exec, s[16:17]
	v_or_b32_e32 v10, 0x800, v0
	v_cmp_gt_u32_e64 s[16:17], s59, v10
	v_lshlrev_b32_e32 v14, 1, v10
	v_mov_b32_e32 v10, v1
	s_and_saveexec_b64 s[18:19], s[16:17]
	s_cbranch_execz .LBB643_19
; %bb.18:
	v_mov_b32_e32 v15, 0
	v_lshl_add_u64 v[10:11], s[72:73], 0, v[14:15]
	flat_load_ushort v10, v[10:11]
.LBB643_19:
	s_or_b64 exec, exec, s[18:19]
	v_or_b32_e32 v11, 0x900, v0
	v_cmp_gt_u32_e64 s[18:19], s59, v11
	v_lshlrev_b32_e32 v16, 1, v11
	v_mov_b32_e32 v11, v1
	s_and_saveexec_b64 s[20:21], s[18:19]
	s_cbranch_execz .LBB643_21
; %bb.20:
	v_mov_b32_e32 v17, 0
	v_lshl_add_u64 v[12:13], s[72:73], 0, v[16:17]
	flat_load_ushort v11, v[12:13]
.LBB643_21:
	;; [unrolled: 12-line block ×15, first 2 shown]
	s_or_b64 exec, exec, s[48:49]
	v_or_b32_e32 v36, 0x1700, v0
	v_cmp_gt_u32_e64 s[48:49], s59, v36
	v_lshlrev_b32_e32 v46, 1, v36
	s_and_saveexec_b64 s[52:53], s[48:49]
	s_cbranch_execz .LBB643_49
; %bb.48:
	v_mov_b32_e32 v47, 0
	v_lshl_add_u64 v[36:37], s[72:73], 0, v[46:47]
	flat_load_ushort v1, v[36:37]
.LBB643_49:
	s_or_b64 exec, exec, s[52:53]
	v_lshlrev_b32_e32 v36, 1, v0
	s_waitcnt vmcnt(0) lgkmcnt(0)
	ds_write_b16 v36, v2
	ds_write_b16 v36, v3 offset:512
	ds_write_b16 v36, v4 offset:1024
	;; [unrolled: 1-line block ×23, first 2 shown]
	v_mov_b64_e32 v[2:3], s[72:73]
	s_waitcnt lgkmcnt(0)
	s_barrier
	flat_load_ushort v48, v[2:3]
	v_mad_u32_u24 v49, v0, 46, v36
	ds_read_b128 v[10:13], v49
	ds_read_b128 v[6:9], v49 offset:16
	ds_read_b128 v[2:5], v49 offset:32
	s_movk_i32 s3, 0xffd2
	v_mad_i32_i24 v1, v0, s3, v49
	s_movk_i32 s3, 0xff
	v_cmp_ne_u32_e64 s[52:53], s3, v0
	s_waitcnt lgkmcnt(0)
	ds_write_b16 v1, v10 offset:12800
	s_waitcnt lgkmcnt(0)
	s_barrier
	s_and_saveexec_b64 s[60:61], s[52:53]
	s_cbranch_execz .LBB643_51
; %bb.50:
	s_waitcnt vmcnt(0)
	ds_read_u16 v48, v36 offset:12802
.LBB643_51:
	s_or_b64 exec, exec, s[60:61]
	v_mov_b32_e32 v37, 0
	s_waitcnt lgkmcnt(0)
	s_barrier
	s_waitcnt lgkmcnt(0)
                                        ; implicit-def: $vgpr1
	s_and_saveexec_b64 s[52:53], vcc
	s_cbranch_execz .LBB643_201
; %bb.52:
	v_lshl_add_u64 v[50:51], s[70:71], 0, v[36:37]
	flat_load_ushort v1, v[50:51]
	s_or_b64 exec, exec, s[52:53]
                                        ; implicit-def: $vgpr50
	s_and_saveexec_b64 s[52:53], s[50:51]
	s_cbranch_execnz .LBB643_202
.LBB643_53:
	s_or_b64 exec, exec, s[52:53]
                                        ; implicit-def: $vgpr51
	s_and_saveexec_b64 s[50:51], s[4:5]
	s_cbranch_execz .LBB643_203
.LBB643_54:
	v_mov_b32_e32 v37, 0
	v_lshl_add_u64 v[52:53], s[70:71], 0, v[36:37]
	flat_load_ushort v51, v[52:53] offset:1024
	s_or_b64 exec, exec, s[50:51]
                                        ; implicit-def: $vgpr52
	s_and_saveexec_b64 s[4:5], s[6:7]
	s_cbranch_execnz .LBB643_204
.LBB643_55:
	s_or_b64 exec, exec, s[4:5]
                                        ; implicit-def: $vgpr53
	s_and_saveexec_b64 s[4:5], s[8:9]
	s_cbranch_execz .LBB643_205
.LBB643_56:
	v_mov_b32_e32 v37, 0
	v_lshl_add_u64 v[54:55], s[70:71], 0, v[36:37]
	flat_load_ushort v53, v[54:55] offset:2048
	s_or_b64 exec, exec, s[4:5]
                                        ; implicit-def: $vgpr54
	s_and_saveexec_b64 s[4:5], s[10:11]
	s_cbranch_execnz .LBB643_206
.LBB643_57:
	s_or_b64 exec, exec, s[4:5]
                                        ; implicit-def: $vgpr55
	s_and_saveexec_b64 s[4:5], s[12:13]
	s_cbranch_execz .LBB643_207
.LBB643_58:
	v_mov_b32_e32 v37, 0
	v_lshl_add_u64 v[56:57], s[70:71], 0, v[36:37]
	flat_load_ushort v55, v[56:57] offset:3072
	s_or_b64 exec, exec, s[4:5]
                                        ; implicit-def: $vgpr37
	s_and_saveexec_b64 s[4:5], s[14:15]
	s_cbranch_execnz .LBB643_208
.LBB643_59:
	s_or_b64 exec, exec, s[4:5]
                                        ; implicit-def: $vgpr15
	s_and_saveexec_b64 s[4:5], s[16:17]
	s_cbranch_execz .LBB643_209
.LBB643_60:
	v_mov_b32_e32 v15, 0
	v_lshl_add_u64 v[14:15], s[70:71], 0, v[14:15]
	flat_load_ushort v15, v[14:15]
	s_or_b64 exec, exec, s[4:5]
                                        ; implicit-def: $vgpr14
	s_and_saveexec_b64 s[4:5], s[18:19]
	s_cbranch_execnz .LBB643_210
.LBB643_61:
	s_or_b64 exec, exec, s[4:5]
                                        ; implicit-def: $vgpr16
	s_and_saveexec_b64 s[4:5], s[20:21]
	s_cbranch_execz .LBB643_211
.LBB643_62:
	v_mov_b32_e32 v19, 0
	v_lshl_add_u64 v[16:17], s[70:71], 0, v[18:19]
	flat_load_ushort v16, v[16:17]
	s_or_b64 exec, exec, s[4:5]
                                        ; implicit-def: $vgpr17
	s_and_saveexec_b64 s[4:5], s[22:23]
	s_cbranch_execnz .LBB643_212
.LBB643_63:
	s_or_b64 exec, exec, s[4:5]
                                        ; implicit-def: $vgpr18
	s_and_saveexec_b64 s[4:5], s[24:25]
	s_cbranch_execz .LBB643_213
.LBB643_64:
	v_mov_b32_e32 v23, 0
	v_lshl_add_u64 v[18:19], s[70:71], 0, v[22:23]
	flat_load_ushort v18, v[18:19]
	s_or_b64 exec, exec, s[4:5]
                                        ; implicit-def: $vgpr19
	s_and_saveexec_b64 s[4:5], s[26:27]
	s_cbranch_execnz .LBB643_214
.LBB643_65:
	s_or_b64 exec, exec, s[4:5]
                                        ; implicit-def: $vgpr20
	s_and_saveexec_b64 s[4:5], s[28:29]
	s_cbranch_execz .LBB643_215
.LBB643_66:
	v_mov_b32_e32 v27, 0
	v_lshl_add_u64 v[20:21], s[70:71], 0, v[26:27]
	flat_load_ushort v20, v[20:21]
	s_or_b64 exec, exec, s[4:5]
                                        ; implicit-def: $vgpr21
	s_and_saveexec_b64 s[4:5], s[30:31]
	s_cbranch_execnz .LBB643_216
.LBB643_67:
	s_or_b64 exec, exec, s[4:5]
                                        ; implicit-def: $vgpr22
	s_and_saveexec_b64 s[4:5], s[34:35]
	s_cbranch_execz .LBB643_217
.LBB643_68:
	v_mov_b32_e32 v31, 0
	v_lshl_add_u64 v[22:23], s[70:71], 0, v[30:31]
	flat_load_ushort v22, v[22:23]
	s_or_b64 exec, exec, s[4:5]
                                        ; implicit-def: $vgpr23
	s_and_saveexec_b64 s[4:5], s[36:37]
	s_cbranch_execnz .LBB643_218
.LBB643_69:
	s_or_b64 exec, exec, s[4:5]
                                        ; implicit-def: $vgpr24
	s_and_saveexec_b64 s[4:5], s[38:39]
	s_cbranch_execz .LBB643_219
.LBB643_70:
	v_mov_b32_e32 v35, 0
	v_lshl_add_u64 v[24:25], s[70:71], 0, v[34:35]
	flat_load_ushort v24, v[24:25]
	s_or_b64 exec, exec, s[4:5]
                                        ; implicit-def: $vgpr25
	s_and_saveexec_b64 s[4:5], s[40:41]
	s_cbranch_execnz .LBB643_220
.LBB643_71:
	s_or_b64 exec, exec, s[4:5]
                                        ; implicit-def: $vgpr27
	s_and_saveexec_b64 s[4:5], s[42:43]
	s_cbranch_execz .LBB643_221
.LBB643_72:
	v_mov_b32_e32 v41, 0
	v_lshl_add_u64 v[26:27], s[70:71], 0, v[40:41]
	flat_load_ushort v27, v[26:27]
	s_or_b64 exec, exec, s[4:5]
                                        ; implicit-def: $vgpr28
	s_and_saveexec_b64 s[4:5], s[44:45]
	s_cbranch_execnz .LBB643_222
.LBB643_73:
	s_or_b64 exec, exec, s[4:5]
                                        ; implicit-def: $vgpr29
	s_and_saveexec_b64 s[4:5], s[46:47]
	s_cbranch_execz .LBB643_75
.LBB643_74:
	v_mov_b32_e32 v45, 0
	v_lshl_add_u64 v[30:31], s[70:71], 0, v[44:45]
	flat_load_ushort v29, v[30:31]
.LBB643_75:
	s_or_b64 exec, exec, s[4:5]
	v_mul_u32_u24_e32 v26, 24, v0
                                        ; implicit-def: $vgpr30
	s_and_saveexec_b64 s[4:5], s[48:49]
	s_cbranch_execz .LBB643_77
; %bb.76:
	v_mov_b32_e32 v47, 0
	v_lshl_add_u64 v[30:31], s[70:71], 0, v[46:47]
	flat_load_ushort v30, v[30:31]
.LBB643_77:
	s_or_b64 exec, exec, s[4:5]
	s_waitcnt vmcnt(0) lgkmcnt(0)
	ds_write_b16 v36, v1
	ds_write_b16 v36, v50 offset:512
	ds_write_b16 v36, v51 offset:1024
	;; [unrolled: 1-line block ×23, first 2 shown]
	v_cmp_gt_u32_e32 vcc, s59, v26
	s_mov_b64 s[4:5], 0
	s_mov_b32 s3, 0
	v_mov_b32_e32 v1, 0
	s_mov_b64 s[10:11], 0
	v_mov_b32_e32 v18, 0
	v_mov_b32_e32 v25, 0
	;; [unrolled: 1-line block ×22, first 2 shown]
	s_waitcnt lgkmcnt(0)
	s_barrier
	s_waitcnt lgkmcnt(0)
                                        ; implicit-def: $sgpr8_sgpr9
                                        ; implicit-def: $vgpr41
	s_and_saveexec_b64 s[6:7], vcc
	s_cbranch_execz .LBB643_125
; %bb.78:
	ds_read_u16 v1, v49
	v_mov_b32_e32 v15, s78
	v_cmp_eq_u16_sdwa vcc, v10, v10 src0_sel:DWORD src1_sel:WORD_1
	v_cmp_ne_u16_sdwa s[8:9], v10, v10 src0_sel:DWORD src1_sel:WORD_1
	v_or_b32_e32 v14, 1, v26
	s_waitcnt lgkmcnt(0)
	v_cndmask_b32_e32 v1, v15, v1, vcc
	v_and_b32_e32 v1, 0xffff, v1
	v_cndmask_b32_e64 v15, 0, 1, s[8:9]
	v_lshl_or_b32 v1, v15, 16, v1
	v_cmp_gt_u32_e32 vcc, s59, v14
	v_mov_b32_e32 v18, 0
	v_mov_b32_e32 v25, 0
	;; [unrolled: 1-line block ×22, first 2 shown]
                                        ; implicit-def: $sgpr12_sgpr13
                                        ; implicit-def: $vgpr41
	s_and_saveexec_b64 s[8:9], vcc
	s_cbranch_execz .LBB643_124
; %bb.79:
	ds_read_b128 v[14:17], v49 offset:2
	v_mov_b32_e32 v18, s78
	v_cmp_eq_u16_sdwa vcc, v10, v11 src0_sel:WORD_1 src1_sel:DWORD
	v_cmp_ne_u16_sdwa s[10:11], v10, v11 src0_sel:WORD_1 src1_sel:DWORD
	v_or_b32_e32 v19, 2, v26
	s_waitcnt lgkmcnt(0)
	v_cndmask_b32_e32 v18, v18, v14, vcc
	v_and_b32_e32 v18, 0xffff, v18
	v_cndmask_b32_e64 v10, 0, 1, s[10:11]
	v_lshl_or_b32 v18, v10, 16, v18
	v_cmp_gt_u32_e32 vcc, s59, v19
	s_mov_b64 s[14:15], 0
	v_mov_b32_e32 v25, 0
	v_mov_b32_e32 v19, 0
	;; [unrolled: 1-line block ×21, first 2 shown]
                                        ; implicit-def: $sgpr12_sgpr13
                                        ; implicit-def: $vgpr41
	s_and_saveexec_b64 s[10:11], vcc
	s_cbranch_execz .LBB643_123
; %bb.80:
	v_lshrrev_b32_e32 v10, 16, v14
	v_mov_b32_e32 v19, s78
	v_cmp_eq_u16_sdwa vcc, v11, v11 src0_sel:DWORD src1_sel:WORD_1
	v_cmp_ne_u16_sdwa s[12:13], v11, v11 src0_sel:DWORD src1_sel:WORD_1
	v_or_b32_e32 v14, 3, v26
	v_cndmask_b32_e32 v10, v19, v10, vcc
	v_and_b32_e32 v10, 0xffff, v10
	v_cndmask_b32_e64 v19, 0, 1, s[12:13]
	v_lshl_or_b32 v25, v19, 16, v10
	v_cmp_gt_u32_e32 vcc, s59, v14
	v_mov_b32_e32 v19, 0
	v_mov_b32_e32 v27, 0
	;; [unrolled: 1-line block ×20, first 2 shown]
                                        ; implicit-def: $sgpr16_sgpr17
                                        ; implicit-def: $vgpr41
	s_and_saveexec_b64 s[12:13], vcc
	s_cbranch_execz .LBB643_122
; %bb.81:
	v_mov_b32_e32 v14, s78
	v_cmp_eq_u16_sdwa vcc, v11, v12 src0_sel:WORD_1 src1_sel:DWORD
	v_cmp_ne_u16_sdwa s[14:15], v11, v12 src0_sel:WORD_1 src1_sel:DWORD
	v_or_b32_e32 v10, 4, v26
	v_cndmask_b32_e32 v14, v14, v15, vcc
	v_and_b32_e32 v14, 0xffff, v14
	v_cndmask_b32_e64 v11, 0, 1, s[14:15]
	v_lshl_or_b32 v19, v11, 16, v14
	v_cmp_gt_u32_e32 vcc, s59, v10
	s_mov_b64 s[18:19], 0
	v_mov_b32_e32 v27, 0
	v_mov_b32_e32 v20, 0
	;; [unrolled: 1-line block ×19, first 2 shown]
                                        ; implicit-def: $sgpr16_sgpr17
                                        ; implicit-def: $vgpr41
	s_and_saveexec_b64 s[14:15], vcc
	s_cbranch_execz .LBB643_121
; %bb.82:
	v_lshrrev_b32_e32 v10, 16, v15
	v_mov_b32_e32 v14, s78
	v_cmp_eq_u16_sdwa vcc, v12, v12 src0_sel:DWORD src1_sel:WORD_1
	v_cmp_ne_u16_sdwa s[16:17], v12, v12 src0_sel:DWORD src1_sel:WORD_1
	v_or_b32_e32 v11, 5, v26
	v_cndmask_b32_e32 v10, v14, v10, vcc
	v_and_b32_e32 v10, 0xffff, v10
	v_cndmask_b32_e64 v14, 0, 1, s[16:17]
	v_lshl_or_b32 v27, v14, 16, v10
	v_cmp_gt_u32_e32 vcc, s59, v11
	v_mov_b32_e32 v20, 0
	v_mov_b32_e32 v28, 0
	;; [unrolled: 1-line block ×18, first 2 shown]
                                        ; implicit-def: $sgpr20_sgpr21
                                        ; implicit-def: $vgpr41
	s_and_saveexec_b64 s[16:17], vcc
	s_cbranch_execz .LBB643_120
; %bb.83:
	v_mov_b32_e32 v11, s78
	v_cmp_eq_u16_sdwa vcc, v12, v13 src0_sel:WORD_1 src1_sel:DWORD
	v_cmp_ne_u16_sdwa s[18:19], v12, v13 src0_sel:WORD_1 src1_sel:DWORD
	v_or_b32_e32 v10, 6, v26
	v_cndmask_b32_e32 v11, v11, v16, vcc
	v_and_b32_e32 v11, 0xffff, v11
	v_cndmask_b32_e64 v12, 0, 1, s[18:19]
	v_lshl_or_b32 v20, v12, 16, v11
	v_cmp_gt_u32_e32 vcc, s59, v10
	s_mov_b64 s[22:23], 0
	v_mov_b32_e32 v28, 0
	v_mov_b32_e32 v21, 0
	;; [unrolled: 1-line block ×17, first 2 shown]
                                        ; implicit-def: $sgpr20_sgpr21
                                        ; implicit-def: $vgpr41
	s_and_saveexec_b64 s[18:19], vcc
	s_cbranch_execz .LBB643_119
; %bb.84:
	v_lshrrev_b32_e32 v10, 16, v16
	v_mov_b32_e32 v12, s78
	v_cmp_eq_u16_sdwa vcc, v13, v13 src0_sel:DWORD src1_sel:WORD_1
	v_cmp_ne_u16_sdwa s[20:21], v13, v13 src0_sel:DWORD src1_sel:WORD_1
	v_or_b32_e32 v11, 7, v26
	v_cndmask_b32_e32 v10, v12, v10, vcc
	v_and_b32_e32 v10, 0xffff, v10
	v_cndmask_b32_e64 v12, 0, 1, s[20:21]
	v_lshl_or_b32 v28, v12, 16, v10
	v_cmp_gt_u32_e32 vcc, s59, v11
	v_mov_b32_e32 v21, 0
	v_mov_b32_e32 v29, 0
	;; [unrolled: 1-line block ×16, first 2 shown]
                                        ; implicit-def: $sgpr24_sgpr25
                                        ; implicit-def: $vgpr41
	s_and_saveexec_b64 s[20:21], vcc
	s_cbranch_execz .LBB643_118
; %bb.85:
	v_mov_b32_e32 v11, s78
	v_cmp_eq_u16_sdwa vcc, v13, v6 src0_sel:WORD_1 src1_sel:DWORD
	v_cmp_ne_u16_sdwa s[22:23], v13, v6 src0_sel:WORD_1 src1_sel:DWORD
	v_add_u32_e32 v10, 8, v26
	v_cndmask_b32_e32 v11, v11, v17, vcc
	v_and_b32_e32 v11, 0xffff, v11
	v_cndmask_b32_e64 v12, 0, 1, s[22:23]
	v_lshl_or_b32 v21, v12, 16, v11
	v_cmp_gt_u32_e32 vcc, s59, v10
	s_mov_b64 s[26:27], 0
	v_mov_b32_e32 v29, 0
	v_mov_b32_e32 v30, 0
	;; [unrolled: 1-line block ×15, first 2 shown]
                                        ; implicit-def: $sgpr24_sgpr25
                                        ; implicit-def: $vgpr41
	s_and_saveexec_b64 s[22:23], vcc
	s_cbranch_execz .LBB643_117
; %bb.86:
	v_lshrrev_b32_e32 v10, 16, v17
	v_mov_b32_e32 v12, s78
	v_cmp_eq_u16_sdwa vcc, v6, v6 src0_sel:DWORD src1_sel:WORD_1
	v_cmp_ne_u16_sdwa s[24:25], v6, v6 src0_sel:DWORD src1_sel:WORD_1
	v_add_u32_e32 v11, 9, v26
	v_cndmask_b32_e32 v10, v12, v10, vcc
	v_and_b32_e32 v10, 0xffff, v10
	v_cndmask_b32_e64 v12, 0, 1, s[24:25]
	v_lshl_or_b32 v29, v12, 16, v10
	v_cmp_gt_u32_e32 vcc, s59, v11
	v_mov_b32_e32 v30, 0
	v_mov_b32_e32 v31, 0
	;; [unrolled: 1-line block ×14, first 2 shown]
                                        ; implicit-def: $sgpr28_sgpr29
                                        ; implicit-def: $vgpr41
	s_and_saveexec_b64 s[24:25], vcc
	s_cbranch_execz .LBB643_116
; %bb.87:
	ds_read_b128 v[10:13], v49 offset:18
	v_mov_b32_e32 v15, s78
	v_cmp_eq_u16_sdwa vcc, v6, v7 src0_sel:WORD_1 src1_sel:DWORD
	v_cmp_ne_u16_sdwa s[26:27], v6, v7 src0_sel:WORD_1 src1_sel:DWORD
	v_add_u32_e32 v14, 10, v26
	s_waitcnt lgkmcnt(0)
	v_cndmask_b32_e32 v15, v15, v10, vcc
	v_and_b32_e32 v15, 0xffff, v15
	v_cndmask_b32_e64 v6, 0, 1, s[26:27]
	v_lshl_or_b32 v30, v6, 16, v15
	v_cmp_gt_u32_e32 vcc, s59, v14
	s_mov_b64 s[30:31], 0
	v_mov_b32_e32 v31, 0
	v_mov_b32_e32 v32, 0
	;; [unrolled: 1-line block ×13, first 2 shown]
                                        ; implicit-def: $sgpr28_sgpr29
                                        ; implicit-def: $vgpr41
	s_and_saveexec_b64 s[26:27], vcc
	s_cbranch_execz .LBB643_115
; %bb.88:
	v_lshrrev_b32_e32 v6, 16, v10
	v_mov_b32_e32 v14, s78
	v_cmp_eq_u16_sdwa vcc, v7, v7 src0_sel:DWORD src1_sel:WORD_1
	v_cmp_ne_u16_sdwa s[28:29], v7, v7 src0_sel:DWORD src1_sel:WORD_1
	v_add_u32_e32 v10, 11, v26
	v_cndmask_b32_e32 v6, v14, v6, vcc
	v_and_b32_e32 v6, 0xffff, v6
	v_cndmask_b32_e64 v14, 0, 1, s[28:29]
	v_lshl_or_b32 v31, v14, 16, v6
	v_cmp_gt_u32_e32 vcc, s59, v10
	v_mov_b32_e32 v32, 0
	v_mov_b32_e32 v33, 0
	;; [unrolled: 1-line block ×12, first 2 shown]
                                        ; implicit-def: $sgpr34_sgpr35
                                        ; implicit-def: $vgpr41
	s_and_saveexec_b64 s[28:29], vcc
	s_cbranch_execz .LBB643_114
; %bb.89:
	v_mov_b32_e32 v10, s78
	v_cmp_eq_u16_sdwa vcc, v7, v8 src0_sel:WORD_1 src1_sel:DWORD
	v_cmp_ne_u16_sdwa s[30:31], v7, v8 src0_sel:WORD_1 src1_sel:DWORD
	v_add_u32_e32 v6, 12, v26
	v_cndmask_b32_e32 v10, v10, v11, vcc
	v_and_b32_e32 v10, 0xffff, v10
	v_cndmask_b32_e64 v7, 0, 1, s[30:31]
	v_lshl_or_b32 v32, v7, 16, v10
	v_cmp_gt_u32_e32 vcc, s59, v6
	s_mov_b64 s[36:37], 0
	v_mov_b32_e32 v33, 0
	v_mov_b32_e32 v34, 0
	;; [unrolled: 1-line block ×11, first 2 shown]
                                        ; implicit-def: $sgpr34_sgpr35
                                        ; implicit-def: $vgpr41
	s_and_saveexec_b64 s[30:31], vcc
	s_cbranch_execz .LBB643_113
; %bb.90:
	v_lshrrev_b32_e32 v6, 16, v11
	v_mov_b32_e32 v10, s78
	v_cmp_eq_u16_sdwa vcc, v8, v8 src0_sel:DWORD src1_sel:WORD_1
	v_cmp_ne_u16_sdwa s[34:35], v8, v8 src0_sel:DWORD src1_sel:WORD_1
	v_add_u32_e32 v7, 13, v26
	v_cndmask_b32_e32 v6, v10, v6, vcc
	v_and_b32_e32 v6, 0xffff, v6
	v_cndmask_b32_e64 v10, 0, 1, s[34:35]
	v_lshl_or_b32 v33, v10, 16, v6
	v_cmp_gt_u32_e32 vcc, s59, v7
	v_mov_b32_e32 v34, 0
	v_mov_b32_e32 v35, 0
	;; [unrolled: 1-line block ×10, first 2 shown]
                                        ; implicit-def: $sgpr38_sgpr39
                                        ; implicit-def: $vgpr41
	s_and_saveexec_b64 s[34:35], vcc
	s_cbranch_execz .LBB643_112
; %bb.91:
	v_mov_b32_e32 v7, s78
	v_cmp_eq_u16_sdwa vcc, v8, v9 src0_sel:WORD_1 src1_sel:DWORD
	v_cmp_ne_u16_sdwa s[36:37], v8, v9 src0_sel:WORD_1 src1_sel:DWORD
	v_add_u32_e32 v6, 14, v26
	v_cndmask_b32_e32 v7, v7, v12, vcc
	v_and_b32_e32 v7, 0xffff, v7
	v_cndmask_b32_e64 v8, 0, 1, s[36:37]
	v_lshl_or_b32 v34, v8, 16, v7
	v_cmp_gt_u32_e32 vcc, s59, v6
	s_mov_b64 s[40:41], 0
	v_mov_b32_e32 v35, 0
	v_mov_b32_e32 v36, 0
	;; [unrolled: 1-line block ×9, first 2 shown]
                                        ; implicit-def: $sgpr38_sgpr39
                                        ; implicit-def: $vgpr41
	s_and_saveexec_b64 s[36:37], vcc
	s_cbranch_execz .LBB643_111
; %bb.92:
	v_lshrrev_b32_e32 v6, 16, v12
	v_mov_b32_e32 v8, s78
	v_cmp_eq_u16_sdwa vcc, v9, v9 src0_sel:DWORD src1_sel:WORD_1
	v_cmp_ne_u16_sdwa s[38:39], v9, v9 src0_sel:DWORD src1_sel:WORD_1
	v_add_u32_e32 v7, 15, v26
	v_cndmask_b32_e32 v6, v8, v6, vcc
	v_and_b32_e32 v6, 0xffff, v6
	v_cndmask_b32_e64 v8, 0, 1, s[38:39]
	v_lshl_or_b32 v35, v8, 16, v6
	v_cmp_gt_u32_e32 vcc, s59, v7
	v_mov_b32_e32 v36, 0
	v_mov_b32_e32 v37, 0
	;; [unrolled: 1-line block ×8, first 2 shown]
                                        ; implicit-def: $sgpr42_sgpr43
                                        ; implicit-def: $vgpr41
	s_and_saveexec_b64 s[38:39], vcc
	s_cbranch_execz .LBB643_110
; %bb.93:
	v_mov_b32_e32 v7, s78
	v_cmp_eq_u16_sdwa vcc, v9, v2 src0_sel:WORD_1 src1_sel:DWORD
	v_cmp_ne_u16_sdwa s[40:41], v9, v2 src0_sel:WORD_1 src1_sel:DWORD
	v_add_u32_e32 v6, 16, v26
	v_cndmask_b32_e32 v7, v7, v13, vcc
	v_and_b32_e32 v7, 0xffff, v7
	v_cndmask_b32_e64 v8, 0, 1, s[40:41]
	v_lshl_or_b32 v36, v8, 16, v7
	v_cmp_gt_u32_e32 vcc, s59, v6
	s_mov_b64 s[44:45], 0
	v_mov_b32_e32 v37, 0
	v_mov_b32_e32 v22, 0
	;; [unrolled: 1-line block ×7, first 2 shown]
                                        ; implicit-def: $sgpr42_sgpr43
                                        ; implicit-def: $vgpr41
	s_and_saveexec_b64 s[40:41], vcc
	s_cbranch_execz .LBB643_109
; %bb.94:
	v_lshrrev_b32_e32 v6, 16, v13
	v_mov_b32_e32 v8, s78
	v_cmp_eq_u16_sdwa vcc, v2, v2 src0_sel:DWORD src1_sel:WORD_1
	v_cmp_ne_u16_sdwa s[42:43], v2, v2 src0_sel:DWORD src1_sel:WORD_1
	v_add_u32_e32 v7, 17, v26
	v_cndmask_b32_e32 v6, v8, v6, vcc
	v_and_b32_e32 v6, 0xffff, v6
	v_cndmask_b32_e64 v8, 0, 1, s[42:43]
	v_lshl_or_b32 v37, v8, 16, v6
	v_cmp_gt_u32_e32 vcc, s59, v7
	v_mov_b32_e32 v22, 0
	v_mov_b32_e32 v38, 0
	;; [unrolled: 1-line block ×6, first 2 shown]
                                        ; implicit-def: $sgpr46_sgpr47
                                        ; implicit-def: $vgpr41
	s_and_saveexec_b64 s[42:43], vcc
	s_cbranch_execz .LBB643_108
; %bb.95:
	ds_read_b96 v[6:8], v49 offset:34
	v_mov_b32_e32 v10, s78
	v_cmp_eq_u16_sdwa vcc, v2, v3 src0_sel:WORD_1 src1_sel:DWORD
	v_cmp_ne_u16_sdwa s[44:45], v2, v3 src0_sel:WORD_1 src1_sel:DWORD
	v_add_u32_e32 v9, 18, v26
	s_waitcnt lgkmcnt(0)
	v_cndmask_b32_e32 v10, v10, v6, vcc
	v_and_b32_e32 v10, 0xffff, v10
	v_cndmask_b32_e64 v2, 0, 1, s[44:45]
	v_lshl_or_b32 v22, v2, 16, v10
	v_cmp_gt_u32_e32 vcc, s59, v9
	s_mov_b64 s[48:49], 0
	v_mov_b32_e32 v38, 0
	v_mov_b32_e32 v23, 0
	;; [unrolled: 1-line block ×5, first 2 shown]
                                        ; implicit-def: $sgpr46_sgpr47
                                        ; implicit-def: $vgpr41
	s_and_saveexec_b64 s[44:45], vcc
	s_cbranch_execz .LBB643_107
; %bb.96:
	v_lshrrev_b32_e32 v2, 16, v6
	v_mov_b32_e32 v9, s78
	v_cmp_eq_u16_sdwa vcc, v3, v3 src0_sel:DWORD src1_sel:WORD_1
	v_cmp_ne_u16_sdwa s[46:47], v3, v3 src0_sel:DWORD src1_sel:WORD_1
	v_add_u32_e32 v6, 19, v26
	v_cndmask_b32_e32 v2, v9, v2, vcc
	v_and_b32_e32 v2, 0xffff, v2
	v_cndmask_b32_e64 v9, 0, 1, s[46:47]
	v_lshl_or_b32 v38, v9, 16, v2
	v_cmp_gt_u32_e32 vcc, s59, v6
	v_mov_b32_e32 v23, 0
	v_mov_b32_e32 v39, 0
	;; [unrolled: 1-line block ×4, first 2 shown]
                                        ; implicit-def: $sgpr50_sgpr51
                                        ; implicit-def: $vgpr41
	s_and_saveexec_b64 s[46:47], vcc
	s_cbranch_execz .LBB643_106
; %bb.97:
	v_mov_b32_e32 v6, s78
	v_cmp_eq_u16_sdwa vcc, v3, v4 src0_sel:WORD_1 src1_sel:DWORD
	v_cmp_ne_u16_sdwa s[48:49], v3, v4 src0_sel:WORD_1 src1_sel:DWORD
	v_add_u32_e32 v2, 20, v26
	v_cndmask_b32_e32 v6, v6, v7, vcc
	v_and_b32_e32 v6, 0xffff, v6
	v_cndmask_b32_e64 v3, 0, 1, s[48:49]
	v_lshl_or_b32 v23, v3, 16, v6
	v_cmp_gt_u32_e32 vcc, s59, v2
	s_mov_b64 s[52:53], 0
	v_mov_b32_e32 v39, 0
	v_mov_b32_e32 v24, 0
	;; [unrolled: 1-line block ×3, first 2 shown]
                                        ; implicit-def: $sgpr50_sgpr51
                                        ; implicit-def: $vgpr41
	s_and_saveexec_b64 s[48:49], vcc
	s_cbranch_execz .LBB643_105
; %bb.98:
	v_lshrrev_b32_e32 v2, 16, v7
	v_mov_b32_e32 v6, s78
	v_cmp_eq_u16_sdwa vcc, v4, v4 src0_sel:DWORD src1_sel:WORD_1
	v_cmp_ne_u16_sdwa s[50:51], v4, v4 src0_sel:DWORD src1_sel:WORD_1
	v_add_u32_e32 v3, 21, v26
	v_cndmask_b32_e32 v2, v6, v2, vcc
	v_and_b32_e32 v2, 0xffff, v2
	v_cndmask_b32_e64 v6, 0, 1, s[50:51]
	v_lshl_or_b32 v39, v6, 16, v2
	v_cmp_gt_u32_e32 vcc, s59, v3
	v_mov_b32_e32 v24, 0
	v_mov_b32_e32 v40, 0
                                        ; implicit-def: $sgpr60_sgpr61
                                        ; implicit-def: $vgpr41
	s_and_saveexec_b64 s[50:51], vcc
	s_cbranch_execz .LBB643_104
; %bb.99:
	v_mov_b32_e32 v3, s78
	v_cmp_eq_u16_sdwa vcc, v4, v5 src0_sel:WORD_1 src1_sel:DWORD
	v_cmp_ne_u16_sdwa s[52:53], v4, v5 src0_sel:WORD_1 src1_sel:DWORD
	v_add_u32_e32 v2, 22, v26
	v_cndmask_b32_e32 v3, v3, v8, vcc
	v_and_b32_e32 v3, 0xffff, v3
	v_cndmask_b32_e64 v4, 0, 1, s[52:53]
	v_lshl_or_b32 v24, v4, 16, v3
	v_cmp_gt_u32_e32 vcc, s59, v2
	s_mov_b64 s[74:75], 0
	v_mov_b32_e32 v40, 0
                                        ; implicit-def: $sgpr76_sgpr77
                                        ; implicit-def: $vgpr41
	s_and_saveexec_b64 s[52:53], vcc
	s_cbranch_execz .LBB643_103
; %bb.100:
	v_lshrrev_b32_e32 v2, 16, v8
	v_mov_b32_e32 v4, s78
	v_cmp_eq_u16_sdwa vcc, v5, v5 src0_sel:DWORD src1_sel:WORD_1
	v_cmp_ne_u16_sdwa s[60:61], v5, v5 src0_sel:DWORD src1_sel:WORD_1
	v_add_u32_e32 v3, 23, v26
	v_cndmask_b32_e32 v2, v4, v2, vcc
	v_and_b32_e32 v2, 0xffff, v2
	v_cndmask_b32_e64 v4, 0, 1, s[60:61]
	v_lshl_or_b32 v40, v4, 16, v2
	v_cmp_gt_u32_e32 vcc, s59, v3
	s_mov_b64 s[60:61], 0
                                        ; implicit-def: $sgpr74_sgpr75
                                        ; implicit-def: $vgpr41
	s_and_saveexec_b64 s[76:77], vcc
	s_xor_b64 s[76:77], exec, s[76:77]
	s_cbranch_execz .LBB643_102
; %bb.101:
	ds_read_u16 v2, v49 offset:46
	v_mov_b32_e32 v3, s78
	v_cmp_ne_u16_sdwa vcc, v5, v48 src0_sel:WORD_1 src1_sel:DWORD
	s_mov_b64 s[60:61], exec
	s_and_b64 s[74:75], vcc, exec
	s_waitcnt lgkmcnt(0)
	v_cndmask_b32_e32 v41, v2, v3, vcc
.LBB643_102:
	s_or_b64 exec, exec, s[76:77]
	s_and_b64 s[76:77], s[74:75], exec
	s_and_b64 s[74:75], s[60:61], exec
.LBB643_103:
	s_or_b64 exec, exec, s[52:53]
	s_and_b64 s[60:61], s[76:77], exec
	s_and_b64 s[52:53], s[74:75], exec
.LBB643_104:
	s_or_b64 exec, exec, s[50:51]
	s_and_b64 s[50:51], s[60:61], exec
	s_and_b64 s[52:53], s[52:53], exec
.LBB643_105:
	s_or_b64 exec, exec, s[48:49]
	s_and_b64 s[50:51], s[50:51], exec
	s_and_b64 s[48:49], s[52:53], exec
.LBB643_106:
	s_or_b64 exec, exec, s[46:47]
	s_and_b64 s[46:47], s[50:51], exec
	s_and_b64 s[48:49], s[48:49], exec
.LBB643_107:
	s_or_b64 exec, exec, s[44:45]
	s_and_b64 s[46:47], s[46:47], exec
	s_and_b64 s[44:45], s[48:49], exec
.LBB643_108:
	s_or_b64 exec, exec, s[42:43]
	s_and_b64 s[42:43], s[46:47], exec
	s_and_b64 s[44:45], s[44:45], exec
.LBB643_109:
	s_or_b64 exec, exec, s[40:41]
	s_and_b64 s[42:43], s[42:43], exec
	s_and_b64 s[40:41], s[44:45], exec
.LBB643_110:
	s_or_b64 exec, exec, s[38:39]
	s_and_b64 s[38:39], s[42:43], exec
	s_and_b64 s[40:41], s[40:41], exec
.LBB643_111:
	s_or_b64 exec, exec, s[36:37]
	s_and_b64 s[38:39], s[38:39], exec
	s_and_b64 s[36:37], s[40:41], exec
.LBB643_112:
	s_or_b64 exec, exec, s[34:35]
	s_and_b64 s[34:35], s[38:39], exec
	s_and_b64 s[36:37], s[36:37], exec
.LBB643_113:
	s_or_b64 exec, exec, s[30:31]
	s_and_b64 s[34:35], s[34:35], exec
	s_and_b64 s[30:31], s[36:37], exec
.LBB643_114:
	s_or_b64 exec, exec, s[28:29]
	s_and_b64 s[28:29], s[34:35], exec
	s_and_b64 s[30:31], s[30:31], exec
.LBB643_115:
	s_or_b64 exec, exec, s[26:27]
	s_and_b64 s[28:29], s[28:29], exec
	s_and_b64 s[26:27], s[30:31], exec
.LBB643_116:
	s_or_b64 exec, exec, s[24:25]
	s_and_b64 s[24:25], s[28:29], exec
	s_and_b64 s[26:27], s[26:27], exec
.LBB643_117:
	s_or_b64 exec, exec, s[22:23]
	s_and_b64 s[24:25], s[24:25], exec
	s_and_b64 s[22:23], s[26:27], exec
.LBB643_118:
	s_or_b64 exec, exec, s[20:21]
	s_and_b64 s[20:21], s[24:25], exec
	s_and_b64 s[22:23], s[22:23], exec
.LBB643_119:
	s_or_b64 exec, exec, s[18:19]
	s_and_b64 s[20:21], s[20:21], exec
	s_and_b64 s[18:19], s[22:23], exec
.LBB643_120:
	s_or_b64 exec, exec, s[16:17]
	s_and_b64 s[16:17], s[20:21], exec
	s_and_b64 s[18:19], s[18:19], exec
.LBB643_121:
	s_or_b64 exec, exec, s[14:15]
	s_and_b64 s[16:17], s[16:17], exec
	s_and_b64 s[14:15], s[18:19], exec
.LBB643_122:
	s_or_b64 exec, exec, s[12:13]
	s_and_b64 s[12:13], s[16:17], exec
	s_and_b64 s[14:15], s[14:15], exec
.LBB643_123:
	s_or_b64 exec, exec, s[10:11]
	s_and_b64 s[12:13], s[12:13], exec
	s_and_b64 s[10:11], s[14:15], exec
.LBB643_124:
	s_or_b64 exec, exec, s[8:9]
	s_and_b64 s[8:9], s[12:13], exec
	s_and_b64 s[10:11], s[10:11], exec
.LBB643_125:
	s_or_b64 exec, exec, s[6:7]
	s_and_b64 vcc, exec, s[4:5]
	v_lshlrev_b32_e32 v26, 1, v0
	s_cbranch_vccnz .LBB643_127
	s_branch .LBB643_132
.LBB643_126:
	s_mov_b64 s[10:11], 0
                                        ; implicit-def: $sgpr8_sgpr9
                                        ; implicit-def: $vgpr41
                                        ; implicit-def: $vgpr1
                                        ; implicit-def: $vgpr18
                                        ; implicit-def: $vgpr25
                                        ; implicit-def: $vgpr19
                                        ; implicit-def: $vgpr27
                                        ; implicit-def: $vgpr20
                                        ; implicit-def: $vgpr28
                                        ; implicit-def: $vgpr21
                                        ; implicit-def: $vgpr29
                                        ; implicit-def: $vgpr30
                                        ; implicit-def: $vgpr31
                                        ; implicit-def: $vgpr32
                                        ; implicit-def: $vgpr33
                                        ; implicit-def: $vgpr34
                                        ; implicit-def: $vgpr35
                                        ; implicit-def: $vgpr36
                                        ; implicit-def: $vgpr37
                                        ; implicit-def: $vgpr22
                                        ; implicit-def: $vgpr38
                                        ; implicit-def: $vgpr23
                                        ; implicit-def: $vgpr39
                                        ; implicit-def: $vgpr24
                                        ; implicit-def: $vgpr40
                                        ; implicit-def: $sgpr3
	s_and_b64 vcc, exec, s[4:5]
	v_lshlrev_b32_e32 v26, 1, v0
	s_cbranch_vccz .LBB643_132
.LBB643_127:
	v_mov_b32_e32 v27, 0
	v_lshl_add_u64 v[2:3], s[72:73], 0, v[26:27]
	v_add_co_u32_e32 v4, vcc, 0x1000, v2
	flat_load_ushort v1, v[2:3]
	flat_load_ushort v6, v[2:3] offset:512
	flat_load_ushort v7, v[2:3] offset:1024
	;; [unrolled: 1-line block ×7, first 2 shown]
	v_addc_co_u32_e32 v5, vcc, 0, v3, vcc
	v_add_co_u32_e32 v2, vcc, 0x2000, v2
	flat_load_ushort v13, v[4:5]
	flat_load_ushort v14, v[4:5] offset:512
	flat_load_ushort v15, v[4:5] offset:1024
	;; [unrolled: 1-line block ×7, first 2 shown]
	v_addc_co_u32_e32 v3, vcc, 0, v3, vcc
	flat_load_ushort v4, v[2:3]
	flat_load_ushort v5, v[2:3] offset:512
	flat_load_ushort v21, v[2:3] offset:1024
	;; [unrolled: 1-line block ×7, first 2 shown]
	v_mov_b32_e32 v2, s72
	v_mov_b32_e32 v3, s73
	v_add_co_u32_e32 v2, vcc, 0x3000, v2
	s_movk_i32 s4, 0xffd2
	s_nop 0
	v_addc_co_u32_e32 v3, vcc, 0, v3, vcc
	s_movk_i32 s6, 0x1000
	s_movk_i32 s3, 0x2000
	s_waitcnt vmcnt(0) lgkmcnt(0)
	ds_write_b16 v26, v1
	ds_write_b16 v26, v6 offset:512
	ds_write_b16 v26, v7 offset:1024
	;; [unrolled: 1-line block ×23, first 2 shown]
	s_waitcnt lgkmcnt(0)
	s_barrier
	flat_load_ushort v41, v[2:3]
	v_mad_u32_u24 v1, v0, 46, v26
	ds_read_b128 v[10:13], v1
	ds_read_b128 v[6:9], v1 offset:16
	ds_read_b128 v[2:5], v1 offset:32
	v_mad_i32_i24 v14, v0, s4, v1
	s_movk_i32 s4, 0xff
	v_cmp_ne_u32_e32 vcc, s4, v0
	s_waitcnt lgkmcnt(0)
	ds_write_b16 v14, v10 offset:12800
	s_waitcnt lgkmcnt(0)
	s_barrier
	s_and_saveexec_b64 s[4:5], vcc
	s_cbranch_execz .LBB643_129
; %bb.128:
	s_waitcnt vmcnt(0)
	ds_read_u16 v41, v26 offset:12802
.LBB643_129:
	s_or_b64 exec, exec, s[4:5]
	v_lshl_add_u64 v[14:15], s[70:71], 0, v[26:27]
	v_add_co_u32_e32 v16, vcc, s6, v14
	s_waitcnt lgkmcnt(0)
	s_nop 0
	v_addc_co_u32_e32 v17, vcc, 0, v15, vcc
	s_barrier
	flat_load_ushort v18, v[14:15]
	flat_load_ushort v19, v[14:15] offset:512
	flat_load_ushort v20, v[14:15] offset:1024
	;; [unrolled: 1-line block ×7, first 2 shown]
	v_add_co_u32_e32 v14, vcc, s3, v14
	flat_load_ushort v28, v[16:17]
	flat_load_ushort v29, v[16:17] offset:512
	flat_load_ushort v30, v[16:17] offset:1024
	flat_load_ushort v31, v[16:17] offset:1536
	flat_load_ushort v32, v[16:17] offset:2048
	flat_load_ushort v33, v[16:17] offset:2560
	flat_load_ushort v34, v[16:17] offset:3072
	flat_load_ushort v35, v[16:17] offset:3584
	v_addc_co_u32_e32 v15, vcc, 0, v15, vcc
	flat_load_ushort v16, v[14:15]
	flat_load_ushort v17, v[14:15] offset:512
	flat_load_ushort v36, v[14:15] offset:1024
	;; [unrolled: 1-line block ×7, first 2 shown]
	v_cmp_eq_u16_sdwa s[6:7], v10, v10 src0_sel:DWORD src1_sel:WORD_1
	s_waitcnt vmcnt(0) lgkmcnt(0)
	ds_write_b16 v26, v18
	ds_write_b16 v26, v19 offset:512
	ds_write_b16 v26, v20 offset:1024
	ds_write_b16 v26, v21 offset:1536
	ds_write_b16 v26, v22 offset:2048
	ds_write_b16 v26, v23 offset:2560
	ds_write_b16 v26, v24 offset:3072
	ds_write_b16 v26, v25 offset:3584
	ds_write_b16 v26, v28 offset:4096
	ds_write_b16 v26, v29 offset:4608
	ds_write_b16 v26, v30 offset:5120
	ds_write_b16 v26, v31 offset:5632
	ds_write_b16 v26, v32 offset:6144
	ds_write_b16 v26, v33 offset:6656
	ds_write_b16 v26, v34 offset:7168
	ds_write_b16 v26, v35 offset:7680
	ds_write_b16 v26, v16 offset:8192
	ds_write_b16 v26, v17 offset:8704
	ds_write_b16 v26, v36 offset:9216
	ds_write_b16 v26, v37 offset:9728
	ds_write_b16 v26, v38 offset:10240
	ds_write_b16 v26, v39 offset:10752
	ds_write_b16 v26, v40 offset:11264
	ds_write_b16 v26, v42 offset:11776
	s_waitcnt lgkmcnt(0)
	s_barrier
	ds_read_b128 v[18:21], v1 offset:2
	ds_read_b128 v[14:17], v1 offset:18
	ds_read_b96 v[22:24], v1 offset:34
	ds_read_u16 v42, v1 offset:46
	v_mov_b32_e32 v25, 0x10000
	v_mov_b32_e32 v28, s78
	s_and_saveexec_b64 s[4:5], s[6:7]
	s_cbranch_execz .LBB643_131
; %bb.130:
	ds_read_u16 v28, v1
	v_mov_b32_e32 v25, v27
.LBB643_131:
	s_or_b64 exec, exec, s[4:5]
	v_mov_b32_e32 v43, s78
	v_cmp_eq_u16_sdwa vcc, v10, v11 src0_sel:WORD_1 src1_sel:DWORD
	s_waitcnt lgkmcnt(3)
	v_lshrrev_b32_e32 v27, 16, v18
	v_cmp_ne_u16_sdwa s[4:5], v10, v11 src0_sel:WORD_1 src1_sel:DWORD
	v_cndmask_b32_e32 v18, v43, v18, vcc
	v_and_b32_e32 v18, 0xffff, v18
	v_cndmask_b32_e64 v10, 0, 1, s[4:5]
	v_cmp_eq_u16_sdwa vcc, v11, v11 src0_sel:DWORD src1_sel:WORD_1
	v_lshl_or_b32 v18, v10, 16, v18
	v_cmp_ne_u16_sdwa s[4:5], v11, v11 src0_sel:DWORD src1_sel:WORD_1
	v_cndmask_b32_e32 v10, v43, v27, vcc
	s_waitcnt lgkmcnt(0)
	v_or_b32_sdwa v1, v25, v28 dst_sel:DWORD dst_unused:UNUSED_PAD src0_sel:DWORD src1_sel:WORD_0
	v_and_b32_e32 v10, 0xffff, v10
	v_cndmask_b32_e64 v25, 0, 1, s[4:5]
	v_cmp_eq_u16_sdwa vcc, v11, v12 src0_sel:WORD_1 src1_sel:DWORD
	v_lshl_or_b32 v25, v25, 16, v10
	v_cmp_ne_u16_sdwa s[4:5], v11, v12 src0_sel:WORD_1 src1_sel:DWORD
	v_cndmask_b32_e32 v10, v43, v19, vcc
	v_lshrrev_b32_e32 v29, 16, v19
	v_and_b32_e32 v10, 0xffff, v10
	v_cndmask_b32_e64 v11, 0, 1, s[4:5]
	v_cmp_eq_u16_sdwa vcc, v12, v12 src0_sel:DWORD src1_sel:WORD_1
	v_lshl_or_b32 v19, v11, 16, v10
	v_cmp_ne_u16_sdwa s[4:5], v12, v12 src0_sel:DWORD src1_sel:WORD_1
	v_cndmask_b32_e32 v10, v43, v29, vcc
	v_and_b32_e32 v10, 0xffff, v10
	v_cndmask_b32_e64 v11, 0, 1, s[4:5]
	v_cmp_eq_u16_sdwa vcc, v12, v13 src0_sel:WORD_1 src1_sel:DWORD
	v_lshl_or_b32 v27, v11, 16, v10
	v_cmp_ne_u16_sdwa s[4:5], v12, v13 src0_sel:WORD_1 src1_sel:DWORD
	v_cndmask_b32_e32 v10, v43, v20, vcc
	v_lshrrev_b32_e32 v30, 16, v20
	v_and_b32_e32 v10, 0xffff, v10
	v_cndmask_b32_e64 v11, 0, 1, s[4:5]
	v_cmp_eq_u16_sdwa vcc, v13, v13 src0_sel:DWORD src1_sel:WORD_1
	v_lshl_or_b32 v20, v11, 16, v10
	v_cmp_ne_u16_sdwa s[4:5], v13, v13 src0_sel:DWORD src1_sel:WORD_1
	v_cndmask_b32_e32 v10, v43, v30, vcc
	;; [unrolled: 13-line block ×10, first 2 shown]
	v_and_b32_e32 v2, 0xffff, v2
	v_cndmask_b32_e64 v3, 0, 1, s[4:5]
	v_cmp_ne_u16_sdwa s[8:9], v5, v41 src0_sel:WORD_1 src1_sel:DWORD
	v_lshl_or_b32 v40, v3, 16, v2
	s_mov_b64 s[10:11], -1
	v_cndmask_b32_e64 v41, v42, v43, s[8:9]
                                        ; implicit-def: $sgpr3
.LBB643_132:
	v_mov_b32_e32 v12, s3
	s_and_saveexec_b64 s[4:5], s[10:11]
; %bb.133:
	v_mov_b32_e32 v2, 0x10000
	v_cndmask_b32_e64 v2, 0, v2, s[8:9]
	v_or_b32_sdwa v12, v2, v41 dst_sel:DWORD dst_unused:UNUSED_PAD src0_sel:DWORD src1_sel:WORD_0
; %bb.134:
	s_or_b64 exec, exec, s[4:5]
	v_or3_b32 v2, v12, v40, v24
	s_cmp_lg_u32 s2, 0
	v_or3_b32 v14, v2, v39, v23
	v_mbcnt_lo_u32_b32 v13, -1, 0
	s_barrier
	s_cbranch_scc0 .LBB643_223
; %bb.135:
	s_mov_b32 s3, 0x10000
	v_cmp_gt_u32_e64 s[50:51], s3, v18
	v_cmp_gt_u32_e64 s[4:5], s3, v25
	v_cmp_gt_u32_e64 s[6:7], s3, v19
	v_cndmask_b32_e64 v2, 0, v1, s[50:51]
	v_add_u16_e32 v2, v2, v18
	v_cndmask_b32_e64 v2, 0, v2, s[4:5]
	v_add_u16_e32 v2, v2, v25
	v_cndmask_b32_e64 v2, 0, v2, s[6:7]
	v_add_u16_e32 v2, v2, v19
	v_cmp_gt_u32_e64 s[8:9], s3, v27
	v_cmp_gt_u32_e64 s[10:11], s3, v20
	v_cmp_gt_u32_e64 s[12:13], s3, v28
	v_cndmask_b32_e64 v2, 0, v2, s[8:9]
	v_add_u16_e32 v2, v2, v27
	v_cndmask_b32_e64 v2, 0, v2, s[10:11]
	v_add_u16_e32 v2, v2, v20
	v_cndmask_b32_e64 v2, 0, v2, s[12:13]
	v_add_u16_e32 v2, v2, v28
	;; [unrolled: 9-line block ×5, first 2 shown]
	v_cmp_gt_u32_e64 s[34:35], s3, v37
	v_cmp_gt_u32_e64 s[36:37], s3, v22
	;; [unrolled: 1-line block ×3, first 2 shown]
	v_cndmask_b32_e64 v2, 0, v2, s[34:35]
	v_add_u16_e32 v2, v2, v37
	v_cndmask_b32_e64 v2, 0, v2, s[36:37]
	v_add_u16_e32 v2, v2, v22
	v_cndmask_b32_e64 v2, 0, v2, s[38:39]
	v_or3_b32 v5, v14, v38, v22
	v_add_u16_e32 v2, v2, v38
	v_cmp_gt_u32_e64 s[40:41], s3, v23
	v_or3_b32 v5, v5, v37, v36
	v_or3_b32 v5, v5, v35, v34
	v_cndmask_b32_e64 v2, 0, v2, s[40:41]
	v_add_u16_e32 v2, v2, v23
	v_cmp_gt_u32_e64 s[42:43], s3, v39
	v_or3_b32 v5, v5, v33, v32
	v_or3_b32 v5, v5, v31, v30
	v_cndmask_b32_e64 v2, 0, v2, s[42:43]
	;; [unrolled: 5-line block ×4, first 2 shown]
	v_add_u16_e32 v2, v2, v40
	v_cmp_gt_u32_e32 vcc, s3, v12
	v_and_b32_e32 v5, 0x10000, v5
	v_and_b32_e32 v3, 0x10000, v1
	v_cndmask_b32_e32 v4, 0, v2, vcc
	v_mov_b32_e32 v6, 0x10000
	v_cmp_ne_u32_e32 vcc, 0, v5
	v_add_u16_e32 v2, v4, v12
	v_add_u16_e32 v4, v4, v12
	v_cndmask_b32_e32 v6, v3, v6, vcc
	v_mbcnt_hi_u32_b32 v5, -1, v13
	v_and_b32_e32 v7, 15, v5
	v_or_b32_e32 v4, v6, v4
	v_lshrrev_b32_e32 v3, 16, v6
	v_cmp_ne_u32_e32 vcc, 0, v7
	v_mov_b32_dpp v8, v4 row_shr:1 row_mask:0xf bank_mask:0xf
	s_and_saveexec_b64 s[48:49], vcc
	s_cbranch_execz .LBB643_137
; %bb.136:
	v_cmp_eq_u32_e32 vcc, 0, v6
	v_and_b32_e32 v3, 0x10000, v6
	v_mov_b32_e32 v6, 1
	v_cndmask_b32_e32 v4, 0, v8, vcc
	v_and_b32_sdwa v6, v8, v6 dst_sel:DWORD dst_unused:UNUSED_PAD src0_sel:WORD_1 src1_sel:DWORD
	v_cmp_ne_u32_e32 vcc, 0, v3
	v_add_u16_e32 v9, v4, v2
	v_add_u16_e32 v2, v4, v2
	v_cndmask_b32_e64 v3, v6, 1, vcc
	v_lshlrev_b32_e32 v6, 16, v3
	v_or_b32_e32 v4, v6, v2
	v_mov_b32_e32 v2, v9
.LBB643_137:
	s_or_b64 exec, exec, s[48:49]
	v_lshrrev_b32_e32 v6, 16, v4
	v_mov_b32_dpp v8, v4 row_shr:2 row_mask:0xf bank_mask:0xf
	v_cmp_lt_u32_e32 vcc, 1, v7
	s_and_saveexec_b64 s[48:49], vcc
	s_cbranch_execz .LBB643_139
; %bb.138:
	v_cmp_gt_u32_e32 vcc, s3, v4
	v_and_b32_e32 v3, 0x10000, v4
	v_mov_b32_e32 v4, 1
	v_cndmask_b32_e32 v6, 0, v8, vcc
	v_and_b32_sdwa v4, v8, v4 dst_sel:DWORD dst_unused:UNUSED_PAD src0_sel:WORD_1 src1_sel:DWORD
	v_cmp_ne_u32_e32 vcc, 0, v3
	v_add_u16_e32 v9, v6, v2
	v_add_u16_e32 v2, v6, v2
	v_cndmask_b32_e64 v3, v4, 1, vcc
	v_lshlrev_b32_e32 v4, 16, v3
	v_or_b32_e32 v4, v4, v2
	v_mov_b32_e32 v6, v3
	v_mov_b32_e32 v2, v9
.LBB643_139:
	s_or_b64 exec, exec, s[48:49]
	v_mov_b32_dpp v8, v4 row_shr:4 row_mask:0xf bank_mask:0xf
	v_cmp_lt_u32_e32 vcc, 3, v7
	s_and_saveexec_b64 s[48:49], vcc
	s_cbranch_execz .LBB643_141
; %bb.140:
	v_cmp_eq_u16_e32 vcc, 0, v6
	v_and_b32_e32 v3, 1, v6
	v_mov_b32_e32 v6, 1
	v_cndmask_b32_e32 v4, 0, v8, vcc
	v_and_b32_sdwa v6, v8, v6 dst_sel:DWORD dst_unused:UNUSED_PAD src0_sel:WORD_1 src1_sel:DWORD
	v_cmp_eq_u32_e32 vcc, 1, v3
	v_add_u16_e32 v9, v4, v2
	v_add_u16_e32 v2, v4, v2
	v_cndmask_b32_e64 v3, v6, 1, vcc
	v_lshlrev_b32_e32 v6, 16, v3
	v_or_b32_e32 v4, v6, v2
	v_mov_b32_e32 v6, v3
	v_mov_b32_e32 v2, v9
.LBB643_141:
	s_or_b64 exec, exec, s[48:49]
	v_mov_b32_dpp v8, v4 row_shr:8 row_mask:0xf bank_mask:0xf
	v_cmp_lt_u32_e32 vcc, 7, v7
	s_and_saveexec_b64 s[48:49], vcc
	s_cbranch_execz .LBB643_143
; %bb.142:
	v_cmp_eq_u16_e32 vcc, 0, v6
	v_and_b32_e32 v3, 1, v6
	v_mov_b32_e32 v6, 1
	v_cndmask_b32_e32 v4, 0, v8, vcc
	v_and_b32_sdwa v6, v8, v6 dst_sel:DWORD dst_unused:UNUSED_PAD src0_sel:WORD_1 src1_sel:DWORD
	v_cmp_eq_u32_e32 vcc, 1, v3
	v_add_u16_e32 v7, v4, v2
	v_add_u16_e32 v2, v4, v2
	v_cndmask_b32_e64 v3, v6, 1, vcc
	v_lshlrev_b32_e32 v6, 16, v3
	v_or_b32_e32 v4, v6, v2
	v_mov_b32_e32 v6, v3
	v_mov_b32_e32 v2, v7
.LBB643_143:
	s_or_b64 exec, exec, s[48:49]
	v_and_b32_e32 v8, 16, v5
	v_mov_b32_dpp v7, v4 row_bcast:15 row_mask:0xf bank_mask:0xf
	v_cmp_ne_u32_e32 vcc, 0, v8
	s_and_saveexec_b64 s[48:49], vcc
	s_cbranch_execz .LBB643_145
; %bb.144:
	v_cmp_eq_u16_e32 vcc, 0, v6
	v_and_b32_e32 v3, 1, v6
	v_mov_b32_e32 v6, 1
	v_cndmask_b32_e32 v4, 0, v7, vcc
	v_and_b32_sdwa v6, v7, v6 dst_sel:DWORD dst_unused:UNUSED_PAD src0_sel:WORD_1 src1_sel:DWORD
	v_cmp_eq_u32_e32 vcc, 1, v3
	v_add_u16_e32 v8, v4, v2
	v_add_u16_e32 v2, v4, v2
	v_cndmask_b32_e64 v3, v6, 1, vcc
	v_lshlrev_b32_e32 v6, 16, v3
	v_or_b32_e32 v4, v6, v2
	v_mov_b32_e32 v6, v3
	v_mov_b32_e32 v2, v8
.LBB643_145:
	s_or_b64 exec, exec, s[48:49]
	v_mov_b32_dpp v4, v4 row_bcast:31 row_mask:0xf bank_mask:0xf
	v_cmp_lt_u32_e32 vcc, 31, v5
	s_and_saveexec_b64 s[48:49], vcc
; %bb.146:
	v_cmp_eq_u16_e32 vcc, 0, v6
	s_nop 1
	v_cndmask_b32_e32 v3, 0, v4, vcc
	v_add_u16_e32 v2, v3, v2
	v_and_b32_e32 v3, 1, v6
	v_mov_b32_e32 v6, 1
	v_and_b32_sdwa v4, v4, v6 dst_sel:DWORD dst_unused:UNUSED_PAD src0_sel:WORD_1 src1_sel:DWORD
	v_cmp_eq_u32_e32 vcc, 1, v3
	s_nop 1
	v_cndmask_b32_e64 v3, v4, 1, vcc
; %bb.147:
	s_or_b64 exec, exec, s[48:49]
	v_or_b32_e32 v6, 63, v0
	v_lshrrev_b32_e32 v4, 6, v0
	v_cmp_eq_u32_e32 vcc, v6, v0
	s_and_saveexec_b64 s[48:49], vcc
	s_cbranch_execz .LBB643_149
; %bb.148:
	v_lshlrev_b32_e32 v6, 2, v4
	ds_write_b16 v6, v2
	ds_write_b8 v6, v3 offset:2
.LBB643_149:
	s_or_b64 exec, exec, s[48:49]
	v_cmp_gt_u32_e32 vcc, 4, v0
	s_waitcnt lgkmcnt(0)
	s_barrier
	s_and_saveexec_b64 s[48:49], vcc
	s_cbranch_execz .LBB643_155
; %bb.150:
	v_lshlrev_b32_e32 v6, 2, v0
	ds_read_b32 v7, v6
	v_and_b32_e32 v10, 3, v5
	v_cmp_ne_u32_e32 vcc, 0, v10
	s_waitcnt lgkmcnt(0)
	v_lshrrev_b32_e32 v9, 16, v7
	v_mov_b32_dpp v11, v7 row_shr:1 row_mask:0xf bank_mask:0xf
	v_mov_b32_e32 v8, v7
	s_and_saveexec_b64 s[52:53], vcc
	s_cbranch_execz .LBB643_152
; %bb.151:
	v_mov_b32_e32 v8, 0
	v_cmp_eq_u16_sdwa vcc, v9, v8 src0_sel:BYTE_0 src1_sel:DWORD
	v_and_b32_e32 v9, 0x10000, v7
	v_mov_b32_e32 v17, 1
	v_cndmask_b32_e32 v16, 0, v11, vcc
	v_and_b32_sdwa v11, v11, v17 dst_sel:DWORD dst_unused:UNUSED_PAD src0_sel:WORD_1 src1_sel:DWORD
	v_cmp_ne_u32_e32 vcc, 0, v9
	v_and_b32_e32 v15, 0xff000000, v7
	v_add_u16_e32 v8, v16, v7
	v_cndmask_b32_e64 v9, v11, 1, vcc
	v_lshlrev_b32_e32 v11, 16, v9
	v_add_u16_e32 v7, v16, v7
	v_or3_b32 v7, v11, v15, v7
.LBB643_152:
	s_or_b64 exec, exec, s[52:53]
	s_nop 0
	v_mov_b32_dpp v11, v7 row_shr:2 row_mask:0xf bank_mask:0xf
	v_cmp_lt_u32_e32 vcc, 1, v10
	s_and_saveexec_b64 s[52:53], vcc
; %bb.153:
	v_and_b32_e32 v9, 0xff0000, v7
	v_cmp_eq_u32_e32 vcc, 0, v9
	v_and_b32_e32 v7, 0x10000, v7
	s_nop 0
	v_cndmask_b32_e32 v9, 0, v11, vcc
	v_add_u16_e32 v8, v9, v8
	v_mov_b32_e32 v9, 1
	v_and_b32_sdwa v9, v11, v9 dst_sel:DWORD dst_unused:UNUSED_PAD src0_sel:WORD_1 src1_sel:DWORD
	v_cmp_eq_u32_e32 vcc, 0, v7
	s_nop 1
	v_cndmask_b32_e32 v9, 1, v9, vcc
; %bb.154:
	s_or_b64 exec, exec, s[52:53]
	ds_write_b16 v6, v8
	ds_write_b8 v6, v9 offset:2
.LBB643_155:
	s_or_b64 exec, exec, s[48:49]
	v_cmp_gt_u32_e32 vcc, 64, v0
	v_cmp_lt_u32_e64 s[48:49], 63, v0
	v_mov_b32_e32 v15, 0
	v_mov_b32_e32 v16, 0
	s_waitcnt lgkmcnt(0)
	s_barrier
	s_and_saveexec_b64 s[52:53], s[48:49]
	s_cbranch_execz .LBB643_157
; %bb.156:
	v_lshl_add_u32 v4, v4, 2, -4
	ds_read_u16 v15, v4
	ds_read_u8 v16, v4 offset:2
	v_and_b32_e32 v6, 1, v3
	v_cmp_eq_u16_e64 s[48:49], 0, v3
	s_waitcnt lgkmcnt(1)
	s_nop 0
	v_cndmask_b32_e64 v3, 0, v15, s[48:49]
	v_cmp_eq_u32_e64 s[48:49], 1, v6
	v_add_u16_e32 v2, v3, v2
	s_waitcnt lgkmcnt(0)
	v_cndmask_b32_e64 v3, v16, 1, s[48:49]
.LBB643_157:
	s_or_b64 exec, exec, s[52:53]
	v_and_b32_e32 v3, 0xff, v3
	v_and_b32_e32 v2, 0xffff, v2
	v_lshl_or_b32 v2, v3, 16, v2
	v_add_u32_e32 v3, -1, v5
	v_and_b32_e32 v4, 64, v5
	v_cmp_lt_i32_e64 s[48:49], v3, v4
	s_nop 1
	v_cndmask_b32_e64 v3, v3, v5, s[48:49]
	v_lshlrev_b32_e32 v3, 2, v3
	ds_bpermute_b32 v17, v3, v2
	v_cmp_eq_u32_e64 s[48:49], 0, v5
	s_and_saveexec_b64 s[52:53], vcc
	s_cbranch_execz .LBB643_200
; %bb.158:
	v_mov_b32_e32 v9, 0
	ds_read_b32 v2, v9 offset:12
	s_and_saveexec_b64 s[60:61], s[48:49]
	s_cbranch_execz .LBB643_160
; %bb.159:
	s_add_i32 s70, s2, 64
	s_mov_b32 s71, 0
	s_lshl_b64 s[70:71], s[70:71], 3
	s_add_u32 s70, s56, s70
	v_mov_b32_e32 v3, 1
	s_addc_u32 s71, s57, s71
	s_waitcnt lgkmcnt(0)
	global_store_dwordx2 v9, v[2:3], s[70:71] sc1
.LBB643_160:
	s_or_b64 exec, exec, s[60:61]
	v_xad_u32 v4, v5, -1, s2
	v_add_u32_e32 v8, 64, v4
	v_lshl_add_u64 v[10:11], v[8:9], 3, s[56:57]
	global_load_dwordx2 v[6:7], v[10:11], off sc1
	s_waitcnt vmcnt(0)
	v_cmp_eq_u16_sdwa s[70:71], v7, v9 src0_sel:BYTE_0 src1_sel:DWORD
	s_and_saveexec_b64 s[60:61], s[70:71]
	s_cbranch_execz .LBB643_164
; %bb.161:
	s_mov_b64 s[70:71], 0
	v_mov_b32_e32 v3, 0
.LBB643_162:                            ; =>This Inner Loop Header: Depth=1
	global_load_dwordx2 v[6:7], v[10:11], off sc1
	s_waitcnt vmcnt(0)
	v_cmp_ne_u16_sdwa s[72:73], v7, v3 src0_sel:BYTE_0 src1_sel:DWORD
	s_or_b64 s[70:71], s[72:73], s[70:71]
	s_andn2_b64 exec, exec, s[70:71]
	s_cbranch_execnz .LBB643_162
; %bb.163:
	s_or_b64 exec, exec, s[70:71]
.LBB643_164:
	s_or_b64 exec, exec, s[60:61]
	v_mov_b32_e32 v3, 2
	v_cmp_eq_u16_sdwa s[60:61], v7, v3 src0_sel:BYTE_0 src1_sel:DWORD
	v_lshlrev_b64 v[8:9], v5, -1
	v_and_b32_e32 v52, 0xffffff, v6
	v_and_b32_e32 v3, s61, v9
	v_or_b32_e32 v3, 0x80000000, v3
	v_ffbl_b32_e32 v3, v3
	v_add_u32_e32 v11, 32, v3
	v_and_b32_e32 v3, 63, v5
	v_cmp_ne_u32_e32 vcc, 63, v3
	v_and_b32_e32 v10, s60, v8
	v_ffbl_b32_e32 v10, v10
	v_addc_co_u32_e32 v41, vcc, 0, v5, vcc
	v_lshlrev_b32_e32 v41, 2, v41
	ds_bpermute_b32 v42, v41, v52
	v_min_u32_e32 v11, v10, v11
	v_lshrrev_b32_e32 v10, 16, v6
	v_cmp_lt_u32_e32 vcc, v3, v11
	v_bfe_u32 v50, v6, 16, 8
	s_and_saveexec_b64 s[60:61], vcc
	s_cbranch_execz .LBB643_166
; %bb.165:
	v_and_b32_e32 v10, 0xff0000, v6
	v_cmp_eq_u32_e32 vcc, 0, v10
	v_and_b32_e32 v10, 0x10000, v10
	v_mov_b32_e32 v45, 1
	s_waitcnt lgkmcnt(0)
	v_cndmask_b32_e32 v43, 0, v42, vcc
	v_and_b32_sdwa v42, v42, v45 dst_sel:DWORD dst_unused:UNUSED_PAD src0_sel:WORD_1 src1_sel:DWORD
	v_cmp_ne_u32_e32 vcc, 0, v10
	v_add_u16_e32 v44, v43, v6
	v_add_u16_e32 v6, v43, v6
	v_cndmask_b32_e64 v10, v42, 1, vcc
	v_lshlrev_b32_e32 v42, 16, v10
	v_or_b32_e32 v52, v42, v6
	v_mov_b32_e32 v6, v44
	v_mov_b32_e32 v50, v10
.LBB643_166:
	s_or_b64 exec, exec, s[60:61]
	v_cmp_gt_u32_e32 vcc, 62, v3
	v_add_u32_e32 v43, 2, v3
	s_waitcnt lgkmcnt(0)
	v_cndmask_b32_e64 v42, 0, 1, vcc
	v_lshlrev_b32_e32 v42, 1, v42
	v_add_lshl_u32 v42, v42, v5, 2
	ds_bpermute_b32 v44, v42, v52
	v_cmp_le_u32_e32 vcc, v43, v11
	s_and_saveexec_b64 s[60:61], vcc
	s_cbranch_execz .LBB643_168
; %bb.167:
	v_cmp_eq_u16_e32 vcc, 0, v50
	v_and_b32_e32 v10, 1, v50
	v_mov_b32_e32 v47, 1
	s_waitcnt lgkmcnt(0)
	v_cndmask_b32_e32 v45, 0, v44, vcc
	v_and_b32_sdwa v44, v44, v47 dst_sel:DWORD dst_unused:UNUSED_PAD src0_sel:WORD_1 src1_sel:DWORD
	v_cmp_eq_u32_e32 vcc, 1, v10
	v_add_u16_e32 v46, v45, v6
	v_add_u16_e32 v6, v45, v6
	v_cndmask_b32_e64 v10, v44, 1, vcc
	v_lshlrev_b32_e32 v44, 16, v10
	v_or_b32_e32 v52, v44, v6
	v_mov_b32_e32 v6, v46
	v_mov_b32_e32 v50, v10
.LBB643_168:
	s_or_b64 exec, exec, s[60:61]
	v_cmp_gt_u32_e32 vcc, 60, v3
	v_add_u32_e32 v45, 4, v3
	s_waitcnt lgkmcnt(0)
	v_cndmask_b32_e64 v44, 0, 1, vcc
	v_lshlrev_b32_e32 v44, 2, v44
	v_add_lshl_u32 v44, v44, v5, 2
	ds_bpermute_b32 v46, v44, v52
	v_cmp_le_u32_e32 vcc, v45, v11
	s_and_saveexec_b64 s[60:61], vcc
	s_cbranch_execz .LBB643_170
; %bb.169:
	v_cmp_eq_u16_e32 vcc, 0, v50
	v_and_b32_e32 v10, 1, v50
	v_mov_b32_e32 v49, 1
	s_waitcnt lgkmcnt(0)
	v_cndmask_b32_e32 v47, 0, v46, vcc
	v_and_b32_sdwa v46, v46, v49 dst_sel:DWORD dst_unused:UNUSED_PAD src0_sel:WORD_1 src1_sel:DWORD
	v_cmp_eq_u32_e32 vcc, 1, v10
	v_add_u16_e32 v48, v47, v6
	v_add_u16_e32 v6, v47, v6
	v_cndmask_b32_e64 v10, v46, 1, vcc
	v_lshlrev_b32_e32 v46, 16, v10
	v_or_b32_e32 v52, v46, v6
	v_mov_b32_e32 v6, v48
	v_mov_b32_e32 v50, v10
.LBB643_170:
	;; [unrolled: 27-line block ×4, first 2 shown]
	s_or_b64 exec, exec, s[60:61]
	v_cmp_gt_u32_e32 vcc, 32, v3
	v_add_u32_e32 v53, 32, v3
	s_waitcnt lgkmcnt(0)
	v_cndmask_b32_e64 v51, 0, 1, vcc
	v_lshlrev_b32_e32 v51, 5, v51
	v_add_lshl_u32 v51, v51, v5, 2
	ds_bpermute_b32 v5, v51, v52
	v_cmp_le_u32_e32 vcc, v53, v11
	s_and_saveexec_b64 s[60:61], vcc
	s_cbranch_execz .LBB643_176
; %bb.175:
	v_cmp_eq_u16_e32 vcc, 0, v50
	v_mov_b32_e32 v11, 1
	s_waitcnt lgkmcnt(0)
	v_cndmask_b32_e32 v10, 0, v5, vcc
	v_add_u16_e32 v6, v10, v6
	v_and_b32_e32 v10, 1, v50
	v_and_b32_sdwa v5, v5, v11 dst_sel:DWORD dst_unused:UNUSED_PAD src0_sel:WORD_1 src1_sel:DWORD
	v_cmp_eq_u32_e32 vcc, 1, v10
	s_nop 1
	v_cndmask_b32_e64 v10, v5, 1, vcc
.LBB643_176:
	s_or_b64 exec, exec, s[60:61]
	s_waitcnt lgkmcnt(0)
	v_mov_b32_e32 v5, 0
	v_mov_b32_e32 v54, 2
	;; [unrolled: 1-line block ×3, first 2 shown]
	s_branch .LBB643_178
.LBB643_177:                            ;   in Loop: Header=BB643_178 Depth=1
	s_or_b64 exec, exec, s[60:61]
	v_cmp_eq_u16_sdwa vcc, v50, v5 src0_sel:BYTE_0 src1_sel:DWORD
	v_and_b32_e32 v10, 1, v50
	v_and_b32_e32 v11, 1, v11
	v_cndmask_b32_e32 v6, 0, v6, vcc
	v_cmp_eq_u32_e32 vcc, 1, v10
	v_subrev_u32_e32 v4, 64, v4
	v_add_u16_e32 v6, v6, v52
	v_cndmask_b32_e64 v10, v11, 1, vcc
.LBB643_178:                            ; =>This Loop Header: Depth=1
                                        ;     Child Loop BB643_181 Depth 2
	v_cmp_ne_u16_sdwa s[60:61], v7, v54 src0_sel:BYTE_0 src1_sel:DWORD
	v_mov_b32_e32 v50, v10
	v_mov_b32_e32 v52, v6
	v_cndmask_b32_e64 v7, 0, 1, s[60:61]
	;;#ASMSTART
	;;#ASMEND
	s_nop 0
	v_cmp_ne_u32_e32 vcc, 0, v7
	s_cmp_lg_u64 vcc, exec
	s_cbranch_scc1 .LBB643_195
; %bb.179:                              ;   in Loop: Header=BB643_178 Depth=1
	v_lshl_add_u64 v[10:11], v[4:5], 3, s[56:57]
	global_load_dwordx2 v[6:7], v[10:11], off sc1
	s_waitcnt vmcnt(0)
	v_cmp_eq_u16_sdwa s[70:71], v7, v5 src0_sel:BYTE_0 src1_sel:DWORD
	s_and_saveexec_b64 s[60:61], s[70:71]
	s_cbranch_execz .LBB643_183
; %bb.180:                              ;   in Loop: Header=BB643_178 Depth=1
	s_mov_b64 s[70:71], 0
.LBB643_181:                            ;   Parent Loop BB643_178 Depth=1
                                        ; =>  This Inner Loop Header: Depth=2
	global_load_dwordx2 v[6:7], v[10:11], off sc1
	s_waitcnt vmcnt(0)
	v_cmp_ne_u16_sdwa s[72:73], v7, v5 src0_sel:BYTE_0 src1_sel:DWORD
	s_or_b64 s[70:71], s[72:73], s[70:71]
	s_andn2_b64 exec, exec, s[70:71]
	s_cbranch_execnz .LBB643_181
; %bb.182:                              ;   in Loop: Header=BB643_178 Depth=1
	s_or_b64 exec, exec, s[70:71]
.LBB643_183:                            ;   in Loop: Header=BB643_178 Depth=1
	s_or_b64 exec, exec, s[60:61]
	v_cmp_eq_u16_sdwa s[60:61], v7, v54 src0_sel:BYTE_0 src1_sel:DWORD
	s_waitcnt lgkmcnt(0)
	v_and_b32_e32 v57, 0xffffff, v6
	ds_bpermute_b32 v58, v41, v57
	v_and_b32_e32 v10, s61, v9
	v_or_b32_e32 v10, 0x80000000, v10
	v_and_b32_e32 v11, s60, v8
	v_ffbl_b32_e32 v10, v10
	v_add_u32_e32 v10, 32, v10
	v_ffbl_b32_e32 v11, v11
	v_min_u32_e32 v10, v11, v10
	v_lshrrev_b32_e32 v11, 16, v6
	v_cmp_lt_u32_e32 vcc, v3, v10
	v_bfe_u32 v56, v6, 16, 8
	s_and_saveexec_b64 s[60:61], vcc
	s_cbranch_execz .LBB643_185
; %bb.184:                              ;   in Loop: Header=BB643_178 Depth=1
	v_and_b32_e32 v11, 0xff0000, v6
	v_cmp_eq_u32_e32 vcc, 0, v11
	v_and_b32_e32 v11, 0x10000, v11
	s_waitcnt lgkmcnt(0)
	v_and_b32_sdwa v57, v58, v55 dst_sel:DWORD dst_unused:UNUSED_PAD src0_sel:WORD_1 src1_sel:DWORD
	v_cndmask_b32_e32 v56, 0, v58, vcc
	v_cmp_ne_u32_e32 vcc, 0, v11
	v_add_u16_e32 v59, v56, v6
	v_add_u16_e32 v6, v56, v6
	v_cndmask_b32_e64 v11, v57, 1, vcc
	v_lshlrev_b32_e32 v57, 16, v11
	v_or_b32_e32 v57, v57, v6
	v_mov_b32_e32 v6, v59
	v_mov_b32_e32 v56, v11
.LBB643_185:                            ;   in Loop: Header=BB643_178 Depth=1
	s_or_b64 exec, exec, s[60:61]
	s_waitcnt lgkmcnt(0)
	ds_bpermute_b32 v58, v42, v57
	v_cmp_le_u32_e32 vcc, v43, v10
	s_and_saveexec_b64 s[60:61], vcc
	s_cbranch_execz .LBB643_187
; %bb.186:                              ;   in Loop: Header=BB643_178 Depth=1
	v_cmp_eq_u16_e32 vcc, 0, v56
	v_and_b32_e32 v11, 1, v56
	s_waitcnt lgkmcnt(0)
	v_and_b32_sdwa v56, v58, v55 dst_sel:DWORD dst_unused:UNUSED_PAD src0_sel:WORD_1 src1_sel:DWORD
	v_cndmask_b32_e32 v57, 0, v58, vcc
	v_cmp_eq_u32_e32 vcc, 1, v11
	v_add_u16_e32 v59, v57, v6
	v_add_u16_e32 v6, v57, v6
	v_cndmask_b32_e64 v11, v56, 1, vcc
	v_lshlrev_b32_e32 v56, 16, v11
	v_or_b32_e32 v57, v56, v6
	v_mov_b32_e32 v6, v59
	v_mov_b32_e32 v56, v11
.LBB643_187:                            ;   in Loop: Header=BB643_178 Depth=1
	s_or_b64 exec, exec, s[60:61]
	s_waitcnt lgkmcnt(0)
	ds_bpermute_b32 v58, v44, v57
	v_cmp_le_u32_e32 vcc, v45, v10
	s_and_saveexec_b64 s[60:61], vcc
	s_cbranch_execz .LBB643_189
; %bb.188:                              ;   in Loop: Header=BB643_178 Depth=1
	v_cmp_eq_u16_e32 vcc, 0, v56
	v_and_b32_e32 v11, 1, v56
	s_waitcnt lgkmcnt(0)
	v_and_b32_sdwa v56, v58, v55 dst_sel:DWORD dst_unused:UNUSED_PAD src0_sel:WORD_1 src1_sel:DWORD
	v_cndmask_b32_e32 v57, 0, v58, vcc
	v_cmp_eq_u32_e32 vcc, 1, v11
	v_add_u16_e32 v59, v57, v6
	v_add_u16_e32 v6, v57, v6
	v_cndmask_b32_e64 v11, v56, 1, vcc
	v_lshlrev_b32_e32 v56, 16, v11
	v_or_b32_e32 v57, v56, v6
	v_mov_b32_e32 v6, v59
	v_mov_b32_e32 v56, v11
.LBB643_189:                            ;   in Loop: Header=BB643_178 Depth=1
	s_or_b64 exec, exec, s[60:61]
	s_waitcnt lgkmcnt(0)
	ds_bpermute_b32 v58, v46, v57
	v_cmp_le_u32_e32 vcc, v47, v10
	s_and_saveexec_b64 s[60:61], vcc
	s_cbranch_execz .LBB643_191
; %bb.190:                              ;   in Loop: Header=BB643_178 Depth=1
	v_cmp_eq_u16_e32 vcc, 0, v56
	v_and_b32_e32 v11, 1, v56
	s_waitcnt lgkmcnt(0)
	v_and_b32_sdwa v56, v58, v55 dst_sel:DWORD dst_unused:UNUSED_PAD src0_sel:WORD_1 src1_sel:DWORD
	v_cndmask_b32_e32 v57, 0, v58, vcc
	v_cmp_eq_u32_e32 vcc, 1, v11
	v_add_u16_e32 v59, v57, v6
	v_add_u16_e32 v6, v57, v6
	v_cndmask_b32_e64 v11, v56, 1, vcc
	v_lshlrev_b32_e32 v56, 16, v11
	v_or_b32_e32 v57, v56, v6
	v_mov_b32_e32 v6, v59
	v_mov_b32_e32 v56, v11
.LBB643_191:                            ;   in Loop: Header=BB643_178 Depth=1
	s_or_b64 exec, exec, s[60:61]
	s_waitcnt lgkmcnt(0)
	ds_bpermute_b32 v58, v48, v57
	v_cmp_le_u32_e32 vcc, v49, v10
	s_and_saveexec_b64 s[60:61], vcc
	s_cbranch_execz .LBB643_193
; %bb.192:                              ;   in Loop: Header=BB643_178 Depth=1
	v_cmp_eq_u16_e32 vcc, 0, v56
	v_and_b32_e32 v11, 1, v56
	s_waitcnt lgkmcnt(0)
	v_and_b32_sdwa v56, v58, v55 dst_sel:DWORD dst_unused:UNUSED_PAD src0_sel:WORD_1 src1_sel:DWORD
	v_cndmask_b32_e32 v57, 0, v58, vcc
	v_cmp_eq_u32_e32 vcc, 1, v11
	v_add_u16_e32 v59, v57, v6
	v_add_u16_e32 v6, v57, v6
	v_cndmask_b32_e64 v11, v56, 1, vcc
	v_lshlrev_b32_e32 v56, 16, v11
	v_or_b32_e32 v57, v56, v6
	v_mov_b32_e32 v6, v59
	v_mov_b32_e32 v56, v11
.LBB643_193:                            ;   in Loop: Header=BB643_178 Depth=1
	s_or_b64 exec, exec, s[60:61]
	ds_bpermute_b32 v57, v51, v57
	v_cmp_le_u32_e32 vcc, v53, v10
	s_and_saveexec_b64 s[60:61], vcc
	s_cbranch_execz .LBB643_177
; %bb.194:                              ;   in Loop: Header=BB643_178 Depth=1
	v_cmp_eq_u16_e32 vcc, 0, v56
	s_waitcnt lgkmcnt(0)
	v_lshrrev_b32_e32 v11, 16, v57
	v_cndmask_b32_e32 v10, 0, v57, vcc
	v_add_u16_e32 v6, v10, v6
	v_and_b32_e32 v10, 1, v56
	v_cmp_eq_u32_e32 vcc, 1, v10
	s_nop 1
	v_cndmask_b32_e64 v11, v11, 1, vcc
	s_branch .LBB643_177
.LBB643_195:                            ;   in Loop: Header=BB643_178 Depth=1
                                        ; implicit-def: $vgpr10
                                        ; implicit-def: $vgpr6
	s_cbranch_execz .LBB643_178
; %bb.196:
	s_and_saveexec_b64 s[60:61], s[48:49]
	s_cbranch_execz .LBB643_198
; %bb.197:
	v_and_b32_e32 v3, 0xff0000, v2
	s_mov_b32 s3, 0
	v_cmp_eq_u32_e32 vcc, 0, v3
	v_and_b32_e32 v4, 0x10000, v2
	v_mov_b32_e32 v5, 1
	s_add_i32 s2, s2, 64
	v_cndmask_b32_e32 v3, 0, v52, vcc
	v_and_b32_sdwa v5, v50, v5 dst_sel:WORD_1 dst_unused:UNUSED_PAD src0_sel:DWORD src1_sel:DWORD
	v_mov_b32_e32 v6, 0x10000
	v_cmp_eq_u32_e32 vcc, 0, v4
	s_lshl_b64 s[2:3], s[2:3], 3
	s_add_u32 s2, s56, s2
	v_cndmask_b32_e32 v4, v6, v5, vcc
	v_add_u16_e32 v2, v3, v2
	s_addc_u32 s3, s57, s3
	v_mov_b32_e32 v5, 0
	v_or_b32_e32 v2, v4, v2
	v_mov_b32_e32 v3, 2
	global_store_dwordx2 v5, v[2:3], s[2:3] sc1
.LBB643_198:
	s_or_b64 exec, exec, s[60:61]
	v_cmp_eq_u32_e32 vcc, 0, v0
	s_and_b64 exec, exec, vcc
	s_cbranch_execz .LBB643_200
; %bb.199:
	v_mov_b32_e32 v2, 0
	ds_write_b16 v2, v52 offset:12
	ds_write_b8 v2, v50 offset:14
.LBB643_200:
	s_or_b64 exec, exec, s[52:53]
	v_mov_b32_e32 v2, 0
	s_waitcnt lgkmcnt(0)
	s_barrier
	ds_read_b32 v3, v2 offset:12
	v_lshrrev_b32_e32 v4, 16, v17
	v_cndmask_b32_e64 v4, v4, v16, s[48:49]
	v_cmp_eq_u16_sdwa vcc, v4, v2 src0_sel:BYTE_0 src1_sel:DWORD
	v_cndmask_b32_e64 v5, v17, v15, s[48:49]
	s_waitcnt lgkmcnt(0)
	v_cndmask_b32_e32 v2, 0, v3, vcc
	v_add_u16_e32 v2, v2, v5
	v_cmp_eq_u32_e32 vcc, 0, v0
	s_nop 1
	v_cndmask_b32_e32 v6, v2, v3, vcc
	v_and_b32_e32 v2, 0xff0000, v1
	v_cmp_eq_u32_e32 vcc, 0, v2
	s_nop 1
	v_cndmask_b32_e32 v2, 0, v6, vcc
	v_add_u16_e32 v4, v2, v1
	v_cndmask_b32_e64 v2, 0, v4, s[50:51]
	v_add_u16_e32 v5, v2, v18
	v_cndmask_b32_e64 v2, 0, v5, s[4:5]
	;; [unrolled: 2-line block ×22, first 2 shown]
	v_add_u16_e32 v53, v2, v40
	s_branch .LBB643_251
.LBB643_201:
	s_or_b64 exec, exec, s[52:53]
                                        ; implicit-def: $vgpr50
	s_and_saveexec_b64 s[52:53], s[50:51]
	s_cbranch_execz .LBB643_53
.LBB643_202:
	v_mov_b32_e32 v37, 0
	v_lshl_add_u64 v[50:51], s[70:71], 0, v[36:37]
	flat_load_ushort v50, v[50:51] offset:512
	s_or_b64 exec, exec, s[52:53]
                                        ; implicit-def: $vgpr51
	s_and_saveexec_b64 s[50:51], s[4:5]
	s_cbranch_execnz .LBB643_54
.LBB643_203:
	s_or_b64 exec, exec, s[50:51]
                                        ; implicit-def: $vgpr52
	s_and_saveexec_b64 s[4:5], s[6:7]
	s_cbranch_execz .LBB643_55
.LBB643_204:
	v_mov_b32_e32 v37, 0
	v_lshl_add_u64 v[52:53], s[70:71], 0, v[36:37]
	flat_load_ushort v52, v[52:53] offset:1536
	s_or_b64 exec, exec, s[4:5]
                                        ; implicit-def: $vgpr53
	s_and_saveexec_b64 s[4:5], s[8:9]
	s_cbranch_execnz .LBB643_56
.LBB643_205:
	s_or_b64 exec, exec, s[4:5]
                                        ; implicit-def: $vgpr54
	s_and_saveexec_b64 s[4:5], s[10:11]
	s_cbranch_execz .LBB643_57
.LBB643_206:
	v_mov_b32_e32 v37, 0
	v_lshl_add_u64 v[54:55], s[70:71], 0, v[36:37]
	flat_load_ushort v54, v[54:55] offset:2560
	s_or_b64 exec, exec, s[4:5]
                                        ; implicit-def: $vgpr55
	s_and_saveexec_b64 s[4:5], s[12:13]
	s_cbranch_execnz .LBB643_58
.LBB643_207:
	s_or_b64 exec, exec, s[4:5]
                                        ; implicit-def: $vgpr37
	s_and_saveexec_b64 s[4:5], s[14:15]
	s_cbranch_execz .LBB643_59
.LBB643_208:
	v_mov_b32_e32 v37, 0
	v_lshl_add_u64 v[56:57], s[70:71], 0, v[36:37]
	flat_load_ushort v37, v[56:57] offset:3584
	s_or_b64 exec, exec, s[4:5]
                                        ; implicit-def: $vgpr15
	s_and_saveexec_b64 s[4:5], s[16:17]
	s_cbranch_execnz .LBB643_60
.LBB643_209:
	s_or_b64 exec, exec, s[4:5]
                                        ; implicit-def: $vgpr14
	s_and_saveexec_b64 s[4:5], s[18:19]
	s_cbranch_execz .LBB643_61
.LBB643_210:
	v_mov_b32_e32 v17, 0
	v_lshl_add_u64 v[16:17], s[70:71], 0, v[16:17]
	flat_load_ushort v14, v[16:17]
	s_or_b64 exec, exec, s[4:5]
                                        ; implicit-def: $vgpr16
	s_and_saveexec_b64 s[4:5], s[20:21]
	s_cbranch_execnz .LBB643_62
.LBB643_211:
	s_or_b64 exec, exec, s[4:5]
                                        ; implicit-def: $vgpr17
	s_and_saveexec_b64 s[4:5], s[22:23]
	s_cbranch_execz .LBB643_63
.LBB643_212:
	v_mov_b32_e32 v21, 0
	v_lshl_add_u64 v[18:19], s[70:71], 0, v[20:21]
	flat_load_ushort v17, v[18:19]
	s_or_b64 exec, exec, s[4:5]
                                        ; implicit-def: $vgpr18
	s_and_saveexec_b64 s[4:5], s[24:25]
	s_cbranch_execnz .LBB643_64
.LBB643_213:
	s_or_b64 exec, exec, s[4:5]
                                        ; implicit-def: $vgpr19
	s_and_saveexec_b64 s[4:5], s[26:27]
	s_cbranch_execz .LBB643_65
.LBB643_214:
	v_mov_b32_e32 v25, 0
	v_lshl_add_u64 v[20:21], s[70:71], 0, v[24:25]
	flat_load_ushort v19, v[20:21]
	s_or_b64 exec, exec, s[4:5]
                                        ; implicit-def: $vgpr20
	s_and_saveexec_b64 s[4:5], s[28:29]
	s_cbranch_execnz .LBB643_66
.LBB643_215:
	s_or_b64 exec, exec, s[4:5]
                                        ; implicit-def: $vgpr21
	s_and_saveexec_b64 s[4:5], s[30:31]
	s_cbranch_execz .LBB643_67
.LBB643_216:
	v_mov_b32_e32 v29, 0
	v_lshl_add_u64 v[22:23], s[70:71], 0, v[28:29]
	flat_load_ushort v21, v[22:23]
	s_or_b64 exec, exec, s[4:5]
                                        ; implicit-def: $vgpr22
	s_and_saveexec_b64 s[4:5], s[34:35]
	s_cbranch_execnz .LBB643_68
.LBB643_217:
	s_or_b64 exec, exec, s[4:5]
                                        ; implicit-def: $vgpr23
	s_and_saveexec_b64 s[4:5], s[36:37]
	s_cbranch_execz .LBB643_69
.LBB643_218:
	v_mov_b32_e32 v33, 0
	v_lshl_add_u64 v[24:25], s[70:71], 0, v[32:33]
	flat_load_ushort v23, v[24:25]
	s_or_b64 exec, exec, s[4:5]
                                        ; implicit-def: $vgpr24
	s_and_saveexec_b64 s[4:5], s[38:39]
	s_cbranch_execnz .LBB643_70
.LBB643_219:
	s_or_b64 exec, exec, s[4:5]
                                        ; implicit-def: $vgpr25
	s_and_saveexec_b64 s[4:5], s[40:41]
	s_cbranch_execz .LBB643_71
.LBB643_220:
	v_mov_b32_e32 v39, 0
	v_lshl_add_u64 v[26:27], s[70:71], 0, v[38:39]
	flat_load_ushort v25, v[26:27]
	s_or_b64 exec, exec, s[4:5]
                                        ; implicit-def: $vgpr27
	s_and_saveexec_b64 s[4:5], s[42:43]
	s_cbranch_execnz .LBB643_72
.LBB643_221:
	s_or_b64 exec, exec, s[4:5]
                                        ; implicit-def: $vgpr28
	s_and_saveexec_b64 s[4:5], s[44:45]
	s_cbranch_execz .LBB643_73
.LBB643_222:
	v_mov_b32_e32 v43, 0
	v_lshl_add_u64 v[28:29], s[70:71], 0, v[42:43]
	flat_load_ushort v28, v[28:29]
	s_or_b64 exec, exec, s[4:5]
                                        ; implicit-def: $vgpr29
	s_and_saveexec_b64 s[4:5], s[46:47]
	s_cbranch_execz .LBB643_75
	s_branch .LBB643_74
.LBB643_223:
                                        ; implicit-def: $vgpr6
                                        ; implicit-def: $vgpr4
                                        ; implicit-def: $vgpr5
                                        ; implicit-def: $vgpr7
                                        ; implicit-def: $vgpr8
                                        ; implicit-def: $vgpr9
                                        ; implicit-def: $vgpr11
                                        ; implicit-def: $vgpr16
                                        ; implicit-def: $vgpr10
                                        ; implicit-def: $vgpr15
                                        ; implicit-def: $vgpr17
                                        ; implicit-def: $vgpr41
                                        ; implicit-def: $vgpr42
                                        ; implicit-def: $vgpr43
                                        ; implicit-def: $vgpr45
                                        ; implicit-def: $vgpr47
                                        ; implicit-def: $vgpr44
                                        ; implicit-def: $vgpr46
                                        ; implicit-def: $vgpr48
                                        ; implicit-def: $vgpr49
                                        ; implicit-def: $vgpr50
                                        ; implicit-def: $vgpr51
                                        ; implicit-def: $vgpr52
                                        ; implicit-def: $vgpr53
	s_cbranch_execz .LBB643_251
; %bb.224:
	s_cmp_lg_u64 s[68:69], 0
	s_cselect_b32 s3, s63, 0
	s_cselect_b32 s2, s62, 0
	s_cmp_eq_u64 s[2:3], 0
	v_mov_b32_e32 v2, s78
	s_cbranch_scc1 .LBB643_226
; %bb.225:
	v_mov_b32_e32 v2, 0
	global_load_ushort v2, v2, s[2:3]
.LBB643_226:
	s_mov_b32 s46, 0x10000
	v_cmp_gt_u32_e32 vcc, s46, v18
	v_cmp_gt_u32_e64 s[2:3], s46, v25
	v_cmp_gt_u32_e64 s[4:5], s46, v19
	v_cndmask_b32_e32 v3, 0, v1, vcc
	v_add_u16_e32 v3, v3, v18
	v_cndmask_b32_e64 v3, 0, v3, s[2:3]
	v_add_u16_e32 v3, v3, v25
	v_cndmask_b32_e64 v3, 0, v3, s[4:5]
	v_add_u16_e32 v3, v3, v19
	v_cmp_gt_u32_e64 s[6:7], s46, v27
	v_cmp_gt_u32_e64 s[8:9], s46, v20
	v_cmp_gt_u32_e64 s[10:11], s46, v28
	v_cndmask_b32_e64 v3, 0, v3, s[6:7]
	v_add_u16_e32 v3, v3, v27
	v_cndmask_b32_e64 v3, 0, v3, s[8:9]
	v_add_u16_e32 v3, v3, v20
	v_cndmask_b32_e64 v3, 0, v3, s[10:11]
	v_add_u16_e32 v3, v3, v28
	v_cmp_gt_u32_e64 s[12:13], s46, v21
	v_cmp_gt_u32_e64 s[14:15], s46, v29
	v_cmp_gt_u32_e64 s[16:17], s46, v30
	v_cndmask_b32_e64 v3, 0, v3, s[12:13]
	;; [unrolled: 9-line block ×5, first 2 shown]
	v_add_u16_e32 v3, v3, v37
	v_cndmask_b32_e64 v3, 0, v3, s[34:35]
	v_add_u16_e32 v3, v3, v22
	v_cndmask_b32_e64 v3, 0, v3, s[36:37]
	v_or3_b32 v6, v14, v38, v22
	v_add_u16_e32 v3, v3, v38
	v_cmp_gt_u32_e64 s[38:39], s46, v23
	v_or3_b32 v6, v6, v37, v36
	v_or3_b32 v6, v6, v35, v34
	v_cndmask_b32_e64 v3, 0, v3, s[38:39]
	v_add_u16_e32 v3, v3, v23
	v_cmp_gt_u32_e64 s[40:41], s46, v39
	v_or3_b32 v6, v6, v33, v32
	v_or3_b32 v6, v6, v31, v30
	v_cndmask_b32_e64 v3, 0, v3, s[40:41]
	;; [unrolled: 5-line block ×4, first 2 shown]
	v_add_u16_e32 v3, v3, v40
	v_cmp_gt_u32_e64 s[46:47], s46, v12
	v_and_b32_e32 v6, 0x10000, v6
	v_and_b32_e32 v5, 0x10000, v1
	v_cndmask_b32_e64 v3, 0, v3, s[46:47]
	v_mov_b32_e32 v7, 0x10000
	v_cmp_ne_u32_e64 s[46:47], 0, v6
	v_add_u16_e32 v4, v3, v12
	v_add_u16_e32 v6, v3, v12
	v_cndmask_b32_e64 v7, v5, v7, s[46:47]
	v_mbcnt_hi_u32_b32 v3, -1, v13
	v_and_b32_e32 v8, 15, v3
	v_or_b32_e32 v6, v7, v6
	v_lshrrev_b32_e32 v5, 16, v7
	v_cmp_ne_u32_e64 s[46:47], 0, v8
	v_mov_b32_dpp v9, v6 row_shr:1 row_mask:0xf bank_mask:0xf
	s_and_saveexec_b64 s[48:49], s[46:47]
	s_cbranch_execz .LBB643_228
; %bb.227:
	v_cmp_eq_u32_e64 s[46:47], 0, v7
	v_and_b32_e32 v5, 0x10000, v7
	v_mov_b32_e32 v7, 1
	v_cndmask_b32_e64 v6, 0, v9, s[46:47]
	v_and_b32_sdwa v7, v9, v7 dst_sel:DWORD dst_unused:UNUSED_PAD src0_sel:WORD_1 src1_sel:DWORD
	v_cmp_ne_u32_e64 s[46:47], 0, v5
	v_add_u16_e32 v10, v6, v4
	v_add_u16_e32 v4, v6, v4
	v_cndmask_b32_e64 v5, v7, 1, s[46:47]
	v_lshlrev_b32_e32 v7, 16, v5
	v_or_b32_e32 v6, v7, v4
	v_mov_b32_e32 v4, v10
.LBB643_228:
	s_or_b64 exec, exec, s[48:49]
	v_lshrrev_b32_e32 v7, 16, v6
	v_mov_b32_dpp v9, v6 row_shr:2 row_mask:0xf bank_mask:0xf
	v_cmp_lt_u32_e64 s[46:47], 1, v8
	s_and_saveexec_b64 s[48:49], s[46:47]
	s_cbranch_execz .LBB643_230
; %bb.229:
	s_mov_b32 s46, 0x10000
	v_cmp_gt_u32_e64 s[46:47], s46, v6
	v_and_b32_e32 v5, 0x10000, v6
	v_mov_b32_e32 v6, 1
	v_cndmask_b32_e64 v7, 0, v9, s[46:47]
	v_and_b32_sdwa v6, v9, v6 dst_sel:DWORD dst_unused:UNUSED_PAD src0_sel:WORD_1 src1_sel:DWORD
	v_cmp_ne_u32_e64 s[46:47], 0, v5
	v_add_u16_e32 v10, v7, v4
	v_add_u16_e32 v4, v7, v4
	v_cndmask_b32_e64 v5, v6, 1, s[46:47]
	v_lshlrev_b32_e32 v6, 16, v5
	v_or_b32_e32 v6, v6, v4
	v_mov_b32_e32 v7, v5
	v_mov_b32_e32 v4, v10
.LBB643_230:
	s_or_b64 exec, exec, s[48:49]
	v_mov_b32_dpp v9, v6 row_shr:4 row_mask:0xf bank_mask:0xf
	v_cmp_lt_u32_e64 s[46:47], 3, v8
	s_and_saveexec_b64 s[48:49], s[46:47]
	s_cbranch_execz .LBB643_232
; %bb.231:
	v_cmp_eq_u16_e64 s[46:47], 0, v7
	v_and_b32_e32 v5, 1, v7
	v_mov_b32_e32 v7, 1
	v_cndmask_b32_e64 v6, 0, v9, s[46:47]
	v_and_b32_sdwa v7, v9, v7 dst_sel:DWORD dst_unused:UNUSED_PAD src0_sel:WORD_1 src1_sel:DWORD
	v_cmp_eq_u32_e64 s[46:47], 1, v5
	v_add_u16_e32 v10, v6, v4
	v_add_u16_e32 v4, v6, v4
	v_cndmask_b32_e64 v5, v7, 1, s[46:47]
	v_lshlrev_b32_e32 v7, 16, v5
	v_or_b32_e32 v6, v7, v4
	v_mov_b32_e32 v7, v5
	v_mov_b32_e32 v4, v10
.LBB643_232:
	s_or_b64 exec, exec, s[48:49]
	v_mov_b32_dpp v9, v6 row_shr:8 row_mask:0xf bank_mask:0xf
	v_cmp_lt_u32_e64 s[46:47], 7, v8
	s_and_saveexec_b64 s[48:49], s[46:47]
	s_cbranch_execz .LBB643_234
; %bb.233:
	v_cmp_eq_u16_e64 s[46:47], 0, v7
	v_and_b32_e32 v5, 1, v7
	v_mov_b32_e32 v7, 1
	v_cndmask_b32_e64 v6, 0, v9, s[46:47]
	v_and_b32_sdwa v7, v9, v7 dst_sel:DWORD dst_unused:UNUSED_PAD src0_sel:WORD_1 src1_sel:DWORD
	v_cmp_eq_u32_e64 s[46:47], 1, v5
	v_add_u16_e32 v8, v6, v4
	v_add_u16_e32 v4, v6, v4
	v_cndmask_b32_e64 v5, v7, 1, s[46:47]
	v_lshlrev_b32_e32 v7, 16, v5
	v_or_b32_e32 v6, v7, v4
	v_mov_b32_e32 v7, v5
	v_mov_b32_e32 v4, v8
.LBB643_234:
	s_or_b64 exec, exec, s[48:49]
	v_and_b32_e32 v9, 16, v3
	v_mov_b32_dpp v8, v6 row_bcast:15 row_mask:0xf bank_mask:0xf
	v_cmp_ne_u32_e64 s[46:47], 0, v9
	s_and_saveexec_b64 s[48:49], s[46:47]
	s_cbranch_execz .LBB643_236
; %bb.235:
	v_cmp_eq_u16_e64 s[46:47], 0, v7
	v_and_b32_e32 v5, 1, v7
	v_mov_b32_e32 v7, 1
	v_cndmask_b32_e64 v6, 0, v8, s[46:47]
	v_and_b32_sdwa v7, v8, v7 dst_sel:DWORD dst_unused:UNUSED_PAD src0_sel:WORD_1 src1_sel:DWORD
	v_cmp_eq_u32_e64 s[46:47], 1, v5
	v_add_u16_e32 v9, v6, v4
	v_add_u16_e32 v4, v6, v4
	v_cndmask_b32_e64 v5, v7, 1, s[46:47]
	v_lshlrev_b32_e32 v7, 16, v5
	v_or_b32_e32 v6, v7, v4
	v_mov_b32_e32 v7, v5
	v_mov_b32_e32 v4, v9
.LBB643_236:
	s_or_b64 exec, exec, s[48:49]
	v_mov_b32_dpp v6, v6 row_bcast:31 row_mask:0xf bank_mask:0xf
	v_cmp_lt_u32_e64 s[46:47], 31, v3
	s_and_saveexec_b64 s[48:49], s[46:47]
; %bb.237:
	v_cmp_eq_u16_e64 s[46:47], 0, v7
	s_nop 1
	v_cndmask_b32_e64 v5, 0, v6, s[46:47]
	v_add_u16_e32 v4, v5, v4
	v_and_b32_e32 v5, 1, v7
	v_mov_b32_e32 v7, 1
	v_and_b32_sdwa v6, v6, v7 dst_sel:DWORD dst_unused:UNUSED_PAD src0_sel:WORD_1 src1_sel:DWORD
	v_cmp_eq_u32_e64 s[46:47], 1, v5
	s_nop 1
	v_cndmask_b32_e64 v5, v6, 1, s[46:47]
; %bb.238:
	s_or_b64 exec, exec, s[48:49]
	v_or_b32_e32 v7, 63, v0
	v_lshrrev_b32_e32 v6, 6, v0
	v_cmp_eq_u32_e64 s[46:47], v7, v0
	s_and_saveexec_b64 s[48:49], s[46:47]
	s_cbranch_execz .LBB643_240
; %bb.239:
	v_lshlrev_b32_e32 v7, 2, v6
	ds_write_b16 v7, v4
	ds_write_b8 v7, v5 offset:2
.LBB643_240:
	s_or_b64 exec, exec, s[48:49]
	v_cmp_gt_u32_e64 s[46:47], 4, v0
	s_waitcnt lgkmcnt(0)
	s_barrier
	s_and_saveexec_b64 s[48:49], s[46:47]
	s_cbranch_execz .LBB643_246
; %bb.241:
	v_lshlrev_b32_e32 v7, 2, v0
	ds_read_b32 v8, v7
	v_and_b32_e32 v11, 3, v3
	v_cmp_ne_u32_e64 s[46:47], 0, v11
	s_waitcnt lgkmcnt(0)
	v_lshrrev_b32_e32 v10, 16, v8
	v_mov_b32_dpp v12, v8 row_shr:1 row_mask:0xf bank_mask:0xf
	v_mov_b32_e32 v9, v8
	s_and_saveexec_b64 s[50:51], s[46:47]
	s_cbranch_execz .LBB643_243
; %bb.242:
	v_mov_b32_e32 v9, 0
	v_cmp_eq_u16_sdwa s[46:47], v10, v9 src0_sel:BYTE_0 src1_sel:DWORD
	v_and_b32_e32 v10, 0x10000, v8
	v_mov_b32_e32 v15, 1
	v_cndmask_b32_e64 v14, 0, v12, s[46:47]
	v_and_b32_sdwa v12, v12, v15 dst_sel:DWORD dst_unused:UNUSED_PAD src0_sel:WORD_1 src1_sel:DWORD
	v_cmp_ne_u32_e64 s[46:47], 0, v10
	v_and_b32_e32 v13, 0xff000000, v8
	v_add_u16_e32 v9, v14, v8
	v_cndmask_b32_e64 v10, v12, 1, s[46:47]
	v_lshlrev_b32_e32 v12, 16, v10
	v_add_u16_e32 v8, v14, v8
	v_or3_b32 v8, v12, v13, v8
.LBB643_243:
	s_or_b64 exec, exec, s[50:51]
	s_nop 0
	v_mov_b32_dpp v12, v8 row_shr:2 row_mask:0xf bank_mask:0xf
	v_cmp_lt_u32_e64 s[46:47], 1, v11
	s_and_saveexec_b64 s[50:51], s[46:47]
; %bb.244:
	v_and_b32_e32 v10, 0xff0000, v8
	v_cmp_eq_u32_e64 s[46:47], 0, v10
	v_and_b32_e32 v8, 0x10000, v8
	s_nop 0
	v_cndmask_b32_e64 v10, 0, v12, s[46:47]
	v_add_u16_e32 v9, v10, v9
	v_mov_b32_e32 v10, 1
	v_and_b32_sdwa v10, v12, v10 dst_sel:DWORD dst_unused:UNUSED_PAD src0_sel:WORD_1 src1_sel:DWORD
	v_cmp_eq_u32_e64 s[46:47], 0, v8
	s_nop 1
	v_cndmask_b32_e64 v10, 1, v10, s[46:47]
; %bb.245:
	s_or_b64 exec, exec, s[50:51]
	ds_write_b16 v7, v9
	ds_write_b8 v7, v10 offset:2
.LBB643_246:
	s_or_b64 exec, exec, s[48:49]
	v_cmp_lt_u32_e64 s[46:47], 63, v0
	v_mov_b32_e32 v8, 0
	s_waitcnt vmcnt(0)
	v_mov_b32_e32 v7, v2
	s_waitcnt lgkmcnt(0)
	s_barrier
	s_and_saveexec_b64 s[48:49], s[46:47]
	s_cbranch_execz .LBB643_248
; %bb.247:
	v_lshl_add_u32 v6, v6, 2, -4
	ds_read_u8 v8, v6 offset:2
	ds_read_u16 v6, v6
	s_waitcnt lgkmcnt(1)
	v_cmp_eq_u16_e64 s[46:47], 0, v8
	s_nop 1
	v_cndmask_b32_e64 v7, 0, v2, s[46:47]
	s_waitcnt lgkmcnt(0)
	v_add_u16_e32 v7, v7, v6
.LBB643_248:
	s_or_b64 exec, exec, s[48:49]
	v_cmp_eq_u16_e64 s[46:47], 0, v5
	v_and_b32_e32 v5, 1, v5
	v_lshlrev_b32_e32 v8, 16, v8
	v_cndmask_b32_e64 v6, 0, v7, s[46:47]
	v_mov_b32_e32 v9, 0x10000
	v_cmp_eq_u32_e64 s[46:47], 1, v5
	v_add_u16_e32 v4, v6, v4
	v_and_b32_e32 v6, 64, v3
	v_cndmask_b32_e64 v5, v8, v9, s[46:47]
	v_or_b32_e32 v4, v5, v4
	v_add_u32_e32 v5, -1, v3
	v_cmp_lt_i32_e64 s[46:47], v5, v6
	s_nop 1
	v_cndmask_b32_e64 v5, v5, v3, s[46:47]
	v_lshlrev_b32_e32 v5, 2, v5
	ds_bpermute_b32 v4, v5, v4
	v_cmp_eq_u32_e64 s[46:47], 0, v3
	s_waitcnt lgkmcnt(0)
	s_nop 0
	v_cndmask_b32_e64 v6, v4, v7, s[46:47]
	v_cmp_eq_u32_e64 s[46:47], 0, v0
	v_and_b32_e32 v4, 0xff0000, v1
	v_cmp_eq_u32_e64 s[48:49], 0, v4
	v_cndmask_b32_e64 v3, v6, v2, s[46:47]
	s_nop 0
	v_cndmask_b32_e64 v3, 0, v3, s[48:49]
	v_add_u16_e32 v4, v3, v1
	v_cndmask_b32_e32 v1, 0, v4, vcc
	v_add_u16_e32 v5, v1, v18
	v_cndmask_b32_e64 v1, 0, v5, s[2:3]
	v_add_u16_e32 v7, v1, v25
	v_cndmask_b32_e64 v1, 0, v7, s[4:5]
	;; [unrolled: 2-line block ×21, first 2 shown]
	s_and_saveexec_b64 s[2:3], s[46:47]
	s_cbranch_execz .LBB643_250
; %bb.249:
	v_mov_b32_e32 v3, 0
	ds_read_u8 v6, v3 offset:14
	ds_read_u16 v12, v3 offset:12
	v_mov_b32_e32 v13, 2
	s_waitcnt lgkmcnt(1)
	v_cmp_eq_u32_e32 vcc, 0, v6
	v_lshlrev_b32_e32 v14, 16, v6
	s_nop 0
	v_cndmask_b32_e32 v6, 0, v2, vcc
	s_waitcnt lgkmcnt(0)
	v_add_u32_e32 v6, v6, v12
	v_or_b32_sdwa v12, v14, v6 dst_sel:DWORD dst_unused:UNUSED_PAD src0_sel:DWORD src1_sel:WORD_0
	v_mov_b32_e32 v6, v2
	global_store_dwordx2 v3, v[12:13], s[56:57] offset:512 sc1
.LBB643_250:
	s_or_b64 exec, exec, s[2:3]
	v_add_u16_e32 v53, v1, v40
.LBB643_251:
	s_add_u32 s2, s54, s64
	s_addc_u32 s3, s55, s65
	s_add_u32 s2, s2, s66
	v_mul_u32_u24_e32 v1, 24, v0
	s_addc_u32 s3, s3, s67
	s_and_b64 vcc, exec, s[0:1]
	v_lshlrev_b32_e32 v12, 1, v1
	s_cbranch_vccz .LBB643_299
; %bb.252:
	s_mov_b32 s0, 0x5040100
	v_perm_b32 v21, v16, v11, s0
	v_perm_b32 v20, v9, v8, s0
	;; [unrolled: 1-line block ×4, first 2 shown]
	s_barrier
	ds_write_b128 v12, v[18:21]
	v_perm_b32 v21, v47, v45, s0
	v_perm_b32 v20, v43, v42, s0
	;; [unrolled: 1-line block ×4, first 2 shown]
	ds_write_b128 v12, v[18:21] offset:16
	v_perm_b32 v21, v53, v52, s0
	v_perm_b32 v20, v51, v50, s0
	;; [unrolled: 1-line block ×4, first 2 shown]
	s_movk_i32 s0, 0xffd2
	v_mad_i32_i24 v2, v0, s0, v12
	ds_write_b128 v12, v[18:21] offset:32
	s_waitcnt lgkmcnt(0)
	s_barrier
	ds_read_u16 v39, v2 offset:512
	ds_read_u16 v38, v2 offset:1024
	;; [unrolled: 1-line block ×23, first 2 shown]
	s_add_i32 s33, s33, s58
	v_mov_b32_e32 v27, 0
	v_lshl_add_u64 v[2:3], s[2:3], 0, v[26:27]
	v_cmp_gt_u32_e32 vcc, s33, v0
	s_and_saveexec_b64 s[0:1], vcc
	s_cbranch_execz .LBB643_254
; %bb.253:
	v_mul_i32_i24_e32 v40, 0xffffffd2, v0
	v_add_u32_e32 v40, v12, v40
	ds_read_u16 v40, v40
	s_waitcnt lgkmcnt(0)
	flat_store_short v[2:3], v40
.LBB643_254:
	s_or_b64 exec, exec, s[0:1]
	v_or_b32_e32 v40, 0x100, v0
	v_cmp_gt_u32_e32 vcc, s33, v40
	s_and_saveexec_b64 s[0:1], vcc
	s_cbranch_execz .LBB643_256
; %bb.255:
	s_waitcnt lgkmcnt(0)
	flat_store_short v[2:3], v39 offset:512
.LBB643_256:
	s_or_b64 exec, exec, s[0:1]
	s_waitcnt lgkmcnt(0)
	v_or_b32_e32 v39, 0x200, v0
	v_cmp_gt_u32_e32 vcc, s33, v39
	s_and_saveexec_b64 s[0:1], vcc
	s_cbranch_execz .LBB643_258
; %bb.257:
	flat_store_short v[2:3], v38 offset:1024
.LBB643_258:
	s_or_b64 exec, exec, s[0:1]
	v_or_b32_e32 v38, 0x300, v0
	v_cmp_gt_u32_e32 vcc, s33, v38
	s_and_saveexec_b64 s[0:1], vcc
	s_cbranch_execz .LBB643_260
; %bb.259:
	flat_store_short v[2:3], v37 offset:1536
.LBB643_260:
	s_or_b64 exec, exec, s[0:1]
	;; [unrolled: 8-line block ×6, first 2 shown]
	v_or_b32_e32 v33, 0x800, v0
	v_cmp_gt_u32_e32 vcc, s33, v33
	s_and_saveexec_b64 s[0:1], vcc
	s_cbranch_execz .LBB643_270
; %bb.269:
	v_add_co_u32_e32 v34, vcc, 0x1000, v2
	s_nop 1
	v_addc_co_u32_e32 v35, vcc, 0, v3, vcc
	flat_store_short v[34:35], v32
.LBB643_270:
	s_or_b64 exec, exec, s[0:1]
	v_or_b32_e32 v32, 0x900, v0
	v_cmp_gt_u32_e32 vcc, s33, v32
	s_and_saveexec_b64 s[0:1], vcc
	s_cbranch_execz .LBB643_272
; %bb.271:
	v_add_co_u32_e32 v32, vcc, 0x1000, v2
	s_nop 1
	v_addc_co_u32_e32 v33, vcc, 0, v3, vcc
	flat_store_short v[32:33], v31 offset:512
.LBB643_272:
	s_or_b64 exec, exec, s[0:1]
	v_or_b32_e32 v31, 0xa00, v0
	v_cmp_gt_u32_e32 vcc, s33, v31
	s_and_saveexec_b64 s[0:1], vcc
	s_cbranch_execz .LBB643_274
; %bb.273:
	v_add_co_u32_e32 v32, vcc, 0x1000, v2
	s_nop 1
	v_addc_co_u32_e32 v33, vcc, 0, v3, vcc
	flat_store_short v[32:33], v30 offset:1024
.LBB643_274:
	;; [unrolled: 11-line block ×7, first 2 shown]
	s_or_b64 exec, exec, s[0:1]
	v_or_b32_e32 v23, 0x1000, v0
	v_cmp_gt_u32_e32 vcc, s33, v23
	s_and_saveexec_b64 s[0:1], vcc
	s_cbranch_execz .LBB643_286
; %bb.285:
	v_add_co_u32_e32 v24, vcc, 0x2000, v2
	s_nop 1
	v_addc_co_u32_e32 v25, vcc, 0, v3, vcc
	flat_store_short v[24:25], v22
.LBB643_286:
	s_or_b64 exec, exec, s[0:1]
	v_or_b32_e32 v22, 0x1100, v0
	v_cmp_gt_u32_e32 vcc, s33, v22
	s_and_saveexec_b64 s[0:1], vcc
	s_cbranch_execz .LBB643_288
; %bb.287:
	v_add_co_u32_e32 v22, vcc, 0x2000, v2
	s_nop 1
	v_addc_co_u32_e32 v23, vcc, 0, v3, vcc
	flat_store_short v[22:23], v21 offset:512
.LBB643_288:
	s_or_b64 exec, exec, s[0:1]
	v_or_b32_e32 v21, 0x1200, v0
	v_cmp_gt_u32_e32 vcc, s33, v21
	s_and_saveexec_b64 s[0:1], vcc
	s_cbranch_execz .LBB643_290
; %bb.289:
	v_add_co_u32_e32 v22, vcc, 0x2000, v2
	s_nop 1
	v_addc_co_u32_e32 v23, vcc, 0, v3, vcc
	flat_store_short v[22:23], v20 offset:1024
.LBB643_290:
	;; [unrolled: 11-line block ×6, first 2 shown]
	s_or_b64 exec, exec, s[0:1]
	v_or_b32_e32 v2, 0x1700, v0
	v_mov_b32_e32 v1, v27
	v_cmp_gt_u32_e64 s[0:1], s33, v2
	s_branch .LBB643_301
.LBB643_299:
	s_mov_b64 s[0:1], 0
                                        ; implicit-def: $vgpr13
	s_cbranch_execz .LBB643_301
; %bb.300:
	s_mov_b32 s4, 0x5040100
	v_perm_b32 v19, v7, v5, s4
	v_perm_b32 v18, v4, v6, s4
	;; [unrolled: 1-line block ×6, first 2 shown]
	s_waitcnt lgkmcnt(0)
	s_barrier
	v_perm_b32 v21, v16, v11, s4
	v_perm_b32 v20, v9, v8, s4
	ds_write_b128 v12, v[2:5] offset:16
	v_perm_b32 v5, v53, v52, s4
	v_perm_b32 v4, v51, v50, s4
	v_perm_b32 v3, v49, v48, s4
	v_perm_b32 v2, v46, v44, s4
	v_mov_b32_e32 v1, 0
	s_movk_i32 s4, 0xffd2
	ds_write_b128 v12, v[2:5] offset:32
	v_mad_i32_i24 v2, v0, s4, v12
	v_mov_b32_e32 v27, v1
	ds_write_b128 v12, v[18:21]
	s_waitcnt lgkmcnt(0)
	s_barrier
	ds_read_u16 v4, v2
	ds_read_u16 v5, v2 offset:512
	ds_read_u16 v6, v2 offset:1024
	;; [unrolled: 1-line block ×23, first 2 shown]
	v_lshl_add_u64 v[2:3], s[2:3], 0, v[26:27]
	s_movk_i32 s4, 0x1000
	s_waitcnt lgkmcnt(0)
	flat_store_short v[2:3], v4
	flat_store_short v[2:3], v5 offset:512
	flat_store_short v[2:3], v6 offset:1024
	;; [unrolled: 1-line block ×7, first 2 shown]
	v_add_co_u32_e32 v4, vcc, s4, v2
	s_or_b64 s[0:1], s[0:1], exec
	s_nop 0
	v_addc_co_u32_e32 v5, vcc, 0, v3, vcc
	v_add_co_u32_e32 v2, vcc, 0x2000, v2
	flat_store_short v[4:5], v12
	flat_store_short v[4:5], v14 offset:512
	flat_store_short v[4:5], v15 offset:1024
	;; [unrolled: 1-line block ×7, first 2 shown]
	v_addc_co_u32_e32 v3, vcc, 0, v3, vcc
	flat_store_short v[2:3], v21
	flat_store_short v[2:3], v22 offset:512
	flat_store_short v[2:3], v23 offset:1024
	;; [unrolled: 1-line block ×6, first 2 shown]
.LBB643_301:
	s_and_saveexec_b64 s[4:5], s[0:1]
	s_cbranch_execz .LBB643_303
; %bb.302:
	v_lshl_add_u64 v[0:1], v[0:1], 1, s[2:3]
	v_add_co_u32_e32 v0, vcc, 0x2000, v0
	s_nop 1
	v_addc_co_u32_e32 v1, vcc, 0, v1, vcc
	flat_store_short v[0:1], v13 offset:3584
	s_endpgm
.LBB643_303:
	s_endpgm
	.section	.rodata,"a",@progbits
	.p2align	6, 0x0
	.amdhsa_kernel _ZN7rocprim17ROCPRIM_400000_NS6detail17trampoline_kernelINS0_14default_configENS1_27scan_by_key_config_selectorIssEEZZNS1_16scan_by_key_implILNS1_25lookback_scan_determinismE0ELb1ES3_N6thrust23THRUST_200600_302600_NS6detail15normal_iteratorINS9_10device_ptrIsEEEESE_SE_sNS9_4plusIvEENS9_8equal_toIsEEsEE10hipError_tPvRmT2_T3_T4_T5_mT6_T7_P12ihipStream_tbENKUlT_T0_E_clISt17integral_constantIbLb0EESZ_EEDaSU_SV_EUlSU_E_NS1_11comp_targetILNS1_3genE5ELNS1_11target_archE942ELNS1_3gpuE9ELNS1_3repE0EEENS1_30default_config_static_selectorELNS0_4arch9wavefront6targetE1EEEvT1_
		.amdhsa_group_segment_fixed_size 13312
		.amdhsa_private_segment_fixed_size 0
		.amdhsa_kernarg_size 112
		.amdhsa_user_sgpr_count 2
		.amdhsa_user_sgpr_dispatch_ptr 0
		.amdhsa_user_sgpr_queue_ptr 0
		.amdhsa_user_sgpr_kernarg_segment_ptr 1
		.amdhsa_user_sgpr_dispatch_id 0
		.amdhsa_user_sgpr_kernarg_preload_length 0
		.amdhsa_user_sgpr_kernarg_preload_offset 0
		.amdhsa_user_sgpr_private_segment_size 0
		.amdhsa_uses_dynamic_stack 0
		.amdhsa_enable_private_segment 0
		.amdhsa_system_sgpr_workgroup_id_x 1
		.amdhsa_system_sgpr_workgroup_id_y 0
		.amdhsa_system_sgpr_workgroup_id_z 0
		.amdhsa_system_sgpr_workgroup_info 0
		.amdhsa_system_vgpr_workitem_id 0
		.amdhsa_next_free_vgpr 60
		.amdhsa_next_free_sgpr 79
		.amdhsa_accum_offset 60
		.amdhsa_reserve_vcc 1
		.amdhsa_float_round_mode_32 0
		.amdhsa_float_round_mode_16_64 0
		.amdhsa_float_denorm_mode_32 3
		.amdhsa_float_denorm_mode_16_64 3
		.amdhsa_dx10_clamp 1
		.amdhsa_ieee_mode 1
		.amdhsa_fp16_overflow 0
		.amdhsa_tg_split 0
		.amdhsa_exception_fp_ieee_invalid_op 0
		.amdhsa_exception_fp_denorm_src 0
		.amdhsa_exception_fp_ieee_div_zero 0
		.amdhsa_exception_fp_ieee_overflow 0
		.amdhsa_exception_fp_ieee_underflow 0
		.amdhsa_exception_fp_ieee_inexact 0
		.amdhsa_exception_int_div_zero 0
	.end_amdhsa_kernel
	.section	.text._ZN7rocprim17ROCPRIM_400000_NS6detail17trampoline_kernelINS0_14default_configENS1_27scan_by_key_config_selectorIssEEZZNS1_16scan_by_key_implILNS1_25lookback_scan_determinismE0ELb1ES3_N6thrust23THRUST_200600_302600_NS6detail15normal_iteratorINS9_10device_ptrIsEEEESE_SE_sNS9_4plusIvEENS9_8equal_toIsEEsEE10hipError_tPvRmT2_T3_T4_T5_mT6_T7_P12ihipStream_tbENKUlT_T0_E_clISt17integral_constantIbLb0EESZ_EEDaSU_SV_EUlSU_E_NS1_11comp_targetILNS1_3genE5ELNS1_11target_archE942ELNS1_3gpuE9ELNS1_3repE0EEENS1_30default_config_static_selectorELNS0_4arch9wavefront6targetE1EEEvT1_,"axG",@progbits,_ZN7rocprim17ROCPRIM_400000_NS6detail17trampoline_kernelINS0_14default_configENS1_27scan_by_key_config_selectorIssEEZZNS1_16scan_by_key_implILNS1_25lookback_scan_determinismE0ELb1ES3_N6thrust23THRUST_200600_302600_NS6detail15normal_iteratorINS9_10device_ptrIsEEEESE_SE_sNS9_4plusIvEENS9_8equal_toIsEEsEE10hipError_tPvRmT2_T3_T4_T5_mT6_T7_P12ihipStream_tbENKUlT_T0_E_clISt17integral_constantIbLb0EESZ_EEDaSU_SV_EUlSU_E_NS1_11comp_targetILNS1_3genE5ELNS1_11target_archE942ELNS1_3gpuE9ELNS1_3repE0EEENS1_30default_config_static_selectorELNS0_4arch9wavefront6targetE1EEEvT1_,comdat
.Lfunc_end643:
	.size	_ZN7rocprim17ROCPRIM_400000_NS6detail17trampoline_kernelINS0_14default_configENS1_27scan_by_key_config_selectorIssEEZZNS1_16scan_by_key_implILNS1_25lookback_scan_determinismE0ELb1ES3_N6thrust23THRUST_200600_302600_NS6detail15normal_iteratorINS9_10device_ptrIsEEEESE_SE_sNS9_4plusIvEENS9_8equal_toIsEEsEE10hipError_tPvRmT2_T3_T4_T5_mT6_T7_P12ihipStream_tbENKUlT_T0_E_clISt17integral_constantIbLb0EESZ_EEDaSU_SV_EUlSU_E_NS1_11comp_targetILNS1_3genE5ELNS1_11target_archE942ELNS1_3gpuE9ELNS1_3repE0EEENS1_30default_config_static_selectorELNS0_4arch9wavefront6targetE1EEEvT1_, .Lfunc_end643-_ZN7rocprim17ROCPRIM_400000_NS6detail17trampoline_kernelINS0_14default_configENS1_27scan_by_key_config_selectorIssEEZZNS1_16scan_by_key_implILNS1_25lookback_scan_determinismE0ELb1ES3_N6thrust23THRUST_200600_302600_NS6detail15normal_iteratorINS9_10device_ptrIsEEEESE_SE_sNS9_4plusIvEENS9_8equal_toIsEEsEE10hipError_tPvRmT2_T3_T4_T5_mT6_T7_P12ihipStream_tbENKUlT_T0_E_clISt17integral_constantIbLb0EESZ_EEDaSU_SV_EUlSU_E_NS1_11comp_targetILNS1_3genE5ELNS1_11target_archE942ELNS1_3gpuE9ELNS1_3repE0EEENS1_30default_config_static_selectorELNS0_4arch9wavefront6targetE1EEEvT1_
                                        ; -- End function
	.section	.AMDGPU.csdata,"",@progbits
; Kernel info:
; codeLenInByte = 16396
; NumSgprs: 85
; NumVgprs: 60
; NumAgprs: 0
; TotalNumVgprs: 60
; ScratchSize: 0
; MemoryBound: 0
; FloatMode: 240
; IeeeMode: 1
; LDSByteSize: 13312 bytes/workgroup (compile time only)
; SGPRBlocks: 10
; VGPRBlocks: 7
; NumSGPRsForWavesPerEU: 85
; NumVGPRsForWavesPerEU: 60
; AccumOffset: 60
; Occupancy: 4
; WaveLimiterHint : 1
; COMPUTE_PGM_RSRC2:SCRATCH_EN: 0
; COMPUTE_PGM_RSRC2:USER_SGPR: 2
; COMPUTE_PGM_RSRC2:TRAP_HANDLER: 0
; COMPUTE_PGM_RSRC2:TGID_X_EN: 1
; COMPUTE_PGM_RSRC2:TGID_Y_EN: 0
; COMPUTE_PGM_RSRC2:TGID_Z_EN: 0
; COMPUTE_PGM_RSRC2:TIDIG_COMP_CNT: 0
; COMPUTE_PGM_RSRC3_GFX90A:ACCUM_OFFSET: 14
; COMPUTE_PGM_RSRC3_GFX90A:TG_SPLIT: 0
	.section	.text._ZN7rocprim17ROCPRIM_400000_NS6detail17trampoline_kernelINS0_14default_configENS1_27scan_by_key_config_selectorIssEEZZNS1_16scan_by_key_implILNS1_25lookback_scan_determinismE0ELb1ES3_N6thrust23THRUST_200600_302600_NS6detail15normal_iteratorINS9_10device_ptrIsEEEESE_SE_sNS9_4plusIvEENS9_8equal_toIsEEsEE10hipError_tPvRmT2_T3_T4_T5_mT6_T7_P12ihipStream_tbENKUlT_T0_E_clISt17integral_constantIbLb0EESZ_EEDaSU_SV_EUlSU_E_NS1_11comp_targetILNS1_3genE4ELNS1_11target_archE910ELNS1_3gpuE8ELNS1_3repE0EEENS1_30default_config_static_selectorELNS0_4arch9wavefront6targetE1EEEvT1_,"axG",@progbits,_ZN7rocprim17ROCPRIM_400000_NS6detail17trampoline_kernelINS0_14default_configENS1_27scan_by_key_config_selectorIssEEZZNS1_16scan_by_key_implILNS1_25lookback_scan_determinismE0ELb1ES3_N6thrust23THRUST_200600_302600_NS6detail15normal_iteratorINS9_10device_ptrIsEEEESE_SE_sNS9_4plusIvEENS9_8equal_toIsEEsEE10hipError_tPvRmT2_T3_T4_T5_mT6_T7_P12ihipStream_tbENKUlT_T0_E_clISt17integral_constantIbLb0EESZ_EEDaSU_SV_EUlSU_E_NS1_11comp_targetILNS1_3genE4ELNS1_11target_archE910ELNS1_3gpuE8ELNS1_3repE0EEENS1_30default_config_static_selectorELNS0_4arch9wavefront6targetE1EEEvT1_,comdat
	.protected	_ZN7rocprim17ROCPRIM_400000_NS6detail17trampoline_kernelINS0_14default_configENS1_27scan_by_key_config_selectorIssEEZZNS1_16scan_by_key_implILNS1_25lookback_scan_determinismE0ELb1ES3_N6thrust23THRUST_200600_302600_NS6detail15normal_iteratorINS9_10device_ptrIsEEEESE_SE_sNS9_4plusIvEENS9_8equal_toIsEEsEE10hipError_tPvRmT2_T3_T4_T5_mT6_T7_P12ihipStream_tbENKUlT_T0_E_clISt17integral_constantIbLb0EESZ_EEDaSU_SV_EUlSU_E_NS1_11comp_targetILNS1_3genE4ELNS1_11target_archE910ELNS1_3gpuE8ELNS1_3repE0EEENS1_30default_config_static_selectorELNS0_4arch9wavefront6targetE1EEEvT1_ ; -- Begin function _ZN7rocprim17ROCPRIM_400000_NS6detail17trampoline_kernelINS0_14default_configENS1_27scan_by_key_config_selectorIssEEZZNS1_16scan_by_key_implILNS1_25lookback_scan_determinismE0ELb1ES3_N6thrust23THRUST_200600_302600_NS6detail15normal_iteratorINS9_10device_ptrIsEEEESE_SE_sNS9_4plusIvEENS9_8equal_toIsEEsEE10hipError_tPvRmT2_T3_T4_T5_mT6_T7_P12ihipStream_tbENKUlT_T0_E_clISt17integral_constantIbLb0EESZ_EEDaSU_SV_EUlSU_E_NS1_11comp_targetILNS1_3genE4ELNS1_11target_archE910ELNS1_3gpuE8ELNS1_3repE0EEENS1_30default_config_static_selectorELNS0_4arch9wavefront6targetE1EEEvT1_
	.globl	_ZN7rocprim17ROCPRIM_400000_NS6detail17trampoline_kernelINS0_14default_configENS1_27scan_by_key_config_selectorIssEEZZNS1_16scan_by_key_implILNS1_25lookback_scan_determinismE0ELb1ES3_N6thrust23THRUST_200600_302600_NS6detail15normal_iteratorINS9_10device_ptrIsEEEESE_SE_sNS9_4plusIvEENS9_8equal_toIsEEsEE10hipError_tPvRmT2_T3_T4_T5_mT6_T7_P12ihipStream_tbENKUlT_T0_E_clISt17integral_constantIbLb0EESZ_EEDaSU_SV_EUlSU_E_NS1_11comp_targetILNS1_3genE4ELNS1_11target_archE910ELNS1_3gpuE8ELNS1_3repE0EEENS1_30default_config_static_selectorELNS0_4arch9wavefront6targetE1EEEvT1_
	.p2align	8
	.type	_ZN7rocprim17ROCPRIM_400000_NS6detail17trampoline_kernelINS0_14default_configENS1_27scan_by_key_config_selectorIssEEZZNS1_16scan_by_key_implILNS1_25lookback_scan_determinismE0ELb1ES3_N6thrust23THRUST_200600_302600_NS6detail15normal_iteratorINS9_10device_ptrIsEEEESE_SE_sNS9_4plusIvEENS9_8equal_toIsEEsEE10hipError_tPvRmT2_T3_T4_T5_mT6_T7_P12ihipStream_tbENKUlT_T0_E_clISt17integral_constantIbLb0EESZ_EEDaSU_SV_EUlSU_E_NS1_11comp_targetILNS1_3genE4ELNS1_11target_archE910ELNS1_3gpuE8ELNS1_3repE0EEENS1_30default_config_static_selectorELNS0_4arch9wavefront6targetE1EEEvT1_,@function
_ZN7rocprim17ROCPRIM_400000_NS6detail17trampoline_kernelINS0_14default_configENS1_27scan_by_key_config_selectorIssEEZZNS1_16scan_by_key_implILNS1_25lookback_scan_determinismE0ELb1ES3_N6thrust23THRUST_200600_302600_NS6detail15normal_iteratorINS9_10device_ptrIsEEEESE_SE_sNS9_4plusIvEENS9_8equal_toIsEEsEE10hipError_tPvRmT2_T3_T4_T5_mT6_T7_P12ihipStream_tbENKUlT_T0_E_clISt17integral_constantIbLb0EESZ_EEDaSU_SV_EUlSU_E_NS1_11comp_targetILNS1_3genE4ELNS1_11target_archE910ELNS1_3gpuE8ELNS1_3repE0EEENS1_30default_config_static_selectorELNS0_4arch9wavefront6targetE1EEEvT1_: ; @_ZN7rocprim17ROCPRIM_400000_NS6detail17trampoline_kernelINS0_14default_configENS1_27scan_by_key_config_selectorIssEEZZNS1_16scan_by_key_implILNS1_25lookback_scan_determinismE0ELb1ES3_N6thrust23THRUST_200600_302600_NS6detail15normal_iteratorINS9_10device_ptrIsEEEESE_SE_sNS9_4plusIvEENS9_8equal_toIsEEsEE10hipError_tPvRmT2_T3_T4_T5_mT6_T7_P12ihipStream_tbENKUlT_T0_E_clISt17integral_constantIbLb0EESZ_EEDaSU_SV_EUlSU_E_NS1_11comp_targetILNS1_3genE4ELNS1_11target_archE910ELNS1_3gpuE8ELNS1_3repE0EEENS1_30default_config_static_selectorELNS0_4arch9wavefront6targetE1EEEvT1_
; %bb.0:
	.section	.rodata,"a",@progbits
	.p2align	6, 0x0
	.amdhsa_kernel _ZN7rocprim17ROCPRIM_400000_NS6detail17trampoline_kernelINS0_14default_configENS1_27scan_by_key_config_selectorIssEEZZNS1_16scan_by_key_implILNS1_25lookback_scan_determinismE0ELb1ES3_N6thrust23THRUST_200600_302600_NS6detail15normal_iteratorINS9_10device_ptrIsEEEESE_SE_sNS9_4plusIvEENS9_8equal_toIsEEsEE10hipError_tPvRmT2_T3_T4_T5_mT6_T7_P12ihipStream_tbENKUlT_T0_E_clISt17integral_constantIbLb0EESZ_EEDaSU_SV_EUlSU_E_NS1_11comp_targetILNS1_3genE4ELNS1_11target_archE910ELNS1_3gpuE8ELNS1_3repE0EEENS1_30default_config_static_selectorELNS0_4arch9wavefront6targetE1EEEvT1_
		.amdhsa_group_segment_fixed_size 0
		.amdhsa_private_segment_fixed_size 0
		.amdhsa_kernarg_size 112
		.amdhsa_user_sgpr_count 2
		.amdhsa_user_sgpr_dispatch_ptr 0
		.amdhsa_user_sgpr_queue_ptr 0
		.amdhsa_user_sgpr_kernarg_segment_ptr 1
		.amdhsa_user_sgpr_dispatch_id 0
		.amdhsa_user_sgpr_kernarg_preload_length 0
		.amdhsa_user_sgpr_kernarg_preload_offset 0
		.amdhsa_user_sgpr_private_segment_size 0
		.amdhsa_uses_dynamic_stack 0
		.amdhsa_enable_private_segment 0
		.amdhsa_system_sgpr_workgroup_id_x 1
		.amdhsa_system_sgpr_workgroup_id_y 0
		.amdhsa_system_sgpr_workgroup_id_z 0
		.amdhsa_system_sgpr_workgroup_info 0
		.amdhsa_system_vgpr_workitem_id 0
		.amdhsa_next_free_vgpr 1
		.amdhsa_next_free_sgpr 0
		.amdhsa_accum_offset 4
		.amdhsa_reserve_vcc 0
		.amdhsa_float_round_mode_32 0
		.amdhsa_float_round_mode_16_64 0
		.amdhsa_float_denorm_mode_32 3
		.amdhsa_float_denorm_mode_16_64 3
		.amdhsa_dx10_clamp 1
		.amdhsa_ieee_mode 1
		.amdhsa_fp16_overflow 0
		.amdhsa_tg_split 0
		.amdhsa_exception_fp_ieee_invalid_op 0
		.amdhsa_exception_fp_denorm_src 0
		.amdhsa_exception_fp_ieee_div_zero 0
		.amdhsa_exception_fp_ieee_overflow 0
		.amdhsa_exception_fp_ieee_underflow 0
		.amdhsa_exception_fp_ieee_inexact 0
		.amdhsa_exception_int_div_zero 0
	.end_amdhsa_kernel
	.section	.text._ZN7rocprim17ROCPRIM_400000_NS6detail17trampoline_kernelINS0_14default_configENS1_27scan_by_key_config_selectorIssEEZZNS1_16scan_by_key_implILNS1_25lookback_scan_determinismE0ELb1ES3_N6thrust23THRUST_200600_302600_NS6detail15normal_iteratorINS9_10device_ptrIsEEEESE_SE_sNS9_4plusIvEENS9_8equal_toIsEEsEE10hipError_tPvRmT2_T3_T4_T5_mT6_T7_P12ihipStream_tbENKUlT_T0_E_clISt17integral_constantIbLb0EESZ_EEDaSU_SV_EUlSU_E_NS1_11comp_targetILNS1_3genE4ELNS1_11target_archE910ELNS1_3gpuE8ELNS1_3repE0EEENS1_30default_config_static_selectorELNS0_4arch9wavefront6targetE1EEEvT1_,"axG",@progbits,_ZN7rocprim17ROCPRIM_400000_NS6detail17trampoline_kernelINS0_14default_configENS1_27scan_by_key_config_selectorIssEEZZNS1_16scan_by_key_implILNS1_25lookback_scan_determinismE0ELb1ES3_N6thrust23THRUST_200600_302600_NS6detail15normal_iteratorINS9_10device_ptrIsEEEESE_SE_sNS9_4plusIvEENS9_8equal_toIsEEsEE10hipError_tPvRmT2_T3_T4_T5_mT6_T7_P12ihipStream_tbENKUlT_T0_E_clISt17integral_constantIbLb0EESZ_EEDaSU_SV_EUlSU_E_NS1_11comp_targetILNS1_3genE4ELNS1_11target_archE910ELNS1_3gpuE8ELNS1_3repE0EEENS1_30default_config_static_selectorELNS0_4arch9wavefront6targetE1EEEvT1_,comdat
.Lfunc_end644:
	.size	_ZN7rocprim17ROCPRIM_400000_NS6detail17trampoline_kernelINS0_14default_configENS1_27scan_by_key_config_selectorIssEEZZNS1_16scan_by_key_implILNS1_25lookback_scan_determinismE0ELb1ES3_N6thrust23THRUST_200600_302600_NS6detail15normal_iteratorINS9_10device_ptrIsEEEESE_SE_sNS9_4plusIvEENS9_8equal_toIsEEsEE10hipError_tPvRmT2_T3_T4_T5_mT6_T7_P12ihipStream_tbENKUlT_T0_E_clISt17integral_constantIbLb0EESZ_EEDaSU_SV_EUlSU_E_NS1_11comp_targetILNS1_3genE4ELNS1_11target_archE910ELNS1_3gpuE8ELNS1_3repE0EEENS1_30default_config_static_selectorELNS0_4arch9wavefront6targetE1EEEvT1_, .Lfunc_end644-_ZN7rocprim17ROCPRIM_400000_NS6detail17trampoline_kernelINS0_14default_configENS1_27scan_by_key_config_selectorIssEEZZNS1_16scan_by_key_implILNS1_25lookback_scan_determinismE0ELb1ES3_N6thrust23THRUST_200600_302600_NS6detail15normal_iteratorINS9_10device_ptrIsEEEESE_SE_sNS9_4plusIvEENS9_8equal_toIsEEsEE10hipError_tPvRmT2_T3_T4_T5_mT6_T7_P12ihipStream_tbENKUlT_T0_E_clISt17integral_constantIbLb0EESZ_EEDaSU_SV_EUlSU_E_NS1_11comp_targetILNS1_3genE4ELNS1_11target_archE910ELNS1_3gpuE8ELNS1_3repE0EEENS1_30default_config_static_selectorELNS0_4arch9wavefront6targetE1EEEvT1_
                                        ; -- End function
	.section	.AMDGPU.csdata,"",@progbits
; Kernel info:
; codeLenInByte = 0
; NumSgprs: 6
; NumVgprs: 0
; NumAgprs: 0
; TotalNumVgprs: 0
; ScratchSize: 0
; MemoryBound: 0
; FloatMode: 240
; IeeeMode: 1
; LDSByteSize: 0 bytes/workgroup (compile time only)
; SGPRBlocks: 0
; VGPRBlocks: 0
; NumSGPRsForWavesPerEU: 6
; NumVGPRsForWavesPerEU: 1
; AccumOffset: 4
; Occupancy: 8
; WaveLimiterHint : 0
; COMPUTE_PGM_RSRC2:SCRATCH_EN: 0
; COMPUTE_PGM_RSRC2:USER_SGPR: 2
; COMPUTE_PGM_RSRC2:TRAP_HANDLER: 0
; COMPUTE_PGM_RSRC2:TGID_X_EN: 1
; COMPUTE_PGM_RSRC2:TGID_Y_EN: 0
; COMPUTE_PGM_RSRC2:TGID_Z_EN: 0
; COMPUTE_PGM_RSRC2:TIDIG_COMP_CNT: 0
; COMPUTE_PGM_RSRC3_GFX90A:ACCUM_OFFSET: 0
; COMPUTE_PGM_RSRC3_GFX90A:TG_SPLIT: 0
	.section	.text._ZN7rocprim17ROCPRIM_400000_NS6detail17trampoline_kernelINS0_14default_configENS1_27scan_by_key_config_selectorIssEEZZNS1_16scan_by_key_implILNS1_25lookback_scan_determinismE0ELb1ES3_N6thrust23THRUST_200600_302600_NS6detail15normal_iteratorINS9_10device_ptrIsEEEESE_SE_sNS9_4plusIvEENS9_8equal_toIsEEsEE10hipError_tPvRmT2_T3_T4_T5_mT6_T7_P12ihipStream_tbENKUlT_T0_E_clISt17integral_constantIbLb0EESZ_EEDaSU_SV_EUlSU_E_NS1_11comp_targetILNS1_3genE3ELNS1_11target_archE908ELNS1_3gpuE7ELNS1_3repE0EEENS1_30default_config_static_selectorELNS0_4arch9wavefront6targetE1EEEvT1_,"axG",@progbits,_ZN7rocprim17ROCPRIM_400000_NS6detail17trampoline_kernelINS0_14default_configENS1_27scan_by_key_config_selectorIssEEZZNS1_16scan_by_key_implILNS1_25lookback_scan_determinismE0ELb1ES3_N6thrust23THRUST_200600_302600_NS6detail15normal_iteratorINS9_10device_ptrIsEEEESE_SE_sNS9_4plusIvEENS9_8equal_toIsEEsEE10hipError_tPvRmT2_T3_T4_T5_mT6_T7_P12ihipStream_tbENKUlT_T0_E_clISt17integral_constantIbLb0EESZ_EEDaSU_SV_EUlSU_E_NS1_11comp_targetILNS1_3genE3ELNS1_11target_archE908ELNS1_3gpuE7ELNS1_3repE0EEENS1_30default_config_static_selectorELNS0_4arch9wavefront6targetE1EEEvT1_,comdat
	.protected	_ZN7rocprim17ROCPRIM_400000_NS6detail17trampoline_kernelINS0_14default_configENS1_27scan_by_key_config_selectorIssEEZZNS1_16scan_by_key_implILNS1_25lookback_scan_determinismE0ELb1ES3_N6thrust23THRUST_200600_302600_NS6detail15normal_iteratorINS9_10device_ptrIsEEEESE_SE_sNS9_4plusIvEENS9_8equal_toIsEEsEE10hipError_tPvRmT2_T3_T4_T5_mT6_T7_P12ihipStream_tbENKUlT_T0_E_clISt17integral_constantIbLb0EESZ_EEDaSU_SV_EUlSU_E_NS1_11comp_targetILNS1_3genE3ELNS1_11target_archE908ELNS1_3gpuE7ELNS1_3repE0EEENS1_30default_config_static_selectorELNS0_4arch9wavefront6targetE1EEEvT1_ ; -- Begin function _ZN7rocprim17ROCPRIM_400000_NS6detail17trampoline_kernelINS0_14default_configENS1_27scan_by_key_config_selectorIssEEZZNS1_16scan_by_key_implILNS1_25lookback_scan_determinismE0ELb1ES3_N6thrust23THRUST_200600_302600_NS6detail15normal_iteratorINS9_10device_ptrIsEEEESE_SE_sNS9_4plusIvEENS9_8equal_toIsEEsEE10hipError_tPvRmT2_T3_T4_T5_mT6_T7_P12ihipStream_tbENKUlT_T0_E_clISt17integral_constantIbLb0EESZ_EEDaSU_SV_EUlSU_E_NS1_11comp_targetILNS1_3genE3ELNS1_11target_archE908ELNS1_3gpuE7ELNS1_3repE0EEENS1_30default_config_static_selectorELNS0_4arch9wavefront6targetE1EEEvT1_
	.globl	_ZN7rocprim17ROCPRIM_400000_NS6detail17trampoline_kernelINS0_14default_configENS1_27scan_by_key_config_selectorIssEEZZNS1_16scan_by_key_implILNS1_25lookback_scan_determinismE0ELb1ES3_N6thrust23THRUST_200600_302600_NS6detail15normal_iteratorINS9_10device_ptrIsEEEESE_SE_sNS9_4plusIvEENS9_8equal_toIsEEsEE10hipError_tPvRmT2_T3_T4_T5_mT6_T7_P12ihipStream_tbENKUlT_T0_E_clISt17integral_constantIbLb0EESZ_EEDaSU_SV_EUlSU_E_NS1_11comp_targetILNS1_3genE3ELNS1_11target_archE908ELNS1_3gpuE7ELNS1_3repE0EEENS1_30default_config_static_selectorELNS0_4arch9wavefront6targetE1EEEvT1_
	.p2align	8
	.type	_ZN7rocprim17ROCPRIM_400000_NS6detail17trampoline_kernelINS0_14default_configENS1_27scan_by_key_config_selectorIssEEZZNS1_16scan_by_key_implILNS1_25lookback_scan_determinismE0ELb1ES3_N6thrust23THRUST_200600_302600_NS6detail15normal_iteratorINS9_10device_ptrIsEEEESE_SE_sNS9_4plusIvEENS9_8equal_toIsEEsEE10hipError_tPvRmT2_T3_T4_T5_mT6_T7_P12ihipStream_tbENKUlT_T0_E_clISt17integral_constantIbLb0EESZ_EEDaSU_SV_EUlSU_E_NS1_11comp_targetILNS1_3genE3ELNS1_11target_archE908ELNS1_3gpuE7ELNS1_3repE0EEENS1_30default_config_static_selectorELNS0_4arch9wavefront6targetE1EEEvT1_,@function
_ZN7rocprim17ROCPRIM_400000_NS6detail17trampoline_kernelINS0_14default_configENS1_27scan_by_key_config_selectorIssEEZZNS1_16scan_by_key_implILNS1_25lookback_scan_determinismE0ELb1ES3_N6thrust23THRUST_200600_302600_NS6detail15normal_iteratorINS9_10device_ptrIsEEEESE_SE_sNS9_4plusIvEENS9_8equal_toIsEEsEE10hipError_tPvRmT2_T3_T4_T5_mT6_T7_P12ihipStream_tbENKUlT_T0_E_clISt17integral_constantIbLb0EESZ_EEDaSU_SV_EUlSU_E_NS1_11comp_targetILNS1_3genE3ELNS1_11target_archE908ELNS1_3gpuE7ELNS1_3repE0EEENS1_30default_config_static_selectorELNS0_4arch9wavefront6targetE1EEEvT1_: ; @_ZN7rocprim17ROCPRIM_400000_NS6detail17trampoline_kernelINS0_14default_configENS1_27scan_by_key_config_selectorIssEEZZNS1_16scan_by_key_implILNS1_25lookback_scan_determinismE0ELb1ES3_N6thrust23THRUST_200600_302600_NS6detail15normal_iteratorINS9_10device_ptrIsEEEESE_SE_sNS9_4plusIvEENS9_8equal_toIsEEsEE10hipError_tPvRmT2_T3_T4_T5_mT6_T7_P12ihipStream_tbENKUlT_T0_E_clISt17integral_constantIbLb0EESZ_EEDaSU_SV_EUlSU_E_NS1_11comp_targetILNS1_3genE3ELNS1_11target_archE908ELNS1_3gpuE7ELNS1_3repE0EEENS1_30default_config_static_selectorELNS0_4arch9wavefront6targetE1EEEvT1_
; %bb.0:
	.section	.rodata,"a",@progbits
	.p2align	6, 0x0
	.amdhsa_kernel _ZN7rocprim17ROCPRIM_400000_NS6detail17trampoline_kernelINS0_14default_configENS1_27scan_by_key_config_selectorIssEEZZNS1_16scan_by_key_implILNS1_25lookback_scan_determinismE0ELb1ES3_N6thrust23THRUST_200600_302600_NS6detail15normal_iteratorINS9_10device_ptrIsEEEESE_SE_sNS9_4plusIvEENS9_8equal_toIsEEsEE10hipError_tPvRmT2_T3_T4_T5_mT6_T7_P12ihipStream_tbENKUlT_T0_E_clISt17integral_constantIbLb0EESZ_EEDaSU_SV_EUlSU_E_NS1_11comp_targetILNS1_3genE3ELNS1_11target_archE908ELNS1_3gpuE7ELNS1_3repE0EEENS1_30default_config_static_selectorELNS0_4arch9wavefront6targetE1EEEvT1_
		.amdhsa_group_segment_fixed_size 0
		.amdhsa_private_segment_fixed_size 0
		.amdhsa_kernarg_size 112
		.amdhsa_user_sgpr_count 2
		.amdhsa_user_sgpr_dispatch_ptr 0
		.amdhsa_user_sgpr_queue_ptr 0
		.amdhsa_user_sgpr_kernarg_segment_ptr 1
		.amdhsa_user_sgpr_dispatch_id 0
		.amdhsa_user_sgpr_kernarg_preload_length 0
		.amdhsa_user_sgpr_kernarg_preload_offset 0
		.amdhsa_user_sgpr_private_segment_size 0
		.amdhsa_uses_dynamic_stack 0
		.amdhsa_enable_private_segment 0
		.amdhsa_system_sgpr_workgroup_id_x 1
		.amdhsa_system_sgpr_workgroup_id_y 0
		.amdhsa_system_sgpr_workgroup_id_z 0
		.amdhsa_system_sgpr_workgroup_info 0
		.amdhsa_system_vgpr_workitem_id 0
		.amdhsa_next_free_vgpr 1
		.amdhsa_next_free_sgpr 0
		.amdhsa_accum_offset 4
		.amdhsa_reserve_vcc 0
		.amdhsa_float_round_mode_32 0
		.amdhsa_float_round_mode_16_64 0
		.amdhsa_float_denorm_mode_32 3
		.amdhsa_float_denorm_mode_16_64 3
		.amdhsa_dx10_clamp 1
		.amdhsa_ieee_mode 1
		.amdhsa_fp16_overflow 0
		.amdhsa_tg_split 0
		.amdhsa_exception_fp_ieee_invalid_op 0
		.amdhsa_exception_fp_denorm_src 0
		.amdhsa_exception_fp_ieee_div_zero 0
		.amdhsa_exception_fp_ieee_overflow 0
		.amdhsa_exception_fp_ieee_underflow 0
		.amdhsa_exception_fp_ieee_inexact 0
		.amdhsa_exception_int_div_zero 0
	.end_amdhsa_kernel
	.section	.text._ZN7rocprim17ROCPRIM_400000_NS6detail17trampoline_kernelINS0_14default_configENS1_27scan_by_key_config_selectorIssEEZZNS1_16scan_by_key_implILNS1_25lookback_scan_determinismE0ELb1ES3_N6thrust23THRUST_200600_302600_NS6detail15normal_iteratorINS9_10device_ptrIsEEEESE_SE_sNS9_4plusIvEENS9_8equal_toIsEEsEE10hipError_tPvRmT2_T3_T4_T5_mT6_T7_P12ihipStream_tbENKUlT_T0_E_clISt17integral_constantIbLb0EESZ_EEDaSU_SV_EUlSU_E_NS1_11comp_targetILNS1_3genE3ELNS1_11target_archE908ELNS1_3gpuE7ELNS1_3repE0EEENS1_30default_config_static_selectorELNS0_4arch9wavefront6targetE1EEEvT1_,"axG",@progbits,_ZN7rocprim17ROCPRIM_400000_NS6detail17trampoline_kernelINS0_14default_configENS1_27scan_by_key_config_selectorIssEEZZNS1_16scan_by_key_implILNS1_25lookback_scan_determinismE0ELb1ES3_N6thrust23THRUST_200600_302600_NS6detail15normal_iteratorINS9_10device_ptrIsEEEESE_SE_sNS9_4plusIvEENS9_8equal_toIsEEsEE10hipError_tPvRmT2_T3_T4_T5_mT6_T7_P12ihipStream_tbENKUlT_T0_E_clISt17integral_constantIbLb0EESZ_EEDaSU_SV_EUlSU_E_NS1_11comp_targetILNS1_3genE3ELNS1_11target_archE908ELNS1_3gpuE7ELNS1_3repE0EEENS1_30default_config_static_selectorELNS0_4arch9wavefront6targetE1EEEvT1_,comdat
.Lfunc_end645:
	.size	_ZN7rocprim17ROCPRIM_400000_NS6detail17trampoline_kernelINS0_14default_configENS1_27scan_by_key_config_selectorIssEEZZNS1_16scan_by_key_implILNS1_25lookback_scan_determinismE0ELb1ES3_N6thrust23THRUST_200600_302600_NS6detail15normal_iteratorINS9_10device_ptrIsEEEESE_SE_sNS9_4plusIvEENS9_8equal_toIsEEsEE10hipError_tPvRmT2_T3_T4_T5_mT6_T7_P12ihipStream_tbENKUlT_T0_E_clISt17integral_constantIbLb0EESZ_EEDaSU_SV_EUlSU_E_NS1_11comp_targetILNS1_3genE3ELNS1_11target_archE908ELNS1_3gpuE7ELNS1_3repE0EEENS1_30default_config_static_selectorELNS0_4arch9wavefront6targetE1EEEvT1_, .Lfunc_end645-_ZN7rocprim17ROCPRIM_400000_NS6detail17trampoline_kernelINS0_14default_configENS1_27scan_by_key_config_selectorIssEEZZNS1_16scan_by_key_implILNS1_25lookback_scan_determinismE0ELb1ES3_N6thrust23THRUST_200600_302600_NS6detail15normal_iteratorINS9_10device_ptrIsEEEESE_SE_sNS9_4plusIvEENS9_8equal_toIsEEsEE10hipError_tPvRmT2_T3_T4_T5_mT6_T7_P12ihipStream_tbENKUlT_T0_E_clISt17integral_constantIbLb0EESZ_EEDaSU_SV_EUlSU_E_NS1_11comp_targetILNS1_3genE3ELNS1_11target_archE908ELNS1_3gpuE7ELNS1_3repE0EEENS1_30default_config_static_selectorELNS0_4arch9wavefront6targetE1EEEvT1_
                                        ; -- End function
	.section	.AMDGPU.csdata,"",@progbits
; Kernel info:
; codeLenInByte = 0
; NumSgprs: 6
; NumVgprs: 0
; NumAgprs: 0
; TotalNumVgprs: 0
; ScratchSize: 0
; MemoryBound: 0
; FloatMode: 240
; IeeeMode: 1
; LDSByteSize: 0 bytes/workgroup (compile time only)
; SGPRBlocks: 0
; VGPRBlocks: 0
; NumSGPRsForWavesPerEU: 6
; NumVGPRsForWavesPerEU: 1
; AccumOffset: 4
; Occupancy: 8
; WaveLimiterHint : 0
; COMPUTE_PGM_RSRC2:SCRATCH_EN: 0
; COMPUTE_PGM_RSRC2:USER_SGPR: 2
; COMPUTE_PGM_RSRC2:TRAP_HANDLER: 0
; COMPUTE_PGM_RSRC2:TGID_X_EN: 1
; COMPUTE_PGM_RSRC2:TGID_Y_EN: 0
; COMPUTE_PGM_RSRC2:TGID_Z_EN: 0
; COMPUTE_PGM_RSRC2:TIDIG_COMP_CNT: 0
; COMPUTE_PGM_RSRC3_GFX90A:ACCUM_OFFSET: 0
; COMPUTE_PGM_RSRC3_GFX90A:TG_SPLIT: 0
	.section	.text._ZN7rocprim17ROCPRIM_400000_NS6detail17trampoline_kernelINS0_14default_configENS1_27scan_by_key_config_selectorIssEEZZNS1_16scan_by_key_implILNS1_25lookback_scan_determinismE0ELb1ES3_N6thrust23THRUST_200600_302600_NS6detail15normal_iteratorINS9_10device_ptrIsEEEESE_SE_sNS9_4plusIvEENS9_8equal_toIsEEsEE10hipError_tPvRmT2_T3_T4_T5_mT6_T7_P12ihipStream_tbENKUlT_T0_E_clISt17integral_constantIbLb0EESZ_EEDaSU_SV_EUlSU_E_NS1_11comp_targetILNS1_3genE2ELNS1_11target_archE906ELNS1_3gpuE6ELNS1_3repE0EEENS1_30default_config_static_selectorELNS0_4arch9wavefront6targetE1EEEvT1_,"axG",@progbits,_ZN7rocprim17ROCPRIM_400000_NS6detail17trampoline_kernelINS0_14default_configENS1_27scan_by_key_config_selectorIssEEZZNS1_16scan_by_key_implILNS1_25lookback_scan_determinismE0ELb1ES3_N6thrust23THRUST_200600_302600_NS6detail15normal_iteratorINS9_10device_ptrIsEEEESE_SE_sNS9_4plusIvEENS9_8equal_toIsEEsEE10hipError_tPvRmT2_T3_T4_T5_mT6_T7_P12ihipStream_tbENKUlT_T0_E_clISt17integral_constantIbLb0EESZ_EEDaSU_SV_EUlSU_E_NS1_11comp_targetILNS1_3genE2ELNS1_11target_archE906ELNS1_3gpuE6ELNS1_3repE0EEENS1_30default_config_static_selectorELNS0_4arch9wavefront6targetE1EEEvT1_,comdat
	.protected	_ZN7rocprim17ROCPRIM_400000_NS6detail17trampoline_kernelINS0_14default_configENS1_27scan_by_key_config_selectorIssEEZZNS1_16scan_by_key_implILNS1_25lookback_scan_determinismE0ELb1ES3_N6thrust23THRUST_200600_302600_NS6detail15normal_iteratorINS9_10device_ptrIsEEEESE_SE_sNS9_4plusIvEENS9_8equal_toIsEEsEE10hipError_tPvRmT2_T3_T4_T5_mT6_T7_P12ihipStream_tbENKUlT_T0_E_clISt17integral_constantIbLb0EESZ_EEDaSU_SV_EUlSU_E_NS1_11comp_targetILNS1_3genE2ELNS1_11target_archE906ELNS1_3gpuE6ELNS1_3repE0EEENS1_30default_config_static_selectorELNS0_4arch9wavefront6targetE1EEEvT1_ ; -- Begin function _ZN7rocprim17ROCPRIM_400000_NS6detail17trampoline_kernelINS0_14default_configENS1_27scan_by_key_config_selectorIssEEZZNS1_16scan_by_key_implILNS1_25lookback_scan_determinismE0ELb1ES3_N6thrust23THRUST_200600_302600_NS6detail15normal_iteratorINS9_10device_ptrIsEEEESE_SE_sNS9_4plusIvEENS9_8equal_toIsEEsEE10hipError_tPvRmT2_T3_T4_T5_mT6_T7_P12ihipStream_tbENKUlT_T0_E_clISt17integral_constantIbLb0EESZ_EEDaSU_SV_EUlSU_E_NS1_11comp_targetILNS1_3genE2ELNS1_11target_archE906ELNS1_3gpuE6ELNS1_3repE0EEENS1_30default_config_static_selectorELNS0_4arch9wavefront6targetE1EEEvT1_
	.globl	_ZN7rocprim17ROCPRIM_400000_NS6detail17trampoline_kernelINS0_14default_configENS1_27scan_by_key_config_selectorIssEEZZNS1_16scan_by_key_implILNS1_25lookback_scan_determinismE0ELb1ES3_N6thrust23THRUST_200600_302600_NS6detail15normal_iteratorINS9_10device_ptrIsEEEESE_SE_sNS9_4plusIvEENS9_8equal_toIsEEsEE10hipError_tPvRmT2_T3_T4_T5_mT6_T7_P12ihipStream_tbENKUlT_T0_E_clISt17integral_constantIbLb0EESZ_EEDaSU_SV_EUlSU_E_NS1_11comp_targetILNS1_3genE2ELNS1_11target_archE906ELNS1_3gpuE6ELNS1_3repE0EEENS1_30default_config_static_selectorELNS0_4arch9wavefront6targetE1EEEvT1_
	.p2align	8
	.type	_ZN7rocprim17ROCPRIM_400000_NS6detail17trampoline_kernelINS0_14default_configENS1_27scan_by_key_config_selectorIssEEZZNS1_16scan_by_key_implILNS1_25lookback_scan_determinismE0ELb1ES3_N6thrust23THRUST_200600_302600_NS6detail15normal_iteratorINS9_10device_ptrIsEEEESE_SE_sNS9_4plusIvEENS9_8equal_toIsEEsEE10hipError_tPvRmT2_T3_T4_T5_mT6_T7_P12ihipStream_tbENKUlT_T0_E_clISt17integral_constantIbLb0EESZ_EEDaSU_SV_EUlSU_E_NS1_11comp_targetILNS1_3genE2ELNS1_11target_archE906ELNS1_3gpuE6ELNS1_3repE0EEENS1_30default_config_static_selectorELNS0_4arch9wavefront6targetE1EEEvT1_,@function
_ZN7rocprim17ROCPRIM_400000_NS6detail17trampoline_kernelINS0_14default_configENS1_27scan_by_key_config_selectorIssEEZZNS1_16scan_by_key_implILNS1_25lookback_scan_determinismE0ELb1ES3_N6thrust23THRUST_200600_302600_NS6detail15normal_iteratorINS9_10device_ptrIsEEEESE_SE_sNS9_4plusIvEENS9_8equal_toIsEEsEE10hipError_tPvRmT2_T3_T4_T5_mT6_T7_P12ihipStream_tbENKUlT_T0_E_clISt17integral_constantIbLb0EESZ_EEDaSU_SV_EUlSU_E_NS1_11comp_targetILNS1_3genE2ELNS1_11target_archE906ELNS1_3gpuE6ELNS1_3repE0EEENS1_30default_config_static_selectorELNS0_4arch9wavefront6targetE1EEEvT1_: ; @_ZN7rocprim17ROCPRIM_400000_NS6detail17trampoline_kernelINS0_14default_configENS1_27scan_by_key_config_selectorIssEEZZNS1_16scan_by_key_implILNS1_25lookback_scan_determinismE0ELb1ES3_N6thrust23THRUST_200600_302600_NS6detail15normal_iteratorINS9_10device_ptrIsEEEESE_SE_sNS9_4plusIvEENS9_8equal_toIsEEsEE10hipError_tPvRmT2_T3_T4_T5_mT6_T7_P12ihipStream_tbENKUlT_T0_E_clISt17integral_constantIbLb0EESZ_EEDaSU_SV_EUlSU_E_NS1_11comp_targetILNS1_3genE2ELNS1_11target_archE906ELNS1_3gpuE6ELNS1_3repE0EEENS1_30default_config_static_selectorELNS0_4arch9wavefront6targetE1EEEvT1_
; %bb.0:
	.section	.rodata,"a",@progbits
	.p2align	6, 0x0
	.amdhsa_kernel _ZN7rocprim17ROCPRIM_400000_NS6detail17trampoline_kernelINS0_14default_configENS1_27scan_by_key_config_selectorIssEEZZNS1_16scan_by_key_implILNS1_25lookback_scan_determinismE0ELb1ES3_N6thrust23THRUST_200600_302600_NS6detail15normal_iteratorINS9_10device_ptrIsEEEESE_SE_sNS9_4plusIvEENS9_8equal_toIsEEsEE10hipError_tPvRmT2_T3_T4_T5_mT6_T7_P12ihipStream_tbENKUlT_T0_E_clISt17integral_constantIbLb0EESZ_EEDaSU_SV_EUlSU_E_NS1_11comp_targetILNS1_3genE2ELNS1_11target_archE906ELNS1_3gpuE6ELNS1_3repE0EEENS1_30default_config_static_selectorELNS0_4arch9wavefront6targetE1EEEvT1_
		.amdhsa_group_segment_fixed_size 0
		.amdhsa_private_segment_fixed_size 0
		.amdhsa_kernarg_size 112
		.amdhsa_user_sgpr_count 2
		.amdhsa_user_sgpr_dispatch_ptr 0
		.amdhsa_user_sgpr_queue_ptr 0
		.amdhsa_user_sgpr_kernarg_segment_ptr 1
		.amdhsa_user_sgpr_dispatch_id 0
		.amdhsa_user_sgpr_kernarg_preload_length 0
		.amdhsa_user_sgpr_kernarg_preload_offset 0
		.amdhsa_user_sgpr_private_segment_size 0
		.amdhsa_uses_dynamic_stack 0
		.amdhsa_enable_private_segment 0
		.amdhsa_system_sgpr_workgroup_id_x 1
		.amdhsa_system_sgpr_workgroup_id_y 0
		.amdhsa_system_sgpr_workgroup_id_z 0
		.amdhsa_system_sgpr_workgroup_info 0
		.amdhsa_system_vgpr_workitem_id 0
		.amdhsa_next_free_vgpr 1
		.amdhsa_next_free_sgpr 0
		.amdhsa_accum_offset 4
		.amdhsa_reserve_vcc 0
		.amdhsa_float_round_mode_32 0
		.amdhsa_float_round_mode_16_64 0
		.amdhsa_float_denorm_mode_32 3
		.amdhsa_float_denorm_mode_16_64 3
		.amdhsa_dx10_clamp 1
		.amdhsa_ieee_mode 1
		.amdhsa_fp16_overflow 0
		.amdhsa_tg_split 0
		.amdhsa_exception_fp_ieee_invalid_op 0
		.amdhsa_exception_fp_denorm_src 0
		.amdhsa_exception_fp_ieee_div_zero 0
		.amdhsa_exception_fp_ieee_overflow 0
		.amdhsa_exception_fp_ieee_underflow 0
		.amdhsa_exception_fp_ieee_inexact 0
		.amdhsa_exception_int_div_zero 0
	.end_amdhsa_kernel
	.section	.text._ZN7rocprim17ROCPRIM_400000_NS6detail17trampoline_kernelINS0_14default_configENS1_27scan_by_key_config_selectorIssEEZZNS1_16scan_by_key_implILNS1_25lookback_scan_determinismE0ELb1ES3_N6thrust23THRUST_200600_302600_NS6detail15normal_iteratorINS9_10device_ptrIsEEEESE_SE_sNS9_4plusIvEENS9_8equal_toIsEEsEE10hipError_tPvRmT2_T3_T4_T5_mT6_T7_P12ihipStream_tbENKUlT_T0_E_clISt17integral_constantIbLb0EESZ_EEDaSU_SV_EUlSU_E_NS1_11comp_targetILNS1_3genE2ELNS1_11target_archE906ELNS1_3gpuE6ELNS1_3repE0EEENS1_30default_config_static_selectorELNS0_4arch9wavefront6targetE1EEEvT1_,"axG",@progbits,_ZN7rocprim17ROCPRIM_400000_NS6detail17trampoline_kernelINS0_14default_configENS1_27scan_by_key_config_selectorIssEEZZNS1_16scan_by_key_implILNS1_25lookback_scan_determinismE0ELb1ES3_N6thrust23THRUST_200600_302600_NS6detail15normal_iteratorINS9_10device_ptrIsEEEESE_SE_sNS9_4plusIvEENS9_8equal_toIsEEsEE10hipError_tPvRmT2_T3_T4_T5_mT6_T7_P12ihipStream_tbENKUlT_T0_E_clISt17integral_constantIbLb0EESZ_EEDaSU_SV_EUlSU_E_NS1_11comp_targetILNS1_3genE2ELNS1_11target_archE906ELNS1_3gpuE6ELNS1_3repE0EEENS1_30default_config_static_selectorELNS0_4arch9wavefront6targetE1EEEvT1_,comdat
.Lfunc_end646:
	.size	_ZN7rocprim17ROCPRIM_400000_NS6detail17trampoline_kernelINS0_14default_configENS1_27scan_by_key_config_selectorIssEEZZNS1_16scan_by_key_implILNS1_25lookback_scan_determinismE0ELb1ES3_N6thrust23THRUST_200600_302600_NS6detail15normal_iteratorINS9_10device_ptrIsEEEESE_SE_sNS9_4plusIvEENS9_8equal_toIsEEsEE10hipError_tPvRmT2_T3_T4_T5_mT6_T7_P12ihipStream_tbENKUlT_T0_E_clISt17integral_constantIbLb0EESZ_EEDaSU_SV_EUlSU_E_NS1_11comp_targetILNS1_3genE2ELNS1_11target_archE906ELNS1_3gpuE6ELNS1_3repE0EEENS1_30default_config_static_selectorELNS0_4arch9wavefront6targetE1EEEvT1_, .Lfunc_end646-_ZN7rocprim17ROCPRIM_400000_NS6detail17trampoline_kernelINS0_14default_configENS1_27scan_by_key_config_selectorIssEEZZNS1_16scan_by_key_implILNS1_25lookback_scan_determinismE0ELb1ES3_N6thrust23THRUST_200600_302600_NS6detail15normal_iteratorINS9_10device_ptrIsEEEESE_SE_sNS9_4plusIvEENS9_8equal_toIsEEsEE10hipError_tPvRmT2_T3_T4_T5_mT6_T7_P12ihipStream_tbENKUlT_T0_E_clISt17integral_constantIbLb0EESZ_EEDaSU_SV_EUlSU_E_NS1_11comp_targetILNS1_3genE2ELNS1_11target_archE906ELNS1_3gpuE6ELNS1_3repE0EEENS1_30default_config_static_selectorELNS0_4arch9wavefront6targetE1EEEvT1_
                                        ; -- End function
	.section	.AMDGPU.csdata,"",@progbits
; Kernel info:
; codeLenInByte = 0
; NumSgprs: 6
; NumVgprs: 0
; NumAgprs: 0
; TotalNumVgprs: 0
; ScratchSize: 0
; MemoryBound: 0
; FloatMode: 240
; IeeeMode: 1
; LDSByteSize: 0 bytes/workgroup (compile time only)
; SGPRBlocks: 0
; VGPRBlocks: 0
; NumSGPRsForWavesPerEU: 6
; NumVGPRsForWavesPerEU: 1
; AccumOffset: 4
; Occupancy: 8
; WaveLimiterHint : 0
; COMPUTE_PGM_RSRC2:SCRATCH_EN: 0
; COMPUTE_PGM_RSRC2:USER_SGPR: 2
; COMPUTE_PGM_RSRC2:TRAP_HANDLER: 0
; COMPUTE_PGM_RSRC2:TGID_X_EN: 1
; COMPUTE_PGM_RSRC2:TGID_Y_EN: 0
; COMPUTE_PGM_RSRC2:TGID_Z_EN: 0
; COMPUTE_PGM_RSRC2:TIDIG_COMP_CNT: 0
; COMPUTE_PGM_RSRC3_GFX90A:ACCUM_OFFSET: 0
; COMPUTE_PGM_RSRC3_GFX90A:TG_SPLIT: 0
	.section	.text._ZN7rocprim17ROCPRIM_400000_NS6detail17trampoline_kernelINS0_14default_configENS1_27scan_by_key_config_selectorIssEEZZNS1_16scan_by_key_implILNS1_25lookback_scan_determinismE0ELb1ES3_N6thrust23THRUST_200600_302600_NS6detail15normal_iteratorINS9_10device_ptrIsEEEESE_SE_sNS9_4plusIvEENS9_8equal_toIsEEsEE10hipError_tPvRmT2_T3_T4_T5_mT6_T7_P12ihipStream_tbENKUlT_T0_E_clISt17integral_constantIbLb0EESZ_EEDaSU_SV_EUlSU_E_NS1_11comp_targetILNS1_3genE10ELNS1_11target_archE1200ELNS1_3gpuE4ELNS1_3repE0EEENS1_30default_config_static_selectorELNS0_4arch9wavefront6targetE1EEEvT1_,"axG",@progbits,_ZN7rocprim17ROCPRIM_400000_NS6detail17trampoline_kernelINS0_14default_configENS1_27scan_by_key_config_selectorIssEEZZNS1_16scan_by_key_implILNS1_25lookback_scan_determinismE0ELb1ES3_N6thrust23THRUST_200600_302600_NS6detail15normal_iteratorINS9_10device_ptrIsEEEESE_SE_sNS9_4plusIvEENS9_8equal_toIsEEsEE10hipError_tPvRmT2_T3_T4_T5_mT6_T7_P12ihipStream_tbENKUlT_T0_E_clISt17integral_constantIbLb0EESZ_EEDaSU_SV_EUlSU_E_NS1_11comp_targetILNS1_3genE10ELNS1_11target_archE1200ELNS1_3gpuE4ELNS1_3repE0EEENS1_30default_config_static_selectorELNS0_4arch9wavefront6targetE1EEEvT1_,comdat
	.protected	_ZN7rocprim17ROCPRIM_400000_NS6detail17trampoline_kernelINS0_14default_configENS1_27scan_by_key_config_selectorIssEEZZNS1_16scan_by_key_implILNS1_25lookback_scan_determinismE0ELb1ES3_N6thrust23THRUST_200600_302600_NS6detail15normal_iteratorINS9_10device_ptrIsEEEESE_SE_sNS9_4plusIvEENS9_8equal_toIsEEsEE10hipError_tPvRmT2_T3_T4_T5_mT6_T7_P12ihipStream_tbENKUlT_T0_E_clISt17integral_constantIbLb0EESZ_EEDaSU_SV_EUlSU_E_NS1_11comp_targetILNS1_3genE10ELNS1_11target_archE1200ELNS1_3gpuE4ELNS1_3repE0EEENS1_30default_config_static_selectorELNS0_4arch9wavefront6targetE1EEEvT1_ ; -- Begin function _ZN7rocprim17ROCPRIM_400000_NS6detail17trampoline_kernelINS0_14default_configENS1_27scan_by_key_config_selectorIssEEZZNS1_16scan_by_key_implILNS1_25lookback_scan_determinismE0ELb1ES3_N6thrust23THRUST_200600_302600_NS6detail15normal_iteratorINS9_10device_ptrIsEEEESE_SE_sNS9_4plusIvEENS9_8equal_toIsEEsEE10hipError_tPvRmT2_T3_T4_T5_mT6_T7_P12ihipStream_tbENKUlT_T0_E_clISt17integral_constantIbLb0EESZ_EEDaSU_SV_EUlSU_E_NS1_11comp_targetILNS1_3genE10ELNS1_11target_archE1200ELNS1_3gpuE4ELNS1_3repE0EEENS1_30default_config_static_selectorELNS0_4arch9wavefront6targetE1EEEvT1_
	.globl	_ZN7rocprim17ROCPRIM_400000_NS6detail17trampoline_kernelINS0_14default_configENS1_27scan_by_key_config_selectorIssEEZZNS1_16scan_by_key_implILNS1_25lookback_scan_determinismE0ELb1ES3_N6thrust23THRUST_200600_302600_NS6detail15normal_iteratorINS9_10device_ptrIsEEEESE_SE_sNS9_4plusIvEENS9_8equal_toIsEEsEE10hipError_tPvRmT2_T3_T4_T5_mT6_T7_P12ihipStream_tbENKUlT_T0_E_clISt17integral_constantIbLb0EESZ_EEDaSU_SV_EUlSU_E_NS1_11comp_targetILNS1_3genE10ELNS1_11target_archE1200ELNS1_3gpuE4ELNS1_3repE0EEENS1_30default_config_static_selectorELNS0_4arch9wavefront6targetE1EEEvT1_
	.p2align	8
	.type	_ZN7rocprim17ROCPRIM_400000_NS6detail17trampoline_kernelINS0_14default_configENS1_27scan_by_key_config_selectorIssEEZZNS1_16scan_by_key_implILNS1_25lookback_scan_determinismE0ELb1ES3_N6thrust23THRUST_200600_302600_NS6detail15normal_iteratorINS9_10device_ptrIsEEEESE_SE_sNS9_4plusIvEENS9_8equal_toIsEEsEE10hipError_tPvRmT2_T3_T4_T5_mT6_T7_P12ihipStream_tbENKUlT_T0_E_clISt17integral_constantIbLb0EESZ_EEDaSU_SV_EUlSU_E_NS1_11comp_targetILNS1_3genE10ELNS1_11target_archE1200ELNS1_3gpuE4ELNS1_3repE0EEENS1_30default_config_static_selectorELNS0_4arch9wavefront6targetE1EEEvT1_,@function
_ZN7rocprim17ROCPRIM_400000_NS6detail17trampoline_kernelINS0_14default_configENS1_27scan_by_key_config_selectorIssEEZZNS1_16scan_by_key_implILNS1_25lookback_scan_determinismE0ELb1ES3_N6thrust23THRUST_200600_302600_NS6detail15normal_iteratorINS9_10device_ptrIsEEEESE_SE_sNS9_4plusIvEENS9_8equal_toIsEEsEE10hipError_tPvRmT2_T3_T4_T5_mT6_T7_P12ihipStream_tbENKUlT_T0_E_clISt17integral_constantIbLb0EESZ_EEDaSU_SV_EUlSU_E_NS1_11comp_targetILNS1_3genE10ELNS1_11target_archE1200ELNS1_3gpuE4ELNS1_3repE0EEENS1_30default_config_static_selectorELNS0_4arch9wavefront6targetE1EEEvT1_: ; @_ZN7rocprim17ROCPRIM_400000_NS6detail17trampoline_kernelINS0_14default_configENS1_27scan_by_key_config_selectorIssEEZZNS1_16scan_by_key_implILNS1_25lookback_scan_determinismE0ELb1ES3_N6thrust23THRUST_200600_302600_NS6detail15normal_iteratorINS9_10device_ptrIsEEEESE_SE_sNS9_4plusIvEENS9_8equal_toIsEEsEE10hipError_tPvRmT2_T3_T4_T5_mT6_T7_P12ihipStream_tbENKUlT_T0_E_clISt17integral_constantIbLb0EESZ_EEDaSU_SV_EUlSU_E_NS1_11comp_targetILNS1_3genE10ELNS1_11target_archE1200ELNS1_3gpuE4ELNS1_3repE0EEENS1_30default_config_static_selectorELNS0_4arch9wavefront6targetE1EEEvT1_
; %bb.0:
	.section	.rodata,"a",@progbits
	.p2align	6, 0x0
	.amdhsa_kernel _ZN7rocprim17ROCPRIM_400000_NS6detail17trampoline_kernelINS0_14default_configENS1_27scan_by_key_config_selectorIssEEZZNS1_16scan_by_key_implILNS1_25lookback_scan_determinismE0ELb1ES3_N6thrust23THRUST_200600_302600_NS6detail15normal_iteratorINS9_10device_ptrIsEEEESE_SE_sNS9_4plusIvEENS9_8equal_toIsEEsEE10hipError_tPvRmT2_T3_T4_T5_mT6_T7_P12ihipStream_tbENKUlT_T0_E_clISt17integral_constantIbLb0EESZ_EEDaSU_SV_EUlSU_E_NS1_11comp_targetILNS1_3genE10ELNS1_11target_archE1200ELNS1_3gpuE4ELNS1_3repE0EEENS1_30default_config_static_selectorELNS0_4arch9wavefront6targetE1EEEvT1_
		.amdhsa_group_segment_fixed_size 0
		.amdhsa_private_segment_fixed_size 0
		.amdhsa_kernarg_size 112
		.amdhsa_user_sgpr_count 2
		.amdhsa_user_sgpr_dispatch_ptr 0
		.amdhsa_user_sgpr_queue_ptr 0
		.amdhsa_user_sgpr_kernarg_segment_ptr 1
		.amdhsa_user_sgpr_dispatch_id 0
		.amdhsa_user_sgpr_kernarg_preload_length 0
		.amdhsa_user_sgpr_kernarg_preload_offset 0
		.amdhsa_user_sgpr_private_segment_size 0
		.amdhsa_uses_dynamic_stack 0
		.amdhsa_enable_private_segment 0
		.amdhsa_system_sgpr_workgroup_id_x 1
		.amdhsa_system_sgpr_workgroup_id_y 0
		.amdhsa_system_sgpr_workgroup_id_z 0
		.amdhsa_system_sgpr_workgroup_info 0
		.amdhsa_system_vgpr_workitem_id 0
		.amdhsa_next_free_vgpr 1
		.amdhsa_next_free_sgpr 0
		.amdhsa_accum_offset 4
		.amdhsa_reserve_vcc 0
		.amdhsa_float_round_mode_32 0
		.amdhsa_float_round_mode_16_64 0
		.amdhsa_float_denorm_mode_32 3
		.amdhsa_float_denorm_mode_16_64 3
		.amdhsa_dx10_clamp 1
		.amdhsa_ieee_mode 1
		.amdhsa_fp16_overflow 0
		.amdhsa_tg_split 0
		.amdhsa_exception_fp_ieee_invalid_op 0
		.amdhsa_exception_fp_denorm_src 0
		.amdhsa_exception_fp_ieee_div_zero 0
		.amdhsa_exception_fp_ieee_overflow 0
		.amdhsa_exception_fp_ieee_underflow 0
		.amdhsa_exception_fp_ieee_inexact 0
		.amdhsa_exception_int_div_zero 0
	.end_amdhsa_kernel
	.section	.text._ZN7rocprim17ROCPRIM_400000_NS6detail17trampoline_kernelINS0_14default_configENS1_27scan_by_key_config_selectorIssEEZZNS1_16scan_by_key_implILNS1_25lookback_scan_determinismE0ELb1ES3_N6thrust23THRUST_200600_302600_NS6detail15normal_iteratorINS9_10device_ptrIsEEEESE_SE_sNS9_4plusIvEENS9_8equal_toIsEEsEE10hipError_tPvRmT2_T3_T4_T5_mT6_T7_P12ihipStream_tbENKUlT_T0_E_clISt17integral_constantIbLb0EESZ_EEDaSU_SV_EUlSU_E_NS1_11comp_targetILNS1_3genE10ELNS1_11target_archE1200ELNS1_3gpuE4ELNS1_3repE0EEENS1_30default_config_static_selectorELNS0_4arch9wavefront6targetE1EEEvT1_,"axG",@progbits,_ZN7rocprim17ROCPRIM_400000_NS6detail17trampoline_kernelINS0_14default_configENS1_27scan_by_key_config_selectorIssEEZZNS1_16scan_by_key_implILNS1_25lookback_scan_determinismE0ELb1ES3_N6thrust23THRUST_200600_302600_NS6detail15normal_iteratorINS9_10device_ptrIsEEEESE_SE_sNS9_4plusIvEENS9_8equal_toIsEEsEE10hipError_tPvRmT2_T3_T4_T5_mT6_T7_P12ihipStream_tbENKUlT_T0_E_clISt17integral_constantIbLb0EESZ_EEDaSU_SV_EUlSU_E_NS1_11comp_targetILNS1_3genE10ELNS1_11target_archE1200ELNS1_3gpuE4ELNS1_3repE0EEENS1_30default_config_static_selectorELNS0_4arch9wavefront6targetE1EEEvT1_,comdat
.Lfunc_end647:
	.size	_ZN7rocprim17ROCPRIM_400000_NS6detail17trampoline_kernelINS0_14default_configENS1_27scan_by_key_config_selectorIssEEZZNS1_16scan_by_key_implILNS1_25lookback_scan_determinismE0ELb1ES3_N6thrust23THRUST_200600_302600_NS6detail15normal_iteratorINS9_10device_ptrIsEEEESE_SE_sNS9_4plusIvEENS9_8equal_toIsEEsEE10hipError_tPvRmT2_T3_T4_T5_mT6_T7_P12ihipStream_tbENKUlT_T0_E_clISt17integral_constantIbLb0EESZ_EEDaSU_SV_EUlSU_E_NS1_11comp_targetILNS1_3genE10ELNS1_11target_archE1200ELNS1_3gpuE4ELNS1_3repE0EEENS1_30default_config_static_selectorELNS0_4arch9wavefront6targetE1EEEvT1_, .Lfunc_end647-_ZN7rocprim17ROCPRIM_400000_NS6detail17trampoline_kernelINS0_14default_configENS1_27scan_by_key_config_selectorIssEEZZNS1_16scan_by_key_implILNS1_25lookback_scan_determinismE0ELb1ES3_N6thrust23THRUST_200600_302600_NS6detail15normal_iteratorINS9_10device_ptrIsEEEESE_SE_sNS9_4plusIvEENS9_8equal_toIsEEsEE10hipError_tPvRmT2_T3_T4_T5_mT6_T7_P12ihipStream_tbENKUlT_T0_E_clISt17integral_constantIbLb0EESZ_EEDaSU_SV_EUlSU_E_NS1_11comp_targetILNS1_3genE10ELNS1_11target_archE1200ELNS1_3gpuE4ELNS1_3repE0EEENS1_30default_config_static_selectorELNS0_4arch9wavefront6targetE1EEEvT1_
                                        ; -- End function
	.section	.AMDGPU.csdata,"",@progbits
; Kernel info:
; codeLenInByte = 0
; NumSgprs: 6
; NumVgprs: 0
; NumAgprs: 0
; TotalNumVgprs: 0
; ScratchSize: 0
; MemoryBound: 0
; FloatMode: 240
; IeeeMode: 1
; LDSByteSize: 0 bytes/workgroup (compile time only)
; SGPRBlocks: 0
; VGPRBlocks: 0
; NumSGPRsForWavesPerEU: 6
; NumVGPRsForWavesPerEU: 1
; AccumOffset: 4
; Occupancy: 8
; WaveLimiterHint : 0
; COMPUTE_PGM_RSRC2:SCRATCH_EN: 0
; COMPUTE_PGM_RSRC2:USER_SGPR: 2
; COMPUTE_PGM_RSRC2:TRAP_HANDLER: 0
; COMPUTE_PGM_RSRC2:TGID_X_EN: 1
; COMPUTE_PGM_RSRC2:TGID_Y_EN: 0
; COMPUTE_PGM_RSRC2:TGID_Z_EN: 0
; COMPUTE_PGM_RSRC2:TIDIG_COMP_CNT: 0
; COMPUTE_PGM_RSRC3_GFX90A:ACCUM_OFFSET: 0
; COMPUTE_PGM_RSRC3_GFX90A:TG_SPLIT: 0
	.section	.text._ZN7rocprim17ROCPRIM_400000_NS6detail17trampoline_kernelINS0_14default_configENS1_27scan_by_key_config_selectorIssEEZZNS1_16scan_by_key_implILNS1_25lookback_scan_determinismE0ELb1ES3_N6thrust23THRUST_200600_302600_NS6detail15normal_iteratorINS9_10device_ptrIsEEEESE_SE_sNS9_4plusIvEENS9_8equal_toIsEEsEE10hipError_tPvRmT2_T3_T4_T5_mT6_T7_P12ihipStream_tbENKUlT_T0_E_clISt17integral_constantIbLb0EESZ_EEDaSU_SV_EUlSU_E_NS1_11comp_targetILNS1_3genE9ELNS1_11target_archE1100ELNS1_3gpuE3ELNS1_3repE0EEENS1_30default_config_static_selectorELNS0_4arch9wavefront6targetE1EEEvT1_,"axG",@progbits,_ZN7rocprim17ROCPRIM_400000_NS6detail17trampoline_kernelINS0_14default_configENS1_27scan_by_key_config_selectorIssEEZZNS1_16scan_by_key_implILNS1_25lookback_scan_determinismE0ELb1ES3_N6thrust23THRUST_200600_302600_NS6detail15normal_iteratorINS9_10device_ptrIsEEEESE_SE_sNS9_4plusIvEENS9_8equal_toIsEEsEE10hipError_tPvRmT2_T3_T4_T5_mT6_T7_P12ihipStream_tbENKUlT_T0_E_clISt17integral_constantIbLb0EESZ_EEDaSU_SV_EUlSU_E_NS1_11comp_targetILNS1_3genE9ELNS1_11target_archE1100ELNS1_3gpuE3ELNS1_3repE0EEENS1_30default_config_static_selectorELNS0_4arch9wavefront6targetE1EEEvT1_,comdat
	.protected	_ZN7rocprim17ROCPRIM_400000_NS6detail17trampoline_kernelINS0_14default_configENS1_27scan_by_key_config_selectorIssEEZZNS1_16scan_by_key_implILNS1_25lookback_scan_determinismE0ELb1ES3_N6thrust23THRUST_200600_302600_NS6detail15normal_iteratorINS9_10device_ptrIsEEEESE_SE_sNS9_4plusIvEENS9_8equal_toIsEEsEE10hipError_tPvRmT2_T3_T4_T5_mT6_T7_P12ihipStream_tbENKUlT_T0_E_clISt17integral_constantIbLb0EESZ_EEDaSU_SV_EUlSU_E_NS1_11comp_targetILNS1_3genE9ELNS1_11target_archE1100ELNS1_3gpuE3ELNS1_3repE0EEENS1_30default_config_static_selectorELNS0_4arch9wavefront6targetE1EEEvT1_ ; -- Begin function _ZN7rocprim17ROCPRIM_400000_NS6detail17trampoline_kernelINS0_14default_configENS1_27scan_by_key_config_selectorIssEEZZNS1_16scan_by_key_implILNS1_25lookback_scan_determinismE0ELb1ES3_N6thrust23THRUST_200600_302600_NS6detail15normal_iteratorINS9_10device_ptrIsEEEESE_SE_sNS9_4plusIvEENS9_8equal_toIsEEsEE10hipError_tPvRmT2_T3_T4_T5_mT6_T7_P12ihipStream_tbENKUlT_T0_E_clISt17integral_constantIbLb0EESZ_EEDaSU_SV_EUlSU_E_NS1_11comp_targetILNS1_3genE9ELNS1_11target_archE1100ELNS1_3gpuE3ELNS1_3repE0EEENS1_30default_config_static_selectorELNS0_4arch9wavefront6targetE1EEEvT1_
	.globl	_ZN7rocprim17ROCPRIM_400000_NS6detail17trampoline_kernelINS0_14default_configENS1_27scan_by_key_config_selectorIssEEZZNS1_16scan_by_key_implILNS1_25lookback_scan_determinismE0ELb1ES3_N6thrust23THRUST_200600_302600_NS6detail15normal_iteratorINS9_10device_ptrIsEEEESE_SE_sNS9_4plusIvEENS9_8equal_toIsEEsEE10hipError_tPvRmT2_T3_T4_T5_mT6_T7_P12ihipStream_tbENKUlT_T0_E_clISt17integral_constantIbLb0EESZ_EEDaSU_SV_EUlSU_E_NS1_11comp_targetILNS1_3genE9ELNS1_11target_archE1100ELNS1_3gpuE3ELNS1_3repE0EEENS1_30default_config_static_selectorELNS0_4arch9wavefront6targetE1EEEvT1_
	.p2align	8
	.type	_ZN7rocprim17ROCPRIM_400000_NS6detail17trampoline_kernelINS0_14default_configENS1_27scan_by_key_config_selectorIssEEZZNS1_16scan_by_key_implILNS1_25lookback_scan_determinismE0ELb1ES3_N6thrust23THRUST_200600_302600_NS6detail15normal_iteratorINS9_10device_ptrIsEEEESE_SE_sNS9_4plusIvEENS9_8equal_toIsEEsEE10hipError_tPvRmT2_T3_T4_T5_mT6_T7_P12ihipStream_tbENKUlT_T0_E_clISt17integral_constantIbLb0EESZ_EEDaSU_SV_EUlSU_E_NS1_11comp_targetILNS1_3genE9ELNS1_11target_archE1100ELNS1_3gpuE3ELNS1_3repE0EEENS1_30default_config_static_selectorELNS0_4arch9wavefront6targetE1EEEvT1_,@function
_ZN7rocprim17ROCPRIM_400000_NS6detail17trampoline_kernelINS0_14default_configENS1_27scan_by_key_config_selectorIssEEZZNS1_16scan_by_key_implILNS1_25lookback_scan_determinismE0ELb1ES3_N6thrust23THRUST_200600_302600_NS6detail15normal_iteratorINS9_10device_ptrIsEEEESE_SE_sNS9_4plusIvEENS9_8equal_toIsEEsEE10hipError_tPvRmT2_T3_T4_T5_mT6_T7_P12ihipStream_tbENKUlT_T0_E_clISt17integral_constantIbLb0EESZ_EEDaSU_SV_EUlSU_E_NS1_11comp_targetILNS1_3genE9ELNS1_11target_archE1100ELNS1_3gpuE3ELNS1_3repE0EEENS1_30default_config_static_selectorELNS0_4arch9wavefront6targetE1EEEvT1_: ; @_ZN7rocprim17ROCPRIM_400000_NS6detail17trampoline_kernelINS0_14default_configENS1_27scan_by_key_config_selectorIssEEZZNS1_16scan_by_key_implILNS1_25lookback_scan_determinismE0ELb1ES3_N6thrust23THRUST_200600_302600_NS6detail15normal_iteratorINS9_10device_ptrIsEEEESE_SE_sNS9_4plusIvEENS9_8equal_toIsEEsEE10hipError_tPvRmT2_T3_T4_T5_mT6_T7_P12ihipStream_tbENKUlT_T0_E_clISt17integral_constantIbLb0EESZ_EEDaSU_SV_EUlSU_E_NS1_11comp_targetILNS1_3genE9ELNS1_11target_archE1100ELNS1_3gpuE3ELNS1_3repE0EEENS1_30default_config_static_selectorELNS0_4arch9wavefront6targetE1EEEvT1_
; %bb.0:
	.section	.rodata,"a",@progbits
	.p2align	6, 0x0
	.amdhsa_kernel _ZN7rocprim17ROCPRIM_400000_NS6detail17trampoline_kernelINS0_14default_configENS1_27scan_by_key_config_selectorIssEEZZNS1_16scan_by_key_implILNS1_25lookback_scan_determinismE0ELb1ES3_N6thrust23THRUST_200600_302600_NS6detail15normal_iteratorINS9_10device_ptrIsEEEESE_SE_sNS9_4plusIvEENS9_8equal_toIsEEsEE10hipError_tPvRmT2_T3_T4_T5_mT6_T7_P12ihipStream_tbENKUlT_T0_E_clISt17integral_constantIbLb0EESZ_EEDaSU_SV_EUlSU_E_NS1_11comp_targetILNS1_3genE9ELNS1_11target_archE1100ELNS1_3gpuE3ELNS1_3repE0EEENS1_30default_config_static_selectorELNS0_4arch9wavefront6targetE1EEEvT1_
		.amdhsa_group_segment_fixed_size 0
		.amdhsa_private_segment_fixed_size 0
		.amdhsa_kernarg_size 112
		.amdhsa_user_sgpr_count 2
		.amdhsa_user_sgpr_dispatch_ptr 0
		.amdhsa_user_sgpr_queue_ptr 0
		.amdhsa_user_sgpr_kernarg_segment_ptr 1
		.amdhsa_user_sgpr_dispatch_id 0
		.amdhsa_user_sgpr_kernarg_preload_length 0
		.amdhsa_user_sgpr_kernarg_preload_offset 0
		.amdhsa_user_sgpr_private_segment_size 0
		.amdhsa_uses_dynamic_stack 0
		.amdhsa_enable_private_segment 0
		.amdhsa_system_sgpr_workgroup_id_x 1
		.amdhsa_system_sgpr_workgroup_id_y 0
		.amdhsa_system_sgpr_workgroup_id_z 0
		.amdhsa_system_sgpr_workgroup_info 0
		.amdhsa_system_vgpr_workitem_id 0
		.amdhsa_next_free_vgpr 1
		.amdhsa_next_free_sgpr 0
		.amdhsa_accum_offset 4
		.amdhsa_reserve_vcc 0
		.amdhsa_float_round_mode_32 0
		.amdhsa_float_round_mode_16_64 0
		.amdhsa_float_denorm_mode_32 3
		.amdhsa_float_denorm_mode_16_64 3
		.amdhsa_dx10_clamp 1
		.amdhsa_ieee_mode 1
		.amdhsa_fp16_overflow 0
		.amdhsa_tg_split 0
		.amdhsa_exception_fp_ieee_invalid_op 0
		.amdhsa_exception_fp_denorm_src 0
		.amdhsa_exception_fp_ieee_div_zero 0
		.amdhsa_exception_fp_ieee_overflow 0
		.amdhsa_exception_fp_ieee_underflow 0
		.amdhsa_exception_fp_ieee_inexact 0
		.amdhsa_exception_int_div_zero 0
	.end_amdhsa_kernel
	.section	.text._ZN7rocprim17ROCPRIM_400000_NS6detail17trampoline_kernelINS0_14default_configENS1_27scan_by_key_config_selectorIssEEZZNS1_16scan_by_key_implILNS1_25lookback_scan_determinismE0ELb1ES3_N6thrust23THRUST_200600_302600_NS6detail15normal_iteratorINS9_10device_ptrIsEEEESE_SE_sNS9_4plusIvEENS9_8equal_toIsEEsEE10hipError_tPvRmT2_T3_T4_T5_mT6_T7_P12ihipStream_tbENKUlT_T0_E_clISt17integral_constantIbLb0EESZ_EEDaSU_SV_EUlSU_E_NS1_11comp_targetILNS1_3genE9ELNS1_11target_archE1100ELNS1_3gpuE3ELNS1_3repE0EEENS1_30default_config_static_selectorELNS0_4arch9wavefront6targetE1EEEvT1_,"axG",@progbits,_ZN7rocprim17ROCPRIM_400000_NS6detail17trampoline_kernelINS0_14default_configENS1_27scan_by_key_config_selectorIssEEZZNS1_16scan_by_key_implILNS1_25lookback_scan_determinismE0ELb1ES3_N6thrust23THRUST_200600_302600_NS6detail15normal_iteratorINS9_10device_ptrIsEEEESE_SE_sNS9_4plusIvEENS9_8equal_toIsEEsEE10hipError_tPvRmT2_T3_T4_T5_mT6_T7_P12ihipStream_tbENKUlT_T0_E_clISt17integral_constantIbLb0EESZ_EEDaSU_SV_EUlSU_E_NS1_11comp_targetILNS1_3genE9ELNS1_11target_archE1100ELNS1_3gpuE3ELNS1_3repE0EEENS1_30default_config_static_selectorELNS0_4arch9wavefront6targetE1EEEvT1_,comdat
.Lfunc_end648:
	.size	_ZN7rocprim17ROCPRIM_400000_NS6detail17trampoline_kernelINS0_14default_configENS1_27scan_by_key_config_selectorIssEEZZNS1_16scan_by_key_implILNS1_25lookback_scan_determinismE0ELb1ES3_N6thrust23THRUST_200600_302600_NS6detail15normal_iteratorINS9_10device_ptrIsEEEESE_SE_sNS9_4plusIvEENS9_8equal_toIsEEsEE10hipError_tPvRmT2_T3_T4_T5_mT6_T7_P12ihipStream_tbENKUlT_T0_E_clISt17integral_constantIbLb0EESZ_EEDaSU_SV_EUlSU_E_NS1_11comp_targetILNS1_3genE9ELNS1_11target_archE1100ELNS1_3gpuE3ELNS1_3repE0EEENS1_30default_config_static_selectorELNS0_4arch9wavefront6targetE1EEEvT1_, .Lfunc_end648-_ZN7rocprim17ROCPRIM_400000_NS6detail17trampoline_kernelINS0_14default_configENS1_27scan_by_key_config_selectorIssEEZZNS1_16scan_by_key_implILNS1_25lookback_scan_determinismE0ELb1ES3_N6thrust23THRUST_200600_302600_NS6detail15normal_iteratorINS9_10device_ptrIsEEEESE_SE_sNS9_4plusIvEENS9_8equal_toIsEEsEE10hipError_tPvRmT2_T3_T4_T5_mT6_T7_P12ihipStream_tbENKUlT_T0_E_clISt17integral_constantIbLb0EESZ_EEDaSU_SV_EUlSU_E_NS1_11comp_targetILNS1_3genE9ELNS1_11target_archE1100ELNS1_3gpuE3ELNS1_3repE0EEENS1_30default_config_static_selectorELNS0_4arch9wavefront6targetE1EEEvT1_
                                        ; -- End function
	.section	.AMDGPU.csdata,"",@progbits
; Kernel info:
; codeLenInByte = 0
; NumSgprs: 6
; NumVgprs: 0
; NumAgprs: 0
; TotalNumVgprs: 0
; ScratchSize: 0
; MemoryBound: 0
; FloatMode: 240
; IeeeMode: 1
; LDSByteSize: 0 bytes/workgroup (compile time only)
; SGPRBlocks: 0
; VGPRBlocks: 0
; NumSGPRsForWavesPerEU: 6
; NumVGPRsForWavesPerEU: 1
; AccumOffset: 4
; Occupancy: 8
; WaveLimiterHint : 0
; COMPUTE_PGM_RSRC2:SCRATCH_EN: 0
; COMPUTE_PGM_RSRC2:USER_SGPR: 2
; COMPUTE_PGM_RSRC2:TRAP_HANDLER: 0
; COMPUTE_PGM_RSRC2:TGID_X_EN: 1
; COMPUTE_PGM_RSRC2:TGID_Y_EN: 0
; COMPUTE_PGM_RSRC2:TGID_Z_EN: 0
; COMPUTE_PGM_RSRC2:TIDIG_COMP_CNT: 0
; COMPUTE_PGM_RSRC3_GFX90A:ACCUM_OFFSET: 0
; COMPUTE_PGM_RSRC3_GFX90A:TG_SPLIT: 0
	.section	.text._ZN7rocprim17ROCPRIM_400000_NS6detail17trampoline_kernelINS0_14default_configENS1_27scan_by_key_config_selectorIssEEZZNS1_16scan_by_key_implILNS1_25lookback_scan_determinismE0ELb1ES3_N6thrust23THRUST_200600_302600_NS6detail15normal_iteratorINS9_10device_ptrIsEEEESE_SE_sNS9_4plusIvEENS9_8equal_toIsEEsEE10hipError_tPvRmT2_T3_T4_T5_mT6_T7_P12ihipStream_tbENKUlT_T0_E_clISt17integral_constantIbLb0EESZ_EEDaSU_SV_EUlSU_E_NS1_11comp_targetILNS1_3genE8ELNS1_11target_archE1030ELNS1_3gpuE2ELNS1_3repE0EEENS1_30default_config_static_selectorELNS0_4arch9wavefront6targetE1EEEvT1_,"axG",@progbits,_ZN7rocprim17ROCPRIM_400000_NS6detail17trampoline_kernelINS0_14default_configENS1_27scan_by_key_config_selectorIssEEZZNS1_16scan_by_key_implILNS1_25lookback_scan_determinismE0ELb1ES3_N6thrust23THRUST_200600_302600_NS6detail15normal_iteratorINS9_10device_ptrIsEEEESE_SE_sNS9_4plusIvEENS9_8equal_toIsEEsEE10hipError_tPvRmT2_T3_T4_T5_mT6_T7_P12ihipStream_tbENKUlT_T0_E_clISt17integral_constantIbLb0EESZ_EEDaSU_SV_EUlSU_E_NS1_11comp_targetILNS1_3genE8ELNS1_11target_archE1030ELNS1_3gpuE2ELNS1_3repE0EEENS1_30default_config_static_selectorELNS0_4arch9wavefront6targetE1EEEvT1_,comdat
	.protected	_ZN7rocprim17ROCPRIM_400000_NS6detail17trampoline_kernelINS0_14default_configENS1_27scan_by_key_config_selectorIssEEZZNS1_16scan_by_key_implILNS1_25lookback_scan_determinismE0ELb1ES3_N6thrust23THRUST_200600_302600_NS6detail15normal_iteratorINS9_10device_ptrIsEEEESE_SE_sNS9_4plusIvEENS9_8equal_toIsEEsEE10hipError_tPvRmT2_T3_T4_T5_mT6_T7_P12ihipStream_tbENKUlT_T0_E_clISt17integral_constantIbLb0EESZ_EEDaSU_SV_EUlSU_E_NS1_11comp_targetILNS1_3genE8ELNS1_11target_archE1030ELNS1_3gpuE2ELNS1_3repE0EEENS1_30default_config_static_selectorELNS0_4arch9wavefront6targetE1EEEvT1_ ; -- Begin function _ZN7rocprim17ROCPRIM_400000_NS6detail17trampoline_kernelINS0_14default_configENS1_27scan_by_key_config_selectorIssEEZZNS1_16scan_by_key_implILNS1_25lookback_scan_determinismE0ELb1ES3_N6thrust23THRUST_200600_302600_NS6detail15normal_iteratorINS9_10device_ptrIsEEEESE_SE_sNS9_4plusIvEENS9_8equal_toIsEEsEE10hipError_tPvRmT2_T3_T4_T5_mT6_T7_P12ihipStream_tbENKUlT_T0_E_clISt17integral_constantIbLb0EESZ_EEDaSU_SV_EUlSU_E_NS1_11comp_targetILNS1_3genE8ELNS1_11target_archE1030ELNS1_3gpuE2ELNS1_3repE0EEENS1_30default_config_static_selectorELNS0_4arch9wavefront6targetE1EEEvT1_
	.globl	_ZN7rocprim17ROCPRIM_400000_NS6detail17trampoline_kernelINS0_14default_configENS1_27scan_by_key_config_selectorIssEEZZNS1_16scan_by_key_implILNS1_25lookback_scan_determinismE0ELb1ES3_N6thrust23THRUST_200600_302600_NS6detail15normal_iteratorINS9_10device_ptrIsEEEESE_SE_sNS9_4plusIvEENS9_8equal_toIsEEsEE10hipError_tPvRmT2_T3_T4_T5_mT6_T7_P12ihipStream_tbENKUlT_T0_E_clISt17integral_constantIbLb0EESZ_EEDaSU_SV_EUlSU_E_NS1_11comp_targetILNS1_3genE8ELNS1_11target_archE1030ELNS1_3gpuE2ELNS1_3repE0EEENS1_30default_config_static_selectorELNS0_4arch9wavefront6targetE1EEEvT1_
	.p2align	8
	.type	_ZN7rocprim17ROCPRIM_400000_NS6detail17trampoline_kernelINS0_14default_configENS1_27scan_by_key_config_selectorIssEEZZNS1_16scan_by_key_implILNS1_25lookback_scan_determinismE0ELb1ES3_N6thrust23THRUST_200600_302600_NS6detail15normal_iteratorINS9_10device_ptrIsEEEESE_SE_sNS9_4plusIvEENS9_8equal_toIsEEsEE10hipError_tPvRmT2_T3_T4_T5_mT6_T7_P12ihipStream_tbENKUlT_T0_E_clISt17integral_constantIbLb0EESZ_EEDaSU_SV_EUlSU_E_NS1_11comp_targetILNS1_3genE8ELNS1_11target_archE1030ELNS1_3gpuE2ELNS1_3repE0EEENS1_30default_config_static_selectorELNS0_4arch9wavefront6targetE1EEEvT1_,@function
_ZN7rocprim17ROCPRIM_400000_NS6detail17trampoline_kernelINS0_14default_configENS1_27scan_by_key_config_selectorIssEEZZNS1_16scan_by_key_implILNS1_25lookback_scan_determinismE0ELb1ES3_N6thrust23THRUST_200600_302600_NS6detail15normal_iteratorINS9_10device_ptrIsEEEESE_SE_sNS9_4plusIvEENS9_8equal_toIsEEsEE10hipError_tPvRmT2_T3_T4_T5_mT6_T7_P12ihipStream_tbENKUlT_T0_E_clISt17integral_constantIbLb0EESZ_EEDaSU_SV_EUlSU_E_NS1_11comp_targetILNS1_3genE8ELNS1_11target_archE1030ELNS1_3gpuE2ELNS1_3repE0EEENS1_30default_config_static_selectorELNS0_4arch9wavefront6targetE1EEEvT1_: ; @_ZN7rocprim17ROCPRIM_400000_NS6detail17trampoline_kernelINS0_14default_configENS1_27scan_by_key_config_selectorIssEEZZNS1_16scan_by_key_implILNS1_25lookback_scan_determinismE0ELb1ES3_N6thrust23THRUST_200600_302600_NS6detail15normal_iteratorINS9_10device_ptrIsEEEESE_SE_sNS9_4plusIvEENS9_8equal_toIsEEsEE10hipError_tPvRmT2_T3_T4_T5_mT6_T7_P12ihipStream_tbENKUlT_T0_E_clISt17integral_constantIbLb0EESZ_EEDaSU_SV_EUlSU_E_NS1_11comp_targetILNS1_3genE8ELNS1_11target_archE1030ELNS1_3gpuE2ELNS1_3repE0EEENS1_30default_config_static_selectorELNS0_4arch9wavefront6targetE1EEEvT1_
; %bb.0:
	.section	.rodata,"a",@progbits
	.p2align	6, 0x0
	.amdhsa_kernel _ZN7rocprim17ROCPRIM_400000_NS6detail17trampoline_kernelINS0_14default_configENS1_27scan_by_key_config_selectorIssEEZZNS1_16scan_by_key_implILNS1_25lookback_scan_determinismE0ELb1ES3_N6thrust23THRUST_200600_302600_NS6detail15normal_iteratorINS9_10device_ptrIsEEEESE_SE_sNS9_4plusIvEENS9_8equal_toIsEEsEE10hipError_tPvRmT2_T3_T4_T5_mT6_T7_P12ihipStream_tbENKUlT_T0_E_clISt17integral_constantIbLb0EESZ_EEDaSU_SV_EUlSU_E_NS1_11comp_targetILNS1_3genE8ELNS1_11target_archE1030ELNS1_3gpuE2ELNS1_3repE0EEENS1_30default_config_static_selectorELNS0_4arch9wavefront6targetE1EEEvT1_
		.amdhsa_group_segment_fixed_size 0
		.amdhsa_private_segment_fixed_size 0
		.amdhsa_kernarg_size 112
		.amdhsa_user_sgpr_count 2
		.amdhsa_user_sgpr_dispatch_ptr 0
		.amdhsa_user_sgpr_queue_ptr 0
		.amdhsa_user_sgpr_kernarg_segment_ptr 1
		.amdhsa_user_sgpr_dispatch_id 0
		.amdhsa_user_sgpr_kernarg_preload_length 0
		.amdhsa_user_sgpr_kernarg_preload_offset 0
		.amdhsa_user_sgpr_private_segment_size 0
		.amdhsa_uses_dynamic_stack 0
		.amdhsa_enable_private_segment 0
		.amdhsa_system_sgpr_workgroup_id_x 1
		.amdhsa_system_sgpr_workgroup_id_y 0
		.amdhsa_system_sgpr_workgroup_id_z 0
		.amdhsa_system_sgpr_workgroup_info 0
		.amdhsa_system_vgpr_workitem_id 0
		.amdhsa_next_free_vgpr 1
		.amdhsa_next_free_sgpr 0
		.amdhsa_accum_offset 4
		.amdhsa_reserve_vcc 0
		.amdhsa_float_round_mode_32 0
		.amdhsa_float_round_mode_16_64 0
		.amdhsa_float_denorm_mode_32 3
		.amdhsa_float_denorm_mode_16_64 3
		.amdhsa_dx10_clamp 1
		.amdhsa_ieee_mode 1
		.amdhsa_fp16_overflow 0
		.amdhsa_tg_split 0
		.amdhsa_exception_fp_ieee_invalid_op 0
		.amdhsa_exception_fp_denorm_src 0
		.amdhsa_exception_fp_ieee_div_zero 0
		.amdhsa_exception_fp_ieee_overflow 0
		.amdhsa_exception_fp_ieee_underflow 0
		.amdhsa_exception_fp_ieee_inexact 0
		.amdhsa_exception_int_div_zero 0
	.end_amdhsa_kernel
	.section	.text._ZN7rocprim17ROCPRIM_400000_NS6detail17trampoline_kernelINS0_14default_configENS1_27scan_by_key_config_selectorIssEEZZNS1_16scan_by_key_implILNS1_25lookback_scan_determinismE0ELb1ES3_N6thrust23THRUST_200600_302600_NS6detail15normal_iteratorINS9_10device_ptrIsEEEESE_SE_sNS9_4plusIvEENS9_8equal_toIsEEsEE10hipError_tPvRmT2_T3_T4_T5_mT6_T7_P12ihipStream_tbENKUlT_T0_E_clISt17integral_constantIbLb0EESZ_EEDaSU_SV_EUlSU_E_NS1_11comp_targetILNS1_3genE8ELNS1_11target_archE1030ELNS1_3gpuE2ELNS1_3repE0EEENS1_30default_config_static_selectorELNS0_4arch9wavefront6targetE1EEEvT1_,"axG",@progbits,_ZN7rocprim17ROCPRIM_400000_NS6detail17trampoline_kernelINS0_14default_configENS1_27scan_by_key_config_selectorIssEEZZNS1_16scan_by_key_implILNS1_25lookback_scan_determinismE0ELb1ES3_N6thrust23THRUST_200600_302600_NS6detail15normal_iteratorINS9_10device_ptrIsEEEESE_SE_sNS9_4plusIvEENS9_8equal_toIsEEsEE10hipError_tPvRmT2_T3_T4_T5_mT6_T7_P12ihipStream_tbENKUlT_T0_E_clISt17integral_constantIbLb0EESZ_EEDaSU_SV_EUlSU_E_NS1_11comp_targetILNS1_3genE8ELNS1_11target_archE1030ELNS1_3gpuE2ELNS1_3repE0EEENS1_30default_config_static_selectorELNS0_4arch9wavefront6targetE1EEEvT1_,comdat
.Lfunc_end649:
	.size	_ZN7rocprim17ROCPRIM_400000_NS6detail17trampoline_kernelINS0_14default_configENS1_27scan_by_key_config_selectorIssEEZZNS1_16scan_by_key_implILNS1_25lookback_scan_determinismE0ELb1ES3_N6thrust23THRUST_200600_302600_NS6detail15normal_iteratorINS9_10device_ptrIsEEEESE_SE_sNS9_4plusIvEENS9_8equal_toIsEEsEE10hipError_tPvRmT2_T3_T4_T5_mT6_T7_P12ihipStream_tbENKUlT_T0_E_clISt17integral_constantIbLb0EESZ_EEDaSU_SV_EUlSU_E_NS1_11comp_targetILNS1_3genE8ELNS1_11target_archE1030ELNS1_3gpuE2ELNS1_3repE0EEENS1_30default_config_static_selectorELNS0_4arch9wavefront6targetE1EEEvT1_, .Lfunc_end649-_ZN7rocprim17ROCPRIM_400000_NS6detail17trampoline_kernelINS0_14default_configENS1_27scan_by_key_config_selectorIssEEZZNS1_16scan_by_key_implILNS1_25lookback_scan_determinismE0ELb1ES3_N6thrust23THRUST_200600_302600_NS6detail15normal_iteratorINS9_10device_ptrIsEEEESE_SE_sNS9_4plusIvEENS9_8equal_toIsEEsEE10hipError_tPvRmT2_T3_T4_T5_mT6_T7_P12ihipStream_tbENKUlT_T0_E_clISt17integral_constantIbLb0EESZ_EEDaSU_SV_EUlSU_E_NS1_11comp_targetILNS1_3genE8ELNS1_11target_archE1030ELNS1_3gpuE2ELNS1_3repE0EEENS1_30default_config_static_selectorELNS0_4arch9wavefront6targetE1EEEvT1_
                                        ; -- End function
	.section	.AMDGPU.csdata,"",@progbits
; Kernel info:
; codeLenInByte = 0
; NumSgprs: 6
; NumVgprs: 0
; NumAgprs: 0
; TotalNumVgprs: 0
; ScratchSize: 0
; MemoryBound: 0
; FloatMode: 240
; IeeeMode: 1
; LDSByteSize: 0 bytes/workgroup (compile time only)
; SGPRBlocks: 0
; VGPRBlocks: 0
; NumSGPRsForWavesPerEU: 6
; NumVGPRsForWavesPerEU: 1
; AccumOffset: 4
; Occupancy: 8
; WaveLimiterHint : 0
; COMPUTE_PGM_RSRC2:SCRATCH_EN: 0
; COMPUTE_PGM_RSRC2:USER_SGPR: 2
; COMPUTE_PGM_RSRC2:TRAP_HANDLER: 0
; COMPUTE_PGM_RSRC2:TGID_X_EN: 1
; COMPUTE_PGM_RSRC2:TGID_Y_EN: 0
; COMPUTE_PGM_RSRC2:TGID_Z_EN: 0
; COMPUTE_PGM_RSRC2:TIDIG_COMP_CNT: 0
; COMPUTE_PGM_RSRC3_GFX90A:ACCUM_OFFSET: 0
; COMPUTE_PGM_RSRC3_GFX90A:TG_SPLIT: 0
	.section	.text._ZN7rocprim17ROCPRIM_400000_NS6detail17trampoline_kernelINS0_14default_configENS1_27scan_by_key_config_selectorIssEEZZNS1_16scan_by_key_implILNS1_25lookback_scan_determinismE0ELb1ES3_N6thrust23THRUST_200600_302600_NS6detail15normal_iteratorINS9_10device_ptrIsEEEESE_SE_sNS9_4plusIvEENS9_8equal_toIsEEsEE10hipError_tPvRmT2_T3_T4_T5_mT6_T7_P12ihipStream_tbENKUlT_T0_E_clISt17integral_constantIbLb1EESZ_EEDaSU_SV_EUlSU_E_NS1_11comp_targetILNS1_3genE0ELNS1_11target_archE4294967295ELNS1_3gpuE0ELNS1_3repE0EEENS1_30default_config_static_selectorELNS0_4arch9wavefront6targetE1EEEvT1_,"axG",@progbits,_ZN7rocprim17ROCPRIM_400000_NS6detail17trampoline_kernelINS0_14default_configENS1_27scan_by_key_config_selectorIssEEZZNS1_16scan_by_key_implILNS1_25lookback_scan_determinismE0ELb1ES3_N6thrust23THRUST_200600_302600_NS6detail15normal_iteratorINS9_10device_ptrIsEEEESE_SE_sNS9_4plusIvEENS9_8equal_toIsEEsEE10hipError_tPvRmT2_T3_T4_T5_mT6_T7_P12ihipStream_tbENKUlT_T0_E_clISt17integral_constantIbLb1EESZ_EEDaSU_SV_EUlSU_E_NS1_11comp_targetILNS1_3genE0ELNS1_11target_archE4294967295ELNS1_3gpuE0ELNS1_3repE0EEENS1_30default_config_static_selectorELNS0_4arch9wavefront6targetE1EEEvT1_,comdat
	.protected	_ZN7rocprim17ROCPRIM_400000_NS6detail17trampoline_kernelINS0_14default_configENS1_27scan_by_key_config_selectorIssEEZZNS1_16scan_by_key_implILNS1_25lookback_scan_determinismE0ELb1ES3_N6thrust23THRUST_200600_302600_NS6detail15normal_iteratorINS9_10device_ptrIsEEEESE_SE_sNS9_4plusIvEENS9_8equal_toIsEEsEE10hipError_tPvRmT2_T3_T4_T5_mT6_T7_P12ihipStream_tbENKUlT_T0_E_clISt17integral_constantIbLb1EESZ_EEDaSU_SV_EUlSU_E_NS1_11comp_targetILNS1_3genE0ELNS1_11target_archE4294967295ELNS1_3gpuE0ELNS1_3repE0EEENS1_30default_config_static_selectorELNS0_4arch9wavefront6targetE1EEEvT1_ ; -- Begin function _ZN7rocprim17ROCPRIM_400000_NS6detail17trampoline_kernelINS0_14default_configENS1_27scan_by_key_config_selectorIssEEZZNS1_16scan_by_key_implILNS1_25lookback_scan_determinismE0ELb1ES3_N6thrust23THRUST_200600_302600_NS6detail15normal_iteratorINS9_10device_ptrIsEEEESE_SE_sNS9_4plusIvEENS9_8equal_toIsEEsEE10hipError_tPvRmT2_T3_T4_T5_mT6_T7_P12ihipStream_tbENKUlT_T0_E_clISt17integral_constantIbLb1EESZ_EEDaSU_SV_EUlSU_E_NS1_11comp_targetILNS1_3genE0ELNS1_11target_archE4294967295ELNS1_3gpuE0ELNS1_3repE0EEENS1_30default_config_static_selectorELNS0_4arch9wavefront6targetE1EEEvT1_
	.globl	_ZN7rocprim17ROCPRIM_400000_NS6detail17trampoline_kernelINS0_14default_configENS1_27scan_by_key_config_selectorIssEEZZNS1_16scan_by_key_implILNS1_25lookback_scan_determinismE0ELb1ES3_N6thrust23THRUST_200600_302600_NS6detail15normal_iteratorINS9_10device_ptrIsEEEESE_SE_sNS9_4plusIvEENS9_8equal_toIsEEsEE10hipError_tPvRmT2_T3_T4_T5_mT6_T7_P12ihipStream_tbENKUlT_T0_E_clISt17integral_constantIbLb1EESZ_EEDaSU_SV_EUlSU_E_NS1_11comp_targetILNS1_3genE0ELNS1_11target_archE4294967295ELNS1_3gpuE0ELNS1_3repE0EEENS1_30default_config_static_selectorELNS0_4arch9wavefront6targetE1EEEvT1_
	.p2align	8
	.type	_ZN7rocprim17ROCPRIM_400000_NS6detail17trampoline_kernelINS0_14default_configENS1_27scan_by_key_config_selectorIssEEZZNS1_16scan_by_key_implILNS1_25lookback_scan_determinismE0ELb1ES3_N6thrust23THRUST_200600_302600_NS6detail15normal_iteratorINS9_10device_ptrIsEEEESE_SE_sNS9_4plusIvEENS9_8equal_toIsEEsEE10hipError_tPvRmT2_T3_T4_T5_mT6_T7_P12ihipStream_tbENKUlT_T0_E_clISt17integral_constantIbLb1EESZ_EEDaSU_SV_EUlSU_E_NS1_11comp_targetILNS1_3genE0ELNS1_11target_archE4294967295ELNS1_3gpuE0ELNS1_3repE0EEENS1_30default_config_static_selectorELNS0_4arch9wavefront6targetE1EEEvT1_,@function
_ZN7rocprim17ROCPRIM_400000_NS6detail17trampoline_kernelINS0_14default_configENS1_27scan_by_key_config_selectorIssEEZZNS1_16scan_by_key_implILNS1_25lookback_scan_determinismE0ELb1ES3_N6thrust23THRUST_200600_302600_NS6detail15normal_iteratorINS9_10device_ptrIsEEEESE_SE_sNS9_4plusIvEENS9_8equal_toIsEEsEE10hipError_tPvRmT2_T3_T4_T5_mT6_T7_P12ihipStream_tbENKUlT_T0_E_clISt17integral_constantIbLb1EESZ_EEDaSU_SV_EUlSU_E_NS1_11comp_targetILNS1_3genE0ELNS1_11target_archE4294967295ELNS1_3gpuE0ELNS1_3repE0EEENS1_30default_config_static_selectorELNS0_4arch9wavefront6targetE1EEEvT1_: ; @_ZN7rocprim17ROCPRIM_400000_NS6detail17trampoline_kernelINS0_14default_configENS1_27scan_by_key_config_selectorIssEEZZNS1_16scan_by_key_implILNS1_25lookback_scan_determinismE0ELb1ES3_N6thrust23THRUST_200600_302600_NS6detail15normal_iteratorINS9_10device_ptrIsEEEESE_SE_sNS9_4plusIvEENS9_8equal_toIsEEsEE10hipError_tPvRmT2_T3_T4_T5_mT6_T7_P12ihipStream_tbENKUlT_T0_E_clISt17integral_constantIbLb1EESZ_EEDaSU_SV_EUlSU_E_NS1_11comp_targetILNS1_3genE0ELNS1_11target_archE4294967295ELNS1_3gpuE0ELNS1_3repE0EEENS1_30default_config_static_selectorELNS0_4arch9wavefront6targetE1EEEvT1_
; %bb.0:
	.section	.rodata,"a",@progbits
	.p2align	6, 0x0
	.amdhsa_kernel _ZN7rocprim17ROCPRIM_400000_NS6detail17trampoline_kernelINS0_14default_configENS1_27scan_by_key_config_selectorIssEEZZNS1_16scan_by_key_implILNS1_25lookback_scan_determinismE0ELb1ES3_N6thrust23THRUST_200600_302600_NS6detail15normal_iteratorINS9_10device_ptrIsEEEESE_SE_sNS9_4plusIvEENS9_8equal_toIsEEsEE10hipError_tPvRmT2_T3_T4_T5_mT6_T7_P12ihipStream_tbENKUlT_T0_E_clISt17integral_constantIbLb1EESZ_EEDaSU_SV_EUlSU_E_NS1_11comp_targetILNS1_3genE0ELNS1_11target_archE4294967295ELNS1_3gpuE0ELNS1_3repE0EEENS1_30default_config_static_selectorELNS0_4arch9wavefront6targetE1EEEvT1_
		.amdhsa_group_segment_fixed_size 0
		.amdhsa_private_segment_fixed_size 0
		.amdhsa_kernarg_size 112
		.amdhsa_user_sgpr_count 2
		.amdhsa_user_sgpr_dispatch_ptr 0
		.amdhsa_user_sgpr_queue_ptr 0
		.amdhsa_user_sgpr_kernarg_segment_ptr 1
		.amdhsa_user_sgpr_dispatch_id 0
		.amdhsa_user_sgpr_kernarg_preload_length 0
		.amdhsa_user_sgpr_kernarg_preload_offset 0
		.amdhsa_user_sgpr_private_segment_size 0
		.amdhsa_uses_dynamic_stack 0
		.amdhsa_enable_private_segment 0
		.amdhsa_system_sgpr_workgroup_id_x 1
		.amdhsa_system_sgpr_workgroup_id_y 0
		.amdhsa_system_sgpr_workgroup_id_z 0
		.amdhsa_system_sgpr_workgroup_info 0
		.amdhsa_system_vgpr_workitem_id 0
		.amdhsa_next_free_vgpr 1
		.amdhsa_next_free_sgpr 0
		.amdhsa_accum_offset 4
		.amdhsa_reserve_vcc 0
		.amdhsa_float_round_mode_32 0
		.amdhsa_float_round_mode_16_64 0
		.amdhsa_float_denorm_mode_32 3
		.amdhsa_float_denorm_mode_16_64 3
		.amdhsa_dx10_clamp 1
		.amdhsa_ieee_mode 1
		.amdhsa_fp16_overflow 0
		.amdhsa_tg_split 0
		.amdhsa_exception_fp_ieee_invalid_op 0
		.amdhsa_exception_fp_denorm_src 0
		.amdhsa_exception_fp_ieee_div_zero 0
		.amdhsa_exception_fp_ieee_overflow 0
		.amdhsa_exception_fp_ieee_underflow 0
		.amdhsa_exception_fp_ieee_inexact 0
		.amdhsa_exception_int_div_zero 0
	.end_amdhsa_kernel
	.section	.text._ZN7rocprim17ROCPRIM_400000_NS6detail17trampoline_kernelINS0_14default_configENS1_27scan_by_key_config_selectorIssEEZZNS1_16scan_by_key_implILNS1_25lookback_scan_determinismE0ELb1ES3_N6thrust23THRUST_200600_302600_NS6detail15normal_iteratorINS9_10device_ptrIsEEEESE_SE_sNS9_4plusIvEENS9_8equal_toIsEEsEE10hipError_tPvRmT2_T3_T4_T5_mT6_T7_P12ihipStream_tbENKUlT_T0_E_clISt17integral_constantIbLb1EESZ_EEDaSU_SV_EUlSU_E_NS1_11comp_targetILNS1_3genE0ELNS1_11target_archE4294967295ELNS1_3gpuE0ELNS1_3repE0EEENS1_30default_config_static_selectorELNS0_4arch9wavefront6targetE1EEEvT1_,"axG",@progbits,_ZN7rocprim17ROCPRIM_400000_NS6detail17trampoline_kernelINS0_14default_configENS1_27scan_by_key_config_selectorIssEEZZNS1_16scan_by_key_implILNS1_25lookback_scan_determinismE0ELb1ES3_N6thrust23THRUST_200600_302600_NS6detail15normal_iteratorINS9_10device_ptrIsEEEESE_SE_sNS9_4plusIvEENS9_8equal_toIsEEsEE10hipError_tPvRmT2_T3_T4_T5_mT6_T7_P12ihipStream_tbENKUlT_T0_E_clISt17integral_constantIbLb1EESZ_EEDaSU_SV_EUlSU_E_NS1_11comp_targetILNS1_3genE0ELNS1_11target_archE4294967295ELNS1_3gpuE0ELNS1_3repE0EEENS1_30default_config_static_selectorELNS0_4arch9wavefront6targetE1EEEvT1_,comdat
.Lfunc_end650:
	.size	_ZN7rocprim17ROCPRIM_400000_NS6detail17trampoline_kernelINS0_14default_configENS1_27scan_by_key_config_selectorIssEEZZNS1_16scan_by_key_implILNS1_25lookback_scan_determinismE0ELb1ES3_N6thrust23THRUST_200600_302600_NS6detail15normal_iteratorINS9_10device_ptrIsEEEESE_SE_sNS9_4plusIvEENS9_8equal_toIsEEsEE10hipError_tPvRmT2_T3_T4_T5_mT6_T7_P12ihipStream_tbENKUlT_T0_E_clISt17integral_constantIbLb1EESZ_EEDaSU_SV_EUlSU_E_NS1_11comp_targetILNS1_3genE0ELNS1_11target_archE4294967295ELNS1_3gpuE0ELNS1_3repE0EEENS1_30default_config_static_selectorELNS0_4arch9wavefront6targetE1EEEvT1_, .Lfunc_end650-_ZN7rocprim17ROCPRIM_400000_NS6detail17trampoline_kernelINS0_14default_configENS1_27scan_by_key_config_selectorIssEEZZNS1_16scan_by_key_implILNS1_25lookback_scan_determinismE0ELb1ES3_N6thrust23THRUST_200600_302600_NS6detail15normal_iteratorINS9_10device_ptrIsEEEESE_SE_sNS9_4plusIvEENS9_8equal_toIsEEsEE10hipError_tPvRmT2_T3_T4_T5_mT6_T7_P12ihipStream_tbENKUlT_T0_E_clISt17integral_constantIbLb1EESZ_EEDaSU_SV_EUlSU_E_NS1_11comp_targetILNS1_3genE0ELNS1_11target_archE4294967295ELNS1_3gpuE0ELNS1_3repE0EEENS1_30default_config_static_selectorELNS0_4arch9wavefront6targetE1EEEvT1_
                                        ; -- End function
	.section	.AMDGPU.csdata,"",@progbits
; Kernel info:
; codeLenInByte = 0
; NumSgprs: 6
; NumVgprs: 0
; NumAgprs: 0
; TotalNumVgprs: 0
; ScratchSize: 0
; MemoryBound: 0
; FloatMode: 240
; IeeeMode: 1
; LDSByteSize: 0 bytes/workgroup (compile time only)
; SGPRBlocks: 0
; VGPRBlocks: 0
; NumSGPRsForWavesPerEU: 6
; NumVGPRsForWavesPerEU: 1
; AccumOffset: 4
; Occupancy: 8
; WaveLimiterHint : 0
; COMPUTE_PGM_RSRC2:SCRATCH_EN: 0
; COMPUTE_PGM_RSRC2:USER_SGPR: 2
; COMPUTE_PGM_RSRC2:TRAP_HANDLER: 0
; COMPUTE_PGM_RSRC2:TGID_X_EN: 1
; COMPUTE_PGM_RSRC2:TGID_Y_EN: 0
; COMPUTE_PGM_RSRC2:TGID_Z_EN: 0
; COMPUTE_PGM_RSRC2:TIDIG_COMP_CNT: 0
; COMPUTE_PGM_RSRC3_GFX90A:ACCUM_OFFSET: 0
; COMPUTE_PGM_RSRC3_GFX90A:TG_SPLIT: 0
	.section	.text._ZN7rocprim17ROCPRIM_400000_NS6detail17trampoline_kernelINS0_14default_configENS1_27scan_by_key_config_selectorIssEEZZNS1_16scan_by_key_implILNS1_25lookback_scan_determinismE0ELb1ES3_N6thrust23THRUST_200600_302600_NS6detail15normal_iteratorINS9_10device_ptrIsEEEESE_SE_sNS9_4plusIvEENS9_8equal_toIsEEsEE10hipError_tPvRmT2_T3_T4_T5_mT6_T7_P12ihipStream_tbENKUlT_T0_E_clISt17integral_constantIbLb1EESZ_EEDaSU_SV_EUlSU_E_NS1_11comp_targetILNS1_3genE10ELNS1_11target_archE1201ELNS1_3gpuE5ELNS1_3repE0EEENS1_30default_config_static_selectorELNS0_4arch9wavefront6targetE1EEEvT1_,"axG",@progbits,_ZN7rocprim17ROCPRIM_400000_NS6detail17trampoline_kernelINS0_14default_configENS1_27scan_by_key_config_selectorIssEEZZNS1_16scan_by_key_implILNS1_25lookback_scan_determinismE0ELb1ES3_N6thrust23THRUST_200600_302600_NS6detail15normal_iteratorINS9_10device_ptrIsEEEESE_SE_sNS9_4plusIvEENS9_8equal_toIsEEsEE10hipError_tPvRmT2_T3_T4_T5_mT6_T7_P12ihipStream_tbENKUlT_T0_E_clISt17integral_constantIbLb1EESZ_EEDaSU_SV_EUlSU_E_NS1_11comp_targetILNS1_3genE10ELNS1_11target_archE1201ELNS1_3gpuE5ELNS1_3repE0EEENS1_30default_config_static_selectorELNS0_4arch9wavefront6targetE1EEEvT1_,comdat
	.protected	_ZN7rocprim17ROCPRIM_400000_NS6detail17trampoline_kernelINS0_14default_configENS1_27scan_by_key_config_selectorIssEEZZNS1_16scan_by_key_implILNS1_25lookback_scan_determinismE0ELb1ES3_N6thrust23THRUST_200600_302600_NS6detail15normal_iteratorINS9_10device_ptrIsEEEESE_SE_sNS9_4plusIvEENS9_8equal_toIsEEsEE10hipError_tPvRmT2_T3_T4_T5_mT6_T7_P12ihipStream_tbENKUlT_T0_E_clISt17integral_constantIbLb1EESZ_EEDaSU_SV_EUlSU_E_NS1_11comp_targetILNS1_3genE10ELNS1_11target_archE1201ELNS1_3gpuE5ELNS1_3repE0EEENS1_30default_config_static_selectorELNS0_4arch9wavefront6targetE1EEEvT1_ ; -- Begin function _ZN7rocprim17ROCPRIM_400000_NS6detail17trampoline_kernelINS0_14default_configENS1_27scan_by_key_config_selectorIssEEZZNS1_16scan_by_key_implILNS1_25lookback_scan_determinismE0ELb1ES3_N6thrust23THRUST_200600_302600_NS6detail15normal_iteratorINS9_10device_ptrIsEEEESE_SE_sNS9_4plusIvEENS9_8equal_toIsEEsEE10hipError_tPvRmT2_T3_T4_T5_mT6_T7_P12ihipStream_tbENKUlT_T0_E_clISt17integral_constantIbLb1EESZ_EEDaSU_SV_EUlSU_E_NS1_11comp_targetILNS1_3genE10ELNS1_11target_archE1201ELNS1_3gpuE5ELNS1_3repE0EEENS1_30default_config_static_selectorELNS0_4arch9wavefront6targetE1EEEvT1_
	.globl	_ZN7rocprim17ROCPRIM_400000_NS6detail17trampoline_kernelINS0_14default_configENS1_27scan_by_key_config_selectorIssEEZZNS1_16scan_by_key_implILNS1_25lookback_scan_determinismE0ELb1ES3_N6thrust23THRUST_200600_302600_NS6detail15normal_iteratorINS9_10device_ptrIsEEEESE_SE_sNS9_4plusIvEENS9_8equal_toIsEEsEE10hipError_tPvRmT2_T3_T4_T5_mT6_T7_P12ihipStream_tbENKUlT_T0_E_clISt17integral_constantIbLb1EESZ_EEDaSU_SV_EUlSU_E_NS1_11comp_targetILNS1_3genE10ELNS1_11target_archE1201ELNS1_3gpuE5ELNS1_3repE0EEENS1_30default_config_static_selectorELNS0_4arch9wavefront6targetE1EEEvT1_
	.p2align	8
	.type	_ZN7rocprim17ROCPRIM_400000_NS6detail17trampoline_kernelINS0_14default_configENS1_27scan_by_key_config_selectorIssEEZZNS1_16scan_by_key_implILNS1_25lookback_scan_determinismE0ELb1ES3_N6thrust23THRUST_200600_302600_NS6detail15normal_iteratorINS9_10device_ptrIsEEEESE_SE_sNS9_4plusIvEENS9_8equal_toIsEEsEE10hipError_tPvRmT2_T3_T4_T5_mT6_T7_P12ihipStream_tbENKUlT_T0_E_clISt17integral_constantIbLb1EESZ_EEDaSU_SV_EUlSU_E_NS1_11comp_targetILNS1_3genE10ELNS1_11target_archE1201ELNS1_3gpuE5ELNS1_3repE0EEENS1_30default_config_static_selectorELNS0_4arch9wavefront6targetE1EEEvT1_,@function
_ZN7rocprim17ROCPRIM_400000_NS6detail17trampoline_kernelINS0_14default_configENS1_27scan_by_key_config_selectorIssEEZZNS1_16scan_by_key_implILNS1_25lookback_scan_determinismE0ELb1ES3_N6thrust23THRUST_200600_302600_NS6detail15normal_iteratorINS9_10device_ptrIsEEEESE_SE_sNS9_4plusIvEENS9_8equal_toIsEEsEE10hipError_tPvRmT2_T3_T4_T5_mT6_T7_P12ihipStream_tbENKUlT_T0_E_clISt17integral_constantIbLb1EESZ_EEDaSU_SV_EUlSU_E_NS1_11comp_targetILNS1_3genE10ELNS1_11target_archE1201ELNS1_3gpuE5ELNS1_3repE0EEENS1_30default_config_static_selectorELNS0_4arch9wavefront6targetE1EEEvT1_: ; @_ZN7rocprim17ROCPRIM_400000_NS6detail17trampoline_kernelINS0_14default_configENS1_27scan_by_key_config_selectorIssEEZZNS1_16scan_by_key_implILNS1_25lookback_scan_determinismE0ELb1ES3_N6thrust23THRUST_200600_302600_NS6detail15normal_iteratorINS9_10device_ptrIsEEEESE_SE_sNS9_4plusIvEENS9_8equal_toIsEEsEE10hipError_tPvRmT2_T3_T4_T5_mT6_T7_P12ihipStream_tbENKUlT_T0_E_clISt17integral_constantIbLb1EESZ_EEDaSU_SV_EUlSU_E_NS1_11comp_targetILNS1_3genE10ELNS1_11target_archE1201ELNS1_3gpuE5ELNS1_3repE0EEENS1_30default_config_static_selectorELNS0_4arch9wavefront6targetE1EEEvT1_
; %bb.0:
	.section	.rodata,"a",@progbits
	.p2align	6, 0x0
	.amdhsa_kernel _ZN7rocprim17ROCPRIM_400000_NS6detail17trampoline_kernelINS0_14default_configENS1_27scan_by_key_config_selectorIssEEZZNS1_16scan_by_key_implILNS1_25lookback_scan_determinismE0ELb1ES3_N6thrust23THRUST_200600_302600_NS6detail15normal_iteratorINS9_10device_ptrIsEEEESE_SE_sNS9_4plusIvEENS9_8equal_toIsEEsEE10hipError_tPvRmT2_T3_T4_T5_mT6_T7_P12ihipStream_tbENKUlT_T0_E_clISt17integral_constantIbLb1EESZ_EEDaSU_SV_EUlSU_E_NS1_11comp_targetILNS1_3genE10ELNS1_11target_archE1201ELNS1_3gpuE5ELNS1_3repE0EEENS1_30default_config_static_selectorELNS0_4arch9wavefront6targetE1EEEvT1_
		.amdhsa_group_segment_fixed_size 0
		.amdhsa_private_segment_fixed_size 0
		.amdhsa_kernarg_size 112
		.amdhsa_user_sgpr_count 2
		.amdhsa_user_sgpr_dispatch_ptr 0
		.amdhsa_user_sgpr_queue_ptr 0
		.amdhsa_user_sgpr_kernarg_segment_ptr 1
		.amdhsa_user_sgpr_dispatch_id 0
		.amdhsa_user_sgpr_kernarg_preload_length 0
		.amdhsa_user_sgpr_kernarg_preload_offset 0
		.amdhsa_user_sgpr_private_segment_size 0
		.amdhsa_uses_dynamic_stack 0
		.amdhsa_enable_private_segment 0
		.amdhsa_system_sgpr_workgroup_id_x 1
		.amdhsa_system_sgpr_workgroup_id_y 0
		.amdhsa_system_sgpr_workgroup_id_z 0
		.amdhsa_system_sgpr_workgroup_info 0
		.amdhsa_system_vgpr_workitem_id 0
		.amdhsa_next_free_vgpr 1
		.amdhsa_next_free_sgpr 0
		.amdhsa_accum_offset 4
		.amdhsa_reserve_vcc 0
		.amdhsa_float_round_mode_32 0
		.amdhsa_float_round_mode_16_64 0
		.amdhsa_float_denorm_mode_32 3
		.amdhsa_float_denorm_mode_16_64 3
		.amdhsa_dx10_clamp 1
		.amdhsa_ieee_mode 1
		.amdhsa_fp16_overflow 0
		.amdhsa_tg_split 0
		.amdhsa_exception_fp_ieee_invalid_op 0
		.amdhsa_exception_fp_denorm_src 0
		.amdhsa_exception_fp_ieee_div_zero 0
		.amdhsa_exception_fp_ieee_overflow 0
		.amdhsa_exception_fp_ieee_underflow 0
		.amdhsa_exception_fp_ieee_inexact 0
		.amdhsa_exception_int_div_zero 0
	.end_amdhsa_kernel
	.section	.text._ZN7rocprim17ROCPRIM_400000_NS6detail17trampoline_kernelINS0_14default_configENS1_27scan_by_key_config_selectorIssEEZZNS1_16scan_by_key_implILNS1_25lookback_scan_determinismE0ELb1ES3_N6thrust23THRUST_200600_302600_NS6detail15normal_iteratorINS9_10device_ptrIsEEEESE_SE_sNS9_4plusIvEENS9_8equal_toIsEEsEE10hipError_tPvRmT2_T3_T4_T5_mT6_T7_P12ihipStream_tbENKUlT_T0_E_clISt17integral_constantIbLb1EESZ_EEDaSU_SV_EUlSU_E_NS1_11comp_targetILNS1_3genE10ELNS1_11target_archE1201ELNS1_3gpuE5ELNS1_3repE0EEENS1_30default_config_static_selectorELNS0_4arch9wavefront6targetE1EEEvT1_,"axG",@progbits,_ZN7rocprim17ROCPRIM_400000_NS6detail17trampoline_kernelINS0_14default_configENS1_27scan_by_key_config_selectorIssEEZZNS1_16scan_by_key_implILNS1_25lookback_scan_determinismE0ELb1ES3_N6thrust23THRUST_200600_302600_NS6detail15normal_iteratorINS9_10device_ptrIsEEEESE_SE_sNS9_4plusIvEENS9_8equal_toIsEEsEE10hipError_tPvRmT2_T3_T4_T5_mT6_T7_P12ihipStream_tbENKUlT_T0_E_clISt17integral_constantIbLb1EESZ_EEDaSU_SV_EUlSU_E_NS1_11comp_targetILNS1_3genE10ELNS1_11target_archE1201ELNS1_3gpuE5ELNS1_3repE0EEENS1_30default_config_static_selectorELNS0_4arch9wavefront6targetE1EEEvT1_,comdat
.Lfunc_end651:
	.size	_ZN7rocprim17ROCPRIM_400000_NS6detail17trampoline_kernelINS0_14default_configENS1_27scan_by_key_config_selectorIssEEZZNS1_16scan_by_key_implILNS1_25lookback_scan_determinismE0ELb1ES3_N6thrust23THRUST_200600_302600_NS6detail15normal_iteratorINS9_10device_ptrIsEEEESE_SE_sNS9_4plusIvEENS9_8equal_toIsEEsEE10hipError_tPvRmT2_T3_T4_T5_mT6_T7_P12ihipStream_tbENKUlT_T0_E_clISt17integral_constantIbLb1EESZ_EEDaSU_SV_EUlSU_E_NS1_11comp_targetILNS1_3genE10ELNS1_11target_archE1201ELNS1_3gpuE5ELNS1_3repE0EEENS1_30default_config_static_selectorELNS0_4arch9wavefront6targetE1EEEvT1_, .Lfunc_end651-_ZN7rocprim17ROCPRIM_400000_NS6detail17trampoline_kernelINS0_14default_configENS1_27scan_by_key_config_selectorIssEEZZNS1_16scan_by_key_implILNS1_25lookback_scan_determinismE0ELb1ES3_N6thrust23THRUST_200600_302600_NS6detail15normal_iteratorINS9_10device_ptrIsEEEESE_SE_sNS9_4plusIvEENS9_8equal_toIsEEsEE10hipError_tPvRmT2_T3_T4_T5_mT6_T7_P12ihipStream_tbENKUlT_T0_E_clISt17integral_constantIbLb1EESZ_EEDaSU_SV_EUlSU_E_NS1_11comp_targetILNS1_3genE10ELNS1_11target_archE1201ELNS1_3gpuE5ELNS1_3repE0EEENS1_30default_config_static_selectorELNS0_4arch9wavefront6targetE1EEEvT1_
                                        ; -- End function
	.section	.AMDGPU.csdata,"",@progbits
; Kernel info:
; codeLenInByte = 0
; NumSgprs: 6
; NumVgprs: 0
; NumAgprs: 0
; TotalNumVgprs: 0
; ScratchSize: 0
; MemoryBound: 0
; FloatMode: 240
; IeeeMode: 1
; LDSByteSize: 0 bytes/workgroup (compile time only)
; SGPRBlocks: 0
; VGPRBlocks: 0
; NumSGPRsForWavesPerEU: 6
; NumVGPRsForWavesPerEU: 1
; AccumOffset: 4
; Occupancy: 8
; WaveLimiterHint : 0
; COMPUTE_PGM_RSRC2:SCRATCH_EN: 0
; COMPUTE_PGM_RSRC2:USER_SGPR: 2
; COMPUTE_PGM_RSRC2:TRAP_HANDLER: 0
; COMPUTE_PGM_RSRC2:TGID_X_EN: 1
; COMPUTE_PGM_RSRC2:TGID_Y_EN: 0
; COMPUTE_PGM_RSRC2:TGID_Z_EN: 0
; COMPUTE_PGM_RSRC2:TIDIG_COMP_CNT: 0
; COMPUTE_PGM_RSRC3_GFX90A:ACCUM_OFFSET: 0
; COMPUTE_PGM_RSRC3_GFX90A:TG_SPLIT: 0
	.section	.text._ZN7rocprim17ROCPRIM_400000_NS6detail17trampoline_kernelINS0_14default_configENS1_27scan_by_key_config_selectorIssEEZZNS1_16scan_by_key_implILNS1_25lookback_scan_determinismE0ELb1ES3_N6thrust23THRUST_200600_302600_NS6detail15normal_iteratorINS9_10device_ptrIsEEEESE_SE_sNS9_4plusIvEENS9_8equal_toIsEEsEE10hipError_tPvRmT2_T3_T4_T5_mT6_T7_P12ihipStream_tbENKUlT_T0_E_clISt17integral_constantIbLb1EESZ_EEDaSU_SV_EUlSU_E_NS1_11comp_targetILNS1_3genE5ELNS1_11target_archE942ELNS1_3gpuE9ELNS1_3repE0EEENS1_30default_config_static_selectorELNS0_4arch9wavefront6targetE1EEEvT1_,"axG",@progbits,_ZN7rocprim17ROCPRIM_400000_NS6detail17trampoline_kernelINS0_14default_configENS1_27scan_by_key_config_selectorIssEEZZNS1_16scan_by_key_implILNS1_25lookback_scan_determinismE0ELb1ES3_N6thrust23THRUST_200600_302600_NS6detail15normal_iteratorINS9_10device_ptrIsEEEESE_SE_sNS9_4plusIvEENS9_8equal_toIsEEsEE10hipError_tPvRmT2_T3_T4_T5_mT6_T7_P12ihipStream_tbENKUlT_T0_E_clISt17integral_constantIbLb1EESZ_EEDaSU_SV_EUlSU_E_NS1_11comp_targetILNS1_3genE5ELNS1_11target_archE942ELNS1_3gpuE9ELNS1_3repE0EEENS1_30default_config_static_selectorELNS0_4arch9wavefront6targetE1EEEvT1_,comdat
	.protected	_ZN7rocprim17ROCPRIM_400000_NS6detail17trampoline_kernelINS0_14default_configENS1_27scan_by_key_config_selectorIssEEZZNS1_16scan_by_key_implILNS1_25lookback_scan_determinismE0ELb1ES3_N6thrust23THRUST_200600_302600_NS6detail15normal_iteratorINS9_10device_ptrIsEEEESE_SE_sNS9_4plusIvEENS9_8equal_toIsEEsEE10hipError_tPvRmT2_T3_T4_T5_mT6_T7_P12ihipStream_tbENKUlT_T0_E_clISt17integral_constantIbLb1EESZ_EEDaSU_SV_EUlSU_E_NS1_11comp_targetILNS1_3genE5ELNS1_11target_archE942ELNS1_3gpuE9ELNS1_3repE0EEENS1_30default_config_static_selectorELNS0_4arch9wavefront6targetE1EEEvT1_ ; -- Begin function _ZN7rocprim17ROCPRIM_400000_NS6detail17trampoline_kernelINS0_14default_configENS1_27scan_by_key_config_selectorIssEEZZNS1_16scan_by_key_implILNS1_25lookback_scan_determinismE0ELb1ES3_N6thrust23THRUST_200600_302600_NS6detail15normal_iteratorINS9_10device_ptrIsEEEESE_SE_sNS9_4plusIvEENS9_8equal_toIsEEsEE10hipError_tPvRmT2_T3_T4_T5_mT6_T7_P12ihipStream_tbENKUlT_T0_E_clISt17integral_constantIbLb1EESZ_EEDaSU_SV_EUlSU_E_NS1_11comp_targetILNS1_3genE5ELNS1_11target_archE942ELNS1_3gpuE9ELNS1_3repE0EEENS1_30default_config_static_selectorELNS0_4arch9wavefront6targetE1EEEvT1_
	.globl	_ZN7rocprim17ROCPRIM_400000_NS6detail17trampoline_kernelINS0_14default_configENS1_27scan_by_key_config_selectorIssEEZZNS1_16scan_by_key_implILNS1_25lookback_scan_determinismE0ELb1ES3_N6thrust23THRUST_200600_302600_NS6detail15normal_iteratorINS9_10device_ptrIsEEEESE_SE_sNS9_4plusIvEENS9_8equal_toIsEEsEE10hipError_tPvRmT2_T3_T4_T5_mT6_T7_P12ihipStream_tbENKUlT_T0_E_clISt17integral_constantIbLb1EESZ_EEDaSU_SV_EUlSU_E_NS1_11comp_targetILNS1_3genE5ELNS1_11target_archE942ELNS1_3gpuE9ELNS1_3repE0EEENS1_30default_config_static_selectorELNS0_4arch9wavefront6targetE1EEEvT1_
	.p2align	8
	.type	_ZN7rocprim17ROCPRIM_400000_NS6detail17trampoline_kernelINS0_14default_configENS1_27scan_by_key_config_selectorIssEEZZNS1_16scan_by_key_implILNS1_25lookback_scan_determinismE0ELb1ES3_N6thrust23THRUST_200600_302600_NS6detail15normal_iteratorINS9_10device_ptrIsEEEESE_SE_sNS9_4plusIvEENS9_8equal_toIsEEsEE10hipError_tPvRmT2_T3_T4_T5_mT6_T7_P12ihipStream_tbENKUlT_T0_E_clISt17integral_constantIbLb1EESZ_EEDaSU_SV_EUlSU_E_NS1_11comp_targetILNS1_3genE5ELNS1_11target_archE942ELNS1_3gpuE9ELNS1_3repE0EEENS1_30default_config_static_selectorELNS0_4arch9wavefront6targetE1EEEvT1_,@function
_ZN7rocprim17ROCPRIM_400000_NS6detail17trampoline_kernelINS0_14default_configENS1_27scan_by_key_config_selectorIssEEZZNS1_16scan_by_key_implILNS1_25lookback_scan_determinismE0ELb1ES3_N6thrust23THRUST_200600_302600_NS6detail15normal_iteratorINS9_10device_ptrIsEEEESE_SE_sNS9_4plusIvEENS9_8equal_toIsEEsEE10hipError_tPvRmT2_T3_T4_T5_mT6_T7_P12ihipStream_tbENKUlT_T0_E_clISt17integral_constantIbLb1EESZ_EEDaSU_SV_EUlSU_E_NS1_11comp_targetILNS1_3genE5ELNS1_11target_archE942ELNS1_3gpuE9ELNS1_3repE0EEENS1_30default_config_static_selectorELNS0_4arch9wavefront6targetE1EEEvT1_: ; @_ZN7rocprim17ROCPRIM_400000_NS6detail17trampoline_kernelINS0_14default_configENS1_27scan_by_key_config_selectorIssEEZZNS1_16scan_by_key_implILNS1_25lookback_scan_determinismE0ELb1ES3_N6thrust23THRUST_200600_302600_NS6detail15normal_iteratorINS9_10device_ptrIsEEEESE_SE_sNS9_4plusIvEENS9_8equal_toIsEEsEE10hipError_tPvRmT2_T3_T4_T5_mT6_T7_P12ihipStream_tbENKUlT_T0_E_clISt17integral_constantIbLb1EESZ_EEDaSU_SV_EUlSU_E_NS1_11comp_targetILNS1_3genE5ELNS1_11target_archE942ELNS1_3gpuE9ELNS1_3repE0EEENS1_30default_config_static_selectorELNS0_4arch9wavefront6targetE1EEEvT1_
; %bb.0:
	s_load_dword s74, s[0:1], 0x20
	s_load_dwordx4 s[64:67], s[0:1], 0x28
	s_load_dwordx2 s[72:73], s[0:1], 0x38
	v_cmp_eq_u32_e64 s[52:53], 0, v0
	s_and_saveexec_b64 s[2:3], s[52:53]
	s_cbranch_execz .LBB652_4
; %bb.1:
	s_mov_b64 s[6:7], exec
	v_mbcnt_lo_u32_b32 v1, s6, 0
	v_mbcnt_hi_u32_b32 v1, s7, v1
	v_cmp_eq_u32_e32 vcc, 0, v1
                                        ; implicit-def: $vgpr2
	s_and_saveexec_b64 s[4:5], vcc
	s_cbranch_execz .LBB652_3
; %bb.2:
	s_load_dwordx2 s[8:9], s[0:1], 0x68
	s_bcnt1_i32_b64 s6, s[6:7]
	v_mov_b32_e32 v2, 0
	v_mov_b32_e32 v3, s6
	s_waitcnt lgkmcnt(0)
	global_atomic_add v2, v2, v3, s[8:9] sc0
.LBB652_3:
	s_or_b64 exec, exec, s[4:5]
	s_waitcnt vmcnt(0)
	v_readfirstlane_b32 s4, v2
	v_mov_b32_e32 v2, 0
	s_nop 0
	v_add_u32_e32 v1, s4, v1
	ds_write_b32 v2, v1
.LBB652_4:
	s_or_b64 exec, exec, s[2:3]
	s_load_dwordx8 s[56:63], s[0:1], 0x0
	s_load_dword s2, s[0:1], 0x40
	s_load_dwordx4 s[68:71], s[0:1], 0x48
	v_mov_b32_e32 v3, 0
	s_waitcnt lgkmcnt(0)
	s_lshl_b64 s[54:55], s[58:59], 1
	s_barrier
	ds_read_b32 v2, v3
	s_add_u32 s0, s56, s54
	s_addc_u32 s1, s57, s55
	s_add_u32 s4, s60, s54
	s_mul_i32 s3, s73, s2
	s_mul_hi_u32 s6, s72, s2
	s_addc_u32 s5, s61, s55
	s_add_i32 s3, s6, s3
	s_movk_i32 s6, 0x1800
	s_waitcnt lgkmcnt(0)
	v_mul_lo_u32 v4, v2, s6
	v_mov_b32_e32 v5, v3
	v_lshlrev_b64 v[26:27], 1, v[4:5]
	s_mul_i32 s2, s72, s2
	v_lshl_add_u64 v[18:19], s[4:5], 0, v[26:27]
	s_add_u32 s4, s68, -1
	v_readfirstlane_b32 s67, v2
	v_lshl_add_u64 v[2:3], s[2:3], 0, v[2:3]
	s_addc_u32 s5, s69, -1
	v_cmp_le_u64_e64 s[2:3], s[4:5], v[2:3]
	v_lshl_add_u64 v[20:21], s[0:1], 0, v[26:27]
	s_mov_b64 s[0:1], -1
	s_and_b64 vcc, exec, s[2:3]
	s_mul_i32 s33, s4, 0xffffe800
	s_barrier
	s_barrier
	s_cbranch_vccz .LBB652_130
; %bb.5:
	flat_load_ushort v2, v[20:21]
	s_add_i32 s69, s33, s66
	v_cmp_gt_u32_e32 vcc, s69, v0
	s_waitcnt vmcnt(0) lgkmcnt(0)
	v_mov_b32_e32 v3, v2
	s_and_saveexec_b64 s[0:1], vcc
	s_cbranch_execz .LBB652_7
; %bb.6:
	v_lshlrev_b32_e32 v4, 1, v0
	v_mov_b32_e32 v5, 0
	v_lshl_add_u64 v[4:5], v[20:21], 0, v[4:5]
	flat_load_ushort v3, v[4:5]
.LBB652_7:
	s_or_b64 exec, exec, s[0:1]
	v_or_b32_e32 v1, 0x100, v0
	v_cmp_gt_u32_e64 s[4:5], s69, v1
	v_mov_b32_e32 v4, v2
	s_and_saveexec_b64 s[0:1], s[4:5]
	s_cbranch_execz .LBB652_9
; %bb.8:
	v_lshlrev_b32_e32 v4, 1, v0
	v_mov_b32_e32 v5, 0
	v_lshl_add_u64 v[4:5], v[20:21], 0, v[4:5]
	flat_load_ushort v4, v[4:5] offset:512
.LBB652_9:
	s_or_b64 exec, exec, s[0:1]
	v_or_b32_e32 v1, 0x200, v0
	v_cmp_gt_u32_e64 s[6:7], s69, v1
	v_mov_b32_e32 v5, v2
	s_and_saveexec_b64 s[0:1], s[6:7]
	s_cbranch_execz .LBB652_11
; %bb.10:
	v_lshlrev_b32_e32 v6, 1, v0
	v_mov_b32_e32 v7, 0
	v_lshl_add_u64 v[6:7], v[20:21], 0, v[6:7]
	flat_load_ushort v5, v[6:7] offset:1024
.LBB652_11:
	;; [unrolled: 12-line block ×7, first 2 shown]
	s_or_b64 exec, exec, s[0:1]
	v_or_b32_e32 v1, 0x800, v0
	v_cmp_gt_u32_e64 s[18:19], s69, v1
	v_mov_b32_e32 v11, v2
	s_and_saveexec_b64 s[0:1], s[18:19]
	s_cbranch_execz .LBB652_23
; %bb.22:
	v_lshlrev_b32_e32 v12, 1, v1
	v_mov_b32_e32 v13, 0
	v_lshl_add_u64 v[12:13], v[20:21], 0, v[12:13]
	flat_load_ushort v11, v[12:13]
.LBB652_23:
	s_or_b64 exec, exec, s[0:1]
	v_or_b32_e32 v16, 0x900, v0
	v_cmp_gt_u32_e64 s[20:21], s69, v16
	v_mov_b32_e32 v12, v2
	s_and_saveexec_b64 s[0:1], s[20:21]
	s_cbranch_execz .LBB652_25
; %bb.24:
	v_lshlrev_b32_e32 v12, 1, v16
	v_mov_b32_e32 v13, 0
	v_lshl_add_u64 v[12:13], v[20:21], 0, v[12:13]
	flat_load_ushort v12, v[12:13]
.LBB652_25:
	;; [unrolled: 12-line block ×15, first 2 shown]
	s_or_b64 exec, exec, s[0:1]
	v_or_b32_e32 v37, 0x1700, v0
	v_cmp_gt_u32_e64 s[50:51], s69, v37
	s_and_saveexec_b64 s[0:1], s[50:51]
	s_cbranch_execz .LBB652_53
; %bb.52:
	v_lshlrev_b32_e32 v48, 1, v37
	v_mov_b32_e32 v49, 0
	v_lshl_add_u64 v[48:49], v[20:21], 0, v[48:49]
	flat_load_ushort v2, v[48:49]
.LBB652_53:
	s_or_b64 exec, exec, s[0:1]
	v_lshlrev_b32_e32 v14, 1, v0
	s_waitcnt vmcnt(0) lgkmcnt(0)
	ds_write_b16 v14, v3
	ds_write_b16 v14, v4 offset:512
	ds_write_b16 v14, v5 offset:1024
	;; [unrolled: 1-line block ×23, first 2 shown]
	s_waitcnt lgkmcnt(0)
	s_barrier
	flat_load_ushort v28, v[20:21]
	v_mad_u32_u24 v48, v0, 46, v14
	ds_read_b128 v[10:13], v48
	ds_read_b128 v[6:9], v48 offset:16
	ds_read_b128 v[2:5], v48 offset:32
	s_movk_i32 s0, 0xffd2
	v_mad_i32_i24 v15, v0, s0, v48
	s_movk_i32 s0, 0xff
	v_cmp_ne_u32_e64 s[0:1], s0, v0
	s_waitcnt lgkmcnt(0)
	ds_write_b16 v15, v10 offset:12800
	s_waitcnt lgkmcnt(0)
	s_barrier
	s_and_saveexec_b64 s[56:57], s[0:1]
	s_cbranch_execz .LBB652_55
; %bb.54:
	s_waitcnt vmcnt(0)
	ds_read_u16 v28, v14 offset:12802
.LBB652_55:
	s_or_b64 exec, exec, s[56:57]
	v_mov_b32_e32 v15, 0
	s_waitcnt lgkmcnt(0)
	s_barrier
	s_waitcnt lgkmcnt(0)
                                        ; implicit-def: $vgpr38
	s_and_saveexec_b64 s[0:1], vcc
	s_cbranch_execz .LBB652_209
; %bb.56:
	v_lshl_add_u64 v[38:39], v[18:19], 0, v[14:15]
	flat_load_ushort v38, v[38:39]
	s_or_b64 exec, exec, s[0:1]
                                        ; implicit-def: $vgpr39
	s_and_saveexec_b64 s[0:1], s[4:5]
	s_cbranch_execnz .LBB652_210
.LBB652_57:
	s_or_b64 exec, exec, s[0:1]
                                        ; implicit-def: $vgpr40
	s_and_saveexec_b64 s[0:1], s[6:7]
	s_cbranch_execz .LBB652_211
.LBB652_58:
	v_mov_b32_e32 v15, 0
	v_lshl_add_u64 v[40:41], v[18:19], 0, v[14:15]
	flat_load_ushort v40, v[40:41] offset:1024
	s_or_b64 exec, exec, s[0:1]
                                        ; implicit-def: $vgpr41
	s_and_saveexec_b64 s[0:1], s[8:9]
	s_cbranch_execnz .LBB652_212
.LBB652_59:
	s_or_b64 exec, exec, s[0:1]
                                        ; implicit-def: $vgpr42
	s_and_saveexec_b64 s[0:1], s[10:11]
	s_cbranch_execz .LBB652_213
.LBB652_60:
	v_mov_b32_e32 v15, 0
	v_lshl_add_u64 v[42:43], v[18:19], 0, v[14:15]
	flat_load_ushort v42, v[42:43] offset:2048
	s_or_b64 exec, exec, s[0:1]
                                        ; implicit-def: $vgpr43
	s_and_saveexec_b64 s[0:1], s[12:13]
	s_cbranch_execnz .LBB652_214
.LBB652_61:
	s_or_b64 exec, exec, s[0:1]
                                        ; implicit-def: $vgpr44
	s_and_saveexec_b64 s[0:1], s[14:15]
	s_cbranch_execz .LBB652_215
.LBB652_62:
	v_mov_b32_e32 v15, 0
	v_lshl_add_u64 v[44:45], v[18:19], 0, v[14:15]
	flat_load_ushort v44, v[44:45] offset:3072
	s_or_b64 exec, exec, s[0:1]
                                        ; implicit-def: $vgpr15
	s_and_saveexec_b64 s[0:1], s[16:17]
	s_cbranch_execnz .LBB652_216
.LBB652_63:
	s_or_b64 exec, exec, s[0:1]
                                        ; implicit-def: $vgpr45
	s_and_saveexec_b64 s[0:1], s[18:19]
	s_cbranch_execz .LBB652_217
.LBB652_64:
	v_lshlrev_b32_e32 v46, 1, v1
	v_mov_b32_e32 v47, 0
	v_lshl_add_u64 v[46:47], v[18:19], 0, v[46:47]
	flat_load_ushort v45, v[46:47]
	s_or_b64 exec, exec, s[0:1]
                                        ; implicit-def: $vgpr1
	s_and_saveexec_b64 s[0:1], s[20:21]
	s_cbranch_execnz .LBB652_218
.LBB652_65:
	s_or_b64 exec, exec, s[0:1]
                                        ; implicit-def: $vgpr16
	s_and_saveexec_b64 s[0:1], s[22:23]
	s_cbranch_execz .LBB652_219
.LBB652_66:
	v_lshlrev_b32_e32 v16, 1, v17
	v_mov_b32_e32 v17, 0
	v_lshl_add_u64 v[16:17], v[18:19], 0, v[16:17]
	flat_load_ushort v16, v[16:17]
	s_or_b64 exec, exec, s[0:1]
                                        ; implicit-def: $vgpr17
	s_and_saveexec_b64 s[0:1], s[24:25]
	s_cbranch_execnz .LBB652_220
.LBB652_67:
	s_or_b64 exec, exec, s[0:1]
                                        ; implicit-def: $vgpr22
	s_and_saveexec_b64 s[0:1], s[26:27]
	s_cbranch_execz .LBB652_221
.LBB652_68:
	v_lshlrev_b32_e32 v22, 1, v23
	v_mov_b32_e32 v23, 0
	v_lshl_add_u64 v[22:23], v[18:19], 0, v[22:23]
	flat_load_ushort v22, v[22:23]
	s_or_b64 exec, exec, s[0:1]
                                        ; implicit-def: $vgpr23
	s_and_saveexec_b64 s[0:1], s[28:29]
	s_cbranch_execnz .LBB652_222
.LBB652_69:
	s_or_b64 exec, exec, s[0:1]
                                        ; implicit-def: $vgpr24
	s_and_saveexec_b64 s[0:1], s[30:31]
	s_cbranch_execz .LBB652_223
.LBB652_70:
	v_lshlrev_b32_e32 v24, 1, v25
	v_mov_b32_e32 v25, 0
	v_lshl_add_u64 v[24:25], v[18:19], 0, v[24:25]
	flat_load_ushort v24, v[24:25]
	s_or_b64 exec, exec, s[0:1]
                                        ; implicit-def: $vgpr25
	s_and_saveexec_b64 s[0:1], s[34:35]
	s_cbranch_execnz .LBB652_224
.LBB652_71:
	s_or_b64 exec, exec, s[0:1]
                                        ; implicit-def: $vgpr29
	s_and_saveexec_b64 s[0:1], s[36:37]
	s_cbranch_execz .LBB652_225
.LBB652_72:
	v_lshlrev_b32_e32 v46, 1, v30
	v_mov_b32_e32 v47, 0
	v_lshl_add_u64 v[46:47], v[18:19], 0, v[46:47]
	flat_load_ushort v29, v[46:47]
	s_or_b64 exec, exec, s[0:1]
                                        ; implicit-def: $vgpr30
	s_and_saveexec_b64 s[0:1], s[38:39]
	s_cbranch_execnz .LBB652_226
.LBB652_73:
	s_or_b64 exec, exec, s[0:1]
                                        ; implicit-def: $vgpr31
	s_and_saveexec_b64 s[0:1], s[40:41]
	s_cbranch_execz .LBB652_227
.LBB652_74:
	v_lshlrev_b32_e32 v46, 1, v32
	v_mov_b32_e32 v47, 0
	v_lshl_add_u64 v[46:47], v[18:19], 0, v[46:47]
	flat_load_ushort v31, v[46:47]
	s_or_b64 exec, exec, s[0:1]
                                        ; implicit-def: $vgpr32
	s_and_saveexec_b64 s[0:1], s[42:43]
	s_cbranch_execnz .LBB652_228
.LBB652_75:
	s_or_b64 exec, exec, s[0:1]
                                        ; implicit-def: $vgpr33
	s_and_saveexec_b64 s[0:1], s[44:45]
	s_cbranch_execz .LBB652_229
.LBB652_76:
	v_lshlrev_b32_e32 v46, 1, v34
	v_mov_b32_e32 v47, 0
	v_lshl_add_u64 v[46:47], v[18:19], 0, v[46:47]
	flat_load_ushort v33, v[46:47]
	s_or_b64 exec, exec, s[0:1]
                                        ; implicit-def: $vgpr34
	s_and_saveexec_b64 s[0:1], s[46:47]
	s_cbranch_execnz .LBB652_230
.LBB652_77:
	s_or_b64 exec, exec, s[0:1]
                                        ; implicit-def: $vgpr35
	s_and_saveexec_b64 s[0:1], s[48:49]
	s_cbranch_execz .LBB652_79
.LBB652_78:
	v_lshlrev_b32_e32 v46, 1, v36
	v_mov_b32_e32 v47, 0
	v_lshl_add_u64 v[46:47], v[18:19], 0, v[46:47]
	flat_load_ushort v35, v[46:47]
.LBB652_79:
	s_or_b64 exec, exec, s[0:1]
	v_mul_u32_u24_e32 v49, 24, v0
                                        ; implicit-def: $vgpr36
	s_and_saveexec_b64 s[0:1], s[50:51]
	s_cbranch_execz .LBB652_81
; %bb.80:
	v_lshlrev_b32_e32 v36, 1, v37
	v_mov_b32_e32 v37, 0
	v_lshl_add_u64 v[36:37], v[18:19], 0, v[36:37]
	flat_load_ushort v36, v[36:37]
.LBB652_81:
	s_or_b64 exec, exec, s[0:1]
	s_waitcnt vmcnt(0) lgkmcnt(0)
	ds_write_b16 v14, v38
	ds_write_b16 v14, v39 offset:512
	ds_write_b16 v14, v40 offset:1024
	;; [unrolled: 1-line block ×23, first 2 shown]
	v_cmp_gt_u32_e32 vcc, s69, v49
	s_mov_b64 s[0:1], 0
	s_mov_b32 s68, 0
	v_mov_b32_e32 v1, 0
	s_mov_b64 s[8:9], 0
	v_mov_b32_e32 v25, 0
	v_mov_b32_e32 v29, 0
	;; [unrolled: 1-line block ×22, first 2 shown]
	s_waitcnt lgkmcnt(0)
	s_barrier
	s_waitcnt lgkmcnt(0)
                                        ; implicit-def: $sgpr6_sgpr7
                                        ; implicit-def: $vgpr47
	s_and_saveexec_b64 s[4:5], vcc
	s_cbranch_execz .LBB652_129
; %bb.82:
	ds_read_u16 v1, v48
	v_mov_b32_e32 v15, s74
	v_cmp_eq_u16_sdwa vcc, v10, v10 src0_sel:DWORD src1_sel:WORD_1
	v_cmp_ne_u16_sdwa s[6:7], v10, v10 src0_sel:DWORD src1_sel:WORD_1
	v_or_b32_e32 v14, 1, v49
	s_waitcnt lgkmcnt(0)
	v_cndmask_b32_e32 v1, v15, v1, vcc
	v_and_b32_e32 v1, 0xffff, v1
	v_cndmask_b32_e64 v15, 0, 1, s[6:7]
	v_lshl_or_b32 v1, v15, 16, v1
	v_cmp_gt_u32_e32 vcc, s69, v14
	v_mov_b32_e32 v25, 0
	v_mov_b32_e32 v29, 0
	;; [unrolled: 1-line block ×22, first 2 shown]
                                        ; implicit-def: $sgpr10_sgpr11
                                        ; implicit-def: $vgpr47
	s_and_saveexec_b64 s[6:7], vcc
	s_cbranch_execz .LBB652_128
; %bb.83:
	ds_read_b128 v[14:17], v48 offset:2
	v_mov_b32_e32 v23, s74
	v_cmp_eq_u16_sdwa vcc, v10, v11 src0_sel:WORD_1 src1_sel:DWORD
	v_cmp_ne_u16_sdwa s[8:9], v10, v11 src0_sel:WORD_1 src1_sel:DWORD
	v_or_b32_e32 v22, 2, v49
	s_waitcnt lgkmcnt(0)
	v_cndmask_b32_e32 v23, v23, v14, vcc
	v_and_b32_e32 v23, 0xffff, v23
	v_cndmask_b32_e64 v10, 0, 1, s[8:9]
	v_lshl_or_b32 v25, v10, 16, v23
	v_cmp_gt_u32_e32 vcc, s69, v22
	s_mov_b64 s[12:13], 0
	v_mov_b32_e32 v29, 0
	v_mov_b32_e32 v30, 0
	;; [unrolled: 1-line block ×21, first 2 shown]
                                        ; implicit-def: $sgpr10_sgpr11
                                        ; implicit-def: $vgpr47
	s_and_saveexec_b64 s[8:9], vcc
	s_cbranch_execz .LBB652_127
; %bb.84:
	v_lshrrev_b32_e32 v10, 16, v14
	v_mov_b32_e32 v22, s74
	v_cmp_eq_u16_sdwa vcc, v11, v11 src0_sel:DWORD src1_sel:WORD_1
	v_cmp_ne_u16_sdwa s[10:11], v11, v11 src0_sel:DWORD src1_sel:WORD_1
	v_or_b32_e32 v14, 3, v49
	v_cndmask_b32_e32 v10, v22, v10, vcc
	v_and_b32_e32 v10, 0xffff, v10
	v_cndmask_b32_e64 v22, 0, 1, s[10:11]
	v_lshl_or_b32 v29, v22, 16, v10
	v_cmp_gt_u32_e32 vcc, s69, v14
	v_mov_b32_e32 v30, 0
	v_mov_b32_e32 v31, 0
	;; [unrolled: 1-line block ×20, first 2 shown]
                                        ; implicit-def: $sgpr14_sgpr15
                                        ; implicit-def: $vgpr47
	s_and_saveexec_b64 s[10:11], vcc
	s_cbranch_execz .LBB652_126
; %bb.85:
	v_mov_b32_e32 v14, s74
	v_cmp_eq_u16_sdwa vcc, v11, v12 src0_sel:WORD_1 src1_sel:DWORD
	v_cmp_ne_u16_sdwa s[12:13], v11, v12 src0_sel:WORD_1 src1_sel:DWORD
	v_or_b32_e32 v10, 4, v49
	v_cndmask_b32_e32 v14, v14, v15, vcc
	v_and_b32_e32 v14, 0xffff, v14
	v_cndmask_b32_e64 v11, 0, 1, s[12:13]
	v_lshl_or_b32 v30, v11, 16, v14
	v_cmp_gt_u32_e32 vcc, s69, v10
	s_mov_b64 s[16:17], 0
	v_mov_b32_e32 v31, 0
	v_mov_b32_e32 v32, 0
	;; [unrolled: 1-line block ×19, first 2 shown]
                                        ; implicit-def: $sgpr14_sgpr15
                                        ; implicit-def: $vgpr47
	s_and_saveexec_b64 s[12:13], vcc
	s_cbranch_execz .LBB652_125
; %bb.86:
	v_lshrrev_b32_e32 v10, 16, v15
	v_mov_b32_e32 v14, s74
	v_cmp_eq_u16_sdwa vcc, v12, v12 src0_sel:DWORD src1_sel:WORD_1
	v_cmp_ne_u16_sdwa s[14:15], v12, v12 src0_sel:DWORD src1_sel:WORD_1
	v_or_b32_e32 v11, 5, v49
	v_cndmask_b32_e32 v10, v14, v10, vcc
	v_and_b32_e32 v10, 0xffff, v10
	v_cndmask_b32_e64 v14, 0, 1, s[14:15]
	v_lshl_or_b32 v31, v14, 16, v10
	v_cmp_gt_u32_e32 vcc, s69, v11
	v_mov_b32_e32 v32, 0
	v_mov_b32_e32 v33, 0
	;; [unrolled: 1-line block ×18, first 2 shown]
                                        ; implicit-def: $sgpr18_sgpr19
                                        ; implicit-def: $vgpr47
	s_and_saveexec_b64 s[14:15], vcc
	s_cbranch_execz .LBB652_124
; %bb.87:
	v_mov_b32_e32 v11, s74
	v_cmp_eq_u16_sdwa vcc, v12, v13 src0_sel:WORD_1 src1_sel:DWORD
	v_cmp_ne_u16_sdwa s[16:17], v12, v13 src0_sel:WORD_1 src1_sel:DWORD
	v_or_b32_e32 v10, 6, v49
	v_cndmask_b32_e32 v11, v11, v16, vcc
	v_and_b32_e32 v11, 0xffff, v11
	v_cndmask_b32_e64 v12, 0, 1, s[16:17]
	v_lshl_or_b32 v32, v12, 16, v11
	v_cmp_gt_u32_e32 vcc, s69, v10
	s_mov_b64 s[20:21], 0
	v_mov_b32_e32 v33, 0
	v_mov_b32_e32 v34, 0
	;; [unrolled: 1-line block ×17, first 2 shown]
                                        ; implicit-def: $sgpr18_sgpr19
                                        ; implicit-def: $vgpr47
	s_and_saveexec_b64 s[16:17], vcc
	s_cbranch_execz .LBB652_123
; %bb.88:
	v_lshrrev_b32_e32 v10, 16, v16
	v_mov_b32_e32 v12, s74
	v_cmp_eq_u16_sdwa vcc, v13, v13 src0_sel:DWORD src1_sel:WORD_1
	v_cmp_ne_u16_sdwa s[18:19], v13, v13 src0_sel:DWORD src1_sel:WORD_1
	v_or_b32_e32 v11, 7, v49
	v_cndmask_b32_e32 v10, v12, v10, vcc
	v_and_b32_e32 v10, 0xffff, v10
	v_cndmask_b32_e64 v12, 0, 1, s[18:19]
	v_lshl_or_b32 v33, v12, 16, v10
	v_cmp_gt_u32_e32 vcc, s69, v11
	v_mov_b32_e32 v34, 0
	v_mov_b32_e32 v35, 0
	;; [unrolled: 1-line block ×16, first 2 shown]
                                        ; implicit-def: $sgpr22_sgpr23
                                        ; implicit-def: $vgpr47
	s_and_saveexec_b64 s[18:19], vcc
	s_cbranch_execz .LBB652_122
; %bb.89:
	v_mov_b32_e32 v11, s74
	v_cmp_eq_u16_sdwa vcc, v13, v6 src0_sel:WORD_1 src1_sel:DWORD
	v_cmp_ne_u16_sdwa s[20:21], v13, v6 src0_sel:WORD_1 src1_sel:DWORD
	v_add_u32_e32 v10, 8, v49
	v_cndmask_b32_e32 v11, v11, v17, vcc
	v_and_b32_e32 v11, 0xffff, v11
	v_cndmask_b32_e64 v12, 0, 1, s[20:21]
	v_lshl_or_b32 v34, v12, 16, v11
	v_cmp_gt_u32_e32 vcc, s69, v10
	s_mov_b64 s[24:25], 0
	v_mov_b32_e32 v35, 0
	v_mov_b32_e32 v36, 0
	;; [unrolled: 1-line block ×15, first 2 shown]
                                        ; implicit-def: $sgpr22_sgpr23
                                        ; implicit-def: $vgpr47
	s_and_saveexec_b64 s[20:21], vcc
	s_cbranch_execz .LBB652_121
; %bb.90:
	v_lshrrev_b32_e32 v10, 16, v17
	v_mov_b32_e32 v12, s74
	v_cmp_eq_u16_sdwa vcc, v6, v6 src0_sel:DWORD src1_sel:WORD_1
	v_cmp_ne_u16_sdwa s[22:23], v6, v6 src0_sel:DWORD src1_sel:WORD_1
	v_add_u32_e32 v11, 9, v49
	v_cndmask_b32_e32 v10, v12, v10, vcc
	v_and_b32_e32 v10, 0xffff, v10
	v_cndmask_b32_e64 v12, 0, 1, s[22:23]
	v_lshl_or_b32 v35, v12, 16, v10
	v_cmp_gt_u32_e32 vcc, s69, v11
	v_mov_b32_e32 v36, 0
	v_mov_b32_e32 v37, 0
	;; [unrolled: 1-line block ×14, first 2 shown]
                                        ; implicit-def: $sgpr26_sgpr27
                                        ; implicit-def: $vgpr47
	s_and_saveexec_b64 s[22:23], vcc
	s_cbranch_execz .LBB652_120
; %bb.91:
	ds_read_b128 v[10:13], v48 offset:18
	v_mov_b32_e32 v15, s74
	v_cmp_eq_u16_sdwa vcc, v6, v7 src0_sel:WORD_1 src1_sel:DWORD
	v_cmp_ne_u16_sdwa s[24:25], v6, v7 src0_sel:WORD_1 src1_sel:DWORD
	v_add_u32_e32 v14, 10, v49
	s_waitcnt lgkmcnt(0)
	v_cndmask_b32_e32 v15, v15, v10, vcc
	v_and_b32_e32 v15, 0xffff, v15
	v_cndmask_b32_e64 v6, 0, 1, s[24:25]
	v_lshl_or_b32 v36, v6, 16, v15
	v_cmp_gt_u32_e32 vcc, s69, v14
	s_mov_b64 s[28:29], 0
	v_mov_b32_e32 v37, 0
	v_mov_b32_e32 v38, 0
	;; [unrolled: 1-line block ×13, first 2 shown]
                                        ; implicit-def: $sgpr26_sgpr27
                                        ; implicit-def: $vgpr47
	s_and_saveexec_b64 s[24:25], vcc
	s_cbranch_execz .LBB652_119
; %bb.92:
	v_lshrrev_b32_e32 v6, 16, v10
	v_mov_b32_e32 v14, s74
	v_cmp_eq_u16_sdwa vcc, v7, v7 src0_sel:DWORD src1_sel:WORD_1
	v_cmp_ne_u16_sdwa s[26:27], v7, v7 src0_sel:DWORD src1_sel:WORD_1
	v_add_u32_e32 v10, 11, v49
	v_cndmask_b32_e32 v6, v14, v6, vcc
	v_and_b32_e32 v6, 0xffff, v6
	v_cndmask_b32_e64 v14, 0, 1, s[26:27]
	v_lshl_or_b32 v37, v14, 16, v6
	v_cmp_gt_u32_e32 vcc, s69, v10
	v_mov_b32_e32 v38, 0
	v_mov_b32_e32 v39, 0
	;; [unrolled: 1-line block ×12, first 2 shown]
                                        ; implicit-def: $sgpr30_sgpr31
                                        ; implicit-def: $vgpr47
	s_and_saveexec_b64 s[26:27], vcc
	s_cbranch_execz .LBB652_118
; %bb.93:
	v_mov_b32_e32 v10, s74
	v_cmp_eq_u16_sdwa vcc, v7, v8 src0_sel:WORD_1 src1_sel:DWORD
	v_cmp_ne_u16_sdwa s[28:29], v7, v8 src0_sel:WORD_1 src1_sel:DWORD
	v_add_u32_e32 v6, 12, v49
	v_cndmask_b32_e32 v10, v10, v11, vcc
	v_and_b32_e32 v10, 0xffff, v10
	v_cndmask_b32_e64 v7, 0, 1, s[28:29]
	v_lshl_or_b32 v38, v7, 16, v10
	v_cmp_gt_u32_e32 vcc, s69, v6
	s_mov_b64 s[34:35], 0
	v_mov_b32_e32 v39, 0
	v_mov_b32_e32 v40, 0
	;; [unrolled: 1-line block ×11, first 2 shown]
                                        ; implicit-def: $sgpr30_sgpr31
                                        ; implicit-def: $vgpr47
	s_and_saveexec_b64 s[28:29], vcc
	s_cbranch_execz .LBB652_117
; %bb.94:
	v_lshrrev_b32_e32 v6, 16, v11
	v_mov_b32_e32 v10, s74
	v_cmp_eq_u16_sdwa vcc, v8, v8 src0_sel:DWORD src1_sel:WORD_1
	v_cmp_ne_u16_sdwa s[30:31], v8, v8 src0_sel:DWORD src1_sel:WORD_1
	v_add_u32_e32 v7, 13, v49
	v_cndmask_b32_e32 v6, v10, v6, vcc
	v_and_b32_e32 v6, 0xffff, v6
	v_cndmask_b32_e64 v10, 0, 1, s[30:31]
	v_lshl_or_b32 v39, v10, 16, v6
	v_cmp_gt_u32_e32 vcc, s69, v7
	v_mov_b32_e32 v40, 0
	v_mov_b32_e32 v41, 0
	v_mov_b32_e32 v42, 0
	v_mov_b32_e32 v43, 0
	v_mov_b32_e32 v22, 0
	v_mov_b32_e32 v44, 0
	v_mov_b32_e32 v23, 0
	v_mov_b32_e32 v45, 0
	v_mov_b32_e32 v24, 0
	v_mov_b32_e32 v46, 0
                                        ; implicit-def: $sgpr36_sgpr37
                                        ; implicit-def: $vgpr47
	s_and_saveexec_b64 s[30:31], vcc
	s_cbranch_execz .LBB652_116
; %bb.95:
	v_mov_b32_e32 v7, s74
	v_cmp_eq_u16_sdwa vcc, v8, v9 src0_sel:WORD_1 src1_sel:DWORD
	v_cmp_ne_u16_sdwa s[34:35], v8, v9 src0_sel:WORD_1 src1_sel:DWORD
	v_add_u32_e32 v6, 14, v49
	v_cndmask_b32_e32 v7, v7, v12, vcc
	v_and_b32_e32 v7, 0xffff, v7
	v_cndmask_b32_e64 v8, 0, 1, s[34:35]
	v_lshl_or_b32 v40, v8, 16, v7
	v_cmp_gt_u32_e32 vcc, s69, v6
	s_mov_b64 s[38:39], 0
	v_mov_b32_e32 v41, 0
	v_mov_b32_e32 v42, 0
	;; [unrolled: 1-line block ×9, first 2 shown]
                                        ; implicit-def: $sgpr36_sgpr37
                                        ; implicit-def: $vgpr47
	s_and_saveexec_b64 s[34:35], vcc
	s_cbranch_execz .LBB652_115
; %bb.96:
	v_lshrrev_b32_e32 v6, 16, v12
	v_mov_b32_e32 v8, s74
	v_cmp_eq_u16_sdwa vcc, v9, v9 src0_sel:DWORD src1_sel:WORD_1
	v_cmp_ne_u16_sdwa s[36:37], v9, v9 src0_sel:DWORD src1_sel:WORD_1
	v_add_u32_e32 v7, 15, v49
	v_cndmask_b32_e32 v6, v8, v6, vcc
	v_and_b32_e32 v6, 0xffff, v6
	v_cndmask_b32_e64 v8, 0, 1, s[36:37]
	v_lshl_or_b32 v41, v8, 16, v6
	v_cmp_gt_u32_e32 vcc, s69, v7
	v_mov_b32_e32 v42, 0
	v_mov_b32_e32 v43, 0
	;; [unrolled: 1-line block ×8, first 2 shown]
                                        ; implicit-def: $sgpr40_sgpr41
                                        ; implicit-def: $vgpr47
	s_and_saveexec_b64 s[36:37], vcc
	s_cbranch_execz .LBB652_114
; %bb.97:
	v_mov_b32_e32 v7, s74
	v_cmp_eq_u16_sdwa vcc, v9, v2 src0_sel:WORD_1 src1_sel:DWORD
	v_cmp_ne_u16_sdwa s[38:39], v9, v2 src0_sel:WORD_1 src1_sel:DWORD
	v_add_u32_e32 v6, 16, v49
	v_cndmask_b32_e32 v7, v7, v13, vcc
	v_and_b32_e32 v7, 0xffff, v7
	v_cndmask_b32_e64 v8, 0, 1, s[38:39]
	v_lshl_or_b32 v42, v8, 16, v7
	v_cmp_gt_u32_e32 vcc, s69, v6
	s_mov_b64 s[42:43], 0
	v_mov_b32_e32 v43, 0
	v_mov_b32_e32 v22, 0
	;; [unrolled: 1-line block ×7, first 2 shown]
                                        ; implicit-def: $sgpr40_sgpr41
                                        ; implicit-def: $vgpr47
	s_and_saveexec_b64 s[38:39], vcc
	s_cbranch_execz .LBB652_113
; %bb.98:
	v_lshrrev_b32_e32 v6, 16, v13
	v_mov_b32_e32 v8, s74
	v_cmp_eq_u16_sdwa vcc, v2, v2 src0_sel:DWORD src1_sel:WORD_1
	v_cmp_ne_u16_sdwa s[40:41], v2, v2 src0_sel:DWORD src1_sel:WORD_1
	v_add_u32_e32 v7, 17, v49
	v_cndmask_b32_e32 v6, v8, v6, vcc
	v_and_b32_e32 v6, 0xffff, v6
	v_cndmask_b32_e64 v8, 0, 1, s[40:41]
	v_lshl_or_b32 v43, v8, 16, v6
	v_cmp_gt_u32_e32 vcc, s69, v7
	v_mov_b32_e32 v22, 0
	v_mov_b32_e32 v44, 0
	;; [unrolled: 1-line block ×6, first 2 shown]
                                        ; implicit-def: $sgpr44_sgpr45
                                        ; implicit-def: $vgpr47
	s_and_saveexec_b64 s[40:41], vcc
	s_cbranch_execz .LBB652_112
; %bb.99:
	ds_read_b96 v[6:8], v48 offset:34
	v_mov_b32_e32 v10, s74
	v_cmp_eq_u16_sdwa vcc, v2, v3 src0_sel:WORD_1 src1_sel:DWORD
	v_cmp_ne_u16_sdwa s[42:43], v2, v3 src0_sel:WORD_1 src1_sel:DWORD
	v_add_u32_e32 v9, 18, v49
	s_waitcnt lgkmcnt(0)
	v_cndmask_b32_e32 v10, v10, v6, vcc
	v_and_b32_e32 v10, 0xffff, v10
	v_cndmask_b32_e64 v2, 0, 1, s[42:43]
	v_lshl_or_b32 v22, v2, 16, v10
	v_cmp_gt_u32_e32 vcc, s69, v9
	s_mov_b64 s[46:47], 0
	v_mov_b32_e32 v44, 0
	v_mov_b32_e32 v23, 0
	;; [unrolled: 1-line block ×5, first 2 shown]
                                        ; implicit-def: $sgpr44_sgpr45
                                        ; implicit-def: $vgpr47
	s_and_saveexec_b64 s[42:43], vcc
	s_cbranch_execz .LBB652_111
; %bb.100:
	v_lshrrev_b32_e32 v2, 16, v6
	v_mov_b32_e32 v9, s74
	v_cmp_eq_u16_sdwa vcc, v3, v3 src0_sel:DWORD src1_sel:WORD_1
	v_cmp_ne_u16_sdwa s[44:45], v3, v3 src0_sel:DWORD src1_sel:WORD_1
	v_add_u32_e32 v6, 19, v49
	v_cndmask_b32_e32 v2, v9, v2, vcc
	v_and_b32_e32 v2, 0xffff, v2
	v_cndmask_b32_e64 v9, 0, 1, s[44:45]
	v_lshl_or_b32 v44, v9, 16, v2
	v_cmp_gt_u32_e32 vcc, s69, v6
	v_mov_b32_e32 v23, 0
	v_mov_b32_e32 v45, 0
	;; [unrolled: 1-line block ×4, first 2 shown]
                                        ; implicit-def: $sgpr48_sgpr49
                                        ; implicit-def: $vgpr47
	s_and_saveexec_b64 s[44:45], vcc
	s_cbranch_execz .LBB652_110
; %bb.101:
	v_mov_b32_e32 v6, s74
	v_cmp_eq_u16_sdwa vcc, v3, v4 src0_sel:WORD_1 src1_sel:DWORD
	v_cmp_ne_u16_sdwa s[46:47], v3, v4 src0_sel:WORD_1 src1_sel:DWORD
	v_add_u32_e32 v2, 20, v49
	v_cndmask_b32_e32 v6, v6, v7, vcc
	v_and_b32_e32 v6, 0xffff, v6
	v_cndmask_b32_e64 v3, 0, 1, s[46:47]
	v_lshl_or_b32 v23, v3, 16, v6
	v_cmp_gt_u32_e32 vcc, s69, v2
	s_mov_b64 s[50:51], 0
	v_mov_b32_e32 v45, 0
	v_mov_b32_e32 v24, 0
	;; [unrolled: 1-line block ×3, first 2 shown]
                                        ; implicit-def: $sgpr48_sgpr49
                                        ; implicit-def: $vgpr47
	s_and_saveexec_b64 s[46:47], vcc
	s_cbranch_execz .LBB652_109
; %bb.102:
	v_lshrrev_b32_e32 v2, 16, v7
	v_mov_b32_e32 v6, s74
	v_cmp_eq_u16_sdwa vcc, v4, v4 src0_sel:DWORD src1_sel:WORD_1
	v_cmp_ne_u16_sdwa s[48:49], v4, v4 src0_sel:DWORD src1_sel:WORD_1
	v_add_u32_e32 v3, 21, v49
	v_cndmask_b32_e32 v2, v6, v2, vcc
	v_and_b32_e32 v2, 0xffff, v2
	v_cndmask_b32_e64 v6, 0, 1, s[48:49]
	v_lshl_or_b32 v45, v6, 16, v2
	v_cmp_gt_u32_e32 vcc, s69, v3
	v_mov_b32_e32 v24, 0
	v_mov_b32_e32 v46, 0
                                        ; implicit-def: $sgpr56_sgpr57
                                        ; implicit-def: $vgpr47
	s_and_saveexec_b64 s[48:49], vcc
	s_cbranch_execz .LBB652_108
; %bb.103:
	v_mov_b32_e32 v3, s74
	v_cmp_eq_u16_sdwa vcc, v4, v5 src0_sel:WORD_1 src1_sel:DWORD
	v_cmp_ne_u16_sdwa s[50:51], v4, v5 src0_sel:WORD_1 src1_sel:DWORD
	v_add_u32_e32 v2, 22, v49
	v_cndmask_b32_e32 v3, v3, v8, vcc
	v_and_b32_e32 v3, 0xffff, v3
	v_cndmask_b32_e64 v4, 0, 1, s[50:51]
	v_lshl_or_b32 v24, v4, 16, v3
	v_cmp_gt_u32_e32 vcc, s69, v2
	s_mov_b64 s[58:59], 0
	v_mov_b32_e32 v46, 0
                                        ; implicit-def: $sgpr60_sgpr61
                                        ; implicit-def: $vgpr47
	s_and_saveexec_b64 s[50:51], vcc
	s_cbranch_execz .LBB652_107
; %bb.104:
	v_lshrrev_b32_e32 v2, 16, v8
	v_mov_b32_e32 v4, s74
	v_cmp_eq_u16_sdwa vcc, v5, v5 src0_sel:DWORD src1_sel:WORD_1
	v_cmp_ne_u16_sdwa s[56:57], v5, v5 src0_sel:DWORD src1_sel:WORD_1
	v_add_u32_e32 v3, 23, v49
	v_cndmask_b32_e32 v2, v4, v2, vcc
	v_and_b32_e32 v2, 0xffff, v2
	v_cndmask_b32_e64 v4, 0, 1, s[56:57]
	v_lshl_or_b32 v46, v4, 16, v2
	v_cmp_gt_u32_e32 vcc, s69, v3
	s_mov_b64 s[56:57], 0
                                        ; implicit-def: $sgpr58_sgpr59
                                        ; implicit-def: $vgpr47
	s_and_saveexec_b64 s[60:61], vcc
	s_xor_b64 s[60:61], exec, s[60:61]
	s_cbranch_execz .LBB652_106
; %bb.105:
	ds_read_u16 v2, v48 offset:46
	v_mov_b32_e32 v3, s74
	v_cmp_ne_u16_sdwa vcc, v5, v28 src0_sel:WORD_1 src1_sel:DWORD
	s_mov_b64 s[56:57], exec
	s_and_b64 s[58:59], vcc, exec
	s_waitcnt lgkmcnt(0)
	v_cndmask_b32_e32 v47, v2, v3, vcc
.LBB652_106:
	s_or_b64 exec, exec, s[60:61]
	s_and_b64 s[60:61], s[58:59], exec
	s_and_b64 s[58:59], s[56:57], exec
.LBB652_107:
	s_or_b64 exec, exec, s[50:51]
	s_and_b64 s[56:57], s[60:61], exec
	s_and_b64 s[50:51], s[58:59], exec
.LBB652_108:
	s_or_b64 exec, exec, s[48:49]
	s_and_b64 s[48:49], s[56:57], exec
	s_and_b64 s[50:51], s[50:51], exec
.LBB652_109:
	s_or_b64 exec, exec, s[46:47]
	s_and_b64 s[48:49], s[48:49], exec
	s_and_b64 s[46:47], s[50:51], exec
.LBB652_110:
	s_or_b64 exec, exec, s[44:45]
	s_and_b64 s[44:45], s[48:49], exec
	s_and_b64 s[46:47], s[46:47], exec
.LBB652_111:
	s_or_b64 exec, exec, s[42:43]
	s_and_b64 s[44:45], s[44:45], exec
	s_and_b64 s[42:43], s[46:47], exec
.LBB652_112:
	s_or_b64 exec, exec, s[40:41]
	s_and_b64 s[40:41], s[44:45], exec
	s_and_b64 s[42:43], s[42:43], exec
.LBB652_113:
	s_or_b64 exec, exec, s[38:39]
	s_and_b64 s[40:41], s[40:41], exec
	s_and_b64 s[38:39], s[42:43], exec
.LBB652_114:
	s_or_b64 exec, exec, s[36:37]
	s_and_b64 s[36:37], s[40:41], exec
	s_and_b64 s[38:39], s[38:39], exec
.LBB652_115:
	s_or_b64 exec, exec, s[34:35]
	s_and_b64 s[36:37], s[36:37], exec
	s_and_b64 s[34:35], s[38:39], exec
.LBB652_116:
	s_or_b64 exec, exec, s[30:31]
	s_and_b64 s[30:31], s[36:37], exec
	s_and_b64 s[34:35], s[34:35], exec
.LBB652_117:
	s_or_b64 exec, exec, s[28:29]
	s_and_b64 s[30:31], s[30:31], exec
	s_and_b64 s[28:29], s[34:35], exec
.LBB652_118:
	s_or_b64 exec, exec, s[26:27]
	s_and_b64 s[26:27], s[30:31], exec
	s_and_b64 s[28:29], s[28:29], exec
.LBB652_119:
	s_or_b64 exec, exec, s[24:25]
	s_and_b64 s[26:27], s[26:27], exec
	s_and_b64 s[24:25], s[28:29], exec
.LBB652_120:
	s_or_b64 exec, exec, s[22:23]
	s_and_b64 s[22:23], s[26:27], exec
	s_and_b64 s[24:25], s[24:25], exec
.LBB652_121:
	s_or_b64 exec, exec, s[20:21]
	s_and_b64 s[22:23], s[22:23], exec
	s_and_b64 s[20:21], s[24:25], exec
.LBB652_122:
	s_or_b64 exec, exec, s[18:19]
	s_and_b64 s[18:19], s[22:23], exec
	s_and_b64 s[20:21], s[20:21], exec
.LBB652_123:
	s_or_b64 exec, exec, s[16:17]
	s_and_b64 s[18:19], s[18:19], exec
	s_and_b64 s[16:17], s[20:21], exec
.LBB652_124:
	s_or_b64 exec, exec, s[14:15]
	s_and_b64 s[14:15], s[18:19], exec
	s_and_b64 s[16:17], s[16:17], exec
.LBB652_125:
	s_or_b64 exec, exec, s[12:13]
	s_and_b64 s[14:15], s[14:15], exec
	s_and_b64 s[12:13], s[16:17], exec
.LBB652_126:
	s_or_b64 exec, exec, s[10:11]
	s_and_b64 s[10:11], s[14:15], exec
	s_and_b64 s[12:13], s[12:13], exec
.LBB652_127:
	s_or_b64 exec, exec, s[8:9]
	s_and_b64 s[10:11], s[10:11], exec
	s_and_b64 s[8:9], s[12:13], exec
.LBB652_128:
	s_or_b64 exec, exec, s[6:7]
	s_and_b64 s[6:7], s[10:11], exec
	s_and_b64 s[8:9], s[8:9], exec
.LBB652_129:
	s_or_b64 exec, exec, s[4:5]
	s_and_b64 vcc, exec, s[0:1]
	v_lshlrev_b32_e32 v28, 1, v0
	s_cbranch_vccnz .LBB652_131
	s_branch .LBB652_136
.LBB652_130:
	s_mov_b64 s[8:9], 0
                                        ; implicit-def: $sgpr6_sgpr7
                                        ; implicit-def: $vgpr47
                                        ; implicit-def: $vgpr1
                                        ; implicit-def: $vgpr25
                                        ; implicit-def: $vgpr29
                                        ; implicit-def: $vgpr30
                                        ; implicit-def: $vgpr31
                                        ; implicit-def: $vgpr32
                                        ; implicit-def: $vgpr33
                                        ; implicit-def: $vgpr34
                                        ; implicit-def: $vgpr35
                                        ; implicit-def: $vgpr36
                                        ; implicit-def: $vgpr37
                                        ; implicit-def: $vgpr38
                                        ; implicit-def: $vgpr39
                                        ; implicit-def: $vgpr40
                                        ; implicit-def: $vgpr41
                                        ; implicit-def: $vgpr42
                                        ; implicit-def: $vgpr43
                                        ; implicit-def: $vgpr22
                                        ; implicit-def: $vgpr44
                                        ; implicit-def: $vgpr23
                                        ; implicit-def: $vgpr45
                                        ; implicit-def: $vgpr24
                                        ; implicit-def: $vgpr46
                                        ; implicit-def: $sgpr68
	s_and_b64 vcc, exec, s[0:1]
	v_lshlrev_b32_e32 v28, 1, v0
	s_cbranch_vccz .LBB652_136
.LBB652_131:
	v_mov_b32_e32 v29, 0
	v_lshl_add_u64 v[2:3], v[20:21], 0, v[28:29]
	v_add_co_u32_e32 v4, vcc, 0x1000, v2
	flat_load_ushort v1, v[2:3]
	flat_load_ushort v6, v[2:3] offset:512
	flat_load_ushort v7, v[2:3] offset:1024
	;; [unrolled: 1-line block ×7, first 2 shown]
	v_addc_co_u32_e32 v5, vcc, 0, v3, vcc
	v_add_co_u32_e32 v2, vcc, 0x2000, v2
	flat_load_ushort v13, v[4:5]
	flat_load_ushort v14, v[4:5] offset:512
	flat_load_ushort v15, v[4:5] offset:1024
	;; [unrolled: 1-line block ×7, first 2 shown]
	v_addc_co_u32_e32 v3, vcc, 0, v3, vcc
	flat_load_ushort v4, v[2:3]
	flat_load_ushort v5, v[2:3] offset:512
	flat_load_ushort v25, v[2:3] offset:1024
	flat_load_ushort v30, v[2:3] offset:1536
	flat_load_ushort v31, v[2:3] offset:2048
	flat_load_ushort v32, v[2:3] offset:2560
	flat_load_ushort v33, v[2:3] offset:3072
	flat_load_ushort v34, v[2:3] offset:3584
	v_add_co_u32_e32 v2, vcc, 0x3000, v20
	s_movk_i32 s0, 0xffd2
	s_nop 0
	v_addc_co_u32_e32 v3, vcc, 0, v21, vcc
	s_movk_i32 s5, 0x1000
	s_movk_i32 s4, 0x2000
	s_waitcnt vmcnt(0) lgkmcnt(0)
	ds_write_b16 v28, v1
	ds_write_b16 v28, v6 offset:512
	ds_write_b16 v28, v7 offset:1024
	;; [unrolled: 1-line block ×23, first 2 shown]
	s_waitcnt lgkmcnt(0)
	s_barrier
	flat_load_ushort v47, v[2:3]
	v_mad_u32_u24 v1, v0, 46, v28
	ds_read_b128 v[10:13], v1
	ds_read_b128 v[6:9], v1 offset:16
	ds_read_b128 v[2:5], v1 offset:32
	v_mad_i32_i24 v14, v0, s0, v1
	s_movk_i32 s0, 0xff
	v_cmp_ne_u32_e32 vcc, s0, v0
	s_waitcnt lgkmcnt(0)
	ds_write_b16 v14, v10 offset:12800
	s_waitcnt lgkmcnt(0)
	s_barrier
	s_and_saveexec_b64 s[0:1], vcc
	s_cbranch_execz .LBB652_133
; %bb.132:
	s_waitcnt vmcnt(0)
	ds_read_u16 v47, v28 offset:12802
.LBB652_133:
	s_or_b64 exec, exec, s[0:1]
	v_lshl_add_u64 v[14:15], v[18:19], 0, v[28:29]
	v_add_co_u32_e32 v16, vcc, s5, v14
	s_waitcnt lgkmcnt(0)
	s_nop 0
	v_addc_co_u32_e32 v17, vcc, 0, v15, vcc
	s_barrier
	flat_load_ushort v18, v[14:15]
	flat_load_ushort v19, v[14:15] offset:512
	flat_load_ushort v20, v[14:15] offset:1024
	;; [unrolled: 1-line block ×7, first 2 shown]
	v_add_co_u32_e32 v14, vcc, s4, v14
	flat_load_ushort v30, v[16:17]
	flat_load_ushort v31, v[16:17] offset:512
	flat_load_ushort v32, v[16:17] offset:1024
	;; [unrolled: 1-line block ×7, first 2 shown]
	v_addc_co_u32_e32 v15, vcc, 0, v15, vcc
	flat_load_ushort v16, v[14:15]
	flat_load_ushort v17, v[14:15] offset:512
	flat_load_ushort v38, v[14:15] offset:1024
	;; [unrolled: 1-line block ×7, first 2 shown]
	v_cmp_eq_u16_sdwa s[4:5], v10, v10 src0_sel:DWORD src1_sel:WORD_1
	s_waitcnt vmcnt(0) lgkmcnt(0)
	ds_write_b16 v28, v18
	ds_write_b16 v28, v19 offset:512
	ds_write_b16 v28, v20 offset:1024
	;; [unrolled: 1-line block ×23, first 2 shown]
	s_waitcnt lgkmcnt(0)
	s_barrier
	ds_read_b128 v[18:21], v1 offset:2
	ds_read_b128 v[14:17], v1 offset:18
	ds_read_b96 v[22:24], v1 offset:34
	ds_read_u16 v48, v1 offset:46
	v_mov_b32_e32 v25, 0x10000
	v_mov_b32_e32 v30, s74
	s_and_saveexec_b64 s[0:1], s[4:5]
	s_cbranch_execz .LBB652_135
; %bb.134:
	ds_read_u16 v30, v1
	v_mov_b32_e32 v25, v29
.LBB652_135:
	s_or_b64 exec, exec, s[0:1]
	v_mov_b32_e32 v49, s74
	v_cmp_eq_u16_sdwa vcc, v10, v11 src0_sel:WORD_1 src1_sel:DWORD
	s_waitcnt lgkmcnt(3)
	v_lshrrev_b32_e32 v29, 16, v18
	v_cmp_ne_u16_sdwa s[0:1], v10, v11 src0_sel:WORD_1 src1_sel:DWORD
	v_cndmask_b32_e32 v18, v49, v18, vcc
	v_and_b32_e32 v18, 0xffff, v18
	v_cndmask_b32_e64 v10, 0, 1, s[0:1]
	v_cmp_eq_u16_sdwa vcc, v11, v11 src0_sel:DWORD src1_sel:WORD_1
	s_waitcnt lgkmcnt(0)
	v_or_b32_sdwa v1, v25, v30 dst_sel:DWORD dst_unused:UNUSED_PAD src0_sel:DWORD src1_sel:WORD_0
	v_lshl_or_b32 v25, v10, 16, v18
	v_cndmask_b32_e32 v10, v49, v29, vcc
	v_cmp_ne_u16_sdwa s[0:1], v11, v11 src0_sel:DWORD src1_sel:WORD_1
	v_and_b32_e32 v10, 0xffff, v10
	v_cmp_eq_u16_sdwa vcc, v11, v12 src0_sel:WORD_1 src1_sel:DWORD
	v_cndmask_b32_e64 v18, 0, 1, s[0:1]
	v_lshl_or_b32 v29, v18, 16, v10
	v_cndmask_b32_e32 v10, v49, v19, vcc
	v_cmp_ne_u16_sdwa s[0:1], v11, v12 src0_sel:WORD_1 src1_sel:DWORD
	v_lshrrev_b32_e32 v31, 16, v19
	v_and_b32_e32 v10, 0xffff, v10
	v_cndmask_b32_e64 v11, 0, 1, s[0:1]
	v_cmp_eq_u16_sdwa vcc, v12, v12 src0_sel:DWORD src1_sel:WORD_1
	v_lshl_or_b32 v30, v11, 16, v10
	v_cmp_ne_u16_sdwa s[0:1], v12, v12 src0_sel:DWORD src1_sel:WORD_1
	v_cndmask_b32_e32 v10, v49, v31, vcc
	v_and_b32_e32 v10, 0xffff, v10
	v_cndmask_b32_e64 v11, 0, 1, s[0:1]
	v_cmp_eq_u16_sdwa vcc, v12, v13 src0_sel:WORD_1 src1_sel:DWORD
	v_lshl_or_b32 v31, v11, 16, v10
	v_cmp_ne_u16_sdwa s[0:1], v12, v13 src0_sel:WORD_1 src1_sel:DWORD
	v_cndmask_b32_e32 v10, v49, v20, vcc
	v_lshrrev_b32_e32 v33, 16, v20
	v_and_b32_e32 v10, 0xffff, v10
	v_cndmask_b32_e64 v11, 0, 1, s[0:1]
	v_cmp_eq_u16_sdwa vcc, v13, v13 src0_sel:DWORD src1_sel:WORD_1
	v_lshl_or_b32 v32, v11, 16, v10
	v_cmp_ne_u16_sdwa s[0:1], v13, v13 src0_sel:DWORD src1_sel:WORD_1
	v_cndmask_b32_e32 v10, v49, v33, vcc
	v_and_b32_e32 v10, 0xffff, v10
	v_cndmask_b32_e64 v11, 0, 1, s[0:1]
	v_cmp_eq_u16_sdwa vcc, v13, v6 src0_sel:WORD_1 src1_sel:DWORD
	v_lshl_or_b32 v33, v11, 16, v10
	v_cmp_ne_u16_sdwa s[0:1], v13, v6 src0_sel:WORD_1 src1_sel:DWORD
	v_cndmask_b32_e32 v10, v49, v21, vcc
	;; [unrolled: 13-line block ×9, first 2 shown]
	v_lshrrev_b32_e32 v46, 16, v24
	v_and_b32_e32 v2, 0xffff, v2
	v_cndmask_b32_e64 v3, 0, 1, s[0:1]
	v_cmp_eq_u16_sdwa vcc, v5, v5 src0_sel:DWORD src1_sel:WORD_1
	v_lshl_or_b32 v24, v3, 16, v2
	v_cmp_ne_u16_sdwa s[0:1], v5, v5 src0_sel:DWORD src1_sel:WORD_1
	v_cndmask_b32_e32 v2, v49, v46, vcc
	v_and_b32_e32 v2, 0xffff, v2
	v_cndmask_b32_e64 v3, 0, 1, s[0:1]
	v_cmp_ne_u16_sdwa s[6:7], v5, v47 src0_sel:WORD_1 src1_sel:DWORD
	v_lshl_or_b32 v46, v3, 16, v2
	s_mov_b64 s[8:9], -1
	v_cndmask_b32_e64 v47, v48, v49, s[6:7]
                                        ; implicit-def: $sgpr68
.LBB652_136:
	v_mov_b32_e32 v12, s68
	s_and_saveexec_b64 s[0:1], s[8:9]
; %bb.137:
	v_mov_b32_e32 v2, 0x10000
	v_cndmask_b32_e64 v2, 0, v2, s[6:7]
	v_or_b32_sdwa v12, v2, v47 dst_sel:DWORD dst_unused:UNUSED_PAD src0_sel:DWORD src1_sel:WORD_0
; %bb.138:
	s_or_b64 exec, exec, s[0:1]
	v_or3_b32 v2, v12, v46, v24
	s_cmp_lg_u32 s67, 0
	v_or3_b32 v14, v2, v45, v23
	v_mbcnt_lo_u32_b32 v13, -1, 0
	s_barrier
	s_cbranch_scc0 .LBB652_231
; %bb.139:
	s_mov_b32 s0, 0x10000
	v_cmp_gt_u32_e64 s[4:5], s0, v25
	v_cmp_gt_u32_e64 s[6:7], s0, v29
	v_cmp_gt_u32_e64 s[8:9], s0, v30
	v_cndmask_b32_e64 v2, 0, v1, s[4:5]
	v_add_u16_e32 v2, v2, v25
	v_cndmask_b32_e64 v2, 0, v2, s[6:7]
	v_add_u16_e32 v2, v2, v29
	v_cndmask_b32_e64 v2, 0, v2, s[8:9]
	v_add_u16_e32 v2, v2, v30
	v_cmp_gt_u32_e64 s[10:11], s0, v31
	v_cmp_gt_u32_e64 s[12:13], s0, v32
	v_cmp_gt_u32_e64 s[14:15], s0, v33
	v_cndmask_b32_e64 v2, 0, v2, s[10:11]
	v_add_u16_e32 v2, v2, v31
	v_cndmask_b32_e64 v2, 0, v2, s[12:13]
	v_add_u16_e32 v2, v2, v32
	v_cndmask_b32_e64 v2, 0, v2, s[14:15]
	v_add_u16_e32 v2, v2, v33
	;; [unrolled: 9-line block ×5, first 2 shown]
	v_cmp_gt_u32_e64 s[36:37], s0, v43
	v_cmp_gt_u32_e64 s[38:39], s0, v22
	;; [unrolled: 1-line block ×3, first 2 shown]
	v_cndmask_b32_e64 v2, 0, v2, s[36:37]
	v_add_u16_e32 v2, v2, v43
	v_cndmask_b32_e64 v2, 0, v2, s[38:39]
	v_add_u16_e32 v2, v2, v22
	v_cndmask_b32_e64 v2, 0, v2, s[40:41]
	v_or3_b32 v5, v14, v44, v22
	v_add_u16_e32 v2, v2, v44
	v_cmp_gt_u32_e64 s[42:43], s0, v23
	v_or3_b32 v5, v5, v43, v42
	v_or3_b32 v5, v5, v41, v40
	v_cndmask_b32_e64 v2, 0, v2, s[42:43]
	v_add_u16_e32 v2, v2, v23
	v_cmp_gt_u32_e64 s[44:45], s0, v45
	v_or3_b32 v5, v5, v39, v38
	v_or3_b32 v5, v5, v37, v36
	v_cndmask_b32_e64 v2, 0, v2, s[44:45]
	v_add_u16_e32 v2, v2, v45
	v_cmp_gt_u32_e64 s[46:47], s0, v24
	v_or3_b32 v5, v5, v35, v34
	v_or3_b32 v5, v5, v33, v32
	v_cndmask_b32_e64 v2, 0, v2, s[46:47]
	v_add_u16_e32 v2, v2, v24
	v_cmp_gt_u32_e64 s[48:49], s0, v46
	v_or3_b32 v5, v5, v31, v30
	v_or3_b32 v5, v5, v29, v25
	v_cndmask_b32_e64 v2, 0, v2, s[48:49]
	v_add_u16_e32 v2, v2, v46
	v_cmp_gt_u32_e32 vcc, s0, v12
	v_and_b32_e32 v5, 0x10000, v5
	v_and_b32_e32 v3, 0x10000, v1
	v_cndmask_b32_e32 v4, 0, v2, vcc
	v_mov_b32_e32 v6, 0x10000
	v_cmp_ne_u32_e32 vcc, 0, v5
	v_add_u16_e32 v2, v4, v12
	v_add_u16_e32 v4, v4, v12
	v_cndmask_b32_e32 v6, v3, v6, vcc
	v_mbcnt_hi_u32_b32 v5, -1, v13
	v_and_b32_e32 v7, 15, v5
	v_or_b32_e32 v4, v6, v4
	v_lshrrev_b32_e32 v3, 16, v6
	v_cmp_ne_u32_e32 vcc, 0, v7
	v_mov_b32_dpp v8, v4 row_shr:1 row_mask:0xf bank_mask:0xf
	s_and_saveexec_b64 s[0:1], vcc
	s_cbranch_execz .LBB652_141
; %bb.140:
	v_cmp_eq_u32_e32 vcc, 0, v6
	v_and_b32_e32 v3, 0x10000, v6
	v_mov_b32_e32 v6, 1
	v_cndmask_b32_e32 v4, 0, v8, vcc
	v_and_b32_sdwa v6, v8, v6 dst_sel:DWORD dst_unused:UNUSED_PAD src0_sel:WORD_1 src1_sel:DWORD
	v_cmp_ne_u32_e32 vcc, 0, v3
	v_add_u16_e32 v9, v4, v2
	v_add_u16_e32 v2, v4, v2
	v_cndmask_b32_e64 v3, v6, 1, vcc
	v_lshlrev_b32_e32 v6, 16, v3
	v_or_b32_e32 v4, v6, v2
	v_mov_b32_e32 v2, v9
.LBB652_141:
	s_or_b64 exec, exec, s[0:1]
	v_lshrrev_b32_e32 v6, 16, v4
	v_mov_b32_dpp v8, v4 row_shr:2 row_mask:0xf bank_mask:0xf
	v_cmp_lt_u32_e32 vcc, 1, v7
	s_and_saveexec_b64 s[0:1], vcc
	s_cbranch_execz .LBB652_143
; %bb.142:
	s_mov_b32 s50, 0x10000
	v_cmp_gt_u32_e32 vcc, s50, v4
	v_and_b32_e32 v3, 0x10000, v4
	v_mov_b32_e32 v4, 1
	v_cndmask_b32_e32 v6, 0, v8, vcc
	v_and_b32_sdwa v4, v8, v4 dst_sel:DWORD dst_unused:UNUSED_PAD src0_sel:WORD_1 src1_sel:DWORD
	v_cmp_ne_u32_e32 vcc, 0, v3
	v_add_u16_e32 v9, v6, v2
	v_add_u16_e32 v2, v6, v2
	v_cndmask_b32_e64 v3, v4, 1, vcc
	v_lshlrev_b32_e32 v4, 16, v3
	v_or_b32_e32 v4, v4, v2
	v_mov_b32_e32 v6, v3
	v_mov_b32_e32 v2, v9
.LBB652_143:
	s_or_b64 exec, exec, s[0:1]
	v_mov_b32_dpp v8, v4 row_shr:4 row_mask:0xf bank_mask:0xf
	v_cmp_lt_u32_e32 vcc, 3, v7
	s_and_saveexec_b64 s[0:1], vcc
	s_cbranch_execz .LBB652_145
; %bb.144:
	v_cmp_eq_u16_e32 vcc, 0, v6
	v_and_b32_e32 v3, 1, v6
	v_mov_b32_e32 v6, 1
	v_cndmask_b32_e32 v4, 0, v8, vcc
	v_and_b32_sdwa v6, v8, v6 dst_sel:DWORD dst_unused:UNUSED_PAD src0_sel:WORD_1 src1_sel:DWORD
	v_cmp_eq_u32_e32 vcc, 1, v3
	v_add_u16_e32 v9, v4, v2
	v_add_u16_e32 v2, v4, v2
	v_cndmask_b32_e64 v3, v6, 1, vcc
	v_lshlrev_b32_e32 v6, 16, v3
	v_or_b32_e32 v4, v6, v2
	v_mov_b32_e32 v6, v3
	v_mov_b32_e32 v2, v9
.LBB652_145:
	s_or_b64 exec, exec, s[0:1]
	v_mov_b32_dpp v8, v4 row_shr:8 row_mask:0xf bank_mask:0xf
	v_cmp_lt_u32_e32 vcc, 7, v7
	s_and_saveexec_b64 s[0:1], vcc
	s_cbranch_execz .LBB652_147
; %bb.146:
	v_cmp_eq_u16_e32 vcc, 0, v6
	v_and_b32_e32 v3, 1, v6
	v_mov_b32_e32 v6, 1
	v_cndmask_b32_e32 v4, 0, v8, vcc
	v_and_b32_sdwa v6, v8, v6 dst_sel:DWORD dst_unused:UNUSED_PAD src0_sel:WORD_1 src1_sel:DWORD
	v_cmp_eq_u32_e32 vcc, 1, v3
	v_add_u16_e32 v7, v4, v2
	v_add_u16_e32 v2, v4, v2
	v_cndmask_b32_e64 v3, v6, 1, vcc
	v_lshlrev_b32_e32 v6, 16, v3
	v_or_b32_e32 v4, v6, v2
	v_mov_b32_e32 v6, v3
	v_mov_b32_e32 v2, v7
.LBB652_147:
	s_or_b64 exec, exec, s[0:1]
	v_and_b32_e32 v8, 16, v5
	v_mov_b32_dpp v7, v4 row_bcast:15 row_mask:0xf bank_mask:0xf
	v_cmp_ne_u32_e32 vcc, 0, v8
	s_and_saveexec_b64 s[0:1], vcc
	s_cbranch_execz .LBB652_149
; %bb.148:
	v_cmp_eq_u16_e32 vcc, 0, v6
	v_and_b32_e32 v3, 1, v6
	v_mov_b32_e32 v6, 1
	v_cndmask_b32_e32 v4, 0, v7, vcc
	v_and_b32_sdwa v6, v7, v6 dst_sel:DWORD dst_unused:UNUSED_PAD src0_sel:WORD_1 src1_sel:DWORD
	v_cmp_eq_u32_e32 vcc, 1, v3
	v_add_u16_e32 v8, v4, v2
	v_add_u16_e32 v2, v4, v2
	v_cndmask_b32_e64 v3, v6, 1, vcc
	v_lshlrev_b32_e32 v6, 16, v3
	v_or_b32_e32 v4, v6, v2
	v_mov_b32_e32 v6, v3
	v_mov_b32_e32 v2, v8
.LBB652_149:
	s_or_b64 exec, exec, s[0:1]
	v_mov_b32_dpp v4, v4 row_bcast:31 row_mask:0xf bank_mask:0xf
	v_cmp_lt_u32_e32 vcc, 31, v5
	s_and_saveexec_b64 s[0:1], vcc
; %bb.150:
	v_cmp_eq_u16_e32 vcc, 0, v6
	s_nop 1
	v_cndmask_b32_e32 v3, 0, v4, vcc
	v_add_u16_e32 v2, v3, v2
	v_and_b32_e32 v3, 1, v6
	v_mov_b32_e32 v6, 1
	v_and_b32_sdwa v4, v4, v6 dst_sel:DWORD dst_unused:UNUSED_PAD src0_sel:WORD_1 src1_sel:DWORD
	v_cmp_eq_u32_e32 vcc, 1, v3
	s_nop 1
	v_cndmask_b32_e64 v3, v4, 1, vcc
; %bb.151:
	s_or_b64 exec, exec, s[0:1]
	v_or_b32_e32 v6, 63, v0
	v_lshrrev_b32_e32 v4, 6, v0
	v_cmp_eq_u32_e32 vcc, v6, v0
	s_and_saveexec_b64 s[0:1], vcc
	s_cbranch_execz .LBB652_153
; %bb.152:
	v_lshlrev_b32_e32 v6, 2, v4
	ds_write_b16 v6, v2
	ds_write_b8 v6, v3 offset:2
.LBB652_153:
	s_or_b64 exec, exec, s[0:1]
	v_cmp_gt_u32_e32 vcc, 4, v0
	s_waitcnt lgkmcnt(0)
	s_barrier
	s_and_saveexec_b64 s[0:1], vcc
	s_cbranch_execz .LBB652_159
; %bb.154:
	v_lshlrev_b32_e32 v6, 2, v0
	ds_read_b32 v7, v6
	v_and_b32_e32 v10, 3, v5
	v_cmp_ne_u32_e32 vcc, 0, v10
	s_waitcnt lgkmcnt(0)
	v_lshrrev_b32_e32 v9, 16, v7
	v_mov_b32_dpp v11, v7 row_shr:1 row_mask:0xf bank_mask:0xf
	v_mov_b32_e32 v8, v7
	s_and_saveexec_b64 s[50:51], vcc
	s_cbranch_execz .LBB652_156
; %bb.155:
	v_mov_b32_e32 v8, 0
	v_cmp_eq_u16_sdwa vcc, v9, v8 src0_sel:BYTE_0 src1_sel:DWORD
	v_and_b32_e32 v9, 0x10000, v7
	v_mov_b32_e32 v17, 1
	v_cndmask_b32_e32 v16, 0, v11, vcc
	v_and_b32_sdwa v11, v11, v17 dst_sel:DWORD dst_unused:UNUSED_PAD src0_sel:WORD_1 src1_sel:DWORD
	v_cmp_ne_u32_e32 vcc, 0, v9
	v_and_b32_e32 v15, 0xff000000, v7
	v_add_u16_e32 v8, v16, v7
	v_cndmask_b32_e64 v9, v11, 1, vcc
	v_lshlrev_b32_e32 v11, 16, v9
	v_add_u16_e32 v7, v16, v7
	v_or3_b32 v7, v11, v15, v7
.LBB652_156:
	s_or_b64 exec, exec, s[50:51]
	s_nop 0
	v_mov_b32_dpp v11, v7 row_shr:2 row_mask:0xf bank_mask:0xf
	v_cmp_lt_u32_e32 vcc, 1, v10
	s_and_saveexec_b64 s[50:51], vcc
; %bb.157:
	v_and_b32_e32 v9, 0xff0000, v7
	v_cmp_eq_u32_e32 vcc, 0, v9
	v_and_b32_e32 v7, 0x10000, v7
	s_nop 0
	v_cndmask_b32_e32 v9, 0, v11, vcc
	v_add_u16_e32 v8, v9, v8
	v_mov_b32_e32 v9, 1
	v_and_b32_sdwa v9, v11, v9 dst_sel:DWORD dst_unused:UNUSED_PAD src0_sel:WORD_1 src1_sel:DWORD
	v_cmp_eq_u32_e32 vcc, 0, v7
	s_nop 1
	v_cndmask_b32_e32 v9, 1, v9, vcc
; %bb.158:
	s_or_b64 exec, exec, s[50:51]
	ds_write_b16 v6, v8
	ds_write_b8 v6, v9 offset:2
.LBB652_159:
	s_or_b64 exec, exec, s[0:1]
	v_cmp_gt_u32_e32 vcc, 64, v0
	v_cmp_lt_u32_e64 s[0:1], 63, v0
	v_mov_b32_e32 v15, 0
	v_mov_b32_e32 v16, 0
	s_waitcnt lgkmcnt(0)
	s_barrier
	s_and_saveexec_b64 s[50:51], s[0:1]
	s_cbranch_execz .LBB652_161
; %bb.160:
	v_lshl_add_u32 v4, v4, 2, -4
	ds_read_u16 v15, v4
	ds_read_u8 v16, v4 offset:2
	v_and_b32_e32 v6, 1, v3
	v_cmp_eq_u16_e64 s[0:1], 0, v3
	s_waitcnt lgkmcnt(1)
	s_nop 0
	v_cndmask_b32_e64 v3, 0, v15, s[0:1]
	v_cmp_eq_u32_e64 s[0:1], 1, v6
	v_add_u16_e32 v2, v3, v2
	s_waitcnt lgkmcnt(0)
	v_cndmask_b32_e64 v3, v16, 1, s[0:1]
.LBB652_161:
	s_or_b64 exec, exec, s[50:51]
	v_and_b32_e32 v3, 0xff, v3
	v_and_b32_e32 v2, 0xffff, v2
	v_lshl_or_b32 v2, v3, 16, v2
	v_add_u32_e32 v3, -1, v5
	v_and_b32_e32 v4, 64, v5
	v_cmp_lt_i32_e64 s[0:1], v3, v4
	v_cmp_eq_u32_e64 s[50:51], 0, v5
	s_nop 0
	v_cndmask_b32_e64 v3, v3, v5, s[0:1]
	v_lshlrev_b32_e32 v3, 2, v3
	ds_bpermute_b32 v17, v3, v2
	s_and_saveexec_b64 s[0:1], vcc
	s_cbranch_execz .LBB652_208
; %bb.162:
	v_mov_b32_e32 v11, 0
	ds_read_b32 v2, v11 offset:12
	s_and_saveexec_b64 s[56:57], s[50:51]
	s_cbranch_execz .LBB652_164
; %bb.163:
	s_add_i32 s58, s67, 64
	s_mov_b32 s59, 0
	s_lshl_b64 s[58:59], s[58:59], 3
	s_add_u32 s58, s64, s58
	v_mov_b32_e32 v3, 1
	s_addc_u32 s59, s65, s59
	s_waitcnt lgkmcnt(0)
	global_store_dwordx2 v11, v[2:3], s[58:59] sc1
.LBB652_164:
	s_or_b64 exec, exec, s[56:57]
	v_xad_u32 v4, v5, -1, s67
	v_add_u32_e32 v10, 64, v4
	v_lshl_add_u64 v[8:9], v[10:11], 3, s[64:65]
	global_load_dwordx2 v[6:7], v[8:9], off sc1
	s_waitcnt vmcnt(0)
	v_cmp_eq_u16_sdwa s[58:59], v7, v11 src0_sel:BYTE_0 src1_sel:DWORD
	s_and_saveexec_b64 s[56:57], s[58:59]
	s_cbranch_execz .LBB652_170
; %bb.165:
	s_mov_b32 s60, 1
	s_mov_b64 s[58:59], 0
	v_mov_b32_e32 v3, 0
.LBB652_166:                            ; =>This Loop Header: Depth=1
                                        ;     Child Loop BB652_167 Depth 2
	s_max_u32 s61, s60, 1
.LBB652_167:                            ;   Parent Loop BB652_166 Depth=1
                                        ; =>  This Inner Loop Header: Depth=2
	s_add_i32 s61, s61, -1
	s_cmp_eq_u32 s61, 0
	s_sleep 1
	s_cbranch_scc0 .LBB652_167
; %bb.168:                              ;   in Loop: Header=BB652_166 Depth=1
	global_load_dwordx2 v[6:7], v[8:9], off sc1
	s_cmp_lt_u32 s60, 32
	s_cselect_b64 s[68:69], -1, 0
	s_cmp_lg_u64 s[68:69], 0
	s_addc_u32 s60, s60, 0
	s_waitcnt vmcnt(0)
	v_cmp_ne_u16_sdwa s[68:69], v7, v3 src0_sel:BYTE_0 src1_sel:DWORD
	s_or_b64 s[58:59], s[68:69], s[58:59]
	s_andn2_b64 exec, exec, s[58:59]
	s_cbranch_execnz .LBB652_166
; %bb.169:
	s_or_b64 exec, exec, s[58:59]
.LBB652_170:
	s_or_b64 exec, exec, s[56:57]
	v_mov_b32_e32 v3, 2
	v_cmp_eq_u16_sdwa s[56:57], v7, v3 src0_sel:BYTE_0 src1_sel:DWORD
	v_lshlrev_b64 v[8:9], v5, -1
	v_and_b32_e32 v54, 0xffffff, v6
	v_and_b32_e32 v3, s57, v9
	v_or_b32_e32 v3, 0x80000000, v3
	v_ffbl_b32_e32 v3, v3
	v_add_u32_e32 v11, 32, v3
	v_and_b32_e32 v3, 63, v5
	v_cmp_ne_u32_e32 vcc, 63, v3
	v_and_b32_e32 v10, s56, v8
	v_ffbl_b32_e32 v10, v10
	v_addc_co_u32_e32 v18, vcc, 0, v5, vcc
	v_lshlrev_b32_e32 v18, 2, v18
	ds_bpermute_b32 v19, v18, v54
	v_min_u32_e32 v11, v10, v11
	v_lshrrev_b32_e32 v10, 16, v6
	v_cmp_lt_u32_e32 vcc, v3, v11
	v_bfe_u32 v52, v6, 16, 8
	s_and_saveexec_b64 s[56:57], vcc
	s_cbranch_execz .LBB652_172
; %bb.171:
	v_and_b32_e32 v10, 0xff0000, v6
	v_cmp_eq_u32_e32 vcc, 0, v10
	v_and_b32_e32 v10, 0x10000, v10
	v_mov_b32_e32 v47, 1
	s_waitcnt lgkmcnt(0)
	v_cndmask_b32_e32 v20, 0, v19, vcc
	v_and_b32_sdwa v19, v19, v47 dst_sel:DWORD dst_unused:UNUSED_PAD src0_sel:WORD_1 src1_sel:DWORD
	v_cmp_ne_u32_e32 vcc, 0, v10
	v_add_u16_e32 v21, v20, v6
	v_add_u16_e32 v6, v20, v6
	v_cndmask_b32_e64 v10, v19, 1, vcc
	v_lshlrev_b32_e32 v19, 16, v10
	v_or_b32_e32 v54, v19, v6
	v_mov_b32_e32 v6, v21
	v_mov_b32_e32 v52, v10
.LBB652_172:
	s_or_b64 exec, exec, s[56:57]
	v_cmp_gt_u32_e32 vcc, 62, v3
	v_add_u32_e32 v20, 2, v3
	s_waitcnt lgkmcnt(0)
	v_cndmask_b32_e64 v19, 0, 1, vcc
	v_lshlrev_b32_e32 v19, 1, v19
	v_add_lshl_u32 v19, v19, v5, 2
	ds_bpermute_b32 v21, v19, v54
	v_cmp_le_u32_e32 vcc, v20, v11
	s_and_saveexec_b64 s[56:57], vcc
	s_cbranch_execz .LBB652_174
; %bb.173:
	v_cmp_eq_u16_e32 vcc, 0, v52
	v_and_b32_e32 v10, 1, v52
	v_mov_b32_e32 v49, 1
	s_waitcnt lgkmcnt(0)
	v_cndmask_b32_e32 v47, 0, v21, vcc
	v_and_b32_sdwa v21, v21, v49 dst_sel:DWORD dst_unused:UNUSED_PAD src0_sel:WORD_1 src1_sel:DWORD
	v_cmp_eq_u32_e32 vcc, 1, v10
	v_add_u16_e32 v48, v47, v6
	v_add_u16_e32 v6, v47, v6
	v_cndmask_b32_e64 v10, v21, 1, vcc
	v_lshlrev_b32_e32 v21, 16, v10
	v_or_b32_e32 v54, v21, v6
	v_mov_b32_e32 v6, v48
	v_mov_b32_e32 v52, v10
.LBB652_174:
	s_or_b64 exec, exec, s[56:57]
	v_cmp_gt_u32_e32 vcc, 60, v3
	v_add_u32_e32 v47, 4, v3
	s_waitcnt lgkmcnt(0)
	v_cndmask_b32_e64 v21, 0, 1, vcc
	v_lshlrev_b32_e32 v21, 2, v21
	v_add_lshl_u32 v21, v21, v5, 2
	ds_bpermute_b32 v48, v21, v54
	v_cmp_le_u32_e32 vcc, v47, v11
	s_and_saveexec_b64 s[56:57], vcc
	s_cbranch_execz .LBB652_176
; %bb.175:
	v_cmp_eq_u16_e32 vcc, 0, v52
	v_and_b32_e32 v10, 1, v52
	v_mov_b32_e32 v51, 1
	s_waitcnt lgkmcnt(0)
	v_cndmask_b32_e32 v49, 0, v48, vcc
	v_and_b32_sdwa v48, v48, v51 dst_sel:DWORD dst_unused:UNUSED_PAD src0_sel:WORD_1 src1_sel:DWORD
	v_cmp_eq_u32_e32 vcc, 1, v10
	v_add_u16_e32 v50, v49, v6
	v_add_u16_e32 v6, v49, v6
	v_cndmask_b32_e64 v10, v48, 1, vcc
	v_lshlrev_b32_e32 v48, 16, v10
	v_or_b32_e32 v54, v48, v6
	v_mov_b32_e32 v6, v50
	v_mov_b32_e32 v52, v10
.LBB652_176:
	;; [unrolled: 27-line block ×4, first 2 shown]
	s_or_b64 exec, exec, s[56:57]
	v_cmp_gt_u32_e32 vcc, 32, v3
	s_waitcnt lgkmcnt(0)
	s_nop 0
	v_cndmask_b32_e64 v53, 0, 1, vcc
	v_lshlrev_b32_e32 v53, 5, v53
	v_add_lshl_u32 v53, v53, v5, 2
	ds_bpermute_b32 v5, v53, v54
	v_add_u32_e32 v54, 32, v3
	v_cmp_le_u32_e32 vcc, v54, v11
	s_and_saveexec_b64 s[56:57], vcc
	s_cbranch_execz .LBB652_182
; %bb.181:
	v_cmp_eq_u16_e32 vcc, 0, v52
	v_mov_b32_e32 v11, 1
	s_waitcnt lgkmcnt(0)
	v_cndmask_b32_e32 v10, 0, v5, vcc
	v_add_u16_e32 v6, v10, v6
	v_and_b32_e32 v10, 1, v52
	v_and_b32_sdwa v5, v5, v11 dst_sel:DWORD dst_unused:UNUSED_PAD src0_sel:WORD_1 src1_sel:DWORD
	v_cmp_eq_u32_e32 vcc, 1, v10
	s_nop 1
	v_cndmask_b32_e64 v10, v5, 1, vcc
.LBB652_182:
	s_or_b64 exec, exec, s[56:57]
	s_waitcnt lgkmcnt(0)
	v_mov_b32_e32 v5, 0
	v_mov_b32_e32 v56, 2
	;; [unrolled: 1-line block ×3, first 2 shown]
	s_branch .LBB652_184
.LBB652_183:                            ;   in Loop: Header=BB652_184 Depth=1
	s_or_b64 exec, exec, s[56:57]
	v_cmp_eq_u16_sdwa vcc, v52, v5 src0_sel:BYTE_0 src1_sel:DWORD
	v_and_b32_e32 v10, 1, v52
	v_and_b32_e32 v11, 1, v11
	v_cndmask_b32_e32 v6, 0, v6, vcc
	v_cmp_eq_u32_e32 vcc, 1, v10
	v_subrev_u32_e32 v4, 64, v4
	v_add_u16_e32 v6, v6, v55
	v_cndmask_b32_e64 v10, v11, 1, vcc
.LBB652_184:                            ; =>This Loop Header: Depth=1
                                        ;     Child Loop BB652_187 Depth 2
                                        ;       Child Loop BB652_188 Depth 3
	v_cmp_ne_u16_sdwa s[56:57], v7, v56 src0_sel:BYTE_0 src1_sel:DWORD
	v_mov_b32_e32 v52, v10
	v_mov_b32_e32 v55, v6
	v_cndmask_b32_e64 v7, 0, 1, s[56:57]
	;;#ASMSTART
	;;#ASMEND
	s_nop 0
	v_cmp_ne_u32_e32 vcc, 0, v7
	s_cmp_lg_u64 vcc, exec
	s_cbranch_scc1 .LBB652_203
; %bb.185:                              ;   in Loop: Header=BB652_184 Depth=1
	v_lshl_add_u64 v[10:11], v[4:5], 3, s[64:65]
	global_load_dwordx2 v[6:7], v[10:11], off sc1
	s_waitcnt vmcnt(0)
	v_cmp_eq_u16_sdwa s[58:59], v7, v5 src0_sel:BYTE_0 src1_sel:DWORD
	s_and_saveexec_b64 s[56:57], s[58:59]
	s_cbranch_execz .LBB652_191
; %bb.186:                              ;   in Loop: Header=BB652_184 Depth=1
	s_mov_b32 s60, 1
	s_mov_b64 s[58:59], 0
.LBB652_187:                            ;   Parent Loop BB652_184 Depth=1
                                        ; =>  This Loop Header: Depth=2
                                        ;       Child Loop BB652_188 Depth 3
	s_max_u32 s61, s60, 1
.LBB652_188:                            ;   Parent Loop BB652_184 Depth=1
                                        ;     Parent Loop BB652_187 Depth=2
                                        ; =>    This Inner Loop Header: Depth=3
	s_add_i32 s61, s61, -1
	s_cmp_eq_u32 s61, 0
	s_sleep 1
	s_cbranch_scc0 .LBB652_188
; %bb.189:                              ;   in Loop: Header=BB652_187 Depth=2
	global_load_dwordx2 v[6:7], v[10:11], off sc1
	s_cmp_lt_u32 s60, 32
	s_cselect_b64 s[68:69], -1, 0
	s_cmp_lg_u64 s[68:69], 0
	s_addc_u32 s60, s60, 0
	s_waitcnt vmcnt(0)
	v_cmp_ne_u16_sdwa s[68:69], v7, v5 src0_sel:BYTE_0 src1_sel:DWORD
	s_or_b64 s[58:59], s[68:69], s[58:59]
	s_andn2_b64 exec, exec, s[58:59]
	s_cbranch_execnz .LBB652_187
; %bb.190:                              ;   in Loop: Header=BB652_184 Depth=1
	s_or_b64 exec, exec, s[58:59]
.LBB652_191:                            ;   in Loop: Header=BB652_184 Depth=1
	s_or_b64 exec, exec, s[56:57]
	v_cmp_eq_u16_sdwa s[56:57], v7, v56 src0_sel:BYTE_0 src1_sel:DWORD
	s_waitcnt lgkmcnt(0)
	v_and_b32_e32 v59, 0xffffff, v6
	ds_bpermute_b32 v60, v18, v59
	v_and_b32_e32 v10, s57, v9
	v_or_b32_e32 v10, 0x80000000, v10
	v_and_b32_e32 v11, s56, v8
	v_ffbl_b32_e32 v10, v10
	v_add_u32_e32 v10, 32, v10
	v_ffbl_b32_e32 v11, v11
	v_min_u32_e32 v10, v11, v10
	v_lshrrev_b32_e32 v11, 16, v6
	v_cmp_lt_u32_e32 vcc, v3, v10
	v_bfe_u32 v58, v6, 16, 8
	s_and_saveexec_b64 s[56:57], vcc
	s_cbranch_execz .LBB652_193
; %bb.192:                              ;   in Loop: Header=BB652_184 Depth=1
	v_and_b32_e32 v11, 0xff0000, v6
	v_cmp_eq_u32_e32 vcc, 0, v11
	v_and_b32_e32 v11, 0x10000, v11
	s_waitcnt lgkmcnt(0)
	v_and_b32_sdwa v59, v60, v57 dst_sel:DWORD dst_unused:UNUSED_PAD src0_sel:WORD_1 src1_sel:DWORD
	v_cndmask_b32_e32 v58, 0, v60, vcc
	v_cmp_ne_u32_e32 vcc, 0, v11
	v_add_u16_e32 v61, v58, v6
	v_add_u16_e32 v6, v58, v6
	v_cndmask_b32_e64 v11, v59, 1, vcc
	v_lshlrev_b32_e32 v59, 16, v11
	v_or_b32_e32 v59, v59, v6
	v_mov_b32_e32 v6, v61
	v_mov_b32_e32 v58, v11
.LBB652_193:                            ;   in Loop: Header=BB652_184 Depth=1
	s_or_b64 exec, exec, s[56:57]
	s_waitcnt lgkmcnt(0)
	ds_bpermute_b32 v60, v19, v59
	v_cmp_le_u32_e32 vcc, v20, v10
	s_and_saveexec_b64 s[56:57], vcc
	s_cbranch_execz .LBB652_195
; %bb.194:                              ;   in Loop: Header=BB652_184 Depth=1
	v_cmp_eq_u16_e32 vcc, 0, v58
	v_and_b32_e32 v11, 1, v58
	s_waitcnt lgkmcnt(0)
	v_and_b32_sdwa v58, v60, v57 dst_sel:DWORD dst_unused:UNUSED_PAD src0_sel:WORD_1 src1_sel:DWORD
	v_cndmask_b32_e32 v59, 0, v60, vcc
	v_cmp_eq_u32_e32 vcc, 1, v11
	v_add_u16_e32 v61, v59, v6
	v_add_u16_e32 v6, v59, v6
	v_cndmask_b32_e64 v11, v58, 1, vcc
	v_lshlrev_b32_e32 v58, 16, v11
	v_or_b32_e32 v59, v58, v6
	v_mov_b32_e32 v6, v61
	v_mov_b32_e32 v58, v11
.LBB652_195:                            ;   in Loop: Header=BB652_184 Depth=1
	s_or_b64 exec, exec, s[56:57]
	s_waitcnt lgkmcnt(0)
	ds_bpermute_b32 v60, v21, v59
	v_cmp_le_u32_e32 vcc, v47, v10
	s_and_saveexec_b64 s[56:57], vcc
	s_cbranch_execz .LBB652_197
; %bb.196:                              ;   in Loop: Header=BB652_184 Depth=1
	v_cmp_eq_u16_e32 vcc, 0, v58
	v_and_b32_e32 v11, 1, v58
	s_waitcnt lgkmcnt(0)
	v_and_b32_sdwa v58, v60, v57 dst_sel:DWORD dst_unused:UNUSED_PAD src0_sel:WORD_1 src1_sel:DWORD
	v_cndmask_b32_e32 v59, 0, v60, vcc
	v_cmp_eq_u32_e32 vcc, 1, v11
	v_add_u16_e32 v61, v59, v6
	v_add_u16_e32 v6, v59, v6
	v_cndmask_b32_e64 v11, v58, 1, vcc
	v_lshlrev_b32_e32 v58, 16, v11
	v_or_b32_e32 v59, v58, v6
	v_mov_b32_e32 v6, v61
	v_mov_b32_e32 v58, v11
.LBB652_197:                            ;   in Loop: Header=BB652_184 Depth=1
	;; [unrolled: 21-line block ×4, first 2 shown]
	s_or_b64 exec, exec, s[56:57]
	ds_bpermute_b32 v59, v53, v59
	v_cmp_le_u32_e32 vcc, v54, v10
	s_and_saveexec_b64 s[56:57], vcc
	s_cbranch_execz .LBB652_183
; %bb.202:                              ;   in Loop: Header=BB652_184 Depth=1
	v_cmp_eq_u16_e32 vcc, 0, v58
	s_waitcnt lgkmcnt(0)
	v_lshrrev_b32_e32 v11, 16, v59
	v_cndmask_b32_e32 v10, 0, v59, vcc
	v_add_u16_e32 v6, v10, v6
	v_and_b32_e32 v10, 1, v58
	v_cmp_eq_u32_e32 vcc, 1, v10
	s_nop 1
	v_cndmask_b32_e64 v11, v11, 1, vcc
	s_branch .LBB652_183
.LBB652_203:                            ;   in Loop: Header=BB652_184 Depth=1
                                        ; implicit-def: $vgpr10
                                        ; implicit-def: $vgpr6
	s_cbranch_execz .LBB652_184
; %bb.204:
	s_and_saveexec_b64 s[56:57], s[50:51]
	s_cbranch_execz .LBB652_206
; %bb.205:
	v_and_b32_e32 v3, 0xff0000, v2
	s_mov_b32 s59, 0
	v_cmp_eq_u32_e32 vcc, 0, v3
	v_and_b32_e32 v4, 0x10000, v2
	v_mov_b32_e32 v5, 1
	s_add_i32 s58, s67, 64
	v_cndmask_b32_e32 v3, 0, v55, vcc
	v_and_b32_sdwa v5, v52, v5 dst_sel:WORD_1 dst_unused:UNUSED_PAD src0_sel:DWORD src1_sel:DWORD
	v_mov_b32_e32 v6, 0x10000
	v_cmp_eq_u32_e32 vcc, 0, v4
	s_lshl_b64 s[58:59], s[58:59], 3
	s_add_u32 s58, s64, s58
	v_cndmask_b32_e32 v4, v6, v5, vcc
	v_add_u16_e32 v2, v3, v2
	s_addc_u32 s59, s65, s59
	v_mov_b32_e32 v5, 0
	v_or_b32_e32 v2, v4, v2
	v_mov_b32_e32 v3, 2
	global_store_dwordx2 v5, v[2:3], s[58:59] sc1
.LBB652_206:
	s_or_b64 exec, exec, s[56:57]
	s_and_b64 exec, exec, s[52:53]
	s_cbranch_execz .LBB652_208
; %bb.207:
	v_mov_b32_e32 v2, 0
	ds_write_b16 v2, v55 offset:12
	ds_write_b8 v2, v52 offset:14
.LBB652_208:
	s_or_b64 exec, exec, s[0:1]
	v_mov_b32_e32 v2, 0
	s_waitcnt lgkmcnt(0)
	s_barrier
	ds_read_b32 v3, v2 offset:12
	v_lshrrev_b32_e32 v4, 16, v17
	v_cndmask_b32_e64 v4, v4, v16, s[50:51]
	v_cmp_eq_u16_sdwa vcc, v4, v2 src0_sel:BYTE_0 src1_sel:DWORD
	v_cndmask_b32_e64 v5, v17, v15, s[50:51]
	s_waitcnt lgkmcnt(0)
	v_cndmask_b32_e32 v2, 0, v3, vcc
	v_add_u16_e32 v2, v2, v5
	v_cndmask_b32_e64 v8, v2, v3, s[52:53]
	v_and_b32_e32 v2, 0xff0000, v1
	v_cmp_eq_u32_e32 vcc, 0, v2
	s_nop 1
	v_cndmask_b32_e32 v2, 0, v8, vcc
	v_add_u16_e32 v6, v2, v1
	v_cndmask_b32_e64 v2, 0, v6, s[4:5]
	v_add_u16_e32 v7, v2, v25
	v_cndmask_b32_e64 v2, 0, v7, s[6:7]
	;; [unrolled: 2-line block ×22, first 2 shown]
	v_add_u16_e32 v57, v2, v46
	s_branch .LBB652_259
.LBB652_209:
	s_or_b64 exec, exec, s[0:1]
                                        ; implicit-def: $vgpr39
	s_and_saveexec_b64 s[0:1], s[4:5]
	s_cbranch_execz .LBB652_57
.LBB652_210:
	v_mov_b32_e32 v15, 0
	v_lshl_add_u64 v[40:41], v[18:19], 0, v[14:15]
	flat_load_ushort v39, v[40:41] offset:512
	s_or_b64 exec, exec, s[0:1]
                                        ; implicit-def: $vgpr40
	s_and_saveexec_b64 s[0:1], s[6:7]
	s_cbranch_execnz .LBB652_58
.LBB652_211:
	s_or_b64 exec, exec, s[0:1]
                                        ; implicit-def: $vgpr41
	s_and_saveexec_b64 s[0:1], s[8:9]
	s_cbranch_execz .LBB652_59
.LBB652_212:
	v_mov_b32_e32 v15, 0
	v_lshl_add_u64 v[42:43], v[18:19], 0, v[14:15]
	flat_load_ushort v41, v[42:43] offset:1536
	s_or_b64 exec, exec, s[0:1]
                                        ; implicit-def: $vgpr42
	s_and_saveexec_b64 s[0:1], s[10:11]
	s_cbranch_execnz .LBB652_60
.LBB652_213:
	s_or_b64 exec, exec, s[0:1]
                                        ; implicit-def: $vgpr43
	s_and_saveexec_b64 s[0:1], s[12:13]
	s_cbranch_execz .LBB652_61
.LBB652_214:
	v_mov_b32_e32 v15, 0
	v_lshl_add_u64 v[44:45], v[18:19], 0, v[14:15]
	flat_load_ushort v43, v[44:45] offset:2560
	s_or_b64 exec, exec, s[0:1]
                                        ; implicit-def: $vgpr44
	s_and_saveexec_b64 s[0:1], s[14:15]
	s_cbranch_execnz .LBB652_62
.LBB652_215:
	s_or_b64 exec, exec, s[0:1]
                                        ; implicit-def: $vgpr15
	s_and_saveexec_b64 s[0:1], s[16:17]
	s_cbranch_execz .LBB652_63
.LBB652_216:
	v_mov_b32_e32 v15, 0
	v_lshl_add_u64 v[46:47], v[18:19], 0, v[14:15]
	flat_load_ushort v15, v[46:47] offset:3584
	s_or_b64 exec, exec, s[0:1]
                                        ; implicit-def: $vgpr45
	s_and_saveexec_b64 s[0:1], s[18:19]
	s_cbranch_execnz .LBB652_64
.LBB652_217:
	s_or_b64 exec, exec, s[0:1]
                                        ; implicit-def: $vgpr1
	s_and_saveexec_b64 s[0:1], s[20:21]
	s_cbranch_execz .LBB652_65
.LBB652_218:
	v_lshlrev_b32_e32 v46, 1, v16
	v_mov_b32_e32 v47, 0
	v_lshl_add_u64 v[46:47], v[18:19], 0, v[46:47]
	flat_load_ushort v1, v[46:47]
	s_or_b64 exec, exec, s[0:1]
                                        ; implicit-def: $vgpr16
	s_and_saveexec_b64 s[0:1], s[22:23]
	s_cbranch_execnz .LBB652_66
.LBB652_219:
	s_or_b64 exec, exec, s[0:1]
                                        ; implicit-def: $vgpr17
	s_and_saveexec_b64 s[0:1], s[24:25]
	s_cbranch_execz .LBB652_67
.LBB652_220:
	v_lshlrev_b32_e32 v46, 1, v22
	v_mov_b32_e32 v47, 0
	v_lshl_add_u64 v[46:47], v[18:19], 0, v[46:47]
	flat_load_ushort v17, v[46:47]
	s_or_b64 exec, exec, s[0:1]
                                        ; implicit-def: $vgpr22
	s_and_saveexec_b64 s[0:1], s[26:27]
	s_cbranch_execnz .LBB652_68
.LBB652_221:
	s_or_b64 exec, exec, s[0:1]
                                        ; implicit-def: $vgpr23
	s_and_saveexec_b64 s[0:1], s[28:29]
	s_cbranch_execz .LBB652_69
.LBB652_222:
	v_lshlrev_b32_e32 v46, 1, v24
	v_mov_b32_e32 v47, 0
	v_lshl_add_u64 v[46:47], v[18:19], 0, v[46:47]
	flat_load_ushort v23, v[46:47]
	s_or_b64 exec, exec, s[0:1]
                                        ; implicit-def: $vgpr24
	s_and_saveexec_b64 s[0:1], s[30:31]
	s_cbranch_execnz .LBB652_70
.LBB652_223:
	s_or_b64 exec, exec, s[0:1]
                                        ; implicit-def: $vgpr25
	s_and_saveexec_b64 s[0:1], s[34:35]
	s_cbranch_execz .LBB652_71
.LBB652_224:
	v_lshlrev_b32_e32 v46, 1, v29
	v_mov_b32_e32 v47, 0
	v_lshl_add_u64 v[46:47], v[18:19], 0, v[46:47]
	flat_load_ushort v25, v[46:47]
	s_or_b64 exec, exec, s[0:1]
                                        ; implicit-def: $vgpr29
	s_and_saveexec_b64 s[0:1], s[36:37]
	s_cbranch_execnz .LBB652_72
.LBB652_225:
	s_or_b64 exec, exec, s[0:1]
                                        ; implicit-def: $vgpr30
	s_and_saveexec_b64 s[0:1], s[38:39]
	s_cbranch_execz .LBB652_73
.LBB652_226:
	v_lshlrev_b32_e32 v30, 1, v31
	v_mov_b32_e32 v31, 0
	v_lshl_add_u64 v[30:31], v[18:19], 0, v[30:31]
	flat_load_ushort v30, v[30:31]
	s_or_b64 exec, exec, s[0:1]
                                        ; implicit-def: $vgpr31
	s_and_saveexec_b64 s[0:1], s[40:41]
	s_cbranch_execnz .LBB652_74
.LBB652_227:
	s_or_b64 exec, exec, s[0:1]
                                        ; implicit-def: $vgpr32
	s_and_saveexec_b64 s[0:1], s[42:43]
	s_cbranch_execz .LBB652_75
.LBB652_228:
	v_lshlrev_b32_e32 v32, 1, v33
	v_mov_b32_e32 v33, 0
	v_lshl_add_u64 v[32:33], v[18:19], 0, v[32:33]
	flat_load_ushort v32, v[32:33]
	s_or_b64 exec, exec, s[0:1]
                                        ; implicit-def: $vgpr33
	s_and_saveexec_b64 s[0:1], s[44:45]
	s_cbranch_execnz .LBB652_76
.LBB652_229:
	s_or_b64 exec, exec, s[0:1]
                                        ; implicit-def: $vgpr34
	s_and_saveexec_b64 s[0:1], s[46:47]
	s_cbranch_execz .LBB652_77
.LBB652_230:
	v_lshlrev_b32_e32 v34, 1, v35
	v_mov_b32_e32 v35, 0
	v_lshl_add_u64 v[34:35], v[18:19], 0, v[34:35]
	flat_load_ushort v34, v[34:35]
	s_or_b64 exec, exec, s[0:1]
                                        ; implicit-def: $vgpr35
	s_and_saveexec_b64 s[0:1], s[48:49]
	s_cbranch_execz .LBB652_79
	s_branch .LBB652_78
.LBB652_231:
                                        ; implicit-def: $vgpr8
                                        ; implicit-def: $vgpr6
                                        ; implicit-def: $vgpr7
                                        ; implicit-def: $vgpr9
                                        ; implicit-def: $vgpr10
                                        ; implicit-def: $vgpr11
                                        ; implicit-def: $vgpr16
                                        ; implicit-def: $vgpr18
                                        ; implicit-def: $vgpr15
                                        ; implicit-def: $vgpr17
                                        ; implicit-def: $vgpr19
                                        ; implicit-def: $vgpr20
                                        ; implicit-def: $vgpr21
                                        ; implicit-def: $vgpr47
                                        ; implicit-def: $vgpr49
                                        ; implicit-def: $vgpr51
                                        ; implicit-def: $vgpr48
                                        ; implicit-def: $vgpr50
                                        ; implicit-def: $vgpr52
                                        ; implicit-def: $vgpr53
                                        ; implicit-def: $vgpr54
                                        ; implicit-def: $vgpr55
                                        ; implicit-def: $vgpr56
                                        ; implicit-def: $vgpr57
	s_cbranch_execz .LBB652_259
; %bb.232:
	s_cmp_lg_u64 s[72:73], 0
	s_cselect_b32 s1, s71, 0
	s_cselect_b32 s0, s70, 0
	s_cmp_eq_u64 s[0:1], 0
	v_mov_b32_e32 v2, s74
	s_cbranch_scc1 .LBB652_234
; %bb.233:
	v_mov_b32_e32 v2, 0
	global_load_ushort v2, v2, s[0:1]
.LBB652_234:
	s_mov_b32 s0, 0x10000
	v_cmp_gt_u32_e32 vcc, s0, v25
	v_cmp_gt_u32_e64 s[4:5], s0, v29
	v_cmp_gt_u32_e64 s[6:7], s0, v30
	v_cndmask_b32_e32 v3, 0, v1, vcc
	v_add_u16_e32 v3, v3, v25
	v_cndmask_b32_e64 v3, 0, v3, s[4:5]
	v_add_u16_e32 v3, v3, v29
	v_cndmask_b32_e64 v3, 0, v3, s[6:7]
	v_add_u16_e32 v3, v3, v30
	v_cmp_gt_u32_e64 s[8:9], s0, v31
	v_cmp_gt_u32_e64 s[10:11], s0, v32
	v_cmp_gt_u32_e64 s[12:13], s0, v33
	v_cndmask_b32_e64 v3, 0, v3, s[8:9]
	v_add_u16_e32 v3, v3, v31
	v_cndmask_b32_e64 v3, 0, v3, s[10:11]
	v_add_u16_e32 v3, v3, v32
	v_cndmask_b32_e64 v3, 0, v3, s[12:13]
	v_add_u16_e32 v3, v3, v33
	v_cmp_gt_u32_e64 s[14:15], s0, v34
	v_cmp_gt_u32_e64 s[16:17], s0, v35
	v_cmp_gt_u32_e64 s[18:19], s0, v36
	v_cndmask_b32_e64 v3, 0, v3, s[14:15]
	;; [unrolled: 9-line block ×5, first 2 shown]
	v_add_u16_e32 v3, v3, v43
	v_cndmask_b32_e64 v3, 0, v3, s[36:37]
	v_add_u16_e32 v3, v3, v22
	v_cndmask_b32_e64 v3, 0, v3, s[38:39]
	v_or3_b32 v6, v14, v44, v22
	v_add_u16_e32 v3, v3, v44
	v_cmp_gt_u32_e64 s[40:41], s0, v23
	v_or3_b32 v6, v6, v43, v42
	v_or3_b32 v6, v6, v41, v40
	v_cndmask_b32_e64 v3, 0, v3, s[40:41]
	v_add_u16_e32 v3, v3, v23
	v_cmp_gt_u32_e64 s[42:43], s0, v45
	v_or3_b32 v6, v6, v39, v38
	v_or3_b32 v6, v6, v37, v36
	v_cndmask_b32_e64 v3, 0, v3, s[42:43]
	;; [unrolled: 5-line block ×4, first 2 shown]
	v_add_u16_e32 v3, v3, v46
	v_cmp_gt_u32_e64 s[0:1], s0, v12
	v_and_b32_e32 v6, 0x10000, v6
	v_and_b32_e32 v5, 0x10000, v1
	v_cndmask_b32_e64 v3, 0, v3, s[0:1]
	v_mov_b32_e32 v7, 0x10000
	v_cmp_ne_u32_e64 s[0:1], 0, v6
	v_add_u16_e32 v4, v3, v12
	v_add_u16_e32 v6, v3, v12
	v_cndmask_b32_e64 v7, v5, v7, s[0:1]
	v_mbcnt_hi_u32_b32 v3, -1, v13
	v_and_b32_e32 v8, 15, v3
	v_or_b32_e32 v6, v7, v6
	v_lshrrev_b32_e32 v5, 16, v7
	v_cmp_ne_u32_e64 s[0:1], 0, v8
	v_mov_b32_dpp v9, v6 row_shr:1 row_mask:0xf bank_mask:0xf
	s_and_saveexec_b64 s[48:49], s[0:1]
	s_cbranch_execz .LBB652_236
; %bb.235:
	v_cmp_eq_u32_e64 s[0:1], 0, v7
	v_and_b32_e32 v5, 0x10000, v7
	v_mov_b32_e32 v7, 1
	v_cndmask_b32_e64 v6, 0, v9, s[0:1]
	v_and_b32_sdwa v7, v9, v7 dst_sel:DWORD dst_unused:UNUSED_PAD src0_sel:WORD_1 src1_sel:DWORD
	v_cmp_ne_u32_e64 s[0:1], 0, v5
	v_add_u16_e32 v10, v6, v4
	v_add_u16_e32 v4, v6, v4
	v_cndmask_b32_e64 v5, v7, 1, s[0:1]
	v_lshlrev_b32_e32 v7, 16, v5
	v_or_b32_e32 v6, v7, v4
	v_mov_b32_e32 v4, v10
.LBB652_236:
	s_or_b64 exec, exec, s[48:49]
	v_lshrrev_b32_e32 v7, 16, v6
	v_mov_b32_dpp v9, v6 row_shr:2 row_mask:0xf bank_mask:0xf
	v_cmp_lt_u32_e64 s[0:1], 1, v8
	s_and_saveexec_b64 s[48:49], s[0:1]
	s_cbranch_execz .LBB652_238
; %bb.237:
	s_mov_b32 s0, 0x10000
	v_cmp_gt_u32_e64 s[0:1], s0, v6
	v_and_b32_e32 v5, 0x10000, v6
	v_mov_b32_e32 v6, 1
	v_cndmask_b32_e64 v7, 0, v9, s[0:1]
	v_and_b32_sdwa v6, v9, v6 dst_sel:DWORD dst_unused:UNUSED_PAD src0_sel:WORD_1 src1_sel:DWORD
	v_cmp_ne_u32_e64 s[0:1], 0, v5
	v_add_u16_e32 v10, v7, v4
	v_add_u16_e32 v4, v7, v4
	v_cndmask_b32_e64 v5, v6, 1, s[0:1]
	v_lshlrev_b32_e32 v6, 16, v5
	v_or_b32_e32 v6, v6, v4
	v_mov_b32_e32 v7, v5
	v_mov_b32_e32 v4, v10
.LBB652_238:
	s_or_b64 exec, exec, s[48:49]
	v_mov_b32_dpp v9, v6 row_shr:4 row_mask:0xf bank_mask:0xf
	v_cmp_lt_u32_e64 s[0:1], 3, v8
	s_and_saveexec_b64 s[48:49], s[0:1]
	s_cbranch_execz .LBB652_240
; %bb.239:
	v_cmp_eq_u16_e64 s[0:1], 0, v7
	v_and_b32_e32 v5, 1, v7
	v_mov_b32_e32 v7, 1
	v_cndmask_b32_e64 v6, 0, v9, s[0:1]
	v_and_b32_sdwa v7, v9, v7 dst_sel:DWORD dst_unused:UNUSED_PAD src0_sel:WORD_1 src1_sel:DWORD
	v_cmp_eq_u32_e64 s[0:1], 1, v5
	v_add_u16_e32 v10, v6, v4
	v_add_u16_e32 v4, v6, v4
	v_cndmask_b32_e64 v5, v7, 1, s[0:1]
	v_lshlrev_b32_e32 v7, 16, v5
	v_or_b32_e32 v6, v7, v4
	v_mov_b32_e32 v7, v5
	v_mov_b32_e32 v4, v10
.LBB652_240:
	s_or_b64 exec, exec, s[48:49]
	v_mov_b32_dpp v9, v6 row_shr:8 row_mask:0xf bank_mask:0xf
	v_cmp_lt_u32_e64 s[0:1], 7, v8
	s_and_saveexec_b64 s[48:49], s[0:1]
	s_cbranch_execz .LBB652_242
; %bb.241:
	v_cmp_eq_u16_e64 s[0:1], 0, v7
	v_and_b32_e32 v5, 1, v7
	v_mov_b32_e32 v7, 1
	v_cndmask_b32_e64 v6, 0, v9, s[0:1]
	v_and_b32_sdwa v7, v9, v7 dst_sel:DWORD dst_unused:UNUSED_PAD src0_sel:WORD_1 src1_sel:DWORD
	v_cmp_eq_u32_e64 s[0:1], 1, v5
	v_add_u16_e32 v8, v6, v4
	v_add_u16_e32 v4, v6, v4
	v_cndmask_b32_e64 v5, v7, 1, s[0:1]
	v_lshlrev_b32_e32 v7, 16, v5
	v_or_b32_e32 v6, v7, v4
	v_mov_b32_e32 v7, v5
	v_mov_b32_e32 v4, v8
.LBB652_242:
	s_or_b64 exec, exec, s[48:49]
	v_and_b32_e32 v9, 16, v3
	v_mov_b32_dpp v8, v6 row_bcast:15 row_mask:0xf bank_mask:0xf
	v_cmp_ne_u32_e64 s[0:1], 0, v9
	s_and_saveexec_b64 s[48:49], s[0:1]
	s_cbranch_execz .LBB652_244
; %bb.243:
	v_cmp_eq_u16_e64 s[0:1], 0, v7
	v_and_b32_e32 v5, 1, v7
	v_mov_b32_e32 v7, 1
	v_cndmask_b32_e64 v6, 0, v8, s[0:1]
	v_and_b32_sdwa v7, v8, v7 dst_sel:DWORD dst_unused:UNUSED_PAD src0_sel:WORD_1 src1_sel:DWORD
	v_cmp_eq_u32_e64 s[0:1], 1, v5
	v_add_u16_e32 v9, v6, v4
	v_add_u16_e32 v4, v6, v4
	v_cndmask_b32_e64 v5, v7, 1, s[0:1]
	v_lshlrev_b32_e32 v7, 16, v5
	v_or_b32_e32 v6, v7, v4
	v_mov_b32_e32 v7, v5
	v_mov_b32_e32 v4, v9
.LBB652_244:
	s_or_b64 exec, exec, s[48:49]
	v_mov_b32_dpp v6, v6 row_bcast:31 row_mask:0xf bank_mask:0xf
	v_cmp_lt_u32_e64 s[0:1], 31, v3
	s_and_saveexec_b64 s[48:49], s[0:1]
; %bb.245:
	v_cmp_eq_u16_e64 s[0:1], 0, v7
	s_nop 1
	v_cndmask_b32_e64 v5, 0, v6, s[0:1]
	v_add_u16_e32 v4, v5, v4
	v_and_b32_e32 v5, 1, v7
	v_mov_b32_e32 v7, 1
	v_and_b32_sdwa v6, v6, v7 dst_sel:DWORD dst_unused:UNUSED_PAD src0_sel:WORD_1 src1_sel:DWORD
	v_cmp_eq_u32_e64 s[0:1], 1, v5
	s_nop 1
	v_cndmask_b32_e64 v5, v6, 1, s[0:1]
; %bb.246:
	s_or_b64 exec, exec, s[48:49]
	v_or_b32_e32 v7, 63, v0
	v_lshrrev_b32_e32 v6, 6, v0
	v_cmp_eq_u32_e64 s[0:1], v7, v0
	s_and_saveexec_b64 s[48:49], s[0:1]
	s_cbranch_execz .LBB652_248
; %bb.247:
	v_lshlrev_b32_e32 v7, 2, v6
	ds_write_b16 v7, v4
	ds_write_b8 v7, v5 offset:2
.LBB652_248:
	s_or_b64 exec, exec, s[48:49]
	v_cmp_gt_u32_e64 s[0:1], 4, v0
	s_waitcnt lgkmcnt(0)
	s_barrier
	s_and_saveexec_b64 s[48:49], s[0:1]
	s_cbranch_execz .LBB652_254
; %bb.249:
	v_lshlrev_b32_e32 v7, 2, v0
	ds_read_b32 v8, v7
	v_and_b32_e32 v11, 3, v3
	v_cmp_ne_u32_e64 s[0:1], 0, v11
	s_waitcnt lgkmcnt(0)
	v_lshrrev_b32_e32 v10, 16, v8
	v_mov_b32_dpp v12, v8 row_shr:1 row_mask:0xf bank_mask:0xf
	v_mov_b32_e32 v9, v8
	s_and_saveexec_b64 s[50:51], s[0:1]
	s_cbranch_execz .LBB652_251
; %bb.250:
	v_mov_b32_e32 v9, 0
	v_cmp_eq_u16_sdwa s[0:1], v10, v9 src0_sel:BYTE_0 src1_sel:DWORD
	v_and_b32_e32 v10, 0x10000, v8
	v_mov_b32_e32 v15, 1
	v_cndmask_b32_e64 v14, 0, v12, s[0:1]
	v_and_b32_sdwa v12, v12, v15 dst_sel:DWORD dst_unused:UNUSED_PAD src0_sel:WORD_1 src1_sel:DWORD
	v_cmp_ne_u32_e64 s[0:1], 0, v10
	v_and_b32_e32 v13, 0xff000000, v8
	v_add_u16_e32 v9, v14, v8
	v_cndmask_b32_e64 v10, v12, 1, s[0:1]
	v_lshlrev_b32_e32 v12, 16, v10
	v_add_u16_e32 v8, v14, v8
	v_or3_b32 v8, v12, v13, v8
.LBB652_251:
	s_or_b64 exec, exec, s[50:51]
	s_nop 0
	v_mov_b32_dpp v12, v8 row_shr:2 row_mask:0xf bank_mask:0xf
	v_cmp_lt_u32_e64 s[0:1], 1, v11
	s_and_saveexec_b64 s[50:51], s[0:1]
; %bb.252:
	v_and_b32_e32 v10, 0xff0000, v8
	v_cmp_eq_u32_e64 s[0:1], 0, v10
	v_and_b32_e32 v8, 0x10000, v8
	s_nop 0
	v_cndmask_b32_e64 v10, 0, v12, s[0:1]
	v_add_u16_e32 v9, v10, v9
	v_mov_b32_e32 v10, 1
	v_and_b32_sdwa v10, v12, v10 dst_sel:DWORD dst_unused:UNUSED_PAD src0_sel:WORD_1 src1_sel:DWORD
	v_cmp_eq_u32_e64 s[0:1], 0, v8
	s_nop 1
	v_cndmask_b32_e64 v10, 1, v10, s[0:1]
; %bb.253:
	s_or_b64 exec, exec, s[50:51]
	ds_write_b16 v7, v9
	ds_write_b8 v7, v10 offset:2
.LBB652_254:
	s_or_b64 exec, exec, s[48:49]
	v_cmp_lt_u32_e64 s[0:1], 63, v0
	v_mov_b32_e32 v8, 0
	s_waitcnt vmcnt(0)
	v_mov_b32_e32 v7, v2
	s_waitcnt lgkmcnt(0)
	s_barrier
	s_and_saveexec_b64 s[48:49], s[0:1]
	s_cbranch_execz .LBB652_256
; %bb.255:
	v_lshl_add_u32 v6, v6, 2, -4
	ds_read_u8 v8, v6 offset:2
	ds_read_u16 v6, v6
	s_waitcnt lgkmcnt(1)
	v_cmp_eq_u16_e64 s[0:1], 0, v8
	s_nop 1
	v_cndmask_b32_e64 v7, 0, v2, s[0:1]
	s_waitcnt lgkmcnt(0)
	v_add_u16_e32 v7, v7, v6
.LBB652_256:
	s_or_b64 exec, exec, s[48:49]
	v_cmp_eq_u16_e64 s[0:1], 0, v5
	v_and_b32_e32 v5, 1, v5
	v_lshlrev_b32_e32 v8, 16, v8
	v_cndmask_b32_e64 v6, 0, v7, s[0:1]
	v_mov_b32_e32 v9, 0x10000
	v_cmp_eq_u32_e64 s[0:1], 1, v5
	v_add_u16_e32 v4, v6, v4
	v_and_b32_e32 v6, 64, v3
	v_cndmask_b32_e64 v5, v8, v9, s[0:1]
	v_or_b32_e32 v4, v5, v4
	v_add_u32_e32 v5, -1, v3
	v_cmp_lt_i32_e64 s[0:1], v5, v6
	s_nop 1
	v_cndmask_b32_e64 v5, v5, v3, s[0:1]
	v_lshlrev_b32_e32 v5, 2, v5
	ds_bpermute_b32 v4, v5, v4
	v_cmp_eq_u32_e64 s[0:1], 0, v3
	s_waitcnt lgkmcnt(0)
	s_nop 0
	v_cndmask_b32_e64 v8, v4, v7, s[0:1]
	v_and_b32_e32 v4, 0xff0000, v1
	v_cndmask_b32_e64 v3, v8, v2, s[52:53]
	v_cmp_eq_u32_e64 s[0:1], 0, v4
	s_nop 1
	v_cndmask_b32_e64 v3, 0, v3, s[0:1]
	v_add_u16_e32 v6, v3, v1
	v_cndmask_b32_e32 v1, 0, v6, vcc
	v_add_u16_e32 v7, v1, v25
	v_cndmask_b32_e64 v1, 0, v7, s[4:5]
	v_add_u16_e32 v9, v1, v29
	v_cndmask_b32_e64 v1, 0, v9, s[6:7]
	;; [unrolled: 2-line block ×21, first 2 shown]
	s_and_saveexec_b64 s[0:1], s[52:53]
	s_cbranch_execz .LBB652_258
; %bb.257:
	v_mov_b32_e32 v3, 0
	ds_read_u8 v4, v3 offset:14
	ds_read_u16 v8, v3 offset:12
	v_mov_b32_e32 v5, 2
	s_waitcnt lgkmcnt(1)
	v_cmp_eq_u32_e32 vcc, 0, v4
	v_lshlrev_b32_e32 v12, 16, v4
	s_nop 0
	v_cndmask_b32_e32 v4, 0, v2, vcc
	s_waitcnt lgkmcnt(0)
	v_add_u32_e32 v4, v4, v8
	v_or_b32_sdwa v4, v12, v4 dst_sel:DWORD dst_unused:UNUSED_PAD src0_sel:DWORD src1_sel:WORD_0
	v_mov_b32_e32 v8, v2
	global_store_dwordx2 v3, v[4:5], s[64:65] offset:512 sc1
.LBB652_258:
	s_or_b64 exec, exec, s[0:1]
	v_add_u16_e32 v57, v1, v46
.LBB652_259:
	s_add_u32 s0, s62, s54
	s_addc_u32 s1, s63, s55
	v_mul_u32_u24_e32 v1, 24, v0
	v_lshl_add_u64 v[2:3], s[0:1], 0, v[26:27]
	s_and_b64 vcc, exec, s[2:3]
	v_lshlrev_b32_e32 v12, 1, v1
	s_cbranch_vccz .LBB652_307
; %bb.260:
	s_mov_b32 s0, 0x5040100
	v_perm_b32 v25, v18, v16, s0
	v_perm_b32 v24, v11, v10, s0
	;; [unrolled: 1-line block ×4, first 2 shown]
	s_barrier
	ds_write_b128 v12, v[22:25]
	v_perm_b32 v25, v51, v49, s0
	v_perm_b32 v24, v47, v21, s0
	;; [unrolled: 1-line block ×4, first 2 shown]
	ds_write_b128 v12, v[22:25] offset:16
	v_perm_b32 v25, v57, v56, s0
	v_perm_b32 v24, v55, v54, s0
	;; [unrolled: 1-line block ×4, first 2 shown]
	s_movk_i32 s0, 0xffd2
	v_mad_i32_i24 v4, v0, s0, v12
	ds_write_b128 v12, v[22:25] offset:32
	s_waitcnt lgkmcnt(0)
	s_barrier
	ds_read_u16 v43, v4 offset:512
	ds_read_u16 v42, v4 offset:1024
	;; [unrolled: 1-line block ×23, first 2 shown]
	s_add_i32 s33, s33, s66
	v_mov_b32_e32 v29, 0
	v_lshl_add_u64 v[4:5], v[2:3], 0, v[28:29]
	v_cmp_gt_u32_e32 vcc, s33, v0
	s_and_saveexec_b64 s[0:1], vcc
	s_cbranch_execz .LBB652_262
; %bb.261:
	v_mul_i32_i24_e32 v44, 0xffffffd2, v0
	v_add_u32_e32 v44, v12, v44
	ds_read_u16 v44, v44
	s_waitcnt lgkmcnt(0)
	flat_store_short v[4:5], v44
.LBB652_262:
	s_or_b64 exec, exec, s[0:1]
	v_or_b32_e32 v44, 0x100, v0
	v_cmp_gt_u32_e32 vcc, s33, v44
	s_and_saveexec_b64 s[0:1], vcc
	s_cbranch_execz .LBB652_264
; %bb.263:
	s_waitcnt lgkmcnt(0)
	flat_store_short v[4:5], v43 offset:512
.LBB652_264:
	s_or_b64 exec, exec, s[0:1]
	s_waitcnt lgkmcnt(0)
	v_or_b32_e32 v43, 0x200, v0
	v_cmp_gt_u32_e32 vcc, s33, v43
	s_and_saveexec_b64 s[0:1], vcc
	s_cbranch_execz .LBB652_266
; %bb.265:
	flat_store_short v[4:5], v42 offset:1024
.LBB652_266:
	s_or_b64 exec, exec, s[0:1]
	v_or_b32_e32 v42, 0x300, v0
	v_cmp_gt_u32_e32 vcc, s33, v42
	s_and_saveexec_b64 s[0:1], vcc
	s_cbranch_execz .LBB652_268
; %bb.267:
	flat_store_short v[4:5], v41 offset:1536
.LBB652_268:
	s_or_b64 exec, exec, s[0:1]
	;; [unrolled: 8-line block ×6, first 2 shown]
	v_or_b32_e32 v37, 0x800, v0
	v_cmp_gt_u32_e32 vcc, s33, v37
	s_and_saveexec_b64 s[0:1], vcc
	s_cbranch_execz .LBB652_278
; %bb.277:
	v_add_co_u32_e32 v38, vcc, 0x1000, v4
	s_nop 1
	v_addc_co_u32_e32 v39, vcc, 0, v5, vcc
	flat_store_short v[38:39], v36
.LBB652_278:
	s_or_b64 exec, exec, s[0:1]
	v_or_b32_e32 v36, 0x900, v0
	v_cmp_gt_u32_e32 vcc, s33, v36
	s_and_saveexec_b64 s[0:1], vcc
	s_cbranch_execz .LBB652_280
; %bb.279:
	v_add_co_u32_e32 v36, vcc, 0x1000, v4
	s_nop 1
	v_addc_co_u32_e32 v37, vcc, 0, v5, vcc
	flat_store_short v[36:37], v35 offset:512
.LBB652_280:
	s_or_b64 exec, exec, s[0:1]
	v_or_b32_e32 v35, 0xa00, v0
	v_cmp_gt_u32_e32 vcc, s33, v35
	s_and_saveexec_b64 s[0:1], vcc
	s_cbranch_execz .LBB652_282
; %bb.281:
	v_add_co_u32_e32 v36, vcc, 0x1000, v4
	s_nop 1
	v_addc_co_u32_e32 v37, vcc, 0, v5, vcc
	flat_store_short v[36:37], v34 offset:1024
.LBB652_282:
	;; [unrolled: 11-line block ×7, first 2 shown]
	s_or_b64 exec, exec, s[0:1]
	v_or_b32_e32 v27, 0x1000, v0
	v_cmp_gt_u32_e32 vcc, s33, v27
	s_and_saveexec_b64 s[0:1], vcc
	s_cbranch_execz .LBB652_294
; %bb.293:
	v_add_co_u32_e32 v30, vcc, 0x2000, v4
	s_nop 1
	v_addc_co_u32_e32 v31, vcc, 0, v5, vcc
	flat_store_short v[30:31], v26
.LBB652_294:
	s_or_b64 exec, exec, s[0:1]
	v_or_b32_e32 v26, 0x1100, v0
	v_cmp_gt_u32_e32 vcc, s33, v26
	s_and_saveexec_b64 s[0:1], vcc
	s_cbranch_execz .LBB652_296
; %bb.295:
	v_add_co_u32_e32 v26, vcc, 0x2000, v4
	s_nop 1
	v_addc_co_u32_e32 v27, vcc, 0, v5, vcc
	flat_store_short v[26:27], v25 offset:512
.LBB652_296:
	s_or_b64 exec, exec, s[0:1]
	v_or_b32_e32 v25, 0x1200, v0
	v_cmp_gt_u32_e32 vcc, s33, v25
	s_and_saveexec_b64 s[0:1], vcc
	s_cbranch_execz .LBB652_298
; %bb.297:
	v_add_co_u32_e32 v26, vcc, 0x2000, v4
	s_nop 1
	v_addc_co_u32_e32 v27, vcc, 0, v5, vcc
	flat_store_short v[26:27], v24 offset:1024
.LBB652_298:
	;; [unrolled: 11-line block ×6, first 2 shown]
	s_or_b64 exec, exec, s[0:1]
	v_or_b32_e32 v4, 0x1700, v0
	v_mov_b32_e32 v1, v29
	v_cmp_gt_u32_e64 s[0:1], s33, v4
	s_branch .LBB652_309
.LBB652_307:
	s_mov_b64 s[0:1], 0
                                        ; implicit-def: $vgpr13
	s_cbranch_execz .LBB652_309
; %bb.308:
	s_mov_b32 s2, 0x5040100
	v_perm_b32 v23, v9, v7, s2
	v_perm_b32 v22, v6, v8, s2
	;; [unrolled: 1-line block ×6, first 2 shown]
	s_waitcnt lgkmcnt(0)
	s_barrier
	v_perm_b32 v25, v18, v16, s2
	v_perm_b32 v24, v11, v10, s2
	ds_write_b128 v12, v[4:7] offset:16
	v_perm_b32 v7, v57, v56, s2
	v_perm_b32 v6, v55, v54, s2
	;; [unrolled: 1-line block ×4, first 2 shown]
	v_mov_b32_e32 v1, 0
	s_movk_i32 s2, 0xffd2
	ds_write_b128 v12, v[4:7] offset:32
	v_mad_i32_i24 v4, v0, s2, v12
	v_mov_b32_e32 v29, v1
	ds_write_b128 v12, v[22:25]
	s_waitcnt lgkmcnt(0)
	s_barrier
	ds_read_u16 v6, v4
	ds_read_u16 v7, v4 offset:512
	ds_read_u16 v8, v4 offset:1024
	;; [unrolled: 1-line block ×23, first 2 shown]
	v_lshl_add_u64 v[4:5], v[2:3], 0, v[28:29]
	s_movk_i32 s2, 0x1000
	s_waitcnt lgkmcnt(0)
	flat_store_short v[4:5], v6
	flat_store_short v[4:5], v7 offset:512
	flat_store_short v[4:5], v8 offset:1024
	;; [unrolled: 1-line block ×7, first 2 shown]
	v_add_co_u32_e32 v6, vcc, s2, v4
	s_or_b64 s[0:1], s[0:1], exec
	s_nop 0
	v_addc_co_u32_e32 v7, vcc, 0, v5, vcc
	v_add_co_u32_e32 v4, vcc, 0x2000, v4
	flat_store_short v[6:7], v15
	flat_store_short v[6:7], v16 offset:512
	flat_store_short v[6:7], v17 offset:1024
	;; [unrolled: 1-line block ×7, first 2 shown]
	v_addc_co_u32_e32 v5, vcc, 0, v5, vcc
	flat_store_short v[4:5], v23
	flat_store_short v[4:5], v24 offset:512
	flat_store_short v[4:5], v25 offset:1024
	;; [unrolled: 1-line block ×6, first 2 shown]
.LBB652_309:
	s_and_saveexec_b64 s[2:3], s[0:1]
	s_cbranch_execz .LBB652_311
; %bb.310:
	v_lshl_add_u64 v[0:1], v[0:1], 1, v[2:3]
	v_add_co_u32_e32 v0, vcc, 0x2000, v0
	s_nop 1
	v_addc_co_u32_e32 v1, vcc, 0, v1, vcc
	flat_store_short v[0:1], v13 offset:3584
	s_endpgm
.LBB652_311:
	s_endpgm
	.section	.rodata,"a",@progbits
	.p2align	6, 0x0
	.amdhsa_kernel _ZN7rocprim17ROCPRIM_400000_NS6detail17trampoline_kernelINS0_14default_configENS1_27scan_by_key_config_selectorIssEEZZNS1_16scan_by_key_implILNS1_25lookback_scan_determinismE0ELb1ES3_N6thrust23THRUST_200600_302600_NS6detail15normal_iteratorINS9_10device_ptrIsEEEESE_SE_sNS9_4plusIvEENS9_8equal_toIsEEsEE10hipError_tPvRmT2_T3_T4_T5_mT6_T7_P12ihipStream_tbENKUlT_T0_E_clISt17integral_constantIbLb1EESZ_EEDaSU_SV_EUlSU_E_NS1_11comp_targetILNS1_3genE5ELNS1_11target_archE942ELNS1_3gpuE9ELNS1_3repE0EEENS1_30default_config_static_selectorELNS0_4arch9wavefront6targetE1EEEvT1_
		.amdhsa_group_segment_fixed_size 13312
		.amdhsa_private_segment_fixed_size 0
		.amdhsa_kernarg_size 112
		.amdhsa_user_sgpr_count 2
		.amdhsa_user_sgpr_dispatch_ptr 0
		.amdhsa_user_sgpr_queue_ptr 0
		.amdhsa_user_sgpr_kernarg_segment_ptr 1
		.amdhsa_user_sgpr_dispatch_id 0
		.amdhsa_user_sgpr_kernarg_preload_length 0
		.amdhsa_user_sgpr_kernarg_preload_offset 0
		.amdhsa_user_sgpr_private_segment_size 0
		.amdhsa_uses_dynamic_stack 0
		.amdhsa_enable_private_segment 0
		.amdhsa_system_sgpr_workgroup_id_x 1
		.amdhsa_system_sgpr_workgroup_id_y 0
		.amdhsa_system_sgpr_workgroup_id_z 0
		.amdhsa_system_sgpr_workgroup_info 0
		.amdhsa_system_vgpr_workitem_id 0
		.amdhsa_next_free_vgpr 62
		.amdhsa_next_free_sgpr 75
		.amdhsa_accum_offset 64
		.amdhsa_reserve_vcc 1
		.amdhsa_float_round_mode_32 0
		.amdhsa_float_round_mode_16_64 0
		.amdhsa_float_denorm_mode_32 3
		.amdhsa_float_denorm_mode_16_64 3
		.amdhsa_dx10_clamp 1
		.amdhsa_ieee_mode 1
		.amdhsa_fp16_overflow 0
		.amdhsa_tg_split 0
		.amdhsa_exception_fp_ieee_invalid_op 0
		.amdhsa_exception_fp_denorm_src 0
		.amdhsa_exception_fp_ieee_div_zero 0
		.amdhsa_exception_fp_ieee_overflow 0
		.amdhsa_exception_fp_ieee_underflow 0
		.amdhsa_exception_fp_ieee_inexact 0
		.amdhsa_exception_int_div_zero 0
	.end_amdhsa_kernel
	.section	.text._ZN7rocprim17ROCPRIM_400000_NS6detail17trampoline_kernelINS0_14default_configENS1_27scan_by_key_config_selectorIssEEZZNS1_16scan_by_key_implILNS1_25lookback_scan_determinismE0ELb1ES3_N6thrust23THRUST_200600_302600_NS6detail15normal_iteratorINS9_10device_ptrIsEEEESE_SE_sNS9_4plusIvEENS9_8equal_toIsEEsEE10hipError_tPvRmT2_T3_T4_T5_mT6_T7_P12ihipStream_tbENKUlT_T0_E_clISt17integral_constantIbLb1EESZ_EEDaSU_SV_EUlSU_E_NS1_11comp_targetILNS1_3genE5ELNS1_11target_archE942ELNS1_3gpuE9ELNS1_3repE0EEENS1_30default_config_static_selectorELNS0_4arch9wavefront6targetE1EEEvT1_,"axG",@progbits,_ZN7rocprim17ROCPRIM_400000_NS6detail17trampoline_kernelINS0_14default_configENS1_27scan_by_key_config_selectorIssEEZZNS1_16scan_by_key_implILNS1_25lookback_scan_determinismE0ELb1ES3_N6thrust23THRUST_200600_302600_NS6detail15normal_iteratorINS9_10device_ptrIsEEEESE_SE_sNS9_4plusIvEENS9_8equal_toIsEEsEE10hipError_tPvRmT2_T3_T4_T5_mT6_T7_P12ihipStream_tbENKUlT_T0_E_clISt17integral_constantIbLb1EESZ_EEDaSU_SV_EUlSU_E_NS1_11comp_targetILNS1_3genE5ELNS1_11target_archE942ELNS1_3gpuE9ELNS1_3repE0EEENS1_30default_config_static_selectorELNS0_4arch9wavefront6targetE1EEEvT1_,comdat
.Lfunc_end652:
	.size	_ZN7rocprim17ROCPRIM_400000_NS6detail17trampoline_kernelINS0_14default_configENS1_27scan_by_key_config_selectorIssEEZZNS1_16scan_by_key_implILNS1_25lookback_scan_determinismE0ELb1ES3_N6thrust23THRUST_200600_302600_NS6detail15normal_iteratorINS9_10device_ptrIsEEEESE_SE_sNS9_4plusIvEENS9_8equal_toIsEEsEE10hipError_tPvRmT2_T3_T4_T5_mT6_T7_P12ihipStream_tbENKUlT_T0_E_clISt17integral_constantIbLb1EESZ_EEDaSU_SV_EUlSU_E_NS1_11comp_targetILNS1_3genE5ELNS1_11target_archE942ELNS1_3gpuE9ELNS1_3repE0EEENS1_30default_config_static_selectorELNS0_4arch9wavefront6targetE1EEEvT1_, .Lfunc_end652-_ZN7rocprim17ROCPRIM_400000_NS6detail17trampoline_kernelINS0_14default_configENS1_27scan_by_key_config_selectorIssEEZZNS1_16scan_by_key_implILNS1_25lookback_scan_determinismE0ELb1ES3_N6thrust23THRUST_200600_302600_NS6detail15normal_iteratorINS9_10device_ptrIsEEEESE_SE_sNS9_4plusIvEENS9_8equal_toIsEEsEE10hipError_tPvRmT2_T3_T4_T5_mT6_T7_P12ihipStream_tbENKUlT_T0_E_clISt17integral_constantIbLb1EESZ_EEDaSU_SV_EUlSU_E_NS1_11comp_targetILNS1_3genE5ELNS1_11target_archE942ELNS1_3gpuE9ELNS1_3repE0EEENS1_30default_config_static_selectorELNS0_4arch9wavefront6targetE1EEEvT1_
                                        ; -- End function
	.section	.AMDGPU.csdata,"",@progbits
; Kernel info:
; codeLenInByte = 16668
; NumSgprs: 81
; NumVgprs: 62
; NumAgprs: 0
; TotalNumVgprs: 62
; ScratchSize: 0
; MemoryBound: 0
; FloatMode: 240
; IeeeMode: 1
; LDSByteSize: 13312 bytes/workgroup (compile time only)
; SGPRBlocks: 10
; VGPRBlocks: 7
; NumSGPRsForWavesPerEU: 81
; NumVGPRsForWavesPerEU: 62
; AccumOffset: 64
; Occupancy: 4
; WaveLimiterHint : 1
; COMPUTE_PGM_RSRC2:SCRATCH_EN: 0
; COMPUTE_PGM_RSRC2:USER_SGPR: 2
; COMPUTE_PGM_RSRC2:TRAP_HANDLER: 0
; COMPUTE_PGM_RSRC2:TGID_X_EN: 1
; COMPUTE_PGM_RSRC2:TGID_Y_EN: 0
; COMPUTE_PGM_RSRC2:TGID_Z_EN: 0
; COMPUTE_PGM_RSRC2:TIDIG_COMP_CNT: 0
; COMPUTE_PGM_RSRC3_GFX90A:ACCUM_OFFSET: 15
; COMPUTE_PGM_RSRC3_GFX90A:TG_SPLIT: 0
	.section	.text._ZN7rocprim17ROCPRIM_400000_NS6detail17trampoline_kernelINS0_14default_configENS1_27scan_by_key_config_selectorIssEEZZNS1_16scan_by_key_implILNS1_25lookback_scan_determinismE0ELb1ES3_N6thrust23THRUST_200600_302600_NS6detail15normal_iteratorINS9_10device_ptrIsEEEESE_SE_sNS9_4plusIvEENS9_8equal_toIsEEsEE10hipError_tPvRmT2_T3_T4_T5_mT6_T7_P12ihipStream_tbENKUlT_T0_E_clISt17integral_constantIbLb1EESZ_EEDaSU_SV_EUlSU_E_NS1_11comp_targetILNS1_3genE4ELNS1_11target_archE910ELNS1_3gpuE8ELNS1_3repE0EEENS1_30default_config_static_selectorELNS0_4arch9wavefront6targetE1EEEvT1_,"axG",@progbits,_ZN7rocprim17ROCPRIM_400000_NS6detail17trampoline_kernelINS0_14default_configENS1_27scan_by_key_config_selectorIssEEZZNS1_16scan_by_key_implILNS1_25lookback_scan_determinismE0ELb1ES3_N6thrust23THRUST_200600_302600_NS6detail15normal_iteratorINS9_10device_ptrIsEEEESE_SE_sNS9_4plusIvEENS9_8equal_toIsEEsEE10hipError_tPvRmT2_T3_T4_T5_mT6_T7_P12ihipStream_tbENKUlT_T0_E_clISt17integral_constantIbLb1EESZ_EEDaSU_SV_EUlSU_E_NS1_11comp_targetILNS1_3genE4ELNS1_11target_archE910ELNS1_3gpuE8ELNS1_3repE0EEENS1_30default_config_static_selectorELNS0_4arch9wavefront6targetE1EEEvT1_,comdat
	.protected	_ZN7rocprim17ROCPRIM_400000_NS6detail17trampoline_kernelINS0_14default_configENS1_27scan_by_key_config_selectorIssEEZZNS1_16scan_by_key_implILNS1_25lookback_scan_determinismE0ELb1ES3_N6thrust23THRUST_200600_302600_NS6detail15normal_iteratorINS9_10device_ptrIsEEEESE_SE_sNS9_4plusIvEENS9_8equal_toIsEEsEE10hipError_tPvRmT2_T3_T4_T5_mT6_T7_P12ihipStream_tbENKUlT_T0_E_clISt17integral_constantIbLb1EESZ_EEDaSU_SV_EUlSU_E_NS1_11comp_targetILNS1_3genE4ELNS1_11target_archE910ELNS1_3gpuE8ELNS1_3repE0EEENS1_30default_config_static_selectorELNS0_4arch9wavefront6targetE1EEEvT1_ ; -- Begin function _ZN7rocprim17ROCPRIM_400000_NS6detail17trampoline_kernelINS0_14default_configENS1_27scan_by_key_config_selectorIssEEZZNS1_16scan_by_key_implILNS1_25lookback_scan_determinismE0ELb1ES3_N6thrust23THRUST_200600_302600_NS6detail15normal_iteratorINS9_10device_ptrIsEEEESE_SE_sNS9_4plusIvEENS9_8equal_toIsEEsEE10hipError_tPvRmT2_T3_T4_T5_mT6_T7_P12ihipStream_tbENKUlT_T0_E_clISt17integral_constantIbLb1EESZ_EEDaSU_SV_EUlSU_E_NS1_11comp_targetILNS1_3genE4ELNS1_11target_archE910ELNS1_3gpuE8ELNS1_3repE0EEENS1_30default_config_static_selectorELNS0_4arch9wavefront6targetE1EEEvT1_
	.globl	_ZN7rocprim17ROCPRIM_400000_NS6detail17trampoline_kernelINS0_14default_configENS1_27scan_by_key_config_selectorIssEEZZNS1_16scan_by_key_implILNS1_25lookback_scan_determinismE0ELb1ES3_N6thrust23THRUST_200600_302600_NS6detail15normal_iteratorINS9_10device_ptrIsEEEESE_SE_sNS9_4plusIvEENS9_8equal_toIsEEsEE10hipError_tPvRmT2_T3_T4_T5_mT6_T7_P12ihipStream_tbENKUlT_T0_E_clISt17integral_constantIbLb1EESZ_EEDaSU_SV_EUlSU_E_NS1_11comp_targetILNS1_3genE4ELNS1_11target_archE910ELNS1_3gpuE8ELNS1_3repE0EEENS1_30default_config_static_selectorELNS0_4arch9wavefront6targetE1EEEvT1_
	.p2align	8
	.type	_ZN7rocprim17ROCPRIM_400000_NS6detail17trampoline_kernelINS0_14default_configENS1_27scan_by_key_config_selectorIssEEZZNS1_16scan_by_key_implILNS1_25lookback_scan_determinismE0ELb1ES3_N6thrust23THRUST_200600_302600_NS6detail15normal_iteratorINS9_10device_ptrIsEEEESE_SE_sNS9_4plusIvEENS9_8equal_toIsEEsEE10hipError_tPvRmT2_T3_T4_T5_mT6_T7_P12ihipStream_tbENKUlT_T0_E_clISt17integral_constantIbLb1EESZ_EEDaSU_SV_EUlSU_E_NS1_11comp_targetILNS1_3genE4ELNS1_11target_archE910ELNS1_3gpuE8ELNS1_3repE0EEENS1_30default_config_static_selectorELNS0_4arch9wavefront6targetE1EEEvT1_,@function
_ZN7rocprim17ROCPRIM_400000_NS6detail17trampoline_kernelINS0_14default_configENS1_27scan_by_key_config_selectorIssEEZZNS1_16scan_by_key_implILNS1_25lookback_scan_determinismE0ELb1ES3_N6thrust23THRUST_200600_302600_NS6detail15normal_iteratorINS9_10device_ptrIsEEEESE_SE_sNS9_4plusIvEENS9_8equal_toIsEEsEE10hipError_tPvRmT2_T3_T4_T5_mT6_T7_P12ihipStream_tbENKUlT_T0_E_clISt17integral_constantIbLb1EESZ_EEDaSU_SV_EUlSU_E_NS1_11comp_targetILNS1_3genE4ELNS1_11target_archE910ELNS1_3gpuE8ELNS1_3repE0EEENS1_30default_config_static_selectorELNS0_4arch9wavefront6targetE1EEEvT1_: ; @_ZN7rocprim17ROCPRIM_400000_NS6detail17trampoline_kernelINS0_14default_configENS1_27scan_by_key_config_selectorIssEEZZNS1_16scan_by_key_implILNS1_25lookback_scan_determinismE0ELb1ES3_N6thrust23THRUST_200600_302600_NS6detail15normal_iteratorINS9_10device_ptrIsEEEESE_SE_sNS9_4plusIvEENS9_8equal_toIsEEsEE10hipError_tPvRmT2_T3_T4_T5_mT6_T7_P12ihipStream_tbENKUlT_T0_E_clISt17integral_constantIbLb1EESZ_EEDaSU_SV_EUlSU_E_NS1_11comp_targetILNS1_3genE4ELNS1_11target_archE910ELNS1_3gpuE8ELNS1_3repE0EEENS1_30default_config_static_selectorELNS0_4arch9wavefront6targetE1EEEvT1_
; %bb.0:
	.section	.rodata,"a",@progbits
	.p2align	6, 0x0
	.amdhsa_kernel _ZN7rocprim17ROCPRIM_400000_NS6detail17trampoline_kernelINS0_14default_configENS1_27scan_by_key_config_selectorIssEEZZNS1_16scan_by_key_implILNS1_25lookback_scan_determinismE0ELb1ES3_N6thrust23THRUST_200600_302600_NS6detail15normal_iteratorINS9_10device_ptrIsEEEESE_SE_sNS9_4plusIvEENS9_8equal_toIsEEsEE10hipError_tPvRmT2_T3_T4_T5_mT6_T7_P12ihipStream_tbENKUlT_T0_E_clISt17integral_constantIbLb1EESZ_EEDaSU_SV_EUlSU_E_NS1_11comp_targetILNS1_3genE4ELNS1_11target_archE910ELNS1_3gpuE8ELNS1_3repE0EEENS1_30default_config_static_selectorELNS0_4arch9wavefront6targetE1EEEvT1_
		.amdhsa_group_segment_fixed_size 0
		.amdhsa_private_segment_fixed_size 0
		.amdhsa_kernarg_size 112
		.amdhsa_user_sgpr_count 2
		.amdhsa_user_sgpr_dispatch_ptr 0
		.amdhsa_user_sgpr_queue_ptr 0
		.amdhsa_user_sgpr_kernarg_segment_ptr 1
		.amdhsa_user_sgpr_dispatch_id 0
		.amdhsa_user_sgpr_kernarg_preload_length 0
		.amdhsa_user_sgpr_kernarg_preload_offset 0
		.amdhsa_user_sgpr_private_segment_size 0
		.amdhsa_uses_dynamic_stack 0
		.amdhsa_enable_private_segment 0
		.amdhsa_system_sgpr_workgroup_id_x 1
		.amdhsa_system_sgpr_workgroup_id_y 0
		.amdhsa_system_sgpr_workgroup_id_z 0
		.amdhsa_system_sgpr_workgroup_info 0
		.amdhsa_system_vgpr_workitem_id 0
		.amdhsa_next_free_vgpr 1
		.amdhsa_next_free_sgpr 0
		.amdhsa_accum_offset 4
		.amdhsa_reserve_vcc 0
		.amdhsa_float_round_mode_32 0
		.amdhsa_float_round_mode_16_64 0
		.amdhsa_float_denorm_mode_32 3
		.amdhsa_float_denorm_mode_16_64 3
		.amdhsa_dx10_clamp 1
		.amdhsa_ieee_mode 1
		.amdhsa_fp16_overflow 0
		.amdhsa_tg_split 0
		.amdhsa_exception_fp_ieee_invalid_op 0
		.amdhsa_exception_fp_denorm_src 0
		.amdhsa_exception_fp_ieee_div_zero 0
		.amdhsa_exception_fp_ieee_overflow 0
		.amdhsa_exception_fp_ieee_underflow 0
		.amdhsa_exception_fp_ieee_inexact 0
		.amdhsa_exception_int_div_zero 0
	.end_amdhsa_kernel
	.section	.text._ZN7rocprim17ROCPRIM_400000_NS6detail17trampoline_kernelINS0_14default_configENS1_27scan_by_key_config_selectorIssEEZZNS1_16scan_by_key_implILNS1_25lookback_scan_determinismE0ELb1ES3_N6thrust23THRUST_200600_302600_NS6detail15normal_iteratorINS9_10device_ptrIsEEEESE_SE_sNS9_4plusIvEENS9_8equal_toIsEEsEE10hipError_tPvRmT2_T3_T4_T5_mT6_T7_P12ihipStream_tbENKUlT_T0_E_clISt17integral_constantIbLb1EESZ_EEDaSU_SV_EUlSU_E_NS1_11comp_targetILNS1_3genE4ELNS1_11target_archE910ELNS1_3gpuE8ELNS1_3repE0EEENS1_30default_config_static_selectorELNS0_4arch9wavefront6targetE1EEEvT1_,"axG",@progbits,_ZN7rocprim17ROCPRIM_400000_NS6detail17trampoline_kernelINS0_14default_configENS1_27scan_by_key_config_selectorIssEEZZNS1_16scan_by_key_implILNS1_25lookback_scan_determinismE0ELb1ES3_N6thrust23THRUST_200600_302600_NS6detail15normal_iteratorINS9_10device_ptrIsEEEESE_SE_sNS9_4plusIvEENS9_8equal_toIsEEsEE10hipError_tPvRmT2_T3_T4_T5_mT6_T7_P12ihipStream_tbENKUlT_T0_E_clISt17integral_constantIbLb1EESZ_EEDaSU_SV_EUlSU_E_NS1_11comp_targetILNS1_3genE4ELNS1_11target_archE910ELNS1_3gpuE8ELNS1_3repE0EEENS1_30default_config_static_selectorELNS0_4arch9wavefront6targetE1EEEvT1_,comdat
.Lfunc_end653:
	.size	_ZN7rocprim17ROCPRIM_400000_NS6detail17trampoline_kernelINS0_14default_configENS1_27scan_by_key_config_selectorIssEEZZNS1_16scan_by_key_implILNS1_25lookback_scan_determinismE0ELb1ES3_N6thrust23THRUST_200600_302600_NS6detail15normal_iteratorINS9_10device_ptrIsEEEESE_SE_sNS9_4plusIvEENS9_8equal_toIsEEsEE10hipError_tPvRmT2_T3_T4_T5_mT6_T7_P12ihipStream_tbENKUlT_T0_E_clISt17integral_constantIbLb1EESZ_EEDaSU_SV_EUlSU_E_NS1_11comp_targetILNS1_3genE4ELNS1_11target_archE910ELNS1_3gpuE8ELNS1_3repE0EEENS1_30default_config_static_selectorELNS0_4arch9wavefront6targetE1EEEvT1_, .Lfunc_end653-_ZN7rocprim17ROCPRIM_400000_NS6detail17trampoline_kernelINS0_14default_configENS1_27scan_by_key_config_selectorIssEEZZNS1_16scan_by_key_implILNS1_25lookback_scan_determinismE0ELb1ES3_N6thrust23THRUST_200600_302600_NS6detail15normal_iteratorINS9_10device_ptrIsEEEESE_SE_sNS9_4plusIvEENS9_8equal_toIsEEsEE10hipError_tPvRmT2_T3_T4_T5_mT6_T7_P12ihipStream_tbENKUlT_T0_E_clISt17integral_constantIbLb1EESZ_EEDaSU_SV_EUlSU_E_NS1_11comp_targetILNS1_3genE4ELNS1_11target_archE910ELNS1_3gpuE8ELNS1_3repE0EEENS1_30default_config_static_selectorELNS0_4arch9wavefront6targetE1EEEvT1_
                                        ; -- End function
	.section	.AMDGPU.csdata,"",@progbits
; Kernel info:
; codeLenInByte = 0
; NumSgprs: 6
; NumVgprs: 0
; NumAgprs: 0
; TotalNumVgprs: 0
; ScratchSize: 0
; MemoryBound: 0
; FloatMode: 240
; IeeeMode: 1
; LDSByteSize: 0 bytes/workgroup (compile time only)
; SGPRBlocks: 0
; VGPRBlocks: 0
; NumSGPRsForWavesPerEU: 6
; NumVGPRsForWavesPerEU: 1
; AccumOffset: 4
; Occupancy: 8
; WaveLimiterHint : 0
; COMPUTE_PGM_RSRC2:SCRATCH_EN: 0
; COMPUTE_PGM_RSRC2:USER_SGPR: 2
; COMPUTE_PGM_RSRC2:TRAP_HANDLER: 0
; COMPUTE_PGM_RSRC2:TGID_X_EN: 1
; COMPUTE_PGM_RSRC2:TGID_Y_EN: 0
; COMPUTE_PGM_RSRC2:TGID_Z_EN: 0
; COMPUTE_PGM_RSRC2:TIDIG_COMP_CNT: 0
; COMPUTE_PGM_RSRC3_GFX90A:ACCUM_OFFSET: 0
; COMPUTE_PGM_RSRC3_GFX90A:TG_SPLIT: 0
	.section	.text._ZN7rocprim17ROCPRIM_400000_NS6detail17trampoline_kernelINS0_14default_configENS1_27scan_by_key_config_selectorIssEEZZNS1_16scan_by_key_implILNS1_25lookback_scan_determinismE0ELb1ES3_N6thrust23THRUST_200600_302600_NS6detail15normal_iteratorINS9_10device_ptrIsEEEESE_SE_sNS9_4plusIvEENS9_8equal_toIsEEsEE10hipError_tPvRmT2_T3_T4_T5_mT6_T7_P12ihipStream_tbENKUlT_T0_E_clISt17integral_constantIbLb1EESZ_EEDaSU_SV_EUlSU_E_NS1_11comp_targetILNS1_3genE3ELNS1_11target_archE908ELNS1_3gpuE7ELNS1_3repE0EEENS1_30default_config_static_selectorELNS0_4arch9wavefront6targetE1EEEvT1_,"axG",@progbits,_ZN7rocprim17ROCPRIM_400000_NS6detail17trampoline_kernelINS0_14default_configENS1_27scan_by_key_config_selectorIssEEZZNS1_16scan_by_key_implILNS1_25lookback_scan_determinismE0ELb1ES3_N6thrust23THRUST_200600_302600_NS6detail15normal_iteratorINS9_10device_ptrIsEEEESE_SE_sNS9_4plusIvEENS9_8equal_toIsEEsEE10hipError_tPvRmT2_T3_T4_T5_mT6_T7_P12ihipStream_tbENKUlT_T0_E_clISt17integral_constantIbLb1EESZ_EEDaSU_SV_EUlSU_E_NS1_11comp_targetILNS1_3genE3ELNS1_11target_archE908ELNS1_3gpuE7ELNS1_3repE0EEENS1_30default_config_static_selectorELNS0_4arch9wavefront6targetE1EEEvT1_,comdat
	.protected	_ZN7rocprim17ROCPRIM_400000_NS6detail17trampoline_kernelINS0_14default_configENS1_27scan_by_key_config_selectorIssEEZZNS1_16scan_by_key_implILNS1_25lookback_scan_determinismE0ELb1ES3_N6thrust23THRUST_200600_302600_NS6detail15normal_iteratorINS9_10device_ptrIsEEEESE_SE_sNS9_4plusIvEENS9_8equal_toIsEEsEE10hipError_tPvRmT2_T3_T4_T5_mT6_T7_P12ihipStream_tbENKUlT_T0_E_clISt17integral_constantIbLb1EESZ_EEDaSU_SV_EUlSU_E_NS1_11comp_targetILNS1_3genE3ELNS1_11target_archE908ELNS1_3gpuE7ELNS1_3repE0EEENS1_30default_config_static_selectorELNS0_4arch9wavefront6targetE1EEEvT1_ ; -- Begin function _ZN7rocprim17ROCPRIM_400000_NS6detail17trampoline_kernelINS0_14default_configENS1_27scan_by_key_config_selectorIssEEZZNS1_16scan_by_key_implILNS1_25lookback_scan_determinismE0ELb1ES3_N6thrust23THRUST_200600_302600_NS6detail15normal_iteratorINS9_10device_ptrIsEEEESE_SE_sNS9_4plusIvEENS9_8equal_toIsEEsEE10hipError_tPvRmT2_T3_T4_T5_mT6_T7_P12ihipStream_tbENKUlT_T0_E_clISt17integral_constantIbLb1EESZ_EEDaSU_SV_EUlSU_E_NS1_11comp_targetILNS1_3genE3ELNS1_11target_archE908ELNS1_3gpuE7ELNS1_3repE0EEENS1_30default_config_static_selectorELNS0_4arch9wavefront6targetE1EEEvT1_
	.globl	_ZN7rocprim17ROCPRIM_400000_NS6detail17trampoline_kernelINS0_14default_configENS1_27scan_by_key_config_selectorIssEEZZNS1_16scan_by_key_implILNS1_25lookback_scan_determinismE0ELb1ES3_N6thrust23THRUST_200600_302600_NS6detail15normal_iteratorINS9_10device_ptrIsEEEESE_SE_sNS9_4plusIvEENS9_8equal_toIsEEsEE10hipError_tPvRmT2_T3_T4_T5_mT6_T7_P12ihipStream_tbENKUlT_T0_E_clISt17integral_constantIbLb1EESZ_EEDaSU_SV_EUlSU_E_NS1_11comp_targetILNS1_3genE3ELNS1_11target_archE908ELNS1_3gpuE7ELNS1_3repE0EEENS1_30default_config_static_selectorELNS0_4arch9wavefront6targetE1EEEvT1_
	.p2align	8
	.type	_ZN7rocprim17ROCPRIM_400000_NS6detail17trampoline_kernelINS0_14default_configENS1_27scan_by_key_config_selectorIssEEZZNS1_16scan_by_key_implILNS1_25lookback_scan_determinismE0ELb1ES3_N6thrust23THRUST_200600_302600_NS6detail15normal_iteratorINS9_10device_ptrIsEEEESE_SE_sNS9_4plusIvEENS9_8equal_toIsEEsEE10hipError_tPvRmT2_T3_T4_T5_mT6_T7_P12ihipStream_tbENKUlT_T0_E_clISt17integral_constantIbLb1EESZ_EEDaSU_SV_EUlSU_E_NS1_11comp_targetILNS1_3genE3ELNS1_11target_archE908ELNS1_3gpuE7ELNS1_3repE0EEENS1_30default_config_static_selectorELNS0_4arch9wavefront6targetE1EEEvT1_,@function
_ZN7rocprim17ROCPRIM_400000_NS6detail17trampoline_kernelINS0_14default_configENS1_27scan_by_key_config_selectorIssEEZZNS1_16scan_by_key_implILNS1_25lookback_scan_determinismE0ELb1ES3_N6thrust23THRUST_200600_302600_NS6detail15normal_iteratorINS9_10device_ptrIsEEEESE_SE_sNS9_4plusIvEENS9_8equal_toIsEEsEE10hipError_tPvRmT2_T3_T4_T5_mT6_T7_P12ihipStream_tbENKUlT_T0_E_clISt17integral_constantIbLb1EESZ_EEDaSU_SV_EUlSU_E_NS1_11comp_targetILNS1_3genE3ELNS1_11target_archE908ELNS1_3gpuE7ELNS1_3repE0EEENS1_30default_config_static_selectorELNS0_4arch9wavefront6targetE1EEEvT1_: ; @_ZN7rocprim17ROCPRIM_400000_NS6detail17trampoline_kernelINS0_14default_configENS1_27scan_by_key_config_selectorIssEEZZNS1_16scan_by_key_implILNS1_25lookback_scan_determinismE0ELb1ES3_N6thrust23THRUST_200600_302600_NS6detail15normal_iteratorINS9_10device_ptrIsEEEESE_SE_sNS9_4plusIvEENS9_8equal_toIsEEsEE10hipError_tPvRmT2_T3_T4_T5_mT6_T7_P12ihipStream_tbENKUlT_T0_E_clISt17integral_constantIbLb1EESZ_EEDaSU_SV_EUlSU_E_NS1_11comp_targetILNS1_3genE3ELNS1_11target_archE908ELNS1_3gpuE7ELNS1_3repE0EEENS1_30default_config_static_selectorELNS0_4arch9wavefront6targetE1EEEvT1_
; %bb.0:
	.section	.rodata,"a",@progbits
	.p2align	6, 0x0
	.amdhsa_kernel _ZN7rocprim17ROCPRIM_400000_NS6detail17trampoline_kernelINS0_14default_configENS1_27scan_by_key_config_selectorIssEEZZNS1_16scan_by_key_implILNS1_25lookback_scan_determinismE0ELb1ES3_N6thrust23THRUST_200600_302600_NS6detail15normal_iteratorINS9_10device_ptrIsEEEESE_SE_sNS9_4plusIvEENS9_8equal_toIsEEsEE10hipError_tPvRmT2_T3_T4_T5_mT6_T7_P12ihipStream_tbENKUlT_T0_E_clISt17integral_constantIbLb1EESZ_EEDaSU_SV_EUlSU_E_NS1_11comp_targetILNS1_3genE3ELNS1_11target_archE908ELNS1_3gpuE7ELNS1_3repE0EEENS1_30default_config_static_selectorELNS0_4arch9wavefront6targetE1EEEvT1_
		.amdhsa_group_segment_fixed_size 0
		.amdhsa_private_segment_fixed_size 0
		.amdhsa_kernarg_size 112
		.amdhsa_user_sgpr_count 2
		.amdhsa_user_sgpr_dispatch_ptr 0
		.amdhsa_user_sgpr_queue_ptr 0
		.amdhsa_user_sgpr_kernarg_segment_ptr 1
		.amdhsa_user_sgpr_dispatch_id 0
		.amdhsa_user_sgpr_kernarg_preload_length 0
		.amdhsa_user_sgpr_kernarg_preload_offset 0
		.amdhsa_user_sgpr_private_segment_size 0
		.amdhsa_uses_dynamic_stack 0
		.amdhsa_enable_private_segment 0
		.amdhsa_system_sgpr_workgroup_id_x 1
		.amdhsa_system_sgpr_workgroup_id_y 0
		.amdhsa_system_sgpr_workgroup_id_z 0
		.amdhsa_system_sgpr_workgroup_info 0
		.amdhsa_system_vgpr_workitem_id 0
		.amdhsa_next_free_vgpr 1
		.amdhsa_next_free_sgpr 0
		.amdhsa_accum_offset 4
		.amdhsa_reserve_vcc 0
		.amdhsa_float_round_mode_32 0
		.amdhsa_float_round_mode_16_64 0
		.amdhsa_float_denorm_mode_32 3
		.amdhsa_float_denorm_mode_16_64 3
		.amdhsa_dx10_clamp 1
		.amdhsa_ieee_mode 1
		.amdhsa_fp16_overflow 0
		.amdhsa_tg_split 0
		.amdhsa_exception_fp_ieee_invalid_op 0
		.amdhsa_exception_fp_denorm_src 0
		.amdhsa_exception_fp_ieee_div_zero 0
		.amdhsa_exception_fp_ieee_overflow 0
		.amdhsa_exception_fp_ieee_underflow 0
		.amdhsa_exception_fp_ieee_inexact 0
		.amdhsa_exception_int_div_zero 0
	.end_amdhsa_kernel
	.section	.text._ZN7rocprim17ROCPRIM_400000_NS6detail17trampoline_kernelINS0_14default_configENS1_27scan_by_key_config_selectorIssEEZZNS1_16scan_by_key_implILNS1_25lookback_scan_determinismE0ELb1ES3_N6thrust23THRUST_200600_302600_NS6detail15normal_iteratorINS9_10device_ptrIsEEEESE_SE_sNS9_4plusIvEENS9_8equal_toIsEEsEE10hipError_tPvRmT2_T3_T4_T5_mT6_T7_P12ihipStream_tbENKUlT_T0_E_clISt17integral_constantIbLb1EESZ_EEDaSU_SV_EUlSU_E_NS1_11comp_targetILNS1_3genE3ELNS1_11target_archE908ELNS1_3gpuE7ELNS1_3repE0EEENS1_30default_config_static_selectorELNS0_4arch9wavefront6targetE1EEEvT1_,"axG",@progbits,_ZN7rocprim17ROCPRIM_400000_NS6detail17trampoline_kernelINS0_14default_configENS1_27scan_by_key_config_selectorIssEEZZNS1_16scan_by_key_implILNS1_25lookback_scan_determinismE0ELb1ES3_N6thrust23THRUST_200600_302600_NS6detail15normal_iteratorINS9_10device_ptrIsEEEESE_SE_sNS9_4plusIvEENS9_8equal_toIsEEsEE10hipError_tPvRmT2_T3_T4_T5_mT6_T7_P12ihipStream_tbENKUlT_T0_E_clISt17integral_constantIbLb1EESZ_EEDaSU_SV_EUlSU_E_NS1_11comp_targetILNS1_3genE3ELNS1_11target_archE908ELNS1_3gpuE7ELNS1_3repE0EEENS1_30default_config_static_selectorELNS0_4arch9wavefront6targetE1EEEvT1_,comdat
.Lfunc_end654:
	.size	_ZN7rocprim17ROCPRIM_400000_NS6detail17trampoline_kernelINS0_14default_configENS1_27scan_by_key_config_selectorIssEEZZNS1_16scan_by_key_implILNS1_25lookback_scan_determinismE0ELb1ES3_N6thrust23THRUST_200600_302600_NS6detail15normal_iteratorINS9_10device_ptrIsEEEESE_SE_sNS9_4plusIvEENS9_8equal_toIsEEsEE10hipError_tPvRmT2_T3_T4_T5_mT6_T7_P12ihipStream_tbENKUlT_T0_E_clISt17integral_constantIbLb1EESZ_EEDaSU_SV_EUlSU_E_NS1_11comp_targetILNS1_3genE3ELNS1_11target_archE908ELNS1_3gpuE7ELNS1_3repE0EEENS1_30default_config_static_selectorELNS0_4arch9wavefront6targetE1EEEvT1_, .Lfunc_end654-_ZN7rocprim17ROCPRIM_400000_NS6detail17trampoline_kernelINS0_14default_configENS1_27scan_by_key_config_selectorIssEEZZNS1_16scan_by_key_implILNS1_25lookback_scan_determinismE0ELb1ES3_N6thrust23THRUST_200600_302600_NS6detail15normal_iteratorINS9_10device_ptrIsEEEESE_SE_sNS9_4plusIvEENS9_8equal_toIsEEsEE10hipError_tPvRmT2_T3_T4_T5_mT6_T7_P12ihipStream_tbENKUlT_T0_E_clISt17integral_constantIbLb1EESZ_EEDaSU_SV_EUlSU_E_NS1_11comp_targetILNS1_3genE3ELNS1_11target_archE908ELNS1_3gpuE7ELNS1_3repE0EEENS1_30default_config_static_selectorELNS0_4arch9wavefront6targetE1EEEvT1_
                                        ; -- End function
	.section	.AMDGPU.csdata,"",@progbits
; Kernel info:
; codeLenInByte = 0
; NumSgprs: 6
; NumVgprs: 0
; NumAgprs: 0
; TotalNumVgprs: 0
; ScratchSize: 0
; MemoryBound: 0
; FloatMode: 240
; IeeeMode: 1
; LDSByteSize: 0 bytes/workgroup (compile time only)
; SGPRBlocks: 0
; VGPRBlocks: 0
; NumSGPRsForWavesPerEU: 6
; NumVGPRsForWavesPerEU: 1
; AccumOffset: 4
; Occupancy: 8
; WaveLimiterHint : 0
; COMPUTE_PGM_RSRC2:SCRATCH_EN: 0
; COMPUTE_PGM_RSRC2:USER_SGPR: 2
; COMPUTE_PGM_RSRC2:TRAP_HANDLER: 0
; COMPUTE_PGM_RSRC2:TGID_X_EN: 1
; COMPUTE_PGM_RSRC2:TGID_Y_EN: 0
; COMPUTE_PGM_RSRC2:TGID_Z_EN: 0
; COMPUTE_PGM_RSRC2:TIDIG_COMP_CNT: 0
; COMPUTE_PGM_RSRC3_GFX90A:ACCUM_OFFSET: 0
; COMPUTE_PGM_RSRC3_GFX90A:TG_SPLIT: 0
	.section	.text._ZN7rocprim17ROCPRIM_400000_NS6detail17trampoline_kernelINS0_14default_configENS1_27scan_by_key_config_selectorIssEEZZNS1_16scan_by_key_implILNS1_25lookback_scan_determinismE0ELb1ES3_N6thrust23THRUST_200600_302600_NS6detail15normal_iteratorINS9_10device_ptrIsEEEESE_SE_sNS9_4plusIvEENS9_8equal_toIsEEsEE10hipError_tPvRmT2_T3_T4_T5_mT6_T7_P12ihipStream_tbENKUlT_T0_E_clISt17integral_constantIbLb1EESZ_EEDaSU_SV_EUlSU_E_NS1_11comp_targetILNS1_3genE2ELNS1_11target_archE906ELNS1_3gpuE6ELNS1_3repE0EEENS1_30default_config_static_selectorELNS0_4arch9wavefront6targetE1EEEvT1_,"axG",@progbits,_ZN7rocprim17ROCPRIM_400000_NS6detail17trampoline_kernelINS0_14default_configENS1_27scan_by_key_config_selectorIssEEZZNS1_16scan_by_key_implILNS1_25lookback_scan_determinismE0ELb1ES3_N6thrust23THRUST_200600_302600_NS6detail15normal_iteratorINS9_10device_ptrIsEEEESE_SE_sNS9_4plusIvEENS9_8equal_toIsEEsEE10hipError_tPvRmT2_T3_T4_T5_mT6_T7_P12ihipStream_tbENKUlT_T0_E_clISt17integral_constantIbLb1EESZ_EEDaSU_SV_EUlSU_E_NS1_11comp_targetILNS1_3genE2ELNS1_11target_archE906ELNS1_3gpuE6ELNS1_3repE0EEENS1_30default_config_static_selectorELNS0_4arch9wavefront6targetE1EEEvT1_,comdat
	.protected	_ZN7rocprim17ROCPRIM_400000_NS6detail17trampoline_kernelINS0_14default_configENS1_27scan_by_key_config_selectorIssEEZZNS1_16scan_by_key_implILNS1_25lookback_scan_determinismE0ELb1ES3_N6thrust23THRUST_200600_302600_NS6detail15normal_iteratorINS9_10device_ptrIsEEEESE_SE_sNS9_4plusIvEENS9_8equal_toIsEEsEE10hipError_tPvRmT2_T3_T4_T5_mT6_T7_P12ihipStream_tbENKUlT_T0_E_clISt17integral_constantIbLb1EESZ_EEDaSU_SV_EUlSU_E_NS1_11comp_targetILNS1_3genE2ELNS1_11target_archE906ELNS1_3gpuE6ELNS1_3repE0EEENS1_30default_config_static_selectorELNS0_4arch9wavefront6targetE1EEEvT1_ ; -- Begin function _ZN7rocprim17ROCPRIM_400000_NS6detail17trampoline_kernelINS0_14default_configENS1_27scan_by_key_config_selectorIssEEZZNS1_16scan_by_key_implILNS1_25lookback_scan_determinismE0ELb1ES3_N6thrust23THRUST_200600_302600_NS6detail15normal_iteratorINS9_10device_ptrIsEEEESE_SE_sNS9_4plusIvEENS9_8equal_toIsEEsEE10hipError_tPvRmT2_T3_T4_T5_mT6_T7_P12ihipStream_tbENKUlT_T0_E_clISt17integral_constantIbLb1EESZ_EEDaSU_SV_EUlSU_E_NS1_11comp_targetILNS1_3genE2ELNS1_11target_archE906ELNS1_3gpuE6ELNS1_3repE0EEENS1_30default_config_static_selectorELNS0_4arch9wavefront6targetE1EEEvT1_
	.globl	_ZN7rocprim17ROCPRIM_400000_NS6detail17trampoline_kernelINS0_14default_configENS1_27scan_by_key_config_selectorIssEEZZNS1_16scan_by_key_implILNS1_25lookback_scan_determinismE0ELb1ES3_N6thrust23THRUST_200600_302600_NS6detail15normal_iteratorINS9_10device_ptrIsEEEESE_SE_sNS9_4plusIvEENS9_8equal_toIsEEsEE10hipError_tPvRmT2_T3_T4_T5_mT6_T7_P12ihipStream_tbENKUlT_T0_E_clISt17integral_constantIbLb1EESZ_EEDaSU_SV_EUlSU_E_NS1_11comp_targetILNS1_3genE2ELNS1_11target_archE906ELNS1_3gpuE6ELNS1_3repE0EEENS1_30default_config_static_selectorELNS0_4arch9wavefront6targetE1EEEvT1_
	.p2align	8
	.type	_ZN7rocprim17ROCPRIM_400000_NS6detail17trampoline_kernelINS0_14default_configENS1_27scan_by_key_config_selectorIssEEZZNS1_16scan_by_key_implILNS1_25lookback_scan_determinismE0ELb1ES3_N6thrust23THRUST_200600_302600_NS6detail15normal_iteratorINS9_10device_ptrIsEEEESE_SE_sNS9_4plusIvEENS9_8equal_toIsEEsEE10hipError_tPvRmT2_T3_T4_T5_mT6_T7_P12ihipStream_tbENKUlT_T0_E_clISt17integral_constantIbLb1EESZ_EEDaSU_SV_EUlSU_E_NS1_11comp_targetILNS1_3genE2ELNS1_11target_archE906ELNS1_3gpuE6ELNS1_3repE0EEENS1_30default_config_static_selectorELNS0_4arch9wavefront6targetE1EEEvT1_,@function
_ZN7rocprim17ROCPRIM_400000_NS6detail17trampoline_kernelINS0_14default_configENS1_27scan_by_key_config_selectorIssEEZZNS1_16scan_by_key_implILNS1_25lookback_scan_determinismE0ELb1ES3_N6thrust23THRUST_200600_302600_NS6detail15normal_iteratorINS9_10device_ptrIsEEEESE_SE_sNS9_4plusIvEENS9_8equal_toIsEEsEE10hipError_tPvRmT2_T3_T4_T5_mT6_T7_P12ihipStream_tbENKUlT_T0_E_clISt17integral_constantIbLb1EESZ_EEDaSU_SV_EUlSU_E_NS1_11comp_targetILNS1_3genE2ELNS1_11target_archE906ELNS1_3gpuE6ELNS1_3repE0EEENS1_30default_config_static_selectorELNS0_4arch9wavefront6targetE1EEEvT1_: ; @_ZN7rocprim17ROCPRIM_400000_NS6detail17trampoline_kernelINS0_14default_configENS1_27scan_by_key_config_selectorIssEEZZNS1_16scan_by_key_implILNS1_25lookback_scan_determinismE0ELb1ES3_N6thrust23THRUST_200600_302600_NS6detail15normal_iteratorINS9_10device_ptrIsEEEESE_SE_sNS9_4plusIvEENS9_8equal_toIsEEsEE10hipError_tPvRmT2_T3_T4_T5_mT6_T7_P12ihipStream_tbENKUlT_T0_E_clISt17integral_constantIbLb1EESZ_EEDaSU_SV_EUlSU_E_NS1_11comp_targetILNS1_3genE2ELNS1_11target_archE906ELNS1_3gpuE6ELNS1_3repE0EEENS1_30default_config_static_selectorELNS0_4arch9wavefront6targetE1EEEvT1_
; %bb.0:
	.section	.rodata,"a",@progbits
	.p2align	6, 0x0
	.amdhsa_kernel _ZN7rocprim17ROCPRIM_400000_NS6detail17trampoline_kernelINS0_14default_configENS1_27scan_by_key_config_selectorIssEEZZNS1_16scan_by_key_implILNS1_25lookback_scan_determinismE0ELb1ES3_N6thrust23THRUST_200600_302600_NS6detail15normal_iteratorINS9_10device_ptrIsEEEESE_SE_sNS9_4plusIvEENS9_8equal_toIsEEsEE10hipError_tPvRmT2_T3_T4_T5_mT6_T7_P12ihipStream_tbENKUlT_T0_E_clISt17integral_constantIbLb1EESZ_EEDaSU_SV_EUlSU_E_NS1_11comp_targetILNS1_3genE2ELNS1_11target_archE906ELNS1_3gpuE6ELNS1_3repE0EEENS1_30default_config_static_selectorELNS0_4arch9wavefront6targetE1EEEvT1_
		.amdhsa_group_segment_fixed_size 0
		.amdhsa_private_segment_fixed_size 0
		.amdhsa_kernarg_size 112
		.amdhsa_user_sgpr_count 2
		.amdhsa_user_sgpr_dispatch_ptr 0
		.amdhsa_user_sgpr_queue_ptr 0
		.amdhsa_user_sgpr_kernarg_segment_ptr 1
		.amdhsa_user_sgpr_dispatch_id 0
		.amdhsa_user_sgpr_kernarg_preload_length 0
		.amdhsa_user_sgpr_kernarg_preload_offset 0
		.amdhsa_user_sgpr_private_segment_size 0
		.amdhsa_uses_dynamic_stack 0
		.amdhsa_enable_private_segment 0
		.amdhsa_system_sgpr_workgroup_id_x 1
		.amdhsa_system_sgpr_workgroup_id_y 0
		.amdhsa_system_sgpr_workgroup_id_z 0
		.amdhsa_system_sgpr_workgroup_info 0
		.amdhsa_system_vgpr_workitem_id 0
		.amdhsa_next_free_vgpr 1
		.amdhsa_next_free_sgpr 0
		.amdhsa_accum_offset 4
		.amdhsa_reserve_vcc 0
		.amdhsa_float_round_mode_32 0
		.amdhsa_float_round_mode_16_64 0
		.amdhsa_float_denorm_mode_32 3
		.amdhsa_float_denorm_mode_16_64 3
		.amdhsa_dx10_clamp 1
		.amdhsa_ieee_mode 1
		.amdhsa_fp16_overflow 0
		.amdhsa_tg_split 0
		.amdhsa_exception_fp_ieee_invalid_op 0
		.amdhsa_exception_fp_denorm_src 0
		.amdhsa_exception_fp_ieee_div_zero 0
		.amdhsa_exception_fp_ieee_overflow 0
		.amdhsa_exception_fp_ieee_underflow 0
		.amdhsa_exception_fp_ieee_inexact 0
		.amdhsa_exception_int_div_zero 0
	.end_amdhsa_kernel
	.section	.text._ZN7rocprim17ROCPRIM_400000_NS6detail17trampoline_kernelINS0_14default_configENS1_27scan_by_key_config_selectorIssEEZZNS1_16scan_by_key_implILNS1_25lookback_scan_determinismE0ELb1ES3_N6thrust23THRUST_200600_302600_NS6detail15normal_iteratorINS9_10device_ptrIsEEEESE_SE_sNS9_4plusIvEENS9_8equal_toIsEEsEE10hipError_tPvRmT2_T3_T4_T5_mT6_T7_P12ihipStream_tbENKUlT_T0_E_clISt17integral_constantIbLb1EESZ_EEDaSU_SV_EUlSU_E_NS1_11comp_targetILNS1_3genE2ELNS1_11target_archE906ELNS1_3gpuE6ELNS1_3repE0EEENS1_30default_config_static_selectorELNS0_4arch9wavefront6targetE1EEEvT1_,"axG",@progbits,_ZN7rocprim17ROCPRIM_400000_NS6detail17trampoline_kernelINS0_14default_configENS1_27scan_by_key_config_selectorIssEEZZNS1_16scan_by_key_implILNS1_25lookback_scan_determinismE0ELb1ES3_N6thrust23THRUST_200600_302600_NS6detail15normal_iteratorINS9_10device_ptrIsEEEESE_SE_sNS9_4plusIvEENS9_8equal_toIsEEsEE10hipError_tPvRmT2_T3_T4_T5_mT6_T7_P12ihipStream_tbENKUlT_T0_E_clISt17integral_constantIbLb1EESZ_EEDaSU_SV_EUlSU_E_NS1_11comp_targetILNS1_3genE2ELNS1_11target_archE906ELNS1_3gpuE6ELNS1_3repE0EEENS1_30default_config_static_selectorELNS0_4arch9wavefront6targetE1EEEvT1_,comdat
.Lfunc_end655:
	.size	_ZN7rocprim17ROCPRIM_400000_NS6detail17trampoline_kernelINS0_14default_configENS1_27scan_by_key_config_selectorIssEEZZNS1_16scan_by_key_implILNS1_25lookback_scan_determinismE0ELb1ES3_N6thrust23THRUST_200600_302600_NS6detail15normal_iteratorINS9_10device_ptrIsEEEESE_SE_sNS9_4plusIvEENS9_8equal_toIsEEsEE10hipError_tPvRmT2_T3_T4_T5_mT6_T7_P12ihipStream_tbENKUlT_T0_E_clISt17integral_constantIbLb1EESZ_EEDaSU_SV_EUlSU_E_NS1_11comp_targetILNS1_3genE2ELNS1_11target_archE906ELNS1_3gpuE6ELNS1_3repE0EEENS1_30default_config_static_selectorELNS0_4arch9wavefront6targetE1EEEvT1_, .Lfunc_end655-_ZN7rocprim17ROCPRIM_400000_NS6detail17trampoline_kernelINS0_14default_configENS1_27scan_by_key_config_selectorIssEEZZNS1_16scan_by_key_implILNS1_25lookback_scan_determinismE0ELb1ES3_N6thrust23THRUST_200600_302600_NS6detail15normal_iteratorINS9_10device_ptrIsEEEESE_SE_sNS9_4plusIvEENS9_8equal_toIsEEsEE10hipError_tPvRmT2_T3_T4_T5_mT6_T7_P12ihipStream_tbENKUlT_T0_E_clISt17integral_constantIbLb1EESZ_EEDaSU_SV_EUlSU_E_NS1_11comp_targetILNS1_3genE2ELNS1_11target_archE906ELNS1_3gpuE6ELNS1_3repE0EEENS1_30default_config_static_selectorELNS0_4arch9wavefront6targetE1EEEvT1_
                                        ; -- End function
	.section	.AMDGPU.csdata,"",@progbits
; Kernel info:
; codeLenInByte = 0
; NumSgprs: 6
; NumVgprs: 0
; NumAgprs: 0
; TotalNumVgprs: 0
; ScratchSize: 0
; MemoryBound: 0
; FloatMode: 240
; IeeeMode: 1
; LDSByteSize: 0 bytes/workgroup (compile time only)
; SGPRBlocks: 0
; VGPRBlocks: 0
; NumSGPRsForWavesPerEU: 6
; NumVGPRsForWavesPerEU: 1
; AccumOffset: 4
; Occupancy: 8
; WaveLimiterHint : 0
; COMPUTE_PGM_RSRC2:SCRATCH_EN: 0
; COMPUTE_PGM_RSRC2:USER_SGPR: 2
; COMPUTE_PGM_RSRC2:TRAP_HANDLER: 0
; COMPUTE_PGM_RSRC2:TGID_X_EN: 1
; COMPUTE_PGM_RSRC2:TGID_Y_EN: 0
; COMPUTE_PGM_RSRC2:TGID_Z_EN: 0
; COMPUTE_PGM_RSRC2:TIDIG_COMP_CNT: 0
; COMPUTE_PGM_RSRC3_GFX90A:ACCUM_OFFSET: 0
; COMPUTE_PGM_RSRC3_GFX90A:TG_SPLIT: 0
	.section	.text._ZN7rocprim17ROCPRIM_400000_NS6detail17trampoline_kernelINS0_14default_configENS1_27scan_by_key_config_selectorIssEEZZNS1_16scan_by_key_implILNS1_25lookback_scan_determinismE0ELb1ES3_N6thrust23THRUST_200600_302600_NS6detail15normal_iteratorINS9_10device_ptrIsEEEESE_SE_sNS9_4plusIvEENS9_8equal_toIsEEsEE10hipError_tPvRmT2_T3_T4_T5_mT6_T7_P12ihipStream_tbENKUlT_T0_E_clISt17integral_constantIbLb1EESZ_EEDaSU_SV_EUlSU_E_NS1_11comp_targetILNS1_3genE10ELNS1_11target_archE1200ELNS1_3gpuE4ELNS1_3repE0EEENS1_30default_config_static_selectorELNS0_4arch9wavefront6targetE1EEEvT1_,"axG",@progbits,_ZN7rocprim17ROCPRIM_400000_NS6detail17trampoline_kernelINS0_14default_configENS1_27scan_by_key_config_selectorIssEEZZNS1_16scan_by_key_implILNS1_25lookback_scan_determinismE0ELb1ES3_N6thrust23THRUST_200600_302600_NS6detail15normal_iteratorINS9_10device_ptrIsEEEESE_SE_sNS9_4plusIvEENS9_8equal_toIsEEsEE10hipError_tPvRmT2_T3_T4_T5_mT6_T7_P12ihipStream_tbENKUlT_T0_E_clISt17integral_constantIbLb1EESZ_EEDaSU_SV_EUlSU_E_NS1_11comp_targetILNS1_3genE10ELNS1_11target_archE1200ELNS1_3gpuE4ELNS1_3repE0EEENS1_30default_config_static_selectorELNS0_4arch9wavefront6targetE1EEEvT1_,comdat
	.protected	_ZN7rocprim17ROCPRIM_400000_NS6detail17trampoline_kernelINS0_14default_configENS1_27scan_by_key_config_selectorIssEEZZNS1_16scan_by_key_implILNS1_25lookback_scan_determinismE0ELb1ES3_N6thrust23THRUST_200600_302600_NS6detail15normal_iteratorINS9_10device_ptrIsEEEESE_SE_sNS9_4plusIvEENS9_8equal_toIsEEsEE10hipError_tPvRmT2_T3_T4_T5_mT6_T7_P12ihipStream_tbENKUlT_T0_E_clISt17integral_constantIbLb1EESZ_EEDaSU_SV_EUlSU_E_NS1_11comp_targetILNS1_3genE10ELNS1_11target_archE1200ELNS1_3gpuE4ELNS1_3repE0EEENS1_30default_config_static_selectorELNS0_4arch9wavefront6targetE1EEEvT1_ ; -- Begin function _ZN7rocprim17ROCPRIM_400000_NS6detail17trampoline_kernelINS0_14default_configENS1_27scan_by_key_config_selectorIssEEZZNS1_16scan_by_key_implILNS1_25lookback_scan_determinismE0ELb1ES3_N6thrust23THRUST_200600_302600_NS6detail15normal_iteratorINS9_10device_ptrIsEEEESE_SE_sNS9_4plusIvEENS9_8equal_toIsEEsEE10hipError_tPvRmT2_T3_T4_T5_mT6_T7_P12ihipStream_tbENKUlT_T0_E_clISt17integral_constantIbLb1EESZ_EEDaSU_SV_EUlSU_E_NS1_11comp_targetILNS1_3genE10ELNS1_11target_archE1200ELNS1_3gpuE4ELNS1_3repE0EEENS1_30default_config_static_selectorELNS0_4arch9wavefront6targetE1EEEvT1_
	.globl	_ZN7rocprim17ROCPRIM_400000_NS6detail17trampoline_kernelINS0_14default_configENS1_27scan_by_key_config_selectorIssEEZZNS1_16scan_by_key_implILNS1_25lookback_scan_determinismE0ELb1ES3_N6thrust23THRUST_200600_302600_NS6detail15normal_iteratorINS9_10device_ptrIsEEEESE_SE_sNS9_4plusIvEENS9_8equal_toIsEEsEE10hipError_tPvRmT2_T3_T4_T5_mT6_T7_P12ihipStream_tbENKUlT_T0_E_clISt17integral_constantIbLb1EESZ_EEDaSU_SV_EUlSU_E_NS1_11comp_targetILNS1_3genE10ELNS1_11target_archE1200ELNS1_3gpuE4ELNS1_3repE0EEENS1_30default_config_static_selectorELNS0_4arch9wavefront6targetE1EEEvT1_
	.p2align	8
	.type	_ZN7rocprim17ROCPRIM_400000_NS6detail17trampoline_kernelINS0_14default_configENS1_27scan_by_key_config_selectorIssEEZZNS1_16scan_by_key_implILNS1_25lookback_scan_determinismE0ELb1ES3_N6thrust23THRUST_200600_302600_NS6detail15normal_iteratorINS9_10device_ptrIsEEEESE_SE_sNS9_4plusIvEENS9_8equal_toIsEEsEE10hipError_tPvRmT2_T3_T4_T5_mT6_T7_P12ihipStream_tbENKUlT_T0_E_clISt17integral_constantIbLb1EESZ_EEDaSU_SV_EUlSU_E_NS1_11comp_targetILNS1_3genE10ELNS1_11target_archE1200ELNS1_3gpuE4ELNS1_3repE0EEENS1_30default_config_static_selectorELNS0_4arch9wavefront6targetE1EEEvT1_,@function
_ZN7rocprim17ROCPRIM_400000_NS6detail17trampoline_kernelINS0_14default_configENS1_27scan_by_key_config_selectorIssEEZZNS1_16scan_by_key_implILNS1_25lookback_scan_determinismE0ELb1ES3_N6thrust23THRUST_200600_302600_NS6detail15normal_iteratorINS9_10device_ptrIsEEEESE_SE_sNS9_4plusIvEENS9_8equal_toIsEEsEE10hipError_tPvRmT2_T3_T4_T5_mT6_T7_P12ihipStream_tbENKUlT_T0_E_clISt17integral_constantIbLb1EESZ_EEDaSU_SV_EUlSU_E_NS1_11comp_targetILNS1_3genE10ELNS1_11target_archE1200ELNS1_3gpuE4ELNS1_3repE0EEENS1_30default_config_static_selectorELNS0_4arch9wavefront6targetE1EEEvT1_: ; @_ZN7rocprim17ROCPRIM_400000_NS6detail17trampoline_kernelINS0_14default_configENS1_27scan_by_key_config_selectorIssEEZZNS1_16scan_by_key_implILNS1_25lookback_scan_determinismE0ELb1ES3_N6thrust23THRUST_200600_302600_NS6detail15normal_iteratorINS9_10device_ptrIsEEEESE_SE_sNS9_4plusIvEENS9_8equal_toIsEEsEE10hipError_tPvRmT2_T3_T4_T5_mT6_T7_P12ihipStream_tbENKUlT_T0_E_clISt17integral_constantIbLb1EESZ_EEDaSU_SV_EUlSU_E_NS1_11comp_targetILNS1_3genE10ELNS1_11target_archE1200ELNS1_3gpuE4ELNS1_3repE0EEENS1_30default_config_static_selectorELNS0_4arch9wavefront6targetE1EEEvT1_
; %bb.0:
	.section	.rodata,"a",@progbits
	.p2align	6, 0x0
	.amdhsa_kernel _ZN7rocprim17ROCPRIM_400000_NS6detail17trampoline_kernelINS0_14default_configENS1_27scan_by_key_config_selectorIssEEZZNS1_16scan_by_key_implILNS1_25lookback_scan_determinismE0ELb1ES3_N6thrust23THRUST_200600_302600_NS6detail15normal_iteratorINS9_10device_ptrIsEEEESE_SE_sNS9_4plusIvEENS9_8equal_toIsEEsEE10hipError_tPvRmT2_T3_T4_T5_mT6_T7_P12ihipStream_tbENKUlT_T0_E_clISt17integral_constantIbLb1EESZ_EEDaSU_SV_EUlSU_E_NS1_11comp_targetILNS1_3genE10ELNS1_11target_archE1200ELNS1_3gpuE4ELNS1_3repE0EEENS1_30default_config_static_selectorELNS0_4arch9wavefront6targetE1EEEvT1_
		.amdhsa_group_segment_fixed_size 0
		.amdhsa_private_segment_fixed_size 0
		.amdhsa_kernarg_size 112
		.amdhsa_user_sgpr_count 2
		.amdhsa_user_sgpr_dispatch_ptr 0
		.amdhsa_user_sgpr_queue_ptr 0
		.amdhsa_user_sgpr_kernarg_segment_ptr 1
		.amdhsa_user_sgpr_dispatch_id 0
		.amdhsa_user_sgpr_kernarg_preload_length 0
		.amdhsa_user_sgpr_kernarg_preload_offset 0
		.amdhsa_user_sgpr_private_segment_size 0
		.amdhsa_uses_dynamic_stack 0
		.amdhsa_enable_private_segment 0
		.amdhsa_system_sgpr_workgroup_id_x 1
		.amdhsa_system_sgpr_workgroup_id_y 0
		.amdhsa_system_sgpr_workgroup_id_z 0
		.amdhsa_system_sgpr_workgroup_info 0
		.amdhsa_system_vgpr_workitem_id 0
		.amdhsa_next_free_vgpr 1
		.amdhsa_next_free_sgpr 0
		.amdhsa_accum_offset 4
		.amdhsa_reserve_vcc 0
		.amdhsa_float_round_mode_32 0
		.amdhsa_float_round_mode_16_64 0
		.amdhsa_float_denorm_mode_32 3
		.amdhsa_float_denorm_mode_16_64 3
		.amdhsa_dx10_clamp 1
		.amdhsa_ieee_mode 1
		.amdhsa_fp16_overflow 0
		.amdhsa_tg_split 0
		.amdhsa_exception_fp_ieee_invalid_op 0
		.amdhsa_exception_fp_denorm_src 0
		.amdhsa_exception_fp_ieee_div_zero 0
		.amdhsa_exception_fp_ieee_overflow 0
		.amdhsa_exception_fp_ieee_underflow 0
		.amdhsa_exception_fp_ieee_inexact 0
		.amdhsa_exception_int_div_zero 0
	.end_amdhsa_kernel
	.section	.text._ZN7rocprim17ROCPRIM_400000_NS6detail17trampoline_kernelINS0_14default_configENS1_27scan_by_key_config_selectorIssEEZZNS1_16scan_by_key_implILNS1_25lookback_scan_determinismE0ELb1ES3_N6thrust23THRUST_200600_302600_NS6detail15normal_iteratorINS9_10device_ptrIsEEEESE_SE_sNS9_4plusIvEENS9_8equal_toIsEEsEE10hipError_tPvRmT2_T3_T4_T5_mT6_T7_P12ihipStream_tbENKUlT_T0_E_clISt17integral_constantIbLb1EESZ_EEDaSU_SV_EUlSU_E_NS1_11comp_targetILNS1_3genE10ELNS1_11target_archE1200ELNS1_3gpuE4ELNS1_3repE0EEENS1_30default_config_static_selectorELNS0_4arch9wavefront6targetE1EEEvT1_,"axG",@progbits,_ZN7rocprim17ROCPRIM_400000_NS6detail17trampoline_kernelINS0_14default_configENS1_27scan_by_key_config_selectorIssEEZZNS1_16scan_by_key_implILNS1_25lookback_scan_determinismE0ELb1ES3_N6thrust23THRUST_200600_302600_NS6detail15normal_iteratorINS9_10device_ptrIsEEEESE_SE_sNS9_4plusIvEENS9_8equal_toIsEEsEE10hipError_tPvRmT2_T3_T4_T5_mT6_T7_P12ihipStream_tbENKUlT_T0_E_clISt17integral_constantIbLb1EESZ_EEDaSU_SV_EUlSU_E_NS1_11comp_targetILNS1_3genE10ELNS1_11target_archE1200ELNS1_3gpuE4ELNS1_3repE0EEENS1_30default_config_static_selectorELNS0_4arch9wavefront6targetE1EEEvT1_,comdat
.Lfunc_end656:
	.size	_ZN7rocprim17ROCPRIM_400000_NS6detail17trampoline_kernelINS0_14default_configENS1_27scan_by_key_config_selectorIssEEZZNS1_16scan_by_key_implILNS1_25lookback_scan_determinismE0ELb1ES3_N6thrust23THRUST_200600_302600_NS6detail15normal_iteratorINS9_10device_ptrIsEEEESE_SE_sNS9_4plusIvEENS9_8equal_toIsEEsEE10hipError_tPvRmT2_T3_T4_T5_mT6_T7_P12ihipStream_tbENKUlT_T0_E_clISt17integral_constantIbLb1EESZ_EEDaSU_SV_EUlSU_E_NS1_11comp_targetILNS1_3genE10ELNS1_11target_archE1200ELNS1_3gpuE4ELNS1_3repE0EEENS1_30default_config_static_selectorELNS0_4arch9wavefront6targetE1EEEvT1_, .Lfunc_end656-_ZN7rocprim17ROCPRIM_400000_NS6detail17trampoline_kernelINS0_14default_configENS1_27scan_by_key_config_selectorIssEEZZNS1_16scan_by_key_implILNS1_25lookback_scan_determinismE0ELb1ES3_N6thrust23THRUST_200600_302600_NS6detail15normal_iteratorINS9_10device_ptrIsEEEESE_SE_sNS9_4plusIvEENS9_8equal_toIsEEsEE10hipError_tPvRmT2_T3_T4_T5_mT6_T7_P12ihipStream_tbENKUlT_T0_E_clISt17integral_constantIbLb1EESZ_EEDaSU_SV_EUlSU_E_NS1_11comp_targetILNS1_3genE10ELNS1_11target_archE1200ELNS1_3gpuE4ELNS1_3repE0EEENS1_30default_config_static_selectorELNS0_4arch9wavefront6targetE1EEEvT1_
                                        ; -- End function
	.section	.AMDGPU.csdata,"",@progbits
; Kernel info:
; codeLenInByte = 0
; NumSgprs: 6
; NumVgprs: 0
; NumAgprs: 0
; TotalNumVgprs: 0
; ScratchSize: 0
; MemoryBound: 0
; FloatMode: 240
; IeeeMode: 1
; LDSByteSize: 0 bytes/workgroup (compile time only)
; SGPRBlocks: 0
; VGPRBlocks: 0
; NumSGPRsForWavesPerEU: 6
; NumVGPRsForWavesPerEU: 1
; AccumOffset: 4
; Occupancy: 8
; WaveLimiterHint : 0
; COMPUTE_PGM_RSRC2:SCRATCH_EN: 0
; COMPUTE_PGM_RSRC2:USER_SGPR: 2
; COMPUTE_PGM_RSRC2:TRAP_HANDLER: 0
; COMPUTE_PGM_RSRC2:TGID_X_EN: 1
; COMPUTE_PGM_RSRC2:TGID_Y_EN: 0
; COMPUTE_PGM_RSRC2:TGID_Z_EN: 0
; COMPUTE_PGM_RSRC2:TIDIG_COMP_CNT: 0
; COMPUTE_PGM_RSRC3_GFX90A:ACCUM_OFFSET: 0
; COMPUTE_PGM_RSRC3_GFX90A:TG_SPLIT: 0
	.section	.text._ZN7rocprim17ROCPRIM_400000_NS6detail17trampoline_kernelINS0_14default_configENS1_27scan_by_key_config_selectorIssEEZZNS1_16scan_by_key_implILNS1_25lookback_scan_determinismE0ELb1ES3_N6thrust23THRUST_200600_302600_NS6detail15normal_iteratorINS9_10device_ptrIsEEEESE_SE_sNS9_4plusIvEENS9_8equal_toIsEEsEE10hipError_tPvRmT2_T3_T4_T5_mT6_T7_P12ihipStream_tbENKUlT_T0_E_clISt17integral_constantIbLb1EESZ_EEDaSU_SV_EUlSU_E_NS1_11comp_targetILNS1_3genE9ELNS1_11target_archE1100ELNS1_3gpuE3ELNS1_3repE0EEENS1_30default_config_static_selectorELNS0_4arch9wavefront6targetE1EEEvT1_,"axG",@progbits,_ZN7rocprim17ROCPRIM_400000_NS6detail17trampoline_kernelINS0_14default_configENS1_27scan_by_key_config_selectorIssEEZZNS1_16scan_by_key_implILNS1_25lookback_scan_determinismE0ELb1ES3_N6thrust23THRUST_200600_302600_NS6detail15normal_iteratorINS9_10device_ptrIsEEEESE_SE_sNS9_4plusIvEENS9_8equal_toIsEEsEE10hipError_tPvRmT2_T3_T4_T5_mT6_T7_P12ihipStream_tbENKUlT_T0_E_clISt17integral_constantIbLb1EESZ_EEDaSU_SV_EUlSU_E_NS1_11comp_targetILNS1_3genE9ELNS1_11target_archE1100ELNS1_3gpuE3ELNS1_3repE0EEENS1_30default_config_static_selectorELNS0_4arch9wavefront6targetE1EEEvT1_,comdat
	.protected	_ZN7rocprim17ROCPRIM_400000_NS6detail17trampoline_kernelINS0_14default_configENS1_27scan_by_key_config_selectorIssEEZZNS1_16scan_by_key_implILNS1_25lookback_scan_determinismE0ELb1ES3_N6thrust23THRUST_200600_302600_NS6detail15normal_iteratorINS9_10device_ptrIsEEEESE_SE_sNS9_4plusIvEENS9_8equal_toIsEEsEE10hipError_tPvRmT2_T3_T4_T5_mT6_T7_P12ihipStream_tbENKUlT_T0_E_clISt17integral_constantIbLb1EESZ_EEDaSU_SV_EUlSU_E_NS1_11comp_targetILNS1_3genE9ELNS1_11target_archE1100ELNS1_3gpuE3ELNS1_3repE0EEENS1_30default_config_static_selectorELNS0_4arch9wavefront6targetE1EEEvT1_ ; -- Begin function _ZN7rocprim17ROCPRIM_400000_NS6detail17trampoline_kernelINS0_14default_configENS1_27scan_by_key_config_selectorIssEEZZNS1_16scan_by_key_implILNS1_25lookback_scan_determinismE0ELb1ES3_N6thrust23THRUST_200600_302600_NS6detail15normal_iteratorINS9_10device_ptrIsEEEESE_SE_sNS9_4plusIvEENS9_8equal_toIsEEsEE10hipError_tPvRmT2_T3_T4_T5_mT6_T7_P12ihipStream_tbENKUlT_T0_E_clISt17integral_constantIbLb1EESZ_EEDaSU_SV_EUlSU_E_NS1_11comp_targetILNS1_3genE9ELNS1_11target_archE1100ELNS1_3gpuE3ELNS1_3repE0EEENS1_30default_config_static_selectorELNS0_4arch9wavefront6targetE1EEEvT1_
	.globl	_ZN7rocprim17ROCPRIM_400000_NS6detail17trampoline_kernelINS0_14default_configENS1_27scan_by_key_config_selectorIssEEZZNS1_16scan_by_key_implILNS1_25lookback_scan_determinismE0ELb1ES3_N6thrust23THRUST_200600_302600_NS6detail15normal_iteratorINS9_10device_ptrIsEEEESE_SE_sNS9_4plusIvEENS9_8equal_toIsEEsEE10hipError_tPvRmT2_T3_T4_T5_mT6_T7_P12ihipStream_tbENKUlT_T0_E_clISt17integral_constantIbLb1EESZ_EEDaSU_SV_EUlSU_E_NS1_11comp_targetILNS1_3genE9ELNS1_11target_archE1100ELNS1_3gpuE3ELNS1_3repE0EEENS1_30default_config_static_selectorELNS0_4arch9wavefront6targetE1EEEvT1_
	.p2align	8
	.type	_ZN7rocprim17ROCPRIM_400000_NS6detail17trampoline_kernelINS0_14default_configENS1_27scan_by_key_config_selectorIssEEZZNS1_16scan_by_key_implILNS1_25lookback_scan_determinismE0ELb1ES3_N6thrust23THRUST_200600_302600_NS6detail15normal_iteratorINS9_10device_ptrIsEEEESE_SE_sNS9_4plusIvEENS9_8equal_toIsEEsEE10hipError_tPvRmT2_T3_T4_T5_mT6_T7_P12ihipStream_tbENKUlT_T0_E_clISt17integral_constantIbLb1EESZ_EEDaSU_SV_EUlSU_E_NS1_11comp_targetILNS1_3genE9ELNS1_11target_archE1100ELNS1_3gpuE3ELNS1_3repE0EEENS1_30default_config_static_selectorELNS0_4arch9wavefront6targetE1EEEvT1_,@function
_ZN7rocprim17ROCPRIM_400000_NS6detail17trampoline_kernelINS0_14default_configENS1_27scan_by_key_config_selectorIssEEZZNS1_16scan_by_key_implILNS1_25lookback_scan_determinismE0ELb1ES3_N6thrust23THRUST_200600_302600_NS6detail15normal_iteratorINS9_10device_ptrIsEEEESE_SE_sNS9_4plusIvEENS9_8equal_toIsEEsEE10hipError_tPvRmT2_T3_T4_T5_mT6_T7_P12ihipStream_tbENKUlT_T0_E_clISt17integral_constantIbLb1EESZ_EEDaSU_SV_EUlSU_E_NS1_11comp_targetILNS1_3genE9ELNS1_11target_archE1100ELNS1_3gpuE3ELNS1_3repE0EEENS1_30default_config_static_selectorELNS0_4arch9wavefront6targetE1EEEvT1_: ; @_ZN7rocprim17ROCPRIM_400000_NS6detail17trampoline_kernelINS0_14default_configENS1_27scan_by_key_config_selectorIssEEZZNS1_16scan_by_key_implILNS1_25lookback_scan_determinismE0ELb1ES3_N6thrust23THRUST_200600_302600_NS6detail15normal_iteratorINS9_10device_ptrIsEEEESE_SE_sNS9_4plusIvEENS9_8equal_toIsEEsEE10hipError_tPvRmT2_T3_T4_T5_mT6_T7_P12ihipStream_tbENKUlT_T0_E_clISt17integral_constantIbLb1EESZ_EEDaSU_SV_EUlSU_E_NS1_11comp_targetILNS1_3genE9ELNS1_11target_archE1100ELNS1_3gpuE3ELNS1_3repE0EEENS1_30default_config_static_selectorELNS0_4arch9wavefront6targetE1EEEvT1_
; %bb.0:
	.section	.rodata,"a",@progbits
	.p2align	6, 0x0
	.amdhsa_kernel _ZN7rocprim17ROCPRIM_400000_NS6detail17trampoline_kernelINS0_14default_configENS1_27scan_by_key_config_selectorIssEEZZNS1_16scan_by_key_implILNS1_25lookback_scan_determinismE0ELb1ES3_N6thrust23THRUST_200600_302600_NS6detail15normal_iteratorINS9_10device_ptrIsEEEESE_SE_sNS9_4plusIvEENS9_8equal_toIsEEsEE10hipError_tPvRmT2_T3_T4_T5_mT6_T7_P12ihipStream_tbENKUlT_T0_E_clISt17integral_constantIbLb1EESZ_EEDaSU_SV_EUlSU_E_NS1_11comp_targetILNS1_3genE9ELNS1_11target_archE1100ELNS1_3gpuE3ELNS1_3repE0EEENS1_30default_config_static_selectorELNS0_4arch9wavefront6targetE1EEEvT1_
		.amdhsa_group_segment_fixed_size 0
		.amdhsa_private_segment_fixed_size 0
		.amdhsa_kernarg_size 112
		.amdhsa_user_sgpr_count 2
		.amdhsa_user_sgpr_dispatch_ptr 0
		.amdhsa_user_sgpr_queue_ptr 0
		.amdhsa_user_sgpr_kernarg_segment_ptr 1
		.amdhsa_user_sgpr_dispatch_id 0
		.amdhsa_user_sgpr_kernarg_preload_length 0
		.amdhsa_user_sgpr_kernarg_preload_offset 0
		.amdhsa_user_sgpr_private_segment_size 0
		.amdhsa_uses_dynamic_stack 0
		.amdhsa_enable_private_segment 0
		.amdhsa_system_sgpr_workgroup_id_x 1
		.amdhsa_system_sgpr_workgroup_id_y 0
		.amdhsa_system_sgpr_workgroup_id_z 0
		.amdhsa_system_sgpr_workgroup_info 0
		.amdhsa_system_vgpr_workitem_id 0
		.amdhsa_next_free_vgpr 1
		.amdhsa_next_free_sgpr 0
		.amdhsa_accum_offset 4
		.amdhsa_reserve_vcc 0
		.amdhsa_float_round_mode_32 0
		.amdhsa_float_round_mode_16_64 0
		.amdhsa_float_denorm_mode_32 3
		.amdhsa_float_denorm_mode_16_64 3
		.amdhsa_dx10_clamp 1
		.amdhsa_ieee_mode 1
		.amdhsa_fp16_overflow 0
		.amdhsa_tg_split 0
		.amdhsa_exception_fp_ieee_invalid_op 0
		.amdhsa_exception_fp_denorm_src 0
		.amdhsa_exception_fp_ieee_div_zero 0
		.amdhsa_exception_fp_ieee_overflow 0
		.amdhsa_exception_fp_ieee_underflow 0
		.amdhsa_exception_fp_ieee_inexact 0
		.amdhsa_exception_int_div_zero 0
	.end_amdhsa_kernel
	.section	.text._ZN7rocprim17ROCPRIM_400000_NS6detail17trampoline_kernelINS0_14default_configENS1_27scan_by_key_config_selectorIssEEZZNS1_16scan_by_key_implILNS1_25lookback_scan_determinismE0ELb1ES3_N6thrust23THRUST_200600_302600_NS6detail15normal_iteratorINS9_10device_ptrIsEEEESE_SE_sNS9_4plusIvEENS9_8equal_toIsEEsEE10hipError_tPvRmT2_T3_T4_T5_mT6_T7_P12ihipStream_tbENKUlT_T0_E_clISt17integral_constantIbLb1EESZ_EEDaSU_SV_EUlSU_E_NS1_11comp_targetILNS1_3genE9ELNS1_11target_archE1100ELNS1_3gpuE3ELNS1_3repE0EEENS1_30default_config_static_selectorELNS0_4arch9wavefront6targetE1EEEvT1_,"axG",@progbits,_ZN7rocprim17ROCPRIM_400000_NS6detail17trampoline_kernelINS0_14default_configENS1_27scan_by_key_config_selectorIssEEZZNS1_16scan_by_key_implILNS1_25lookback_scan_determinismE0ELb1ES3_N6thrust23THRUST_200600_302600_NS6detail15normal_iteratorINS9_10device_ptrIsEEEESE_SE_sNS9_4plusIvEENS9_8equal_toIsEEsEE10hipError_tPvRmT2_T3_T4_T5_mT6_T7_P12ihipStream_tbENKUlT_T0_E_clISt17integral_constantIbLb1EESZ_EEDaSU_SV_EUlSU_E_NS1_11comp_targetILNS1_3genE9ELNS1_11target_archE1100ELNS1_3gpuE3ELNS1_3repE0EEENS1_30default_config_static_selectorELNS0_4arch9wavefront6targetE1EEEvT1_,comdat
.Lfunc_end657:
	.size	_ZN7rocprim17ROCPRIM_400000_NS6detail17trampoline_kernelINS0_14default_configENS1_27scan_by_key_config_selectorIssEEZZNS1_16scan_by_key_implILNS1_25lookback_scan_determinismE0ELb1ES3_N6thrust23THRUST_200600_302600_NS6detail15normal_iteratorINS9_10device_ptrIsEEEESE_SE_sNS9_4plusIvEENS9_8equal_toIsEEsEE10hipError_tPvRmT2_T3_T4_T5_mT6_T7_P12ihipStream_tbENKUlT_T0_E_clISt17integral_constantIbLb1EESZ_EEDaSU_SV_EUlSU_E_NS1_11comp_targetILNS1_3genE9ELNS1_11target_archE1100ELNS1_3gpuE3ELNS1_3repE0EEENS1_30default_config_static_selectorELNS0_4arch9wavefront6targetE1EEEvT1_, .Lfunc_end657-_ZN7rocprim17ROCPRIM_400000_NS6detail17trampoline_kernelINS0_14default_configENS1_27scan_by_key_config_selectorIssEEZZNS1_16scan_by_key_implILNS1_25lookback_scan_determinismE0ELb1ES3_N6thrust23THRUST_200600_302600_NS6detail15normal_iteratorINS9_10device_ptrIsEEEESE_SE_sNS9_4plusIvEENS9_8equal_toIsEEsEE10hipError_tPvRmT2_T3_T4_T5_mT6_T7_P12ihipStream_tbENKUlT_T0_E_clISt17integral_constantIbLb1EESZ_EEDaSU_SV_EUlSU_E_NS1_11comp_targetILNS1_3genE9ELNS1_11target_archE1100ELNS1_3gpuE3ELNS1_3repE0EEENS1_30default_config_static_selectorELNS0_4arch9wavefront6targetE1EEEvT1_
                                        ; -- End function
	.section	.AMDGPU.csdata,"",@progbits
; Kernel info:
; codeLenInByte = 0
; NumSgprs: 6
; NumVgprs: 0
; NumAgprs: 0
; TotalNumVgprs: 0
; ScratchSize: 0
; MemoryBound: 0
; FloatMode: 240
; IeeeMode: 1
; LDSByteSize: 0 bytes/workgroup (compile time only)
; SGPRBlocks: 0
; VGPRBlocks: 0
; NumSGPRsForWavesPerEU: 6
; NumVGPRsForWavesPerEU: 1
; AccumOffset: 4
; Occupancy: 8
; WaveLimiterHint : 0
; COMPUTE_PGM_RSRC2:SCRATCH_EN: 0
; COMPUTE_PGM_RSRC2:USER_SGPR: 2
; COMPUTE_PGM_RSRC2:TRAP_HANDLER: 0
; COMPUTE_PGM_RSRC2:TGID_X_EN: 1
; COMPUTE_PGM_RSRC2:TGID_Y_EN: 0
; COMPUTE_PGM_RSRC2:TGID_Z_EN: 0
; COMPUTE_PGM_RSRC2:TIDIG_COMP_CNT: 0
; COMPUTE_PGM_RSRC3_GFX90A:ACCUM_OFFSET: 0
; COMPUTE_PGM_RSRC3_GFX90A:TG_SPLIT: 0
	.section	.text._ZN7rocprim17ROCPRIM_400000_NS6detail17trampoline_kernelINS0_14default_configENS1_27scan_by_key_config_selectorIssEEZZNS1_16scan_by_key_implILNS1_25lookback_scan_determinismE0ELb1ES3_N6thrust23THRUST_200600_302600_NS6detail15normal_iteratorINS9_10device_ptrIsEEEESE_SE_sNS9_4plusIvEENS9_8equal_toIsEEsEE10hipError_tPvRmT2_T3_T4_T5_mT6_T7_P12ihipStream_tbENKUlT_T0_E_clISt17integral_constantIbLb1EESZ_EEDaSU_SV_EUlSU_E_NS1_11comp_targetILNS1_3genE8ELNS1_11target_archE1030ELNS1_3gpuE2ELNS1_3repE0EEENS1_30default_config_static_selectorELNS0_4arch9wavefront6targetE1EEEvT1_,"axG",@progbits,_ZN7rocprim17ROCPRIM_400000_NS6detail17trampoline_kernelINS0_14default_configENS1_27scan_by_key_config_selectorIssEEZZNS1_16scan_by_key_implILNS1_25lookback_scan_determinismE0ELb1ES3_N6thrust23THRUST_200600_302600_NS6detail15normal_iteratorINS9_10device_ptrIsEEEESE_SE_sNS9_4plusIvEENS9_8equal_toIsEEsEE10hipError_tPvRmT2_T3_T4_T5_mT6_T7_P12ihipStream_tbENKUlT_T0_E_clISt17integral_constantIbLb1EESZ_EEDaSU_SV_EUlSU_E_NS1_11comp_targetILNS1_3genE8ELNS1_11target_archE1030ELNS1_3gpuE2ELNS1_3repE0EEENS1_30default_config_static_selectorELNS0_4arch9wavefront6targetE1EEEvT1_,comdat
	.protected	_ZN7rocprim17ROCPRIM_400000_NS6detail17trampoline_kernelINS0_14default_configENS1_27scan_by_key_config_selectorIssEEZZNS1_16scan_by_key_implILNS1_25lookback_scan_determinismE0ELb1ES3_N6thrust23THRUST_200600_302600_NS6detail15normal_iteratorINS9_10device_ptrIsEEEESE_SE_sNS9_4plusIvEENS9_8equal_toIsEEsEE10hipError_tPvRmT2_T3_T4_T5_mT6_T7_P12ihipStream_tbENKUlT_T0_E_clISt17integral_constantIbLb1EESZ_EEDaSU_SV_EUlSU_E_NS1_11comp_targetILNS1_3genE8ELNS1_11target_archE1030ELNS1_3gpuE2ELNS1_3repE0EEENS1_30default_config_static_selectorELNS0_4arch9wavefront6targetE1EEEvT1_ ; -- Begin function _ZN7rocprim17ROCPRIM_400000_NS6detail17trampoline_kernelINS0_14default_configENS1_27scan_by_key_config_selectorIssEEZZNS1_16scan_by_key_implILNS1_25lookback_scan_determinismE0ELb1ES3_N6thrust23THRUST_200600_302600_NS6detail15normal_iteratorINS9_10device_ptrIsEEEESE_SE_sNS9_4plusIvEENS9_8equal_toIsEEsEE10hipError_tPvRmT2_T3_T4_T5_mT6_T7_P12ihipStream_tbENKUlT_T0_E_clISt17integral_constantIbLb1EESZ_EEDaSU_SV_EUlSU_E_NS1_11comp_targetILNS1_3genE8ELNS1_11target_archE1030ELNS1_3gpuE2ELNS1_3repE0EEENS1_30default_config_static_selectorELNS0_4arch9wavefront6targetE1EEEvT1_
	.globl	_ZN7rocprim17ROCPRIM_400000_NS6detail17trampoline_kernelINS0_14default_configENS1_27scan_by_key_config_selectorIssEEZZNS1_16scan_by_key_implILNS1_25lookback_scan_determinismE0ELb1ES3_N6thrust23THRUST_200600_302600_NS6detail15normal_iteratorINS9_10device_ptrIsEEEESE_SE_sNS9_4plusIvEENS9_8equal_toIsEEsEE10hipError_tPvRmT2_T3_T4_T5_mT6_T7_P12ihipStream_tbENKUlT_T0_E_clISt17integral_constantIbLb1EESZ_EEDaSU_SV_EUlSU_E_NS1_11comp_targetILNS1_3genE8ELNS1_11target_archE1030ELNS1_3gpuE2ELNS1_3repE0EEENS1_30default_config_static_selectorELNS0_4arch9wavefront6targetE1EEEvT1_
	.p2align	8
	.type	_ZN7rocprim17ROCPRIM_400000_NS6detail17trampoline_kernelINS0_14default_configENS1_27scan_by_key_config_selectorIssEEZZNS1_16scan_by_key_implILNS1_25lookback_scan_determinismE0ELb1ES3_N6thrust23THRUST_200600_302600_NS6detail15normal_iteratorINS9_10device_ptrIsEEEESE_SE_sNS9_4plusIvEENS9_8equal_toIsEEsEE10hipError_tPvRmT2_T3_T4_T5_mT6_T7_P12ihipStream_tbENKUlT_T0_E_clISt17integral_constantIbLb1EESZ_EEDaSU_SV_EUlSU_E_NS1_11comp_targetILNS1_3genE8ELNS1_11target_archE1030ELNS1_3gpuE2ELNS1_3repE0EEENS1_30default_config_static_selectorELNS0_4arch9wavefront6targetE1EEEvT1_,@function
_ZN7rocprim17ROCPRIM_400000_NS6detail17trampoline_kernelINS0_14default_configENS1_27scan_by_key_config_selectorIssEEZZNS1_16scan_by_key_implILNS1_25lookback_scan_determinismE0ELb1ES3_N6thrust23THRUST_200600_302600_NS6detail15normal_iteratorINS9_10device_ptrIsEEEESE_SE_sNS9_4plusIvEENS9_8equal_toIsEEsEE10hipError_tPvRmT2_T3_T4_T5_mT6_T7_P12ihipStream_tbENKUlT_T0_E_clISt17integral_constantIbLb1EESZ_EEDaSU_SV_EUlSU_E_NS1_11comp_targetILNS1_3genE8ELNS1_11target_archE1030ELNS1_3gpuE2ELNS1_3repE0EEENS1_30default_config_static_selectorELNS0_4arch9wavefront6targetE1EEEvT1_: ; @_ZN7rocprim17ROCPRIM_400000_NS6detail17trampoline_kernelINS0_14default_configENS1_27scan_by_key_config_selectorIssEEZZNS1_16scan_by_key_implILNS1_25lookback_scan_determinismE0ELb1ES3_N6thrust23THRUST_200600_302600_NS6detail15normal_iteratorINS9_10device_ptrIsEEEESE_SE_sNS9_4plusIvEENS9_8equal_toIsEEsEE10hipError_tPvRmT2_T3_T4_T5_mT6_T7_P12ihipStream_tbENKUlT_T0_E_clISt17integral_constantIbLb1EESZ_EEDaSU_SV_EUlSU_E_NS1_11comp_targetILNS1_3genE8ELNS1_11target_archE1030ELNS1_3gpuE2ELNS1_3repE0EEENS1_30default_config_static_selectorELNS0_4arch9wavefront6targetE1EEEvT1_
; %bb.0:
	.section	.rodata,"a",@progbits
	.p2align	6, 0x0
	.amdhsa_kernel _ZN7rocprim17ROCPRIM_400000_NS6detail17trampoline_kernelINS0_14default_configENS1_27scan_by_key_config_selectorIssEEZZNS1_16scan_by_key_implILNS1_25lookback_scan_determinismE0ELb1ES3_N6thrust23THRUST_200600_302600_NS6detail15normal_iteratorINS9_10device_ptrIsEEEESE_SE_sNS9_4plusIvEENS9_8equal_toIsEEsEE10hipError_tPvRmT2_T3_T4_T5_mT6_T7_P12ihipStream_tbENKUlT_T0_E_clISt17integral_constantIbLb1EESZ_EEDaSU_SV_EUlSU_E_NS1_11comp_targetILNS1_3genE8ELNS1_11target_archE1030ELNS1_3gpuE2ELNS1_3repE0EEENS1_30default_config_static_selectorELNS0_4arch9wavefront6targetE1EEEvT1_
		.amdhsa_group_segment_fixed_size 0
		.amdhsa_private_segment_fixed_size 0
		.amdhsa_kernarg_size 112
		.amdhsa_user_sgpr_count 2
		.amdhsa_user_sgpr_dispatch_ptr 0
		.amdhsa_user_sgpr_queue_ptr 0
		.amdhsa_user_sgpr_kernarg_segment_ptr 1
		.amdhsa_user_sgpr_dispatch_id 0
		.amdhsa_user_sgpr_kernarg_preload_length 0
		.amdhsa_user_sgpr_kernarg_preload_offset 0
		.amdhsa_user_sgpr_private_segment_size 0
		.amdhsa_uses_dynamic_stack 0
		.amdhsa_enable_private_segment 0
		.amdhsa_system_sgpr_workgroup_id_x 1
		.amdhsa_system_sgpr_workgroup_id_y 0
		.amdhsa_system_sgpr_workgroup_id_z 0
		.amdhsa_system_sgpr_workgroup_info 0
		.amdhsa_system_vgpr_workitem_id 0
		.amdhsa_next_free_vgpr 1
		.amdhsa_next_free_sgpr 0
		.amdhsa_accum_offset 4
		.amdhsa_reserve_vcc 0
		.amdhsa_float_round_mode_32 0
		.amdhsa_float_round_mode_16_64 0
		.amdhsa_float_denorm_mode_32 3
		.amdhsa_float_denorm_mode_16_64 3
		.amdhsa_dx10_clamp 1
		.amdhsa_ieee_mode 1
		.amdhsa_fp16_overflow 0
		.amdhsa_tg_split 0
		.amdhsa_exception_fp_ieee_invalid_op 0
		.amdhsa_exception_fp_denorm_src 0
		.amdhsa_exception_fp_ieee_div_zero 0
		.amdhsa_exception_fp_ieee_overflow 0
		.amdhsa_exception_fp_ieee_underflow 0
		.amdhsa_exception_fp_ieee_inexact 0
		.amdhsa_exception_int_div_zero 0
	.end_amdhsa_kernel
	.section	.text._ZN7rocprim17ROCPRIM_400000_NS6detail17trampoline_kernelINS0_14default_configENS1_27scan_by_key_config_selectorIssEEZZNS1_16scan_by_key_implILNS1_25lookback_scan_determinismE0ELb1ES3_N6thrust23THRUST_200600_302600_NS6detail15normal_iteratorINS9_10device_ptrIsEEEESE_SE_sNS9_4plusIvEENS9_8equal_toIsEEsEE10hipError_tPvRmT2_T3_T4_T5_mT6_T7_P12ihipStream_tbENKUlT_T0_E_clISt17integral_constantIbLb1EESZ_EEDaSU_SV_EUlSU_E_NS1_11comp_targetILNS1_3genE8ELNS1_11target_archE1030ELNS1_3gpuE2ELNS1_3repE0EEENS1_30default_config_static_selectorELNS0_4arch9wavefront6targetE1EEEvT1_,"axG",@progbits,_ZN7rocprim17ROCPRIM_400000_NS6detail17trampoline_kernelINS0_14default_configENS1_27scan_by_key_config_selectorIssEEZZNS1_16scan_by_key_implILNS1_25lookback_scan_determinismE0ELb1ES3_N6thrust23THRUST_200600_302600_NS6detail15normal_iteratorINS9_10device_ptrIsEEEESE_SE_sNS9_4plusIvEENS9_8equal_toIsEEsEE10hipError_tPvRmT2_T3_T4_T5_mT6_T7_P12ihipStream_tbENKUlT_T0_E_clISt17integral_constantIbLb1EESZ_EEDaSU_SV_EUlSU_E_NS1_11comp_targetILNS1_3genE8ELNS1_11target_archE1030ELNS1_3gpuE2ELNS1_3repE0EEENS1_30default_config_static_selectorELNS0_4arch9wavefront6targetE1EEEvT1_,comdat
.Lfunc_end658:
	.size	_ZN7rocprim17ROCPRIM_400000_NS6detail17trampoline_kernelINS0_14default_configENS1_27scan_by_key_config_selectorIssEEZZNS1_16scan_by_key_implILNS1_25lookback_scan_determinismE0ELb1ES3_N6thrust23THRUST_200600_302600_NS6detail15normal_iteratorINS9_10device_ptrIsEEEESE_SE_sNS9_4plusIvEENS9_8equal_toIsEEsEE10hipError_tPvRmT2_T3_T4_T5_mT6_T7_P12ihipStream_tbENKUlT_T0_E_clISt17integral_constantIbLb1EESZ_EEDaSU_SV_EUlSU_E_NS1_11comp_targetILNS1_3genE8ELNS1_11target_archE1030ELNS1_3gpuE2ELNS1_3repE0EEENS1_30default_config_static_selectorELNS0_4arch9wavefront6targetE1EEEvT1_, .Lfunc_end658-_ZN7rocprim17ROCPRIM_400000_NS6detail17trampoline_kernelINS0_14default_configENS1_27scan_by_key_config_selectorIssEEZZNS1_16scan_by_key_implILNS1_25lookback_scan_determinismE0ELb1ES3_N6thrust23THRUST_200600_302600_NS6detail15normal_iteratorINS9_10device_ptrIsEEEESE_SE_sNS9_4plusIvEENS9_8equal_toIsEEsEE10hipError_tPvRmT2_T3_T4_T5_mT6_T7_P12ihipStream_tbENKUlT_T0_E_clISt17integral_constantIbLb1EESZ_EEDaSU_SV_EUlSU_E_NS1_11comp_targetILNS1_3genE8ELNS1_11target_archE1030ELNS1_3gpuE2ELNS1_3repE0EEENS1_30default_config_static_selectorELNS0_4arch9wavefront6targetE1EEEvT1_
                                        ; -- End function
	.section	.AMDGPU.csdata,"",@progbits
; Kernel info:
; codeLenInByte = 0
; NumSgprs: 6
; NumVgprs: 0
; NumAgprs: 0
; TotalNumVgprs: 0
; ScratchSize: 0
; MemoryBound: 0
; FloatMode: 240
; IeeeMode: 1
; LDSByteSize: 0 bytes/workgroup (compile time only)
; SGPRBlocks: 0
; VGPRBlocks: 0
; NumSGPRsForWavesPerEU: 6
; NumVGPRsForWavesPerEU: 1
; AccumOffset: 4
; Occupancy: 8
; WaveLimiterHint : 0
; COMPUTE_PGM_RSRC2:SCRATCH_EN: 0
; COMPUTE_PGM_RSRC2:USER_SGPR: 2
; COMPUTE_PGM_RSRC2:TRAP_HANDLER: 0
; COMPUTE_PGM_RSRC2:TGID_X_EN: 1
; COMPUTE_PGM_RSRC2:TGID_Y_EN: 0
; COMPUTE_PGM_RSRC2:TGID_Z_EN: 0
; COMPUTE_PGM_RSRC2:TIDIG_COMP_CNT: 0
; COMPUTE_PGM_RSRC3_GFX90A:ACCUM_OFFSET: 0
; COMPUTE_PGM_RSRC3_GFX90A:TG_SPLIT: 0
	.section	.text._ZN7rocprim17ROCPRIM_400000_NS6detail17trampoline_kernelINS0_14default_configENS1_27scan_by_key_config_selectorIssEEZZNS1_16scan_by_key_implILNS1_25lookback_scan_determinismE0ELb1ES3_N6thrust23THRUST_200600_302600_NS6detail15normal_iteratorINS9_10device_ptrIsEEEESE_SE_sNS9_4plusIvEENS9_8equal_toIsEEsEE10hipError_tPvRmT2_T3_T4_T5_mT6_T7_P12ihipStream_tbENKUlT_T0_E_clISt17integral_constantIbLb1EESY_IbLb0EEEEDaSU_SV_EUlSU_E_NS1_11comp_targetILNS1_3genE0ELNS1_11target_archE4294967295ELNS1_3gpuE0ELNS1_3repE0EEENS1_30default_config_static_selectorELNS0_4arch9wavefront6targetE1EEEvT1_,"axG",@progbits,_ZN7rocprim17ROCPRIM_400000_NS6detail17trampoline_kernelINS0_14default_configENS1_27scan_by_key_config_selectorIssEEZZNS1_16scan_by_key_implILNS1_25lookback_scan_determinismE0ELb1ES3_N6thrust23THRUST_200600_302600_NS6detail15normal_iteratorINS9_10device_ptrIsEEEESE_SE_sNS9_4plusIvEENS9_8equal_toIsEEsEE10hipError_tPvRmT2_T3_T4_T5_mT6_T7_P12ihipStream_tbENKUlT_T0_E_clISt17integral_constantIbLb1EESY_IbLb0EEEEDaSU_SV_EUlSU_E_NS1_11comp_targetILNS1_3genE0ELNS1_11target_archE4294967295ELNS1_3gpuE0ELNS1_3repE0EEENS1_30default_config_static_selectorELNS0_4arch9wavefront6targetE1EEEvT1_,comdat
	.protected	_ZN7rocprim17ROCPRIM_400000_NS6detail17trampoline_kernelINS0_14default_configENS1_27scan_by_key_config_selectorIssEEZZNS1_16scan_by_key_implILNS1_25lookback_scan_determinismE0ELb1ES3_N6thrust23THRUST_200600_302600_NS6detail15normal_iteratorINS9_10device_ptrIsEEEESE_SE_sNS9_4plusIvEENS9_8equal_toIsEEsEE10hipError_tPvRmT2_T3_T4_T5_mT6_T7_P12ihipStream_tbENKUlT_T0_E_clISt17integral_constantIbLb1EESY_IbLb0EEEEDaSU_SV_EUlSU_E_NS1_11comp_targetILNS1_3genE0ELNS1_11target_archE4294967295ELNS1_3gpuE0ELNS1_3repE0EEENS1_30default_config_static_selectorELNS0_4arch9wavefront6targetE1EEEvT1_ ; -- Begin function _ZN7rocprim17ROCPRIM_400000_NS6detail17trampoline_kernelINS0_14default_configENS1_27scan_by_key_config_selectorIssEEZZNS1_16scan_by_key_implILNS1_25lookback_scan_determinismE0ELb1ES3_N6thrust23THRUST_200600_302600_NS6detail15normal_iteratorINS9_10device_ptrIsEEEESE_SE_sNS9_4plusIvEENS9_8equal_toIsEEsEE10hipError_tPvRmT2_T3_T4_T5_mT6_T7_P12ihipStream_tbENKUlT_T0_E_clISt17integral_constantIbLb1EESY_IbLb0EEEEDaSU_SV_EUlSU_E_NS1_11comp_targetILNS1_3genE0ELNS1_11target_archE4294967295ELNS1_3gpuE0ELNS1_3repE0EEENS1_30default_config_static_selectorELNS0_4arch9wavefront6targetE1EEEvT1_
	.globl	_ZN7rocprim17ROCPRIM_400000_NS6detail17trampoline_kernelINS0_14default_configENS1_27scan_by_key_config_selectorIssEEZZNS1_16scan_by_key_implILNS1_25lookback_scan_determinismE0ELb1ES3_N6thrust23THRUST_200600_302600_NS6detail15normal_iteratorINS9_10device_ptrIsEEEESE_SE_sNS9_4plusIvEENS9_8equal_toIsEEsEE10hipError_tPvRmT2_T3_T4_T5_mT6_T7_P12ihipStream_tbENKUlT_T0_E_clISt17integral_constantIbLb1EESY_IbLb0EEEEDaSU_SV_EUlSU_E_NS1_11comp_targetILNS1_3genE0ELNS1_11target_archE4294967295ELNS1_3gpuE0ELNS1_3repE0EEENS1_30default_config_static_selectorELNS0_4arch9wavefront6targetE1EEEvT1_
	.p2align	8
	.type	_ZN7rocprim17ROCPRIM_400000_NS6detail17trampoline_kernelINS0_14default_configENS1_27scan_by_key_config_selectorIssEEZZNS1_16scan_by_key_implILNS1_25lookback_scan_determinismE0ELb1ES3_N6thrust23THRUST_200600_302600_NS6detail15normal_iteratorINS9_10device_ptrIsEEEESE_SE_sNS9_4plusIvEENS9_8equal_toIsEEsEE10hipError_tPvRmT2_T3_T4_T5_mT6_T7_P12ihipStream_tbENKUlT_T0_E_clISt17integral_constantIbLb1EESY_IbLb0EEEEDaSU_SV_EUlSU_E_NS1_11comp_targetILNS1_3genE0ELNS1_11target_archE4294967295ELNS1_3gpuE0ELNS1_3repE0EEENS1_30default_config_static_selectorELNS0_4arch9wavefront6targetE1EEEvT1_,@function
_ZN7rocprim17ROCPRIM_400000_NS6detail17trampoline_kernelINS0_14default_configENS1_27scan_by_key_config_selectorIssEEZZNS1_16scan_by_key_implILNS1_25lookback_scan_determinismE0ELb1ES3_N6thrust23THRUST_200600_302600_NS6detail15normal_iteratorINS9_10device_ptrIsEEEESE_SE_sNS9_4plusIvEENS9_8equal_toIsEEsEE10hipError_tPvRmT2_T3_T4_T5_mT6_T7_P12ihipStream_tbENKUlT_T0_E_clISt17integral_constantIbLb1EESY_IbLb0EEEEDaSU_SV_EUlSU_E_NS1_11comp_targetILNS1_3genE0ELNS1_11target_archE4294967295ELNS1_3gpuE0ELNS1_3repE0EEENS1_30default_config_static_selectorELNS0_4arch9wavefront6targetE1EEEvT1_: ; @_ZN7rocprim17ROCPRIM_400000_NS6detail17trampoline_kernelINS0_14default_configENS1_27scan_by_key_config_selectorIssEEZZNS1_16scan_by_key_implILNS1_25lookback_scan_determinismE0ELb1ES3_N6thrust23THRUST_200600_302600_NS6detail15normal_iteratorINS9_10device_ptrIsEEEESE_SE_sNS9_4plusIvEENS9_8equal_toIsEEsEE10hipError_tPvRmT2_T3_T4_T5_mT6_T7_P12ihipStream_tbENKUlT_T0_E_clISt17integral_constantIbLb1EESY_IbLb0EEEEDaSU_SV_EUlSU_E_NS1_11comp_targetILNS1_3genE0ELNS1_11target_archE4294967295ELNS1_3gpuE0ELNS1_3repE0EEENS1_30default_config_static_selectorELNS0_4arch9wavefront6targetE1EEEvT1_
; %bb.0:
	.section	.rodata,"a",@progbits
	.p2align	6, 0x0
	.amdhsa_kernel _ZN7rocprim17ROCPRIM_400000_NS6detail17trampoline_kernelINS0_14default_configENS1_27scan_by_key_config_selectorIssEEZZNS1_16scan_by_key_implILNS1_25lookback_scan_determinismE0ELb1ES3_N6thrust23THRUST_200600_302600_NS6detail15normal_iteratorINS9_10device_ptrIsEEEESE_SE_sNS9_4plusIvEENS9_8equal_toIsEEsEE10hipError_tPvRmT2_T3_T4_T5_mT6_T7_P12ihipStream_tbENKUlT_T0_E_clISt17integral_constantIbLb1EESY_IbLb0EEEEDaSU_SV_EUlSU_E_NS1_11comp_targetILNS1_3genE0ELNS1_11target_archE4294967295ELNS1_3gpuE0ELNS1_3repE0EEENS1_30default_config_static_selectorELNS0_4arch9wavefront6targetE1EEEvT1_
		.amdhsa_group_segment_fixed_size 0
		.amdhsa_private_segment_fixed_size 0
		.amdhsa_kernarg_size 112
		.amdhsa_user_sgpr_count 2
		.amdhsa_user_sgpr_dispatch_ptr 0
		.amdhsa_user_sgpr_queue_ptr 0
		.amdhsa_user_sgpr_kernarg_segment_ptr 1
		.amdhsa_user_sgpr_dispatch_id 0
		.amdhsa_user_sgpr_kernarg_preload_length 0
		.amdhsa_user_sgpr_kernarg_preload_offset 0
		.amdhsa_user_sgpr_private_segment_size 0
		.amdhsa_uses_dynamic_stack 0
		.amdhsa_enable_private_segment 0
		.amdhsa_system_sgpr_workgroup_id_x 1
		.amdhsa_system_sgpr_workgroup_id_y 0
		.amdhsa_system_sgpr_workgroup_id_z 0
		.amdhsa_system_sgpr_workgroup_info 0
		.amdhsa_system_vgpr_workitem_id 0
		.amdhsa_next_free_vgpr 1
		.amdhsa_next_free_sgpr 0
		.amdhsa_accum_offset 4
		.amdhsa_reserve_vcc 0
		.amdhsa_float_round_mode_32 0
		.amdhsa_float_round_mode_16_64 0
		.amdhsa_float_denorm_mode_32 3
		.amdhsa_float_denorm_mode_16_64 3
		.amdhsa_dx10_clamp 1
		.amdhsa_ieee_mode 1
		.amdhsa_fp16_overflow 0
		.amdhsa_tg_split 0
		.amdhsa_exception_fp_ieee_invalid_op 0
		.amdhsa_exception_fp_denorm_src 0
		.amdhsa_exception_fp_ieee_div_zero 0
		.amdhsa_exception_fp_ieee_overflow 0
		.amdhsa_exception_fp_ieee_underflow 0
		.amdhsa_exception_fp_ieee_inexact 0
		.amdhsa_exception_int_div_zero 0
	.end_amdhsa_kernel
	.section	.text._ZN7rocprim17ROCPRIM_400000_NS6detail17trampoline_kernelINS0_14default_configENS1_27scan_by_key_config_selectorIssEEZZNS1_16scan_by_key_implILNS1_25lookback_scan_determinismE0ELb1ES3_N6thrust23THRUST_200600_302600_NS6detail15normal_iteratorINS9_10device_ptrIsEEEESE_SE_sNS9_4plusIvEENS9_8equal_toIsEEsEE10hipError_tPvRmT2_T3_T4_T5_mT6_T7_P12ihipStream_tbENKUlT_T0_E_clISt17integral_constantIbLb1EESY_IbLb0EEEEDaSU_SV_EUlSU_E_NS1_11comp_targetILNS1_3genE0ELNS1_11target_archE4294967295ELNS1_3gpuE0ELNS1_3repE0EEENS1_30default_config_static_selectorELNS0_4arch9wavefront6targetE1EEEvT1_,"axG",@progbits,_ZN7rocprim17ROCPRIM_400000_NS6detail17trampoline_kernelINS0_14default_configENS1_27scan_by_key_config_selectorIssEEZZNS1_16scan_by_key_implILNS1_25lookback_scan_determinismE0ELb1ES3_N6thrust23THRUST_200600_302600_NS6detail15normal_iteratorINS9_10device_ptrIsEEEESE_SE_sNS9_4plusIvEENS9_8equal_toIsEEsEE10hipError_tPvRmT2_T3_T4_T5_mT6_T7_P12ihipStream_tbENKUlT_T0_E_clISt17integral_constantIbLb1EESY_IbLb0EEEEDaSU_SV_EUlSU_E_NS1_11comp_targetILNS1_3genE0ELNS1_11target_archE4294967295ELNS1_3gpuE0ELNS1_3repE0EEENS1_30default_config_static_selectorELNS0_4arch9wavefront6targetE1EEEvT1_,comdat
.Lfunc_end659:
	.size	_ZN7rocprim17ROCPRIM_400000_NS6detail17trampoline_kernelINS0_14default_configENS1_27scan_by_key_config_selectorIssEEZZNS1_16scan_by_key_implILNS1_25lookback_scan_determinismE0ELb1ES3_N6thrust23THRUST_200600_302600_NS6detail15normal_iteratorINS9_10device_ptrIsEEEESE_SE_sNS9_4plusIvEENS9_8equal_toIsEEsEE10hipError_tPvRmT2_T3_T4_T5_mT6_T7_P12ihipStream_tbENKUlT_T0_E_clISt17integral_constantIbLb1EESY_IbLb0EEEEDaSU_SV_EUlSU_E_NS1_11comp_targetILNS1_3genE0ELNS1_11target_archE4294967295ELNS1_3gpuE0ELNS1_3repE0EEENS1_30default_config_static_selectorELNS0_4arch9wavefront6targetE1EEEvT1_, .Lfunc_end659-_ZN7rocprim17ROCPRIM_400000_NS6detail17trampoline_kernelINS0_14default_configENS1_27scan_by_key_config_selectorIssEEZZNS1_16scan_by_key_implILNS1_25lookback_scan_determinismE0ELb1ES3_N6thrust23THRUST_200600_302600_NS6detail15normal_iteratorINS9_10device_ptrIsEEEESE_SE_sNS9_4plusIvEENS9_8equal_toIsEEsEE10hipError_tPvRmT2_T3_T4_T5_mT6_T7_P12ihipStream_tbENKUlT_T0_E_clISt17integral_constantIbLb1EESY_IbLb0EEEEDaSU_SV_EUlSU_E_NS1_11comp_targetILNS1_3genE0ELNS1_11target_archE4294967295ELNS1_3gpuE0ELNS1_3repE0EEENS1_30default_config_static_selectorELNS0_4arch9wavefront6targetE1EEEvT1_
                                        ; -- End function
	.section	.AMDGPU.csdata,"",@progbits
; Kernel info:
; codeLenInByte = 0
; NumSgprs: 6
; NumVgprs: 0
; NumAgprs: 0
; TotalNumVgprs: 0
; ScratchSize: 0
; MemoryBound: 0
; FloatMode: 240
; IeeeMode: 1
; LDSByteSize: 0 bytes/workgroup (compile time only)
; SGPRBlocks: 0
; VGPRBlocks: 0
; NumSGPRsForWavesPerEU: 6
; NumVGPRsForWavesPerEU: 1
; AccumOffset: 4
; Occupancy: 8
; WaveLimiterHint : 0
; COMPUTE_PGM_RSRC2:SCRATCH_EN: 0
; COMPUTE_PGM_RSRC2:USER_SGPR: 2
; COMPUTE_PGM_RSRC2:TRAP_HANDLER: 0
; COMPUTE_PGM_RSRC2:TGID_X_EN: 1
; COMPUTE_PGM_RSRC2:TGID_Y_EN: 0
; COMPUTE_PGM_RSRC2:TGID_Z_EN: 0
; COMPUTE_PGM_RSRC2:TIDIG_COMP_CNT: 0
; COMPUTE_PGM_RSRC3_GFX90A:ACCUM_OFFSET: 0
; COMPUTE_PGM_RSRC3_GFX90A:TG_SPLIT: 0
	.section	.text._ZN7rocprim17ROCPRIM_400000_NS6detail17trampoline_kernelINS0_14default_configENS1_27scan_by_key_config_selectorIssEEZZNS1_16scan_by_key_implILNS1_25lookback_scan_determinismE0ELb1ES3_N6thrust23THRUST_200600_302600_NS6detail15normal_iteratorINS9_10device_ptrIsEEEESE_SE_sNS9_4plusIvEENS9_8equal_toIsEEsEE10hipError_tPvRmT2_T3_T4_T5_mT6_T7_P12ihipStream_tbENKUlT_T0_E_clISt17integral_constantIbLb1EESY_IbLb0EEEEDaSU_SV_EUlSU_E_NS1_11comp_targetILNS1_3genE10ELNS1_11target_archE1201ELNS1_3gpuE5ELNS1_3repE0EEENS1_30default_config_static_selectorELNS0_4arch9wavefront6targetE1EEEvT1_,"axG",@progbits,_ZN7rocprim17ROCPRIM_400000_NS6detail17trampoline_kernelINS0_14default_configENS1_27scan_by_key_config_selectorIssEEZZNS1_16scan_by_key_implILNS1_25lookback_scan_determinismE0ELb1ES3_N6thrust23THRUST_200600_302600_NS6detail15normal_iteratorINS9_10device_ptrIsEEEESE_SE_sNS9_4plusIvEENS9_8equal_toIsEEsEE10hipError_tPvRmT2_T3_T4_T5_mT6_T7_P12ihipStream_tbENKUlT_T0_E_clISt17integral_constantIbLb1EESY_IbLb0EEEEDaSU_SV_EUlSU_E_NS1_11comp_targetILNS1_3genE10ELNS1_11target_archE1201ELNS1_3gpuE5ELNS1_3repE0EEENS1_30default_config_static_selectorELNS0_4arch9wavefront6targetE1EEEvT1_,comdat
	.protected	_ZN7rocprim17ROCPRIM_400000_NS6detail17trampoline_kernelINS0_14default_configENS1_27scan_by_key_config_selectorIssEEZZNS1_16scan_by_key_implILNS1_25lookback_scan_determinismE0ELb1ES3_N6thrust23THRUST_200600_302600_NS6detail15normal_iteratorINS9_10device_ptrIsEEEESE_SE_sNS9_4plusIvEENS9_8equal_toIsEEsEE10hipError_tPvRmT2_T3_T4_T5_mT6_T7_P12ihipStream_tbENKUlT_T0_E_clISt17integral_constantIbLb1EESY_IbLb0EEEEDaSU_SV_EUlSU_E_NS1_11comp_targetILNS1_3genE10ELNS1_11target_archE1201ELNS1_3gpuE5ELNS1_3repE0EEENS1_30default_config_static_selectorELNS0_4arch9wavefront6targetE1EEEvT1_ ; -- Begin function _ZN7rocprim17ROCPRIM_400000_NS6detail17trampoline_kernelINS0_14default_configENS1_27scan_by_key_config_selectorIssEEZZNS1_16scan_by_key_implILNS1_25lookback_scan_determinismE0ELb1ES3_N6thrust23THRUST_200600_302600_NS6detail15normal_iteratorINS9_10device_ptrIsEEEESE_SE_sNS9_4plusIvEENS9_8equal_toIsEEsEE10hipError_tPvRmT2_T3_T4_T5_mT6_T7_P12ihipStream_tbENKUlT_T0_E_clISt17integral_constantIbLb1EESY_IbLb0EEEEDaSU_SV_EUlSU_E_NS1_11comp_targetILNS1_3genE10ELNS1_11target_archE1201ELNS1_3gpuE5ELNS1_3repE0EEENS1_30default_config_static_selectorELNS0_4arch9wavefront6targetE1EEEvT1_
	.globl	_ZN7rocprim17ROCPRIM_400000_NS6detail17trampoline_kernelINS0_14default_configENS1_27scan_by_key_config_selectorIssEEZZNS1_16scan_by_key_implILNS1_25lookback_scan_determinismE0ELb1ES3_N6thrust23THRUST_200600_302600_NS6detail15normal_iteratorINS9_10device_ptrIsEEEESE_SE_sNS9_4plusIvEENS9_8equal_toIsEEsEE10hipError_tPvRmT2_T3_T4_T5_mT6_T7_P12ihipStream_tbENKUlT_T0_E_clISt17integral_constantIbLb1EESY_IbLb0EEEEDaSU_SV_EUlSU_E_NS1_11comp_targetILNS1_3genE10ELNS1_11target_archE1201ELNS1_3gpuE5ELNS1_3repE0EEENS1_30default_config_static_selectorELNS0_4arch9wavefront6targetE1EEEvT1_
	.p2align	8
	.type	_ZN7rocprim17ROCPRIM_400000_NS6detail17trampoline_kernelINS0_14default_configENS1_27scan_by_key_config_selectorIssEEZZNS1_16scan_by_key_implILNS1_25lookback_scan_determinismE0ELb1ES3_N6thrust23THRUST_200600_302600_NS6detail15normal_iteratorINS9_10device_ptrIsEEEESE_SE_sNS9_4plusIvEENS9_8equal_toIsEEsEE10hipError_tPvRmT2_T3_T4_T5_mT6_T7_P12ihipStream_tbENKUlT_T0_E_clISt17integral_constantIbLb1EESY_IbLb0EEEEDaSU_SV_EUlSU_E_NS1_11comp_targetILNS1_3genE10ELNS1_11target_archE1201ELNS1_3gpuE5ELNS1_3repE0EEENS1_30default_config_static_selectorELNS0_4arch9wavefront6targetE1EEEvT1_,@function
_ZN7rocprim17ROCPRIM_400000_NS6detail17trampoline_kernelINS0_14default_configENS1_27scan_by_key_config_selectorIssEEZZNS1_16scan_by_key_implILNS1_25lookback_scan_determinismE0ELb1ES3_N6thrust23THRUST_200600_302600_NS6detail15normal_iteratorINS9_10device_ptrIsEEEESE_SE_sNS9_4plusIvEENS9_8equal_toIsEEsEE10hipError_tPvRmT2_T3_T4_T5_mT6_T7_P12ihipStream_tbENKUlT_T0_E_clISt17integral_constantIbLb1EESY_IbLb0EEEEDaSU_SV_EUlSU_E_NS1_11comp_targetILNS1_3genE10ELNS1_11target_archE1201ELNS1_3gpuE5ELNS1_3repE0EEENS1_30default_config_static_selectorELNS0_4arch9wavefront6targetE1EEEvT1_: ; @_ZN7rocprim17ROCPRIM_400000_NS6detail17trampoline_kernelINS0_14default_configENS1_27scan_by_key_config_selectorIssEEZZNS1_16scan_by_key_implILNS1_25lookback_scan_determinismE0ELb1ES3_N6thrust23THRUST_200600_302600_NS6detail15normal_iteratorINS9_10device_ptrIsEEEESE_SE_sNS9_4plusIvEENS9_8equal_toIsEEsEE10hipError_tPvRmT2_T3_T4_T5_mT6_T7_P12ihipStream_tbENKUlT_T0_E_clISt17integral_constantIbLb1EESY_IbLb0EEEEDaSU_SV_EUlSU_E_NS1_11comp_targetILNS1_3genE10ELNS1_11target_archE1201ELNS1_3gpuE5ELNS1_3repE0EEENS1_30default_config_static_selectorELNS0_4arch9wavefront6targetE1EEEvT1_
; %bb.0:
	.section	.rodata,"a",@progbits
	.p2align	6, 0x0
	.amdhsa_kernel _ZN7rocprim17ROCPRIM_400000_NS6detail17trampoline_kernelINS0_14default_configENS1_27scan_by_key_config_selectorIssEEZZNS1_16scan_by_key_implILNS1_25lookback_scan_determinismE0ELb1ES3_N6thrust23THRUST_200600_302600_NS6detail15normal_iteratorINS9_10device_ptrIsEEEESE_SE_sNS9_4plusIvEENS9_8equal_toIsEEsEE10hipError_tPvRmT2_T3_T4_T5_mT6_T7_P12ihipStream_tbENKUlT_T0_E_clISt17integral_constantIbLb1EESY_IbLb0EEEEDaSU_SV_EUlSU_E_NS1_11comp_targetILNS1_3genE10ELNS1_11target_archE1201ELNS1_3gpuE5ELNS1_3repE0EEENS1_30default_config_static_selectorELNS0_4arch9wavefront6targetE1EEEvT1_
		.amdhsa_group_segment_fixed_size 0
		.amdhsa_private_segment_fixed_size 0
		.amdhsa_kernarg_size 112
		.amdhsa_user_sgpr_count 2
		.amdhsa_user_sgpr_dispatch_ptr 0
		.amdhsa_user_sgpr_queue_ptr 0
		.amdhsa_user_sgpr_kernarg_segment_ptr 1
		.amdhsa_user_sgpr_dispatch_id 0
		.amdhsa_user_sgpr_kernarg_preload_length 0
		.amdhsa_user_sgpr_kernarg_preload_offset 0
		.amdhsa_user_sgpr_private_segment_size 0
		.amdhsa_uses_dynamic_stack 0
		.amdhsa_enable_private_segment 0
		.amdhsa_system_sgpr_workgroup_id_x 1
		.amdhsa_system_sgpr_workgroup_id_y 0
		.amdhsa_system_sgpr_workgroup_id_z 0
		.amdhsa_system_sgpr_workgroup_info 0
		.amdhsa_system_vgpr_workitem_id 0
		.amdhsa_next_free_vgpr 1
		.amdhsa_next_free_sgpr 0
		.amdhsa_accum_offset 4
		.amdhsa_reserve_vcc 0
		.amdhsa_float_round_mode_32 0
		.amdhsa_float_round_mode_16_64 0
		.amdhsa_float_denorm_mode_32 3
		.amdhsa_float_denorm_mode_16_64 3
		.amdhsa_dx10_clamp 1
		.amdhsa_ieee_mode 1
		.amdhsa_fp16_overflow 0
		.amdhsa_tg_split 0
		.amdhsa_exception_fp_ieee_invalid_op 0
		.amdhsa_exception_fp_denorm_src 0
		.amdhsa_exception_fp_ieee_div_zero 0
		.amdhsa_exception_fp_ieee_overflow 0
		.amdhsa_exception_fp_ieee_underflow 0
		.amdhsa_exception_fp_ieee_inexact 0
		.amdhsa_exception_int_div_zero 0
	.end_amdhsa_kernel
	.section	.text._ZN7rocprim17ROCPRIM_400000_NS6detail17trampoline_kernelINS0_14default_configENS1_27scan_by_key_config_selectorIssEEZZNS1_16scan_by_key_implILNS1_25lookback_scan_determinismE0ELb1ES3_N6thrust23THRUST_200600_302600_NS6detail15normal_iteratorINS9_10device_ptrIsEEEESE_SE_sNS9_4plusIvEENS9_8equal_toIsEEsEE10hipError_tPvRmT2_T3_T4_T5_mT6_T7_P12ihipStream_tbENKUlT_T0_E_clISt17integral_constantIbLb1EESY_IbLb0EEEEDaSU_SV_EUlSU_E_NS1_11comp_targetILNS1_3genE10ELNS1_11target_archE1201ELNS1_3gpuE5ELNS1_3repE0EEENS1_30default_config_static_selectorELNS0_4arch9wavefront6targetE1EEEvT1_,"axG",@progbits,_ZN7rocprim17ROCPRIM_400000_NS6detail17trampoline_kernelINS0_14default_configENS1_27scan_by_key_config_selectorIssEEZZNS1_16scan_by_key_implILNS1_25lookback_scan_determinismE0ELb1ES3_N6thrust23THRUST_200600_302600_NS6detail15normal_iteratorINS9_10device_ptrIsEEEESE_SE_sNS9_4plusIvEENS9_8equal_toIsEEsEE10hipError_tPvRmT2_T3_T4_T5_mT6_T7_P12ihipStream_tbENKUlT_T0_E_clISt17integral_constantIbLb1EESY_IbLb0EEEEDaSU_SV_EUlSU_E_NS1_11comp_targetILNS1_3genE10ELNS1_11target_archE1201ELNS1_3gpuE5ELNS1_3repE0EEENS1_30default_config_static_selectorELNS0_4arch9wavefront6targetE1EEEvT1_,comdat
.Lfunc_end660:
	.size	_ZN7rocprim17ROCPRIM_400000_NS6detail17trampoline_kernelINS0_14default_configENS1_27scan_by_key_config_selectorIssEEZZNS1_16scan_by_key_implILNS1_25lookback_scan_determinismE0ELb1ES3_N6thrust23THRUST_200600_302600_NS6detail15normal_iteratorINS9_10device_ptrIsEEEESE_SE_sNS9_4plusIvEENS9_8equal_toIsEEsEE10hipError_tPvRmT2_T3_T4_T5_mT6_T7_P12ihipStream_tbENKUlT_T0_E_clISt17integral_constantIbLb1EESY_IbLb0EEEEDaSU_SV_EUlSU_E_NS1_11comp_targetILNS1_3genE10ELNS1_11target_archE1201ELNS1_3gpuE5ELNS1_3repE0EEENS1_30default_config_static_selectorELNS0_4arch9wavefront6targetE1EEEvT1_, .Lfunc_end660-_ZN7rocprim17ROCPRIM_400000_NS6detail17trampoline_kernelINS0_14default_configENS1_27scan_by_key_config_selectorIssEEZZNS1_16scan_by_key_implILNS1_25lookback_scan_determinismE0ELb1ES3_N6thrust23THRUST_200600_302600_NS6detail15normal_iteratorINS9_10device_ptrIsEEEESE_SE_sNS9_4plusIvEENS9_8equal_toIsEEsEE10hipError_tPvRmT2_T3_T4_T5_mT6_T7_P12ihipStream_tbENKUlT_T0_E_clISt17integral_constantIbLb1EESY_IbLb0EEEEDaSU_SV_EUlSU_E_NS1_11comp_targetILNS1_3genE10ELNS1_11target_archE1201ELNS1_3gpuE5ELNS1_3repE0EEENS1_30default_config_static_selectorELNS0_4arch9wavefront6targetE1EEEvT1_
                                        ; -- End function
	.section	.AMDGPU.csdata,"",@progbits
; Kernel info:
; codeLenInByte = 0
; NumSgprs: 6
; NumVgprs: 0
; NumAgprs: 0
; TotalNumVgprs: 0
; ScratchSize: 0
; MemoryBound: 0
; FloatMode: 240
; IeeeMode: 1
; LDSByteSize: 0 bytes/workgroup (compile time only)
; SGPRBlocks: 0
; VGPRBlocks: 0
; NumSGPRsForWavesPerEU: 6
; NumVGPRsForWavesPerEU: 1
; AccumOffset: 4
; Occupancy: 8
; WaveLimiterHint : 0
; COMPUTE_PGM_RSRC2:SCRATCH_EN: 0
; COMPUTE_PGM_RSRC2:USER_SGPR: 2
; COMPUTE_PGM_RSRC2:TRAP_HANDLER: 0
; COMPUTE_PGM_RSRC2:TGID_X_EN: 1
; COMPUTE_PGM_RSRC2:TGID_Y_EN: 0
; COMPUTE_PGM_RSRC2:TGID_Z_EN: 0
; COMPUTE_PGM_RSRC2:TIDIG_COMP_CNT: 0
; COMPUTE_PGM_RSRC3_GFX90A:ACCUM_OFFSET: 0
; COMPUTE_PGM_RSRC3_GFX90A:TG_SPLIT: 0
	.section	.text._ZN7rocprim17ROCPRIM_400000_NS6detail17trampoline_kernelINS0_14default_configENS1_27scan_by_key_config_selectorIssEEZZNS1_16scan_by_key_implILNS1_25lookback_scan_determinismE0ELb1ES3_N6thrust23THRUST_200600_302600_NS6detail15normal_iteratorINS9_10device_ptrIsEEEESE_SE_sNS9_4plusIvEENS9_8equal_toIsEEsEE10hipError_tPvRmT2_T3_T4_T5_mT6_T7_P12ihipStream_tbENKUlT_T0_E_clISt17integral_constantIbLb1EESY_IbLb0EEEEDaSU_SV_EUlSU_E_NS1_11comp_targetILNS1_3genE5ELNS1_11target_archE942ELNS1_3gpuE9ELNS1_3repE0EEENS1_30default_config_static_selectorELNS0_4arch9wavefront6targetE1EEEvT1_,"axG",@progbits,_ZN7rocprim17ROCPRIM_400000_NS6detail17trampoline_kernelINS0_14default_configENS1_27scan_by_key_config_selectorIssEEZZNS1_16scan_by_key_implILNS1_25lookback_scan_determinismE0ELb1ES3_N6thrust23THRUST_200600_302600_NS6detail15normal_iteratorINS9_10device_ptrIsEEEESE_SE_sNS9_4plusIvEENS9_8equal_toIsEEsEE10hipError_tPvRmT2_T3_T4_T5_mT6_T7_P12ihipStream_tbENKUlT_T0_E_clISt17integral_constantIbLb1EESY_IbLb0EEEEDaSU_SV_EUlSU_E_NS1_11comp_targetILNS1_3genE5ELNS1_11target_archE942ELNS1_3gpuE9ELNS1_3repE0EEENS1_30default_config_static_selectorELNS0_4arch9wavefront6targetE1EEEvT1_,comdat
	.protected	_ZN7rocprim17ROCPRIM_400000_NS6detail17trampoline_kernelINS0_14default_configENS1_27scan_by_key_config_selectorIssEEZZNS1_16scan_by_key_implILNS1_25lookback_scan_determinismE0ELb1ES3_N6thrust23THRUST_200600_302600_NS6detail15normal_iteratorINS9_10device_ptrIsEEEESE_SE_sNS9_4plusIvEENS9_8equal_toIsEEsEE10hipError_tPvRmT2_T3_T4_T5_mT6_T7_P12ihipStream_tbENKUlT_T0_E_clISt17integral_constantIbLb1EESY_IbLb0EEEEDaSU_SV_EUlSU_E_NS1_11comp_targetILNS1_3genE5ELNS1_11target_archE942ELNS1_3gpuE9ELNS1_3repE0EEENS1_30default_config_static_selectorELNS0_4arch9wavefront6targetE1EEEvT1_ ; -- Begin function _ZN7rocprim17ROCPRIM_400000_NS6detail17trampoline_kernelINS0_14default_configENS1_27scan_by_key_config_selectorIssEEZZNS1_16scan_by_key_implILNS1_25lookback_scan_determinismE0ELb1ES3_N6thrust23THRUST_200600_302600_NS6detail15normal_iteratorINS9_10device_ptrIsEEEESE_SE_sNS9_4plusIvEENS9_8equal_toIsEEsEE10hipError_tPvRmT2_T3_T4_T5_mT6_T7_P12ihipStream_tbENKUlT_T0_E_clISt17integral_constantIbLb1EESY_IbLb0EEEEDaSU_SV_EUlSU_E_NS1_11comp_targetILNS1_3genE5ELNS1_11target_archE942ELNS1_3gpuE9ELNS1_3repE0EEENS1_30default_config_static_selectorELNS0_4arch9wavefront6targetE1EEEvT1_
	.globl	_ZN7rocprim17ROCPRIM_400000_NS6detail17trampoline_kernelINS0_14default_configENS1_27scan_by_key_config_selectorIssEEZZNS1_16scan_by_key_implILNS1_25lookback_scan_determinismE0ELb1ES3_N6thrust23THRUST_200600_302600_NS6detail15normal_iteratorINS9_10device_ptrIsEEEESE_SE_sNS9_4plusIvEENS9_8equal_toIsEEsEE10hipError_tPvRmT2_T3_T4_T5_mT6_T7_P12ihipStream_tbENKUlT_T0_E_clISt17integral_constantIbLb1EESY_IbLb0EEEEDaSU_SV_EUlSU_E_NS1_11comp_targetILNS1_3genE5ELNS1_11target_archE942ELNS1_3gpuE9ELNS1_3repE0EEENS1_30default_config_static_selectorELNS0_4arch9wavefront6targetE1EEEvT1_
	.p2align	8
	.type	_ZN7rocprim17ROCPRIM_400000_NS6detail17trampoline_kernelINS0_14default_configENS1_27scan_by_key_config_selectorIssEEZZNS1_16scan_by_key_implILNS1_25lookback_scan_determinismE0ELb1ES3_N6thrust23THRUST_200600_302600_NS6detail15normal_iteratorINS9_10device_ptrIsEEEESE_SE_sNS9_4plusIvEENS9_8equal_toIsEEsEE10hipError_tPvRmT2_T3_T4_T5_mT6_T7_P12ihipStream_tbENKUlT_T0_E_clISt17integral_constantIbLb1EESY_IbLb0EEEEDaSU_SV_EUlSU_E_NS1_11comp_targetILNS1_3genE5ELNS1_11target_archE942ELNS1_3gpuE9ELNS1_3repE0EEENS1_30default_config_static_selectorELNS0_4arch9wavefront6targetE1EEEvT1_,@function
_ZN7rocprim17ROCPRIM_400000_NS6detail17trampoline_kernelINS0_14default_configENS1_27scan_by_key_config_selectorIssEEZZNS1_16scan_by_key_implILNS1_25lookback_scan_determinismE0ELb1ES3_N6thrust23THRUST_200600_302600_NS6detail15normal_iteratorINS9_10device_ptrIsEEEESE_SE_sNS9_4plusIvEENS9_8equal_toIsEEsEE10hipError_tPvRmT2_T3_T4_T5_mT6_T7_P12ihipStream_tbENKUlT_T0_E_clISt17integral_constantIbLb1EESY_IbLb0EEEEDaSU_SV_EUlSU_E_NS1_11comp_targetILNS1_3genE5ELNS1_11target_archE942ELNS1_3gpuE9ELNS1_3repE0EEENS1_30default_config_static_selectorELNS0_4arch9wavefront6targetE1EEEvT1_: ; @_ZN7rocprim17ROCPRIM_400000_NS6detail17trampoline_kernelINS0_14default_configENS1_27scan_by_key_config_selectorIssEEZZNS1_16scan_by_key_implILNS1_25lookback_scan_determinismE0ELb1ES3_N6thrust23THRUST_200600_302600_NS6detail15normal_iteratorINS9_10device_ptrIsEEEESE_SE_sNS9_4plusIvEENS9_8equal_toIsEEsEE10hipError_tPvRmT2_T3_T4_T5_mT6_T7_P12ihipStream_tbENKUlT_T0_E_clISt17integral_constantIbLb1EESY_IbLb0EEEEDaSU_SV_EUlSU_E_NS1_11comp_targetILNS1_3genE5ELNS1_11target_archE942ELNS1_3gpuE9ELNS1_3repE0EEENS1_30default_config_static_selectorELNS0_4arch9wavefront6targetE1EEEvT1_
; %bb.0:
	s_load_dwordx8 s[48:55], s[0:1], 0x0
	s_load_dword s78, s[0:1], 0x20
	s_load_dwordx4 s[56:59], s[0:1], 0x28
	s_load_dwordx2 s[68:69], s[0:1], 0x38
	s_load_dword s3, s[0:1], 0x40
	s_load_dwordx4 s[60:63], s[0:1], 0x48
	s_waitcnt lgkmcnt(0)
	s_lshl_b64 s[64:65], s[50:51], 1
	s_add_u32 s4, s48, s64
	s_addc_u32 s5, s49, s65
	s_add_u32 s6, s52, s64
	s_mul_i32 s0, s69, s3
	s_mul_hi_u32 s1, s68, s3
	s_addc_u32 s7, s53, s65
	s_add_i32 s8, s1, s0
	s_mul_i32 s0, s2, 0x1800
	s_mov_b32 s1, 0
	s_lshl_b64 s[66:67], s[0:1], 1
	s_add_u32 s72, s4, s66
	s_addc_u32 s73, s5, s67
	s_add_u32 s70, s6, s66
	s_mul_i32 s3, s68, s3
	s_addc_u32 s71, s7, s67
	s_add_u32 s0, s3, s2
	s_addc_u32 s1, s8, 0
	s_add_u32 s6, s60, -1
	s_addc_u32 s7, s61, -1
	v_mov_b64_e32 v[2:3], s[6:7]
	v_cmp_ge_u64_e64 s[0:1], s[0:1], v[2:3]
	s_mov_b64 s[4:5], -1
	s_and_b64 vcc, exec, s[0:1]
	s_mul_i32 s33, s6, 0xffffe800
	s_barrier
	s_cbranch_vccz .LBB661_126
; %bb.1:
	v_mov_b64_e32 v[2:3], s[72:73]
	flat_load_ushort v2, v[2:3]
	s_add_i32 s59, s33, s58
	v_cmp_gt_u32_e32 vcc, s59, v0
	s_waitcnt vmcnt(0) lgkmcnt(0)
	v_mov_b32_e32 v3, v2
	s_and_saveexec_b64 s[4:5], vcc
	s_cbranch_execz .LBB661_3
; %bb.2:
	v_lshlrev_b32_e32 v4, 1, v0
	v_mov_b32_e32 v5, 0
	v_lshl_add_u64 v[4:5], s[72:73], 0, v[4:5]
	flat_load_ushort v3, v[4:5]
.LBB661_3:
	s_or_b64 exec, exec, s[4:5]
	v_or_b32_e32 v1, 0x100, v0
	v_cmp_gt_u32_e64 s[50:51], s59, v1
	v_mov_b32_e32 v4, v2
	s_and_saveexec_b64 s[4:5], s[50:51]
	s_cbranch_execz .LBB661_5
; %bb.4:
	v_lshlrev_b32_e32 v4, 1, v0
	v_mov_b32_e32 v5, 0
	v_lshl_add_u64 v[4:5], s[72:73], 0, v[4:5]
	flat_load_ushort v4, v[4:5] offset:512
.LBB661_5:
	s_or_b64 exec, exec, s[4:5]
	v_or_b32_e32 v1, 0x200, v0
	v_cmp_gt_u32_e64 s[4:5], s59, v1
	v_mov_b32_e32 v5, v2
	s_and_saveexec_b64 s[6:7], s[4:5]
	s_cbranch_execz .LBB661_7
; %bb.6:
	v_lshlrev_b32_e32 v6, 1, v0
	v_mov_b32_e32 v7, 0
	v_lshl_add_u64 v[6:7], s[72:73], 0, v[6:7]
	flat_load_ushort v5, v[6:7] offset:1024
.LBB661_7:
	;; [unrolled: 12-line block ×7, first 2 shown]
	s_or_b64 exec, exec, s[16:17]
	v_or_b32_e32 v1, 0x800, v0
	v_cmp_gt_u32_e64 s[16:17], s59, v1
	v_mov_b32_e32 v11, v2
	s_and_saveexec_b64 s[18:19], s[16:17]
	s_cbranch_execz .LBB661_19
; %bb.18:
	v_lshlrev_b32_e32 v12, 1, v1
	v_mov_b32_e32 v13, 0
	v_lshl_add_u64 v[12:13], s[72:73], 0, v[12:13]
	flat_load_ushort v11, v[12:13]
.LBB661_19:
	s_or_b64 exec, exec, s[18:19]
	v_or_b32_e32 v16, 0x900, v0
	v_cmp_gt_u32_e64 s[18:19], s59, v16
	v_mov_b32_e32 v12, v2
	s_and_saveexec_b64 s[20:21], s[18:19]
	s_cbranch_execz .LBB661_21
; %bb.20:
	v_lshlrev_b32_e32 v12, 1, v16
	v_mov_b32_e32 v13, 0
	v_lshl_add_u64 v[12:13], s[72:73], 0, v[12:13]
	flat_load_ushort v12, v[12:13]
.LBB661_21:
	;; [unrolled: 12-line block ×15, first 2 shown]
	s_or_b64 exec, exec, s[48:49]
	v_or_b32_e32 v31, 0x1700, v0
	v_cmp_gt_u32_e64 s[48:49], s59, v31
	s_and_saveexec_b64 s[52:53], s[48:49]
	s_cbranch_execz .LBB661_49
; %bb.48:
	v_lshlrev_b32_e32 v42, 1, v31
	v_mov_b32_e32 v43, 0
	v_lshl_add_u64 v[42:43], s[72:73], 0, v[42:43]
	flat_load_ushort v2, v[42:43]
.LBB661_49:
	s_or_b64 exec, exec, s[52:53]
	v_lshlrev_b32_e32 v14, 1, v0
	s_waitcnt vmcnt(0) lgkmcnt(0)
	ds_write_b16 v14, v3
	ds_write_b16 v14, v4 offset:512
	ds_write_b16 v14, v5 offset:1024
	;; [unrolled: 1-line block ×23, first 2 shown]
	v_mov_b64_e32 v[2:3], s[72:73]
	s_waitcnt lgkmcnt(0)
	s_barrier
	flat_load_ushort v26, v[2:3]
	v_mad_u32_u24 v42, v0, 46, v14
	ds_read_b128 v[10:13], v42
	ds_read_b128 v[6:9], v42 offset:16
	ds_read_b128 v[2:5], v42 offset:32
	s_movk_i32 s3, 0xffd2
	v_mad_i32_i24 v15, v0, s3, v42
	s_movk_i32 s3, 0xff
	v_cmp_ne_u32_e64 s[52:53], s3, v0
	s_waitcnt lgkmcnt(0)
	ds_write_b16 v15, v10 offset:12800
	s_waitcnt lgkmcnt(0)
	s_barrier
	s_and_saveexec_b64 s[60:61], s[52:53]
	s_cbranch_execz .LBB661_51
; %bb.50:
	s_waitcnt vmcnt(0)
	ds_read_u16 v26, v14 offset:12802
.LBB661_51:
	s_or_b64 exec, exec, s[60:61]
	v_mov_b32_e32 v15, 0
	s_waitcnt lgkmcnt(0)
	s_barrier
	s_waitcnt lgkmcnt(0)
                                        ; implicit-def: $vgpr32
	s_and_saveexec_b64 s[52:53], vcc
	s_cbranch_execz .LBB661_205
; %bb.52:
	v_lshl_add_u64 v[32:33], s[70:71], 0, v[14:15]
	flat_load_ushort v32, v[32:33]
	s_or_b64 exec, exec, s[52:53]
                                        ; implicit-def: $vgpr33
	s_and_saveexec_b64 s[52:53], s[50:51]
	s_cbranch_execnz .LBB661_206
.LBB661_53:
	s_or_b64 exec, exec, s[52:53]
                                        ; implicit-def: $vgpr34
	s_and_saveexec_b64 s[50:51], s[4:5]
	s_cbranch_execz .LBB661_207
.LBB661_54:
	v_mov_b32_e32 v15, 0
	v_lshl_add_u64 v[34:35], s[70:71], 0, v[14:15]
	flat_load_ushort v34, v[34:35] offset:1024
	s_or_b64 exec, exec, s[50:51]
                                        ; implicit-def: $vgpr35
	s_and_saveexec_b64 s[4:5], s[6:7]
	s_cbranch_execnz .LBB661_208
.LBB661_55:
	s_or_b64 exec, exec, s[4:5]
                                        ; implicit-def: $vgpr36
	s_and_saveexec_b64 s[4:5], s[8:9]
	s_cbranch_execz .LBB661_209
.LBB661_56:
	v_mov_b32_e32 v15, 0
	v_lshl_add_u64 v[36:37], s[70:71], 0, v[14:15]
	flat_load_ushort v36, v[36:37] offset:2048
	s_or_b64 exec, exec, s[4:5]
                                        ; implicit-def: $vgpr37
	s_and_saveexec_b64 s[4:5], s[10:11]
	s_cbranch_execnz .LBB661_210
.LBB661_57:
	s_or_b64 exec, exec, s[4:5]
                                        ; implicit-def: $vgpr38
	s_and_saveexec_b64 s[4:5], s[12:13]
	s_cbranch_execz .LBB661_211
.LBB661_58:
	v_mov_b32_e32 v15, 0
	v_lshl_add_u64 v[38:39], s[70:71], 0, v[14:15]
	flat_load_ushort v38, v[38:39] offset:3072
	s_or_b64 exec, exec, s[4:5]
                                        ; implicit-def: $vgpr15
	s_and_saveexec_b64 s[4:5], s[14:15]
	s_cbranch_execnz .LBB661_212
.LBB661_59:
	s_or_b64 exec, exec, s[4:5]
                                        ; implicit-def: $vgpr39
	s_and_saveexec_b64 s[4:5], s[16:17]
	s_cbranch_execz .LBB661_213
.LBB661_60:
	v_lshlrev_b32_e32 v40, 1, v1
	v_mov_b32_e32 v41, 0
	v_lshl_add_u64 v[40:41], s[70:71], 0, v[40:41]
	flat_load_ushort v39, v[40:41]
	s_or_b64 exec, exec, s[4:5]
                                        ; implicit-def: $vgpr1
	s_and_saveexec_b64 s[4:5], s[18:19]
	s_cbranch_execnz .LBB661_214
.LBB661_61:
	s_or_b64 exec, exec, s[4:5]
                                        ; implicit-def: $vgpr16
	s_and_saveexec_b64 s[4:5], s[20:21]
	s_cbranch_execz .LBB661_215
.LBB661_62:
	v_lshlrev_b32_e32 v16, 1, v17
	v_mov_b32_e32 v17, 0
	v_lshl_add_u64 v[16:17], s[70:71], 0, v[16:17]
	flat_load_ushort v16, v[16:17]
	s_or_b64 exec, exec, s[4:5]
                                        ; implicit-def: $vgpr17
	s_and_saveexec_b64 s[4:5], s[22:23]
	s_cbranch_execnz .LBB661_216
.LBB661_63:
	s_or_b64 exec, exec, s[4:5]
                                        ; implicit-def: $vgpr18
	s_and_saveexec_b64 s[4:5], s[24:25]
	s_cbranch_execz .LBB661_217
.LBB661_64:
	v_lshlrev_b32_e32 v18, 1, v19
	v_mov_b32_e32 v19, 0
	v_lshl_add_u64 v[18:19], s[70:71], 0, v[18:19]
	flat_load_ushort v18, v[18:19]
	s_or_b64 exec, exec, s[4:5]
                                        ; implicit-def: $vgpr19
	s_and_saveexec_b64 s[4:5], s[26:27]
	s_cbranch_execnz .LBB661_218
.LBB661_65:
	s_or_b64 exec, exec, s[4:5]
                                        ; implicit-def: $vgpr20
	s_and_saveexec_b64 s[4:5], s[28:29]
	s_cbranch_execz .LBB661_219
.LBB661_66:
	v_lshlrev_b32_e32 v20, 1, v21
	v_mov_b32_e32 v21, 0
	v_lshl_add_u64 v[20:21], s[70:71], 0, v[20:21]
	flat_load_ushort v20, v[20:21]
	s_or_b64 exec, exec, s[4:5]
                                        ; implicit-def: $vgpr21
	s_and_saveexec_b64 s[4:5], s[30:31]
	s_cbranch_execnz .LBB661_220
.LBB661_67:
	s_or_b64 exec, exec, s[4:5]
                                        ; implicit-def: $vgpr22
	s_and_saveexec_b64 s[4:5], s[34:35]
	s_cbranch_execz .LBB661_221
.LBB661_68:
	v_lshlrev_b32_e32 v22, 1, v23
	v_mov_b32_e32 v23, 0
	v_lshl_add_u64 v[22:23], s[70:71], 0, v[22:23]
	flat_load_ushort v22, v[22:23]
	s_or_b64 exec, exec, s[4:5]
                                        ; implicit-def: $vgpr23
	s_and_saveexec_b64 s[4:5], s[36:37]
	s_cbranch_execnz .LBB661_222
.LBB661_69:
	s_or_b64 exec, exec, s[4:5]
                                        ; implicit-def: $vgpr24
	s_and_saveexec_b64 s[4:5], s[38:39]
	s_cbranch_execz .LBB661_223
.LBB661_70:
	v_lshlrev_b32_e32 v24, 1, v25
	v_mov_b32_e32 v25, 0
	v_lshl_add_u64 v[24:25], s[70:71], 0, v[24:25]
	flat_load_ushort v24, v[24:25]
	s_or_b64 exec, exec, s[4:5]
                                        ; implicit-def: $vgpr25
	s_and_saveexec_b64 s[4:5], s[40:41]
	s_cbranch_execnz .LBB661_224
.LBB661_71:
	s_or_b64 exec, exec, s[4:5]
                                        ; implicit-def: $vgpr27
	s_and_saveexec_b64 s[4:5], s[42:43]
	s_cbranch_execz .LBB661_225
.LBB661_72:
	v_lshlrev_b32_e32 v40, 1, v28
	v_mov_b32_e32 v41, 0
	v_lshl_add_u64 v[40:41], s[70:71], 0, v[40:41]
	flat_load_ushort v27, v[40:41]
	s_or_b64 exec, exec, s[4:5]
                                        ; implicit-def: $vgpr28
	s_and_saveexec_b64 s[4:5], s[44:45]
	s_cbranch_execnz .LBB661_226
.LBB661_73:
	s_or_b64 exec, exec, s[4:5]
                                        ; implicit-def: $vgpr29
	s_and_saveexec_b64 s[4:5], s[46:47]
	s_cbranch_execz .LBB661_75
.LBB661_74:
	v_lshlrev_b32_e32 v40, 1, v30
	v_mov_b32_e32 v41, 0
	v_lshl_add_u64 v[40:41], s[70:71], 0, v[40:41]
	flat_load_ushort v29, v[40:41]
.LBB661_75:
	s_or_b64 exec, exec, s[4:5]
	v_mul_u32_u24_e32 v43, 24, v0
                                        ; implicit-def: $vgpr30
	s_and_saveexec_b64 s[4:5], s[48:49]
	s_cbranch_execz .LBB661_77
; %bb.76:
	v_lshlrev_b32_e32 v30, 1, v31
	v_mov_b32_e32 v31, 0
	v_lshl_add_u64 v[30:31], s[70:71], 0, v[30:31]
	flat_load_ushort v30, v[30:31]
.LBB661_77:
	s_or_b64 exec, exec, s[4:5]
	s_waitcnt vmcnt(0) lgkmcnt(0)
	ds_write_b16 v14, v32
	ds_write_b16 v14, v33 offset:512
	ds_write_b16 v14, v34 offset:1024
	;; [unrolled: 1-line block ×23, first 2 shown]
	v_cmp_gt_u32_e32 vcc, s59, v43
	s_mov_b64 s[4:5], 0
	s_mov_b32 s3, 0
	v_mov_b32_e32 v1, 0
	s_mov_b64 s[10:11], 0
	v_mov_b32_e32 v18, 0
	v_mov_b32_e32 v25, 0
	;; [unrolled: 1-line block ×22, first 2 shown]
	s_waitcnt lgkmcnt(0)
	s_barrier
	s_waitcnt lgkmcnt(0)
                                        ; implicit-def: $sgpr8_sgpr9
                                        ; implicit-def: $vgpr41
	s_and_saveexec_b64 s[6:7], vcc
	s_cbranch_execz .LBB661_125
; %bb.78:
	ds_read_u16 v1, v42
	v_mov_b32_e32 v15, s78
	v_cmp_eq_u16_sdwa vcc, v10, v10 src0_sel:DWORD src1_sel:WORD_1
	v_cmp_ne_u16_sdwa s[8:9], v10, v10 src0_sel:DWORD src1_sel:WORD_1
	v_or_b32_e32 v14, 1, v43
	s_waitcnt lgkmcnt(0)
	v_cndmask_b32_e32 v1, v15, v1, vcc
	v_and_b32_e32 v1, 0xffff, v1
	v_cndmask_b32_e64 v15, 0, 1, s[8:9]
	v_lshl_or_b32 v1, v15, 16, v1
	v_cmp_gt_u32_e32 vcc, s59, v14
	v_mov_b32_e32 v18, 0
	v_mov_b32_e32 v25, 0
	;; [unrolled: 1-line block ×22, first 2 shown]
                                        ; implicit-def: $sgpr12_sgpr13
                                        ; implicit-def: $vgpr41
	s_and_saveexec_b64 s[8:9], vcc
	s_cbranch_execz .LBB661_124
; %bb.79:
	ds_read_b128 v[14:17], v42 offset:2
	v_mov_b32_e32 v18, s78
	v_cmp_eq_u16_sdwa vcc, v10, v11 src0_sel:WORD_1 src1_sel:DWORD
	v_cmp_ne_u16_sdwa s[10:11], v10, v11 src0_sel:WORD_1 src1_sel:DWORD
	v_or_b32_e32 v19, 2, v43
	s_waitcnt lgkmcnt(0)
	v_cndmask_b32_e32 v18, v18, v14, vcc
	v_and_b32_e32 v18, 0xffff, v18
	v_cndmask_b32_e64 v10, 0, 1, s[10:11]
	v_lshl_or_b32 v18, v10, 16, v18
	v_cmp_gt_u32_e32 vcc, s59, v19
	s_mov_b64 s[14:15], 0
	v_mov_b32_e32 v25, 0
	v_mov_b32_e32 v19, 0
	;; [unrolled: 1-line block ×21, first 2 shown]
                                        ; implicit-def: $sgpr12_sgpr13
                                        ; implicit-def: $vgpr41
	s_and_saveexec_b64 s[10:11], vcc
	s_cbranch_execz .LBB661_123
; %bb.80:
	v_lshrrev_b32_e32 v10, 16, v14
	v_mov_b32_e32 v19, s78
	v_cmp_eq_u16_sdwa vcc, v11, v11 src0_sel:DWORD src1_sel:WORD_1
	v_cmp_ne_u16_sdwa s[12:13], v11, v11 src0_sel:DWORD src1_sel:WORD_1
	v_or_b32_e32 v14, 3, v43
	v_cndmask_b32_e32 v10, v19, v10, vcc
	v_and_b32_e32 v10, 0xffff, v10
	v_cndmask_b32_e64 v19, 0, 1, s[12:13]
	v_lshl_or_b32 v25, v19, 16, v10
	v_cmp_gt_u32_e32 vcc, s59, v14
	v_mov_b32_e32 v19, 0
	v_mov_b32_e32 v27, 0
	;; [unrolled: 1-line block ×20, first 2 shown]
                                        ; implicit-def: $sgpr16_sgpr17
                                        ; implicit-def: $vgpr41
	s_and_saveexec_b64 s[12:13], vcc
	s_cbranch_execz .LBB661_122
; %bb.81:
	v_mov_b32_e32 v14, s78
	v_cmp_eq_u16_sdwa vcc, v11, v12 src0_sel:WORD_1 src1_sel:DWORD
	v_cmp_ne_u16_sdwa s[14:15], v11, v12 src0_sel:WORD_1 src1_sel:DWORD
	v_or_b32_e32 v10, 4, v43
	v_cndmask_b32_e32 v14, v14, v15, vcc
	v_and_b32_e32 v14, 0xffff, v14
	v_cndmask_b32_e64 v11, 0, 1, s[14:15]
	v_lshl_or_b32 v19, v11, 16, v14
	v_cmp_gt_u32_e32 vcc, s59, v10
	s_mov_b64 s[18:19], 0
	v_mov_b32_e32 v27, 0
	v_mov_b32_e32 v20, 0
	;; [unrolled: 1-line block ×19, first 2 shown]
                                        ; implicit-def: $sgpr16_sgpr17
                                        ; implicit-def: $vgpr41
	s_and_saveexec_b64 s[14:15], vcc
	s_cbranch_execz .LBB661_121
; %bb.82:
	v_lshrrev_b32_e32 v10, 16, v15
	v_mov_b32_e32 v14, s78
	v_cmp_eq_u16_sdwa vcc, v12, v12 src0_sel:DWORD src1_sel:WORD_1
	v_cmp_ne_u16_sdwa s[16:17], v12, v12 src0_sel:DWORD src1_sel:WORD_1
	v_or_b32_e32 v11, 5, v43
	v_cndmask_b32_e32 v10, v14, v10, vcc
	v_and_b32_e32 v10, 0xffff, v10
	v_cndmask_b32_e64 v14, 0, 1, s[16:17]
	v_lshl_or_b32 v27, v14, 16, v10
	v_cmp_gt_u32_e32 vcc, s59, v11
	v_mov_b32_e32 v20, 0
	v_mov_b32_e32 v28, 0
	;; [unrolled: 1-line block ×18, first 2 shown]
                                        ; implicit-def: $sgpr20_sgpr21
                                        ; implicit-def: $vgpr41
	s_and_saveexec_b64 s[16:17], vcc
	s_cbranch_execz .LBB661_120
; %bb.83:
	v_mov_b32_e32 v11, s78
	v_cmp_eq_u16_sdwa vcc, v12, v13 src0_sel:WORD_1 src1_sel:DWORD
	v_cmp_ne_u16_sdwa s[18:19], v12, v13 src0_sel:WORD_1 src1_sel:DWORD
	v_or_b32_e32 v10, 6, v43
	v_cndmask_b32_e32 v11, v11, v16, vcc
	v_and_b32_e32 v11, 0xffff, v11
	v_cndmask_b32_e64 v12, 0, 1, s[18:19]
	v_lshl_or_b32 v20, v12, 16, v11
	v_cmp_gt_u32_e32 vcc, s59, v10
	s_mov_b64 s[22:23], 0
	v_mov_b32_e32 v28, 0
	v_mov_b32_e32 v21, 0
	;; [unrolled: 1-line block ×17, first 2 shown]
                                        ; implicit-def: $sgpr20_sgpr21
                                        ; implicit-def: $vgpr41
	s_and_saveexec_b64 s[18:19], vcc
	s_cbranch_execz .LBB661_119
; %bb.84:
	v_lshrrev_b32_e32 v10, 16, v16
	v_mov_b32_e32 v12, s78
	v_cmp_eq_u16_sdwa vcc, v13, v13 src0_sel:DWORD src1_sel:WORD_1
	v_cmp_ne_u16_sdwa s[20:21], v13, v13 src0_sel:DWORD src1_sel:WORD_1
	v_or_b32_e32 v11, 7, v43
	v_cndmask_b32_e32 v10, v12, v10, vcc
	v_and_b32_e32 v10, 0xffff, v10
	v_cndmask_b32_e64 v12, 0, 1, s[20:21]
	v_lshl_or_b32 v28, v12, 16, v10
	v_cmp_gt_u32_e32 vcc, s59, v11
	v_mov_b32_e32 v21, 0
	v_mov_b32_e32 v29, 0
	;; [unrolled: 1-line block ×16, first 2 shown]
                                        ; implicit-def: $sgpr24_sgpr25
                                        ; implicit-def: $vgpr41
	s_and_saveexec_b64 s[20:21], vcc
	s_cbranch_execz .LBB661_118
; %bb.85:
	v_mov_b32_e32 v11, s78
	v_cmp_eq_u16_sdwa vcc, v13, v6 src0_sel:WORD_1 src1_sel:DWORD
	v_cmp_ne_u16_sdwa s[22:23], v13, v6 src0_sel:WORD_1 src1_sel:DWORD
	v_add_u32_e32 v10, 8, v43
	v_cndmask_b32_e32 v11, v11, v17, vcc
	v_and_b32_e32 v11, 0xffff, v11
	v_cndmask_b32_e64 v12, 0, 1, s[22:23]
	v_lshl_or_b32 v21, v12, 16, v11
	v_cmp_gt_u32_e32 vcc, s59, v10
	s_mov_b64 s[26:27], 0
	v_mov_b32_e32 v29, 0
	v_mov_b32_e32 v30, 0
	;; [unrolled: 1-line block ×15, first 2 shown]
                                        ; implicit-def: $sgpr24_sgpr25
                                        ; implicit-def: $vgpr41
	s_and_saveexec_b64 s[22:23], vcc
	s_cbranch_execz .LBB661_117
; %bb.86:
	v_lshrrev_b32_e32 v10, 16, v17
	v_mov_b32_e32 v12, s78
	v_cmp_eq_u16_sdwa vcc, v6, v6 src0_sel:DWORD src1_sel:WORD_1
	v_cmp_ne_u16_sdwa s[24:25], v6, v6 src0_sel:DWORD src1_sel:WORD_1
	v_add_u32_e32 v11, 9, v43
	v_cndmask_b32_e32 v10, v12, v10, vcc
	v_and_b32_e32 v10, 0xffff, v10
	v_cndmask_b32_e64 v12, 0, 1, s[24:25]
	v_lshl_or_b32 v29, v12, 16, v10
	v_cmp_gt_u32_e32 vcc, s59, v11
	v_mov_b32_e32 v30, 0
	v_mov_b32_e32 v31, 0
	;; [unrolled: 1-line block ×14, first 2 shown]
                                        ; implicit-def: $sgpr28_sgpr29
                                        ; implicit-def: $vgpr41
	s_and_saveexec_b64 s[24:25], vcc
	s_cbranch_execz .LBB661_116
; %bb.87:
	ds_read_b128 v[10:13], v42 offset:18
	v_mov_b32_e32 v15, s78
	v_cmp_eq_u16_sdwa vcc, v6, v7 src0_sel:WORD_1 src1_sel:DWORD
	v_cmp_ne_u16_sdwa s[26:27], v6, v7 src0_sel:WORD_1 src1_sel:DWORD
	v_add_u32_e32 v14, 10, v43
	s_waitcnt lgkmcnt(0)
	v_cndmask_b32_e32 v15, v15, v10, vcc
	v_and_b32_e32 v15, 0xffff, v15
	v_cndmask_b32_e64 v6, 0, 1, s[26:27]
	v_lshl_or_b32 v30, v6, 16, v15
	v_cmp_gt_u32_e32 vcc, s59, v14
	s_mov_b64 s[30:31], 0
	v_mov_b32_e32 v31, 0
	v_mov_b32_e32 v32, 0
	;; [unrolled: 1-line block ×13, first 2 shown]
                                        ; implicit-def: $sgpr28_sgpr29
                                        ; implicit-def: $vgpr41
	s_and_saveexec_b64 s[26:27], vcc
	s_cbranch_execz .LBB661_115
; %bb.88:
	v_lshrrev_b32_e32 v6, 16, v10
	v_mov_b32_e32 v14, s78
	v_cmp_eq_u16_sdwa vcc, v7, v7 src0_sel:DWORD src1_sel:WORD_1
	v_cmp_ne_u16_sdwa s[28:29], v7, v7 src0_sel:DWORD src1_sel:WORD_1
	v_add_u32_e32 v10, 11, v43
	v_cndmask_b32_e32 v6, v14, v6, vcc
	v_and_b32_e32 v6, 0xffff, v6
	v_cndmask_b32_e64 v14, 0, 1, s[28:29]
	v_lshl_or_b32 v31, v14, 16, v6
	v_cmp_gt_u32_e32 vcc, s59, v10
	v_mov_b32_e32 v32, 0
	v_mov_b32_e32 v33, 0
	;; [unrolled: 1-line block ×12, first 2 shown]
                                        ; implicit-def: $sgpr34_sgpr35
                                        ; implicit-def: $vgpr41
	s_and_saveexec_b64 s[28:29], vcc
	s_cbranch_execz .LBB661_114
; %bb.89:
	v_mov_b32_e32 v10, s78
	v_cmp_eq_u16_sdwa vcc, v7, v8 src0_sel:WORD_1 src1_sel:DWORD
	v_cmp_ne_u16_sdwa s[30:31], v7, v8 src0_sel:WORD_1 src1_sel:DWORD
	v_add_u32_e32 v6, 12, v43
	v_cndmask_b32_e32 v10, v10, v11, vcc
	v_and_b32_e32 v10, 0xffff, v10
	v_cndmask_b32_e64 v7, 0, 1, s[30:31]
	v_lshl_or_b32 v32, v7, 16, v10
	v_cmp_gt_u32_e32 vcc, s59, v6
	s_mov_b64 s[36:37], 0
	v_mov_b32_e32 v33, 0
	v_mov_b32_e32 v34, 0
	;; [unrolled: 1-line block ×11, first 2 shown]
                                        ; implicit-def: $sgpr34_sgpr35
                                        ; implicit-def: $vgpr41
	s_and_saveexec_b64 s[30:31], vcc
	s_cbranch_execz .LBB661_113
; %bb.90:
	v_lshrrev_b32_e32 v6, 16, v11
	v_mov_b32_e32 v10, s78
	v_cmp_eq_u16_sdwa vcc, v8, v8 src0_sel:DWORD src1_sel:WORD_1
	v_cmp_ne_u16_sdwa s[34:35], v8, v8 src0_sel:DWORD src1_sel:WORD_1
	v_add_u32_e32 v7, 13, v43
	v_cndmask_b32_e32 v6, v10, v6, vcc
	v_and_b32_e32 v6, 0xffff, v6
	v_cndmask_b32_e64 v10, 0, 1, s[34:35]
	v_lshl_or_b32 v33, v10, 16, v6
	v_cmp_gt_u32_e32 vcc, s59, v7
	v_mov_b32_e32 v34, 0
	v_mov_b32_e32 v35, 0
	;; [unrolled: 1-line block ×10, first 2 shown]
                                        ; implicit-def: $sgpr38_sgpr39
                                        ; implicit-def: $vgpr41
	s_and_saveexec_b64 s[34:35], vcc
	s_cbranch_execz .LBB661_112
; %bb.91:
	v_mov_b32_e32 v7, s78
	v_cmp_eq_u16_sdwa vcc, v8, v9 src0_sel:WORD_1 src1_sel:DWORD
	v_cmp_ne_u16_sdwa s[36:37], v8, v9 src0_sel:WORD_1 src1_sel:DWORD
	v_add_u32_e32 v6, 14, v43
	v_cndmask_b32_e32 v7, v7, v12, vcc
	v_and_b32_e32 v7, 0xffff, v7
	v_cndmask_b32_e64 v8, 0, 1, s[36:37]
	v_lshl_or_b32 v34, v8, 16, v7
	v_cmp_gt_u32_e32 vcc, s59, v6
	s_mov_b64 s[40:41], 0
	v_mov_b32_e32 v35, 0
	v_mov_b32_e32 v36, 0
	;; [unrolled: 1-line block ×9, first 2 shown]
                                        ; implicit-def: $sgpr38_sgpr39
                                        ; implicit-def: $vgpr41
	s_and_saveexec_b64 s[36:37], vcc
	s_cbranch_execz .LBB661_111
; %bb.92:
	v_lshrrev_b32_e32 v6, 16, v12
	v_mov_b32_e32 v8, s78
	v_cmp_eq_u16_sdwa vcc, v9, v9 src0_sel:DWORD src1_sel:WORD_1
	v_cmp_ne_u16_sdwa s[38:39], v9, v9 src0_sel:DWORD src1_sel:WORD_1
	v_add_u32_e32 v7, 15, v43
	v_cndmask_b32_e32 v6, v8, v6, vcc
	v_and_b32_e32 v6, 0xffff, v6
	v_cndmask_b32_e64 v8, 0, 1, s[38:39]
	v_lshl_or_b32 v35, v8, 16, v6
	v_cmp_gt_u32_e32 vcc, s59, v7
	v_mov_b32_e32 v36, 0
	v_mov_b32_e32 v37, 0
	;; [unrolled: 1-line block ×8, first 2 shown]
                                        ; implicit-def: $sgpr42_sgpr43
                                        ; implicit-def: $vgpr41
	s_and_saveexec_b64 s[38:39], vcc
	s_cbranch_execz .LBB661_110
; %bb.93:
	v_mov_b32_e32 v7, s78
	v_cmp_eq_u16_sdwa vcc, v9, v2 src0_sel:WORD_1 src1_sel:DWORD
	v_cmp_ne_u16_sdwa s[40:41], v9, v2 src0_sel:WORD_1 src1_sel:DWORD
	v_add_u32_e32 v6, 16, v43
	v_cndmask_b32_e32 v7, v7, v13, vcc
	v_and_b32_e32 v7, 0xffff, v7
	v_cndmask_b32_e64 v8, 0, 1, s[40:41]
	v_lshl_or_b32 v36, v8, 16, v7
	v_cmp_gt_u32_e32 vcc, s59, v6
	s_mov_b64 s[44:45], 0
	v_mov_b32_e32 v37, 0
	v_mov_b32_e32 v22, 0
	;; [unrolled: 1-line block ×7, first 2 shown]
                                        ; implicit-def: $sgpr42_sgpr43
                                        ; implicit-def: $vgpr41
	s_and_saveexec_b64 s[40:41], vcc
	s_cbranch_execz .LBB661_109
; %bb.94:
	v_lshrrev_b32_e32 v6, 16, v13
	v_mov_b32_e32 v8, s78
	v_cmp_eq_u16_sdwa vcc, v2, v2 src0_sel:DWORD src1_sel:WORD_1
	v_cmp_ne_u16_sdwa s[42:43], v2, v2 src0_sel:DWORD src1_sel:WORD_1
	v_add_u32_e32 v7, 17, v43
	v_cndmask_b32_e32 v6, v8, v6, vcc
	v_and_b32_e32 v6, 0xffff, v6
	v_cndmask_b32_e64 v8, 0, 1, s[42:43]
	v_lshl_or_b32 v37, v8, 16, v6
	v_cmp_gt_u32_e32 vcc, s59, v7
	v_mov_b32_e32 v22, 0
	v_mov_b32_e32 v38, 0
	;; [unrolled: 1-line block ×6, first 2 shown]
                                        ; implicit-def: $sgpr46_sgpr47
                                        ; implicit-def: $vgpr41
	s_and_saveexec_b64 s[42:43], vcc
	s_cbranch_execz .LBB661_108
; %bb.95:
	ds_read_b96 v[6:8], v42 offset:34
	v_mov_b32_e32 v10, s78
	v_cmp_eq_u16_sdwa vcc, v2, v3 src0_sel:WORD_1 src1_sel:DWORD
	v_cmp_ne_u16_sdwa s[44:45], v2, v3 src0_sel:WORD_1 src1_sel:DWORD
	v_add_u32_e32 v9, 18, v43
	s_waitcnt lgkmcnt(0)
	v_cndmask_b32_e32 v10, v10, v6, vcc
	v_and_b32_e32 v10, 0xffff, v10
	v_cndmask_b32_e64 v2, 0, 1, s[44:45]
	v_lshl_or_b32 v22, v2, 16, v10
	v_cmp_gt_u32_e32 vcc, s59, v9
	s_mov_b64 s[48:49], 0
	v_mov_b32_e32 v38, 0
	v_mov_b32_e32 v23, 0
	;; [unrolled: 1-line block ×5, first 2 shown]
                                        ; implicit-def: $sgpr46_sgpr47
                                        ; implicit-def: $vgpr41
	s_and_saveexec_b64 s[44:45], vcc
	s_cbranch_execz .LBB661_107
; %bb.96:
	v_lshrrev_b32_e32 v2, 16, v6
	v_mov_b32_e32 v9, s78
	v_cmp_eq_u16_sdwa vcc, v3, v3 src0_sel:DWORD src1_sel:WORD_1
	v_cmp_ne_u16_sdwa s[46:47], v3, v3 src0_sel:DWORD src1_sel:WORD_1
	v_add_u32_e32 v6, 19, v43
	v_cndmask_b32_e32 v2, v9, v2, vcc
	v_and_b32_e32 v2, 0xffff, v2
	v_cndmask_b32_e64 v9, 0, 1, s[46:47]
	v_lshl_or_b32 v38, v9, 16, v2
	v_cmp_gt_u32_e32 vcc, s59, v6
	v_mov_b32_e32 v23, 0
	v_mov_b32_e32 v39, 0
	;; [unrolled: 1-line block ×4, first 2 shown]
                                        ; implicit-def: $sgpr50_sgpr51
                                        ; implicit-def: $vgpr41
	s_and_saveexec_b64 s[46:47], vcc
	s_cbranch_execz .LBB661_106
; %bb.97:
	v_mov_b32_e32 v6, s78
	v_cmp_eq_u16_sdwa vcc, v3, v4 src0_sel:WORD_1 src1_sel:DWORD
	v_cmp_ne_u16_sdwa s[48:49], v3, v4 src0_sel:WORD_1 src1_sel:DWORD
	v_add_u32_e32 v2, 20, v43
	v_cndmask_b32_e32 v6, v6, v7, vcc
	v_and_b32_e32 v6, 0xffff, v6
	v_cndmask_b32_e64 v3, 0, 1, s[48:49]
	v_lshl_or_b32 v23, v3, 16, v6
	v_cmp_gt_u32_e32 vcc, s59, v2
	s_mov_b64 s[52:53], 0
	v_mov_b32_e32 v39, 0
	v_mov_b32_e32 v24, 0
	;; [unrolled: 1-line block ×3, first 2 shown]
                                        ; implicit-def: $sgpr50_sgpr51
                                        ; implicit-def: $vgpr41
	s_and_saveexec_b64 s[48:49], vcc
	s_cbranch_execz .LBB661_105
; %bb.98:
	v_lshrrev_b32_e32 v2, 16, v7
	v_mov_b32_e32 v6, s78
	v_cmp_eq_u16_sdwa vcc, v4, v4 src0_sel:DWORD src1_sel:WORD_1
	v_cmp_ne_u16_sdwa s[50:51], v4, v4 src0_sel:DWORD src1_sel:WORD_1
	v_add_u32_e32 v3, 21, v43
	v_cndmask_b32_e32 v2, v6, v2, vcc
	v_and_b32_e32 v2, 0xffff, v2
	v_cndmask_b32_e64 v6, 0, 1, s[50:51]
	v_lshl_or_b32 v39, v6, 16, v2
	v_cmp_gt_u32_e32 vcc, s59, v3
	v_mov_b32_e32 v24, 0
	v_mov_b32_e32 v40, 0
                                        ; implicit-def: $sgpr60_sgpr61
                                        ; implicit-def: $vgpr41
	s_and_saveexec_b64 s[50:51], vcc
	s_cbranch_execz .LBB661_104
; %bb.99:
	v_mov_b32_e32 v3, s78
	v_cmp_eq_u16_sdwa vcc, v4, v5 src0_sel:WORD_1 src1_sel:DWORD
	v_cmp_ne_u16_sdwa s[52:53], v4, v5 src0_sel:WORD_1 src1_sel:DWORD
	v_add_u32_e32 v2, 22, v43
	v_cndmask_b32_e32 v3, v3, v8, vcc
	v_and_b32_e32 v3, 0xffff, v3
	v_cndmask_b32_e64 v4, 0, 1, s[52:53]
	v_lshl_or_b32 v24, v4, 16, v3
	v_cmp_gt_u32_e32 vcc, s59, v2
	s_mov_b64 s[74:75], 0
	v_mov_b32_e32 v40, 0
                                        ; implicit-def: $sgpr76_sgpr77
                                        ; implicit-def: $vgpr41
	s_and_saveexec_b64 s[52:53], vcc
	s_cbranch_execz .LBB661_103
; %bb.100:
	v_lshrrev_b32_e32 v2, 16, v8
	v_mov_b32_e32 v4, s78
	v_cmp_eq_u16_sdwa vcc, v5, v5 src0_sel:DWORD src1_sel:WORD_1
	v_cmp_ne_u16_sdwa s[60:61], v5, v5 src0_sel:DWORD src1_sel:WORD_1
	v_add_u32_e32 v3, 23, v43
	v_cndmask_b32_e32 v2, v4, v2, vcc
	v_and_b32_e32 v2, 0xffff, v2
	v_cndmask_b32_e64 v4, 0, 1, s[60:61]
	v_lshl_or_b32 v40, v4, 16, v2
	v_cmp_gt_u32_e32 vcc, s59, v3
	s_mov_b64 s[60:61], 0
                                        ; implicit-def: $sgpr74_sgpr75
                                        ; implicit-def: $vgpr41
	s_and_saveexec_b64 s[76:77], vcc
	s_xor_b64 s[76:77], exec, s[76:77]
	s_cbranch_execz .LBB661_102
; %bb.101:
	ds_read_u16 v2, v42 offset:46
	v_mov_b32_e32 v3, s78
	v_cmp_ne_u16_sdwa vcc, v5, v26 src0_sel:WORD_1 src1_sel:DWORD
	s_mov_b64 s[60:61], exec
	s_and_b64 s[74:75], vcc, exec
	s_waitcnt lgkmcnt(0)
	v_cndmask_b32_e32 v41, v2, v3, vcc
.LBB661_102:
	s_or_b64 exec, exec, s[76:77]
	s_and_b64 s[76:77], s[74:75], exec
	s_and_b64 s[74:75], s[60:61], exec
.LBB661_103:
	s_or_b64 exec, exec, s[52:53]
	s_and_b64 s[60:61], s[76:77], exec
	s_and_b64 s[52:53], s[74:75], exec
.LBB661_104:
	s_or_b64 exec, exec, s[50:51]
	s_and_b64 s[50:51], s[60:61], exec
	s_and_b64 s[52:53], s[52:53], exec
.LBB661_105:
	s_or_b64 exec, exec, s[48:49]
	s_and_b64 s[50:51], s[50:51], exec
	s_and_b64 s[48:49], s[52:53], exec
.LBB661_106:
	s_or_b64 exec, exec, s[46:47]
	s_and_b64 s[46:47], s[50:51], exec
	s_and_b64 s[48:49], s[48:49], exec
.LBB661_107:
	s_or_b64 exec, exec, s[44:45]
	s_and_b64 s[46:47], s[46:47], exec
	s_and_b64 s[44:45], s[48:49], exec
.LBB661_108:
	s_or_b64 exec, exec, s[42:43]
	s_and_b64 s[42:43], s[46:47], exec
	s_and_b64 s[44:45], s[44:45], exec
.LBB661_109:
	s_or_b64 exec, exec, s[40:41]
	s_and_b64 s[42:43], s[42:43], exec
	s_and_b64 s[40:41], s[44:45], exec
.LBB661_110:
	s_or_b64 exec, exec, s[38:39]
	s_and_b64 s[38:39], s[42:43], exec
	s_and_b64 s[40:41], s[40:41], exec
.LBB661_111:
	s_or_b64 exec, exec, s[36:37]
	s_and_b64 s[38:39], s[38:39], exec
	s_and_b64 s[36:37], s[40:41], exec
.LBB661_112:
	s_or_b64 exec, exec, s[34:35]
	s_and_b64 s[34:35], s[38:39], exec
	s_and_b64 s[36:37], s[36:37], exec
.LBB661_113:
	s_or_b64 exec, exec, s[30:31]
	s_and_b64 s[34:35], s[34:35], exec
	s_and_b64 s[30:31], s[36:37], exec
.LBB661_114:
	s_or_b64 exec, exec, s[28:29]
	s_and_b64 s[28:29], s[34:35], exec
	s_and_b64 s[30:31], s[30:31], exec
.LBB661_115:
	s_or_b64 exec, exec, s[26:27]
	s_and_b64 s[28:29], s[28:29], exec
	s_and_b64 s[26:27], s[30:31], exec
.LBB661_116:
	s_or_b64 exec, exec, s[24:25]
	s_and_b64 s[24:25], s[28:29], exec
	s_and_b64 s[26:27], s[26:27], exec
.LBB661_117:
	s_or_b64 exec, exec, s[22:23]
	s_and_b64 s[24:25], s[24:25], exec
	s_and_b64 s[22:23], s[26:27], exec
.LBB661_118:
	s_or_b64 exec, exec, s[20:21]
	s_and_b64 s[20:21], s[24:25], exec
	s_and_b64 s[22:23], s[22:23], exec
.LBB661_119:
	s_or_b64 exec, exec, s[18:19]
	s_and_b64 s[20:21], s[20:21], exec
	s_and_b64 s[18:19], s[22:23], exec
.LBB661_120:
	s_or_b64 exec, exec, s[16:17]
	s_and_b64 s[16:17], s[20:21], exec
	s_and_b64 s[18:19], s[18:19], exec
.LBB661_121:
	s_or_b64 exec, exec, s[14:15]
	s_and_b64 s[16:17], s[16:17], exec
	s_and_b64 s[14:15], s[18:19], exec
.LBB661_122:
	s_or_b64 exec, exec, s[12:13]
	s_and_b64 s[12:13], s[16:17], exec
	s_and_b64 s[14:15], s[14:15], exec
.LBB661_123:
	s_or_b64 exec, exec, s[10:11]
	s_and_b64 s[12:13], s[12:13], exec
	s_and_b64 s[10:11], s[14:15], exec
.LBB661_124:
	s_or_b64 exec, exec, s[8:9]
	s_and_b64 s[8:9], s[12:13], exec
	s_and_b64 s[10:11], s[10:11], exec
.LBB661_125:
	s_or_b64 exec, exec, s[6:7]
	s_and_b64 vcc, exec, s[4:5]
	v_lshlrev_b32_e32 v26, 1, v0
	s_cbranch_vccnz .LBB661_127
	s_branch .LBB661_132
.LBB661_126:
	s_mov_b64 s[10:11], 0
                                        ; implicit-def: $sgpr8_sgpr9
                                        ; implicit-def: $vgpr41
                                        ; implicit-def: $vgpr1
                                        ; implicit-def: $vgpr18
                                        ; implicit-def: $vgpr25
                                        ; implicit-def: $vgpr19
                                        ; implicit-def: $vgpr27
                                        ; implicit-def: $vgpr20
                                        ; implicit-def: $vgpr28
                                        ; implicit-def: $vgpr21
                                        ; implicit-def: $vgpr29
                                        ; implicit-def: $vgpr30
                                        ; implicit-def: $vgpr31
                                        ; implicit-def: $vgpr32
                                        ; implicit-def: $vgpr33
                                        ; implicit-def: $vgpr34
                                        ; implicit-def: $vgpr35
                                        ; implicit-def: $vgpr36
                                        ; implicit-def: $vgpr37
                                        ; implicit-def: $vgpr22
                                        ; implicit-def: $vgpr38
                                        ; implicit-def: $vgpr23
                                        ; implicit-def: $vgpr39
                                        ; implicit-def: $vgpr24
                                        ; implicit-def: $vgpr40
                                        ; implicit-def: $sgpr3
	s_and_b64 vcc, exec, s[4:5]
	v_lshlrev_b32_e32 v26, 1, v0
	s_cbranch_vccz .LBB661_132
.LBB661_127:
	v_mov_b32_e32 v27, 0
	v_lshl_add_u64 v[2:3], s[72:73], 0, v[26:27]
	v_add_co_u32_e32 v4, vcc, 0x1000, v2
	flat_load_ushort v1, v[2:3]
	flat_load_ushort v6, v[2:3] offset:512
	flat_load_ushort v7, v[2:3] offset:1024
	flat_load_ushort v8, v[2:3] offset:1536
	flat_load_ushort v9, v[2:3] offset:2048
	flat_load_ushort v10, v[2:3] offset:2560
	flat_load_ushort v11, v[2:3] offset:3072
	flat_load_ushort v12, v[2:3] offset:3584
	v_addc_co_u32_e32 v5, vcc, 0, v3, vcc
	v_add_co_u32_e32 v2, vcc, 0x2000, v2
	flat_load_ushort v13, v[4:5]
	flat_load_ushort v14, v[4:5] offset:512
	flat_load_ushort v15, v[4:5] offset:1024
	;; [unrolled: 1-line block ×7, first 2 shown]
	v_addc_co_u32_e32 v3, vcc, 0, v3, vcc
	flat_load_ushort v4, v[2:3]
	flat_load_ushort v5, v[2:3] offset:512
	flat_load_ushort v21, v[2:3] offset:1024
	;; [unrolled: 1-line block ×7, first 2 shown]
	v_mov_b32_e32 v2, s72
	v_mov_b32_e32 v3, s73
	v_add_co_u32_e32 v2, vcc, 0x3000, v2
	s_movk_i32 s4, 0xffd2
	s_nop 0
	v_addc_co_u32_e32 v3, vcc, 0, v3, vcc
	s_movk_i32 s6, 0x1000
	s_movk_i32 s3, 0x2000
	s_waitcnt vmcnt(0) lgkmcnt(0)
	ds_write_b16 v26, v1
	ds_write_b16 v26, v6 offset:512
	ds_write_b16 v26, v7 offset:1024
	;; [unrolled: 1-line block ×23, first 2 shown]
	s_waitcnt lgkmcnt(0)
	s_barrier
	flat_load_ushort v41, v[2:3]
	v_mad_u32_u24 v1, v0, 46, v26
	ds_read_b128 v[10:13], v1
	ds_read_b128 v[6:9], v1 offset:16
	ds_read_b128 v[2:5], v1 offset:32
	v_mad_i32_i24 v14, v0, s4, v1
	s_movk_i32 s4, 0xff
	v_cmp_ne_u32_e32 vcc, s4, v0
	s_waitcnt lgkmcnt(0)
	ds_write_b16 v14, v10 offset:12800
	s_waitcnt lgkmcnt(0)
	s_barrier
	s_and_saveexec_b64 s[4:5], vcc
	s_cbranch_execz .LBB661_129
; %bb.128:
	s_waitcnt vmcnt(0)
	ds_read_u16 v41, v26 offset:12802
.LBB661_129:
	s_or_b64 exec, exec, s[4:5]
	v_lshl_add_u64 v[14:15], s[70:71], 0, v[26:27]
	v_add_co_u32_e32 v16, vcc, s6, v14
	s_waitcnt lgkmcnt(0)
	s_nop 0
	v_addc_co_u32_e32 v17, vcc, 0, v15, vcc
	s_barrier
	flat_load_ushort v18, v[14:15]
	flat_load_ushort v19, v[14:15] offset:512
	flat_load_ushort v20, v[14:15] offset:1024
	;; [unrolled: 1-line block ×7, first 2 shown]
	v_add_co_u32_e32 v14, vcc, s3, v14
	flat_load_ushort v28, v[16:17]
	flat_load_ushort v29, v[16:17] offset:512
	flat_load_ushort v30, v[16:17] offset:1024
	;; [unrolled: 1-line block ×7, first 2 shown]
	v_addc_co_u32_e32 v15, vcc, 0, v15, vcc
	flat_load_ushort v16, v[14:15]
	flat_load_ushort v17, v[14:15] offset:512
	flat_load_ushort v36, v[14:15] offset:1024
	;; [unrolled: 1-line block ×7, first 2 shown]
	v_cmp_eq_u16_sdwa s[6:7], v10, v10 src0_sel:DWORD src1_sel:WORD_1
	s_waitcnt vmcnt(0) lgkmcnt(0)
	ds_write_b16 v26, v18
	ds_write_b16 v26, v19 offset:512
	ds_write_b16 v26, v20 offset:1024
	;; [unrolled: 1-line block ×23, first 2 shown]
	s_waitcnt lgkmcnt(0)
	s_barrier
	ds_read_b128 v[18:21], v1 offset:2
	ds_read_b128 v[14:17], v1 offset:18
	ds_read_b96 v[22:24], v1 offset:34
	ds_read_u16 v42, v1 offset:46
	v_mov_b32_e32 v25, 0x10000
	v_mov_b32_e32 v28, s78
	s_and_saveexec_b64 s[4:5], s[6:7]
	s_cbranch_execz .LBB661_131
; %bb.130:
	ds_read_u16 v28, v1
	v_mov_b32_e32 v25, v27
.LBB661_131:
	s_or_b64 exec, exec, s[4:5]
	v_mov_b32_e32 v43, s78
	v_cmp_eq_u16_sdwa vcc, v10, v11 src0_sel:WORD_1 src1_sel:DWORD
	s_waitcnt lgkmcnt(3)
	v_lshrrev_b32_e32 v27, 16, v18
	v_cmp_ne_u16_sdwa s[4:5], v10, v11 src0_sel:WORD_1 src1_sel:DWORD
	v_cndmask_b32_e32 v18, v43, v18, vcc
	v_and_b32_e32 v18, 0xffff, v18
	v_cndmask_b32_e64 v10, 0, 1, s[4:5]
	v_cmp_eq_u16_sdwa vcc, v11, v11 src0_sel:DWORD src1_sel:WORD_1
	v_lshl_or_b32 v18, v10, 16, v18
	v_cmp_ne_u16_sdwa s[4:5], v11, v11 src0_sel:DWORD src1_sel:WORD_1
	v_cndmask_b32_e32 v10, v43, v27, vcc
	s_waitcnt lgkmcnt(0)
	v_or_b32_sdwa v1, v25, v28 dst_sel:DWORD dst_unused:UNUSED_PAD src0_sel:DWORD src1_sel:WORD_0
	v_and_b32_e32 v10, 0xffff, v10
	v_cndmask_b32_e64 v25, 0, 1, s[4:5]
	v_cmp_eq_u16_sdwa vcc, v11, v12 src0_sel:WORD_1 src1_sel:DWORD
	v_lshl_or_b32 v25, v25, 16, v10
	v_cmp_ne_u16_sdwa s[4:5], v11, v12 src0_sel:WORD_1 src1_sel:DWORD
	v_cndmask_b32_e32 v10, v43, v19, vcc
	v_lshrrev_b32_e32 v29, 16, v19
	v_and_b32_e32 v10, 0xffff, v10
	v_cndmask_b32_e64 v11, 0, 1, s[4:5]
	v_cmp_eq_u16_sdwa vcc, v12, v12 src0_sel:DWORD src1_sel:WORD_1
	v_lshl_or_b32 v19, v11, 16, v10
	v_cmp_ne_u16_sdwa s[4:5], v12, v12 src0_sel:DWORD src1_sel:WORD_1
	v_cndmask_b32_e32 v10, v43, v29, vcc
	v_and_b32_e32 v10, 0xffff, v10
	v_cndmask_b32_e64 v11, 0, 1, s[4:5]
	v_cmp_eq_u16_sdwa vcc, v12, v13 src0_sel:WORD_1 src1_sel:DWORD
	v_lshl_or_b32 v27, v11, 16, v10
	v_cmp_ne_u16_sdwa s[4:5], v12, v13 src0_sel:WORD_1 src1_sel:DWORD
	v_cndmask_b32_e32 v10, v43, v20, vcc
	v_lshrrev_b32_e32 v30, 16, v20
	v_and_b32_e32 v10, 0xffff, v10
	v_cndmask_b32_e64 v11, 0, 1, s[4:5]
	v_cmp_eq_u16_sdwa vcc, v13, v13 src0_sel:DWORD src1_sel:WORD_1
	v_lshl_or_b32 v20, v11, 16, v10
	v_cmp_ne_u16_sdwa s[4:5], v13, v13 src0_sel:DWORD src1_sel:WORD_1
	v_cndmask_b32_e32 v10, v43, v30, vcc
	;; [unrolled: 13-line block ×10, first 2 shown]
	v_and_b32_e32 v2, 0xffff, v2
	v_cndmask_b32_e64 v3, 0, 1, s[4:5]
	v_cmp_ne_u16_sdwa s[8:9], v5, v41 src0_sel:WORD_1 src1_sel:DWORD
	v_lshl_or_b32 v40, v3, 16, v2
	s_mov_b64 s[10:11], -1
	v_cndmask_b32_e64 v41, v42, v43, s[8:9]
                                        ; implicit-def: $sgpr3
.LBB661_132:
	v_mov_b32_e32 v12, s3
	s_and_saveexec_b64 s[4:5], s[10:11]
; %bb.133:
	v_mov_b32_e32 v2, 0x10000
	v_cndmask_b32_e64 v2, 0, v2, s[8:9]
	v_or_b32_sdwa v12, v2, v41 dst_sel:DWORD dst_unused:UNUSED_PAD src0_sel:DWORD src1_sel:WORD_0
; %bb.134:
	s_or_b64 exec, exec, s[4:5]
	v_or3_b32 v2, v12, v40, v24
	s_cmp_lg_u32 s2, 0
	v_or3_b32 v14, v2, v39, v23
	v_mbcnt_lo_u32_b32 v13, -1, 0
	s_barrier
	s_cbranch_scc0 .LBB661_227
; %bb.135:
	s_mov_b32 s3, 0x10000
	v_cmp_gt_u32_e64 s[50:51], s3, v18
	v_cmp_gt_u32_e64 s[4:5], s3, v25
	v_cmp_gt_u32_e64 s[6:7], s3, v19
	v_cndmask_b32_e64 v2, 0, v1, s[50:51]
	v_add_u16_e32 v2, v2, v18
	v_cndmask_b32_e64 v2, 0, v2, s[4:5]
	v_add_u16_e32 v2, v2, v25
	v_cndmask_b32_e64 v2, 0, v2, s[6:7]
	v_add_u16_e32 v2, v2, v19
	v_cmp_gt_u32_e64 s[8:9], s3, v27
	v_cmp_gt_u32_e64 s[10:11], s3, v20
	v_cmp_gt_u32_e64 s[12:13], s3, v28
	v_cndmask_b32_e64 v2, 0, v2, s[8:9]
	v_add_u16_e32 v2, v2, v27
	v_cndmask_b32_e64 v2, 0, v2, s[10:11]
	v_add_u16_e32 v2, v2, v20
	v_cndmask_b32_e64 v2, 0, v2, s[12:13]
	v_add_u16_e32 v2, v2, v28
	;; [unrolled: 9-line block ×5, first 2 shown]
	v_cmp_gt_u32_e64 s[34:35], s3, v37
	v_cmp_gt_u32_e64 s[36:37], s3, v22
	;; [unrolled: 1-line block ×3, first 2 shown]
	v_cndmask_b32_e64 v2, 0, v2, s[34:35]
	v_add_u16_e32 v2, v2, v37
	v_cndmask_b32_e64 v2, 0, v2, s[36:37]
	v_add_u16_e32 v2, v2, v22
	v_cndmask_b32_e64 v2, 0, v2, s[38:39]
	v_or3_b32 v5, v14, v38, v22
	v_add_u16_e32 v2, v2, v38
	v_cmp_gt_u32_e64 s[40:41], s3, v23
	v_or3_b32 v5, v5, v37, v36
	v_or3_b32 v5, v5, v35, v34
	v_cndmask_b32_e64 v2, 0, v2, s[40:41]
	v_add_u16_e32 v2, v2, v23
	v_cmp_gt_u32_e64 s[42:43], s3, v39
	v_or3_b32 v5, v5, v33, v32
	v_or3_b32 v5, v5, v31, v30
	v_cndmask_b32_e64 v2, 0, v2, s[42:43]
	v_add_u16_e32 v2, v2, v39
	v_cmp_gt_u32_e64 s[44:45], s3, v24
	v_or3_b32 v5, v5, v29, v21
	v_or3_b32 v5, v5, v28, v20
	v_cndmask_b32_e64 v2, 0, v2, s[44:45]
	v_add_u16_e32 v2, v2, v24
	v_cmp_gt_u32_e64 s[46:47], s3, v40
	v_or3_b32 v5, v5, v27, v19
	v_or3_b32 v5, v5, v25, v18
	v_cndmask_b32_e64 v2, 0, v2, s[46:47]
	v_add_u16_e32 v2, v2, v40
	v_cmp_gt_u32_e32 vcc, s3, v12
	v_and_b32_e32 v5, 0x10000, v5
	v_and_b32_e32 v3, 0x10000, v1
	v_cndmask_b32_e32 v4, 0, v2, vcc
	v_mov_b32_e32 v6, 0x10000
	v_cmp_ne_u32_e32 vcc, 0, v5
	v_add_u16_e32 v2, v4, v12
	v_add_u16_e32 v4, v4, v12
	v_cndmask_b32_e32 v6, v3, v6, vcc
	v_mbcnt_hi_u32_b32 v5, -1, v13
	v_and_b32_e32 v7, 15, v5
	v_or_b32_e32 v4, v6, v4
	v_lshrrev_b32_e32 v3, 16, v6
	v_cmp_ne_u32_e32 vcc, 0, v7
	v_mov_b32_dpp v8, v4 row_shr:1 row_mask:0xf bank_mask:0xf
	s_and_saveexec_b64 s[48:49], vcc
	s_cbranch_execz .LBB661_137
; %bb.136:
	v_cmp_eq_u32_e32 vcc, 0, v6
	v_and_b32_e32 v3, 0x10000, v6
	v_mov_b32_e32 v6, 1
	v_cndmask_b32_e32 v4, 0, v8, vcc
	v_and_b32_sdwa v6, v8, v6 dst_sel:DWORD dst_unused:UNUSED_PAD src0_sel:WORD_1 src1_sel:DWORD
	v_cmp_ne_u32_e32 vcc, 0, v3
	v_add_u16_e32 v9, v4, v2
	v_add_u16_e32 v2, v4, v2
	v_cndmask_b32_e64 v3, v6, 1, vcc
	v_lshlrev_b32_e32 v6, 16, v3
	v_or_b32_e32 v4, v6, v2
	v_mov_b32_e32 v2, v9
.LBB661_137:
	s_or_b64 exec, exec, s[48:49]
	v_lshrrev_b32_e32 v6, 16, v4
	v_mov_b32_dpp v8, v4 row_shr:2 row_mask:0xf bank_mask:0xf
	v_cmp_lt_u32_e32 vcc, 1, v7
	s_and_saveexec_b64 s[48:49], vcc
	s_cbranch_execz .LBB661_139
; %bb.138:
	v_cmp_gt_u32_e32 vcc, s3, v4
	v_and_b32_e32 v3, 0x10000, v4
	v_mov_b32_e32 v4, 1
	v_cndmask_b32_e32 v6, 0, v8, vcc
	v_and_b32_sdwa v4, v8, v4 dst_sel:DWORD dst_unused:UNUSED_PAD src0_sel:WORD_1 src1_sel:DWORD
	v_cmp_ne_u32_e32 vcc, 0, v3
	v_add_u16_e32 v9, v6, v2
	v_add_u16_e32 v2, v6, v2
	v_cndmask_b32_e64 v3, v4, 1, vcc
	v_lshlrev_b32_e32 v4, 16, v3
	v_or_b32_e32 v4, v4, v2
	v_mov_b32_e32 v6, v3
	v_mov_b32_e32 v2, v9
.LBB661_139:
	s_or_b64 exec, exec, s[48:49]
	v_mov_b32_dpp v8, v4 row_shr:4 row_mask:0xf bank_mask:0xf
	v_cmp_lt_u32_e32 vcc, 3, v7
	s_and_saveexec_b64 s[48:49], vcc
	s_cbranch_execz .LBB661_141
; %bb.140:
	v_cmp_eq_u16_e32 vcc, 0, v6
	v_and_b32_e32 v3, 1, v6
	v_mov_b32_e32 v6, 1
	v_cndmask_b32_e32 v4, 0, v8, vcc
	v_and_b32_sdwa v6, v8, v6 dst_sel:DWORD dst_unused:UNUSED_PAD src0_sel:WORD_1 src1_sel:DWORD
	v_cmp_eq_u32_e32 vcc, 1, v3
	v_add_u16_e32 v9, v4, v2
	v_add_u16_e32 v2, v4, v2
	v_cndmask_b32_e64 v3, v6, 1, vcc
	v_lshlrev_b32_e32 v6, 16, v3
	v_or_b32_e32 v4, v6, v2
	v_mov_b32_e32 v6, v3
	v_mov_b32_e32 v2, v9
.LBB661_141:
	s_or_b64 exec, exec, s[48:49]
	v_mov_b32_dpp v8, v4 row_shr:8 row_mask:0xf bank_mask:0xf
	v_cmp_lt_u32_e32 vcc, 7, v7
	s_and_saveexec_b64 s[48:49], vcc
	s_cbranch_execz .LBB661_143
; %bb.142:
	v_cmp_eq_u16_e32 vcc, 0, v6
	v_and_b32_e32 v3, 1, v6
	v_mov_b32_e32 v6, 1
	v_cndmask_b32_e32 v4, 0, v8, vcc
	v_and_b32_sdwa v6, v8, v6 dst_sel:DWORD dst_unused:UNUSED_PAD src0_sel:WORD_1 src1_sel:DWORD
	v_cmp_eq_u32_e32 vcc, 1, v3
	v_add_u16_e32 v7, v4, v2
	v_add_u16_e32 v2, v4, v2
	v_cndmask_b32_e64 v3, v6, 1, vcc
	v_lshlrev_b32_e32 v6, 16, v3
	v_or_b32_e32 v4, v6, v2
	v_mov_b32_e32 v6, v3
	v_mov_b32_e32 v2, v7
.LBB661_143:
	s_or_b64 exec, exec, s[48:49]
	v_and_b32_e32 v8, 16, v5
	v_mov_b32_dpp v7, v4 row_bcast:15 row_mask:0xf bank_mask:0xf
	v_cmp_ne_u32_e32 vcc, 0, v8
	s_and_saveexec_b64 s[48:49], vcc
	s_cbranch_execz .LBB661_145
; %bb.144:
	v_cmp_eq_u16_e32 vcc, 0, v6
	v_and_b32_e32 v3, 1, v6
	v_mov_b32_e32 v6, 1
	v_cndmask_b32_e32 v4, 0, v7, vcc
	v_and_b32_sdwa v6, v7, v6 dst_sel:DWORD dst_unused:UNUSED_PAD src0_sel:WORD_1 src1_sel:DWORD
	v_cmp_eq_u32_e32 vcc, 1, v3
	v_add_u16_e32 v8, v4, v2
	v_add_u16_e32 v2, v4, v2
	v_cndmask_b32_e64 v3, v6, 1, vcc
	v_lshlrev_b32_e32 v6, 16, v3
	v_or_b32_e32 v4, v6, v2
	v_mov_b32_e32 v6, v3
	v_mov_b32_e32 v2, v8
.LBB661_145:
	s_or_b64 exec, exec, s[48:49]
	v_mov_b32_dpp v4, v4 row_bcast:31 row_mask:0xf bank_mask:0xf
	v_cmp_lt_u32_e32 vcc, 31, v5
	s_and_saveexec_b64 s[48:49], vcc
; %bb.146:
	v_cmp_eq_u16_e32 vcc, 0, v6
	s_nop 1
	v_cndmask_b32_e32 v3, 0, v4, vcc
	v_add_u16_e32 v2, v3, v2
	v_and_b32_e32 v3, 1, v6
	v_mov_b32_e32 v6, 1
	v_and_b32_sdwa v4, v4, v6 dst_sel:DWORD dst_unused:UNUSED_PAD src0_sel:WORD_1 src1_sel:DWORD
	v_cmp_eq_u32_e32 vcc, 1, v3
	s_nop 1
	v_cndmask_b32_e64 v3, v4, 1, vcc
; %bb.147:
	s_or_b64 exec, exec, s[48:49]
	v_or_b32_e32 v6, 63, v0
	v_lshrrev_b32_e32 v4, 6, v0
	v_cmp_eq_u32_e32 vcc, v6, v0
	s_and_saveexec_b64 s[48:49], vcc
	s_cbranch_execz .LBB661_149
; %bb.148:
	v_lshlrev_b32_e32 v6, 2, v4
	ds_write_b16 v6, v2
	ds_write_b8 v6, v3 offset:2
.LBB661_149:
	s_or_b64 exec, exec, s[48:49]
	v_cmp_gt_u32_e32 vcc, 4, v0
	s_waitcnt lgkmcnt(0)
	s_barrier
	s_and_saveexec_b64 s[48:49], vcc
	s_cbranch_execz .LBB661_155
; %bb.150:
	v_lshlrev_b32_e32 v6, 2, v0
	ds_read_b32 v7, v6
	v_and_b32_e32 v10, 3, v5
	v_cmp_ne_u32_e32 vcc, 0, v10
	s_waitcnt lgkmcnt(0)
	v_lshrrev_b32_e32 v9, 16, v7
	v_mov_b32_dpp v11, v7 row_shr:1 row_mask:0xf bank_mask:0xf
	v_mov_b32_e32 v8, v7
	s_and_saveexec_b64 s[52:53], vcc
	s_cbranch_execz .LBB661_152
; %bb.151:
	v_mov_b32_e32 v8, 0
	v_cmp_eq_u16_sdwa vcc, v9, v8 src0_sel:BYTE_0 src1_sel:DWORD
	v_and_b32_e32 v9, 0x10000, v7
	v_mov_b32_e32 v17, 1
	v_cndmask_b32_e32 v16, 0, v11, vcc
	v_and_b32_sdwa v11, v11, v17 dst_sel:DWORD dst_unused:UNUSED_PAD src0_sel:WORD_1 src1_sel:DWORD
	v_cmp_ne_u32_e32 vcc, 0, v9
	v_and_b32_e32 v15, 0xff000000, v7
	v_add_u16_e32 v8, v16, v7
	v_cndmask_b32_e64 v9, v11, 1, vcc
	v_lshlrev_b32_e32 v11, 16, v9
	v_add_u16_e32 v7, v16, v7
	v_or3_b32 v7, v11, v15, v7
.LBB661_152:
	s_or_b64 exec, exec, s[52:53]
	s_nop 0
	v_mov_b32_dpp v11, v7 row_shr:2 row_mask:0xf bank_mask:0xf
	v_cmp_lt_u32_e32 vcc, 1, v10
	s_and_saveexec_b64 s[52:53], vcc
; %bb.153:
	v_and_b32_e32 v9, 0xff0000, v7
	v_cmp_eq_u32_e32 vcc, 0, v9
	v_and_b32_e32 v7, 0x10000, v7
	s_nop 0
	v_cndmask_b32_e32 v9, 0, v11, vcc
	v_add_u16_e32 v8, v9, v8
	v_mov_b32_e32 v9, 1
	v_and_b32_sdwa v9, v11, v9 dst_sel:DWORD dst_unused:UNUSED_PAD src0_sel:WORD_1 src1_sel:DWORD
	v_cmp_eq_u32_e32 vcc, 0, v7
	s_nop 1
	v_cndmask_b32_e32 v9, 1, v9, vcc
; %bb.154:
	s_or_b64 exec, exec, s[52:53]
	ds_write_b16 v6, v8
	ds_write_b8 v6, v9 offset:2
.LBB661_155:
	s_or_b64 exec, exec, s[48:49]
	v_cmp_gt_u32_e32 vcc, 64, v0
	v_cmp_lt_u32_e64 s[48:49], 63, v0
	v_mov_b32_e32 v15, 0
	v_mov_b32_e32 v16, 0
	s_waitcnt lgkmcnt(0)
	s_barrier
	s_and_saveexec_b64 s[52:53], s[48:49]
	s_cbranch_execz .LBB661_157
; %bb.156:
	v_lshl_add_u32 v4, v4, 2, -4
	ds_read_u16 v15, v4
	ds_read_u8 v16, v4 offset:2
	v_and_b32_e32 v6, 1, v3
	v_cmp_eq_u16_e64 s[48:49], 0, v3
	s_waitcnt lgkmcnt(1)
	s_nop 0
	v_cndmask_b32_e64 v3, 0, v15, s[48:49]
	v_cmp_eq_u32_e64 s[48:49], 1, v6
	v_add_u16_e32 v2, v3, v2
	s_waitcnt lgkmcnt(0)
	v_cndmask_b32_e64 v3, v16, 1, s[48:49]
.LBB661_157:
	s_or_b64 exec, exec, s[52:53]
	v_and_b32_e32 v3, 0xff, v3
	v_and_b32_e32 v2, 0xffff, v2
	v_lshl_or_b32 v2, v3, 16, v2
	v_add_u32_e32 v3, -1, v5
	v_and_b32_e32 v4, 64, v5
	v_cmp_lt_i32_e64 s[48:49], v3, v4
	s_nop 1
	v_cndmask_b32_e64 v3, v3, v5, s[48:49]
	v_lshlrev_b32_e32 v3, 2, v3
	ds_bpermute_b32 v17, v3, v2
	v_cmp_eq_u32_e64 s[48:49], 0, v5
	s_and_saveexec_b64 s[52:53], vcc
	s_cbranch_execz .LBB661_204
; %bb.158:
	v_mov_b32_e32 v11, 0
	ds_read_b32 v2, v11 offset:12
	s_and_saveexec_b64 s[60:61], s[48:49]
	s_cbranch_execz .LBB661_160
; %bb.159:
	s_add_i32 s70, s2, 64
	s_mov_b32 s71, 0
	s_lshl_b64 s[70:71], s[70:71], 3
	s_add_u32 s70, s56, s70
	v_mov_b32_e32 v3, 1
	s_addc_u32 s71, s57, s71
	s_waitcnt lgkmcnt(0)
	global_store_dwordx2 v11, v[2:3], s[70:71] sc1
.LBB661_160:
	s_or_b64 exec, exec, s[60:61]
	v_xad_u32 v4, v5, -1, s2
	v_add_u32_e32 v10, 64, v4
	v_lshl_add_u64 v[8:9], v[10:11], 3, s[56:57]
	global_load_dwordx2 v[6:7], v[8:9], off sc1
	s_waitcnt vmcnt(0)
	v_cmp_eq_u16_sdwa s[70:71], v7, v11 src0_sel:BYTE_0 src1_sel:DWORD
	s_and_saveexec_b64 s[60:61], s[70:71]
	s_cbranch_execz .LBB661_166
; %bb.161:
	s_mov_b32 s3, 1
	s_mov_b64 s[70:71], 0
	v_mov_b32_e32 v3, 0
.LBB661_162:                            ; =>This Loop Header: Depth=1
                                        ;     Child Loop BB661_163 Depth 2
	s_max_u32 s59, s3, 1
.LBB661_163:                            ;   Parent Loop BB661_162 Depth=1
                                        ; =>  This Inner Loop Header: Depth=2
	s_add_i32 s59, s59, -1
	s_cmp_eq_u32 s59, 0
	s_sleep 1
	s_cbranch_scc0 .LBB661_163
; %bb.164:                              ;   in Loop: Header=BB661_162 Depth=1
	global_load_dwordx2 v[6:7], v[8:9], off sc1
	s_cmp_lt_u32 s3, 32
	s_cselect_b64 s[72:73], -1, 0
	s_cmp_lg_u64 s[72:73], 0
	s_addc_u32 s3, s3, 0
	s_waitcnt vmcnt(0)
	v_cmp_ne_u16_sdwa s[72:73], v7, v3 src0_sel:BYTE_0 src1_sel:DWORD
	s_or_b64 s[70:71], s[72:73], s[70:71]
	s_andn2_b64 exec, exec, s[70:71]
	s_cbranch_execnz .LBB661_162
; %bb.165:
	s_or_b64 exec, exec, s[70:71]
.LBB661_166:
	s_or_b64 exec, exec, s[60:61]
	v_mov_b32_e32 v3, 2
	v_cmp_eq_u16_sdwa s[60:61], v7, v3 src0_sel:BYTE_0 src1_sel:DWORD
	v_lshlrev_b64 v[8:9], v5, -1
	v_and_b32_e32 v52, 0xffffff, v6
	v_and_b32_e32 v3, s61, v9
	v_or_b32_e32 v3, 0x80000000, v3
	v_ffbl_b32_e32 v3, v3
	v_add_u32_e32 v11, 32, v3
	v_and_b32_e32 v3, 63, v5
	v_cmp_ne_u32_e32 vcc, 63, v3
	v_and_b32_e32 v10, s60, v8
	v_ffbl_b32_e32 v10, v10
	v_addc_co_u32_e32 v41, vcc, 0, v5, vcc
	v_lshlrev_b32_e32 v41, 2, v41
	ds_bpermute_b32 v42, v41, v52
	v_min_u32_e32 v11, v10, v11
	v_lshrrev_b32_e32 v10, 16, v6
	v_cmp_lt_u32_e32 vcc, v3, v11
	v_bfe_u32 v50, v6, 16, 8
	s_and_saveexec_b64 s[60:61], vcc
	s_cbranch_execz .LBB661_168
; %bb.167:
	v_and_b32_e32 v10, 0xff0000, v6
	v_cmp_eq_u32_e32 vcc, 0, v10
	v_and_b32_e32 v10, 0x10000, v10
	v_mov_b32_e32 v45, 1
	s_waitcnt lgkmcnt(0)
	v_cndmask_b32_e32 v43, 0, v42, vcc
	v_and_b32_sdwa v42, v42, v45 dst_sel:DWORD dst_unused:UNUSED_PAD src0_sel:WORD_1 src1_sel:DWORD
	v_cmp_ne_u32_e32 vcc, 0, v10
	v_add_u16_e32 v44, v43, v6
	v_add_u16_e32 v6, v43, v6
	v_cndmask_b32_e64 v10, v42, 1, vcc
	v_lshlrev_b32_e32 v42, 16, v10
	v_or_b32_e32 v52, v42, v6
	v_mov_b32_e32 v6, v44
	v_mov_b32_e32 v50, v10
.LBB661_168:
	s_or_b64 exec, exec, s[60:61]
	v_cmp_gt_u32_e32 vcc, 62, v3
	v_add_u32_e32 v43, 2, v3
	s_waitcnt lgkmcnt(0)
	v_cndmask_b32_e64 v42, 0, 1, vcc
	v_lshlrev_b32_e32 v42, 1, v42
	v_add_lshl_u32 v42, v42, v5, 2
	ds_bpermute_b32 v44, v42, v52
	v_cmp_le_u32_e32 vcc, v43, v11
	s_and_saveexec_b64 s[60:61], vcc
	s_cbranch_execz .LBB661_170
; %bb.169:
	v_cmp_eq_u16_e32 vcc, 0, v50
	v_and_b32_e32 v10, 1, v50
	v_mov_b32_e32 v47, 1
	s_waitcnt lgkmcnt(0)
	v_cndmask_b32_e32 v45, 0, v44, vcc
	v_and_b32_sdwa v44, v44, v47 dst_sel:DWORD dst_unused:UNUSED_PAD src0_sel:WORD_1 src1_sel:DWORD
	v_cmp_eq_u32_e32 vcc, 1, v10
	v_add_u16_e32 v46, v45, v6
	v_add_u16_e32 v6, v45, v6
	v_cndmask_b32_e64 v10, v44, 1, vcc
	v_lshlrev_b32_e32 v44, 16, v10
	v_or_b32_e32 v52, v44, v6
	v_mov_b32_e32 v6, v46
	v_mov_b32_e32 v50, v10
.LBB661_170:
	s_or_b64 exec, exec, s[60:61]
	v_cmp_gt_u32_e32 vcc, 60, v3
	v_add_u32_e32 v45, 4, v3
	s_waitcnt lgkmcnt(0)
	v_cndmask_b32_e64 v44, 0, 1, vcc
	v_lshlrev_b32_e32 v44, 2, v44
	v_add_lshl_u32 v44, v44, v5, 2
	ds_bpermute_b32 v46, v44, v52
	v_cmp_le_u32_e32 vcc, v45, v11
	s_and_saveexec_b64 s[60:61], vcc
	s_cbranch_execz .LBB661_172
; %bb.171:
	v_cmp_eq_u16_e32 vcc, 0, v50
	v_and_b32_e32 v10, 1, v50
	v_mov_b32_e32 v49, 1
	s_waitcnt lgkmcnt(0)
	v_cndmask_b32_e32 v47, 0, v46, vcc
	v_and_b32_sdwa v46, v46, v49 dst_sel:DWORD dst_unused:UNUSED_PAD src0_sel:WORD_1 src1_sel:DWORD
	v_cmp_eq_u32_e32 vcc, 1, v10
	v_add_u16_e32 v48, v47, v6
	v_add_u16_e32 v6, v47, v6
	v_cndmask_b32_e64 v10, v46, 1, vcc
	v_lshlrev_b32_e32 v46, 16, v10
	v_or_b32_e32 v52, v46, v6
	v_mov_b32_e32 v6, v48
	v_mov_b32_e32 v50, v10
.LBB661_172:
	;; [unrolled: 27-line block ×4, first 2 shown]
	s_or_b64 exec, exec, s[60:61]
	v_cmp_gt_u32_e32 vcc, 32, v3
	v_add_u32_e32 v53, 32, v3
	s_waitcnt lgkmcnt(0)
	v_cndmask_b32_e64 v51, 0, 1, vcc
	v_lshlrev_b32_e32 v51, 5, v51
	v_add_lshl_u32 v51, v51, v5, 2
	ds_bpermute_b32 v5, v51, v52
	v_cmp_le_u32_e32 vcc, v53, v11
	s_and_saveexec_b64 s[60:61], vcc
	s_cbranch_execz .LBB661_178
; %bb.177:
	v_cmp_eq_u16_e32 vcc, 0, v50
	v_mov_b32_e32 v11, 1
	s_waitcnt lgkmcnt(0)
	v_cndmask_b32_e32 v10, 0, v5, vcc
	v_add_u16_e32 v6, v10, v6
	v_and_b32_e32 v10, 1, v50
	v_and_b32_sdwa v5, v5, v11 dst_sel:DWORD dst_unused:UNUSED_PAD src0_sel:WORD_1 src1_sel:DWORD
	v_cmp_eq_u32_e32 vcc, 1, v10
	s_nop 1
	v_cndmask_b32_e64 v10, v5, 1, vcc
.LBB661_178:
	s_or_b64 exec, exec, s[60:61]
	s_waitcnt lgkmcnt(0)
	v_mov_b32_e32 v5, 0
	v_mov_b32_e32 v54, 2
	;; [unrolled: 1-line block ×3, first 2 shown]
	s_branch .LBB661_180
.LBB661_179:                            ;   in Loop: Header=BB661_180 Depth=1
	s_or_b64 exec, exec, s[60:61]
	v_cmp_eq_u16_sdwa vcc, v50, v5 src0_sel:BYTE_0 src1_sel:DWORD
	v_and_b32_e32 v10, 1, v50
	v_and_b32_e32 v11, 1, v11
	v_cndmask_b32_e32 v6, 0, v6, vcc
	v_cmp_eq_u32_e32 vcc, 1, v10
	v_subrev_u32_e32 v4, 64, v4
	v_add_u16_e32 v6, v6, v52
	v_cndmask_b32_e64 v10, v11, 1, vcc
.LBB661_180:                            ; =>This Loop Header: Depth=1
                                        ;     Child Loop BB661_183 Depth 2
                                        ;       Child Loop BB661_184 Depth 3
	v_cmp_ne_u16_sdwa s[60:61], v7, v54 src0_sel:BYTE_0 src1_sel:DWORD
	v_mov_b32_e32 v50, v10
	v_mov_b32_e32 v52, v6
	v_cndmask_b32_e64 v7, 0, 1, s[60:61]
	;;#ASMSTART
	;;#ASMEND
	s_nop 0
	v_cmp_ne_u32_e32 vcc, 0, v7
	s_cmp_lg_u64 vcc, exec
	s_cbranch_scc1 .LBB661_199
; %bb.181:                              ;   in Loop: Header=BB661_180 Depth=1
	v_lshl_add_u64 v[10:11], v[4:5], 3, s[56:57]
	global_load_dwordx2 v[6:7], v[10:11], off sc1
	s_waitcnt vmcnt(0)
	v_cmp_eq_u16_sdwa s[70:71], v7, v5 src0_sel:BYTE_0 src1_sel:DWORD
	s_and_saveexec_b64 s[60:61], s[70:71]
	s_cbranch_execz .LBB661_187
; %bb.182:                              ;   in Loop: Header=BB661_180 Depth=1
	s_mov_b32 s3, 1
	s_mov_b64 s[70:71], 0
.LBB661_183:                            ;   Parent Loop BB661_180 Depth=1
                                        ; =>  This Loop Header: Depth=2
                                        ;       Child Loop BB661_184 Depth 3
	s_max_u32 s59, s3, 1
.LBB661_184:                            ;   Parent Loop BB661_180 Depth=1
                                        ;     Parent Loop BB661_183 Depth=2
                                        ; =>    This Inner Loop Header: Depth=3
	s_add_i32 s59, s59, -1
	s_cmp_eq_u32 s59, 0
	s_sleep 1
	s_cbranch_scc0 .LBB661_184
; %bb.185:                              ;   in Loop: Header=BB661_183 Depth=2
	global_load_dwordx2 v[6:7], v[10:11], off sc1
	s_cmp_lt_u32 s3, 32
	s_cselect_b64 s[72:73], -1, 0
	s_cmp_lg_u64 s[72:73], 0
	s_addc_u32 s3, s3, 0
	s_waitcnt vmcnt(0)
	v_cmp_ne_u16_sdwa s[72:73], v7, v5 src0_sel:BYTE_0 src1_sel:DWORD
	s_or_b64 s[70:71], s[72:73], s[70:71]
	s_andn2_b64 exec, exec, s[70:71]
	s_cbranch_execnz .LBB661_183
; %bb.186:                              ;   in Loop: Header=BB661_180 Depth=1
	s_or_b64 exec, exec, s[70:71]
.LBB661_187:                            ;   in Loop: Header=BB661_180 Depth=1
	s_or_b64 exec, exec, s[60:61]
	v_cmp_eq_u16_sdwa s[60:61], v7, v54 src0_sel:BYTE_0 src1_sel:DWORD
	s_waitcnt lgkmcnt(0)
	v_and_b32_e32 v57, 0xffffff, v6
	ds_bpermute_b32 v58, v41, v57
	v_and_b32_e32 v10, s61, v9
	v_or_b32_e32 v10, 0x80000000, v10
	v_and_b32_e32 v11, s60, v8
	v_ffbl_b32_e32 v10, v10
	v_add_u32_e32 v10, 32, v10
	v_ffbl_b32_e32 v11, v11
	v_min_u32_e32 v10, v11, v10
	v_lshrrev_b32_e32 v11, 16, v6
	v_cmp_lt_u32_e32 vcc, v3, v10
	v_bfe_u32 v56, v6, 16, 8
	s_and_saveexec_b64 s[60:61], vcc
	s_cbranch_execz .LBB661_189
; %bb.188:                              ;   in Loop: Header=BB661_180 Depth=1
	v_and_b32_e32 v11, 0xff0000, v6
	v_cmp_eq_u32_e32 vcc, 0, v11
	v_and_b32_e32 v11, 0x10000, v11
	s_waitcnt lgkmcnt(0)
	v_and_b32_sdwa v57, v58, v55 dst_sel:DWORD dst_unused:UNUSED_PAD src0_sel:WORD_1 src1_sel:DWORD
	v_cndmask_b32_e32 v56, 0, v58, vcc
	v_cmp_ne_u32_e32 vcc, 0, v11
	v_add_u16_e32 v59, v56, v6
	v_add_u16_e32 v6, v56, v6
	v_cndmask_b32_e64 v11, v57, 1, vcc
	v_lshlrev_b32_e32 v57, 16, v11
	v_or_b32_e32 v57, v57, v6
	v_mov_b32_e32 v6, v59
	v_mov_b32_e32 v56, v11
.LBB661_189:                            ;   in Loop: Header=BB661_180 Depth=1
	s_or_b64 exec, exec, s[60:61]
	s_waitcnt lgkmcnt(0)
	ds_bpermute_b32 v58, v42, v57
	v_cmp_le_u32_e32 vcc, v43, v10
	s_and_saveexec_b64 s[60:61], vcc
	s_cbranch_execz .LBB661_191
; %bb.190:                              ;   in Loop: Header=BB661_180 Depth=1
	v_cmp_eq_u16_e32 vcc, 0, v56
	v_and_b32_e32 v11, 1, v56
	s_waitcnt lgkmcnt(0)
	v_and_b32_sdwa v56, v58, v55 dst_sel:DWORD dst_unused:UNUSED_PAD src0_sel:WORD_1 src1_sel:DWORD
	v_cndmask_b32_e32 v57, 0, v58, vcc
	v_cmp_eq_u32_e32 vcc, 1, v11
	v_add_u16_e32 v59, v57, v6
	v_add_u16_e32 v6, v57, v6
	v_cndmask_b32_e64 v11, v56, 1, vcc
	v_lshlrev_b32_e32 v56, 16, v11
	v_or_b32_e32 v57, v56, v6
	v_mov_b32_e32 v6, v59
	v_mov_b32_e32 v56, v11
.LBB661_191:                            ;   in Loop: Header=BB661_180 Depth=1
	s_or_b64 exec, exec, s[60:61]
	s_waitcnt lgkmcnt(0)
	ds_bpermute_b32 v58, v44, v57
	v_cmp_le_u32_e32 vcc, v45, v10
	s_and_saveexec_b64 s[60:61], vcc
	s_cbranch_execz .LBB661_193
; %bb.192:                              ;   in Loop: Header=BB661_180 Depth=1
	v_cmp_eq_u16_e32 vcc, 0, v56
	v_and_b32_e32 v11, 1, v56
	s_waitcnt lgkmcnt(0)
	v_and_b32_sdwa v56, v58, v55 dst_sel:DWORD dst_unused:UNUSED_PAD src0_sel:WORD_1 src1_sel:DWORD
	v_cndmask_b32_e32 v57, 0, v58, vcc
	v_cmp_eq_u32_e32 vcc, 1, v11
	v_add_u16_e32 v59, v57, v6
	v_add_u16_e32 v6, v57, v6
	v_cndmask_b32_e64 v11, v56, 1, vcc
	v_lshlrev_b32_e32 v56, 16, v11
	v_or_b32_e32 v57, v56, v6
	v_mov_b32_e32 v6, v59
	v_mov_b32_e32 v56, v11
.LBB661_193:                            ;   in Loop: Header=BB661_180 Depth=1
	;; [unrolled: 21-line block ×4, first 2 shown]
	s_or_b64 exec, exec, s[60:61]
	ds_bpermute_b32 v57, v51, v57
	v_cmp_le_u32_e32 vcc, v53, v10
	s_and_saveexec_b64 s[60:61], vcc
	s_cbranch_execz .LBB661_179
; %bb.198:                              ;   in Loop: Header=BB661_180 Depth=1
	v_cmp_eq_u16_e32 vcc, 0, v56
	s_waitcnt lgkmcnt(0)
	v_lshrrev_b32_e32 v11, 16, v57
	v_cndmask_b32_e32 v10, 0, v57, vcc
	v_add_u16_e32 v6, v10, v6
	v_and_b32_e32 v10, 1, v56
	v_cmp_eq_u32_e32 vcc, 1, v10
	s_nop 1
	v_cndmask_b32_e64 v11, v11, 1, vcc
	s_branch .LBB661_179
.LBB661_199:                            ;   in Loop: Header=BB661_180 Depth=1
                                        ; implicit-def: $vgpr10
                                        ; implicit-def: $vgpr6
	s_cbranch_execz .LBB661_180
; %bb.200:
	s_and_saveexec_b64 s[60:61], s[48:49]
	s_cbranch_execz .LBB661_202
; %bb.201:
	v_and_b32_e32 v3, 0xff0000, v2
	s_mov_b32 s3, 0
	v_cmp_eq_u32_e32 vcc, 0, v3
	v_and_b32_e32 v4, 0x10000, v2
	v_mov_b32_e32 v5, 1
	s_add_i32 s2, s2, 64
	v_cndmask_b32_e32 v3, 0, v52, vcc
	v_and_b32_sdwa v5, v50, v5 dst_sel:WORD_1 dst_unused:UNUSED_PAD src0_sel:DWORD src1_sel:DWORD
	v_mov_b32_e32 v6, 0x10000
	v_cmp_eq_u32_e32 vcc, 0, v4
	s_lshl_b64 s[2:3], s[2:3], 3
	s_add_u32 s2, s56, s2
	v_cndmask_b32_e32 v4, v6, v5, vcc
	v_add_u16_e32 v2, v3, v2
	s_addc_u32 s3, s57, s3
	v_mov_b32_e32 v5, 0
	v_or_b32_e32 v2, v4, v2
	v_mov_b32_e32 v3, 2
	global_store_dwordx2 v5, v[2:3], s[2:3] sc1
.LBB661_202:
	s_or_b64 exec, exec, s[60:61]
	v_cmp_eq_u32_e32 vcc, 0, v0
	s_and_b64 exec, exec, vcc
	s_cbranch_execz .LBB661_204
; %bb.203:
	v_mov_b32_e32 v2, 0
	ds_write_b16 v2, v52 offset:12
	ds_write_b8 v2, v50 offset:14
.LBB661_204:
	s_or_b64 exec, exec, s[52:53]
	v_mov_b32_e32 v2, 0
	s_waitcnt lgkmcnt(0)
	s_barrier
	ds_read_b32 v3, v2 offset:12
	v_lshrrev_b32_e32 v4, 16, v17
	v_cndmask_b32_e64 v4, v4, v16, s[48:49]
	v_cmp_eq_u16_sdwa vcc, v4, v2 src0_sel:BYTE_0 src1_sel:DWORD
	v_cndmask_b32_e64 v5, v17, v15, s[48:49]
	s_waitcnt lgkmcnt(0)
	v_cndmask_b32_e32 v2, 0, v3, vcc
	v_add_u16_e32 v2, v2, v5
	v_cmp_eq_u32_e32 vcc, 0, v0
	s_nop 1
	v_cndmask_b32_e32 v6, v2, v3, vcc
	v_and_b32_e32 v2, 0xff0000, v1
	v_cmp_eq_u32_e32 vcc, 0, v2
	s_nop 1
	v_cndmask_b32_e32 v2, 0, v6, vcc
	v_add_u16_e32 v4, v2, v1
	v_cndmask_b32_e64 v2, 0, v4, s[50:51]
	v_add_u16_e32 v5, v2, v18
	v_cndmask_b32_e64 v2, 0, v5, s[4:5]
	;; [unrolled: 2-line block ×22, first 2 shown]
	v_add_u16_e32 v53, v2, v40
	s_branch .LBB661_255
.LBB661_205:
	s_or_b64 exec, exec, s[52:53]
                                        ; implicit-def: $vgpr33
	s_and_saveexec_b64 s[52:53], s[50:51]
	s_cbranch_execz .LBB661_53
.LBB661_206:
	v_mov_b32_e32 v15, 0
	v_lshl_add_u64 v[34:35], s[70:71], 0, v[14:15]
	flat_load_ushort v33, v[34:35] offset:512
	s_or_b64 exec, exec, s[52:53]
                                        ; implicit-def: $vgpr34
	s_and_saveexec_b64 s[50:51], s[4:5]
	s_cbranch_execnz .LBB661_54
.LBB661_207:
	s_or_b64 exec, exec, s[50:51]
                                        ; implicit-def: $vgpr35
	s_and_saveexec_b64 s[4:5], s[6:7]
	s_cbranch_execz .LBB661_55
.LBB661_208:
	v_mov_b32_e32 v15, 0
	v_lshl_add_u64 v[36:37], s[70:71], 0, v[14:15]
	flat_load_ushort v35, v[36:37] offset:1536
	s_or_b64 exec, exec, s[4:5]
                                        ; implicit-def: $vgpr36
	s_and_saveexec_b64 s[4:5], s[8:9]
	s_cbranch_execnz .LBB661_56
.LBB661_209:
	s_or_b64 exec, exec, s[4:5]
                                        ; implicit-def: $vgpr37
	s_and_saveexec_b64 s[4:5], s[10:11]
	s_cbranch_execz .LBB661_57
.LBB661_210:
	v_mov_b32_e32 v15, 0
	v_lshl_add_u64 v[38:39], s[70:71], 0, v[14:15]
	flat_load_ushort v37, v[38:39] offset:2560
	s_or_b64 exec, exec, s[4:5]
                                        ; implicit-def: $vgpr38
	s_and_saveexec_b64 s[4:5], s[12:13]
	s_cbranch_execnz .LBB661_58
.LBB661_211:
	s_or_b64 exec, exec, s[4:5]
                                        ; implicit-def: $vgpr15
	s_and_saveexec_b64 s[4:5], s[14:15]
	s_cbranch_execz .LBB661_59
.LBB661_212:
	v_mov_b32_e32 v15, 0
	v_lshl_add_u64 v[40:41], s[70:71], 0, v[14:15]
	flat_load_ushort v15, v[40:41] offset:3584
	s_or_b64 exec, exec, s[4:5]
                                        ; implicit-def: $vgpr39
	s_and_saveexec_b64 s[4:5], s[16:17]
	s_cbranch_execnz .LBB661_60
.LBB661_213:
	s_or_b64 exec, exec, s[4:5]
                                        ; implicit-def: $vgpr1
	s_and_saveexec_b64 s[4:5], s[18:19]
	s_cbranch_execz .LBB661_61
.LBB661_214:
	v_lshlrev_b32_e32 v40, 1, v16
	v_mov_b32_e32 v41, 0
	v_lshl_add_u64 v[40:41], s[70:71], 0, v[40:41]
	flat_load_ushort v1, v[40:41]
	s_or_b64 exec, exec, s[4:5]
                                        ; implicit-def: $vgpr16
	s_and_saveexec_b64 s[4:5], s[20:21]
	s_cbranch_execnz .LBB661_62
.LBB661_215:
	s_or_b64 exec, exec, s[4:5]
                                        ; implicit-def: $vgpr17
	s_and_saveexec_b64 s[4:5], s[22:23]
	s_cbranch_execz .LBB661_63
.LBB661_216:
	v_lshlrev_b32_e32 v40, 1, v18
	v_mov_b32_e32 v41, 0
	v_lshl_add_u64 v[40:41], s[70:71], 0, v[40:41]
	flat_load_ushort v17, v[40:41]
	s_or_b64 exec, exec, s[4:5]
                                        ; implicit-def: $vgpr18
	s_and_saveexec_b64 s[4:5], s[24:25]
	s_cbranch_execnz .LBB661_64
.LBB661_217:
	s_or_b64 exec, exec, s[4:5]
                                        ; implicit-def: $vgpr19
	s_and_saveexec_b64 s[4:5], s[26:27]
	s_cbranch_execz .LBB661_65
.LBB661_218:
	v_lshlrev_b32_e32 v40, 1, v20
	v_mov_b32_e32 v41, 0
	v_lshl_add_u64 v[40:41], s[70:71], 0, v[40:41]
	flat_load_ushort v19, v[40:41]
	s_or_b64 exec, exec, s[4:5]
                                        ; implicit-def: $vgpr20
	s_and_saveexec_b64 s[4:5], s[28:29]
	s_cbranch_execnz .LBB661_66
.LBB661_219:
	s_or_b64 exec, exec, s[4:5]
                                        ; implicit-def: $vgpr21
	s_and_saveexec_b64 s[4:5], s[30:31]
	s_cbranch_execz .LBB661_67
.LBB661_220:
	v_lshlrev_b32_e32 v40, 1, v22
	v_mov_b32_e32 v41, 0
	v_lshl_add_u64 v[40:41], s[70:71], 0, v[40:41]
	flat_load_ushort v21, v[40:41]
	s_or_b64 exec, exec, s[4:5]
                                        ; implicit-def: $vgpr22
	s_and_saveexec_b64 s[4:5], s[34:35]
	s_cbranch_execnz .LBB661_68
.LBB661_221:
	s_or_b64 exec, exec, s[4:5]
                                        ; implicit-def: $vgpr23
	s_and_saveexec_b64 s[4:5], s[36:37]
	s_cbranch_execz .LBB661_69
.LBB661_222:
	v_lshlrev_b32_e32 v40, 1, v24
	v_mov_b32_e32 v41, 0
	v_lshl_add_u64 v[40:41], s[70:71], 0, v[40:41]
	flat_load_ushort v23, v[40:41]
	s_or_b64 exec, exec, s[4:5]
                                        ; implicit-def: $vgpr24
	s_and_saveexec_b64 s[4:5], s[38:39]
	s_cbranch_execnz .LBB661_70
.LBB661_223:
	s_or_b64 exec, exec, s[4:5]
                                        ; implicit-def: $vgpr25
	s_and_saveexec_b64 s[4:5], s[40:41]
	s_cbranch_execz .LBB661_71
.LBB661_224:
	v_lshlrev_b32_e32 v40, 1, v27
	v_mov_b32_e32 v41, 0
	v_lshl_add_u64 v[40:41], s[70:71], 0, v[40:41]
	flat_load_ushort v25, v[40:41]
	s_or_b64 exec, exec, s[4:5]
                                        ; implicit-def: $vgpr27
	s_and_saveexec_b64 s[4:5], s[42:43]
	s_cbranch_execnz .LBB661_72
.LBB661_225:
	s_or_b64 exec, exec, s[4:5]
                                        ; implicit-def: $vgpr28
	s_and_saveexec_b64 s[4:5], s[44:45]
	s_cbranch_execz .LBB661_73
.LBB661_226:
	v_lshlrev_b32_e32 v28, 1, v29
	v_mov_b32_e32 v29, 0
	v_lshl_add_u64 v[28:29], s[70:71], 0, v[28:29]
	flat_load_ushort v28, v[28:29]
	s_or_b64 exec, exec, s[4:5]
                                        ; implicit-def: $vgpr29
	s_and_saveexec_b64 s[4:5], s[46:47]
	s_cbranch_execz .LBB661_75
	s_branch .LBB661_74
.LBB661_227:
                                        ; implicit-def: $vgpr6
                                        ; implicit-def: $vgpr4
                                        ; implicit-def: $vgpr5
                                        ; implicit-def: $vgpr7
                                        ; implicit-def: $vgpr8
                                        ; implicit-def: $vgpr9
                                        ; implicit-def: $vgpr11
                                        ; implicit-def: $vgpr16
                                        ; implicit-def: $vgpr10
                                        ; implicit-def: $vgpr15
                                        ; implicit-def: $vgpr17
                                        ; implicit-def: $vgpr41
                                        ; implicit-def: $vgpr42
                                        ; implicit-def: $vgpr43
                                        ; implicit-def: $vgpr45
                                        ; implicit-def: $vgpr47
                                        ; implicit-def: $vgpr44
                                        ; implicit-def: $vgpr46
                                        ; implicit-def: $vgpr48
                                        ; implicit-def: $vgpr49
                                        ; implicit-def: $vgpr50
                                        ; implicit-def: $vgpr51
                                        ; implicit-def: $vgpr52
                                        ; implicit-def: $vgpr53
	s_cbranch_execz .LBB661_255
; %bb.228:
	s_cmp_lg_u64 s[68:69], 0
	s_cselect_b32 s3, s63, 0
	s_cselect_b32 s2, s62, 0
	s_cmp_eq_u64 s[2:3], 0
	v_mov_b32_e32 v2, s78
	s_cbranch_scc1 .LBB661_230
; %bb.229:
	v_mov_b32_e32 v2, 0
	global_load_ushort v2, v2, s[2:3]
.LBB661_230:
	s_mov_b32 s46, 0x10000
	v_cmp_gt_u32_e32 vcc, s46, v18
	v_cmp_gt_u32_e64 s[2:3], s46, v25
	v_cmp_gt_u32_e64 s[4:5], s46, v19
	v_cndmask_b32_e32 v3, 0, v1, vcc
	v_add_u16_e32 v3, v3, v18
	v_cndmask_b32_e64 v3, 0, v3, s[2:3]
	v_add_u16_e32 v3, v3, v25
	v_cndmask_b32_e64 v3, 0, v3, s[4:5]
	v_add_u16_e32 v3, v3, v19
	v_cmp_gt_u32_e64 s[6:7], s46, v27
	v_cmp_gt_u32_e64 s[8:9], s46, v20
	v_cmp_gt_u32_e64 s[10:11], s46, v28
	v_cndmask_b32_e64 v3, 0, v3, s[6:7]
	v_add_u16_e32 v3, v3, v27
	v_cndmask_b32_e64 v3, 0, v3, s[8:9]
	v_add_u16_e32 v3, v3, v20
	v_cndmask_b32_e64 v3, 0, v3, s[10:11]
	v_add_u16_e32 v3, v3, v28
	v_cmp_gt_u32_e64 s[12:13], s46, v21
	v_cmp_gt_u32_e64 s[14:15], s46, v29
	v_cmp_gt_u32_e64 s[16:17], s46, v30
	v_cndmask_b32_e64 v3, 0, v3, s[12:13]
	;; [unrolled: 9-line block ×5, first 2 shown]
	v_add_u16_e32 v3, v3, v37
	v_cndmask_b32_e64 v3, 0, v3, s[34:35]
	v_add_u16_e32 v3, v3, v22
	v_cndmask_b32_e64 v3, 0, v3, s[36:37]
	v_or3_b32 v6, v14, v38, v22
	v_add_u16_e32 v3, v3, v38
	v_cmp_gt_u32_e64 s[38:39], s46, v23
	v_or3_b32 v6, v6, v37, v36
	v_or3_b32 v6, v6, v35, v34
	v_cndmask_b32_e64 v3, 0, v3, s[38:39]
	v_add_u16_e32 v3, v3, v23
	v_cmp_gt_u32_e64 s[40:41], s46, v39
	v_or3_b32 v6, v6, v33, v32
	v_or3_b32 v6, v6, v31, v30
	v_cndmask_b32_e64 v3, 0, v3, s[40:41]
	v_add_u16_e32 v3, v3, v39
	v_cmp_gt_u32_e64 s[42:43], s46, v24
	v_or3_b32 v6, v6, v29, v21
	v_or3_b32 v6, v6, v28, v20
	v_cndmask_b32_e64 v3, 0, v3, s[42:43]
	v_add_u16_e32 v3, v3, v24
	v_cmp_gt_u32_e64 s[44:45], s46, v40
	v_or3_b32 v6, v6, v27, v19
	v_or3_b32 v6, v6, v25, v18
	v_cndmask_b32_e64 v3, 0, v3, s[44:45]
	v_add_u16_e32 v3, v3, v40
	v_cmp_gt_u32_e64 s[46:47], s46, v12
	v_and_b32_e32 v6, 0x10000, v6
	v_and_b32_e32 v5, 0x10000, v1
	v_cndmask_b32_e64 v3, 0, v3, s[46:47]
	v_mov_b32_e32 v7, 0x10000
	v_cmp_ne_u32_e64 s[46:47], 0, v6
	v_add_u16_e32 v4, v3, v12
	v_add_u16_e32 v6, v3, v12
	v_cndmask_b32_e64 v7, v5, v7, s[46:47]
	v_mbcnt_hi_u32_b32 v3, -1, v13
	v_and_b32_e32 v8, 15, v3
	v_or_b32_e32 v6, v7, v6
	v_lshrrev_b32_e32 v5, 16, v7
	v_cmp_ne_u32_e64 s[46:47], 0, v8
	v_mov_b32_dpp v9, v6 row_shr:1 row_mask:0xf bank_mask:0xf
	s_and_saveexec_b64 s[48:49], s[46:47]
	s_cbranch_execz .LBB661_232
; %bb.231:
	v_cmp_eq_u32_e64 s[46:47], 0, v7
	v_and_b32_e32 v5, 0x10000, v7
	v_mov_b32_e32 v7, 1
	v_cndmask_b32_e64 v6, 0, v9, s[46:47]
	v_and_b32_sdwa v7, v9, v7 dst_sel:DWORD dst_unused:UNUSED_PAD src0_sel:WORD_1 src1_sel:DWORD
	v_cmp_ne_u32_e64 s[46:47], 0, v5
	v_add_u16_e32 v10, v6, v4
	v_add_u16_e32 v4, v6, v4
	v_cndmask_b32_e64 v5, v7, 1, s[46:47]
	v_lshlrev_b32_e32 v7, 16, v5
	v_or_b32_e32 v6, v7, v4
	v_mov_b32_e32 v4, v10
.LBB661_232:
	s_or_b64 exec, exec, s[48:49]
	v_lshrrev_b32_e32 v7, 16, v6
	v_mov_b32_dpp v9, v6 row_shr:2 row_mask:0xf bank_mask:0xf
	v_cmp_lt_u32_e64 s[46:47], 1, v8
	s_and_saveexec_b64 s[48:49], s[46:47]
	s_cbranch_execz .LBB661_234
; %bb.233:
	s_mov_b32 s46, 0x10000
	v_cmp_gt_u32_e64 s[46:47], s46, v6
	v_and_b32_e32 v5, 0x10000, v6
	v_mov_b32_e32 v6, 1
	v_cndmask_b32_e64 v7, 0, v9, s[46:47]
	v_and_b32_sdwa v6, v9, v6 dst_sel:DWORD dst_unused:UNUSED_PAD src0_sel:WORD_1 src1_sel:DWORD
	v_cmp_ne_u32_e64 s[46:47], 0, v5
	v_add_u16_e32 v10, v7, v4
	v_add_u16_e32 v4, v7, v4
	v_cndmask_b32_e64 v5, v6, 1, s[46:47]
	v_lshlrev_b32_e32 v6, 16, v5
	v_or_b32_e32 v6, v6, v4
	v_mov_b32_e32 v7, v5
	v_mov_b32_e32 v4, v10
.LBB661_234:
	s_or_b64 exec, exec, s[48:49]
	v_mov_b32_dpp v9, v6 row_shr:4 row_mask:0xf bank_mask:0xf
	v_cmp_lt_u32_e64 s[46:47], 3, v8
	s_and_saveexec_b64 s[48:49], s[46:47]
	s_cbranch_execz .LBB661_236
; %bb.235:
	v_cmp_eq_u16_e64 s[46:47], 0, v7
	v_and_b32_e32 v5, 1, v7
	v_mov_b32_e32 v7, 1
	v_cndmask_b32_e64 v6, 0, v9, s[46:47]
	v_and_b32_sdwa v7, v9, v7 dst_sel:DWORD dst_unused:UNUSED_PAD src0_sel:WORD_1 src1_sel:DWORD
	v_cmp_eq_u32_e64 s[46:47], 1, v5
	v_add_u16_e32 v10, v6, v4
	v_add_u16_e32 v4, v6, v4
	v_cndmask_b32_e64 v5, v7, 1, s[46:47]
	v_lshlrev_b32_e32 v7, 16, v5
	v_or_b32_e32 v6, v7, v4
	v_mov_b32_e32 v7, v5
	v_mov_b32_e32 v4, v10
.LBB661_236:
	s_or_b64 exec, exec, s[48:49]
	v_mov_b32_dpp v9, v6 row_shr:8 row_mask:0xf bank_mask:0xf
	v_cmp_lt_u32_e64 s[46:47], 7, v8
	s_and_saveexec_b64 s[48:49], s[46:47]
	s_cbranch_execz .LBB661_238
; %bb.237:
	v_cmp_eq_u16_e64 s[46:47], 0, v7
	v_and_b32_e32 v5, 1, v7
	v_mov_b32_e32 v7, 1
	v_cndmask_b32_e64 v6, 0, v9, s[46:47]
	v_and_b32_sdwa v7, v9, v7 dst_sel:DWORD dst_unused:UNUSED_PAD src0_sel:WORD_1 src1_sel:DWORD
	v_cmp_eq_u32_e64 s[46:47], 1, v5
	v_add_u16_e32 v8, v6, v4
	v_add_u16_e32 v4, v6, v4
	v_cndmask_b32_e64 v5, v7, 1, s[46:47]
	v_lshlrev_b32_e32 v7, 16, v5
	v_or_b32_e32 v6, v7, v4
	v_mov_b32_e32 v7, v5
	v_mov_b32_e32 v4, v8
.LBB661_238:
	s_or_b64 exec, exec, s[48:49]
	v_and_b32_e32 v9, 16, v3
	v_mov_b32_dpp v8, v6 row_bcast:15 row_mask:0xf bank_mask:0xf
	v_cmp_ne_u32_e64 s[46:47], 0, v9
	s_and_saveexec_b64 s[48:49], s[46:47]
	s_cbranch_execz .LBB661_240
; %bb.239:
	v_cmp_eq_u16_e64 s[46:47], 0, v7
	v_and_b32_e32 v5, 1, v7
	v_mov_b32_e32 v7, 1
	v_cndmask_b32_e64 v6, 0, v8, s[46:47]
	v_and_b32_sdwa v7, v8, v7 dst_sel:DWORD dst_unused:UNUSED_PAD src0_sel:WORD_1 src1_sel:DWORD
	v_cmp_eq_u32_e64 s[46:47], 1, v5
	v_add_u16_e32 v9, v6, v4
	v_add_u16_e32 v4, v6, v4
	v_cndmask_b32_e64 v5, v7, 1, s[46:47]
	v_lshlrev_b32_e32 v7, 16, v5
	v_or_b32_e32 v6, v7, v4
	v_mov_b32_e32 v7, v5
	v_mov_b32_e32 v4, v9
.LBB661_240:
	s_or_b64 exec, exec, s[48:49]
	v_mov_b32_dpp v6, v6 row_bcast:31 row_mask:0xf bank_mask:0xf
	v_cmp_lt_u32_e64 s[46:47], 31, v3
	s_and_saveexec_b64 s[48:49], s[46:47]
; %bb.241:
	v_cmp_eq_u16_e64 s[46:47], 0, v7
	s_nop 1
	v_cndmask_b32_e64 v5, 0, v6, s[46:47]
	v_add_u16_e32 v4, v5, v4
	v_and_b32_e32 v5, 1, v7
	v_mov_b32_e32 v7, 1
	v_and_b32_sdwa v6, v6, v7 dst_sel:DWORD dst_unused:UNUSED_PAD src0_sel:WORD_1 src1_sel:DWORD
	v_cmp_eq_u32_e64 s[46:47], 1, v5
	s_nop 1
	v_cndmask_b32_e64 v5, v6, 1, s[46:47]
; %bb.242:
	s_or_b64 exec, exec, s[48:49]
	v_or_b32_e32 v7, 63, v0
	v_lshrrev_b32_e32 v6, 6, v0
	v_cmp_eq_u32_e64 s[46:47], v7, v0
	s_and_saveexec_b64 s[48:49], s[46:47]
	s_cbranch_execz .LBB661_244
; %bb.243:
	v_lshlrev_b32_e32 v7, 2, v6
	ds_write_b16 v7, v4
	ds_write_b8 v7, v5 offset:2
.LBB661_244:
	s_or_b64 exec, exec, s[48:49]
	v_cmp_gt_u32_e64 s[46:47], 4, v0
	s_waitcnt lgkmcnt(0)
	s_barrier
	s_and_saveexec_b64 s[48:49], s[46:47]
	s_cbranch_execz .LBB661_250
; %bb.245:
	v_lshlrev_b32_e32 v7, 2, v0
	ds_read_b32 v8, v7
	v_and_b32_e32 v11, 3, v3
	v_cmp_ne_u32_e64 s[46:47], 0, v11
	s_waitcnt lgkmcnt(0)
	v_lshrrev_b32_e32 v10, 16, v8
	v_mov_b32_dpp v12, v8 row_shr:1 row_mask:0xf bank_mask:0xf
	v_mov_b32_e32 v9, v8
	s_and_saveexec_b64 s[50:51], s[46:47]
	s_cbranch_execz .LBB661_247
; %bb.246:
	v_mov_b32_e32 v9, 0
	v_cmp_eq_u16_sdwa s[46:47], v10, v9 src0_sel:BYTE_0 src1_sel:DWORD
	v_and_b32_e32 v10, 0x10000, v8
	v_mov_b32_e32 v15, 1
	v_cndmask_b32_e64 v14, 0, v12, s[46:47]
	v_and_b32_sdwa v12, v12, v15 dst_sel:DWORD dst_unused:UNUSED_PAD src0_sel:WORD_1 src1_sel:DWORD
	v_cmp_ne_u32_e64 s[46:47], 0, v10
	v_and_b32_e32 v13, 0xff000000, v8
	v_add_u16_e32 v9, v14, v8
	v_cndmask_b32_e64 v10, v12, 1, s[46:47]
	v_lshlrev_b32_e32 v12, 16, v10
	v_add_u16_e32 v8, v14, v8
	v_or3_b32 v8, v12, v13, v8
.LBB661_247:
	s_or_b64 exec, exec, s[50:51]
	s_nop 0
	v_mov_b32_dpp v12, v8 row_shr:2 row_mask:0xf bank_mask:0xf
	v_cmp_lt_u32_e64 s[46:47], 1, v11
	s_and_saveexec_b64 s[50:51], s[46:47]
; %bb.248:
	v_and_b32_e32 v10, 0xff0000, v8
	v_cmp_eq_u32_e64 s[46:47], 0, v10
	v_and_b32_e32 v8, 0x10000, v8
	s_nop 0
	v_cndmask_b32_e64 v10, 0, v12, s[46:47]
	v_add_u16_e32 v9, v10, v9
	v_mov_b32_e32 v10, 1
	v_and_b32_sdwa v10, v12, v10 dst_sel:DWORD dst_unused:UNUSED_PAD src0_sel:WORD_1 src1_sel:DWORD
	v_cmp_eq_u32_e64 s[46:47], 0, v8
	s_nop 1
	v_cndmask_b32_e64 v10, 1, v10, s[46:47]
; %bb.249:
	s_or_b64 exec, exec, s[50:51]
	ds_write_b16 v7, v9
	ds_write_b8 v7, v10 offset:2
.LBB661_250:
	s_or_b64 exec, exec, s[48:49]
	v_cmp_lt_u32_e64 s[46:47], 63, v0
	v_mov_b32_e32 v8, 0
	s_waitcnt vmcnt(0)
	v_mov_b32_e32 v7, v2
	s_waitcnt lgkmcnt(0)
	s_barrier
	s_and_saveexec_b64 s[48:49], s[46:47]
	s_cbranch_execz .LBB661_252
; %bb.251:
	v_lshl_add_u32 v6, v6, 2, -4
	ds_read_u8 v8, v6 offset:2
	ds_read_u16 v6, v6
	s_waitcnt lgkmcnt(1)
	v_cmp_eq_u16_e64 s[46:47], 0, v8
	s_nop 1
	v_cndmask_b32_e64 v7, 0, v2, s[46:47]
	s_waitcnt lgkmcnt(0)
	v_add_u16_e32 v7, v7, v6
.LBB661_252:
	s_or_b64 exec, exec, s[48:49]
	v_cmp_eq_u16_e64 s[46:47], 0, v5
	v_and_b32_e32 v5, 1, v5
	v_lshlrev_b32_e32 v8, 16, v8
	v_cndmask_b32_e64 v6, 0, v7, s[46:47]
	v_mov_b32_e32 v9, 0x10000
	v_cmp_eq_u32_e64 s[46:47], 1, v5
	v_add_u16_e32 v4, v6, v4
	v_and_b32_e32 v6, 64, v3
	v_cndmask_b32_e64 v5, v8, v9, s[46:47]
	v_or_b32_e32 v4, v5, v4
	v_add_u32_e32 v5, -1, v3
	v_cmp_lt_i32_e64 s[46:47], v5, v6
	s_nop 1
	v_cndmask_b32_e64 v5, v5, v3, s[46:47]
	v_lshlrev_b32_e32 v5, 2, v5
	ds_bpermute_b32 v4, v5, v4
	v_cmp_eq_u32_e64 s[46:47], 0, v3
	s_waitcnt lgkmcnt(0)
	s_nop 0
	v_cndmask_b32_e64 v6, v4, v7, s[46:47]
	v_cmp_eq_u32_e64 s[46:47], 0, v0
	v_and_b32_e32 v4, 0xff0000, v1
	v_cmp_eq_u32_e64 s[48:49], 0, v4
	v_cndmask_b32_e64 v3, v6, v2, s[46:47]
	s_nop 0
	v_cndmask_b32_e64 v3, 0, v3, s[48:49]
	v_add_u16_e32 v4, v3, v1
	v_cndmask_b32_e32 v1, 0, v4, vcc
	v_add_u16_e32 v5, v1, v18
	v_cndmask_b32_e64 v1, 0, v5, s[2:3]
	v_add_u16_e32 v7, v1, v25
	v_cndmask_b32_e64 v1, 0, v7, s[4:5]
	;; [unrolled: 2-line block ×21, first 2 shown]
	s_and_saveexec_b64 s[2:3], s[46:47]
	s_cbranch_execz .LBB661_254
; %bb.253:
	v_mov_b32_e32 v3, 0
	ds_read_u8 v6, v3 offset:14
	ds_read_u16 v12, v3 offset:12
	v_mov_b32_e32 v13, 2
	s_waitcnt lgkmcnt(1)
	v_cmp_eq_u32_e32 vcc, 0, v6
	v_lshlrev_b32_e32 v14, 16, v6
	s_nop 0
	v_cndmask_b32_e32 v6, 0, v2, vcc
	s_waitcnt lgkmcnt(0)
	v_add_u32_e32 v6, v6, v12
	v_or_b32_sdwa v12, v14, v6 dst_sel:DWORD dst_unused:UNUSED_PAD src0_sel:DWORD src1_sel:WORD_0
	v_mov_b32_e32 v6, v2
	global_store_dwordx2 v3, v[12:13], s[56:57] offset:512 sc1
.LBB661_254:
	s_or_b64 exec, exec, s[2:3]
	v_add_u16_e32 v53, v1, v40
.LBB661_255:
	s_add_u32 s2, s54, s64
	s_addc_u32 s3, s55, s65
	s_add_u32 s2, s2, s66
	v_mul_u32_u24_e32 v1, 24, v0
	s_addc_u32 s3, s3, s67
	s_and_b64 vcc, exec, s[0:1]
	v_lshlrev_b32_e32 v12, 1, v1
	s_cbranch_vccz .LBB661_303
; %bb.256:
	s_mov_b32 s0, 0x5040100
	v_perm_b32 v21, v16, v11, s0
	v_perm_b32 v20, v9, v8, s0
	;; [unrolled: 1-line block ×4, first 2 shown]
	s_barrier
	ds_write_b128 v12, v[18:21]
	v_perm_b32 v21, v47, v45, s0
	v_perm_b32 v20, v43, v42, s0
	;; [unrolled: 1-line block ×4, first 2 shown]
	ds_write_b128 v12, v[18:21] offset:16
	v_perm_b32 v21, v53, v52, s0
	v_perm_b32 v20, v51, v50, s0
	;; [unrolled: 1-line block ×4, first 2 shown]
	s_movk_i32 s0, 0xffd2
	v_mad_i32_i24 v2, v0, s0, v12
	ds_write_b128 v12, v[18:21] offset:32
	s_waitcnt lgkmcnt(0)
	s_barrier
	ds_read_u16 v39, v2 offset:512
	ds_read_u16 v38, v2 offset:1024
	;; [unrolled: 1-line block ×23, first 2 shown]
	s_add_i32 s33, s33, s58
	v_mov_b32_e32 v27, 0
	v_lshl_add_u64 v[2:3], s[2:3], 0, v[26:27]
	v_cmp_gt_u32_e32 vcc, s33, v0
	s_and_saveexec_b64 s[0:1], vcc
	s_cbranch_execz .LBB661_258
; %bb.257:
	v_mul_i32_i24_e32 v40, 0xffffffd2, v0
	v_add_u32_e32 v40, v12, v40
	ds_read_u16 v40, v40
	s_waitcnt lgkmcnt(0)
	flat_store_short v[2:3], v40
.LBB661_258:
	s_or_b64 exec, exec, s[0:1]
	v_or_b32_e32 v40, 0x100, v0
	v_cmp_gt_u32_e32 vcc, s33, v40
	s_and_saveexec_b64 s[0:1], vcc
	s_cbranch_execz .LBB661_260
; %bb.259:
	s_waitcnt lgkmcnt(0)
	flat_store_short v[2:3], v39 offset:512
.LBB661_260:
	s_or_b64 exec, exec, s[0:1]
	s_waitcnt lgkmcnt(0)
	v_or_b32_e32 v39, 0x200, v0
	v_cmp_gt_u32_e32 vcc, s33, v39
	s_and_saveexec_b64 s[0:1], vcc
	s_cbranch_execz .LBB661_262
; %bb.261:
	flat_store_short v[2:3], v38 offset:1024
.LBB661_262:
	s_or_b64 exec, exec, s[0:1]
	v_or_b32_e32 v38, 0x300, v0
	v_cmp_gt_u32_e32 vcc, s33, v38
	s_and_saveexec_b64 s[0:1], vcc
	s_cbranch_execz .LBB661_264
; %bb.263:
	flat_store_short v[2:3], v37 offset:1536
.LBB661_264:
	s_or_b64 exec, exec, s[0:1]
	;; [unrolled: 8-line block ×6, first 2 shown]
	v_or_b32_e32 v33, 0x800, v0
	v_cmp_gt_u32_e32 vcc, s33, v33
	s_and_saveexec_b64 s[0:1], vcc
	s_cbranch_execz .LBB661_274
; %bb.273:
	v_add_co_u32_e32 v34, vcc, 0x1000, v2
	s_nop 1
	v_addc_co_u32_e32 v35, vcc, 0, v3, vcc
	flat_store_short v[34:35], v32
.LBB661_274:
	s_or_b64 exec, exec, s[0:1]
	v_or_b32_e32 v32, 0x900, v0
	v_cmp_gt_u32_e32 vcc, s33, v32
	s_and_saveexec_b64 s[0:1], vcc
	s_cbranch_execz .LBB661_276
; %bb.275:
	v_add_co_u32_e32 v32, vcc, 0x1000, v2
	s_nop 1
	v_addc_co_u32_e32 v33, vcc, 0, v3, vcc
	flat_store_short v[32:33], v31 offset:512
.LBB661_276:
	s_or_b64 exec, exec, s[0:1]
	v_or_b32_e32 v31, 0xa00, v0
	v_cmp_gt_u32_e32 vcc, s33, v31
	s_and_saveexec_b64 s[0:1], vcc
	s_cbranch_execz .LBB661_278
; %bb.277:
	v_add_co_u32_e32 v32, vcc, 0x1000, v2
	s_nop 1
	v_addc_co_u32_e32 v33, vcc, 0, v3, vcc
	flat_store_short v[32:33], v30 offset:1024
.LBB661_278:
	;; [unrolled: 11-line block ×7, first 2 shown]
	s_or_b64 exec, exec, s[0:1]
	v_or_b32_e32 v23, 0x1000, v0
	v_cmp_gt_u32_e32 vcc, s33, v23
	s_and_saveexec_b64 s[0:1], vcc
	s_cbranch_execz .LBB661_290
; %bb.289:
	v_add_co_u32_e32 v24, vcc, 0x2000, v2
	s_nop 1
	v_addc_co_u32_e32 v25, vcc, 0, v3, vcc
	flat_store_short v[24:25], v22
.LBB661_290:
	s_or_b64 exec, exec, s[0:1]
	v_or_b32_e32 v22, 0x1100, v0
	v_cmp_gt_u32_e32 vcc, s33, v22
	s_and_saveexec_b64 s[0:1], vcc
	s_cbranch_execz .LBB661_292
; %bb.291:
	v_add_co_u32_e32 v22, vcc, 0x2000, v2
	s_nop 1
	v_addc_co_u32_e32 v23, vcc, 0, v3, vcc
	flat_store_short v[22:23], v21 offset:512
.LBB661_292:
	s_or_b64 exec, exec, s[0:1]
	v_or_b32_e32 v21, 0x1200, v0
	v_cmp_gt_u32_e32 vcc, s33, v21
	s_and_saveexec_b64 s[0:1], vcc
	s_cbranch_execz .LBB661_294
; %bb.293:
	v_add_co_u32_e32 v22, vcc, 0x2000, v2
	s_nop 1
	v_addc_co_u32_e32 v23, vcc, 0, v3, vcc
	flat_store_short v[22:23], v20 offset:1024
.LBB661_294:
	s_or_b64 exec, exec, s[0:1]
	v_or_b32_e32 v20, 0x1300, v0
	v_cmp_gt_u32_e32 vcc, s33, v20
	s_and_saveexec_b64 s[0:1], vcc
	s_cbranch_execz .LBB661_296
; %bb.295:
	v_add_co_u32_e32 v20, vcc, 0x2000, v2
	s_nop 1
	v_addc_co_u32_e32 v21, vcc, 0, v3, vcc
	flat_store_short v[20:21], v19 offset:1536
.LBB661_296:
	s_or_b64 exec, exec, s[0:1]
	v_or_b32_e32 v19, 0x1400, v0
	v_cmp_gt_u32_e32 vcc, s33, v19
	s_and_saveexec_b64 s[0:1], vcc
	s_cbranch_execz .LBB661_298
; %bb.297:
	v_add_co_u32_e32 v20, vcc, 0x2000, v2
	s_nop 1
	v_addc_co_u32_e32 v21, vcc, 0, v3, vcc
	flat_store_short v[20:21], v18 offset:2048
.LBB661_298:
	s_or_b64 exec, exec, s[0:1]
	v_or_b32_e32 v18, 0x1500, v0
	v_cmp_gt_u32_e32 vcc, s33, v18
	s_and_saveexec_b64 s[0:1], vcc
	s_cbranch_execz .LBB661_300
; %bb.299:
	v_add_co_u32_e32 v18, vcc, 0x2000, v2
	s_nop 1
	v_addc_co_u32_e32 v19, vcc, 0, v3, vcc
	flat_store_short v[18:19], v14 offset:2560
.LBB661_300:
	s_or_b64 exec, exec, s[0:1]
	v_or_b32_e32 v14, 0x1600, v0
	v_cmp_gt_u32_e32 vcc, s33, v14
	s_and_saveexec_b64 s[0:1], vcc
	s_cbranch_execz .LBB661_302
; %bb.301:
	v_add_co_u32_e32 v2, vcc, 0x2000, v2
	s_nop 1
	v_addc_co_u32_e32 v3, vcc, 0, v3, vcc
	flat_store_short v[2:3], v1 offset:3072
.LBB661_302:
	s_or_b64 exec, exec, s[0:1]
	v_or_b32_e32 v2, 0x1700, v0
	v_mov_b32_e32 v1, v27
	v_cmp_gt_u32_e64 s[0:1], s33, v2
	s_branch .LBB661_305
.LBB661_303:
	s_mov_b64 s[0:1], 0
                                        ; implicit-def: $vgpr13
	s_cbranch_execz .LBB661_305
; %bb.304:
	s_mov_b32 s4, 0x5040100
	v_perm_b32 v19, v7, v5, s4
	v_perm_b32 v18, v4, v6, s4
	;; [unrolled: 1-line block ×6, first 2 shown]
	s_waitcnt lgkmcnt(0)
	s_barrier
	v_perm_b32 v21, v16, v11, s4
	v_perm_b32 v20, v9, v8, s4
	ds_write_b128 v12, v[2:5] offset:16
	v_perm_b32 v5, v53, v52, s4
	v_perm_b32 v4, v51, v50, s4
	;; [unrolled: 1-line block ×4, first 2 shown]
	v_mov_b32_e32 v1, 0
	s_movk_i32 s4, 0xffd2
	ds_write_b128 v12, v[2:5] offset:32
	v_mad_i32_i24 v2, v0, s4, v12
	v_mov_b32_e32 v27, v1
	ds_write_b128 v12, v[18:21]
	s_waitcnt lgkmcnt(0)
	s_barrier
	ds_read_u16 v4, v2
	ds_read_u16 v5, v2 offset:512
	ds_read_u16 v6, v2 offset:1024
	;; [unrolled: 1-line block ×23, first 2 shown]
	v_lshl_add_u64 v[2:3], s[2:3], 0, v[26:27]
	s_movk_i32 s4, 0x1000
	s_waitcnt lgkmcnt(0)
	flat_store_short v[2:3], v4
	flat_store_short v[2:3], v5 offset:512
	flat_store_short v[2:3], v6 offset:1024
	;; [unrolled: 1-line block ×7, first 2 shown]
	v_add_co_u32_e32 v4, vcc, s4, v2
	s_or_b64 s[0:1], s[0:1], exec
	s_nop 0
	v_addc_co_u32_e32 v5, vcc, 0, v3, vcc
	v_add_co_u32_e32 v2, vcc, 0x2000, v2
	flat_store_short v[4:5], v12
	flat_store_short v[4:5], v14 offset:512
	flat_store_short v[4:5], v15 offset:1024
	;; [unrolled: 1-line block ×7, first 2 shown]
	v_addc_co_u32_e32 v3, vcc, 0, v3, vcc
	flat_store_short v[2:3], v21
	flat_store_short v[2:3], v22 offset:512
	flat_store_short v[2:3], v23 offset:1024
	;; [unrolled: 1-line block ×6, first 2 shown]
.LBB661_305:
	s_and_saveexec_b64 s[4:5], s[0:1]
	s_cbranch_execz .LBB661_307
; %bb.306:
	v_lshl_add_u64 v[0:1], v[0:1], 1, s[2:3]
	v_add_co_u32_e32 v0, vcc, 0x2000, v0
	s_nop 1
	v_addc_co_u32_e32 v1, vcc, 0, v1, vcc
	flat_store_short v[0:1], v13 offset:3584
	s_endpgm
.LBB661_307:
	s_endpgm
	.section	.rodata,"a",@progbits
	.p2align	6, 0x0
	.amdhsa_kernel _ZN7rocprim17ROCPRIM_400000_NS6detail17trampoline_kernelINS0_14default_configENS1_27scan_by_key_config_selectorIssEEZZNS1_16scan_by_key_implILNS1_25lookback_scan_determinismE0ELb1ES3_N6thrust23THRUST_200600_302600_NS6detail15normal_iteratorINS9_10device_ptrIsEEEESE_SE_sNS9_4plusIvEENS9_8equal_toIsEEsEE10hipError_tPvRmT2_T3_T4_T5_mT6_T7_P12ihipStream_tbENKUlT_T0_E_clISt17integral_constantIbLb1EESY_IbLb0EEEEDaSU_SV_EUlSU_E_NS1_11comp_targetILNS1_3genE5ELNS1_11target_archE942ELNS1_3gpuE9ELNS1_3repE0EEENS1_30default_config_static_selectorELNS0_4arch9wavefront6targetE1EEEvT1_
		.amdhsa_group_segment_fixed_size 13312
		.amdhsa_private_segment_fixed_size 0
		.amdhsa_kernarg_size 112
		.amdhsa_user_sgpr_count 2
		.amdhsa_user_sgpr_dispatch_ptr 0
		.amdhsa_user_sgpr_queue_ptr 0
		.amdhsa_user_sgpr_kernarg_segment_ptr 1
		.amdhsa_user_sgpr_dispatch_id 0
		.amdhsa_user_sgpr_kernarg_preload_length 0
		.amdhsa_user_sgpr_kernarg_preload_offset 0
		.amdhsa_user_sgpr_private_segment_size 0
		.amdhsa_uses_dynamic_stack 0
		.amdhsa_enable_private_segment 0
		.amdhsa_system_sgpr_workgroup_id_x 1
		.amdhsa_system_sgpr_workgroup_id_y 0
		.amdhsa_system_sgpr_workgroup_id_z 0
		.amdhsa_system_sgpr_workgroup_info 0
		.amdhsa_system_vgpr_workitem_id 0
		.amdhsa_next_free_vgpr 60
		.amdhsa_next_free_sgpr 79
		.amdhsa_accum_offset 60
		.amdhsa_reserve_vcc 1
		.amdhsa_float_round_mode_32 0
		.amdhsa_float_round_mode_16_64 0
		.amdhsa_float_denorm_mode_32 3
		.amdhsa_float_denorm_mode_16_64 3
		.amdhsa_dx10_clamp 1
		.amdhsa_ieee_mode 1
		.amdhsa_fp16_overflow 0
		.amdhsa_tg_split 0
		.amdhsa_exception_fp_ieee_invalid_op 0
		.amdhsa_exception_fp_denorm_src 0
		.amdhsa_exception_fp_ieee_div_zero 0
		.amdhsa_exception_fp_ieee_overflow 0
		.amdhsa_exception_fp_ieee_underflow 0
		.amdhsa_exception_fp_ieee_inexact 0
		.amdhsa_exception_int_div_zero 0
	.end_amdhsa_kernel
	.section	.text._ZN7rocprim17ROCPRIM_400000_NS6detail17trampoline_kernelINS0_14default_configENS1_27scan_by_key_config_selectorIssEEZZNS1_16scan_by_key_implILNS1_25lookback_scan_determinismE0ELb1ES3_N6thrust23THRUST_200600_302600_NS6detail15normal_iteratorINS9_10device_ptrIsEEEESE_SE_sNS9_4plusIvEENS9_8equal_toIsEEsEE10hipError_tPvRmT2_T3_T4_T5_mT6_T7_P12ihipStream_tbENKUlT_T0_E_clISt17integral_constantIbLb1EESY_IbLb0EEEEDaSU_SV_EUlSU_E_NS1_11comp_targetILNS1_3genE5ELNS1_11target_archE942ELNS1_3gpuE9ELNS1_3repE0EEENS1_30default_config_static_selectorELNS0_4arch9wavefront6targetE1EEEvT1_,"axG",@progbits,_ZN7rocprim17ROCPRIM_400000_NS6detail17trampoline_kernelINS0_14default_configENS1_27scan_by_key_config_selectorIssEEZZNS1_16scan_by_key_implILNS1_25lookback_scan_determinismE0ELb1ES3_N6thrust23THRUST_200600_302600_NS6detail15normal_iteratorINS9_10device_ptrIsEEEESE_SE_sNS9_4plusIvEENS9_8equal_toIsEEsEE10hipError_tPvRmT2_T3_T4_T5_mT6_T7_P12ihipStream_tbENKUlT_T0_E_clISt17integral_constantIbLb1EESY_IbLb0EEEEDaSU_SV_EUlSU_E_NS1_11comp_targetILNS1_3genE5ELNS1_11target_archE942ELNS1_3gpuE9ELNS1_3repE0EEENS1_30default_config_static_selectorELNS0_4arch9wavefront6targetE1EEEvT1_,comdat
.Lfunc_end661:
	.size	_ZN7rocprim17ROCPRIM_400000_NS6detail17trampoline_kernelINS0_14default_configENS1_27scan_by_key_config_selectorIssEEZZNS1_16scan_by_key_implILNS1_25lookback_scan_determinismE0ELb1ES3_N6thrust23THRUST_200600_302600_NS6detail15normal_iteratorINS9_10device_ptrIsEEEESE_SE_sNS9_4plusIvEENS9_8equal_toIsEEsEE10hipError_tPvRmT2_T3_T4_T5_mT6_T7_P12ihipStream_tbENKUlT_T0_E_clISt17integral_constantIbLb1EESY_IbLb0EEEEDaSU_SV_EUlSU_E_NS1_11comp_targetILNS1_3genE5ELNS1_11target_archE942ELNS1_3gpuE9ELNS1_3repE0EEENS1_30default_config_static_selectorELNS0_4arch9wavefront6targetE1EEEvT1_, .Lfunc_end661-_ZN7rocprim17ROCPRIM_400000_NS6detail17trampoline_kernelINS0_14default_configENS1_27scan_by_key_config_selectorIssEEZZNS1_16scan_by_key_implILNS1_25lookback_scan_determinismE0ELb1ES3_N6thrust23THRUST_200600_302600_NS6detail15normal_iteratorINS9_10device_ptrIsEEEESE_SE_sNS9_4plusIvEENS9_8equal_toIsEEsEE10hipError_tPvRmT2_T3_T4_T5_mT6_T7_P12ihipStream_tbENKUlT_T0_E_clISt17integral_constantIbLb1EESY_IbLb0EEEEDaSU_SV_EUlSU_E_NS1_11comp_targetILNS1_3genE5ELNS1_11target_archE942ELNS1_3gpuE9ELNS1_3repE0EEENS1_30default_config_static_selectorELNS0_4arch9wavefront6targetE1EEEvT1_
                                        ; -- End function
	.section	.AMDGPU.csdata,"",@progbits
; Kernel info:
; codeLenInByte = 16540
; NumSgprs: 85
; NumVgprs: 60
; NumAgprs: 0
; TotalNumVgprs: 60
; ScratchSize: 0
; MemoryBound: 0
; FloatMode: 240
; IeeeMode: 1
; LDSByteSize: 13312 bytes/workgroup (compile time only)
; SGPRBlocks: 10
; VGPRBlocks: 7
; NumSGPRsForWavesPerEU: 85
; NumVGPRsForWavesPerEU: 60
; AccumOffset: 60
; Occupancy: 4
; WaveLimiterHint : 1
; COMPUTE_PGM_RSRC2:SCRATCH_EN: 0
; COMPUTE_PGM_RSRC2:USER_SGPR: 2
; COMPUTE_PGM_RSRC2:TRAP_HANDLER: 0
; COMPUTE_PGM_RSRC2:TGID_X_EN: 1
; COMPUTE_PGM_RSRC2:TGID_Y_EN: 0
; COMPUTE_PGM_RSRC2:TGID_Z_EN: 0
; COMPUTE_PGM_RSRC2:TIDIG_COMP_CNT: 0
; COMPUTE_PGM_RSRC3_GFX90A:ACCUM_OFFSET: 14
; COMPUTE_PGM_RSRC3_GFX90A:TG_SPLIT: 0
	.section	.text._ZN7rocprim17ROCPRIM_400000_NS6detail17trampoline_kernelINS0_14default_configENS1_27scan_by_key_config_selectorIssEEZZNS1_16scan_by_key_implILNS1_25lookback_scan_determinismE0ELb1ES3_N6thrust23THRUST_200600_302600_NS6detail15normal_iteratorINS9_10device_ptrIsEEEESE_SE_sNS9_4plusIvEENS9_8equal_toIsEEsEE10hipError_tPvRmT2_T3_T4_T5_mT6_T7_P12ihipStream_tbENKUlT_T0_E_clISt17integral_constantIbLb1EESY_IbLb0EEEEDaSU_SV_EUlSU_E_NS1_11comp_targetILNS1_3genE4ELNS1_11target_archE910ELNS1_3gpuE8ELNS1_3repE0EEENS1_30default_config_static_selectorELNS0_4arch9wavefront6targetE1EEEvT1_,"axG",@progbits,_ZN7rocprim17ROCPRIM_400000_NS6detail17trampoline_kernelINS0_14default_configENS1_27scan_by_key_config_selectorIssEEZZNS1_16scan_by_key_implILNS1_25lookback_scan_determinismE0ELb1ES3_N6thrust23THRUST_200600_302600_NS6detail15normal_iteratorINS9_10device_ptrIsEEEESE_SE_sNS9_4plusIvEENS9_8equal_toIsEEsEE10hipError_tPvRmT2_T3_T4_T5_mT6_T7_P12ihipStream_tbENKUlT_T0_E_clISt17integral_constantIbLb1EESY_IbLb0EEEEDaSU_SV_EUlSU_E_NS1_11comp_targetILNS1_3genE4ELNS1_11target_archE910ELNS1_3gpuE8ELNS1_3repE0EEENS1_30default_config_static_selectorELNS0_4arch9wavefront6targetE1EEEvT1_,comdat
	.protected	_ZN7rocprim17ROCPRIM_400000_NS6detail17trampoline_kernelINS0_14default_configENS1_27scan_by_key_config_selectorIssEEZZNS1_16scan_by_key_implILNS1_25lookback_scan_determinismE0ELb1ES3_N6thrust23THRUST_200600_302600_NS6detail15normal_iteratorINS9_10device_ptrIsEEEESE_SE_sNS9_4plusIvEENS9_8equal_toIsEEsEE10hipError_tPvRmT2_T3_T4_T5_mT6_T7_P12ihipStream_tbENKUlT_T0_E_clISt17integral_constantIbLb1EESY_IbLb0EEEEDaSU_SV_EUlSU_E_NS1_11comp_targetILNS1_3genE4ELNS1_11target_archE910ELNS1_3gpuE8ELNS1_3repE0EEENS1_30default_config_static_selectorELNS0_4arch9wavefront6targetE1EEEvT1_ ; -- Begin function _ZN7rocprim17ROCPRIM_400000_NS6detail17trampoline_kernelINS0_14default_configENS1_27scan_by_key_config_selectorIssEEZZNS1_16scan_by_key_implILNS1_25lookback_scan_determinismE0ELb1ES3_N6thrust23THRUST_200600_302600_NS6detail15normal_iteratorINS9_10device_ptrIsEEEESE_SE_sNS9_4plusIvEENS9_8equal_toIsEEsEE10hipError_tPvRmT2_T3_T4_T5_mT6_T7_P12ihipStream_tbENKUlT_T0_E_clISt17integral_constantIbLb1EESY_IbLb0EEEEDaSU_SV_EUlSU_E_NS1_11comp_targetILNS1_3genE4ELNS1_11target_archE910ELNS1_3gpuE8ELNS1_3repE0EEENS1_30default_config_static_selectorELNS0_4arch9wavefront6targetE1EEEvT1_
	.globl	_ZN7rocprim17ROCPRIM_400000_NS6detail17trampoline_kernelINS0_14default_configENS1_27scan_by_key_config_selectorIssEEZZNS1_16scan_by_key_implILNS1_25lookback_scan_determinismE0ELb1ES3_N6thrust23THRUST_200600_302600_NS6detail15normal_iteratorINS9_10device_ptrIsEEEESE_SE_sNS9_4plusIvEENS9_8equal_toIsEEsEE10hipError_tPvRmT2_T3_T4_T5_mT6_T7_P12ihipStream_tbENKUlT_T0_E_clISt17integral_constantIbLb1EESY_IbLb0EEEEDaSU_SV_EUlSU_E_NS1_11comp_targetILNS1_3genE4ELNS1_11target_archE910ELNS1_3gpuE8ELNS1_3repE0EEENS1_30default_config_static_selectorELNS0_4arch9wavefront6targetE1EEEvT1_
	.p2align	8
	.type	_ZN7rocprim17ROCPRIM_400000_NS6detail17trampoline_kernelINS0_14default_configENS1_27scan_by_key_config_selectorIssEEZZNS1_16scan_by_key_implILNS1_25lookback_scan_determinismE0ELb1ES3_N6thrust23THRUST_200600_302600_NS6detail15normal_iteratorINS9_10device_ptrIsEEEESE_SE_sNS9_4plusIvEENS9_8equal_toIsEEsEE10hipError_tPvRmT2_T3_T4_T5_mT6_T7_P12ihipStream_tbENKUlT_T0_E_clISt17integral_constantIbLb1EESY_IbLb0EEEEDaSU_SV_EUlSU_E_NS1_11comp_targetILNS1_3genE4ELNS1_11target_archE910ELNS1_3gpuE8ELNS1_3repE0EEENS1_30default_config_static_selectorELNS0_4arch9wavefront6targetE1EEEvT1_,@function
_ZN7rocprim17ROCPRIM_400000_NS6detail17trampoline_kernelINS0_14default_configENS1_27scan_by_key_config_selectorIssEEZZNS1_16scan_by_key_implILNS1_25lookback_scan_determinismE0ELb1ES3_N6thrust23THRUST_200600_302600_NS6detail15normal_iteratorINS9_10device_ptrIsEEEESE_SE_sNS9_4plusIvEENS9_8equal_toIsEEsEE10hipError_tPvRmT2_T3_T4_T5_mT6_T7_P12ihipStream_tbENKUlT_T0_E_clISt17integral_constantIbLb1EESY_IbLb0EEEEDaSU_SV_EUlSU_E_NS1_11comp_targetILNS1_3genE4ELNS1_11target_archE910ELNS1_3gpuE8ELNS1_3repE0EEENS1_30default_config_static_selectorELNS0_4arch9wavefront6targetE1EEEvT1_: ; @_ZN7rocprim17ROCPRIM_400000_NS6detail17trampoline_kernelINS0_14default_configENS1_27scan_by_key_config_selectorIssEEZZNS1_16scan_by_key_implILNS1_25lookback_scan_determinismE0ELb1ES3_N6thrust23THRUST_200600_302600_NS6detail15normal_iteratorINS9_10device_ptrIsEEEESE_SE_sNS9_4plusIvEENS9_8equal_toIsEEsEE10hipError_tPvRmT2_T3_T4_T5_mT6_T7_P12ihipStream_tbENKUlT_T0_E_clISt17integral_constantIbLb1EESY_IbLb0EEEEDaSU_SV_EUlSU_E_NS1_11comp_targetILNS1_3genE4ELNS1_11target_archE910ELNS1_3gpuE8ELNS1_3repE0EEENS1_30default_config_static_selectorELNS0_4arch9wavefront6targetE1EEEvT1_
; %bb.0:
	.section	.rodata,"a",@progbits
	.p2align	6, 0x0
	.amdhsa_kernel _ZN7rocprim17ROCPRIM_400000_NS6detail17trampoline_kernelINS0_14default_configENS1_27scan_by_key_config_selectorIssEEZZNS1_16scan_by_key_implILNS1_25lookback_scan_determinismE0ELb1ES3_N6thrust23THRUST_200600_302600_NS6detail15normal_iteratorINS9_10device_ptrIsEEEESE_SE_sNS9_4plusIvEENS9_8equal_toIsEEsEE10hipError_tPvRmT2_T3_T4_T5_mT6_T7_P12ihipStream_tbENKUlT_T0_E_clISt17integral_constantIbLb1EESY_IbLb0EEEEDaSU_SV_EUlSU_E_NS1_11comp_targetILNS1_3genE4ELNS1_11target_archE910ELNS1_3gpuE8ELNS1_3repE0EEENS1_30default_config_static_selectorELNS0_4arch9wavefront6targetE1EEEvT1_
		.amdhsa_group_segment_fixed_size 0
		.amdhsa_private_segment_fixed_size 0
		.amdhsa_kernarg_size 112
		.amdhsa_user_sgpr_count 2
		.amdhsa_user_sgpr_dispatch_ptr 0
		.amdhsa_user_sgpr_queue_ptr 0
		.amdhsa_user_sgpr_kernarg_segment_ptr 1
		.amdhsa_user_sgpr_dispatch_id 0
		.amdhsa_user_sgpr_kernarg_preload_length 0
		.amdhsa_user_sgpr_kernarg_preload_offset 0
		.amdhsa_user_sgpr_private_segment_size 0
		.amdhsa_uses_dynamic_stack 0
		.amdhsa_enable_private_segment 0
		.amdhsa_system_sgpr_workgroup_id_x 1
		.amdhsa_system_sgpr_workgroup_id_y 0
		.amdhsa_system_sgpr_workgroup_id_z 0
		.amdhsa_system_sgpr_workgroup_info 0
		.amdhsa_system_vgpr_workitem_id 0
		.amdhsa_next_free_vgpr 1
		.amdhsa_next_free_sgpr 0
		.amdhsa_accum_offset 4
		.amdhsa_reserve_vcc 0
		.amdhsa_float_round_mode_32 0
		.amdhsa_float_round_mode_16_64 0
		.amdhsa_float_denorm_mode_32 3
		.amdhsa_float_denorm_mode_16_64 3
		.amdhsa_dx10_clamp 1
		.amdhsa_ieee_mode 1
		.amdhsa_fp16_overflow 0
		.amdhsa_tg_split 0
		.amdhsa_exception_fp_ieee_invalid_op 0
		.amdhsa_exception_fp_denorm_src 0
		.amdhsa_exception_fp_ieee_div_zero 0
		.amdhsa_exception_fp_ieee_overflow 0
		.amdhsa_exception_fp_ieee_underflow 0
		.amdhsa_exception_fp_ieee_inexact 0
		.amdhsa_exception_int_div_zero 0
	.end_amdhsa_kernel
	.section	.text._ZN7rocprim17ROCPRIM_400000_NS6detail17trampoline_kernelINS0_14default_configENS1_27scan_by_key_config_selectorIssEEZZNS1_16scan_by_key_implILNS1_25lookback_scan_determinismE0ELb1ES3_N6thrust23THRUST_200600_302600_NS6detail15normal_iteratorINS9_10device_ptrIsEEEESE_SE_sNS9_4plusIvEENS9_8equal_toIsEEsEE10hipError_tPvRmT2_T3_T4_T5_mT6_T7_P12ihipStream_tbENKUlT_T0_E_clISt17integral_constantIbLb1EESY_IbLb0EEEEDaSU_SV_EUlSU_E_NS1_11comp_targetILNS1_3genE4ELNS1_11target_archE910ELNS1_3gpuE8ELNS1_3repE0EEENS1_30default_config_static_selectorELNS0_4arch9wavefront6targetE1EEEvT1_,"axG",@progbits,_ZN7rocprim17ROCPRIM_400000_NS6detail17trampoline_kernelINS0_14default_configENS1_27scan_by_key_config_selectorIssEEZZNS1_16scan_by_key_implILNS1_25lookback_scan_determinismE0ELb1ES3_N6thrust23THRUST_200600_302600_NS6detail15normal_iteratorINS9_10device_ptrIsEEEESE_SE_sNS9_4plusIvEENS9_8equal_toIsEEsEE10hipError_tPvRmT2_T3_T4_T5_mT6_T7_P12ihipStream_tbENKUlT_T0_E_clISt17integral_constantIbLb1EESY_IbLb0EEEEDaSU_SV_EUlSU_E_NS1_11comp_targetILNS1_3genE4ELNS1_11target_archE910ELNS1_3gpuE8ELNS1_3repE0EEENS1_30default_config_static_selectorELNS0_4arch9wavefront6targetE1EEEvT1_,comdat
.Lfunc_end662:
	.size	_ZN7rocprim17ROCPRIM_400000_NS6detail17trampoline_kernelINS0_14default_configENS1_27scan_by_key_config_selectorIssEEZZNS1_16scan_by_key_implILNS1_25lookback_scan_determinismE0ELb1ES3_N6thrust23THRUST_200600_302600_NS6detail15normal_iteratorINS9_10device_ptrIsEEEESE_SE_sNS9_4plusIvEENS9_8equal_toIsEEsEE10hipError_tPvRmT2_T3_T4_T5_mT6_T7_P12ihipStream_tbENKUlT_T0_E_clISt17integral_constantIbLb1EESY_IbLb0EEEEDaSU_SV_EUlSU_E_NS1_11comp_targetILNS1_3genE4ELNS1_11target_archE910ELNS1_3gpuE8ELNS1_3repE0EEENS1_30default_config_static_selectorELNS0_4arch9wavefront6targetE1EEEvT1_, .Lfunc_end662-_ZN7rocprim17ROCPRIM_400000_NS6detail17trampoline_kernelINS0_14default_configENS1_27scan_by_key_config_selectorIssEEZZNS1_16scan_by_key_implILNS1_25lookback_scan_determinismE0ELb1ES3_N6thrust23THRUST_200600_302600_NS6detail15normal_iteratorINS9_10device_ptrIsEEEESE_SE_sNS9_4plusIvEENS9_8equal_toIsEEsEE10hipError_tPvRmT2_T3_T4_T5_mT6_T7_P12ihipStream_tbENKUlT_T0_E_clISt17integral_constantIbLb1EESY_IbLb0EEEEDaSU_SV_EUlSU_E_NS1_11comp_targetILNS1_3genE4ELNS1_11target_archE910ELNS1_3gpuE8ELNS1_3repE0EEENS1_30default_config_static_selectorELNS0_4arch9wavefront6targetE1EEEvT1_
                                        ; -- End function
	.section	.AMDGPU.csdata,"",@progbits
; Kernel info:
; codeLenInByte = 0
; NumSgprs: 6
; NumVgprs: 0
; NumAgprs: 0
; TotalNumVgprs: 0
; ScratchSize: 0
; MemoryBound: 0
; FloatMode: 240
; IeeeMode: 1
; LDSByteSize: 0 bytes/workgroup (compile time only)
; SGPRBlocks: 0
; VGPRBlocks: 0
; NumSGPRsForWavesPerEU: 6
; NumVGPRsForWavesPerEU: 1
; AccumOffset: 4
; Occupancy: 8
; WaveLimiterHint : 0
; COMPUTE_PGM_RSRC2:SCRATCH_EN: 0
; COMPUTE_PGM_RSRC2:USER_SGPR: 2
; COMPUTE_PGM_RSRC2:TRAP_HANDLER: 0
; COMPUTE_PGM_RSRC2:TGID_X_EN: 1
; COMPUTE_PGM_RSRC2:TGID_Y_EN: 0
; COMPUTE_PGM_RSRC2:TGID_Z_EN: 0
; COMPUTE_PGM_RSRC2:TIDIG_COMP_CNT: 0
; COMPUTE_PGM_RSRC3_GFX90A:ACCUM_OFFSET: 0
; COMPUTE_PGM_RSRC3_GFX90A:TG_SPLIT: 0
	.section	.text._ZN7rocprim17ROCPRIM_400000_NS6detail17trampoline_kernelINS0_14default_configENS1_27scan_by_key_config_selectorIssEEZZNS1_16scan_by_key_implILNS1_25lookback_scan_determinismE0ELb1ES3_N6thrust23THRUST_200600_302600_NS6detail15normal_iteratorINS9_10device_ptrIsEEEESE_SE_sNS9_4plusIvEENS9_8equal_toIsEEsEE10hipError_tPvRmT2_T3_T4_T5_mT6_T7_P12ihipStream_tbENKUlT_T0_E_clISt17integral_constantIbLb1EESY_IbLb0EEEEDaSU_SV_EUlSU_E_NS1_11comp_targetILNS1_3genE3ELNS1_11target_archE908ELNS1_3gpuE7ELNS1_3repE0EEENS1_30default_config_static_selectorELNS0_4arch9wavefront6targetE1EEEvT1_,"axG",@progbits,_ZN7rocprim17ROCPRIM_400000_NS6detail17trampoline_kernelINS0_14default_configENS1_27scan_by_key_config_selectorIssEEZZNS1_16scan_by_key_implILNS1_25lookback_scan_determinismE0ELb1ES3_N6thrust23THRUST_200600_302600_NS6detail15normal_iteratorINS9_10device_ptrIsEEEESE_SE_sNS9_4plusIvEENS9_8equal_toIsEEsEE10hipError_tPvRmT2_T3_T4_T5_mT6_T7_P12ihipStream_tbENKUlT_T0_E_clISt17integral_constantIbLb1EESY_IbLb0EEEEDaSU_SV_EUlSU_E_NS1_11comp_targetILNS1_3genE3ELNS1_11target_archE908ELNS1_3gpuE7ELNS1_3repE0EEENS1_30default_config_static_selectorELNS0_4arch9wavefront6targetE1EEEvT1_,comdat
	.protected	_ZN7rocprim17ROCPRIM_400000_NS6detail17trampoline_kernelINS0_14default_configENS1_27scan_by_key_config_selectorIssEEZZNS1_16scan_by_key_implILNS1_25lookback_scan_determinismE0ELb1ES3_N6thrust23THRUST_200600_302600_NS6detail15normal_iteratorINS9_10device_ptrIsEEEESE_SE_sNS9_4plusIvEENS9_8equal_toIsEEsEE10hipError_tPvRmT2_T3_T4_T5_mT6_T7_P12ihipStream_tbENKUlT_T0_E_clISt17integral_constantIbLb1EESY_IbLb0EEEEDaSU_SV_EUlSU_E_NS1_11comp_targetILNS1_3genE3ELNS1_11target_archE908ELNS1_3gpuE7ELNS1_3repE0EEENS1_30default_config_static_selectorELNS0_4arch9wavefront6targetE1EEEvT1_ ; -- Begin function _ZN7rocprim17ROCPRIM_400000_NS6detail17trampoline_kernelINS0_14default_configENS1_27scan_by_key_config_selectorIssEEZZNS1_16scan_by_key_implILNS1_25lookback_scan_determinismE0ELb1ES3_N6thrust23THRUST_200600_302600_NS6detail15normal_iteratorINS9_10device_ptrIsEEEESE_SE_sNS9_4plusIvEENS9_8equal_toIsEEsEE10hipError_tPvRmT2_T3_T4_T5_mT6_T7_P12ihipStream_tbENKUlT_T0_E_clISt17integral_constantIbLb1EESY_IbLb0EEEEDaSU_SV_EUlSU_E_NS1_11comp_targetILNS1_3genE3ELNS1_11target_archE908ELNS1_3gpuE7ELNS1_3repE0EEENS1_30default_config_static_selectorELNS0_4arch9wavefront6targetE1EEEvT1_
	.globl	_ZN7rocprim17ROCPRIM_400000_NS6detail17trampoline_kernelINS0_14default_configENS1_27scan_by_key_config_selectorIssEEZZNS1_16scan_by_key_implILNS1_25lookback_scan_determinismE0ELb1ES3_N6thrust23THRUST_200600_302600_NS6detail15normal_iteratorINS9_10device_ptrIsEEEESE_SE_sNS9_4plusIvEENS9_8equal_toIsEEsEE10hipError_tPvRmT2_T3_T4_T5_mT6_T7_P12ihipStream_tbENKUlT_T0_E_clISt17integral_constantIbLb1EESY_IbLb0EEEEDaSU_SV_EUlSU_E_NS1_11comp_targetILNS1_3genE3ELNS1_11target_archE908ELNS1_3gpuE7ELNS1_3repE0EEENS1_30default_config_static_selectorELNS0_4arch9wavefront6targetE1EEEvT1_
	.p2align	8
	.type	_ZN7rocprim17ROCPRIM_400000_NS6detail17trampoline_kernelINS0_14default_configENS1_27scan_by_key_config_selectorIssEEZZNS1_16scan_by_key_implILNS1_25lookback_scan_determinismE0ELb1ES3_N6thrust23THRUST_200600_302600_NS6detail15normal_iteratorINS9_10device_ptrIsEEEESE_SE_sNS9_4plusIvEENS9_8equal_toIsEEsEE10hipError_tPvRmT2_T3_T4_T5_mT6_T7_P12ihipStream_tbENKUlT_T0_E_clISt17integral_constantIbLb1EESY_IbLb0EEEEDaSU_SV_EUlSU_E_NS1_11comp_targetILNS1_3genE3ELNS1_11target_archE908ELNS1_3gpuE7ELNS1_3repE0EEENS1_30default_config_static_selectorELNS0_4arch9wavefront6targetE1EEEvT1_,@function
_ZN7rocprim17ROCPRIM_400000_NS6detail17trampoline_kernelINS0_14default_configENS1_27scan_by_key_config_selectorIssEEZZNS1_16scan_by_key_implILNS1_25lookback_scan_determinismE0ELb1ES3_N6thrust23THRUST_200600_302600_NS6detail15normal_iteratorINS9_10device_ptrIsEEEESE_SE_sNS9_4plusIvEENS9_8equal_toIsEEsEE10hipError_tPvRmT2_T3_T4_T5_mT6_T7_P12ihipStream_tbENKUlT_T0_E_clISt17integral_constantIbLb1EESY_IbLb0EEEEDaSU_SV_EUlSU_E_NS1_11comp_targetILNS1_3genE3ELNS1_11target_archE908ELNS1_3gpuE7ELNS1_3repE0EEENS1_30default_config_static_selectorELNS0_4arch9wavefront6targetE1EEEvT1_: ; @_ZN7rocprim17ROCPRIM_400000_NS6detail17trampoline_kernelINS0_14default_configENS1_27scan_by_key_config_selectorIssEEZZNS1_16scan_by_key_implILNS1_25lookback_scan_determinismE0ELb1ES3_N6thrust23THRUST_200600_302600_NS6detail15normal_iteratorINS9_10device_ptrIsEEEESE_SE_sNS9_4plusIvEENS9_8equal_toIsEEsEE10hipError_tPvRmT2_T3_T4_T5_mT6_T7_P12ihipStream_tbENKUlT_T0_E_clISt17integral_constantIbLb1EESY_IbLb0EEEEDaSU_SV_EUlSU_E_NS1_11comp_targetILNS1_3genE3ELNS1_11target_archE908ELNS1_3gpuE7ELNS1_3repE0EEENS1_30default_config_static_selectorELNS0_4arch9wavefront6targetE1EEEvT1_
; %bb.0:
	.section	.rodata,"a",@progbits
	.p2align	6, 0x0
	.amdhsa_kernel _ZN7rocprim17ROCPRIM_400000_NS6detail17trampoline_kernelINS0_14default_configENS1_27scan_by_key_config_selectorIssEEZZNS1_16scan_by_key_implILNS1_25lookback_scan_determinismE0ELb1ES3_N6thrust23THRUST_200600_302600_NS6detail15normal_iteratorINS9_10device_ptrIsEEEESE_SE_sNS9_4plusIvEENS9_8equal_toIsEEsEE10hipError_tPvRmT2_T3_T4_T5_mT6_T7_P12ihipStream_tbENKUlT_T0_E_clISt17integral_constantIbLb1EESY_IbLb0EEEEDaSU_SV_EUlSU_E_NS1_11comp_targetILNS1_3genE3ELNS1_11target_archE908ELNS1_3gpuE7ELNS1_3repE0EEENS1_30default_config_static_selectorELNS0_4arch9wavefront6targetE1EEEvT1_
		.amdhsa_group_segment_fixed_size 0
		.amdhsa_private_segment_fixed_size 0
		.amdhsa_kernarg_size 112
		.amdhsa_user_sgpr_count 2
		.amdhsa_user_sgpr_dispatch_ptr 0
		.amdhsa_user_sgpr_queue_ptr 0
		.amdhsa_user_sgpr_kernarg_segment_ptr 1
		.amdhsa_user_sgpr_dispatch_id 0
		.amdhsa_user_sgpr_kernarg_preload_length 0
		.amdhsa_user_sgpr_kernarg_preload_offset 0
		.amdhsa_user_sgpr_private_segment_size 0
		.amdhsa_uses_dynamic_stack 0
		.amdhsa_enable_private_segment 0
		.amdhsa_system_sgpr_workgroup_id_x 1
		.amdhsa_system_sgpr_workgroup_id_y 0
		.amdhsa_system_sgpr_workgroup_id_z 0
		.amdhsa_system_sgpr_workgroup_info 0
		.amdhsa_system_vgpr_workitem_id 0
		.amdhsa_next_free_vgpr 1
		.amdhsa_next_free_sgpr 0
		.amdhsa_accum_offset 4
		.amdhsa_reserve_vcc 0
		.amdhsa_float_round_mode_32 0
		.amdhsa_float_round_mode_16_64 0
		.amdhsa_float_denorm_mode_32 3
		.amdhsa_float_denorm_mode_16_64 3
		.amdhsa_dx10_clamp 1
		.amdhsa_ieee_mode 1
		.amdhsa_fp16_overflow 0
		.amdhsa_tg_split 0
		.amdhsa_exception_fp_ieee_invalid_op 0
		.amdhsa_exception_fp_denorm_src 0
		.amdhsa_exception_fp_ieee_div_zero 0
		.amdhsa_exception_fp_ieee_overflow 0
		.amdhsa_exception_fp_ieee_underflow 0
		.amdhsa_exception_fp_ieee_inexact 0
		.amdhsa_exception_int_div_zero 0
	.end_amdhsa_kernel
	.section	.text._ZN7rocprim17ROCPRIM_400000_NS6detail17trampoline_kernelINS0_14default_configENS1_27scan_by_key_config_selectorIssEEZZNS1_16scan_by_key_implILNS1_25lookback_scan_determinismE0ELb1ES3_N6thrust23THRUST_200600_302600_NS6detail15normal_iteratorINS9_10device_ptrIsEEEESE_SE_sNS9_4plusIvEENS9_8equal_toIsEEsEE10hipError_tPvRmT2_T3_T4_T5_mT6_T7_P12ihipStream_tbENKUlT_T0_E_clISt17integral_constantIbLb1EESY_IbLb0EEEEDaSU_SV_EUlSU_E_NS1_11comp_targetILNS1_3genE3ELNS1_11target_archE908ELNS1_3gpuE7ELNS1_3repE0EEENS1_30default_config_static_selectorELNS0_4arch9wavefront6targetE1EEEvT1_,"axG",@progbits,_ZN7rocprim17ROCPRIM_400000_NS6detail17trampoline_kernelINS0_14default_configENS1_27scan_by_key_config_selectorIssEEZZNS1_16scan_by_key_implILNS1_25lookback_scan_determinismE0ELb1ES3_N6thrust23THRUST_200600_302600_NS6detail15normal_iteratorINS9_10device_ptrIsEEEESE_SE_sNS9_4plusIvEENS9_8equal_toIsEEsEE10hipError_tPvRmT2_T3_T4_T5_mT6_T7_P12ihipStream_tbENKUlT_T0_E_clISt17integral_constantIbLb1EESY_IbLb0EEEEDaSU_SV_EUlSU_E_NS1_11comp_targetILNS1_3genE3ELNS1_11target_archE908ELNS1_3gpuE7ELNS1_3repE0EEENS1_30default_config_static_selectorELNS0_4arch9wavefront6targetE1EEEvT1_,comdat
.Lfunc_end663:
	.size	_ZN7rocprim17ROCPRIM_400000_NS6detail17trampoline_kernelINS0_14default_configENS1_27scan_by_key_config_selectorIssEEZZNS1_16scan_by_key_implILNS1_25lookback_scan_determinismE0ELb1ES3_N6thrust23THRUST_200600_302600_NS6detail15normal_iteratorINS9_10device_ptrIsEEEESE_SE_sNS9_4plusIvEENS9_8equal_toIsEEsEE10hipError_tPvRmT2_T3_T4_T5_mT6_T7_P12ihipStream_tbENKUlT_T0_E_clISt17integral_constantIbLb1EESY_IbLb0EEEEDaSU_SV_EUlSU_E_NS1_11comp_targetILNS1_3genE3ELNS1_11target_archE908ELNS1_3gpuE7ELNS1_3repE0EEENS1_30default_config_static_selectorELNS0_4arch9wavefront6targetE1EEEvT1_, .Lfunc_end663-_ZN7rocprim17ROCPRIM_400000_NS6detail17trampoline_kernelINS0_14default_configENS1_27scan_by_key_config_selectorIssEEZZNS1_16scan_by_key_implILNS1_25lookback_scan_determinismE0ELb1ES3_N6thrust23THRUST_200600_302600_NS6detail15normal_iteratorINS9_10device_ptrIsEEEESE_SE_sNS9_4plusIvEENS9_8equal_toIsEEsEE10hipError_tPvRmT2_T3_T4_T5_mT6_T7_P12ihipStream_tbENKUlT_T0_E_clISt17integral_constantIbLb1EESY_IbLb0EEEEDaSU_SV_EUlSU_E_NS1_11comp_targetILNS1_3genE3ELNS1_11target_archE908ELNS1_3gpuE7ELNS1_3repE0EEENS1_30default_config_static_selectorELNS0_4arch9wavefront6targetE1EEEvT1_
                                        ; -- End function
	.section	.AMDGPU.csdata,"",@progbits
; Kernel info:
; codeLenInByte = 0
; NumSgprs: 6
; NumVgprs: 0
; NumAgprs: 0
; TotalNumVgprs: 0
; ScratchSize: 0
; MemoryBound: 0
; FloatMode: 240
; IeeeMode: 1
; LDSByteSize: 0 bytes/workgroup (compile time only)
; SGPRBlocks: 0
; VGPRBlocks: 0
; NumSGPRsForWavesPerEU: 6
; NumVGPRsForWavesPerEU: 1
; AccumOffset: 4
; Occupancy: 8
; WaveLimiterHint : 0
; COMPUTE_PGM_RSRC2:SCRATCH_EN: 0
; COMPUTE_PGM_RSRC2:USER_SGPR: 2
; COMPUTE_PGM_RSRC2:TRAP_HANDLER: 0
; COMPUTE_PGM_RSRC2:TGID_X_EN: 1
; COMPUTE_PGM_RSRC2:TGID_Y_EN: 0
; COMPUTE_PGM_RSRC2:TGID_Z_EN: 0
; COMPUTE_PGM_RSRC2:TIDIG_COMP_CNT: 0
; COMPUTE_PGM_RSRC3_GFX90A:ACCUM_OFFSET: 0
; COMPUTE_PGM_RSRC3_GFX90A:TG_SPLIT: 0
	.section	.text._ZN7rocprim17ROCPRIM_400000_NS6detail17trampoline_kernelINS0_14default_configENS1_27scan_by_key_config_selectorIssEEZZNS1_16scan_by_key_implILNS1_25lookback_scan_determinismE0ELb1ES3_N6thrust23THRUST_200600_302600_NS6detail15normal_iteratorINS9_10device_ptrIsEEEESE_SE_sNS9_4plusIvEENS9_8equal_toIsEEsEE10hipError_tPvRmT2_T3_T4_T5_mT6_T7_P12ihipStream_tbENKUlT_T0_E_clISt17integral_constantIbLb1EESY_IbLb0EEEEDaSU_SV_EUlSU_E_NS1_11comp_targetILNS1_3genE2ELNS1_11target_archE906ELNS1_3gpuE6ELNS1_3repE0EEENS1_30default_config_static_selectorELNS0_4arch9wavefront6targetE1EEEvT1_,"axG",@progbits,_ZN7rocprim17ROCPRIM_400000_NS6detail17trampoline_kernelINS0_14default_configENS1_27scan_by_key_config_selectorIssEEZZNS1_16scan_by_key_implILNS1_25lookback_scan_determinismE0ELb1ES3_N6thrust23THRUST_200600_302600_NS6detail15normal_iteratorINS9_10device_ptrIsEEEESE_SE_sNS9_4plusIvEENS9_8equal_toIsEEsEE10hipError_tPvRmT2_T3_T4_T5_mT6_T7_P12ihipStream_tbENKUlT_T0_E_clISt17integral_constantIbLb1EESY_IbLb0EEEEDaSU_SV_EUlSU_E_NS1_11comp_targetILNS1_3genE2ELNS1_11target_archE906ELNS1_3gpuE6ELNS1_3repE0EEENS1_30default_config_static_selectorELNS0_4arch9wavefront6targetE1EEEvT1_,comdat
	.protected	_ZN7rocprim17ROCPRIM_400000_NS6detail17trampoline_kernelINS0_14default_configENS1_27scan_by_key_config_selectorIssEEZZNS1_16scan_by_key_implILNS1_25lookback_scan_determinismE0ELb1ES3_N6thrust23THRUST_200600_302600_NS6detail15normal_iteratorINS9_10device_ptrIsEEEESE_SE_sNS9_4plusIvEENS9_8equal_toIsEEsEE10hipError_tPvRmT2_T3_T4_T5_mT6_T7_P12ihipStream_tbENKUlT_T0_E_clISt17integral_constantIbLb1EESY_IbLb0EEEEDaSU_SV_EUlSU_E_NS1_11comp_targetILNS1_3genE2ELNS1_11target_archE906ELNS1_3gpuE6ELNS1_3repE0EEENS1_30default_config_static_selectorELNS0_4arch9wavefront6targetE1EEEvT1_ ; -- Begin function _ZN7rocprim17ROCPRIM_400000_NS6detail17trampoline_kernelINS0_14default_configENS1_27scan_by_key_config_selectorIssEEZZNS1_16scan_by_key_implILNS1_25lookback_scan_determinismE0ELb1ES3_N6thrust23THRUST_200600_302600_NS6detail15normal_iteratorINS9_10device_ptrIsEEEESE_SE_sNS9_4plusIvEENS9_8equal_toIsEEsEE10hipError_tPvRmT2_T3_T4_T5_mT6_T7_P12ihipStream_tbENKUlT_T0_E_clISt17integral_constantIbLb1EESY_IbLb0EEEEDaSU_SV_EUlSU_E_NS1_11comp_targetILNS1_3genE2ELNS1_11target_archE906ELNS1_3gpuE6ELNS1_3repE0EEENS1_30default_config_static_selectorELNS0_4arch9wavefront6targetE1EEEvT1_
	.globl	_ZN7rocprim17ROCPRIM_400000_NS6detail17trampoline_kernelINS0_14default_configENS1_27scan_by_key_config_selectorIssEEZZNS1_16scan_by_key_implILNS1_25lookback_scan_determinismE0ELb1ES3_N6thrust23THRUST_200600_302600_NS6detail15normal_iteratorINS9_10device_ptrIsEEEESE_SE_sNS9_4plusIvEENS9_8equal_toIsEEsEE10hipError_tPvRmT2_T3_T4_T5_mT6_T7_P12ihipStream_tbENKUlT_T0_E_clISt17integral_constantIbLb1EESY_IbLb0EEEEDaSU_SV_EUlSU_E_NS1_11comp_targetILNS1_3genE2ELNS1_11target_archE906ELNS1_3gpuE6ELNS1_3repE0EEENS1_30default_config_static_selectorELNS0_4arch9wavefront6targetE1EEEvT1_
	.p2align	8
	.type	_ZN7rocprim17ROCPRIM_400000_NS6detail17trampoline_kernelINS0_14default_configENS1_27scan_by_key_config_selectorIssEEZZNS1_16scan_by_key_implILNS1_25lookback_scan_determinismE0ELb1ES3_N6thrust23THRUST_200600_302600_NS6detail15normal_iteratorINS9_10device_ptrIsEEEESE_SE_sNS9_4plusIvEENS9_8equal_toIsEEsEE10hipError_tPvRmT2_T3_T4_T5_mT6_T7_P12ihipStream_tbENKUlT_T0_E_clISt17integral_constantIbLb1EESY_IbLb0EEEEDaSU_SV_EUlSU_E_NS1_11comp_targetILNS1_3genE2ELNS1_11target_archE906ELNS1_3gpuE6ELNS1_3repE0EEENS1_30default_config_static_selectorELNS0_4arch9wavefront6targetE1EEEvT1_,@function
_ZN7rocprim17ROCPRIM_400000_NS6detail17trampoline_kernelINS0_14default_configENS1_27scan_by_key_config_selectorIssEEZZNS1_16scan_by_key_implILNS1_25lookback_scan_determinismE0ELb1ES3_N6thrust23THRUST_200600_302600_NS6detail15normal_iteratorINS9_10device_ptrIsEEEESE_SE_sNS9_4plusIvEENS9_8equal_toIsEEsEE10hipError_tPvRmT2_T3_T4_T5_mT6_T7_P12ihipStream_tbENKUlT_T0_E_clISt17integral_constantIbLb1EESY_IbLb0EEEEDaSU_SV_EUlSU_E_NS1_11comp_targetILNS1_3genE2ELNS1_11target_archE906ELNS1_3gpuE6ELNS1_3repE0EEENS1_30default_config_static_selectorELNS0_4arch9wavefront6targetE1EEEvT1_: ; @_ZN7rocprim17ROCPRIM_400000_NS6detail17trampoline_kernelINS0_14default_configENS1_27scan_by_key_config_selectorIssEEZZNS1_16scan_by_key_implILNS1_25lookback_scan_determinismE0ELb1ES3_N6thrust23THRUST_200600_302600_NS6detail15normal_iteratorINS9_10device_ptrIsEEEESE_SE_sNS9_4plusIvEENS9_8equal_toIsEEsEE10hipError_tPvRmT2_T3_T4_T5_mT6_T7_P12ihipStream_tbENKUlT_T0_E_clISt17integral_constantIbLb1EESY_IbLb0EEEEDaSU_SV_EUlSU_E_NS1_11comp_targetILNS1_3genE2ELNS1_11target_archE906ELNS1_3gpuE6ELNS1_3repE0EEENS1_30default_config_static_selectorELNS0_4arch9wavefront6targetE1EEEvT1_
; %bb.0:
	.section	.rodata,"a",@progbits
	.p2align	6, 0x0
	.amdhsa_kernel _ZN7rocprim17ROCPRIM_400000_NS6detail17trampoline_kernelINS0_14default_configENS1_27scan_by_key_config_selectorIssEEZZNS1_16scan_by_key_implILNS1_25lookback_scan_determinismE0ELb1ES3_N6thrust23THRUST_200600_302600_NS6detail15normal_iteratorINS9_10device_ptrIsEEEESE_SE_sNS9_4plusIvEENS9_8equal_toIsEEsEE10hipError_tPvRmT2_T3_T4_T5_mT6_T7_P12ihipStream_tbENKUlT_T0_E_clISt17integral_constantIbLb1EESY_IbLb0EEEEDaSU_SV_EUlSU_E_NS1_11comp_targetILNS1_3genE2ELNS1_11target_archE906ELNS1_3gpuE6ELNS1_3repE0EEENS1_30default_config_static_selectorELNS0_4arch9wavefront6targetE1EEEvT1_
		.amdhsa_group_segment_fixed_size 0
		.amdhsa_private_segment_fixed_size 0
		.amdhsa_kernarg_size 112
		.amdhsa_user_sgpr_count 2
		.amdhsa_user_sgpr_dispatch_ptr 0
		.amdhsa_user_sgpr_queue_ptr 0
		.amdhsa_user_sgpr_kernarg_segment_ptr 1
		.amdhsa_user_sgpr_dispatch_id 0
		.amdhsa_user_sgpr_kernarg_preload_length 0
		.amdhsa_user_sgpr_kernarg_preload_offset 0
		.amdhsa_user_sgpr_private_segment_size 0
		.amdhsa_uses_dynamic_stack 0
		.amdhsa_enable_private_segment 0
		.amdhsa_system_sgpr_workgroup_id_x 1
		.amdhsa_system_sgpr_workgroup_id_y 0
		.amdhsa_system_sgpr_workgroup_id_z 0
		.amdhsa_system_sgpr_workgroup_info 0
		.amdhsa_system_vgpr_workitem_id 0
		.amdhsa_next_free_vgpr 1
		.amdhsa_next_free_sgpr 0
		.amdhsa_accum_offset 4
		.amdhsa_reserve_vcc 0
		.amdhsa_float_round_mode_32 0
		.amdhsa_float_round_mode_16_64 0
		.amdhsa_float_denorm_mode_32 3
		.amdhsa_float_denorm_mode_16_64 3
		.amdhsa_dx10_clamp 1
		.amdhsa_ieee_mode 1
		.amdhsa_fp16_overflow 0
		.amdhsa_tg_split 0
		.amdhsa_exception_fp_ieee_invalid_op 0
		.amdhsa_exception_fp_denorm_src 0
		.amdhsa_exception_fp_ieee_div_zero 0
		.amdhsa_exception_fp_ieee_overflow 0
		.amdhsa_exception_fp_ieee_underflow 0
		.amdhsa_exception_fp_ieee_inexact 0
		.amdhsa_exception_int_div_zero 0
	.end_amdhsa_kernel
	.section	.text._ZN7rocprim17ROCPRIM_400000_NS6detail17trampoline_kernelINS0_14default_configENS1_27scan_by_key_config_selectorIssEEZZNS1_16scan_by_key_implILNS1_25lookback_scan_determinismE0ELb1ES3_N6thrust23THRUST_200600_302600_NS6detail15normal_iteratorINS9_10device_ptrIsEEEESE_SE_sNS9_4plusIvEENS9_8equal_toIsEEsEE10hipError_tPvRmT2_T3_T4_T5_mT6_T7_P12ihipStream_tbENKUlT_T0_E_clISt17integral_constantIbLb1EESY_IbLb0EEEEDaSU_SV_EUlSU_E_NS1_11comp_targetILNS1_3genE2ELNS1_11target_archE906ELNS1_3gpuE6ELNS1_3repE0EEENS1_30default_config_static_selectorELNS0_4arch9wavefront6targetE1EEEvT1_,"axG",@progbits,_ZN7rocprim17ROCPRIM_400000_NS6detail17trampoline_kernelINS0_14default_configENS1_27scan_by_key_config_selectorIssEEZZNS1_16scan_by_key_implILNS1_25lookback_scan_determinismE0ELb1ES3_N6thrust23THRUST_200600_302600_NS6detail15normal_iteratorINS9_10device_ptrIsEEEESE_SE_sNS9_4plusIvEENS9_8equal_toIsEEsEE10hipError_tPvRmT2_T3_T4_T5_mT6_T7_P12ihipStream_tbENKUlT_T0_E_clISt17integral_constantIbLb1EESY_IbLb0EEEEDaSU_SV_EUlSU_E_NS1_11comp_targetILNS1_3genE2ELNS1_11target_archE906ELNS1_3gpuE6ELNS1_3repE0EEENS1_30default_config_static_selectorELNS0_4arch9wavefront6targetE1EEEvT1_,comdat
.Lfunc_end664:
	.size	_ZN7rocprim17ROCPRIM_400000_NS6detail17trampoline_kernelINS0_14default_configENS1_27scan_by_key_config_selectorIssEEZZNS1_16scan_by_key_implILNS1_25lookback_scan_determinismE0ELb1ES3_N6thrust23THRUST_200600_302600_NS6detail15normal_iteratorINS9_10device_ptrIsEEEESE_SE_sNS9_4plusIvEENS9_8equal_toIsEEsEE10hipError_tPvRmT2_T3_T4_T5_mT6_T7_P12ihipStream_tbENKUlT_T0_E_clISt17integral_constantIbLb1EESY_IbLb0EEEEDaSU_SV_EUlSU_E_NS1_11comp_targetILNS1_3genE2ELNS1_11target_archE906ELNS1_3gpuE6ELNS1_3repE0EEENS1_30default_config_static_selectorELNS0_4arch9wavefront6targetE1EEEvT1_, .Lfunc_end664-_ZN7rocprim17ROCPRIM_400000_NS6detail17trampoline_kernelINS0_14default_configENS1_27scan_by_key_config_selectorIssEEZZNS1_16scan_by_key_implILNS1_25lookback_scan_determinismE0ELb1ES3_N6thrust23THRUST_200600_302600_NS6detail15normal_iteratorINS9_10device_ptrIsEEEESE_SE_sNS9_4plusIvEENS9_8equal_toIsEEsEE10hipError_tPvRmT2_T3_T4_T5_mT6_T7_P12ihipStream_tbENKUlT_T0_E_clISt17integral_constantIbLb1EESY_IbLb0EEEEDaSU_SV_EUlSU_E_NS1_11comp_targetILNS1_3genE2ELNS1_11target_archE906ELNS1_3gpuE6ELNS1_3repE0EEENS1_30default_config_static_selectorELNS0_4arch9wavefront6targetE1EEEvT1_
                                        ; -- End function
	.section	.AMDGPU.csdata,"",@progbits
; Kernel info:
; codeLenInByte = 0
; NumSgprs: 6
; NumVgprs: 0
; NumAgprs: 0
; TotalNumVgprs: 0
; ScratchSize: 0
; MemoryBound: 0
; FloatMode: 240
; IeeeMode: 1
; LDSByteSize: 0 bytes/workgroup (compile time only)
; SGPRBlocks: 0
; VGPRBlocks: 0
; NumSGPRsForWavesPerEU: 6
; NumVGPRsForWavesPerEU: 1
; AccumOffset: 4
; Occupancy: 8
; WaveLimiterHint : 0
; COMPUTE_PGM_RSRC2:SCRATCH_EN: 0
; COMPUTE_PGM_RSRC2:USER_SGPR: 2
; COMPUTE_PGM_RSRC2:TRAP_HANDLER: 0
; COMPUTE_PGM_RSRC2:TGID_X_EN: 1
; COMPUTE_PGM_RSRC2:TGID_Y_EN: 0
; COMPUTE_PGM_RSRC2:TGID_Z_EN: 0
; COMPUTE_PGM_RSRC2:TIDIG_COMP_CNT: 0
; COMPUTE_PGM_RSRC3_GFX90A:ACCUM_OFFSET: 0
; COMPUTE_PGM_RSRC3_GFX90A:TG_SPLIT: 0
	.section	.text._ZN7rocprim17ROCPRIM_400000_NS6detail17trampoline_kernelINS0_14default_configENS1_27scan_by_key_config_selectorIssEEZZNS1_16scan_by_key_implILNS1_25lookback_scan_determinismE0ELb1ES3_N6thrust23THRUST_200600_302600_NS6detail15normal_iteratorINS9_10device_ptrIsEEEESE_SE_sNS9_4plusIvEENS9_8equal_toIsEEsEE10hipError_tPvRmT2_T3_T4_T5_mT6_T7_P12ihipStream_tbENKUlT_T0_E_clISt17integral_constantIbLb1EESY_IbLb0EEEEDaSU_SV_EUlSU_E_NS1_11comp_targetILNS1_3genE10ELNS1_11target_archE1200ELNS1_3gpuE4ELNS1_3repE0EEENS1_30default_config_static_selectorELNS0_4arch9wavefront6targetE1EEEvT1_,"axG",@progbits,_ZN7rocprim17ROCPRIM_400000_NS6detail17trampoline_kernelINS0_14default_configENS1_27scan_by_key_config_selectorIssEEZZNS1_16scan_by_key_implILNS1_25lookback_scan_determinismE0ELb1ES3_N6thrust23THRUST_200600_302600_NS6detail15normal_iteratorINS9_10device_ptrIsEEEESE_SE_sNS9_4plusIvEENS9_8equal_toIsEEsEE10hipError_tPvRmT2_T3_T4_T5_mT6_T7_P12ihipStream_tbENKUlT_T0_E_clISt17integral_constantIbLb1EESY_IbLb0EEEEDaSU_SV_EUlSU_E_NS1_11comp_targetILNS1_3genE10ELNS1_11target_archE1200ELNS1_3gpuE4ELNS1_3repE0EEENS1_30default_config_static_selectorELNS0_4arch9wavefront6targetE1EEEvT1_,comdat
	.protected	_ZN7rocprim17ROCPRIM_400000_NS6detail17trampoline_kernelINS0_14default_configENS1_27scan_by_key_config_selectorIssEEZZNS1_16scan_by_key_implILNS1_25lookback_scan_determinismE0ELb1ES3_N6thrust23THRUST_200600_302600_NS6detail15normal_iteratorINS9_10device_ptrIsEEEESE_SE_sNS9_4plusIvEENS9_8equal_toIsEEsEE10hipError_tPvRmT2_T3_T4_T5_mT6_T7_P12ihipStream_tbENKUlT_T0_E_clISt17integral_constantIbLb1EESY_IbLb0EEEEDaSU_SV_EUlSU_E_NS1_11comp_targetILNS1_3genE10ELNS1_11target_archE1200ELNS1_3gpuE4ELNS1_3repE0EEENS1_30default_config_static_selectorELNS0_4arch9wavefront6targetE1EEEvT1_ ; -- Begin function _ZN7rocprim17ROCPRIM_400000_NS6detail17trampoline_kernelINS0_14default_configENS1_27scan_by_key_config_selectorIssEEZZNS1_16scan_by_key_implILNS1_25lookback_scan_determinismE0ELb1ES3_N6thrust23THRUST_200600_302600_NS6detail15normal_iteratorINS9_10device_ptrIsEEEESE_SE_sNS9_4plusIvEENS9_8equal_toIsEEsEE10hipError_tPvRmT2_T3_T4_T5_mT6_T7_P12ihipStream_tbENKUlT_T0_E_clISt17integral_constantIbLb1EESY_IbLb0EEEEDaSU_SV_EUlSU_E_NS1_11comp_targetILNS1_3genE10ELNS1_11target_archE1200ELNS1_3gpuE4ELNS1_3repE0EEENS1_30default_config_static_selectorELNS0_4arch9wavefront6targetE1EEEvT1_
	.globl	_ZN7rocprim17ROCPRIM_400000_NS6detail17trampoline_kernelINS0_14default_configENS1_27scan_by_key_config_selectorIssEEZZNS1_16scan_by_key_implILNS1_25lookback_scan_determinismE0ELb1ES3_N6thrust23THRUST_200600_302600_NS6detail15normal_iteratorINS9_10device_ptrIsEEEESE_SE_sNS9_4plusIvEENS9_8equal_toIsEEsEE10hipError_tPvRmT2_T3_T4_T5_mT6_T7_P12ihipStream_tbENKUlT_T0_E_clISt17integral_constantIbLb1EESY_IbLb0EEEEDaSU_SV_EUlSU_E_NS1_11comp_targetILNS1_3genE10ELNS1_11target_archE1200ELNS1_3gpuE4ELNS1_3repE0EEENS1_30default_config_static_selectorELNS0_4arch9wavefront6targetE1EEEvT1_
	.p2align	8
	.type	_ZN7rocprim17ROCPRIM_400000_NS6detail17trampoline_kernelINS0_14default_configENS1_27scan_by_key_config_selectorIssEEZZNS1_16scan_by_key_implILNS1_25lookback_scan_determinismE0ELb1ES3_N6thrust23THRUST_200600_302600_NS6detail15normal_iteratorINS9_10device_ptrIsEEEESE_SE_sNS9_4plusIvEENS9_8equal_toIsEEsEE10hipError_tPvRmT2_T3_T4_T5_mT6_T7_P12ihipStream_tbENKUlT_T0_E_clISt17integral_constantIbLb1EESY_IbLb0EEEEDaSU_SV_EUlSU_E_NS1_11comp_targetILNS1_3genE10ELNS1_11target_archE1200ELNS1_3gpuE4ELNS1_3repE0EEENS1_30default_config_static_selectorELNS0_4arch9wavefront6targetE1EEEvT1_,@function
_ZN7rocprim17ROCPRIM_400000_NS6detail17trampoline_kernelINS0_14default_configENS1_27scan_by_key_config_selectorIssEEZZNS1_16scan_by_key_implILNS1_25lookback_scan_determinismE0ELb1ES3_N6thrust23THRUST_200600_302600_NS6detail15normal_iteratorINS9_10device_ptrIsEEEESE_SE_sNS9_4plusIvEENS9_8equal_toIsEEsEE10hipError_tPvRmT2_T3_T4_T5_mT6_T7_P12ihipStream_tbENKUlT_T0_E_clISt17integral_constantIbLb1EESY_IbLb0EEEEDaSU_SV_EUlSU_E_NS1_11comp_targetILNS1_3genE10ELNS1_11target_archE1200ELNS1_3gpuE4ELNS1_3repE0EEENS1_30default_config_static_selectorELNS0_4arch9wavefront6targetE1EEEvT1_: ; @_ZN7rocprim17ROCPRIM_400000_NS6detail17trampoline_kernelINS0_14default_configENS1_27scan_by_key_config_selectorIssEEZZNS1_16scan_by_key_implILNS1_25lookback_scan_determinismE0ELb1ES3_N6thrust23THRUST_200600_302600_NS6detail15normal_iteratorINS9_10device_ptrIsEEEESE_SE_sNS9_4plusIvEENS9_8equal_toIsEEsEE10hipError_tPvRmT2_T3_T4_T5_mT6_T7_P12ihipStream_tbENKUlT_T0_E_clISt17integral_constantIbLb1EESY_IbLb0EEEEDaSU_SV_EUlSU_E_NS1_11comp_targetILNS1_3genE10ELNS1_11target_archE1200ELNS1_3gpuE4ELNS1_3repE0EEENS1_30default_config_static_selectorELNS0_4arch9wavefront6targetE1EEEvT1_
; %bb.0:
	.section	.rodata,"a",@progbits
	.p2align	6, 0x0
	.amdhsa_kernel _ZN7rocprim17ROCPRIM_400000_NS6detail17trampoline_kernelINS0_14default_configENS1_27scan_by_key_config_selectorIssEEZZNS1_16scan_by_key_implILNS1_25lookback_scan_determinismE0ELb1ES3_N6thrust23THRUST_200600_302600_NS6detail15normal_iteratorINS9_10device_ptrIsEEEESE_SE_sNS9_4plusIvEENS9_8equal_toIsEEsEE10hipError_tPvRmT2_T3_T4_T5_mT6_T7_P12ihipStream_tbENKUlT_T0_E_clISt17integral_constantIbLb1EESY_IbLb0EEEEDaSU_SV_EUlSU_E_NS1_11comp_targetILNS1_3genE10ELNS1_11target_archE1200ELNS1_3gpuE4ELNS1_3repE0EEENS1_30default_config_static_selectorELNS0_4arch9wavefront6targetE1EEEvT1_
		.amdhsa_group_segment_fixed_size 0
		.amdhsa_private_segment_fixed_size 0
		.amdhsa_kernarg_size 112
		.amdhsa_user_sgpr_count 2
		.amdhsa_user_sgpr_dispatch_ptr 0
		.amdhsa_user_sgpr_queue_ptr 0
		.amdhsa_user_sgpr_kernarg_segment_ptr 1
		.amdhsa_user_sgpr_dispatch_id 0
		.amdhsa_user_sgpr_kernarg_preload_length 0
		.amdhsa_user_sgpr_kernarg_preload_offset 0
		.amdhsa_user_sgpr_private_segment_size 0
		.amdhsa_uses_dynamic_stack 0
		.amdhsa_enable_private_segment 0
		.amdhsa_system_sgpr_workgroup_id_x 1
		.amdhsa_system_sgpr_workgroup_id_y 0
		.amdhsa_system_sgpr_workgroup_id_z 0
		.amdhsa_system_sgpr_workgroup_info 0
		.amdhsa_system_vgpr_workitem_id 0
		.amdhsa_next_free_vgpr 1
		.amdhsa_next_free_sgpr 0
		.amdhsa_accum_offset 4
		.amdhsa_reserve_vcc 0
		.amdhsa_float_round_mode_32 0
		.amdhsa_float_round_mode_16_64 0
		.amdhsa_float_denorm_mode_32 3
		.amdhsa_float_denorm_mode_16_64 3
		.amdhsa_dx10_clamp 1
		.amdhsa_ieee_mode 1
		.amdhsa_fp16_overflow 0
		.amdhsa_tg_split 0
		.amdhsa_exception_fp_ieee_invalid_op 0
		.amdhsa_exception_fp_denorm_src 0
		.amdhsa_exception_fp_ieee_div_zero 0
		.amdhsa_exception_fp_ieee_overflow 0
		.amdhsa_exception_fp_ieee_underflow 0
		.amdhsa_exception_fp_ieee_inexact 0
		.amdhsa_exception_int_div_zero 0
	.end_amdhsa_kernel
	.section	.text._ZN7rocprim17ROCPRIM_400000_NS6detail17trampoline_kernelINS0_14default_configENS1_27scan_by_key_config_selectorIssEEZZNS1_16scan_by_key_implILNS1_25lookback_scan_determinismE0ELb1ES3_N6thrust23THRUST_200600_302600_NS6detail15normal_iteratorINS9_10device_ptrIsEEEESE_SE_sNS9_4plusIvEENS9_8equal_toIsEEsEE10hipError_tPvRmT2_T3_T4_T5_mT6_T7_P12ihipStream_tbENKUlT_T0_E_clISt17integral_constantIbLb1EESY_IbLb0EEEEDaSU_SV_EUlSU_E_NS1_11comp_targetILNS1_3genE10ELNS1_11target_archE1200ELNS1_3gpuE4ELNS1_3repE0EEENS1_30default_config_static_selectorELNS0_4arch9wavefront6targetE1EEEvT1_,"axG",@progbits,_ZN7rocprim17ROCPRIM_400000_NS6detail17trampoline_kernelINS0_14default_configENS1_27scan_by_key_config_selectorIssEEZZNS1_16scan_by_key_implILNS1_25lookback_scan_determinismE0ELb1ES3_N6thrust23THRUST_200600_302600_NS6detail15normal_iteratorINS9_10device_ptrIsEEEESE_SE_sNS9_4plusIvEENS9_8equal_toIsEEsEE10hipError_tPvRmT2_T3_T4_T5_mT6_T7_P12ihipStream_tbENKUlT_T0_E_clISt17integral_constantIbLb1EESY_IbLb0EEEEDaSU_SV_EUlSU_E_NS1_11comp_targetILNS1_3genE10ELNS1_11target_archE1200ELNS1_3gpuE4ELNS1_3repE0EEENS1_30default_config_static_selectorELNS0_4arch9wavefront6targetE1EEEvT1_,comdat
.Lfunc_end665:
	.size	_ZN7rocprim17ROCPRIM_400000_NS6detail17trampoline_kernelINS0_14default_configENS1_27scan_by_key_config_selectorIssEEZZNS1_16scan_by_key_implILNS1_25lookback_scan_determinismE0ELb1ES3_N6thrust23THRUST_200600_302600_NS6detail15normal_iteratorINS9_10device_ptrIsEEEESE_SE_sNS9_4plusIvEENS9_8equal_toIsEEsEE10hipError_tPvRmT2_T3_T4_T5_mT6_T7_P12ihipStream_tbENKUlT_T0_E_clISt17integral_constantIbLb1EESY_IbLb0EEEEDaSU_SV_EUlSU_E_NS1_11comp_targetILNS1_3genE10ELNS1_11target_archE1200ELNS1_3gpuE4ELNS1_3repE0EEENS1_30default_config_static_selectorELNS0_4arch9wavefront6targetE1EEEvT1_, .Lfunc_end665-_ZN7rocprim17ROCPRIM_400000_NS6detail17trampoline_kernelINS0_14default_configENS1_27scan_by_key_config_selectorIssEEZZNS1_16scan_by_key_implILNS1_25lookback_scan_determinismE0ELb1ES3_N6thrust23THRUST_200600_302600_NS6detail15normal_iteratorINS9_10device_ptrIsEEEESE_SE_sNS9_4plusIvEENS9_8equal_toIsEEsEE10hipError_tPvRmT2_T3_T4_T5_mT6_T7_P12ihipStream_tbENKUlT_T0_E_clISt17integral_constantIbLb1EESY_IbLb0EEEEDaSU_SV_EUlSU_E_NS1_11comp_targetILNS1_3genE10ELNS1_11target_archE1200ELNS1_3gpuE4ELNS1_3repE0EEENS1_30default_config_static_selectorELNS0_4arch9wavefront6targetE1EEEvT1_
                                        ; -- End function
	.section	.AMDGPU.csdata,"",@progbits
; Kernel info:
; codeLenInByte = 0
; NumSgprs: 6
; NumVgprs: 0
; NumAgprs: 0
; TotalNumVgprs: 0
; ScratchSize: 0
; MemoryBound: 0
; FloatMode: 240
; IeeeMode: 1
; LDSByteSize: 0 bytes/workgroup (compile time only)
; SGPRBlocks: 0
; VGPRBlocks: 0
; NumSGPRsForWavesPerEU: 6
; NumVGPRsForWavesPerEU: 1
; AccumOffset: 4
; Occupancy: 8
; WaveLimiterHint : 0
; COMPUTE_PGM_RSRC2:SCRATCH_EN: 0
; COMPUTE_PGM_RSRC2:USER_SGPR: 2
; COMPUTE_PGM_RSRC2:TRAP_HANDLER: 0
; COMPUTE_PGM_RSRC2:TGID_X_EN: 1
; COMPUTE_PGM_RSRC2:TGID_Y_EN: 0
; COMPUTE_PGM_RSRC2:TGID_Z_EN: 0
; COMPUTE_PGM_RSRC2:TIDIG_COMP_CNT: 0
; COMPUTE_PGM_RSRC3_GFX90A:ACCUM_OFFSET: 0
; COMPUTE_PGM_RSRC3_GFX90A:TG_SPLIT: 0
	.section	.text._ZN7rocprim17ROCPRIM_400000_NS6detail17trampoline_kernelINS0_14default_configENS1_27scan_by_key_config_selectorIssEEZZNS1_16scan_by_key_implILNS1_25lookback_scan_determinismE0ELb1ES3_N6thrust23THRUST_200600_302600_NS6detail15normal_iteratorINS9_10device_ptrIsEEEESE_SE_sNS9_4plusIvEENS9_8equal_toIsEEsEE10hipError_tPvRmT2_T3_T4_T5_mT6_T7_P12ihipStream_tbENKUlT_T0_E_clISt17integral_constantIbLb1EESY_IbLb0EEEEDaSU_SV_EUlSU_E_NS1_11comp_targetILNS1_3genE9ELNS1_11target_archE1100ELNS1_3gpuE3ELNS1_3repE0EEENS1_30default_config_static_selectorELNS0_4arch9wavefront6targetE1EEEvT1_,"axG",@progbits,_ZN7rocprim17ROCPRIM_400000_NS6detail17trampoline_kernelINS0_14default_configENS1_27scan_by_key_config_selectorIssEEZZNS1_16scan_by_key_implILNS1_25lookback_scan_determinismE0ELb1ES3_N6thrust23THRUST_200600_302600_NS6detail15normal_iteratorINS9_10device_ptrIsEEEESE_SE_sNS9_4plusIvEENS9_8equal_toIsEEsEE10hipError_tPvRmT2_T3_T4_T5_mT6_T7_P12ihipStream_tbENKUlT_T0_E_clISt17integral_constantIbLb1EESY_IbLb0EEEEDaSU_SV_EUlSU_E_NS1_11comp_targetILNS1_3genE9ELNS1_11target_archE1100ELNS1_3gpuE3ELNS1_3repE0EEENS1_30default_config_static_selectorELNS0_4arch9wavefront6targetE1EEEvT1_,comdat
	.protected	_ZN7rocprim17ROCPRIM_400000_NS6detail17trampoline_kernelINS0_14default_configENS1_27scan_by_key_config_selectorIssEEZZNS1_16scan_by_key_implILNS1_25lookback_scan_determinismE0ELb1ES3_N6thrust23THRUST_200600_302600_NS6detail15normal_iteratorINS9_10device_ptrIsEEEESE_SE_sNS9_4plusIvEENS9_8equal_toIsEEsEE10hipError_tPvRmT2_T3_T4_T5_mT6_T7_P12ihipStream_tbENKUlT_T0_E_clISt17integral_constantIbLb1EESY_IbLb0EEEEDaSU_SV_EUlSU_E_NS1_11comp_targetILNS1_3genE9ELNS1_11target_archE1100ELNS1_3gpuE3ELNS1_3repE0EEENS1_30default_config_static_selectorELNS0_4arch9wavefront6targetE1EEEvT1_ ; -- Begin function _ZN7rocprim17ROCPRIM_400000_NS6detail17trampoline_kernelINS0_14default_configENS1_27scan_by_key_config_selectorIssEEZZNS1_16scan_by_key_implILNS1_25lookback_scan_determinismE0ELb1ES3_N6thrust23THRUST_200600_302600_NS6detail15normal_iteratorINS9_10device_ptrIsEEEESE_SE_sNS9_4plusIvEENS9_8equal_toIsEEsEE10hipError_tPvRmT2_T3_T4_T5_mT6_T7_P12ihipStream_tbENKUlT_T0_E_clISt17integral_constantIbLb1EESY_IbLb0EEEEDaSU_SV_EUlSU_E_NS1_11comp_targetILNS1_3genE9ELNS1_11target_archE1100ELNS1_3gpuE3ELNS1_3repE0EEENS1_30default_config_static_selectorELNS0_4arch9wavefront6targetE1EEEvT1_
	.globl	_ZN7rocprim17ROCPRIM_400000_NS6detail17trampoline_kernelINS0_14default_configENS1_27scan_by_key_config_selectorIssEEZZNS1_16scan_by_key_implILNS1_25lookback_scan_determinismE0ELb1ES3_N6thrust23THRUST_200600_302600_NS6detail15normal_iteratorINS9_10device_ptrIsEEEESE_SE_sNS9_4plusIvEENS9_8equal_toIsEEsEE10hipError_tPvRmT2_T3_T4_T5_mT6_T7_P12ihipStream_tbENKUlT_T0_E_clISt17integral_constantIbLb1EESY_IbLb0EEEEDaSU_SV_EUlSU_E_NS1_11comp_targetILNS1_3genE9ELNS1_11target_archE1100ELNS1_3gpuE3ELNS1_3repE0EEENS1_30default_config_static_selectorELNS0_4arch9wavefront6targetE1EEEvT1_
	.p2align	8
	.type	_ZN7rocprim17ROCPRIM_400000_NS6detail17trampoline_kernelINS0_14default_configENS1_27scan_by_key_config_selectorIssEEZZNS1_16scan_by_key_implILNS1_25lookback_scan_determinismE0ELb1ES3_N6thrust23THRUST_200600_302600_NS6detail15normal_iteratorINS9_10device_ptrIsEEEESE_SE_sNS9_4plusIvEENS9_8equal_toIsEEsEE10hipError_tPvRmT2_T3_T4_T5_mT6_T7_P12ihipStream_tbENKUlT_T0_E_clISt17integral_constantIbLb1EESY_IbLb0EEEEDaSU_SV_EUlSU_E_NS1_11comp_targetILNS1_3genE9ELNS1_11target_archE1100ELNS1_3gpuE3ELNS1_3repE0EEENS1_30default_config_static_selectorELNS0_4arch9wavefront6targetE1EEEvT1_,@function
_ZN7rocprim17ROCPRIM_400000_NS6detail17trampoline_kernelINS0_14default_configENS1_27scan_by_key_config_selectorIssEEZZNS1_16scan_by_key_implILNS1_25lookback_scan_determinismE0ELb1ES3_N6thrust23THRUST_200600_302600_NS6detail15normal_iteratorINS9_10device_ptrIsEEEESE_SE_sNS9_4plusIvEENS9_8equal_toIsEEsEE10hipError_tPvRmT2_T3_T4_T5_mT6_T7_P12ihipStream_tbENKUlT_T0_E_clISt17integral_constantIbLb1EESY_IbLb0EEEEDaSU_SV_EUlSU_E_NS1_11comp_targetILNS1_3genE9ELNS1_11target_archE1100ELNS1_3gpuE3ELNS1_3repE0EEENS1_30default_config_static_selectorELNS0_4arch9wavefront6targetE1EEEvT1_: ; @_ZN7rocprim17ROCPRIM_400000_NS6detail17trampoline_kernelINS0_14default_configENS1_27scan_by_key_config_selectorIssEEZZNS1_16scan_by_key_implILNS1_25lookback_scan_determinismE0ELb1ES3_N6thrust23THRUST_200600_302600_NS6detail15normal_iteratorINS9_10device_ptrIsEEEESE_SE_sNS9_4plusIvEENS9_8equal_toIsEEsEE10hipError_tPvRmT2_T3_T4_T5_mT6_T7_P12ihipStream_tbENKUlT_T0_E_clISt17integral_constantIbLb1EESY_IbLb0EEEEDaSU_SV_EUlSU_E_NS1_11comp_targetILNS1_3genE9ELNS1_11target_archE1100ELNS1_3gpuE3ELNS1_3repE0EEENS1_30default_config_static_selectorELNS0_4arch9wavefront6targetE1EEEvT1_
; %bb.0:
	.section	.rodata,"a",@progbits
	.p2align	6, 0x0
	.amdhsa_kernel _ZN7rocprim17ROCPRIM_400000_NS6detail17trampoline_kernelINS0_14default_configENS1_27scan_by_key_config_selectorIssEEZZNS1_16scan_by_key_implILNS1_25lookback_scan_determinismE0ELb1ES3_N6thrust23THRUST_200600_302600_NS6detail15normal_iteratorINS9_10device_ptrIsEEEESE_SE_sNS9_4plusIvEENS9_8equal_toIsEEsEE10hipError_tPvRmT2_T3_T4_T5_mT6_T7_P12ihipStream_tbENKUlT_T0_E_clISt17integral_constantIbLb1EESY_IbLb0EEEEDaSU_SV_EUlSU_E_NS1_11comp_targetILNS1_3genE9ELNS1_11target_archE1100ELNS1_3gpuE3ELNS1_3repE0EEENS1_30default_config_static_selectorELNS0_4arch9wavefront6targetE1EEEvT1_
		.amdhsa_group_segment_fixed_size 0
		.amdhsa_private_segment_fixed_size 0
		.amdhsa_kernarg_size 112
		.amdhsa_user_sgpr_count 2
		.amdhsa_user_sgpr_dispatch_ptr 0
		.amdhsa_user_sgpr_queue_ptr 0
		.amdhsa_user_sgpr_kernarg_segment_ptr 1
		.amdhsa_user_sgpr_dispatch_id 0
		.amdhsa_user_sgpr_kernarg_preload_length 0
		.amdhsa_user_sgpr_kernarg_preload_offset 0
		.amdhsa_user_sgpr_private_segment_size 0
		.amdhsa_uses_dynamic_stack 0
		.amdhsa_enable_private_segment 0
		.amdhsa_system_sgpr_workgroup_id_x 1
		.amdhsa_system_sgpr_workgroup_id_y 0
		.amdhsa_system_sgpr_workgroup_id_z 0
		.amdhsa_system_sgpr_workgroup_info 0
		.amdhsa_system_vgpr_workitem_id 0
		.amdhsa_next_free_vgpr 1
		.amdhsa_next_free_sgpr 0
		.amdhsa_accum_offset 4
		.amdhsa_reserve_vcc 0
		.amdhsa_float_round_mode_32 0
		.amdhsa_float_round_mode_16_64 0
		.amdhsa_float_denorm_mode_32 3
		.amdhsa_float_denorm_mode_16_64 3
		.amdhsa_dx10_clamp 1
		.amdhsa_ieee_mode 1
		.amdhsa_fp16_overflow 0
		.amdhsa_tg_split 0
		.amdhsa_exception_fp_ieee_invalid_op 0
		.amdhsa_exception_fp_denorm_src 0
		.amdhsa_exception_fp_ieee_div_zero 0
		.amdhsa_exception_fp_ieee_overflow 0
		.amdhsa_exception_fp_ieee_underflow 0
		.amdhsa_exception_fp_ieee_inexact 0
		.amdhsa_exception_int_div_zero 0
	.end_amdhsa_kernel
	.section	.text._ZN7rocprim17ROCPRIM_400000_NS6detail17trampoline_kernelINS0_14default_configENS1_27scan_by_key_config_selectorIssEEZZNS1_16scan_by_key_implILNS1_25lookback_scan_determinismE0ELb1ES3_N6thrust23THRUST_200600_302600_NS6detail15normal_iteratorINS9_10device_ptrIsEEEESE_SE_sNS9_4plusIvEENS9_8equal_toIsEEsEE10hipError_tPvRmT2_T3_T4_T5_mT6_T7_P12ihipStream_tbENKUlT_T0_E_clISt17integral_constantIbLb1EESY_IbLb0EEEEDaSU_SV_EUlSU_E_NS1_11comp_targetILNS1_3genE9ELNS1_11target_archE1100ELNS1_3gpuE3ELNS1_3repE0EEENS1_30default_config_static_selectorELNS0_4arch9wavefront6targetE1EEEvT1_,"axG",@progbits,_ZN7rocprim17ROCPRIM_400000_NS6detail17trampoline_kernelINS0_14default_configENS1_27scan_by_key_config_selectorIssEEZZNS1_16scan_by_key_implILNS1_25lookback_scan_determinismE0ELb1ES3_N6thrust23THRUST_200600_302600_NS6detail15normal_iteratorINS9_10device_ptrIsEEEESE_SE_sNS9_4plusIvEENS9_8equal_toIsEEsEE10hipError_tPvRmT2_T3_T4_T5_mT6_T7_P12ihipStream_tbENKUlT_T0_E_clISt17integral_constantIbLb1EESY_IbLb0EEEEDaSU_SV_EUlSU_E_NS1_11comp_targetILNS1_3genE9ELNS1_11target_archE1100ELNS1_3gpuE3ELNS1_3repE0EEENS1_30default_config_static_selectorELNS0_4arch9wavefront6targetE1EEEvT1_,comdat
.Lfunc_end666:
	.size	_ZN7rocprim17ROCPRIM_400000_NS6detail17trampoline_kernelINS0_14default_configENS1_27scan_by_key_config_selectorIssEEZZNS1_16scan_by_key_implILNS1_25lookback_scan_determinismE0ELb1ES3_N6thrust23THRUST_200600_302600_NS6detail15normal_iteratorINS9_10device_ptrIsEEEESE_SE_sNS9_4plusIvEENS9_8equal_toIsEEsEE10hipError_tPvRmT2_T3_T4_T5_mT6_T7_P12ihipStream_tbENKUlT_T0_E_clISt17integral_constantIbLb1EESY_IbLb0EEEEDaSU_SV_EUlSU_E_NS1_11comp_targetILNS1_3genE9ELNS1_11target_archE1100ELNS1_3gpuE3ELNS1_3repE0EEENS1_30default_config_static_selectorELNS0_4arch9wavefront6targetE1EEEvT1_, .Lfunc_end666-_ZN7rocprim17ROCPRIM_400000_NS6detail17trampoline_kernelINS0_14default_configENS1_27scan_by_key_config_selectorIssEEZZNS1_16scan_by_key_implILNS1_25lookback_scan_determinismE0ELb1ES3_N6thrust23THRUST_200600_302600_NS6detail15normal_iteratorINS9_10device_ptrIsEEEESE_SE_sNS9_4plusIvEENS9_8equal_toIsEEsEE10hipError_tPvRmT2_T3_T4_T5_mT6_T7_P12ihipStream_tbENKUlT_T0_E_clISt17integral_constantIbLb1EESY_IbLb0EEEEDaSU_SV_EUlSU_E_NS1_11comp_targetILNS1_3genE9ELNS1_11target_archE1100ELNS1_3gpuE3ELNS1_3repE0EEENS1_30default_config_static_selectorELNS0_4arch9wavefront6targetE1EEEvT1_
                                        ; -- End function
	.section	.AMDGPU.csdata,"",@progbits
; Kernel info:
; codeLenInByte = 0
; NumSgprs: 6
; NumVgprs: 0
; NumAgprs: 0
; TotalNumVgprs: 0
; ScratchSize: 0
; MemoryBound: 0
; FloatMode: 240
; IeeeMode: 1
; LDSByteSize: 0 bytes/workgroup (compile time only)
; SGPRBlocks: 0
; VGPRBlocks: 0
; NumSGPRsForWavesPerEU: 6
; NumVGPRsForWavesPerEU: 1
; AccumOffset: 4
; Occupancy: 8
; WaveLimiterHint : 0
; COMPUTE_PGM_RSRC2:SCRATCH_EN: 0
; COMPUTE_PGM_RSRC2:USER_SGPR: 2
; COMPUTE_PGM_RSRC2:TRAP_HANDLER: 0
; COMPUTE_PGM_RSRC2:TGID_X_EN: 1
; COMPUTE_PGM_RSRC2:TGID_Y_EN: 0
; COMPUTE_PGM_RSRC2:TGID_Z_EN: 0
; COMPUTE_PGM_RSRC2:TIDIG_COMP_CNT: 0
; COMPUTE_PGM_RSRC3_GFX90A:ACCUM_OFFSET: 0
; COMPUTE_PGM_RSRC3_GFX90A:TG_SPLIT: 0
	.section	.text._ZN7rocprim17ROCPRIM_400000_NS6detail17trampoline_kernelINS0_14default_configENS1_27scan_by_key_config_selectorIssEEZZNS1_16scan_by_key_implILNS1_25lookback_scan_determinismE0ELb1ES3_N6thrust23THRUST_200600_302600_NS6detail15normal_iteratorINS9_10device_ptrIsEEEESE_SE_sNS9_4plusIvEENS9_8equal_toIsEEsEE10hipError_tPvRmT2_T3_T4_T5_mT6_T7_P12ihipStream_tbENKUlT_T0_E_clISt17integral_constantIbLb1EESY_IbLb0EEEEDaSU_SV_EUlSU_E_NS1_11comp_targetILNS1_3genE8ELNS1_11target_archE1030ELNS1_3gpuE2ELNS1_3repE0EEENS1_30default_config_static_selectorELNS0_4arch9wavefront6targetE1EEEvT1_,"axG",@progbits,_ZN7rocprim17ROCPRIM_400000_NS6detail17trampoline_kernelINS0_14default_configENS1_27scan_by_key_config_selectorIssEEZZNS1_16scan_by_key_implILNS1_25lookback_scan_determinismE0ELb1ES3_N6thrust23THRUST_200600_302600_NS6detail15normal_iteratorINS9_10device_ptrIsEEEESE_SE_sNS9_4plusIvEENS9_8equal_toIsEEsEE10hipError_tPvRmT2_T3_T4_T5_mT6_T7_P12ihipStream_tbENKUlT_T0_E_clISt17integral_constantIbLb1EESY_IbLb0EEEEDaSU_SV_EUlSU_E_NS1_11comp_targetILNS1_3genE8ELNS1_11target_archE1030ELNS1_3gpuE2ELNS1_3repE0EEENS1_30default_config_static_selectorELNS0_4arch9wavefront6targetE1EEEvT1_,comdat
	.protected	_ZN7rocprim17ROCPRIM_400000_NS6detail17trampoline_kernelINS0_14default_configENS1_27scan_by_key_config_selectorIssEEZZNS1_16scan_by_key_implILNS1_25lookback_scan_determinismE0ELb1ES3_N6thrust23THRUST_200600_302600_NS6detail15normal_iteratorINS9_10device_ptrIsEEEESE_SE_sNS9_4plusIvEENS9_8equal_toIsEEsEE10hipError_tPvRmT2_T3_T4_T5_mT6_T7_P12ihipStream_tbENKUlT_T0_E_clISt17integral_constantIbLb1EESY_IbLb0EEEEDaSU_SV_EUlSU_E_NS1_11comp_targetILNS1_3genE8ELNS1_11target_archE1030ELNS1_3gpuE2ELNS1_3repE0EEENS1_30default_config_static_selectorELNS0_4arch9wavefront6targetE1EEEvT1_ ; -- Begin function _ZN7rocprim17ROCPRIM_400000_NS6detail17trampoline_kernelINS0_14default_configENS1_27scan_by_key_config_selectorIssEEZZNS1_16scan_by_key_implILNS1_25lookback_scan_determinismE0ELb1ES3_N6thrust23THRUST_200600_302600_NS6detail15normal_iteratorINS9_10device_ptrIsEEEESE_SE_sNS9_4plusIvEENS9_8equal_toIsEEsEE10hipError_tPvRmT2_T3_T4_T5_mT6_T7_P12ihipStream_tbENKUlT_T0_E_clISt17integral_constantIbLb1EESY_IbLb0EEEEDaSU_SV_EUlSU_E_NS1_11comp_targetILNS1_3genE8ELNS1_11target_archE1030ELNS1_3gpuE2ELNS1_3repE0EEENS1_30default_config_static_selectorELNS0_4arch9wavefront6targetE1EEEvT1_
	.globl	_ZN7rocprim17ROCPRIM_400000_NS6detail17trampoline_kernelINS0_14default_configENS1_27scan_by_key_config_selectorIssEEZZNS1_16scan_by_key_implILNS1_25lookback_scan_determinismE0ELb1ES3_N6thrust23THRUST_200600_302600_NS6detail15normal_iteratorINS9_10device_ptrIsEEEESE_SE_sNS9_4plusIvEENS9_8equal_toIsEEsEE10hipError_tPvRmT2_T3_T4_T5_mT6_T7_P12ihipStream_tbENKUlT_T0_E_clISt17integral_constantIbLb1EESY_IbLb0EEEEDaSU_SV_EUlSU_E_NS1_11comp_targetILNS1_3genE8ELNS1_11target_archE1030ELNS1_3gpuE2ELNS1_3repE0EEENS1_30default_config_static_selectorELNS0_4arch9wavefront6targetE1EEEvT1_
	.p2align	8
	.type	_ZN7rocprim17ROCPRIM_400000_NS6detail17trampoline_kernelINS0_14default_configENS1_27scan_by_key_config_selectorIssEEZZNS1_16scan_by_key_implILNS1_25lookback_scan_determinismE0ELb1ES3_N6thrust23THRUST_200600_302600_NS6detail15normal_iteratorINS9_10device_ptrIsEEEESE_SE_sNS9_4plusIvEENS9_8equal_toIsEEsEE10hipError_tPvRmT2_T3_T4_T5_mT6_T7_P12ihipStream_tbENKUlT_T0_E_clISt17integral_constantIbLb1EESY_IbLb0EEEEDaSU_SV_EUlSU_E_NS1_11comp_targetILNS1_3genE8ELNS1_11target_archE1030ELNS1_3gpuE2ELNS1_3repE0EEENS1_30default_config_static_selectorELNS0_4arch9wavefront6targetE1EEEvT1_,@function
_ZN7rocprim17ROCPRIM_400000_NS6detail17trampoline_kernelINS0_14default_configENS1_27scan_by_key_config_selectorIssEEZZNS1_16scan_by_key_implILNS1_25lookback_scan_determinismE0ELb1ES3_N6thrust23THRUST_200600_302600_NS6detail15normal_iteratorINS9_10device_ptrIsEEEESE_SE_sNS9_4plusIvEENS9_8equal_toIsEEsEE10hipError_tPvRmT2_T3_T4_T5_mT6_T7_P12ihipStream_tbENKUlT_T0_E_clISt17integral_constantIbLb1EESY_IbLb0EEEEDaSU_SV_EUlSU_E_NS1_11comp_targetILNS1_3genE8ELNS1_11target_archE1030ELNS1_3gpuE2ELNS1_3repE0EEENS1_30default_config_static_selectorELNS0_4arch9wavefront6targetE1EEEvT1_: ; @_ZN7rocprim17ROCPRIM_400000_NS6detail17trampoline_kernelINS0_14default_configENS1_27scan_by_key_config_selectorIssEEZZNS1_16scan_by_key_implILNS1_25lookback_scan_determinismE0ELb1ES3_N6thrust23THRUST_200600_302600_NS6detail15normal_iteratorINS9_10device_ptrIsEEEESE_SE_sNS9_4plusIvEENS9_8equal_toIsEEsEE10hipError_tPvRmT2_T3_T4_T5_mT6_T7_P12ihipStream_tbENKUlT_T0_E_clISt17integral_constantIbLb1EESY_IbLb0EEEEDaSU_SV_EUlSU_E_NS1_11comp_targetILNS1_3genE8ELNS1_11target_archE1030ELNS1_3gpuE2ELNS1_3repE0EEENS1_30default_config_static_selectorELNS0_4arch9wavefront6targetE1EEEvT1_
; %bb.0:
	.section	.rodata,"a",@progbits
	.p2align	6, 0x0
	.amdhsa_kernel _ZN7rocprim17ROCPRIM_400000_NS6detail17trampoline_kernelINS0_14default_configENS1_27scan_by_key_config_selectorIssEEZZNS1_16scan_by_key_implILNS1_25lookback_scan_determinismE0ELb1ES3_N6thrust23THRUST_200600_302600_NS6detail15normal_iteratorINS9_10device_ptrIsEEEESE_SE_sNS9_4plusIvEENS9_8equal_toIsEEsEE10hipError_tPvRmT2_T3_T4_T5_mT6_T7_P12ihipStream_tbENKUlT_T0_E_clISt17integral_constantIbLb1EESY_IbLb0EEEEDaSU_SV_EUlSU_E_NS1_11comp_targetILNS1_3genE8ELNS1_11target_archE1030ELNS1_3gpuE2ELNS1_3repE0EEENS1_30default_config_static_selectorELNS0_4arch9wavefront6targetE1EEEvT1_
		.amdhsa_group_segment_fixed_size 0
		.amdhsa_private_segment_fixed_size 0
		.amdhsa_kernarg_size 112
		.amdhsa_user_sgpr_count 2
		.amdhsa_user_sgpr_dispatch_ptr 0
		.amdhsa_user_sgpr_queue_ptr 0
		.amdhsa_user_sgpr_kernarg_segment_ptr 1
		.amdhsa_user_sgpr_dispatch_id 0
		.amdhsa_user_sgpr_kernarg_preload_length 0
		.amdhsa_user_sgpr_kernarg_preload_offset 0
		.amdhsa_user_sgpr_private_segment_size 0
		.amdhsa_uses_dynamic_stack 0
		.amdhsa_enable_private_segment 0
		.amdhsa_system_sgpr_workgroup_id_x 1
		.amdhsa_system_sgpr_workgroup_id_y 0
		.amdhsa_system_sgpr_workgroup_id_z 0
		.amdhsa_system_sgpr_workgroup_info 0
		.amdhsa_system_vgpr_workitem_id 0
		.amdhsa_next_free_vgpr 1
		.amdhsa_next_free_sgpr 0
		.amdhsa_accum_offset 4
		.amdhsa_reserve_vcc 0
		.amdhsa_float_round_mode_32 0
		.amdhsa_float_round_mode_16_64 0
		.amdhsa_float_denorm_mode_32 3
		.amdhsa_float_denorm_mode_16_64 3
		.amdhsa_dx10_clamp 1
		.amdhsa_ieee_mode 1
		.amdhsa_fp16_overflow 0
		.amdhsa_tg_split 0
		.amdhsa_exception_fp_ieee_invalid_op 0
		.amdhsa_exception_fp_denorm_src 0
		.amdhsa_exception_fp_ieee_div_zero 0
		.amdhsa_exception_fp_ieee_overflow 0
		.amdhsa_exception_fp_ieee_underflow 0
		.amdhsa_exception_fp_ieee_inexact 0
		.amdhsa_exception_int_div_zero 0
	.end_amdhsa_kernel
	.section	.text._ZN7rocprim17ROCPRIM_400000_NS6detail17trampoline_kernelINS0_14default_configENS1_27scan_by_key_config_selectorIssEEZZNS1_16scan_by_key_implILNS1_25lookback_scan_determinismE0ELb1ES3_N6thrust23THRUST_200600_302600_NS6detail15normal_iteratorINS9_10device_ptrIsEEEESE_SE_sNS9_4plusIvEENS9_8equal_toIsEEsEE10hipError_tPvRmT2_T3_T4_T5_mT6_T7_P12ihipStream_tbENKUlT_T0_E_clISt17integral_constantIbLb1EESY_IbLb0EEEEDaSU_SV_EUlSU_E_NS1_11comp_targetILNS1_3genE8ELNS1_11target_archE1030ELNS1_3gpuE2ELNS1_3repE0EEENS1_30default_config_static_selectorELNS0_4arch9wavefront6targetE1EEEvT1_,"axG",@progbits,_ZN7rocprim17ROCPRIM_400000_NS6detail17trampoline_kernelINS0_14default_configENS1_27scan_by_key_config_selectorIssEEZZNS1_16scan_by_key_implILNS1_25lookback_scan_determinismE0ELb1ES3_N6thrust23THRUST_200600_302600_NS6detail15normal_iteratorINS9_10device_ptrIsEEEESE_SE_sNS9_4plusIvEENS9_8equal_toIsEEsEE10hipError_tPvRmT2_T3_T4_T5_mT6_T7_P12ihipStream_tbENKUlT_T0_E_clISt17integral_constantIbLb1EESY_IbLb0EEEEDaSU_SV_EUlSU_E_NS1_11comp_targetILNS1_3genE8ELNS1_11target_archE1030ELNS1_3gpuE2ELNS1_3repE0EEENS1_30default_config_static_selectorELNS0_4arch9wavefront6targetE1EEEvT1_,comdat
.Lfunc_end667:
	.size	_ZN7rocprim17ROCPRIM_400000_NS6detail17trampoline_kernelINS0_14default_configENS1_27scan_by_key_config_selectorIssEEZZNS1_16scan_by_key_implILNS1_25lookback_scan_determinismE0ELb1ES3_N6thrust23THRUST_200600_302600_NS6detail15normal_iteratorINS9_10device_ptrIsEEEESE_SE_sNS9_4plusIvEENS9_8equal_toIsEEsEE10hipError_tPvRmT2_T3_T4_T5_mT6_T7_P12ihipStream_tbENKUlT_T0_E_clISt17integral_constantIbLb1EESY_IbLb0EEEEDaSU_SV_EUlSU_E_NS1_11comp_targetILNS1_3genE8ELNS1_11target_archE1030ELNS1_3gpuE2ELNS1_3repE0EEENS1_30default_config_static_selectorELNS0_4arch9wavefront6targetE1EEEvT1_, .Lfunc_end667-_ZN7rocprim17ROCPRIM_400000_NS6detail17trampoline_kernelINS0_14default_configENS1_27scan_by_key_config_selectorIssEEZZNS1_16scan_by_key_implILNS1_25lookback_scan_determinismE0ELb1ES3_N6thrust23THRUST_200600_302600_NS6detail15normal_iteratorINS9_10device_ptrIsEEEESE_SE_sNS9_4plusIvEENS9_8equal_toIsEEsEE10hipError_tPvRmT2_T3_T4_T5_mT6_T7_P12ihipStream_tbENKUlT_T0_E_clISt17integral_constantIbLb1EESY_IbLb0EEEEDaSU_SV_EUlSU_E_NS1_11comp_targetILNS1_3genE8ELNS1_11target_archE1030ELNS1_3gpuE2ELNS1_3repE0EEENS1_30default_config_static_selectorELNS0_4arch9wavefront6targetE1EEEvT1_
                                        ; -- End function
	.section	.AMDGPU.csdata,"",@progbits
; Kernel info:
; codeLenInByte = 0
; NumSgprs: 6
; NumVgprs: 0
; NumAgprs: 0
; TotalNumVgprs: 0
; ScratchSize: 0
; MemoryBound: 0
; FloatMode: 240
; IeeeMode: 1
; LDSByteSize: 0 bytes/workgroup (compile time only)
; SGPRBlocks: 0
; VGPRBlocks: 0
; NumSGPRsForWavesPerEU: 6
; NumVGPRsForWavesPerEU: 1
; AccumOffset: 4
; Occupancy: 8
; WaveLimiterHint : 0
; COMPUTE_PGM_RSRC2:SCRATCH_EN: 0
; COMPUTE_PGM_RSRC2:USER_SGPR: 2
; COMPUTE_PGM_RSRC2:TRAP_HANDLER: 0
; COMPUTE_PGM_RSRC2:TGID_X_EN: 1
; COMPUTE_PGM_RSRC2:TGID_Y_EN: 0
; COMPUTE_PGM_RSRC2:TGID_Z_EN: 0
; COMPUTE_PGM_RSRC2:TIDIG_COMP_CNT: 0
; COMPUTE_PGM_RSRC3_GFX90A:ACCUM_OFFSET: 0
; COMPUTE_PGM_RSRC3_GFX90A:TG_SPLIT: 0
	.section	.text._ZN7rocprim17ROCPRIM_400000_NS6detail17trampoline_kernelINS0_14default_configENS1_27scan_by_key_config_selectorIssEEZZNS1_16scan_by_key_implILNS1_25lookback_scan_determinismE0ELb1ES3_N6thrust23THRUST_200600_302600_NS6detail15normal_iteratorINS9_10device_ptrIsEEEESE_SE_sNS9_4plusIvEENS9_8equal_toIsEEsEE10hipError_tPvRmT2_T3_T4_T5_mT6_T7_P12ihipStream_tbENKUlT_T0_E_clISt17integral_constantIbLb0EESY_IbLb1EEEEDaSU_SV_EUlSU_E_NS1_11comp_targetILNS1_3genE0ELNS1_11target_archE4294967295ELNS1_3gpuE0ELNS1_3repE0EEENS1_30default_config_static_selectorELNS0_4arch9wavefront6targetE1EEEvT1_,"axG",@progbits,_ZN7rocprim17ROCPRIM_400000_NS6detail17trampoline_kernelINS0_14default_configENS1_27scan_by_key_config_selectorIssEEZZNS1_16scan_by_key_implILNS1_25lookback_scan_determinismE0ELb1ES3_N6thrust23THRUST_200600_302600_NS6detail15normal_iteratorINS9_10device_ptrIsEEEESE_SE_sNS9_4plusIvEENS9_8equal_toIsEEsEE10hipError_tPvRmT2_T3_T4_T5_mT6_T7_P12ihipStream_tbENKUlT_T0_E_clISt17integral_constantIbLb0EESY_IbLb1EEEEDaSU_SV_EUlSU_E_NS1_11comp_targetILNS1_3genE0ELNS1_11target_archE4294967295ELNS1_3gpuE0ELNS1_3repE0EEENS1_30default_config_static_selectorELNS0_4arch9wavefront6targetE1EEEvT1_,comdat
	.protected	_ZN7rocprim17ROCPRIM_400000_NS6detail17trampoline_kernelINS0_14default_configENS1_27scan_by_key_config_selectorIssEEZZNS1_16scan_by_key_implILNS1_25lookback_scan_determinismE0ELb1ES3_N6thrust23THRUST_200600_302600_NS6detail15normal_iteratorINS9_10device_ptrIsEEEESE_SE_sNS9_4plusIvEENS9_8equal_toIsEEsEE10hipError_tPvRmT2_T3_T4_T5_mT6_T7_P12ihipStream_tbENKUlT_T0_E_clISt17integral_constantIbLb0EESY_IbLb1EEEEDaSU_SV_EUlSU_E_NS1_11comp_targetILNS1_3genE0ELNS1_11target_archE4294967295ELNS1_3gpuE0ELNS1_3repE0EEENS1_30default_config_static_selectorELNS0_4arch9wavefront6targetE1EEEvT1_ ; -- Begin function _ZN7rocprim17ROCPRIM_400000_NS6detail17trampoline_kernelINS0_14default_configENS1_27scan_by_key_config_selectorIssEEZZNS1_16scan_by_key_implILNS1_25lookback_scan_determinismE0ELb1ES3_N6thrust23THRUST_200600_302600_NS6detail15normal_iteratorINS9_10device_ptrIsEEEESE_SE_sNS9_4plusIvEENS9_8equal_toIsEEsEE10hipError_tPvRmT2_T3_T4_T5_mT6_T7_P12ihipStream_tbENKUlT_T0_E_clISt17integral_constantIbLb0EESY_IbLb1EEEEDaSU_SV_EUlSU_E_NS1_11comp_targetILNS1_3genE0ELNS1_11target_archE4294967295ELNS1_3gpuE0ELNS1_3repE0EEENS1_30default_config_static_selectorELNS0_4arch9wavefront6targetE1EEEvT1_
	.globl	_ZN7rocprim17ROCPRIM_400000_NS6detail17trampoline_kernelINS0_14default_configENS1_27scan_by_key_config_selectorIssEEZZNS1_16scan_by_key_implILNS1_25lookback_scan_determinismE0ELb1ES3_N6thrust23THRUST_200600_302600_NS6detail15normal_iteratorINS9_10device_ptrIsEEEESE_SE_sNS9_4plusIvEENS9_8equal_toIsEEsEE10hipError_tPvRmT2_T3_T4_T5_mT6_T7_P12ihipStream_tbENKUlT_T0_E_clISt17integral_constantIbLb0EESY_IbLb1EEEEDaSU_SV_EUlSU_E_NS1_11comp_targetILNS1_3genE0ELNS1_11target_archE4294967295ELNS1_3gpuE0ELNS1_3repE0EEENS1_30default_config_static_selectorELNS0_4arch9wavefront6targetE1EEEvT1_
	.p2align	8
	.type	_ZN7rocprim17ROCPRIM_400000_NS6detail17trampoline_kernelINS0_14default_configENS1_27scan_by_key_config_selectorIssEEZZNS1_16scan_by_key_implILNS1_25lookback_scan_determinismE0ELb1ES3_N6thrust23THRUST_200600_302600_NS6detail15normal_iteratorINS9_10device_ptrIsEEEESE_SE_sNS9_4plusIvEENS9_8equal_toIsEEsEE10hipError_tPvRmT2_T3_T4_T5_mT6_T7_P12ihipStream_tbENKUlT_T0_E_clISt17integral_constantIbLb0EESY_IbLb1EEEEDaSU_SV_EUlSU_E_NS1_11comp_targetILNS1_3genE0ELNS1_11target_archE4294967295ELNS1_3gpuE0ELNS1_3repE0EEENS1_30default_config_static_selectorELNS0_4arch9wavefront6targetE1EEEvT1_,@function
_ZN7rocprim17ROCPRIM_400000_NS6detail17trampoline_kernelINS0_14default_configENS1_27scan_by_key_config_selectorIssEEZZNS1_16scan_by_key_implILNS1_25lookback_scan_determinismE0ELb1ES3_N6thrust23THRUST_200600_302600_NS6detail15normal_iteratorINS9_10device_ptrIsEEEESE_SE_sNS9_4plusIvEENS9_8equal_toIsEEsEE10hipError_tPvRmT2_T3_T4_T5_mT6_T7_P12ihipStream_tbENKUlT_T0_E_clISt17integral_constantIbLb0EESY_IbLb1EEEEDaSU_SV_EUlSU_E_NS1_11comp_targetILNS1_3genE0ELNS1_11target_archE4294967295ELNS1_3gpuE0ELNS1_3repE0EEENS1_30default_config_static_selectorELNS0_4arch9wavefront6targetE1EEEvT1_: ; @_ZN7rocprim17ROCPRIM_400000_NS6detail17trampoline_kernelINS0_14default_configENS1_27scan_by_key_config_selectorIssEEZZNS1_16scan_by_key_implILNS1_25lookback_scan_determinismE0ELb1ES3_N6thrust23THRUST_200600_302600_NS6detail15normal_iteratorINS9_10device_ptrIsEEEESE_SE_sNS9_4plusIvEENS9_8equal_toIsEEsEE10hipError_tPvRmT2_T3_T4_T5_mT6_T7_P12ihipStream_tbENKUlT_T0_E_clISt17integral_constantIbLb0EESY_IbLb1EEEEDaSU_SV_EUlSU_E_NS1_11comp_targetILNS1_3genE0ELNS1_11target_archE4294967295ELNS1_3gpuE0ELNS1_3repE0EEENS1_30default_config_static_selectorELNS0_4arch9wavefront6targetE1EEEvT1_
; %bb.0:
	.section	.rodata,"a",@progbits
	.p2align	6, 0x0
	.amdhsa_kernel _ZN7rocprim17ROCPRIM_400000_NS6detail17trampoline_kernelINS0_14default_configENS1_27scan_by_key_config_selectorIssEEZZNS1_16scan_by_key_implILNS1_25lookback_scan_determinismE0ELb1ES3_N6thrust23THRUST_200600_302600_NS6detail15normal_iteratorINS9_10device_ptrIsEEEESE_SE_sNS9_4plusIvEENS9_8equal_toIsEEsEE10hipError_tPvRmT2_T3_T4_T5_mT6_T7_P12ihipStream_tbENKUlT_T0_E_clISt17integral_constantIbLb0EESY_IbLb1EEEEDaSU_SV_EUlSU_E_NS1_11comp_targetILNS1_3genE0ELNS1_11target_archE4294967295ELNS1_3gpuE0ELNS1_3repE0EEENS1_30default_config_static_selectorELNS0_4arch9wavefront6targetE1EEEvT1_
		.amdhsa_group_segment_fixed_size 0
		.amdhsa_private_segment_fixed_size 0
		.amdhsa_kernarg_size 112
		.amdhsa_user_sgpr_count 2
		.amdhsa_user_sgpr_dispatch_ptr 0
		.amdhsa_user_sgpr_queue_ptr 0
		.amdhsa_user_sgpr_kernarg_segment_ptr 1
		.amdhsa_user_sgpr_dispatch_id 0
		.amdhsa_user_sgpr_kernarg_preload_length 0
		.amdhsa_user_sgpr_kernarg_preload_offset 0
		.amdhsa_user_sgpr_private_segment_size 0
		.amdhsa_uses_dynamic_stack 0
		.amdhsa_enable_private_segment 0
		.amdhsa_system_sgpr_workgroup_id_x 1
		.amdhsa_system_sgpr_workgroup_id_y 0
		.amdhsa_system_sgpr_workgroup_id_z 0
		.amdhsa_system_sgpr_workgroup_info 0
		.amdhsa_system_vgpr_workitem_id 0
		.amdhsa_next_free_vgpr 1
		.amdhsa_next_free_sgpr 0
		.amdhsa_accum_offset 4
		.amdhsa_reserve_vcc 0
		.amdhsa_float_round_mode_32 0
		.amdhsa_float_round_mode_16_64 0
		.amdhsa_float_denorm_mode_32 3
		.amdhsa_float_denorm_mode_16_64 3
		.amdhsa_dx10_clamp 1
		.amdhsa_ieee_mode 1
		.amdhsa_fp16_overflow 0
		.amdhsa_tg_split 0
		.amdhsa_exception_fp_ieee_invalid_op 0
		.amdhsa_exception_fp_denorm_src 0
		.amdhsa_exception_fp_ieee_div_zero 0
		.amdhsa_exception_fp_ieee_overflow 0
		.amdhsa_exception_fp_ieee_underflow 0
		.amdhsa_exception_fp_ieee_inexact 0
		.amdhsa_exception_int_div_zero 0
	.end_amdhsa_kernel
	.section	.text._ZN7rocprim17ROCPRIM_400000_NS6detail17trampoline_kernelINS0_14default_configENS1_27scan_by_key_config_selectorIssEEZZNS1_16scan_by_key_implILNS1_25lookback_scan_determinismE0ELb1ES3_N6thrust23THRUST_200600_302600_NS6detail15normal_iteratorINS9_10device_ptrIsEEEESE_SE_sNS9_4plusIvEENS9_8equal_toIsEEsEE10hipError_tPvRmT2_T3_T4_T5_mT6_T7_P12ihipStream_tbENKUlT_T0_E_clISt17integral_constantIbLb0EESY_IbLb1EEEEDaSU_SV_EUlSU_E_NS1_11comp_targetILNS1_3genE0ELNS1_11target_archE4294967295ELNS1_3gpuE0ELNS1_3repE0EEENS1_30default_config_static_selectorELNS0_4arch9wavefront6targetE1EEEvT1_,"axG",@progbits,_ZN7rocprim17ROCPRIM_400000_NS6detail17trampoline_kernelINS0_14default_configENS1_27scan_by_key_config_selectorIssEEZZNS1_16scan_by_key_implILNS1_25lookback_scan_determinismE0ELb1ES3_N6thrust23THRUST_200600_302600_NS6detail15normal_iteratorINS9_10device_ptrIsEEEESE_SE_sNS9_4plusIvEENS9_8equal_toIsEEsEE10hipError_tPvRmT2_T3_T4_T5_mT6_T7_P12ihipStream_tbENKUlT_T0_E_clISt17integral_constantIbLb0EESY_IbLb1EEEEDaSU_SV_EUlSU_E_NS1_11comp_targetILNS1_3genE0ELNS1_11target_archE4294967295ELNS1_3gpuE0ELNS1_3repE0EEENS1_30default_config_static_selectorELNS0_4arch9wavefront6targetE1EEEvT1_,comdat
.Lfunc_end668:
	.size	_ZN7rocprim17ROCPRIM_400000_NS6detail17trampoline_kernelINS0_14default_configENS1_27scan_by_key_config_selectorIssEEZZNS1_16scan_by_key_implILNS1_25lookback_scan_determinismE0ELb1ES3_N6thrust23THRUST_200600_302600_NS6detail15normal_iteratorINS9_10device_ptrIsEEEESE_SE_sNS9_4plusIvEENS9_8equal_toIsEEsEE10hipError_tPvRmT2_T3_T4_T5_mT6_T7_P12ihipStream_tbENKUlT_T0_E_clISt17integral_constantIbLb0EESY_IbLb1EEEEDaSU_SV_EUlSU_E_NS1_11comp_targetILNS1_3genE0ELNS1_11target_archE4294967295ELNS1_3gpuE0ELNS1_3repE0EEENS1_30default_config_static_selectorELNS0_4arch9wavefront6targetE1EEEvT1_, .Lfunc_end668-_ZN7rocprim17ROCPRIM_400000_NS6detail17trampoline_kernelINS0_14default_configENS1_27scan_by_key_config_selectorIssEEZZNS1_16scan_by_key_implILNS1_25lookback_scan_determinismE0ELb1ES3_N6thrust23THRUST_200600_302600_NS6detail15normal_iteratorINS9_10device_ptrIsEEEESE_SE_sNS9_4plusIvEENS9_8equal_toIsEEsEE10hipError_tPvRmT2_T3_T4_T5_mT6_T7_P12ihipStream_tbENKUlT_T0_E_clISt17integral_constantIbLb0EESY_IbLb1EEEEDaSU_SV_EUlSU_E_NS1_11comp_targetILNS1_3genE0ELNS1_11target_archE4294967295ELNS1_3gpuE0ELNS1_3repE0EEENS1_30default_config_static_selectorELNS0_4arch9wavefront6targetE1EEEvT1_
                                        ; -- End function
	.section	.AMDGPU.csdata,"",@progbits
; Kernel info:
; codeLenInByte = 0
; NumSgprs: 6
; NumVgprs: 0
; NumAgprs: 0
; TotalNumVgprs: 0
; ScratchSize: 0
; MemoryBound: 0
; FloatMode: 240
; IeeeMode: 1
; LDSByteSize: 0 bytes/workgroup (compile time only)
; SGPRBlocks: 0
; VGPRBlocks: 0
; NumSGPRsForWavesPerEU: 6
; NumVGPRsForWavesPerEU: 1
; AccumOffset: 4
; Occupancy: 8
; WaveLimiterHint : 0
; COMPUTE_PGM_RSRC2:SCRATCH_EN: 0
; COMPUTE_PGM_RSRC2:USER_SGPR: 2
; COMPUTE_PGM_RSRC2:TRAP_HANDLER: 0
; COMPUTE_PGM_RSRC2:TGID_X_EN: 1
; COMPUTE_PGM_RSRC2:TGID_Y_EN: 0
; COMPUTE_PGM_RSRC2:TGID_Z_EN: 0
; COMPUTE_PGM_RSRC2:TIDIG_COMP_CNT: 0
; COMPUTE_PGM_RSRC3_GFX90A:ACCUM_OFFSET: 0
; COMPUTE_PGM_RSRC3_GFX90A:TG_SPLIT: 0
	.section	.text._ZN7rocprim17ROCPRIM_400000_NS6detail17trampoline_kernelINS0_14default_configENS1_27scan_by_key_config_selectorIssEEZZNS1_16scan_by_key_implILNS1_25lookback_scan_determinismE0ELb1ES3_N6thrust23THRUST_200600_302600_NS6detail15normal_iteratorINS9_10device_ptrIsEEEESE_SE_sNS9_4plusIvEENS9_8equal_toIsEEsEE10hipError_tPvRmT2_T3_T4_T5_mT6_T7_P12ihipStream_tbENKUlT_T0_E_clISt17integral_constantIbLb0EESY_IbLb1EEEEDaSU_SV_EUlSU_E_NS1_11comp_targetILNS1_3genE10ELNS1_11target_archE1201ELNS1_3gpuE5ELNS1_3repE0EEENS1_30default_config_static_selectorELNS0_4arch9wavefront6targetE1EEEvT1_,"axG",@progbits,_ZN7rocprim17ROCPRIM_400000_NS6detail17trampoline_kernelINS0_14default_configENS1_27scan_by_key_config_selectorIssEEZZNS1_16scan_by_key_implILNS1_25lookback_scan_determinismE0ELb1ES3_N6thrust23THRUST_200600_302600_NS6detail15normal_iteratorINS9_10device_ptrIsEEEESE_SE_sNS9_4plusIvEENS9_8equal_toIsEEsEE10hipError_tPvRmT2_T3_T4_T5_mT6_T7_P12ihipStream_tbENKUlT_T0_E_clISt17integral_constantIbLb0EESY_IbLb1EEEEDaSU_SV_EUlSU_E_NS1_11comp_targetILNS1_3genE10ELNS1_11target_archE1201ELNS1_3gpuE5ELNS1_3repE0EEENS1_30default_config_static_selectorELNS0_4arch9wavefront6targetE1EEEvT1_,comdat
	.protected	_ZN7rocprim17ROCPRIM_400000_NS6detail17trampoline_kernelINS0_14default_configENS1_27scan_by_key_config_selectorIssEEZZNS1_16scan_by_key_implILNS1_25lookback_scan_determinismE0ELb1ES3_N6thrust23THRUST_200600_302600_NS6detail15normal_iteratorINS9_10device_ptrIsEEEESE_SE_sNS9_4plusIvEENS9_8equal_toIsEEsEE10hipError_tPvRmT2_T3_T4_T5_mT6_T7_P12ihipStream_tbENKUlT_T0_E_clISt17integral_constantIbLb0EESY_IbLb1EEEEDaSU_SV_EUlSU_E_NS1_11comp_targetILNS1_3genE10ELNS1_11target_archE1201ELNS1_3gpuE5ELNS1_3repE0EEENS1_30default_config_static_selectorELNS0_4arch9wavefront6targetE1EEEvT1_ ; -- Begin function _ZN7rocprim17ROCPRIM_400000_NS6detail17trampoline_kernelINS0_14default_configENS1_27scan_by_key_config_selectorIssEEZZNS1_16scan_by_key_implILNS1_25lookback_scan_determinismE0ELb1ES3_N6thrust23THRUST_200600_302600_NS6detail15normal_iteratorINS9_10device_ptrIsEEEESE_SE_sNS9_4plusIvEENS9_8equal_toIsEEsEE10hipError_tPvRmT2_T3_T4_T5_mT6_T7_P12ihipStream_tbENKUlT_T0_E_clISt17integral_constantIbLb0EESY_IbLb1EEEEDaSU_SV_EUlSU_E_NS1_11comp_targetILNS1_3genE10ELNS1_11target_archE1201ELNS1_3gpuE5ELNS1_3repE0EEENS1_30default_config_static_selectorELNS0_4arch9wavefront6targetE1EEEvT1_
	.globl	_ZN7rocprim17ROCPRIM_400000_NS6detail17trampoline_kernelINS0_14default_configENS1_27scan_by_key_config_selectorIssEEZZNS1_16scan_by_key_implILNS1_25lookback_scan_determinismE0ELb1ES3_N6thrust23THRUST_200600_302600_NS6detail15normal_iteratorINS9_10device_ptrIsEEEESE_SE_sNS9_4plusIvEENS9_8equal_toIsEEsEE10hipError_tPvRmT2_T3_T4_T5_mT6_T7_P12ihipStream_tbENKUlT_T0_E_clISt17integral_constantIbLb0EESY_IbLb1EEEEDaSU_SV_EUlSU_E_NS1_11comp_targetILNS1_3genE10ELNS1_11target_archE1201ELNS1_3gpuE5ELNS1_3repE0EEENS1_30default_config_static_selectorELNS0_4arch9wavefront6targetE1EEEvT1_
	.p2align	8
	.type	_ZN7rocprim17ROCPRIM_400000_NS6detail17trampoline_kernelINS0_14default_configENS1_27scan_by_key_config_selectorIssEEZZNS1_16scan_by_key_implILNS1_25lookback_scan_determinismE0ELb1ES3_N6thrust23THRUST_200600_302600_NS6detail15normal_iteratorINS9_10device_ptrIsEEEESE_SE_sNS9_4plusIvEENS9_8equal_toIsEEsEE10hipError_tPvRmT2_T3_T4_T5_mT6_T7_P12ihipStream_tbENKUlT_T0_E_clISt17integral_constantIbLb0EESY_IbLb1EEEEDaSU_SV_EUlSU_E_NS1_11comp_targetILNS1_3genE10ELNS1_11target_archE1201ELNS1_3gpuE5ELNS1_3repE0EEENS1_30default_config_static_selectorELNS0_4arch9wavefront6targetE1EEEvT1_,@function
_ZN7rocprim17ROCPRIM_400000_NS6detail17trampoline_kernelINS0_14default_configENS1_27scan_by_key_config_selectorIssEEZZNS1_16scan_by_key_implILNS1_25lookback_scan_determinismE0ELb1ES3_N6thrust23THRUST_200600_302600_NS6detail15normal_iteratorINS9_10device_ptrIsEEEESE_SE_sNS9_4plusIvEENS9_8equal_toIsEEsEE10hipError_tPvRmT2_T3_T4_T5_mT6_T7_P12ihipStream_tbENKUlT_T0_E_clISt17integral_constantIbLb0EESY_IbLb1EEEEDaSU_SV_EUlSU_E_NS1_11comp_targetILNS1_3genE10ELNS1_11target_archE1201ELNS1_3gpuE5ELNS1_3repE0EEENS1_30default_config_static_selectorELNS0_4arch9wavefront6targetE1EEEvT1_: ; @_ZN7rocprim17ROCPRIM_400000_NS6detail17trampoline_kernelINS0_14default_configENS1_27scan_by_key_config_selectorIssEEZZNS1_16scan_by_key_implILNS1_25lookback_scan_determinismE0ELb1ES3_N6thrust23THRUST_200600_302600_NS6detail15normal_iteratorINS9_10device_ptrIsEEEESE_SE_sNS9_4plusIvEENS9_8equal_toIsEEsEE10hipError_tPvRmT2_T3_T4_T5_mT6_T7_P12ihipStream_tbENKUlT_T0_E_clISt17integral_constantIbLb0EESY_IbLb1EEEEDaSU_SV_EUlSU_E_NS1_11comp_targetILNS1_3genE10ELNS1_11target_archE1201ELNS1_3gpuE5ELNS1_3repE0EEENS1_30default_config_static_selectorELNS0_4arch9wavefront6targetE1EEEvT1_
; %bb.0:
	.section	.rodata,"a",@progbits
	.p2align	6, 0x0
	.amdhsa_kernel _ZN7rocprim17ROCPRIM_400000_NS6detail17trampoline_kernelINS0_14default_configENS1_27scan_by_key_config_selectorIssEEZZNS1_16scan_by_key_implILNS1_25lookback_scan_determinismE0ELb1ES3_N6thrust23THRUST_200600_302600_NS6detail15normal_iteratorINS9_10device_ptrIsEEEESE_SE_sNS9_4plusIvEENS9_8equal_toIsEEsEE10hipError_tPvRmT2_T3_T4_T5_mT6_T7_P12ihipStream_tbENKUlT_T0_E_clISt17integral_constantIbLb0EESY_IbLb1EEEEDaSU_SV_EUlSU_E_NS1_11comp_targetILNS1_3genE10ELNS1_11target_archE1201ELNS1_3gpuE5ELNS1_3repE0EEENS1_30default_config_static_selectorELNS0_4arch9wavefront6targetE1EEEvT1_
		.amdhsa_group_segment_fixed_size 0
		.amdhsa_private_segment_fixed_size 0
		.amdhsa_kernarg_size 112
		.amdhsa_user_sgpr_count 2
		.amdhsa_user_sgpr_dispatch_ptr 0
		.amdhsa_user_sgpr_queue_ptr 0
		.amdhsa_user_sgpr_kernarg_segment_ptr 1
		.amdhsa_user_sgpr_dispatch_id 0
		.amdhsa_user_sgpr_kernarg_preload_length 0
		.amdhsa_user_sgpr_kernarg_preload_offset 0
		.amdhsa_user_sgpr_private_segment_size 0
		.amdhsa_uses_dynamic_stack 0
		.amdhsa_enable_private_segment 0
		.amdhsa_system_sgpr_workgroup_id_x 1
		.amdhsa_system_sgpr_workgroup_id_y 0
		.amdhsa_system_sgpr_workgroup_id_z 0
		.amdhsa_system_sgpr_workgroup_info 0
		.amdhsa_system_vgpr_workitem_id 0
		.amdhsa_next_free_vgpr 1
		.amdhsa_next_free_sgpr 0
		.amdhsa_accum_offset 4
		.amdhsa_reserve_vcc 0
		.amdhsa_float_round_mode_32 0
		.amdhsa_float_round_mode_16_64 0
		.amdhsa_float_denorm_mode_32 3
		.amdhsa_float_denorm_mode_16_64 3
		.amdhsa_dx10_clamp 1
		.amdhsa_ieee_mode 1
		.amdhsa_fp16_overflow 0
		.amdhsa_tg_split 0
		.amdhsa_exception_fp_ieee_invalid_op 0
		.amdhsa_exception_fp_denorm_src 0
		.amdhsa_exception_fp_ieee_div_zero 0
		.amdhsa_exception_fp_ieee_overflow 0
		.amdhsa_exception_fp_ieee_underflow 0
		.amdhsa_exception_fp_ieee_inexact 0
		.amdhsa_exception_int_div_zero 0
	.end_amdhsa_kernel
	.section	.text._ZN7rocprim17ROCPRIM_400000_NS6detail17trampoline_kernelINS0_14default_configENS1_27scan_by_key_config_selectorIssEEZZNS1_16scan_by_key_implILNS1_25lookback_scan_determinismE0ELb1ES3_N6thrust23THRUST_200600_302600_NS6detail15normal_iteratorINS9_10device_ptrIsEEEESE_SE_sNS9_4plusIvEENS9_8equal_toIsEEsEE10hipError_tPvRmT2_T3_T4_T5_mT6_T7_P12ihipStream_tbENKUlT_T0_E_clISt17integral_constantIbLb0EESY_IbLb1EEEEDaSU_SV_EUlSU_E_NS1_11comp_targetILNS1_3genE10ELNS1_11target_archE1201ELNS1_3gpuE5ELNS1_3repE0EEENS1_30default_config_static_selectorELNS0_4arch9wavefront6targetE1EEEvT1_,"axG",@progbits,_ZN7rocprim17ROCPRIM_400000_NS6detail17trampoline_kernelINS0_14default_configENS1_27scan_by_key_config_selectorIssEEZZNS1_16scan_by_key_implILNS1_25lookback_scan_determinismE0ELb1ES3_N6thrust23THRUST_200600_302600_NS6detail15normal_iteratorINS9_10device_ptrIsEEEESE_SE_sNS9_4plusIvEENS9_8equal_toIsEEsEE10hipError_tPvRmT2_T3_T4_T5_mT6_T7_P12ihipStream_tbENKUlT_T0_E_clISt17integral_constantIbLb0EESY_IbLb1EEEEDaSU_SV_EUlSU_E_NS1_11comp_targetILNS1_3genE10ELNS1_11target_archE1201ELNS1_3gpuE5ELNS1_3repE0EEENS1_30default_config_static_selectorELNS0_4arch9wavefront6targetE1EEEvT1_,comdat
.Lfunc_end669:
	.size	_ZN7rocprim17ROCPRIM_400000_NS6detail17trampoline_kernelINS0_14default_configENS1_27scan_by_key_config_selectorIssEEZZNS1_16scan_by_key_implILNS1_25lookback_scan_determinismE0ELb1ES3_N6thrust23THRUST_200600_302600_NS6detail15normal_iteratorINS9_10device_ptrIsEEEESE_SE_sNS9_4plusIvEENS9_8equal_toIsEEsEE10hipError_tPvRmT2_T3_T4_T5_mT6_T7_P12ihipStream_tbENKUlT_T0_E_clISt17integral_constantIbLb0EESY_IbLb1EEEEDaSU_SV_EUlSU_E_NS1_11comp_targetILNS1_3genE10ELNS1_11target_archE1201ELNS1_3gpuE5ELNS1_3repE0EEENS1_30default_config_static_selectorELNS0_4arch9wavefront6targetE1EEEvT1_, .Lfunc_end669-_ZN7rocprim17ROCPRIM_400000_NS6detail17trampoline_kernelINS0_14default_configENS1_27scan_by_key_config_selectorIssEEZZNS1_16scan_by_key_implILNS1_25lookback_scan_determinismE0ELb1ES3_N6thrust23THRUST_200600_302600_NS6detail15normal_iteratorINS9_10device_ptrIsEEEESE_SE_sNS9_4plusIvEENS9_8equal_toIsEEsEE10hipError_tPvRmT2_T3_T4_T5_mT6_T7_P12ihipStream_tbENKUlT_T0_E_clISt17integral_constantIbLb0EESY_IbLb1EEEEDaSU_SV_EUlSU_E_NS1_11comp_targetILNS1_3genE10ELNS1_11target_archE1201ELNS1_3gpuE5ELNS1_3repE0EEENS1_30default_config_static_selectorELNS0_4arch9wavefront6targetE1EEEvT1_
                                        ; -- End function
	.section	.AMDGPU.csdata,"",@progbits
; Kernel info:
; codeLenInByte = 0
; NumSgprs: 6
; NumVgprs: 0
; NumAgprs: 0
; TotalNumVgprs: 0
; ScratchSize: 0
; MemoryBound: 0
; FloatMode: 240
; IeeeMode: 1
; LDSByteSize: 0 bytes/workgroup (compile time only)
; SGPRBlocks: 0
; VGPRBlocks: 0
; NumSGPRsForWavesPerEU: 6
; NumVGPRsForWavesPerEU: 1
; AccumOffset: 4
; Occupancy: 8
; WaveLimiterHint : 0
; COMPUTE_PGM_RSRC2:SCRATCH_EN: 0
; COMPUTE_PGM_RSRC2:USER_SGPR: 2
; COMPUTE_PGM_RSRC2:TRAP_HANDLER: 0
; COMPUTE_PGM_RSRC2:TGID_X_EN: 1
; COMPUTE_PGM_RSRC2:TGID_Y_EN: 0
; COMPUTE_PGM_RSRC2:TGID_Z_EN: 0
; COMPUTE_PGM_RSRC2:TIDIG_COMP_CNT: 0
; COMPUTE_PGM_RSRC3_GFX90A:ACCUM_OFFSET: 0
; COMPUTE_PGM_RSRC3_GFX90A:TG_SPLIT: 0
	.section	.text._ZN7rocprim17ROCPRIM_400000_NS6detail17trampoline_kernelINS0_14default_configENS1_27scan_by_key_config_selectorIssEEZZNS1_16scan_by_key_implILNS1_25lookback_scan_determinismE0ELb1ES3_N6thrust23THRUST_200600_302600_NS6detail15normal_iteratorINS9_10device_ptrIsEEEESE_SE_sNS9_4plusIvEENS9_8equal_toIsEEsEE10hipError_tPvRmT2_T3_T4_T5_mT6_T7_P12ihipStream_tbENKUlT_T0_E_clISt17integral_constantIbLb0EESY_IbLb1EEEEDaSU_SV_EUlSU_E_NS1_11comp_targetILNS1_3genE5ELNS1_11target_archE942ELNS1_3gpuE9ELNS1_3repE0EEENS1_30default_config_static_selectorELNS0_4arch9wavefront6targetE1EEEvT1_,"axG",@progbits,_ZN7rocprim17ROCPRIM_400000_NS6detail17trampoline_kernelINS0_14default_configENS1_27scan_by_key_config_selectorIssEEZZNS1_16scan_by_key_implILNS1_25lookback_scan_determinismE0ELb1ES3_N6thrust23THRUST_200600_302600_NS6detail15normal_iteratorINS9_10device_ptrIsEEEESE_SE_sNS9_4plusIvEENS9_8equal_toIsEEsEE10hipError_tPvRmT2_T3_T4_T5_mT6_T7_P12ihipStream_tbENKUlT_T0_E_clISt17integral_constantIbLb0EESY_IbLb1EEEEDaSU_SV_EUlSU_E_NS1_11comp_targetILNS1_3genE5ELNS1_11target_archE942ELNS1_3gpuE9ELNS1_3repE0EEENS1_30default_config_static_selectorELNS0_4arch9wavefront6targetE1EEEvT1_,comdat
	.protected	_ZN7rocprim17ROCPRIM_400000_NS6detail17trampoline_kernelINS0_14default_configENS1_27scan_by_key_config_selectorIssEEZZNS1_16scan_by_key_implILNS1_25lookback_scan_determinismE0ELb1ES3_N6thrust23THRUST_200600_302600_NS6detail15normal_iteratorINS9_10device_ptrIsEEEESE_SE_sNS9_4plusIvEENS9_8equal_toIsEEsEE10hipError_tPvRmT2_T3_T4_T5_mT6_T7_P12ihipStream_tbENKUlT_T0_E_clISt17integral_constantIbLb0EESY_IbLb1EEEEDaSU_SV_EUlSU_E_NS1_11comp_targetILNS1_3genE5ELNS1_11target_archE942ELNS1_3gpuE9ELNS1_3repE0EEENS1_30default_config_static_selectorELNS0_4arch9wavefront6targetE1EEEvT1_ ; -- Begin function _ZN7rocprim17ROCPRIM_400000_NS6detail17trampoline_kernelINS0_14default_configENS1_27scan_by_key_config_selectorIssEEZZNS1_16scan_by_key_implILNS1_25lookback_scan_determinismE0ELb1ES3_N6thrust23THRUST_200600_302600_NS6detail15normal_iteratorINS9_10device_ptrIsEEEESE_SE_sNS9_4plusIvEENS9_8equal_toIsEEsEE10hipError_tPvRmT2_T3_T4_T5_mT6_T7_P12ihipStream_tbENKUlT_T0_E_clISt17integral_constantIbLb0EESY_IbLb1EEEEDaSU_SV_EUlSU_E_NS1_11comp_targetILNS1_3genE5ELNS1_11target_archE942ELNS1_3gpuE9ELNS1_3repE0EEENS1_30default_config_static_selectorELNS0_4arch9wavefront6targetE1EEEvT1_
	.globl	_ZN7rocprim17ROCPRIM_400000_NS6detail17trampoline_kernelINS0_14default_configENS1_27scan_by_key_config_selectorIssEEZZNS1_16scan_by_key_implILNS1_25lookback_scan_determinismE0ELb1ES3_N6thrust23THRUST_200600_302600_NS6detail15normal_iteratorINS9_10device_ptrIsEEEESE_SE_sNS9_4plusIvEENS9_8equal_toIsEEsEE10hipError_tPvRmT2_T3_T4_T5_mT6_T7_P12ihipStream_tbENKUlT_T0_E_clISt17integral_constantIbLb0EESY_IbLb1EEEEDaSU_SV_EUlSU_E_NS1_11comp_targetILNS1_3genE5ELNS1_11target_archE942ELNS1_3gpuE9ELNS1_3repE0EEENS1_30default_config_static_selectorELNS0_4arch9wavefront6targetE1EEEvT1_
	.p2align	8
	.type	_ZN7rocprim17ROCPRIM_400000_NS6detail17trampoline_kernelINS0_14default_configENS1_27scan_by_key_config_selectorIssEEZZNS1_16scan_by_key_implILNS1_25lookback_scan_determinismE0ELb1ES3_N6thrust23THRUST_200600_302600_NS6detail15normal_iteratorINS9_10device_ptrIsEEEESE_SE_sNS9_4plusIvEENS9_8equal_toIsEEsEE10hipError_tPvRmT2_T3_T4_T5_mT6_T7_P12ihipStream_tbENKUlT_T0_E_clISt17integral_constantIbLb0EESY_IbLb1EEEEDaSU_SV_EUlSU_E_NS1_11comp_targetILNS1_3genE5ELNS1_11target_archE942ELNS1_3gpuE9ELNS1_3repE0EEENS1_30default_config_static_selectorELNS0_4arch9wavefront6targetE1EEEvT1_,@function
_ZN7rocprim17ROCPRIM_400000_NS6detail17trampoline_kernelINS0_14default_configENS1_27scan_by_key_config_selectorIssEEZZNS1_16scan_by_key_implILNS1_25lookback_scan_determinismE0ELb1ES3_N6thrust23THRUST_200600_302600_NS6detail15normal_iteratorINS9_10device_ptrIsEEEESE_SE_sNS9_4plusIvEENS9_8equal_toIsEEsEE10hipError_tPvRmT2_T3_T4_T5_mT6_T7_P12ihipStream_tbENKUlT_T0_E_clISt17integral_constantIbLb0EESY_IbLb1EEEEDaSU_SV_EUlSU_E_NS1_11comp_targetILNS1_3genE5ELNS1_11target_archE942ELNS1_3gpuE9ELNS1_3repE0EEENS1_30default_config_static_selectorELNS0_4arch9wavefront6targetE1EEEvT1_: ; @_ZN7rocprim17ROCPRIM_400000_NS6detail17trampoline_kernelINS0_14default_configENS1_27scan_by_key_config_selectorIssEEZZNS1_16scan_by_key_implILNS1_25lookback_scan_determinismE0ELb1ES3_N6thrust23THRUST_200600_302600_NS6detail15normal_iteratorINS9_10device_ptrIsEEEESE_SE_sNS9_4plusIvEENS9_8equal_toIsEEsEE10hipError_tPvRmT2_T3_T4_T5_mT6_T7_P12ihipStream_tbENKUlT_T0_E_clISt17integral_constantIbLb0EESY_IbLb1EEEEDaSU_SV_EUlSU_E_NS1_11comp_targetILNS1_3genE5ELNS1_11target_archE942ELNS1_3gpuE9ELNS1_3repE0EEENS1_30default_config_static_selectorELNS0_4arch9wavefront6targetE1EEEvT1_
; %bb.0:
	s_load_dword s74, s[0:1], 0x20
	s_load_dwordx4 s[64:67], s[0:1], 0x28
	s_load_dwordx2 s[72:73], s[0:1], 0x38
	v_cmp_eq_u32_e64 s[52:53], 0, v0
	s_and_saveexec_b64 s[2:3], s[52:53]
	s_cbranch_execz .LBB670_4
; %bb.1:
	s_mov_b64 s[6:7], exec
	v_mbcnt_lo_u32_b32 v1, s6, 0
	v_mbcnt_hi_u32_b32 v1, s7, v1
	v_cmp_eq_u32_e32 vcc, 0, v1
                                        ; implicit-def: $vgpr2
	s_and_saveexec_b64 s[4:5], vcc
	s_cbranch_execz .LBB670_3
; %bb.2:
	s_load_dwordx2 s[8:9], s[0:1], 0x68
	s_bcnt1_i32_b64 s6, s[6:7]
	v_mov_b32_e32 v2, 0
	v_mov_b32_e32 v3, s6
	s_waitcnt lgkmcnt(0)
	global_atomic_add v2, v2, v3, s[8:9] sc0
.LBB670_3:
	s_or_b64 exec, exec, s[4:5]
	s_waitcnt vmcnt(0)
	v_readfirstlane_b32 s4, v2
	v_mov_b32_e32 v2, 0
	s_nop 0
	v_add_u32_e32 v1, s4, v1
	ds_write_b32 v2, v1
.LBB670_4:
	s_or_b64 exec, exec, s[2:3]
	s_load_dwordx8 s[56:63], s[0:1], 0x0
	s_load_dword s2, s[0:1], 0x40
	s_load_dwordx4 s[68:71], s[0:1], 0x48
	v_mov_b32_e32 v3, 0
	s_waitcnt lgkmcnt(0)
	s_lshl_b64 s[54:55], s[58:59], 1
	s_barrier
	ds_read_b32 v2, v3
	s_add_u32 s0, s56, s54
	s_addc_u32 s1, s57, s55
	s_add_u32 s4, s60, s54
	s_mul_i32 s3, s73, s2
	s_mul_hi_u32 s6, s72, s2
	s_addc_u32 s5, s61, s55
	s_add_i32 s3, s6, s3
	s_movk_i32 s6, 0x1800
	s_waitcnt lgkmcnt(0)
	v_mul_lo_u32 v4, v2, s6
	v_mov_b32_e32 v5, v3
	v_lshlrev_b64 v[26:27], 1, v[4:5]
	s_mul_i32 s2, s72, s2
	v_lshl_add_u64 v[18:19], s[4:5], 0, v[26:27]
	s_add_u32 s4, s68, -1
	v_readfirstlane_b32 s67, v2
	v_lshl_add_u64 v[2:3], s[2:3], 0, v[2:3]
	s_addc_u32 s5, s69, -1
	v_cmp_le_u64_e64 s[2:3], s[4:5], v[2:3]
	v_lshl_add_u64 v[20:21], s[0:1], 0, v[26:27]
	s_mov_b64 s[0:1], -1
	s_and_b64 vcc, exec, s[2:3]
	s_mul_i32 s33, s4, 0xffffe800
	s_barrier
	s_barrier
	s_cbranch_vccz .LBB670_130
; %bb.5:
	flat_load_ushort v1, v[20:21]
	s_add_i32 s69, s33, s66
	v_cmp_gt_u32_e32 vcc, s69, v0
	s_waitcnt vmcnt(0) lgkmcnt(0)
	v_mov_b32_e32 v2, v1
	s_and_saveexec_b64 s[0:1], vcc
	s_cbranch_execz .LBB670_7
; %bb.6:
	v_lshlrev_b32_e32 v2, 1, v0
	v_mov_b32_e32 v3, 0
	v_lshl_add_u64 v[2:3], v[20:21], 0, v[2:3]
	flat_load_ushort v2, v[2:3]
.LBB670_7:
	s_or_b64 exec, exec, s[0:1]
	v_or_b32_e32 v3, 0x100, v0
	v_cmp_gt_u32_e64 s[4:5], s69, v3
	v_mov_b32_e32 v3, v1
	s_and_saveexec_b64 s[0:1], s[4:5]
	s_cbranch_execz .LBB670_9
; %bb.8:
	v_lshlrev_b32_e32 v4, 1, v0
	v_mov_b32_e32 v5, 0
	v_lshl_add_u64 v[4:5], v[20:21], 0, v[4:5]
	flat_load_ushort v3, v[4:5] offset:512
.LBB670_9:
	s_or_b64 exec, exec, s[0:1]
	v_or_b32_e32 v4, 0x200, v0
	v_cmp_gt_u32_e64 s[6:7], s69, v4
	v_mov_b32_e32 v4, v1
	s_and_saveexec_b64 s[0:1], s[6:7]
	s_cbranch_execz .LBB670_11
; %bb.10:
	v_lshlrev_b32_e32 v4, 1, v0
	v_mov_b32_e32 v5, 0
	v_lshl_add_u64 v[4:5], v[20:21], 0, v[4:5]
	flat_load_ushort v4, v[4:5] offset:1024
.LBB670_11:
	;; [unrolled: 12-line block ×7, first 2 shown]
	s_or_b64 exec, exec, s[0:1]
	v_or_b32_e32 v10, 0x800, v0
	v_cmp_gt_u32_e64 s[18:19], s69, v10
	v_lshlrev_b32_e32 v14, 1, v10
	v_mov_b32_e32 v10, v1
	s_and_saveexec_b64 s[0:1], s[18:19]
	s_cbranch_execz .LBB670_23
; %bb.22:
	v_mov_b32_e32 v15, 0
	v_lshl_add_u64 v[10:11], v[20:21], 0, v[14:15]
	flat_load_ushort v10, v[10:11]
.LBB670_23:
	s_or_b64 exec, exec, s[0:1]
	v_or_b32_e32 v11, 0x900, v0
	v_cmp_gt_u32_e64 s[20:21], s69, v11
	v_lshlrev_b32_e32 v16, 1, v11
	v_mov_b32_e32 v11, v1
	s_and_saveexec_b64 s[0:1], s[20:21]
	s_cbranch_execz .LBB670_25
; %bb.24:
	v_mov_b32_e32 v17, 0
	v_lshl_add_u64 v[12:13], v[20:21], 0, v[16:17]
	flat_load_ushort v11, v[12:13]
.LBB670_25:
	;; [unrolled: 12-line block ×15, first 2 shown]
	s_or_b64 exec, exec, s[0:1]
	v_or_b32_e32 v42, 0x1700, v0
	v_cmp_gt_u32_e64 s[50:51], s69, v42
	v_lshlrev_b32_e32 v52, 1, v42
	s_and_saveexec_b64 s[0:1], s[50:51]
	s_cbranch_execz .LBB670_53
; %bb.52:
	v_mov_b32_e32 v53, 0
	v_lshl_add_u64 v[42:43], v[20:21], 0, v[52:53]
	flat_load_ushort v1, v[42:43]
.LBB670_53:
	s_or_b64 exec, exec, s[0:1]
	v_lshlrev_b32_e32 v42, 1, v0
	s_waitcnt vmcnt(0) lgkmcnt(0)
	ds_write_b16 v42, v2
	ds_write_b16 v42, v3 offset:512
	ds_write_b16 v42, v4 offset:1024
	;; [unrolled: 1-line block ×23, first 2 shown]
	s_waitcnt lgkmcnt(0)
	s_barrier
	flat_load_ushort v54, v[20:21]
	v_mad_u32_u24 v55, v0, 46, v42
	ds_read_b128 v[10:13], v55
	ds_read_b128 v[6:9], v55 offset:16
	ds_read_b128 v[2:5], v55 offset:32
	s_movk_i32 s0, 0xffd2
	v_mad_i32_i24 v1, v0, s0, v55
	s_movk_i32 s0, 0xff
	v_cmp_ne_u32_e64 s[0:1], s0, v0
	s_waitcnt lgkmcnt(0)
	ds_write_b16 v1, v10 offset:12800
	s_waitcnt lgkmcnt(0)
	s_barrier
	s_and_saveexec_b64 s[56:57], s[0:1]
	s_cbranch_execz .LBB670_55
; %bb.54:
	s_waitcnt vmcnt(0)
	ds_read_u16 v54, v42 offset:12802
.LBB670_55:
	s_or_b64 exec, exec, s[56:57]
	v_mov_b32_e32 v43, 0
	s_waitcnt lgkmcnt(0)
	s_barrier
	s_waitcnt lgkmcnt(0)
                                        ; implicit-def: $vgpr1
	s_and_saveexec_b64 s[0:1], vcc
	s_cbranch_execz .LBB670_205
; %bb.56:
	v_lshl_add_u64 v[56:57], v[18:19], 0, v[42:43]
	flat_load_ushort v1, v[56:57]
	s_or_b64 exec, exec, s[0:1]
                                        ; implicit-def: $vgpr56
	s_and_saveexec_b64 s[0:1], s[4:5]
	s_cbranch_execnz .LBB670_206
.LBB670_57:
	s_or_b64 exec, exec, s[0:1]
                                        ; implicit-def: $vgpr57
	s_and_saveexec_b64 s[0:1], s[6:7]
	s_cbranch_execz .LBB670_207
.LBB670_58:
	v_mov_b32_e32 v43, 0
	v_lshl_add_u64 v[58:59], v[18:19], 0, v[42:43]
	flat_load_ushort v57, v[58:59] offset:1024
	s_or_b64 exec, exec, s[0:1]
                                        ; implicit-def: $vgpr58
	s_and_saveexec_b64 s[0:1], s[8:9]
	s_cbranch_execnz .LBB670_208
.LBB670_59:
	s_or_b64 exec, exec, s[0:1]
                                        ; implicit-def: $vgpr59
	s_and_saveexec_b64 s[0:1], s[10:11]
	s_cbranch_execz .LBB670_209
.LBB670_60:
	v_mov_b32_e32 v43, 0
	v_lshl_add_u64 v[60:61], v[18:19], 0, v[42:43]
	flat_load_ushort v59, v[60:61] offset:2048
	s_or_b64 exec, exec, s[0:1]
                                        ; implicit-def: $vgpr60
	s_and_saveexec_b64 s[0:1], s[12:13]
	s_cbranch_execnz .LBB670_210
.LBB670_61:
	s_or_b64 exec, exec, s[0:1]
                                        ; implicit-def: $vgpr61
	s_and_saveexec_b64 s[0:1], s[14:15]
	s_cbranch_execz .LBB670_211
.LBB670_62:
	v_mov_b32_e32 v43, 0
	v_lshl_add_u64 v[62:63], v[18:19], 0, v[42:43]
	flat_load_ushort v61, v[62:63] offset:3072
	s_or_b64 exec, exec, s[0:1]
                                        ; implicit-def: $vgpr43
	s_and_saveexec_b64 s[0:1], s[16:17]
	s_cbranch_execnz .LBB670_212
.LBB670_63:
	s_or_b64 exec, exec, s[0:1]
                                        ; implicit-def: $vgpr15
	s_and_saveexec_b64 s[0:1], s[18:19]
	s_cbranch_execz .LBB670_213
.LBB670_64:
	v_mov_b32_e32 v15, 0
	v_lshl_add_u64 v[14:15], v[18:19], 0, v[14:15]
	flat_load_ushort v15, v[14:15]
	s_or_b64 exec, exec, s[0:1]
                                        ; implicit-def: $vgpr14
	s_and_saveexec_b64 s[0:1], s[20:21]
	s_cbranch_execnz .LBB670_214
.LBB670_65:
	s_or_b64 exec, exec, s[0:1]
                                        ; implicit-def: $vgpr16
	s_and_saveexec_b64 s[0:1], s[22:23]
	s_cbranch_execz .LBB670_215
.LBB670_66:
	v_mov_b32_e32 v23, 0
	v_lshl_add_u64 v[16:17], v[18:19], 0, v[22:23]
	flat_load_ushort v16, v[16:17]
	s_or_b64 exec, exec, s[0:1]
                                        ; implicit-def: $vgpr17
	s_and_saveexec_b64 s[0:1], s[24:25]
	s_cbranch_execnz .LBB670_216
.LBB670_67:
	s_or_b64 exec, exec, s[0:1]
                                        ; implicit-def: $vgpr22
	s_and_saveexec_b64 s[0:1], s[26:27]
	s_cbranch_execz .LBB670_217
.LBB670_68:
	v_mov_b32_e32 v29, 0
	v_lshl_add_u64 v[22:23], v[18:19], 0, v[28:29]
	flat_load_ushort v22, v[22:23]
	s_or_b64 exec, exec, s[0:1]
                                        ; implicit-def: $vgpr23
	s_and_saveexec_b64 s[0:1], s[28:29]
	s_cbranch_execnz .LBB670_218
.LBB670_69:
	s_or_b64 exec, exec, s[0:1]
                                        ; implicit-def: $vgpr24
	s_and_saveexec_b64 s[0:1], s[30:31]
	s_cbranch_execz .LBB670_219
.LBB670_70:
	v_mov_b32_e32 v33, 0
	v_lshl_add_u64 v[24:25], v[18:19], 0, v[32:33]
	flat_load_ushort v24, v[24:25]
	s_or_b64 exec, exec, s[0:1]
                                        ; implicit-def: $vgpr25
	s_and_saveexec_b64 s[0:1], s[34:35]
	s_cbranch_execnz .LBB670_220
.LBB670_71:
	s_or_b64 exec, exec, s[0:1]
                                        ; implicit-def: $vgpr29
	s_and_saveexec_b64 s[0:1], s[36:37]
	s_cbranch_execz .LBB670_221
.LBB670_72:
	v_mov_b32_e32 v37, 0
	v_lshl_add_u64 v[28:29], v[18:19], 0, v[36:37]
	flat_load_ushort v29, v[28:29]
	s_or_b64 exec, exec, s[0:1]
                                        ; implicit-def: $vgpr30
	s_and_saveexec_b64 s[0:1], s[38:39]
	s_cbranch_execnz .LBB670_222
.LBB670_73:
	s_or_b64 exec, exec, s[0:1]
                                        ; implicit-def: $vgpr31
	s_and_saveexec_b64 s[0:1], s[40:41]
	s_cbranch_execz .LBB670_223
.LBB670_74:
	v_mov_b32_e32 v41, 0
	v_lshl_add_u64 v[32:33], v[18:19], 0, v[40:41]
	flat_load_ushort v31, v[32:33]
	s_or_b64 exec, exec, s[0:1]
                                        ; implicit-def: $vgpr32
	s_and_saveexec_b64 s[0:1], s[42:43]
	s_cbranch_execnz .LBB670_224
.LBB670_75:
	s_or_b64 exec, exec, s[0:1]
                                        ; implicit-def: $vgpr33
	s_and_saveexec_b64 s[0:1], s[44:45]
	s_cbranch_execz .LBB670_225
.LBB670_76:
	v_mov_b32_e32 v47, 0
	v_lshl_add_u64 v[34:35], v[18:19], 0, v[46:47]
	flat_load_ushort v33, v[34:35]
	s_or_b64 exec, exec, s[0:1]
                                        ; implicit-def: $vgpr34
	s_and_saveexec_b64 s[0:1], s[46:47]
	s_cbranch_execnz .LBB670_226
.LBB670_77:
	s_or_b64 exec, exec, s[0:1]
                                        ; implicit-def: $vgpr35
	s_and_saveexec_b64 s[0:1], s[48:49]
	s_cbranch_execz .LBB670_79
.LBB670_78:
	v_mov_b32_e32 v51, 0
	v_lshl_add_u64 v[36:37], v[18:19], 0, v[50:51]
	flat_load_ushort v35, v[36:37]
.LBB670_79:
	s_or_b64 exec, exec, s[0:1]
	v_mul_u32_u24_e32 v28, 24, v0
                                        ; implicit-def: $vgpr36
	s_and_saveexec_b64 s[0:1], s[50:51]
	s_cbranch_execz .LBB670_81
; %bb.80:
	v_mov_b32_e32 v53, 0
	v_lshl_add_u64 v[36:37], v[18:19], 0, v[52:53]
	flat_load_ushort v36, v[36:37]
.LBB670_81:
	s_or_b64 exec, exec, s[0:1]
	s_waitcnt vmcnt(0) lgkmcnt(0)
	ds_write_b16 v42, v1
	ds_write_b16 v42, v56 offset:512
	ds_write_b16 v42, v57 offset:1024
	;; [unrolled: 1-line block ×23, first 2 shown]
	v_cmp_gt_u32_e32 vcc, s69, v28
	s_mov_b64 s[0:1], 0
	s_mov_b32 s68, 0
	v_mov_b32_e32 v1, 0
	s_mov_b64 s[8:9], 0
	v_mov_b32_e32 v25, 0
	v_mov_b32_e32 v29, 0
	;; [unrolled: 1-line block ×22, first 2 shown]
	s_waitcnt lgkmcnt(0)
	s_barrier
	s_waitcnt lgkmcnt(0)
                                        ; implicit-def: $sgpr6_sgpr7
                                        ; implicit-def: $vgpr47
	s_and_saveexec_b64 s[4:5], vcc
	s_cbranch_execz .LBB670_129
; %bb.82:
	ds_read_u16 v1, v55
	v_mov_b32_e32 v15, s74
	v_cmp_eq_u16_sdwa vcc, v10, v10 src0_sel:DWORD src1_sel:WORD_1
	v_cmp_ne_u16_sdwa s[6:7], v10, v10 src0_sel:DWORD src1_sel:WORD_1
	v_or_b32_e32 v14, 1, v28
	s_waitcnt lgkmcnt(0)
	v_cndmask_b32_e32 v1, v15, v1, vcc
	v_and_b32_e32 v1, 0xffff, v1
	v_cndmask_b32_e64 v15, 0, 1, s[6:7]
	v_lshl_or_b32 v1, v15, 16, v1
	v_cmp_gt_u32_e32 vcc, s69, v14
	v_mov_b32_e32 v25, 0
	v_mov_b32_e32 v29, 0
	;; [unrolled: 1-line block ×22, first 2 shown]
                                        ; implicit-def: $sgpr10_sgpr11
                                        ; implicit-def: $vgpr47
	s_and_saveexec_b64 s[6:7], vcc
	s_cbranch_execz .LBB670_128
; %bb.83:
	ds_read_b128 v[14:17], v55 offset:2
	v_mov_b32_e32 v23, s74
	v_cmp_eq_u16_sdwa vcc, v10, v11 src0_sel:WORD_1 src1_sel:DWORD
	v_cmp_ne_u16_sdwa s[8:9], v10, v11 src0_sel:WORD_1 src1_sel:DWORD
	v_or_b32_e32 v22, 2, v28
	s_waitcnt lgkmcnt(0)
	v_cndmask_b32_e32 v23, v23, v14, vcc
	v_and_b32_e32 v23, 0xffff, v23
	v_cndmask_b32_e64 v10, 0, 1, s[8:9]
	v_lshl_or_b32 v25, v10, 16, v23
	v_cmp_gt_u32_e32 vcc, s69, v22
	s_mov_b64 s[12:13], 0
	v_mov_b32_e32 v29, 0
	v_mov_b32_e32 v30, 0
	;; [unrolled: 1-line block ×21, first 2 shown]
                                        ; implicit-def: $sgpr10_sgpr11
                                        ; implicit-def: $vgpr47
	s_and_saveexec_b64 s[8:9], vcc
	s_cbranch_execz .LBB670_127
; %bb.84:
	v_lshrrev_b32_e32 v10, 16, v14
	v_mov_b32_e32 v22, s74
	v_cmp_eq_u16_sdwa vcc, v11, v11 src0_sel:DWORD src1_sel:WORD_1
	v_cmp_ne_u16_sdwa s[10:11], v11, v11 src0_sel:DWORD src1_sel:WORD_1
	v_or_b32_e32 v14, 3, v28
	v_cndmask_b32_e32 v10, v22, v10, vcc
	v_and_b32_e32 v10, 0xffff, v10
	v_cndmask_b32_e64 v22, 0, 1, s[10:11]
	v_lshl_or_b32 v29, v22, 16, v10
	v_cmp_gt_u32_e32 vcc, s69, v14
	v_mov_b32_e32 v30, 0
	v_mov_b32_e32 v31, 0
	;; [unrolled: 1-line block ×20, first 2 shown]
                                        ; implicit-def: $sgpr14_sgpr15
                                        ; implicit-def: $vgpr47
	s_and_saveexec_b64 s[10:11], vcc
	s_cbranch_execz .LBB670_126
; %bb.85:
	v_mov_b32_e32 v14, s74
	v_cmp_eq_u16_sdwa vcc, v11, v12 src0_sel:WORD_1 src1_sel:DWORD
	v_cmp_ne_u16_sdwa s[12:13], v11, v12 src0_sel:WORD_1 src1_sel:DWORD
	v_or_b32_e32 v10, 4, v28
	v_cndmask_b32_e32 v14, v14, v15, vcc
	v_and_b32_e32 v14, 0xffff, v14
	v_cndmask_b32_e64 v11, 0, 1, s[12:13]
	v_lshl_or_b32 v30, v11, 16, v14
	v_cmp_gt_u32_e32 vcc, s69, v10
	s_mov_b64 s[16:17], 0
	v_mov_b32_e32 v31, 0
	v_mov_b32_e32 v32, 0
	;; [unrolled: 1-line block ×19, first 2 shown]
                                        ; implicit-def: $sgpr14_sgpr15
                                        ; implicit-def: $vgpr47
	s_and_saveexec_b64 s[12:13], vcc
	s_cbranch_execz .LBB670_125
; %bb.86:
	v_lshrrev_b32_e32 v10, 16, v15
	v_mov_b32_e32 v14, s74
	v_cmp_eq_u16_sdwa vcc, v12, v12 src0_sel:DWORD src1_sel:WORD_1
	v_cmp_ne_u16_sdwa s[14:15], v12, v12 src0_sel:DWORD src1_sel:WORD_1
	v_or_b32_e32 v11, 5, v28
	v_cndmask_b32_e32 v10, v14, v10, vcc
	v_and_b32_e32 v10, 0xffff, v10
	v_cndmask_b32_e64 v14, 0, 1, s[14:15]
	v_lshl_or_b32 v31, v14, 16, v10
	v_cmp_gt_u32_e32 vcc, s69, v11
	v_mov_b32_e32 v32, 0
	v_mov_b32_e32 v33, 0
	;; [unrolled: 1-line block ×18, first 2 shown]
                                        ; implicit-def: $sgpr18_sgpr19
                                        ; implicit-def: $vgpr47
	s_and_saveexec_b64 s[14:15], vcc
	s_cbranch_execz .LBB670_124
; %bb.87:
	v_mov_b32_e32 v11, s74
	v_cmp_eq_u16_sdwa vcc, v12, v13 src0_sel:WORD_1 src1_sel:DWORD
	v_cmp_ne_u16_sdwa s[16:17], v12, v13 src0_sel:WORD_1 src1_sel:DWORD
	v_or_b32_e32 v10, 6, v28
	v_cndmask_b32_e32 v11, v11, v16, vcc
	v_and_b32_e32 v11, 0xffff, v11
	v_cndmask_b32_e64 v12, 0, 1, s[16:17]
	v_lshl_or_b32 v32, v12, 16, v11
	v_cmp_gt_u32_e32 vcc, s69, v10
	s_mov_b64 s[20:21], 0
	v_mov_b32_e32 v33, 0
	v_mov_b32_e32 v34, 0
	;; [unrolled: 1-line block ×17, first 2 shown]
                                        ; implicit-def: $sgpr18_sgpr19
                                        ; implicit-def: $vgpr47
	s_and_saveexec_b64 s[16:17], vcc
	s_cbranch_execz .LBB670_123
; %bb.88:
	v_lshrrev_b32_e32 v10, 16, v16
	v_mov_b32_e32 v12, s74
	v_cmp_eq_u16_sdwa vcc, v13, v13 src0_sel:DWORD src1_sel:WORD_1
	v_cmp_ne_u16_sdwa s[18:19], v13, v13 src0_sel:DWORD src1_sel:WORD_1
	v_or_b32_e32 v11, 7, v28
	v_cndmask_b32_e32 v10, v12, v10, vcc
	v_and_b32_e32 v10, 0xffff, v10
	v_cndmask_b32_e64 v12, 0, 1, s[18:19]
	v_lshl_or_b32 v33, v12, 16, v10
	v_cmp_gt_u32_e32 vcc, s69, v11
	v_mov_b32_e32 v34, 0
	v_mov_b32_e32 v35, 0
	;; [unrolled: 1-line block ×16, first 2 shown]
                                        ; implicit-def: $sgpr22_sgpr23
                                        ; implicit-def: $vgpr47
	s_and_saveexec_b64 s[18:19], vcc
	s_cbranch_execz .LBB670_122
; %bb.89:
	v_mov_b32_e32 v11, s74
	v_cmp_eq_u16_sdwa vcc, v13, v6 src0_sel:WORD_1 src1_sel:DWORD
	v_cmp_ne_u16_sdwa s[20:21], v13, v6 src0_sel:WORD_1 src1_sel:DWORD
	v_add_u32_e32 v10, 8, v28
	v_cndmask_b32_e32 v11, v11, v17, vcc
	v_and_b32_e32 v11, 0xffff, v11
	v_cndmask_b32_e64 v12, 0, 1, s[20:21]
	v_lshl_or_b32 v34, v12, 16, v11
	v_cmp_gt_u32_e32 vcc, s69, v10
	s_mov_b64 s[24:25], 0
	v_mov_b32_e32 v35, 0
	v_mov_b32_e32 v36, 0
	;; [unrolled: 1-line block ×15, first 2 shown]
                                        ; implicit-def: $sgpr22_sgpr23
                                        ; implicit-def: $vgpr47
	s_and_saveexec_b64 s[20:21], vcc
	s_cbranch_execz .LBB670_121
; %bb.90:
	v_lshrrev_b32_e32 v10, 16, v17
	v_mov_b32_e32 v12, s74
	v_cmp_eq_u16_sdwa vcc, v6, v6 src0_sel:DWORD src1_sel:WORD_1
	v_cmp_ne_u16_sdwa s[22:23], v6, v6 src0_sel:DWORD src1_sel:WORD_1
	v_add_u32_e32 v11, 9, v28
	v_cndmask_b32_e32 v10, v12, v10, vcc
	v_and_b32_e32 v10, 0xffff, v10
	v_cndmask_b32_e64 v12, 0, 1, s[22:23]
	v_lshl_or_b32 v35, v12, 16, v10
	v_cmp_gt_u32_e32 vcc, s69, v11
	v_mov_b32_e32 v36, 0
	v_mov_b32_e32 v37, 0
	v_mov_b32_e32 v38, 0
	v_mov_b32_e32 v39, 0
	v_mov_b32_e32 v40, 0
	v_mov_b32_e32 v41, 0
	v_mov_b32_e32 v42, 0
	v_mov_b32_e32 v43, 0
	v_mov_b32_e32 v22, 0
	v_mov_b32_e32 v44, 0
	v_mov_b32_e32 v23, 0
	v_mov_b32_e32 v45, 0
	v_mov_b32_e32 v24, 0
	v_mov_b32_e32 v46, 0
                                        ; implicit-def: $sgpr26_sgpr27
                                        ; implicit-def: $vgpr47
	s_and_saveexec_b64 s[22:23], vcc
	s_cbranch_execz .LBB670_120
; %bb.91:
	ds_read_b128 v[10:13], v55 offset:18
	v_mov_b32_e32 v15, s74
	v_cmp_eq_u16_sdwa vcc, v6, v7 src0_sel:WORD_1 src1_sel:DWORD
	v_cmp_ne_u16_sdwa s[24:25], v6, v7 src0_sel:WORD_1 src1_sel:DWORD
	v_add_u32_e32 v14, 10, v28
	s_waitcnt lgkmcnt(0)
	v_cndmask_b32_e32 v15, v15, v10, vcc
	v_and_b32_e32 v15, 0xffff, v15
	v_cndmask_b32_e64 v6, 0, 1, s[24:25]
	v_lshl_or_b32 v36, v6, 16, v15
	v_cmp_gt_u32_e32 vcc, s69, v14
	s_mov_b64 s[28:29], 0
	v_mov_b32_e32 v37, 0
	v_mov_b32_e32 v38, 0
	;; [unrolled: 1-line block ×13, first 2 shown]
                                        ; implicit-def: $sgpr26_sgpr27
                                        ; implicit-def: $vgpr47
	s_and_saveexec_b64 s[24:25], vcc
	s_cbranch_execz .LBB670_119
; %bb.92:
	v_lshrrev_b32_e32 v6, 16, v10
	v_mov_b32_e32 v14, s74
	v_cmp_eq_u16_sdwa vcc, v7, v7 src0_sel:DWORD src1_sel:WORD_1
	v_cmp_ne_u16_sdwa s[26:27], v7, v7 src0_sel:DWORD src1_sel:WORD_1
	v_add_u32_e32 v10, 11, v28
	v_cndmask_b32_e32 v6, v14, v6, vcc
	v_and_b32_e32 v6, 0xffff, v6
	v_cndmask_b32_e64 v14, 0, 1, s[26:27]
	v_lshl_or_b32 v37, v14, 16, v6
	v_cmp_gt_u32_e32 vcc, s69, v10
	v_mov_b32_e32 v38, 0
	v_mov_b32_e32 v39, 0
	;; [unrolled: 1-line block ×12, first 2 shown]
                                        ; implicit-def: $sgpr30_sgpr31
                                        ; implicit-def: $vgpr47
	s_and_saveexec_b64 s[26:27], vcc
	s_cbranch_execz .LBB670_118
; %bb.93:
	v_mov_b32_e32 v10, s74
	v_cmp_eq_u16_sdwa vcc, v7, v8 src0_sel:WORD_1 src1_sel:DWORD
	v_cmp_ne_u16_sdwa s[28:29], v7, v8 src0_sel:WORD_1 src1_sel:DWORD
	v_add_u32_e32 v6, 12, v28
	v_cndmask_b32_e32 v10, v10, v11, vcc
	v_and_b32_e32 v10, 0xffff, v10
	v_cndmask_b32_e64 v7, 0, 1, s[28:29]
	v_lshl_or_b32 v38, v7, 16, v10
	v_cmp_gt_u32_e32 vcc, s69, v6
	s_mov_b64 s[34:35], 0
	v_mov_b32_e32 v39, 0
	v_mov_b32_e32 v40, 0
	;; [unrolled: 1-line block ×11, first 2 shown]
                                        ; implicit-def: $sgpr30_sgpr31
                                        ; implicit-def: $vgpr47
	s_and_saveexec_b64 s[28:29], vcc
	s_cbranch_execz .LBB670_117
; %bb.94:
	v_lshrrev_b32_e32 v6, 16, v11
	v_mov_b32_e32 v10, s74
	v_cmp_eq_u16_sdwa vcc, v8, v8 src0_sel:DWORD src1_sel:WORD_1
	v_cmp_ne_u16_sdwa s[30:31], v8, v8 src0_sel:DWORD src1_sel:WORD_1
	v_add_u32_e32 v7, 13, v28
	v_cndmask_b32_e32 v6, v10, v6, vcc
	v_and_b32_e32 v6, 0xffff, v6
	v_cndmask_b32_e64 v10, 0, 1, s[30:31]
	v_lshl_or_b32 v39, v10, 16, v6
	v_cmp_gt_u32_e32 vcc, s69, v7
	v_mov_b32_e32 v40, 0
	v_mov_b32_e32 v41, 0
	;; [unrolled: 1-line block ×10, first 2 shown]
                                        ; implicit-def: $sgpr36_sgpr37
                                        ; implicit-def: $vgpr47
	s_and_saveexec_b64 s[30:31], vcc
	s_cbranch_execz .LBB670_116
; %bb.95:
	v_mov_b32_e32 v7, s74
	v_cmp_eq_u16_sdwa vcc, v8, v9 src0_sel:WORD_1 src1_sel:DWORD
	v_cmp_ne_u16_sdwa s[34:35], v8, v9 src0_sel:WORD_1 src1_sel:DWORD
	v_add_u32_e32 v6, 14, v28
	v_cndmask_b32_e32 v7, v7, v12, vcc
	v_and_b32_e32 v7, 0xffff, v7
	v_cndmask_b32_e64 v8, 0, 1, s[34:35]
	v_lshl_or_b32 v40, v8, 16, v7
	v_cmp_gt_u32_e32 vcc, s69, v6
	s_mov_b64 s[38:39], 0
	v_mov_b32_e32 v41, 0
	v_mov_b32_e32 v42, 0
	v_mov_b32_e32 v43, 0
	v_mov_b32_e32 v22, 0
	v_mov_b32_e32 v44, 0
	v_mov_b32_e32 v23, 0
	v_mov_b32_e32 v45, 0
	v_mov_b32_e32 v24, 0
	v_mov_b32_e32 v46, 0
                                        ; implicit-def: $sgpr36_sgpr37
                                        ; implicit-def: $vgpr47
	s_and_saveexec_b64 s[34:35], vcc
	s_cbranch_execz .LBB670_115
; %bb.96:
	v_lshrrev_b32_e32 v6, 16, v12
	v_mov_b32_e32 v8, s74
	v_cmp_eq_u16_sdwa vcc, v9, v9 src0_sel:DWORD src1_sel:WORD_1
	v_cmp_ne_u16_sdwa s[36:37], v9, v9 src0_sel:DWORD src1_sel:WORD_1
	v_add_u32_e32 v7, 15, v28
	v_cndmask_b32_e32 v6, v8, v6, vcc
	v_and_b32_e32 v6, 0xffff, v6
	v_cndmask_b32_e64 v8, 0, 1, s[36:37]
	v_lshl_or_b32 v41, v8, 16, v6
	v_cmp_gt_u32_e32 vcc, s69, v7
	v_mov_b32_e32 v42, 0
	v_mov_b32_e32 v43, 0
	;; [unrolled: 1-line block ×8, first 2 shown]
                                        ; implicit-def: $sgpr40_sgpr41
                                        ; implicit-def: $vgpr47
	s_and_saveexec_b64 s[36:37], vcc
	s_cbranch_execz .LBB670_114
; %bb.97:
	v_mov_b32_e32 v7, s74
	v_cmp_eq_u16_sdwa vcc, v9, v2 src0_sel:WORD_1 src1_sel:DWORD
	v_cmp_ne_u16_sdwa s[38:39], v9, v2 src0_sel:WORD_1 src1_sel:DWORD
	v_add_u32_e32 v6, 16, v28
	v_cndmask_b32_e32 v7, v7, v13, vcc
	v_and_b32_e32 v7, 0xffff, v7
	v_cndmask_b32_e64 v8, 0, 1, s[38:39]
	v_lshl_or_b32 v42, v8, 16, v7
	v_cmp_gt_u32_e32 vcc, s69, v6
	s_mov_b64 s[42:43], 0
	v_mov_b32_e32 v43, 0
	v_mov_b32_e32 v22, 0
	v_mov_b32_e32 v44, 0
	v_mov_b32_e32 v23, 0
	v_mov_b32_e32 v45, 0
	v_mov_b32_e32 v24, 0
	v_mov_b32_e32 v46, 0
                                        ; implicit-def: $sgpr40_sgpr41
                                        ; implicit-def: $vgpr47
	s_and_saveexec_b64 s[38:39], vcc
	s_cbranch_execz .LBB670_113
; %bb.98:
	v_lshrrev_b32_e32 v6, 16, v13
	v_mov_b32_e32 v8, s74
	v_cmp_eq_u16_sdwa vcc, v2, v2 src0_sel:DWORD src1_sel:WORD_1
	v_cmp_ne_u16_sdwa s[40:41], v2, v2 src0_sel:DWORD src1_sel:WORD_1
	v_add_u32_e32 v7, 17, v28
	v_cndmask_b32_e32 v6, v8, v6, vcc
	v_and_b32_e32 v6, 0xffff, v6
	v_cndmask_b32_e64 v8, 0, 1, s[40:41]
	v_lshl_or_b32 v43, v8, 16, v6
	v_cmp_gt_u32_e32 vcc, s69, v7
	v_mov_b32_e32 v22, 0
	v_mov_b32_e32 v44, 0
	;; [unrolled: 1-line block ×6, first 2 shown]
                                        ; implicit-def: $sgpr44_sgpr45
                                        ; implicit-def: $vgpr47
	s_and_saveexec_b64 s[40:41], vcc
	s_cbranch_execz .LBB670_112
; %bb.99:
	ds_read_b96 v[6:8], v55 offset:34
	v_mov_b32_e32 v10, s74
	v_cmp_eq_u16_sdwa vcc, v2, v3 src0_sel:WORD_1 src1_sel:DWORD
	v_cmp_ne_u16_sdwa s[42:43], v2, v3 src0_sel:WORD_1 src1_sel:DWORD
	v_add_u32_e32 v9, 18, v28
	s_waitcnt lgkmcnt(0)
	v_cndmask_b32_e32 v10, v10, v6, vcc
	v_and_b32_e32 v10, 0xffff, v10
	v_cndmask_b32_e64 v2, 0, 1, s[42:43]
	v_lshl_or_b32 v22, v2, 16, v10
	v_cmp_gt_u32_e32 vcc, s69, v9
	s_mov_b64 s[46:47], 0
	v_mov_b32_e32 v44, 0
	v_mov_b32_e32 v23, 0
	;; [unrolled: 1-line block ×5, first 2 shown]
                                        ; implicit-def: $sgpr44_sgpr45
                                        ; implicit-def: $vgpr47
	s_and_saveexec_b64 s[42:43], vcc
	s_cbranch_execz .LBB670_111
; %bb.100:
	v_lshrrev_b32_e32 v2, 16, v6
	v_mov_b32_e32 v9, s74
	v_cmp_eq_u16_sdwa vcc, v3, v3 src0_sel:DWORD src1_sel:WORD_1
	v_cmp_ne_u16_sdwa s[44:45], v3, v3 src0_sel:DWORD src1_sel:WORD_1
	v_add_u32_e32 v6, 19, v28
	v_cndmask_b32_e32 v2, v9, v2, vcc
	v_and_b32_e32 v2, 0xffff, v2
	v_cndmask_b32_e64 v9, 0, 1, s[44:45]
	v_lshl_or_b32 v44, v9, 16, v2
	v_cmp_gt_u32_e32 vcc, s69, v6
	v_mov_b32_e32 v23, 0
	v_mov_b32_e32 v45, 0
	;; [unrolled: 1-line block ×4, first 2 shown]
                                        ; implicit-def: $sgpr48_sgpr49
                                        ; implicit-def: $vgpr47
	s_and_saveexec_b64 s[44:45], vcc
	s_cbranch_execz .LBB670_110
; %bb.101:
	v_mov_b32_e32 v6, s74
	v_cmp_eq_u16_sdwa vcc, v3, v4 src0_sel:WORD_1 src1_sel:DWORD
	v_cmp_ne_u16_sdwa s[46:47], v3, v4 src0_sel:WORD_1 src1_sel:DWORD
	v_add_u32_e32 v2, 20, v28
	v_cndmask_b32_e32 v6, v6, v7, vcc
	v_and_b32_e32 v6, 0xffff, v6
	v_cndmask_b32_e64 v3, 0, 1, s[46:47]
	v_lshl_or_b32 v23, v3, 16, v6
	v_cmp_gt_u32_e32 vcc, s69, v2
	s_mov_b64 s[50:51], 0
	v_mov_b32_e32 v45, 0
	v_mov_b32_e32 v24, 0
	;; [unrolled: 1-line block ×3, first 2 shown]
                                        ; implicit-def: $sgpr48_sgpr49
                                        ; implicit-def: $vgpr47
	s_and_saveexec_b64 s[46:47], vcc
	s_cbranch_execz .LBB670_109
; %bb.102:
	v_lshrrev_b32_e32 v2, 16, v7
	v_mov_b32_e32 v6, s74
	v_cmp_eq_u16_sdwa vcc, v4, v4 src0_sel:DWORD src1_sel:WORD_1
	v_cmp_ne_u16_sdwa s[48:49], v4, v4 src0_sel:DWORD src1_sel:WORD_1
	v_add_u32_e32 v3, 21, v28
	v_cndmask_b32_e32 v2, v6, v2, vcc
	v_and_b32_e32 v2, 0xffff, v2
	v_cndmask_b32_e64 v6, 0, 1, s[48:49]
	v_lshl_or_b32 v45, v6, 16, v2
	v_cmp_gt_u32_e32 vcc, s69, v3
	v_mov_b32_e32 v24, 0
	v_mov_b32_e32 v46, 0
                                        ; implicit-def: $sgpr56_sgpr57
                                        ; implicit-def: $vgpr47
	s_and_saveexec_b64 s[48:49], vcc
	s_cbranch_execz .LBB670_108
; %bb.103:
	v_mov_b32_e32 v3, s74
	v_cmp_eq_u16_sdwa vcc, v4, v5 src0_sel:WORD_1 src1_sel:DWORD
	v_cmp_ne_u16_sdwa s[50:51], v4, v5 src0_sel:WORD_1 src1_sel:DWORD
	v_add_u32_e32 v2, 22, v28
	v_cndmask_b32_e32 v3, v3, v8, vcc
	v_and_b32_e32 v3, 0xffff, v3
	v_cndmask_b32_e64 v4, 0, 1, s[50:51]
	v_lshl_or_b32 v24, v4, 16, v3
	v_cmp_gt_u32_e32 vcc, s69, v2
	s_mov_b64 s[58:59], 0
	v_mov_b32_e32 v46, 0
                                        ; implicit-def: $sgpr60_sgpr61
                                        ; implicit-def: $vgpr47
	s_and_saveexec_b64 s[50:51], vcc
	s_cbranch_execz .LBB670_107
; %bb.104:
	v_lshrrev_b32_e32 v2, 16, v8
	v_mov_b32_e32 v4, s74
	v_cmp_eq_u16_sdwa vcc, v5, v5 src0_sel:DWORD src1_sel:WORD_1
	v_cmp_ne_u16_sdwa s[56:57], v5, v5 src0_sel:DWORD src1_sel:WORD_1
	v_add_u32_e32 v3, 23, v28
	v_cndmask_b32_e32 v2, v4, v2, vcc
	v_and_b32_e32 v2, 0xffff, v2
	v_cndmask_b32_e64 v4, 0, 1, s[56:57]
	v_lshl_or_b32 v46, v4, 16, v2
	v_cmp_gt_u32_e32 vcc, s69, v3
	s_mov_b64 s[56:57], 0
                                        ; implicit-def: $sgpr58_sgpr59
                                        ; implicit-def: $vgpr47
	s_and_saveexec_b64 s[60:61], vcc
	s_xor_b64 s[60:61], exec, s[60:61]
	s_cbranch_execz .LBB670_106
; %bb.105:
	ds_read_u16 v2, v55 offset:46
	v_mov_b32_e32 v3, s74
	v_cmp_ne_u16_sdwa vcc, v5, v54 src0_sel:WORD_1 src1_sel:DWORD
	s_mov_b64 s[56:57], exec
	s_and_b64 s[58:59], vcc, exec
	s_waitcnt lgkmcnt(0)
	v_cndmask_b32_e32 v47, v2, v3, vcc
.LBB670_106:
	s_or_b64 exec, exec, s[60:61]
	s_and_b64 s[60:61], s[58:59], exec
	s_and_b64 s[58:59], s[56:57], exec
.LBB670_107:
	s_or_b64 exec, exec, s[50:51]
	s_and_b64 s[56:57], s[60:61], exec
	s_and_b64 s[50:51], s[58:59], exec
.LBB670_108:
	s_or_b64 exec, exec, s[48:49]
	s_and_b64 s[48:49], s[56:57], exec
	s_and_b64 s[50:51], s[50:51], exec
.LBB670_109:
	s_or_b64 exec, exec, s[46:47]
	s_and_b64 s[48:49], s[48:49], exec
	s_and_b64 s[46:47], s[50:51], exec
.LBB670_110:
	s_or_b64 exec, exec, s[44:45]
	s_and_b64 s[44:45], s[48:49], exec
	s_and_b64 s[46:47], s[46:47], exec
.LBB670_111:
	s_or_b64 exec, exec, s[42:43]
	s_and_b64 s[44:45], s[44:45], exec
	s_and_b64 s[42:43], s[46:47], exec
.LBB670_112:
	s_or_b64 exec, exec, s[40:41]
	s_and_b64 s[40:41], s[44:45], exec
	s_and_b64 s[42:43], s[42:43], exec
.LBB670_113:
	s_or_b64 exec, exec, s[38:39]
	s_and_b64 s[40:41], s[40:41], exec
	s_and_b64 s[38:39], s[42:43], exec
.LBB670_114:
	s_or_b64 exec, exec, s[36:37]
	s_and_b64 s[36:37], s[40:41], exec
	s_and_b64 s[38:39], s[38:39], exec
.LBB670_115:
	s_or_b64 exec, exec, s[34:35]
	s_and_b64 s[36:37], s[36:37], exec
	s_and_b64 s[34:35], s[38:39], exec
.LBB670_116:
	s_or_b64 exec, exec, s[30:31]
	s_and_b64 s[30:31], s[36:37], exec
	s_and_b64 s[34:35], s[34:35], exec
.LBB670_117:
	s_or_b64 exec, exec, s[28:29]
	s_and_b64 s[30:31], s[30:31], exec
	s_and_b64 s[28:29], s[34:35], exec
.LBB670_118:
	s_or_b64 exec, exec, s[26:27]
	s_and_b64 s[26:27], s[30:31], exec
	s_and_b64 s[28:29], s[28:29], exec
.LBB670_119:
	s_or_b64 exec, exec, s[24:25]
	s_and_b64 s[26:27], s[26:27], exec
	s_and_b64 s[24:25], s[28:29], exec
.LBB670_120:
	s_or_b64 exec, exec, s[22:23]
	s_and_b64 s[22:23], s[26:27], exec
	s_and_b64 s[24:25], s[24:25], exec
.LBB670_121:
	s_or_b64 exec, exec, s[20:21]
	s_and_b64 s[22:23], s[22:23], exec
	s_and_b64 s[20:21], s[24:25], exec
.LBB670_122:
	s_or_b64 exec, exec, s[18:19]
	s_and_b64 s[18:19], s[22:23], exec
	s_and_b64 s[20:21], s[20:21], exec
.LBB670_123:
	s_or_b64 exec, exec, s[16:17]
	s_and_b64 s[18:19], s[18:19], exec
	s_and_b64 s[16:17], s[20:21], exec
.LBB670_124:
	s_or_b64 exec, exec, s[14:15]
	s_and_b64 s[14:15], s[18:19], exec
	s_and_b64 s[16:17], s[16:17], exec
.LBB670_125:
	s_or_b64 exec, exec, s[12:13]
	s_and_b64 s[14:15], s[14:15], exec
	s_and_b64 s[12:13], s[16:17], exec
.LBB670_126:
	s_or_b64 exec, exec, s[10:11]
	s_and_b64 s[10:11], s[14:15], exec
	s_and_b64 s[12:13], s[12:13], exec
.LBB670_127:
	s_or_b64 exec, exec, s[8:9]
	s_and_b64 s[10:11], s[10:11], exec
	s_and_b64 s[8:9], s[12:13], exec
.LBB670_128:
	s_or_b64 exec, exec, s[6:7]
	s_and_b64 s[6:7], s[10:11], exec
	s_and_b64 s[8:9], s[8:9], exec
.LBB670_129:
	s_or_b64 exec, exec, s[4:5]
	s_and_b64 vcc, exec, s[0:1]
	v_lshlrev_b32_e32 v28, 1, v0
	s_cbranch_vccnz .LBB670_131
	s_branch .LBB670_136
.LBB670_130:
	s_mov_b64 s[8:9], 0
                                        ; implicit-def: $sgpr6_sgpr7
                                        ; implicit-def: $vgpr47
                                        ; implicit-def: $vgpr1
                                        ; implicit-def: $vgpr25
                                        ; implicit-def: $vgpr29
                                        ; implicit-def: $vgpr30
                                        ; implicit-def: $vgpr31
                                        ; implicit-def: $vgpr32
                                        ; implicit-def: $vgpr33
                                        ; implicit-def: $vgpr34
                                        ; implicit-def: $vgpr35
                                        ; implicit-def: $vgpr36
                                        ; implicit-def: $vgpr37
                                        ; implicit-def: $vgpr38
                                        ; implicit-def: $vgpr39
                                        ; implicit-def: $vgpr40
                                        ; implicit-def: $vgpr41
                                        ; implicit-def: $vgpr42
                                        ; implicit-def: $vgpr43
                                        ; implicit-def: $vgpr22
                                        ; implicit-def: $vgpr44
                                        ; implicit-def: $vgpr23
                                        ; implicit-def: $vgpr45
                                        ; implicit-def: $vgpr24
                                        ; implicit-def: $vgpr46
                                        ; implicit-def: $sgpr68
	s_and_b64 vcc, exec, s[0:1]
	v_lshlrev_b32_e32 v28, 1, v0
	s_cbranch_vccz .LBB670_136
.LBB670_131:
	v_mov_b32_e32 v29, 0
	v_lshl_add_u64 v[2:3], v[20:21], 0, v[28:29]
	v_add_co_u32_e32 v4, vcc, 0x1000, v2
	flat_load_ushort v1, v[2:3]
	flat_load_ushort v6, v[2:3] offset:512
	flat_load_ushort v7, v[2:3] offset:1024
	;; [unrolled: 1-line block ×7, first 2 shown]
	v_addc_co_u32_e32 v5, vcc, 0, v3, vcc
	v_add_co_u32_e32 v2, vcc, 0x2000, v2
	flat_load_ushort v13, v[4:5]
	flat_load_ushort v14, v[4:5] offset:512
	flat_load_ushort v15, v[4:5] offset:1024
	;; [unrolled: 1-line block ×7, first 2 shown]
	v_addc_co_u32_e32 v3, vcc, 0, v3, vcc
	flat_load_ushort v4, v[2:3]
	flat_load_ushort v5, v[2:3] offset:512
	flat_load_ushort v25, v[2:3] offset:1024
	;; [unrolled: 1-line block ×7, first 2 shown]
	v_add_co_u32_e32 v2, vcc, 0x3000, v20
	s_movk_i32 s0, 0xffd2
	s_nop 0
	v_addc_co_u32_e32 v3, vcc, 0, v21, vcc
	s_movk_i32 s5, 0x1000
	s_movk_i32 s4, 0x2000
	s_waitcnt vmcnt(0) lgkmcnt(0)
	ds_write_b16 v28, v1
	ds_write_b16 v28, v6 offset:512
	ds_write_b16 v28, v7 offset:1024
	;; [unrolled: 1-line block ×23, first 2 shown]
	s_waitcnt lgkmcnt(0)
	s_barrier
	flat_load_ushort v47, v[2:3]
	v_mad_u32_u24 v1, v0, 46, v28
	ds_read_b128 v[10:13], v1
	ds_read_b128 v[6:9], v1 offset:16
	ds_read_b128 v[2:5], v1 offset:32
	v_mad_i32_i24 v14, v0, s0, v1
	s_movk_i32 s0, 0xff
	v_cmp_ne_u32_e32 vcc, s0, v0
	s_waitcnt lgkmcnt(0)
	ds_write_b16 v14, v10 offset:12800
	s_waitcnt lgkmcnt(0)
	s_barrier
	s_and_saveexec_b64 s[0:1], vcc
	s_cbranch_execz .LBB670_133
; %bb.132:
	s_waitcnt vmcnt(0)
	ds_read_u16 v47, v28 offset:12802
.LBB670_133:
	s_or_b64 exec, exec, s[0:1]
	v_lshl_add_u64 v[14:15], v[18:19], 0, v[28:29]
	v_add_co_u32_e32 v16, vcc, s5, v14
	s_waitcnt lgkmcnt(0)
	s_nop 0
	v_addc_co_u32_e32 v17, vcc, 0, v15, vcc
	s_barrier
	flat_load_ushort v18, v[14:15]
	flat_load_ushort v19, v[14:15] offset:512
	flat_load_ushort v20, v[14:15] offset:1024
	;; [unrolled: 1-line block ×7, first 2 shown]
	v_add_co_u32_e32 v14, vcc, s4, v14
	flat_load_ushort v30, v[16:17]
	flat_load_ushort v31, v[16:17] offset:512
	flat_load_ushort v32, v[16:17] offset:1024
	;; [unrolled: 1-line block ×7, first 2 shown]
	v_addc_co_u32_e32 v15, vcc, 0, v15, vcc
	flat_load_ushort v16, v[14:15]
	flat_load_ushort v17, v[14:15] offset:512
	flat_load_ushort v38, v[14:15] offset:1024
	;; [unrolled: 1-line block ×7, first 2 shown]
	v_cmp_eq_u16_sdwa s[4:5], v10, v10 src0_sel:DWORD src1_sel:WORD_1
	s_waitcnt vmcnt(0) lgkmcnt(0)
	ds_write_b16 v28, v18
	ds_write_b16 v28, v19 offset:512
	ds_write_b16 v28, v20 offset:1024
	;; [unrolled: 1-line block ×23, first 2 shown]
	s_waitcnt lgkmcnt(0)
	s_barrier
	ds_read_b128 v[18:21], v1 offset:2
	ds_read_b128 v[14:17], v1 offset:18
	ds_read_b96 v[22:24], v1 offset:34
	ds_read_u16 v48, v1 offset:46
	v_mov_b32_e32 v25, 0x10000
	v_mov_b32_e32 v30, s74
	s_and_saveexec_b64 s[0:1], s[4:5]
	s_cbranch_execz .LBB670_135
; %bb.134:
	ds_read_u16 v30, v1
	v_mov_b32_e32 v25, v29
.LBB670_135:
	s_or_b64 exec, exec, s[0:1]
	v_mov_b32_e32 v49, s74
	v_cmp_eq_u16_sdwa vcc, v10, v11 src0_sel:WORD_1 src1_sel:DWORD
	s_waitcnt lgkmcnt(3)
	v_lshrrev_b32_e32 v29, 16, v18
	v_cmp_ne_u16_sdwa s[0:1], v10, v11 src0_sel:WORD_1 src1_sel:DWORD
	v_cndmask_b32_e32 v18, v49, v18, vcc
	v_and_b32_e32 v18, 0xffff, v18
	v_cndmask_b32_e64 v10, 0, 1, s[0:1]
	v_cmp_eq_u16_sdwa vcc, v11, v11 src0_sel:DWORD src1_sel:WORD_1
	s_waitcnt lgkmcnt(0)
	v_or_b32_sdwa v1, v25, v30 dst_sel:DWORD dst_unused:UNUSED_PAD src0_sel:DWORD src1_sel:WORD_0
	v_lshl_or_b32 v25, v10, 16, v18
	v_cndmask_b32_e32 v10, v49, v29, vcc
	v_cmp_ne_u16_sdwa s[0:1], v11, v11 src0_sel:DWORD src1_sel:WORD_1
	v_and_b32_e32 v10, 0xffff, v10
	v_cmp_eq_u16_sdwa vcc, v11, v12 src0_sel:WORD_1 src1_sel:DWORD
	v_cndmask_b32_e64 v18, 0, 1, s[0:1]
	v_lshl_or_b32 v29, v18, 16, v10
	v_cndmask_b32_e32 v10, v49, v19, vcc
	v_cmp_ne_u16_sdwa s[0:1], v11, v12 src0_sel:WORD_1 src1_sel:DWORD
	v_lshrrev_b32_e32 v31, 16, v19
	v_and_b32_e32 v10, 0xffff, v10
	v_cndmask_b32_e64 v11, 0, 1, s[0:1]
	v_cmp_eq_u16_sdwa vcc, v12, v12 src0_sel:DWORD src1_sel:WORD_1
	v_lshl_or_b32 v30, v11, 16, v10
	v_cmp_ne_u16_sdwa s[0:1], v12, v12 src0_sel:DWORD src1_sel:WORD_1
	v_cndmask_b32_e32 v10, v49, v31, vcc
	v_and_b32_e32 v10, 0xffff, v10
	v_cndmask_b32_e64 v11, 0, 1, s[0:1]
	v_cmp_eq_u16_sdwa vcc, v12, v13 src0_sel:WORD_1 src1_sel:DWORD
	v_lshl_or_b32 v31, v11, 16, v10
	v_cmp_ne_u16_sdwa s[0:1], v12, v13 src0_sel:WORD_1 src1_sel:DWORD
	v_cndmask_b32_e32 v10, v49, v20, vcc
	v_lshrrev_b32_e32 v33, 16, v20
	v_and_b32_e32 v10, 0xffff, v10
	v_cndmask_b32_e64 v11, 0, 1, s[0:1]
	v_cmp_eq_u16_sdwa vcc, v13, v13 src0_sel:DWORD src1_sel:WORD_1
	v_lshl_or_b32 v32, v11, 16, v10
	v_cmp_ne_u16_sdwa s[0:1], v13, v13 src0_sel:DWORD src1_sel:WORD_1
	v_cndmask_b32_e32 v10, v49, v33, vcc
	v_and_b32_e32 v10, 0xffff, v10
	v_cndmask_b32_e64 v11, 0, 1, s[0:1]
	v_cmp_eq_u16_sdwa vcc, v13, v6 src0_sel:WORD_1 src1_sel:DWORD
	v_lshl_or_b32 v33, v11, 16, v10
	v_cmp_ne_u16_sdwa s[0:1], v13, v6 src0_sel:WORD_1 src1_sel:DWORD
	v_cndmask_b32_e32 v10, v49, v21, vcc
	;; [unrolled: 13-line block ×9, first 2 shown]
	v_lshrrev_b32_e32 v46, 16, v24
	v_and_b32_e32 v2, 0xffff, v2
	v_cndmask_b32_e64 v3, 0, 1, s[0:1]
	v_cmp_eq_u16_sdwa vcc, v5, v5 src0_sel:DWORD src1_sel:WORD_1
	v_lshl_or_b32 v24, v3, 16, v2
	v_cmp_ne_u16_sdwa s[0:1], v5, v5 src0_sel:DWORD src1_sel:WORD_1
	v_cndmask_b32_e32 v2, v49, v46, vcc
	v_and_b32_e32 v2, 0xffff, v2
	v_cndmask_b32_e64 v3, 0, 1, s[0:1]
	v_cmp_ne_u16_sdwa s[6:7], v5, v47 src0_sel:WORD_1 src1_sel:DWORD
	v_lshl_or_b32 v46, v3, 16, v2
	s_mov_b64 s[8:9], -1
	v_cndmask_b32_e64 v47, v48, v49, s[6:7]
                                        ; implicit-def: $sgpr68
.LBB670_136:
	v_mov_b32_e32 v12, s68
	s_and_saveexec_b64 s[0:1], s[8:9]
; %bb.137:
	v_mov_b32_e32 v2, 0x10000
	v_cndmask_b32_e64 v2, 0, v2, s[6:7]
	v_or_b32_sdwa v12, v2, v47 dst_sel:DWORD dst_unused:UNUSED_PAD src0_sel:DWORD src1_sel:WORD_0
; %bb.138:
	s_or_b64 exec, exec, s[0:1]
	v_or3_b32 v2, v12, v46, v24
	s_cmp_lg_u32 s67, 0
	v_or3_b32 v14, v2, v45, v23
	v_mbcnt_lo_u32_b32 v13, -1, 0
	s_barrier
	s_cbranch_scc0 .LBB670_227
; %bb.139:
	s_mov_b32 s0, 0x10000
	v_cmp_gt_u32_e64 s[4:5], s0, v25
	v_cmp_gt_u32_e64 s[6:7], s0, v29
	v_cmp_gt_u32_e64 s[8:9], s0, v30
	v_cndmask_b32_e64 v2, 0, v1, s[4:5]
	v_add_u16_e32 v2, v2, v25
	v_cndmask_b32_e64 v2, 0, v2, s[6:7]
	v_add_u16_e32 v2, v2, v29
	v_cndmask_b32_e64 v2, 0, v2, s[8:9]
	v_add_u16_e32 v2, v2, v30
	v_cmp_gt_u32_e64 s[10:11], s0, v31
	v_cmp_gt_u32_e64 s[12:13], s0, v32
	v_cmp_gt_u32_e64 s[14:15], s0, v33
	v_cndmask_b32_e64 v2, 0, v2, s[10:11]
	v_add_u16_e32 v2, v2, v31
	v_cndmask_b32_e64 v2, 0, v2, s[12:13]
	v_add_u16_e32 v2, v2, v32
	v_cndmask_b32_e64 v2, 0, v2, s[14:15]
	v_add_u16_e32 v2, v2, v33
	;; [unrolled: 9-line block ×5, first 2 shown]
	v_cmp_gt_u32_e64 s[36:37], s0, v43
	v_cmp_gt_u32_e64 s[38:39], s0, v22
	;; [unrolled: 1-line block ×3, first 2 shown]
	v_cndmask_b32_e64 v2, 0, v2, s[36:37]
	v_add_u16_e32 v2, v2, v43
	v_cndmask_b32_e64 v2, 0, v2, s[38:39]
	v_add_u16_e32 v2, v2, v22
	v_cndmask_b32_e64 v2, 0, v2, s[40:41]
	v_or3_b32 v5, v14, v44, v22
	v_add_u16_e32 v2, v2, v44
	v_cmp_gt_u32_e64 s[42:43], s0, v23
	v_or3_b32 v5, v5, v43, v42
	v_or3_b32 v5, v5, v41, v40
	v_cndmask_b32_e64 v2, 0, v2, s[42:43]
	v_add_u16_e32 v2, v2, v23
	v_cmp_gt_u32_e64 s[44:45], s0, v45
	v_or3_b32 v5, v5, v39, v38
	v_or3_b32 v5, v5, v37, v36
	v_cndmask_b32_e64 v2, 0, v2, s[44:45]
	;; [unrolled: 5-line block ×4, first 2 shown]
	v_add_u16_e32 v2, v2, v46
	v_cmp_gt_u32_e32 vcc, s0, v12
	v_and_b32_e32 v5, 0x10000, v5
	v_and_b32_e32 v3, 0x10000, v1
	v_cndmask_b32_e32 v4, 0, v2, vcc
	v_mov_b32_e32 v6, 0x10000
	v_cmp_ne_u32_e32 vcc, 0, v5
	v_add_u16_e32 v2, v4, v12
	v_add_u16_e32 v4, v4, v12
	v_cndmask_b32_e32 v6, v3, v6, vcc
	v_mbcnt_hi_u32_b32 v5, -1, v13
	v_and_b32_e32 v7, 15, v5
	v_or_b32_e32 v4, v6, v4
	v_lshrrev_b32_e32 v3, 16, v6
	v_cmp_ne_u32_e32 vcc, 0, v7
	v_mov_b32_dpp v8, v4 row_shr:1 row_mask:0xf bank_mask:0xf
	s_and_saveexec_b64 s[0:1], vcc
	s_cbranch_execz .LBB670_141
; %bb.140:
	v_cmp_eq_u32_e32 vcc, 0, v6
	v_and_b32_e32 v3, 0x10000, v6
	v_mov_b32_e32 v6, 1
	v_cndmask_b32_e32 v4, 0, v8, vcc
	v_and_b32_sdwa v6, v8, v6 dst_sel:DWORD dst_unused:UNUSED_PAD src0_sel:WORD_1 src1_sel:DWORD
	v_cmp_ne_u32_e32 vcc, 0, v3
	v_add_u16_e32 v9, v4, v2
	v_add_u16_e32 v2, v4, v2
	v_cndmask_b32_e64 v3, v6, 1, vcc
	v_lshlrev_b32_e32 v6, 16, v3
	v_or_b32_e32 v4, v6, v2
	v_mov_b32_e32 v2, v9
.LBB670_141:
	s_or_b64 exec, exec, s[0:1]
	v_lshrrev_b32_e32 v6, 16, v4
	v_mov_b32_dpp v8, v4 row_shr:2 row_mask:0xf bank_mask:0xf
	v_cmp_lt_u32_e32 vcc, 1, v7
	s_and_saveexec_b64 s[0:1], vcc
	s_cbranch_execz .LBB670_143
; %bb.142:
	s_mov_b32 s50, 0x10000
	v_cmp_gt_u32_e32 vcc, s50, v4
	v_and_b32_e32 v3, 0x10000, v4
	v_mov_b32_e32 v4, 1
	v_cndmask_b32_e32 v6, 0, v8, vcc
	v_and_b32_sdwa v4, v8, v4 dst_sel:DWORD dst_unused:UNUSED_PAD src0_sel:WORD_1 src1_sel:DWORD
	v_cmp_ne_u32_e32 vcc, 0, v3
	v_add_u16_e32 v9, v6, v2
	v_add_u16_e32 v2, v6, v2
	v_cndmask_b32_e64 v3, v4, 1, vcc
	v_lshlrev_b32_e32 v4, 16, v3
	v_or_b32_e32 v4, v4, v2
	v_mov_b32_e32 v6, v3
	v_mov_b32_e32 v2, v9
.LBB670_143:
	s_or_b64 exec, exec, s[0:1]
	v_mov_b32_dpp v8, v4 row_shr:4 row_mask:0xf bank_mask:0xf
	v_cmp_lt_u32_e32 vcc, 3, v7
	s_and_saveexec_b64 s[0:1], vcc
	s_cbranch_execz .LBB670_145
; %bb.144:
	v_cmp_eq_u16_e32 vcc, 0, v6
	v_and_b32_e32 v3, 1, v6
	v_mov_b32_e32 v6, 1
	v_cndmask_b32_e32 v4, 0, v8, vcc
	v_and_b32_sdwa v6, v8, v6 dst_sel:DWORD dst_unused:UNUSED_PAD src0_sel:WORD_1 src1_sel:DWORD
	v_cmp_eq_u32_e32 vcc, 1, v3
	v_add_u16_e32 v9, v4, v2
	v_add_u16_e32 v2, v4, v2
	v_cndmask_b32_e64 v3, v6, 1, vcc
	v_lshlrev_b32_e32 v6, 16, v3
	v_or_b32_e32 v4, v6, v2
	v_mov_b32_e32 v6, v3
	v_mov_b32_e32 v2, v9
.LBB670_145:
	s_or_b64 exec, exec, s[0:1]
	v_mov_b32_dpp v8, v4 row_shr:8 row_mask:0xf bank_mask:0xf
	v_cmp_lt_u32_e32 vcc, 7, v7
	s_and_saveexec_b64 s[0:1], vcc
	s_cbranch_execz .LBB670_147
; %bb.146:
	v_cmp_eq_u16_e32 vcc, 0, v6
	v_and_b32_e32 v3, 1, v6
	v_mov_b32_e32 v6, 1
	v_cndmask_b32_e32 v4, 0, v8, vcc
	v_and_b32_sdwa v6, v8, v6 dst_sel:DWORD dst_unused:UNUSED_PAD src0_sel:WORD_1 src1_sel:DWORD
	v_cmp_eq_u32_e32 vcc, 1, v3
	v_add_u16_e32 v7, v4, v2
	v_add_u16_e32 v2, v4, v2
	v_cndmask_b32_e64 v3, v6, 1, vcc
	v_lshlrev_b32_e32 v6, 16, v3
	v_or_b32_e32 v4, v6, v2
	v_mov_b32_e32 v6, v3
	v_mov_b32_e32 v2, v7
.LBB670_147:
	s_or_b64 exec, exec, s[0:1]
	v_and_b32_e32 v8, 16, v5
	v_mov_b32_dpp v7, v4 row_bcast:15 row_mask:0xf bank_mask:0xf
	v_cmp_ne_u32_e32 vcc, 0, v8
	s_and_saveexec_b64 s[0:1], vcc
	s_cbranch_execz .LBB670_149
; %bb.148:
	v_cmp_eq_u16_e32 vcc, 0, v6
	v_and_b32_e32 v3, 1, v6
	v_mov_b32_e32 v6, 1
	v_cndmask_b32_e32 v4, 0, v7, vcc
	v_and_b32_sdwa v6, v7, v6 dst_sel:DWORD dst_unused:UNUSED_PAD src0_sel:WORD_1 src1_sel:DWORD
	v_cmp_eq_u32_e32 vcc, 1, v3
	v_add_u16_e32 v8, v4, v2
	v_add_u16_e32 v2, v4, v2
	v_cndmask_b32_e64 v3, v6, 1, vcc
	v_lshlrev_b32_e32 v6, 16, v3
	v_or_b32_e32 v4, v6, v2
	v_mov_b32_e32 v6, v3
	v_mov_b32_e32 v2, v8
.LBB670_149:
	s_or_b64 exec, exec, s[0:1]
	v_mov_b32_dpp v4, v4 row_bcast:31 row_mask:0xf bank_mask:0xf
	v_cmp_lt_u32_e32 vcc, 31, v5
	s_and_saveexec_b64 s[0:1], vcc
; %bb.150:
	v_cmp_eq_u16_e32 vcc, 0, v6
	s_nop 1
	v_cndmask_b32_e32 v3, 0, v4, vcc
	v_add_u16_e32 v2, v3, v2
	v_and_b32_e32 v3, 1, v6
	v_mov_b32_e32 v6, 1
	v_and_b32_sdwa v4, v4, v6 dst_sel:DWORD dst_unused:UNUSED_PAD src0_sel:WORD_1 src1_sel:DWORD
	v_cmp_eq_u32_e32 vcc, 1, v3
	s_nop 1
	v_cndmask_b32_e64 v3, v4, 1, vcc
; %bb.151:
	s_or_b64 exec, exec, s[0:1]
	v_or_b32_e32 v6, 63, v0
	v_lshrrev_b32_e32 v4, 6, v0
	v_cmp_eq_u32_e32 vcc, v6, v0
	s_and_saveexec_b64 s[0:1], vcc
	s_cbranch_execz .LBB670_153
; %bb.152:
	v_lshlrev_b32_e32 v6, 2, v4
	ds_write_b16 v6, v2
	ds_write_b8 v6, v3 offset:2
.LBB670_153:
	s_or_b64 exec, exec, s[0:1]
	v_cmp_gt_u32_e32 vcc, 4, v0
	s_waitcnt lgkmcnt(0)
	s_barrier
	s_and_saveexec_b64 s[0:1], vcc
	s_cbranch_execz .LBB670_159
; %bb.154:
	v_lshlrev_b32_e32 v6, 2, v0
	ds_read_b32 v7, v6
	v_and_b32_e32 v10, 3, v5
	v_cmp_ne_u32_e32 vcc, 0, v10
	s_waitcnt lgkmcnt(0)
	v_lshrrev_b32_e32 v9, 16, v7
	v_mov_b32_dpp v11, v7 row_shr:1 row_mask:0xf bank_mask:0xf
	v_mov_b32_e32 v8, v7
	s_and_saveexec_b64 s[50:51], vcc
	s_cbranch_execz .LBB670_156
; %bb.155:
	v_mov_b32_e32 v8, 0
	v_cmp_eq_u16_sdwa vcc, v9, v8 src0_sel:BYTE_0 src1_sel:DWORD
	v_and_b32_e32 v9, 0x10000, v7
	v_mov_b32_e32 v17, 1
	v_cndmask_b32_e32 v16, 0, v11, vcc
	v_and_b32_sdwa v11, v11, v17 dst_sel:DWORD dst_unused:UNUSED_PAD src0_sel:WORD_1 src1_sel:DWORD
	v_cmp_ne_u32_e32 vcc, 0, v9
	v_and_b32_e32 v15, 0xff000000, v7
	v_add_u16_e32 v8, v16, v7
	v_cndmask_b32_e64 v9, v11, 1, vcc
	v_lshlrev_b32_e32 v11, 16, v9
	v_add_u16_e32 v7, v16, v7
	v_or3_b32 v7, v11, v15, v7
.LBB670_156:
	s_or_b64 exec, exec, s[50:51]
	s_nop 0
	v_mov_b32_dpp v11, v7 row_shr:2 row_mask:0xf bank_mask:0xf
	v_cmp_lt_u32_e32 vcc, 1, v10
	s_and_saveexec_b64 s[50:51], vcc
; %bb.157:
	v_and_b32_e32 v9, 0xff0000, v7
	v_cmp_eq_u32_e32 vcc, 0, v9
	v_and_b32_e32 v7, 0x10000, v7
	s_nop 0
	v_cndmask_b32_e32 v9, 0, v11, vcc
	v_add_u16_e32 v8, v9, v8
	v_mov_b32_e32 v9, 1
	v_and_b32_sdwa v9, v11, v9 dst_sel:DWORD dst_unused:UNUSED_PAD src0_sel:WORD_1 src1_sel:DWORD
	v_cmp_eq_u32_e32 vcc, 0, v7
	s_nop 1
	v_cndmask_b32_e32 v9, 1, v9, vcc
; %bb.158:
	s_or_b64 exec, exec, s[50:51]
	ds_write_b16 v6, v8
	ds_write_b8 v6, v9 offset:2
.LBB670_159:
	s_or_b64 exec, exec, s[0:1]
	v_cmp_gt_u32_e32 vcc, 64, v0
	v_cmp_lt_u32_e64 s[0:1], 63, v0
	v_mov_b32_e32 v15, 0
	v_mov_b32_e32 v16, 0
	s_waitcnt lgkmcnt(0)
	s_barrier
	s_and_saveexec_b64 s[50:51], s[0:1]
	s_cbranch_execz .LBB670_161
; %bb.160:
	v_lshl_add_u32 v4, v4, 2, -4
	ds_read_u16 v15, v4
	ds_read_u8 v16, v4 offset:2
	v_and_b32_e32 v6, 1, v3
	v_cmp_eq_u16_e64 s[0:1], 0, v3
	s_waitcnt lgkmcnt(1)
	s_nop 0
	v_cndmask_b32_e64 v3, 0, v15, s[0:1]
	v_cmp_eq_u32_e64 s[0:1], 1, v6
	v_add_u16_e32 v2, v3, v2
	s_waitcnt lgkmcnt(0)
	v_cndmask_b32_e64 v3, v16, 1, s[0:1]
.LBB670_161:
	s_or_b64 exec, exec, s[50:51]
	v_and_b32_e32 v3, 0xff, v3
	v_and_b32_e32 v2, 0xffff, v2
	v_lshl_or_b32 v2, v3, 16, v2
	v_add_u32_e32 v3, -1, v5
	v_and_b32_e32 v4, 64, v5
	v_cmp_lt_i32_e64 s[0:1], v3, v4
	v_cmp_eq_u32_e64 s[50:51], 0, v5
	s_nop 0
	v_cndmask_b32_e64 v3, v3, v5, s[0:1]
	v_lshlrev_b32_e32 v3, 2, v3
	ds_bpermute_b32 v17, v3, v2
	s_and_saveexec_b64 s[0:1], vcc
	s_cbranch_execz .LBB670_204
; %bb.162:
	v_mov_b32_e32 v9, 0
	ds_read_b32 v2, v9 offset:12
	s_and_saveexec_b64 s[56:57], s[50:51]
	s_cbranch_execz .LBB670_164
; %bb.163:
	s_add_i32 s58, s67, 64
	s_mov_b32 s59, 0
	s_lshl_b64 s[58:59], s[58:59], 3
	s_add_u32 s58, s64, s58
	v_mov_b32_e32 v3, 1
	s_addc_u32 s59, s65, s59
	s_waitcnt lgkmcnt(0)
	global_store_dwordx2 v9, v[2:3], s[58:59] sc1
.LBB670_164:
	s_or_b64 exec, exec, s[56:57]
	v_xad_u32 v4, v5, -1, s67
	v_add_u32_e32 v8, 64, v4
	v_lshl_add_u64 v[10:11], v[8:9], 3, s[64:65]
	global_load_dwordx2 v[6:7], v[10:11], off sc1
	s_waitcnt vmcnt(0)
	v_cmp_eq_u16_sdwa s[58:59], v7, v9 src0_sel:BYTE_0 src1_sel:DWORD
	s_and_saveexec_b64 s[56:57], s[58:59]
	s_cbranch_execz .LBB670_168
; %bb.165:
	s_mov_b64 s[58:59], 0
	v_mov_b32_e32 v3, 0
.LBB670_166:                            ; =>This Inner Loop Header: Depth=1
	global_load_dwordx2 v[6:7], v[10:11], off sc1
	s_waitcnt vmcnt(0)
	v_cmp_ne_u16_sdwa s[60:61], v7, v3 src0_sel:BYTE_0 src1_sel:DWORD
	s_or_b64 s[58:59], s[60:61], s[58:59]
	s_andn2_b64 exec, exec, s[58:59]
	s_cbranch_execnz .LBB670_166
; %bb.167:
	s_or_b64 exec, exec, s[58:59]
.LBB670_168:
	s_or_b64 exec, exec, s[56:57]
	v_mov_b32_e32 v3, 2
	v_cmp_eq_u16_sdwa s[56:57], v7, v3 src0_sel:BYTE_0 src1_sel:DWORD
	v_lshlrev_b64 v[8:9], v5, -1
	v_and_b32_e32 v54, 0xffffff, v6
	v_and_b32_e32 v3, s57, v9
	v_or_b32_e32 v3, 0x80000000, v3
	v_ffbl_b32_e32 v3, v3
	v_add_u32_e32 v11, 32, v3
	v_and_b32_e32 v3, 63, v5
	v_cmp_ne_u32_e32 vcc, 63, v3
	v_and_b32_e32 v10, s56, v8
	v_ffbl_b32_e32 v10, v10
	v_addc_co_u32_e32 v18, vcc, 0, v5, vcc
	v_lshlrev_b32_e32 v18, 2, v18
	ds_bpermute_b32 v19, v18, v54
	v_min_u32_e32 v11, v10, v11
	v_lshrrev_b32_e32 v10, 16, v6
	v_cmp_lt_u32_e32 vcc, v3, v11
	v_bfe_u32 v52, v6, 16, 8
	s_and_saveexec_b64 s[56:57], vcc
	s_cbranch_execz .LBB670_170
; %bb.169:
	v_and_b32_e32 v10, 0xff0000, v6
	v_cmp_eq_u32_e32 vcc, 0, v10
	v_and_b32_e32 v10, 0x10000, v10
	v_mov_b32_e32 v47, 1
	s_waitcnt lgkmcnt(0)
	v_cndmask_b32_e32 v20, 0, v19, vcc
	v_and_b32_sdwa v19, v19, v47 dst_sel:DWORD dst_unused:UNUSED_PAD src0_sel:WORD_1 src1_sel:DWORD
	v_cmp_ne_u32_e32 vcc, 0, v10
	v_add_u16_e32 v21, v20, v6
	v_add_u16_e32 v6, v20, v6
	v_cndmask_b32_e64 v10, v19, 1, vcc
	v_lshlrev_b32_e32 v19, 16, v10
	v_or_b32_e32 v54, v19, v6
	v_mov_b32_e32 v6, v21
	v_mov_b32_e32 v52, v10
.LBB670_170:
	s_or_b64 exec, exec, s[56:57]
	v_cmp_gt_u32_e32 vcc, 62, v3
	v_add_u32_e32 v20, 2, v3
	s_waitcnt lgkmcnt(0)
	v_cndmask_b32_e64 v19, 0, 1, vcc
	v_lshlrev_b32_e32 v19, 1, v19
	v_add_lshl_u32 v19, v19, v5, 2
	ds_bpermute_b32 v21, v19, v54
	v_cmp_le_u32_e32 vcc, v20, v11
	s_and_saveexec_b64 s[56:57], vcc
	s_cbranch_execz .LBB670_172
; %bb.171:
	v_cmp_eq_u16_e32 vcc, 0, v52
	v_and_b32_e32 v10, 1, v52
	v_mov_b32_e32 v49, 1
	s_waitcnt lgkmcnt(0)
	v_cndmask_b32_e32 v47, 0, v21, vcc
	v_and_b32_sdwa v21, v21, v49 dst_sel:DWORD dst_unused:UNUSED_PAD src0_sel:WORD_1 src1_sel:DWORD
	v_cmp_eq_u32_e32 vcc, 1, v10
	v_add_u16_e32 v48, v47, v6
	v_add_u16_e32 v6, v47, v6
	v_cndmask_b32_e64 v10, v21, 1, vcc
	v_lshlrev_b32_e32 v21, 16, v10
	v_or_b32_e32 v54, v21, v6
	v_mov_b32_e32 v6, v48
	v_mov_b32_e32 v52, v10
.LBB670_172:
	s_or_b64 exec, exec, s[56:57]
	v_cmp_gt_u32_e32 vcc, 60, v3
	v_add_u32_e32 v47, 4, v3
	s_waitcnt lgkmcnt(0)
	v_cndmask_b32_e64 v21, 0, 1, vcc
	v_lshlrev_b32_e32 v21, 2, v21
	v_add_lshl_u32 v21, v21, v5, 2
	ds_bpermute_b32 v48, v21, v54
	v_cmp_le_u32_e32 vcc, v47, v11
	s_and_saveexec_b64 s[56:57], vcc
	s_cbranch_execz .LBB670_174
; %bb.173:
	v_cmp_eq_u16_e32 vcc, 0, v52
	v_and_b32_e32 v10, 1, v52
	v_mov_b32_e32 v51, 1
	s_waitcnt lgkmcnt(0)
	v_cndmask_b32_e32 v49, 0, v48, vcc
	v_and_b32_sdwa v48, v48, v51 dst_sel:DWORD dst_unused:UNUSED_PAD src0_sel:WORD_1 src1_sel:DWORD
	v_cmp_eq_u32_e32 vcc, 1, v10
	v_add_u16_e32 v50, v49, v6
	v_add_u16_e32 v6, v49, v6
	v_cndmask_b32_e64 v10, v48, 1, vcc
	v_lshlrev_b32_e32 v48, 16, v10
	v_or_b32_e32 v54, v48, v6
	v_mov_b32_e32 v6, v50
	v_mov_b32_e32 v52, v10
.LBB670_174:
	;; [unrolled: 27-line block ×4, first 2 shown]
	s_or_b64 exec, exec, s[56:57]
	v_cmp_gt_u32_e32 vcc, 32, v3
	s_waitcnt lgkmcnt(0)
	s_nop 0
	v_cndmask_b32_e64 v53, 0, 1, vcc
	v_lshlrev_b32_e32 v53, 5, v53
	v_add_lshl_u32 v53, v53, v5, 2
	ds_bpermute_b32 v5, v53, v54
	v_add_u32_e32 v54, 32, v3
	v_cmp_le_u32_e32 vcc, v54, v11
	s_and_saveexec_b64 s[56:57], vcc
	s_cbranch_execz .LBB670_180
; %bb.179:
	v_cmp_eq_u16_e32 vcc, 0, v52
	v_mov_b32_e32 v11, 1
	s_waitcnt lgkmcnt(0)
	v_cndmask_b32_e32 v10, 0, v5, vcc
	v_add_u16_e32 v6, v10, v6
	v_and_b32_e32 v10, 1, v52
	v_and_b32_sdwa v5, v5, v11 dst_sel:DWORD dst_unused:UNUSED_PAD src0_sel:WORD_1 src1_sel:DWORD
	v_cmp_eq_u32_e32 vcc, 1, v10
	s_nop 1
	v_cndmask_b32_e64 v10, v5, 1, vcc
.LBB670_180:
	s_or_b64 exec, exec, s[56:57]
	s_waitcnt lgkmcnt(0)
	v_mov_b32_e32 v5, 0
	v_mov_b32_e32 v56, 2
	;; [unrolled: 1-line block ×3, first 2 shown]
	s_branch .LBB670_182
.LBB670_181:                            ;   in Loop: Header=BB670_182 Depth=1
	s_or_b64 exec, exec, s[56:57]
	v_cmp_eq_u16_sdwa vcc, v52, v5 src0_sel:BYTE_0 src1_sel:DWORD
	v_and_b32_e32 v10, 1, v52
	v_and_b32_e32 v11, 1, v11
	v_cndmask_b32_e32 v6, 0, v6, vcc
	v_cmp_eq_u32_e32 vcc, 1, v10
	v_subrev_u32_e32 v4, 64, v4
	v_add_u16_e32 v6, v6, v55
	v_cndmask_b32_e64 v10, v11, 1, vcc
.LBB670_182:                            ; =>This Loop Header: Depth=1
                                        ;     Child Loop BB670_185 Depth 2
	v_cmp_ne_u16_sdwa s[56:57], v7, v56 src0_sel:BYTE_0 src1_sel:DWORD
	v_mov_b32_e32 v52, v10
	v_mov_b32_e32 v55, v6
	v_cndmask_b32_e64 v7, 0, 1, s[56:57]
	;;#ASMSTART
	;;#ASMEND
	s_nop 0
	v_cmp_ne_u32_e32 vcc, 0, v7
	s_cmp_lg_u64 vcc, exec
	s_cbranch_scc1 .LBB670_199
; %bb.183:                              ;   in Loop: Header=BB670_182 Depth=1
	v_lshl_add_u64 v[10:11], v[4:5], 3, s[64:65]
	global_load_dwordx2 v[6:7], v[10:11], off sc1
	s_waitcnt vmcnt(0)
	v_cmp_eq_u16_sdwa s[58:59], v7, v5 src0_sel:BYTE_0 src1_sel:DWORD
	s_and_saveexec_b64 s[56:57], s[58:59]
	s_cbranch_execz .LBB670_187
; %bb.184:                              ;   in Loop: Header=BB670_182 Depth=1
	s_mov_b64 s[58:59], 0
.LBB670_185:                            ;   Parent Loop BB670_182 Depth=1
                                        ; =>  This Inner Loop Header: Depth=2
	global_load_dwordx2 v[6:7], v[10:11], off sc1
	s_waitcnt vmcnt(0)
	v_cmp_ne_u16_sdwa s[60:61], v7, v5 src0_sel:BYTE_0 src1_sel:DWORD
	s_or_b64 s[58:59], s[60:61], s[58:59]
	s_andn2_b64 exec, exec, s[58:59]
	s_cbranch_execnz .LBB670_185
; %bb.186:                              ;   in Loop: Header=BB670_182 Depth=1
	s_or_b64 exec, exec, s[58:59]
.LBB670_187:                            ;   in Loop: Header=BB670_182 Depth=1
	s_or_b64 exec, exec, s[56:57]
	v_cmp_eq_u16_sdwa s[56:57], v7, v56 src0_sel:BYTE_0 src1_sel:DWORD
	s_waitcnt lgkmcnt(0)
	v_and_b32_e32 v59, 0xffffff, v6
	ds_bpermute_b32 v60, v18, v59
	v_and_b32_e32 v10, s57, v9
	v_or_b32_e32 v10, 0x80000000, v10
	v_and_b32_e32 v11, s56, v8
	v_ffbl_b32_e32 v10, v10
	v_add_u32_e32 v10, 32, v10
	v_ffbl_b32_e32 v11, v11
	v_min_u32_e32 v10, v11, v10
	v_lshrrev_b32_e32 v11, 16, v6
	v_cmp_lt_u32_e32 vcc, v3, v10
	v_bfe_u32 v58, v6, 16, 8
	s_and_saveexec_b64 s[56:57], vcc
	s_cbranch_execz .LBB670_189
; %bb.188:                              ;   in Loop: Header=BB670_182 Depth=1
	v_and_b32_e32 v11, 0xff0000, v6
	v_cmp_eq_u32_e32 vcc, 0, v11
	v_and_b32_e32 v11, 0x10000, v11
	s_waitcnt lgkmcnt(0)
	v_and_b32_sdwa v59, v60, v57 dst_sel:DWORD dst_unused:UNUSED_PAD src0_sel:WORD_1 src1_sel:DWORD
	v_cndmask_b32_e32 v58, 0, v60, vcc
	v_cmp_ne_u32_e32 vcc, 0, v11
	v_add_u16_e32 v61, v58, v6
	v_add_u16_e32 v6, v58, v6
	v_cndmask_b32_e64 v11, v59, 1, vcc
	v_lshlrev_b32_e32 v59, 16, v11
	v_or_b32_e32 v59, v59, v6
	v_mov_b32_e32 v6, v61
	v_mov_b32_e32 v58, v11
.LBB670_189:                            ;   in Loop: Header=BB670_182 Depth=1
	s_or_b64 exec, exec, s[56:57]
	s_waitcnt lgkmcnt(0)
	ds_bpermute_b32 v60, v19, v59
	v_cmp_le_u32_e32 vcc, v20, v10
	s_and_saveexec_b64 s[56:57], vcc
	s_cbranch_execz .LBB670_191
; %bb.190:                              ;   in Loop: Header=BB670_182 Depth=1
	v_cmp_eq_u16_e32 vcc, 0, v58
	v_and_b32_e32 v11, 1, v58
	s_waitcnt lgkmcnt(0)
	v_and_b32_sdwa v58, v60, v57 dst_sel:DWORD dst_unused:UNUSED_PAD src0_sel:WORD_1 src1_sel:DWORD
	v_cndmask_b32_e32 v59, 0, v60, vcc
	v_cmp_eq_u32_e32 vcc, 1, v11
	v_add_u16_e32 v61, v59, v6
	v_add_u16_e32 v6, v59, v6
	v_cndmask_b32_e64 v11, v58, 1, vcc
	v_lshlrev_b32_e32 v58, 16, v11
	v_or_b32_e32 v59, v58, v6
	v_mov_b32_e32 v6, v61
	v_mov_b32_e32 v58, v11
.LBB670_191:                            ;   in Loop: Header=BB670_182 Depth=1
	s_or_b64 exec, exec, s[56:57]
	s_waitcnt lgkmcnt(0)
	ds_bpermute_b32 v60, v21, v59
	v_cmp_le_u32_e32 vcc, v47, v10
	s_and_saveexec_b64 s[56:57], vcc
	s_cbranch_execz .LBB670_193
; %bb.192:                              ;   in Loop: Header=BB670_182 Depth=1
	v_cmp_eq_u16_e32 vcc, 0, v58
	v_and_b32_e32 v11, 1, v58
	s_waitcnt lgkmcnt(0)
	v_and_b32_sdwa v58, v60, v57 dst_sel:DWORD dst_unused:UNUSED_PAD src0_sel:WORD_1 src1_sel:DWORD
	v_cndmask_b32_e32 v59, 0, v60, vcc
	v_cmp_eq_u32_e32 vcc, 1, v11
	v_add_u16_e32 v61, v59, v6
	v_add_u16_e32 v6, v59, v6
	v_cndmask_b32_e64 v11, v58, 1, vcc
	v_lshlrev_b32_e32 v58, 16, v11
	v_or_b32_e32 v59, v58, v6
	v_mov_b32_e32 v6, v61
	v_mov_b32_e32 v58, v11
.LBB670_193:                            ;   in Loop: Header=BB670_182 Depth=1
	;; [unrolled: 21-line block ×4, first 2 shown]
	s_or_b64 exec, exec, s[56:57]
	ds_bpermute_b32 v59, v53, v59
	v_cmp_le_u32_e32 vcc, v54, v10
	s_and_saveexec_b64 s[56:57], vcc
	s_cbranch_execz .LBB670_181
; %bb.198:                              ;   in Loop: Header=BB670_182 Depth=1
	v_cmp_eq_u16_e32 vcc, 0, v58
	s_waitcnt lgkmcnt(0)
	v_lshrrev_b32_e32 v11, 16, v59
	v_cndmask_b32_e32 v10, 0, v59, vcc
	v_add_u16_e32 v6, v10, v6
	v_and_b32_e32 v10, 1, v58
	v_cmp_eq_u32_e32 vcc, 1, v10
	s_nop 1
	v_cndmask_b32_e64 v11, v11, 1, vcc
	s_branch .LBB670_181
.LBB670_199:                            ;   in Loop: Header=BB670_182 Depth=1
                                        ; implicit-def: $vgpr10
                                        ; implicit-def: $vgpr6
	s_cbranch_execz .LBB670_182
; %bb.200:
	s_and_saveexec_b64 s[56:57], s[50:51]
	s_cbranch_execz .LBB670_202
; %bb.201:
	v_and_b32_e32 v3, 0xff0000, v2
	s_mov_b32 s59, 0
	v_cmp_eq_u32_e32 vcc, 0, v3
	v_and_b32_e32 v4, 0x10000, v2
	v_mov_b32_e32 v5, 1
	s_add_i32 s58, s67, 64
	v_cndmask_b32_e32 v3, 0, v55, vcc
	v_and_b32_sdwa v5, v52, v5 dst_sel:WORD_1 dst_unused:UNUSED_PAD src0_sel:DWORD src1_sel:DWORD
	v_mov_b32_e32 v6, 0x10000
	v_cmp_eq_u32_e32 vcc, 0, v4
	s_lshl_b64 s[58:59], s[58:59], 3
	s_add_u32 s58, s64, s58
	v_cndmask_b32_e32 v4, v6, v5, vcc
	v_add_u16_e32 v2, v3, v2
	s_addc_u32 s59, s65, s59
	v_mov_b32_e32 v5, 0
	v_or_b32_e32 v2, v4, v2
	v_mov_b32_e32 v3, 2
	global_store_dwordx2 v5, v[2:3], s[58:59] sc1
.LBB670_202:
	s_or_b64 exec, exec, s[56:57]
	s_and_b64 exec, exec, s[52:53]
	s_cbranch_execz .LBB670_204
; %bb.203:
	v_mov_b32_e32 v2, 0
	ds_write_b16 v2, v55 offset:12
	ds_write_b8 v2, v52 offset:14
.LBB670_204:
	s_or_b64 exec, exec, s[0:1]
	v_mov_b32_e32 v2, 0
	s_waitcnt lgkmcnt(0)
	s_barrier
	ds_read_b32 v3, v2 offset:12
	v_lshrrev_b32_e32 v4, 16, v17
	v_cndmask_b32_e64 v4, v4, v16, s[50:51]
	v_cmp_eq_u16_sdwa vcc, v4, v2 src0_sel:BYTE_0 src1_sel:DWORD
	v_cndmask_b32_e64 v5, v17, v15, s[50:51]
	s_waitcnt lgkmcnt(0)
	v_cndmask_b32_e32 v2, 0, v3, vcc
	v_add_u16_e32 v2, v2, v5
	v_cndmask_b32_e64 v8, v2, v3, s[52:53]
	v_and_b32_e32 v2, 0xff0000, v1
	v_cmp_eq_u32_e32 vcc, 0, v2
	s_nop 1
	v_cndmask_b32_e32 v2, 0, v8, vcc
	v_add_u16_e32 v6, v2, v1
	v_cndmask_b32_e64 v2, 0, v6, s[4:5]
	v_add_u16_e32 v7, v2, v25
	v_cndmask_b32_e64 v2, 0, v7, s[6:7]
	;; [unrolled: 2-line block ×22, first 2 shown]
	v_add_u16_e32 v57, v2, v46
	s_branch .LBB670_255
.LBB670_205:
	s_or_b64 exec, exec, s[0:1]
                                        ; implicit-def: $vgpr56
	s_and_saveexec_b64 s[0:1], s[4:5]
	s_cbranch_execz .LBB670_57
.LBB670_206:
	v_mov_b32_e32 v43, 0
	v_lshl_add_u64 v[56:57], v[18:19], 0, v[42:43]
	flat_load_ushort v56, v[56:57] offset:512
	s_or_b64 exec, exec, s[0:1]
                                        ; implicit-def: $vgpr57
	s_and_saveexec_b64 s[0:1], s[6:7]
	s_cbranch_execnz .LBB670_58
.LBB670_207:
	s_or_b64 exec, exec, s[0:1]
                                        ; implicit-def: $vgpr58
	s_and_saveexec_b64 s[0:1], s[8:9]
	s_cbranch_execz .LBB670_59
.LBB670_208:
	v_mov_b32_e32 v43, 0
	v_lshl_add_u64 v[58:59], v[18:19], 0, v[42:43]
	flat_load_ushort v58, v[58:59] offset:1536
	s_or_b64 exec, exec, s[0:1]
                                        ; implicit-def: $vgpr59
	s_and_saveexec_b64 s[0:1], s[10:11]
	s_cbranch_execnz .LBB670_60
.LBB670_209:
	s_or_b64 exec, exec, s[0:1]
                                        ; implicit-def: $vgpr60
	s_and_saveexec_b64 s[0:1], s[12:13]
	s_cbranch_execz .LBB670_61
.LBB670_210:
	v_mov_b32_e32 v43, 0
	v_lshl_add_u64 v[60:61], v[18:19], 0, v[42:43]
	flat_load_ushort v60, v[60:61] offset:2560
	s_or_b64 exec, exec, s[0:1]
                                        ; implicit-def: $vgpr61
	s_and_saveexec_b64 s[0:1], s[14:15]
	s_cbranch_execnz .LBB670_62
.LBB670_211:
	s_or_b64 exec, exec, s[0:1]
                                        ; implicit-def: $vgpr43
	s_and_saveexec_b64 s[0:1], s[16:17]
	s_cbranch_execz .LBB670_63
.LBB670_212:
	v_mov_b32_e32 v43, 0
	v_lshl_add_u64 v[62:63], v[18:19], 0, v[42:43]
	flat_load_ushort v43, v[62:63] offset:3584
	s_or_b64 exec, exec, s[0:1]
                                        ; implicit-def: $vgpr15
	s_and_saveexec_b64 s[0:1], s[18:19]
	s_cbranch_execnz .LBB670_64
.LBB670_213:
	s_or_b64 exec, exec, s[0:1]
                                        ; implicit-def: $vgpr14
	s_and_saveexec_b64 s[0:1], s[20:21]
	s_cbranch_execz .LBB670_65
.LBB670_214:
	v_mov_b32_e32 v17, 0
	v_lshl_add_u64 v[16:17], v[18:19], 0, v[16:17]
	flat_load_ushort v14, v[16:17]
	s_or_b64 exec, exec, s[0:1]
                                        ; implicit-def: $vgpr16
	s_and_saveexec_b64 s[0:1], s[22:23]
	s_cbranch_execnz .LBB670_66
.LBB670_215:
	s_or_b64 exec, exec, s[0:1]
                                        ; implicit-def: $vgpr17
	s_and_saveexec_b64 s[0:1], s[24:25]
	s_cbranch_execz .LBB670_67
.LBB670_216:
	v_mov_b32_e32 v25, 0
	v_lshl_add_u64 v[22:23], v[18:19], 0, v[24:25]
	flat_load_ushort v17, v[22:23]
	s_or_b64 exec, exec, s[0:1]
                                        ; implicit-def: $vgpr22
	s_and_saveexec_b64 s[0:1], s[26:27]
	s_cbranch_execnz .LBB670_68
.LBB670_217:
	s_or_b64 exec, exec, s[0:1]
                                        ; implicit-def: $vgpr23
	s_and_saveexec_b64 s[0:1], s[28:29]
	s_cbranch_execz .LBB670_69
.LBB670_218:
	v_mov_b32_e32 v31, 0
	v_lshl_add_u64 v[24:25], v[18:19], 0, v[30:31]
	flat_load_ushort v23, v[24:25]
	s_or_b64 exec, exec, s[0:1]
                                        ; implicit-def: $vgpr24
	s_and_saveexec_b64 s[0:1], s[30:31]
	s_cbranch_execnz .LBB670_70
.LBB670_219:
	s_or_b64 exec, exec, s[0:1]
                                        ; implicit-def: $vgpr25
	s_and_saveexec_b64 s[0:1], s[34:35]
	s_cbranch_execz .LBB670_71
.LBB670_220:
	v_mov_b32_e32 v35, 0
	v_lshl_add_u64 v[28:29], v[18:19], 0, v[34:35]
	flat_load_ushort v25, v[28:29]
	s_or_b64 exec, exec, s[0:1]
                                        ; implicit-def: $vgpr29
	s_and_saveexec_b64 s[0:1], s[36:37]
	s_cbranch_execnz .LBB670_72
.LBB670_221:
	s_or_b64 exec, exec, s[0:1]
                                        ; implicit-def: $vgpr30
	s_and_saveexec_b64 s[0:1], s[38:39]
	s_cbranch_execz .LBB670_73
.LBB670_222:
	v_mov_b32_e32 v39, 0
	v_lshl_add_u64 v[30:31], v[18:19], 0, v[38:39]
	flat_load_ushort v30, v[30:31]
	s_or_b64 exec, exec, s[0:1]
                                        ; implicit-def: $vgpr31
	s_and_saveexec_b64 s[0:1], s[40:41]
	s_cbranch_execnz .LBB670_74
.LBB670_223:
	s_or_b64 exec, exec, s[0:1]
                                        ; implicit-def: $vgpr32
	s_and_saveexec_b64 s[0:1], s[42:43]
	s_cbranch_execz .LBB670_75
.LBB670_224:
	v_mov_b32_e32 v45, 0
	v_lshl_add_u64 v[32:33], v[18:19], 0, v[44:45]
	flat_load_ushort v32, v[32:33]
	s_or_b64 exec, exec, s[0:1]
                                        ; implicit-def: $vgpr33
	s_and_saveexec_b64 s[0:1], s[44:45]
	s_cbranch_execnz .LBB670_76
.LBB670_225:
	s_or_b64 exec, exec, s[0:1]
                                        ; implicit-def: $vgpr34
	s_and_saveexec_b64 s[0:1], s[46:47]
	s_cbranch_execz .LBB670_77
.LBB670_226:
	v_mov_b32_e32 v49, 0
	v_lshl_add_u64 v[34:35], v[18:19], 0, v[48:49]
	flat_load_ushort v34, v[34:35]
	s_or_b64 exec, exec, s[0:1]
                                        ; implicit-def: $vgpr35
	s_and_saveexec_b64 s[0:1], s[48:49]
	s_cbranch_execz .LBB670_79
	s_branch .LBB670_78
.LBB670_227:
                                        ; implicit-def: $vgpr8
                                        ; implicit-def: $vgpr6
                                        ; implicit-def: $vgpr7
                                        ; implicit-def: $vgpr9
                                        ; implicit-def: $vgpr10
                                        ; implicit-def: $vgpr11
                                        ; implicit-def: $vgpr16
                                        ; implicit-def: $vgpr18
                                        ; implicit-def: $vgpr15
                                        ; implicit-def: $vgpr17
                                        ; implicit-def: $vgpr19
                                        ; implicit-def: $vgpr20
                                        ; implicit-def: $vgpr21
                                        ; implicit-def: $vgpr47
                                        ; implicit-def: $vgpr49
                                        ; implicit-def: $vgpr51
                                        ; implicit-def: $vgpr48
                                        ; implicit-def: $vgpr50
                                        ; implicit-def: $vgpr52
                                        ; implicit-def: $vgpr53
                                        ; implicit-def: $vgpr54
                                        ; implicit-def: $vgpr55
                                        ; implicit-def: $vgpr56
                                        ; implicit-def: $vgpr57
	s_cbranch_execz .LBB670_255
; %bb.228:
	s_cmp_lg_u64 s[72:73], 0
	s_cselect_b32 s1, s71, 0
	s_cselect_b32 s0, s70, 0
	s_cmp_eq_u64 s[0:1], 0
	v_mov_b32_e32 v2, s74
	s_cbranch_scc1 .LBB670_230
; %bb.229:
	v_mov_b32_e32 v2, 0
	global_load_ushort v2, v2, s[0:1]
.LBB670_230:
	s_mov_b32 s0, 0x10000
	v_cmp_gt_u32_e32 vcc, s0, v25
	v_cmp_gt_u32_e64 s[4:5], s0, v29
	v_cmp_gt_u32_e64 s[6:7], s0, v30
	v_cndmask_b32_e32 v3, 0, v1, vcc
	v_add_u16_e32 v3, v3, v25
	v_cndmask_b32_e64 v3, 0, v3, s[4:5]
	v_add_u16_e32 v3, v3, v29
	v_cndmask_b32_e64 v3, 0, v3, s[6:7]
	v_add_u16_e32 v3, v3, v30
	v_cmp_gt_u32_e64 s[8:9], s0, v31
	v_cmp_gt_u32_e64 s[10:11], s0, v32
	v_cmp_gt_u32_e64 s[12:13], s0, v33
	v_cndmask_b32_e64 v3, 0, v3, s[8:9]
	v_add_u16_e32 v3, v3, v31
	v_cndmask_b32_e64 v3, 0, v3, s[10:11]
	v_add_u16_e32 v3, v3, v32
	v_cndmask_b32_e64 v3, 0, v3, s[12:13]
	v_add_u16_e32 v3, v3, v33
	v_cmp_gt_u32_e64 s[14:15], s0, v34
	v_cmp_gt_u32_e64 s[16:17], s0, v35
	v_cmp_gt_u32_e64 s[18:19], s0, v36
	v_cndmask_b32_e64 v3, 0, v3, s[14:15]
	;; [unrolled: 9-line block ×5, first 2 shown]
	v_add_u16_e32 v3, v3, v43
	v_cndmask_b32_e64 v3, 0, v3, s[36:37]
	v_add_u16_e32 v3, v3, v22
	v_cndmask_b32_e64 v3, 0, v3, s[38:39]
	v_or3_b32 v6, v14, v44, v22
	v_add_u16_e32 v3, v3, v44
	v_cmp_gt_u32_e64 s[40:41], s0, v23
	v_or3_b32 v6, v6, v43, v42
	v_or3_b32 v6, v6, v41, v40
	v_cndmask_b32_e64 v3, 0, v3, s[40:41]
	v_add_u16_e32 v3, v3, v23
	v_cmp_gt_u32_e64 s[42:43], s0, v45
	v_or3_b32 v6, v6, v39, v38
	v_or3_b32 v6, v6, v37, v36
	v_cndmask_b32_e64 v3, 0, v3, s[42:43]
	;; [unrolled: 5-line block ×4, first 2 shown]
	v_add_u16_e32 v3, v3, v46
	v_cmp_gt_u32_e64 s[0:1], s0, v12
	v_and_b32_e32 v6, 0x10000, v6
	v_and_b32_e32 v5, 0x10000, v1
	v_cndmask_b32_e64 v3, 0, v3, s[0:1]
	v_mov_b32_e32 v7, 0x10000
	v_cmp_ne_u32_e64 s[0:1], 0, v6
	v_add_u16_e32 v4, v3, v12
	v_add_u16_e32 v6, v3, v12
	v_cndmask_b32_e64 v7, v5, v7, s[0:1]
	v_mbcnt_hi_u32_b32 v3, -1, v13
	v_and_b32_e32 v8, 15, v3
	v_or_b32_e32 v6, v7, v6
	v_lshrrev_b32_e32 v5, 16, v7
	v_cmp_ne_u32_e64 s[0:1], 0, v8
	v_mov_b32_dpp v9, v6 row_shr:1 row_mask:0xf bank_mask:0xf
	s_and_saveexec_b64 s[48:49], s[0:1]
	s_cbranch_execz .LBB670_232
; %bb.231:
	v_cmp_eq_u32_e64 s[0:1], 0, v7
	v_and_b32_e32 v5, 0x10000, v7
	v_mov_b32_e32 v7, 1
	v_cndmask_b32_e64 v6, 0, v9, s[0:1]
	v_and_b32_sdwa v7, v9, v7 dst_sel:DWORD dst_unused:UNUSED_PAD src0_sel:WORD_1 src1_sel:DWORD
	v_cmp_ne_u32_e64 s[0:1], 0, v5
	v_add_u16_e32 v10, v6, v4
	v_add_u16_e32 v4, v6, v4
	v_cndmask_b32_e64 v5, v7, 1, s[0:1]
	v_lshlrev_b32_e32 v7, 16, v5
	v_or_b32_e32 v6, v7, v4
	v_mov_b32_e32 v4, v10
.LBB670_232:
	s_or_b64 exec, exec, s[48:49]
	v_lshrrev_b32_e32 v7, 16, v6
	v_mov_b32_dpp v9, v6 row_shr:2 row_mask:0xf bank_mask:0xf
	v_cmp_lt_u32_e64 s[0:1], 1, v8
	s_and_saveexec_b64 s[48:49], s[0:1]
	s_cbranch_execz .LBB670_234
; %bb.233:
	s_mov_b32 s0, 0x10000
	v_cmp_gt_u32_e64 s[0:1], s0, v6
	v_and_b32_e32 v5, 0x10000, v6
	v_mov_b32_e32 v6, 1
	v_cndmask_b32_e64 v7, 0, v9, s[0:1]
	v_and_b32_sdwa v6, v9, v6 dst_sel:DWORD dst_unused:UNUSED_PAD src0_sel:WORD_1 src1_sel:DWORD
	v_cmp_ne_u32_e64 s[0:1], 0, v5
	v_add_u16_e32 v10, v7, v4
	v_add_u16_e32 v4, v7, v4
	v_cndmask_b32_e64 v5, v6, 1, s[0:1]
	v_lshlrev_b32_e32 v6, 16, v5
	v_or_b32_e32 v6, v6, v4
	v_mov_b32_e32 v7, v5
	v_mov_b32_e32 v4, v10
.LBB670_234:
	s_or_b64 exec, exec, s[48:49]
	v_mov_b32_dpp v9, v6 row_shr:4 row_mask:0xf bank_mask:0xf
	v_cmp_lt_u32_e64 s[0:1], 3, v8
	s_and_saveexec_b64 s[48:49], s[0:1]
	s_cbranch_execz .LBB670_236
; %bb.235:
	v_cmp_eq_u16_e64 s[0:1], 0, v7
	v_and_b32_e32 v5, 1, v7
	v_mov_b32_e32 v7, 1
	v_cndmask_b32_e64 v6, 0, v9, s[0:1]
	v_and_b32_sdwa v7, v9, v7 dst_sel:DWORD dst_unused:UNUSED_PAD src0_sel:WORD_1 src1_sel:DWORD
	v_cmp_eq_u32_e64 s[0:1], 1, v5
	v_add_u16_e32 v10, v6, v4
	v_add_u16_e32 v4, v6, v4
	v_cndmask_b32_e64 v5, v7, 1, s[0:1]
	v_lshlrev_b32_e32 v7, 16, v5
	v_or_b32_e32 v6, v7, v4
	v_mov_b32_e32 v7, v5
	v_mov_b32_e32 v4, v10
.LBB670_236:
	s_or_b64 exec, exec, s[48:49]
	v_mov_b32_dpp v9, v6 row_shr:8 row_mask:0xf bank_mask:0xf
	v_cmp_lt_u32_e64 s[0:1], 7, v8
	s_and_saveexec_b64 s[48:49], s[0:1]
	s_cbranch_execz .LBB670_238
; %bb.237:
	v_cmp_eq_u16_e64 s[0:1], 0, v7
	v_and_b32_e32 v5, 1, v7
	v_mov_b32_e32 v7, 1
	v_cndmask_b32_e64 v6, 0, v9, s[0:1]
	v_and_b32_sdwa v7, v9, v7 dst_sel:DWORD dst_unused:UNUSED_PAD src0_sel:WORD_1 src1_sel:DWORD
	v_cmp_eq_u32_e64 s[0:1], 1, v5
	v_add_u16_e32 v8, v6, v4
	v_add_u16_e32 v4, v6, v4
	v_cndmask_b32_e64 v5, v7, 1, s[0:1]
	v_lshlrev_b32_e32 v7, 16, v5
	v_or_b32_e32 v6, v7, v4
	v_mov_b32_e32 v7, v5
	v_mov_b32_e32 v4, v8
.LBB670_238:
	s_or_b64 exec, exec, s[48:49]
	v_and_b32_e32 v9, 16, v3
	v_mov_b32_dpp v8, v6 row_bcast:15 row_mask:0xf bank_mask:0xf
	v_cmp_ne_u32_e64 s[0:1], 0, v9
	s_and_saveexec_b64 s[48:49], s[0:1]
	s_cbranch_execz .LBB670_240
; %bb.239:
	v_cmp_eq_u16_e64 s[0:1], 0, v7
	v_and_b32_e32 v5, 1, v7
	v_mov_b32_e32 v7, 1
	v_cndmask_b32_e64 v6, 0, v8, s[0:1]
	v_and_b32_sdwa v7, v8, v7 dst_sel:DWORD dst_unused:UNUSED_PAD src0_sel:WORD_1 src1_sel:DWORD
	v_cmp_eq_u32_e64 s[0:1], 1, v5
	v_add_u16_e32 v9, v6, v4
	v_add_u16_e32 v4, v6, v4
	v_cndmask_b32_e64 v5, v7, 1, s[0:1]
	v_lshlrev_b32_e32 v7, 16, v5
	v_or_b32_e32 v6, v7, v4
	v_mov_b32_e32 v7, v5
	v_mov_b32_e32 v4, v9
.LBB670_240:
	s_or_b64 exec, exec, s[48:49]
	v_mov_b32_dpp v6, v6 row_bcast:31 row_mask:0xf bank_mask:0xf
	v_cmp_lt_u32_e64 s[0:1], 31, v3
	s_and_saveexec_b64 s[48:49], s[0:1]
; %bb.241:
	v_cmp_eq_u16_e64 s[0:1], 0, v7
	s_nop 1
	v_cndmask_b32_e64 v5, 0, v6, s[0:1]
	v_add_u16_e32 v4, v5, v4
	v_and_b32_e32 v5, 1, v7
	v_mov_b32_e32 v7, 1
	v_and_b32_sdwa v6, v6, v7 dst_sel:DWORD dst_unused:UNUSED_PAD src0_sel:WORD_1 src1_sel:DWORD
	v_cmp_eq_u32_e64 s[0:1], 1, v5
	s_nop 1
	v_cndmask_b32_e64 v5, v6, 1, s[0:1]
; %bb.242:
	s_or_b64 exec, exec, s[48:49]
	v_or_b32_e32 v7, 63, v0
	v_lshrrev_b32_e32 v6, 6, v0
	v_cmp_eq_u32_e64 s[0:1], v7, v0
	s_and_saveexec_b64 s[48:49], s[0:1]
	s_cbranch_execz .LBB670_244
; %bb.243:
	v_lshlrev_b32_e32 v7, 2, v6
	ds_write_b16 v7, v4
	ds_write_b8 v7, v5 offset:2
.LBB670_244:
	s_or_b64 exec, exec, s[48:49]
	v_cmp_gt_u32_e64 s[0:1], 4, v0
	s_waitcnt lgkmcnt(0)
	s_barrier
	s_and_saveexec_b64 s[48:49], s[0:1]
	s_cbranch_execz .LBB670_250
; %bb.245:
	v_lshlrev_b32_e32 v7, 2, v0
	ds_read_b32 v8, v7
	v_and_b32_e32 v11, 3, v3
	v_cmp_ne_u32_e64 s[0:1], 0, v11
	s_waitcnt lgkmcnt(0)
	v_lshrrev_b32_e32 v10, 16, v8
	v_mov_b32_dpp v12, v8 row_shr:1 row_mask:0xf bank_mask:0xf
	v_mov_b32_e32 v9, v8
	s_and_saveexec_b64 s[50:51], s[0:1]
	s_cbranch_execz .LBB670_247
; %bb.246:
	v_mov_b32_e32 v9, 0
	v_cmp_eq_u16_sdwa s[0:1], v10, v9 src0_sel:BYTE_0 src1_sel:DWORD
	v_and_b32_e32 v10, 0x10000, v8
	v_mov_b32_e32 v15, 1
	v_cndmask_b32_e64 v14, 0, v12, s[0:1]
	v_and_b32_sdwa v12, v12, v15 dst_sel:DWORD dst_unused:UNUSED_PAD src0_sel:WORD_1 src1_sel:DWORD
	v_cmp_ne_u32_e64 s[0:1], 0, v10
	v_and_b32_e32 v13, 0xff000000, v8
	v_add_u16_e32 v9, v14, v8
	v_cndmask_b32_e64 v10, v12, 1, s[0:1]
	v_lshlrev_b32_e32 v12, 16, v10
	v_add_u16_e32 v8, v14, v8
	v_or3_b32 v8, v12, v13, v8
.LBB670_247:
	s_or_b64 exec, exec, s[50:51]
	s_nop 0
	v_mov_b32_dpp v12, v8 row_shr:2 row_mask:0xf bank_mask:0xf
	v_cmp_lt_u32_e64 s[0:1], 1, v11
	s_and_saveexec_b64 s[50:51], s[0:1]
; %bb.248:
	v_and_b32_e32 v10, 0xff0000, v8
	v_cmp_eq_u32_e64 s[0:1], 0, v10
	v_and_b32_e32 v8, 0x10000, v8
	s_nop 0
	v_cndmask_b32_e64 v10, 0, v12, s[0:1]
	v_add_u16_e32 v9, v10, v9
	v_mov_b32_e32 v10, 1
	v_and_b32_sdwa v10, v12, v10 dst_sel:DWORD dst_unused:UNUSED_PAD src0_sel:WORD_1 src1_sel:DWORD
	v_cmp_eq_u32_e64 s[0:1], 0, v8
	s_nop 1
	v_cndmask_b32_e64 v10, 1, v10, s[0:1]
; %bb.249:
	s_or_b64 exec, exec, s[50:51]
	ds_write_b16 v7, v9
	ds_write_b8 v7, v10 offset:2
.LBB670_250:
	s_or_b64 exec, exec, s[48:49]
	v_cmp_lt_u32_e64 s[0:1], 63, v0
	v_mov_b32_e32 v8, 0
	s_waitcnt vmcnt(0)
	v_mov_b32_e32 v7, v2
	s_waitcnt lgkmcnt(0)
	s_barrier
	s_and_saveexec_b64 s[48:49], s[0:1]
	s_cbranch_execz .LBB670_252
; %bb.251:
	v_lshl_add_u32 v6, v6, 2, -4
	ds_read_u8 v8, v6 offset:2
	ds_read_u16 v6, v6
	s_waitcnt lgkmcnt(1)
	v_cmp_eq_u16_e64 s[0:1], 0, v8
	s_nop 1
	v_cndmask_b32_e64 v7, 0, v2, s[0:1]
	s_waitcnt lgkmcnt(0)
	v_add_u16_e32 v7, v7, v6
.LBB670_252:
	s_or_b64 exec, exec, s[48:49]
	v_cmp_eq_u16_e64 s[0:1], 0, v5
	v_and_b32_e32 v5, 1, v5
	v_lshlrev_b32_e32 v8, 16, v8
	v_cndmask_b32_e64 v6, 0, v7, s[0:1]
	v_mov_b32_e32 v9, 0x10000
	v_cmp_eq_u32_e64 s[0:1], 1, v5
	v_add_u16_e32 v4, v6, v4
	v_and_b32_e32 v6, 64, v3
	v_cndmask_b32_e64 v5, v8, v9, s[0:1]
	v_or_b32_e32 v4, v5, v4
	v_add_u32_e32 v5, -1, v3
	v_cmp_lt_i32_e64 s[0:1], v5, v6
	s_nop 1
	v_cndmask_b32_e64 v5, v5, v3, s[0:1]
	v_lshlrev_b32_e32 v5, 2, v5
	ds_bpermute_b32 v4, v5, v4
	v_cmp_eq_u32_e64 s[0:1], 0, v3
	s_waitcnt lgkmcnt(0)
	s_nop 0
	v_cndmask_b32_e64 v8, v4, v7, s[0:1]
	v_and_b32_e32 v4, 0xff0000, v1
	v_cndmask_b32_e64 v3, v8, v2, s[52:53]
	v_cmp_eq_u32_e64 s[0:1], 0, v4
	s_nop 1
	v_cndmask_b32_e64 v3, 0, v3, s[0:1]
	v_add_u16_e32 v6, v3, v1
	v_cndmask_b32_e32 v1, 0, v6, vcc
	v_add_u16_e32 v7, v1, v25
	v_cndmask_b32_e64 v1, 0, v7, s[4:5]
	v_add_u16_e32 v9, v1, v29
	v_cndmask_b32_e64 v1, 0, v9, s[6:7]
	;; [unrolled: 2-line block ×21, first 2 shown]
	s_and_saveexec_b64 s[0:1], s[52:53]
	s_cbranch_execz .LBB670_254
; %bb.253:
	v_mov_b32_e32 v3, 0
	ds_read_u8 v4, v3 offset:14
	ds_read_u16 v8, v3 offset:12
	v_mov_b32_e32 v5, 2
	s_waitcnt lgkmcnt(1)
	v_cmp_eq_u32_e32 vcc, 0, v4
	v_lshlrev_b32_e32 v12, 16, v4
	s_nop 0
	v_cndmask_b32_e32 v4, 0, v2, vcc
	s_waitcnt lgkmcnt(0)
	v_add_u32_e32 v4, v4, v8
	v_or_b32_sdwa v4, v12, v4 dst_sel:DWORD dst_unused:UNUSED_PAD src0_sel:DWORD src1_sel:WORD_0
	v_mov_b32_e32 v8, v2
	global_store_dwordx2 v3, v[4:5], s[64:65] offset:512 sc1
.LBB670_254:
	s_or_b64 exec, exec, s[0:1]
	v_add_u16_e32 v57, v1, v46
.LBB670_255:
	s_add_u32 s0, s62, s54
	s_addc_u32 s1, s63, s55
	v_mul_u32_u24_e32 v1, 24, v0
	v_lshl_add_u64 v[2:3], s[0:1], 0, v[26:27]
	s_and_b64 vcc, exec, s[2:3]
	v_lshlrev_b32_e32 v12, 1, v1
	s_cbranch_vccz .LBB670_303
; %bb.256:
	s_mov_b32 s0, 0x5040100
	v_perm_b32 v25, v18, v16, s0
	v_perm_b32 v24, v11, v10, s0
	;; [unrolled: 1-line block ×4, first 2 shown]
	s_barrier
	ds_write_b128 v12, v[22:25]
	v_perm_b32 v25, v51, v49, s0
	v_perm_b32 v24, v47, v21, s0
	;; [unrolled: 1-line block ×4, first 2 shown]
	ds_write_b128 v12, v[22:25] offset:16
	v_perm_b32 v25, v57, v56, s0
	v_perm_b32 v24, v55, v54, s0
	;; [unrolled: 1-line block ×4, first 2 shown]
	s_movk_i32 s0, 0xffd2
	v_mad_i32_i24 v4, v0, s0, v12
	ds_write_b128 v12, v[22:25] offset:32
	s_waitcnt lgkmcnt(0)
	s_barrier
	ds_read_u16 v43, v4 offset:512
	ds_read_u16 v42, v4 offset:1024
	;; [unrolled: 1-line block ×23, first 2 shown]
	s_add_i32 s33, s33, s66
	v_mov_b32_e32 v29, 0
	v_lshl_add_u64 v[4:5], v[2:3], 0, v[28:29]
	v_cmp_gt_u32_e32 vcc, s33, v0
	s_and_saveexec_b64 s[0:1], vcc
	s_cbranch_execz .LBB670_258
; %bb.257:
	v_mul_i32_i24_e32 v44, 0xffffffd2, v0
	v_add_u32_e32 v44, v12, v44
	ds_read_u16 v44, v44
	s_waitcnt lgkmcnt(0)
	flat_store_short v[4:5], v44
.LBB670_258:
	s_or_b64 exec, exec, s[0:1]
	v_or_b32_e32 v44, 0x100, v0
	v_cmp_gt_u32_e32 vcc, s33, v44
	s_and_saveexec_b64 s[0:1], vcc
	s_cbranch_execz .LBB670_260
; %bb.259:
	s_waitcnt lgkmcnt(0)
	flat_store_short v[4:5], v43 offset:512
.LBB670_260:
	s_or_b64 exec, exec, s[0:1]
	s_waitcnt lgkmcnt(0)
	v_or_b32_e32 v43, 0x200, v0
	v_cmp_gt_u32_e32 vcc, s33, v43
	s_and_saveexec_b64 s[0:1], vcc
	s_cbranch_execz .LBB670_262
; %bb.261:
	flat_store_short v[4:5], v42 offset:1024
.LBB670_262:
	s_or_b64 exec, exec, s[0:1]
	v_or_b32_e32 v42, 0x300, v0
	v_cmp_gt_u32_e32 vcc, s33, v42
	s_and_saveexec_b64 s[0:1], vcc
	s_cbranch_execz .LBB670_264
; %bb.263:
	flat_store_short v[4:5], v41 offset:1536
.LBB670_264:
	s_or_b64 exec, exec, s[0:1]
	v_or_b32_e32 v41, 0x400, v0
	v_cmp_gt_u32_e32 vcc, s33, v41
	s_and_saveexec_b64 s[0:1], vcc
	s_cbranch_execz .LBB670_266
; %bb.265:
	flat_store_short v[4:5], v40 offset:2048
.LBB670_266:
	s_or_b64 exec, exec, s[0:1]
	v_or_b32_e32 v40, 0x500, v0
	v_cmp_gt_u32_e32 vcc, s33, v40
	s_and_saveexec_b64 s[0:1], vcc
	s_cbranch_execz .LBB670_268
; %bb.267:
	flat_store_short v[4:5], v39 offset:2560
.LBB670_268:
	s_or_b64 exec, exec, s[0:1]
	v_or_b32_e32 v39, 0x600, v0
	v_cmp_gt_u32_e32 vcc, s33, v39
	s_and_saveexec_b64 s[0:1], vcc
	s_cbranch_execz .LBB670_270
; %bb.269:
	flat_store_short v[4:5], v38 offset:3072
.LBB670_270:
	s_or_b64 exec, exec, s[0:1]
	v_or_b32_e32 v38, 0x700, v0
	v_cmp_gt_u32_e32 vcc, s33, v38
	s_and_saveexec_b64 s[0:1], vcc
	s_cbranch_execz .LBB670_272
; %bb.271:
	flat_store_short v[4:5], v37 offset:3584
.LBB670_272:
	s_or_b64 exec, exec, s[0:1]
	v_or_b32_e32 v37, 0x800, v0
	v_cmp_gt_u32_e32 vcc, s33, v37
	s_and_saveexec_b64 s[0:1], vcc
	s_cbranch_execz .LBB670_274
; %bb.273:
	v_add_co_u32_e32 v38, vcc, 0x1000, v4
	s_nop 1
	v_addc_co_u32_e32 v39, vcc, 0, v5, vcc
	flat_store_short v[38:39], v36
.LBB670_274:
	s_or_b64 exec, exec, s[0:1]
	v_or_b32_e32 v36, 0x900, v0
	v_cmp_gt_u32_e32 vcc, s33, v36
	s_and_saveexec_b64 s[0:1], vcc
	s_cbranch_execz .LBB670_276
; %bb.275:
	v_add_co_u32_e32 v36, vcc, 0x1000, v4
	s_nop 1
	v_addc_co_u32_e32 v37, vcc, 0, v5, vcc
	flat_store_short v[36:37], v35 offset:512
.LBB670_276:
	s_or_b64 exec, exec, s[0:1]
	v_or_b32_e32 v35, 0xa00, v0
	v_cmp_gt_u32_e32 vcc, s33, v35
	s_and_saveexec_b64 s[0:1], vcc
	s_cbranch_execz .LBB670_278
; %bb.277:
	v_add_co_u32_e32 v36, vcc, 0x1000, v4
	s_nop 1
	v_addc_co_u32_e32 v37, vcc, 0, v5, vcc
	flat_store_short v[36:37], v34 offset:1024
.LBB670_278:
	;; [unrolled: 11-line block ×7, first 2 shown]
	s_or_b64 exec, exec, s[0:1]
	v_or_b32_e32 v27, 0x1000, v0
	v_cmp_gt_u32_e32 vcc, s33, v27
	s_and_saveexec_b64 s[0:1], vcc
	s_cbranch_execz .LBB670_290
; %bb.289:
	v_add_co_u32_e32 v30, vcc, 0x2000, v4
	s_nop 1
	v_addc_co_u32_e32 v31, vcc, 0, v5, vcc
	flat_store_short v[30:31], v26
.LBB670_290:
	s_or_b64 exec, exec, s[0:1]
	v_or_b32_e32 v26, 0x1100, v0
	v_cmp_gt_u32_e32 vcc, s33, v26
	s_and_saveexec_b64 s[0:1], vcc
	s_cbranch_execz .LBB670_292
; %bb.291:
	v_add_co_u32_e32 v26, vcc, 0x2000, v4
	s_nop 1
	v_addc_co_u32_e32 v27, vcc, 0, v5, vcc
	flat_store_short v[26:27], v25 offset:512
.LBB670_292:
	s_or_b64 exec, exec, s[0:1]
	v_or_b32_e32 v25, 0x1200, v0
	v_cmp_gt_u32_e32 vcc, s33, v25
	s_and_saveexec_b64 s[0:1], vcc
	s_cbranch_execz .LBB670_294
; %bb.293:
	v_add_co_u32_e32 v26, vcc, 0x2000, v4
	s_nop 1
	v_addc_co_u32_e32 v27, vcc, 0, v5, vcc
	flat_store_short v[26:27], v24 offset:1024
.LBB670_294:
	;; [unrolled: 11-line block ×6, first 2 shown]
	s_or_b64 exec, exec, s[0:1]
	v_or_b32_e32 v4, 0x1700, v0
	v_mov_b32_e32 v1, v29
	v_cmp_gt_u32_e64 s[0:1], s33, v4
	s_branch .LBB670_305
.LBB670_303:
	s_mov_b64 s[0:1], 0
                                        ; implicit-def: $vgpr13
	s_cbranch_execz .LBB670_305
; %bb.304:
	s_mov_b32 s2, 0x5040100
	v_perm_b32 v23, v9, v7, s2
	v_perm_b32 v22, v6, v8, s2
	;; [unrolled: 1-line block ×6, first 2 shown]
	s_waitcnt lgkmcnt(0)
	s_barrier
	v_perm_b32 v25, v18, v16, s2
	v_perm_b32 v24, v11, v10, s2
	ds_write_b128 v12, v[4:7] offset:16
	v_perm_b32 v7, v57, v56, s2
	v_perm_b32 v6, v55, v54, s2
	;; [unrolled: 1-line block ×4, first 2 shown]
	v_mov_b32_e32 v1, 0
	s_movk_i32 s2, 0xffd2
	ds_write_b128 v12, v[4:7] offset:32
	v_mad_i32_i24 v4, v0, s2, v12
	v_mov_b32_e32 v29, v1
	ds_write_b128 v12, v[22:25]
	s_waitcnt lgkmcnt(0)
	s_barrier
	ds_read_u16 v6, v4
	ds_read_u16 v7, v4 offset:512
	ds_read_u16 v8, v4 offset:1024
	;; [unrolled: 1-line block ×23, first 2 shown]
	v_lshl_add_u64 v[4:5], v[2:3], 0, v[28:29]
	s_movk_i32 s2, 0x1000
	s_waitcnt lgkmcnt(0)
	flat_store_short v[4:5], v6
	flat_store_short v[4:5], v7 offset:512
	flat_store_short v[4:5], v8 offset:1024
	;; [unrolled: 1-line block ×7, first 2 shown]
	v_add_co_u32_e32 v6, vcc, s2, v4
	s_or_b64 s[0:1], s[0:1], exec
	s_nop 0
	v_addc_co_u32_e32 v7, vcc, 0, v5, vcc
	v_add_co_u32_e32 v4, vcc, 0x2000, v4
	flat_store_short v[6:7], v15
	flat_store_short v[6:7], v16 offset:512
	flat_store_short v[6:7], v17 offset:1024
	;; [unrolled: 1-line block ×7, first 2 shown]
	v_addc_co_u32_e32 v5, vcc, 0, v5, vcc
	flat_store_short v[4:5], v23
	flat_store_short v[4:5], v24 offset:512
	flat_store_short v[4:5], v25 offset:1024
	;; [unrolled: 1-line block ×6, first 2 shown]
.LBB670_305:
	s_and_saveexec_b64 s[2:3], s[0:1]
	s_cbranch_execz .LBB670_307
; %bb.306:
	v_lshl_add_u64 v[0:1], v[0:1], 1, v[2:3]
	v_add_co_u32_e32 v0, vcc, 0x2000, v0
	s_nop 1
	v_addc_co_u32_e32 v1, vcc, 0, v1, vcc
	flat_store_short v[0:1], v13 offset:3584
	s_endpgm
.LBB670_307:
	s_endpgm
	.section	.rodata,"a",@progbits
	.p2align	6, 0x0
	.amdhsa_kernel _ZN7rocprim17ROCPRIM_400000_NS6detail17trampoline_kernelINS0_14default_configENS1_27scan_by_key_config_selectorIssEEZZNS1_16scan_by_key_implILNS1_25lookback_scan_determinismE0ELb1ES3_N6thrust23THRUST_200600_302600_NS6detail15normal_iteratorINS9_10device_ptrIsEEEESE_SE_sNS9_4plusIvEENS9_8equal_toIsEEsEE10hipError_tPvRmT2_T3_T4_T5_mT6_T7_P12ihipStream_tbENKUlT_T0_E_clISt17integral_constantIbLb0EESY_IbLb1EEEEDaSU_SV_EUlSU_E_NS1_11comp_targetILNS1_3genE5ELNS1_11target_archE942ELNS1_3gpuE9ELNS1_3repE0EEENS1_30default_config_static_selectorELNS0_4arch9wavefront6targetE1EEEvT1_
		.amdhsa_group_segment_fixed_size 13312
		.amdhsa_private_segment_fixed_size 0
		.amdhsa_kernarg_size 112
		.amdhsa_user_sgpr_count 2
		.amdhsa_user_sgpr_dispatch_ptr 0
		.amdhsa_user_sgpr_queue_ptr 0
		.amdhsa_user_sgpr_kernarg_segment_ptr 1
		.amdhsa_user_sgpr_dispatch_id 0
		.amdhsa_user_sgpr_kernarg_preload_length 0
		.amdhsa_user_sgpr_kernarg_preload_offset 0
		.amdhsa_user_sgpr_private_segment_size 0
		.amdhsa_uses_dynamic_stack 0
		.amdhsa_enable_private_segment 0
		.amdhsa_system_sgpr_workgroup_id_x 1
		.amdhsa_system_sgpr_workgroup_id_y 0
		.amdhsa_system_sgpr_workgroup_id_z 0
		.amdhsa_system_sgpr_workgroup_info 0
		.amdhsa_system_vgpr_workitem_id 0
		.amdhsa_next_free_vgpr 64
		.amdhsa_next_free_sgpr 75
		.amdhsa_accum_offset 64
		.amdhsa_reserve_vcc 1
		.amdhsa_float_round_mode_32 0
		.amdhsa_float_round_mode_16_64 0
		.amdhsa_float_denorm_mode_32 3
		.amdhsa_float_denorm_mode_16_64 3
		.amdhsa_dx10_clamp 1
		.amdhsa_ieee_mode 1
		.amdhsa_fp16_overflow 0
		.amdhsa_tg_split 0
		.amdhsa_exception_fp_ieee_invalid_op 0
		.amdhsa_exception_fp_denorm_src 0
		.amdhsa_exception_fp_ieee_div_zero 0
		.amdhsa_exception_fp_ieee_overflow 0
		.amdhsa_exception_fp_ieee_underflow 0
		.amdhsa_exception_fp_ieee_inexact 0
		.amdhsa_exception_int_div_zero 0
	.end_amdhsa_kernel
	.section	.text._ZN7rocprim17ROCPRIM_400000_NS6detail17trampoline_kernelINS0_14default_configENS1_27scan_by_key_config_selectorIssEEZZNS1_16scan_by_key_implILNS1_25lookback_scan_determinismE0ELb1ES3_N6thrust23THRUST_200600_302600_NS6detail15normal_iteratorINS9_10device_ptrIsEEEESE_SE_sNS9_4plusIvEENS9_8equal_toIsEEsEE10hipError_tPvRmT2_T3_T4_T5_mT6_T7_P12ihipStream_tbENKUlT_T0_E_clISt17integral_constantIbLb0EESY_IbLb1EEEEDaSU_SV_EUlSU_E_NS1_11comp_targetILNS1_3genE5ELNS1_11target_archE942ELNS1_3gpuE9ELNS1_3repE0EEENS1_30default_config_static_selectorELNS0_4arch9wavefront6targetE1EEEvT1_,"axG",@progbits,_ZN7rocprim17ROCPRIM_400000_NS6detail17trampoline_kernelINS0_14default_configENS1_27scan_by_key_config_selectorIssEEZZNS1_16scan_by_key_implILNS1_25lookback_scan_determinismE0ELb1ES3_N6thrust23THRUST_200600_302600_NS6detail15normal_iteratorINS9_10device_ptrIsEEEESE_SE_sNS9_4plusIvEENS9_8equal_toIsEEsEE10hipError_tPvRmT2_T3_T4_T5_mT6_T7_P12ihipStream_tbENKUlT_T0_E_clISt17integral_constantIbLb0EESY_IbLb1EEEEDaSU_SV_EUlSU_E_NS1_11comp_targetILNS1_3genE5ELNS1_11target_archE942ELNS1_3gpuE9ELNS1_3repE0EEENS1_30default_config_static_selectorELNS0_4arch9wavefront6targetE1EEEvT1_,comdat
.Lfunc_end670:
	.size	_ZN7rocprim17ROCPRIM_400000_NS6detail17trampoline_kernelINS0_14default_configENS1_27scan_by_key_config_selectorIssEEZZNS1_16scan_by_key_implILNS1_25lookback_scan_determinismE0ELb1ES3_N6thrust23THRUST_200600_302600_NS6detail15normal_iteratorINS9_10device_ptrIsEEEESE_SE_sNS9_4plusIvEENS9_8equal_toIsEEsEE10hipError_tPvRmT2_T3_T4_T5_mT6_T7_P12ihipStream_tbENKUlT_T0_E_clISt17integral_constantIbLb0EESY_IbLb1EEEEDaSU_SV_EUlSU_E_NS1_11comp_targetILNS1_3genE5ELNS1_11target_archE942ELNS1_3gpuE9ELNS1_3repE0EEENS1_30default_config_static_selectorELNS0_4arch9wavefront6targetE1EEEvT1_, .Lfunc_end670-_ZN7rocprim17ROCPRIM_400000_NS6detail17trampoline_kernelINS0_14default_configENS1_27scan_by_key_config_selectorIssEEZZNS1_16scan_by_key_implILNS1_25lookback_scan_determinismE0ELb1ES3_N6thrust23THRUST_200600_302600_NS6detail15normal_iteratorINS9_10device_ptrIsEEEESE_SE_sNS9_4plusIvEENS9_8equal_toIsEEsEE10hipError_tPvRmT2_T3_T4_T5_mT6_T7_P12ihipStream_tbENKUlT_T0_E_clISt17integral_constantIbLb0EESY_IbLb1EEEEDaSU_SV_EUlSU_E_NS1_11comp_targetILNS1_3genE5ELNS1_11target_archE942ELNS1_3gpuE9ELNS1_3repE0EEENS1_30default_config_static_selectorELNS0_4arch9wavefront6targetE1EEEvT1_
                                        ; -- End function
	.section	.AMDGPU.csdata,"",@progbits
; Kernel info:
; codeLenInByte = 16524
; NumSgprs: 81
; NumVgprs: 64
; NumAgprs: 0
; TotalNumVgprs: 64
; ScratchSize: 0
; MemoryBound: 0
; FloatMode: 240
; IeeeMode: 1
; LDSByteSize: 13312 bytes/workgroup (compile time only)
; SGPRBlocks: 10
; VGPRBlocks: 7
; NumSGPRsForWavesPerEU: 81
; NumVGPRsForWavesPerEU: 64
; AccumOffset: 64
; Occupancy: 4
; WaveLimiterHint : 1
; COMPUTE_PGM_RSRC2:SCRATCH_EN: 0
; COMPUTE_PGM_RSRC2:USER_SGPR: 2
; COMPUTE_PGM_RSRC2:TRAP_HANDLER: 0
; COMPUTE_PGM_RSRC2:TGID_X_EN: 1
; COMPUTE_PGM_RSRC2:TGID_Y_EN: 0
; COMPUTE_PGM_RSRC2:TGID_Z_EN: 0
; COMPUTE_PGM_RSRC2:TIDIG_COMP_CNT: 0
; COMPUTE_PGM_RSRC3_GFX90A:ACCUM_OFFSET: 15
; COMPUTE_PGM_RSRC3_GFX90A:TG_SPLIT: 0
	.section	.text._ZN7rocprim17ROCPRIM_400000_NS6detail17trampoline_kernelINS0_14default_configENS1_27scan_by_key_config_selectorIssEEZZNS1_16scan_by_key_implILNS1_25lookback_scan_determinismE0ELb1ES3_N6thrust23THRUST_200600_302600_NS6detail15normal_iteratorINS9_10device_ptrIsEEEESE_SE_sNS9_4plusIvEENS9_8equal_toIsEEsEE10hipError_tPvRmT2_T3_T4_T5_mT6_T7_P12ihipStream_tbENKUlT_T0_E_clISt17integral_constantIbLb0EESY_IbLb1EEEEDaSU_SV_EUlSU_E_NS1_11comp_targetILNS1_3genE4ELNS1_11target_archE910ELNS1_3gpuE8ELNS1_3repE0EEENS1_30default_config_static_selectorELNS0_4arch9wavefront6targetE1EEEvT1_,"axG",@progbits,_ZN7rocprim17ROCPRIM_400000_NS6detail17trampoline_kernelINS0_14default_configENS1_27scan_by_key_config_selectorIssEEZZNS1_16scan_by_key_implILNS1_25lookback_scan_determinismE0ELb1ES3_N6thrust23THRUST_200600_302600_NS6detail15normal_iteratorINS9_10device_ptrIsEEEESE_SE_sNS9_4plusIvEENS9_8equal_toIsEEsEE10hipError_tPvRmT2_T3_T4_T5_mT6_T7_P12ihipStream_tbENKUlT_T0_E_clISt17integral_constantIbLb0EESY_IbLb1EEEEDaSU_SV_EUlSU_E_NS1_11comp_targetILNS1_3genE4ELNS1_11target_archE910ELNS1_3gpuE8ELNS1_3repE0EEENS1_30default_config_static_selectorELNS0_4arch9wavefront6targetE1EEEvT1_,comdat
	.protected	_ZN7rocprim17ROCPRIM_400000_NS6detail17trampoline_kernelINS0_14default_configENS1_27scan_by_key_config_selectorIssEEZZNS1_16scan_by_key_implILNS1_25lookback_scan_determinismE0ELb1ES3_N6thrust23THRUST_200600_302600_NS6detail15normal_iteratorINS9_10device_ptrIsEEEESE_SE_sNS9_4plusIvEENS9_8equal_toIsEEsEE10hipError_tPvRmT2_T3_T4_T5_mT6_T7_P12ihipStream_tbENKUlT_T0_E_clISt17integral_constantIbLb0EESY_IbLb1EEEEDaSU_SV_EUlSU_E_NS1_11comp_targetILNS1_3genE4ELNS1_11target_archE910ELNS1_3gpuE8ELNS1_3repE0EEENS1_30default_config_static_selectorELNS0_4arch9wavefront6targetE1EEEvT1_ ; -- Begin function _ZN7rocprim17ROCPRIM_400000_NS6detail17trampoline_kernelINS0_14default_configENS1_27scan_by_key_config_selectorIssEEZZNS1_16scan_by_key_implILNS1_25lookback_scan_determinismE0ELb1ES3_N6thrust23THRUST_200600_302600_NS6detail15normal_iteratorINS9_10device_ptrIsEEEESE_SE_sNS9_4plusIvEENS9_8equal_toIsEEsEE10hipError_tPvRmT2_T3_T4_T5_mT6_T7_P12ihipStream_tbENKUlT_T0_E_clISt17integral_constantIbLb0EESY_IbLb1EEEEDaSU_SV_EUlSU_E_NS1_11comp_targetILNS1_3genE4ELNS1_11target_archE910ELNS1_3gpuE8ELNS1_3repE0EEENS1_30default_config_static_selectorELNS0_4arch9wavefront6targetE1EEEvT1_
	.globl	_ZN7rocprim17ROCPRIM_400000_NS6detail17trampoline_kernelINS0_14default_configENS1_27scan_by_key_config_selectorIssEEZZNS1_16scan_by_key_implILNS1_25lookback_scan_determinismE0ELb1ES3_N6thrust23THRUST_200600_302600_NS6detail15normal_iteratorINS9_10device_ptrIsEEEESE_SE_sNS9_4plusIvEENS9_8equal_toIsEEsEE10hipError_tPvRmT2_T3_T4_T5_mT6_T7_P12ihipStream_tbENKUlT_T0_E_clISt17integral_constantIbLb0EESY_IbLb1EEEEDaSU_SV_EUlSU_E_NS1_11comp_targetILNS1_3genE4ELNS1_11target_archE910ELNS1_3gpuE8ELNS1_3repE0EEENS1_30default_config_static_selectorELNS0_4arch9wavefront6targetE1EEEvT1_
	.p2align	8
	.type	_ZN7rocprim17ROCPRIM_400000_NS6detail17trampoline_kernelINS0_14default_configENS1_27scan_by_key_config_selectorIssEEZZNS1_16scan_by_key_implILNS1_25lookback_scan_determinismE0ELb1ES3_N6thrust23THRUST_200600_302600_NS6detail15normal_iteratorINS9_10device_ptrIsEEEESE_SE_sNS9_4plusIvEENS9_8equal_toIsEEsEE10hipError_tPvRmT2_T3_T4_T5_mT6_T7_P12ihipStream_tbENKUlT_T0_E_clISt17integral_constantIbLb0EESY_IbLb1EEEEDaSU_SV_EUlSU_E_NS1_11comp_targetILNS1_3genE4ELNS1_11target_archE910ELNS1_3gpuE8ELNS1_3repE0EEENS1_30default_config_static_selectorELNS0_4arch9wavefront6targetE1EEEvT1_,@function
_ZN7rocprim17ROCPRIM_400000_NS6detail17trampoline_kernelINS0_14default_configENS1_27scan_by_key_config_selectorIssEEZZNS1_16scan_by_key_implILNS1_25lookback_scan_determinismE0ELb1ES3_N6thrust23THRUST_200600_302600_NS6detail15normal_iteratorINS9_10device_ptrIsEEEESE_SE_sNS9_4plusIvEENS9_8equal_toIsEEsEE10hipError_tPvRmT2_T3_T4_T5_mT6_T7_P12ihipStream_tbENKUlT_T0_E_clISt17integral_constantIbLb0EESY_IbLb1EEEEDaSU_SV_EUlSU_E_NS1_11comp_targetILNS1_3genE4ELNS1_11target_archE910ELNS1_3gpuE8ELNS1_3repE0EEENS1_30default_config_static_selectorELNS0_4arch9wavefront6targetE1EEEvT1_: ; @_ZN7rocprim17ROCPRIM_400000_NS6detail17trampoline_kernelINS0_14default_configENS1_27scan_by_key_config_selectorIssEEZZNS1_16scan_by_key_implILNS1_25lookback_scan_determinismE0ELb1ES3_N6thrust23THRUST_200600_302600_NS6detail15normal_iteratorINS9_10device_ptrIsEEEESE_SE_sNS9_4plusIvEENS9_8equal_toIsEEsEE10hipError_tPvRmT2_T3_T4_T5_mT6_T7_P12ihipStream_tbENKUlT_T0_E_clISt17integral_constantIbLb0EESY_IbLb1EEEEDaSU_SV_EUlSU_E_NS1_11comp_targetILNS1_3genE4ELNS1_11target_archE910ELNS1_3gpuE8ELNS1_3repE0EEENS1_30default_config_static_selectorELNS0_4arch9wavefront6targetE1EEEvT1_
; %bb.0:
	.section	.rodata,"a",@progbits
	.p2align	6, 0x0
	.amdhsa_kernel _ZN7rocprim17ROCPRIM_400000_NS6detail17trampoline_kernelINS0_14default_configENS1_27scan_by_key_config_selectorIssEEZZNS1_16scan_by_key_implILNS1_25lookback_scan_determinismE0ELb1ES3_N6thrust23THRUST_200600_302600_NS6detail15normal_iteratorINS9_10device_ptrIsEEEESE_SE_sNS9_4plusIvEENS9_8equal_toIsEEsEE10hipError_tPvRmT2_T3_T4_T5_mT6_T7_P12ihipStream_tbENKUlT_T0_E_clISt17integral_constantIbLb0EESY_IbLb1EEEEDaSU_SV_EUlSU_E_NS1_11comp_targetILNS1_3genE4ELNS1_11target_archE910ELNS1_3gpuE8ELNS1_3repE0EEENS1_30default_config_static_selectorELNS0_4arch9wavefront6targetE1EEEvT1_
		.amdhsa_group_segment_fixed_size 0
		.amdhsa_private_segment_fixed_size 0
		.amdhsa_kernarg_size 112
		.amdhsa_user_sgpr_count 2
		.amdhsa_user_sgpr_dispatch_ptr 0
		.amdhsa_user_sgpr_queue_ptr 0
		.amdhsa_user_sgpr_kernarg_segment_ptr 1
		.amdhsa_user_sgpr_dispatch_id 0
		.amdhsa_user_sgpr_kernarg_preload_length 0
		.amdhsa_user_sgpr_kernarg_preload_offset 0
		.amdhsa_user_sgpr_private_segment_size 0
		.amdhsa_uses_dynamic_stack 0
		.amdhsa_enable_private_segment 0
		.amdhsa_system_sgpr_workgroup_id_x 1
		.amdhsa_system_sgpr_workgroup_id_y 0
		.amdhsa_system_sgpr_workgroup_id_z 0
		.amdhsa_system_sgpr_workgroup_info 0
		.amdhsa_system_vgpr_workitem_id 0
		.amdhsa_next_free_vgpr 1
		.amdhsa_next_free_sgpr 0
		.amdhsa_accum_offset 4
		.amdhsa_reserve_vcc 0
		.amdhsa_float_round_mode_32 0
		.amdhsa_float_round_mode_16_64 0
		.amdhsa_float_denorm_mode_32 3
		.amdhsa_float_denorm_mode_16_64 3
		.amdhsa_dx10_clamp 1
		.amdhsa_ieee_mode 1
		.amdhsa_fp16_overflow 0
		.amdhsa_tg_split 0
		.amdhsa_exception_fp_ieee_invalid_op 0
		.amdhsa_exception_fp_denorm_src 0
		.amdhsa_exception_fp_ieee_div_zero 0
		.amdhsa_exception_fp_ieee_overflow 0
		.amdhsa_exception_fp_ieee_underflow 0
		.amdhsa_exception_fp_ieee_inexact 0
		.amdhsa_exception_int_div_zero 0
	.end_amdhsa_kernel
	.section	.text._ZN7rocprim17ROCPRIM_400000_NS6detail17trampoline_kernelINS0_14default_configENS1_27scan_by_key_config_selectorIssEEZZNS1_16scan_by_key_implILNS1_25lookback_scan_determinismE0ELb1ES3_N6thrust23THRUST_200600_302600_NS6detail15normal_iteratorINS9_10device_ptrIsEEEESE_SE_sNS9_4plusIvEENS9_8equal_toIsEEsEE10hipError_tPvRmT2_T3_T4_T5_mT6_T7_P12ihipStream_tbENKUlT_T0_E_clISt17integral_constantIbLb0EESY_IbLb1EEEEDaSU_SV_EUlSU_E_NS1_11comp_targetILNS1_3genE4ELNS1_11target_archE910ELNS1_3gpuE8ELNS1_3repE0EEENS1_30default_config_static_selectorELNS0_4arch9wavefront6targetE1EEEvT1_,"axG",@progbits,_ZN7rocprim17ROCPRIM_400000_NS6detail17trampoline_kernelINS0_14default_configENS1_27scan_by_key_config_selectorIssEEZZNS1_16scan_by_key_implILNS1_25lookback_scan_determinismE0ELb1ES3_N6thrust23THRUST_200600_302600_NS6detail15normal_iteratorINS9_10device_ptrIsEEEESE_SE_sNS9_4plusIvEENS9_8equal_toIsEEsEE10hipError_tPvRmT2_T3_T4_T5_mT6_T7_P12ihipStream_tbENKUlT_T0_E_clISt17integral_constantIbLb0EESY_IbLb1EEEEDaSU_SV_EUlSU_E_NS1_11comp_targetILNS1_3genE4ELNS1_11target_archE910ELNS1_3gpuE8ELNS1_3repE0EEENS1_30default_config_static_selectorELNS0_4arch9wavefront6targetE1EEEvT1_,comdat
.Lfunc_end671:
	.size	_ZN7rocprim17ROCPRIM_400000_NS6detail17trampoline_kernelINS0_14default_configENS1_27scan_by_key_config_selectorIssEEZZNS1_16scan_by_key_implILNS1_25lookback_scan_determinismE0ELb1ES3_N6thrust23THRUST_200600_302600_NS6detail15normal_iteratorINS9_10device_ptrIsEEEESE_SE_sNS9_4plusIvEENS9_8equal_toIsEEsEE10hipError_tPvRmT2_T3_T4_T5_mT6_T7_P12ihipStream_tbENKUlT_T0_E_clISt17integral_constantIbLb0EESY_IbLb1EEEEDaSU_SV_EUlSU_E_NS1_11comp_targetILNS1_3genE4ELNS1_11target_archE910ELNS1_3gpuE8ELNS1_3repE0EEENS1_30default_config_static_selectorELNS0_4arch9wavefront6targetE1EEEvT1_, .Lfunc_end671-_ZN7rocprim17ROCPRIM_400000_NS6detail17trampoline_kernelINS0_14default_configENS1_27scan_by_key_config_selectorIssEEZZNS1_16scan_by_key_implILNS1_25lookback_scan_determinismE0ELb1ES3_N6thrust23THRUST_200600_302600_NS6detail15normal_iteratorINS9_10device_ptrIsEEEESE_SE_sNS9_4plusIvEENS9_8equal_toIsEEsEE10hipError_tPvRmT2_T3_T4_T5_mT6_T7_P12ihipStream_tbENKUlT_T0_E_clISt17integral_constantIbLb0EESY_IbLb1EEEEDaSU_SV_EUlSU_E_NS1_11comp_targetILNS1_3genE4ELNS1_11target_archE910ELNS1_3gpuE8ELNS1_3repE0EEENS1_30default_config_static_selectorELNS0_4arch9wavefront6targetE1EEEvT1_
                                        ; -- End function
	.section	.AMDGPU.csdata,"",@progbits
; Kernel info:
; codeLenInByte = 0
; NumSgprs: 6
; NumVgprs: 0
; NumAgprs: 0
; TotalNumVgprs: 0
; ScratchSize: 0
; MemoryBound: 0
; FloatMode: 240
; IeeeMode: 1
; LDSByteSize: 0 bytes/workgroup (compile time only)
; SGPRBlocks: 0
; VGPRBlocks: 0
; NumSGPRsForWavesPerEU: 6
; NumVGPRsForWavesPerEU: 1
; AccumOffset: 4
; Occupancy: 8
; WaveLimiterHint : 0
; COMPUTE_PGM_RSRC2:SCRATCH_EN: 0
; COMPUTE_PGM_RSRC2:USER_SGPR: 2
; COMPUTE_PGM_RSRC2:TRAP_HANDLER: 0
; COMPUTE_PGM_RSRC2:TGID_X_EN: 1
; COMPUTE_PGM_RSRC2:TGID_Y_EN: 0
; COMPUTE_PGM_RSRC2:TGID_Z_EN: 0
; COMPUTE_PGM_RSRC2:TIDIG_COMP_CNT: 0
; COMPUTE_PGM_RSRC3_GFX90A:ACCUM_OFFSET: 0
; COMPUTE_PGM_RSRC3_GFX90A:TG_SPLIT: 0
	.section	.text._ZN7rocprim17ROCPRIM_400000_NS6detail17trampoline_kernelINS0_14default_configENS1_27scan_by_key_config_selectorIssEEZZNS1_16scan_by_key_implILNS1_25lookback_scan_determinismE0ELb1ES3_N6thrust23THRUST_200600_302600_NS6detail15normal_iteratorINS9_10device_ptrIsEEEESE_SE_sNS9_4plusIvEENS9_8equal_toIsEEsEE10hipError_tPvRmT2_T3_T4_T5_mT6_T7_P12ihipStream_tbENKUlT_T0_E_clISt17integral_constantIbLb0EESY_IbLb1EEEEDaSU_SV_EUlSU_E_NS1_11comp_targetILNS1_3genE3ELNS1_11target_archE908ELNS1_3gpuE7ELNS1_3repE0EEENS1_30default_config_static_selectorELNS0_4arch9wavefront6targetE1EEEvT1_,"axG",@progbits,_ZN7rocprim17ROCPRIM_400000_NS6detail17trampoline_kernelINS0_14default_configENS1_27scan_by_key_config_selectorIssEEZZNS1_16scan_by_key_implILNS1_25lookback_scan_determinismE0ELb1ES3_N6thrust23THRUST_200600_302600_NS6detail15normal_iteratorINS9_10device_ptrIsEEEESE_SE_sNS9_4plusIvEENS9_8equal_toIsEEsEE10hipError_tPvRmT2_T3_T4_T5_mT6_T7_P12ihipStream_tbENKUlT_T0_E_clISt17integral_constantIbLb0EESY_IbLb1EEEEDaSU_SV_EUlSU_E_NS1_11comp_targetILNS1_3genE3ELNS1_11target_archE908ELNS1_3gpuE7ELNS1_3repE0EEENS1_30default_config_static_selectorELNS0_4arch9wavefront6targetE1EEEvT1_,comdat
	.protected	_ZN7rocprim17ROCPRIM_400000_NS6detail17trampoline_kernelINS0_14default_configENS1_27scan_by_key_config_selectorIssEEZZNS1_16scan_by_key_implILNS1_25lookback_scan_determinismE0ELb1ES3_N6thrust23THRUST_200600_302600_NS6detail15normal_iteratorINS9_10device_ptrIsEEEESE_SE_sNS9_4plusIvEENS9_8equal_toIsEEsEE10hipError_tPvRmT2_T3_T4_T5_mT6_T7_P12ihipStream_tbENKUlT_T0_E_clISt17integral_constantIbLb0EESY_IbLb1EEEEDaSU_SV_EUlSU_E_NS1_11comp_targetILNS1_3genE3ELNS1_11target_archE908ELNS1_3gpuE7ELNS1_3repE0EEENS1_30default_config_static_selectorELNS0_4arch9wavefront6targetE1EEEvT1_ ; -- Begin function _ZN7rocprim17ROCPRIM_400000_NS6detail17trampoline_kernelINS0_14default_configENS1_27scan_by_key_config_selectorIssEEZZNS1_16scan_by_key_implILNS1_25lookback_scan_determinismE0ELb1ES3_N6thrust23THRUST_200600_302600_NS6detail15normal_iteratorINS9_10device_ptrIsEEEESE_SE_sNS9_4plusIvEENS9_8equal_toIsEEsEE10hipError_tPvRmT2_T3_T4_T5_mT6_T7_P12ihipStream_tbENKUlT_T0_E_clISt17integral_constantIbLb0EESY_IbLb1EEEEDaSU_SV_EUlSU_E_NS1_11comp_targetILNS1_3genE3ELNS1_11target_archE908ELNS1_3gpuE7ELNS1_3repE0EEENS1_30default_config_static_selectorELNS0_4arch9wavefront6targetE1EEEvT1_
	.globl	_ZN7rocprim17ROCPRIM_400000_NS6detail17trampoline_kernelINS0_14default_configENS1_27scan_by_key_config_selectorIssEEZZNS1_16scan_by_key_implILNS1_25lookback_scan_determinismE0ELb1ES3_N6thrust23THRUST_200600_302600_NS6detail15normal_iteratorINS9_10device_ptrIsEEEESE_SE_sNS9_4plusIvEENS9_8equal_toIsEEsEE10hipError_tPvRmT2_T3_T4_T5_mT6_T7_P12ihipStream_tbENKUlT_T0_E_clISt17integral_constantIbLb0EESY_IbLb1EEEEDaSU_SV_EUlSU_E_NS1_11comp_targetILNS1_3genE3ELNS1_11target_archE908ELNS1_3gpuE7ELNS1_3repE0EEENS1_30default_config_static_selectorELNS0_4arch9wavefront6targetE1EEEvT1_
	.p2align	8
	.type	_ZN7rocprim17ROCPRIM_400000_NS6detail17trampoline_kernelINS0_14default_configENS1_27scan_by_key_config_selectorIssEEZZNS1_16scan_by_key_implILNS1_25lookback_scan_determinismE0ELb1ES3_N6thrust23THRUST_200600_302600_NS6detail15normal_iteratorINS9_10device_ptrIsEEEESE_SE_sNS9_4plusIvEENS9_8equal_toIsEEsEE10hipError_tPvRmT2_T3_T4_T5_mT6_T7_P12ihipStream_tbENKUlT_T0_E_clISt17integral_constantIbLb0EESY_IbLb1EEEEDaSU_SV_EUlSU_E_NS1_11comp_targetILNS1_3genE3ELNS1_11target_archE908ELNS1_3gpuE7ELNS1_3repE0EEENS1_30default_config_static_selectorELNS0_4arch9wavefront6targetE1EEEvT1_,@function
_ZN7rocprim17ROCPRIM_400000_NS6detail17trampoline_kernelINS0_14default_configENS1_27scan_by_key_config_selectorIssEEZZNS1_16scan_by_key_implILNS1_25lookback_scan_determinismE0ELb1ES3_N6thrust23THRUST_200600_302600_NS6detail15normal_iteratorINS9_10device_ptrIsEEEESE_SE_sNS9_4plusIvEENS9_8equal_toIsEEsEE10hipError_tPvRmT2_T3_T4_T5_mT6_T7_P12ihipStream_tbENKUlT_T0_E_clISt17integral_constantIbLb0EESY_IbLb1EEEEDaSU_SV_EUlSU_E_NS1_11comp_targetILNS1_3genE3ELNS1_11target_archE908ELNS1_3gpuE7ELNS1_3repE0EEENS1_30default_config_static_selectorELNS0_4arch9wavefront6targetE1EEEvT1_: ; @_ZN7rocprim17ROCPRIM_400000_NS6detail17trampoline_kernelINS0_14default_configENS1_27scan_by_key_config_selectorIssEEZZNS1_16scan_by_key_implILNS1_25lookback_scan_determinismE0ELb1ES3_N6thrust23THRUST_200600_302600_NS6detail15normal_iteratorINS9_10device_ptrIsEEEESE_SE_sNS9_4plusIvEENS9_8equal_toIsEEsEE10hipError_tPvRmT2_T3_T4_T5_mT6_T7_P12ihipStream_tbENKUlT_T0_E_clISt17integral_constantIbLb0EESY_IbLb1EEEEDaSU_SV_EUlSU_E_NS1_11comp_targetILNS1_3genE3ELNS1_11target_archE908ELNS1_3gpuE7ELNS1_3repE0EEENS1_30default_config_static_selectorELNS0_4arch9wavefront6targetE1EEEvT1_
; %bb.0:
	.section	.rodata,"a",@progbits
	.p2align	6, 0x0
	.amdhsa_kernel _ZN7rocprim17ROCPRIM_400000_NS6detail17trampoline_kernelINS0_14default_configENS1_27scan_by_key_config_selectorIssEEZZNS1_16scan_by_key_implILNS1_25lookback_scan_determinismE0ELb1ES3_N6thrust23THRUST_200600_302600_NS6detail15normal_iteratorINS9_10device_ptrIsEEEESE_SE_sNS9_4plusIvEENS9_8equal_toIsEEsEE10hipError_tPvRmT2_T3_T4_T5_mT6_T7_P12ihipStream_tbENKUlT_T0_E_clISt17integral_constantIbLb0EESY_IbLb1EEEEDaSU_SV_EUlSU_E_NS1_11comp_targetILNS1_3genE3ELNS1_11target_archE908ELNS1_3gpuE7ELNS1_3repE0EEENS1_30default_config_static_selectorELNS0_4arch9wavefront6targetE1EEEvT1_
		.amdhsa_group_segment_fixed_size 0
		.amdhsa_private_segment_fixed_size 0
		.amdhsa_kernarg_size 112
		.amdhsa_user_sgpr_count 2
		.amdhsa_user_sgpr_dispatch_ptr 0
		.amdhsa_user_sgpr_queue_ptr 0
		.amdhsa_user_sgpr_kernarg_segment_ptr 1
		.amdhsa_user_sgpr_dispatch_id 0
		.amdhsa_user_sgpr_kernarg_preload_length 0
		.amdhsa_user_sgpr_kernarg_preload_offset 0
		.amdhsa_user_sgpr_private_segment_size 0
		.amdhsa_uses_dynamic_stack 0
		.amdhsa_enable_private_segment 0
		.amdhsa_system_sgpr_workgroup_id_x 1
		.amdhsa_system_sgpr_workgroup_id_y 0
		.amdhsa_system_sgpr_workgroup_id_z 0
		.amdhsa_system_sgpr_workgroup_info 0
		.amdhsa_system_vgpr_workitem_id 0
		.amdhsa_next_free_vgpr 1
		.amdhsa_next_free_sgpr 0
		.amdhsa_accum_offset 4
		.amdhsa_reserve_vcc 0
		.amdhsa_float_round_mode_32 0
		.amdhsa_float_round_mode_16_64 0
		.amdhsa_float_denorm_mode_32 3
		.amdhsa_float_denorm_mode_16_64 3
		.amdhsa_dx10_clamp 1
		.amdhsa_ieee_mode 1
		.amdhsa_fp16_overflow 0
		.amdhsa_tg_split 0
		.amdhsa_exception_fp_ieee_invalid_op 0
		.amdhsa_exception_fp_denorm_src 0
		.amdhsa_exception_fp_ieee_div_zero 0
		.amdhsa_exception_fp_ieee_overflow 0
		.amdhsa_exception_fp_ieee_underflow 0
		.amdhsa_exception_fp_ieee_inexact 0
		.amdhsa_exception_int_div_zero 0
	.end_amdhsa_kernel
	.section	.text._ZN7rocprim17ROCPRIM_400000_NS6detail17trampoline_kernelINS0_14default_configENS1_27scan_by_key_config_selectorIssEEZZNS1_16scan_by_key_implILNS1_25lookback_scan_determinismE0ELb1ES3_N6thrust23THRUST_200600_302600_NS6detail15normal_iteratorINS9_10device_ptrIsEEEESE_SE_sNS9_4plusIvEENS9_8equal_toIsEEsEE10hipError_tPvRmT2_T3_T4_T5_mT6_T7_P12ihipStream_tbENKUlT_T0_E_clISt17integral_constantIbLb0EESY_IbLb1EEEEDaSU_SV_EUlSU_E_NS1_11comp_targetILNS1_3genE3ELNS1_11target_archE908ELNS1_3gpuE7ELNS1_3repE0EEENS1_30default_config_static_selectorELNS0_4arch9wavefront6targetE1EEEvT1_,"axG",@progbits,_ZN7rocprim17ROCPRIM_400000_NS6detail17trampoline_kernelINS0_14default_configENS1_27scan_by_key_config_selectorIssEEZZNS1_16scan_by_key_implILNS1_25lookback_scan_determinismE0ELb1ES3_N6thrust23THRUST_200600_302600_NS6detail15normal_iteratorINS9_10device_ptrIsEEEESE_SE_sNS9_4plusIvEENS9_8equal_toIsEEsEE10hipError_tPvRmT2_T3_T4_T5_mT6_T7_P12ihipStream_tbENKUlT_T0_E_clISt17integral_constantIbLb0EESY_IbLb1EEEEDaSU_SV_EUlSU_E_NS1_11comp_targetILNS1_3genE3ELNS1_11target_archE908ELNS1_3gpuE7ELNS1_3repE0EEENS1_30default_config_static_selectorELNS0_4arch9wavefront6targetE1EEEvT1_,comdat
.Lfunc_end672:
	.size	_ZN7rocprim17ROCPRIM_400000_NS6detail17trampoline_kernelINS0_14default_configENS1_27scan_by_key_config_selectorIssEEZZNS1_16scan_by_key_implILNS1_25lookback_scan_determinismE0ELb1ES3_N6thrust23THRUST_200600_302600_NS6detail15normal_iteratorINS9_10device_ptrIsEEEESE_SE_sNS9_4plusIvEENS9_8equal_toIsEEsEE10hipError_tPvRmT2_T3_T4_T5_mT6_T7_P12ihipStream_tbENKUlT_T0_E_clISt17integral_constantIbLb0EESY_IbLb1EEEEDaSU_SV_EUlSU_E_NS1_11comp_targetILNS1_3genE3ELNS1_11target_archE908ELNS1_3gpuE7ELNS1_3repE0EEENS1_30default_config_static_selectorELNS0_4arch9wavefront6targetE1EEEvT1_, .Lfunc_end672-_ZN7rocprim17ROCPRIM_400000_NS6detail17trampoline_kernelINS0_14default_configENS1_27scan_by_key_config_selectorIssEEZZNS1_16scan_by_key_implILNS1_25lookback_scan_determinismE0ELb1ES3_N6thrust23THRUST_200600_302600_NS6detail15normal_iteratorINS9_10device_ptrIsEEEESE_SE_sNS9_4plusIvEENS9_8equal_toIsEEsEE10hipError_tPvRmT2_T3_T4_T5_mT6_T7_P12ihipStream_tbENKUlT_T0_E_clISt17integral_constantIbLb0EESY_IbLb1EEEEDaSU_SV_EUlSU_E_NS1_11comp_targetILNS1_3genE3ELNS1_11target_archE908ELNS1_3gpuE7ELNS1_3repE0EEENS1_30default_config_static_selectorELNS0_4arch9wavefront6targetE1EEEvT1_
                                        ; -- End function
	.section	.AMDGPU.csdata,"",@progbits
; Kernel info:
; codeLenInByte = 0
; NumSgprs: 6
; NumVgprs: 0
; NumAgprs: 0
; TotalNumVgprs: 0
; ScratchSize: 0
; MemoryBound: 0
; FloatMode: 240
; IeeeMode: 1
; LDSByteSize: 0 bytes/workgroup (compile time only)
; SGPRBlocks: 0
; VGPRBlocks: 0
; NumSGPRsForWavesPerEU: 6
; NumVGPRsForWavesPerEU: 1
; AccumOffset: 4
; Occupancy: 8
; WaveLimiterHint : 0
; COMPUTE_PGM_RSRC2:SCRATCH_EN: 0
; COMPUTE_PGM_RSRC2:USER_SGPR: 2
; COMPUTE_PGM_RSRC2:TRAP_HANDLER: 0
; COMPUTE_PGM_RSRC2:TGID_X_EN: 1
; COMPUTE_PGM_RSRC2:TGID_Y_EN: 0
; COMPUTE_PGM_RSRC2:TGID_Z_EN: 0
; COMPUTE_PGM_RSRC2:TIDIG_COMP_CNT: 0
; COMPUTE_PGM_RSRC3_GFX90A:ACCUM_OFFSET: 0
; COMPUTE_PGM_RSRC3_GFX90A:TG_SPLIT: 0
	.section	.text._ZN7rocprim17ROCPRIM_400000_NS6detail17trampoline_kernelINS0_14default_configENS1_27scan_by_key_config_selectorIssEEZZNS1_16scan_by_key_implILNS1_25lookback_scan_determinismE0ELb1ES3_N6thrust23THRUST_200600_302600_NS6detail15normal_iteratorINS9_10device_ptrIsEEEESE_SE_sNS9_4plusIvEENS9_8equal_toIsEEsEE10hipError_tPvRmT2_T3_T4_T5_mT6_T7_P12ihipStream_tbENKUlT_T0_E_clISt17integral_constantIbLb0EESY_IbLb1EEEEDaSU_SV_EUlSU_E_NS1_11comp_targetILNS1_3genE2ELNS1_11target_archE906ELNS1_3gpuE6ELNS1_3repE0EEENS1_30default_config_static_selectorELNS0_4arch9wavefront6targetE1EEEvT1_,"axG",@progbits,_ZN7rocprim17ROCPRIM_400000_NS6detail17trampoline_kernelINS0_14default_configENS1_27scan_by_key_config_selectorIssEEZZNS1_16scan_by_key_implILNS1_25lookback_scan_determinismE0ELb1ES3_N6thrust23THRUST_200600_302600_NS6detail15normal_iteratorINS9_10device_ptrIsEEEESE_SE_sNS9_4plusIvEENS9_8equal_toIsEEsEE10hipError_tPvRmT2_T3_T4_T5_mT6_T7_P12ihipStream_tbENKUlT_T0_E_clISt17integral_constantIbLb0EESY_IbLb1EEEEDaSU_SV_EUlSU_E_NS1_11comp_targetILNS1_3genE2ELNS1_11target_archE906ELNS1_3gpuE6ELNS1_3repE0EEENS1_30default_config_static_selectorELNS0_4arch9wavefront6targetE1EEEvT1_,comdat
	.protected	_ZN7rocprim17ROCPRIM_400000_NS6detail17trampoline_kernelINS0_14default_configENS1_27scan_by_key_config_selectorIssEEZZNS1_16scan_by_key_implILNS1_25lookback_scan_determinismE0ELb1ES3_N6thrust23THRUST_200600_302600_NS6detail15normal_iteratorINS9_10device_ptrIsEEEESE_SE_sNS9_4plusIvEENS9_8equal_toIsEEsEE10hipError_tPvRmT2_T3_T4_T5_mT6_T7_P12ihipStream_tbENKUlT_T0_E_clISt17integral_constantIbLb0EESY_IbLb1EEEEDaSU_SV_EUlSU_E_NS1_11comp_targetILNS1_3genE2ELNS1_11target_archE906ELNS1_3gpuE6ELNS1_3repE0EEENS1_30default_config_static_selectorELNS0_4arch9wavefront6targetE1EEEvT1_ ; -- Begin function _ZN7rocprim17ROCPRIM_400000_NS6detail17trampoline_kernelINS0_14default_configENS1_27scan_by_key_config_selectorIssEEZZNS1_16scan_by_key_implILNS1_25lookback_scan_determinismE0ELb1ES3_N6thrust23THRUST_200600_302600_NS6detail15normal_iteratorINS9_10device_ptrIsEEEESE_SE_sNS9_4plusIvEENS9_8equal_toIsEEsEE10hipError_tPvRmT2_T3_T4_T5_mT6_T7_P12ihipStream_tbENKUlT_T0_E_clISt17integral_constantIbLb0EESY_IbLb1EEEEDaSU_SV_EUlSU_E_NS1_11comp_targetILNS1_3genE2ELNS1_11target_archE906ELNS1_3gpuE6ELNS1_3repE0EEENS1_30default_config_static_selectorELNS0_4arch9wavefront6targetE1EEEvT1_
	.globl	_ZN7rocprim17ROCPRIM_400000_NS6detail17trampoline_kernelINS0_14default_configENS1_27scan_by_key_config_selectorIssEEZZNS1_16scan_by_key_implILNS1_25lookback_scan_determinismE0ELb1ES3_N6thrust23THRUST_200600_302600_NS6detail15normal_iteratorINS9_10device_ptrIsEEEESE_SE_sNS9_4plusIvEENS9_8equal_toIsEEsEE10hipError_tPvRmT2_T3_T4_T5_mT6_T7_P12ihipStream_tbENKUlT_T0_E_clISt17integral_constantIbLb0EESY_IbLb1EEEEDaSU_SV_EUlSU_E_NS1_11comp_targetILNS1_3genE2ELNS1_11target_archE906ELNS1_3gpuE6ELNS1_3repE0EEENS1_30default_config_static_selectorELNS0_4arch9wavefront6targetE1EEEvT1_
	.p2align	8
	.type	_ZN7rocprim17ROCPRIM_400000_NS6detail17trampoline_kernelINS0_14default_configENS1_27scan_by_key_config_selectorIssEEZZNS1_16scan_by_key_implILNS1_25lookback_scan_determinismE0ELb1ES3_N6thrust23THRUST_200600_302600_NS6detail15normal_iteratorINS9_10device_ptrIsEEEESE_SE_sNS9_4plusIvEENS9_8equal_toIsEEsEE10hipError_tPvRmT2_T3_T4_T5_mT6_T7_P12ihipStream_tbENKUlT_T0_E_clISt17integral_constantIbLb0EESY_IbLb1EEEEDaSU_SV_EUlSU_E_NS1_11comp_targetILNS1_3genE2ELNS1_11target_archE906ELNS1_3gpuE6ELNS1_3repE0EEENS1_30default_config_static_selectorELNS0_4arch9wavefront6targetE1EEEvT1_,@function
_ZN7rocprim17ROCPRIM_400000_NS6detail17trampoline_kernelINS0_14default_configENS1_27scan_by_key_config_selectorIssEEZZNS1_16scan_by_key_implILNS1_25lookback_scan_determinismE0ELb1ES3_N6thrust23THRUST_200600_302600_NS6detail15normal_iteratorINS9_10device_ptrIsEEEESE_SE_sNS9_4plusIvEENS9_8equal_toIsEEsEE10hipError_tPvRmT2_T3_T4_T5_mT6_T7_P12ihipStream_tbENKUlT_T0_E_clISt17integral_constantIbLb0EESY_IbLb1EEEEDaSU_SV_EUlSU_E_NS1_11comp_targetILNS1_3genE2ELNS1_11target_archE906ELNS1_3gpuE6ELNS1_3repE0EEENS1_30default_config_static_selectorELNS0_4arch9wavefront6targetE1EEEvT1_: ; @_ZN7rocprim17ROCPRIM_400000_NS6detail17trampoline_kernelINS0_14default_configENS1_27scan_by_key_config_selectorIssEEZZNS1_16scan_by_key_implILNS1_25lookback_scan_determinismE0ELb1ES3_N6thrust23THRUST_200600_302600_NS6detail15normal_iteratorINS9_10device_ptrIsEEEESE_SE_sNS9_4plusIvEENS9_8equal_toIsEEsEE10hipError_tPvRmT2_T3_T4_T5_mT6_T7_P12ihipStream_tbENKUlT_T0_E_clISt17integral_constantIbLb0EESY_IbLb1EEEEDaSU_SV_EUlSU_E_NS1_11comp_targetILNS1_3genE2ELNS1_11target_archE906ELNS1_3gpuE6ELNS1_3repE0EEENS1_30default_config_static_selectorELNS0_4arch9wavefront6targetE1EEEvT1_
; %bb.0:
	.section	.rodata,"a",@progbits
	.p2align	6, 0x0
	.amdhsa_kernel _ZN7rocprim17ROCPRIM_400000_NS6detail17trampoline_kernelINS0_14default_configENS1_27scan_by_key_config_selectorIssEEZZNS1_16scan_by_key_implILNS1_25lookback_scan_determinismE0ELb1ES3_N6thrust23THRUST_200600_302600_NS6detail15normal_iteratorINS9_10device_ptrIsEEEESE_SE_sNS9_4plusIvEENS9_8equal_toIsEEsEE10hipError_tPvRmT2_T3_T4_T5_mT6_T7_P12ihipStream_tbENKUlT_T0_E_clISt17integral_constantIbLb0EESY_IbLb1EEEEDaSU_SV_EUlSU_E_NS1_11comp_targetILNS1_3genE2ELNS1_11target_archE906ELNS1_3gpuE6ELNS1_3repE0EEENS1_30default_config_static_selectorELNS0_4arch9wavefront6targetE1EEEvT1_
		.amdhsa_group_segment_fixed_size 0
		.amdhsa_private_segment_fixed_size 0
		.amdhsa_kernarg_size 112
		.amdhsa_user_sgpr_count 2
		.amdhsa_user_sgpr_dispatch_ptr 0
		.amdhsa_user_sgpr_queue_ptr 0
		.amdhsa_user_sgpr_kernarg_segment_ptr 1
		.amdhsa_user_sgpr_dispatch_id 0
		.amdhsa_user_sgpr_kernarg_preload_length 0
		.amdhsa_user_sgpr_kernarg_preload_offset 0
		.amdhsa_user_sgpr_private_segment_size 0
		.amdhsa_uses_dynamic_stack 0
		.amdhsa_enable_private_segment 0
		.amdhsa_system_sgpr_workgroup_id_x 1
		.amdhsa_system_sgpr_workgroup_id_y 0
		.amdhsa_system_sgpr_workgroup_id_z 0
		.amdhsa_system_sgpr_workgroup_info 0
		.amdhsa_system_vgpr_workitem_id 0
		.amdhsa_next_free_vgpr 1
		.amdhsa_next_free_sgpr 0
		.amdhsa_accum_offset 4
		.amdhsa_reserve_vcc 0
		.amdhsa_float_round_mode_32 0
		.amdhsa_float_round_mode_16_64 0
		.amdhsa_float_denorm_mode_32 3
		.amdhsa_float_denorm_mode_16_64 3
		.amdhsa_dx10_clamp 1
		.amdhsa_ieee_mode 1
		.amdhsa_fp16_overflow 0
		.amdhsa_tg_split 0
		.amdhsa_exception_fp_ieee_invalid_op 0
		.amdhsa_exception_fp_denorm_src 0
		.amdhsa_exception_fp_ieee_div_zero 0
		.amdhsa_exception_fp_ieee_overflow 0
		.amdhsa_exception_fp_ieee_underflow 0
		.amdhsa_exception_fp_ieee_inexact 0
		.amdhsa_exception_int_div_zero 0
	.end_amdhsa_kernel
	.section	.text._ZN7rocprim17ROCPRIM_400000_NS6detail17trampoline_kernelINS0_14default_configENS1_27scan_by_key_config_selectorIssEEZZNS1_16scan_by_key_implILNS1_25lookback_scan_determinismE0ELb1ES3_N6thrust23THRUST_200600_302600_NS6detail15normal_iteratorINS9_10device_ptrIsEEEESE_SE_sNS9_4plusIvEENS9_8equal_toIsEEsEE10hipError_tPvRmT2_T3_T4_T5_mT6_T7_P12ihipStream_tbENKUlT_T0_E_clISt17integral_constantIbLb0EESY_IbLb1EEEEDaSU_SV_EUlSU_E_NS1_11comp_targetILNS1_3genE2ELNS1_11target_archE906ELNS1_3gpuE6ELNS1_3repE0EEENS1_30default_config_static_selectorELNS0_4arch9wavefront6targetE1EEEvT1_,"axG",@progbits,_ZN7rocprim17ROCPRIM_400000_NS6detail17trampoline_kernelINS0_14default_configENS1_27scan_by_key_config_selectorIssEEZZNS1_16scan_by_key_implILNS1_25lookback_scan_determinismE0ELb1ES3_N6thrust23THRUST_200600_302600_NS6detail15normal_iteratorINS9_10device_ptrIsEEEESE_SE_sNS9_4plusIvEENS9_8equal_toIsEEsEE10hipError_tPvRmT2_T3_T4_T5_mT6_T7_P12ihipStream_tbENKUlT_T0_E_clISt17integral_constantIbLb0EESY_IbLb1EEEEDaSU_SV_EUlSU_E_NS1_11comp_targetILNS1_3genE2ELNS1_11target_archE906ELNS1_3gpuE6ELNS1_3repE0EEENS1_30default_config_static_selectorELNS0_4arch9wavefront6targetE1EEEvT1_,comdat
.Lfunc_end673:
	.size	_ZN7rocprim17ROCPRIM_400000_NS6detail17trampoline_kernelINS0_14default_configENS1_27scan_by_key_config_selectorIssEEZZNS1_16scan_by_key_implILNS1_25lookback_scan_determinismE0ELb1ES3_N6thrust23THRUST_200600_302600_NS6detail15normal_iteratorINS9_10device_ptrIsEEEESE_SE_sNS9_4plusIvEENS9_8equal_toIsEEsEE10hipError_tPvRmT2_T3_T4_T5_mT6_T7_P12ihipStream_tbENKUlT_T0_E_clISt17integral_constantIbLb0EESY_IbLb1EEEEDaSU_SV_EUlSU_E_NS1_11comp_targetILNS1_3genE2ELNS1_11target_archE906ELNS1_3gpuE6ELNS1_3repE0EEENS1_30default_config_static_selectorELNS0_4arch9wavefront6targetE1EEEvT1_, .Lfunc_end673-_ZN7rocprim17ROCPRIM_400000_NS6detail17trampoline_kernelINS0_14default_configENS1_27scan_by_key_config_selectorIssEEZZNS1_16scan_by_key_implILNS1_25lookback_scan_determinismE0ELb1ES3_N6thrust23THRUST_200600_302600_NS6detail15normal_iteratorINS9_10device_ptrIsEEEESE_SE_sNS9_4plusIvEENS9_8equal_toIsEEsEE10hipError_tPvRmT2_T3_T4_T5_mT6_T7_P12ihipStream_tbENKUlT_T0_E_clISt17integral_constantIbLb0EESY_IbLb1EEEEDaSU_SV_EUlSU_E_NS1_11comp_targetILNS1_3genE2ELNS1_11target_archE906ELNS1_3gpuE6ELNS1_3repE0EEENS1_30default_config_static_selectorELNS0_4arch9wavefront6targetE1EEEvT1_
                                        ; -- End function
	.section	.AMDGPU.csdata,"",@progbits
; Kernel info:
; codeLenInByte = 0
; NumSgprs: 6
; NumVgprs: 0
; NumAgprs: 0
; TotalNumVgprs: 0
; ScratchSize: 0
; MemoryBound: 0
; FloatMode: 240
; IeeeMode: 1
; LDSByteSize: 0 bytes/workgroup (compile time only)
; SGPRBlocks: 0
; VGPRBlocks: 0
; NumSGPRsForWavesPerEU: 6
; NumVGPRsForWavesPerEU: 1
; AccumOffset: 4
; Occupancy: 8
; WaveLimiterHint : 0
; COMPUTE_PGM_RSRC2:SCRATCH_EN: 0
; COMPUTE_PGM_RSRC2:USER_SGPR: 2
; COMPUTE_PGM_RSRC2:TRAP_HANDLER: 0
; COMPUTE_PGM_RSRC2:TGID_X_EN: 1
; COMPUTE_PGM_RSRC2:TGID_Y_EN: 0
; COMPUTE_PGM_RSRC2:TGID_Z_EN: 0
; COMPUTE_PGM_RSRC2:TIDIG_COMP_CNT: 0
; COMPUTE_PGM_RSRC3_GFX90A:ACCUM_OFFSET: 0
; COMPUTE_PGM_RSRC3_GFX90A:TG_SPLIT: 0
	.section	.text._ZN7rocprim17ROCPRIM_400000_NS6detail17trampoline_kernelINS0_14default_configENS1_27scan_by_key_config_selectorIssEEZZNS1_16scan_by_key_implILNS1_25lookback_scan_determinismE0ELb1ES3_N6thrust23THRUST_200600_302600_NS6detail15normal_iteratorINS9_10device_ptrIsEEEESE_SE_sNS9_4plusIvEENS9_8equal_toIsEEsEE10hipError_tPvRmT2_T3_T4_T5_mT6_T7_P12ihipStream_tbENKUlT_T0_E_clISt17integral_constantIbLb0EESY_IbLb1EEEEDaSU_SV_EUlSU_E_NS1_11comp_targetILNS1_3genE10ELNS1_11target_archE1200ELNS1_3gpuE4ELNS1_3repE0EEENS1_30default_config_static_selectorELNS0_4arch9wavefront6targetE1EEEvT1_,"axG",@progbits,_ZN7rocprim17ROCPRIM_400000_NS6detail17trampoline_kernelINS0_14default_configENS1_27scan_by_key_config_selectorIssEEZZNS1_16scan_by_key_implILNS1_25lookback_scan_determinismE0ELb1ES3_N6thrust23THRUST_200600_302600_NS6detail15normal_iteratorINS9_10device_ptrIsEEEESE_SE_sNS9_4plusIvEENS9_8equal_toIsEEsEE10hipError_tPvRmT2_T3_T4_T5_mT6_T7_P12ihipStream_tbENKUlT_T0_E_clISt17integral_constantIbLb0EESY_IbLb1EEEEDaSU_SV_EUlSU_E_NS1_11comp_targetILNS1_3genE10ELNS1_11target_archE1200ELNS1_3gpuE4ELNS1_3repE0EEENS1_30default_config_static_selectorELNS0_4arch9wavefront6targetE1EEEvT1_,comdat
	.protected	_ZN7rocprim17ROCPRIM_400000_NS6detail17trampoline_kernelINS0_14default_configENS1_27scan_by_key_config_selectorIssEEZZNS1_16scan_by_key_implILNS1_25lookback_scan_determinismE0ELb1ES3_N6thrust23THRUST_200600_302600_NS6detail15normal_iteratorINS9_10device_ptrIsEEEESE_SE_sNS9_4plusIvEENS9_8equal_toIsEEsEE10hipError_tPvRmT2_T3_T4_T5_mT6_T7_P12ihipStream_tbENKUlT_T0_E_clISt17integral_constantIbLb0EESY_IbLb1EEEEDaSU_SV_EUlSU_E_NS1_11comp_targetILNS1_3genE10ELNS1_11target_archE1200ELNS1_3gpuE4ELNS1_3repE0EEENS1_30default_config_static_selectorELNS0_4arch9wavefront6targetE1EEEvT1_ ; -- Begin function _ZN7rocprim17ROCPRIM_400000_NS6detail17trampoline_kernelINS0_14default_configENS1_27scan_by_key_config_selectorIssEEZZNS1_16scan_by_key_implILNS1_25lookback_scan_determinismE0ELb1ES3_N6thrust23THRUST_200600_302600_NS6detail15normal_iteratorINS9_10device_ptrIsEEEESE_SE_sNS9_4plusIvEENS9_8equal_toIsEEsEE10hipError_tPvRmT2_T3_T4_T5_mT6_T7_P12ihipStream_tbENKUlT_T0_E_clISt17integral_constantIbLb0EESY_IbLb1EEEEDaSU_SV_EUlSU_E_NS1_11comp_targetILNS1_3genE10ELNS1_11target_archE1200ELNS1_3gpuE4ELNS1_3repE0EEENS1_30default_config_static_selectorELNS0_4arch9wavefront6targetE1EEEvT1_
	.globl	_ZN7rocprim17ROCPRIM_400000_NS6detail17trampoline_kernelINS0_14default_configENS1_27scan_by_key_config_selectorIssEEZZNS1_16scan_by_key_implILNS1_25lookback_scan_determinismE0ELb1ES3_N6thrust23THRUST_200600_302600_NS6detail15normal_iteratorINS9_10device_ptrIsEEEESE_SE_sNS9_4plusIvEENS9_8equal_toIsEEsEE10hipError_tPvRmT2_T3_T4_T5_mT6_T7_P12ihipStream_tbENKUlT_T0_E_clISt17integral_constantIbLb0EESY_IbLb1EEEEDaSU_SV_EUlSU_E_NS1_11comp_targetILNS1_3genE10ELNS1_11target_archE1200ELNS1_3gpuE4ELNS1_3repE0EEENS1_30default_config_static_selectorELNS0_4arch9wavefront6targetE1EEEvT1_
	.p2align	8
	.type	_ZN7rocprim17ROCPRIM_400000_NS6detail17trampoline_kernelINS0_14default_configENS1_27scan_by_key_config_selectorIssEEZZNS1_16scan_by_key_implILNS1_25lookback_scan_determinismE0ELb1ES3_N6thrust23THRUST_200600_302600_NS6detail15normal_iteratorINS9_10device_ptrIsEEEESE_SE_sNS9_4plusIvEENS9_8equal_toIsEEsEE10hipError_tPvRmT2_T3_T4_T5_mT6_T7_P12ihipStream_tbENKUlT_T0_E_clISt17integral_constantIbLb0EESY_IbLb1EEEEDaSU_SV_EUlSU_E_NS1_11comp_targetILNS1_3genE10ELNS1_11target_archE1200ELNS1_3gpuE4ELNS1_3repE0EEENS1_30default_config_static_selectorELNS0_4arch9wavefront6targetE1EEEvT1_,@function
_ZN7rocprim17ROCPRIM_400000_NS6detail17trampoline_kernelINS0_14default_configENS1_27scan_by_key_config_selectorIssEEZZNS1_16scan_by_key_implILNS1_25lookback_scan_determinismE0ELb1ES3_N6thrust23THRUST_200600_302600_NS6detail15normal_iteratorINS9_10device_ptrIsEEEESE_SE_sNS9_4plusIvEENS9_8equal_toIsEEsEE10hipError_tPvRmT2_T3_T4_T5_mT6_T7_P12ihipStream_tbENKUlT_T0_E_clISt17integral_constantIbLb0EESY_IbLb1EEEEDaSU_SV_EUlSU_E_NS1_11comp_targetILNS1_3genE10ELNS1_11target_archE1200ELNS1_3gpuE4ELNS1_3repE0EEENS1_30default_config_static_selectorELNS0_4arch9wavefront6targetE1EEEvT1_: ; @_ZN7rocprim17ROCPRIM_400000_NS6detail17trampoline_kernelINS0_14default_configENS1_27scan_by_key_config_selectorIssEEZZNS1_16scan_by_key_implILNS1_25lookback_scan_determinismE0ELb1ES3_N6thrust23THRUST_200600_302600_NS6detail15normal_iteratorINS9_10device_ptrIsEEEESE_SE_sNS9_4plusIvEENS9_8equal_toIsEEsEE10hipError_tPvRmT2_T3_T4_T5_mT6_T7_P12ihipStream_tbENKUlT_T0_E_clISt17integral_constantIbLb0EESY_IbLb1EEEEDaSU_SV_EUlSU_E_NS1_11comp_targetILNS1_3genE10ELNS1_11target_archE1200ELNS1_3gpuE4ELNS1_3repE0EEENS1_30default_config_static_selectorELNS0_4arch9wavefront6targetE1EEEvT1_
; %bb.0:
	.section	.rodata,"a",@progbits
	.p2align	6, 0x0
	.amdhsa_kernel _ZN7rocprim17ROCPRIM_400000_NS6detail17trampoline_kernelINS0_14default_configENS1_27scan_by_key_config_selectorIssEEZZNS1_16scan_by_key_implILNS1_25lookback_scan_determinismE0ELb1ES3_N6thrust23THRUST_200600_302600_NS6detail15normal_iteratorINS9_10device_ptrIsEEEESE_SE_sNS9_4plusIvEENS9_8equal_toIsEEsEE10hipError_tPvRmT2_T3_T4_T5_mT6_T7_P12ihipStream_tbENKUlT_T0_E_clISt17integral_constantIbLb0EESY_IbLb1EEEEDaSU_SV_EUlSU_E_NS1_11comp_targetILNS1_3genE10ELNS1_11target_archE1200ELNS1_3gpuE4ELNS1_3repE0EEENS1_30default_config_static_selectorELNS0_4arch9wavefront6targetE1EEEvT1_
		.amdhsa_group_segment_fixed_size 0
		.amdhsa_private_segment_fixed_size 0
		.amdhsa_kernarg_size 112
		.amdhsa_user_sgpr_count 2
		.amdhsa_user_sgpr_dispatch_ptr 0
		.amdhsa_user_sgpr_queue_ptr 0
		.amdhsa_user_sgpr_kernarg_segment_ptr 1
		.amdhsa_user_sgpr_dispatch_id 0
		.amdhsa_user_sgpr_kernarg_preload_length 0
		.amdhsa_user_sgpr_kernarg_preload_offset 0
		.amdhsa_user_sgpr_private_segment_size 0
		.amdhsa_uses_dynamic_stack 0
		.amdhsa_enable_private_segment 0
		.amdhsa_system_sgpr_workgroup_id_x 1
		.amdhsa_system_sgpr_workgroup_id_y 0
		.amdhsa_system_sgpr_workgroup_id_z 0
		.amdhsa_system_sgpr_workgroup_info 0
		.amdhsa_system_vgpr_workitem_id 0
		.amdhsa_next_free_vgpr 1
		.amdhsa_next_free_sgpr 0
		.amdhsa_accum_offset 4
		.amdhsa_reserve_vcc 0
		.amdhsa_float_round_mode_32 0
		.amdhsa_float_round_mode_16_64 0
		.amdhsa_float_denorm_mode_32 3
		.amdhsa_float_denorm_mode_16_64 3
		.amdhsa_dx10_clamp 1
		.amdhsa_ieee_mode 1
		.amdhsa_fp16_overflow 0
		.amdhsa_tg_split 0
		.amdhsa_exception_fp_ieee_invalid_op 0
		.amdhsa_exception_fp_denorm_src 0
		.amdhsa_exception_fp_ieee_div_zero 0
		.amdhsa_exception_fp_ieee_overflow 0
		.amdhsa_exception_fp_ieee_underflow 0
		.amdhsa_exception_fp_ieee_inexact 0
		.amdhsa_exception_int_div_zero 0
	.end_amdhsa_kernel
	.section	.text._ZN7rocprim17ROCPRIM_400000_NS6detail17trampoline_kernelINS0_14default_configENS1_27scan_by_key_config_selectorIssEEZZNS1_16scan_by_key_implILNS1_25lookback_scan_determinismE0ELb1ES3_N6thrust23THRUST_200600_302600_NS6detail15normal_iteratorINS9_10device_ptrIsEEEESE_SE_sNS9_4plusIvEENS9_8equal_toIsEEsEE10hipError_tPvRmT2_T3_T4_T5_mT6_T7_P12ihipStream_tbENKUlT_T0_E_clISt17integral_constantIbLb0EESY_IbLb1EEEEDaSU_SV_EUlSU_E_NS1_11comp_targetILNS1_3genE10ELNS1_11target_archE1200ELNS1_3gpuE4ELNS1_3repE0EEENS1_30default_config_static_selectorELNS0_4arch9wavefront6targetE1EEEvT1_,"axG",@progbits,_ZN7rocprim17ROCPRIM_400000_NS6detail17trampoline_kernelINS0_14default_configENS1_27scan_by_key_config_selectorIssEEZZNS1_16scan_by_key_implILNS1_25lookback_scan_determinismE0ELb1ES3_N6thrust23THRUST_200600_302600_NS6detail15normal_iteratorINS9_10device_ptrIsEEEESE_SE_sNS9_4plusIvEENS9_8equal_toIsEEsEE10hipError_tPvRmT2_T3_T4_T5_mT6_T7_P12ihipStream_tbENKUlT_T0_E_clISt17integral_constantIbLb0EESY_IbLb1EEEEDaSU_SV_EUlSU_E_NS1_11comp_targetILNS1_3genE10ELNS1_11target_archE1200ELNS1_3gpuE4ELNS1_3repE0EEENS1_30default_config_static_selectorELNS0_4arch9wavefront6targetE1EEEvT1_,comdat
.Lfunc_end674:
	.size	_ZN7rocprim17ROCPRIM_400000_NS6detail17trampoline_kernelINS0_14default_configENS1_27scan_by_key_config_selectorIssEEZZNS1_16scan_by_key_implILNS1_25lookback_scan_determinismE0ELb1ES3_N6thrust23THRUST_200600_302600_NS6detail15normal_iteratorINS9_10device_ptrIsEEEESE_SE_sNS9_4plusIvEENS9_8equal_toIsEEsEE10hipError_tPvRmT2_T3_T4_T5_mT6_T7_P12ihipStream_tbENKUlT_T0_E_clISt17integral_constantIbLb0EESY_IbLb1EEEEDaSU_SV_EUlSU_E_NS1_11comp_targetILNS1_3genE10ELNS1_11target_archE1200ELNS1_3gpuE4ELNS1_3repE0EEENS1_30default_config_static_selectorELNS0_4arch9wavefront6targetE1EEEvT1_, .Lfunc_end674-_ZN7rocprim17ROCPRIM_400000_NS6detail17trampoline_kernelINS0_14default_configENS1_27scan_by_key_config_selectorIssEEZZNS1_16scan_by_key_implILNS1_25lookback_scan_determinismE0ELb1ES3_N6thrust23THRUST_200600_302600_NS6detail15normal_iteratorINS9_10device_ptrIsEEEESE_SE_sNS9_4plusIvEENS9_8equal_toIsEEsEE10hipError_tPvRmT2_T3_T4_T5_mT6_T7_P12ihipStream_tbENKUlT_T0_E_clISt17integral_constantIbLb0EESY_IbLb1EEEEDaSU_SV_EUlSU_E_NS1_11comp_targetILNS1_3genE10ELNS1_11target_archE1200ELNS1_3gpuE4ELNS1_3repE0EEENS1_30default_config_static_selectorELNS0_4arch9wavefront6targetE1EEEvT1_
                                        ; -- End function
	.section	.AMDGPU.csdata,"",@progbits
; Kernel info:
; codeLenInByte = 0
; NumSgprs: 6
; NumVgprs: 0
; NumAgprs: 0
; TotalNumVgprs: 0
; ScratchSize: 0
; MemoryBound: 0
; FloatMode: 240
; IeeeMode: 1
; LDSByteSize: 0 bytes/workgroup (compile time only)
; SGPRBlocks: 0
; VGPRBlocks: 0
; NumSGPRsForWavesPerEU: 6
; NumVGPRsForWavesPerEU: 1
; AccumOffset: 4
; Occupancy: 8
; WaveLimiterHint : 0
; COMPUTE_PGM_RSRC2:SCRATCH_EN: 0
; COMPUTE_PGM_RSRC2:USER_SGPR: 2
; COMPUTE_PGM_RSRC2:TRAP_HANDLER: 0
; COMPUTE_PGM_RSRC2:TGID_X_EN: 1
; COMPUTE_PGM_RSRC2:TGID_Y_EN: 0
; COMPUTE_PGM_RSRC2:TGID_Z_EN: 0
; COMPUTE_PGM_RSRC2:TIDIG_COMP_CNT: 0
; COMPUTE_PGM_RSRC3_GFX90A:ACCUM_OFFSET: 0
; COMPUTE_PGM_RSRC3_GFX90A:TG_SPLIT: 0
	.section	.text._ZN7rocprim17ROCPRIM_400000_NS6detail17trampoline_kernelINS0_14default_configENS1_27scan_by_key_config_selectorIssEEZZNS1_16scan_by_key_implILNS1_25lookback_scan_determinismE0ELb1ES3_N6thrust23THRUST_200600_302600_NS6detail15normal_iteratorINS9_10device_ptrIsEEEESE_SE_sNS9_4plusIvEENS9_8equal_toIsEEsEE10hipError_tPvRmT2_T3_T4_T5_mT6_T7_P12ihipStream_tbENKUlT_T0_E_clISt17integral_constantIbLb0EESY_IbLb1EEEEDaSU_SV_EUlSU_E_NS1_11comp_targetILNS1_3genE9ELNS1_11target_archE1100ELNS1_3gpuE3ELNS1_3repE0EEENS1_30default_config_static_selectorELNS0_4arch9wavefront6targetE1EEEvT1_,"axG",@progbits,_ZN7rocprim17ROCPRIM_400000_NS6detail17trampoline_kernelINS0_14default_configENS1_27scan_by_key_config_selectorIssEEZZNS1_16scan_by_key_implILNS1_25lookback_scan_determinismE0ELb1ES3_N6thrust23THRUST_200600_302600_NS6detail15normal_iteratorINS9_10device_ptrIsEEEESE_SE_sNS9_4plusIvEENS9_8equal_toIsEEsEE10hipError_tPvRmT2_T3_T4_T5_mT6_T7_P12ihipStream_tbENKUlT_T0_E_clISt17integral_constantIbLb0EESY_IbLb1EEEEDaSU_SV_EUlSU_E_NS1_11comp_targetILNS1_3genE9ELNS1_11target_archE1100ELNS1_3gpuE3ELNS1_3repE0EEENS1_30default_config_static_selectorELNS0_4arch9wavefront6targetE1EEEvT1_,comdat
	.protected	_ZN7rocprim17ROCPRIM_400000_NS6detail17trampoline_kernelINS0_14default_configENS1_27scan_by_key_config_selectorIssEEZZNS1_16scan_by_key_implILNS1_25lookback_scan_determinismE0ELb1ES3_N6thrust23THRUST_200600_302600_NS6detail15normal_iteratorINS9_10device_ptrIsEEEESE_SE_sNS9_4plusIvEENS9_8equal_toIsEEsEE10hipError_tPvRmT2_T3_T4_T5_mT6_T7_P12ihipStream_tbENKUlT_T0_E_clISt17integral_constantIbLb0EESY_IbLb1EEEEDaSU_SV_EUlSU_E_NS1_11comp_targetILNS1_3genE9ELNS1_11target_archE1100ELNS1_3gpuE3ELNS1_3repE0EEENS1_30default_config_static_selectorELNS0_4arch9wavefront6targetE1EEEvT1_ ; -- Begin function _ZN7rocprim17ROCPRIM_400000_NS6detail17trampoline_kernelINS0_14default_configENS1_27scan_by_key_config_selectorIssEEZZNS1_16scan_by_key_implILNS1_25lookback_scan_determinismE0ELb1ES3_N6thrust23THRUST_200600_302600_NS6detail15normal_iteratorINS9_10device_ptrIsEEEESE_SE_sNS9_4plusIvEENS9_8equal_toIsEEsEE10hipError_tPvRmT2_T3_T4_T5_mT6_T7_P12ihipStream_tbENKUlT_T0_E_clISt17integral_constantIbLb0EESY_IbLb1EEEEDaSU_SV_EUlSU_E_NS1_11comp_targetILNS1_3genE9ELNS1_11target_archE1100ELNS1_3gpuE3ELNS1_3repE0EEENS1_30default_config_static_selectorELNS0_4arch9wavefront6targetE1EEEvT1_
	.globl	_ZN7rocprim17ROCPRIM_400000_NS6detail17trampoline_kernelINS0_14default_configENS1_27scan_by_key_config_selectorIssEEZZNS1_16scan_by_key_implILNS1_25lookback_scan_determinismE0ELb1ES3_N6thrust23THRUST_200600_302600_NS6detail15normal_iteratorINS9_10device_ptrIsEEEESE_SE_sNS9_4plusIvEENS9_8equal_toIsEEsEE10hipError_tPvRmT2_T3_T4_T5_mT6_T7_P12ihipStream_tbENKUlT_T0_E_clISt17integral_constantIbLb0EESY_IbLb1EEEEDaSU_SV_EUlSU_E_NS1_11comp_targetILNS1_3genE9ELNS1_11target_archE1100ELNS1_3gpuE3ELNS1_3repE0EEENS1_30default_config_static_selectorELNS0_4arch9wavefront6targetE1EEEvT1_
	.p2align	8
	.type	_ZN7rocprim17ROCPRIM_400000_NS6detail17trampoline_kernelINS0_14default_configENS1_27scan_by_key_config_selectorIssEEZZNS1_16scan_by_key_implILNS1_25lookback_scan_determinismE0ELb1ES3_N6thrust23THRUST_200600_302600_NS6detail15normal_iteratorINS9_10device_ptrIsEEEESE_SE_sNS9_4plusIvEENS9_8equal_toIsEEsEE10hipError_tPvRmT2_T3_T4_T5_mT6_T7_P12ihipStream_tbENKUlT_T0_E_clISt17integral_constantIbLb0EESY_IbLb1EEEEDaSU_SV_EUlSU_E_NS1_11comp_targetILNS1_3genE9ELNS1_11target_archE1100ELNS1_3gpuE3ELNS1_3repE0EEENS1_30default_config_static_selectorELNS0_4arch9wavefront6targetE1EEEvT1_,@function
_ZN7rocprim17ROCPRIM_400000_NS6detail17trampoline_kernelINS0_14default_configENS1_27scan_by_key_config_selectorIssEEZZNS1_16scan_by_key_implILNS1_25lookback_scan_determinismE0ELb1ES3_N6thrust23THRUST_200600_302600_NS6detail15normal_iteratorINS9_10device_ptrIsEEEESE_SE_sNS9_4plusIvEENS9_8equal_toIsEEsEE10hipError_tPvRmT2_T3_T4_T5_mT6_T7_P12ihipStream_tbENKUlT_T0_E_clISt17integral_constantIbLb0EESY_IbLb1EEEEDaSU_SV_EUlSU_E_NS1_11comp_targetILNS1_3genE9ELNS1_11target_archE1100ELNS1_3gpuE3ELNS1_3repE0EEENS1_30default_config_static_selectorELNS0_4arch9wavefront6targetE1EEEvT1_: ; @_ZN7rocprim17ROCPRIM_400000_NS6detail17trampoline_kernelINS0_14default_configENS1_27scan_by_key_config_selectorIssEEZZNS1_16scan_by_key_implILNS1_25lookback_scan_determinismE0ELb1ES3_N6thrust23THRUST_200600_302600_NS6detail15normal_iteratorINS9_10device_ptrIsEEEESE_SE_sNS9_4plusIvEENS9_8equal_toIsEEsEE10hipError_tPvRmT2_T3_T4_T5_mT6_T7_P12ihipStream_tbENKUlT_T0_E_clISt17integral_constantIbLb0EESY_IbLb1EEEEDaSU_SV_EUlSU_E_NS1_11comp_targetILNS1_3genE9ELNS1_11target_archE1100ELNS1_3gpuE3ELNS1_3repE0EEENS1_30default_config_static_selectorELNS0_4arch9wavefront6targetE1EEEvT1_
; %bb.0:
	.section	.rodata,"a",@progbits
	.p2align	6, 0x0
	.amdhsa_kernel _ZN7rocprim17ROCPRIM_400000_NS6detail17trampoline_kernelINS0_14default_configENS1_27scan_by_key_config_selectorIssEEZZNS1_16scan_by_key_implILNS1_25lookback_scan_determinismE0ELb1ES3_N6thrust23THRUST_200600_302600_NS6detail15normal_iteratorINS9_10device_ptrIsEEEESE_SE_sNS9_4plusIvEENS9_8equal_toIsEEsEE10hipError_tPvRmT2_T3_T4_T5_mT6_T7_P12ihipStream_tbENKUlT_T0_E_clISt17integral_constantIbLb0EESY_IbLb1EEEEDaSU_SV_EUlSU_E_NS1_11comp_targetILNS1_3genE9ELNS1_11target_archE1100ELNS1_3gpuE3ELNS1_3repE0EEENS1_30default_config_static_selectorELNS0_4arch9wavefront6targetE1EEEvT1_
		.amdhsa_group_segment_fixed_size 0
		.amdhsa_private_segment_fixed_size 0
		.amdhsa_kernarg_size 112
		.amdhsa_user_sgpr_count 2
		.amdhsa_user_sgpr_dispatch_ptr 0
		.amdhsa_user_sgpr_queue_ptr 0
		.amdhsa_user_sgpr_kernarg_segment_ptr 1
		.amdhsa_user_sgpr_dispatch_id 0
		.amdhsa_user_sgpr_kernarg_preload_length 0
		.amdhsa_user_sgpr_kernarg_preload_offset 0
		.amdhsa_user_sgpr_private_segment_size 0
		.amdhsa_uses_dynamic_stack 0
		.amdhsa_enable_private_segment 0
		.amdhsa_system_sgpr_workgroup_id_x 1
		.amdhsa_system_sgpr_workgroup_id_y 0
		.amdhsa_system_sgpr_workgroup_id_z 0
		.amdhsa_system_sgpr_workgroup_info 0
		.amdhsa_system_vgpr_workitem_id 0
		.amdhsa_next_free_vgpr 1
		.amdhsa_next_free_sgpr 0
		.amdhsa_accum_offset 4
		.amdhsa_reserve_vcc 0
		.amdhsa_float_round_mode_32 0
		.amdhsa_float_round_mode_16_64 0
		.amdhsa_float_denorm_mode_32 3
		.amdhsa_float_denorm_mode_16_64 3
		.amdhsa_dx10_clamp 1
		.amdhsa_ieee_mode 1
		.amdhsa_fp16_overflow 0
		.amdhsa_tg_split 0
		.amdhsa_exception_fp_ieee_invalid_op 0
		.amdhsa_exception_fp_denorm_src 0
		.amdhsa_exception_fp_ieee_div_zero 0
		.amdhsa_exception_fp_ieee_overflow 0
		.amdhsa_exception_fp_ieee_underflow 0
		.amdhsa_exception_fp_ieee_inexact 0
		.amdhsa_exception_int_div_zero 0
	.end_amdhsa_kernel
	.section	.text._ZN7rocprim17ROCPRIM_400000_NS6detail17trampoline_kernelINS0_14default_configENS1_27scan_by_key_config_selectorIssEEZZNS1_16scan_by_key_implILNS1_25lookback_scan_determinismE0ELb1ES3_N6thrust23THRUST_200600_302600_NS6detail15normal_iteratorINS9_10device_ptrIsEEEESE_SE_sNS9_4plusIvEENS9_8equal_toIsEEsEE10hipError_tPvRmT2_T3_T4_T5_mT6_T7_P12ihipStream_tbENKUlT_T0_E_clISt17integral_constantIbLb0EESY_IbLb1EEEEDaSU_SV_EUlSU_E_NS1_11comp_targetILNS1_3genE9ELNS1_11target_archE1100ELNS1_3gpuE3ELNS1_3repE0EEENS1_30default_config_static_selectorELNS0_4arch9wavefront6targetE1EEEvT1_,"axG",@progbits,_ZN7rocprim17ROCPRIM_400000_NS6detail17trampoline_kernelINS0_14default_configENS1_27scan_by_key_config_selectorIssEEZZNS1_16scan_by_key_implILNS1_25lookback_scan_determinismE0ELb1ES3_N6thrust23THRUST_200600_302600_NS6detail15normal_iteratorINS9_10device_ptrIsEEEESE_SE_sNS9_4plusIvEENS9_8equal_toIsEEsEE10hipError_tPvRmT2_T3_T4_T5_mT6_T7_P12ihipStream_tbENKUlT_T0_E_clISt17integral_constantIbLb0EESY_IbLb1EEEEDaSU_SV_EUlSU_E_NS1_11comp_targetILNS1_3genE9ELNS1_11target_archE1100ELNS1_3gpuE3ELNS1_3repE0EEENS1_30default_config_static_selectorELNS0_4arch9wavefront6targetE1EEEvT1_,comdat
.Lfunc_end675:
	.size	_ZN7rocprim17ROCPRIM_400000_NS6detail17trampoline_kernelINS0_14default_configENS1_27scan_by_key_config_selectorIssEEZZNS1_16scan_by_key_implILNS1_25lookback_scan_determinismE0ELb1ES3_N6thrust23THRUST_200600_302600_NS6detail15normal_iteratorINS9_10device_ptrIsEEEESE_SE_sNS9_4plusIvEENS9_8equal_toIsEEsEE10hipError_tPvRmT2_T3_T4_T5_mT6_T7_P12ihipStream_tbENKUlT_T0_E_clISt17integral_constantIbLb0EESY_IbLb1EEEEDaSU_SV_EUlSU_E_NS1_11comp_targetILNS1_3genE9ELNS1_11target_archE1100ELNS1_3gpuE3ELNS1_3repE0EEENS1_30default_config_static_selectorELNS0_4arch9wavefront6targetE1EEEvT1_, .Lfunc_end675-_ZN7rocprim17ROCPRIM_400000_NS6detail17trampoline_kernelINS0_14default_configENS1_27scan_by_key_config_selectorIssEEZZNS1_16scan_by_key_implILNS1_25lookback_scan_determinismE0ELb1ES3_N6thrust23THRUST_200600_302600_NS6detail15normal_iteratorINS9_10device_ptrIsEEEESE_SE_sNS9_4plusIvEENS9_8equal_toIsEEsEE10hipError_tPvRmT2_T3_T4_T5_mT6_T7_P12ihipStream_tbENKUlT_T0_E_clISt17integral_constantIbLb0EESY_IbLb1EEEEDaSU_SV_EUlSU_E_NS1_11comp_targetILNS1_3genE9ELNS1_11target_archE1100ELNS1_3gpuE3ELNS1_3repE0EEENS1_30default_config_static_selectorELNS0_4arch9wavefront6targetE1EEEvT1_
                                        ; -- End function
	.section	.AMDGPU.csdata,"",@progbits
; Kernel info:
; codeLenInByte = 0
; NumSgprs: 6
; NumVgprs: 0
; NumAgprs: 0
; TotalNumVgprs: 0
; ScratchSize: 0
; MemoryBound: 0
; FloatMode: 240
; IeeeMode: 1
; LDSByteSize: 0 bytes/workgroup (compile time only)
; SGPRBlocks: 0
; VGPRBlocks: 0
; NumSGPRsForWavesPerEU: 6
; NumVGPRsForWavesPerEU: 1
; AccumOffset: 4
; Occupancy: 8
; WaveLimiterHint : 0
; COMPUTE_PGM_RSRC2:SCRATCH_EN: 0
; COMPUTE_PGM_RSRC2:USER_SGPR: 2
; COMPUTE_PGM_RSRC2:TRAP_HANDLER: 0
; COMPUTE_PGM_RSRC2:TGID_X_EN: 1
; COMPUTE_PGM_RSRC2:TGID_Y_EN: 0
; COMPUTE_PGM_RSRC2:TGID_Z_EN: 0
; COMPUTE_PGM_RSRC2:TIDIG_COMP_CNT: 0
; COMPUTE_PGM_RSRC3_GFX90A:ACCUM_OFFSET: 0
; COMPUTE_PGM_RSRC3_GFX90A:TG_SPLIT: 0
	.section	.text._ZN7rocprim17ROCPRIM_400000_NS6detail17trampoline_kernelINS0_14default_configENS1_27scan_by_key_config_selectorIssEEZZNS1_16scan_by_key_implILNS1_25lookback_scan_determinismE0ELb1ES3_N6thrust23THRUST_200600_302600_NS6detail15normal_iteratorINS9_10device_ptrIsEEEESE_SE_sNS9_4plusIvEENS9_8equal_toIsEEsEE10hipError_tPvRmT2_T3_T4_T5_mT6_T7_P12ihipStream_tbENKUlT_T0_E_clISt17integral_constantIbLb0EESY_IbLb1EEEEDaSU_SV_EUlSU_E_NS1_11comp_targetILNS1_3genE8ELNS1_11target_archE1030ELNS1_3gpuE2ELNS1_3repE0EEENS1_30default_config_static_selectorELNS0_4arch9wavefront6targetE1EEEvT1_,"axG",@progbits,_ZN7rocprim17ROCPRIM_400000_NS6detail17trampoline_kernelINS0_14default_configENS1_27scan_by_key_config_selectorIssEEZZNS1_16scan_by_key_implILNS1_25lookback_scan_determinismE0ELb1ES3_N6thrust23THRUST_200600_302600_NS6detail15normal_iteratorINS9_10device_ptrIsEEEESE_SE_sNS9_4plusIvEENS9_8equal_toIsEEsEE10hipError_tPvRmT2_T3_T4_T5_mT6_T7_P12ihipStream_tbENKUlT_T0_E_clISt17integral_constantIbLb0EESY_IbLb1EEEEDaSU_SV_EUlSU_E_NS1_11comp_targetILNS1_3genE8ELNS1_11target_archE1030ELNS1_3gpuE2ELNS1_3repE0EEENS1_30default_config_static_selectorELNS0_4arch9wavefront6targetE1EEEvT1_,comdat
	.protected	_ZN7rocprim17ROCPRIM_400000_NS6detail17trampoline_kernelINS0_14default_configENS1_27scan_by_key_config_selectorIssEEZZNS1_16scan_by_key_implILNS1_25lookback_scan_determinismE0ELb1ES3_N6thrust23THRUST_200600_302600_NS6detail15normal_iteratorINS9_10device_ptrIsEEEESE_SE_sNS9_4plusIvEENS9_8equal_toIsEEsEE10hipError_tPvRmT2_T3_T4_T5_mT6_T7_P12ihipStream_tbENKUlT_T0_E_clISt17integral_constantIbLb0EESY_IbLb1EEEEDaSU_SV_EUlSU_E_NS1_11comp_targetILNS1_3genE8ELNS1_11target_archE1030ELNS1_3gpuE2ELNS1_3repE0EEENS1_30default_config_static_selectorELNS0_4arch9wavefront6targetE1EEEvT1_ ; -- Begin function _ZN7rocprim17ROCPRIM_400000_NS6detail17trampoline_kernelINS0_14default_configENS1_27scan_by_key_config_selectorIssEEZZNS1_16scan_by_key_implILNS1_25lookback_scan_determinismE0ELb1ES3_N6thrust23THRUST_200600_302600_NS6detail15normal_iteratorINS9_10device_ptrIsEEEESE_SE_sNS9_4plusIvEENS9_8equal_toIsEEsEE10hipError_tPvRmT2_T3_T4_T5_mT6_T7_P12ihipStream_tbENKUlT_T0_E_clISt17integral_constantIbLb0EESY_IbLb1EEEEDaSU_SV_EUlSU_E_NS1_11comp_targetILNS1_3genE8ELNS1_11target_archE1030ELNS1_3gpuE2ELNS1_3repE0EEENS1_30default_config_static_selectorELNS0_4arch9wavefront6targetE1EEEvT1_
	.globl	_ZN7rocprim17ROCPRIM_400000_NS6detail17trampoline_kernelINS0_14default_configENS1_27scan_by_key_config_selectorIssEEZZNS1_16scan_by_key_implILNS1_25lookback_scan_determinismE0ELb1ES3_N6thrust23THRUST_200600_302600_NS6detail15normal_iteratorINS9_10device_ptrIsEEEESE_SE_sNS9_4plusIvEENS9_8equal_toIsEEsEE10hipError_tPvRmT2_T3_T4_T5_mT6_T7_P12ihipStream_tbENKUlT_T0_E_clISt17integral_constantIbLb0EESY_IbLb1EEEEDaSU_SV_EUlSU_E_NS1_11comp_targetILNS1_3genE8ELNS1_11target_archE1030ELNS1_3gpuE2ELNS1_3repE0EEENS1_30default_config_static_selectorELNS0_4arch9wavefront6targetE1EEEvT1_
	.p2align	8
	.type	_ZN7rocprim17ROCPRIM_400000_NS6detail17trampoline_kernelINS0_14default_configENS1_27scan_by_key_config_selectorIssEEZZNS1_16scan_by_key_implILNS1_25lookback_scan_determinismE0ELb1ES3_N6thrust23THRUST_200600_302600_NS6detail15normal_iteratorINS9_10device_ptrIsEEEESE_SE_sNS9_4plusIvEENS9_8equal_toIsEEsEE10hipError_tPvRmT2_T3_T4_T5_mT6_T7_P12ihipStream_tbENKUlT_T0_E_clISt17integral_constantIbLb0EESY_IbLb1EEEEDaSU_SV_EUlSU_E_NS1_11comp_targetILNS1_3genE8ELNS1_11target_archE1030ELNS1_3gpuE2ELNS1_3repE0EEENS1_30default_config_static_selectorELNS0_4arch9wavefront6targetE1EEEvT1_,@function
_ZN7rocprim17ROCPRIM_400000_NS6detail17trampoline_kernelINS0_14default_configENS1_27scan_by_key_config_selectorIssEEZZNS1_16scan_by_key_implILNS1_25lookback_scan_determinismE0ELb1ES3_N6thrust23THRUST_200600_302600_NS6detail15normal_iteratorINS9_10device_ptrIsEEEESE_SE_sNS9_4plusIvEENS9_8equal_toIsEEsEE10hipError_tPvRmT2_T3_T4_T5_mT6_T7_P12ihipStream_tbENKUlT_T0_E_clISt17integral_constantIbLb0EESY_IbLb1EEEEDaSU_SV_EUlSU_E_NS1_11comp_targetILNS1_3genE8ELNS1_11target_archE1030ELNS1_3gpuE2ELNS1_3repE0EEENS1_30default_config_static_selectorELNS0_4arch9wavefront6targetE1EEEvT1_: ; @_ZN7rocprim17ROCPRIM_400000_NS6detail17trampoline_kernelINS0_14default_configENS1_27scan_by_key_config_selectorIssEEZZNS1_16scan_by_key_implILNS1_25lookback_scan_determinismE0ELb1ES3_N6thrust23THRUST_200600_302600_NS6detail15normal_iteratorINS9_10device_ptrIsEEEESE_SE_sNS9_4plusIvEENS9_8equal_toIsEEsEE10hipError_tPvRmT2_T3_T4_T5_mT6_T7_P12ihipStream_tbENKUlT_T0_E_clISt17integral_constantIbLb0EESY_IbLb1EEEEDaSU_SV_EUlSU_E_NS1_11comp_targetILNS1_3genE8ELNS1_11target_archE1030ELNS1_3gpuE2ELNS1_3repE0EEENS1_30default_config_static_selectorELNS0_4arch9wavefront6targetE1EEEvT1_
; %bb.0:
	.section	.rodata,"a",@progbits
	.p2align	6, 0x0
	.amdhsa_kernel _ZN7rocprim17ROCPRIM_400000_NS6detail17trampoline_kernelINS0_14default_configENS1_27scan_by_key_config_selectorIssEEZZNS1_16scan_by_key_implILNS1_25lookback_scan_determinismE0ELb1ES3_N6thrust23THRUST_200600_302600_NS6detail15normal_iteratorINS9_10device_ptrIsEEEESE_SE_sNS9_4plusIvEENS9_8equal_toIsEEsEE10hipError_tPvRmT2_T3_T4_T5_mT6_T7_P12ihipStream_tbENKUlT_T0_E_clISt17integral_constantIbLb0EESY_IbLb1EEEEDaSU_SV_EUlSU_E_NS1_11comp_targetILNS1_3genE8ELNS1_11target_archE1030ELNS1_3gpuE2ELNS1_3repE0EEENS1_30default_config_static_selectorELNS0_4arch9wavefront6targetE1EEEvT1_
		.amdhsa_group_segment_fixed_size 0
		.amdhsa_private_segment_fixed_size 0
		.amdhsa_kernarg_size 112
		.amdhsa_user_sgpr_count 2
		.amdhsa_user_sgpr_dispatch_ptr 0
		.amdhsa_user_sgpr_queue_ptr 0
		.amdhsa_user_sgpr_kernarg_segment_ptr 1
		.amdhsa_user_sgpr_dispatch_id 0
		.amdhsa_user_sgpr_kernarg_preload_length 0
		.amdhsa_user_sgpr_kernarg_preload_offset 0
		.amdhsa_user_sgpr_private_segment_size 0
		.amdhsa_uses_dynamic_stack 0
		.amdhsa_enable_private_segment 0
		.amdhsa_system_sgpr_workgroup_id_x 1
		.amdhsa_system_sgpr_workgroup_id_y 0
		.amdhsa_system_sgpr_workgroup_id_z 0
		.amdhsa_system_sgpr_workgroup_info 0
		.amdhsa_system_vgpr_workitem_id 0
		.amdhsa_next_free_vgpr 1
		.amdhsa_next_free_sgpr 0
		.amdhsa_accum_offset 4
		.amdhsa_reserve_vcc 0
		.amdhsa_float_round_mode_32 0
		.amdhsa_float_round_mode_16_64 0
		.amdhsa_float_denorm_mode_32 3
		.amdhsa_float_denorm_mode_16_64 3
		.amdhsa_dx10_clamp 1
		.amdhsa_ieee_mode 1
		.amdhsa_fp16_overflow 0
		.amdhsa_tg_split 0
		.amdhsa_exception_fp_ieee_invalid_op 0
		.amdhsa_exception_fp_denorm_src 0
		.amdhsa_exception_fp_ieee_div_zero 0
		.amdhsa_exception_fp_ieee_overflow 0
		.amdhsa_exception_fp_ieee_underflow 0
		.amdhsa_exception_fp_ieee_inexact 0
		.amdhsa_exception_int_div_zero 0
	.end_amdhsa_kernel
	.section	.text._ZN7rocprim17ROCPRIM_400000_NS6detail17trampoline_kernelINS0_14default_configENS1_27scan_by_key_config_selectorIssEEZZNS1_16scan_by_key_implILNS1_25lookback_scan_determinismE0ELb1ES3_N6thrust23THRUST_200600_302600_NS6detail15normal_iteratorINS9_10device_ptrIsEEEESE_SE_sNS9_4plusIvEENS9_8equal_toIsEEsEE10hipError_tPvRmT2_T3_T4_T5_mT6_T7_P12ihipStream_tbENKUlT_T0_E_clISt17integral_constantIbLb0EESY_IbLb1EEEEDaSU_SV_EUlSU_E_NS1_11comp_targetILNS1_3genE8ELNS1_11target_archE1030ELNS1_3gpuE2ELNS1_3repE0EEENS1_30default_config_static_selectorELNS0_4arch9wavefront6targetE1EEEvT1_,"axG",@progbits,_ZN7rocprim17ROCPRIM_400000_NS6detail17trampoline_kernelINS0_14default_configENS1_27scan_by_key_config_selectorIssEEZZNS1_16scan_by_key_implILNS1_25lookback_scan_determinismE0ELb1ES3_N6thrust23THRUST_200600_302600_NS6detail15normal_iteratorINS9_10device_ptrIsEEEESE_SE_sNS9_4plusIvEENS9_8equal_toIsEEsEE10hipError_tPvRmT2_T3_T4_T5_mT6_T7_P12ihipStream_tbENKUlT_T0_E_clISt17integral_constantIbLb0EESY_IbLb1EEEEDaSU_SV_EUlSU_E_NS1_11comp_targetILNS1_3genE8ELNS1_11target_archE1030ELNS1_3gpuE2ELNS1_3repE0EEENS1_30default_config_static_selectorELNS0_4arch9wavefront6targetE1EEEvT1_,comdat
.Lfunc_end676:
	.size	_ZN7rocprim17ROCPRIM_400000_NS6detail17trampoline_kernelINS0_14default_configENS1_27scan_by_key_config_selectorIssEEZZNS1_16scan_by_key_implILNS1_25lookback_scan_determinismE0ELb1ES3_N6thrust23THRUST_200600_302600_NS6detail15normal_iteratorINS9_10device_ptrIsEEEESE_SE_sNS9_4plusIvEENS9_8equal_toIsEEsEE10hipError_tPvRmT2_T3_T4_T5_mT6_T7_P12ihipStream_tbENKUlT_T0_E_clISt17integral_constantIbLb0EESY_IbLb1EEEEDaSU_SV_EUlSU_E_NS1_11comp_targetILNS1_3genE8ELNS1_11target_archE1030ELNS1_3gpuE2ELNS1_3repE0EEENS1_30default_config_static_selectorELNS0_4arch9wavefront6targetE1EEEvT1_, .Lfunc_end676-_ZN7rocprim17ROCPRIM_400000_NS6detail17trampoline_kernelINS0_14default_configENS1_27scan_by_key_config_selectorIssEEZZNS1_16scan_by_key_implILNS1_25lookback_scan_determinismE0ELb1ES3_N6thrust23THRUST_200600_302600_NS6detail15normal_iteratorINS9_10device_ptrIsEEEESE_SE_sNS9_4plusIvEENS9_8equal_toIsEEsEE10hipError_tPvRmT2_T3_T4_T5_mT6_T7_P12ihipStream_tbENKUlT_T0_E_clISt17integral_constantIbLb0EESY_IbLb1EEEEDaSU_SV_EUlSU_E_NS1_11comp_targetILNS1_3genE8ELNS1_11target_archE1030ELNS1_3gpuE2ELNS1_3repE0EEENS1_30default_config_static_selectorELNS0_4arch9wavefront6targetE1EEEvT1_
                                        ; -- End function
	.section	.AMDGPU.csdata,"",@progbits
; Kernel info:
; codeLenInByte = 0
; NumSgprs: 6
; NumVgprs: 0
; NumAgprs: 0
; TotalNumVgprs: 0
; ScratchSize: 0
; MemoryBound: 0
; FloatMode: 240
; IeeeMode: 1
; LDSByteSize: 0 bytes/workgroup (compile time only)
; SGPRBlocks: 0
; VGPRBlocks: 0
; NumSGPRsForWavesPerEU: 6
; NumVGPRsForWavesPerEU: 1
; AccumOffset: 4
; Occupancy: 8
; WaveLimiterHint : 0
; COMPUTE_PGM_RSRC2:SCRATCH_EN: 0
; COMPUTE_PGM_RSRC2:USER_SGPR: 2
; COMPUTE_PGM_RSRC2:TRAP_HANDLER: 0
; COMPUTE_PGM_RSRC2:TGID_X_EN: 1
; COMPUTE_PGM_RSRC2:TGID_Y_EN: 0
; COMPUTE_PGM_RSRC2:TGID_Z_EN: 0
; COMPUTE_PGM_RSRC2:TIDIG_COMP_CNT: 0
; COMPUTE_PGM_RSRC3_GFX90A:ACCUM_OFFSET: 0
; COMPUTE_PGM_RSRC3_GFX90A:TG_SPLIT: 0
	.section	.text._ZN7rocprim17ROCPRIM_400000_NS6detail17trampoline_kernelINS0_14default_configENS1_27scan_by_key_config_selectorIxxEEZZNS1_16scan_by_key_implILNS1_25lookback_scan_determinismE0ELb0ES3_N6thrust23THRUST_200600_302600_NS6detail15normal_iteratorINS9_10device_ptrIxEEEESE_SE_xNS9_4plusIxEE19head_flag_predicatexEE10hipError_tPvRmT2_T3_T4_T5_mT6_T7_P12ihipStream_tbENKUlT_T0_E_clISt17integral_constantIbLb0EESY_EEDaST_SU_EUlST_E_NS1_11comp_targetILNS1_3genE0ELNS1_11target_archE4294967295ELNS1_3gpuE0ELNS1_3repE0EEENS1_30default_config_static_selectorELNS0_4arch9wavefront6targetE1EEEvT1_,"axG",@progbits,_ZN7rocprim17ROCPRIM_400000_NS6detail17trampoline_kernelINS0_14default_configENS1_27scan_by_key_config_selectorIxxEEZZNS1_16scan_by_key_implILNS1_25lookback_scan_determinismE0ELb0ES3_N6thrust23THRUST_200600_302600_NS6detail15normal_iteratorINS9_10device_ptrIxEEEESE_SE_xNS9_4plusIxEE19head_flag_predicatexEE10hipError_tPvRmT2_T3_T4_T5_mT6_T7_P12ihipStream_tbENKUlT_T0_E_clISt17integral_constantIbLb0EESY_EEDaST_SU_EUlST_E_NS1_11comp_targetILNS1_3genE0ELNS1_11target_archE4294967295ELNS1_3gpuE0ELNS1_3repE0EEENS1_30default_config_static_selectorELNS0_4arch9wavefront6targetE1EEEvT1_,comdat
	.protected	_ZN7rocprim17ROCPRIM_400000_NS6detail17trampoline_kernelINS0_14default_configENS1_27scan_by_key_config_selectorIxxEEZZNS1_16scan_by_key_implILNS1_25lookback_scan_determinismE0ELb0ES3_N6thrust23THRUST_200600_302600_NS6detail15normal_iteratorINS9_10device_ptrIxEEEESE_SE_xNS9_4plusIxEE19head_flag_predicatexEE10hipError_tPvRmT2_T3_T4_T5_mT6_T7_P12ihipStream_tbENKUlT_T0_E_clISt17integral_constantIbLb0EESY_EEDaST_SU_EUlST_E_NS1_11comp_targetILNS1_3genE0ELNS1_11target_archE4294967295ELNS1_3gpuE0ELNS1_3repE0EEENS1_30default_config_static_selectorELNS0_4arch9wavefront6targetE1EEEvT1_ ; -- Begin function _ZN7rocprim17ROCPRIM_400000_NS6detail17trampoline_kernelINS0_14default_configENS1_27scan_by_key_config_selectorIxxEEZZNS1_16scan_by_key_implILNS1_25lookback_scan_determinismE0ELb0ES3_N6thrust23THRUST_200600_302600_NS6detail15normal_iteratorINS9_10device_ptrIxEEEESE_SE_xNS9_4plusIxEE19head_flag_predicatexEE10hipError_tPvRmT2_T3_T4_T5_mT6_T7_P12ihipStream_tbENKUlT_T0_E_clISt17integral_constantIbLb0EESY_EEDaST_SU_EUlST_E_NS1_11comp_targetILNS1_3genE0ELNS1_11target_archE4294967295ELNS1_3gpuE0ELNS1_3repE0EEENS1_30default_config_static_selectorELNS0_4arch9wavefront6targetE1EEEvT1_
	.globl	_ZN7rocprim17ROCPRIM_400000_NS6detail17trampoline_kernelINS0_14default_configENS1_27scan_by_key_config_selectorIxxEEZZNS1_16scan_by_key_implILNS1_25lookback_scan_determinismE0ELb0ES3_N6thrust23THRUST_200600_302600_NS6detail15normal_iteratorINS9_10device_ptrIxEEEESE_SE_xNS9_4plusIxEE19head_flag_predicatexEE10hipError_tPvRmT2_T3_T4_T5_mT6_T7_P12ihipStream_tbENKUlT_T0_E_clISt17integral_constantIbLb0EESY_EEDaST_SU_EUlST_E_NS1_11comp_targetILNS1_3genE0ELNS1_11target_archE4294967295ELNS1_3gpuE0ELNS1_3repE0EEENS1_30default_config_static_selectorELNS0_4arch9wavefront6targetE1EEEvT1_
	.p2align	8
	.type	_ZN7rocprim17ROCPRIM_400000_NS6detail17trampoline_kernelINS0_14default_configENS1_27scan_by_key_config_selectorIxxEEZZNS1_16scan_by_key_implILNS1_25lookback_scan_determinismE0ELb0ES3_N6thrust23THRUST_200600_302600_NS6detail15normal_iteratorINS9_10device_ptrIxEEEESE_SE_xNS9_4plusIxEE19head_flag_predicatexEE10hipError_tPvRmT2_T3_T4_T5_mT6_T7_P12ihipStream_tbENKUlT_T0_E_clISt17integral_constantIbLb0EESY_EEDaST_SU_EUlST_E_NS1_11comp_targetILNS1_3genE0ELNS1_11target_archE4294967295ELNS1_3gpuE0ELNS1_3repE0EEENS1_30default_config_static_selectorELNS0_4arch9wavefront6targetE1EEEvT1_,@function
_ZN7rocprim17ROCPRIM_400000_NS6detail17trampoline_kernelINS0_14default_configENS1_27scan_by_key_config_selectorIxxEEZZNS1_16scan_by_key_implILNS1_25lookback_scan_determinismE0ELb0ES3_N6thrust23THRUST_200600_302600_NS6detail15normal_iteratorINS9_10device_ptrIxEEEESE_SE_xNS9_4plusIxEE19head_flag_predicatexEE10hipError_tPvRmT2_T3_T4_T5_mT6_T7_P12ihipStream_tbENKUlT_T0_E_clISt17integral_constantIbLb0EESY_EEDaST_SU_EUlST_E_NS1_11comp_targetILNS1_3genE0ELNS1_11target_archE4294967295ELNS1_3gpuE0ELNS1_3repE0EEENS1_30default_config_static_selectorELNS0_4arch9wavefront6targetE1EEEvT1_: ; @_ZN7rocprim17ROCPRIM_400000_NS6detail17trampoline_kernelINS0_14default_configENS1_27scan_by_key_config_selectorIxxEEZZNS1_16scan_by_key_implILNS1_25lookback_scan_determinismE0ELb0ES3_N6thrust23THRUST_200600_302600_NS6detail15normal_iteratorINS9_10device_ptrIxEEEESE_SE_xNS9_4plusIxEE19head_flag_predicatexEE10hipError_tPvRmT2_T3_T4_T5_mT6_T7_P12ihipStream_tbENKUlT_T0_E_clISt17integral_constantIbLb0EESY_EEDaST_SU_EUlST_E_NS1_11comp_targetILNS1_3genE0ELNS1_11target_archE4294967295ELNS1_3gpuE0ELNS1_3repE0EEENS1_30default_config_static_selectorELNS0_4arch9wavefront6targetE1EEEvT1_
; %bb.0:
	.section	.rodata,"a",@progbits
	.p2align	6, 0x0
	.amdhsa_kernel _ZN7rocprim17ROCPRIM_400000_NS6detail17trampoline_kernelINS0_14default_configENS1_27scan_by_key_config_selectorIxxEEZZNS1_16scan_by_key_implILNS1_25lookback_scan_determinismE0ELb0ES3_N6thrust23THRUST_200600_302600_NS6detail15normal_iteratorINS9_10device_ptrIxEEEESE_SE_xNS9_4plusIxEE19head_flag_predicatexEE10hipError_tPvRmT2_T3_T4_T5_mT6_T7_P12ihipStream_tbENKUlT_T0_E_clISt17integral_constantIbLb0EESY_EEDaST_SU_EUlST_E_NS1_11comp_targetILNS1_3genE0ELNS1_11target_archE4294967295ELNS1_3gpuE0ELNS1_3repE0EEENS1_30default_config_static_selectorELNS0_4arch9wavefront6targetE1EEEvT1_
		.amdhsa_group_segment_fixed_size 0
		.amdhsa_private_segment_fixed_size 0
		.amdhsa_kernarg_size 136
		.amdhsa_user_sgpr_count 2
		.amdhsa_user_sgpr_dispatch_ptr 0
		.amdhsa_user_sgpr_queue_ptr 0
		.amdhsa_user_sgpr_kernarg_segment_ptr 1
		.amdhsa_user_sgpr_dispatch_id 0
		.amdhsa_user_sgpr_kernarg_preload_length 0
		.amdhsa_user_sgpr_kernarg_preload_offset 0
		.amdhsa_user_sgpr_private_segment_size 0
		.amdhsa_uses_dynamic_stack 0
		.amdhsa_enable_private_segment 0
		.amdhsa_system_sgpr_workgroup_id_x 1
		.amdhsa_system_sgpr_workgroup_id_y 0
		.amdhsa_system_sgpr_workgroup_id_z 0
		.amdhsa_system_sgpr_workgroup_info 0
		.amdhsa_system_vgpr_workitem_id 0
		.amdhsa_next_free_vgpr 1
		.amdhsa_next_free_sgpr 0
		.amdhsa_accum_offset 4
		.amdhsa_reserve_vcc 0
		.amdhsa_float_round_mode_32 0
		.amdhsa_float_round_mode_16_64 0
		.amdhsa_float_denorm_mode_32 3
		.amdhsa_float_denorm_mode_16_64 3
		.amdhsa_dx10_clamp 1
		.amdhsa_ieee_mode 1
		.amdhsa_fp16_overflow 0
		.amdhsa_tg_split 0
		.amdhsa_exception_fp_ieee_invalid_op 0
		.amdhsa_exception_fp_denorm_src 0
		.amdhsa_exception_fp_ieee_div_zero 0
		.amdhsa_exception_fp_ieee_overflow 0
		.amdhsa_exception_fp_ieee_underflow 0
		.amdhsa_exception_fp_ieee_inexact 0
		.amdhsa_exception_int_div_zero 0
	.end_amdhsa_kernel
	.section	.text._ZN7rocprim17ROCPRIM_400000_NS6detail17trampoline_kernelINS0_14default_configENS1_27scan_by_key_config_selectorIxxEEZZNS1_16scan_by_key_implILNS1_25lookback_scan_determinismE0ELb0ES3_N6thrust23THRUST_200600_302600_NS6detail15normal_iteratorINS9_10device_ptrIxEEEESE_SE_xNS9_4plusIxEE19head_flag_predicatexEE10hipError_tPvRmT2_T3_T4_T5_mT6_T7_P12ihipStream_tbENKUlT_T0_E_clISt17integral_constantIbLb0EESY_EEDaST_SU_EUlST_E_NS1_11comp_targetILNS1_3genE0ELNS1_11target_archE4294967295ELNS1_3gpuE0ELNS1_3repE0EEENS1_30default_config_static_selectorELNS0_4arch9wavefront6targetE1EEEvT1_,"axG",@progbits,_ZN7rocprim17ROCPRIM_400000_NS6detail17trampoline_kernelINS0_14default_configENS1_27scan_by_key_config_selectorIxxEEZZNS1_16scan_by_key_implILNS1_25lookback_scan_determinismE0ELb0ES3_N6thrust23THRUST_200600_302600_NS6detail15normal_iteratorINS9_10device_ptrIxEEEESE_SE_xNS9_4plusIxEE19head_flag_predicatexEE10hipError_tPvRmT2_T3_T4_T5_mT6_T7_P12ihipStream_tbENKUlT_T0_E_clISt17integral_constantIbLb0EESY_EEDaST_SU_EUlST_E_NS1_11comp_targetILNS1_3genE0ELNS1_11target_archE4294967295ELNS1_3gpuE0ELNS1_3repE0EEENS1_30default_config_static_selectorELNS0_4arch9wavefront6targetE1EEEvT1_,comdat
.Lfunc_end677:
	.size	_ZN7rocprim17ROCPRIM_400000_NS6detail17trampoline_kernelINS0_14default_configENS1_27scan_by_key_config_selectorIxxEEZZNS1_16scan_by_key_implILNS1_25lookback_scan_determinismE0ELb0ES3_N6thrust23THRUST_200600_302600_NS6detail15normal_iteratorINS9_10device_ptrIxEEEESE_SE_xNS9_4plusIxEE19head_flag_predicatexEE10hipError_tPvRmT2_T3_T4_T5_mT6_T7_P12ihipStream_tbENKUlT_T0_E_clISt17integral_constantIbLb0EESY_EEDaST_SU_EUlST_E_NS1_11comp_targetILNS1_3genE0ELNS1_11target_archE4294967295ELNS1_3gpuE0ELNS1_3repE0EEENS1_30default_config_static_selectorELNS0_4arch9wavefront6targetE1EEEvT1_, .Lfunc_end677-_ZN7rocprim17ROCPRIM_400000_NS6detail17trampoline_kernelINS0_14default_configENS1_27scan_by_key_config_selectorIxxEEZZNS1_16scan_by_key_implILNS1_25lookback_scan_determinismE0ELb0ES3_N6thrust23THRUST_200600_302600_NS6detail15normal_iteratorINS9_10device_ptrIxEEEESE_SE_xNS9_4plusIxEE19head_flag_predicatexEE10hipError_tPvRmT2_T3_T4_T5_mT6_T7_P12ihipStream_tbENKUlT_T0_E_clISt17integral_constantIbLb0EESY_EEDaST_SU_EUlST_E_NS1_11comp_targetILNS1_3genE0ELNS1_11target_archE4294967295ELNS1_3gpuE0ELNS1_3repE0EEENS1_30default_config_static_selectorELNS0_4arch9wavefront6targetE1EEEvT1_
                                        ; -- End function
	.section	.AMDGPU.csdata,"",@progbits
; Kernel info:
; codeLenInByte = 0
; NumSgprs: 6
; NumVgprs: 0
; NumAgprs: 0
; TotalNumVgprs: 0
; ScratchSize: 0
; MemoryBound: 0
; FloatMode: 240
; IeeeMode: 1
; LDSByteSize: 0 bytes/workgroup (compile time only)
; SGPRBlocks: 0
; VGPRBlocks: 0
; NumSGPRsForWavesPerEU: 6
; NumVGPRsForWavesPerEU: 1
; AccumOffset: 4
; Occupancy: 8
; WaveLimiterHint : 0
; COMPUTE_PGM_RSRC2:SCRATCH_EN: 0
; COMPUTE_PGM_RSRC2:USER_SGPR: 2
; COMPUTE_PGM_RSRC2:TRAP_HANDLER: 0
; COMPUTE_PGM_RSRC2:TGID_X_EN: 1
; COMPUTE_PGM_RSRC2:TGID_Y_EN: 0
; COMPUTE_PGM_RSRC2:TGID_Z_EN: 0
; COMPUTE_PGM_RSRC2:TIDIG_COMP_CNT: 0
; COMPUTE_PGM_RSRC3_GFX90A:ACCUM_OFFSET: 0
; COMPUTE_PGM_RSRC3_GFX90A:TG_SPLIT: 0
	.section	.text._ZN7rocprim17ROCPRIM_400000_NS6detail17trampoline_kernelINS0_14default_configENS1_27scan_by_key_config_selectorIxxEEZZNS1_16scan_by_key_implILNS1_25lookback_scan_determinismE0ELb0ES3_N6thrust23THRUST_200600_302600_NS6detail15normal_iteratorINS9_10device_ptrIxEEEESE_SE_xNS9_4plusIxEE19head_flag_predicatexEE10hipError_tPvRmT2_T3_T4_T5_mT6_T7_P12ihipStream_tbENKUlT_T0_E_clISt17integral_constantIbLb0EESY_EEDaST_SU_EUlST_E_NS1_11comp_targetILNS1_3genE10ELNS1_11target_archE1201ELNS1_3gpuE5ELNS1_3repE0EEENS1_30default_config_static_selectorELNS0_4arch9wavefront6targetE1EEEvT1_,"axG",@progbits,_ZN7rocprim17ROCPRIM_400000_NS6detail17trampoline_kernelINS0_14default_configENS1_27scan_by_key_config_selectorIxxEEZZNS1_16scan_by_key_implILNS1_25lookback_scan_determinismE0ELb0ES3_N6thrust23THRUST_200600_302600_NS6detail15normal_iteratorINS9_10device_ptrIxEEEESE_SE_xNS9_4plusIxEE19head_flag_predicatexEE10hipError_tPvRmT2_T3_T4_T5_mT6_T7_P12ihipStream_tbENKUlT_T0_E_clISt17integral_constantIbLb0EESY_EEDaST_SU_EUlST_E_NS1_11comp_targetILNS1_3genE10ELNS1_11target_archE1201ELNS1_3gpuE5ELNS1_3repE0EEENS1_30default_config_static_selectorELNS0_4arch9wavefront6targetE1EEEvT1_,comdat
	.protected	_ZN7rocprim17ROCPRIM_400000_NS6detail17trampoline_kernelINS0_14default_configENS1_27scan_by_key_config_selectorIxxEEZZNS1_16scan_by_key_implILNS1_25lookback_scan_determinismE0ELb0ES3_N6thrust23THRUST_200600_302600_NS6detail15normal_iteratorINS9_10device_ptrIxEEEESE_SE_xNS9_4plusIxEE19head_flag_predicatexEE10hipError_tPvRmT2_T3_T4_T5_mT6_T7_P12ihipStream_tbENKUlT_T0_E_clISt17integral_constantIbLb0EESY_EEDaST_SU_EUlST_E_NS1_11comp_targetILNS1_3genE10ELNS1_11target_archE1201ELNS1_3gpuE5ELNS1_3repE0EEENS1_30default_config_static_selectorELNS0_4arch9wavefront6targetE1EEEvT1_ ; -- Begin function _ZN7rocprim17ROCPRIM_400000_NS6detail17trampoline_kernelINS0_14default_configENS1_27scan_by_key_config_selectorIxxEEZZNS1_16scan_by_key_implILNS1_25lookback_scan_determinismE0ELb0ES3_N6thrust23THRUST_200600_302600_NS6detail15normal_iteratorINS9_10device_ptrIxEEEESE_SE_xNS9_4plusIxEE19head_flag_predicatexEE10hipError_tPvRmT2_T3_T4_T5_mT6_T7_P12ihipStream_tbENKUlT_T0_E_clISt17integral_constantIbLb0EESY_EEDaST_SU_EUlST_E_NS1_11comp_targetILNS1_3genE10ELNS1_11target_archE1201ELNS1_3gpuE5ELNS1_3repE0EEENS1_30default_config_static_selectorELNS0_4arch9wavefront6targetE1EEEvT1_
	.globl	_ZN7rocprim17ROCPRIM_400000_NS6detail17trampoline_kernelINS0_14default_configENS1_27scan_by_key_config_selectorIxxEEZZNS1_16scan_by_key_implILNS1_25lookback_scan_determinismE0ELb0ES3_N6thrust23THRUST_200600_302600_NS6detail15normal_iteratorINS9_10device_ptrIxEEEESE_SE_xNS9_4plusIxEE19head_flag_predicatexEE10hipError_tPvRmT2_T3_T4_T5_mT6_T7_P12ihipStream_tbENKUlT_T0_E_clISt17integral_constantIbLb0EESY_EEDaST_SU_EUlST_E_NS1_11comp_targetILNS1_3genE10ELNS1_11target_archE1201ELNS1_3gpuE5ELNS1_3repE0EEENS1_30default_config_static_selectorELNS0_4arch9wavefront6targetE1EEEvT1_
	.p2align	8
	.type	_ZN7rocprim17ROCPRIM_400000_NS6detail17trampoline_kernelINS0_14default_configENS1_27scan_by_key_config_selectorIxxEEZZNS1_16scan_by_key_implILNS1_25lookback_scan_determinismE0ELb0ES3_N6thrust23THRUST_200600_302600_NS6detail15normal_iteratorINS9_10device_ptrIxEEEESE_SE_xNS9_4plusIxEE19head_flag_predicatexEE10hipError_tPvRmT2_T3_T4_T5_mT6_T7_P12ihipStream_tbENKUlT_T0_E_clISt17integral_constantIbLb0EESY_EEDaST_SU_EUlST_E_NS1_11comp_targetILNS1_3genE10ELNS1_11target_archE1201ELNS1_3gpuE5ELNS1_3repE0EEENS1_30default_config_static_selectorELNS0_4arch9wavefront6targetE1EEEvT1_,@function
_ZN7rocprim17ROCPRIM_400000_NS6detail17trampoline_kernelINS0_14default_configENS1_27scan_by_key_config_selectorIxxEEZZNS1_16scan_by_key_implILNS1_25lookback_scan_determinismE0ELb0ES3_N6thrust23THRUST_200600_302600_NS6detail15normal_iteratorINS9_10device_ptrIxEEEESE_SE_xNS9_4plusIxEE19head_flag_predicatexEE10hipError_tPvRmT2_T3_T4_T5_mT6_T7_P12ihipStream_tbENKUlT_T0_E_clISt17integral_constantIbLb0EESY_EEDaST_SU_EUlST_E_NS1_11comp_targetILNS1_3genE10ELNS1_11target_archE1201ELNS1_3gpuE5ELNS1_3repE0EEENS1_30default_config_static_selectorELNS0_4arch9wavefront6targetE1EEEvT1_: ; @_ZN7rocprim17ROCPRIM_400000_NS6detail17trampoline_kernelINS0_14default_configENS1_27scan_by_key_config_selectorIxxEEZZNS1_16scan_by_key_implILNS1_25lookback_scan_determinismE0ELb0ES3_N6thrust23THRUST_200600_302600_NS6detail15normal_iteratorINS9_10device_ptrIxEEEESE_SE_xNS9_4plusIxEE19head_flag_predicatexEE10hipError_tPvRmT2_T3_T4_T5_mT6_T7_P12ihipStream_tbENKUlT_T0_E_clISt17integral_constantIbLb0EESY_EEDaST_SU_EUlST_E_NS1_11comp_targetILNS1_3genE10ELNS1_11target_archE1201ELNS1_3gpuE5ELNS1_3repE0EEENS1_30default_config_static_selectorELNS0_4arch9wavefront6targetE1EEEvT1_
; %bb.0:
	.section	.rodata,"a",@progbits
	.p2align	6, 0x0
	.amdhsa_kernel _ZN7rocprim17ROCPRIM_400000_NS6detail17trampoline_kernelINS0_14default_configENS1_27scan_by_key_config_selectorIxxEEZZNS1_16scan_by_key_implILNS1_25lookback_scan_determinismE0ELb0ES3_N6thrust23THRUST_200600_302600_NS6detail15normal_iteratorINS9_10device_ptrIxEEEESE_SE_xNS9_4plusIxEE19head_flag_predicatexEE10hipError_tPvRmT2_T3_T4_T5_mT6_T7_P12ihipStream_tbENKUlT_T0_E_clISt17integral_constantIbLb0EESY_EEDaST_SU_EUlST_E_NS1_11comp_targetILNS1_3genE10ELNS1_11target_archE1201ELNS1_3gpuE5ELNS1_3repE0EEENS1_30default_config_static_selectorELNS0_4arch9wavefront6targetE1EEEvT1_
		.amdhsa_group_segment_fixed_size 0
		.amdhsa_private_segment_fixed_size 0
		.amdhsa_kernarg_size 136
		.amdhsa_user_sgpr_count 2
		.amdhsa_user_sgpr_dispatch_ptr 0
		.amdhsa_user_sgpr_queue_ptr 0
		.amdhsa_user_sgpr_kernarg_segment_ptr 1
		.amdhsa_user_sgpr_dispatch_id 0
		.amdhsa_user_sgpr_kernarg_preload_length 0
		.amdhsa_user_sgpr_kernarg_preload_offset 0
		.amdhsa_user_sgpr_private_segment_size 0
		.amdhsa_uses_dynamic_stack 0
		.amdhsa_enable_private_segment 0
		.amdhsa_system_sgpr_workgroup_id_x 1
		.amdhsa_system_sgpr_workgroup_id_y 0
		.amdhsa_system_sgpr_workgroup_id_z 0
		.amdhsa_system_sgpr_workgroup_info 0
		.amdhsa_system_vgpr_workitem_id 0
		.amdhsa_next_free_vgpr 1
		.amdhsa_next_free_sgpr 0
		.amdhsa_accum_offset 4
		.amdhsa_reserve_vcc 0
		.amdhsa_float_round_mode_32 0
		.amdhsa_float_round_mode_16_64 0
		.amdhsa_float_denorm_mode_32 3
		.amdhsa_float_denorm_mode_16_64 3
		.amdhsa_dx10_clamp 1
		.amdhsa_ieee_mode 1
		.amdhsa_fp16_overflow 0
		.amdhsa_tg_split 0
		.amdhsa_exception_fp_ieee_invalid_op 0
		.amdhsa_exception_fp_denorm_src 0
		.amdhsa_exception_fp_ieee_div_zero 0
		.amdhsa_exception_fp_ieee_overflow 0
		.amdhsa_exception_fp_ieee_underflow 0
		.amdhsa_exception_fp_ieee_inexact 0
		.amdhsa_exception_int_div_zero 0
	.end_amdhsa_kernel
	.section	.text._ZN7rocprim17ROCPRIM_400000_NS6detail17trampoline_kernelINS0_14default_configENS1_27scan_by_key_config_selectorIxxEEZZNS1_16scan_by_key_implILNS1_25lookback_scan_determinismE0ELb0ES3_N6thrust23THRUST_200600_302600_NS6detail15normal_iteratorINS9_10device_ptrIxEEEESE_SE_xNS9_4plusIxEE19head_flag_predicatexEE10hipError_tPvRmT2_T3_T4_T5_mT6_T7_P12ihipStream_tbENKUlT_T0_E_clISt17integral_constantIbLb0EESY_EEDaST_SU_EUlST_E_NS1_11comp_targetILNS1_3genE10ELNS1_11target_archE1201ELNS1_3gpuE5ELNS1_3repE0EEENS1_30default_config_static_selectorELNS0_4arch9wavefront6targetE1EEEvT1_,"axG",@progbits,_ZN7rocprim17ROCPRIM_400000_NS6detail17trampoline_kernelINS0_14default_configENS1_27scan_by_key_config_selectorIxxEEZZNS1_16scan_by_key_implILNS1_25lookback_scan_determinismE0ELb0ES3_N6thrust23THRUST_200600_302600_NS6detail15normal_iteratorINS9_10device_ptrIxEEEESE_SE_xNS9_4plusIxEE19head_flag_predicatexEE10hipError_tPvRmT2_T3_T4_T5_mT6_T7_P12ihipStream_tbENKUlT_T0_E_clISt17integral_constantIbLb0EESY_EEDaST_SU_EUlST_E_NS1_11comp_targetILNS1_3genE10ELNS1_11target_archE1201ELNS1_3gpuE5ELNS1_3repE0EEENS1_30default_config_static_selectorELNS0_4arch9wavefront6targetE1EEEvT1_,comdat
.Lfunc_end678:
	.size	_ZN7rocprim17ROCPRIM_400000_NS6detail17trampoline_kernelINS0_14default_configENS1_27scan_by_key_config_selectorIxxEEZZNS1_16scan_by_key_implILNS1_25lookback_scan_determinismE0ELb0ES3_N6thrust23THRUST_200600_302600_NS6detail15normal_iteratorINS9_10device_ptrIxEEEESE_SE_xNS9_4plusIxEE19head_flag_predicatexEE10hipError_tPvRmT2_T3_T4_T5_mT6_T7_P12ihipStream_tbENKUlT_T0_E_clISt17integral_constantIbLb0EESY_EEDaST_SU_EUlST_E_NS1_11comp_targetILNS1_3genE10ELNS1_11target_archE1201ELNS1_3gpuE5ELNS1_3repE0EEENS1_30default_config_static_selectorELNS0_4arch9wavefront6targetE1EEEvT1_, .Lfunc_end678-_ZN7rocprim17ROCPRIM_400000_NS6detail17trampoline_kernelINS0_14default_configENS1_27scan_by_key_config_selectorIxxEEZZNS1_16scan_by_key_implILNS1_25lookback_scan_determinismE0ELb0ES3_N6thrust23THRUST_200600_302600_NS6detail15normal_iteratorINS9_10device_ptrIxEEEESE_SE_xNS9_4plusIxEE19head_flag_predicatexEE10hipError_tPvRmT2_T3_T4_T5_mT6_T7_P12ihipStream_tbENKUlT_T0_E_clISt17integral_constantIbLb0EESY_EEDaST_SU_EUlST_E_NS1_11comp_targetILNS1_3genE10ELNS1_11target_archE1201ELNS1_3gpuE5ELNS1_3repE0EEENS1_30default_config_static_selectorELNS0_4arch9wavefront6targetE1EEEvT1_
                                        ; -- End function
	.section	.AMDGPU.csdata,"",@progbits
; Kernel info:
; codeLenInByte = 0
; NumSgprs: 6
; NumVgprs: 0
; NumAgprs: 0
; TotalNumVgprs: 0
; ScratchSize: 0
; MemoryBound: 0
; FloatMode: 240
; IeeeMode: 1
; LDSByteSize: 0 bytes/workgroup (compile time only)
; SGPRBlocks: 0
; VGPRBlocks: 0
; NumSGPRsForWavesPerEU: 6
; NumVGPRsForWavesPerEU: 1
; AccumOffset: 4
; Occupancy: 8
; WaveLimiterHint : 0
; COMPUTE_PGM_RSRC2:SCRATCH_EN: 0
; COMPUTE_PGM_RSRC2:USER_SGPR: 2
; COMPUTE_PGM_RSRC2:TRAP_HANDLER: 0
; COMPUTE_PGM_RSRC2:TGID_X_EN: 1
; COMPUTE_PGM_RSRC2:TGID_Y_EN: 0
; COMPUTE_PGM_RSRC2:TGID_Z_EN: 0
; COMPUTE_PGM_RSRC2:TIDIG_COMP_CNT: 0
; COMPUTE_PGM_RSRC3_GFX90A:ACCUM_OFFSET: 0
; COMPUTE_PGM_RSRC3_GFX90A:TG_SPLIT: 0
	.section	.text._ZN7rocprim17ROCPRIM_400000_NS6detail17trampoline_kernelINS0_14default_configENS1_27scan_by_key_config_selectorIxxEEZZNS1_16scan_by_key_implILNS1_25lookback_scan_determinismE0ELb0ES3_N6thrust23THRUST_200600_302600_NS6detail15normal_iteratorINS9_10device_ptrIxEEEESE_SE_xNS9_4plusIxEE19head_flag_predicatexEE10hipError_tPvRmT2_T3_T4_T5_mT6_T7_P12ihipStream_tbENKUlT_T0_E_clISt17integral_constantIbLb0EESY_EEDaST_SU_EUlST_E_NS1_11comp_targetILNS1_3genE5ELNS1_11target_archE942ELNS1_3gpuE9ELNS1_3repE0EEENS1_30default_config_static_selectorELNS0_4arch9wavefront6targetE1EEEvT1_,"axG",@progbits,_ZN7rocprim17ROCPRIM_400000_NS6detail17trampoline_kernelINS0_14default_configENS1_27scan_by_key_config_selectorIxxEEZZNS1_16scan_by_key_implILNS1_25lookback_scan_determinismE0ELb0ES3_N6thrust23THRUST_200600_302600_NS6detail15normal_iteratorINS9_10device_ptrIxEEEESE_SE_xNS9_4plusIxEE19head_flag_predicatexEE10hipError_tPvRmT2_T3_T4_T5_mT6_T7_P12ihipStream_tbENKUlT_T0_E_clISt17integral_constantIbLb0EESY_EEDaST_SU_EUlST_E_NS1_11comp_targetILNS1_3genE5ELNS1_11target_archE942ELNS1_3gpuE9ELNS1_3repE0EEENS1_30default_config_static_selectorELNS0_4arch9wavefront6targetE1EEEvT1_,comdat
	.protected	_ZN7rocprim17ROCPRIM_400000_NS6detail17trampoline_kernelINS0_14default_configENS1_27scan_by_key_config_selectorIxxEEZZNS1_16scan_by_key_implILNS1_25lookback_scan_determinismE0ELb0ES3_N6thrust23THRUST_200600_302600_NS6detail15normal_iteratorINS9_10device_ptrIxEEEESE_SE_xNS9_4plusIxEE19head_flag_predicatexEE10hipError_tPvRmT2_T3_T4_T5_mT6_T7_P12ihipStream_tbENKUlT_T0_E_clISt17integral_constantIbLb0EESY_EEDaST_SU_EUlST_E_NS1_11comp_targetILNS1_3genE5ELNS1_11target_archE942ELNS1_3gpuE9ELNS1_3repE0EEENS1_30default_config_static_selectorELNS0_4arch9wavefront6targetE1EEEvT1_ ; -- Begin function _ZN7rocprim17ROCPRIM_400000_NS6detail17trampoline_kernelINS0_14default_configENS1_27scan_by_key_config_selectorIxxEEZZNS1_16scan_by_key_implILNS1_25lookback_scan_determinismE0ELb0ES3_N6thrust23THRUST_200600_302600_NS6detail15normal_iteratorINS9_10device_ptrIxEEEESE_SE_xNS9_4plusIxEE19head_flag_predicatexEE10hipError_tPvRmT2_T3_T4_T5_mT6_T7_P12ihipStream_tbENKUlT_T0_E_clISt17integral_constantIbLb0EESY_EEDaST_SU_EUlST_E_NS1_11comp_targetILNS1_3genE5ELNS1_11target_archE942ELNS1_3gpuE9ELNS1_3repE0EEENS1_30default_config_static_selectorELNS0_4arch9wavefront6targetE1EEEvT1_
	.globl	_ZN7rocprim17ROCPRIM_400000_NS6detail17trampoline_kernelINS0_14default_configENS1_27scan_by_key_config_selectorIxxEEZZNS1_16scan_by_key_implILNS1_25lookback_scan_determinismE0ELb0ES3_N6thrust23THRUST_200600_302600_NS6detail15normal_iteratorINS9_10device_ptrIxEEEESE_SE_xNS9_4plusIxEE19head_flag_predicatexEE10hipError_tPvRmT2_T3_T4_T5_mT6_T7_P12ihipStream_tbENKUlT_T0_E_clISt17integral_constantIbLb0EESY_EEDaST_SU_EUlST_E_NS1_11comp_targetILNS1_3genE5ELNS1_11target_archE942ELNS1_3gpuE9ELNS1_3repE0EEENS1_30default_config_static_selectorELNS0_4arch9wavefront6targetE1EEEvT1_
	.p2align	8
	.type	_ZN7rocprim17ROCPRIM_400000_NS6detail17trampoline_kernelINS0_14default_configENS1_27scan_by_key_config_selectorIxxEEZZNS1_16scan_by_key_implILNS1_25lookback_scan_determinismE0ELb0ES3_N6thrust23THRUST_200600_302600_NS6detail15normal_iteratorINS9_10device_ptrIxEEEESE_SE_xNS9_4plusIxEE19head_flag_predicatexEE10hipError_tPvRmT2_T3_T4_T5_mT6_T7_P12ihipStream_tbENKUlT_T0_E_clISt17integral_constantIbLb0EESY_EEDaST_SU_EUlST_E_NS1_11comp_targetILNS1_3genE5ELNS1_11target_archE942ELNS1_3gpuE9ELNS1_3repE0EEENS1_30default_config_static_selectorELNS0_4arch9wavefront6targetE1EEEvT1_,@function
_ZN7rocprim17ROCPRIM_400000_NS6detail17trampoline_kernelINS0_14default_configENS1_27scan_by_key_config_selectorIxxEEZZNS1_16scan_by_key_implILNS1_25lookback_scan_determinismE0ELb0ES3_N6thrust23THRUST_200600_302600_NS6detail15normal_iteratorINS9_10device_ptrIxEEEESE_SE_xNS9_4plusIxEE19head_flag_predicatexEE10hipError_tPvRmT2_T3_T4_T5_mT6_T7_P12ihipStream_tbENKUlT_T0_E_clISt17integral_constantIbLb0EESY_EEDaST_SU_EUlST_E_NS1_11comp_targetILNS1_3genE5ELNS1_11target_archE942ELNS1_3gpuE9ELNS1_3repE0EEENS1_30default_config_static_selectorELNS0_4arch9wavefront6targetE1EEEvT1_: ; @_ZN7rocprim17ROCPRIM_400000_NS6detail17trampoline_kernelINS0_14default_configENS1_27scan_by_key_config_selectorIxxEEZZNS1_16scan_by_key_implILNS1_25lookback_scan_determinismE0ELb0ES3_N6thrust23THRUST_200600_302600_NS6detail15normal_iteratorINS9_10device_ptrIxEEEESE_SE_xNS9_4plusIxEE19head_flag_predicatexEE10hipError_tPvRmT2_T3_T4_T5_mT6_T7_P12ihipStream_tbENKUlT_T0_E_clISt17integral_constantIbLb0EESY_EEDaST_SU_EUlST_E_NS1_11comp_targetILNS1_3genE5ELNS1_11target_archE942ELNS1_3gpuE9ELNS1_3repE0EEENS1_30default_config_static_selectorELNS0_4arch9wavefront6targetE1EEEvT1_
; %bb.0:
	s_load_dwordx8 s[44:51], s[0:1], 0x0
	s_load_dwordx8 s[36:43], s[0:1], 0x30
	s_load_dwordx2 s[56:57], s[0:1], 0x50
	s_load_dword s3, s[0:1], 0x58
	s_load_dwordx4 s[52:55], s[0:1], 0x60
	s_waitcnt lgkmcnt(0)
	s_lshl_b64 s[46:47], s[46:47], 3
	s_add_u32 s4, s44, s46
	s_addc_u32 s5, s45, s47
	s_add_u32 s6, s48, s46
	s_mul_i32 s0, s57, s3
	s_mul_hi_u32 s1, s56, s3
	s_addc_u32 s7, s49, s47
	s_add_i32 s8, s1, s0
	s_mul_i32 s0, s2, 0xe00
	s_mov_b32 s1, 0
	s_lshl_b64 s[44:45], s[0:1], 3
	s_add_u32 s34, s4, s44
	s_addc_u32 s35, s5, s45
	s_add_u32 s30, s6, s44
	s_mul_i32 s3, s56, s3
	s_addc_u32 s31, s7, s45
	s_add_u32 s0, s3, s2
	s_addc_u32 s1, s8, 0
	s_add_u32 s6, s52, -1
	s_addc_u32 s7, s53, -1
	v_mov_b64_e32 v[2:3], s[6:7]
	v_cmp_ge_u64_e64 s[0:1], s[0:1], v[2:3]
	s_mov_b64 s[4:5], -1
	s_and_b64 vcc, exec, s[0:1]
	s_mul_i32 s33, s6, 0xfffff200
	s_barrier
	s_cbranch_vccz .LBB679_72
; %bb.1:
	v_mov_b64_e32 v[2:3], s[34:35]
	flat_load_dwordx2 v[26:27], v[2:3]
	s_add_i32 s43, s33, s42
	v_cmp_gt_u32_e32 vcc, s43, v0
	s_waitcnt vmcnt(0) lgkmcnt(0)
	v_mov_b64_e32 v[30:31], v[26:27]
	s_and_saveexec_b64 s[4:5], vcc
	s_cbranch_execz .LBB679_3
; %bb.2:
	v_lshlrev_b32_e32 v2, 3, v0
	v_mov_b32_e32 v3, 0
	v_lshl_add_u64 v[2:3], s[34:35], 0, v[2:3]
	flat_load_dwordx2 v[30:31], v[2:3]
.LBB679_3:
	s_or_b64 exec, exec, s[4:5]
	v_or_b32_e32 v1, 0x100, v0
	v_cmp_gt_u32_e64 s[28:29], s43, v1
	v_mov_b64_e32 v[32:33], v[26:27]
	s_and_saveexec_b64 s[4:5], s[28:29]
	s_cbranch_execz .LBB679_5
; %bb.4:
	v_lshlrev_b32_e32 v2, 3, v0
	v_mov_b32_e32 v3, 0
	v_lshl_add_u64 v[2:3], s[34:35], 0, v[2:3]
	flat_load_dwordx2 v[32:33], v[2:3] offset:2048
.LBB679_5:
	s_or_b64 exec, exec, s[4:5]
	v_or_b32_e32 v1, 0x200, v0
	v_cmp_gt_u32_e64 s[4:5], s43, v1
	v_lshlrev_b32_e32 v2, 3, v1
	v_mov_b64_e32 v[34:35], v[26:27]
	s_and_saveexec_b64 s[6:7], s[4:5]
	s_cbranch_execz .LBB679_7
; %bb.6:
	v_mov_b32_e32 v3, 0
	v_lshl_add_u64 v[4:5], s[34:35], 0, v[2:3]
	flat_load_dwordx2 v[34:35], v[4:5]
.LBB679_7:
	s_or_b64 exec, exec, s[6:7]
	v_or_b32_e32 v1, 0x300, v0
	v_cmp_gt_u32_e64 s[6:7], s43, v1
	v_lshlrev_b32_e32 v4, 3, v1
	v_mov_b64_e32 v[36:37], v[26:27]
	s_and_saveexec_b64 s[8:9], s[6:7]
	s_cbranch_execz .LBB679_9
; %bb.8:
	v_mov_b32_e32 v5, 0
	v_lshl_add_u64 v[6:7], s[34:35], 0, v[4:5]
	flat_load_dwordx2 v[36:37], v[6:7]
.LBB679_9:
	;; [unrolled: 12-line block ×11, first 2 shown]
	s_or_b64 exec, exec, s[26:27]
	v_or_b32_e32 v1, 0xd00, v0
	v_cmp_gt_u32_e64 s[26:27], s43, v1
	v_lshlrev_b32_e32 v24, 3, v1
	s_and_saveexec_b64 s[48:49], s[26:27]
	s_cbranch_execz .LBB679_29
; %bb.28:
	v_mov_b32_e32 v25, 0
	v_lshl_add_u64 v[26:27], s[34:35], 0, v[24:25]
	flat_load_dwordx2 v[26:27], v[26:27]
.LBB679_29:
	s_or_b64 exec, exec, s[48:49]
	v_lshlrev_b32_e32 v28, 3, v0
	s_movk_i32 s3, 0x68
	s_waitcnt vmcnt(0) lgkmcnt(0)
	ds_write2st64_b64 v28, v[30:31], v[32:33] offset1:4
	ds_write2st64_b64 v28, v[34:35], v[36:37] offset0:8 offset1:12
	ds_write2st64_b64 v28, v[38:39], v[40:41] offset0:16 offset1:20
	;; [unrolled: 1-line block ×6, first 2 shown]
	v_mad_u32_u24 v42, v0, s3, v28
	s_waitcnt lgkmcnt(0)
	s_barrier
	ds_read_b128 v[66:69], v42
	ds_read_b128 v[62:65], v42 offset:16
	ds_read_b128 v[58:61], v42 offset:32
	;; [unrolled: 1-line block ×6, first 2 shown]
	s_movk_i32 s3, 0xff98
	v_mad_i32_i24 v1, v0, s3, v42
	s_waitcnt lgkmcnt(2)
	ds_write_b64 v1, v[40:41] offset:28672
	s_waitcnt lgkmcnt(0)
	s_barrier
	s_barrier
	s_waitcnt lgkmcnt(0)
                                        ; implicit-def: $vgpr26_vgpr27
	s_and_saveexec_b64 s[48:49], vcc
	s_cbranch_execz .LBB679_143
; %bb.30:
	v_mov_b32_e32 v29, 0
	v_lshl_add_u64 v[26:27], s[30:31], 0, v[28:29]
	flat_load_dwordx2 v[26:27], v[26:27]
	s_or_b64 exec, exec, s[48:49]
                                        ; implicit-def: $vgpr30_vgpr31
	s_and_saveexec_b64 s[48:49], s[28:29]
	s_cbranch_execnz .LBB679_144
.LBB679_31:
	s_or_b64 exec, exec, s[48:49]
                                        ; implicit-def: $vgpr32_vgpr33
	s_and_saveexec_b64 s[28:29], s[4:5]
	s_cbranch_execz .LBB679_145
.LBB679_32:
	v_mov_b32_e32 v3, 0
	v_lshl_add_u64 v[2:3], s[30:31], 0, v[2:3]
	flat_load_dwordx2 v[32:33], v[2:3]
	s_or_b64 exec, exec, s[28:29]
                                        ; implicit-def: $vgpr2_vgpr3
	s_and_saveexec_b64 s[4:5], s[6:7]
	s_cbranch_execnz .LBB679_146
.LBB679_33:
	s_or_b64 exec, exec, s[4:5]
                                        ; implicit-def: $vgpr4_vgpr5
	s_and_saveexec_b64 s[4:5], s[8:9]
	s_cbranch_execz .LBB679_147
.LBB679_34:
	v_mov_b32_e32 v7, 0
	v_lshl_add_u64 v[4:5], s[30:31], 0, v[6:7]
	flat_load_dwordx2 v[4:5], v[4:5]
	s_or_b64 exec, exec, s[4:5]
                                        ; implicit-def: $vgpr6_vgpr7
	s_and_saveexec_b64 s[4:5], s[10:11]
	s_cbranch_execnz .LBB679_148
.LBB679_35:
	s_or_b64 exec, exec, s[4:5]
                                        ; implicit-def: $vgpr8_vgpr9
	s_and_saveexec_b64 s[4:5], s[12:13]
	s_cbranch_execz .LBB679_149
.LBB679_36:
	v_mov_b32_e32 v11, 0
	v_lshl_add_u64 v[8:9], s[30:31], 0, v[10:11]
	flat_load_dwordx2 v[8:9], v[8:9]
	s_or_b64 exec, exec, s[4:5]
                                        ; implicit-def: $vgpr10_vgpr11
	s_and_saveexec_b64 s[4:5], s[14:15]
	s_cbranch_execnz .LBB679_150
.LBB679_37:
	s_or_b64 exec, exec, s[4:5]
                                        ; implicit-def: $vgpr12_vgpr13
	s_and_saveexec_b64 s[4:5], s[16:17]
	s_cbranch_execz .LBB679_151
.LBB679_38:
	v_mov_b32_e32 v15, 0
	v_lshl_add_u64 v[12:13], s[30:31], 0, v[14:15]
	flat_load_dwordx2 v[12:13], v[12:13]
	s_or_b64 exec, exec, s[4:5]
                                        ; implicit-def: $vgpr14_vgpr15
	s_and_saveexec_b64 s[4:5], s[18:19]
	s_cbranch_execnz .LBB679_152
.LBB679_39:
	s_or_b64 exec, exec, s[4:5]
                                        ; implicit-def: $vgpr16_vgpr17
	s_and_saveexec_b64 s[4:5], s[20:21]
	s_cbranch_execz .LBB679_153
.LBB679_40:
	v_mov_b32_e32 v19, 0
	v_lshl_add_u64 v[16:17], s[30:31], 0, v[18:19]
	flat_load_dwordx2 v[16:17], v[16:17]
	s_or_b64 exec, exec, s[4:5]
                                        ; implicit-def: $vgpr18_vgpr19
	s_and_saveexec_b64 s[4:5], s[22:23]
	s_cbranch_execnz .LBB679_154
.LBB679_41:
	s_or_b64 exec, exec, s[4:5]
                                        ; implicit-def: $vgpr20_vgpr21
	s_and_saveexec_b64 s[4:5], s[24:25]
	s_cbranch_execz .LBB679_43
.LBB679_42:
	v_mov_b32_e32 v23, 0
	v_lshl_add_u64 v[20:21], s[30:31], 0, v[22:23]
	flat_load_dwordx2 v[20:21], v[20:21]
.LBB679_43:
	s_or_b64 exec, exec, s[4:5]
	v_mul_u32_u24_e32 v43, 14, v0
                                        ; implicit-def: $vgpr22_vgpr23
	s_and_saveexec_b64 s[4:5], s[26:27]
	s_cbranch_execz .LBB679_45
; %bb.44:
	v_mov_b32_e32 v25, 0
	v_lshl_add_u64 v[22:23], s[30:31], 0, v[24:25]
	flat_load_dwordx2 v[22:23], v[22:23]
.LBB679_45:
	s_or_b64 exec, exec, s[4:5]
	v_mov_b64_e32 v[70:71], 0
	s_waitcnt vmcnt(0) lgkmcnt(0)
	ds_write2st64_b64 v28, v[26:27], v[30:31] offset1:4
	ds_write2st64_b64 v28, v[32:33], v[2:3] offset0:8 offset1:12
	ds_write2st64_b64 v28, v[4:5], v[6:7] offset0:16 offset1:20
	ds_write2st64_b64 v28, v[8:9], v[10:11] offset0:24 offset1:28
	ds_write2st64_b64 v28, v[12:13], v[14:15] offset0:32 offset1:36
	ds_write2st64_b64 v28, v[16:17], v[18:19] offset0:40 offset1:44
	ds_write2st64_b64 v28, v[20:21], v[22:23] offset0:48 offset1:52
	v_cmp_gt_u32_e32 vcc, s43, v43
	s_mov_b64 s[8:9], 0
	s_mov_b64 s[4:5], 0
	s_mov_b32 s3, 0
	v_mov_b32_e32 v73, 0
	v_mov_b32_e32 v83, 0
	v_mov_b64_e32 v[34:35], v[70:71]
	v_mov_b32_e32 v82, 0
	v_mov_b64_e32 v[32:33], v[70:71]
	;; [unrolled: 2-line block ×12, first 2 shown]
	s_waitcnt lgkmcnt(0)
	s_barrier
	s_waitcnt lgkmcnt(0)
                                        ; implicit-def: $vgpr44_vgpr45
	s_and_saveexec_b64 s[6:7], vcc
	s_cbranch_execz .LBB679_71
; %bb.46:
	ds_read_b64 v[2:3], v42
	v_or_b32_e32 v4, 1, v43
	v_cmp_ne_u64_e32 vcc, 0, v[66:67]
	v_mov_b64_e32 v[70:71], 0
	s_mov_b64 s[10:11], 0
	v_cndmask_b32_e64 v1, 0, 1, vcc
	v_cmp_gt_u32_e32 vcc, s43, v4
	v_mov_b32_e32 v73, 0
	v_mov_b32_e32 v83, 0
	v_mov_b64_e32 v[34:35], v[70:71]
	v_mov_b32_e32 v82, 0
	v_mov_b64_e32 v[32:33], v[70:71]
	;; [unrolled: 2-line block ×11, first 2 shown]
                                        ; implicit-def: $vgpr44_vgpr45
	s_and_saveexec_b64 s[8:9], vcc
	s_cbranch_execz .LBB679_70
; %bb.47:
	ds_read2_b64 v[4:7], v42 offset0:1 offset1:2
	v_add_u32_e32 v8, 2, v43
	v_cmp_ne_u64_e32 vcc, 0, v[68:69]
	v_mov_b64_e32 v[70:71], 0
	s_mov_b64 s[12:13], 0
	v_cndmask_b32_e64 v72, 0, 1, vcc
	v_cmp_gt_u32_e32 vcc, s43, v8
	v_mov_b32_e32 v73, 0
	v_mov_b32_e32 v83, 0
	v_mov_b64_e32 v[34:35], v[70:71]
	v_mov_b32_e32 v82, 0
	v_mov_b64_e32 v[32:33], v[70:71]
	v_mov_b32_e32 v81, 0
	v_mov_b64_e32 v[28:29], v[70:71]
	v_mov_b32_e32 v80, 0
	v_mov_b64_e32 v[26:27], v[70:71]
	v_mov_b32_e32 v79, 0
	v_mov_b64_e32 v[22:23], v[70:71]
	v_mov_b32_e32 v78, 0
	v_mov_b64_e32 v[20:21], v[70:71]
	v_mov_b32_e32 v77, 0
	v_mov_b64_e32 v[16:17], v[70:71]
	v_mov_b32_e32 v76, 0
	v_mov_b64_e32 v[14:15], v[70:71]
	v_mov_b32_e32 v75, 0
	v_mov_b64_e32 v[10:11], v[70:71]
	v_mov_b32_e32 v74, 0
	v_mov_b64_e32 v[8:9], v[70:71]
                                        ; implicit-def: $vgpr44_vgpr45
	s_and_saveexec_b64 s[10:11], vcc
	s_cbranch_execz .LBB679_69
; %bb.48:
	s_waitcnt lgkmcnt(0)
	v_mov_b32_e32 v8, v6
	v_add_u32_e32 v6, 3, v43
	v_cmp_ne_u64_e32 vcc, 0, v[62:63]
	v_mov_b64_e32 v[70:71], 0
	v_mov_b32_e32 v9, v7
	s_mov_b64 s[14:15], 0
	v_cndmask_b32_e64 v74, 0, 1, vcc
	v_cmp_gt_u32_e32 vcc, s43, v6
	v_mov_b32_e32 v73, 0
	v_mov_b32_e32 v83, 0
	v_mov_b64_e32 v[34:35], v[70:71]
	v_mov_b32_e32 v82, 0
	v_mov_b64_e32 v[32:33], v[70:71]
	;; [unrolled: 2-line block ×9, first 2 shown]
                                        ; implicit-def: $vgpr44_vgpr45
	s_and_saveexec_b64 s[12:13], vcc
	s_cbranch_execz .LBB679_68
; %bb.49:
	ds_read2_b64 v[10:13], v42 offset0:3 offset1:4
	v_add_u32_e32 v6, 4, v43
	v_cmp_ne_u64_e32 vcc, 0, v[64:65]
	v_mov_b64_e32 v[70:71], 0
	s_mov_b64 s[16:17], 0
	v_cndmask_b32_e64 v75, 0, 1, vcc
	v_cmp_gt_u32_e32 vcc, s43, v6
	v_mov_b32_e32 v73, 0
	v_mov_b32_e32 v83, 0
	v_mov_b64_e32 v[34:35], v[70:71]
	v_mov_b32_e32 v82, 0
	v_mov_b64_e32 v[32:33], v[70:71]
	;; [unrolled: 2-line block ×8, first 2 shown]
                                        ; implicit-def: $vgpr44_vgpr45
	s_and_saveexec_b64 s[14:15], vcc
	s_cbranch_execz .LBB679_67
; %bb.50:
	v_add_u32_e32 v6, 5, v43
	v_cmp_ne_u64_e32 vcc, 0, v[58:59]
	v_mov_b64_e32 v[70:71], 0
	s_waitcnt lgkmcnt(0)
	v_mov_b32_e32 v14, v12
	v_mov_b32_e32 v15, v13
	s_mov_b64 s[18:19], 0
	v_cndmask_b32_e64 v76, 0, 1, vcc
	v_cmp_gt_u32_e32 vcc, s43, v6
	v_mov_b32_e32 v73, 0
	v_mov_b32_e32 v83, 0
	v_mov_b64_e32 v[34:35], v[70:71]
	v_mov_b32_e32 v82, 0
	v_mov_b64_e32 v[32:33], v[70:71]
	;; [unrolled: 2-line block ×7, first 2 shown]
                                        ; implicit-def: $vgpr44_vgpr45
	s_and_saveexec_b64 s[16:17], vcc
	s_cbranch_execz .LBB679_66
; %bb.51:
	ds_read2_b64 v[16:19], v42 offset0:5 offset1:6
	v_add_u32_e32 v6, 6, v43
	v_cmp_ne_u64_e32 vcc, 0, v[60:61]
	v_mov_b64_e32 v[70:71], 0
	s_mov_b64 s[20:21], 0
	v_cndmask_b32_e64 v77, 0, 1, vcc
	v_cmp_gt_u32_e32 vcc, s43, v6
	v_mov_b32_e32 v73, 0
	v_mov_b32_e32 v83, 0
	v_mov_b64_e32 v[34:35], v[70:71]
	v_mov_b32_e32 v82, 0
	v_mov_b64_e32 v[32:33], v[70:71]
	;; [unrolled: 2-line block ×6, first 2 shown]
                                        ; implicit-def: $vgpr44_vgpr45
	s_and_saveexec_b64 s[18:19], vcc
	s_cbranch_execz .LBB679_65
; %bb.52:
	v_add_u32_e32 v6, 7, v43
	v_cmp_ne_u64_e32 vcc, 0, v[54:55]
	v_mov_b64_e32 v[70:71], 0
	s_waitcnt lgkmcnt(0)
	v_mov_b32_e32 v20, v18
	v_mov_b32_e32 v21, v19
	s_mov_b64 s[22:23], 0
	v_cndmask_b32_e64 v78, 0, 1, vcc
	v_cmp_gt_u32_e32 vcc, s43, v6
	v_mov_b32_e32 v73, 0
	v_mov_b32_e32 v83, 0
	v_mov_b64_e32 v[34:35], v[70:71]
	v_mov_b32_e32 v82, 0
	v_mov_b64_e32 v[32:33], v[70:71]
	;; [unrolled: 2-line block ×5, first 2 shown]
                                        ; implicit-def: $vgpr44_vgpr45
	s_and_saveexec_b64 s[20:21], vcc
	s_cbranch_execz .LBB679_64
; %bb.53:
	ds_read2_b64 v[22:25], v42 offset0:7 offset1:8
	v_add_u32_e32 v6, 8, v43
	v_cmp_ne_u64_e32 vcc, 0, v[56:57]
	v_mov_b64_e32 v[70:71], 0
	s_mov_b64 s[24:25], 0
	v_cndmask_b32_e64 v79, 0, 1, vcc
	v_cmp_gt_u32_e32 vcc, s43, v6
	v_mov_b32_e32 v73, 0
	v_mov_b32_e32 v83, 0
	v_mov_b64_e32 v[34:35], v[70:71]
	v_mov_b32_e32 v82, 0
	v_mov_b64_e32 v[32:33], v[70:71]
	v_mov_b32_e32 v81, 0
	v_mov_b64_e32 v[28:29], v[70:71]
	v_mov_b32_e32 v80, 0
	v_mov_b64_e32 v[26:27], v[70:71]
                                        ; implicit-def: $vgpr44_vgpr45
	s_and_saveexec_b64 s[22:23], vcc
	s_cbranch_execz .LBB679_63
; %bb.54:
	v_add_u32_e32 v6, 9, v43
	v_cmp_ne_u64_e32 vcc, 0, v[50:51]
	v_mov_b64_e32 v[70:71], 0
	s_waitcnt lgkmcnt(0)
	v_mov_b32_e32 v26, v24
	v_mov_b32_e32 v27, v25
	s_mov_b64 s[26:27], 0
	v_cndmask_b32_e64 v80, 0, 1, vcc
	v_cmp_gt_u32_e32 vcc, s43, v6
	v_mov_b32_e32 v73, 0
	v_mov_b32_e32 v83, 0
	v_mov_b64_e32 v[34:35], v[70:71]
	v_mov_b32_e32 v82, 0
	v_mov_b64_e32 v[32:33], v[70:71]
	;; [unrolled: 2-line block ×3, first 2 shown]
                                        ; implicit-def: $vgpr44_vgpr45
	s_and_saveexec_b64 s[24:25], vcc
	s_cbranch_execz .LBB679_62
; %bb.55:
	ds_read2_b64 v[28:31], v42 offset0:9 offset1:10
	v_add_u32_e32 v6, 10, v43
	v_cmp_ne_u64_e32 vcc, 0, v[52:53]
	v_mov_b64_e32 v[70:71], 0
	s_mov_b64 s[28:29], 0
	v_cndmask_b32_e64 v81, 0, 1, vcc
	v_cmp_gt_u32_e32 vcc, s43, v6
	v_mov_b32_e32 v73, 0
	v_mov_b32_e32 v83, 0
	v_mov_b64_e32 v[34:35], v[70:71]
	v_mov_b32_e32 v82, 0
	v_mov_b64_e32 v[32:33], v[70:71]
                                        ; implicit-def: $vgpr44_vgpr45
	s_and_saveexec_b64 s[26:27], vcc
	s_cbranch_execz .LBB679_61
; %bb.56:
	v_add_u32_e32 v6, 11, v43
	v_cmp_ne_u64_e32 vcc, 0, v[46:47]
	v_mov_b64_e32 v[70:71], 0
	s_waitcnt lgkmcnt(0)
	v_mov_b32_e32 v32, v30
	v_mov_b32_e32 v33, v31
	s_mov_b64 s[48:49], 0
	v_cndmask_b32_e64 v82, 0, 1, vcc
	v_cmp_gt_u32_e32 vcc, s43, v6
	v_mov_b32_e32 v73, 0
	v_mov_b32_e32 v83, 0
	v_mov_b64_e32 v[34:35], v[70:71]
                                        ; implicit-def: $vgpr44_vgpr45
	s_and_saveexec_b64 s[28:29], vcc
	s_cbranch_execz .LBB679_60
; %bb.57:
	ds_read2_b64 v[34:37], v42 offset0:11 offset1:12
	v_add_u32_e32 v6, 12, v43
	v_cmp_ne_u64_e32 vcc, 0, v[48:49]
	v_mov_b32_e32 v73, 0
	v_mov_b64_e32 v[70:71], 0
	v_cndmask_b32_e64 v83, 0, 1, vcc
	v_cmp_gt_u32_e32 vcc, s43, v6
                                        ; implicit-def: $vgpr44_vgpr45
	s_and_saveexec_b64 s[52:53], vcc
	s_xor_b64 s[52:53], exec, s[52:53]
	s_cbranch_execz .LBB679_59
; %bb.58:
	ds_read_b64 v[44:45], v42 offset:104
	v_add_u32_e32 v6, 13, v43
	v_cmp_ne_u64_e32 vcc, 0, v[38:39]
	s_waitcnt lgkmcnt(1)
	v_mov_b64_e32 v[42:43], v[36:37]
	v_mov_b64_e32 v[70:71], v[36:37]
	v_cndmask_b32_e64 v73, 0, 1, vcc
	v_cmp_gt_u32_e32 vcc, s43, v6
	s_and_b64 s[48:49], vcc, exec
.LBB679_59:
	s_or_b64 exec, exec, s[52:53]
	s_and_b64 s[48:49], s[48:49], exec
.LBB679_60:
	s_or_b64 exec, exec, s[28:29]
	s_and_b64 s[28:29], s[48:49], exec
.LBB679_61:
	s_or_b64 exec, exec, s[26:27]
	s_and_b64 s[26:27], s[28:29], exec
.LBB679_62:
	s_or_b64 exec, exec, s[24:25]
	s_and_b64 s[24:25], s[26:27], exec
.LBB679_63:
	s_or_b64 exec, exec, s[22:23]
	s_and_b64 s[22:23], s[24:25], exec
.LBB679_64:
	s_or_b64 exec, exec, s[20:21]
	s_and_b64 s[20:21], s[22:23], exec
.LBB679_65:
	s_or_b64 exec, exec, s[18:19]
	s_and_b64 s[18:19], s[20:21], exec
.LBB679_66:
	s_or_b64 exec, exec, s[16:17]
	s_and_b64 s[16:17], s[18:19], exec
.LBB679_67:
	s_or_b64 exec, exec, s[14:15]
	s_and_b64 s[14:15], s[16:17], exec
.LBB679_68:
	s_or_b64 exec, exec, s[12:13]
	s_and_b64 s[12:13], s[14:15], exec
.LBB679_69:
	s_or_b64 exec, exec, s[10:11]
	s_and_b64 s[10:11], s[12:13], exec
.LBB679_70:
	s_or_b64 exec, exec, s[8:9]
	s_and_b64 s[8:9], s[10:11], exec
.LBB679_71:
	s_or_b64 exec, exec, s[6:7]
	s_mov_b64 s[6:7], 0
	s_and_b64 vcc, exec, s[4:5]
	s_waitcnt lgkmcnt(0)
	v_lshlrev_b32_e32 v30, 3, v0
	s_cbranch_vccnz .LBB679_73
	s_branch .LBB679_74
.LBB679_72:
	s_mov_b64 s[8:9], 0
                                        ; implicit-def: $vgpr40_vgpr41
                                        ; implicit-def: $vgpr44_vgpr45
                                        ; implicit-def: $vgpr73
                                        ; implicit-def: $vgpr83
                                        ; implicit-def: $vgpr34_vgpr35
                                        ; implicit-def: $vgpr82
                                        ; implicit-def: $vgpr32_vgpr33
                                        ; implicit-def: $vgpr81
                                        ; implicit-def: $vgpr28_vgpr29
                                        ; implicit-def: $vgpr80
                                        ; implicit-def: $vgpr26_vgpr27
                                        ; implicit-def: $vgpr79
                                        ; implicit-def: $vgpr22_vgpr23
                                        ; implicit-def: $vgpr78
                                        ; implicit-def: $vgpr20_vgpr21
                                        ; implicit-def: $vgpr77
                                        ; implicit-def: $vgpr16_vgpr17
                                        ; implicit-def: $vgpr76
                                        ; implicit-def: $vgpr14_vgpr15
                                        ; implicit-def: $vgpr75
                                        ; implicit-def: $vgpr10_vgpr11
                                        ; implicit-def: $vgpr74
                                        ; implicit-def: $vgpr8_vgpr9
                                        ; implicit-def: $vgpr72
                                        ; implicit-def: $vgpr4_vgpr5
                                        ; implicit-def: $vgpr1
                                        ; implicit-def: $vgpr2_vgpr3
                                        ; implicit-def: $sgpr3
                                        ; implicit-def: $sgpr6_sgpr7
                                        ; implicit-def: $vgpr70_vgpr71
	s_and_b64 vcc, exec, s[4:5]
	v_lshlrev_b32_e32 v30, 3, v0
	s_cbranch_vccz .LBB679_74
.LBB679_73:
	v_mov_b32_e32 v31, 0
	v_lshl_add_u64 v[2:3], s[34:35], 0, v[30:31]
	v_add_co_u32_e32 v4, vcc, 0x1000, v2
	s_movk_i32 s3, 0x1000
	s_nop 0
	v_addc_co_u32_e32 v5, vcc, 0, v3, vcc
	flat_load_dwordx2 v[6:7], v[2:3]
	flat_load_dwordx2 v[8:9], v[2:3] offset:2048
	flat_load_dwordx2 v[10:11], v[4:5]
	flat_load_dwordx2 v[12:13], v[4:5] offset:2048
	v_add_co_u32_e32 v4, vcc, 0x2000, v2
	v_lshl_add_u64 v[34:35], s[30:31], 0, v[30:31]
	s_nop 0
	v_addc_co_u32_e32 v5, vcc, 0, v3, vcc
	v_add_co_u32_e32 v14, vcc, 0x3000, v2
	s_movk_i32 s4, 0x2000
	s_nop 0
	v_addc_co_u32_e32 v15, vcc, 0, v3, vcc
	flat_load_dwordx2 v[16:17], v[4:5]
	flat_load_dwordx2 v[18:19], v[4:5] offset:2048
	flat_load_dwordx2 v[20:21], v[14:15]
	flat_load_dwordx2 v[22:23], v[14:15] offset:2048
	v_add_co_u32_e32 v4, vcc, 0x4000, v2
	s_movk_i32 s11, 0x68
	s_nop 0
	v_addc_co_u32_e32 v5, vcc, 0, v3, vcc
	v_add_co_u32_e32 v14, vcc, 0x5000, v2
	s_movk_i32 s12, 0xff98
	s_nop 0
	v_addc_co_u32_e32 v15, vcc, 0, v3, vcc
	v_add_co_u32_e32 v2, vcc, 0x6000, v2
	flat_load_dwordx2 v[24:25], v[4:5]
	flat_load_dwordx2 v[26:27], v[4:5] offset:2048
	flat_load_dwordx2 v[28:29], v[14:15]
	flat_load_dwordx2 v[32:33], v[14:15] offset:2048
	v_addc_co_u32_e32 v3, vcc, 0, v3, vcc
	flat_load_dwordx2 v[4:5], v[2:3]
	flat_load_dwordx2 v[14:15], v[2:3] offset:2048
	v_add_co_u32_e32 v36, vcc, s3, v34
	v_mad_u32_u24 v62, v0, s11, v30
	s_nop 0
	v_addc_co_u32_e32 v37, vcc, 0, v35, vcc
	v_add_co_u32_e32 v42, vcc, s4, v34
	s_movk_i32 s5, 0x3000
	v_mad_i32_i24 v1, v0, s12, v62
	v_addc_co_u32_e32 v43, vcc, 0, v35, vcc
	s_movk_i32 s6, 0x4000
	s_movk_i32 s7, 0x5000
	;; [unrolled: 1-line block ×3, first 2 shown]
	s_or_b64 s[8:9], s[8:9], exec
                                        ; implicit-def: $sgpr3
                                        ; implicit-def: $vgpr70_vgpr71
	s_waitcnt vmcnt(0) lgkmcnt(0)
	ds_write2st64_b64 v30, v[6:7], v[8:9] offset1:4
	ds_write2st64_b64 v30, v[10:11], v[12:13] offset0:8 offset1:12
	ds_write2st64_b64 v30, v[16:17], v[18:19] offset0:16 offset1:20
	;; [unrolled: 1-line block ×6, first 2 shown]
	s_waitcnt lgkmcnt(0)
	s_barrier
	ds_read_b128 v[2:5], v62
	ds_read_b128 v[6:9], v62 offset:16
	ds_read_b128 v[38:41], v62 offset:96
	;; [unrolled: 1-line block ×6, first 2 shown]
	s_waitcnt lgkmcnt(4)
	ds_write_b64 v1, v[40:41] offset:28672
	s_waitcnt lgkmcnt(0)
	s_barrier
	s_barrier
	flat_load_dwordx2 v[26:27], v[34:35]
	flat_load_dwordx2 v[28:29], v[34:35] offset:2048
	flat_load_dwordx2 v[32:33], v[36:37]
	flat_load_dwordx2 v[44:45], v[36:37] offset:2048
	v_add_co_u32_e32 v36, vcc, s5, v34
	s_nop 1
	v_addc_co_u32_e32 v37, vcc, 0, v35, vcc
	flat_load_dwordx2 v[46:47], v[42:43]
	flat_load_dwordx2 v[48:49], v[42:43] offset:2048
	flat_load_dwordx2 v[50:51], v[36:37]
	flat_load_dwordx2 v[52:53], v[36:37] offset:2048
	v_add_co_u32_e32 v36, vcc, s6, v34
	s_nop 1
	v_addc_co_u32_e32 v37, vcc, 0, v35, vcc
	v_add_co_u32_e32 v42, vcc, s7, v34
                                        ; implicit-def: $sgpr6_sgpr7
	s_nop 1
	v_addc_co_u32_e32 v43, vcc, 0, v35, vcc
	v_add_co_u32_e32 v34, vcc, s10, v34
	flat_load_dwordx2 v[54:55], v[36:37]
	flat_load_dwordx2 v[56:57], v[36:37] offset:2048
	flat_load_dwordx2 v[58:59], v[42:43]
	flat_load_dwordx2 v[60:61], v[42:43] offset:2048
	v_addc_co_u32_e32 v35, vcc, 0, v35, vcc
	flat_load_dwordx2 v[36:37], v[34:35]
	flat_load_dwordx2 v[42:43], v[34:35] offset:2048
	v_cmp_ne_u64_e32 vcc, 0, v[38:39]
	s_waitcnt vmcnt(0) lgkmcnt(0)
	ds_write2st64_b64 v30, v[26:27], v[28:29] offset1:4
	ds_write2st64_b64 v30, v[32:33], v[44:45] offset0:8 offset1:12
	ds_write2st64_b64 v30, v[46:47], v[48:49] offset0:16 offset1:20
	ds_write2st64_b64 v30, v[50:51], v[52:53] offset0:24 offset1:28
	ds_write2st64_b64 v30, v[54:55], v[56:57] offset0:32 offset1:36
	ds_write2st64_b64 v30, v[58:59], v[60:61] offset0:40 offset1:44
	ds_write2st64_b64 v30, v[36:37], v[42:43] offset0:48 offset1:52
	v_cndmask_b32_e64 v73, 0, 1, vcc
	v_cmp_ne_u64_e32 vcc, 0, v[24:25]
	s_waitcnt lgkmcnt(0)
	s_barrier
	v_cndmask_b32_e64 v83, 0, 1, vcc
	v_cmp_ne_u64_e32 vcc, 0, v[22:23]
	s_nop 1
	v_cndmask_b32_e64 v82, 0, 1, vcc
	v_cmp_ne_u64_e32 vcc, 0, v[20:21]
	s_nop 1
	;; [unrolled: 3-line block ×10, first 2 shown]
	v_cndmask_b32_e64 v72, 0, 1, vcc
	v_cmp_ne_u64_e32 vcc, 0, v[2:3]
	ds_read_b128 v[26:29], v62 offset:64
	ds_read_b128 v[32:35], v62 offset:80
	;; [unrolled: 1-line block ×4, first 2 shown]
	ds_read_b128 v[2:5], v62
	ds_read_b128 v[8:11], v62 offset:16
	ds_read_b128 v[42:45], v62 offset:96
	v_cndmask_b32_e64 v1, 0, 1, vcc
.LBB679_74:
	v_mov_b64_e32 v[6:7], s[6:7]
	v_mov_b32_e32 v31, s3
	s_and_saveexec_b64 s[4:5], s[8:9]
	s_cbranch_execz .LBB679_76
; %bb.75:
	v_cmp_ne_u64_e32 vcc, 0, v[40:41]
	s_waitcnt lgkmcnt(0)
	v_mov_b64_e32 v[70:71], v[42:43]
	v_mov_b64_e32 v[6:7], v[44:45]
	v_cndmask_b32_e64 v31, 0, 1, vcc
.LBB679_76:
	s_or_b64 exec, exec, s[4:5]
	v_or_b32_e32 v12, v31, v73
	s_cmp_lg_u32 s2, 0
	v_or_b32_e32 v65, v12, v83
	v_mbcnt_lo_u32_b32 v64, -1, 0
	s_waitcnt lgkmcnt(0)
	s_barrier
	s_cbranch_scc0 .LBB679_155
; %bb.77:
	v_mov_b32_e32 v18, 0
	v_cmp_eq_u16_sdwa s[30:31], v72, v18 src0_sel:BYTE_0 src1_sel:DWORD
	v_cmp_eq_u16_sdwa s[4:5], v74, v18 src0_sel:BYTE_0 src1_sel:DWORD
	v_cmp_eq_u16_sdwa s[6:7], v75, v18 src0_sel:BYTE_0 src1_sel:DWORD
	v_cndmask_b32_e64 v13, 0, v3, s[30:31]
	v_cndmask_b32_e64 v12, 0, v2, s[30:31]
	v_lshl_add_u64 v[12:13], v[12:13], 0, v[4:5]
	v_cndmask_b32_e64 v13, 0, v13, s[4:5]
	v_cndmask_b32_e64 v12, 0, v12, s[4:5]
	v_lshl_add_u64 v[12:13], v[12:13], 0, v[8:9]
	v_cndmask_b32_e64 v13, 0, v13, s[6:7]
	v_cndmask_b32_e64 v12, 0, v12, s[6:7]
	v_lshl_add_u64 v[12:13], v[12:13], 0, v[10:11]
	v_cmp_eq_u16_sdwa s[8:9], v76, v18 src0_sel:BYTE_0 src1_sel:DWORD
	v_cmp_eq_u16_sdwa s[10:11], v77, v18 src0_sel:BYTE_0 src1_sel:DWORD
	v_cmp_eq_u16_sdwa s[12:13], v78, v18 src0_sel:BYTE_0 src1_sel:DWORD
	v_cndmask_b32_e64 v13, 0, v13, s[8:9]
	v_cndmask_b32_e64 v12, 0, v12, s[8:9]
	v_lshl_add_u64 v[12:13], v[12:13], 0, v[14:15]
	v_cndmask_b32_e64 v13, 0, v13, s[10:11]
	v_cndmask_b32_e64 v12, 0, v12, s[10:11]
	v_lshl_add_u64 v[12:13], v[12:13], 0, v[16:17]
	v_cndmask_b32_e64 v13, 0, v13, s[12:13]
	v_cndmask_b32_e64 v12, 0, v12, s[12:13]
	v_lshl_add_u64 v[12:13], v[12:13], 0, v[20:21]
	;; [unrolled: 12-line block ×4, first 2 shown]
	v_cmp_eq_u16_sdwa s[26:27], v31, v18 src0_sel:BYTE_0 src1_sel:DWORD
	v_and_b32_e32 v24, 0xff, v1
	v_mbcnt_hi_u32_b32 v48, -1, v64
	v_cndmask_b32_e64 v13, 0, v13, s[26:27]
	v_cndmask_b32_e64 v12, 0, v12, s[26:27]
	v_lshl_add_u64 v[18:19], v[12:13], 0, v[6:7]
	v_or_b32_e32 v12, v65, v82
	v_or_b32_e32 v12, v12, v81
	;; [unrolled: 1-line block ×10, first 2 shown]
	v_and_b32_e32 v12, 1, v12
	v_cmp_eq_u32_e32 vcc, 1, v12
	v_and_b32_e32 v12, 15, v48
	v_mov_b32_dpp v25, v18 row_shr:1 row_mask:0xf bank_mask:0xf
	v_cndmask_b32_e64 v24, v24, 1, vcc
	v_mov_b32_dpp v36, v19 row_shr:1 row_mask:0xf bank_mask:0xf
	v_cmp_ne_u32_e32 vcc, 0, v12
	v_mov_b32_dpp v13, v24 row_shr:1 row_mask:0xf bank_mask:0xf
	s_and_saveexec_b64 s[28:29], vcc
; %bb.78:
	v_cmp_eq_u32_e32 vcc, 0, v24
	v_and_or_b32 v24, v13, 1, v24
	s_nop 0
	v_cndmask_b32_e32 v37, 0, v36, vcc
	v_cndmask_b32_e32 v36, 0, v25, vcc
	v_lshl_add_u64 v[18:19], v[36:37], 0, v[18:19]
; %bb.79:
	s_or_b64 exec, exec, s[28:29]
	s_nop 0
	v_mov_b32_dpp v25, v18 row_shr:2 row_mask:0xf bank_mask:0xf
	v_mov_b32_dpp v36, v19 row_shr:2 row_mask:0xf bank_mask:0xf
	v_mov_b32_dpp v13, v24 row_shr:2 row_mask:0xf bank_mask:0xf
	v_cmp_lt_u32_e32 vcc, 1, v12
	s_and_saveexec_b64 s[28:29], vcc
; %bb.80:
	v_cmp_eq_u32_e32 vcc, 0, v24
	v_or_b32_e32 v13, v13, v24
	v_and_b32_e32 v24, 1, v13
	v_cndmask_b32_e32 v37, 0, v36, vcc
	v_cndmask_b32_e32 v36, 0, v25, vcc
	v_lshl_add_u64 v[18:19], v[36:37], 0, v[18:19]
; %bb.81:
	s_or_b64 exec, exec, s[28:29]
	s_nop 0
	v_mov_b32_dpp v25, v18 row_shr:4 row_mask:0xf bank_mask:0xf
	v_mov_b32_dpp v36, v19 row_shr:4 row_mask:0xf bank_mask:0xf
	v_mov_b32_dpp v13, v24 row_shr:4 row_mask:0xf bank_mask:0xf
	v_cmp_lt_u32_e32 vcc, 3, v12
	s_and_saveexec_b64 s[28:29], vcc
; %bb.82:
	v_cmp_eq_u32_e32 vcc, 0, v24
	v_or_b32_e32 v13, v13, v24
	v_and_b32_e32 v24, 1, v13
	;; [unrolled: 15-line block ×3, first 2 shown]
	v_cndmask_b32_e32 v37, 0, v36, vcc
	v_cndmask_b32_e32 v36, 0, v25, vcc
	v_lshl_add_u64 v[18:19], v[36:37], 0, v[18:19]
; %bb.85:
	s_or_b64 exec, exec, s[28:29]
	v_and_b32_e32 v36, 16, v48
	v_mov_b32_dpp v13, v18 row_bcast:15 row_mask:0xf bank_mask:0xf
	v_mov_b32_dpp v25, v19 row_bcast:15 row_mask:0xf bank_mask:0xf
	;; [unrolled: 1-line block ×3, first 2 shown]
	v_cmp_ne_u32_e32 vcc, 0, v36
	s_and_saveexec_b64 s[28:29], vcc
; %bb.86:
	v_cmp_eq_u32_e32 vcc, 0, v24
	v_or_b32_e32 v12, v12, v24
	v_and_b32_e32 v24, 1, v12
	v_cndmask_b32_e32 v37, 0, v25, vcc
	v_cndmask_b32_e32 v36, 0, v13, vcc
	v_lshl_add_u64 v[18:19], v[36:37], 0, v[18:19]
; %bb.87:
	s_or_b64 exec, exec, s[28:29]
	s_nop 0
	v_mov_b32_dpp v25, v18 row_bcast:31 row_mask:0xf bank_mask:0xf
	v_mov_b32_dpp v36, v19 row_bcast:31 row_mask:0xf bank_mask:0xf
	;; [unrolled: 1-line block ×3, first 2 shown]
	v_cmp_lt_u32_e32 vcc, 31, v48
	v_mov_b32_e32 v12, v24
	s_and_saveexec_b64 s[28:29], vcc
; %bb.88:
	v_cmp_eq_u32_e32 vcc, 0, v24
	v_or_b32_e32 v13, v13, v24
	v_and_b32_e32 v12, 1, v13
	v_cndmask_b32_e32 v37, 0, v36, vcc
	v_cndmask_b32_e32 v36, 0, v25, vcc
	v_lshl_add_u64 v[18:19], v[36:37], 0, v[18:19]
	v_and_b32_e32 v24, 1, v13
; %bb.89:
	s_or_b64 exec, exec, s[28:29]
	v_or_b32_e32 v13, 63, v0
	v_lshrrev_b32_e32 v25, 6, v0
	v_cmp_eq_u32_e32 vcc, v13, v0
	s_and_saveexec_b64 s[28:29], vcc
	s_cbranch_execz .LBB679_91
; %bb.90:
	v_lshlrev_b32_e32 v13, 4, v25
	ds_write_b64 v13, v[18:19]
	ds_write_b8 v13, v12 offset:8
.LBB679_91:
	s_or_b64 exec, exec, s[28:29]
	v_cmp_gt_u32_e32 vcc, 4, v0
	s_waitcnt lgkmcnt(0)
	s_barrier
	s_and_saveexec_b64 s[34:35], vcc
	s_cbranch_execz .LBB679_97
; %bb.92:
	v_lshlrev_b32_e32 v36, 4, v0
	ds_read_b64 v[12:13], v36
	ds_read_b32 v37, v36 offset:8
	v_and_b32_e32 v38, 3, v48
	v_cmp_ne_u32_e32 vcc, 0, v38
	s_waitcnt lgkmcnt(1)
	v_mov_b32_dpp v42, v12 row_shr:1 row_mask:0xf bank_mask:0xf
	v_mov_b32_dpp v43, v13 row_shr:1 row_mask:0xf bank_mask:0xf
	s_waitcnt lgkmcnt(0)
	v_mov_b32_dpp v41, v37 row_shr:1 row_mask:0xf bank_mask:0xf
	v_mov_b32_e32 v39, v37
	v_mov_b32_e32 v40, v37
	s_and_saveexec_b64 s[28:29], vcc
; %bb.93:
	v_mov_b32_e32 v39, 0
	v_cmp_eq_u16_sdwa vcc, v37, v39 src0_sel:BYTE_0 src1_sel:DWORD
	v_or_b32_e32 v40, v41, v37
	v_and_b32_e32 v39, 1, v40
	v_cndmask_b32_e32 v43, 0, v43, vcc
	v_cndmask_b32_e32 v42, 0, v42, vcc
	v_and_b32_e32 v40, 1, v40
	s_movk_i32 s3, 0xff00
	v_lshl_add_u64 v[12:13], v[42:43], 0, v[12:13]
	v_and_or_b32 v37, v37, s3, v40
; %bb.94:
	s_or_b64 exec, exec, s[28:29]
	v_mov_b32_dpp v41, v12 row_shr:2 row_mask:0xf bank_mask:0xf
	v_mov_b32_dpp v42, v13 row_shr:2 row_mask:0xf bank_mask:0xf
	;; [unrolled: 1-line block ×3, first 2 shown]
	v_cmp_lt_u32_e32 vcc, 1, v38
	s_and_saveexec_b64 s[48:49], vcc
; %bb.95:
	v_mov_b32_e32 v38, 0
	v_cmp_eq_u16_sdwa vcc, v40, v38 src0_sel:BYTE_0 src1_sel:DWORD
	v_and_b32_e32 v37, 1, v37
	v_cmp_eq_u32_e64 s[28:29], 1, v37
	v_cndmask_b32_e32 v39, 0, v42, vcc
	v_cndmask_b32_e32 v38, 0, v41, vcc
	v_lshl_add_u64 v[12:13], v[38:39], 0, v[12:13]
	v_and_b32_e32 v38, 1, v40
	v_cmp_eq_u32_e32 vcc, 1, v38
	s_or_b64 s[28:29], vcc, s[28:29]
	v_cndmask_b32_e64 v39, 0, 1, s[28:29]
; %bb.96:
	s_or_b64 exec, exec, s[48:49]
	ds_write_b64 v36, v[12:13]
	ds_write_b8 v36, v39 offset:8
.LBB679_97:
	s_or_b64 exec, exec, s[34:35]
	v_cmp_gt_u32_e32 vcc, 64, v0
	v_cmp_lt_u32_e64 s[28:29], 63, v0
	v_mov_b32_e32 v44, 0
	v_mov_b64_e32 v[12:13], 0
	s_waitcnt lgkmcnt(0)
	s_barrier
	s_and_saveexec_b64 s[34:35], s[28:29]
	s_cbranch_execz .LBB679_99
; %bb.98:
	v_lshl_add_u32 v25, v25, 4, -16
	ds_read_b64 v[12:13], v25
	ds_read_u8 v44, v25 offset:8
	v_and_b32_e32 v36, 1, v24
	v_cmp_eq_u32_e64 s[28:29], 0, v24
	s_waitcnt lgkmcnt(1)
	s_nop 0
	v_cndmask_b32_e64 v25, 0, v13, s[28:29]
	v_cndmask_b32_e64 v24, 0, v12, s[28:29]
	v_cmp_eq_u32_e64 s[28:29], 1, v36
	v_lshl_add_u64 v[18:19], v[24:25], 0, v[18:19]
	s_waitcnt lgkmcnt(0)
	v_cndmask_b32_e64 v24, v44, 1, s[28:29]
.LBB679_99:
	s_or_b64 exec, exec, s[34:35]
	v_add_u32_e32 v25, -1, v48
	v_and_b32_e32 v36, 64, v48
	v_cmp_lt_i32_e64 s[28:29], v25, v36
	s_nop 1
	v_cndmask_b32_e64 v25, v25, v48, s[28:29]
	v_lshlrev_b32_e32 v25, 2, v25
	ds_bpermute_b32 v45, v25, v18
	ds_bpermute_b32 v46, v25, v19
	;; [unrolled: 1-line block ×3, first 2 shown]
	v_cmp_eq_u32_e64 s[28:29], 0, v48
	s_and_saveexec_b64 s[48:49], vcc
	s_cbranch_execz .LBB679_142
; %bb.100:
	v_mov_b32_e32 v25, 0
	ds_read2_b64 v[36:39], v25 offset0:6 offset1:7
	s_and_saveexec_b64 s[34:35], s[28:29]
	s_cbranch_execz .LBB679_102
; %bb.101:
	s_add_i32 s52, s2, 64
	s_mov_b32 s53, 0
	s_lshl_b64 s[58:59], s[52:53], 4
	s_add_u32 s58, s36, s58
	s_addc_u32 s59, s37, s59
	v_mov_b32_e32 v18, s52
	v_mov_b32_e32 v19, 1
	s_waitcnt lgkmcnt(0)
	global_store_dword v25, v36, s[58:59] sc1
	global_store_dword v25, v37, s[58:59] offset:4 sc1
	global_store_dword v25, v38, s[58:59] offset:8 sc1
	global_store_dword v25, v39, s[58:59] offset:12 sc1
	s_waitcnt vmcnt(0)
	global_store_byte v18, v19, s[40:41] sc1
.LBB679_102:
	s_or_b64 exec, exec, s[34:35]
	v_xad_u32 v18, v48, -1, s2
	v_add_u32_e32 v24, 64, v18
	s_waitcnt lgkmcnt(0)
	global_load_ubyte v39, v24, s[40:41] sc1
	s_waitcnt vmcnt(0)
	v_cmp_eq_u16_e32 vcc, 0, v39
	s_and_saveexec_b64 s[34:35], vcc
	s_cbranch_execz .LBB679_106
; %bb.103:
	v_lshl_add_u64 v[40:41], s[40:41], 0, v[24:25]
	s_mov_b64 s[52:53], 0
.LBB679_104:                            ; =>This Inner Loop Header: Depth=1
	global_load_ubyte v39, v[40:41], off sc1
	s_waitcnt vmcnt(0)
	v_cmp_ne_u16_e32 vcc, 0, v39
	s_or_b64 s[52:53], vcc, s[52:53]
	s_andn2_b64 exec, exec, s[52:53]
	s_cbranch_execnz .LBB679_104
; %bb.105:
	s_or_b64 exec, exec, s[52:53]
.LBB679_106:
	s_or_b64 exec, exec, s[34:35]
	v_mov_b32_e32 v19, s39
	v_mov_b32_e32 v40, s37
	v_cmp_eq_u16_e32 vcc, 1, v39
	s_waitcnt vmcnt(0)
	s_nop 0
	v_cndmask_b32_e32 v41, v19, v40, vcc
	v_mov_b32_e32 v19, s38
	v_mov_b32_e32 v40, s36
	v_cndmask_b32_e32 v40, v19, v40, vcc
	v_lshl_add_u64 v[24:25], v[24:25], 4, v[40:41]
	global_load_dword v42, v[24:25], off sc1
	global_load_dword v43, v[24:25], off offset:4 sc1
	global_load_dword v62, v[24:25], off offset:8 sc1
	;; [unrolled: 1-line block ×3, first 2 shown]
	v_cmp_eq_u16_e32 vcc, 2, v39
	v_lshlrev_b64 v[24:25], v48, -1
	v_and_b32_e32 v49, 63, v48
	s_waitcnt vmcnt(0)
	v_and_b32_e32 v19, vcc_hi, v25
	v_and_b32_e32 v53, vcc_lo, v24
	v_cmp_ne_u32_e32 vcc, 63, v49
	v_or_b32_e32 v19, 0x80000000, v19
	v_ffbl_b32_e32 v19, v19
	v_addc_co_u32_e32 v40, vcc, 0, v48, vcc
	v_lshlrev_b32_e32 v50, 2, v40
	v_add_u32_e32 v19, 32, v19
	v_ffbl_b32_e32 v53, v53
	v_min_u32_e32 v19, v53, v19
	v_cmp_lt_u32_e32 vcc, v49, v19
	ds_bpermute_b32 v51, v50, v42
	ds_bpermute_b32 v52, v50, v43
	v_and_b32_e32 v40, 0xff, v62
	ds_bpermute_b32 v41, v50, v40
	s_and_saveexec_b64 s[34:35], vcc
	s_cbranch_execz .LBB679_108
; %bb.107:
	v_mov_b32_e32 v40, 0
	v_cmp_eq_u16_sdwa vcc, v62, v40 src0_sel:BYTE_0 src1_sel:DWORD
	s_waitcnt lgkmcnt(0)
	v_or_b32_e32 v40, v41, v62
	v_and_b32_e32 v62, 1, v40
	v_cndmask_b32_e32 v53, 0, v52, vcc
	v_cndmask_b32_e32 v52, 0, v51, vcc
	v_lshl_add_u64 v[42:43], v[52:53], 0, v[42:43]
	v_and_b32_e32 v40, 1, v40
.LBB679_108:
	s_or_b64 exec, exec, s[34:35]
	v_cmp_gt_u32_e32 vcc, 62, v49
	s_waitcnt lgkmcnt(1)
	v_add_u32_e32 v52, 2, v49
	s_waitcnt lgkmcnt(0)
	v_cndmask_b32_e64 v41, 0, 1, vcc
	v_lshlrev_b32_e32 v41, 1, v41
	v_add_lshl_u32 v51, v41, v48, 2
	ds_bpermute_b32 v53, v51, v42
	ds_bpermute_b32 v54, v51, v43
	ds_bpermute_b32 v41, v51, v40
	v_cmp_le_u32_e32 vcc, v52, v19
	s_and_saveexec_b64 s[52:53], vcc
	s_cbranch_execz .LBB679_110
; %bb.109:
	v_mov_b32_e32 v40, 0
	v_cmp_eq_u16_sdwa vcc, v62, v40 src0_sel:BYTE_0 src1_sel:DWORD
	v_and_b32_e32 v40, 1, v62
	s_waitcnt lgkmcnt(1)
	v_cndmask_b32_e32 v55, 0, v54, vcc
	v_cndmask_b32_e32 v54, 0, v53, vcc
	v_cmp_eq_u32_e32 vcc, 1, v40
	s_waitcnt lgkmcnt(0)
	v_and_b32_e32 v40, 1, v41
	v_cmp_eq_u32_e64 s[34:35], 1, v40
	s_or_b64 s[34:35], vcc, s[34:35]
	v_lshl_add_u64 v[42:43], v[54:55], 0, v[42:43]
	v_cndmask_b32_e64 v62, 0, 1, s[34:35]
	v_cndmask_b32_e64 v40, 0, 1, s[34:35]
.LBB679_110:
	s_or_b64 exec, exec, s[52:53]
	v_cmp_gt_u32_e32 vcc, 60, v49
	s_waitcnt lgkmcnt(1)
	v_add_u32_e32 v54, 4, v49
	s_waitcnt lgkmcnt(0)
	v_cndmask_b32_e64 v41, 0, 1, vcc
	v_lshlrev_b32_e32 v41, 2, v41
	v_add_lshl_u32 v53, v41, v48, 2
	ds_bpermute_b32 v55, v53, v42
	ds_bpermute_b32 v56, v53, v43
	ds_bpermute_b32 v41, v53, v40
	v_cmp_le_u32_e32 vcc, v54, v19
	s_and_saveexec_b64 s[52:53], vcc
	s_cbranch_execz .LBB679_112
; %bb.111:
	v_mov_b32_e32 v40, 0
	v_cmp_eq_u16_sdwa vcc, v62, v40 src0_sel:BYTE_0 src1_sel:DWORD
	v_and_b32_e32 v40, 1, v62
	s_waitcnt lgkmcnt(1)
	v_cndmask_b32_e32 v57, 0, v56, vcc
	v_cndmask_b32_e32 v56, 0, v55, vcc
	v_cmp_eq_u32_e32 vcc, 1, v40
	s_waitcnt lgkmcnt(0)
	v_and_b32_e32 v40, 1, v41
	v_cmp_eq_u32_e64 s[34:35], 1, v40
	s_or_b64 s[34:35], vcc, s[34:35]
	v_lshl_add_u64 v[42:43], v[56:57], 0, v[42:43]
	v_cndmask_b32_e64 v62, 0, 1, s[34:35]
	v_cndmask_b32_e64 v40, 0, 1, s[34:35]
.LBB679_112:
	;; [unrolled: 30-line block ×4, first 2 shown]
	s_or_b64 exec, exec, s[52:53]
	v_cmp_gt_u32_e32 vcc, 32, v49
	s_waitcnt lgkmcnt(1)
	v_add_u32_e32 v60, 32, v49
	s_waitcnt lgkmcnt(0)
	v_cndmask_b32_e64 v41, 0, 1, vcc
	v_lshlrev_b32_e32 v41, 5, v41
	v_add_lshl_u32 v59, v41, v48, 2
	ds_bpermute_b32 v41, v59, v42
	ds_bpermute_b32 v48, v59, v43
	;; [unrolled: 1-line block ×3, first 2 shown]
	v_cmp_le_u32_e32 vcc, v60, v19
	s_and_saveexec_b64 s[52:53], vcc
	s_cbranch_execz .LBB679_118
; %bb.117:
	v_mov_b32_e32 v19, 0
	v_cmp_eq_u16_sdwa vcc, v62, v19 src0_sel:BYTE_0 src1_sel:DWORD
	v_and_b32_e32 v19, 1, v62
	s_waitcnt lgkmcnt(1)
	v_cndmask_b32_e32 v67, 0, v48, vcc
	v_cndmask_b32_e32 v66, 0, v41, vcc
	v_cmp_eq_u32_e32 vcc, 1, v19
	s_waitcnt lgkmcnt(0)
	v_and_b32_e32 v19, 1, v40
	v_cmp_eq_u32_e64 s[34:35], 1, v19
	s_or_b64 s[34:35], vcc, s[34:35]
	v_lshl_add_u64 v[42:43], v[66:67], 0, v[42:43]
	v_cndmask_b32_e64 v62, 0, 1, s[34:35]
.LBB679_118:
	s_or_b64 exec, exec, s[52:53]
	v_mov_b32_e32 v19, 0
	v_mov_b32_e32 v61, 2
	s_branch .LBB679_120
.LBB679_119:                            ;   in Loop: Header=BB679_120 Depth=1
	s_or_b64 exec, exec, s[58:59]
	v_cmp_eq_u16_sdwa vcc, v48, v19 src0_sel:BYTE_0 src1_sel:DWORD
	v_and_b32_e32 v62, 1, v48
	v_subrev_u32_e32 v18, 64, v18
	v_cndmask_b32_e32 v43, 0, v43, vcc
	v_cndmask_b32_e32 v42, 0, v42, vcc
	v_cmp_eq_u32_e32 vcc, 1, v62
	s_or_b64 s[34:35], vcc, s[52:53]
	v_lshl_add_u64 v[42:43], v[42:43], 0, v[40:41]
	v_cndmask_b32_e64 v62, 0, 1, s[34:35]
.LBB679_120:                            ; =>This Loop Header: Depth=1
                                        ;     Child Loop BB679_123 Depth 2
	v_cmp_ne_u16_sdwa s[34:35], v39, v61 src0_sel:BYTE_0 src1_sel:DWORD
	s_waitcnt lgkmcnt(1)
	v_mov_b32_e32 v48, v62
	s_waitcnt lgkmcnt(0)
	v_mov_b64_e32 v[40:41], v[42:43]
	v_cndmask_b32_e64 v39, 0, 1, s[34:35]
	;;#ASMSTART
	;;#ASMEND
	s_nop 0
	v_cmp_ne_u32_e32 vcc, 0, v39
	s_cmp_lg_u64 vcc, exec
	s_cbranch_scc1 .LBB679_137
; %bb.121:                              ;   in Loop: Header=BB679_120 Depth=1
	global_load_ubyte v39, v18, s[40:41] sc1
	s_waitcnt vmcnt(0)
	v_cmp_eq_u16_e32 vcc, 0, v39
	s_and_saveexec_b64 s[34:35], vcc
	s_cbranch_execz .LBB679_125
; %bb.122:                              ;   in Loop: Header=BB679_120 Depth=1
	v_lshl_add_u64 v[42:43], s[40:41], 0, v[18:19]
	s_mov_b64 s[52:53], 0
.LBB679_123:                            ;   Parent Loop BB679_120 Depth=1
                                        ; =>  This Inner Loop Header: Depth=2
	global_load_ubyte v39, v[42:43], off sc1
	s_waitcnt vmcnt(0)
	v_cmp_ne_u16_e32 vcc, 0, v39
	s_or_b64 s[52:53], vcc, s[52:53]
	s_andn2_b64 exec, exec, s[52:53]
	s_cbranch_execnz .LBB679_123
; %bb.124:                              ;   in Loop: Header=BB679_120 Depth=1
	s_or_b64 exec, exec, s[52:53]
.LBB679_125:                            ;   in Loop: Header=BB679_120 Depth=1
	s_or_b64 exec, exec, s[34:35]
	v_mov_b32_e32 v42, s39
	v_mov_b32_e32 v43, s37
	v_cmp_eq_u16_e32 vcc, 1, v39
	v_mov_b32_e32 v62, s36
	s_waitcnt vmcnt(0)
	v_cndmask_b32_e32 v43, v42, v43, vcc
	v_mov_b32_e32 v42, s38
	v_cndmask_b32_e32 v42, v42, v62, vcc
	v_lshl_add_u64 v[66:67], v[18:19], 4, v[42:43]
	global_load_dword v42, v[66:67], off sc1
	global_load_dword v43, v[66:67], off offset:4 sc1
	global_load_dword v62, v[66:67], off offset:8 sc1
	;; [unrolled: 1-line block ×3, first 2 shown]
	v_cmp_eq_u16_e32 vcc, 2, v39
	s_waitcnt vmcnt(3)
	ds_bpermute_b32 v68, v50, v42
	s_waitcnt vmcnt(0)
	v_and_b32_e32 v63, vcc_hi, v25
	v_and_b32_e32 v66, 0xff, v62
	v_or_b32_e32 v63, 0x80000000, v63
	ds_bpermute_b32 v69, v50, v43
	ds_bpermute_b32 v67, v50, v66
	v_and_b32_e32 v84, vcc_lo, v24
	v_ffbl_b32_e32 v63, v63
	v_add_u32_e32 v63, 32, v63
	v_ffbl_b32_e32 v84, v84
	v_min_u32_e32 v63, v84, v63
	v_cmp_lt_u32_e32 vcc, v49, v63
	s_and_saveexec_b64 s[34:35], vcc
	s_cbranch_execz .LBB679_127
; %bb.126:                              ;   in Loop: Header=BB679_120 Depth=1
	v_cmp_eq_u16_sdwa vcc, v62, v19 src0_sel:BYTE_0 src1_sel:DWORD
	s_waitcnt lgkmcnt(0)
	v_or_b32_e32 v66, v67, v62
	v_and_b32_e32 v62, 1, v66
	v_cndmask_b32_e32 v69, 0, v69, vcc
	v_cndmask_b32_e32 v68, 0, v68, vcc
	v_lshl_add_u64 v[42:43], v[68:69], 0, v[42:43]
	v_and_b32_e32 v66, 1, v66
.LBB679_127:                            ;   in Loop: Header=BB679_120 Depth=1
	s_or_b64 exec, exec, s[34:35]
	s_waitcnt lgkmcnt(2)
	ds_bpermute_b32 v68, v51, v42
	s_waitcnt lgkmcnt(2)
	ds_bpermute_b32 v69, v51, v43
	;; [unrolled: 2-line block ×3, first 2 shown]
	v_and_b32_e32 v84, 1, v62
	v_cmp_le_u32_e32 vcc, v52, v63
	v_cmp_eq_u32_e64 s[52:53], 1, v84
	s_and_saveexec_b64 s[34:35], vcc
	s_cbranch_execz .LBB679_129
; %bb.128:                              ;   in Loop: Header=BB679_120 Depth=1
	v_cmp_eq_u16_sdwa vcc, v62, v19 src0_sel:BYTE_0 src1_sel:DWORD
	s_waitcnt lgkmcnt(0)
	v_and_b32_e32 v62, 1, v67
	v_cndmask_b32_e32 v69, 0, v69, vcc
	v_cndmask_b32_e32 v68, 0, v68, vcc
	v_cmp_eq_u32_e32 vcc, 1, v62
	s_or_b64 s[58:59], s[52:53], vcc
	v_cndmask_b32_e64 v62, 0, 1, s[58:59]
	v_cndmask_b32_e64 v66, 0, 1, s[58:59]
	s_andn2_b64 s[52:53], s[52:53], exec
	s_and_b64 s[58:59], s[58:59], exec
	v_lshl_add_u64 v[42:43], v[68:69], 0, v[42:43]
	s_or_b64 s[52:53], s[52:53], s[58:59]
.LBB679_129:                            ;   in Loop: Header=BB679_120 Depth=1
	s_or_b64 exec, exec, s[34:35]
	s_waitcnt lgkmcnt(2)
	ds_bpermute_b32 v68, v53, v42
	s_waitcnt lgkmcnt(2)
	ds_bpermute_b32 v69, v53, v43
	s_waitcnt lgkmcnt(2)
	ds_bpermute_b32 v67, v53, v66
	v_cmp_le_u32_e32 vcc, v54, v63
	s_and_saveexec_b64 s[58:59], vcc
	s_cbranch_execz .LBB679_131
; %bb.130:                              ;   in Loop: Header=BB679_120 Depth=1
	v_cmp_eq_u16_sdwa vcc, v62, v19 src0_sel:BYTE_0 src1_sel:DWORD
	v_and_b32_e32 v62, 1, v62
	s_andn2_b64 s[52:53], s[52:53], exec
	s_waitcnt lgkmcnt(1)
	v_cndmask_b32_e32 v69, 0, v69, vcc
	v_cndmask_b32_e32 v68, 0, v68, vcc
	v_cmp_eq_u32_e32 vcc, 1, v62
	s_waitcnt lgkmcnt(0)
	v_and_b32_e32 v62, 1, v67
	v_cmp_eq_u32_e64 s[34:35], 1, v62
	s_or_b64 s[34:35], vcc, s[34:35]
	v_lshl_add_u64 v[42:43], v[68:69], 0, v[42:43]
	v_cndmask_b32_e64 v62, 0, 1, s[34:35]
	v_cndmask_b32_e64 v66, 0, 1, s[34:35]
	s_and_b64 s[34:35], s[34:35], exec
	s_or_b64 s[52:53], s[52:53], s[34:35]
.LBB679_131:                            ;   in Loop: Header=BB679_120 Depth=1
	s_or_b64 exec, exec, s[58:59]
	s_waitcnt lgkmcnt(2)
	ds_bpermute_b32 v68, v55, v42
	s_waitcnt lgkmcnt(2)
	ds_bpermute_b32 v69, v55, v43
	s_waitcnt lgkmcnt(2)
	ds_bpermute_b32 v67, v55, v66
	v_cmp_le_u32_e32 vcc, v56, v63
	s_and_saveexec_b64 s[58:59], vcc
	s_cbranch_execz .LBB679_133
; %bb.132:                              ;   in Loop: Header=BB679_120 Depth=1
	v_cmp_eq_u16_sdwa vcc, v62, v19 src0_sel:BYTE_0 src1_sel:DWORD
	v_and_b32_e32 v62, 1, v62
	s_andn2_b64 s[52:53], s[52:53], exec
	s_waitcnt lgkmcnt(1)
	v_cndmask_b32_e32 v69, 0, v69, vcc
	v_cndmask_b32_e32 v68, 0, v68, vcc
	v_cmp_eq_u32_e32 vcc, 1, v62
	s_waitcnt lgkmcnt(0)
	v_and_b32_e32 v62, 1, v67
	v_cmp_eq_u32_e64 s[34:35], 1, v62
	s_or_b64 s[34:35], vcc, s[34:35]
	v_lshl_add_u64 v[42:43], v[68:69], 0, v[42:43]
	v_cndmask_b32_e64 v62, 0, 1, s[34:35]
	v_cndmask_b32_e64 v66, 0, 1, s[34:35]
	s_and_b64 s[34:35], s[34:35], exec
	s_or_b64 s[52:53], s[52:53], s[34:35]
.LBB679_133:                            ;   in Loop: Header=BB679_120 Depth=1
	;; [unrolled: 28-line block ×3, first 2 shown]
	s_or_b64 exec, exec, s[58:59]
	s_waitcnt lgkmcnt(0)
	ds_bpermute_b32 v67, v59, v42
	ds_bpermute_b32 v68, v59, v43
	;; [unrolled: 1-line block ×3, first 2 shown]
	v_cmp_le_u32_e32 vcc, v60, v63
	s_and_saveexec_b64 s[58:59], vcc
	s_cbranch_execz .LBB679_119
; %bb.136:                              ;   in Loop: Header=BB679_120 Depth=1
	v_cmp_eq_u16_sdwa vcc, v62, v19 src0_sel:BYTE_0 src1_sel:DWORD
	v_and_b32_e32 v62, 1, v62
	s_andn2_b64 s[52:53], s[52:53], exec
	s_waitcnt lgkmcnt(1)
	v_cndmask_b32_e32 v69, 0, v68, vcc
	v_cndmask_b32_e32 v68, 0, v67, vcc
	v_cmp_eq_u32_e32 vcc, 1, v62
	s_waitcnt lgkmcnt(0)
	v_and_b32_e32 v62, 1, v66
	v_cmp_eq_u32_e64 s[34:35], 1, v62
	s_or_b64 s[34:35], vcc, s[34:35]
	s_and_b64 s[34:35], s[34:35], exec
	v_lshl_add_u64 v[42:43], v[68:69], 0, v[42:43]
	s_or_b64 s[52:53], s[52:53], s[34:35]
	s_branch .LBB679_119
.LBB679_137:                            ;   in Loop: Header=BB679_120 Depth=1
                                        ; implicit-def: $vgpr62
                                        ; implicit-def: $vgpr42_vgpr43
                                        ; implicit-def: $vgpr39
	s_cbranch_execz .LBB679_120
; %bb.138:
	s_and_saveexec_b64 s[34:35], s[28:29]
	s_cbranch_execz .LBB679_140
; %bb.139:
	s_mov_b32 s3, 0
	v_mov_b32_e32 v24, 0
	s_add_i32 s2, s2, 64
	v_cmp_eq_u32_sdwa vcc, v38, v24 src0_sel:BYTE_0 src1_sel:DWORD
	s_lshl_b64 s[36:37], s[2:3], 4
	v_and_b32_e32 v25, 1, v38
	v_cndmask_b32_e32 v19, 0, v41, vcc
	v_cndmask_b32_e32 v18, 0, v40, vcc
	s_add_u32 s36, s38, s36
	v_lshl_add_u64 v[18:19], v[18:19], 0, v[36:37]
	v_and_b32_e32 v36, 1, v48
	v_cmp_eq_u32_e32 vcc, 1, v25
	s_addc_u32 s37, s39, s37
	s_nop 0
	v_cndmask_b32_e64 v25, v36, 1, vcc
	global_store_dword v24, v18, s[36:37] sc1
	global_store_dword v24, v19, s[36:37] offset:4 sc1
	global_store_dword v24, v25, s[36:37] offset:8 sc1
	global_store_dword v24, v24, s[36:37] offset:12 sc1
	v_mov_b32_e32 v18, s2
	v_mov_b32_e32 v19, 2
	s_waitcnt vmcnt(0) lgkmcnt(0)
	global_store_byte v18, v19, s[40:41] sc1
.LBB679_140:
	s_or_b64 exec, exec, s[34:35]
	v_cmp_eq_u32_e32 vcc, 0, v0
	s_and_b64 exec, exec, vcc
	s_cbranch_execz .LBB679_142
; %bb.141:
	v_mov_b32_e32 v18, 0
	ds_write_b64 v18, v[40:41] offset:48
	ds_write_b8 v18, v48 offset:56
.LBB679_142:
	s_or_b64 exec, exec, s[48:49]
	s_waitcnt lgkmcnt(0)
	v_cndmask_b32_e64 v18, v47, v44, s[28:29]
	v_mov_b32_e32 v25, 0
	v_cndmask_b32_e64 v19, v46, v13, s[28:29]
	v_cndmask_b32_e64 v24, v45, v12, s[28:29]
	v_cmp_eq_u16_sdwa vcc, v1, v25 src0_sel:BYTE_0 src1_sel:DWORD
	v_and_b32_e32 v36, 1, v1
	v_and_b32_e32 v18, 1, v18
	s_barrier
	ds_read_b64 v[12:13], v25 offset:48
	v_cndmask_b32_e32 v24, 0, v24, vcc
	v_cndmask_b32_e32 v19, 0, v19, vcc
	v_cmp_eq_u32_e32 vcc, 1, v36
	v_cmp_eq_u32_e64 s[2:3], 1, v18
	s_or_b64 s[2:3], vcc, s[2:3]
	v_cmp_eq_u32_e32 vcc, 0, v0
	v_cndmask_b32_e64 v18, 0, 1, s[2:3]
	s_nop 0
	v_cndmask_b32_e32 v36, v18, v1, vcc
	v_cndmask_b32_e64 v19, v19, 0, vcc
	v_cndmask_b32_e64 v18, v24, 0, vcc
	v_cmp_eq_u16_sdwa vcc, v36, v25 src0_sel:BYTE_0 src1_sel:DWORD
	v_lshl_add_u64 v[18:19], v[18:19], 0, v[2:3]
	s_waitcnt lgkmcnt(0)
	v_cndmask_b32_e32 v13, 0, v13, vcc
	v_cndmask_b32_e32 v12, 0, v12, vcc
	v_lshl_add_u64 v[36:37], v[18:19], 0, v[12:13]
	v_cndmask_b32_e64 v13, 0, v37, s[30:31]
	v_cndmask_b32_e64 v12, 0, v36, s[30:31]
	v_lshl_add_u64 v[38:39], v[12:13], 0, v[4:5]
	v_cndmask_b32_e64 v13, 0, v39, s[4:5]
	v_cndmask_b32_e64 v12, 0, v38, s[4:5]
	;; [unrolled: 3-line block ×13, first 2 shown]
	v_lshl_add_u64 v[62:63], v[12:13], 0, v[6:7]
	s_branch .LBB679_185
.LBB679_143:
	s_or_b64 exec, exec, s[48:49]
                                        ; implicit-def: $vgpr30_vgpr31
	s_and_saveexec_b64 s[48:49], s[28:29]
	s_cbranch_execz .LBB679_31
.LBB679_144:
	v_mov_b32_e32 v29, 0
	v_lshl_add_u64 v[30:31], s[30:31], 0, v[28:29]
	flat_load_dwordx2 v[30:31], v[30:31] offset:2048
	s_or_b64 exec, exec, s[48:49]
                                        ; implicit-def: $vgpr32_vgpr33
	s_and_saveexec_b64 s[28:29], s[4:5]
	s_cbranch_execnz .LBB679_32
.LBB679_145:
	s_or_b64 exec, exec, s[28:29]
                                        ; implicit-def: $vgpr2_vgpr3
	s_and_saveexec_b64 s[4:5], s[6:7]
	s_cbranch_execz .LBB679_33
.LBB679_146:
	v_mov_b32_e32 v5, 0
	v_lshl_add_u64 v[2:3], s[30:31], 0, v[4:5]
	flat_load_dwordx2 v[2:3], v[2:3]
	s_or_b64 exec, exec, s[4:5]
                                        ; implicit-def: $vgpr4_vgpr5
	s_and_saveexec_b64 s[4:5], s[8:9]
	s_cbranch_execnz .LBB679_34
.LBB679_147:
	s_or_b64 exec, exec, s[4:5]
                                        ; implicit-def: $vgpr6_vgpr7
	s_and_saveexec_b64 s[4:5], s[10:11]
	s_cbranch_execz .LBB679_35
.LBB679_148:
	v_mov_b32_e32 v9, 0
	v_lshl_add_u64 v[6:7], s[30:31], 0, v[8:9]
	flat_load_dwordx2 v[6:7], v[6:7]
	s_or_b64 exec, exec, s[4:5]
                                        ; implicit-def: $vgpr8_vgpr9
	s_and_saveexec_b64 s[4:5], s[12:13]
	s_cbranch_execnz .LBB679_36
.LBB679_149:
	s_or_b64 exec, exec, s[4:5]
                                        ; implicit-def: $vgpr10_vgpr11
	s_and_saveexec_b64 s[4:5], s[14:15]
	s_cbranch_execz .LBB679_37
.LBB679_150:
	v_mov_b32_e32 v13, 0
	v_lshl_add_u64 v[10:11], s[30:31], 0, v[12:13]
	flat_load_dwordx2 v[10:11], v[10:11]
	s_or_b64 exec, exec, s[4:5]
                                        ; implicit-def: $vgpr12_vgpr13
	s_and_saveexec_b64 s[4:5], s[16:17]
	s_cbranch_execnz .LBB679_38
.LBB679_151:
	s_or_b64 exec, exec, s[4:5]
                                        ; implicit-def: $vgpr14_vgpr15
	s_and_saveexec_b64 s[4:5], s[18:19]
	s_cbranch_execz .LBB679_39
.LBB679_152:
	v_mov_b32_e32 v17, 0
	v_lshl_add_u64 v[14:15], s[30:31], 0, v[16:17]
	flat_load_dwordx2 v[14:15], v[14:15]
	s_or_b64 exec, exec, s[4:5]
                                        ; implicit-def: $vgpr16_vgpr17
	s_and_saveexec_b64 s[4:5], s[20:21]
	s_cbranch_execnz .LBB679_40
.LBB679_153:
	s_or_b64 exec, exec, s[4:5]
                                        ; implicit-def: $vgpr18_vgpr19
	s_and_saveexec_b64 s[4:5], s[22:23]
	s_cbranch_execz .LBB679_41
.LBB679_154:
	v_mov_b32_e32 v21, 0
	v_lshl_add_u64 v[18:19], s[30:31], 0, v[20:21]
	flat_load_dwordx2 v[18:19], v[18:19]
	s_or_b64 exec, exec, s[4:5]
                                        ; implicit-def: $vgpr20_vgpr21
	s_and_saveexec_b64 s[4:5], s[24:25]
	s_cbranch_execz .LBB679_43
	s_branch .LBB679_42
.LBB679_155:
                                        ; implicit-def: $vgpr62_vgpr63
                                        ; implicit-def: $vgpr58_vgpr59
                                        ; implicit-def: $vgpr54_vgpr55
                                        ; implicit-def: $vgpr50_vgpr51
                                        ; implicit-def: $vgpr46_vgpr47
                                        ; implicit-def: $vgpr42_vgpr43
                                        ; implicit-def: $vgpr38_vgpr39
	s_cbranch_execz .LBB679_185
; %bb.156:
	s_cmp_lg_u64 s[56:57], 0
	s_cselect_b32 s5, s55, 0
	s_cselect_b32 s4, s54, 0
	s_cmp_lg_u64 s[4:5], 0
	s_cselect_b64 s[6:7], -1, 0
	v_cmp_eq_u32_e32 vcc, 0, v0
	v_cmp_ne_u32_e64 s[2:3], 0, v0
	s_and_b64 s[8:9], vcc, s[6:7]
	s_and_saveexec_b64 s[6:7], s[8:9]
	s_cbranch_execz .LBB679_158
; %bb.157:
	v_mov_b32_e32 v18, 0
	global_load_dwordx2 v[12:13], v18, s[4:5]
	global_load_ubyte v19, v18, s[4:5] offset:8
	v_cmp_eq_u16_sdwa s[4:5], v1, v18 src0_sel:BYTE_0 src1_sel:DWORD
	s_waitcnt vmcnt(0)
	v_or_b32_e32 v1, v1, v19
	v_cndmask_b32_e64 v13, 0, v13, s[4:5]
	v_cndmask_b32_e64 v12, 0, v12, s[4:5]
	v_lshl_add_u64 v[2:3], v[12:13], 0, v[2:3]
	v_and_b32_e32 v1, 1, v1
.LBB679_158:
	s_or_b64 exec, exec, s[6:7]
	v_mov_b32_e32 v19, 0
	v_cmp_eq_u16_sdwa s[4:5], v72, v19 src0_sel:BYTE_0 src1_sel:DWORD
	v_cmp_eq_u16_sdwa s[6:7], v74, v19 src0_sel:BYTE_0 src1_sel:DWORD
	v_cmp_eq_u16_sdwa s[8:9], v75, v19 src0_sel:BYTE_0 src1_sel:DWORD
	v_cndmask_b32_e64 v13, 0, v3, s[4:5]
	v_cndmask_b32_e64 v12, 0, v2, s[4:5]
	v_lshl_add_u64 v[38:39], v[12:13], 0, v[4:5]
	v_cndmask_b32_e64 v13, 0, v39, s[6:7]
	v_cndmask_b32_e64 v12, 0, v38, s[6:7]
	v_lshl_add_u64 v[40:41], v[12:13], 0, v[8:9]
	v_cndmask_b32_e64 v13, 0, v41, s[8:9]
	v_cndmask_b32_e64 v12, 0, v40, s[8:9]
	v_lshl_add_u64 v[42:43], v[12:13], 0, v[10:11]
	v_cmp_eq_u16_sdwa s[10:11], v76, v19 src0_sel:BYTE_0 src1_sel:DWORD
	v_cmp_eq_u16_sdwa s[12:13], v77, v19 src0_sel:BYTE_0 src1_sel:DWORD
	v_cmp_eq_u16_sdwa s[14:15], v78, v19 src0_sel:BYTE_0 src1_sel:DWORD
	v_cndmask_b32_e64 v13, 0, v43, s[10:11]
	v_cndmask_b32_e64 v12, 0, v42, s[10:11]
	v_lshl_add_u64 v[44:45], v[12:13], 0, v[14:15]
	v_cndmask_b32_e64 v13, 0, v45, s[12:13]
	v_cndmask_b32_e64 v12, 0, v44, s[12:13]
	v_lshl_add_u64 v[46:47], v[12:13], 0, v[16:17]
	v_cndmask_b32_e64 v13, 0, v47, s[14:15]
	v_cndmask_b32_e64 v12, 0, v46, s[14:15]
	v_lshl_add_u64 v[48:49], v[12:13], 0, v[20:21]
	;; [unrolled: 12-line block ×4, first 2 shown]
	v_cmp_eq_u16_sdwa s[28:29], v31, v19 src0_sel:BYTE_0 src1_sel:DWORD
	v_and_b32_e32 v18, 0xff, v1
	v_mbcnt_hi_u32_b32 v24, -1, v64
	v_cndmask_b32_e64 v13, 0, v61, s[28:29]
	v_cndmask_b32_e64 v12, 0, v60, s[28:29]
	v_lshl_add_u64 v[62:63], v[12:13], 0, v[6:7]
	v_or_b32_e32 v12, v65, v82
	v_or_b32_e32 v12, v12, v81
	;; [unrolled: 1-line block ×10, first 2 shown]
	v_and_b32_e32 v12, 1, v12
	v_cmp_eq_u32_e64 s[30:31], 1, v12
	v_and_b32_e32 v31, 15, v24
	v_mov_b32_dpp v37, v62 row_shr:1 row_mask:0xf bank_mask:0xf
	v_cndmask_b32_e64 v25, v18, 1, s[30:31]
	v_mov_b32_dpp v64, v63 row_shr:1 row_mask:0xf bank_mask:0xf
	v_cmp_ne_u32_e64 s[30:31], 0, v31
	v_mov_b32_dpp v36, v25 row_shr:1 row_mask:0xf bank_mask:0xf
	v_mov_b64_e32 v[12:13], v[62:63]
	v_mov_b32_e32 v19, v63
	v_mov_b32_e32 v18, v62
	s_and_saveexec_b64 s[34:35], s[30:31]
; %bb.159:
	v_cmp_eq_u32_e64 s[30:31], 0, v25
	v_and_or_b32 v25, v36, 1, v25
	s_nop 0
	v_cndmask_b32_e64 v13, 0, v64, s[30:31]
	v_cndmask_b32_e64 v12, 0, v37, s[30:31]
	v_lshl_add_u64 v[12:13], v[62:63], 0, v[12:13]
	v_mov_b32_e32 v19, v13
	v_mov_b32_e32 v18, v12
; %bb.160:
	s_or_b64 exec, exec, s[34:35]
	s_nop 0
	v_mov_b32_dpp v37, v18 row_shr:2 row_mask:0xf bank_mask:0xf
	v_mov_b32_dpp v64, v19 row_shr:2 row_mask:0xf bank_mask:0xf
	v_mov_b32_dpp v36, v25 row_shr:2 row_mask:0xf bank_mask:0xf
	v_cmp_lt_u32_e64 s[30:31], 1, v31
	s_and_saveexec_b64 s[34:35], s[30:31]
; %bb.161:
	v_cmp_eq_u32_e64 s[30:31], 0, v25
	s_nop 1
	v_cndmask_b32_e64 v19, 0, v64, s[30:31]
	v_cndmask_b32_e64 v18, 0, v37, s[30:31]
	v_lshl_add_u64 v[18:19], v[18:19], 0, v[12:13]
	v_or_b32_e32 v12, v36, v25
	v_and_b32_e32 v25, 1, v12
	v_mov_b64_e32 v[12:13], v[18:19]
; %bb.162:
	s_or_b64 exec, exec, s[34:35]
	v_mov_b32_dpp v37, v18 row_shr:4 row_mask:0xf bank_mask:0xf
	v_mov_b32_dpp v64, v19 row_shr:4 row_mask:0xf bank_mask:0xf
	v_mov_b32_dpp v36, v25 row_shr:4 row_mask:0xf bank_mask:0xf
	v_cmp_lt_u32_e64 s[30:31], 3, v31
	s_and_saveexec_b64 s[34:35], s[30:31]
; %bb.163:
	v_cmp_eq_u32_e64 s[30:31], 0, v25
	s_nop 1
	v_cndmask_b32_e64 v19, 0, v64, s[30:31]
	v_cndmask_b32_e64 v18, 0, v37, s[30:31]
	v_lshl_add_u64 v[18:19], v[18:19], 0, v[12:13]
	v_or_b32_e32 v12, v36, v25
	v_and_b32_e32 v25, 1, v12
	v_mov_b64_e32 v[12:13], v[18:19]
; %bb.164:
	s_or_b64 exec, exec, s[34:35]
	;; [unrolled: 16-line block ×3, first 2 shown]
	v_and_b32_e32 v64, 16, v24
	v_mov_b32_dpp v36, v18 row_bcast:15 row_mask:0xf bank_mask:0xf
	v_mov_b32_dpp v37, v19 row_bcast:15 row_mask:0xf bank_mask:0xf
	;; [unrolled: 1-line block ×3, first 2 shown]
	v_cmp_ne_u32_e64 s[30:31], 0, v64
	s_and_saveexec_b64 s[34:35], s[30:31]
; %bb.167:
	v_cmp_eq_u32_e64 s[30:31], 0, v25
	s_nop 1
	v_cndmask_b32_e64 v19, 0, v37, s[30:31]
	v_cndmask_b32_e64 v18, 0, v36, s[30:31]
	v_lshl_add_u64 v[12:13], v[18:19], 0, v[12:13]
	v_or_b32_e32 v18, v31, v25
	v_and_b32_e32 v25, 1, v18
	v_mov_b32_e32 v19, v13
	v_mov_b32_e32 v18, v12
; %bb.168:
	s_or_b64 exec, exec, s[34:35]
	s_nop 0
	v_mov_b32_dpp v31, v18 row_bcast:31 row_mask:0xf bank_mask:0xf
	v_mov_b32_dpp v36, v19 row_bcast:31 row_mask:0xf bank_mask:0xf
	;; [unrolled: 1-line block ×3, first 2 shown]
	v_cmp_lt_u32_e64 s[30:31], 31, v24
	v_mov_b32_e32 v18, v25
	s_and_saveexec_b64 s[34:35], s[30:31]
; %bb.169:
	v_cmp_eq_u32_e64 s[30:31], 0, v25
	v_or_b32_e32 v19, v19, v25
	v_and_b32_e32 v18, 1, v19
	v_cndmask_b32_e64 v37, 0, v36, s[30:31]
	v_cndmask_b32_e64 v36, 0, v31, s[30:31]
	v_lshl_add_u64 v[12:13], v[36:37], 0, v[12:13]
	v_and_b32_e32 v25, 1, v19
; %bb.170:
	s_or_b64 exec, exec, s[34:35]
	v_or_b32_e32 v19, 63, v0
	v_lshrrev_b32_e32 v31, 6, v0
	v_cmp_eq_u32_e64 s[30:31], v19, v0
	s_and_saveexec_b64 s[34:35], s[30:31]
	s_cbranch_execz .LBB679_172
; %bb.171:
	v_lshlrev_b32_e32 v19, 4, v31
	ds_write_b64 v19, v[12:13]
	ds_write_b8 v19, v18 offset:8
.LBB679_172:
	s_or_b64 exec, exec, s[34:35]
	v_cmp_gt_u32_e64 s[30:31], 4, v0
	s_waitcnt lgkmcnt(0)
	s_barrier
	s_and_saveexec_b64 s[36:37], s[30:31]
	s_cbranch_execz .LBB679_178
; %bb.173:
	v_lshlrev_b32_e32 v36, 4, v0
	ds_read_b64 v[18:19], v36
	ds_read_b32 v37, v36 offset:8
	v_and_b32_e32 v64, 3, v24
	v_cmp_ne_u32_e64 s[30:31], 0, v64
	s_waitcnt lgkmcnt(1)
	v_mov_b32_dpp v68, v18 row_shr:1 row_mask:0xf bank_mask:0xf
	v_mov_b32_dpp v69, v19 row_shr:1 row_mask:0xf bank_mask:0xf
	s_waitcnt lgkmcnt(0)
	v_mov_b32_dpp v67, v37 row_shr:1 row_mask:0xf bank_mask:0xf
	v_mov_b32_e32 v65, v37
	v_mov_b32_e32 v66, v37
	s_and_saveexec_b64 s[34:35], s[30:31]
; %bb.174:
	v_mov_b32_e32 v65, 0
	v_cmp_eq_u16_sdwa s[30:31], v37, v65 src0_sel:BYTE_0 src1_sel:DWORD
	v_or_b32_e32 v66, v67, v37
	v_and_b32_e32 v65, 1, v66
	v_cndmask_b32_e64 v69, 0, v69, s[30:31]
	v_cndmask_b32_e64 v68, 0, v68, s[30:31]
	v_and_b32_e32 v66, 1, v66
	s_movk_i32 s30, 0xff00
	v_lshl_add_u64 v[18:19], v[68:69], 0, v[18:19]
	v_and_or_b32 v37, v37, s30, v66
; %bb.175:
	s_or_b64 exec, exec, s[34:35]
	v_mov_b32_dpp v67, v18 row_shr:2 row_mask:0xf bank_mask:0xf
	v_mov_b32_dpp v68, v19 row_shr:2 row_mask:0xf bank_mask:0xf
	v_mov_b32_dpp v37, v37 row_shr:2 row_mask:0xf bank_mask:0xf
	v_cmp_lt_u32_e64 s[30:31], 1, v64
	s_and_saveexec_b64 s[48:49], s[30:31]
; %bb.176:
	v_mov_b32_e32 v64, 0
	v_cmp_eq_u16_sdwa s[30:31], v66, v64 src0_sel:BYTE_0 src1_sel:DWORD
	v_and_b32_e32 v37, 1, v37
	v_cmp_eq_u32_e64 s[34:35], 1, v37
	v_cndmask_b32_e64 v65, 0, v68, s[30:31]
	v_cndmask_b32_e64 v64, 0, v67, s[30:31]
	v_lshl_add_u64 v[18:19], v[64:65], 0, v[18:19]
	v_and_b32_e32 v64, 1, v66
	v_cmp_eq_u32_e64 s[30:31], 1, v64
	s_or_b64 s[30:31], s[30:31], s[34:35]
	s_nop 0
	v_cndmask_b32_e64 v65, 0, 1, s[30:31]
; %bb.177:
	s_or_b64 exec, exec, s[48:49]
	ds_write_b64 v36, v[18:19]
	ds_write_b8 v36, v65 offset:8
.LBB679_178:
	s_or_b64 exec, exec, s[36:37]
	v_cmp_lt_u32_e64 s[30:31], 63, v0
	v_mov_b64_e32 v[18:19], 0
	s_waitcnt lgkmcnt(0)
	s_barrier
	s_and_saveexec_b64 s[34:35], s[30:31]
	s_cbranch_execz .LBB679_180
; %bb.179:
	v_lshl_add_u32 v18, v31, 4, -16
	ds_read_b64 v[18:19], v18
	v_cmp_eq_u32_e64 s[30:31], 0, v25
	s_waitcnt lgkmcnt(0)
	s_nop 0
	v_cndmask_b32_e64 v37, 0, v19, s[30:31]
	v_cndmask_b32_e64 v36, 0, v18, s[30:31]
	v_lshl_add_u64 v[12:13], v[36:37], 0, v[12:13]
.LBB679_180:
	s_or_b64 exec, exec, s[34:35]
	v_add_u32_e32 v25, -1, v24
	v_and_b32_e32 v31, 64, v24
	v_cmp_lt_i32_e64 s[30:31], v25, v31
	s_nop 1
	v_cndmask_b32_e64 v25, v25, v24, s[30:31]
	v_lshlrev_b32_e32 v25, 2, v25
	ds_bpermute_b32 v12, v25, v12
	ds_bpermute_b32 v13, v25, v13
	s_and_saveexec_b64 s[30:31], s[2:3]
	s_cbranch_execz .LBB679_182
; %bb.181:
	v_cmp_eq_u32_e64 s[2:3], 0, v24
	;;#ASMSTART
	;;#ASMEND
	s_waitcnt lgkmcnt(1)
	s_nop 0
	v_cndmask_b32_e64 v12, v12, v18, s[2:3]
	v_mov_b32_e32 v18, 0
	s_waitcnt lgkmcnt(0)
	v_cndmask_b32_e64 v13, v13, v19, s[2:3]
	v_cmp_eq_u16_sdwa s[2:3], v1, v18 src0_sel:BYTE_0 src1_sel:DWORD
	s_nop 1
	v_cndmask_b32_e64 v13, 0, v13, s[2:3]
	v_cndmask_b32_e64 v12, 0, v12, s[2:3]
	v_lshl_add_u64 v[2:3], v[12:13], 0, v[2:3]
	v_cndmask_b32_e64 v13, 0, v3, s[4:5]
	v_cndmask_b32_e64 v12, 0, v2, s[4:5]
	v_lshl_add_u64 v[38:39], v[12:13], 0, v[4:5]
	;; [unrolled: 3-line block ×14, first 2 shown]
.LBB679_182:
	s_or_b64 exec, exec, s[30:31]
	s_and_saveexec_b64 s[2:3], vcc
	s_cbranch_execz .LBB679_184
; %bb.183:
	v_mov_b32_e32 v1, 0
	ds_read_b64 v[4:5], v1 offset:48
	ds_read_u8 v6, v1 offset:56
	s_waitcnt lgkmcnt(1)
	global_store_dword v1, v4, s[38:39] offset:1024 sc1
	global_store_dword v1, v5, s[38:39] offset:1028 sc1
	s_waitcnt lgkmcnt(0)
	global_store_dword v1, v6, s[38:39] offset:1032 sc1
	global_store_dword v1, v1, s[38:39] offset:1036 sc1
	v_mov_b32_e32 v4, 2
	s_waitcnt vmcnt(0)
	global_store_byte v1, v4, s[40:41] offset:64 sc1
.LBB679_184:
	s_or_b64 exec, exec, s[2:3]
	v_mov_b64_e32 v[36:37], v[2:3]
.LBB679_185:
	s_add_u32 s2, s50, s46
	s_addc_u32 s3, s51, s47
	s_add_u32 s2, s2, s44
	v_mul_u32_u24_e32 v1, 14, v0
	s_addc_u32 s3, s3, s45
	s_and_b64 vcc, exec, s[0:1]
	v_lshlrev_b32_e32 v32, 3, v1
	s_cbranch_vccz .LBB679_213
; %bb.186:
	s_movk_i32 s0, 0xff98
	v_mad_i32_i24 v1, v0, s0, v32
	s_waitcnt lgkmcnt(0)
	s_barrier
	ds_write_b128 v32, v[36:39]
	ds_write_b128 v32, v[40:43] offset:16
	ds_write_b128 v32, v[44:47] offset:32
	;; [unrolled: 1-line block ×6, first 2 shown]
	s_waitcnt lgkmcnt(0)
	s_barrier
	ds_read2st64_b64 v[26:29], v1 offset0:4 offset1:8
	ds_read2st64_b64 v[22:25], v1 offset0:12 offset1:16
	;; [unrolled: 1-line block ×6, first 2 shown]
	ds_read_b64 v[4:5], v1 offset:26624
	s_add_i32 s33, s33, s42
	v_mov_b32_e32 v31, 0
	v_lshl_add_u64 v[2:3], s[2:3], 0, v[30:31]
	v_cmp_gt_u32_e32 vcc, s33, v0
	s_and_saveexec_b64 s[0:1], vcc
	s_cbranch_execz .LBB679_188
; %bb.187:
	v_mul_i32_i24_e32 v1, 0xffffff98, v0
	v_add_u32_e32 v1, v32, v1
	ds_read_b64 v[34:35], v1
	s_waitcnt lgkmcnt(0)
	flat_store_dwordx2 v[2:3], v[34:35]
.LBB679_188:
	s_or_b64 exec, exec, s[0:1]
	v_or_b32_e32 v1, 0x100, v0
	v_cmp_gt_u32_e32 vcc, s33, v1
	s_and_saveexec_b64 s[0:1], vcc
	s_cbranch_execz .LBB679_190
; %bb.189:
	s_waitcnt lgkmcnt(0)
	flat_store_dwordx2 v[2:3], v[26:27] offset:2048
.LBB679_190:
	s_or_b64 exec, exec, s[0:1]
	v_or_b32_e32 v1, 0x200, v0
	v_cmp_gt_u32_e32 vcc, s33, v1
	s_and_saveexec_b64 s[0:1], vcc
	s_cbranch_execz .LBB679_192
; %bb.191:
	s_waitcnt lgkmcnt(0)
	v_add_co_u32_e32 v26, vcc, 0x1000, v2
	s_nop 1
	v_addc_co_u32_e32 v27, vcc, 0, v3, vcc
	flat_store_dwordx2 v[26:27], v[28:29]
.LBB679_192:
	s_or_b64 exec, exec, s[0:1]
	v_or_b32_e32 v1, 0x300, v0
	v_cmp_gt_u32_e32 vcc, s33, v1
	s_and_saveexec_b64 s[0:1], vcc
	s_cbranch_execz .LBB679_194
; %bb.193:
	s_waitcnt lgkmcnt(0)
	v_add_co_u32_e32 v26, vcc, 0x1000, v2
	s_nop 1
	v_addc_co_u32_e32 v27, vcc, 0, v3, vcc
	flat_store_dwordx2 v[26:27], v[22:23] offset:2048
.LBB679_194:
	s_or_b64 exec, exec, s[0:1]
	v_or_b32_e32 v1, 0x400, v0
	v_cmp_gt_u32_e32 vcc, s33, v1
	s_and_saveexec_b64 s[0:1], vcc
	s_cbranch_execz .LBB679_196
; %bb.195:
	s_waitcnt lgkmcnt(0)
	v_add_co_u32_e32 v22, vcc, 0x2000, v2
	s_nop 1
	v_addc_co_u32_e32 v23, vcc, 0, v3, vcc
	flat_store_dwordx2 v[22:23], v[24:25]
.LBB679_196:
	s_or_b64 exec, exec, s[0:1]
	v_or_b32_e32 v1, 0x500, v0
	v_cmp_gt_u32_e32 vcc, s33, v1
	s_and_saveexec_b64 s[0:1], vcc
	s_cbranch_execz .LBB679_198
; %bb.197:
	s_waitcnt lgkmcnt(0)
	v_add_co_u32_e32 v22, vcc, 0x2000, v2
	s_nop 1
	v_addc_co_u32_e32 v23, vcc, 0, v3, vcc
	flat_store_dwordx2 v[22:23], v[18:19] offset:2048
.LBB679_198:
	;; [unrolled: 24-line block ×5, first 2 shown]
	s_or_b64 exec, exec, s[0:1]
	v_or_b32_e32 v1, 0xc00, v0
	v_cmp_gt_u32_e32 vcc, s33, v1
	s_and_saveexec_b64 s[0:1], vcc
	s_cbranch_execz .LBB679_212
; %bb.211:
	v_add_co_u32_e32 v2, vcc, 0x6000, v2
	s_nop 1
	v_addc_co_u32_e32 v3, vcc, 0, v3, vcc
	s_waitcnt lgkmcnt(0)
	flat_store_dwordx2 v[2:3], v[8:9]
.LBB679_212:
	s_or_b64 exec, exec, s[0:1]
	v_or_b32_e32 v2, 0xd00, v0
	v_mov_b32_e32 v1, v31
	v_cmp_gt_u32_e64 s[0:1], s33, v2
	s_branch .LBB679_215
.LBB679_213:
	s_mov_b64 s[0:1], 0
                                        ; implicit-def: $vgpr4_vgpr5
	s_cbranch_execz .LBB679_215
; %bb.214:
	v_mov_b32_e32 v1, 0
	s_movk_i32 s4, 0xff98
	v_mad_i32_i24 v2, v0, s4, v32
	v_mov_b32_e32 v31, v1
	s_waitcnt lgkmcnt(0)
	s_barrier
	ds_write_b128 v32, v[36:39]
	ds_write_b128 v32, v[40:43] offset:16
	ds_write_b128 v32, v[44:47] offset:32
	;; [unrolled: 1-line block ×6, first 2 shown]
	s_waitcnt lgkmcnt(0)
	s_barrier
	ds_read2st64_b64 v[6:9], v2 offset1:4
	ds_read2st64_b64 v[10:13], v2 offset0:8 offset1:12
	ds_read2st64_b64 v[14:17], v2 offset0:16 offset1:20
	;; [unrolled: 1-line block ×6, first 2 shown]
	v_lshl_add_u64 v[30:31], s[2:3], 0, v[30:31]
	s_movk_i32 s4, 0x1000
	s_waitcnt lgkmcnt(0)
	flat_store_dwordx2 v[30:31], v[6:7]
	flat_store_dwordx2 v[30:31], v[8:9] offset:2048
	v_add_co_u32_e32 v6, vcc, s4, v30
	s_movk_i32 s4, 0x2000
	s_nop 0
	v_addc_co_u32_e32 v7, vcc, 0, v31, vcc
	flat_store_dwordx2 v[6:7], v[10:11]
	flat_store_dwordx2 v[6:7], v[12:13] offset:2048
	v_add_co_u32_e32 v6, vcc, s4, v30
	s_movk_i32 s4, 0x3000
	s_nop 0
	v_addc_co_u32_e32 v7, vcc, 0, v31, vcc
	;; [unrolled: 6-line block ×3, first 2 shown]
	flat_store_dwordx2 v[6:7], v[18:19]
	flat_store_dwordx2 v[6:7], v[20:21] offset:2048
	v_add_co_u32_e32 v6, vcc, s4, v30
	s_or_b64 s[0:1], s[0:1], exec
	s_nop 0
	v_addc_co_u32_e32 v7, vcc, 0, v31, vcc
	flat_store_dwordx2 v[6:7], v[22:23]
	flat_store_dwordx2 v[6:7], v[24:25] offset:2048
	v_add_co_u32_e32 v6, vcc, 0x5000, v30
	s_nop 1
	v_addc_co_u32_e32 v7, vcc, 0, v31, vcc
	flat_store_dwordx2 v[6:7], v[26:27]
	flat_store_dwordx2 v[6:7], v[28:29] offset:2048
	v_add_co_u32_e32 v6, vcc, 0x6000, v30
	s_nop 1
	v_addc_co_u32_e32 v7, vcc, 0, v31, vcc
	flat_store_dwordx2 v[6:7], v[2:3]
.LBB679_215:
	s_and_saveexec_b64 s[4:5], s[0:1]
	s_cbranch_execz .LBB679_217
; %bb.216:
	v_lshl_add_u64 v[0:1], v[0:1], 3, s[2:3]
	v_add_co_u32_e32 v0, vcc, 0x6000, v0
	s_nop 1
	v_addc_co_u32_e32 v1, vcc, 0, v1, vcc
	s_waitcnt lgkmcnt(0)
	flat_store_dwordx2 v[0:1], v[4:5] offset:2048
	s_endpgm
.LBB679_217:
	s_endpgm
	.section	.rodata,"a",@progbits
	.p2align	6, 0x0
	.amdhsa_kernel _ZN7rocprim17ROCPRIM_400000_NS6detail17trampoline_kernelINS0_14default_configENS1_27scan_by_key_config_selectorIxxEEZZNS1_16scan_by_key_implILNS1_25lookback_scan_determinismE0ELb0ES3_N6thrust23THRUST_200600_302600_NS6detail15normal_iteratorINS9_10device_ptrIxEEEESE_SE_xNS9_4plusIxEE19head_flag_predicatexEE10hipError_tPvRmT2_T3_T4_T5_mT6_T7_P12ihipStream_tbENKUlT_T0_E_clISt17integral_constantIbLb0EESY_EEDaST_SU_EUlST_E_NS1_11comp_targetILNS1_3genE5ELNS1_11target_archE942ELNS1_3gpuE9ELNS1_3repE0EEENS1_30default_config_static_selectorELNS0_4arch9wavefront6targetE1EEEvT1_
		.amdhsa_group_segment_fixed_size 32768
		.amdhsa_private_segment_fixed_size 0
		.amdhsa_kernarg_size 136
		.amdhsa_user_sgpr_count 2
		.amdhsa_user_sgpr_dispatch_ptr 0
		.amdhsa_user_sgpr_queue_ptr 0
		.amdhsa_user_sgpr_kernarg_segment_ptr 1
		.amdhsa_user_sgpr_dispatch_id 0
		.amdhsa_user_sgpr_kernarg_preload_length 0
		.amdhsa_user_sgpr_kernarg_preload_offset 0
		.amdhsa_user_sgpr_private_segment_size 0
		.amdhsa_uses_dynamic_stack 0
		.amdhsa_enable_private_segment 0
		.amdhsa_system_sgpr_workgroup_id_x 1
		.amdhsa_system_sgpr_workgroup_id_y 0
		.amdhsa_system_sgpr_workgroup_id_z 0
		.amdhsa_system_sgpr_workgroup_info 0
		.amdhsa_system_vgpr_workitem_id 0
		.amdhsa_next_free_vgpr 85
		.amdhsa_next_free_sgpr 60
		.amdhsa_accum_offset 88
		.amdhsa_reserve_vcc 1
		.amdhsa_float_round_mode_32 0
		.amdhsa_float_round_mode_16_64 0
		.amdhsa_float_denorm_mode_32 3
		.amdhsa_float_denorm_mode_16_64 3
		.amdhsa_dx10_clamp 1
		.amdhsa_ieee_mode 1
		.amdhsa_fp16_overflow 0
		.amdhsa_tg_split 0
		.amdhsa_exception_fp_ieee_invalid_op 0
		.amdhsa_exception_fp_denorm_src 0
		.amdhsa_exception_fp_ieee_div_zero 0
		.amdhsa_exception_fp_ieee_overflow 0
		.amdhsa_exception_fp_ieee_underflow 0
		.amdhsa_exception_fp_ieee_inexact 0
		.amdhsa_exception_int_div_zero 0
	.end_amdhsa_kernel
	.section	.text._ZN7rocprim17ROCPRIM_400000_NS6detail17trampoline_kernelINS0_14default_configENS1_27scan_by_key_config_selectorIxxEEZZNS1_16scan_by_key_implILNS1_25lookback_scan_determinismE0ELb0ES3_N6thrust23THRUST_200600_302600_NS6detail15normal_iteratorINS9_10device_ptrIxEEEESE_SE_xNS9_4plusIxEE19head_flag_predicatexEE10hipError_tPvRmT2_T3_T4_T5_mT6_T7_P12ihipStream_tbENKUlT_T0_E_clISt17integral_constantIbLb0EESY_EEDaST_SU_EUlST_E_NS1_11comp_targetILNS1_3genE5ELNS1_11target_archE942ELNS1_3gpuE9ELNS1_3repE0EEENS1_30default_config_static_selectorELNS0_4arch9wavefront6targetE1EEEvT1_,"axG",@progbits,_ZN7rocprim17ROCPRIM_400000_NS6detail17trampoline_kernelINS0_14default_configENS1_27scan_by_key_config_selectorIxxEEZZNS1_16scan_by_key_implILNS1_25lookback_scan_determinismE0ELb0ES3_N6thrust23THRUST_200600_302600_NS6detail15normal_iteratorINS9_10device_ptrIxEEEESE_SE_xNS9_4plusIxEE19head_flag_predicatexEE10hipError_tPvRmT2_T3_T4_T5_mT6_T7_P12ihipStream_tbENKUlT_T0_E_clISt17integral_constantIbLb0EESY_EEDaST_SU_EUlST_E_NS1_11comp_targetILNS1_3genE5ELNS1_11target_archE942ELNS1_3gpuE9ELNS1_3repE0EEENS1_30default_config_static_selectorELNS0_4arch9wavefront6targetE1EEEvT1_,comdat
.Lfunc_end679:
	.size	_ZN7rocprim17ROCPRIM_400000_NS6detail17trampoline_kernelINS0_14default_configENS1_27scan_by_key_config_selectorIxxEEZZNS1_16scan_by_key_implILNS1_25lookback_scan_determinismE0ELb0ES3_N6thrust23THRUST_200600_302600_NS6detail15normal_iteratorINS9_10device_ptrIxEEEESE_SE_xNS9_4plusIxEE19head_flag_predicatexEE10hipError_tPvRmT2_T3_T4_T5_mT6_T7_P12ihipStream_tbENKUlT_T0_E_clISt17integral_constantIbLb0EESY_EEDaST_SU_EUlST_E_NS1_11comp_targetILNS1_3genE5ELNS1_11target_archE942ELNS1_3gpuE9ELNS1_3repE0EEENS1_30default_config_static_selectorELNS0_4arch9wavefront6targetE1EEEvT1_, .Lfunc_end679-_ZN7rocprim17ROCPRIM_400000_NS6detail17trampoline_kernelINS0_14default_configENS1_27scan_by_key_config_selectorIxxEEZZNS1_16scan_by_key_implILNS1_25lookback_scan_determinismE0ELb0ES3_N6thrust23THRUST_200600_302600_NS6detail15normal_iteratorINS9_10device_ptrIxEEEESE_SE_xNS9_4plusIxEE19head_flag_predicatexEE10hipError_tPvRmT2_T3_T4_T5_mT6_T7_P12ihipStream_tbENKUlT_T0_E_clISt17integral_constantIbLb0EESY_EEDaST_SU_EUlST_E_NS1_11comp_targetILNS1_3genE5ELNS1_11target_archE942ELNS1_3gpuE9ELNS1_3repE0EEENS1_30default_config_static_selectorELNS0_4arch9wavefront6targetE1EEEvT1_
                                        ; -- End function
	.section	.AMDGPU.csdata,"",@progbits
; Kernel info:
; codeLenInByte = 11960
; NumSgprs: 66
; NumVgprs: 85
; NumAgprs: 0
; TotalNumVgprs: 85
; ScratchSize: 0
; MemoryBound: 0
; FloatMode: 240
; IeeeMode: 1
; LDSByteSize: 32768 bytes/workgroup (compile time only)
; SGPRBlocks: 8
; VGPRBlocks: 10
; NumSGPRsForWavesPerEU: 66
; NumVGPRsForWavesPerEU: 85
; AccumOffset: 88
; Occupancy: 2
; WaveLimiterHint : 1
; COMPUTE_PGM_RSRC2:SCRATCH_EN: 0
; COMPUTE_PGM_RSRC2:USER_SGPR: 2
; COMPUTE_PGM_RSRC2:TRAP_HANDLER: 0
; COMPUTE_PGM_RSRC2:TGID_X_EN: 1
; COMPUTE_PGM_RSRC2:TGID_Y_EN: 0
; COMPUTE_PGM_RSRC2:TGID_Z_EN: 0
; COMPUTE_PGM_RSRC2:TIDIG_COMP_CNT: 0
; COMPUTE_PGM_RSRC3_GFX90A:ACCUM_OFFSET: 21
; COMPUTE_PGM_RSRC3_GFX90A:TG_SPLIT: 0
	.section	.text._ZN7rocprim17ROCPRIM_400000_NS6detail17trampoline_kernelINS0_14default_configENS1_27scan_by_key_config_selectorIxxEEZZNS1_16scan_by_key_implILNS1_25lookback_scan_determinismE0ELb0ES3_N6thrust23THRUST_200600_302600_NS6detail15normal_iteratorINS9_10device_ptrIxEEEESE_SE_xNS9_4plusIxEE19head_flag_predicatexEE10hipError_tPvRmT2_T3_T4_T5_mT6_T7_P12ihipStream_tbENKUlT_T0_E_clISt17integral_constantIbLb0EESY_EEDaST_SU_EUlST_E_NS1_11comp_targetILNS1_3genE4ELNS1_11target_archE910ELNS1_3gpuE8ELNS1_3repE0EEENS1_30default_config_static_selectorELNS0_4arch9wavefront6targetE1EEEvT1_,"axG",@progbits,_ZN7rocprim17ROCPRIM_400000_NS6detail17trampoline_kernelINS0_14default_configENS1_27scan_by_key_config_selectorIxxEEZZNS1_16scan_by_key_implILNS1_25lookback_scan_determinismE0ELb0ES3_N6thrust23THRUST_200600_302600_NS6detail15normal_iteratorINS9_10device_ptrIxEEEESE_SE_xNS9_4plusIxEE19head_flag_predicatexEE10hipError_tPvRmT2_T3_T4_T5_mT6_T7_P12ihipStream_tbENKUlT_T0_E_clISt17integral_constantIbLb0EESY_EEDaST_SU_EUlST_E_NS1_11comp_targetILNS1_3genE4ELNS1_11target_archE910ELNS1_3gpuE8ELNS1_3repE0EEENS1_30default_config_static_selectorELNS0_4arch9wavefront6targetE1EEEvT1_,comdat
	.protected	_ZN7rocprim17ROCPRIM_400000_NS6detail17trampoline_kernelINS0_14default_configENS1_27scan_by_key_config_selectorIxxEEZZNS1_16scan_by_key_implILNS1_25lookback_scan_determinismE0ELb0ES3_N6thrust23THRUST_200600_302600_NS6detail15normal_iteratorINS9_10device_ptrIxEEEESE_SE_xNS9_4plusIxEE19head_flag_predicatexEE10hipError_tPvRmT2_T3_T4_T5_mT6_T7_P12ihipStream_tbENKUlT_T0_E_clISt17integral_constantIbLb0EESY_EEDaST_SU_EUlST_E_NS1_11comp_targetILNS1_3genE4ELNS1_11target_archE910ELNS1_3gpuE8ELNS1_3repE0EEENS1_30default_config_static_selectorELNS0_4arch9wavefront6targetE1EEEvT1_ ; -- Begin function _ZN7rocprim17ROCPRIM_400000_NS6detail17trampoline_kernelINS0_14default_configENS1_27scan_by_key_config_selectorIxxEEZZNS1_16scan_by_key_implILNS1_25lookback_scan_determinismE0ELb0ES3_N6thrust23THRUST_200600_302600_NS6detail15normal_iteratorINS9_10device_ptrIxEEEESE_SE_xNS9_4plusIxEE19head_flag_predicatexEE10hipError_tPvRmT2_T3_T4_T5_mT6_T7_P12ihipStream_tbENKUlT_T0_E_clISt17integral_constantIbLb0EESY_EEDaST_SU_EUlST_E_NS1_11comp_targetILNS1_3genE4ELNS1_11target_archE910ELNS1_3gpuE8ELNS1_3repE0EEENS1_30default_config_static_selectorELNS0_4arch9wavefront6targetE1EEEvT1_
	.globl	_ZN7rocprim17ROCPRIM_400000_NS6detail17trampoline_kernelINS0_14default_configENS1_27scan_by_key_config_selectorIxxEEZZNS1_16scan_by_key_implILNS1_25lookback_scan_determinismE0ELb0ES3_N6thrust23THRUST_200600_302600_NS6detail15normal_iteratorINS9_10device_ptrIxEEEESE_SE_xNS9_4plusIxEE19head_flag_predicatexEE10hipError_tPvRmT2_T3_T4_T5_mT6_T7_P12ihipStream_tbENKUlT_T0_E_clISt17integral_constantIbLb0EESY_EEDaST_SU_EUlST_E_NS1_11comp_targetILNS1_3genE4ELNS1_11target_archE910ELNS1_3gpuE8ELNS1_3repE0EEENS1_30default_config_static_selectorELNS0_4arch9wavefront6targetE1EEEvT1_
	.p2align	8
	.type	_ZN7rocprim17ROCPRIM_400000_NS6detail17trampoline_kernelINS0_14default_configENS1_27scan_by_key_config_selectorIxxEEZZNS1_16scan_by_key_implILNS1_25lookback_scan_determinismE0ELb0ES3_N6thrust23THRUST_200600_302600_NS6detail15normal_iteratorINS9_10device_ptrIxEEEESE_SE_xNS9_4plusIxEE19head_flag_predicatexEE10hipError_tPvRmT2_T3_T4_T5_mT6_T7_P12ihipStream_tbENKUlT_T0_E_clISt17integral_constantIbLb0EESY_EEDaST_SU_EUlST_E_NS1_11comp_targetILNS1_3genE4ELNS1_11target_archE910ELNS1_3gpuE8ELNS1_3repE0EEENS1_30default_config_static_selectorELNS0_4arch9wavefront6targetE1EEEvT1_,@function
_ZN7rocprim17ROCPRIM_400000_NS6detail17trampoline_kernelINS0_14default_configENS1_27scan_by_key_config_selectorIxxEEZZNS1_16scan_by_key_implILNS1_25lookback_scan_determinismE0ELb0ES3_N6thrust23THRUST_200600_302600_NS6detail15normal_iteratorINS9_10device_ptrIxEEEESE_SE_xNS9_4plusIxEE19head_flag_predicatexEE10hipError_tPvRmT2_T3_T4_T5_mT6_T7_P12ihipStream_tbENKUlT_T0_E_clISt17integral_constantIbLb0EESY_EEDaST_SU_EUlST_E_NS1_11comp_targetILNS1_3genE4ELNS1_11target_archE910ELNS1_3gpuE8ELNS1_3repE0EEENS1_30default_config_static_selectorELNS0_4arch9wavefront6targetE1EEEvT1_: ; @_ZN7rocprim17ROCPRIM_400000_NS6detail17trampoline_kernelINS0_14default_configENS1_27scan_by_key_config_selectorIxxEEZZNS1_16scan_by_key_implILNS1_25lookback_scan_determinismE0ELb0ES3_N6thrust23THRUST_200600_302600_NS6detail15normal_iteratorINS9_10device_ptrIxEEEESE_SE_xNS9_4plusIxEE19head_flag_predicatexEE10hipError_tPvRmT2_T3_T4_T5_mT6_T7_P12ihipStream_tbENKUlT_T0_E_clISt17integral_constantIbLb0EESY_EEDaST_SU_EUlST_E_NS1_11comp_targetILNS1_3genE4ELNS1_11target_archE910ELNS1_3gpuE8ELNS1_3repE0EEENS1_30default_config_static_selectorELNS0_4arch9wavefront6targetE1EEEvT1_
; %bb.0:
	.section	.rodata,"a",@progbits
	.p2align	6, 0x0
	.amdhsa_kernel _ZN7rocprim17ROCPRIM_400000_NS6detail17trampoline_kernelINS0_14default_configENS1_27scan_by_key_config_selectorIxxEEZZNS1_16scan_by_key_implILNS1_25lookback_scan_determinismE0ELb0ES3_N6thrust23THRUST_200600_302600_NS6detail15normal_iteratorINS9_10device_ptrIxEEEESE_SE_xNS9_4plusIxEE19head_flag_predicatexEE10hipError_tPvRmT2_T3_T4_T5_mT6_T7_P12ihipStream_tbENKUlT_T0_E_clISt17integral_constantIbLb0EESY_EEDaST_SU_EUlST_E_NS1_11comp_targetILNS1_3genE4ELNS1_11target_archE910ELNS1_3gpuE8ELNS1_3repE0EEENS1_30default_config_static_selectorELNS0_4arch9wavefront6targetE1EEEvT1_
		.amdhsa_group_segment_fixed_size 0
		.amdhsa_private_segment_fixed_size 0
		.amdhsa_kernarg_size 136
		.amdhsa_user_sgpr_count 2
		.amdhsa_user_sgpr_dispatch_ptr 0
		.amdhsa_user_sgpr_queue_ptr 0
		.amdhsa_user_sgpr_kernarg_segment_ptr 1
		.amdhsa_user_sgpr_dispatch_id 0
		.amdhsa_user_sgpr_kernarg_preload_length 0
		.amdhsa_user_sgpr_kernarg_preload_offset 0
		.amdhsa_user_sgpr_private_segment_size 0
		.amdhsa_uses_dynamic_stack 0
		.amdhsa_enable_private_segment 0
		.amdhsa_system_sgpr_workgroup_id_x 1
		.amdhsa_system_sgpr_workgroup_id_y 0
		.amdhsa_system_sgpr_workgroup_id_z 0
		.amdhsa_system_sgpr_workgroup_info 0
		.amdhsa_system_vgpr_workitem_id 0
		.amdhsa_next_free_vgpr 1
		.amdhsa_next_free_sgpr 0
		.amdhsa_accum_offset 4
		.amdhsa_reserve_vcc 0
		.amdhsa_float_round_mode_32 0
		.amdhsa_float_round_mode_16_64 0
		.amdhsa_float_denorm_mode_32 3
		.amdhsa_float_denorm_mode_16_64 3
		.amdhsa_dx10_clamp 1
		.amdhsa_ieee_mode 1
		.amdhsa_fp16_overflow 0
		.amdhsa_tg_split 0
		.amdhsa_exception_fp_ieee_invalid_op 0
		.amdhsa_exception_fp_denorm_src 0
		.amdhsa_exception_fp_ieee_div_zero 0
		.amdhsa_exception_fp_ieee_overflow 0
		.amdhsa_exception_fp_ieee_underflow 0
		.amdhsa_exception_fp_ieee_inexact 0
		.amdhsa_exception_int_div_zero 0
	.end_amdhsa_kernel
	.section	.text._ZN7rocprim17ROCPRIM_400000_NS6detail17trampoline_kernelINS0_14default_configENS1_27scan_by_key_config_selectorIxxEEZZNS1_16scan_by_key_implILNS1_25lookback_scan_determinismE0ELb0ES3_N6thrust23THRUST_200600_302600_NS6detail15normal_iteratorINS9_10device_ptrIxEEEESE_SE_xNS9_4plusIxEE19head_flag_predicatexEE10hipError_tPvRmT2_T3_T4_T5_mT6_T7_P12ihipStream_tbENKUlT_T0_E_clISt17integral_constantIbLb0EESY_EEDaST_SU_EUlST_E_NS1_11comp_targetILNS1_3genE4ELNS1_11target_archE910ELNS1_3gpuE8ELNS1_3repE0EEENS1_30default_config_static_selectorELNS0_4arch9wavefront6targetE1EEEvT1_,"axG",@progbits,_ZN7rocprim17ROCPRIM_400000_NS6detail17trampoline_kernelINS0_14default_configENS1_27scan_by_key_config_selectorIxxEEZZNS1_16scan_by_key_implILNS1_25lookback_scan_determinismE0ELb0ES3_N6thrust23THRUST_200600_302600_NS6detail15normal_iteratorINS9_10device_ptrIxEEEESE_SE_xNS9_4plusIxEE19head_flag_predicatexEE10hipError_tPvRmT2_T3_T4_T5_mT6_T7_P12ihipStream_tbENKUlT_T0_E_clISt17integral_constantIbLb0EESY_EEDaST_SU_EUlST_E_NS1_11comp_targetILNS1_3genE4ELNS1_11target_archE910ELNS1_3gpuE8ELNS1_3repE0EEENS1_30default_config_static_selectorELNS0_4arch9wavefront6targetE1EEEvT1_,comdat
.Lfunc_end680:
	.size	_ZN7rocprim17ROCPRIM_400000_NS6detail17trampoline_kernelINS0_14default_configENS1_27scan_by_key_config_selectorIxxEEZZNS1_16scan_by_key_implILNS1_25lookback_scan_determinismE0ELb0ES3_N6thrust23THRUST_200600_302600_NS6detail15normal_iteratorINS9_10device_ptrIxEEEESE_SE_xNS9_4plusIxEE19head_flag_predicatexEE10hipError_tPvRmT2_T3_T4_T5_mT6_T7_P12ihipStream_tbENKUlT_T0_E_clISt17integral_constantIbLb0EESY_EEDaST_SU_EUlST_E_NS1_11comp_targetILNS1_3genE4ELNS1_11target_archE910ELNS1_3gpuE8ELNS1_3repE0EEENS1_30default_config_static_selectorELNS0_4arch9wavefront6targetE1EEEvT1_, .Lfunc_end680-_ZN7rocprim17ROCPRIM_400000_NS6detail17trampoline_kernelINS0_14default_configENS1_27scan_by_key_config_selectorIxxEEZZNS1_16scan_by_key_implILNS1_25lookback_scan_determinismE0ELb0ES3_N6thrust23THRUST_200600_302600_NS6detail15normal_iteratorINS9_10device_ptrIxEEEESE_SE_xNS9_4plusIxEE19head_flag_predicatexEE10hipError_tPvRmT2_T3_T4_T5_mT6_T7_P12ihipStream_tbENKUlT_T0_E_clISt17integral_constantIbLb0EESY_EEDaST_SU_EUlST_E_NS1_11comp_targetILNS1_3genE4ELNS1_11target_archE910ELNS1_3gpuE8ELNS1_3repE0EEENS1_30default_config_static_selectorELNS0_4arch9wavefront6targetE1EEEvT1_
                                        ; -- End function
	.section	.AMDGPU.csdata,"",@progbits
; Kernel info:
; codeLenInByte = 0
; NumSgprs: 6
; NumVgprs: 0
; NumAgprs: 0
; TotalNumVgprs: 0
; ScratchSize: 0
; MemoryBound: 0
; FloatMode: 240
; IeeeMode: 1
; LDSByteSize: 0 bytes/workgroup (compile time only)
; SGPRBlocks: 0
; VGPRBlocks: 0
; NumSGPRsForWavesPerEU: 6
; NumVGPRsForWavesPerEU: 1
; AccumOffset: 4
; Occupancy: 8
; WaveLimiterHint : 0
; COMPUTE_PGM_RSRC2:SCRATCH_EN: 0
; COMPUTE_PGM_RSRC2:USER_SGPR: 2
; COMPUTE_PGM_RSRC2:TRAP_HANDLER: 0
; COMPUTE_PGM_RSRC2:TGID_X_EN: 1
; COMPUTE_PGM_RSRC2:TGID_Y_EN: 0
; COMPUTE_PGM_RSRC2:TGID_Z_EN: 0
; COMPUTE_PGM_RSRC2:TIDIG_COMP_CNT: 0
; COMPUTE_PGM_RSRC3_GFX90A:ACCUM_OFFSET: 0
; COMPUTE_PGM_RSRC3_GFX90A:TG_SPLIT: 0
	.section	.text._ZN7rocprim17ROCPRIM_400000_NS6detail17trampoline_kernelINS0_14default_configENS1_27scan_by_key_config_selectorIxxEEZZNS1_16scan_by_key_implILNS1_25lookback_scan_determinismE0ELb0ES3_N6thrust23THRUST_200600_302600_NS6detail15normal_iteratorINS9_10device_ptrIxEEEESE_SE_xNS9_4plusIxEE19head_flag_predicatexEE10hipError_tPvRmT2_T3_T4_T5_mT6_T7_P12ihipStream_tbENKUlT_T0_E_clISt17integral_constantIbLb0EESY_EEDaST_SU_EUlST_E_NS1_11comp_targetILNS1_3genE3ELNS1_11target_archE908ELNS1_3gpuE7ELNS1_3repE0EEENS1_30default_config_static_selectorELNS0_4arch9wavefront6targetE1EEEvT1_,"axG",@progbits,_ZN7rocprim17ROCPRIM_400000_NS6detail17trampoline_kernelINS0_14default_configENS1_27scan_by_key_config_selectorIxxEEZZNS1_16scan_by_key_implILNS1_25lookback_scan_determinismE0ELb0ES3_N6thrust23THRUST_200600_302600_NS6detail15normal_iteratorINS9_10device_ptrIxEEEESE_SE_xNS9_4plusIxEE19head_flag_predicatexEE10hipError_tPvRmT2_T3_T4_T5_mT6_T7_P12ihipStream_tbENKUlT_T0_E_clISt17integral_constantIbLb0EESY_EEDaST_SU_EUlST_E_NS1_11comp_targetILNS1_3genE3ELNS1_11target_archE908ELNS1_3gpuE7ELNS1_3repE0EEENS1_30default_config_static_selectorELNS0_4arch9wavefront6targetE1EEEvT1_,comdat
	.protected	_ZN7rocprim17ROCPRIM_400000_NS6detail17trampoline_kernelINS0_14default_configENS1_27scan_by_key_config_selectorIxxEEZZNS1_16scan_by_key_implILNS1_25lookback_scan_determinismE0ELb0ES3_N6thrust23THRUST_200600_302600_NS6detail15normal_iteratorINS9_10device_ptrIxEEEESE_SE_xNS9_4plusIxEE19head_flag_predicatexEE10hipError_tPvRmT2_T3_T4_T5_mT6_T7_P12ihipStream_tbENKUlT_T0_E_clISt17integral_constantIbLb0EESY_EEDaST_SU_EUlST_E_NS1_11comp_targetILNS1_3genE3ELNS1_11target_archE908ELNS1_3gpuE7ELNS1_3repE0EEENS1_30default_config_static_selectorELNS0_4arch9wavefront6targetE1EEEvT1_ ; -- Begin function _ZN7rocprim17ROCPRIM_400000_NS6detail17trampoline_kernelINS0_14default_configENS1_27scan_by_key_config_selectorIxxEEZZNS1_16scan_by_key_implILNS1_25lookback_scan_determinismE0ELb0ES3_N6thrust23THRUST_200600_302600_NS6detail15normal_iteratorINS9_10device_ptrIxEEEESE_SE_xNS9_4plusIxEE19head_flag_predicatexEE10hipError_tPvRmT2_T3_T4_T5_mT6_T7_P12ihipStream_tbENKUlT_T0_E_clISt17integral_constantIbLb0EESY_EEDaST_SU_EUlST_E_NS1_11comp_targetILNS1_3genE3ELNS1_11target_archE908ELNS1_3gpuE7ELNS1_3repE0EEENS1_30default_config_static_selectorELNS0_4arch9wavefront6targetE1EEEvT1_
	.globl	_ZN7rocprim17ROCPRIM_400000_NS6detail17trampoline_kernelINS0_14default_configENS1_27scan_by_key_config_selectorIxxEEZZNS1_16scan_by_key_implILNS1_25lookback_scan_determinismE0ELb0ES3_N6thrust23THRUST_200600_302600_NS6detail15normal_iteratorINS9_10device_ptrIxEEEESE_SE_xNS9_4plusIxEE19head_flag_predicatexEE10hipError_tPvRmT2_T3_T4_T5_mT6_T7_P12ihipStream_tbENKUlT_T0_E_clISt17integral_constantIbLb0EESY_EEDaST_SU_EUlST_E_NS1_11comp_targetILNS1_3genE3ELNS1_11target_archE908ELNS1_3gpuE7ELNS1_3repE0EEENS1_30default_config_static_selectorELNS0_4arch9wavefront6targetE1EEEvT1_
	.p2align	8
	.type	_ZN7rocprim17ROCPRIM_400000_NS6detail17trampoline_kernelINS0_14default_configENS1_27scan_by_key_config_selectorIxxEEZZNS1_16scan_by_key_implILNS1_25lookback_scan_determinismE0ELb0ES3_N6thrust23THRUST_200600_302600_NS6detail15normal_iteratorINS9_10device_ptrIxEEEESE_SE_xNS9_4plusIxEE19head_flag_predicatexEE10hipError_tPvRmT2_T3_T4_T5_mT6_T7_P12ihipStream_tbENKUlT_T0_E_clISt17integral_constantIbLb0EESY_EEDaST_SU_EUlST_E_NS1_11comp_targetILNS1_3genE3ELNS1_11target_archE908ELNS1_3gpuE7ELNS1_3repE0EEENS1_30default_config_static_selectorELNS0_4arch9wavefront6targetE1EEEvT1_,@function
_ZN7rocprim17ROCPRIM_400000_NS6detail17trampoline_kernelINS0_14default_configENS1_27scan_by_key_config_selectorIxxEEZZNS1_16scan_by_key_implILNS1_25lookback_scan_determinismE0ELb0ES3_N6thrust23THRUST_200600_302600_NS6detail15normal_iteratorINS9_10device_ptrIxEEEESE_SE_xNS9_4plusIxEE19head_flag_predicatexEE10hipError_tPvRmT2_T3_T4_T5_mT6_T7_P12ihipStream_tbENKUlT_T0_E_clISt17integral_constantIbLb0EESY_EEDaST_SU_EUlST_E_NS1_11comp_targetILNS1_3genE3ELNS1_11target_archE908ELNS1_3gpuE7ELNS1_3repE0EEENS1_30default_config_static_selectorELNS0_4arch9wavefront6targetE1EEEvT1_: ; @_ZN7rocprim17ROCPRIM_400000_NS6detail17trampoline_kernelINS0_14default_configENS1_27scan_by_key_config_selectorIxxEEZZNS1_16scan_by_key_implILNS1_25lookback_scan_determinismE0ELb0ES3_N6thrust23THRUST_200600_302600_NS6detail15normal_iteratorINS9_10device_ptrIxEEEESE_SE_xNS9_4plusIxEE19head_flag_predicatexEE10hipError_tPvRmT2_T3_T4_T5_mT6_T7_P12ihipStream_tbENKUlT_T0_E_clISt17integral_constantIbLb0EESY_EEDaST_SU_EUlST_E_NS1_11comp_targetILNS1_3genE3ELNS1_11target_archE908ELNS1_3gpuE7ELNS1_3repE0EEENS1_30default_config_static_selectorELNS0_4arch9wavefront6targetE1EEEvT1_
; %bb.0:
	.section	.rodata,"a",@progbits
	.p2align	6, 0x0
	.amdhsa_kernel _ZN7rocprim17ROCPRIM_400000_NS6detail17trampoline_kernelINS0_14default_configENS1_27scan_by_key_config_selectorIxxEEZZNS1_16scan_by_key_implILNS1_25lookback_scan_determinismE0ELb0ES3_N6thrust23THRUST_200600_302600_NS6detail15normal_iteratorINS9_10device_ptrIxEEEESE_SE_xNS9_4plusIxEE19head_flag_predicatexEE10hipError_tPvRmT2_T3_T4_T5_mT6_T7_P12ihipStream_tbENKUlT_T0_E_clISt17integral_constantIbLb0EESY_EEDaST_SU_EUlST_E_NS1_11comp_targetILNS1_3genE3ELNS1_11target_archE908ELNS1_3gpuE7ELNS1_3repE0EEENS1_30default_config_static_selectorELNS0_4arch9wavefront6targetE1EEEvT1_
		.amdhsa_group_segment_fixed_size 0
		.amdhsa_private_segment_fixed_size 0
		.amdhsa_kernarg_size 136
		.amdhsa_user_sgpr_count 2
		.amdhsa_user_sgpr_dispatch_ptr 0
		.amdhsa_user_sgpr_queue_ptr 0
		.amdhsa_user_sgpr_kernarg_segment_ptr 1
		.amdhsa_user_sgpr_dispatch_id 0
		.amdhsa_user_sgpr_kernarg_preload_length 0
		.amdhsa_user_sgpr_kernarg_preload_offset 0
		.amdhsa_user_sgpr_private_segment_size 0
		.amdhsa_uses_dynamic_stack 0
		.amdhsa_enable_private_segment 0
		.amdhsa_system_sgpr_workgroup_id_x 1
		.amdhsa_system_sgpr_workgroup_id_y 0
		.amdhsa_system_sgpr_workgroup_id_z 0
		.amdhsa_system_sgpr_workgroup_info 0
		.amdhsa_system_vgpr_workitem_id 0
		.amdhsa_next_free_vgpr 1
		.amdhsa_next_free_sgpr 0
		.amdhsa_accum_offset 4
		.amdhsa_reserve_vcc 0
		.amdhsa_float_round_mode_32 0
		.amdhsa_float_round_mode_16_64 0
		.amdhsa_float_denorm_mode_32 3
		.amdhsa_float_denorm_mode_16_64 3
		.amdhsa_dx10_clamp 1
		.amdhsa_ieee_mode 1
		.amdhsa_fp16_overflow 0
		.amdhsa_tg_split 0
		.amdhsa_exception_fp_ieee_invalid_op 0
		.amdhsa_exception_fp_denorm_src 0
		.amdhsa_exception_fp_ieee_div_zero 0
		.amdhsa_exception_fp_ieee_overflow 0
		.amdhsa_exception_fp_ieee_underflow 0
		.amdhsa_exception_fp_ieee_inexact 0
		.amdhsa_exception_int_div_zero 0
	.end_amdhsa_kernel
	.section	.text._ZN7rocprim17ROCPRIM_400000_NS6detail17trampoline_kernelINS0_14default_configENS1_27scan_by_key_config_selectorIxxEEZZNS1_16scan_by_key_implILNS1_25lookback_scan_determinismE0ELb0ES3_N6thrust23THRUST_200600_302600_NS6detail15normal_iteratorINS9_10device_ptrIxEEEESE_SE_xNS9_4plusIxEE19head_flag_predicatexEE10hipError_tPvRmT2_T3_T4_T5_mT6_T7_P12ihipStream_tbENKUlT_T0_E_clISt17integral_constantIbLb0EESY_EEDaST_SU_EUlST_E_NS1_11comp_targetILNS1_3genE3ELNS1_11target_archE908ELNS1_3gpuE7ELNS1_3repE0EEENS1_30default_config_static_selectorELNS0_4arch9wavefront6targetE1EEEvT1_,"axG",@progbits,_ZN7rocprim17ROCPRIM_400000_NS6detail17trampoline_kernelINS0_14default_configENS1_27scan_by_key_config_selectorIxxEEZZNS1_16scan_by_key_implILNS1_25lookback_scan_determinismE0ELb0ES3_N6thrust23THRUST_200600_302600_NS6detail15normal_iteratorINS9_10device_ptrIxEEEESE_SE_xNS9_4plusIxEE19head_flag_predicatexEE10hipError_tPvRmT2_T3_T4_T5_mT6_T7_P12ihipStream_tbENKUlT_T0_E_clISt17integral_constantIbLb0EESY_EEDaST_SU_EUlST_E_NS1_11comp_targetILNS1_3genE3ELNS1_11target_archE908ELNS1_3gpuE7ELNS1_3repE0EEENS1_30default_config_static_selectorELNS0_4arch9wavefront6targetE1EEEvT1_,comdat
.Lfunc_end681:
	.size	_ZN7rocprim17ROCPRIM_400000_NS6detail17trampoline_kernelINS0_14default_configENS1_27scan_by_key_config_selectorIxxEEZZNS1_16scan_by_key_implILNS1_25lookback_scan_determinismE0ELb0ES3_N6thrust23THRUST_200600_302600_NS6detail15normal_iteratorINS9_10device_ptrIxEEEESE_SE_xNS9_4plusIxEE19head_flag_predicatexEE10hipError_tPvRmT2_T3_T4_T5_mT6_T7_P12ihipStream_tbENKUlT_T0_E_clISt17integral_constantIbLb0EESY_EEDaST_SU_EUlST_E_NS1_11comp_targetILNS1_3genE3ELNS1_11target_archE908ELNS1_3gpuE7ELNS1_3repE0EEENS1_30default_config_static_selectorELNS0_4arch9wavefront6targetE1EEEvT1_, .Lfunc_end681-_ZN7rocprim17ROCPRIM_400000_NS6detail17trampoline_kernelINS0_14default_configENS1_27scan_by_key_config_selectorIxxEEZZNS1_16scan_by_key_implILNS1_25lookback_scan_determinismE0ELb0ES3_N6thrust23THRUST_200600_302600_NS6detail15normal_iteratorINS9_10device_ptrIxEEEESE_SE_xNS9_4plusIxEE19head_flag_predicatexEE10hipError_tPvRmT2_T3_T4_T5_mT6_T7_P12ihipStream_tbENKUlT_T0_E_clISt17integral_constantIbLb0EESY_EEDaST_SU_EUlST_E_NS1_11comp_targetILNS1_3genE3ELNS1_11target_archE908ELNS1_3gpuE7ELNS1_3repE0EEENS1_30default_config_static_selectorELNS0_4arch9wavefront6targetE1EEEvT1_
                                        ; -- End function
	.section	.AMDGPU.csdata,"",@progbits
; Kernel info:
; codeLenInByte = 0
; NumSgprs: 6
; NumVgprs: 0
; NumAgprs: 0
; TotalNumVgprs: 0
; ScratchSize: 0
; MemoryBound: 0
; FloatMode: 240
; IeeeMode: 1
; LDSByteSize: 0 bytes/workgroup (compile time only)
; SGPRBlocks: 0
; VGPRBlocks: 0
; NumSGPRsForWavesPerEU: 6
; NumVGPRsForWavesPerEU: 1
; AccumOffset: 4
; Occupancy: 8
; WaveLimiterHint : 0
; COMPUTE_PGM_RSRC2:SCRATCH_EN: 0
; COMPUTE_PGM_RSRC2:USER_SGPR: 2
; COMPUTE_PGM_RSRC2:TRAP_HANDLER: 0
; COMPUTE_PGM_RSRC2:TGID_X_EN: 1
; COMPUTE_PGM_RSRC2:TGID_Y_EN: 0
; COMPUTE_PGM_RSRC2:TGID_Z_EN: 0
; COMPUTE_PGM_RSRC2:TIDIG_COMP_CNT: 0
; COMPUTE_PGM_RSRC3_GFX90A:ACCUM_OFFSET: 0
; COMPUTE_PGM_RSRC3_GFX90A:TG_SPLIT: 0
	.section	.text._ZN7rocprim17ROCPRIM_400000_NS6detail17trampoline_kernelINS0_14default_configENS1_27scan_by_key_config_selectorIxxEEZZNS1_16scan_by_key_implILNS1_25lookback_scan_determinismE0ELb0ES3_N6thrust23THRUST_200600_302600_NS6detail15normal_iteratorINS9_10device_ptrIxEEEESE_SE_xNS9_4plusIxEE19head_flag_predicatexEE10hipError_tPvRmT2_T3_T4_T5_mT6_T7_P12ihipStream_tbENKUlT_T0_E_clISt17integral_constantIbLb0EESY_EEDaST_SU_EUlST_E_NS1_11comp_targetILNS1_3genE2ELNS1_11target_archE906ELNS1_3gpuE6ELNS1_3repE0EEENS1_30default_config_static_selectorELNS0_4arch9wavefront6targetE1EEEvT1_,"axG",@progbits,_ZN7rocprim17ROCPRIM_400000_NS6detail17trampoline_kernelINS0_14default_configENS1_27scan_by_key_config_selectorIxxEEZZNS1_16scan_by_key_implILNS1_25lookback_scan_determinismE0ELb0ES3_N6thrust23THRUST_200600_302600_NS6detail15normal_iteratorINS9_10device_ptrIxEEEESE_SE_xNS9_4plusIxEE19head_flag_predicatexEE10hipError_tPvRmT2_T3_T4_T5_mT6_T7_P12ihipStream_tbENKUlT_T0_E_clISt17integral_constantIbLb0EESY_EEDaST_SU_EUlST_E_NS1_11comp_targetILNS1_3genE2ELNS1_11target_archE906ELNS1_3gpuE6ELNS1_3repE0EEENS1_30default_config_static_selectorELNS0_4arch9wavefront6targetE1EEEvT1_,comdat
	.protected	_ZN7rocprim17ROCPRIM_400000_NS6detail17trampoline_kernelINS0_14default_configENS1_27scan_by_key_config_selectorIxxEEZZNS1_16scan_by_key_implILNS1_25lookback_scan_determinismE0ELb0ES3_N6thrust23THRUST_200600_302600_NS6detail15normal_iteratorINS9_10device_ptrIxEEEESE_SE_xNS9_4plusIxEE19head_flag_predicatexEE10hipError_tPvRmT2_T3_T4_T5_mT6_T7_P12ihipStream_tbENKUlT_T0_E_clISt17integral_constantIbLb0EESY_EEDaST_SU_EUlST_E_NS1_11comp_targetILNS1_3genE2ELNS1_11target_archE906ELNS1_3gpuE6ELNS1_3repE0EEENS1_30default_config_static_selectorELNS0_4arch9wavefront6targetE1EEEvT1_ ; -- Begin function _ZN7rocprim17ROCPRIM_400000_NS6detail17trampoline_kernelINS0_14default_configENS1_27scan_by_key_config_selectorIxxEEZZNS1_16scan_by_key_implILNS1_25lookback_scan_determinismE0ELb0ES3_N6thrust23THRUST_200600_302600_NS6detail15normal_iteratorINS9_10device_ptrIxEEEESE_SE_xNS9_4plusIxEE19head_flag_predicatexEE10hipError_tPvRmT2_T3_T4_T5_mT6_T7_P12ihipStream_tbENKUlT_T0_E_clISt17integral_constantIbLb0EESY_EEDaST_SU_EUlST_E_NS1_11comp_targetILNS1_3genE2ELNS1_11target_archE906ELNS1_3gpuE6ELNS1_3repE0EEENS1_30default_config_static_selectorELNS0_4arch9wavefront6targetE1EEEvT1_
	.globl	_ZN7rocprim17ROCPRIM_400000_NS6detail17trampoline_kernelINS0_14default_configENS1_27scan_by_key_config_selectorIxxEEZZNS1_16scan_by_key_implILNS1_25lookback_scan_determinismE0ELb0ES3_N6thrust23THRUST_200600_302600_NS6detail15normal_iteratorINS9_10device_ptrIxEEEESE_SE_xNS9_4plusIxEE19head_flag_predicatexEE10hipError_tPvRmT2_T3_T4_T5_mT6_T7_P12ihipStream_tbENKUlT_T0_E_clISt17integral_constantIbLb0EESY_EEDaST_SU_EUlST_E_NS1_11comp_targetILNS1_3genE2ELNS1_11target_archE906ELNS1_3gpuE6ELNS1_3repE0EEENS1_30default_config_static_selectorELNS0_4arch9wavefront6targetE1EEEvT1_
	.p2align	8
	.type	_ZN7rocprim17ROCPRIM_400000_NS6detail17trampoline_kernelINS0_14default_configENS1_27scan_by_key_config_selectorIxxEEZZNS1_16scan_by_key_implILNS1_25lookback_scan_determinismE0ELb0ES3_N6thrust23THRUST_200600_302600_NS6detail15normal_iteratorINS9_10device_ptrIxEEEESE_SE_xNS9_4plusIxEE19head_flag_predicatexEE10hipError_tPvRmT2_T3_T4_T5_mT6_T7_P12ihipStream_tbENKUlT_T0_E_clISt17integral_constantIbLb0EESY_EEDaST_SU_EUlST_E_NS1_11comp_targetILNS1_3genE2ELNS1_11target_archE906ELNS1_3gpuE6ELNS1_3repE0EEENS1_30default_config_static_selectorELNS0_4arch9wavefront6targetE1EEEvT1_,@function
_ZN7rocprim17ROCPRIM_400000_NS6detail17trampoline_kernelINS0_14default_configENS1_27scan_by_key_config_selectorIxxEEZZNS1_16scan_by_key_implILNS1_25lookback_scan_determinismE0ELb0ES3_N6thrust23THRUST_200600_302600_NS6detail15normal_iteratorINS9_10device_ptrIxEEEESE_SE_xNS9_4plusIxEE19head_flag_predicatexEE10hipError_tPvRmT2_T3_T4_T5_mT6_T7_P12ihipStream_tbENKUlT_T0_E_clISt17integral_constantIbLb0EESY_EEDaST_SU_EUlST_E_NS1_11comp_targetILNS1_3genE2ELNS1_11target_archE906ELNS1_3gpuE6ELNS1_3repE0EEENS1_30default_config_static_selectorELNS0_4arch9wavefront6targetE1EEEvT1_: ; @_ZN7rocprim17ROCPRIM_400000_NS6detail17trampoline_kernelINS0_14default_configENS1_27scan_by_key_config_selectorIxxEEZZNS1_16scan_by_key_implILNS1_25lookback_scan_determinismE0ELb0ES3_N6thrust23THRUST_200600_302600_NS6detail15normal_iteratorINS9_10device_ptrIxEEEESE_SE_xNS9_4plusIxEE19head_flag_predicatexEE10hipError_tPvRmT2_T3_T4_T5_mT6_T7_P12ihipStream_tbENKUlT_T0_E_clISt17integral_constantIbLb0EESY_EEDaST_SU_EUlST_E_NS1_11comp_targetILNS1_3genE2ELNS1_11target_archE906ELNS1_3gpuE6ELNS1_3repE0EEENS1_30default_config_static_selectorELNS0_4arch9wavefront6targetE1EEEvT1_
; %bb.0:
	.section	.rodata,"a",@progbits
	.p2align	6, 0x0
	.amdhsa_kernel _ZN7rocprim17ROCPRIM_400000_NS6detail17trampoline_kernelINS0_14default_configENS1_27scan_by_key_config_selectorIxxEEZZNS1_16scan_by_key_implILNS1_25lookback_scan_determinismE0ELb0ES3_N6thrust23THRUST_200600_302600_NS6detail15normal_iteratorINS9_10device_ptrIxEEEESE_SE_xNS9_4plusIxEE19head_flag_predicatexEE10hipError_tPvRmT2_T3_T4_T5_mT6_T7_P12ihipStream_tbENKUlT_T0_E_clISt17integral_constantIbLb0EESY_EEDaST_SU_EUlST_E_NS1_11comp_targetILNS1_3genE2ELNS1_11target_archE906ELNS1_3gpuE6ELNS1_3repE0EEENS1_30default_config_static_selectorELNS0_4arch9wavefront6targetE1EEEvT1_
		.amdhsa_group_segment_fixed_size 0
		.amdhsa_private_segment_fixed_size 0
		.amdhsa_kernarg_size 136
		.amdhsa_user_sgpr_count 2
		.amdhsa_user_sgpr_dispatch_ptr 0
		.amdhsa_user_sgpr_queue_ptr 0
		.amdhsa_user_sgpr_kernarg_segment_ptr 1
		.amdhsa_user_sgpr_dispatch_id 0
		.amdhsa_user_sgpr_kernarg_preload_length 0
		.amdhsa_user_sgpr_kernarg_preload_offset 0
		.amdhsa_user_sgpr_private_segment_size 0
		.amdhsa_uses_dynamic_stack 0
		.amdhsa_enable_private_segment 0
		.amdhsa_system_sgpr_workgroup_id_x 1
		.amdhsa_system_sgpr_workgroup_id_y 0
		.amdhsa_system_sgpr_workgroup_id_z 0
		.amdhsa_system_sgpr_workgroup_info 0
		.amdhsa_system_vgpr_workitem_id 0
		.amdhsa_next_free_vgpr 1
		.amdhsa_next_free_sgpr 0
		.amdhsa_accum_offset 4
		.amdhsa_reserve_vcc 0
		.amdhsa_float_round_mode_32 0
		.amdhsa_float_round_mode_16_64 0
		.amdhsa_float_denorm_mode_32 3
		.amdhsa_float_denorm_mode_16_64 3
		.amdhsa_dx10_clamp 1
		.amdhsa_ieee_mode 1
		.amdhsa_fp16_overflow 0
		.amdhsa_tg_split 0
		.amdhsa_exception_fp_ieee_invalid_op 0
		.amdhsa_exception_fp_denorm_src 0
		.amdhsa_exception_fp_ieee_div_zero 0
		.amdhsa_exception_fp_ieee_overflow 0
		.amdhsa_exception_fp_ieee_underflow 0
		.amdhsa_exception_fp_ieee_inexact 0
		.amdhsa_exception_int_div_zero 0
	.end_amdhsa_kernel
	.section	.text._ZN7rocprim17ROCPRIM_400000_NS6detail17trampoline_kernelINS0_14default_configENS1_27scan_by_key_config_selectorIxxEEZZNS1_16scan_by_key_implILNS1_25lookback_scan_determinismE0ELb0ES3_N6thrust23THRUST_200600_302600_NS6detail15normal_iteratorINS9_10device_ptrIxEEEESE_SE_xNS9_4plusIxEE19head_flag_predicatexEE10hipError_tPvRmT2_T3_T4_T5_mT6_T7_P12ihipStream_tbENKUlT_T0_E_clISt17integral_constantIbLb0EESY_EEDaST_SU_EUlST_E_NS1_11comp_targetILNS1_3genE2ELNS1_11target_archE906ELNS1_3gpuE6ELNS1_3repE0EEENS1_30default_config_static_selectorELNS0_4arch9wavefront6targetE1EEEvT1_,"axG",@progbits,_ZN7rocprim17ROCPRIM_400000_NS6detail17trampoline_kernelINS0_14default_configENS1_27scan_by_key_config_selectorIxxEEZZNS1_16scan_by_key_implILNS1_25lookback_scan_determinismE0ELb0ES3_N6thrust23THRUST_200600_302600_NS6detail15normal_iteratorINS9_10device_ptrIxEEEESE_SE_xNS9_4plusIxEE19head_flag_predicatexEE10hipError_tPvRmT2_T3_T4_T5_mT6_T7_P12ihipStream_tbENKUlT_T0_E_clISt17integral_constantIbLb0EESY_EEDaST_SU_EUlST_E_NS1_11comp_targetILNS1_3genE2ELNS1_11target_archE906ELNS1_3gpuE6ELNS1_3repE0EEENS1_30default_config_static_selectorELNS0_4arch9wavefront6targetE1EEEvT1_,comdat
.Lfunc_end682:
	.size	_ZN7rocprim17ROCPRIM_400000_NS6detail17trampoline_kernelINS0_14default_configENS1_27scan_by_key_config_selectorIxxEEZZNS1_16scan_by_key_implILNS1_25lookback_scan_determinismE0ELb0ES3_N6thrust23THRUST_200600_302600_NS6detail15normal_iteratorINS9_10device_ptrIxEEEESE_SE_xNS9_4plusIxEE19head_flag_predicatexEE10hipError_tPvRmT2_T3_T4_T5_mT6_T7_P12ihipStream_tbENKUlT_T0_E_clISt17integral_constantIbLb0EESY_EEDaST_SU_EUlST_E_NS1_11comp_targetILNS1_3genE2ELNS1_11target_archE906ELNS1_3gpuE6ELNS1_3repE0EEENS1_30default_config_static_selectorELNS0_4arch9wavefront6targetE1EEEvT1_, .Lfunc_end682-_ZN7rocprim17ROCPRIM_400000_NS6detail17trampoline_kernelINS0_14default_configENS1_27scan_by_key_config_selectorIxxEEZZNS1_16scan_by_key_implILNS1_25lookback_scan_determinismE0ELb0ES3_N6thrust23THRUST_200600_302600_NS6detail15normal_iteratorINS9_10device_ptrIxEEEESE_SE_xNS9_4plusIxEE19head_flag_predicatexEE10hipError_tPvRmT2_T3_T4_T5_mT6_T7_P12ihipStream_tbENKUlT_T0_E_clISt17integral_constantIbLb0EESY_EEDaST_SU_EUlST_E_NS1_11comp_targetILNS1_3genE2ELNS1_11target_archE906ELNS1_3gpuE6ELNS1_3repE0EEENS1_30default_config_static_selectorELNS0_4arch9wavefront6targetE1EEEvT1_
                                        ; -- End function
	.section	.AMDGPU.csdata,"",@progbits
; Kernel info:
; codeLenInByte = 0
; NumSgprs: 6
; NumVgprs: 0
; NumAgprs: 0
; TotalNumVgprs: 0
; ScratchSize: 0
; MemoryBound: 0
; FloatMode: 240
; IeeeMode: 1
; LDSByteSize: 0 bytes/workgroup (compile time only)
; SGPRBlocks: 0
; VGPRBlocks: 0
; NumSGPRsForWavesPerEU: 6
; NumVGPRsForWavesPerEU: 1
; AccumOffset: 4
; Occupancy: 8
; WaveLimiterHint : 0
; COMPUTE_PGM_RSRC2:SCRATCH_EN: 0
; COMPUTE_PGM_RSRC2:USER_SGPR: 2
; COMPUTE_PGM_RSRC2:TRAP_HANDLER: 0
; COMPUTE_PGM_RSRC2:TGID_X_EN: 1
; COMPUTE_PGM_RSRC2:TGID_Y_EN: 0
; COMPUTE_PGM_RSRC2:TGID_Z_EN: 0
; COMPUTE_PGM_RSRC2:TIDIG_COMP_CNT: 0
; COMPUTE_PGM_RSRC3_GFX90A:ACCUM_OFFSET: 0
; COMPUTE_PGM_RSRC3_GFX90A:TG_SPLIT: 0
	.section	.text._ZN7rocprim17ROCPRIM_400000_NS6detail17trampoline_kernelINS0_14default_configENS1_27scan_by_key_config_selectorIxxEEZZNS1_16scan_by_key_implILNS1_25lookback_scan_determinismE0ELb0ES3_N6thrust23THRUST_200600_302600_NS6detail15normal_iteratorINS9_10device_ptrIxEEEESE_SE_xNS9_4plusIxEE19head_flag_predicatexEE10hipError_tPvRmT2_T3_T4_T5_mT6_T7_P12ihipStream_tbENKUlT_T0_E_clISt17integral_constantIbLb0EESY_EEDaST_SU_EUlST_E_NS1_11comp_targetILNS1_3genE10ELNS1_11target_archE1200ELNS1_3gpuE4ELNS1_3repE0EEENS1_30default_config_static_selectorELNS0_4arch9wavefront6targetE1EEEvT1_,"axG",@progbits,_ZN7rocprim17ROCPRIM_400000_NS6detail17trampoline_kernelINS0_14default_configENS1_27scan_by_key_config_selectorIxxEEZZNS1_16scan_by_key_implILNS1_25lookback_scan_determinismE0ELb0ES3_N6thrust23THRUST_200600_302600_NS6detail15normal_iteratorINS9_10device_ptrIxEEEESE_SE_xNS9_4plusIxEE19head_flag_predicatexEE10hipError_tPvRmT2_T3_T4_T5_mT6_T7_P12ihipStream_tbENKUlT_T0_E_clISt17integral_constantIbLb0EESY_EEDaST_SU_EUlST_E_NS1_11comp_targetILNS1_3genE10ELNS1_11target_archE1200ELNS1_3gpuE4ELNS1_3repE0EEENS1_30default_config_static_selectorELNS0_4arch9wavefront6targetE1EEEvT1_,comdat
	.protected	_ZN7rocprim17ROCPRIM_400000_NS6detail17trampoline_kernelINS0_14default_configENS1_27scan_by_key_config_selectorIxxEEZZNS1_16scan_by_key_implILNS1_25lookback_scan_determinismE0ELb0ES3_N6thrust23THRUST_200600_302600_NS6detail15normal_iteratorINS9_10device_ptrIxEEEESE_SE_xNS9_4plusIxEE19head_flag_predicatexEE10hipError_tPvRmT2_T3_T4_T5_mT6_T7_P12ihipStream_tbENKUlT_T0_E_clISt17integral_constantIbLb0EESY_EEDaST_SU_EUlST_E_NS1_11comp_targetILNS1_3genE10ELNS1_11target_archE1200ELNS1_3gpuE4ELNS1_3repE0EEENS1_30default_config_static_selectorELNS0_4arch9wavefront6targetE1EEEvT1_ ; -- Begin function _ZN7rocprim17ROCPRIM_400000_NS6detail17trampoline_kernelINS0_14default_configENS1_27scan_by_key_config_selectorIxxEEZZNS1_16scan_by_key_implILNS1_25lookback_scan_determinismE0ELb0ES3_N6thrust23THRUST_200600_302600_NS6detail15normal_iteratorINS9_10device_ptrIxEEEESE_SE_xNS9_4plusIxEE19head_flag_predicatexEE10hipError_tPvRmT2_T3_T4_T5_mT6_T7_P12ihipStream_tbENKUlT_T0_E_clISt17integral_constantIbLb0EESY_EEDaST_SU_EUlST_E_NS1_11comp_targetILNS1_3genE10ELNS1_11target_archE1200ELNS1_3gpuE4ELNS1_3repE0EEENS1_30default_config_static_selectorELNS0_4arch9wavefront6targetE1EEEvT1_
	.globl	_ZN7rocprim17ROCPRIM_400000_NS6detail17trampoline_kernelINS0_14default_configENS1_27scan_by_key_config_selectorIxxEEZZNS1_16scan_by_key_implILNS1_25lookback_scan_determinismE0ELb0ES3_N6thrust23THRUST_200600_302600_NS6detail15normal_iteratorINS9_10device_ptrIxEEEESE_SE_xNS9_4plusIxEE19head_flag_predicatexEE10hipError_tPvRmT2_T3_T4_T5_mT6_T7_P12ihipStream_tbENKUlT_T0_E_clISt17integral_constantIbLb0EESY_EEDaST_SU_EUlST_E_NS1_11comp_targetILNS1_3genE10ELNS1_11target_archE1200ELNS1_3gpuE4ELNS1_3repE0EEENS1_30default_config_static_selectorELNS0_4arch9wavefront6targetE1EEEvT1_
	.p2align	8
	.type	_ZN7rocprim17ROCPRIM_400000_NS6detail17trampoline_kernelINS0_14default_configENS1_27scan_by_key_config_selectorIxxEEZZNS1_16scan_by_key_implILNS1_25lookback_scan_determinismE0ELb0ES3_N6thrust23THRUST_200600_302600_NS6detail15normal_iteratorINS9_10device_ptrIxEEEESE_SE_xNS9_4plusIxEE19head_flag_predicatexEE10hipError_tPvRmT2_T3_T4_T5_mT6_T7_P12ihipStream_tbENKUlT_T0_E_clISt17integral_constantIbLb0EESY_EEDaST_SU_EUlST_E_NS1_11comp_targetILNS1_3genE10ELNS1_11target_archE1200ELNS1_3gpuE4ELNS1_3repE0EEENS1_30default_config_static_selectorELNS0_4arch9wavefront6targetE1EEEvT1_,@function
_ZN7rocprim17ROCPRIM_400000_NS6detail17trampoline_kernelINS0_14default_configENS1_27scan_by_key_config_selectorIxxEEZZNS1_16scan_by_key_implILNS1_25lookback_scan_determinismE0ELb0ES3_N6thrust23THRUST_200600_302600_NS6detail15normal_iteratorINS9_10device_ptrIxEEEESE_SE_xNS9_4plusIxEE19head_flag_predicatexEE10hipError_tPvRmT2_T3_T4_T5_mT6_T7_P12ihipStream_tbENKUlT_T0_E_clISt17integral_constantIbLb0EESY_EEDaST_SU_EUlST_E_NS1_11comp_targetILNS1_3genE10ELNS1_11target_archE1200ELNS1_3gpuE4ELNS1_3repE0EEENS1_30default_config_static_selectorELNS0_4arch9wavefront6targetE1EEEvT1_: ; @_ZN7rocprim17ROCPRIM_400000_NS6detail17trampoline_kernelINS0_14default_configENS1_27scan_by_key_config_selectorIxxEEZZNS1_16scan_by_key_implILNS1_25lookback_scan_determinismE0ELb0ES3_N6thrust23THRUST_200600_302600_NS6detail15normal_iteratorINS9_10device_ptrIxEEEESE_SE_xNS9_4plusIxEE19head_flag_predicatexEE10hipError_tPvRmT2_T3_T4_T5_mT6_T7_P12ihipStream_tbENKUlT_T0_E_clISt17integral_constantIbLb0EESY_EEDaST_SU_EUlST_E_NS1_11comp_targetILNS1_3genE10ELNS1_11target_archE1200ELNS1_3gpuE4ELNS1_3repE0EEENS1_30default_config_static_selectorELNS0_4arch9wavefront6targetE1EEEvT1_
; %bb.0:
	.section	.rodata,"a",@progbits
	.p2align	6, 0x0
	.amdhsa_kernel _ZN7rocprim17ROCPRIM_400000_NS6detail17trampoline_kernelINS0_14default_configENS1_27scan_by_key_config_selectorIxxEEZZNS1_16scan_by_key_implILNS1_25lookback_scan_determinismE0ELb0ES3_N6thrust23THRUST_200600_302600_NS6detail15normal_iteratorINS9_10device_ptrIxEEEESE_SE_xNS9_4plusIxEE19head_flag_predicatexEE10hipError_tPvRmT2_T3_T4_T5_mT6_T7_P12ihipStream_tbENKUlT_T0_E_clISt17integral_constantIbLb0EESY_EEDaST_SU_EUlST_E_NS1_11comp_targetILNS1_3genE10ELNS1_11target_archE1200ELNS1_3gpuE4ELNS1_3repE0EEENS1_30default_config_static_selectorELNS0_4arch9wavefront6targetE1EEEvT1_
		.amdhsa_group_segment_fixed_size 0
		.amdhsa_private_segment_fixed_size 0
		.amdhsa_kernarg_size 136
		.amdhsa_user_sgpr_count 2
		.amdhsa_user_sgpr_dispatch_ptr 0
		.amdhsa_user_sgpr_queue_ptr 0
		.amdhsa_user_sgpr_kernarg_segment_ptr 1
		.amdhsa_user_sgpr_dispatch_id 0
		.amdhsa_user_sgpr_kernarg_preload_length 0
		.amdhsa_user_sgpr_kernarg_preload_offset 0
		.amdhsa_user_sgpr_private_segment_size 0
		.amdhsa_uses_dynamic_stack 0
		.amdhsa_enable_private_segment 0
		.amdhsa_system_sgpr_workgroup_id_x 1
		.amdhsa_system_sgpr_workgroup_id_y 0
		.amdhsa_system_sgpr_workgroup_id_z 0
		.amdhsa_system_sgpr_workgroup_info 0
		.amdhsa_system_vgpr_workitem_id 0
		.amdhsa_next_free_vgpr 1
		.amdhsa_next_free_sgpr 0
		.amdhsa_accum_offset 4
		.amdhsa_reserve_vcc 0
		.amdhsa_float_round_mode_32 0
		.amdhsa_float_round_mode_16_64 0
		.amdhsa_float_denorm_mode_32 3
		.amdhsa_float_denorm_mode_16_64 3
		.amdhsa_dx10_clamp 1
		.amdhsa_ieee_mode 1
		.amdhsa_fp16_overflow 0
		.amdhsa_tg_split 0
		.amdhsa_exception_fp_ieee_invalid_op 0
		.amdhsa_exception_fp_denorm_src 0
		.amdhsa_exception_fp_ieee_div_zero 0
		.amdhsa_exception_fp_ieee_overflow 0
		.amdhsa_exception_fp_ieee_underflow 0
		.amdhsa_exception_fp_ieee_inexact 0
		.amdhsa_exception_int_div_zero 0
	.end_amdhsa_kernel
	.section	.text._ZN7rocprim17ROCPRIM_400000_NS6detail17trampoline_kernelINS0_14default_configENS1_27scan_by_key_config_selectorIxxEEZZNS1_16scan_by_key_implILNS1_25lookback_scan_determinismE0ELb0ES3_N6thrust23THRUST_200600_302600_NS6detail15normal_iteratorINS9_10device_ptrIxEEEESE_SE_xNS9_4plusIxEE19head_flag_predicatexEE10hipError_tPvRmT2_T3_T4_T5_mT6_T7_P12ihipStream_tbENKUlT_T0_E_clISt17integral_constantIbLb0EESY_EEDaST_SU_EUlST_E_NS1_11comp_targetILNS1_3genE10ELNS1_11target_archE1200ELNS1_3gpuE4ELNS1_3repE0EEENS1_30default_config_static_selectorELNS0_4arch9wavefront6targetE1EEEvT1_,"axG",@progbits,_ZN7rocprim17ROCPRIM_400000_NS6detail17trampoline_kernelINS0_14default_configENS1_27scan_by_key_config_selectorIxxEEZZNS1_16scan_by_key_implILNS1_25lookback_scan_determinismE0ELb0ES3_N6thrust23THRUST_200600_302600_NS6detail15normal_iteratorINS9_10device_ptrIxEEEESE_SE_xNS9_4plusIxEE19head_flag_predicatexEE10hipError_tPvRmT2_T3_T4_T5_mT6_T7_P12ihipStream_tbENKUlT_T0_E_clISt17integral_constantIbLb0EESY_EEDaST_SU_EUlST_E_NS1_11comp_targetILNS1_3genE10ELNS1_11target_archE1200ELNS1_3gpuE4ELNS1_3repE0EEENS1_30default_config_static_selectorELNS0_4arch9wavefront6targetE1EEEvT1_,comdat
.Lfunc_end683:
	.size	_ZN7rocprim17ROCPRIM_400000_NS6detail17trampoline_kernelINS0_14default_configENS1_27scan_by_key_config_selectorIxxEEZZNS1_16scan_by_key_implILNS1_25lookback_scan_determinismE0ELb0ES3_N6thrust23THRUST_200600_302600_NS6detail15normal_iteratorINS9_10device_ptrIxEEEESE_SE_xNS9_4plusIxEE19head_flag_predicatexEE10hipError_tPvRmT2_T3_T4_T5_mT6_T7_P12ihipStream_tbENKUlT_T0_E_clISt17integral_constantIbLb0EESY_EEDaST_SU_EUlST_E_NS1_11comp_targetILNS1_3genE10ELNS1_11target_archE1200ELNS1_3gpuE4ELNS1_3repE0EEENS1_30default_config_static_selectorELNS0_4arch9wavefront6targetE1EEEvT1_, .Lfunc_end683-_ZN7rocprim17ROCPRIM_400000_NS6detail17trampoline_kernelINS0_14default_configENS1_27scan_by_key_config_selectorIxxEEZZNS1_16scan_by_key_implILNS1_25lookback_scan_determinismE0ELb0ES3_N6thrust23THRUST_200600_302600_NS6detail15normal_iteratorINS9_10device_ptrIxEEEESE_SE_xNS9_4plusIxEE19head_flag_predicatexEE10hipError_tPvRmT2_T3_T4_T5_mT6_T7_P12ihipStream_tbENKUlT_T0_E_clISt17integral_constantIbLb0EESY_EEDaST_SU_EUlST_E_NS1_11comp_targetILNS1_3genE10ELNS1_11target_archE1200ELNS1_3gpuE4ELNS1_3repE0EEENS1_30default_config_static_selectorELNS0_4arch9wavefront6targetE1EEEvT1_
                                        ; -- End function
	.section	.AMDGPU.csdata,"",@progbits
; Kernel info:
; codeLenInByte = 0
; NumSgprs: 6
; NumVgprs: 0
; NumAgprs: 0
; TotalNumVgprs: 0
; ScratchSize: 0
; MemoryBound: 0
; FloatMode: 240
; IeeeMode: 1
; LDSByteSize: 0 bytes/workgroup (compile time only)
; SGPRBlocks: 0
; VGPRBlocks: 0
; NumSGPRsForWavesPerEU: 6
; NumVGPRsForWavesPerEU: 1
; AccumOffset: 4
; Occupancy: 8
; WaveLimiterHint : 0
; COMPUTE_PGM_RSRC2:SCRATCH_EN: 0
; COMPUTE_PGM_RSRC2:USER_SGPR: 2
; COMPUTE_PGM_RSRC2:TRAP_HANDLER: 0
; COMPUTE_PGM_RSRC2:TGID_X_EN: 1
; COMPUTE_PGM_RSRC2:TGID_Y_EN: 0
; COMPUTE_PGM_RSRC2:TGID_Z_EN: 0
; COMPUTE_PGM_RSRC2:TIDIG_COMP_CNT: 0
; COMPUTE_PGM_RSRC3_GFX90A:ACCUM_OFFSET: 0
; COMPUTE_PGM_RSRC3_GFX90A:TG_SPLIT: 0
	.section	.text._ZN7rocprim17ROCPRIM_400000_NS6detail17trampoline_kernelINS0_14default_configENS1_27scan_by_key_config_selectorIxxEEZZNS1_16scan_by_key_implILNS1_25lookback_scan_determinismE0ELb0ES3_N6thrust23THRUST_200600_302600_NS6detail15normal_iteratorINS9_10device_ptrIxEEEESE_SE_xNS9_4plusIxEE19head_flag_predicatexEE10hipError_tPvRmT2_T3_T4_T5_mT6_T7_P12ihipStream_tbENKUlT_T0_E_clISt17integral_constantIbLb0EESY_EEDaST_SU_EUlST_E_NS1_11comp_targetILNS1_3genE9ELNS1_11target_archE1100ELNS1_3gpuE3ELNS1_3repE0EEENS1_30default_config_static_selectorELNS0_4arch9wavefront6targetE1EEEvT1_,"axG",@progbits,_ZN7rocprim17ROCPRIM_400000_NS6detail17trampoline_kernelINS0_14default_configENS1_27scan_by_key_config_selectorIxxEEZZNS1_16scan_by_key_implILNS1_25lookback_scan_determinismE0ELb0ES3_N6thrust23THRUST_200600_302600_NS6detail15normal_iteratorINS9_10device_ptrIxEEEESE_SE_xNS9_4plusIxEE19head_flag_predicatexEE10hipError_tPvRmT2_T3_T4_T5_mT6_T7_P12ihipStream_tbENKUlT_T0_E_clISt17integral_constantIbLb0EESY_EEDaST_SU_EUlST_E_NS1_11comp_targetILNS1_3genE9ELNS1_11target_archE1100ELNS1_3gpuE3ELNS1_3repE0EEENS1_30default_config_static_selectorELNS0_4arch9wavefront6targetE1EEEvT1_,comdat
	.protected	_ZN7rocprim17ROCPRIM_400000_NS6detail17trampoline_kernelINS0_14default_configENS1_27scan_by_key_config_selectorIxxEEZZNS1_16scan_by_key_implILNS1_25lookback_scan_determinismE0ELb0ES3_N6thrust23THRUST_200600_302600_NS6detail15normal_iteratorINS9_10device_ptrIxEEEESE_SE_xNS9_4plusIxEE19head_flag_predicatexEE10hipError_tPvRmT2_T3_T4_T5_mT6_T7_P12ihipStream_tbENKUlT_T0_E_clISt17integral_constantIbLb0EESY_EEDaST_SU_EUlST_E_NS1_11comp_targetILNS1_3genE9ELNS1_11target_archE1100ELNS1_3gpuE3ELNS1_3repE0EEENS1_30default_config_static_selectorELNS0_4arch9wavefront6targetE1EEEvT1_ ; -- Begin function _ZN7rocprim17ROCPRIM_400000_NS6detail17trampoline_kernelINS0_14default_configENS1_27scan_by_key_config_selectorIxxEEZZNS1_16scan_by_key_implILNS1_25lookback_scan_determinismE0ELb0ES3_N6thrust23THRUST_200600_302600_NS6detail15normal_iteratorINS9_10device_ptrIxEEEESE_SE_xNS9_4plusIxEE19head_flag_predicatexEE10hipError_tPvRmT2_T3_T4_T5_mT6_T7_P12ihipStream_tbENKUlT_T0_E_clISt17integral_constantIbLb0EESY_EEDaST_SU_EUlST_E_NS1_11comp_targetILNS1_3genE9ELNS1_11target_archE1100ELNS1_3gpuE3ELNS1_3repE0EEENS1_30default_config_static_selectorELNS0_4arch9wavefront6targetE1EEEvT1_
	.globl	_ZN7rocprim17ROCPRIM_400000_NS6detail17trampoline_kernelINS0_14default_configENS1_27scan_by_key_config_selectorIxxEEZZNS1_16scan_by_key_implILNS1_25lookback_scan_determinismE0ELb0ES3_N6thrust23THRUST_200600_302600_NS6detail15normal_iteratorINS9_10device_ptrIxEEEESE_SE_xNS9_4plusIxEE19head_flag_predicatexEE10hipError_tPvRmT2_T3_T4_T5_mT6_T7_P12ihipStream_tbENKUlT_T0_E_clISt17integral_constantIbLb0EESY_EEDaST_SU_EUlST_E_NS1_11comp_targetILNS1_3genE9ELNS1_11target_archE1100ELNS1_3gpuE3ELNS1_3repE0EEENS1_30default_config_static_selectorELNS0_4arch9wavefront6targetE1EEEvT1_
	.p2align	8
	.type	_ZN7rocprim17ROCPRIM_400000_NS6detail17trampoline_kernelINS0_14default_configENS1_27scan_by_key_config_selectorIxxEEZZNS1_16scan_by_key_implILNS1_25lookback_scan_determinismE0ELb0ES3_N6thrust23THRUST_200600_302600_NS6detail15normal_iteratorINS9_10device_ptrIxEEEESE_SE_xNS9_4plusIxEE19head_flag_predicatexEE10hipError_tPvRmT2_T3_T4_T5_mT6_T7_P12ihipStream_tbENKUlT_T0_E_clISt17integral_constantIbLb0EESY_EEDaST_SU_EUlST_E_NS1_11comp_targetILNS1_3genE9ELNS1_11target_archE1100ELNS1_3gpuE3ELNS1_3repE0EEENS1_30default_config_static_selectorELNS0_4arch9wavefront6targetE1EEEvT1_,@function
_ZN7rocprim17ROCPRIM_400000_NS6detail17trampoline_kernelINS0_14default_configENS1_27scan_by_key_config_selectorIxxEEZZNS1_16scan_by_key_implILNS1_25lookback_scan_determinismE0ELb0ES3_N6thrust23THRUST_200600_302600_NS6detail15normal_iteratorINS9_10device_ptrIxEEEESE_SE_xNS9_4plusIxEE19head_flag_predicatexEE10hipError_tPvRmT2_T3_T4_T5_mT6_T7_P12ihipStream_tbENKUlT_T0_E_clISt17integral_constantIbLb0EESY_EEDaST_SU_EUlST_E_NS1_11comp_targetILNS1_3genE9ELNS1_11target_archE1100ELNS1_3gpuE3ELNS1_3repE0EEENS1_30default_config_static_selectorELNS0_4arch9wavefront6targetE1EEEvT1_: ; @_ZN7rocprim17ROCPRIM_400000_NS6detail17trampoline_kernelINS0_14default_configENS1_27scan_by_key_config_selectorIxxEEZZNS1_16scan_by_key_implILNS1_25lookback_scan_determinismE0ELb0ES3_N6thrust23THRUST_200600_302600_NS6detail15normal_iteratorINS9_10device_ptrIxEEEESE_SE_xNS9_4plusIxEE19head_flag_predicatexEE10hipError_tPvRmT2_T3_T4_T5_mT6_T7_P12ihipStream_tbENKUlT_T0_E_clISt17integral_constantIbLb0EESY_EEDaST_SU_EUlST_E_NS1_11comp_targetILNS1_3genE9ELNS1_11target_archE1100ELNS1_3gpuE3ELNS1_3repE0EEENS1_30default_config_static_selectorELNS0_4arch9wavefront6targetE1EEEvT1_
; %bb.0:
	.section	.rodata,"a",@progbits
	.p2align	6, 0x0
	.amdhsa_kernel _ZN7rocprim17ROCPRIM_400000_NS6detail17trampoline_kernelINS0_14default_configENS1_27scan_by_key_config_selectorIxxEEZZNS1_16scan_by_key_implILNS1_25lookback_scan_determinismE0ELb0ES3_N6thrust23THRUST_200600_302600_NS6detail15normal_iteratorINS9_10device_ptrIxEEEESE_SE_xNS9_4plusIxEE19head_flag_predicatexEE10hipError_tPvRmT2_T3_T4_T5_mT6_T7_P12ihipStream_tbENKUlT_T0_E_clISt17integral_constantIbLb0EESY_EEDaST_SU_EUlST_E_NS1_11comp_targetILNS1_3genE9ELNS1_11target_archE1100ELNS1_3gpuE3ELNS1_3repE0EEENS1_30default_config_static_selectorELNS0_4arch9wavefront6targetE1EEEvT1_
		.amdhsa_group_segment_fixed_size 0
		.amdhsa_private_segment_fixed_size 0
		.amdhsa_kernarg_size 136
		.amdhsa_user_sgpr_count 2
		.amdhsa_user_sgpr_dispatch_ptr 0
		.amdhsa_user_sgpr_queue_ptr 0
		.amdhsa_user_sgpr_kernarg_segment_ptr 1
		.amdhsa_user_sgpr_dispatch_id 0
		.amdhsa_user_sgpr_kernarg_preload_length 0
		.amdhsa_user_sgpr_kernarg_preload_offset 0
		.amdhsa_user_sgpr_private_segment_size 0
		.amdhsa_uses_dynamic_stack 0
		.amdhsa_enable_private_segment 0
		.amdhsa_system_sgpr_workgroup_id_x 1
		.amdhsa_system_sgpr_workgroup_id_y 0
		.amdhsa_system_sgpr_workgroup_id_z 0
		.amdhsa_system_sgpr_workgroup_info 0
		.amdhsa_system_vgpr_workitem_id 0
		.amdhsa_next_free_vgpr 1
		.amdhsa_next_free_sgpr 0
		.amdhsa_accum_offset 4
		.amdhsa_reserve_vcc 0
		.amdhsa_float_round_mode_32 0
		.amdhsa_float_round_mode_16_64 0
		.amdhsa_float_denorm_mode_32 3
		.amdhsa_float_denorm_mode_16_64 3
		.amdhsa_dx10_clamp 1
		.amdhsa_ieee_mode 1
		.amdhsa_fp16_overflow 0
		.amdhsa_tg_split 0
		.amdhsa_exception_fp_ieee_invalid_op 0
		.amdhsa_exception_fp_denorm_src 0
		.amdhsa_exception_fp_ieee_div_zero 0
		.amdhsa_exception_fp_ieee_overflow 0
		.amdhsa_exception_fp_ieee_underflow 0
		.amdhsa_exception_fp_ieee_inexact 0
		.amdhsa_exception_int_div_zero 0
	.end_amdhsa_kernel
	.section	.text._ZN7rocprim17ROCPRIM_400000_NS6detail17trampoline_kernelINS0_14default_configENS1_27scan_by_key_config_selectorIxxEEZZNS1_16scan_by_key_implILNS1_25lookback_scan_determinismE0ELb0ES3_N6thrust23THRUST_200600_302600_NS6detail15normal_iteratorINS9_10device_ptrIxEEEESE_SE_xNS9_4plusIxEE19head_flag_predicatexEE10hipError_tPvRmT2_T3_T4_T5_mT6_T7_P12ihipStream_tbENKUlT_T0_E_clISt17integral_constantIbLb0EESY_EEDaST_SU_EUlST_E_NS1_11comp_targetILNS1_3genE9ELNS1_11target_archE1100ELNS1_3gpuE3ELNS1_3repE0EEENS1_30default_config_static_selectorELNS0_4arch9wavefront6targetE1EEEvT1_,"axG",@progbits,_ZN7rocprim17ROCPRIM_400000_NS6detail17trampoline_kernelINS0_14default_configENS1_27scan_by_key_config_selectorIxxEEZZNS1_16scan_by_key_implILNS1_25lookback_scan_determinismE0ELb0ES3_N6thrust23THRUST_200600_302600_NS6detail15normal_iteratorINS9_10device_ptrIxEEEESE_SE_xNS9_4plusIxEE19head_flag_predicatexEE10hipError_tPvRmT2_T3_T4_T5_mT6_T7_P12ihipStream_tbENKUlT_T0_E_clISt17integral_constantIbLb0EESY_EEDaST_SU_EUlST_E_NS1_11comp_targetILNS1_3genE9ELNS1_11target_archE1100ELNS1_3gpuE3ELNS1_3repE0EEENS1_30default_config_static_selectorELNS0_4arch9wavefront6targetE1EEEvT1_,comdat
.Lfunc_end684:
	.size	_ZN7rocprim17ROCPRIM_400000_NS6detail17trampoline_kernelINS0_14default_configENS1_27scan_by_key_config_selectorIxxEEZZNS1_16scan_by_key_implILNS1_25lookback_scan_determinismE0ELb0ES3_N6thrust23THRUST_200600_302600_NS6detail15normal_iteratorINS9_10device_ptrIxEEEESE_SE_xNS9_4plusIxEE19head_flag_predicatexEE10hipError_tPvRmT2_T3_T4_T5_mT6_T7_P12ihipStream_tbENKUlT_T0_E_clISt17integral_constantIbLb0EESY_EEDaST_SU_EUlST_E_NS1_11comp_targetILNS1_3genE9ELNS1_11target_archE1100ELNS1_3gpuE3ELNS1_3repE0EEENS1_30default_config_static_selectorELNS0_4arch9wavefront6targetE1EEEvT1_, .Lfunc_end684-_ZN7rocprim17ROCPRIM_400000_NS6detail17trampoline_kernelINS0_14default_configENS1_27scan_by_key_config_selectorIxxEEZZNS1_16scan_by_key_implILNS1_25lookback_scan_determinismE0ELb0ES3_N6thrust23THRUST_200600_302600_NS6detail15normal_iteratorINS9_10device_ptrIxEEEESE_SE_xNS9_4plusIxEE19head_flag_predicatexEE10hipError_tPvRmT2_T3_T4_T5_mT6_T7_P12ihipStream_tbENKUlT_T0_E_clISt17integral_constantIbLb0EESY_EEDaST_SU_EUlST_E_NS1_11comp_targetILNS1_3genE9ELNS1_11target_archE1100ELNS1_3gpuE3ELNS1_3repE0EEENS1_30default_config_static_selectorELNS0_4arch9wavefront6targetE1EEEvT1_
                                        ; -- End function
	.section	.AMDGPU.csdata,"",@progbits
; Kernel info:
; codeLenInByte = 0
; NumSgprs: 6
; NumVgprs: 0
; NumAgprs: 0
; TotalNumVgprs: 0
; ScratchSize: 0
; MemoryBound: 0
; FloatMode: 240
; IeeeMode: 1
; LDSByteSize: 0 bytes/workgroup (compile time only)
; SGPRBlocks: 0
; VGPRBlocks: 0
; NumSGPRsForWavesPerEU: 6
; NumVGPRsForWavesPerEU: 1
; AccumOffset: 4
; Occupancy: 8
; WaveLimiterHint : 0
; COMPUTE_PGM_RSRC2:SCRATCH_EN: 0
; COMPUTE_PGM_RSRC2:USER_SGPR: 2
; COMPUTE_PGM_RSRC2:TRAP_HANDLER: 0
; COMPUTE_PGM_RSRC2:TGID_X_EN: 1
; COMPUTE_PGM_RSRC2:TGID_Y_EN: 0
; COMPUTE_PGM_RSRC2:TGID_Z_EN: 0
; COMPUTE_PGM_RSRC2:TIDIG_COMP_CNT: 0
; COMPUTE_PGM_RSRC3_GFX90A:ACCUM_OFFSET: 0
; COMPUTE_PGM_RSRC3_GFX90A:TG_SPLIT: 0
	.section	.text._ZN7rocprim17ROCPRIM_400000_NS6detail17trampoline_kernelINS0_14default_configENS1_27scan_by_key_config_selectorIxxEEZZNS1_16scan_by_key_implILNS1_25lookback_scan_determinismE0ELb0ES3_N6thrust23THRUST_200600_302600_NS6detail15normal_iteratorINS9_10device_ptrIxEEEESE_SE_xNS9_4plusIxEE19head_flag_predicatexEE10hipError_tPvRmT2_T3_T4_T5_mT6_T7_P12ihipStream_tbENKUlT_T0_E_clISt17integral_constantIbLb0EESY_EEDaST_SU_EUlST_E_NS1_11comp_targetILNS1_3genE8ELNS1_11target_archE1030ELNS1_3gpuE2ELNS1_3repE0EEENS1_30default_config_static_selectorELNS0_4arch9wavefront6targetE1EEEvT1_,"axG",@progbits,_ZN7rocprim17ROCPRIM_400000_NS6detail17trampoline_kernelINS0_14default_configENS1_27scan_by_key_config_selectorIxxEEZZNS1_16scan_by_key_implILNS1_25lookback_scan_determinismE0ELb0ES3_N6thrust23THRUST_200600_302600_NS6detail15normal_iteratorINS9_10device_ptrIxEEEESE_SE_xNS9_4plusIxEE19head_flag_predicatexEE10hipError_tPvRmT2_T3_T4_T5_mT6_T7_P12ihipStream_tbENKUlT_T0_E_clISt17integral_constantIbLb0EESY_EEDaST_SU_EUlST_E_NS1_11comp_targetILNS1_3genE8ELNS1_11target_archE1030ELNS1_3gpuE2ELNS1_3repE0EEENS1_30default_config_static_selectorELNS0_4arch9wavefront6targetE1EEEvT1_,comdat
	.protected	_ZN7rocprim17ROCPRIM_400000_NS6detail17trampoline_kernelINS0_14default_configENS1_27scan_by_key_config_selectorIxxEEZZNS1_16scan_by_key_implILNS1_25lookback_scan_determinismE0ELb0ES3_N6thrust23THRUST_200600_302600_NS6detail15normal_iteratorINS9_10device_ptrIxEEEESE_SE_xNS9_4plusIxEE19head_flag_predicatexEE10hipError_tPvRmT2_T3_T4_T5_mT6_T7_P12ihipStream_tbENKUlT_T0_E_clISt17integral_constantIbLb0EESY_EEDaST_SU_EUlST_E_NS1_11comp_targetILNS1_3genE8ELNS1_11target_archE1030ELNS1_3gpuE2ELNS1_3repE0EEENS1_30default_config_static_selectorELNS0_4arch9wavefront6targetE1EEEvT1_ ; -- Begin function _ZN7rocprim17ROCPRIM_400000_NS6detail17trampoline_kernelINS0_14default_configENS1_27scan_by_key_config_selectorIxxEEZZNS1_16scan_by_key_implILNS1_25lookback_scan_determinismE0ELb0ES3_N6thrust23THRUST_200600_302600_NS6detail15normal_iteratorINS9_10device_ptrIxEEEESE_SE_xNS9_4plusIxEE19head_flag_predicatexEE10hipError_tPvRmT2_T3_T4_T5_mT6_T7_P12ihipStream_tbENKUlT_T0_E_clISt17integral_constantIbLb0EESY_EEDaST_SU_EUlST_E_NS1_11comp_targetILNS1_3genE8ELNS1_11target_archE1030ELNS1_3gpuE2ELNS1_3repE0EEENS1_30default_config_static_selectorELNS0_4arch9wavefront6targetE1EEEvT1_
	.globl	_ZN7rocprim17ROCPRIM_400000_NS6detail17trampoline_kernelINS0_14default_configENS1_27scan_by_key_config_selectorIxxEEZZNS1_16scan_by_key_implILNS1_25lookback_scan_determinismE0ELb0ES3_N6thrust23THRUST_200600_302600_NS6detail15normal_iteratorINS9_10device_ptrIxEEEESE_SE_xNS9_4plusIxEE19head_flag_predicatexEE10hipError_tPvRmT2_T3_T4_T5_mT6_T7_P12ihipStream_tbENKUlT_T0_E_clISt17integral_constantIbLb0EESY_EEDaST_SU_EUlST_E_NS1_11comp_targetILNS1_3genE8ELNS1_11target_archE1030ELNS1_3gpuE2ELNS1_3repE0EEENS1_30default_config_static_selectorELNS0_4arch9wavefront6targetE1EEEvT1_
	.p2align	8
	.type	_ZN7rocprim17ROCPRIM_400000_NS6detail17trampoline_kernelINS0_14default_configENS1_27scan_by_key_config_selectorIxxEEZZNS1_16scan_by_key_implILNS1_25lookback_scan_determinismE0ELb0ES3_N6thrust23THRUST_200600_302600_NS6detail15normal_iteratorINS9_10device_ptrIxEEEESE_SE_xNS9_4plusIxEE19head_flag_predicatexEE10hipError_tPvRmT2_T3_T4_T5_mT6_T7_P12ihipStream_tbENKUlT_T0_E_clISt17integral_constantIbLb0EESY_EEDaST_SU_EUlST_E_NS1_11comp_targetILNS1_3genE8ELNS1_11target_archE1030ELNS1_3gpuE2ELNS1_3repE0EEENS1_30default_config_static_selectorELNS0_4arch9wavefront6targetE1EEEvT1_,@function
_ZN7rocprim17ROCPRIM_400000_NS6detail17trampoline_kernelINS0_14default_configENS1_27scan_by_key_config_selectorIxxEEZZNS1_16scan_by_key_implILNS1_25lookback_scan_determinismE0ELb0ES3_N6thrust23THRUST_200600_302600_NS6detail15normal_iteratorINS9_10device_ptrIxEEEESE_SE_xNS9_4plusIxEE19head_flag_predicatexEE10hipError_tPvRmT2_T3_T4_T5_mT6_T7_P12ihipStream_tbENKUlT_T0_E_clISt17integral_constantIbLb0EESY_EEDaST_SU_EUlST_E_NS1_11comp_targetILNS1_3genE8ELNS1_11target_archE1030ELNS1_3gpuE2ELNS1_3repE0EEENS1_30default_config_static_selectorELNS0_4arch9wavefront6targetE1EEEvT1_: ; @_ZN7rocprim17ROCPRIM_400000_NS6detail17trampoline_kernelINS0_14default_configENS1_27scan_by_key_config_selectorIxxEEZZNS1_16scan_by_key_implILNS1_25lookback_scan_determinismE0ELb0ES3_N6thrust23THRUST_200600_302600_NS6detail15normal_iteratorINS9_10device_ptrIxEEEESE_SE_xNS9_4plusIxEE19head_flag_predicatexEE10hipError_tPvRmT2_T3_T4_T5_mT6_T7_P12ihipStream_tbENKUlT_T0_E_clISt17integral_constantIbLb0EESY_EEDaST_SU_EUlST_E_NS1_11comp_targetILNS1_3genE8ELNS1_11target_archE1030ELNS1_3gpuE2ELNS1_3repE0EEENS1_30default_config_static_selectorELNS0_4arch9wavefront6targetE1EEEvT1_
; %bb.0:
	.section	.rodata,"a",@progbits
	.p2align	6, 0x0
	.amdhsa_kernel _ZN7rocprim17ROCPRIM_400000_NS6detail17trampoline_kernelINS0_14default_configENS1_27scan_by_key_config_selectorIxxEEZZNS1_16scan_by_key_implILNS1_25lookback_scan_determinismE0ELb0ES3_N6thrust23THRUST_200600_302600_NS6detail15normal_iteratorINS9_10device_ptrIxEEEESE_SE_xNS9_4plusIxEE19head_flag_predicatexEE10hipError_tPvRmT2_T3_T4_T5_mT6_T7_P12ihipStream_tbENKUlT_T0_E_clISt17integral_constantIbLb0EESY_EEDaST_SU_EUlST_E_NS1_11comp_targetILNS1_3genE8ELNS1_11target_archE1030ELNS1_3gpuE2ELNS1_3repE0EEENS1_30default_config_static_selectorELNS0_4arch9wavefront6targetE1EEEvT1_
		.amdhsa_group_segment_fixed_size 0
		.amdhsa_private_segment_fixed_size 0
		.amdhsa_kernarg_size 136
		.amdhsa_user_sgpr_count 2
		.amdhsa_user_sgpr_dispatch_ptr 0
		.amdhsa_user_sgpr_queue_ptr 0
		.amdhsa_user_sgpr_kernarg_segment_ptr 1
		.amdhsa_user_sgpr_dispatch_id 0
		.amdhsa_user_sgpr_kernarg_preload_length 0
		.amdhsa_user_sgpr_kernarg_preload_offset 0
		.amdhsa_user_sgpr_private_segment_size 0
		.amdhsa_uses_dynamic_stack 0
		.amdhsa_enable_private_segment 0
		.amdhsa_system_sgpr_workgroup_id_x 1
		.amdhsa_system_sgpr_workgroup_id_y 0
		.amdhsa_system_sgpr_workgroup_id_z 0
		.amdhsa_system_sgpr_workgroup_info 0
		.amdhsa_system_vgpr_workitem_id 0
		.amdhsa_next_free_vgpr 1
		.amdhsa_next_free_sgpr 0
		.amdhsa_accum_offset 4
		.amdhsa_reserve_vcc 0
		.amdhsa_float_round_mode_32 0
		.amdhsa_float_round_mode_16_64 0
		.amdhsa_float_denorm_mode_32 3
		.amdhsa_float_denorm_mode_16_64 3
		.amdhsa_dx10_clamp 1
		.amdhsa_ieee_mode 1
		.amdhsa_fp16_overflow 0
		.amdhsa_tg_split 0
		.amdhsa_exception_fp_ieee_invalid_op 0
		.amdhsa_exception_fp_denorm_src 0
		.amdhsa_exception_fp_ieee_div_zero 0
		.amdhsa_exception_fp_ieee_overflow 0
		.amdhsa_exception_fp_ieee_underflow 0
		.amdhsa_exception_fp_ieee_inexact 0
		.amdhsa_exception_int_div_zero 0
	.end_amdhsa_kernel
	.section	.text._ZN7rocprim17ROCPRIM_400000_NS6detail17trampoline_kernelINS0_14default_configENS1_27scan_by_key_config_selectorIxxEEZZNS1_16scan_by_key_implILNS1_25lookback_scan_determinismE0ELb0ES3_N6thrust23THRUST_200600_302600_NS6detail15normal_iteratorINS9_10device_ptrIxEEEESE_SE_xNS9_4plusIxEE19head_flag_predicatexEE10hipError_tPvRmT2_T3_T4_T5_mT6_T7_P12ihipStream_tbENKUlT_T0_E_clISt17integral_constantIbLb0EESY_EEDaST_SU_EUlST_E_NS1_11comp_targetILNS1_3genE8ELNS1_11target_archE1030ELNS1_3gpuE2ELNS1_3repE0EEENS1_30default_config_static_selectorELNS0_4arch9wavefront6targetE1EEEvT1_,"axG",@progbits,_ZN7rocprim17ROCPRIM_400000_NS6detail17trampoline_kernelINS0_14default_configENS1_27scan_by_key_config_selectorIxxEEZZNS1_16scan_by_key_implILNS1_25lookback_scan_determinismE0ELb0ES3_N6thrust23THRUST_200600_302600_NS6detail15normal_iteratorINS9_10device_ptrIxEEEESE_SE_xNS9_4plusIxEE19head_flag_predicatexEE10hipError_tPvRmT2_T3_T4_T5_mT6_T7_P12ihipStream_tbENKUlT_T0_E_clISt17integral_constantIbLb0EESY_EEDaST_SU_EUlST_E_NS1_11comp_targetILNS1_3genE8ELNS1_11target_archE1030ELNS1_3gpuE2ELNS1_3repE0EEENS1_30default_config_static_selectorELNS0_4arch9wavefront6targetE1EEEvT1_,comdat
.Lfunc_end685:
	.size	_ZN7rocprim17ROCPRIM_400000_NS6detail17trampoline_kernelINS0_14default_configENS1_27scan_by_key_config_selectorIxxEEZZNS1_16scan_by_key_implILNS1_25lookback_scan_determinismE0ELb0ES3_N6thrust23THRUST_200600_302600_NS6detail15normal_iteratorINS9_10device_ptrIxEEEESE_SE_xNS9_4plusIxEE19head_flag_predicatexEE10hipError_tPvRmT2_T3_T4_T5_mT6_T7_P12ihipStream_tbENKUlT_T0_E_clISt17integral_constantIbLb0EESY_EEDaST_SU_EUlST_E_NS1_11comp_targetILNS1_3genE8ELNS1_11target_archE1030ELNS1_3gpuE2ELNS1_3repE0EEENS1_30default_config_static_selectorELNS0_4arch9wavefront6targetE1EEEvT1_, .Lfunc_end685-_ZN7rocprim17ROCPRIM_400000_NS6detail17trampoline_kernelINS0_14default_configENS1_27scan_by_key_config_selectorIxxEEZZNS1_16scan_by_key_implILNS1_25lookback_scan_determinismE0ELb0ES3_N6thrust23THRUST_200600_302600_NS6detail15normal_iteratorINS9_10device_ptrIxEEEESE_SE_xNS9_4plusIxEE19head_flag_predicatexEE10hipError_tPvRmT2_T3_T4_T5_mT6_T7_P12ihipStream_tbENKUlT_T0_E_clISt17integral_constantIbLb0EESY_EEDaST_SU_EUlST_E_NS1_11comp_targetILNS1_3genE8ELNS1_11target_archE1030ELNS1_3gpuE2ELNS1_3repE0EEENS1_30default_config_static_selectorELNS0_4arch9wavefront6targetE1EEEvT1_
                                        ; -- End function
	.section	.AMDGPU.csdata,"",@progbits
; Kernel info:
; codeLenInByte = 0
; NumSgprs: 6
; NumVgprs: 0
; NumAgprs: 0
; TotalNumVgprs: 0
; ScratchSize: 0
; MemoryBound: 0
; FloatMode: 240
; IeeeMode: 1
; LDSByteSize: 0 bytes/workgroup (compile time only)
; SGPRBlocks: 0
; VGPRBlocks: 0
; NumSGPRsForWavesPerEU: 6
; NumVGPRsForWavesPerEU: 1
; AccumOffset: 4
; Occupancy: 8
; WaveLimiterHint : 0
; COMPUTE_PGM_RSRC2:SCRATCH_EN: 0
; COMPUTE_PGM_RSRC2:USER_SGPR: 2
; COMPUTE_PGM_RSRC2:TRAP_HANDLER: 0
; COMPUTE_PGM_RSRC2:TGID_X_EN: 1
; COMPUTE_PGM_RSRC2:TGID_Y_EN: 0
; COMPUTE_PGM_RSRC2:TGID_Z_EN: 0
; COMPUTE_PGM_RSRC2:TIDIG_COMP_CNT: 0
; COMPUTE_PGM_RSRC3_GFX90A:ACCUM_OFFSET: 0
; COMPUTE_PGM_RSRC3_GFX90A:TG_SPLIT: 0
	.section	.text._ZN7rocprim17ROCPRIM_400000_NS6detail17trampoline_kernelINS0_14default_configENS1_27scan_by_key_config_selectorIxxEEZZNS1_16scan_by_key_implILNS1_25lookback_scan_determinismE0ELb0ES3_N6thrust23THRUST_200600_302600_NS6detail15normal_iteratorINS9_10device_ptrIxEEEESE_SE_xNS9_4plusIxEE19head_flag_predicatexEE10hipError_tPvRmT2_T3_T4_T5_mT6_T7_P12ihipStream_tbENKUlT_T0_E_clISt17integral_constantIbLb1EESY_EEDaST_SU_EUlST_E_NS1_11comp_targetILNS1_3genE0ELNS1_11target_archE4294967295ELNS1_3gpuE0ELNS1_3repE0EEENS1_30default_config_static_selectorELNS0_4arch9wavefront6targetE1EEEvT1_,"axG",@progbits,_ZN7rocprim17ROCPRIM_400000_NS6detail17trampoline_kernelINS0_14default_configENS1_27scan_by_key_config_selectorIxxEEZZNS1_16scan_by_key_implILNS1_25lookback_scan_determinismE0ELb0ES3_N6thrust23THRUST_200600_302600_NS6detail15normal_iteratorINS9_10device_ptrIxEEEESE_SE_xNS9_4plusIxEE19head_flag_predicatexEE10hipError_tPvRmT2_T3_T4_T5_mT6_T7_P12ihipStream_tbENKUlT_T0_E_clISt17integral_constantIbLb1EESY_EEDaST_SU_EUlST_E_NS1_11comp_targetILNS1_3genE0ELNS1_11target_archE4294967295ELNS1_3gpuE0ELNS1_3repE0EEENS1_30default_config_static_selectorELNS0_4arch9wavefront6targetE1EEEvT1_,comdat
	.protected	_ZN7rocprim17ROCPRIM_400000_NS6detail17trampoline_kernelINS0_14default_configENS1_27scan_by_key_config_selectorIxxEEZZNS1_16scan_by_key_implILNS1_25lookback_scan_determinismE0ELb0ES3_N6thrust23THRUST_200600_302600_NS6detail15normal_iteratorINS9_10device_ptrIxEEEESE_SE_xNS9_4plusIxEE19head_flag_predicatexEE10hipError_tPvRmT2_T3_T4_T5_mT6_T7_P12ihipStream_tbENKUlT_T0_E_clISt17integral_constantIbLb1EESY_EEDaST_SU_EUlST_E_NS1_11comp_targetILNS1_3genE0ELNS1_11target_archE4294967295ELNS1_3gpuE0ELNS1_3repE0EEENS1_30default_config_static_selectorELNS0_4arch9wavefront6targetE1EEEvT1_ ; -- Begin function _ZN7rocprim17ROCPRIM_400000_NS6detail17trampoline_kernelINS0_14default_configENS1_27scan_by_key_config_selectorIxxEEZZNS1_16scan_by_key_implILNS1_25lookback_scan_determinismE0ELb0ES3_N6thrust23THRUST_200600_302600_NS6detail15normal_iteratorINS9_10device_ptrIxEEEESE_SE_xNS9_4plusIxEE19head_flag_predicatexEE10hipError_tPvRmT2_T3_T4_T5_mT6_T7_P12ihipStream_tbENKUlT_T0_E_clISt17integral_constantIbLb1EESY_EEDaST_SU_EUlST_E_NS1_11comp_targetILNS1_3genE0ELNS1_11target_archE4294967295ELNS1_3gpuE0ELNS1_3repE0EEENS1_30default_config_static_selectorELNS0_4arch9wavefront6targetE1EEEvT1_
	.globl	_ZN7rocprim17ROCPRIM_400000_NS6detail17trampoline_kernelINS0_14default_configENS1_27scan_by_key_config_selectorIxxEEZZNS1_16scan_by_key_implILNS1_25lookback_scan_determinismE0ELb0ES3_N6thrust23THRUST_200600_302600_NS6detail15normal_iteratorINS9_10device_ptrIxEEEESE_SE_xNS9_4plusIxEE19head_flag_predicatexEE10hipError_tPvRmT2_T3_T4_T5_mT6_T7_P12ihipStream_tbENKUlT_T0_E_clISt17integral_constantIbLb1EESY_EEDaST_SU_EUlST_E_NS1_11comp_targetILNS1_3genE0ELNS1_11target_archE4294967295ELNS1_3gpuE0ELNS1_3repE0EEENS1_30default_config_static_selectorELNS0_4arch9wavefront6targetE1EEEvT1_
	.p2align	8
	.type	_ZN7rocprim17ROCPRIM_400000_NS6detail17trampoline_kernelINS0_14default_configENS1_27scan_by_key_config_selectorIxxEEZZNS1_16scan_by_key_implILNS1_25lookback_scan_determinismE0ELb0ES3_N6thrust23THRUST_200600_302600_NS6detail15normal_iteratorINS9_10device_ptrIxEEEESE_SE_xNS9_4plusIxEE19head_flag_predicatexEE10hipError_tPvRmT2_T3_T4_T5_mT6_T7_P12ihipStream_tbENKUlT_T0_E_clISt17integral_constantIbLb1EESY_EEDaST_SU_EUlST_E_NS1_11comp_targetILNS1_3genE0ELNS1_11target_archE4294967295ELNS1_3gpuE0ELNS1_3repE0EEENS1_30default_config_static_selectorELNS0_4arch9wavefront6targetE1EEEvT1_,@function
_ZN7rocprim17ROCPRIM_400000_NS6detail17trampoline_kernelINS0_14default_configENS1_27scan_by_key_config_selectorIxxEEZZNS1_16scan_by_key_implILNS1_25lookback_scan_determinismE0ELb0ES3_N6thrust23THRUST_200600_302600_NS6detail15normal_iteratorINS9_10device_ptrIxEEEESE_SE_xNS9_4plusIxEE19head_flag_predicatexEE10hipError_tPvRmT2_T3_T4_T5_mT6_T7_P12ihipStream_tbENKUlT_T0_E_clISt17integral_constantIbLb1EESY_EEDaST_SU_EUlST_E_NS1_11comp_targetILNS1_3genE0ELNS1_11target_archE4294967295ELNS1_3gpuE0ELNS1_3repE0EEENS1_30default_config_static_selectorELNS0_4arch9wavefront6targetE1EEEvT1_: ; @_ZN7rocprim17ROCPRIM_400000_NS6detail17trampoline_kernelINS0_14default_configENS1_27scan_by_key_config_selectorIxxEEZZNS1_16scan_by_key_implILNS1_25lookback_scan_determinismE0ELb0ES3_N6thrust23THRUST_200600_302600_NS6detail15normal_iteratorINS9_10device_ptrIxEEEESE_SE_xNS9_4plusIxEE19head_flag_predicatexEE10hipError_tPvRmT2_T3_T4_T5_mT6_T7_P12ihipStream_tbENKUlT_T0_E_clISt17integral_constantIbLb1EESY_EEDaST_SU_EUlST_E_NS1_11comp_targetILNS1_3genE0ELNS1_11target_archE4294967295ELNS1_3gpuE0ELNS1_3repE0EEENS1_30default_config_static_selectorELNS0_4arch9wavefront6targetE1EEEvT1_
; %bb.0:
	.section	.rodata,"a",@progbits
	.p2align	6, 0x0
	.amdhsa_kernel _ZN7rocprim17ROCPRIM_400000_NS6detail17trampoline_kernelINS0_14default_configENS1_27scan_by_key_config_selectorIxxEEZZNS1_16scan_by_key_implILNS1_25lookback_scan_determinismE0ELb0ES3_N6thrust23THRUST_200600_302600_NS6detail15normal_iteratorINS9_10device_ptrIxEEEESE_SE_xNS9_4plusIxEE19head_flag_predicatexEE10hipError_tPvRmT2_T3_T4_T5_mT6_T7_P12ihipStream_tbENKUlT_T0_E_clISt17integral_constantIbLb1EESY_EEDaST_SU_EUlST_E_NS1_11comp_targetILNS1_3genE0ELNS1_11target_archE4294967295ELNS1_3gpuE0ELNS1_3repE0EEENS1_30default_config_static_selectorELNS0_4arch9wavefront6targetE1EEEvT1_
		.amdhsa_group_segment_fixed_size 0
		.amdhsa_private_segment_fixed_size 0
		.amdhsa_kernarg_size 136
		.amdhsa_user_sgpr_count 2
		.amdhsa_user_sgpr_dispatch_ptr 0
		.amdhsa_user_sgpr_queue_ptr 0
		.amdhsa_user_sgpr_kernarg_segment_ptr 1
		.amdhsa_user_sgpr_dispatch_id 0
		.amdhsa_user_sgpr_kernarg_preload_length 0
		.amdhsa_user_sgpr_kernarg_preload_offset 0
		.amdhsa_user_sgpr_private_segment_size 0
		.amdhsa_uses_dynamic_stack 0
		.amdhsa_enable_private_segment 0
		.amdhsa_system_sgpr_workgroup_id_x 1
		.amdhsa_system_sgpr_workgroup_id_y 0
		.amdhsa_system_sgpr_workgroup_id_z 0
		.amdhsa_system_sgpr_workgroup_info 0
		.amdhsa_system_vgpr_workitem_id 0
		.amdhsa_next_free_vgpr 1
		.amdhsa_next_free_sgpr 0
		.amdhsa_accum_offset 4
		.amdhsa_reserve_vcc 0
		.amdhsa_float_round_mode_32 0
		.amdhsa_float_round_mode_16_64 0
		.amdhsa_float_denorm_mode_32 3
		.amdhsa_float_denorm_mode_16_64 3
		.amdhsa_dx10_clamp 1
		.amdhsa_ieee_mode 1
		.amdhsa_fp16_overflow 0
		.amdhsa_tg_split 0
		.amdhsa_exception_fp_ieee_invalid_op 0
		.amdhsa_exception_fp_denorm_src 0
		.amdhsa_exception_fp_ieee_div_zero 0
		.amdhsa_exception_fp_ieee_overflow 0
		.amdhsa_exception_fp_ieee_underflow 0
		.amdhsa_exception_fp_ieee_inexact 0
		.amdhsa_exception_int_div_zero 0
	.end_amdhsa_kernel
	.section	.text._ZN7rocprim17ROCPRIM_400000_NS6detail17trampoline_kernelINS0_14default_configENS1_27scan_by_key_config_selectorIxxEEZZNS1_16scan_by_key_implILNS1_25lookback_scan_determinismE0ELb0ES3_N6thrust23THRUST_200600_302600_NS6detail15normal_iteratorINS9_10device_ptrIxEEEESE_SE_xNS9_4plusIxEE19head_flag_predicatexEE10hipError_tPvRmT2_T3_T4_T5_mT6_T7_P12ihipStream_tbENKUlT_T0_E_clISt17integral_constantIbLb1EESY_EEDaST_SU_EUlST_E_NS1_11comp_targetILNS1_3genE0ELNS1_11target_archE4294967295ELNS1_3gpuE0ELNS1_3repE0EEENS1_30default_config_static_selectorELNS0_4arch9wavefront6targetE1EEEvT1_,"axG",@progbits,_ZN7rocprim17ROCPRIM_400000_NS6detail17trampoline_kernelINS0_14default_configENS1_27scan_by_key_config_selectorIxxEEZZNS1_16scan_by_key_implILNS1_25lookback_scan_determinismE0ELb0ES3_N6thrust23THRUST_200600_302600_NS6detail15normal_iteratorINS9_10device_ptrIxEEEESE_SE_xNS9_4plusIxEE19head_flag_predicatexEE10hipError_tPvRmT2_T3_T4_T5_mT6_T7_P12ihipStream_tbENKUlT_T0_E_clISt17integral_constantIbLb1EESY_EEDaST_SU_EUlST_E_NS1_11comp_targetILNS1_3genE0ELNS1_11target_archE4294967295ELNS1_3gpuE0ELNS1_3repE0EEENS1_30default_config_static_selectorELNS0_4arch9wavefront6targetE1EEEvT1_,comdat
.Lfunc_end686:
	.size	_ZN7rocprim17ROCPRIM_400000_NS6detail17trampoline_kernelINS0_14default_configENS1_27scan_by_key_config_selectorIxxEEZZNS1_16scan_by_key_implILNS1_25lookback_scan_determinismE0ELb0ES3_N6thrust23THRUST_200600_302600_NS6detail15normal_iteratorINS9_10device_ptrIxEEEESE_SE_xNS9_4plusIxEE19head_flag_predicatexEE10hipError_tPvRmT2_T3_T4_T5_mT6_T7_P12ihipStream_tbENKUlT_T0_E_clISt17integral_constantIbLb1EESY_EEDaST_SU_EUlST_E_NS1_11comp_targetILNS1_3genE0ELNS1_11target_archE4294967295ELNS1_3gpuE0ELNS1_3repE0EEENS1_30default_config_static_selectorELNS0_4arch9wavefront6targetE1EEEvT1_, .Lfunc_end686-_ZN7rocprim17ROCPRIM_400000_NS6detail17trampoline_kernelINS0_14default_configENS1_27scan_by_key_config_selectorIxxEEZZNS1_16scan_by_key_implILNS1_25lookback_scan_determinismE0ELb0ES3_N6thrust23THRUST_200600_302600_NS6detail15normal_iteratorINS9_10device_ptrIxEEEESE_SE_xNS9_4plusIxEE19head_flag_predicatexEE10hipError_tPvRmT2_T3_T4_T5_mT6_T7_P12ihipStream_tbENKUlT_T0_E_clISt17integral_constantIbLb1EESY_EEDaST_SU_EUlST_E_NS1_11comp_targetILNS1_3genE0ELNS1_11target_archE4294967295ELNS1_3gpuE0ELNS1_3repE0EEENS1_30default_config_static_selectorELNS0_4arch9wavefront6targetE1EEEvT1_
                                        ; -- End function
	.section	.AMDGPU.csdata,"",@progbits
; Kernel info:
; codeLenInByte = 0
; NumSgprs: 6
; NumVgprs: 0
; NumAgprs: 0
; TotalNumVgprs: 0
; ScratchSize: 0
; MemoryBound: 0
; FloatMode: 240
; IeeeMode: 1
; LDSByteSize: 0 bytes/workgroup (compile time only)
; SGPRBlocks: 0
; VGPRBlocks: 0
; NumSGPRsForWavesPerEU: 6
; NumVGPRsForWavesPerEU: 1
; AccumOffset: 4
; Occupancy: 8
; WaveLimiterHint : 0
; COMPUTE_PGM_RSRC2:SCRATCH_EN: 0
; COMPUTE_PGM_RSRC2:USER_SGPR: 2
; COMPUTE_PGM_RSRC2:TRAP_HANDLER: 0
; COMPUTE_PGM_RSRC2:TGID_X_EN: 1
; COMPUTE_PGM_RSRC2:TGID_Y_EN: 0
; COMPUTE_PGM_RSRC2:TGID_Z_EN: 0
; COMPUTE_PGM_RSRC2:TIDIG_COMP_CNT: 0
; COMPUTE_PGM_RSRC3_GFX90A:ACCUM_OFFSET: 0
; COMPUTE_PGM_RSRC3_GFX90A:TG_SPLIT: 0
	.section	.text._ZN7rocprim17ROCPRIM_400000_NS6detail17trampoline_kernelINS0_14default_configENS1_27scan_by_key_config_selectorIxxEEZZNS1_16scan_by_key_implILNS1_25lookback_scan_determinismE0ELb0ES3_N6thrust23THRUST_200600_302600_NS6detail15normal_iteratorINS9_10device_ptrIxEEEESE_SE_xNS9_4plusIxEE19head_flag_predicatexEE10hipError_tPvRmT2_T3_T4_T5_mT6_T7_P12ihipStream_tbENKUlT_T0_E_clISt17integral_constantIbLb1EESY_EEDaST_SU_EUlST_E_NS1_11comp_targetILNS1_3genE10ELNS1_11target_archE1201ELNS1_3gpuE5ELNS1_3repE0EEENS1_30default_config_static_selectorELNS0_4arch9wavefront6targetE1EEEvT1_,"axG",@progbits,_ZN7rocprim17ROCPRIM_400000_NS6detail17trampoline_kernelINS0_14default_configENS1_27scan_by_key_config_selectorIxxEEZZNS1_16scan_by_key_implILNS1_25lookback_scan_determinismE0ELb0ES3_N6thrust23THRUST_200600_302600_NS6detail15normal_iteratorINS9_10device_ptrIxEEEESE_SE_xNS9_4plusIxEE19head_flag_predicatexEE10hipError_tPvRmT2_T3_T4_T5_mT6_T7_P12ihipStream_tbENKUlT_T0_E_clISt17integral_constantIbLb1EESY_EEDaST_SU_EUlST_E_NS1_11comp_targetILNS1_3genE10ELNS1_11target_archE1201ELNS1_3gpuE5ELNS1_3repE0EEENS1_30default_config_static_selectorELNS0_4arch9wavefront6targetE1EEEvT1_,comdat
	.protected	_ZN7rocprim17ROCPRIM_400000_NS6detail17trampoline_kernelINS0_14default_configENS1_27scan_by_key_config_selectorIxxEEZZNS1_16scan_by_key_implILNS1_25lookback_scan_determinismE0ELb0ES3_N6thrust23THRUST_200600_302600_NS6detail15normal_iteratorINS9_10device_ptrIxEEEESE_SE_xNS9_4plusIxEE19head_flag_predicatexEE10hipError_tPvRmT2_T3_T4_T5_mT6_T7_P12ihipStream_tbENKUlT_T0_E_clISt17integral_constantIbLb1EESY_EEDaST_SU_EUlST_E_NS1_11comp_targetILNS1_3genE10ELNS1_11target_archE1201ELNS1_3gpuE5ELNS1_3repE0EEENS1_30default_config_static_selectorELNS0_4arch9wavefront6targetE1EEEvT1_ ; -- Begin function _ZN7rocprim17ROCPRIM_400000_NS6detail17trampoline_kernelINS0_14default_configENS1_27scan_by_key_config_selectorIxxEEZZNS1_16scan_by_key_implILNS1_25lookback_scan_determinismE0ELb0ES3_N6thrust23THRUST_200600_302600_NS6detail15normal_iteratorINS9_10device_ptrIxEEEESE_SE_xNS9_4plusIxEE19head_flag_predicatexEE10hipError_tPvRmT2_T3_T4_T5_mT6_T7_P12ihipStream_tbENKUlT_T0_E_clISt17integral_constantIbLb1EESY_EEDaST_SU_EUlST_E_NS1_11comp_targetILNS1_3genE10ELNS1_11target_archE1201ELNS1_3gpuE5ELNS1_3repE0EEENS1_30default_config_static_selectorELNS0_4arch9wavefront6targetE1EEEvT1_
	.globl	_ZN7rocprim17ROCPRIM_400000_NS6detail17trampoline_kernelINS0_14default_configENS1_27scan_by_key_config_selectorIxxEEZZNS1_16scan_by_key_implILNS1_25lookback_scan_determinismE0ELb0ES3_N6thrust23THRUST_200600_302600_NS6detail15normal_iteratorINS9_10device_ptrIxEEEESE_SE_xNS9_4plusIxEE19head_flag_predicatexEE10hipError_tPvRmT2_T3_T4_T5_mT6_T7_P12ihipStream_tbENKUlT_T0_E_clISt17integral_constantIbLb1EESY_EEDaST_SU_EUlST_E_NS1_11comp_targetILNS1_3genE10ELNS1_11target_archE1201ELNS1_3gpuE5ELNS1_3repE0EEENS1_30default_config_static_selectorELNS0_4arch9wavefront6targetE1EEEvT1_
	.p2align	8
	.type	_ZN7rocprim17ROCPRIM_400000_NS6detail17trampoline_kernelINS0_14default_configENS1_27scan_by_key_config_selectorIxxEEZZNS1_16scan_by_key_implILNS1_25lookback_scan_determinismE0ELb0ES3_N6thrust23THRUST_200600_302600_NS6detail15normal_iteratorINS9_10device_ptrIxEEEESE_SE_xNS9_4plusIxEE19head_flag_predicatexEE10hipError_tPvRmT2_T3_T4_T5_mT6_T7_P12ihipStream_tbENKUlT_T0_E_clISt17integral_constantIbLb1EESY_EEDaST_SU_EUlST_E_NS1_11comp_targetILNS1_3genE10ELNS1_11target_archE1201ELNS1_3gpuE5ELNS1_3repE0EEENS1_30default_config_static_selectorELNS0_4arch9wavefront6targetE1EEEvT1_,@function
_ZN7rocprim17ROCPRIM_400000_NS6detail17trampoline_kernelINS0_14default_configENS1_27scan_by_key_config_selectorIxxEEZZNS1_16scan_by_key_implILNS1_25lookback_scan_determinismE0ELb0ES3_N6thrust23THRUST_200600_302600_NS6detail15normal_iteratorINS9_10device_ptrIxEEEESE_SE_xNS9_4plusIxEE19head_flag_predicatexEE10hipError_tPvRmT2_T3_T4_T5_mT6_T7_P12ihipStream_tbENKUlT_T0_E_clISt17integral_constantIbLb1EESY_EEDaST_SU_EUlST_E_NS1_11comp_targetILNS1_3genE10ELNS1_11target_archE1201ELNS1_3gpuE5ELNS1_3repE0EEENS1_30default_config_static_selectorELNS0_4arch9wavefront6targetE1EEEvT1_: ; @_ZN7rocprim17ROCPRIM_400000_NS6detail17trampoline_kernelINS0_14default_configENS1_27scan_by_key_config_selectorIxxEEZZNS1_16scan_by_key_implILNS1_25lookback_scan_determinismE0ELb0ES3_N6thrust23THRUST_200600_302600_NS6detail15normal_iteratorINS9_10device_ptrIxEEEESE_SE_xNS9_4plusIxEE19head_flag_predicatexEE10hipError_tPvRmT2_T3_T4_T5_mT6_T7_P12ihipStream_tbENKUlT_T0_E_clISt17integral_constantIbLb1EESY_EEDaST_SU_EUlST_E_NS1_11comp_targetILNS1_3genE10ELNS1_11target_archE1201ELNS1_3gpuE5ELNS1_3repE0EEENS1_30default_config_static_selectorELNS0_4arch9wavefront6targetE1EEEvT1_
; %bb.0:
	.section	.rodata,"a",@progbits
	.p2align	6, 0x0
	.amdhsa_kernel _ZN7rocprim17ROCPRIM_400000_NS6detail17trampoline_kernelINS0_14default_configENS1_27scan_by_key_config_selectorIxxEEZZNS1_16scan_by_key_implILNS1_25lookback_scan_determinismE0ELb0ES3_N6thrust23THRUST_200600_302600_NS6detail15normal_iteratorINS9_10device_ptrIxEEEESE_SE_xNS9_4plusIxEE19head_flag_predicatexEE10hipError_tPvRmT2_T3_T4_T5_mT6_T7_P12ihipStream_tbENKUlT_T0_E_clISt17integral_constantIbLb1EESY_EEDaST_SU_EUlST_E_NS1_11comp_targetILNS1_3genE10ELNS1_11target_archE1201ELNS1_3gpuE5ELNS1_3repE0EEENS1_30default_config_static_selectorELNS0_4arch9wavefront6targetE1EEEvT1_
		.amdhsa_group_segment_fixed_size 0
		.amdhsa_private_segment_fixed_size 0
		.amdhsa_kernarg_size 136
		.amdhsa_user_sgpr_count 2
		.amdhsa_user_sgpr_dispatch_ptr 0
		.amdhsa_user_sgpr_queue_ptr 0
		.amdhsa_user_sgpr_kernarg_segment_ptr 1
		.amdhsa_user_sgpr_dispatch_id 0
		.amdhsa_user_sgpr_kernarg_preload_length 0
		.amdhsa_user_sgpr_kernarg_preload_offset 0
		.amdhsa_user_sgpr_private_segment_size 0
		.amdhsa_uses_dynamic_stack 0
		.amdhsa_enable_private_segment 0
		.amdhsa_system_sgpr_workgroup_id_x 1
		.amdhsa_system_sgpr_workgroup_id_y 0
		.amdhsa_system_sgpr_workgroup_id_z 0
		.amdhsa_system_sgpr_workgroup_info 0
		.amdhsa_system_vgpr_workitem_id 0
		.amdhsa_next_free_vgpr 1
		.amdhsa_next_free_sgpr 0
		.amdhsa_accum_offset 4
		.amdhsa_reserve_vcc 0
		.amdhsa_float_round_mode_32 0
		.amdhsa_float_round_mode_16_64 0
		.amdhsa_float_denorm_mode_32 3
		.amdhsa_float_denorm_mode_16_64 3
		.amdhsa_dx10_clamp 1
		.amdhsa_ieee_mode 1
		.amdhsa_fp16_overflow 0
		.amdhsa_tg_split 0
		.amdhsa_exception_fp_ieee_invalid_op 0
		.amdhsa_exception_fp_denorm_src 0
		.amdhsa_exception_fp_ieee_div_zero 0
		.amdhsa_exception_fp_ieee_overflow 0
		.amdhsa_exception_fp_ieee_underflow 0
		.amdhsa_exception_fp_ieee_inexact 0
		.amdhsa_exception_int_div_zero 0
	.end_amdhsa_kernel
	.section	.text._ZN7rocprim17ROCPRIM_400000_NS6detail17trampoline_kernelINS0_14default_configENS1_27scan_by_key_config_selectorIxxEEZZNS1_16scan_by_key_implILNS1_25lookback_scan_determinismE0ELb0ES3_N6thrust23THRUST_200600_302600_NS6detail15normal_iteratorINS9_10device_ptrIxEEEESE_SE_xNS9_4plusIxEE19head_flag_predicatexEE10hipError_tPvRmT2_T3_T4_T5_mT6_T7_P12ihipStream_tbENKUlT_T0_E_clISt17integral_constantIbLb1EESY_EEDaST_SU_EUlST_E_NS1_11comp_targetILNS1_3genE10ELNS1_11target_archE1201ELNS1_3gpuE5ELNS1_3repE0EEENS1_30default_config_static_selectorELNS0_4arch9wavefront6targetE1EEEvT1_,"axG",@progbits,_ZN7rocprim17ROCPRIM_400000_NS6detail17trampoline_kernelINS0_14default_configENS1_27scan_by_key_config_selectorIxxEEZZNS1_16scan_by_key_implILNS1_25lookback_scan_determinismE0ELb0ES3_N6thrust23THRUST_200600_302600_NS6detail15normal_iteratorINS9_10device_ptrIxEEEESE_SE_xNS9_4plusIxEE19head_flag_predicatexEE10hipError_tPvRmT2_T3_T4_T5_mT6_T7_P12ihipStream_tbENKUlT_T0_E_clISt17integral_constantIbLb1EESY_EEDaST_SU_EUlST_E_NS1_11comp_targetILNS1_3genE10ELNS1_11target_archE1201ELNS1_3gpuE5ELNS1_3repE0EEENS1_30default_config_static_selectorELNS0_4arch9wavefront6targetE1EEEvT1_,comdat
.Lfunc_end687:
	.size	_ZN7rocprim17ROCPRIM_400000_NS6detail17trampoline_kernelINS0_14default_configENS1_27scan_by_key_config_selectorIxxEEZZNS1_16scan_by_key_implILNS1_25lookback_scan_determinismE0ELb0ES3_N6thrust23THRUST_200600_302600_NS6detail15normal_iteratorINS9_10device_ptrIxEEEESE_SE_xNS9_4plusIxEE19head_flag_predicatexEE10hipError_tPvRmT2_T3_T4_T5_mT6_T7_P12ihipStream_tbENKUlT_T0_E_clISt17integral_constantIbLb1EESY_EEDaST_SU_EUlST_E_NS1_11comp_targetILNS1_3genE10ELNS1_11target_archE1201ELNS1_3gpuE5ELNS1_3repE0EEENS1_30default_config_static_selectorELNS0_4arch9wavefront6targetE1EEEvT1_, .Lfunc_end687-_ZN7rocprim17ROCPRIM_400000_NS6detail17trampoline_kernelINS0_14default_configENS1_27scan_by_key_config_selectorIxxEEZZNS1_16scan_by_key_implILNS1_25lookback_scan_determinismE0ELb0ES3_N6thrust23THRUST_200600_302600_NS6detail15normal_iteratorINS9_10device_ptrIxEEEESE_SE_xNS9_4plusIxEE19head_flag_predicatexEE10hipError_tPvRmT2_T3_T4_T5_mT6_T7_P12ihipStream_tbENKUlT_T0_E_clISt17integral_constantIbLb1EESY_EEDaST_SU_EUlST_E_NS1_11comp_targetILNS1_3genE10ELNS1_11target_archE1201ELNS1_3gpuE5ELNS1_3repE0EEENS1_30default_config_static_selectorELNS0_4arch9wavefront6targetE1EEEvT1_
                                        ; -- End function
	.section	.AMDGPU.csdata,"",@progbits
; Kernel info:
; codeLenInByte = 0
; NumSgprs: 6
; NumVgprs: 0
; NumAgprs: 0
; TotalNumVgprs: 0
; ScratchSize: 0
; MemoryBound: 0
; FloatMode: 240
; IeeeMode: 1
; LDSByteSize: 0 bytes/workgroup (compile time only)
; SGPRBlocks: 0
; VGPRBlocks: 0
; NumSGPRsForWavesPerEU: 6
; NumVGPRsForWavesPerEU: 1
; AccumOffset: 4
; Occupancy: 8
; WaveLimiterHint : 0
; COMPUTE_PGM_RSRC2:SCRATCH_EN: 0
; COMPUTE_PGM_RSRC2:USER_SGPR: 2
; COMPUTE_PGM_RSRC2:TRAP_HANDLER: 0
; COMPUTE_PGM_RSRC2:TGID_X_EN: 1
; COMPUTE_PGM_RSRC2:TGID_Y_EN: 0
; COMPUTE_PGM_RSRC2:TGID_Z_EN: 0
; COMPUTE_PGM_RSRC2:TIDIG_COMP_CNT: 0
; COMPUTE_PGM_RSRC3_GFX90A:ACCUM_OFFSET: 0
; COMPUTE_PGM_RSRC3_GFX90A:TG_SPLIT: 0
	.section	.text._ZN7rocprim17ROCPRIM_400000_NS6detail17trampoline_kernelINS0_14default_configENS1_27scan_by_key_config_selectorIxxEEZZNS1_16scan_by_key_implILNS1_25lookback_scan_determinismE0ELb0ES3_N6thrust23THRUST_200600_302600_NS6detail15normal_iteratorINS9_10device_ptrIxEEEESE_SE_xNS9_4plusIxEE19head_flag_predicatexEE10hipError_tPvRmT2_T3_T4_T5_mT6_T7_P12ihipStream_tbENKUlT_T0_E_clISt17integral_constantIbLb1EESY_EEDaST_SU_EUlST_E_NS1_11comp_targetILNS1_3genE5ELNS1_11target_archE942ELNS1_3gpuE9ELNS1_3repE0EEENS1_30default_config_static_selectorELNS0_4arch9wavefront6targetE1EEEvT1_,"axG",@progbits,_ZN7rocprim17ROCPRIM_400000_NS6detail17trampoline_kernelINS0_14default_configENS1_27scan_by_key_config_selectorIxxEEZZNS1_16scan_by_key_implILNS1_25lookback_scan_determinismE0ELb0ES3_N6thrust23THRUST_200600_302600_NS6detail15normal_iteratorINS9_10device_ptrIxEEEESE_SE_xNS9_4plusIxEE19head_flag_predicatexEE10hipError_tPvRmT2_T3_T4_T5_mT6_T7_P12ihipStream_tbENKUlT_T0_E_clISt17integral_constantIbLb1EESY_EEDaST_SU_EUlST_E_NS1_11comp_targetILNS1_3genE5ELNS1_11target_archE942ELNS1_3gpuE9ELNS1_3repE0EEENS1_30default_config_static_selectorELNS0_4arch9wavefront6targetE1EEEvT1_,comdat
	.protected	_ZN7rocprim17ROCPRIM_400000_NS6detail17trampoline_kernelINS0_14default_configENS1_27scan_by_key_config_selectorIxxEEZZNS1_16scan_by_key_implILNS1_25lookback_scan_determinismE0ELb0ES3_N6thrust23THRUST_200600_302600_NS6detail15normal_iteratorINS9_10device_ptrIxEEEESE_SE_xNS9_4plusIxEE19head_flag_predicatexEE10hipError_tPvRmT2_T3_T4_T5_mT6_T7_P12ihipStream_tbENKUlT_T0_E_clISt17integral_constantIbLb1EESY_EEDaST_SU_EUlST_E_NS1_11comp_targetILNS1_3genE5ELNS1_11target_archE942ELNS1_3gpuE9ELNS1_3repE0EEENS1_30default_config_static_selectorELNS0_4arch9wavefront6targetE1EEEvT1_ ; -- Begin function _ZN7rocprim17ROCPRIM_400000_NS6detail17trampoline_kernelINS0_14default_configENS1_27scan_by_key_config_selectorIxxEEZZNS1_16scan_by_key_implILNS1_25lookback_scan_determinismE0ELb0ES3_N6thrust23THRUST_200600_302600_NS6detail15normal_iteratorINS9_10device_ptrIxEEEESE_SE_xNS9_4plusIxEE19head_flag_predicatexEE10hipError_tPvRmT2_T3_T4_T5_mT6_T7_P12ihipStream_tbENKUlT_T0_E_clISt17integral_constantIbLb1EESY_EEDaST_SU_EUlST_E_NS1_11comp_targetILNS1_3genE5ELNS1_11target_archE942ELNS1_3gpuE9ELNS1_3repE0EEENS1_30default_config_static_selectorELNS0_4arch9wavefront6targetE1EEEvT1_
	.globl	_ZN7rocprim17ROCPRIM_400000_NS6detail17trampoline_kernelINS0_14default_configENS1_27scan_by_key_config_selectorIxxEEZZNS1_16scan_by_key_implILNS1_25lookback_scan_determinismE0ELb0ES3_N6thrust23THRUST_200600_302600_NS6detail15normal_iteratorINS9_10device_ptrIxEEEESE_SE_xNS9_4plusIxEE19head_flag_predicatexEE10hipError_tPvRmT2_T3_T4_T5_mT6_T7_P12ihipStream_tbENKUlT_T0_E_clISt17integral_constantIbLb1EESY_EEDaST_SU_EUlST_E_NS1_11comp_targetILNS1_3genE5ELNS1_11target_archE942ELNS1_3gpuE9ELNS1_3repE0EEENS1_30default_config_static_selectorELNS0_4arch9wavefront6targetE1EEEvT1_
	.p2align	8
	.type	_ZN7rocprim17ROCPRIM_400000_NS6detail17trampoline_kernelINS0_14default_configENS1_27scan_by_key_config_selectorIxxEEZZNS1_16scan_by_key_implILNS1_25lookback_scan_determinismE0ELb0ES3_N6thrust23THRUST_200600_302600_NS6detail15normal_iteratorINS9_10device_ptrIxEEEESE_SE_xNS9_4plusIxEE19head_flag_predicatexEE10hipError_tPvRmT2_T3_T4_T5_mT6_T7_P12ihipStream_tbENKUlT_T0_E_clISt17integral_constantIbLb1EESY_EEDaST_SU_EUlST_E_NS1_11comp_targetILNS1_3genE5ELNS1_11target_archE942ELNS1_3gpuE9ELNS1_3repE0EEENS1_30default_config_static_selectorELNS0_4arch9wavefront6targetE1EEEvT1_,@function
_ZN7rocprim17ROCPRIM_400000_NS6detail17trampoline_kernelINS0_14default_configENS1_27scan_by_key_config_selectorIxxEEZZNS1_16scan_by_key_implILNS1_25lookback_scan_determinismE0ELb0ES3_N6thrust23THRUST_200600_302600_NS6detail15normal_iteratorINS9_10device_ptrIxEEEESE_SE_xNS9_4plusIxEE19head_flag_predicatexEE10hipError_tPvRmT2_T3_T4_T5_mT6_T7_P12ihipStream_tbENKUlT_T0_E_clISt17integral_constantIbLb1EESY_EEDaST_SU_EUlST_E_NS1_11comp_targetILNS1_3genE5ELNS1_11target_archE942ELNS1_3gpuE9ELNS1_3repE0EEENS1_30default_config_static_selectorELNS0_4arch9wavefront6targetE1EEEvT1_: ; @_ZN7rocprim17ROCPRIM_400000_NS6detail17trampoline_kernelINS0_14default_configENS1_27scan_by_key_config_selectorIxxEEZZNS1_16scan_by_key_implILNS1_25lookback_scan_determinismE0ELb0ES3_N6thrust23THRUST_200600_302600_NS6detail15normal_iteratorINS9_10device_ptrIxEEEESE_SE_xNS9_4plusIxEE19head_flag_predicatexEE10hipError_tPvRmT2_T3_T4_T5_mT6_T7_P12ihipStream_tbENKUlT_T0_E_clISt17integral_constantIbLb1EESY_EEDaST_SU_EUlST_E_NS1_11comp_targetILNS1_3genE5ELNS1_11target_archE942ELNS1_3gpuE9ELNS1_3repE0EEENS1_30default_config_static_selectorELNS0_4arch9wavefront6targetE1EEEvT1_
; %bb.0:
	s_load_dwordx8 s[40:47], s[0:1], 0x30
	s_load_dwordx2 s[60:61], s[0:1], 0x50
	v_cmp_ne_u32_e64 s[4:5], 0, v0
	v_cmp_eq_u32_e64 s[36:37], 0, v0
	s_and_saveexec_b64 s[2:3], s[36:37]
	s_cbranch_execz .LBB688_4
; %bb.1:
	s_mov_b64 s[8:9], exec
	v_mbcnt_lo_u32_b32 v1, s8, 0
	v_mbcnt_hi_u32_b32 v1, s9, v1
	v_cmp_eq_u32_e32 vcc, 0, v1
                                        ; implicit-def: $vgpr2
	s_and_saveexec_b64 s[6:7], vcc
	s_cbranch_execz .LBB688_3
; %bb.2:
	s_load_dwordx2 s[10:11], s[0:1], 0x80
	s_bcnt1_i32_b64 s8, s[8:9]
	v_mov_b32_e32 v2, 0
	v_mov_b32_e32 v3, s8
	s_waitcnt lgkmcnt(0)
	global_atomic_add v2, v2, v3, s[10:11] sc0
.LBB688_3:
	s_or_b64 exec, exec, s[6:7]
	s_waitcnt vmcnt(0)
	v_readfirstlane_b32 s6, v2
	v_mov_b32_e32 v2, 0
	s_nop 0
	v_add_u32_e32 v1, s6, v1
	ds_write_b32 v2, v1
.LBB688_4:
	s_or_b64 exec, exec, s[2:3]
	s_load_dwordx8 s[48:55], s[0:1], 0x0
	s_load_dword s2, s[0:1], 0x58
	s_load_dwordx4 s[56:59], s[0:1], 0x60
	v_mov_b32_e32 v3, 0
	s_waitcnt lgkmcnt(0)
	s_barrier
	ds_read_b32 v2, v3
	s_lshl_b64 s[38:39], s[50:51], 3
	s_add_u32 s6, s48, s38
	s_addc_u32 s7, s49, s39
	s_add_u32 s8, s52, s38
	s_mul_i32 s0, s61, s2
	s_mul_hi_u32 s1, s60, s2
	s_waitcnt lgkmcnt(0)
	v_readfirstlane_b32 s47, v2
	s_addc_u32 s9, s53, s39
	s_add_i32 s3, s1, s0
	s_mov_b32 s1, 0
	s_mul_i32 s0, s47, 0xe00
	s_lshl_b64 s[48:49], s[0:1], 3
	s_add_u32 s34, s6, s48
	s_addc_u32 s35, s7, s49
	s_add_u32 s0, s8, s48
	s_addc_u32 s1, s9, s49
	s_mul_i32 s2, s60, s2
	s_add_u32 s8, s56, -1
	v_lshl_add_u64 v[2:3], s[2:3], 0, v[2:3]
	s_addc_u32 s9, s57, -1
	v_cmp_le_u64_e64 s[2:3], s[8:9], v[2:3]
	s_mov_b64 s[6:7], -1
	s_and_b64 vcc, exec, s[2:3]
	s_mul_i32 s33, s8, 0xfffff200
	s_barrier
	s_barrier
	s_cbranch_vccz .LBB688_76
; %bb.5:
	v_mov_b64_e32 v[2:3], s[34:35]
	flat_load_dwordx2 v[4:5], v[2:3]
	s_add_i32 s57, s33, s46
	v_cmp_gt_u32_e32 vcc, s57, v0
	s_waitcnt vmcnt(0) lgkmcnt(0)
	v_mov_b64_e32 v[6:7], v[4:5]
	s_and_saveexec_b64 s[6:7], vcc
	s_cbranch_execz .LBB688_7
; %bb.6:
	v_lshlrev_b32_e32 v2, 3, v0
	v_mov_b32_e32 v3, 0
	v_lshl_add_u64 v[2:3], s[34:35], 0, v[2:3]
	flat_load_dwordx2 v[6:7], v[2:3]
.LBB688_7:
	s_or_b64 exec, exec, s[6:7]
	v_or_b32_e32 v1, 0x100, v0
	v_cmp_gt_u32_e64 s[6:7], s57, v1
	v_mov_b64_e32 v[8:9], v[4:5]
	s_and_saveexec_b64 s[8:9], s[6:7]
	s_cbranch_execz .LBB688_9
; %bb.8:
	v_lshlrev_b32_e32 v2, 3, v0
	v_mov_b32_e32 v3, 0
	v_lshl_add_u64 v[2:3], s[34:35], 0, v[2:3]
	flat_load_dwordx2 v[8:9], v[2:3] offset:2048
.LBB688_9:
	s_or_b64 exec, exec, s[8:9]
	v_or_b32_e32 v1, 0x200, v0
	v_cmp_gt_u32_e64 s[8:9], s57, v1
	v_mov_b64_e32 v[10:11], v[4:5]
	s_and_saveexec_b64 s[10:11], s[8:9]
	s_cbranch_execz .LBB688_11
; %bb.10:
	v_lshlrev_b32_e32 v2, 3, v1
	v_mov_b32_e32 v3, 0
	v_lshl_add_u64 v[2:3], s[34:35], 0, v[2:3]
	flat_load_dwordx2 v[10:11], v[2:3]
.LBB688_11:
	s_or_b64 exec, exec, s[10:11]
	v_or_b32_e32 v32, 0x300, v0
	v_cmp_gt_u32_e64 s[10:11], s57, v32
	v_mov_b64_e32 v[12:13], v[4:5]
	s_and_saveexec_b64 s[12:13], s[10:11]
	s_cbranch_execz .LBB688_13
; %bb.12:
	v_lshlrev_b32_e32 v2, 3, v32
	v_mov_b32_e32 v3, 0
	v_lshl_add_u64 v[2:3], s[34:35], 0, v[2:3]
	flat_load_dwordx2 v[12:13], v[2:3]
.LBB688_13:
	;; [unrolled: 12-line block ×11, first 2 shown]
	s_or_b64 exec, exec, s[30:31]
	v_or_b32_e32 v71, 0xd00, v0
	v_cmp_gt_u32_e64 s[30:31], s57, v71
	s_and_saveexec_b64 s[50:51], s[30:31]
	s_cbranch_execz .LBB688_33
; %bb.32:
	v_lshlrev_b32_e32 v2, 3, v71
	v_mov_b32_e32 v3, 0
	v_lshl_add_u64 v[2:3], s[34:35], 0, v[2:3]
	flat_load_dwordx2 v[4:5], v[2:3]
.LBB688_33:
	s_or_b64 exec, exec, s[50:51]
	v_lshlrev_b32_e32 v2, 3, v0
	s_movk_i32 s50, 0x68
	v_mad_u32_u24 v42, v0, s50, v2
	s_waitcnt vmcnt(0) lgkmcnt(0)
	ds_write2st64_b64 v2, v[6:7], v[8:9] offset1:4
	ds_write2st64_b64 v2, v[10:11], v[12:13] offset0:8 offset1:12
	ds_write2st64_b64 v2, v[14:15], v[16:17] offset0:16 offset1:20
	;; [unrolled: 1-line block ×6, first 2 shown]
	s_waitcnt lgkmcnt(0)
	s_barrier
	ds_read_b128 v[66:69], v42
	ds_read_b128 v[62:65], v42 offset:16
	ds_read_b128 v[58:61], v42 offset:32
	;; [unrolled: 1-line block ×6, first 2 shown]
	s_movk_i32 s50, 0xff98
	v_mad_i32_i24 v3, v0, s50, v42
	s_waitcnt lgkmcnt(2)
	ds_write_b64 v3, v[40:41] offset:28672
	s_waitcnt lgkmcnt(0)
	s_barrier
	s_barrier
	s_waitcnt lgkmcnt(0)
                                        ; implicit-def: $vgpr4_vgpr5
	s_and_saveexec_b64 s[50:51], vcc
	s_cbranch_execz .LBB688_151
; %bb.34:
	v_mov_b32_e32 v3, 0
	v_lshl_add_u64 v[4:5], s[0:1], 0, v[2:3]
	flat_load_dwordx2 v[4:5], v[4:5]
	s_or_b64 exec, exec, s[50:51]
                                        ; implicit-def: $vgpr6_vgpr7
	s_and_saveexec_b64 s[50:51], s[6:7]
	s_cbranch_execnz .LBB688_152
.LBB688_35:
	s_or_b64 exec, exec, s[50:51]
                                        ; implicit-def: $vgpr8_vgpr9
	s_and_saveexec_b64 s[6:7], s[8:9]
	s_cbranch_execz .LBB688_153
.LBB688_36:
	v_lshlrev_b32_e32 v8, 3, v1
	v_mov_b32_e32 v9, 0
	v_lshl_add_u64 v[8:9], s[0:1], 0, v[8:9]
	flat_load_dwordx2 v[8:9], v[8:9]
	s_or_b64 exec, exec, s[6:7]
                                        ; implicit-def: $vgpr10_vgpr11
	s_and_saveexec_b64 s[6:7], s[10:11]
	s_cbranch_execnz .LBB688_154
.LBB688_37:
	s_or_b64 exec, exec, s[6:7]
                                        ; implicit-def: $vgpr12_vgpr13
	s_and_saveexec_b64 s[6:7], s[12:13]
	s_cbranch_execz .LBB688_155
.LBB688_38:
	v_lshlrev_b32_e32 v12, 3, v33
	v_mov_b32_e32 v13, 0
	v_lshl_add_u64 v[12:13], s[0:1], 0, v[12:13]
	flat_load_dwordx2 v[12:13], v[12:13]
	s_or_b64 exec, exec, s[6:7]
                                        ; implicit-def: $vgpr14_vgpr15
	s_and_saveexec_b64 s[6:7], s[14:15]
	s_cbranch_execnz .LBB688_156
.LBB688_39:
	s_or_b64 exec, exec, s[6:7]
                                        ; implicit-def: $vgpr16_vgpr17
	s_and_saveexec_b64 s[6:7], s[16:17]
	s_cbranch_execz .LBB688_157
.LBB688_40:
	v_lshlrev_b32_e32 v16, 3, v35
	v_mov_b32_e32 v17, 0
	v_lshl_add_u64 v[16:17], s[0:1], 0, v[16:17]
	flat_load_dwordx2 v[16:17], v[16:17]
	s_or_b64 exec, exec, s[6:7]
                                        ; implicit-def: $vgpr18_vgpr19
	s_and_saveexec_b64 s[6:7], s[18:19]
	s_cbranch_execnz .LBB688_158
.LBB688_41:
	s_or_b64 exec, exec, s[6:7]
                                        ; implicit-def: $vgpr20_vgpr21
	s_and_saveexec_b64 s[6:7], s[20:21]
	s_cbranch_execz .LBB688_159
.LBB688_42:
	v_lshlrev_b32_e32 v20, 3, v37
	v_mov_b32_e32 v21, 0
	v_lshl_add_u64 v[20:21], s[0:1], 0, v[20:21]
	flat_load_dwordx2 v[20:21], v[20:21]
	s_or_b64 exec, exec, s[6:7]
                                        ; implicit-def: $vgpr22_vgpr23
	s_and_saveexec_b64 s[6:7], s[22:23]
	s_cbranch_execnz .LBB688_160
.LBB688_43:
	s_or_b64 exec, exec, s[6:7]
                                        ; implicit-def: $vgpr24_vgpr25
	s_and_saveexec_b64 s[6:7], s[24:25]
	s_cbranch_execz .LBB688_161
.LBB688_44:
	v_lshlrev_b32_e32 v24, 3, v44
	v_mov_b32_e32 v25, 0
	v_lshl_add_u64 v[24:25], s[0:1], 0, v[24:25]
	flat_load_dwordx2 v[24:25], v[24:25]
	s_or_b64 exec, exec, s[6:7]
                                        ; implicit-def: $vgpr26_vgpr27
	s_and_saveexec_b64 s[6:7], s[26:27]
	s_cbranch_execnz .LBB688_162
.LBB688_45:
	s_or_b64 exec, exec, s[6:7]
                                        ; implicit-def: $vgpr28_vgpr29
	s_and_saveexec_b64 s[6:7], s[28:29]
	s_cbranch_execz .LBB688_47
.LBB688_46:
	v_lshlrev_b32_e32 v28, 3, v70
	v_mov_b32_e32 v29, 0
	v_lshl_add_u64 v[28:29], s[0:1], 0, v[28:29]
	flat_load_dwordx2 v[28:29], v[28:29]
.LBB688_47:
	s_or_b64 exec, exec, s[6:7]
	v_mul_u32_u24_e32 v43, 14, v0
                                        ; implicit-def: $vgpr30_vgpr31
	s_and_saveexec_b64 s[6:7], s[30:31]
	s_cbranch_execz .LBB688_49
; %bb.48:
	v_lshlrev_b32_e32 v30, 3, v71
	v_mov_b32_e32 v31, 0
	v_lshl_add_u64 v[30:31], s[0:1], 0, v[30:31]
	flat_load_dwordx2 v[30:31], v[30:31]
.LBB688_49:
	s_or_b64 exec, exec, s[6:7]
	v_mov_b64_e32 v[70:71], 0
	s_waitcnt vmcnt(0) lgkmcnt(0)
	ds_write2st64_b64 v2, v[4:5], v[6:7] offset1:4
	ds_write2st64_b64 v2, v[8:9], v[10:11] offset0:8 offset1:12
	ds_write2st64_b64 v2, v[12:13], v[14:15] offset0:16 offset1:20
	;; [unrolled: 1-line block ×6, first 2 shown]
	v_cmp_gt_u32_e32 vcc, s57, v43
	s_mov_b64 s[10:11], 0
	s_mov_b64 s[6:7], 0
	s_mov_b32 s56, 0
	v_mov_b32_e32 v73, 0
	v_mov_b32_e32 v83, 0
	v_mov_b64_e32 v[34:35], v[70:71]
	v_mov_b32_e32 v82, 0
	v_mov_b64_e32 v[32:33], v[70:71]
	;; [unrolled: 2-line block ×12, first 2 shown]
	s_waitcnt lgkmcnt(0)
	s_barrier
	s_waitcnt lgkmcnt(0)
                                        ; implicit-def: $vgpr44_vgpr45
	s_and_saveexec_b64 s[8:9], vcc
	s_cbranch_execz .LBB688_75
; %bb.50:
	ds_read_b64 v[2:3], v42
	v_or_b32_e32 v4, 1, v43
	v_cmp_ne_u64_e32 vcc, 0, v[66:67]
	v_mov_b64_e32 v[70:71], 0
	s_mov_b64 s[12:13], 0
	v_cndmask_b32_e64 v1, 0, 1, vcc
	v_cmp_gt_u32_e32 vcc, s57, v4
	v_mov_b32_e32 v73, 0
	v_mov_b32_e32 v83, 0
	v_mov_b64_e32 v[34:35], v[70:71]
	v_mov_b32_e32 v82, 0
	v_mov_b64_e32 v[32:33], v[70:71]
	;; [unrolled: 2-line block ×11, first 2 shown]
                                        ; implicit-def: $vgpr44_vgpr45
	s_and_saveexec_b64 s[10:11], vcc
	s_cbranch_execz .LBB688_74
; %bb.51:
	ds_read2_b64 v[4:7], v42 offset0:1 offset1:2
	v_add_u32_e32 v8, 2, v43
	v_cmp_ne_u64_e32 vcc, 0, v[68:69]
	v_mov_b64_e32 v[70:71], 0
	s_mov_b64 s[14:15], 0
	v_cndmask_b32_e64 v72, 0, 1, vcc
	v_cmp_gt_u32_e32 vcc, s57, v8
	v_mov_b32_e32 v73, 0
	v_mov_b32_e32 v83, 0
	v_mov_b64_e32 v[34:35], v[70:71]
	v_mov_b32_e32 v82, 0
	v_mov_b64_e32 v[32:33], v[70:71]
	;; [unrolled: 2-line block ×10, first 2 shown]
                                        ; implicit-def: $vgpr44_vgpr45
	s_and_saveexec_b64 s[12:13], vcc
	s_cbranch_execz .LBB688_73
; %bb.52:
	s_waitcnt lgkmcnt(0)
	v_mov_b32_e32 v8, v6
	v_add_u32_e32 v6, 3, v43
	v_cmp_ne_u64_e32 vcc, 0, v[62:63]
	v_mov_b64_e32 v[70:71], 0
	v_mov_b32_e32 v9, v7
	s_mov_b64 s[16:17], 0
	v_cndmask_b32_e64 v74, 0, 1, vcc
	v_cmp_gt_u32_e32 vcc, s57, v6
	v_mov_b32_e32 v73, 0
	v_mov_b32_e32 v83, 0
	v_mov_b64_e32 v[34:35], v[70:71]
	v_mov_b32_e32 v82, 0
	v_mov_b64_e32 v[32:33], v[70:71]
	;; [unrolled: 2-line block ×9, first 2 shown]
                                        ; implicit-def: $vgpr44_vgpr45
	s_and_saveexec_b64 s[14:15], vcc
	s_cbranch_execz .LBB688_72
; %bb.53:
	ds_read2_b64 v[10:13], v42 offset0:3 offset1:4
	v_add_u32_e32 v6, 4, v43
	v_cmp_ne_u64_e32 vcc, 0, v[64:65]
	v_mov_b64_e32 v[70:71], 0
	s_mov_b64 s[18:19], 0
	v_cndmask_b32_e64 v75, 0, 1, vcc
	v_cmp_gt_u32_e32 vcc, s57, v6
	v_mov_b32_e32 v73, 0
	v_mov_b32_e32 v83, 0
	v_mov_b64_e32 v[34:35], v[70:71]
	v_mov_b32_e32 v82, 0
	v_mov_b64_e32 v[32:33], v[70:71]
	;; [unrolled: 2-line block ×8, first 2 shown]
                                        ; implicit-def: $vgpr44_vgpr45
	s_and_saveexec_b64 s[16:17], vcc
	s_cbranch_execz .LBB688_71
; %bb.54:
	v_add_u32_e32 v6, 5, v43
	v_cmp_ne_u64_e32 vcc, 0, v[58:59]
	v_mov_b64_e32 v[70:71], 0
	s_waitcnt lgkmcnt(0)
	v_mov_b32_e32 v14, v12
	v_mov_b32_e32 v15, v13
	s_mov_b64 s[20:21], 0
	v_cndmask_b32_e64 v76, 0, 1, vcc
	v_cmp_gt_u32_e32 vcc, s57, v6
	v_mov_b32_e32 v73, 0
	v_mov_b32_e32 v83, 0
	v_mov_b64_e32 v[34:35], v[70:71]
	v_mov_b32_e32 v82, 0
	v_mov_b64_e32 v[32:33], v[70:71]
	v_mov_b32_e32 v81, 0
	v_mov_b64_e32 v[28:29], v[70:71]
	v_mov_b32_e32 v80, 0
	v_mov_b64_e32 v[26:27], v[70:71]
	v_mov_b32_e32 v79, 0
	v_mov_b64_e32 v[22:23], v[70:71]
	v_mov_b32_e32 v78, 0
	v_mov_b64_e32 v[20:21], v[70:71]
	v_mov_b32_e32 v77, 0
	v_mov_b64_e32 v[16:17], v[70:71]
                                        ; implicit-def: $vgpr44_vgpr45
	s_and_saveexec_b64 s[18:19], vcc
	s_cbranch_execz .LBB688_70
; %bb.55:
	ds_read2_b64 v[16:19], v42 offset0:5 offset1:6
	v_add_u32_e32 v6, 6, v43
	v_cmp_ne_u64_e32 vcc, 0, v[60:61]
	v_mov_b64_e32 v[70:71], 0
	s_mov_b64 s[22:23], 0
	v_cndmask_b32_e64 v77, 0, 1, vcc
	v_cmp_gt_u32_e32 vcc, s57, v6
	v_mov_b32_e32 v73, 0
	v_mov_b32_e32 v83, 0
	v_mov_b64_e32 v[34:35], v[70:71]
	v_mov_b32_e32 v82, 0
	v_mov_b64_e32 v[32:33], v[70:71]
	;; [unrolled: 2-line block ×6, first 2 shown]
                                        ; implicit-def: $vgpr44_vgpr45
	s_and_saveexec_b64 s[20:21], vcc
	s_cbranch_execz .LBB688_69
; %bb.56:
	v_add_u32_e32 v6, 7, v43
	v_cmp_ne_u64_e32 vcc, 0, v[54:55]
	v_mov_b64_e32 v[70:71], 0
	s_waitcnt lgkmcnt(0)
	v_mov_b32_e32 v20, v18
	v_mov_b32_e32 v21, v19
	s_mov_b64 s[24:25], 0
	v_cndmask_b32_e64 v78, 0, 1, vcc
	v_cmp_gt_u32_e32 vcc, s57, v6
	v_mov_b32_e32 v73, 0
	v_mov_b32_e32 v83, 0
	v_mov_b64_e32 v[34:35], v[70:71]
	v_mov_b32_e32 v82, 0
	v_mov_b64_e32 v[32:33], v[70:71]
	;; [unrolled: 2-line block ×5, first 2 shown]
                                        ; implicit-def: $vgpr44_vgpr45
	s_and_saveexec_b64 s[22:23], vcc
	s_cbranch_execz .LBB688_68
; %bb.57:
	ds_read2_b64 v[22:25], v42 offset0:7 offset1:8
	v_add_u32_e32 v6, 8, v43
	v_cmp_ne_u64_e32 vcc, 0, v[56:57]
	v_mov_b64_e32 v[70:71], 0
	s_mov_b64 s[26:27], 0
	v_cndmask_b32_e64 v79, 0, 1, vcc
	v_cmp_gt_u32_e32 vcc, s57, v6
	v_mov_b32_e32 v73, 0
	v_mov_b32_e32 v83, 0
	v_mov_b64_e32 v[34:35], v[70:71]
	v_mov_b32_e32 v82, 0
	v_mov_b64_e32 v[32:33], v[70:71]
	;; [unrolled: 2-line block ×4, first 2 shown]
                                        ; implicit-def: $vgpr44_vgpr45
	s_and_saveexec_b64 s[24:25], vcc
	s_cbranch_execz .LBB688_67
; %bb.58:
	v_add_u32_e32 v6, 9, v43
	v_cmp_ne_u64_e32 vcc, 0, v[50:51]
	v_mov_b64_e32 v[70:71], 0
	s_waitcnt lgkmcnt(0)
	v_mov_b32_e32 v26, v24
	v_mov_b32_e32 v27, v25
	s_mov_b64 s[28:29], 0
	v_cndmask_b32_e64 v80, 0, 1, vcc
	v_cmp_gt_u32_e32 vcc, s57, v6
	v_mov_b32_e32 v73, 0
	v_mov_b32_e32 v83, 0
	v_mov_b64_e32 v[34:35], v[70:71]
	v_mov_b32_e32 v82, 0
	v_mov_b64_e32 v[32:33], v[70:71]
	;; [unrolled: 2-line block ×3, first 2 shown]
                                        ; implicit-def: $vgpr44_vgpr45
	s_and_saveexec_b64 s[26:27], vcc
	s_cbranch_execz .LBB688_66
; %bb.59:
	ds_read2_b64 v[28:31], v42 offset0:9 offset1:10
	v_add_u32_e32 v6, 10, v43
	v_cmp_ne_u64_e32 vcc, 0, v[52:53]
	v_mov_b64_e32 v[70:71], 0
	s_mov_b64 s[30:31], 0
	v_cndmask_b32_e64 v81, 0, 1, vcc
	v_cmp_gt_u32_e32 vcc, s57, v6
	v_mov_b32_e32 v73, 0
	v_mov_b32_e32 v83, 0
	v_mov_b64_e32 v[34:35], v[70:71]
	v_mov_b32_e32 v82, 0
	v_mov_b64_e32 v[32:33], v[70:71]
                                        ; implicit-def: $vgpr44_vgpr45
	s_and_saveexec_b64 s[28:29], vcc
	s_cbranch_execz .LBB688_65
; %bb.60:
	v_add_u32_e32 v6, 11, v43
	v_cmp_ne_u64_e32 vcc, 0, v[46:47]
	v_mov_b64_e32 v[70:71], 0
	s_waitcnt lgkmcnt(0)
	v_mov_b32_e32 v32, v30
	v_mov_b32_e32 v33, v31
	s_mov_b64 s[50:51], 0
	v_cndmask_b32_e64 v82, 0, 1, vcc
	v_cmp_gt_u32_e32 vcc, s57, v6
	v_mov_b32_e32 v73, 0
	v_mov_b32_e32 v83, 0
	v_mov_b64_e32 v[34:35], v[70:71]
                                        ; implicit-def: $vgpr44_vgpr45
	s_and_saveexec_b64 s[30:31], vcc
	s_cbranch_execz .LBB688_64
; %bb.61:
	ds_read2_b64 v[34:37], v42 offset0:11 offset1:12
	v_add_u32_e32 v6, 12, v43
	v_cmp_ne_u64_e32 vcc, 0, v[48:49]
	v_mov_b32_e32 v73, 0
	v_mov_b64_e32 v[70:71], 0
	v_cndmask_b32_e64 v83, 0, 1, vcc
	v_cmp_gt_u32_e32 vcc, s57, v6
                                        ; implicit-def: $vgpr44_vgpr45
	s_and_saveexec_b64 s[52:53], vcc
	s_xor_b64 s[52:53], exec, s[52:53]
	s_cbranch_execz .LBB688_63
; %bb.62:
	ds_read_b64 v[44:45], v42 offset:104
	v_add_u32_e32 v6, 13, v43
	v_cmp_ne_u64_e32 vcc, 0, v[38:39]
	s_waitcnt lgkmcnt(1)
	v_mov_b64_e32 v[42:43], v[36:37]
	v_mov_b64_e32 v[70:71], v[36:37]
	v_cndmask_b32_e64 v73, 0, 1, vcc
	v_cmp_gt_u32_e32 vcc, s57, v6
	s_and_b64 s[50:51], vcc, exec
.LBB688_63:
	s_or_b64 exec, exec, s[52:53]
	s_and_b64 s[50:51], s[50:51], exec
.LBB688_64:
	s_or_b64 exec, exec, s[30:31]
	s_and_b64 s[30:31], s[50:51], exec
.LBB688_65:
	s_or_b64 exec, exec, s[28:29]
	s_and_b64 s[28:29], s[30:31], exec
.LBB688_66:
	s_or_b64 exec, exec, s[26:27]
	s_and_b64 s[26:27], s[28:29], exec
.LBB688_67:
	s_or_b64 exec, exec, s[24:25]
	s_and_b64 s[24:25], s[26:27], exec
.LBB688_68:
	s_or_b64 exec, exec, s[22:23]
	s_and_b64 s[22:23], s[24:25], exec
.LBB688_69:
	s_or_b64 exec, exec, s[20:21]
	s_and_b64 s[20:21], s[22:23], exec
.LBB688_70:
	s_or_b64 exec, exec, s[18:19]
	s_and_b64 s[18:19], s[20:21], exec
.LBB688_71:
	s_or_b64 exec, exec, s[16:17]
	s_and_b64 s[16:17], s[18:19], exec
.LBB688_72:
	s_or_b64 exec, exec, s[14:15]
	s_and_b64 s[14:15], s[16:17], exec
.LBB688_73:
	s_or_b64 exec, exec, s[12:13]
	s_and_b64 s[12:13], s[14:15], exec
.LBB688_74:
	s_or_b64 exec, exec, s[10:11]
	s_and_b64 s[10:11], s[12:13], exec
.LBB688_75:
	s_or_b64 exec, exec, s[8:9]
	s_mov_b64 s[8:9], 0
	s_and_b64 vcc, exec, s[6:7]
	s_waitcnt lgkmcnt(0)
	v_lshlrev_b32_e32 v30, 3, v0
	s_cbranch_vccnz .LBB688_77
	s_branch .LBB688_78
.LBB688_76:
	s_mov_b64 s[10:11], 0
                                        ; implicit-def: $vgpr40_vgpr41
                                        ; implicit-def: $vgpr44_vgpr45
                                        ; implicit-def: $vgpr73
                                        ; implicit-def: $vgpr83
                                        ; implicit-def: $vgpr34_vgpr35
                                        ; implicit-def: $vgpr82
                                        ; implicit-def: $vgpr32_vgpr33
                                        ; implicit-def: $vgpr81
                                        ; implicit-def: $vgpr28_vgpr29
                                        ; implicit-def: $vgpr80
                                        ; implicit-def: $vgpr26_vgpr27
                                        ; implicit-def: $vgpr79
                                        ; implicit-def: $vgpr22_vgpr23
                                        ; implicit-def: $vgpr78
                                        ; implicit-def: $vgpr20_vgpr21
                                        ; implicit-def: $vgpr77
                                        ; implicit-def: $vgpr16_vgpr17
                                        ; implicit-def: $vgpr76
                                        ; implicit-def: $vgpr14_vgpr15
                                        ; implicit-def: $vgpr75
                                        ; implicit-def: $vgpr10_vgpr11
                                        ; implicit-def: $vgpr74
                                        ; implicit-def: $vgpr8_vgpr9
                                        ; implicit-def: $vgpr72
                                        ; implicit-def: $vgpr4_vgpr5
                                        ; implicit-def: $vgpr1
                                        ; implicit-def: $vgpr2_vgpr3
                                        ; implicit-def: $sgpr56
                                        ; implicit-def: $sgpr8_sgpr9
                                        ; implicit-def: $vgpr70_vgpr71
	s_and_b64 vcc, exec, s[6:7]
	v_lshlrev_b32_e32 v30, 3, v0
	s_cbranch_vccz .LBB688_78
.LBB688_77:
	v_mov_b32_e32 v31, 0
	v_lshl_add_u64 v[2:3], s[34:35], 0, v[30:31]
	v_add_co_u32_e32 v4, vcc, 0x1000, v2
	s_movk_i32 s6, 0x1000
	s_nop 0
	v_addc_co_u32_e32 v5, vcc, 0, v3, vcc
	flat_load_dwordx2 v[6:7], v[2:3]
	flat_load_dwordx2 v[8:9], v[2:3] offset:2048
	flat_load_dwordx2 v[10:11], v[4:5]
	flat_load_dwordx2 v[12:13], v[4:5] offset:2048
	v_add_co_u32_e32 v4, vcc, 0x2000, v2
	v_lshl_add_u64 v[34:35], s[0:1], 0, v[30:31]
	s_nop 0
	v_addc_co_u32_e32 v5, vcc, 0, v3, vcc
	v_add_co_u32_e32 v14, vcc, 0x3000, v2
	s_movk_i32 s7, 0x2000
	s_nop 0
	v_addc_co_u32_e32 v15, vcc, 0, v3, vcc
	flat_load_dwordx2 v[16:17], v[4:5]
	flat_load_dwordx2 v[18:19], v[4:5] offset:2048
	flat_load_dwordx2 v[20:21], v[14:15]
	flat_load_dwordx2 v[22:23], v[14:15] offset:2048
	v_add_co_u32_e32 v4, vcc, 0x4000, v2
	s_movk_i32 s14, 0x68
	s_nop 0
	v_addc_co_u32_e32 v5, vcc, 0, v3, vcc
	v_add_co_u32_e32 v14, vcc, 0x5000, v2
	s_movk_i32 s15, 0xff98
	s_nop 0
	v_addc_co_u32_e32 v15, vcc, 0, v3, vcc
	v_add_co_u32_e32 v2, vcc, 0x6000, v2
	flat_load_dwordx2 v[24:25], v[4:5]
	flat_load_dwordx2 v[26:27], v[4:5] offset:2048
	flat_load_dwordx2 v[28:29], v[14:15]
	flat_load_dwordx2 v[32:33], v[14:15] offset:2048
	v_addc_co_u32_e32 v3, vcc, 0, v3, vcc
	flat_load_dwordx2 v[4:5], v[2:3]
	flat_load_dwordx2 v[14:15], v[2:3] offset:2048
	v_add_co_u32_e32 v36, vcc, s6, v34
	v_mad_u32_u24 v62, v0, s14, v30
	s_nop 0
	v_addc_co_u32_e32 v37, vcc, 0, v35, vcc
	v_add_co_u32_e32 v42, vcc, s7, v34
	s_movk_i32 s8, 0x3000
	v_mad_i32_i24 v1, v0, s15, v62
	v_addc_co_u32_e32 v43, vcc, 0, v35, vcc
	s_movk_i32 s9, 0x4000
	s_movk_i32 s12, 0x5000
	;; [unrolled: 1-line block ×3, first 2 shown]
	s_or_b64 s[10:11], s[10:11], exec
                                        ; implicit-def: $sgpr56
                                        ; implicit-def: $vgpr70_vgpr71
	s_waitcnt vmcnt(0) lgkmcnt(0)
	ds_write2st64_b64 v30, v[6:7], v[8:9] offset1:4
	ds_write2st64_b64 v30, v[10:11], v[12:13] offset0:8 offset1:12
	ds_write2st64_b64 v30, v[16:17], v[18:19] offset0:16 offset1:20
	;; [unrolled: 1-line block ×6, first 2 shown]
	s_waitcnt lgkmcnt(0)
	s_barrier
	ds_read_b128 v[2:5], v62
	ds_read_b128 v[6:9], v62 offset:16
	ds_read_b128 v[38:41], v62 offset:96
	;; [unrolled: 1-line block ×6, first 2 shown]
	s_waitcnt lgkmcnt(4)
	ds_write_b64 v1, v[40:41] offset:28672
	s_waitcnt lgkmcnt(0)
	s_barrier
	s_barrier
	flat_load_dwordx2 v[26:27], v[34:35]
	flat_load_dwordx2 v[28:29], v[34:35] offset:2048
	flat_load_dwordx2 v[32:33], v[36:37]
	flat_load_dwordx2 v[44:45], v[36:37] offset:2048
	v_add_co_u32_e32 v36, vcc, s8, v34
	s_nop 1
	v_addc_co_u32_e32 v37, vcc, 0, v35, vcc
	flat_load_dwordx2 v[46:47], v[42:43]
	flat_load_dwordx2 v[48:49], v[42:43] offset:2048
	flat_load_dwordx2 v[50:51], v[36:37]
	flat_load_dwordx2 v[52:53], v[36:37] offset:2048
	v_add_co_u32_e32 v36, vcc, s9, v34
                                        ; implicit-def: $sgpr8_sgpr9
	s_nop 1
	v_addc_co_u32_e32 v37, vcc, 0, v35, vcc
	v_add_co_u32_e32 v42, vcc, s12, v34
	s_nop 1
	v_addc_co_u32_e32 v43, vcc, 0, v35, vcc
	v_add_co_u32_e32 v34, vcc, s13, v34
	flat_load_dwordx2 v[54:55], v[36:37]
	flat_load_dwordx2 v[56:57], v[36:37] offset:2048
	flat_load_dwordx2 v[58:59], v[42:43]
	flat_load_dwordx2 v[60:61], v[42:43] offset:2048
	v_addc_co_u32_e32 v35, vcc, 0, v35, vcc
	flat_load_dwordx2 v[36:37], v[34:35]
	flat_load_dwordx2 v[42:43], v[34:35] offset:2048
	v_cmp_ne_u64_e32 vcc, 0, v[38:39]
	s_waitcnt vmcnt(0) lgkmcnt(0)
	ds_write2st64_b64 v30, v[26:27], v[28:29] offset1:4
	ds_write2st64_b64 v30, v[32:33], v[44:45] offset0:8 offset1:12
	ds_write2st64_b64 v30, v[46:47], v[48:49] offset0:16 offset1:20
	;; [unrolled: 1-line block ×6, first 2 shown]
	v_cndmask_b32_e64 v73, 0, 1, vcc
	v_cmp_ne_u64_e32 vcc, 0, v[24:25]
	s_waitcnt lgkmcnt(0)
	s_barrier
	v_cndmask_b32_e64 v83, 0, 1, vcc
	v_cmp_ne_u64_e32 vcc, 0, v[22:23]
	s_nop 1
	v_cndmask_b32_e64 v82, 0, 1, vcc
	v_cmp_ne_u64_e32 vcc, 0, v[20:21]
	s_nop 1
	;; [unrolled: 3-line block ×10, first 2 shown]
	v_cndmask_b32_e64 v72, 0, 1, vcc
	v_cmp_ne_u64_e32 vcc, 0, v[2:3]
	ds_read_b128 v[26:29], v62 offset:64
	ds_read_b128 v[32:35], v62 offset:80
	;; [unrolled: 1-line block ×4, first 2 shown]
	ds_read_b128 v[2:5], v62
	ds_read_b128 v[8:11], v62 offset:16
	ds_read_b128 v[42:45], v62 offset:96
	v_cndmask_b32_e64 v1, 0, 1, vcc
.LBB688_78:
	v_mov_b64_e32 v[6:7], s[8:9]
	v_mov_b32_e32 v31, s56
	s_and_saveexec_b64 s[0:1], s[10:11]
	s_cbranch_execz .LBB688_80
; %bb.79:
	v_cmp_ne_u64_e32 vcc, 0, v[40:41]
	s_waitcnt lgkmcnt(0)
	v_mov_b64_e32 v[70:71], v[42:43]
	v_mov_b64_e32 v[6:7], v[44:45]
	v_cndmask_b32_e64 v31, 0, 1, vcc
.LBB688_80:
	s_or_b64 exec, exec, s[0:1]
	v_or_b32_e32 v12, v31, v73
	s_cmp_lg_u32 s47, 0
	v_or_b32_e32 v65, v12, v83
	v_mbcnt_lo_u32_b32 v64, -1, 0
	s_waitcnt lgkmcnt(0)
	s_barrier
	s_cbranch_scc0 .LBB688_163
; %bb.81:
	v_mov_b32_e32 v18, 0
	v_cmp_eq_u16_sdwa s[6:7], v72, v18 src0_sel:BYTE_0 src1_sel:DWORD
	v_cmp_eq_u16_sdwa s[8:9], v74, v18 src0_sel:BYTE_0 src1_sel:DWORD
	v_cmp_eq_u16_sdwa s[10:11], v75, v18 src0_sel:BYTE_0 src1_sel:DWORD
	v_cndmask_b32_e64 v13, 0, v3, s[6:7]
	v_cndmask_b32_e64 v12, 0, v2, s[6:7]
	v_lshl_add_u64 v[12:13], v[12:13], 0, v[4:5]
	v_cndmask_b32_e64 v13, 0, v13, s[8:9]
	v_cndmask_b32_e64 v12, 0, v12, s[8:9]
	v_lshl_add_u64 v[12:13], v[12:13], 0, v[8:9]
	v_cndmask_b32_e64 v13, 0, v13, s[10:11]
	v_cndmask_b32_e64 v12, 0, v12, s[10:11]
	v_lshl_add_u64 v[12:13], v[12:13], 0, v[10:11]
	v_cmp_eq_u16_sdwa s[12:13], v76, v18 src0_sel:BYTE_0 src1_sel:DWORD
	v_cmp_eq_u16_sdwa s[14:15], v77, v18 src0_sel:BYTE_0 src1_sel:DWORD
	v_cmp_eq_u16_sdwa s[16:17], v78, v18 src0_sel:BYTE_0 src1_sel:DWORD
	v_cndmask_b32_e64 v13, 0, v13, s[12:13]
	v_cndmask_b32_e64 v12, 0, v12, s[12:13]
	v_lshl_add_u64 v[12:13], v[12:13], 0, v[14:15]
	v_cndmask_b32_e64 v13, 0, v13, s[14:15]
	v_cndmask_b32_e64 v12, 0, v12, s[14:15]
	v_lshl_add_u64 v[12:13], v[12:13], 0, v[16:17]
	v_cndmask_b32_e64 v13, 0, v13, s[16:17]
	v_cndmask_b32_e64 v12, 0, v12, s[16:17]
	v_lshl_add_u64 v[12:13], v[12:13], 0, v[20:21]
	;; [unrolled: 12-line block ×4, first 2 shown]
	v_cmp_eq_u16_sdwa s[30:31], v31, v18 src0_sel:BYTE_0 src1_sel:DWORD
	v_and_b32_e32 v24, 0xff, v1
	v_mbcnt_hi_u32_b32 v48, -1, v64
	v_cndmask_b32_e64 v13, 0, v13, s[30:31]
	v_cndmask_b32_e64 v12, 0, v12, s[30:31]
	v_lshl_add_u64 v[18:19], v[12:13], 0, v[6:7]
	v_or_b32_e32 v12, v65, v82
	v_or_b32_e32 v12, v12, v81
	;; [unrolled: 1-line block ×10, first 2 shown]
	v_and_b32_e32 v12, 1, v12
	v_cmp_eq_u32_e32 vcc, 1, v12
	v_and_b32_e32 v12, 15, v48
	v_mov_b32_dpp v25, v18 row_shr:1 row_mask:0xf bank_mask:0xf
	v_cndmask_b32_e64 v24, v24, 1, vcc
	v_mov_b32_dpp v36, v19 row_shr:1 row_mask:0xf bank_mask:0xf
	v_cmp_ne_u32_e32 vcc, 0, v12
	v_mov_b32_dpp v13, v24 row_shr:1 row_mask:0xf bank_mask:0xf
	s_and_saveexec_b64 s[0:1], vcc
; %bb.82:
	v_cmp_eq_u32_e32 vcc, 0, v24
	v_and_or_b32 v24, v13, 1, v24
	s_nop 0
	v_cndmask_b32_e32 v37, 0, v36, vcc
	v_cndmask_b32_e32 v36, 0, v25, vcc
	v_lshl_add_u64 v[18:19], v[36:37], 0, v[18:19]
; %bb.83:
	s_or_b64 exec, exec, s[0:1]
	s_nop 0
	v_mov_b32_dpp v25, v18 row_shr:2 row_mask:0xf bank_mask:0xf
	v_mov_b32_dpp v36, v19 row_shr:2 row_mask:0xf bank_mask:0xf
	v_mov_b32_dpp v13, v24 row_shr:2 row_mask:0xf bank_mask:0xf
	v_cmp_lt_u32_e32 vcc, 1, v12
	s_and_saveexec_b64 s[0:1], vcc
; %bb.84:
	v_cmp_eq_u32_e32 vcc, 0, v24
	v_or_b32_e32 v13, v13, v24
	v_and_b32_e32 v24, 1, v13
	v_cndmask_b32_e32 v37, 0, v36, vcc
	v_cndmask_b32_e32 v36, 0, v25, vcc
	v_lshl_add_u64 v[18:19], v[36:37], 0, v[18:19]
; %bb.85:
	s_or_b64 exec, exec, s[0:1]
	s_nop 0
	v_mov_b32_dpp v25, v18 row_shr:4 row_mask:0xf bank_mask:0xf
	v_mov_b32_dpp v36, v19 row_shr:4 row_mask:0xf bank_mask:0xf
	v_mov_b32_dpp v13, v24 row_shr:4 row_mask:0xf bank_mask:0xf
	v_cmp_lt_u32_e32 vcc, 3, v12
	s_and_saveexec_b64 s[0:1], vcc
; %bb.86:
	v_cmp_eq_u32_e32 vcc, 0, v24
	v_or_b32_e32 v13, v13, v24
	v_and_b32_e32 v24, 1, v13
	;; [unrolled: 15-line block ×3, first 2 shown]
	v_cndmask_b32_e32 v37, 0, v36, vcc
	v_cndmask_b32_e32 v36, 0, v25, vcc
	v_lshl_add_u64 v[18:19], v[36:37], 0, v[18:19]
; %bb.89:
	s_or_b64 exec, exec, s[0:1]
	v_and_b32_e32 v36, 16, v48
	v_mov_b32_dpp v13, v18 row_bcast:15 row_mask:0xf bank_mask:0xf
	v_mov_b32_dpp v25, v19 row_bcast:15 row_mask:0xf bank_mask:0xf
	;; [unrolled: 1-line block ×3, first 2 shown]
	v_cmp_ne_u32_e32 vcc, 0, v36
	s_and_saveexec_b64 s[0:1], vcc
; %bb.90:
	v_cmp_eq_u32_e32 vcc, 0, v24
	v_or_b32_e32 v12, v12, v24
	v_and_b32_e32 v24, 1, v12
	v_cndmask_b32_e32 v37, 0, v25, vcc
	v_cndmask_b32_e32 v36, 0, v13, vcc
	v_lshl_add_u64 v[18:19], v[36:37], 0, v[18:19]
; %bb.91:
	s_or_b64 exec, exec, s[0:1]
	s_nop 0
	v_mov_b32_dpp v25, v18 row_bcast:31 row_mask:0xf bank_mask:0xf
	v_mov_b32_dpp v36, v19 row_bcast:31 row_mask:0xf bank_mask:0xf
	;; [unrolled: 1-line block ×3, first 2 shown]
	v_cmp_lt_u32_e32 vcc, 31, v48
	v_mov_b32_e32 v12, v24
	s_and_saveexec_b64 s[0:1], vcc
; %bb.92:
	v_cmp_eq_u32_e32 vcc, 0, v24
	v_or_b32_e32 v13, v13, v24
	v_and_b32_e32 v12, 1, v13
	v_cndmask_b32_e32 v37, 0, v36, vcc
	v_cndmask_b32_e32 v36, 0, v25, vcc
	v_lshl_add_u64 v[18:19], v[36:37], 0, v[18:19]
	v_and_b32_e32 v24, 1, v13
; %bb.93:
	s_or_b64 exec, exec, s[0:1]
	v_or_b32_e32 v13, 63, v0
	v_lshrrev_b32_e32 v25, 6, v0
	v_cmp_eq_u32_e32 vcc, v13, v0
	s_and_saveexec_b64 s[0:1], vcc
	s_cbranch_execz .LBB688_95
; %bb.94:
	v_lshlrev_b32_e32 v13, 4, v25
	ds_write_b64 v13, v[18:19]
	ds_write_b8 v13, v12 offset:8
.LBB688_95:
	s_or_b64 exec, exec, s[0:1]
	v_cmp_gt_u32_e32 vcc, 4, v0
	s_waitcnt lgkmcnt(0)
	s_barrier
	s_and_saveexec_b64 s[34:35], vcc
	s_cbranch_execz .LBB688_101
; %bb.96:
	v_lshlrev_b32_e32 v36, 4, v0
	ds_read_b64 v[12:13], v36
	ds_read_b32 v37, v36 offset:8
	v_and_b32_e32 v38, 3, v48
	v_cmp_ne_u32_e32 vcc, 0, v38
	s_waitcnt lgkmcnt(1)
	v_mov_b32_dpp v42, v12 row_shr:1 row_mask:0xf bank_mask:0xf
	v_mov_b32_dpp v43, v13 row_shr:1 row_mask:0xf bank_mask:0xf
	s_waitcnt lgkmcnt(0)
	v_mov_b32_dpp v41, v37 row_shr:1 row_mask:0xf bank_mask:0xf
	v_mov_b32_e32 v39, v37
	v_mov_b32_e32 v40, v37
	s_and_saveexec_b64 s[0:1], vcc
; %bb.97:
	v_mov_b32_e32 v39, 0
	v_cmp_eq_u16_sdwa vcc, v37, v39 src0_sel:BYTE_0 src1_sel:DWORD
	v_or_b32_e32 v40, v41, v37
	v_and_b32_e32 v39, 1, v40
	v_cndmask_b32_e32 v43, 0, v43, vcc
	v_cndmask_b32_e32 v42, 0, v42, vcc
	v_and_b32_e32 v40, 1, v40
	s_movk_i32 s50, 0xff00
	v_lshl_add_u64 v[12:13], v[42:43], 0, v[12:13]
	v_and_or_b32 v37, v37, s50, v40
; %bb.98:
	s_or_b64 exec, exec, s[0:1]
	v_mov_b32_dpp v41, v12 row_shr:2 row_mask:0xf bank_mask:0xf
	v_mov_b32_dpp v42, v13 row_shr:2 row_mask:0xf bank_mask:0xf
	v_mov_b32_dpp v37, v37 row_shr:2 row_mask:0xf bank_mask:0xf
	v_cmp_lt_u32_e32 vcc, 1, v38
	s_and_saveexec_b64 s[50:51], vcc
; %bb.99:
	v_mov_b32_e32 v38, 0
	v_cmp_eq_u16_sdwa vcc, v40, v38 src0_sel:BYTE_0 src1_sel:DWORD
	v_and_b32_e32 v37, 1, v37
	v_cmp_eq_u32_e64 s[0:1], 1, v37
	v_cndmask_b32_e32 v39, 0, v42, vcc
	v_cndmask_b32_e32 v38, 0, v41, vcc
	v_lshl_add_u64 v[12:13], v[38:39], 0, v[12:13]
	v_and_b32_e32 v38, 1, v40
	v_cmp_eq_u32_e32 vcc, 1, v38
	s_or_b64 s[0:1], vcc, s[0:1]
	v_cndmask_b32_e64 v39, 0, 1, s[0:1]
; %bb.100:
	s_or_b64 exec, exec, s[50:51]
	ds_write_b64 v36, v[12:13]
	ds_write_b8 v36, v39 offset:8
.LBB688_101:
	s_or_b64 exec, exec, s[34:35]
	v_cmp_gt_u32_e32 vcc, 64, v0
	v_cmp_lt_u32_e64 s[0:1], 63, v0
	v_mov_b32_e32 v44, 0
	v_mov_b64_e32 v[12:13], 0
	s_waitcnt lgkmcnt(0)
	s_barrier
	s_and_saveexec_b64 s[34:35], s[0:1]
	s_cbranch_execz .LBB688_103
; %bb.102:
	v_lshl_add_u32 v25, v25, 4, -16
	ds_read_b64 v[12:13], v25
	ds_read_u8 v44, v25 offset:8
	v_and_b32_e32 v36, 1, v24
	v_cmp_eq_u32_e64 s[0:1], 0, v24
	s_waitcnt lgkmcnt(1)
	s_nop 0
	v_cndmask_b32_e64 v25, 0, v13, s[0:1]
	v_cndmask_b32_e64 v24, 0, v12, s[0:1]
	v_cmp_eq_u32_e64 s[0:1], 1, v36
	v_lshl_add_u64 v[18:19], v[24:25], 0, v[18:19]
	s_waitcnt lgkmcnt(0)
	v_cndmask_b32_e64 v24, v44, 1, s[0:1]
.LBB688_103:
	s_or_b64 exec, exec, s[34:35]
	v_add_u32_e32 v25, -1, v48
	v_and_b32_e32 v36, 64, v48
	v_cmp_lt_i32_e64 s[0:1], v25, v36
	v_cmp_eq_u32_e64 s[34:35], 0, v48
	s_nop 0
	v_cndmask_b32_e64 v25, v25, v48, s[0:1]
	v_lshlrev_b32_e32 v25, 2, v25
	ds_bpermute_b32 v45, v25, v18
	ds_bpermute_b32 v46, v25, v19
	;; [unrolled: 1-line block ×3, first 2 shown]
	s_and_saveexec_b64 s[50:51], vcc
	s_cbranch_execz .LBB688_150
; %bb.104:
	v_mov_b32_e32 v25, 0
	ds_read2_b64 v[36:39], v25 offset0:6 offset1:7
	s_and_saveexec_b64 s[0:1], s[34:35]
	s_cbranch_execz .LBB688_106
; %bb.105:
	s_add_i32 s52, s47, 64
	s_mov_b32 s53, 0
	s_lshl_b64 s[56:57], s[52:53], 4
	s_add_u32 s56, s40, s56
	s_addc_u32 s57, s41, s57
	v_mov_b32_e32 v18, s52
	v_mov_b32_e32 v19, 1
	s_waitcnt lgkmcnt(0)
	global_store_dword v25, v36, s[56:57] sc1
	global_store_dword v25, v37, s[56:57] offset:4 sc1
	global_store_dword v25, v38, s[56:57] offset:8 sc1
	;; [unrolled: 1-line block ×3, first 2 shown]
	s_waitcnt vmcnt(0)
	global_store_byte v18, v19, s[44:45] sc1
.LBB688_106:
	s_or_b64 exec, exec, s[0:1]
	v_xad_u32 v18, v48, -1, s47
	v_add_u32_e32 v24, 64, v18
	s_waitcnt lgkmcnt(0)
	global_load_ubyte v39, v24, s[44:45] sc1
	s_waitcnt vmcnt(0)
	v_cmp_eq_u16_e32 vcc, 0, v39
	s_and_saveexec_b64 s[0:1], vcc
	s_cbranch_execz .LBB688_112
; %bb.107:
	v_lshl_add_u64 v[40:41], s[44:45], 0, v[24:25]
	s_mov_b32 s56, 1
	s_mov_b64 s[52:53], 0
.LBB688_108:                            ; =>This Loop Header: Depth=1
                                        ;     Child Loop BB688_109 Depth 2
	s_max_u32 s57, s56, 1
.LBB688_109:                            ;   Parent Loop BB688_108 Depth=1
                                        ; =>  This Inner Loop Header: Depth=2
	s_add_i32 s57, s57, -1
	s_cmp_eq_u32 s57, 0
	s_sleep 1
	s_cbranch_scc0 .LBB688_109
; %bb.110:                              ;   in Loop: Header=BB688_108 Depth=1
	global_load_ubyte v39, v[40:41], off sc1
	s_cmp_lt_u32 s56, 32
	s_cselect_b64 s[62:63], -1, 0
	s_cmp_lg_u64 s[62:63], 0
	s_addc_u32 s56, s56, 0
	s_waitcnt vmcnt(0)
	v_cmp_ne_u16_e32 vcc, 0, v39
	s_or_b64 s[52:53], vcc, s[52:53]
	s_andn2_b64 exec, exec, s[52:53]
	s_cbranch_execnz .LBB688_108
; %bb.111:
	s_or_b64 exec, exec, s[52:53]
.LBB688_112:
	s_or_b64 exec, exec, s[0:1]
	v_mov_b32_e32 v19, s43
	v_mov_b32_e32 v40, s41
	v_cmp_eq_u16_e32 vcc, 1, v39
	s_waitcnt vmcnt(0)
	s_nop 0
	v_cndmask_b32_e32 v41, v19, v40, vcc
	v_mov_b32_e32 v19, s42
	v_mov_b32_e32 v40, s40
	v_cndmask_b32_e32 v40, v19, v40, vcc
	v_lshl_add_u64 v[24:25], v[24:25], 4, v[40:41]
	global_load_dword v42, v[24:25], off sc1
	global_load_dword v43, v[24:25], off offset:4 sc1
	global_load_dword v62, v[24:25], off offset:8 sc1
	;; [unrolled: 1-line block ×3, first 2 shown]
	v_cmp_eq_u16_e32 vcc, 2, v39
	v_lshlrev_b64 v[24:25], v48, -1
	v_and_b32_e32 v49, 63, v48
	s_waitcnt vmcnt(0)
	v_and_b32_e32 v19, vcc_hi, v25
	v_and_b32_e32 v53, vcc_lo, v24
	v_cmp_ne_u32_e32 vcc, 63, v49
	v_or_b32_e32 v19, 0x80000000, v19
	v_ffbl_b32_e32 v19, v19
	v_addc_co_u32_e32 v40, vcc, 0, v48, vcc
	v_lshlrev_b32_e32 v50, 2, v40
	v_add_u32_e32 v19, 32, v19
	v_ffbl_b32_e32 v53, v53
	v_min_u32_e32 v19, v53, v19
	v_cmp_lt_u32_e32 vcc, v49, v19
	ds_bpermute_b32 v51, v50, v42
	ds_bpermute_b32 v52, v50, v43
	v_and_b32_e32 v40, 0xff, v62
	ds_bpermute_b32 v41, v50, v40
	s_and_saveexec_b64 s[0:1], vcc
	s_cbranch_execz .LBB688_114
; %bb.113:
	v_mov_b32_e32 v40, 0
	v_cmp_eq_u16_sdwa vcc, v62, v40 src0_sel:BYTE_0 src1_sel:DWORD
	s_waitcnt lgkmcnt(0)
	v_or_b32_e32 v40, v41, v62
	v_and_b32_e32 v62, 1, v40
	v_cndmask_b32_e32 v53, 0, v52, vcc
	v_cndmask_b32_e32 v52, 0, v51, vcc
	v_lshl_add_u64 v[42:43], v[52:53], 0, v[42:43]
	v_and_b32_e32 v40, 1, v40
.LBB688_114:
	s_or_b64 exec, exec, s[0:1]
	v_cmp_gt_u32_e32 vcc, 62, v49
	s_waitcnt lgkmcnt(1)
	v_add_u32_e32 v52, 2, v49
	s_waitcnt lgkmcnt(0)
	v_cndmask_b32_e64 v41, 0, 1, vcc
	v_lshlrev_b32_e32 v41, 1, v41
	v_add_lshl_u32 v51, v41, v48, 2
	ds_bpermute_b32 v53, v51, v42
	ds_bpermute_b32 v54, v51, v43
	ds_bpermute_b32 v41, v51, v40
	v_cmp_le_u32_e32 vcc, v52, v19
	s_and_saveexec_b64 s[52:53], vcc
	s_cbranch_execz .LBB688_116
; %bb.115:
	v_mov_b32_e32 v40, 0
	v_cmp_eq_u16_sdwa vcc, v62, v40 src0_sel:BYTE_0 src1_sel:DWORD
	v_and_b32_e32 v40, 1, v62
	s_waitcnt lgkmcnt(1)
	v_cndmask_b32_e32 v55, 0, v54, vcc
	v_cndmask_b32_e32 v54, 0, v53, vcc
	v_cmp_eq_u32_e32 vcc, 1, v40
	s_waitcnt lgkmcnt(0)
	v_and_b32_e32 v40, 1, v41
	v_cmp_eq_u32_e64 s[0:1], 1, v40
	s_or_b64 s[0:1], vcc, s[0:1]
	v_lshl_add_u64 v[42:43], v[54:55], 0, v[42:43]
	v_cndmask_b32_e64 v62, 0, 1, s[0:1]
	v_cndmask_b32_e64 v40, 0, 1, s[0:1]
.LBB688_116:
	s_or_b64 exec, exec, s[52:53]
	v_cmp_gt_u32_e32 vcc, 60, v49
	s_waitcnt lgkmcnt(1)
	v_add_u32_e32 v54, 4, v49
	s_waitcnt lgkmcnt(0)
	v_cndmask_b32_e64 v41, 0, 1, vcc
	v_lshlrev_b32_e32 v41, 2, v41
	v_add_lshl_u32 v53, v41, v48, 2
	ds_bpermute_b32 v55, v53, v42
	ds_bpermute_b32 v56, v53, v43
	ds_bpermute_b32 v41, v53, v40
	v_cmp_le_u32_e32 vcc, v54, v19
	s_and_saveexec_b64 s[52:53], vcc
	s_cbranch_execz .LBB688_118
; %bb.117:
	v_mov_b32_e32 v40, 0
	v_cmp_eq_u16_sdwa vcc, v62, v40 src0_sel:BYTE_0 src1_sel:DWORD
	v_and_b32_e32 v40, 1, v62
	s_waitcnt lgkmcnt(1)
	v_cndmask_b32_e32 v57, 0, v56, vcc
	v_cndmask_b32_e32 v56, 0, v55, vcc
	v_cmp_eq_u32_e32 vcc, 1, v40
	s_waitcnt lgkmcnt(0)
	v_and_b32_e32 v40, 1, v41
	v_cmp_eq_u32_e64 s[0:1], 1, v40
	s_or_b64 s[0:1], vcc, s[0:1]
	v_lshl_add_u64 v[42:43], v[56:57], 0, v[42:43]
	v_cndmask_b32_e64 v62, 0, 1, s[0:1]
	v_cndmask_b32_e64 v40, 0, 1, s[0:1]
.LBB688_118:
	;; [unrolled: 30-line block ×4, first 2 shown]
	s_or_b64 exec, exec, s[52:53]
	v_cmp_gt_u32_e32 vcc, 32, v49
	s_waitcnt lgkmcnt(1)
	v_add_u32_e32 v60, 32, v49
	s_waitcnt lgkmcnt(0)
	v_cndmask_b32_e64 v41, 0, 1, vcc
	v_lshlrev_b32_e32 v41, 5, v41
	v_add_lshl_u32 v59, v41, v48, 2
	ds_bpermute_b32 v41, v59, v42
	ds_bpermute_b32 v48, v59, v43
	;; [unrolled: 1-line block ×3, first 2 shown]
	v_cmp_le_u32_e32 vcc, v60, v19
	s_and_saveexec_b64 s[52:53], vcc
	s_cbranch_execz .LBB688_124
; %bb.123:
	v_mov_b32_e32 v19, 0
	v_cmp_eq_u16_sdwa vcc, v62, v19 src0_sel:BYTE_0 src1_sel:DWORD
	v_and_b32_e32 v19, 1, v62
	s_waitcnt lgkmcnt(1)
	v_cndmask_b32_e32 v67, 0, v48, vcc
	v_cndmask_b32_e32 v66, 0, v41, vcc
	v_cmp_eq_u32_e32 vcc, 1, v19
	s_waitcnt lgkmcnt(0)
	v_and_b32_e32 v19, 1, v40
	v_cmp_eq_u32_e64 s[0:1], 1, v19
	s_or_b64 s[0:1], vcc, s[0:1]
	v_lshl_add_u64 v[42:43], v[66:67], 0, v[42:43]
	v_cndmask_b32_e64 v62, 0, 1, s[0:1]
.LBB688_124:
	s_or_b64 exec, exec, s[52:53]
	v_mov_b32_e32 v19, 0
	v_mov_b32_e32 v61, 2
	s_branch .LBB688_126
.LBB688_125:                            ;   in Loop: Header=BB688_126 Depth=1
	s_or_b64 exec, exec, s[56:57]
	v_cmp_eq_u16_sdwa vcc, v48, v19 src0_sel:BYTE_0 src1_sel:DWORD
	v_and_b32_e32 v62, 1, v48
	v_subrev_u32_e32 v18, 64, v18
	v_cndmask_b32_e32 v43, 0, v43, vcc
	v_cndmask_b32_e32 v42, 0, v42, vcc
	v_cmp_eq_u32_e32 vcc, 1, v62
	s_or_b64 s[0:1], vcc, s[52:53]
	v_lshl_add_u64 v[42:43], v[42:43], 0, v[40:41]
	v_cndmask_b32_e64 v62, 0, 1, s[0:1]
.LBB688_126:                            ; =>This Loop Header: Depth=1
                                        ;     Child Loop BB688_129 Depth 2
                                        ;       Child Loop BB688_130 Depth 3
	v_cmp_ne_u16_sdwa s[0:1], v39, v61 src0_sel:BYTE_0 src1_sel:DWORD
	s_waitcnt lgkmcnt(1)
	v_mov_b32_e32 v48, v62
	s_waitcnt lgkmcnt(0)
	v_mov_b64_e32 v[40:41], v[42:43]
	v_cndmask_b32_e64 v39, 0, 1, s[0:1]
	;;#ASMSTART
	;;#ASMEND
	s_nop 0
	v_cmp_ne_u32_e32 vcc, 0, v39
	s_cmp_lg_u64 vcc, exec
	s_cbranch_scc1 .LBB688_145
; %bb.127:                              ;   in Loop: Header=BB688_126 Depth=1
	global_load_ubyte v39, v18, s[44:45] sc1
	s_waitcnt vmcnt(0)
	v_cmp_eq_u16_e32 vcc, 0, v39
	s_and_saveexec_b64 s[0:1], vcc
	s_cbranch_execz .LBB688_133
; %bb.128:                              ;   in Loop: Header=BB688_126 Depth=1
	v_lshl_add_u64 v[42:43], s[44:45], 0, v[18:19]
	s_mov_b32 s56, 1
	s_mov_b64 s[52:53], 0
.LBB688_129:                            ;   Parent Loop BB688_126 Depth=1
                                        ; =>  This Loop Header: Depth=2
                                        ;       Child Loop BB688_130 Depth 3
	s_max_u32 s57, s56, 1
.LBB688_130:                            ;   Parent Loop BB688_126 Depth=1
                                        ;     Parent Loop BB688_129 Depth=2
                                        ; =>    This Inner Loop Header: Depth=3
	s_add_i32 s57, s57, -1
	s_cmp_eq_u32 s57, 0
	s_sleep 1
	s_cbranch_scc0 .LBB688_130
; %bb.131:                              ;   in Loop: Header=BB688_129 Depth=2
	global_load_ubyte v39, v[42:43], off sc1
	s_cmp_lt_u32 s56, 32
	s_cselect_b64 s[62:63], -1, 0
	s_cmp_lg_u64 s[62:63], 0
	s_addc_u32 s56, s56, 0
	s_waitcnt vmcnt(0)
	v_cmp_ne_u16_e32 vcc, 0, v39
	s_or_b64 s[52:53], vcc, s[52:53]
	s_andn2_b64 exec, exec, s[52:53]
	s_cbranch_execnz .LBB688_129
; %bb.132:                              ;   in Loop: Header=BB688_126 Depth=1
	s_or_b64 exec, exec, s[52:53]
.LBB688_133:                            ;   in Loop: Header=BB688_126 Depth=1
	s_or_b64 exec, exec, s[0:1]
	v_mov_b32_e32 v42, s43
	v_mov_b32_e32 v43, s41
	v_cmp_eq_u16_e32 vcc, 1, v39
	v_mov_b32_e32 v62, s40
	s_waitcnt vmcnt(0)
	v_cndmask_b32_e32 v43, v42, v43, vcc
	v_mov_b32_e32 v42, s42
	v_cndmask_b32_e32 v42, v42, v62, vcc
	v_lshl_add_u64 v[66:67], v[18:19], 4, v[42:43]
	global_load_dword v42, v[66:67], off sc1
	global_load_dword v43, v[66:67], off offset:4 sc1
	global_load_dword v62, v[66:67], off offset:8 sc1
	global_load_dword v63, v[66:67], off offset:12 sc1
	v_cmp_eq_u16_e32 vcc, 2, v39
	s_waitcnt vmcnt(3)
	ds_bpermute_b32 v68, v50, v42
	s_waitcnt vmcnt(0)
	v_and_b32_e32 v63, vcc_hi, v25
	v_and_b32_e32 v66, 0xff, v62
	v_or_b32_e32 v63, 0x80000000, v63
	ds_bpermute_b32 v69, v50, v43
	ds_bpermute_b32 v67, v50, v66
	v_and_b32_e32 v84, vcc_lo, v24
	v_ffbl_b32_e32 v63, v63
	v_add_u32_e32 v63, 32, v63
	v_ffbl_b32_e32 v84, v84
	v_min_u32_e32 v63, v84, v63
	v_cmp_lt_u32_e32 vcc, v49, v63
	s_and_saveexec_b64 s[0:1], vcc
	s_cbranch_execz .LBB688_135
; %bb.134:                              ;   in Loop: Header=BB688_126 Depth=1
	v_cmp_eq_u16_sdwa vcc, v62, v19 src0_sel:BYTE_0 src1_sel:DWORD
	s_waitcnt lgkmcnt(0)
	v_or_b32_e32 v66, v67, v62
	v_and_b32_e32 v62, 1, v66
	v_cndmask_b32_e32 v69, 0, v69, vcc
	v_cndmask_b32_e32 v68, 0, v68, vcc
	v_lshl_add_u64 v[42:43], v[68:69], 0, v[42:43]
	v_and_b32_e32 v66, 1, v66
.LBB688_135:                            ;   in Loop: Header=BB688_126 Depth=1
	s_or_b64 exec, exec, s[0:1]
	s_waitcnt lgkmcnt(2)
	ds_bpermute_b32 v68, v51, v42
	s_waitcnt lgkmcnt(2)
	ds_bpermute_b32 v69, v51, v43
	;; [unrolled: 2-line block ×3, first 2 shown]
	v_and_b32_e32 v84, 1, v62
	v_cmp_le_u32_e32 vcc, v52, v63
	v_cmp_eq_u32_e64 s[52:53], 1, v84
	s_and_saveexec_b64 s[0:1], vcc
	s_cbranch_execz .LBB688_137
; %bb.136:                              ;   in Loop: Header=BB688_126 Depth=1
	v_cmp_eq_u16_sdwa vcc, v62, v19 src0_sel:BYTE_0 src1_sel:DWORD
	s_waitcnt lgkmcnt(0)
	v_and_b32_e32 v62, 1, v67
	v_cndmask_b32_e32 v69, 0, v69, vcc
	v_cndmask_b32_e32 v68, 0, v68, vcc
	v_cmp_eq_u32_e32 vcc, 1, v62
	s_or_b64 s[56:57], s[52:53], vcc
	v_cndmask_b32_e64 v62, 0, 1, s[56:57]
	v_cndmask_b32_e64 v66, 0, 1, s[56:57]
	s_andn2_b64 s[52:53], s[52:53], exec
	s_and_b64 s[56:57], s[56:57], exec
	v_lshl_add_u64 v[42:43], v[68:69], 0, v[42:43]
	s_or_b64 s[52:53], s[52:53], s[56:57]
.LBB688_137:                            ;   in Loop: Header=BB688_126 Depth=1
	s_or_b64 exec, exec, s[0:1]
	s_waitcnt lgkmcnt(2)
	ds_bpermute_b32 v68, v53, v42
	s_waitcnt lgkmcnt(2)
	ds_bpermute_b32 v69, v53, v43
	s_waitcnt lgkmcnt(2)
	ds_bpermute_b32 v67, v53, v66
	v_cmp_le_u32_e32 vcc, v54, v63
	s_and_saveexec_b64 s[56:57], vcc
	s_cbranch_execz .LBB688_139
; %bb.138:                              ;   in Loop: Header=BB688_126 Depth=1
	v_cmp_eq_u16_sdwa vcc, v62, v19 src0_sel:BYTE_0 src1_sel:DWORD
	v_and_b32_e32 v62, 1, v62
	s_andn2_b64 s[52:53], s[52:53], exec
	s_waitcnt lgkmcnt(1)
	v_cndmask_b32_e32 v69, 0, v69, vcc
	v_cndmask_b32_e32 v68, 0, v68, vcc
	v_cmp_eq_u32_e32 vcc, 1, v62
	s_waitcnt lgkmcnt(0)
	v_and_b32_e32 v62, 1, v67
	v_cmp_eq_u32_e64 s[0:1], 1, v62
	s_or_b64 s[0:1], vcc, s[0:1]
	v_lshl_add_u64 v[42:43], v[68:69], 0, v[42:43]
	v_cndmask_b32_e64 v62, 0, 1, s[0:1]
	v_cndmask_b32_e64 v66, 0, 1, s[0:1]
	s_and_b64 s[0:1], s[0:1], exec
	s_or_b64 s[52:53], s[52:53], s[0:1]
.LBB688_139:                            ;   in Loop: Header=BB688_126 Depth=1
	s_or_b64 exec, exec, s[56:57]
	s_waitcnt lgkmcnt(2)
	ds_bpermute_b32 v68, v55, v42
	s_waitcnt lgkmcnt(2)
	ds_bpermute_b32 v69, v55, v43
	s_waitcnt lgkmcnt(2)
	ds_bpermute_b32 v67, v55, v66
	v_cmp_le_u32_e32 vcc, v56, v63
	s_and_saveexec_b64 s[56:57], vcc
	s_cbranch_execz .LBB688_141
; %bb.140:                              ;   in Loop: Header=BB688_126 Depth=1
	v_cmp_eq_u16_sdwa vcc, v62, v19 src0_sel:BYTE_0 src1_sel:DWORD
	v_and_b32_e32 v62, 1, v62
	s_andn2_b64 s[52:53], s[52:53], exec
	s_waitcnt lgkmcnt(1)
	v_cndmask_b32_e32 v69, 0, v69, vcc
	v_cndmask_b32_e32 v68, 0, v68, vcc
	v_cmp_eq_u32_e32 vcc, 1, v62
	s_waitcnt lgkmcnt(0)
	v_and_b32_e32 v62, 1, v67
	v_cmp_eq_u32_e64 s[0:1], 1, v62
	s_or_b64 s[0:1], vcc, s[0:1]
	v_lshl_add_u64 v[42:43], v[68:69], 0, v[42:43]
	v_cndmask_b32_e64 v62, 0, 1, s[0:1]
	v_cndmask_b32_e64 v66, 0, 1, s[0:1]
	s_and_b64 s[0:1], s[0:1], exec
	s_or_b64 s[52:53], s[52:53], s[0:1]
.LBB688_141:                            ;   in Loop: Header=BB688_126 Depth=1
	s_or_b64 exec, exec, s[56:57]
	s_waitcnt lgkmcnt(2)
	ds_bpermute_b32 v68, v57, v42
	s_waitcnt lgkmcnt(2)
	ds_bpermute_b32 v69, v57, v43
	s_waitcnt lgkmcnt(2)
	ds_bpermute_b32 v67, v57, v66
	v_cmp_le_u32_e32 vcc, v58, v63
	s_and_saveexec_b64 s[56:57], vcc
	s_cbranch_execz .LBB688_143
; %bb.142:                              ;   in Loop: Header=BB688_126 Depth=1
	v_cmp_eq_u16_sdwa vcc, v62, v19 src0_sel:BYTE_0 src1_sel:DWORD
	v_and_b32_e32 v62, 1, v62
	s_andn2_b64 s[52:53], s[52:53], exec
	s_waitcnt lgkmcnt(1)
	v_cndmask_b32_e32 v69, 0, v69, vcc
	v_cndmask_b32_e32 v68, 0, v68, vcc
	v_cmp_eq_u32_e32 vcc, 1, v62
	s_waitcnt lgkmcnt(0)
	v_and_b32_e32 v62, 1, v67
	v_cmp_eq_u32_e64 s[0:1], 1, v62
	s_or_b64 s[0:1], vcc, s[0:1]
	v_lshl_add_u64 v[42:43], v[68:69], 0, v[42:43]
	v_cndmask_b32_e64 v62, 0, 1, s[0:1]
	v_cndmask_b32_e64 v66, 0, 1, s[0:1]
	s_and_b64 s[0:1], s[0:1], exec
	s_or_b64 s[52:53], s[52:53], s[0:1]
.LBB688_143:                            ;   in Loop: Header=BB688_126 Depth=1
	s_or_b64 exec, exec, s[56:57]
	s_waitcnt lgkmcnt(0)
	ds_bpermute_b32 v67, v59, v42
	ds_bpermute_b32 v68, v59, v43
	;; [unrolled: 1-line block ×3, first 2 shown]
	v_cmp_le_u32_e32 vcc, v60, v63
	s_and_saveexec_b64 s[56:57], vcc
	s_cbranch_execz .LBB688_125
; %bb.144:                              ;   in Loop: Header=BB688_126 Depth=1
	v_cmp_eq_u16_sdwa vcc, v62, v19 src0_sel:BYTE_0 src1_sel:DWORD
	v_and_b32_e32 v62, 1, v62
	s_andn2_b64 s[52:53], s[52:53], exec
	s_waitcnt lgkmcnt(1)
	v_cndmask_b32_e32 v69, 0, v68, vcc
	v_cndmask_b32_e32 v68, 0, v67, vcc
	v_cmp_eq_u32_e32 vcc, 1, v62
	s_waitcnt lgkmcnt(0)
	v_and_b32_e32 v62, 1, v66
	v_cmp_eq_u32_e64 s[0:1], 1, v62
	s_or_b64 s[0:1], vcc, s[0:1]
	s_and_b64 s[0:1], s[0:1], exec
	v_lshl_add_u64 v[42:43], v[68:69], 0, v[42:43]
	s_or_b64 s[52:53], s[52:53], s[0:1]
	s_branch .LBB688_125
.LBB688_145:                            ;   in Loop: Header=BB688_126 Depth=1
                                        ; implicit-def: $vgpr62
                                        ; implicit-def: $vgpr42_vgpr43
                                        ; implicit-def: $vgpr39
	s_cbranch_execz .LBB688_126
; %bb.146:
	s_and_saveexec_b64 s[0:1], s[34:35]
	s_cbranch_execz .LBB688_148
; %bb.147:
	s_mov_b32 s41, 0
	v_mov_b32_e32 v24, 0
	s_add_i32 s40, s47, 64
	v_cmp_eq_u32_sdwa vcc, v38, v24 src0_sel:BYTE_0 src1_sel:DWORD
	s_lshl_b64 s[52:53], s[40:41], 4
	v_and_b32_e32 v25, 1, v38
	v_cndmask_b32_e32 v19, 0, v41, vcc
	v_cndmask_b32_e32 v18, 0, v40, vcc
	s_add_u32 s52, s42, s52
	v_lshl_add_u64 v[18:19], v[18:19], 0, v[36:37]
	v_and_b32_e32 v36, 1, v48
	v_cmp_eq_u32_e32 vcc, 1, v25
	s_addc_u32 s53, s43, s53
	s_nop 0
	v_cndmask_b32_e64 v25, v36, 1, vcc
	global_store_dword v24, v18, s[52:53] sc1
	global_store_dword v24, v19, s[52:53] offset:4 sc1
	global_store_dword v24, v25, s[52:53] offset:8 sc1
	;; [unrolled: 1-line block ×3, first 2 shown]
	v_mov_b32_e32 v18, s40
	v_mov_b32_e32 v19, 2
	s_waitcnt vmcnt(0) lgkmcnt(0)
	global_store_byte v18, v19, s[44:45] sc1
.LBB688_148:
	s_or_b64 exec, exec, s[0:1]
	s_and_b64 exec, exec, s[36:37]
	s_cbranch_execz .LBB688_150
; %bb.149:
	v_mov_b32_e32 v18, 0
	ds_write_b64 v18, v[40:41] offset:48
	ds_write_b8 v18, v48 offset:56
.LBB688_150:
	s_or_b64 exec, exec, s[50:51]
	s_waitcnt lgkmcnt(0)
	v_cndmask_b32_e64 v18, v47, v44, s[34:35]
	v_mov_b32_e32 v25, 0
	v_cndmask_b32_e64 v19, v46, v13, s[34:35]
	v_cndmask_b32_e64 v24, v45, v12, s[34:35]
	v_cmp_eq_u16_sdwa vcc, v1, v25 src0_sel:BYTE_0 src1_sel:DWORD
	v_and_b32_e32 v36, 1, v1
	v_and_b32_e32 v18, 1, v18
	s_barrier
	ds_read_b64 v[12:13], v25 offset:48
	v_cndmask_b32_e32 v24, 0, v24, vcc
	v_cndmask_b32_e32 v19, 0, v19, vcc
	v_cmp_eq_u32_e32 vcc, 1, v36
	v_cmp_eq_u32_e64 s[0:1], 1, v18
	s_or_b64 s[0:1], vcc, s[0:1]
	v_cndmask_b32_e64 v19, v19, 0, s[36:37]
	v_cndmask_b32_e64 v18, 0, 1, s[0:1]
	;; [unrolled: 1-line block ×4, first 2 shown]
	v_cmp_eq_u16_sdwa vcc, v36, v25 src0_sel:BYTE_0 src1_sel:DWORD
	v_lshl_add_u64 v[18:19], v[18:19], 0, v[2:3]
	s_waitcnt lgkmcnt(0)
	v_cndmask_b32_e32 v13, 0, v13, vcc
	v_cndmask_b32_e32 v12, 0, v12, vcc
	v_lshl_add_u64 v[36:37], v[18:19], 0, v[12:13]
	v_cndmask_b32_e64 v13, 0, v37, s[6:7]
	v_cndmask_b32_e64 v12, 0, v36, s[6:7]
	v_lshl_add_u64 v[38:39], v[12:13], 0, v[4:5]
	v_cndmask_b32_e64 v13, 0, v39, s[8:9]
	v_cndmask_b32_e64 v12, 0, v38, s[8:9]
	v_lshl_add_u64 v[40:41], v[12:13], 0, v[8:9]
	v_cndmask_b32_e64 v13, 0, v41, s[10:11]
	v_cndmask_b32_e64 v12, 0, v40, s[10:11]
	v_lshl_add_u64 v[42:43], v[12:13], 0, v[10:11]
	v_cndmask_b32_e64 v13, 0, v43, s[12:13]
	v_cndmask_b32_e64 v12, 0, v42, s[12:13]
	v_lshl_add_u64 v[44:45], v[12:13], 0, v[14:15]
	v_cndmask_b32_e64 v13, 0, v45, s[14:15]
	v_cndmask_b32_e64 v12, 0, v44, s[14:15]
	v_lshl_add_u64 v[46:47], v[12:13], 0, v[16:17]
	v_cndmask_b32_e64 v13, 0, v47, s[16:17]
	v_cndmask_b32_e64 v12, 0, v46, s[16:17]
	v_lshl_add_u64 v[48:49], v[12:13], 0, v[20:21]
	v_cndmask_b32_e64 v13, 0, v49, s[18:19]
	v_cndmask_b32_e64 v12, 0, v48, s[18:19]
	v_lshl_add_u64 v[50:51], v[12:13], 0, v[22:23]
	v_cndmask_b32_e64 v13, 0, v51, s[20:21]
	v_cndmask_b32_e64 v12, 0, v50, s[20:21]
	v_lshl_add_u64 v[52:53], v[12:13], 0, v[26:27]
	v_cndmask_b32_e64 v13, 0, v53, s[22:23]
	v_cndmask_b32_e64 v12, 0, v52, s[22:23]
	v_lshl_add_u64 v[54:55], v[12:13], 0, v[28:29]
	v_cndmask_b32_e64 v13, 0, v55, s[24:25]
	v_cndmask_b32_e64 v12, 0, v54, s[24:25]
	v_lshl_add_u64 v[56:57], v[12:13], 0, v[32:33]
	v_cndmask_b32_e64 v13, 0, v57, s[26:27]
	v_cndmask_b32_e64 v12, 0, v56, s[26:27]
	v_lshl_add_u64 v[58:59], v[12:13], 0, v[34:35]
	v_cndmask_b32_e64 v13, 0, v59, s[28:29]
	v_cndmask_b32_e64 v12, 0, v58, s[28:29]
	v_lshl_add_u64 v[60:61], v[12:13], 0, v[70:71]
	v_cndmask_b32_e64 v13, 0, v61, s[30:31]
	v_cndmask_b32_e64 v12, 0, v60, s[30:31]
	v_lshl_add_u64 v[62:63], v[12:13], 0, v[6:7]
	s_branch .LBB688_193
.LBB688_151:
	s_or_b64 exec, exec, s[50:51]
                                        ; implicit-def: $vgpr6_vgpr7
	s_and_saveexec_b64 s[50:51], s[6:7]
	s_cbranch_execz .LBB688_35
.LBB688_152:
	v_mov_b32_e32 v3, 0
	v_lshl_add_u64 v[6:7], s[0:1], 0, v[2:3]
	flat_load_dwordx2 v[6:7], v[6:7] offset:2048
	s_or_b64 exec, exec, s[50:51]
                                        ; implicit-def: $vgpr8_vgpr9
	s_and_saveexec_b64 s[6:7], s[8:9]
	s_cbranch_execnz .LBB688_36
.LBB688_153:
	s_or_b64 exec, exec, s[6:7]
                                        ; implicit-def: $vgpr10_vgpr11
	s_and_saveexec_b64 s[6:7], s[10:11]
	s_cbranch_execz .LBB688_37
.LBB688_154:
	v_lshlrev_b32_e32 v10, 3, v32
	v_mov_b32_e32 v11, 0
	v_lshl_add_u64 v[10:11], s[0:1], 0, v[10:11]
	flat_load_dwordx2 v[10:11], v[10:11]
	s_or_b64 exec, exec, s[6:7]
                                        ; implicit-def: $vgpr12_vgpr13
	s_and_saveexec_b64 s[6:7], s[12:13]
	s_cbranch_execnz .LBB688_38
.LBB688_155:
	s_or_b64 exec, exec, s[6:7]
                                        ; implicit-def: $vgpr14_vgpr15
	s_and_saveexec_b64 s[6:7], s[14:15]
	s_cbranch_execz .LBB688_39
.LBB688_156:
	v_lshlrev_b32_e32 v14, 3, v34
	v_mov_b32_e32 v15, 0
	v_lshl_add_u64 v[14:15], s[0:1], 0, v[14:15]
	flat_load_dwordx2 v[14:15], v[14:15]
	s_or_b64 exec, exec, s[6:7]
                                        ; implicit-def: $vgpr16_vgpr17
	s_and_saveexec_b64 s[6:7], s[16:17]
	s_cbranch_execnz .LBB688_40
.LBB688_157:
	s_or_b64 exec, exec, s[6:7]
                                        ; implicit-def: $vgpr18_vgpr19
	s_and_saveexec_b64 s[6:7], s[18:19]
	s_cbranch_execz .LBB688_41
.LBB688_158:
	v_lshlrev_b32_e32 v18, 3, v36
	v_mov_b32_e32 v19, 0
	v_lshl_add_u64 v[18:19], s[0:1], 0, v[18:19]
	flat_load_dwordx2 v[18:19], v[18:19]
	s_or_b64 exec, exec, s[6:7]
                                        ; implicit-def: $vgpr20_vgpr21
	s_and_saveexec_b64 s[6:7], s[20:21]
	s_cbranch_execnz .LBB688_42
.LBB688_159:
	s_or_b64 exec, exec, s[6:7]
                                        ; implicit-def: $vgpr22_vgpr23
	s_and_saveexec_b64 s[6:7], s[22:23]
	s_cbranch_execz .LBB688_43
.LBB688_160:
	v_lshlrev_b32_e32 v22, 3, v43
	v_mov_b32_e32 v23, 0
	v_lshl_add_u64 v[22:23], s[0:1], 0, v[22:23]
	flat_load_dwordx2 v[22:23], v[22:23]
	s_or_b64 exec, exec, s[6:7]
                                        ; implicit-def: $vgpr24_vgpr25
	s_and_saveexec_b64 s[6:7], s[24:25]
	s_cbranch_execnz .LBB688_44
.LBB688_161:
	s_or_b64 exec, exec, s[6:7]
                                        ; implicit-def: $vgpr26_vgpr27
	s_and_saveexec_b64 s[6:7], s[26:27]
	s_cbranch_execz .LBB688_45
.LBB688_162:
	v_lshlrev_b32_e32 v26, 3, v45
	v_mov_b32_e32 v27, 0
	v_lshl_add_u64 v[26:27], s[0:1], 0, v[26:27]
	flat_load_dwordx2 v[26:27], v[26:27]
	s_or_b64 exec, exec, s[6:7]
                                        ; implicit-def: $vgpr28_vgpr29
	s_and_saveexec_b64 s[6:7], s[28:29]
	s_cbranch_execz .LBB688_47
	s_branch .LBB688_46
.LBB688_163:
                                        ; implicit-def: $vgpr62_vgpr63
                                        ; implicit-def: $vgpr58_vgpr59
                                        ; implicit-def: $vgpr54_vgpr55
                                        ; implicit-def: $vgpr50_vgpr51
                                        ; implicit-def: $vgpr46_vgpr47
                                        ; implicit-def: $vgpr42_vgpr43
                                        ; implicit-def: $vgpr38_vgpr39
	s_cbranch_execz .LBB688_193
; %bb.164:
	s_cmp_lg_u64 s[60:61], 0
	s_cselect_b32 s7, s59, 0
	s_cselect_b32 s6, s58, 0
	s_cmp_lg_u64 s[6:7], 0
	s_cselect_b64 s[0:1], -1, 0
	s_and_b64 s[8:9], s[36:37], s[0:1]
	s_and_saveexec_b64 s[0:1], s[8:9]
	s_cbranch_execz .LBB688_166
; %bb.165:
	v_mov_b32_e32 v18, 0
	global_load_dwordx2 v[12:13], v18, s[6:7]
	global_load_ubyte v19, v18, s[6:7] offset:8
	v_cmp_eq_u16_sdwa vcc, v1, v18 src0_sel:BYTE_0 src1_sel:DWORD
	s_waitcnt vmcnt(0)
	v_or_b32_e32 v1, v1, v19
	v_cndmask_b32_e32 v13, 0, v13, vcc
	v_cndmask_b32_e32 v12, 0, v12, vcc
	v_lshl_add_u64 v[2:3], v[12:13], 0, v[2:3]
	v_and_b32_e32 v1, 1, v1
.LBB688_166:
	s_or_b64 exec, exec, s[0:1]
	v_mov_b32_e32 v19, 0
	v_cmp_eq_u16_sdwa vcc, v72, v19 src0_sel:BYTE_0 src1_sel:DWORD
	v_cmp_eq_u16_sdwa s[6:7], v74, v19 src0_sel:BYTE_0 src1_sel:DWORD
	v_cmp_eq_u16_sdwa s[8:9], v75, v19 src0_sel:BYTE_0 src1_sel:DWORD
	v_cndmask_b32_e32 v13, 0, v3, vcc
	v_cndmask_b32_e32 v12, 0, v2, vcc
	v_lshl_add_u64 v[38:39], v[12:13], 0, v[4:5]
	v_cndmask_b32_e64 v13, 0, v39, s[6:7]
	v_cndmask_b32_e64 v12, 0, v38, s[6:7]
	v_lshl_add_u64 v[40:41], v[12:13], 0, v[8:9]
	v_cndmask_b32_e64 v13, 0, v41, s[8:9]
	v_cndmask_b32_e64 v12, 0, v40, s[8:9]
	v_lshl_add_u64 v[42:43], v[12:13], 0, v[10:11]
	v_cmp_eq_u16_sdwa s[10:11], v76, v19 src0_sel:BYTE_0 src1_sel:DWORD
	v_cmp_eq_u16_sdwa s[12:13], v77, v19 src0_sel:BYTE_0 src1_sel:DWORD
	v_cmp_eq_u16_sdwa s[14:15], v78, v19 src0_sel:BYTE_0 src1_sel:DWORD
	v_cndmask_b32_e64 v13, 0, v43, s[10:11]
	v_cndmask_b32_e64 v12, 0, v42, s[10:11]
	v_lshl_add_u64 v[44:45], v[12:13], 0, v[14:15]
	v_cndmask_b32_e64 v13, 0, v45, s[12:13]
	v_cndmask_b32_e64 v12, 0, v44, s[12:13]
	v_lshl_add_u64 v[46:47], v[12:13], 0, v[16:17]
	v_cndmask_b32_e64 v13, 0, v47, s[14:15]
	v_cndmask_b32_e64 v12, 0, v46, s[14:15]
	v_lshl_add_u64 v[48:49], v[12:13], 0, v[20:21]
	v_cmp_eq_u16_sdwa s[16:17], v79, v19 src0_sel:BYTE_0 src1_sel:DWORD
	v_cmp_eq_u16_sdwa s[18:19], v80, v19 src0_sel:BYTE_0 src1_sel:DWORD
	v_cmp_eq_u16_sdwa s[20:21], v81, v19 src0_sel:BYTE_0 src1_sel:DWORD
	v_cndmask_b32_e64 v13, 0, v49, s[16:17]
	v_cndmask_b32_e64 v12, 0, v48, s[16:17]
	;; [unrolled: 12-line block ×3, first 2 shown]
	v_lshl_add_u64 v[56:57], v[12:13], 0, v[32:33]
	v_cndmask_b32_e64 v13, 0, v57, s[24:25]
	v_cndmask_b32_e64 v12, 0, v56, s[24:25]
	v_lshl_add_u64 v[58:59], v[12:13], 0, v[34:35]
	v_cndmask_b32_e64 v13, 0, v59, s[26:27]
	v_cndmask_b32_e64 v12, 0, v58, s[26:27]
	v_lshl_add_u64 v[60:61], v[12:13], 0, v[70:71]
	v_cmp_eq_u16_sdwa s[28:29], v31, v19 src0_sel:BYTE_0 src1_sel:DWORD
	v_and_b32_e32 v18, 0xff, v1
	v_mbcnt_hi_u32_b32 v24, -1, v64
	v_cndmask_b32_e64 v13, 0, v61, s[28:29]
	v_cndmask_b32_e64 v12, 0, v60, s[28:29]
	v_lshl_add_u64 v[62:63], v[12:13], 0, v[6:7]
	v_or_b32_e32 v12, v65, v82
	v_or_b32_e32 v12, v12, v81
	;; [unrolled: 1-line block ×10, first 2 shown]
	v_and_b32_e32 v12, 1, v12
	v_cmp_eq_u32_e64 s[0:1], 1, v12
	v_and_b32_e32 v31, 15, v24
	v_mov_b32_dpp v37, v62 row_shr:1 row_mask:0xf bank_mask:0xf
	v_cndmask_b32_e64 v25, v18, 1, s[0:1]
	v_mov_b32_dpp v64, v63 row_shr:1 row_mask:0xf bank_mask:0xf
	v_cmp_ne_u32_e64 s[0:1], 0, v31
	v_mov_b32_dpp v36, v25 row_shr:1 row_mask:0xf bank_mask:0xf
	v_mov_b64_e32 v[12:13], v[62:63]
	v_mov_b32_e32 v19, v63
	v_mov_b32_e32 v18, v62
	s_and_saveexec_b64 s[30:31], s[0:1]
; %bb.167:
	v_cmp_eq_u32_e64 s[0:1], 0, v25
	v_and_or_b32 v25, v36, 1, v25
	s_nop 0
	v_cndmask_b32_e64 v13, 0, v64, s[0:1]
	v_cndmask_b32_e64 v12, 0, v37, s[0:1]
	v_lshl_add_u64 v[12:13], v[62:63], 0, v[12:13]
	v_mov_b32_e32 v19, v13
	v_mov_b32_e32 v18, v12
; %bb.168:
	s_or_b64 exec, exec, s[30:31]
	s_nop 0
	v_mov_b32_dpp v37, v18 row_shr:2 row_mask:0xf bank_mask:0xf
	v_mov_b32_dpp v64, v19 row_shr:2 row_mask:0xf bank_mask:0xf
	v_mov_b32_dpp v36, v25 row_shr:2 row_mask:0xf bank_mask:0xf
	v_cmp_lt_u32_e64 s[0:1], 1, v31
	s_and_saveexec_b64 s[30:31], s[0:1]
; %bb.169:
	v_cmp_eq_u32_e64 s[0:1], 0, v25
	s_nop 1
	v_cndmask_b32_e64 v19, 0, v64, s[0:1]
	v_cndmask_b32_e64 v18, 0, v37, s[0:1]
	v_lshl_add_u64 v[18:19], v[18:19], 0, v[12:13]
	v_or_b32_e32 v12, v36, v25
	v_and_b32_e32 v25, 1, v12
	v_mov_b64_e32 v[12:13], v[18:19]
; %bb.170:
	s_or_b64 exec, exec, s[30:31]
	v_mov_b32_dpp v37, v18 row_shr:4 row_mask:0xf bank_mask:0xf
	v_mov_b32_dpp v64, v19 row_shr:4 row_mask:0xf bank_mask:0xf
	v_mov_b32_dpp v36, v25 row_shr:4 row_mask:0xf bank_mask:0xf
	v_cmp_lt_u32_e64 s[0:1], 3, v31
	s_and_saveexec_b64 s[30:31], s[0:1]
; %bb.171:
	v_cmp_eq_u32_e64 s[0:1], 0, v25
	s_nop 1
	v_cndmask_b32_e64 v19, 0, v64, s[0:1]
	v_cndmask_b32_e64 v18, 0, v37, s[0:1]
	v_lshl_add_u64 v[18:19], v[18:19], 0, v[12:13]
	v_or_b32_e32 v12, v36, v25
	v_and_b32_e32 v25, 1, v12
	v_mov_b64_e32 v[12:13], v[18:19]
; %bb.172:
	s_or_b64 exec, exec, s[30:31]
	;; [unrolled: 16-line block ×3, first 2 shown]
	v_and_b32_e32 v64, 16, v24
	v_mov_b32_dpp v36, v18 row_bcast:15 row_mask:0xf bank_mask:0xf
	v_mov_b32_dpp v37, v19 row_bcast:15 row_mask:0xf bank_mask:0xf
	;; [unrolled: 1-line block ×3, first 2 shown]
	v_cmp_ne_u32_e64 s[0:1], 0, v64
	s_and_saveexec_b64 s[30:31], s[0:1]
; %bb.175:
	v_cmp_eq_u32_e64 s[0:1], 0, v25
	s_nop 1
	v_cndmask_b32_e64 v19, 0, v37, s[0:1]
	v_cndmask_b32_e64 v18, 0, v36, s[0:1]
	v_lshl_add_u64 v[12:13], v[18:19], 0, v[12:13]
	v_or_b32_e32 v18, v31, v25
	v_and_b32_e32 v25, 1, v18
	v_mov_b32_e32 v19, v13
	v_mov_b32_e32 v18, v12
; %bb.176:
	s_or_b64 exec, exec, s[30:31]
	s_nop 0
	v_mov_b32_dpp v31, v18 row_bcast:31 row_mask:0xf bank_mask:0xf
	v_mov_b32_dpp v36, v19 row_bcast:31 row_mask:0xf bank_mask:0xf
	v_mov_b32_dpp v19, v25 row_bcast:31 row_mask:0xf bank_mask:0xf
	v_cmp_lt_u32_e64 s[0:1], 31, v24
	v_mov_b32_e32 v18, v25
	s_and_saveexec_b64 s[30:31], s[0:1]
; %bb.177:
	v_cmp_eq_u32_e64 s[0:1], 0, v25
	v_or_b32_e32 v19, v19, v25
	v_and_b32_e32 v18, 1, v19
	v_cndmask_b32_e64 v37, 0, v36, s[0:1]
	v_cndmask_b32_e64 v36, 0, v31, s[0:1]
	v_lshl_add_u64 v[12:13], v[36:37], 0, v[12:13]
	v_and_b32_e32 v25, 1, v19
; %bb.178:
	s_or_b64 exec, exec, s[30:31]
	v_or_b32_e32 v19, 63, v0
	v_lshrrev_b32_e32 v31, 6, v0
	v_cmp_eq_u32_e64 s[0:1], v19, v0
	s_and_saveexec_b64 s[30:31], s[0:1]
	s_cbranch_execz .LBB688_180
; %bb.179:
	v_lshlrev_b32_e32 v19, 4, v31
	ds_write_b64 v19, v[12:13]
	ds_write_b8 v19, v18 offset:8
.LBB688_180:
	s_or_b64 exec, exec, s[30:31]
	v_cmp_gt_u32_e64 s[0:1], 4, v0
	s_waitcnt lgkmcnt(0)
	s_barrier
	s_and_saveexec_b64 s[34:35], s[0:1]
	s_cbranch_execz .LBB688_186
; %bb.181:
	v_lshlrev_b32_e32 v36, 4, v0
	ds_read_b64 v[18:19], v36
	ds_read_b32 v37, v36 offset:8
	v_and_b32_e32 v64, 3, v24
	v_cmp_ne_u32_e64 s[0:1], 0, v64
	s_waitcnt lgkmcnt(1)
	v_mov_b32_dpp v68, v18 row_shr:1 row_mask:0xf bank_mask:0xf
	v_mov_b32_dpp v69, v19 row_shr:1 row_mask:0xf bank_mask:0xf
	s_waitcnt lgkmcnt(0)
	v_mov_b32_dpp v67, v37 row_shr:1 row_mask:0xf bank_mask:0xf
	v_mov_b32_e32 v65, v37
	v_mov_b32_e32 v66, v37
	s_and_saveexec_b64 s[30:31], s[0:1]
; %bb.182:
	v_mov_b32_e32 v65, 0
	v_cmp_eq_u16_sdwa s[0:1], v37, v65 src0_sel:BYTE_0 src1_sel:DWORD
	v_or_b32_e32 v66, v67, v37
	v_and_b32_e32 v65, 1, v66
	v_cndmask_b32_e64 v69, 0, v69, s[0:1]
	v_cndmask_b32_e64 v68, 0, v68, s[0:1]
	v_and_b32_e32 v66, 1, v66
	s_movk_i32 s0, 0xff00
	v_lshl_add_u64 v[18:19], v[68:69], 0, v[18:19]
	v_and_or_b32 v37, v37, s0, v66
; %bb.183:
	s_or_b64 exec, exec, s[30:31]
	v_mov_b32_dpp v67, v18 row_shr:2 row_mask:0xf bank_mask:0xf
	v_mov_b32_dpp v68, v19 row_shr:2 row_mask:0xf bank_mask:0xf
	;; [unrolled: 1-line block ×3, first 2 shown]
	v_cmp_lt_u32_e64 s[0:1], 1, v64
	s_and_saveexec_b64 s[40:41], s[0:1]
; %bb.184:
	v_mov_b32_e32 v64, 0
	v_cmp_eq_u16_sdwa s[0:1], v66, v64 src0_sel:BYTE_0 src1_sel:DWORD
	v_and_b32_e32 v37, 1, v37
	v_cmp_eq_u32_e64 s[30:31], 1, v37
	v_cndmask_b32_e64 v65, 0, v68, s[0:1]
	v_cndmask_b32_e64 v64, 0, v67, s[0:1]
	v_lshl_add_u64 v[18:19], v[64:65], 0, v[18:19]
	v_and_b32_e32 v64, 1, v66
	v_cmp_eq_u32_e64 s[0:1], 1, v64
	s_or_b64 s[0:1], s[0:1], s[30:31]
	s_nop 0
	v_cndmask_b32_e64 v65, 0, 1, s[0:1]
; %bb.185:
	s_or_b64 exec, exec, s[40:41]
	ds_write_b64 v36, v[18:19]
	ds_write_b8 v36, v65 offset:8
.LBB688_186:
	s_or_b64 exec, exec, s[34:35]
	v_cmp_lt_u32_e64 s[0:1], 63, v0
	v_mov_b64_e32 v[18:19], 0
	s_waitcnt lgkmcnt(0)
	s_barrier
	s_and_saveexec_b64 s[30:31], s[0:1]
	s_cbranch_execz .LBB688_188
; %bb.187:
	v_lshl_add_u32 v18, v31, 4, -16
	ds_read_b64 v[18:19], v18
	v_cmp_eq_u32_e64 s[0:1], 0, v25
	s_waitcnt lgkmcnt(0)
	s_nop 0
	v_cndmask_b32_e64 v37, 0, v19, s[0:1]
	v_cndmask_b32_e64 v36, 0, v18, s[0:1]
	v_lshl_add_u64 v[12:13], v[36:37], 0, v[12:13]
.LBB688_188:
	s_or_b64 exec, exec, s[30:31]
	v_add_u32_e32 v25, -1, v24
	v_and_b32_e32 v31, 64, v24
	v_cmp_lt_i32_e64 s[0:1], v25, v31
	s_nop 1
	v_cndmask_b32_e64 v25, v25, v24, s[0:1]
	v_lshlrev_b32_e32 v25, 2, v25
	ds_bpermute_b32 v12, v25, v12
	ds_bpermute_b32 v13, v25, v13
	s_and_saveexec_b64 s[30:31], s[4:5]
	s_cbranch_execz .LBB688_190
; %bb.189:
	v_cmp_eq_u32_e64 s[0:1], 0, v24
	;;#ASMSTART
	;;#ASMEND
	s_waitcnt lgkmcnt(1)
	s_nop 0
	v_cndmask_b32_e64 v12, v12, v18, s[0:1]
	v_mov_b32_e32 v18, 0
	s_waitcnt lgkmcnt(0)
	v_cndmask_b32_e64 v13, v13, v19, s[0:1]
	v_cmp_eq_u16_sdwa s[0:1], v1, v18 src0_sel:BYTE_0 src1_sel:DWORD
	s_nop 1
	v_cndmask_b32_e64 v13, 0, v13, s[0:1]
	v_cndmask_b32_e64 v12, 0, v12, s[0:1]
	v_lshl_add_u64 v[2:3], v[12:13], 0, v[2:3]
	v_cndmask_b32_e32 v13, 0, v3, vcc
	v_cndmask_b32_e32 v12, 0, v2, vcc
	v_lshl_add_u64 v[38:39], v[12:13], 0, v[4:5]
	v_cndmask_b32_e64 v5, 0, v39, s[6:7]
	v_cndmask_b32_e64 v4, 0, v38, s[6:7]
	v_lshl_add_u64 v[40:41], v[4:5], 0, v[8:9]
	v_cndmask_b32_e64 v5, 0, v41, s[8:9]
	v_cndmask_b32_e64 v4, 0, v40, s[8:9]
	;; [unrolled: 3-line block ×12, first 2 shown]
	v_lshl_add_u64 v[62:63], v[4:5], 0, v[6:7]
.LBB688_190:
	s_or_b64 exec, exec, s[30:31]
	s_and_saveexec_b64 s[0:1], s[36:37]
	s_cbranch_execz .LBB688_192
; %bb.191:
	v_mov_b32_e32 v1, 0
	ds_read_b64 v[4:5], v1 offset:48
	ds_read_u8 v6, v1 offset:56
	s_waitcnt lgkmcnt(1)
	global_store_dword v1, v4, s[42:43] offset:1024 sc1
	global_store_dword v1, v5, s[42:43] offset:1028 sc1
	s_waitcnt lgkmcnt(0)
	global_store_dword v1, v6, s[42:43] offset:1032 sc1
	global_store_dword v1, v1, s[42:43] offset:1036 sc1
	v_mov_b32_e32 v4, 2
	s_waitcnt vmcnt(0)
	global_store_byte v1, v4, s[44:45] offset:64 sc1
.LBB688_192:
	s_or_b64 exec, exec, s[0:1]
	v_mov_b64_e32 v[36:37], v[2:3]
.LBB688_193:
	s_add_u32 s0, s54, s38
	s_addc_u32 s1, s55, s39
	s_add_u32 s0, s0, s48
	v_mul_u32_u24_e32 v1, 14, v0
	s_addc_u32 s1, s1, s49
	s_and_b64 vcc, exec, s[2:3]
	v_lshlrev_b32_e32 v32, 3, v1
	s_cbranch_vccz .LBB688_221
; %bb.194:
	s_movk_i32 s2, 0xff98
	v_mad_i32_i24 v1, v0, s2, v32
	s_waitcnt lgkmcnt(0)
	s_barrier
	ds_write_b128 v32, v[36:39]
	ds_write_b128 v32, v[40:43] offset:16
	ds_write_b128 v32, v[44:47] offset:32
	;; [unrolled: 1-line block ×6, first 2 shown]
	s_waitcnt lgkmcnt(0)
	s_barrier
	ds_read2st64_b64 v[26:29], v1 offset0:4 offset1:8
	ds_read2st64_b64 v[22:25], v1 offset0:12 offset1:16
	;; [unrolled: 1-line block ×6, first 2 shown]
	ds_read_b64 v[4:5], v1 offset:26624
	s_add_i32 s33, s33, s46
	v_mov_b32_e32 v31, 0
	v_lshl_add_u64 v[2:3], s[0:1], 0, v[30:31]
	v_cmp_gt_u32_e32 vcc, s33, v0
	s_and_saveexec_b64 s[2:3], vcc
	s_cbranch_execz .LBB688_196
; %bb.195:
	v_mul_i32_i24_e32 v1, 0xffffff98, v0
	v_add_u32_e32 v1, v32, v1
	ds_read_b64 v[34:35], v1
	s_waitcnt lgkmcnt(0)
	flat_store_dwordx2 v[2:3], v[34:35]
.LBB688_196:
	s_or_b64 exec, exec, s[2:3]
	v_or_b32_e32 v1, 0x100, v0
	v_cmp_gt_u32_e32 vcc, s33, v1
	s_and_saveexec_b64 s[2:3], vcc
	s_cbranch_execz .LBB688_198
; %bb.197:
	s_waitcnt lgkmcnt(0)
	flat_store_dwordx2 v[2:3], v[26:27] offset:2048
.LBB688_198:
	s_or_b64 exec, exec, s[2:3]
	v_or_b32_e32 v1, 0x200, v0
	v_cmp_gt_u32_e32 vcc, s33, v1
	s_and_saveexec_b64 s[2:3], vcc
	s_cbranch_execz .LBB688_200
; %bb.199:
	s_waitcnt lgkmcnt(0)
	v_add_co_u32_e32 v26, vcc, 0x1000, v2
	s_nop 1
	v_addc_co_u32_e32 v27, vcc, 0, v3, vcc
	flat_store_dwordx2 v[26:27], v[28:29]
.LBB688_200:
	s_or_b64 exec, exec, s[2:3]
	v_or_b32_e32 v1, 0x300, v0
	v_cmp_gt_u32_e32 vcc, s33, v1
	s_and_saveexec_b64 s[2:3], vcc
	s_cbranch_execz .LBB688_202
; %bb.201:
	s_waitcnt lgkmcnt(0)
	v_add_co_u32_e32 v26, vcc, 0x1000, v2
	s_nop 1
	v_addc_co_u32_e32 v27, vcc, 0, v3, vcc
	flat_store_dwordx2 v[26:27], v[22:23] offset:2048
.LBB688_202:
	s_or_b64 exec, exec, s[2:3]
	v_or_b32_e32 v1, 0x400, v0
	v_cmp_gt_u32_e32 vcc, s33, v1
	s_and_saveexec_b64 s[2:3], vcc
	s_cbranch_execz .LBB688_204
; %bb.203:
	s_waitcnt lgkmcnt(0)
	v_add_co_u32_e32 v22, vcc, 0x2000, v2
	s_nop 1
	v_addc_co_u32_e32 v23, vcc, 0, v3, vcc
	flat_store_dwordx2 v[22:23], v[24:25]
.LBB688_204:
	s_or_b64 exec, exec, s[2:3]
	v_or_b32_e32 v1, 0x500, v0
	v_cmp_gt_u32_e32 vcc, s33, v1
	s_and_saveexec_b64 s[2:3], vcc
	s_cbranch_execz .LBB688_206
; %bb.205:
	s_waitcnt lgkmcnt(0)
	v_add_co_u32_e32 v22, vcc, 0x2000, v2
	s_nop 1
	v_addc_co_u32_e32 v23, vcc, 0, v3, vcc
	flat_store_dwordx2 v[22:23], v[18:19] offset:2048
.LBB688_206:
	;; [unrolled: 24-line block ×5, first 2 shown]
	s_or_b64 exec, exec, s[2:3]
	v_or_b32_e32 v1, 0xc00, v0
	v_cmp_gt_u32_e32 vcc, s33, v1
	s_and_saveexec_b64 s[2:3], vcc
	s_cbranch_execz .LBB688_220
; %bb.219:
	v_add_co_u32_e32 v2, vcc, 0x6000, v2
	s_nop 1
	v_addc_co_u32_e32 v3, vcc, 0, v3, vcc
	s_waitcnt lgkmcnt(0)
	flat_store_dwordx2 v[2:3], v[8:9]
.LBB688_220:
	s_or_b64 exec, exec, s[2:3]
	v_or_b32_e32 v2, 0xd00, v0
	v_mov_b32_e32 v1, v31
	v_cmp_gt_u32_e64 s[2:3], s33, v2
	s_branch .LBB688_223
.LBB688_221:
	s_mov_b64 s[2:3], 0
                                        ; implicit-def: $vgpr4_vgpr5
	s_cbranch_execz .LBB688_223
; %bb.222:
	v_mov_b32_e32 v1, 0
	s_movk_i32 s4, 0xff98
	v_mad_i32_i24 v2, v0, s4, v32
	v_mov_b32_e32 v31, v1
	s_waitcnt lgkmcnt(0)
	s_barrier
	ds_write_b128 v32, v[36:39]
	ds_write_b128 v32, v[40:43] offset:16
	ds_write_b128 v32, v[44:47] offset:32
	;; [unrolled: 1-line block ×6, first 2 shown]
	s_waitcnt lgkmcnt(0)
	s_barrier
	ds_read2st64_b64 v[6:9], v2 offset1:4
	ds_read2st64_b64 v[10:13], v2 offset0:8 offset1:12
	ds_read2st64_b64 v[14:17], v2 offset0:16 offset1:20
	;; [unrolled: 1-line block ×6, first 2 shown]
	v_lshl_add_u64 v[30:31], s[0:1], 0, v[30:31]
	s_movk_i32 s4, 0x1000
	s_waitcnt lgkmcnt(0)
	flat_store_dwordx2 v[30:31], v[6:7]
	flat_store_dwordx2 v[30:31], v[8:9] offset:2048
	v_add_co_u32_e32 v6, vcc, s4, v30
	s_movk_i32 s4, 0x2000
	s_nop 0
	v_addc_co_u32_e32 v7, vcc, 0, v31, vcc
	flat_store_dwordx2 v[6:7], v[10:11]
	flat_store_dwordx2 v[6:7], v[12:13] offset:2048
	v_add_co_u32_e32 v6, vcc, s4, v30
	s_movk_i32 s4, 0x3000
	s_nop 0
	v_addc_co_u32_e32 v7, vcc, 0, v31, vcc
	;; [unrolled: 6-line block ×3, first 2 shown]
	flat_store_dwordx2 v[6:7], v[18:19]
	flat_store_dwordx2 v[6:7], v[20:21] offset:2048
	v_add_co_u32_e32 v6, vcc, s4, v30
	s_or_b64 s[2:3], s[2:3], exec
	s_nop 0
	v_addc_co_u32_e32 v7, vcc, 0, v31, vcc
	flat_store_dwordx2 v[6:7], v[22:23]
	flat_store_dwordx2 v[6:7], v[24:25] offset:2048
	v_add_co_u32_e32 v6, vcc, 0x5000, v30
	s_nop 1
	v_addc_co_u32_e32 v7, vcc, 0, v31, vcc
	flat_store_dwordx2 v[6:7], v[26:27]
	flat_store_dwordx2 v[6:7], v[28:29] offset:2048
	v_add_co_u32_e32 v6, vcc, 0x6000, v30
	s_nop 1
	v_addc_co_u32_e32 v7, vcc, 0, v31, vcc
	flat_store_dwordx2 v[6:7], v[2:3]
.LBB688_223:
	s_and_saveexec_b64 s[4:5], s[2:3]
	s_cbranch_execz .LBB688_225
; %bb.224:
	v_lshl_add_u64 v[0:1], v[0:1], 3, s[0:1]
	v_add_co_u32_e32 v0, vcc, 0x6000, v0
	s_nop 1
	v_addc_co_u32_e32 v1, vcc, 0, v1, vcc
	s_waitcnt lgkmcnt(0)
	flat_store_dwordx2 v[0:1], v[4:5] offset:2048
	s_endpgm
.LBB688_225:
	s_endpgm
	.section	.rodata,"a",@progbits
	.p2align	6, 0x0
	.amdhsa_kernel _ZN7rocprim17ROCPRIM_400000_NS6detail17trampoline_kernelINS0_14default_configENS1_27scan_by_key_config_selectorIxxEEZZNS1_16scan_by_key_implILNS1_25lookback_scan_determinismE0ELb0ES3_N6thrust23THRUST_200600_302600_NS6detail15normal_iteratorINS9_10device_ptrIxEEEESE_SE_xNS9_4plusIxEE19head_flag_predicatexEE10hipError_tPvRmT2_T3_T4_T5_mT6_T7_P12ihipStream_tbENKUlT_T0_E_clISt17integral_constantIbLb1EESY_EEDaST_SU_EUlST_E_NS1_11comp_targetILNS1_3genE5ELNS1_11target_archE942ELNS1_3gpuE9ELNS1_3repE0EEENS1_30default_config_static_selectorELNS0_4arch9wavefront6targetE1EEEvT1_
		.amdhsa_group_segment_fixed_size 32768
		.amdhsa_private_segment_fixed_size 0
		.amdhsa_kernarg_size 136
		.amdhsa_user_sgpr_count 2
		.amdhsa_user_sgpr_dispatch_ptr 0
		.amdhsa_user_sgpr_queue_ptr 0
		.amdhsa_user_sgpr_kernarg_segment_ptr 1
		.amdhsa_user_sgpr_dispatch_id 0
		.amdhsa_user_sgpr_kernarg_preload_length 0
		.amdhsa_user_sgpr_kernarg_preload_offset 0
		.amdhsa_user_sgpr_private_segment_size 0
		.amdhsa_uses_dynamic_stack 0
		.amdhsa_enable_private_segment 0
		.amdhsa_system_sgpr_workgroup_id_x 1
		.amdhsa_system_sgpr_workgroup_id_y 0
		.amdhsa_system_sgpr_workgroup_id_z 0
		.amdhsa_system_sgpr_workgroup_info 0
		.amdhsa_system_vgpr_workitem_id 0
		.amdhsa_next_free_vgpr 85
		.amdhsa_next_free_sgpr 64
		.amdhsa_accum_offset 88
		.amdhsa_reserve_vcc 1
		.amdhsa_float_round_mode_32 0
		.amdhsa_float_round_mode_16_64 0
		.amdhsa_float_denorm_mode_32 3
		.amdhsa_float_denorm_mode_16_64 3
		.amdhsa_dx10_clamp 1
		.amdhsa_ieee_mode 1
		.amdhsa_fp16_overflow 0
		.amdhsa_tg_split 0
		.amdhsa_exception_fp_ieee_invalid_op 0
		.amdhsa_exception_fp_denorm_src 0
		.amdhsa_exception_fp_ieee_div_zero 0
		.amdhsa_exception_fp_ieee_overflow 0
		.amdhsa_exception_fp_ieee_underflow 0
		.amdhsa_exception_fp_ieee_inexact 0
		.amdhsa_exception_int_div_zero 0
	.end_amdhsa_kernel
	.section	.text._ZN7rocprim17ROCPRIM_400000_NS6detail17trampoline_kernelINS0_14default_configENS1_27scan_by_key_config_selectorIxxEEZZNS1_16scan_by_key_implILNS1_25lookback_scan_determinismE0ELb0ES3_N6thrust23THRUST_200600_302600_NS6detail15normal_iteratorINS9_10device_ptrIxEEEESE_SE_xNS9_4plusIxEE19head_flag_predicatexEE10hipError_tPvRmT2_T3_T4_T5_mT6_T7_P12ihipStream_tbENKUlT_T0_E_clISt17integral_constantIbLb1EESY_EEDaST_SU_EUlST_E_NS1_11comp_targetILNS1_3genE5ELNS1_11target_archE942ELNS1_3gpuE9ELNS1_3repE0EEENS1_30default_config_static_selectorELNS0_4arch9wavefront6targetE1EEEvT1_,"axG",@progbits,_ZN7rocprim17ROCPRIM_400000_NS6detail17trampoline_kernelINS0_14default_configENS1_27scan_by_key_config_selectorIxxEEZZNS1_16scan_by_key_implILNS1_25lookback_scan_determinismE0ELb0ES3_N6thrust23THRUST_200600_302600_NS6detail15normal_iteratorINS9_10device_ptrIxEEEESE_SE_xNS9_4plusIxEE19head_flag_predicatexEE10hipError_tPvRmT2_T3_T4_T5_mT6_T7_P12ihipStream_tbENKUlT_T0_E_clISt17integral_constantIbLb1EESY_EEDaST_SU_EUlST_E_NS1_11comp_targetILNS1_3genE5ELNS1_11target_archE942ELNS1_3gpuE9ELNS1_3repE0EEENS1_30default_config_static_selectorELNS0_4arch9wavefront6targetE1EEEvT1_,comdat
.Lfunc_end688:
	.size	_ZN7rocprim17ROCPRIM_400000_NS6detail17trampoline_kernelINS0_14default_configENS1_27scan_by_key_config_selectorIxxEEZZNS1_16scan_by_key_implILNS1_25lookback_scan_determinismE0ELb0ES3_N6thrust23THRUST_200600_302600_NS6detail15normal_iteratorINS9_10device_ptrIxEEEESE_SE_xNS9_4plusIxEE19head_flag_predicatexEE10hipError_tPvRmT2_T3_T4_T5_mT6_T7_P12ihipStream_tbENKUlT_T0_E_clISt17integral_constantIbLb1EESY_EEDaST_SU_EUlST_E_NS1_11comp_targetILNS1_3genE5ELNS1_11target_archE942ELNS1_3gpuE9ELNS1_3repE0EEENS1_30default_config_static_selectorELNS0_4arch9wavefront6targetE1EEEvT1_, .Lfunc_end688-_ZN7rocprim17ROCPRIM_400000_NS6detail17trampoline_kernelINS0_14default_configENS1_27scan_by_key_config_selectorIxxEEZZNS1_16scan_by_key_implILNS1_25lookback_scan_determinismE0ELb0ES3_N6thrust23THRUST_200600_302600_NS6detail15normal_iteratorINS9_10device_ptrIxEEEESE_SE_xNS9_4plusIxEE19head_flag_predicatexEE10hipError_tPvRmT2_T3_T4_T5_mT6_T7_P12ihipStream_tbENKUlT_T0_E_clISt17integral_constantIbLb1EESY_EEDaST_SU_EUlST_E_NS1_11comp_targetILNS1_3genE5ELNS1_11target_archE942ELNS1_3gpuE9ELNS1_3repE0EEENS1_30default_config_static_selectorELNS0_4arch9wavefront6targetE1EEEvT1_
                                        ; -- End function
	.section	.AMDGPU.csdata,"",@progbits
; Kernel info:
; codeLenInByte = 12192
; NumSgprs: 70
; NumVgprs: 85
; NumAgprs: 0
; TotalNumVgprs: 85
; ScratchSize: 0
; MemoryBound: 0
; FloatMode: 240
; IeeeMode: 1
; LDSByteSize: 32768 bytes/workgroup (compile time only)
; SGPRBlocks: 8
; VGPRBlocks: 10
; NumSGPRsForWavesPerEU: 70
; NumVGPRsForWavesPerEU: 85
; AccumOffset: 88
; Occupancy: 2
; WaveLimiterHint : 1
; COMPUTE_PGM_RSRC2:SCRATCH_EN: 0
; COMPUTE_PGM_RSRC2:USER_SGPR: 2
; COMPUTE_PGM_RSRC2:TRAP_HANDLER: 0
; COMPUTE_PGM_RSRC2:TGID_X_EN: 1
; COMPUTE_PGM_RSRC2:TGID_Y_EN: 0
; COMPUTE_PGM_RSRC2:TGID_Z_EN: 0
; COMPUTE_PGM_RSRC2:TIDIG_COMP_CNT: 0
; COMPUTE_PGM_RSRC3_GFX90A:ACCUM_OFFSET: 21
; COMPUTE_PGM_RSRC3_GFX90A:TG_SPLIT: 0
	.section	.text._ZN7rocprim17ROCPRIM_400000_NS6detail17trampoline_kernelINS0_14default_configENS1_27scan_by_key_config_selectorIxxEEZZNS1_16scan_by_key_implILNS1_25lookback_scan_determinismE0ELb0ES3_N6thrust23THRUST_200600_302600_NS6detail15normal_iteratorINS9_10device_ptrIxEEEESE_SE_xNS9_4plusIxEE19head_flag_predicatexEE10hipError_tPvRmT2_T3_T4_T5_mT6_T7_P12ihipStream_tbENKUlT_T0_E_clISt17integral_constantIbLb1EESY_EEDaST_SU_EUlST_E_NS1_11comp_targetILNS1_3genE4ELNS1_11target_archE910ELNS1_3gpuE8ELNS1_3repE0EEENS1_30default_config_static_selectorELNS0_4arch9wavefront6targetE1EEEvT1_,"axG",@progbits,_ZN7rocprim17ROCPRIM_400000_NS6detail17trampoline_kernelINS0_14default_configENS1_27scan_by_key_config_selectorIxxEEZZNS1_16scan_by_key_implILNS1_25lookback_scan_determinismE0ELb0ES3_N6thrust23THRUST_200600_302600_NS6detail15normal_iteratorINS9_10device_ptrIxEEEESE_SE_xNS9_4plusIxEE19head_flag_predicatexEE10hipError_tPvRmT2_T3_T4_T5_mT6_T7_P12ihipStream_tbENKUlT_T0_E_clISt17integral_constantIbLb1EESY_EEDaST_SU_EUlST_E_NS1_11comp_targetILNS1_3genE4ELNS1_11target_archE910ELNS1_3gpuE8ELNS1_3repE0EEENS1_30default_config_static_selectorELNS0_4arch9wavefront6targetE1EEEvT1_,comdat
	.protected	_ZN7rocprim17ROCPRIM_400000_NS6detail17trampoline_kernelINS0_14default_configENS1_27scan_by_key_config_selectorIxxEEZZNS1_16scan_by_key_implILNS1_25lookback_scan_determinismE0ELb0ES3_N6thrust23THRUST_200600_302600_NS6detail15normal_iteratorINS9_10device_ptrIxEEEESE_SE_xNS9_4plusIxEE19head_flag_predicatexEE10hipError_tPvRmT2_T3_T4_T5_mT6_T7_P12ihipStream_tbENKUlT_T0_E_clISt17integral_constantIbLb1EESY_EEDaST_SU_EUlST_E_NS1_11comp_targetILNS1_3genE4ELNS1_11target_archE910ELNS1_3gpuE8ELNS1_3repE0EEENS1_30default_config_static_selectorELNS0_4arch9wavefront6targetE1EEEvT1_ ; -- Begin function _ZN7rocprim17ROCPRIM_400000_NS6detail17trampoline_kernelINS0_14default_configENS1_27scan_by_key_config_selectorIxxEEZZNS1_16scan_by_key_implILNS1_25lookback_scan_determinismE0ELb0ES3_N6thrust23THRUST_200600_302600_NS6detail15normal_iteratorINS9_10device_ptrIxEEEESE_SE_xNS9_4plusIxEE19head_flag_predicatexEE10hipError_tPvRmT2_T3_T4_T5_mT6_T7_P12ihipStream_tbENKUlT_T0_E_clISt17integral_constantIbLb1EESY_EEDaST_SU_EUlST_E_NS1_11comp_targetILNS1_3genE4ELNS1_11target_archE910ELNS1_3gpuE8ELNS1_3repE0EEENS1_30default_config_static_selectorELNS0_4arch9wavefront6targetE1EEEvT1_
	.globl	_ZN7rocprim17ROCPRIM_400000_NS6detail17trampoline_kernelINS0_14default_configENS1_27scan_by_key_config_selectorIxxEEZZNS1_16scan_by_key_implILNS1_25lookback_scan_determinismE0ELb0ES3_N6thrust23THRUST_200600_302600_NS6detail15normal_iteratorINS9_10device_ptrIxEEEESE_SE_xNS9_4plusIxEE19head_flag_predicatexEE10hipError_tPvRmT2_T3_T4_T5_mT6_T7_P12ihipStream_tbENKUlT_T0_E_clISt17integral_constantIbLb1EESY_EEDaST_SU_EUlST_E_NS1_11comp_targetILNS1_3genE4ELNS1_11target_archE910ELNS1_3gpuE8ELNS1_3repE0EEENS1_30default_config_static_selectorELNS0_4arch9wavefront6targetE1EEEvT1_
	.p2align	8
	.type	_ZN7rocprim17ROCPRIM_400000_NS6detail17trampoline_kernelINS0_14default_configENS1_27scan_by_key_config_selectorIxxEEZZNS1_16scan_by_key_implILNS1_25lookback_scan_determinismE0ELb0ES3_N6thrust23THRUST_200600_302600_NS6detail15normal_iteratorINS9_10device_ptrIxEEEESE_SE_xNS9_4plusIxEE19head_flag_predicatexEE10hipError_tPvRmT2_T3_T4_T5_mT6_T7_P12ihipStream_tbENKUlT_T0_E_clISt17integral_constantIbLb1EESY_EEDaST_SU_EUlST_E_NS1_11comp_targetILNS1_3genE4ELNS1_11target_archE910ELNS1_3gpuE8ELNS1_3repE0EEENS1_30default_config_static_selectorELNS0_4arch9wavefront6targetE1EEEvT1_,@function
_ZN7rocprim17ROCPRIM_400000_NS6detail17trampoline_kernelINS0_14default_configENS1_27scan_by_key_config_selectorIxxEEZZNS1_16scan_by_key_implILNS1_25lookback_scan_determinismE0ELb0ES3_N6thrust23THRUST_200600_302600_NS6detail15normal_iteratorINS9_10device_ptrIxEEEESE_SE_xNS9_4plusIxEE19head_flag_predicatexEE10hipError_tPvRmT2_T3_T4_T5_mT6_T7_P12ihipStream_tbENKUlT_T0_E_clISt17integral_constantIbLb1EESY_EEDaST_SU_EUlST_E_NS1_11comp_targetILNS1_3genE4ELNS1_11target_archE910ELNS1_3gpuE8ELNS1_3repE0EEENS1_30default_config_static_selectorELNS0_4arch9wavefront6targetE1EEEvT1_: ; @_ZN7rocprim17ROCPRIM_400000_NS6detail17trampoline_kernelINS0_14default_configENS1_27scan_by_key_config_selectorIxxEEZZNS1_16scan_by_key_implILNS1_25lookback_scan_determinismE0ELb0ES3_N6thrust23THRUST_200600_302600_NS6detail15normal_iteratorINS9_10device_ptrIxEEEESE_SE_xNS9_4plusIxEE19head_flag_predicatexEE10hipError_tPvRmT2_T3_T4_T5_mT6_T7_P12ihipStream_tbENKUlT_T0_E_clISt17integral_constantIbLb1EESY_EEDaST_SU_EUlST_E_NS1_11comp_targetILNS1_3genE4ELNS1_11target_archE910ELNS1_3gpuE8ELNS1_3repE0EEENS1_30default_config_static_selectorELNS0_4arch9wavefront6targetE1EEEvT1_
; %bb.0:
	.section	.rodata,"a",@progbits
	.p2align	6, 0x0
	.amdhsa_kernel _ZN7rocprim17ROCPRIM_400000_NS6detail17trampoline_kernelINS0_14default_configENS1_27scan_by_key_config_selectorIxxEEZZNS1_16scan_by_key_implILNS1_25lookback_scan_determinismE0ELb0ES3_N6thrust23THRUST_200600_302600_NS6detail15normal_iteratorINS9_10device_ptrIxEEEESE_SE_xNS9_4plusIxEE19head_flag_predicatexEE10hipError_tPvRmT2_T3_T4_T5_mT6_T7_P12ihipStream_tbENKUlT_T0_E_clISt17integral_constantIbLb1EESY_EEDaST_SU_EUlST_E_NS1_11comp_targetILNS1_3genE4ELNS1_11target_archE910ELNS1_3gpuE8ELNS1_3repE0EEENS1_30default_config_static_selectorELNS0_4arch9wavefront6targetE1EEEvT1_
		.amdhsa_group_segment_fixed_size 0
		.amdhsa_private_segment_fixed_size 0
		.amdhsa_kernarg_size 136
		.amdhsa_user_sgpr_count 2
		.amdhsa_user_sgpr_dispatch_ptr 0
		.amdhsa_user_sgpr_queue_ptr 0
		.amdhsa_user_sgpr_kernarg_segment_ptr 1
		.amdhsa_user_sgpr_dispatch_id 0
		.amdhsa_user_sgpr_kernarg_preload_length 0
		.amdhsa_user_sgpr_kernarg_preload_offset 0
		.amdhsa_user_sgpr_private_segment_size 0
		.amdhsa_uses_dynamic_stack 0
		.amdhsa_enable_private_segment 0
		.amdhsa_system_sgpr_workgroup_id_x 1
		.amdhsa_system_sgpr_workgroup_id_y 0
		.amdhsa_system_sgpr_workgroup_id_z 0
		.amdhsa_system_sgpr_workgroup_info 0
		.amdhsa_system_vgpr_workitem_id 0
		.amdhsa_next_free_vgpr 1
		.amdhsa_next_free_sgpr 0
		.amdhsa_accum_offset 4
		.amdhsa_reserve_vcc 0
		.amdhsa_float_round_mode_32 0
		.amdhsa_float_round_mode_16_64 0
		.amdhsa_float_denorm_mode_32 3
		.amdhsa_float_denorm_mode_16_64 3
		.amdhsa_dx10_clamp 1
		.amdhsa_ieee_mode 1
		.amdhsa_fp16_overflow 0
		.amdhsa_tg_split 0
		.amdhsa_exception_fp_ieee_invalid_op 0
		.amdhsa_exception_fp_denorm_src 0
		.amdhsa_exception_fp_ieee_div_zero 0
		.amdhsa_exception_fp_ieee_overflow 0
		.amdhsa_exception_fp_ieee_underflow 0
		.amdhsa_exception_fp_ieee_inexact 0
		.amdhsa_exception_int_div_zero 0
	.end_amdhsa_kernel
	.section	.text._ZN7rocprim17ROCPRIM_400000_NS6detail17trampoline_kernelINS0_14default_configENS1_27scan_by_key_config_selectorIxxEEZZNS1_16scan_by_key_implILNS1_25lookback_scan_determinismE0ELb0ES3_N6thrust23THRUST_200600_302600_NS6detail15normal_iteratorINS9_10device_ptrIxEEEESE_SE_xNS9_4plusIxEE19head_flag_predicatexEE10hipError_tPvRmT2_T3_T4_T5_mT6_T7_P12ihipStream_tbENKUlT_T0_E_clISt17integral_constantIbLb1EESY_EEDaST_SU_EUlST_E_NS1_11comp_targetILNS1_3genE4ELNS1_11target_archE910ELNS1_3gpuE8ELNS1_3repE0EEENS1_30default_config_static_selectorELNS0_4arch9wavefront6targetE1EEEvT1_,"axG",@progbits,_ZN7rocprim17ROCPRIM_400000_NS6detail17trampoline_kernelINS0_14default_configENS1_27scan_by_key_config_selectorIxxEEZZNS1_16scan_by_key_implILNS1_25lookback_scan_determinismE0ELb0ES3_N6thrust23THRUST_200600_302600_NS6detail15normal_iteratorINS9_10device_ptrIxEEEESE_SE_xNS9_4plusIxEE19head_flag_predicatexEE10hipError_tPvRmT2_T3_T4_T5_mT6_T7_P12ihipStream_tbENKUlT_T0_E_clISt17integral_constantIbLb1EESY_EEDaST_SU_EUlST_E_NS1_11comp_targetILNS1_3genE4ELNS1_11target_archE910ELNS1_3gpuE8ELNS1_3repE0EEENS1_30default_config_static_selectorELNS0_4arch9wavefront6targetE1EEEvT1_,comdat
.Lfunc_end689:
	.size	_ZN7rocprim17ROCPRIM_400000_NS6detail17trampoline_kernelINS0_14default_configENS1_27scan_by_key_config_selectorIxxEEZZNS1_16scan_by_key_implILNS1_25lookback_scan_determinismE0ELb0ES3_N6thrust23THRUST_200600_302600_NS6detail15normal_iteratorINS9_10device_ptrIxEEEESE_SE_xNS9_4plusIxEE19head_flag_predicatexEE10hipError_tPvRmT2_T3_T4_T5_mT6_T7_P12ihipStream_tbENKUlT_T0_E_clISt17integral_constantIbLb1EESY_EEDaST_SU_EUlST_E_NS1_11comp_targetILNS1_3genE4ELNS1_11target_archE910ELNS1_3gpuE8ELNS1_3repE0EEENS1_30default_config_static_selectorELNS0_4arch9wavefront6targetE1EEEvT1_, .Lfunc_end689-_ZN7rocprim17ROCPRIM_400000_NS6detail17trampoline_kernelINS0_14default_configENS1_27scan_by_key_config_selectorIxxEEZZNS1_16scan_by_key_implILNS1_25lookback_scan_determinismE0ELb0ES3_N6thrust23THRUST_200600_302600_NS6detail15normal_iteratorINS9_10device_ptrIxEEEESE_SE_xNS9_4plusIxEE19head_flag_predicatexEE10hipError_tPvRmT2_T3_T4_T5_mT6_T7_P12ihipStream_tbENKUlT_T0_E_clISt17integral_constantIbLb1EESY_EEDaST_SU_EUlST_E_NS1_11comp_targetILNS1_3genE4ELNS1_11target_archE910ELNS1_3gpuE8ELNS1_3repE0EEENS1_30default_config_static_selectorELNS0_4arch9wavefront6targetE1EEEvT1_
                                        ; -- End function
	.section	.AMDGPU.csdata,"",@progbits
; Kernel info:
; codeLenInByte = 0
; NumSgprs: 6
; NumVgprs: 0
; NumAgprs: 0
; TotalNumVgprs: 0
; ScratchSize: 0
; MemoryBound: 0
; FloatMode: 240
; IeeeMode: 1
; LDSByteSize: 0 bytes/workgroup (compile time only)
; SGPRBlocks: 0
; VGPRBlocks: 0
; NumSGPRsForWavesPerEU: 6
; NumVGPRsForWavesPerEU: 1
; AccumOffset: 4
; Occupancy: 8
; WaveLimiterHint : 0
; COMPUTE_PGM_RSRC2:SCRATCH_EN: 0
; COMPUTE_PGM_RSRC2:USER_SGPR: 2
; COMPUTE_PGM_RSRC2:TRAP_HANDLER: 0
; COMPUTE_PGM_RSRC2:TGID_X_EN: 1
; COMPUTE_PGM_RSRC2:TGID_Y_EN: 0
; COMPUTE_PGM_RSRC2:TGID_Z_EN: 0
; COMPUTE_PGM_RSRC2:TIDIG_COMP_CNT: 0
; COMPUTE_PGM_RSRC3_GFX90A:ACCUM_OFFSET: 0
; COMPUTE_PGM_RSRC3_GFX90A:TG_SPLIT: 0
	.section	.text._ZN7rocprim17ROCPRIM_400000_NS6detail17trampoline_kernelINS0_14default_configENS1_27scan_by_key_config_selectorIxxEEZZNS1_16scan_by_key_implILNS1_25lookback_scan_determinismE0ELb0ES3_N6thrust23THRUST_200600_302600_NS6detail15normal_iteratorINS9_10device_ptrIxEEEESE_SE_xNS9_4plusIxEE19head_flag_predicatexEE10hipError_tPvRmT2_T3_T4_T5_mT6_T7_P12ihipStream_tbENKUlT_T0_E_clISt17integral_constantIbLb1EESY_EEDaST_SU_EUlST_E_NS1_11comp_targetILNS1_3genE3ELNS1_11target_archE908ELNS1_3gpuE7ELNS1_3repE0EEENS1_30default_config_static_selectorELNS0_4arch9wavefront6targetE1EEEvT1_,"axG",@progbits,_ZN7rocprim17ROCPRIM_400000_NS6detail17trampoline_kernelINS0_14default_configENS1_27scan_by_key_config_selectorIxxEEZZNS1_16scan_by_key_implILNS1_25lookback_scan_determinismE0ELb0ES3_N6thrust23THRUST_200600_302600_NS6detail15normal_iteratorINS9_10device_ptrIxEEEESE_SE_xNS9_4plusIxEE19head_flag_predicatexEE10hipError_tPvRmT2_T3_T4_T5_mT6_T7_P12ihipStream_tbENKUlT_T0_E_clISt17integral_constantIbLb1EESY_EEDaST_SU_EUlST_E_NS1_11comp_targetILNS1_3genE3ELNS1_11target_archE908ELNS1_3gpuE7ELNS1_3repE0EEENS1_30default_config_static_selectorELNS0_4arch9wavefront6targetE1EEEvT1_,comdat
	.protected	_ZN7rocprim17ROCPRIM_400000_NS6detail17trampoline_kernelINS0_14default_configENS1_27scan_by_key_config_selectorIxxEEZZNS1_16scan_by_key_implILNS1_25lookback_scan_determinismE0ELb0ES3_N6thrust23THRUST_200600_302600_NS6detail15normal_iteratorINS9_10device_ptrIxEEEESE_SE_xNS9_4plusIxEE19head_flag_predicatexEE10hipError_tPvRmT2_T3_T4_T5_mT6_T7_P12ihipStream_tbENKUlT_T0_E_clISt17integral_constantIbLb1EESY_EEDaST_SU_EUlST_E_NS1_11comp_targetILNS1_3genE3ELNS1_11target_archE908ELNS1_3gpuE7ELNS1_3repE0EEENS1_30default_config_static_selectorELNS0_4arch9wavefront6targetE1EEEvT1_ ; -- Begin function _ZN7rocprim17ROCPRIM_400000_NS6detail17trampoline_kernelINS0_14default_configENS1_27scan_by_key_config_selectorIxxEEZZNS1_16scan_by_key_implILNS1_25lookback_scan_determinismE0ELb0ES3_N6thrust23THRUST_200600_302600_NS6detail15normal_iteratorINS9_10device_ptrIxEEEESE_SE_xNS9_4plusIxEE19head_flag_predicatexEE10hipError_tPvRmT2_T3_T4_T5_mT6_T7_P12ihipStream_tbENKUlT_T0_E_clISt17integral_constantIbLb1EESY_EEDaST_SU_EUlST_E_NS1_11comp_targetILNS1_3genE3ELNS1_11target_archE908ELNS1_3gpuE7ELNS1_3repE0EEENS1_30default_config_static_selectorELNS0_4arch9wavefront6targetE1EEEvT1_
	.globl	_ZN7rocprim17ROCPRIM_400000_NS6detail17trampoline_kernelINS0_14default_configENS1_27scan_by_key_config_selectorIxxEEZZNS1_16scan_by_key_implILNS1_25lookback_scan_determinismE0ELb0ES3_N6thrust23THRUST_200600_302600_NS6detail15normal_iteratorINS9_10device_ptrIxEEEESE_SE_xNS9_4plusIxEE19head_flag_predicatexEE10hipError_tPvRmT2_T3_T4_T5_mT6_T7_P12ihipStream_tbENKUlT_T0_E_clISt17integral_constantIbLb1EESY_EEDaST_SU_EUlST_E_NS1_11comp_targetILNS1_3genE3ELNS1_11target_archE908ELNS1_3gpuE7ELNS1_3repE0EEENS1_30default_config_static_selectorELNS0_4arch9wavefront6targetE1EEEvT1_
	.p2align	8
	.type	_ZN7rocprim17ROCPRIM_400000_NS6detail17trampoline_kernelINS0_14default_configENS1_27scan_by_key_config_selectorIxxEEZZNS1_16scan_by_key_implILNS1_25lookback_scan_determinismE0ELb0ES3_N6thrust23THRUST_200600_302600_NS6detail15normal_iteratorINS9_10device_ptrIxEEEESE_SE_xNS9_4plusIxEE19head_flag_predicatexEE10hipError_tPvRmT2_T3_T4_T5_mT6_T7_P12ihipStream_tbENKUlT_T0_E_clISt17integral_constantIbLb1EESY_EEDaST_SU_EUlST_E_NS1_11comp_targetILNS1_3genE3ELNS1_11target_archE908ELNS1_3gpuE7ELNS1_3repE0EEENS1_30default_config_static_selectorELNS0_4arch9wavefront6targetE1EEEvT1_,@function
_ZN7rocprim17ROCPRIM_400000_NS6detail17trampoline_kernelINS0_14default_configENS1_27scan_by_key_config_selectorIxxEEZZNS1_16scan_by_key_implILNS1_25lookback_scan_determinismE0ELb0ES3_N6thrust23THRUST_200600_302600_NS6detail15normal_iteratorINS9_10device_ptrIxEEEESE_SE_xNS9_4plusIxEE19head_flag_predicatexEE10hipError_tPvRmT2_T3_T4_T5_mT6_T7_P12ihipStream_tbENKUlT_T0_E_clISt17integral_constantIbLb1EESY_EEDaST_SU_EUlST_E_NS1_11comp_targetILNS1_3genE3ELNS1_11target_archE908ELNS1_3gpuE7ELNS1_3repE0EEENS1_30default_config_static_selectorELNS0_4arch9wavefront6targetE1EEEvT1_: ; @_ZN7rocprim17ROCPRIM_400000_NS6detail17trampoline_kernelINS0_14default_configENS1_27scan_by_key_config_selectorIxxEEZZNS1_16scan_by_key_implILNS1_25lookback_scan_determinismE0ELb0ES3_N6thrust23THRUST_200600_302600_NS6detail15normal_iteratorINS9_10device_ptrIxEEEESE_SE_xNS9_4plusIxEE19head_flag_predicatexEE10hipError_tPvRmT2_T3_T4_T5_mT6_T7_P12ihipStream_tbENKUlT_T0_E_clISt17integral_constantIbLb1EESY_EEDaST_SU_EUlST_E_NS1_11comp_targetILNS1_3genE3ELNS1_11target_archE908ELNS1_3gpuE7ELNS1_3repE0EEENS1_30default_config_static_selectorELNS0_4arch9wavefront6targetE1EEEvT1_
; %bb.0:
	.section	.rodata,"a",@progbits
	.p2align	6, 0x0
	.amdhsa_kernel _ZN7rocprim17ROCPRIM_400000_NS6detail17trampoline_kernelINS0_14default_configENS1_27scan_by_key_config_selectorIxxEEZZNS1_16scan_by_key_implILNS1_25lookback_scan_determinismE0ELb0ES3_N6thrust23THRUST_200600_302600_NS6detail15normal_iteratorINS9_10device_ptrIxEEEESE_SE_xNS9_4plusIxEE19head_flag_predicatexEE10hipError_tPvRmT2_T3_T4_T5_mT6_T7_P12ihipStream_tbENKUlT_T0_E_clISt17integral_constantIbLb1EESY_EEDaST_SU_EUlST_E_NS1_11comp_targetILNS1_3genE3ELNS1_11target_archE908ELNS1_3gpuE7ELNS1_3repE0EEENS1_30default_config_static_selectorELNS0_4arch9wavefront6targetE1EEEvT1_
		.amdhsa_group_segment_fixed_size 0
		.amdhsa_private_segment_fixed_size 0
		.amdhsa_kernarg_size 136
		.amdhsa_user_sgpr_count 2
		.amdhsa_user_sgpr_dispatch_ptr 0
		.amdhsa_user_sgpr_queue_ptr 0
		.amdhsa_user_sgpr_kernarg_segment_ptr 1
		.amdhsa_user_sgpr_dispatch_id 0
		.amdhsa_user_sgpr_kernarg_preload_length 0
		.amdhsa_user_sgpr_kernarg_preload_offset 0
		.amdhsa_user_sgpr_private_segment_size 0
		.amdhsa_uses_dynamic_stack 0
		.amdhsa_enable_private_segment 0
		.amdhsa_system_sgpr_workgroup_id_x 1
		.amdhsa_system_sgpr_workgroup_id_y 0
		.amdhsa_system_sgpr_workgroup_id_z 0
		.amdhsa_system_sgpr_workgroup_info 0
		.amdhsa_system_vgpr_workitem_id 0
		.amdhsa_next_free_vgpr 1
		.amdhsa_next_free_sgpr 0
		.amdhsa_accum_offset 4
		.amdhsa_reserve_vcc 0
		.amdhsa_float_round_mode_32 0
		.amdhsa_float_round_mode_16_64 0
		.amdhsa_float_denorm_mode_32 3
		.amdhsa_float_denorm_mode_16_64 3
		.amdhsa_dx10_clamp 1
		.amdhsa_ieee_mode 1
		.amdhsa_fp16_overflow 0
		.amdhsa_tg_split 0
		.amdhsa_exception_fp_ieee_invalid_op 0
		.amdhsa_exception_fp_denorm_src 0
		.amdhsa_exception_fp_ieee_div_zero 0
		.amdhsa_exception_fp_ieee_overflow 0
		.amdhsa_exception_fp_ieee_underflow 0
		.amdhsa_exception_fp_ieee_inexact 0
		.amdhsa_exception_int_div_zero 0
	.end_amdhsa_kernel
	.section	.text._ZN7rocprim17ROCPRIM_400000_NS6detail17trampoline_kernelINS0_14default_configENS1_27scan_by_key_config_selectorIxxEEZZNS1_16scan_by_key_implILNS1_25lookback_scan_determinismE0ELb0ES3_N6thrust23THRUST_200600_302600_NS6detail15normal_iteratorINS9_10device_ptrIxEEEESE_SE_xNS9_4plusIxEE19head_flag_predicatexEE10hipError_tPvRmT2_T3_T4_T5_mT6_T7_P12ihipStream_tbENKUlT_T0_E_clISt17integral_constantIbLb1EESY_EEDaST_SU_EUlST_E_NS1_11comp_targetILNS1_3genE3ELNS1_11target_archE908ELNS1_3gpuE7ELNS1_3repE0EEENS1_30default_config_static_selectorELNS0_4arch9wavefront6targetE1EEEvT1_,"axG",@progbits,_ZN7rocprim17ROCPRIM_400000_NS6detail17trampoline_kernelINS0_14default_configENS1_27scan_by_key_config_selectorIxxEEZZNS1_16scan_by_key_implILNS1_25lookback_scan_determinismE0ELb0ES3_N6thrust23THRUST_200600_302600_NS6detail15normal_iteratorINS9_10device_ptrIxEEEESE_SE_xNS9_4plusIxEE19head_flag_predicatexEE10hipError_tPvRmT2_T3_T4_T5_mT6_T7_P12ihipStream_tbENKUlT_T0_E_clISt17integral_constantIbLb1EESY_EEDaST_SU_EUlST_E_NS1_11comp_targetILNS1_3genE3ELNS1_11target_archE908ELNS1_3gpuE7ELNS1_3repE0EEENS1_30default_config_static_selectorELNS0_4arch9wavefront6targetE1EEEvT1_,comdat
.Lfunc_end690:
	.size	_ZN7rocprim17ROCPRIM_400000_NS6detail17trampoline_kernelINS0_14default_configENS1_27scan_by_key_config_selectorIxxEEZZNS1_16scan_by_key_implILNS1_25lookback_scan_determinismE0ELb0ES3_N6thrust23THRUST_200600_302600_NS6detail15normal_iteratorINS9_10device_ptrIxEEEESE_SE_xNS9_4plusIxEE19head_flag_predicatexEE10hipError_tPvRmT2_T3_T4_T5_mT6_T7_P12ihipStream_tbENKUlT_T0_E_clISt17integral_constantIbLb1EESY_EEDaST_SU_EUlST_E_NS1_11comp_targetILNS1_3genE3ELNS1_11target_archE908ELNS1_3gpuE7ELNS1_3repE0EEENS1_30default_config_static_selectorELNS0_4arch9wavefront6targetE1EEEvT1_, .Lfunc_end690-_ZN7rocprim17ROCPRIM_400000_NS6detail17trampoline_kernelINS0_14default_configENS1_27scan_by_key_config_selectorIxxEEZZNS1_16scan_by_key_implILNS1_25lookback_scan_determinismE0ELb0ES3_N6thrust23THRUST_200600_302600_NS6detail15normal_iteratorINS9_10device_ptrIxEEEESE_SE_xNS9_4plusIxEE19head_flag_predicatexEE10hipError_tPvRmT2_T3_T4_T5_mT6_T7_P12ihipStream_tbENKUlT_T0_E_clISt17integral_constantIbLb1EESY_EEDaST_SU_EUlST_E_NS1_11comp_targetILNS1_3genE3ELNS1_11target_archE908ELNS1_3gpuE7ELNS1_3repE0EEENS1_30default_config_static_selectorELNS0_4arch9wavefront6targetE1EEEvT1_
                                        ; -- End function
	.section	.AMDGPU.csdata,"",@progbits
; Kernel info:
; codeLenInByte = 0
; NumSgprs: 6
; NumVgprs: 0
; NumAgprs: 0
; TotalNumVgprs: 0
; ScratchSize: 0
; MemoryBound: 0
; FloatMode: 240
; IeeeMode: 1
; LDSByteSize: 0 bytes/workgroup (compile time only)
; SGPRBlocks: 0
; VGPRBlocks: 0
; NumSGPRsForWavesPerEU: 6
; NumVGPRsForWavesPerEU: 1
; AccumOffset: 4
; Occupancy: 8
; WaveLimiterHint : 0
; COMPUTE_PGM_RSRC2:SCRATCH_EN: 0
; COMPUTE_PGM_RSRC2:USER_SGPR: 2
; COMPUTE_PGM_RSRC2:TRAP_HANDLER: 0
; COMPUTE_PGM_RSRC2:TGID_X_EN: 1
; COMPUTE_PGM_RSRC2:TGID_Y_EN: 0
; COMPUTE_PGM_RSRC2:TGID_Z_EN: 0
; COMPUTE_PGM_RSRC2:TIDIG_COMP_CNT: 0
; COMPUTE_PGM_RSRC3_GFX90A:ACCUM_OFFSET: 0
; COMPUTE_PGM_RSRC3_GFX90A:TG_SPLIT: 0
	.section	.text._ZN7rocprim17ROCPRIM_400000_NS6detail17trampoline_kernelINS0_14default_configENS1_27scan_by_key_config_selectorIxxEEZZNS1_16scan_by_key_implILNS1_25lookback_scan_determinismE0ELb0ES3_N6thrust23THRUST_200600_302600_NS6detail15normal_iteratorINS9_10device_ptrIxEEEESE_SE_xNS9_4plusIxEE19head_flag_predicatexEE10hipError_tPvRmT2_T3_T4_T5_mT6_T7_P12ihipStream_tbENKUlT_T0_E_clISt17integral_constantIbLb1EESY_EEDaST_SU_EUlST_E_NS1_11comp_targetILNS1_3genE2ELNS1_11target_archE906ELNS1_3gpuE6ELNS1_3repE0EEENS1_30default_config_static_selectorELNS0_4arch9wavefront6targetE1EEEvT1_,"axG",@progbits,_ZN7rocprim17ROCPRIM_400000_NS6detail17trampoline_kernelINS0_14default_configENS1_27scan_by_key_config_selectorIxxEEZZNS1_16scan_by_key_implILNS1_25lookback_scan_determinismE0ELb0ES3_N6thrust23THRUST_200600_302600_NS6detail15normal_iteratorINS9_10device_ptrIxEEEESE_SE_xNS9_4plusIxEE19head_flag_predicatexEE10hipError_tPvRmT2_T3_T4_T5_mT6_T7_P12ihipStream_tbENKUlT_T0_E_clISt17integral_constantIbLb1EESY_EEDaST_SU_EUlST_E_NS1_11comp_targetILNS1_3genE2ELNS1_11target_archE906ELNS1_3gpuE6ELNS1_3repE0EEENS1_30default_config_static_selectorELNS0_4arch9wavefront6targetE1EEEvT1_,comdat
	.protected	_ZN7rocprim17ROCPRIM_400000_NS6detail17trampoline_kernelINS0_14default_configENS1_27scan_by_key_config_selectorIxxEEZZNS1_16scan_by_key_implILNS1_25lookback_scan_determinismE0ELb0ES3_N6thrust23THRUST_200600_302600_NS6detail15normal_iteratorINS9_10device_ptrIxEEEESE_SE_xNS9_4plusIxEE19head_flag_predicatexEE10hipError_tPvRmT2_T3_T4_T5_mT6_T7_P12ihipStream_tbENKUlT_T0_E_clISt17integral_constantIbLb1EESY_EEDaST_SU_EUlST_E_NS1_11comp_targetILNS1_3genE2ELNS1_11target_archE906ELNS1_3gpuE6ELNS1_3repE0EEENS1_30default_config_static_selectorELNS0_4arch9wavefront6targetE1EEEvT1_ ; -- Begin function _ZN7rocprim17ROCPRIM_400000_NS6detail17trampoline_kernelINS0_14default_configENS1_27scan_by_key_config_selectorIxxEEZZNS1_16scan_by_key_implILNS1_25lookback_scan_determinismE0ELb0ES3_N6thrust23THRUST_200600_302600_NS6detail15normal_iteratorINS9_10device_ptrIxEEEESE_SE_xNS9_4plusIxEE19head_flag_predicatexEE10hipError_tPvRmT2_T3_T4_T5_mT6_T7_P12ihipStream_tbENKUlT_T0_E_clISt17integral_constantIbLb1EESY_EEDaST_SU_EUlST_E_NS1_11comp_targetILNS1_3genE2ELNS1_11target_archE906ELNS1_3gpuE6ELNS1_3repE0EEENS1_30default_config_static_selectorELNS0_4arch9wavefront6targetE1EEEvT1_
	.globl	_ZN7rocprim17ROCPRIM_400000_NS6detail17trampoline_kernelINS0_14default_configENS1_27scan_by_key_config_selectorIxxEEZZNS1_16scan_by_key_implILNS1_25lookback_scan_determinismE0ELb0ES3_N6thrust23THRUST_200600_302600_NS6detail15normal_iteratorINS9_10device_ptrIxEEEESE_SE_xNS9_4plusIxEE19head_flag_predicatexEE10hipError_tPvRmT2_T3_T4_T5_mT6_T7_P12ihipStream_tbENKUlT_T0_E_clISt17integral_constantIbLb1EESY_EEDaST_SU_EUlST_E_NS1_11comp_targetILNS1_3genE2ELNS1_11target_archE906ELNS1_3gpuE6ELNS1_3repE0EEENS1_30default_config_static_selectorELNS0_4arch9wavefront6targetE1EEEvT1_
	.p2align	8
	.type	_ZN7rocprim17ROCPRIM_400000_NS6detail17trampoline_kernelINS0_14default_configENS1_27scan_by_key_config_selectorIxxEEZZNS1_16scan_by_key_implILNS1_25lookback_scan_determinismE0ELb0ES3_N6thrust23THRUST_200600_302600_NS6detail15normal_iteratorINS9_10device_ptrIxEEEESE_SE_xNS9_4plusIxEE19head_flag_predicatexEE10hipError_tPvRmT2_T3_T4_T5_mT6_T7_P12ihipStream_tbENKUlT_T0_E_clISt17integral_constantIbLb1EESY_EEDaST_SU_EUlST_E_NS1_11comp_targetILNS1_3genE2ELNS1_11target_archE906ELNS1_3gpuE6ELNS1_3repE0EEENS1_30default_config_static_selectorELNS0_4arch9wavefront6targetE1EEEvT1_,@function
_ZN7rocprim17ROCPRIM_400000_NS6detail17trampoline_kernelINS0_14default_configENS1_27scan_by_key_config_selectorIxxEEZZNS1_16scan_by_key_implILNS1_25lookback_scan_determinismE0ELb0ES3_N6thrust23THRUST_200600_302600_NS6detail15normal_iteratorINS9_10device_ptrIxEEEESE_SE_xNS9_4plusIxEE19head_flag_predicatexEE10hipError_tPvRmT2_T3_T4_T5_mT6_T7_P12ihipStream_tbENKUlT_T0_E_clISt17integral_constantIbLb1EESY_EEDaST_SU_EUlST_E_NS1_11comp_targetILNS1_3genE2ELNS1_11target_archE906ELNS1_3gpuE6ELNS1_3repE0EEENS1_30default_config_static_selectorELNS0_4arch9wavefront6targetE1EEEvT1_: ; @_ZN7rocprim17ROCPRIM_400000_NS6detail17trampoline_kernelINS0_14default_configENS1_27scan_by_key_config_selectorIxxEEZZNS1_16scan_by_key_implILNS1_25lookback_scan_determinismE0ELb0ES3_N6thrust23THRUST_200600_302600_NS6detail15normal_iteratorINS9_10device_ptrIxEEEESE_SE_xNS9_4plusIxEE19head_flag_predicatexEE10hipError_tPvRmT2_T3_T4_T5_mT6_T7_P12ihipStream_tbENKUlT_T0_E_clISt17integral_constantIbLb1EESY_EEDaST_SU_EUlST_E_NS1_11comp_targetILNS1_3genE2ELNS1_11target_archE906ELNS1_3gpuE6ELNS1_3repE0EEENS1_30default_config_static_selectorELNS0_4arch9wavefront6targetE1EEEvT1_
; %bb.0:
	.section	.rodata,"a",@progbits
	.p2align	6, 0x0
	.amdhsa_kernel _ZN7rocprim17ROCPRIM_400000_NS6detail17trampoline_kernelINS0_14default_configENS1_27scan_by_key_config_selectorIxxEEZZNS1_16scan_by_key_implILNS1_25lookback_scan_determinismE0ELb0ES3_N6thrust23THRUST_200600_302600_NS6detail15normal_iteratorINS9_10device_ptrIxEEEESE_SE_xNS9_4plusIxEE19head_flag_predicatexEE10hipError_tPvRmT2_T3_T4_T5_mT6_T7_P12ihipStream_tbENKUlT_T0_E_clISt17integral_constantIbLb1EESY_EEDaST_SU_EUlST_E_NS1_11comp_targetILNS1_3genE2ELNS1_11target_archE906ELNS1_3gpuE6ELNS1_3repE0EEENS1_30default_config_static_selectorELNS0_4arch9wavefront6targetE1EEEvT1_
		.amdhsa_group_segment_fixed_size 0
		.amdhsa_private_segment_fixed_size 0
		.amdhsa_kernarg_size 136
		.amdhsa_user_sgpr_count 2
		.amdhsa_user_sgpr_dispatch_ptr 0
		.amdhsa_user_sgpr_queue_ptr 0
		.amdhsa_user_sgpr_kernarg_segment_ptr 1
		.amdhsa_user_sgpr_dispatch_id 0
		.amdhsa_user_sgpr_kernarg_preload_length 0
		.amdhsa_user_sgpr_kernarg_preload_offset 0
		.amdhsa_user_sgpr_private_segment_size 0
		.amdhsa_uses_dynamic_stack 0
		.amdhsa_enable_private_segment 0
		.amdhsa_system_sgpr_workgroup_id_x 1
		.amdhsa_system_sgpr_workgroup_id_y 0
		.amdhsa_system_sgpr_workgroup_id_z 0
		.amdhsa_system_sgpr_workgroup_info 0
		.amdhsa_system_vgpr_workitem_id 0
		.amdhsa_next_free_vgpr 1
		.amdhsa_next_free_sgpr 0
		.amdhsa_accum_offset 4
		.amdhsa_reserve_vcc 0
		.amdhsa_float_round_mode_32 0
		.amdhsa_float_round_mode_16_64 0
		.amdhsa_float_denorm_mode_32 3
		.amdhsa_float_denorm_mode_16_64 3
		.amdhsa_dx10_clamp 1
		.amdhsa_ieee_mode 1
		.amdhsa_fp16_overflow 0
		.amdhsa_tg_split 0
		.amdhsa_exception_fp_ieee_invalid_op 0
		.amdhsa_exception_fp_denorm_src 0
		.amdhsa_exception_fp_ieee_div_zero 0
		.amdhsa_exception_fp_ieee_overflow 0
		.amdhsa_exception_fp_ieee_underflow 0
		.amdhsa_exception_fp_ieee_inexact 0
		.amdhsa_exception_int_div_zero 0
	.end_amdhsa_kernel
	.section	.text._ZN7rocprim17ROCPRIM_400000_NS6detail17trampoline_kernelINS0_14default_configENS1_27scan_by_key_config_selectorIxxEEZZNS1_16scan_by_key_implILNS1_25lookback_scan_determinismE0ELb0ES3_N6thrust23THRUST_200600_302600_NS6detail15normal_iteratorINS9_10device_ptrIxEEEESE_SE_xNS9_4plusIxEE19head_flag_predicatexEE10hipError_tPvRmT2_T3_T4_T5_mT6_T7_P12ihipStream_tbENKUlT_T0_E_clISt17integral_constantIbLb1EESY_EEDaST_SU_EUlST_E_NS1_11comp_targetILNS1_3genE2ELNS1_11target_archE906ELNS1_3gpuE6ELNS1_3repE0EEENS1_30default_config_static_selectorELNS0_4arch9wavefront6targetE1EEEvT1_,"axG",@progbits,_ZN7rocprim17ROCPRIM_400000_NS6detail17trampoline_kernelINS0_14default_configENS1_27scan_by_key_config_selectorIxxEEZZNS1_16scan_by_key_implILNS1_25lookback_scan_determinismE0ELb0ES3_N6thrust23THRUST_200600_302600_NS6detail15normal_iteratorINS9_10device_ptrIxEEEESE_SE_xNS9_4plusIxEE19head_flag_predicatexEE10hipError_tPvRmT2_T3_T4_T5_mT6_T7_P12ihipStream_tbENKUlT_T0_E_clISt17integral_constantIbLb1EESY_EEDaST_SU_EUlST_E_NS1_11comp_targetILNS1_3genE2ELNS1_11target_archE906ELNS1_3gpuE6ELNS1_3repE0EEENS1_30default_config_static_selectorELNS0_4arch9wavefront6targetE1EEEvT1_,comdat
.Lfunc_end691:
	.size	_ZN7rocprim17ROCPRIM_400000_NS6detail17trampoline_kernelINS0_14default_configENS1_27scan_by_key_config_selectorIxxEEZZNS1_16scan_by_key_implILNS1_25lookback_scan_determinismE0ELb0ES3_N6thrust23THRUST_200600_302600_NS6detail15normal_iteratorINS9_10device_ptrIxEEEESE_SE_xNS9_4plusIxEE19head_flag_predicatexEE10hipError_tPvRmT2_T3_T4_T5_mT6_T7_P12ihipStream_tbENKUlT_T0_E_clISt17integral_constantIbLb1EESY_EEDaST_SU_EUlST_E_NS1_11comp_targetILNS1_3genE2ELNS1_11target_archE906ELNS1_3gpuE6ELNS1_3repE0EEENS1_30default_config_static_selectorELNS0_4arch9wavefront6targetE1EEEvT1_, .Lfunc_end691-_ZN7rocprim17ROCPRIM_400000_NS6detail17trampoline_kernelINS0_14default_configENS1_27scan_by_key_config_selectorIxxEEZZNS1_16scan_by_key_implILNS1_25lookback_scan_determinismE0ELb0ES3_N6thrust23THRUST_200600_302600_NS6detail15normal_iteratorINS9_10device_ptrIxEEEESE_SE_xNS9_4plusIxEE19head_flag_predicatexEE10hipError_tPvRmT2_T3_T4_T5_mT6_T7_P12ihipStream_tbENKUlT_T0_E_clISt17integral_constantIbLb1EESY_EEDaST_SU_EUlST_E_NS1_11comp_targetILNS1_3genE2ELNS1_11target_archE906ELNS1_3gpuE6ELNS1_3repE0EEENS1_30default_config_static_selectorELNS0_4arch9wavefront6targetE1EEEvT1_
                                        ; -- End function
	.section	.AMDGPU.csdata,"",@progbits
; Kernel info:
; codeLenInByte = 0
; NumSgprs: 6
; NumVgprs: 0
; NumAgprs: 0
; TotalNumVgprs: 0
; ScratchSize: 0
; MemoryBound: 0
; FloatMode: 240
; IeeeMode: 1
; LDSByteSize: 0 bytes/workgroup (compile time only)
; SGPRBlocks: 0
; VGPRBlocks: 0
; NumSGPRsForWavesPerEU: 6
; NumVGPRsForWavesPerEU: 1
; AccumOffset: 4
; Occupancy: 8
; WaveLimiterHint : 0
; COMPUTE_PGM_RSRC2:SCRATCH_EN: 0
; COMPUTE_PGM_RSRC2:USER_SGPR: 2
; COMPUTE_PGM_RSRC2:TRAP_HANDLER: 0
; COMPUTE_PGM_RSRC2:TGID_X_EN: 1
; COMPUTE_PGM_RSRC2:TGID_Y_EN: 0
; COMPUTE_PGM_RSRC2:TGID_Z_EN: 0
; COMPUTE_PGM_RSRC2:TIDIG_COMP_CNT: 0
; COMPUTE_PGM_RSRC3_GFX90A:ACCUM_OFFSET: 0
; COMPUTE_PGM_RSRC3_GFX90A:TG_SPLIT: 0
	.section	.text._ZN7rocprim17ROCPRIM_400000_NS6detail17trampoline_kernelINS0_14default_configENS1_27scan_by_key_config_selectorIxxEEZZNS1_16scan_by_key_implILNS1_25lookback_scan_determinismE0ELb0ES3_N6thrust23THRUST_200600_302600_NS6detail15normal_iteratorINS9_10device_ptrIxEEEESE_SE_xNS9_4plusIxEE19head_flag_predicatexEE10hipError_tPvRmT2_T3_T4_T5_mT6_T7_P12ihipStream_tbENKUlT_T0_E_clISt17integral_constantIbLb1EESY_EEDaST_SU_EUlST_E_NS1_11comp_targetILNS1_3genE10ELNS1_11target_archE1200ELNS1_3gpuE4ELNS1_3repE0EEENS1_30default_config_static_selectorELNS0_4arch9wavefront6targetE1EEEvT1_,"axG",@progbits,_ZN7rocprim17ROCPRIM_400000_NS6detail17trampoline_kernelINS0_14default_configENS1_27scan_by_key_config_selectorIxxEEZZNS1_16scan_by_key_implILNS1_25lookback_scan_determinismE0ELb0ES3_N6thrust23THRUST_200600_302600_NS6detail15normal_iteratorINS9_10device_ptrIxEEEESE_SE_xNS9_4plusIxEE19head_flag_predicatexEE10hipError_tPvRmT2_T3_T4_T5_mT6_T7_P12ihipStream_tbENKUlT_T0_E_clISt17integral_constantIbLb1EESY_EEDaST_SU_EUlST_E_NS1_11comp_targetILNS1_3genE10ELNS1_11target_archE1200ELNS1_3gpuE4ELNS1_3repE0EEENS1_30default_config_static_selectorELNS0_4arch9wavefront6targetE1EEEvT1_,comdat
	.protected	_ZN7rocprim17ROCPRIM_400000_NS6detail17trampoline_kernelINS0_14default_configENS1_27scan_by_key_config_selectorIxxEEZZNS1_16scan_by_key_implILNS1_25lookback_scan_determinismE0ELb0ES3_N6thrust23THRUST_200600_302600_NS6detail15normal_iteratorINS9_10device_ptrIxEEEESE_SE_xNS9_4plusIxEE19head_flag_predicatexEE10hipError_tPvRmT2_T3_T4_T5_mT6_T7_P12ihipStream_tbENKUlT_T0_E_clISt17integral_constantIbLb1EESY_EEDaST_SU_EUlST_E_NS1_11comp_targetILNS1_3genE10ELNS1_11target_archE1200ELNS1_3gpuE4ELNS1_3repE0EEENS1_30default_config_static_selectorELNS0_4arch9wavefront6targetE1EEEvT1_ ; -- Begin function _ZN7rocprim17ROCPRIM_400000_NS6detail17trampoline_kernelINS0_14default_configENS1_27scan_by_key_config_selectorIxxEEZZNS1_16scan_by_key_implILNS1_25lookback_scan_determinismE0ELb0ES3_N6thrust23THRUST_200600_302600_NS6detail15normal_iteratorINS9_10device_ptrIxEEEESE_SE_xNS9_4plusIxEE19head_flag_predicatexEE10hipError_tPvRmT2_T3_T4_T5_mT6_T7_P12ihipStream_tbENKUlT_T0_E_clISt17integral_constantIbLb1EESY_EEDaST_SU_EUlST_E_NS1_11comp_targetILNS1_3genE10ELNS1_11target_archE1200ELNS1_3gpuE4ELNS1_3repE0EEENS1_30default_config_static_selectorELNS0_4arch9wavefront6targetE1EEEvT1_
	.globl	_ZN7rocprim17ROCPRIM_400000_NS6detail17trampoline_kernelINS0_14default_configENS1_27scan_by_key_config_selectorIxxEEZZNS1_16scan_by_key_implILNS1_25lookback_scan_determinismE0ELb0ES3_N6thrust23THRUST_200600_302600_NS6detail15normal_iteratorINS9_10device_ptrIxEEEESE_SE_xNS9_4plusIxEE19head_flag_predicatexEE10hipError_tPvRmT2_T3_T4_T5_mT6_T7_P12ihipStream_tbENKUlT_T0_E_clISt17integral_constantIbLb1EESY_EEDaST_SU_EUlST_E_NS1_11comp_targetILNS1_3genE10ELNS1_11target_archE1200ELNS1_3gpuE4ELNS1_3repE0EEENS1_30default_config_static_selectorELNS0_4arch9wavefront6targetE1EEEvT1_
	.p2align	8
	.type	_ZN7rocprim17ROCPRIM_400000_NS6detail17trampoline_kernelINS0_14default_configENS1_27scan_by_key_config_selectorIxxEEZZNS1_16scan_by_key_implILNS1_25lookback_scan_determinismE0ELb0ES3_N6thrust23THRUST_200600_302600_NS6detail15normal_iteratorINS9_10device_ptrIxEEEESE_SE_xNS9_4plusIxEE19head_flag_predicatexEE10hipError_tPvRmT2_T3_T4_T5_mT6_T7_P12ihipStream_tbENKUlT_T0_E_clISt17integral_constantIbLb1EESY_EEDaST_SU_EUlST_E_NS1_11comp_targetILNS1_3genE10ELNS1_11target_archE1200ELNS1_3gpuE4ELNS1_3repE0EEENS1_30default_config_static_selectorELNS0_4arch9wavefront6targetE1EEEvT1_,@function
_ZN7rocprim17ROCPRIM_400000_NS6detail17trampoline_kernelINS0_14default_configENS1_27scan_by_key_config_selectorIxxEEZZNS1_16scan_by_key_implILNS1_25lookback_scan_determinismE0ELb0ES3_N6thrust23THRUST_200600_302600_NS6detail15normal_iteratorINS9_10device_ptrIxEEEESE_SE_xNS9_4plusIxEE19head_flag_predicatexEE10hipError_tPvRmT2_T3_T4_T5_mT6_T7_P12ihipStream_tbENKUlT_T0_E_clISt17integral_constantIbLb1EESY_EEDaST_SU_EUlST_E_NS1_11comp_targetILNS1_3genE10ELNS1_11target_archE1200ELNS1_3gpuE4ELNS1_3repE0EEENS1_30default_config_static_selectorELNS0_4arch9wavefront6targetE1EEEvT1_: ; @_ZN7rocprim17ROCPRIM_400000_NS6detail17trampoline_kernelINS0_14default_configENS1_27scan_by_key_config_selectorIxxEEZZNS1_16scan_by_key_implILNS1_25lookback_scan_determinismE0ELb0ES3_N6thrust23THRUST_200600_302600_NS6detail15normal_iteratorINS9_10device_ptrIxEEEESE_SE_xNS9_4plusIxEE19head_flag_predicatexEE10hipError_tPvRmT2_T3_T4_T5_mT6_T7_P12ihipStream_tbENKUlT_T0_E_clISt17integral_constantIbLb1EESY_EEDaST_SU_EUlST_E_NS1_11comp_targetILNS1_3genE10ELNS1_11target_archE1200ELNS1_3gpuE4ELNS1_3repE0EEENS1_30default_config_static_selectorELNS0_4arch9wavefront6targetE1EEEvT1_
; %bb.0:
	.section	.rodata,"a",@progbits
	.p2align	6, 0x0
	.amdhsa_kernel _ZN7rocprim17ROCPRIM_400000_NS6detail17trampoline_kernelINS0_14default_configENS1_27scan_by_key_config_selectorIxxEEZZNS1_16scan_by_key_implILNS1_25lookback_scan_determinismE0ELb0ES3_N6thrust23THRUST_200600_302600_NS6detail15normal_iteratorINS9_10device_ptrIxEEEESE_SE_xNS9_4plusIxEE19head_flag_predicatexEE10hipError_tPvRmT2_T3_T4_T5_mT6_T7_P12ihipStream_tbENKUlT_T0_E_clISt17integral_constantIbLb1EESY_EEDaST_SU_EUlST_E_NS1_11comp_targetILNS1_3genE10ELNS1_11target_archE1200ELNS1_3gpuE4ELNS1_3repE0EEENS1_30default_config_static_selectorELNS0_4arch9wavefront6targetE1EEEvT1_
		.amdhsa_group_segment_fixed_size 0
		.amdhsa_private_segment_fixed_size 0
		.amdhsa_kernarg_size 136
		.amdhsa_user_sgpr_count 2
		.amdhsa_user_sgpr_dispatch_ptr 0
		.amdhsa_user_sgpr_queue_ptr 0
		.amdhsa_user_sgpr_kernarg_segment_ptr 1
		.amdhsa_user_sgpr_dispatch_id 0
		.amdhsa_user_sgpr_kernarg_preload_length 0
		.amdhsa_user_sgpr_kernarg_preload_offset 0
		.amdhsa_user_sgpr_private_segment_size 0
		.amdhsa_uses_dynamic_stack 0
		.amdhsa_enable_private_segment 0
		.amdhsa_system_sgpr_workgroup_id_x 1
		.amdhsa_system_sgpr_workgroup_id_y 0
		.amdhsa_system_sgpr_workgroup_id_z 0
		.amdhsa_system_sgpr_workgroup_info 0
		.amdhsa_system_vgpr_workitem_id 0
		.amdhsa_next_free_vgpr 1
		.amdhsa_next_free_sgpr 0
		.amdhsa_accum_offset 4
		.amdhsa_reserve_vcc 0
		.amdhsa_float_round_mode_32 0
		.amdhsa_float_round_mode_16_64 0
		.amdhsa_float_denorm_mode_32 3
		.amdhsa_float_denorm_mode_16_64 3
		.amdhsa_dx10_clamp 1
		.amdhsa_ieee_mode 1
		.amdhsa_fp16_overflow 0
		.amdhsa_tg_split 0
		.amdhsa_exception_fp_ieee_invalid_op 0
		.amdhsa_exception_fp_denorm_src 0
		.amdhsa_exception_fp_ieee_div_zero 0
		.amdhsa_exception_fp_ieee_overflow 0
		.amdhsa_exception_fp_ieee_underflow 0
		.amdhsa_exception_fp_ieee_inexact 0
		.amdhsa_exception_int_div_zero 0
	.end_amdhsa_kernel
	.section	.text._ZN7rocprim17ROCPRIM_400000_NS6detail17trampoline_kernelINS0_14default_configENS1_27scan_by_key_config_selectorIxxEEZZNS1_16scan_by_key_implILNS1_25lookback_scan_determinismE0ELb0ES3_N6thrust23THRUST_200600_302600_NS6detail15normal_iteratorINS9_10device_ptrIxEEEESE_SE_xNS9_4plusIxEE19head_flag_predicatexEE10hipError_tPvRmT2_T3_T4_T5_mT6_T7_P12ihipStream_tbENKUlT_T0_E_clISt17integral_constantIbLb1EESY_EEDaST_SU_EUlST_E_NS1_11comp_targetILNS1_3genE10ELNS1_11target_archE1200ELNS1_3gpuE4ELNS1_3repE0EEENS1_30default_config_static_selectorELNS0_4arch9wavefront6targetE1EEEvT1_,"axG",@progbits,_ZN7rocprim17ROCPRIM_400000_NS6detail17trampoline_kernelINS0_14default_configENS1_27scan_by_key_config_selectorIxxEEZZNS1_16scan_by_key_implILNS1_25lookback_scan_determinismE0ELb0ES3_N6thrust23THRUST_200600_302600_NS6detail15normal_iteratorINS9_10device_ptrIxEEEESE_SE_xNS9_4plusIxEE19head_flag_predicatexEE10hipError_tPvRmT2_T3_T4_T5_mT6_T7_P12ihipStream_tbENKUlT_T0_E_clISt17integral_constantIbLb1EESY_EEDaST_SU_EUlST_E_NS1_11comp_targetILNS1_3genE10ELNS1_11target_archE1200ELNS1_3gpuE4ELNS1_3repE0EEENS1_30default_config_static_selectorELNS0_4arch9wavefront6targetE1EEEvT1_,comdat
.Lfunc_end692:
	.size	_ZN7rocprim17ROCPRIM_400000_NS6detail17trampoline_kernelINS0_14default_configENS1_27scan_by_key_config_selectorIxxEEZZNS1_16scan_by_key_implILNS1_25lookback_scan_determinismE0ELb0ES3_N6thrust23THRUST_200600_302600_NS6detail15normal_iteratorINS9_10device_ptrIxEEEESE_SE_xNS9_4plusIxEE19head_flag_predicatexEE10hipError_tPvRmT2_T3_T4_T5_mT6_T7_P12ihipStream_tbENKUlT_T0_E_clISt17integral_constantIbLb1EESY_EEDaST_SU_EUlST_E_NS1_11comp_targetILNS1_3genE10ELNS1_11target_archE1200ELNS1_3gpuE4ELNS1_3repE0EEENS1_30default_config_static_selectorELNS0_4arch9wavefront6targetE1EEEvT1_, .Lfunc_end692-_ZN7rocprim17ROCPRIM_400000_NS6detail17trampoline_kernelINS0_14default_configENS1_27scan_by_key_config_selectorIxxEEZZNS1_16scan_by_key_implILNS1_25lookback_scan_determinismE0ELb0ES3_N6thrust23THRUST_200600_302600_NS6detail15normal_iteratorINS9_10device_ptrIxEEEESE_SE_xNS9_4plusIxEE19head_flag_predicatexEE10hipError_tPvRmT2_T3_T4_T5_mT6_T7_P12ihipStream_tbENKUlT_T0_E_clISt17integral_constantIbLb1EESY_EEDaST_SU_EUlST_E_NS1_11comp_targetILNS1_3genE10ELNS1_11target_archE1200ELNS1_3gpuE4ELNS1_3repE0EEENS1_30default_config_static_selectorELNS0_4arch9wavefront6targetE1EEEvT1_
                                        ; -- End function
	.section	.AMDGPU.csdata,"",@progbits
; Kernel info:
; codeLenInByte = 0
; NumSgprs: 6
; NumVgprs: 0
; NumAgprs: 0
; TotalNumVgprs: 0
; ScratchSize: 0
; MemoryBound: 0
; FloatMode: 240
; IeeeMode: 1
; LDSByteSize: 0 bytes/workgroup (compile time only)
; SGPRBlocks: 0
; VGPRBlocks: 0
; NumSGPRsForWavesPerEU: 6
; NumVGPRsForWavesPerEU: 1
; AccumOffset: 4
; Occupancy: 8
; WaveLimiterHint : 0
; COMPUTE_PGM_RSRC2:SCRATCH_EN: 0
; COMPUTE_PGM_RSRC2:USER_SGPR: 2
; COMPUTE_PGM_RSRC2:TRAP_HANDLER: 0
; COMPUTE_PGM_RSRC2:TGID_X_EN: 1
; COMPUTE_PGM_RSRC2:TGID_Y_EN: 0
; COMPUTE_PGM_RSRC2:TGID_Z_EN: 0
; COMPUTE_PGM_RSRC2:TIDIG_COMP_CNT: 0
; COMPUTE_PGM_RSRC3_GFX90A:ACCUM_OFFSET: 0
; COMPUTE_PGM_RSRC3_GFX90A:TG_SPLIT: 0
	.section	.text._ZN7rocprim17ROCPRIM_400000_NS6detail17trampoline_kernelINS0_14default_configENS1_27scan_by_key_config_selectorIxxEEZZNS1_16scan_by_key_implILNS1_25lookback_scan_determinismE0ELb0ES3_N6thrust23THRUST_200600_302600_NS6detail15normal_iteratorINS9_10device_ptrIxEEEESE_SE_xNS9_4plusIxEE19head_flag_predicatexEE10hipError_tPvRmT2_T3_T4_T5_mT6_T7_P12ihipStream_tbENKUlT_T0_E_clISt17integral_constantIbLb1EESY_EEDaST_SU_EUlST_E_NS1_11comp_targetILNS1_3genE9ELNS1_11target_archE1100ELNS1_3gpuE3ELNS1_3repE0EEENS1_30default_config_static_selectorELNS0_4arch9wavefront6targetE1EEEvT1_,"axG",@progbits,_ZN7rocprim17ROCPRIM_400000_NS6detail17trampoline_kernelINS0_14default_configENS1_27scan_by_key_config_selectorIxxEEZZNS1_16scan_by_key_implILNS1_25lookback_scan_determinismE0ELb0ES3_N6thrust23THRUST_200600_302600_NS6detail15normal_iteratorINS9_10device_ptrIxEEEESE_SE_xNS9_4plusIxEE19head_flag_predicatexEE10hipError_tPvRmT2_T3_T4_T5_mT6_T7_P12ihipStream_tbENKUlT_T0_E_clISt17integral_constantIbLb1EESY_EEDaST_SU_EUlST_E_NS1_11comp_targetILNS1_3genE9ELNS1_11target_archE1100ELNS1_3gpuE3ELNS1_3repE0EEENS1_30default_config_static_selectorELNS0_4arch9wavefront6targetE1EEEvT1_,comdat
	.protected	_ZN7rocprim17ROCPRIM_400000_NS6detail17trampoline_kernelINS0_14default_configENS1_27scan_by_key_config_selectorIxxEEZZNS1_16scan_by_key_implILNS1_25lookback_scan_determinismE0ELb0ES3_N6thrust23THRUST_200600_302600_NS6detail15normal_iteratorINS9_10device_ptrIxEEEESE_SE_xNS9_4plusIxEE19head_flag_predicatexEE10hipError_tPvRmT2_T3_T4_T5_mT6_T7_P12ihipStream_tbENKUlT_T0_E_clISt17integral_constantIbLb1EESY_EEDaST_SU_EUlST_E_NS1_11comp_targetILNS1_3genE9ELNS1_11target_archE1100ELNS1_3gpuE3ELNS1_3repE0EEENS1_30default_config_static_selectorELNS0_4arch9wavefront6targetE1EEEvT1_ ; -- Begin function _ZN7rocprim17ROCPRIM_400000_NS6detail17trampoline_kernelINS0_14default_configENS1_27scan_by_key_config_selectorIxxEEZZNS1_16scan_by_key_implILNS1_25lookback_scan_determinismE0ELb0ES3_N6thrust23THRUST_200600_302600_NS6detail15normal_iteratorINS9_10device_ptrIxEEEESE_SE_xNS9_4plusIxEE19head_flag_predicatexEE10hipError_tPvRmT2_T3_T4_T5_mT6_T7_P12ihipStream_tbENKUlT_T0_E_clISt17integral_constantIbLb1EESY_EEDaST_SU_EUlST_E_NS1_11comp_targetILNS1_3genE9ELNS1_11target_archE1100ELNS1_3gpuE3ELNS1_3repE0EEENS1_30default_config_static_selectorELNS0_4arch9wavefront6targetE1EEEvT1_
	.globl	_ZN7rocprim17ROCPRIM_400000_NS6detail17trampoline_kernelINS0_14default_configENS1_27scan_by_key_config_selectorIxxEEZZNS1_16scan_by_key_implILNS1_25lookback_scan_determinismE0ELb0ES3_N6thrust23THRUST_200600_302600_NS6detail15normal_iteratorINS9_10device_ptrIxEEEESE_SE_xNS9_4plusIxEE19head_flag_predicatexEE10hipError_tPvRmT2_T3_T4_T5_mT6_T7_P12ihipStream_tbENKUlT_T0_E_clISt17integral_constantIbLb1EESY_EEDaST_SU_EUlST_E_NS1_11comp_targetILNS1_3genE9ELNS1_11target_archE1100ELNS1_3gpuE3ELNS1_3repE0EEENS1_30default_config_static_selectorELNS0_4arch9wavefront6targetE1EEEvT1_
	.p2align	8
	.type	_ZN7rocprim17ROCPRIM_400000_NS6detail17trampoline_kernelINS0_14default_configENS1_27scan_by_key_config_selectorIxxEEZZNS1_16scan_by_key_implILNS1_25lookback_scan_determinismE0ELb0ES3_N6thrust23THRUST_200600_302600_NS6detail15normal_iteratorINS9_10device_ptrIxEEEESE_SE_xNS9_4plusIxEE19head_flag_predicatexEE10hipError_tPvRmT2_T3_T4_T5_mT6_T7_P12ihipStream_tbENKUlT_T0_E_clISt17integral_constantIbLb1EESY_EEDaST_SU_EUlST_E_NS1_11comp_targetILNS1_3genE9ELNS1_11target_archE1100ELNS1_3gpuE3ELNS1_3repE0EEENS1_30default_config_static_selectorELNS0_4arch9wavefront6targetE1EEEvT1_,@function
_ZN7rocprim17ROCPRIM_400000_NS6detail17trampoline_kernelINS0_14default_configENS1_27scan_by_key_config_selectorIxxEEZZNS1_16scan_by_key_implILNS1_25lookback_scan_determinismE0ELb0ES3_N6thrust23THRUST_200600_302600_NS6detail15normal_iteratorINS9_10device_ptrIxEEEESE_SE_xNS9_4plusIxEE19head_flag_predicatexEE10hipError_tPvRmT2_T3_T4_T5_mT6_T7_P12ihipStream_tbENKUlT_T0_E_clISt17integral_constantIbLb1EESY_EEDaST_SU_EUlST_E_NS1_11comp_targetILNS1_3genE9ELNS1_11target_archE1100ELNS1_3gpuE3ELNS1_3repE0EEENS1_30default_config_static_selectorELNS0_4arch9wavefront6targetE1EEEvT1_: ; @_ZN7rocprim17ROCPRIM_400000_NS6detail17trampoline_kernelINS0_14default_configENS1_27scan_by_key_config_selectorIxxEEZZNS1_16scan_by_key_implILNS1_25lookback_scan_determinismE0ELb0ES3_N6thrust23THRUST_200600_302600_NS6detail15normal_iteratorINS9_10device_ptrIxEEEESE_SE_xNS9_4plusIxEE19head_flag_predicatexEE10hipError_tPvRmT2_T3_T4_T5_mT6_T7_P12ihipStream_tbENKUlT_T0_E_clISt17integral_constantIbLb1EESY_EEDaST_SU_EUlST_E_NS1_11comp_targetILNS1_3genE9ELNS1_11target_archE1100ELNS1_3gpuE3ELNS1_3repE0EEENS1_30default_config_static_selectorELNS0_4arch9wavefront6targetE1EEEvT1_
; %bb.0:
	.section	.rodata,"a",@progbits
	.p2align	6, 0x0
	.amdhsa_kernel _ZN7rocprim17ROCPRIM_400000_NS6detail17trampoline_kernelINS0_14default_configENS1_27scan_by_key_config_selectorIxxEEZZNS1_16scan_by_key_implILNS1_25lookback_scan_determinismE0ELb0ES3_N6thrust23THRUST_200600_302600_NS6detail15normal_iteratorINS9_10device_ptrIxEEEESE_SE_xNS9_4plusIxEE19head_flag_predicatexEE10hipError_tPvRmT2_T3_T4_T5_mT6_T7_P12ihipStream_tbENKUlT_T0_E_clISt17integral_constantIbLb1EESY_EEDaST_SU_EUlST_E_NS1_11comp_targetILNS1_3genE9ELNS1_11target_archE1100ELNS1_3gpuE3ELNS1_3repE0EEENS1_30default_config_static_selectorELNS0_4arch9wavefront6targetE1EEEvT1_
		.amdhsa_group_segment_fixed_size 0
		.amdhsa_private_segment_fixed_size 0
		.amdhsa_kernarg_size 136
		.amdhsa_user_sgpr_count 2
		.amdhsa_user_sgpr_dispatch_ptr 0
		.amdhsa_user_sgpr_queue_ptr 0
		.amdhsa_user_sgpr_kernarg_segment_ptr 1
		.amdhsa_user_sgpr_dispatch_id 0
		.amdhsa_user_sgpr_kernarg_preload_length 0
		.amdhsa_user_sgpr_kernarg_preload_offset 0
		.amdhsa_user_sgpr_private_segment_size 0
		.amdhsa_uses_dynamic_stack 0
		.amdhsa_enable_private_segment 0
		.amdhsa_system_sgpr_workgroup_id_x 1
		.amdhsa_system_sgpr_workgroup_id_y 0
		.amdhsa_system_sgpr_workgroup_id_z 0
		.amdhsa_system_sgpr_workgroup_info 0
		.amdhsa_system_vgpr_workitem_id 0
		.amdhsa_next_free_vgpr 1
		.amdhsa_next_free_sgpr 0
		.amdhsa_accum_offset 4
		.amdhsa_reserve_vcc 0
		.amdhsa_float_round_mode_32 0
		.amdhsa_float_round_mode_16_64 0
		.amdhsa_float_denorm_mode_32 3
		.amdhsa_float_denorm_mode_16_64 3
		.amdhsa_dx10_clamp 1
		.amdhsa_ieee_mode 1
		.amdhsa_fp16_overflow 0
		.amdhsa_tg_split 0
		.amdhsa_exception_fp_ieee_invalid_op 0
		.amdhsa_exception_fp_denorm_src 0
		.amdhsa_exception_fp_ieee_div_zero 0
		.amdhsa_exception_fp_ieee_overflow 0
		.amdhsa_exception_fp_ieee_underflow 0
		.amdhsa_exception_fp_ieee_inexact 0
		.amdhsa_exception_int_div_zero 0
	.end_amdhsa_kernel
	.section	.text._ZN7rocprim17ROCPRIM_400000_NS6detail17trampoline_kernelINS0_14default_configENS1_27scan_by_key_config_selectorIxxEEZZNS1_16scan_by_key_implILNS1_25lookback_scan_determinismE0ELb0ES3_N6thrust23THRUST_200600_302600_NS6detail15normal_iteratorINS9_10device_ptrIxEEEESE_SE_xNS9_4plusIxEE19head_flag_predicatexEE10hipError_tPvRmT2_T3_T4_T5_mT6_T7_P12ihipStream_tbENKUlT_T0_E_clISt17integral_constantIbLb1EESY_EEDaST_SU_EUlST_E_NS1_11comp_targetILNS1_3genE9ELNS1_11target_archE1100ELNS1_3gpuE3ELNS1_3repE0EEENS1_30default_config_static_selectorELNS0_4arch9wavefront6targetE1EEEvT1_,"axG",@progbits,_ZN7rocprim17ROCPRIM_400000_NS6detail17trampoline_kernelINS0_14default_configENS1_27scan_by_key_config_selectorIxxEEZZNS1_16scan_by_key_implILNS1_25lookback_scan_determinismE0ELb0ES3_N6thrust23THRUST_200600_302600_NS6detail15normal_iteratorINS9_10device_ptrIxEEEESE_SE_xNS9_4plusIxEE19head_flag_predicatexEE10hipError_tPvRmT2_T3_T4_T5_mT6_T7_P12ihipStream_tbENKUlT_T0_E_clISt17integral_constantIbLb1EESY_EEDaST_SU_EUlST_E_NS1_11comp_targetILNS1_3genE9ELNS1_11target_archE1100ELNS1_3gpuE3ELNS1_3repE0EEENS1_30default_config_static_selectorELNS0_4arch9wavefront6targetE1EEEvT1_,comdat
.Lfunc_end693:
	.size	_ZN7rocprim17ROCPRIM_400000_NS6detail17trampoline_kernelINS0_14default_configENS1_27scan_by_key_config_selectorIxxEEZZNS1_16scan_by_key_implILNS1_25lookback_scan_determinismE0ELb0ES3_N6thrust23THRUST_200600_302600_NS6detail15normal_iteratorINS9_10device_ptrIxEEEESE_SE_xNS9_4plusIxEE19head_flag_predicatexEE10hipError_tPvRmT2_T3_T4_T5_mT6_T7_P12ihipStream_tbENKUlT_T0_E_clISt17integral_constantIbLb1EESY_EEDaST_SU_EUlST_E_NS1_11comp_targetILNS1_3genE9ELNS1_11target_archE1100ELNS1_3gpuE3ELNS1_3repE0EEENS1_30default_config_static_selectorELNS0_4arch9wavefront6targetE1EEEvT1_, .Lfunc_end693-_ZN7rocprim17ROCPRIM_400000_NS6detail17trampoline_kernelINS0_14default_configENS1_27scan_by_key_config_selectorIxxEEZZNS1_16scan_by_key_implILNS1_25lookback_scan_determinismE0ELb0ES3_N6thrust23THRUST_200600_302600_NS6detail15normal_iteratorINS9_10device_ptrIxEEEESE_SE_xNS9_4plusIxEE19head_flag_predicatexEE10hipError_tPvRmT2_T3_T4_T5_mT6_T7_P12ihipStream_tbENKUlT_T0_E_clISt17integral_constantIbLb1EESY_EEDaST_SU_EUlST_E_NS1_11comp_targetILNS1_3genE9ELNS1_11target_archE1100ELNS1_3gpuE3ELNS1_3repE0EEENS1_30default_config_static_selectorELNS0_4arch9wavefront6targetE1EEEvT1_
                                        ; -- End function
	.section	.AMDGPU.csdata,"",@progbits
; Kernel info:
; codeLenInByte = 0
; NumSgprs: 6
; NumVgprs: 0
; NumAgprs: 0
; TotalNumVgprs: 0
; ScratchSize: 0
; MemoryBound: 0
; FloatMode: 240
; IeeeMode: 1
; LDSByteSize: 0 bytes/workgroup (compile time only)
; SGPRBlocks: 0
; VGPRBlocks: 0
; NumSGPRsForWavesPerEU: 6
; NumVGPRsForWavesPerEU: 1
; AccumOffset: 4
; Occupancy: 8
; WaveLimiterHint : 0
; COMPUTE_PGM_RSRC2:SCRATCH_EN: 0
; COMPUTE_PGM_RSRC2:USER_SGPR: 2
; COMPUTE_PGM_RSRC2:TRAP_HANDLER: 0
; COMPUTE_PGM_RSRC2:TGID_X_EN: 1
; COMPUTE_PGM_RSRC2:TGID_Y_EN: 0
; COMPUTE_PGM_RSRC2:TGID_Z_EN: 0
; COMPUTE_PGM_RSRC2:TIDIG_COMP_CNT: 0
; COMPUTE_PGM_RSRC3_GFX90A:ACCUM_OFFSET: 0
; COMPUTE_PGM_RSRC3_GFX90A:TG_SPLIT: 0
	.section	.text._ZN7rocprim17ROCPRIM_400000_NS6detail17trampoline_kernelINS0_14default_configENS1_27scan_by_key_config_selectorIxxEEZZNS1_16scan_by_key_implILNS1_25lookback_scan_determinismE0ELb0ES3_N6thrust23THRUST_200600_302600_NS6detail15normal_iteratorINS9_10device_ptrIxEEEESE_SE_xNS9_4plusIxEE19head_flag_predicatexEE10hipError_tPvRmT2_T3_T4_T5_mT6_T7_P12ihipStream_tbENKUlT_T0_E_clISt17integral_constantIbLb1EESY_EEDaST_SU_EUlST_E_NS1_11comp_targetILNS1_3genE8ELNS1_11target_archE1030ELNS1_3gpuE2ELNS1_3repE0EEENS1_30default_config_static_selectorELNS0_4arch9wavefront6targetE1EEEvT1_,"axG",@progbits,_ZN7rocprim17ROCPRIM_400000_NS6detail17trampoline_kernelINS0_14default_configENS1_27scan_by_key_config_selectorIxxEEZZNS1_16scan_by_key_implILNS1_25lookback_scan_determinismE0ELb0ES3_N6thrust23THRUST_200600_302600_NS6detail15normal_iteratorINS9_10device_ptrIxEEEESE_SE_xNS9_4plusIxEE19head_flag_predicatexEE10hipError_tPvRmT2_T3_T4_T5_mT6_T7_P12ihipStream_tbENKUlT_T0_E_clISt17integral_constantIbLb1EESY_EEDaST_SU_EUlST_E_NS1_11comp_targetILNS1_3genE8ELNS1_11target_archE1030ELNS1_3gpuE2ELNS1_3repE0EEENS1_30default_config_static_selectorELNS0_4arch9wavefront6targetE1EEEvT1_,comdat
	.protected	_ZN7rocprim17ROCPRIM_400000_NS6detail17trampoline_kernelINS0_14default_configENS1_27scan_by_key_config_selectorIxxEEZZNS1_16scan_by_key_implILNS1_25lookback_scan_determinismE0ELb0ES3_N6thrust23THRUST_200600_302600_NS6detail15normal_iteratorINS9_10device_ptrIxEEEESE_SE_xNS9_4plusIxEE19head_flag_predicatexEE10hipError_tPvRmT2_T3_T4_T5_mT6_T7_P12ihipStream_tbENKUlT_T0_E_clISt17integral_constantIbLb1EESY_EEDaST_SU_EUlST_E_NS1_11comp_targetILNS1_3genE8ELNS1_11target_archE1030ELNS1_3gpuE2ELNS1_3repE0EEENS1_30default_config_static_selectorELNS0_4arch9wavefront6targetE1EEEvT1_ ; -- Begin function _ZN7rocprim17ROCPRIM_400000_NS6detail17trampoline_kernelINS0_14default_configENS1_27scan_by_key_config_selectorIxxEEZZNS1_16scan_by_key_implILNS1_25lookback_scan_determinismE0ELb0ES3_N6thrust23THRUST_200600_302600_NS6detail15normal_iteratorINS9_10device_ptrIxEEEESE_SE_xNS9_4plusIxEE19head_flag_predicatexEE10hipError_tPvRmT2_T3_T4_T5_mT6_T7_P12ihipStream_tbENKUlT_T0_E_clISt17integral_constantIbLb1EESY_EEDaST_SU_EUlST_E_NS1_11comp_targetILNS1_3genE8ELNS1_11target_archE1030ELNS1_3gpuE2ELNS1_3repE0EEENS1_30default_config_static_selectorELNS0_4arch9wavefront6targetE1EEEvT1_
	.globl	_ZN7rocprim17ROCPRIM_400000_NS6detail17trampoline_kernelINS0_14default_configENS1_27scan_by_key_config_selectorIxxEEZZNS1_16scan_by_key_implILNS1_25lookback_scan_determinismE0ELb0ES3_N6thrust23THRUST_200600_302600_NS6detail15normal_iteratorINS9_10device_ptrIxEEEESE_SE_xNS9_4plusIxEE19head_flag_predicatexEE10hipError_tPvRmT2_T3_T4_T5_mT6_T7_P12ihipStream_tbENKUlT_T0_E_clISt17integral_constantIbLb1EESY_EEDaST_SU_EUlST_E_NS1_11comp_targetILNS1_3genE8ELNS1_11target_archE1030ELNS1_3gpuE2ELNS1_3repE0EEENS1_30default_config_static_selectorELNS0_4arch9wavefront6targetE1EEEvT1_
	.p2align	8
	.type	_ZN7rocprim17ROCPRIM_400000_NS6detail17trampoline_kernelINS0_14default_configENS1_27scan_by_key_config_selectorIxxEEZZNS1_16scan_by_key_implILNS1_25lookback_scan_determinismE0ELb0ES3_N6thrust23THRUST_200600_302600_NS6detail15normal_iteratorINS9_10device_ptrIxEEEESE_SE_xNS9_4plusIxEE19head_flag_predicatexEE10hipError_tPvRmT2_T3_T4_T5_mT6_T7_P12ihipStream_tbENKUlT_T0_E_clISt17integral_constantIbLb1EESY_EEDaST_SU_EUlST_E_NS1_11comp_targetILNS1_3genE8ELNS1_11target_archE1030ELNS1_3gpuE2ELNS1_3repE0EEENS1_30default_config_static_selectorELNS0_4arch9wavefront6targetE1EEEvT1_,@function
_ZN7rocprim17ROCPRIM_400000_NS6detail17trampoline_kernelINS0_14default_configENS1_27scan_by_key_config_selectorIxxEEZZNS1_16scan_by_key_implILNS1_25lookback_scan_determinismE0ELb0ES3_N6thrust23THRUST_200600_302600_NS6detail15normal_iteratorINS9_10device_ptrIxEEEESE_SE_xNS9_4plusIxEE19head_flag_predicatexEE10hipError_tPvRmT2_T3_T4_T5_mT6_T7_P12ihipStream_tbENKUlT_T0_E_clISt17integral_constantIbLb1EESY_EEDaST_SU_EUlST_E_NS1_11comp_targetILNS1_3genE8ELNS1_11target_archE1030ELNS1_3gpuE2ELNS1_3repE0EEENS1_30default_config_static_selectorELNS0_4arch9wavefront6targetE1EEEvT1_: ; @_ZN7rocprim17ROCPRIM_400000_NS6detail17trampoline_kernelINS0_14default_configENS1_27scan_by_key_config_selectorIxxEEZZNS1_16scan_by_key_implILNS1_25lookback_scan_determinismE0ELb0ES3_N6thrust23THRUST_200600_302600_NS6detail15normal_iteratorINS9_10device_ptrIxEEEESE_SE_xNS9_4plusIxEE19head_flag_predicatexEE10hipError_tPvRmT2_T3_T4_T5_mT6_T7_P12ihipStream_tbENKUlT_T0_E_clISt17integral_constantIbLb1EESY_EEDaST_SU_EUlST_E_NS1_11comp_targetILNS1_3genE8ELNS1_11target_archE1030ELNS1_3gpuE2ELNS1_3repE0EEENS1_30default_config_static_selectorELNS0_4arch9wavefront6targetE1EEEvT1_
; %bb.0:
	.section	.rodata,"a",@progbits
	.p2align	6, 0x0
	.amdhsa_kernel _ZN7rocprim17ROCPRIM_400000_NS6detail17trampoline_kernelINS0_14default_configENS1_27scan_by_key_config_selectorIxxEEZZNS1_16scan_by_key_implILNS1_25lookback_scan_determinismE0ELb0ES3_N6thrust23THRUST_200600_302600_NS6detail15normal_iteratorINS9_10device_ptrIxEEEESE_SE_xNS9_4plusIxEE19head_flag_predicatexEE10hipError_tPvRmT2_T3_T4_T5_mT6_T7_P12ihipStream_tbENKUlT_T0_E_clISt17integral_constantIbLb1EESY_EEDaST_SU_EUlST_E_NS1_11comp_targetILNS1_3genE8ELNS1_11target_archE1030ELNS1_3gpuE2ELNS1_3repE0EEENS1_30default_config_static_selectorELNS0_4arch9wavefront6targetE1EEEvT1_
		.amdhsa_group_segment_fixed_size 0
		.amdhsa_private_segment_fixed_size 0
		.amdhsa_kernarg_size 136
		.amdhsa_user_sgpr_count 2
		.amdhsa_user_sgpr_dispatch_ptr 0
		.amdhsa_user_sgpr_queue_ptr 0
		.amdhsa_user_sgpr_kernarg_segment_ptr 1
		.amdhsa_user_sgpr_dispatch_id 0
		.amdhsa_user_sgpr_kernarg_preload_length 0
		.amdhsa_user_sgpr_kernarg_preload_offset 0
		.amdhsa_user_sgpr_private_segment_size 0
		.amdhsa_uses_dynamic_stack 0
		.amdhsa_enable_private_segment 0
		.amdhsa_system_sgpr_workgroup_id_x 1
		.amdhsa_system_sgpr_workgroup_id_y 0
		.amdhsa_system_sgpr_workgroup_id_z 0
		.amdhsa_system_sgpr_workgroup_info 0
		.amdhsa_system_vgpr_workitem_id 0
		.amdhsa_next_free_vgpr 1
		.amdhsa_next_free_sgpr 0
		.amdhsa_accum_offset 4
		.amdhsa_reserve_vcc 0
		.amdhsa_float_round_mode_32 0
		.amdhsa_float_round_mode_16_64 0
		.amdhsa_float_denorm_mode_32 3
		.amdhsa_float_denorm_mode_16_64 3
		.amdhsa_dx10_clamp 1
		.amdhsa_ieee_mode 1
		.amdhsa_fp16_overflow 0
		.amdhsa_tg_split 0
		.amdhsa_exception_fp_ieee_invalid_op 0
		.amdhsa_exception_fp_denorm_src 0
		.amdhsa_exception_fp_ieee_div_zero 0
		.amdhsa_exception_fp_ieee_overflow 0
		.amdhsa_exception_fp_ieee_underflow 0
		.amdhsa_exception_fp_ieee_inexact 0
		.amdhsa_exception_int_div_zero 0
	.end_amdhsa_kernel
	.section	.text._ZN7rocprim17ROCPRIM_400000_NS6detail17trampoline_kernelINS0_14default_configENS1_27scan_by_key_config_selectorIxxEEZZNS1_16scan_by_key_implILNS1_25lookback_scan_determinismE0ELb0ES3_N6thrust23THRUST_200600_302600_NS6detail15normal_iteratorINS9_10device_ptrIxEEEESE_SE_xNS9_4plusIxEE19head_flag_predicatexEE10hipError_tPvRmT2_T3_T4_T5_mT6_T7_P12ihipStream_tbENKUlT_T0_E_clISt17integral_constantIbLb1EESY_EEDaST_SU_EUlST_E_NS1_11comp_targetILNS1_3genE8ELNS1_11target_archE1030ELNS1_3gpuE2ELNS1_3repE0EEENS1_30default_config_static_selectorELNS0_4arch9wavefront6targetE1EEEvT1_,"axG",@progbits,_ZN7rocprim17ROCPRIM_400000_NS6detail17trampoline_kernelINS0_14default_configENS1_27scan_by_key_config_selectorIxxEEZZNS1_16scan_by_key_implILNS1_25lookback_scan_determinismE0ELb0ES3_N6thrust23THRUST_200600_302600_NS6detail15normal_iteratorINS9_10device_ptrIxEEEESE_SE_xNS9_4plusIxEE19head_flag_predicatexEE10hipError_tPvRmT2_T3_T4_T5_mT6_T7_P12ihipStream_tbENKUlT_T0_E_clISt17integral_constantIbLb1EESY_EEDaST_SU_EUlST_E_NS1_11comp_targetILNS1_3genE8ELNS1_11target_archE1030ELNS1_3gpuE2ELNS1_3repE0EEENS1_30default_config_static_selectorELNS0_4arch9wavefront6targetE1EEEvT1_,comdat
.Lfunc_end694:
	.size	_ZN7rocprim17ROCPRIM_400000_NS6detail17trampoline_kernelINS0_14default_configENS1_27scan_by_key_config_selectorIxxEEZZNS1_16scan_by_key_implILNS1_25lookback_scan_determinismE0ELb0ES3_N6thrust23THRUST_200600_302600_NS6detail15normal_iteratorINS9_10device_ptrIxEEEESE_SE_xNS9_4plusIxEE19head_flag_predicatexEE10hipError_tPvRmT2_T3_T4_T5_mT6_T7_P12ihipStream_tbENKUlT_T0_E_clISt17integral_constantIbLb1EESY_EEDaST_SU_EUlST_E_NS1_11comp_targetILNS1_3genE8ELNS1_11target_archE1030ELNS1_3gpuE2ELNS1_3repE0EEENS1_30default_config_static_selectorELNS0_4arch9wavefront6targetE1EEEvT1_, .Lfunc_end694-_ZN7rocprim17ROCPRIM_400000_NS6detail17trampoline_kernelINS0_14default_configENS1_27scan_by_key_config_selectorIxxEEZZNS1_16scan_by_key_implILNS1_25lookback_scan_determinismE0ELb0ES3_N6thrust23THRUST_200600_302600_NS6detail15normal_iteratorINS9_10device_ptrIxEEEESE_SE_xNS9_4plusIxEE19head_flag_predicatexEE10hipError_tPvRmT2_T3_T4_T5_mT6_T7_P12ihipStream_tbENKUlT_T0_E_clISt17integral_constantIbLb1EESY_EEDaST_SU_EUlST_E_NS1_11comp_targetILNS1_3genE8ELNS1_11target_archE1030ELNS1_3gpuE2ELNS1_3repE0EEENS1_30default_config_static_selectorELNS0_4arch9wavefront6targetE1EEEvT1_
                                        ; -- End function
	.section	.AMDGPU.csdata,"",@progbits
; Kernel info:
; codeLenInByte = 0
; NumSgprs: 6
; NumVgprs: 0
; NumAgprs: 0
; TotalNumVgprs: 0
; ScratchSize: 0
; MemoryBound: 0
; FloatMode: 240
; IeeeMode: 1
; LDSByteSize: 0 bytes/workgroup (compile time only)
; SGPRBlocks: 0
; VGPRBlocks: 0
; NumSGPRsForWavesPerEU: 6
; NumVGPRsForWavesPerEU: 1
; AccumOffset: 4
; Occupancy: 8
; WaveLimiterHint : 0
; COMPUTE_PGM_RSRC2:SCRATCH_EN: 0
; COMPUTE_PGM_RSRC2:USER_SGPR: 2
; COMPUTE_PGM_RSRC2:TRAP_HANDLER: 0
; COMPUTE_PGM_RSRC2:TGID_X_EN: 1
; COMPUTE_PGM_RSRC2:TGID_Y_EN: 0
; COMPUTE_PGM_RSRC2:TGID_Z_EN: 0
; COMPUTE_PGM_RSRC2:TIDIG_COMP_CNT: 0
; COMPUTE_PGM_RSRC3_GFX90A:ACCUM_OFFSET: 0
; COMPUTE_PGM_RSRC3_GFX90A:TG_SPLIT: 0
	.section	.text._ZN7rocprim17ROCPRIM_400000_NS6detail17trampoline_kernelINS0_14default_configENS1_27scan_by_key_config_selectorIxxEEZZNS1_16scan_by_key_implILNS1_25lookback_scan_determinismE0ELb0ES3_N6thrust23THRUST_200600_302600_NS6detail15normal_iteratorINS9_10device_ptrIxEEEESE_SE_xNS9_4plusIxEE19head_flag_predicatexEE10hipError_tPvRmT2_T3_T4_T5_mT6_T7_P12ihipStream_tbENKUlT_T0_E_clISt17integral_constantIbLb1EESX_IbLb0EEEEDaST_SU_EUlST_E_NS1_11comp_targetILNS1_3genE0ELNS1_11target_archE4294967295ELNS1_3gpuE0ELNS1_3repE0EEENS1_30default_config_static_selectorELNS0_4arch9wavefront6targetE1EEEvT1_,"axG",@progbits,_ZN7rocprim17ROCPRIM_400000_NS6detail17trampoline_kernelINS0_14default_configENS1_27scan_by_key_config_selectorIxxEEZZNS1_16scan_by_key_implILNS1_25lookback_scan_determinismE0ELb0ES3_N6thrust23THRUST_200600_302600_NS6detail15normal_iteratorINS9_10device_ptrIxEEEESE_SE_xNS9_4plusIxEE19head_flag_predicatexEE10hipError_tPvRmT2_T3_T4_T5_mT6_T7_P12ihipStream_tbENKUlT_T0_E_clISt17integral_constantIbLb1EESX_IbLb0EEEEDaST_SU_EUlST_E_NS1_11comp_targetILNS1_3genE0ELNS1_11target_archE4294967295ELNS1_3gpuE0ELNS1_3repE0EEENS1_30default_config_static_selectorELNS0_4arch9wavefront6targetE1EEEvT1_,comdat
	.protected	_ZN7rocprim17ROCPRIM_400000_NS6detail17trampoline_kernelINS0_14default_configENS1_27scan_by_key_config_selectorIxxEEZZNS1_16scan_by_key_implILNS1_25lookback_scan_determinismE0ELb0ES3_N6thrust23THRUST_200600_302600_NS6detail15normal_iteratorINS9_10device_ptrIxEEEESE_SE_xNS9_4plusIxEE19head_flag_predicatexEE10hipError_tPvRmT2_T3_T4_T5_mT6_T7_P12ihipStream_tbENKUlT_T0_E_clISt17integral_constantIbLb1EESX_IbLb0EEEEDaST_SU_EUlST_E_NS1_11comp_targetILNS1_3genE0ELNS1_11target_archE4294967295ELNS1_3gpuE0ELNS1_3repE0EEENS1_30default_config_static_selectorELNS0_4arch9wavefront6targetE1EEEvT1_ ; -- Begin function _ZN7rocprim17ROCPRIM_400000_NS6detail17trampoline_kernelINS0_14default_configENS1_27scan_by_key_config_selectorIxxEEZZNS1_16scan_by_key_implILNS1_25lookback_scan_determinismE0ELb0ES3_N6thrust23THRUST_200600_302600_NS6detail15normal_iteratorINS9_10device_ptrIxEEEESE_SE_xNS9_4plusIxEE19head_flag_predicatexEE10hipError_tPvRmT2_T3_T4_T5_mT6_T7_P12ihipStream_tbENKUlT_T0_E_clISt17integral_constantIbLb1EESX_IbLb0EEEEDaST_SU_EUlST_E_NS1_11comp_targetILNS1_3genE0ELNS1_11target_archE4294967295ELNS1_3gpuE0ELNS1_3repE0EEENS1_30default_config_static_selectorELNS0_4arch9wavefront6targetE1EEEvT1_
	.globl	_ZN7rocprim17ROCPRIM_400000_NS6detail17trampoline_kernelINS0_14default_configENS1_27scan_by_key_config_selectorIxxEEZZNS1_16scan_by_key_implILNS1_25lookback_scan_determinismE0ELb0ES3_N6thrust23THRUST_200600_302600_NS6detail15normal_iteratorINS9_10device_ptrIxEEEESE_SE_xNS9_4plusIxEE19head_flag_predicatexEE10hipError_tPvRmT2_T3_T4_T5_mT6_T7_P12ihipStream_tbENKUlT_T0_E_clISt17integral_constantIbLb1EESX_IbLb0EEEEDaST_SU_EUlST_E_NS1_11comp_targetILNS1_3genE0ELNS1_11target_archE4294967295ELNS1_3gpuE0ELNS1_3repE0EEENS1_30default_config_static_selectorELNS0_4arch9wavefront6targetE1EEEvT1_
	.p2align	8
	.type	_ZN7rocprim17ROCPRIM_400000_NS6detail17trampoline_kernelINS0_14default_configENS1_27scan_by_key_config_selectorIxxEEZZNS1_16scan_by_key_implILNS1_25lookback_scan_determinismE0ELb0ES3_N6thrust23THRUST_200600_302600_NS6detail15normal_iteratorINS9_10device_ptrIxEEEESE_SE_xNS9_4plusIxEE19head_flag_predicatexEE10hipError_tPvRmT2_T3_T4_T5_mT6_T7_P12ihipStream_tbENKUlT_T0_E_clISt17integral_constantIbLb1EESX_IbLb0EEEEDaST_SU_EUlST_E_NS1_11comp_targetILNS1_3genE0ELNS1_11target_archE4294967295ELNS1_3gpuE0ELNS1_3repE0EEENS1_30default_config_static_selectorELNS0_4arch9wavefront6targetE1EEEvT1_,@function
_ZN7rocprim17ROCPRIM_400000_NS6detail17trampoline_kernelINS0_14default_configENS1_27scan_by_key_config_selectorIxxEEZZNS1_16scan_by_key_implILNS1_25lookback_scan_determinismE0ELb0ES3_N6thrust23THRUST_200600_302600_NS6detail15normal_iteratorINS9_10device_ptrIxEEEESE_SE_xNS9_4plusIxEE19head_flag_predicatexEE10hipError_tPvRmT2_T3_T4_T5_mT6_T7_P12ihipStream_tbENKUlT_T0_E_clISt17integral_constantIbLb1EESX_IbLb0EEEEDaST_SU_EUlST_E_NS1_11comp_targetILNS1_3genE0ELNS1_11target_archE4294967295ELNS1_3gpuE0ELNS1_3repE0EEENS1_30default_config_static_selectorELNS0_4arch9wavefront6targetE1EEEvT1_: ; @_ZN7rocprim17ROCPRIM_400000_NS6detail17trampoline_kernelINS0_14default_configENS1_27scan_by_key_config_selectorIxxEEZZNS1_16scan_by_key_implILNS1_25lookback_scan_determinismE0ELb0ES3_N6thrust23THRUST_200600_302600_NS6detail15normal_iteratorINS9_10device_ptrIxEEEESE_SE_xNS9_4plusIxEE19head_flag_predicatexEE10hipError_tPvRmT2_T3_T4_T5_mT6_T7_P12ihipStream_tbENKUlT_T0_E_clISt17integral_constantIbLb1EESX_IbLb0EEEEDaST_SU_EUlST_E_NS1_11comp_targetILNS1_3genE0ELNS1_11target_archE4294967295ELNS1_3gpuE0ELNS1_3repE0EEENS1_30default_config_static_selectorELNS0_4arch9wavefront6targetE1EEEvT1_
; %bb.0:
	.section	.rodata,"a",@progbits
	.p2align	6, 0x0
	.amdhsa_kernel _ZN7rocprim17ROCPRIM_400000_NS6detail17trampoline_kernelINS0_14default_configENS1_27scan_by_key_config_selectorIxxEEZZNS1_16scan_by_key_implILNS1_25lookback_scan_determinismE0ELb0ES3_N6thrust23THRUST_200600_302600_NS6detail15normal_iteratorINS9_10device_ptrIxEEEESE_SE_xNS9_4plusIxEE19head_flag_predicatexEE10hipError_tPvRmT2_T3_T4_T5_mT6_T7_P12ihipStream_tbENKUlT_T0_E_clISt17integral_constantIbLb1EESX_IbLb0EEEEDaST_SU_EUlST_E_NS1_11comp_targetILNS1_3genE0ELNS1_11target_archE4294967295ELNS1_3gpuE0ELNS1_3repE0EEENS1_30default_config_static_selectorELNS0_4arch9wavefront6targetE1EEEvT1_
		.amdhsa_group_segment_fixed_size 0
		.amdhsa_private_segment_fixed_size 0
		.amdhsa_kernarg_size 136
		.amdhsa_user_sgpr_count 2
		.amdhsa_user_sgpr_dispatch_ptr 0
		.amdhsa_user_sgpr_queue_ptr 0
		.amdhsa_user_sgpr_kernarg_segment_ptr 1
		.amdhsa_user_sgpr_dispatch_id 0
		.amdhsa_user_sgpr_kernarg_preload_length 0
		.amdhsa_user_sgpr_kernarg_preload_offset 0
		.amdhsa_user_sgpr_private_segment_size 0
		.amdhsa_uses_dynamic_stack 0
		.amdhsa_enable_private_segment 0
		.amdhsa_system_sgpr_workgroup_id_x 1
		.amdhsa_system_sgpr_workgroup_id_y 0
		.amdhsa_system_sgpr_workgroup_id_z 0
		.amdhsa_system_sgpr_workgroup_info 0
		.amdhsa_system_vgpr_workitem_id 0
		.amdhsa_next_free_vgpr 1
		.amdhsa_next_free_sgpr 0
		.amdhsa_accum_offset 4
		.amdhsa_reserve_vcc 0
		.amdhsa_float_round_mode_32 0
		.amdhsa_float_round_mode_16_64 0
		.amdhsa_float_denorm_mode_32 3
		.amdhsa_float_denorm_mode_16_64 3
		.amdhsa_dx10_clamp 1
		.amdhsa_ieee_mode 1
		.amdhsa_fp16_overflow 0
		.amdhsa_tg_split 0
		.amdhsa_exception_fp_ieee_invalid_op 0
		.amdhsa_exception_fp_denorm_src 0
		.amdhsa_exception_fp_ieee_div_zero 0
		.amdhsa_exception_fp_ieee_overflow 0
		.amdhsa_exception_fp_ieee_underflow 0
		.amdhsa_exception_fp_ieee_inexact 0
		.amdhsa_exception_int_div_zero 0
	.end_amdhsa_kernel
	.section	.text._ZN7rocprim17ROCPRIM_400000_NS6detail17trampoline_kernelINS0_14default_configENS1_27scan_by_key_config_selectorIxxEEZZNS1_16scan_by_key_implILNS1_25lookback_scan_determinismE0ELb0ES3_N6thrust23THRUST_200600_302600_NS6detail15normal_iteratorINS9_10device_ptrIxEEEESE_SE_xNS9_4plusIxEE19head_flag_predicatexEE10hipError_tPvRmT2_T3_T4_T5_mT6_T7_P12ihipStream_tbENKUlT_T0_E_clISt17integral_constantIbLb1EESX_IbLb0EEEEDaST_SU_EUlST_E_NS1_11comp_targetILNS1_3genE0ELNS1_11target_archE4294967295ELNS1_3gpuE0ELNS1_3repE0EEENS1_30default_config_static_selectorELNS0_4arch9wavefront6targetE1EEEvT1_,"axG",@progbits,_ZN7rocprim17ROCPRIM_400000_NS6detail17trampoline_kernelINS0_14default_configENS1_27scan_by_key_config_selectorIxxEEZZNS1_16scan_by_key_implILNS1_25lookback_scan_determinismE0ELb0ES3_N6thrust23THRUST_200600_302600_NS6detail15normal_iteratorINS9_10device_ptrIxEEEESE_SE_xNS9_4plusIxEE19head_flag_predicatexEE10hipError_tPvRmT2_T3_T4_T5_mT6_T7_P12ihipStream_tbENKUlT_T0_E_clISt17integral_constantIbLb1EESX_IbLb0EEEEDaST_SU_EUlST_E_NS1_11comp_targetILNS1_3genE0ELNS1_11target_archE4294967295ELNS1_3gpuE0ELNS1_3repE0EEENS1_30default_config_static_selectorELNS0_4arch9wavefront6targetE1EEEvT1_,comdat
.Lfunc_end695:
	.size	_ZN7rocprim17ROCPRIM_400000_NS6detail17trampoline_kernelINS0_14default_configENS1_27scan_by_key_config_selectorIxxEEZZNS1_16scan_by_key_implILNS1_25lookback_scan_determinismE0ELb0ES3_N6thrust23THRUST_200600_302600_NS6detail15normal_iteratorINS9_10device_ptrIxEEEESE_SE_xNS9_4plusIxEE19head_flag_predicatexEE10hipError_tPvRmT2_T3_T4_T5_mT6_T7_P12ihipStream_tbENKUlT_T0_E_clISt17integral_constantIbLb1EESX_IbLb0EEEEDaST_SU_EUlST_E_NS1_11comp_targetILNS1_3genE0ELNS1_11target_archE4294967295ELNS1_3gpuE0ELNS1_3repE0EEENS1_30default_config_static_selectorELNS0_4arch9wavefront6targetE1EEEvT1_, .Lfunc_end695-_ZN7rocprim17ROCPRIM_400000_NS6detail17trampoline_kernelINS0_14default_configENS1_27scan_by_key_config_selectorIxxEEZZNS1_16scan_by_key_implILNS1_25lookback_scan_determinismE0ELb0ES3_N6thrust23THRUST_200600_302600_NS6detail15normal_iteratorINS9_10device_ptrIxEEEESE_SE_xNS9_4plusIxEE19head_flag_predicatexEE10hipError_tPvRmT2_T3_T4_T5_mT6_T7_P12ihipStream_tbENKUlT_T0_E_clISt17integral_constantIbLb1EESX_IbLb0EEEEDaST_SU_EUlST_E_NS1_11comp_targetILNS1_3genE0ELNS1_11target_archE4294967295ELNS1_3gpuE0ELNS1_3repE0EEENS1_30default_config_static_selectorELNS0_4arch9wavefront6targetE1EEEvT1_
                                        ; -- End function
	.section	.AMDGPU.csdata,"",@progbits
; Kernel info:
; codeLenInByte = 0
; NumSgprs: 6
; NumVgprs: 0
; NumAgprs: 0
; TotalNumVgprs: 0
; ScratchSize: 0
; MemoryBound: 0
; FloatMode: 240
; IeeeMode: 1
; LDSByteSize: 0 bytes/workgroup (compile time only)
; SGPRBlocks: 0
; VGPRBlocks: 0
; NumSGPRsForWavesPerEU: 6
; NumVGPRsForWavesPerEU: 1
; AccumOffset: 4
; Occupancy: 8
; WaveLimiterHint : 0
; COMPUTE_PGM_RSRC2:SCRATCH_EN: 0
; COMPUTE_PGM_RSRC2:USER_SGPR: 2
; COMPUTE_PGM_RSRC2:TRAP_HANDLER: 0
; COMPUTE_PGM_RSRC2:TGID_X_EN: 1
; COMPUTE_PGM_RSRC2:TGID_Y_EN: 0
; COMPUTE_PGM_RSRC2:TGID_Z_EN: 0
; COMPUTE_PGM_RSRC2:TIDIG_COMP_CNT: 0
; COMPUTE_PGM_RSRC3_GFX90A:ACCUM_OFFSET: 0
; COMPUTE_PGM_RSRC3_GFX90A:TG_SPLIT: 0
	.section	.text._ZN7rocprim17ROCPRIM_400000_NS6detail17trampoline_kernelINS0_14default_configENS1_27scan_by_key_config_selectorIxxEEZZNS1_16scan_by_key_implILNS1_25lookback_scan_determinismE0ELb0ES3_N6thrust23THRUST_200600_302600_NS6detail15normal_iteratorINS9_10device_ptrIxEEEESE_SE_xNS9_4plusIxEE19head_flag_predicatexEE10hipError_tPvRmT2_T3_T4_T5_mT6_T7_P12ihipStream_tbENKUlT_T0_E_clISt17integral_constantIbLb1EESX_IbLb0EEEEDaST_SU_EUlST_E_NS1_11comp_targetILNS1_3genE10ELNS1_11target_archE1201ELNS1_3gpuE5ELNS1_3repE0EEENS1_30default_config_static_selectorELNS0_4arch9wavefront6targetE1EEEvT1_,"axG",@progbits,_ZN7rocprim17ROCPRIM_400000_NS6detail17trampoline_kernelINS0_14default_configENS1_27scan_by_key_config_selectorIxxEEZZNS1_16scan_by_key_implILNS1_25lookback_scan_determinismE0ELb0ES3_N6thrust23THRUST_200600_302600_NS6detail15normal_iteratorINS9_10device_ptrIxEEEESE_SE_xNS9_4plusIxEE19head_flag_predicatexEE10hipError_tPvRmT2_T3_T4_T5_mT6_T7_P12ihipStream_tbENKUlT_T0_E_clISt17integral_constantIbLb1EESX_IbLb0EEEEDaST_SU_EUlST_E_NS1_11comp_targetILNS1_3genE10ELNS1_11target_archE1201ELNS1_3gpuE5ELNS1_3repE0EEENS1_30default_config_static_selectorELNS0_4arch9wavefront6targetE1EEEvT1_,comdat
	.protected	_ZN7rocprim17ROCPRIM_400000_NS6detail17trampoline_kernelINS0_14default_configENS1_27scan_by_key_config_selectorIxxEEZZNS1_16scan_by_key_implILNS1_25lookback_scan_determinismE0ELb0ES3_N6thrust23THRUST_200600_302600_NS6detail15normal_iteratorINS9_10device_ptrIxEEEESE_SE_xNS9_4plusIxEE19head_flag_predicatexEE10hipError_tPvRmT2_T3_T4_T5_mT6_T7_P12ihipStream_tbENKUlT_T0_E_clISt17integral_constantIbLb1EESX_IbLb0EEEEDaST_SU_EUlST_E_NS1_11comp_targetILNS1_3genE10ELNS1_11target_archE1201ELNS1_3gpuE5ELNS1_3repE0EEENS1_30default_config_static_selectorELNS0_4arch9wavefront6targetE1EEEvT1_ ; -- Begin function _ZN7rocprim17ROCPRIM_400000_NS6detail17trampoline_kernelINS0_14default_configENS1_27scan_by_key_config_selectorIxxEEZZNS1_16scan_by_key_implILNS1_25lookback_scan_determinismE0ELb0ES3_N6thrust23THRUST_200600_302600_NS6detail15normal_iteratorINS9_10device_ptrIxEEEESE_SE_xNS9_4plusIxEE19head_flag_predicatexEE10hipError_tPvRmT2_T3_T4_T5_mT6_T7_P12ihipStream_tbENKUlT_T0_E_clISt17integral_constantIbLb1EESX_IbLb0EEEEDaST_SU_EUlST_E_NS1_11comp_targetILNS1_3genE10ELNS1_11target_archE1201ELNS1_3gpuE5ELNS1_3repE0EEENS1_30default_config_static_selectorELNS0_4arch9wavefront6targetE1EEEvT1_
	.globl	_ZN7rocprim17ROCPRIM_400000_NS6detail17trampoline_kernelINS0_14default_configENS1_27scan_by_key_config_selectorIxxEEZZNS1_16scan_by_key_implILNS1_25lookback_scan_determinismE0ELb0ES3_N6thrust23THRUST_200600_302600_NS6detail15normal_iteratorINS9_10device_ptrIxEEEESE_SE_xNS9_4plusIxEE19head_flag_predicatexEE10hipError_tPvRmT2_T3_T4_T5_mT6_T7_P12ihipStream_tbENKUlT_T0_E_clISt17integral_constantIbLb1EESX_IbLb0EEEEDaST_SU_EUlST_E_NS1_11comp_targetILNS1_3genE10ELNS1_11target_archE1201ELNS1_3gpuE5ELNS1_3repE0EEENS1_30default_config_static_selectorELNS0_4arch9wavefront6targetE1EEEvT1_
	.p2align	8
	.type	_ZN7rocprim17ROCPRIM_400000_NS6detail17trampoline_kernelINS0_14default_configENS1_27scan_by_key_config_selectorIxxEEZZNS1_16scan_by_key_implILNS1_25lookback_scan_determinismE0ELb0ES3_N6thrust23THRUST_200600_302600_NS6detail15normal_iteratorINS9_10device_ptrIxEEEESE_SE_xNS9_4plusIxEE19head_flag_predicatexEE10hipError_tPvRmT2_T3_T4_T5_mT6_T7_P12ihipStream_tbENKUlT_T0_E_clISt17integral_constantIbLb1EESX_IbLb0EEEEDaST_SU_EUlST_E_NS1_11comp_targetILNS1_3genE10ELNS1_11target_archE1201ELNS1_3gpuE5ELNS1_3repE0EEENS1_30default_config_static_selectorELNS0_4arch9wavefront6targetE1EEEvT1_,@function
_ZN7rocprim17ROCPRIM_400000_NS6detail17trampoline_kernelINS0_14default_configENS1_27scan_by_key_config_selectorIxxEEZZNS1_16scan_by_key_implILNS1_25lookback_scan_determinismE0ELb0ES3_N6thrust23THRUST_200600_302600_NS6detail15normal_iteratorINS9_10device_ptrIxEEEESE_SE_xNS9_4plusIxEE19head_flag_predicatexEE10hipError_tPvRmT2_T3_T4_T5_mT6_T7_P12ihipStream_tbENKUlT_T0_E_clISt17integral_constantIbLb1EESX_IbLb0EEEEDaST_SU_EUlST_E_NS1_11comp_targetILNS1_3genE10ELNS1_11target_archE1201ELNS1_3gpuE5ELNS1_3repE0EEENS1_30default_config_static_selectorELNS0_4arch9wavefront6targetE1EEEvT1_: ; @_ZN7rocprim17ROCPRIM_400000_NS6detail17trampoline_kernelINS0_14default_configENS1_27scan_by_key_config_selectorIxxEEZZNS1_16scan_by_key_implILNS1_25lookback_scan_determinismE0ELb0ES3_N6thrust23THRUST_200600_302600_NS6detail15normal_iteratorINS9_10device_ptrIxEEEESE_SE_xNS9_4plusIxEE19head_flag_predicatexEE10hipError_tPvRmT2_T3_T4_T5_mT6_T7_P12ihipStream_tbENKUlT_T0_E_clISt17integral_constantIbLb1EESX_IbLb0EEEEDaST_SU_EUlST_E_NS1_11comp_targetILNS1_3genE10ELNS1_11target_archE1201ELNS1_3gpuE5ELNS1_3repE0EEENS1_30default_config_static_selectorELNS0_4arch9wavefront6targetE1EEEvT1_
; %bb.0:
	.section	.rodata,"a",@progbits
	.p2align	6, 0x0
	.amdhsa_kernel _ZN7rocprim17ROCPRIM_400000_NS6detail17trampoline_kernelINS0_14default_configENS1_27scan_by_key_config_selectorIxxEEZZNS1_16scan_by_key_implILNS1_25lookback_scan_determinismE0ELb0ES3_N6thrust23THRUST_200600_302600_NS6detail15normal_iteratorINS9_10device_ptrIxEEEESE_SE_xNS9_4plusIxEE19head_flag_predicatexEE10hipError_tPvRmT2_T3_T4_T5_mT6_T7_P12ihipStream_tbENKUlT_T0_E_clISt17integral_constantIbLb1EESX_IbLb0EEEEDaST_SU_EUlST_E_NS1_11comp_targetILNS1_3genE10ELNS1_11target_archE1201ELNS1_3gpuE5ELNS1_3repE0EEENS1_30default_config_static_selectorELNS0_4arch9wavefront6targetE1EEEvT1_
		.amdhsa_group_segment_fixed_size 0
		.amdhsa_private_segment_fixed_size 0
		.amdhsa_kernarg_size 136
		.amdhsa_user_sgpr_count 2
		.amdhsa_user_sgpr_dispatch_ptr 0
		.amdhsa_user_sgpr_queue_ptr 0
		.amdhsa_user_sgpr_kernarg_segment_ptr 1
		.amdhsa_user_sgpr_dispatch_id 0
		.amdhsa_user_sgpr_kernarg_preload_length 0
		.amdhsa_user_sgpr_kernarg_preload_offset 0
		.amdhsa_user_sgpr_private_segment_size 0
		.amdhsa_uses_dynamic_stack 0
		.amdhsa_enable_private_segment 0
		.amdhsa_system_sgpr_workgroup_id_x 1
		.amdhsa_system_sgpr_workgroup_id_y 0
		.amdhsa_system_sgpr_workgroup_id_z 0
		.amdhsa_system_sgpr_workgroup_info 0
		.amdhsa_system_vgpr_workitem_id 0
		.amdhsa_next_free_vgpr 1
		.amdhsa_next_free_sgpr 0
		.amdhsa_accum_offset 4
		.amdhsa_reserve_vcc 0
		.amdhsa_float_round_mode_32 0
		.amdhsa_float_round_mode_16_64 0
		.amdhsa_float_denorm_mode_32 3
		.amdhsa_float_denorm_mode_16_64 3
		.amdhsa_dx10_clamp 1
		.amdhsa_ieee_mode 1
		.amdhsa_fp16_overflow 0
		.amdhsa_tg_split 0
		.amdhsa_exception_fp_ieee_invalid_op 0
		.amdhsa_exception_fp_denorm_src 0
		.amdhsa_exception_fp_ieee_div_zero 0
		.amdhsa_exception_fp_ieee_overflow 0
		.amdhsa_exception_fp_ieee_underflow 0
		.amdhsa_exception_fp_ieee_inexact 0
		.amdhsa_exception_int_div_zero 0
	.end_amdhsa_kernel
	.section	.text._ZN7rocprim17ROCPRIM_400000_NS6detail17trampoline_kernelINS0_14default_configENS1_27scan_by_key_config_selectorIxxEEZZNS1_16scan_by_key_implILNS1_25lookback_scan_determinismE0ELb0ES3_N6thrust23THRUST_200600_302600_NS6detail15normal_iteratorINS9_10device_ptrIxEEEESE_SE_xNS9_4plusIxEE19head_flag_predicatexEE10hipError_tPvRmT2_T3_T4_T5_mT6_T7_P12ihipStream_tbENKUlT_T0_E_clISt17integral_constantIbLb1EESX_IbLb0EEEEDaST_SU_EUlST_E_NS1_11comp_targetILNS1_3genE10ELNS1_11target_archE1201ELNS1_3gpuE5ELNS1_3repE0EEENS1_30default_config_static_selectorELNS0_4arch9wavefront6targetE1EEEvT1_,"axG",@progbits,_ZN7rocprim17ROCPRIM_400000_NS6detail17trampoline_kernelINS0_14default_configENS1_27scan_by_key_config_selectorIxxEEZZNS1_16scan_by_key_implILNS1_25lookback_scan_determinismE0ELb0ES3_N6thrust23THRUST_200600_302600_NS6detail15normal_iteratorINS9_10device_ptrIxEEEESE_SE_xNS9_4plusIxEE19head_flag_predicatexEE10hipError_tPvRmT2_T3_T4_T5_mT6_T7_P12ihipStream_tbENKUlT_T0_E_clISt17integral_constantIbLb1EESX_IbLb0EEEEDaST_SU_EUlST_E_NS1_11comp_targetILNS1_3genE10ELNS1_11target_archE1201ELNS1_3gpuE5ELNS1_3repE0EEENS1_30default_config_static_selectorELNS0_4arch9wavefront6targetE1EEEvT1_,comdat
.Lfunc_end696:
	.size	_ZN7rocprim17ROCPRIM_400000_NS6detail17trampoline_kernelINS0_14default_configENS1_27scan_by_key_config_selectorIxxEEZZNS1_16scan_by_key_implILNS1_25lookback_scan_determinismE0ELb0ES3_N6thrust23THRUST_200600_302600_NS6detail15normal_iteratorINS9_10device_ptrIxEEEESE_SE_xNS9_4plusIxEE19head_flag_predicatexEE10hipError_tPvRmT2_T3_T4_T5_mT6_T7_P12ihipStream_tbENKUlT_T0_E_clISt17integral_constantIbLb1EESX_IbLb0EEEEDaST_SU_EUlST_E_NS1_11comp_targetILNS1_3genE10ELNS1_11target_archE1201ELNS1_3gpuE5ELNS1_3repE0EEENS1_30default_config_static_selectorELNS0_4arch9wavefront6targetE1EEEvT1_, .Lfunc_end696-_ZN7rocprim17ROCPRIM_400000_NS6detail17trampoline_kernelINS0_14default_configENS1_27scan_by_key_config_selectorIxxEEZZNS1_16scan_by_key_implILNS1_25lookback_scan_determinismE0ELb0ES3_N6thrust23THRUST_200600_302600_NS6detail15normal_iteratorINS9_10device_ptrIxEEEESE_SE_xNS9_4plusIxEE19head_flag_predicatexEE10hipError_tPvRmT2_T3_T4_T5_mT6_T7_P12ihipStream_tbENKUlT_T0_E_clISt17integral_constantIbLb1EESX_IbLb0EEEEDaST_SU_EUlST_E_NS1_11comp_targetILNS1_3genE10ELNS1_11target_archE1201ELNS1_3gpuE5ELNS1_3repE0EEENS1_30default_config_static_selectorELNS0_4arch9wavefront6targetE1EEEvT1_
                                        ; -- End function
	.section	.AMDGPU.csdata,"",@progbits
; Kernel info:
; codeLenInByte = 0
; NumSgprs: 6
; NumVgprs: 0
; NumAgprs: 0
; TotalNumVgprs: 0
; ScratchSize: 0
; MemoryBound: 0
; FloatMode: 240
; IeeeMode: 1
; LDSByteSize: 0 bytes/workgroup (compile time only)
; SGPRBlocks: 0
; VGPRBlocks: 0
; NumSGPRsForWavesPerEU: 6
; NumVGPRsForWavesPerEU: 1
; AccumOffset: 4
; Occupancy: 8
; WaveLimiterHint : 0
; COMPUTE_PGM_RSRC2:SCRATCH_EN: 0
; COMPUTE_PGM_RSRC2:USER_SGPR: 2
; COMPUTE_PGM_RSRC2:TRAP_HANDLER: 0
; COMPUTE_PGM_RSRC2:TGID_X_EN: 1
; COMPUTE_PGM_RSRC2:TGID_Y_EN: 0
; COMPUTE_PGM_RSRC2:TGID_Z_EN: 0
; COMPUTE_PGM_RSRC2:TIDIG_COMP_CNT: 0
; COMPUTE_PGM_RSRC3_GFX90A:ACCUM_OFFSET: 0
; COMPUTE_PGM_RSRC3_GFX90A:TG_SPLIT: 0
	.section	.text._ZN7rocprim17ROCPRIM_400000_NS6detail17trampoline_kernelINS0_14default_configENS1_27scan_by_key_config_selectorIxxEEZZNS1_16scan_by_key_implILNS1_25lookback_scan_determinismE0ELb0ES3_N6thrust23THRUST_200600_302600_NS6detail15normal_iteratorINS9_10device_ptrIxEEEESE_SE_xNS9_4plusIxEE19head_flag_predicatexEE10hipError_tPvRmT2_T3_T4_T5_mT6_T7_P12ihipStream_tbENKUlT_T0_E_clISt17integral_constantIbLb1EESX_IbLb0EEEEDaST_SU_EUlST_E_NS1_11comp_targetILNS1_3genE5ELNS1_11target_archE942ELNS1_3gpuE9ELNS1_3repE0EEENS1_30default_config_static_selectorELNS0_4arch9wavefront6targetE1EEEvT1_,"axG",@progbits,_ZN7rocprim17ROCPRIM_400000_NS6detail17trampoline_kernelINS0_14default_configENS1_27scan_by_key_config_selectorIxxEEZZNS1_16scan_by_key_implILNS1_25lookback_scan_determinismE0ELb0ES3_N6thrust23THRUST_200600_302600_NS6detail15normal_iteratorINS9_10device_ptrIxEEEESE_SE_xNS9_4plusIxEE19head_flag_predicatexEE10hipError_tPvRmT2_T3_T4_T5_mT6_T7_P12ihipStream_tbENKUlT_T0_E_clISt17integral_constantIbLb1EESX_IbLb0EEEEDaST_SU_EUlST_E_NS1_11comp_targetILNS1_3genE5ELNS1_11target_archE942ELNS1_3gpuE9ELNS1_3repE0EEENS1_30default_config_static_selectorELNS0_4arch9wavefront6targetE1EEEvT1_,comdat
	.protected	_ZN7rocprim17ROCPRIM_400000_NS6detail17trampoline_kernelINS0_14default_configENS1_27scan_by_key_config_selectorIxxEEZZNS1_16scan_by_key_implILNS1_25lookback_scan_determinismE0ELb0ES3_N6thrust23THRUST_200600_302600_NS6detail15normal_iteratorINS9_10device_ptrIxEEEESE_SE_xNS9_4plusIxEE19head_flag_predicatexEE10hipError_tPvRmT2_T3_T4_T5_mT6_T7_P12ihipStream_tbENKUlT_T0_E_clISt17integral_constantIbLb1EESX_IbLb0EEEEDaST_SU_EUlST_E_NS1_11comp_targetILNS1_3genE5ELNS1_11target_archE942ELNS1_3gpuE9ELNS1_3repE0EEENS1_30default_config_static_selectorELNS0_4arch9wavefront6targetE1EEEvT1_ ; -- Begin function _ZN7rocprim17ROCPRIM_400000_NS6detail17trampoline_kernelINS0_14default_configENS1_27scan_by_key_config_selectorIxxEEZZNS1_16scan_by_key_implILNS1_25lookback_scan_determinismE0ELb0ES3_N6thrust23THRUST_200600_302600_NS6detail15normal_iteratorINS9_10device_ptrIxEEEESE_SE_xNS9_4plusIxEE19head_flag_predicatexEE10hipError_tPvRmT2_T3_T4_T5_mT6_T7_P12ihipStream_tbENKUlT_T0_E_clISt17integral_constantIbLb1EESX_IbLb0EEEEDaST_SU_EUlST_E_NS1_11comp_targetILNS1_3genE5ELNS1_11target_archE942ELNS1_3gpuE9ELNS1_3repE0EEENS1_30default_config_static_selectorELNS0_4arch9wavefront6targetE1EEEvT1_
	.globl	_ZN7rocprim17ROCPRIM_400000_NS6detail17trampoline_kernelINS0_14default_configENS1_27scan_by_key_config_selectorIxxEEZZNS1_16scan_by_key_implILNS1_25lookback_scan_determinismE0ELb0ES3_N6thrust23THRUST_200600_302600_NS6detail15normal_iteratorINS9_10device_ptrIxEEEESE_SE_xNS9_4plusIxEE19head_flag_predicatexEE10hipError_tPvRmT2_T3_T4_T5_mT6_T7_P12ihipStream_tbENKUlT_T0_E_clISt17integral_constantIbLb1EESX_IbLb0EEEEDaST_SU_EUlST_E_NS1_11comp_targetILNS1_3genE5ELNS1_11target_archE942ELNS1_3gpuE9ELNS1_3repE0EEENS1_30default_config_static_selectorELNS0_4arch9wavefront6targetE1EEEvT1_
	.p2align	8
	.type	_ZN7rocprim17ROCPRIM_400000_NS6detail17trampoline_kernelINS0_14default_configENS1_27scan_by_key_config_selectorIxxEEZZNS1_16scan_by_key_implILNS1_25lookback_scan_determinismE0ELb0ES3_N6thrust23THRUST_200600_302600_NS6detail15normal_iteratorINS9_10device_ptrIxEEEESE_SE_xNS9_4plusIxEE19head_flag_predicatexEE10hipError_tPvRmT2_T3_T4_T5_mT6_T7_P12ihipStream_tbENKUlT_T0_E_clISt17integral_constantIbLb1EESX_IbLb0EEEEDaST_SU_EUlST_E_NS1_11comp_targetILNS1_3genE5ELNS1_11target_archE942ELNS1_3gpuE9ELNS1_3repE0EEENS1_30default_config_static_selectorELNS0_4arch9wavefront6targetE1EEEvT1_,@function
_ZN7rocprim17ROCPRIM_400000_NS6detail17trampoline_kernelINS0_14default_configENS1_27scan_by_key_config_selectorIxxEEZZNS1_16scan_by_key_implILNS1_25lookback_scan_determinismE0ELb0ES3_N6thrust23THRUST_200600_302600_NS6detail15normal_iteratorINS9_10device_ptrIxEEEESE_SE_xNS9_4plusIxEE19head_flag_predicatexEE10hipError_tPvRmT2_T3_T4_T5_mT6_T7_P12ihipStream_tbENKUlT_T0_E_clISt17integral_constantIbLb1EESX_IbLb0EEEEDaST_SU_EUlST_E_NS1_11comp_targetILNS1_3genE5ELNS1_11target_archE942ELNS1_3gpuE9ELNS1_3repE0EEENS1_30default_config_static_selectorELNS0_4arch9wavefront6targetE1EEEvT1_: ; @_ZN7rocprim17ROCPRIM_400000_NS6detail17trampoline_kernelINS0_14default_configENS1_27scan_by_key_config_selectorIxxEEZZNS1_16scan_by_key_implILNS1_25lookback_scan_determinismE0ELb0ES3_N6thrust23THRUST_200600_302600_NS6detail15normal_iteratorINS9_10device_ptrIxEEEESE_SE_xNS9_4plusIxEE19head_flag_predicatexEE10hipError_tPvRmT2_T3_T4_T5_mT6_T7_P12ihipStream_tbENKUlT_T0_E_clISt17integral_constantIbLb1EESX_IbLb0EEEEDaST_SU_EUlST_E_NS1_11comp_targetILNS1_3genE5ELNS1_11target_archE942ELNS1_3gpuE9ELNS1_3repE0EEENS1_30default_config_static_selectorELNS0_4arch9wavefront6targetE1EEEvT1_
; %bb.0:
	s_load_dwordx8 s[44:51], s[0:1], 0x0
	s_load_dwordx8 s[36:43], s[0:1], 0x30
	s_load_dwordx2 s[56:57], s[0:1], 0x50
	s_load_dword s3, s[0:1], 0x58
	s_load_dwordx4 s[52:55], s[0:1], 0x60
	s_waitcnt lgkmcnt(0)
	s_lshl_b64 s[46:47], s[46:47], 3
	s_add_u32 s4, s44, s46
	s_addc_u32 s5, s45, s47
	s_add_u32 s6, s48, s46
	s_mul_i32 s0, s57, s3
	s_mul_hi_u32 s1, s56, s3
	s_addc_u32 s7, s49, s47
	s_add_i32 s8, s1, s0
	s_mul_i32 s0, s2, 0xe00
	s_mov_b32 s1, 0
	s_lshl_b64 s[44:45], s[0:1], 3
	s_add_u32 s34, s4, s44
	s_addc_u32 s35, s5, s45
	s_add_u32 s30, s6, s44
	s_mul_i32 s3, s56, s3
	s_addc_u32 s31, s7, s45
	s_add_u32 s0, s3, s2
	s_addc_u32 s1, s8, 0
	s_add_u32 s6, s52, -1
	s_addc_u32 s7, s53, -1
	v_mov_b64_e32 v[2:3], s[6:7]
	v_cmp_ge_u64_e64 s[0:1], s[0:1], v[2:3]
	s_mov_b64 s[4:5], -1
	s_and_b64 vcc, exec, s[0:1]
	s_mul_i32 s33, s6, 0xfffff200
	s_barrier
	s_cbranch_vccz .LBB697_72
; %bb.1:
	v_mov_b64_e32 v[2:3], s[34:35]
	flat_load_dwordx2 v[4:5], v[2:3]
	s_add_i32 s43, s33, s42
	v_cmp_gt_u32_e32 vcc, s43, v0
	s_waitcnt vmcnt(0) lgkmcnt(0)
	v_mov_b64_e32 v[6:7], v[4:5]
	s_and_saveexec_b64 s[4:5], vcc
	s_cbranch_execz .LBB697_3
; %bb.2:
	v_lshlrev_b32_e32 v2, 3, v0
	v_mov_b32_e32 v3, 0
	v_lshl_add_u64 v[2:3], s[34:35], 0, v[2:3]
	flat_load_dwordx2 v[6:7], v[2:3]
.LBB697_3:
	s_or_b64 exec, exec, s[4:5]
	v_or_b32_e32 v1, 0x100, v0
	v_cmp_gt_u32_e64 s[28:29], s43, v1
	v_mov_b64_e32 v[8:9], v[4:5]
	s_and_saveexec_b64 s[4:5], s[28:29]
	s_cbranch_execz .LBB697_5
; %bb.4:
	v_lshlrev_b32_e32 v2, 3, v0
	v_mov_b32_e32 v3, 0
	v_lshl_add_u64 v[2:3], s[34:35], 0, v[2:3]
	flat_load_dwordx2 v[8:9], v[2:3] offset:2048
.LBB697_5:
	s_or_b64 exec, exec, s[4:5]
	v_or_b32_e32 v1, 0x200, v0
	v_cmp_gt_u32_e64 s[4:5], s43, v1
	v_mov_b64_e32 v[10:11], v[4:5]
	s_and_saveexec_b64 s[6:7], s[4:5]
	s_cbranch_execz .LBB697_7
; %bb.6:
	v_lshlrev_b32_e32 v2, 3, v1
	v_mov_b32_e32 v3, 0
	v_lshl_add_u64 v[2:3], s[34:35], 0, v[2:3]
	flat_load_dwordx2 v[10:11], v[2:3]
.LBB697_7:
	s_or_b64 exec, exec, s[6:7]
	v_or_b32_e32 v32, 0x300, v0
	v_cmp_gt_u32_e64 s[6:7], s43, v32
	v_mov_b64_e32 v[12:13], v[4:5]
	s_and_saveexec_b64 s[8:9], s[6:7]
	s_cbranch_execz .LBB697_9
; %bb.8:
	v_lshlrev_b32_e32 v2, 3, v32
	v_mov_b32_e32 v3, 0
	v_lshl_add_u64 v[2:3], s[34:35], 0, v[2:3]
	flat_load_dwordx2 v[12:13], v[2:3]
.LBB697_9:
	s_or_b64 exec, exec, s[8:9]
	v_or_b32_e32 v33, 0x400, v0
	v_cmp_gt_u32_e64 s[8:9], s43, v33
	v_mov_b64_e32 v[14:15], v[4:5]
	s_and_saveexec_b64 s[10:11], s[8:9]
	s_cbranch_execz .LBB697_11
; %bb.10:
	v_lshlrev_b32_e32 v2, 3, v33
	v_mov_b32_e32 v3, 0
	v_lshl_add_u64 v[2:3], s[34:35], 0, v[2:3]
	flat_load_dwordx2 v[14:15], v[2:3]
.LBB697_11:
	s_or_b64 exec, exec, s[10:11]
	v_or_b32_e32 v34, 0x500, v0
	v_cmp_gt_u32_e64 s[10:11], s43, v34
	v_mov_b64_e32 v[16:17], v[4:5]
	s_and_saveexec_b64 s[12:13], s[10:11]
	s_cbranch_execz .LBB697_13
; %bb.12:
	v_lshlrev_b32_e32 v2, 3, v34
	v_mov_b32_e32 v3, 0
	v_lshl_add_u64 v[2:3], s[34:35], 0, v[2:3]
	flat_load_dwordx2 v[16:17], v[2:3]
.LBB697_13:
	s_or_b64 exec, exec, s[12:13]
	v_or_b32_e32 v35, 0x600, v0
	v_cmp_gt_u32_e64 s[12:13], s43, v35
	v_mov_b64_e32 v[18:19], v[4:5]
	s_and_saveexec_b64 s[14:15], s[12:13]
	s_cbranch_execz .LBB697_15
; %bb.14:
	v_lshlrev_b32_e32 v2, 3, v35
	v_mov_b32_e32 v3, 0
	v_lshl_add_u64 v[2:3], s[34:35], 0, v[2:3]
	flat_load_dwordx2 v[18:19], v[2:3]
.LBB697_15:
	s_or_b64 exec, exec, s[14:15]
	v_or_b32_e32 v36, 0x700, v0
	v_cmp_gt_u32_e64 s[14:15], s43, v36
	v_mov_b64_e32 v[20:21], v[4:5]
	s_and_saveexec_b64 s[16:17], s[14:15]
	s_cbranch_execz .LBB697_17
; %bb.16:
	v_lshlrev_b32_e32 v2, 3, v36
	v_mov_b32_e32 v3, 0
	v_lshl_add_u64 v[2:3], s[34:35], 0, v[2:3]
	flat_load_dwordx2 v[20:21], v[2:3]
.LBB697_17:
	s_or_b64 exec, exec, s[16:17]
	v_or_b32_e32 v37, 0x800, v0
	v_cmp_gt_u32_e64 s[16:17], s43, v37
	v_mov_b64_e32 v[22:23], v[4:5]
	s_and_saveexec_b64 s[18:19], s[16:17]
	s_cbranch_execz .LBB697_19
; %bb.18:
	v_lshlrev_b32_e32 v2, 3, v37
	v_mov_b32_e32 v3, 0
	v_lshl_add_u64 v[2:3], s[34:35], 0, v[2:3]
	flat_load_dwordx2 v[22:23], v[2:3]
.LBB697_19:
	s_or_b64 exec, exec, s[18:19]
	v_or_b32_e32 v43, 0x900, v0
	v_cmp_gt_u32_e64 s[18:19], s43, v43
	v_mov_b64_e32 v[24:25], v[4:5]
	s_and_saveexec_b64 s[20:21], s[18:19]
	s_cbranch_execz .LBB697_21
; %bb.20:
	v_lshlrev_b32_e32 v2, 3, v43
	v_mov_b32_e32 v3, 0
	v_lshl_add_u64 v[2:3], s[34:35], 0, v[2:3]
	flat_load_dwordx2 v[24:25], v[2:3]
.LBB697_21:
	s_or_b64 exec, exec, s[20:21]
	v_or_b32_e32 v44, 0xa00, v0
	v_cmp_gt_u32_e64 s[20:21], s43, v44
	v_mov_b64_e32 v[26:27], v[4:5]
	s_and_saveexec_b64 s[22:23], s[20:21]
	s_cbranch_execz .LBB697_23
; %bb.22:
	v_lshlrev_b32_e32 v2, 3, v44
	v_mov_b32_e32 v3, 0
	v_lshl_add_u64 v[2:3], s[34:35], 0, v[2:3]
	flat_load_dwordx2 v[26:27], v[2:3]
.LBB697_23:
	s_or_b64 exec, exec, s[22:23]
	v_or_b32_e32 v45, 0xb00, v0
	v_cmp_gt_u32_e64 s[22:23], s43, v45
	v_mov_b64_e32 v[28:29], v[4:5]
	s_and_saveexec_b64 s[24:25], s[22:23]
	s_cbranch_execz .LBB697_25
; %bb.24:
	v_lshlrev_b32_e32 v2, 3, v45
	v_mov_b32_e32 v3, 0
	v_lshl_add_u64 v[2:3], s[34:35], 0, v[2:3]
	flat_load_dwordx2 v[28:29], v[2:3]
.LBB697_25:
	s_or_b64 exec, exec, s[24:25]
	v_or_b32_e32 v70, 0xc00, v0
	v_cmp_gt_u32_e64 s[24:25], s43, v70
	v_mov_b64_e32 v[30:31], v[4:5]
	s_and_saveexec_b64 s[26:27], s[24:25]
	s_cbranch_execz .LBB697_27
; %bb.26:
	v_lshlrev_b32_e32 v2, 3, v70
	v_mov_b32_e32 v3, 0
	v_lshl_add_u64 v[2:3], s[34:35], 0, v[2:3]
	flat_load_dwordx2 v[30:31], v[2:3]
.LBB697_27:
	s_or_b64 exec, exec, s[26:27]
	v_or_b32_e32 v71, 0xd00, v0
	v_cmp_gt_u32_e64 s[26:27], s43, v71
	s_and_saveexec_b64 s[48:49], s[26:27]
	s_cbranch_execz .LBB697_29
; %bb.28:
	v_lshlrev_b32_e32 v2, 3, v71
	v_mov_b32_e32 v3, 0
	v_lshl_add_u64 v[2:3], s[34:35], 0, v[2:3]
	flat_load_dwordx2 v[4:5], v[2:3]
.LBB697_29:
	s_or_b64 exec, exec, s[48:49]
	v_lshlrev_b32_e32 v2, 3, v0
	s_movk_i32 s3, 0x68
	v_mad_u32_u24 v42, v0, s3, v2
	s_waitcnt vmcnt(0) lgkmcnt(0)
	ds_write2st64_b64 v2, v[6:7], v[8:9] offset1:4
	ds_write2st64_b64 v2, v[10:11], v[12:13] offset0:8 offset1:12
	ds_write2st64_b64 v2, v[14:15], v[16:17] offset0:16 offset1:20
	;; [unrolled: 1-line block ×6, first 2 shown]
	s_waitcnt lgkmcnt(0)
	s_barrier
	ds_read_b128 v[66:69], v42
	ds_read_b128 v[62:65], v42 offset:16
	ds_read_b128 v[58:61], v42 offset:32
	;; [unrolled: 1-line block ×6, first 2 shown]
	s_movk_i32 s3, 0xff98
	v_mad_i32_i24 v3, v0, s3, v42
	s_waitcnt lgkmcnt(2)
	ds_write_b64 v3, v[40:41] offset:28672
	s_waitcnt lgkmcnt(0)
	s_barrier
	s_barrier
	s_waitcnt lgkmcnt(0)
                                        ; implicit-def: $vgpr4_vgpr5
	s_and_saveexec_b64 s[48:49], vcc
	s_cbranch_execz .LBB697_147
; %bb.30:
	v_mov_b32_e32 v3, 0
	v_lshl_add_u64 v[4:5], s[30:31], 0, v[2:3]
	flat_load_dwordx2 v[4:5], v[4:5]
	s_or_b64 exec, exec, s[48:49]
                                        ; implicit-def: $vgpr6_vgpr7
	s_and_saveexec_b64 s[48:49], s[28:29]
	s_cbranch_execnz .LBB697_148
.LBB697_31:
	s_or_b64 exec, exec, s[48:49]
                                        ; implicit-def: $vgpr8_vgpr9
	s_and_saveexec_b64 s[28:29], s[4:5]
	s_cbranch_execz .LBB697_149
.LBB697_32:
	v_lshlrev_b32_e32 v8, 3, v1
	v_mov_b32_e32 v9, 0
	v_lshl_add_u64 v[8:9], s[30:31], 0, v[8:9]
	flat_load_dwordx2 v[8:9], v[8:9]
	s_or_b64 exec, exec, s[28:29]
                                        ; implicit-def: $vgpr10_vgpr11
	s_and_saveexec_b64 s[4:5], s[6:7]
	s_cbranch_execnz .LBB697_150
.LBB697_33:
	s_or_b64 exec, exec, s[4:5]
                                        ; implicit-def: $vgpr12_vgpr13
	s_and_saveexec_b64 s[4:5], s[8:9]
	s_cbranch_execz .LBB697_151
.LBB697_34:
	v_lshlrev_b32_e32 v12, 3, v33
	v_mov_b32_e32 v13, 0
	v_lshl_add_u64 v[12:13], s[30:31], 0, v[12:13]
	flat_load_dwordx2 v[12:13], v[12:13]
	s_or_b64 exec, exec, s[4:5]
                                        ; implicit-def: $vgpr14_vgpr15
	s_and_saveexec_b64 s[4:5], s[10:11]
	s_cbranch_execnz .LBB697_152
.LBB697_35:
	s_or_b64 exec, exec, s[4:5]
                                        ; implicit-def: $vgpr16_vgpr17
	s_and_saveexec_b64 s[4:5], s[12:13]
	s_cbranch_execz .LBB697_153
.LBB697_36:
	v_lshlrev_b32_e32 v16, 3, v35
	v_mov_b32_e32 v17, 0
	v_lshl_add_u64 v[16:17], s[30:31], 0, v[16:17]
	flat_load_dwordx2 v[16:17], v[16:17]
	s_or_b64 exec, exec, s[4:5]
                                        ; implicit-def: $vgpr18_vgpr19
	s_and_saveexec_b64 s[4:5], s[14:15]
	s_cbranch_execnz .LBB697_154
.LBB697_37:
	s_or_b64 exec, exec, s[4:5]
                                        ; implicit-def: $vgpr20_vgpr21
	s_and_saveexec_b64 s[4:5], s[16:17]
	s_cbranch_execz .LBB697_155
.LBB697_38:
	v_lshlrev_b32_e32 v20, 3, v37
	v_mov_b32_e32 v21, 0
	v_lshl_add_u64 v[20:21], s[30:31], 0, v[20:21]
	flat_load_dwordx2 v[20:21], v[20:21]
	s_or_b64 exec, exec, s[4:5]
                                        ; implicit-def: $vgpr22_vgpr23
	s_and_saveexec_b64 s[4:5], s[18:19]
	s_cbranch_execnz .LBB697_156
.LBB697_39:
	s_or_b64 exec, exec, s[4:5]
                                        ; implicit-def: $vgpr24_vgpr25
	s_and_saveexec_b64 s[4:5], s[20:21]
	s_cbranch_execz .LBB697_157
.LBB697_40:
	v_lshlrev_b32_e32 v24, 3, v44
	v_mov_b32_e32 v25, 0
	v_lshl_add_u64 v[24:25], s[30:31], 0, v[24:25]
	flat_load_dwordx2 v[24:25], v[24:25]
	s_or_b64 exec, exec, s[4:5]
                                        ; implicit-def: $vgpr26_vgpr27
	s_and_saveexec_b64 s[4:5], s[22:23]
	s_cbranch_execnz .LBB697_158
.LBB697_41:
	s_or_b64 exec, exec, s[4:5]
                                        ; implicit-def: $vgpr28_vgpr29
	s_and_saveexec_b64 s[4:5], s[24:25]
	s_cbranch_execz .LBB697_43
.LBB697_42:
	v_lshlrev_b32_e32 v28, 3, v70
	v_mov_b32_e32 v29, 0
	v_lshl_add_u64 v[28:29], s[30:31], 0, v[28:29]
	flat_load_dwordx2 v[28:29], v[28:29]
.LBB697_43:
	s_or_b64 exec, exec, s[4:5]
	v_mul_u32_u24_e32 v43, 14, v0
                                        ; implicit-def: $vgpr30_vgpr31
	s_and_saveexec_b64 s[4:5], s[26:27]
	s_cbranch_execz .LBB697_45
; %bb.44:
	v_lshlrev_b32_e32 v30, 3, v71
	v_mov_b32_e32 v31, 0
	v_lshl_add_u64 v[30:31], s[30:31], 0, v[30:31]
	flat_load_dwordx2 v[30:31], v[30:31]
.LBB697_45:
	s_or_b64 exec, exec, s[4:5]
	v_mov_b64_e32 v[70:71], 0
	s_waitcnt vmcnt(0) lgkmcnt(0)
	ds_write2st64_b64 v2, v[4:5], v[6:7] offset1:4
	ds_write2st64_b64 v2, v[8:9], v[10:11] offset0:8 offset1:12
	ds_write2st64_b64 v2, v[12:13], v[14:15] offset0:16 offset1:20
	;; [unrolled: 1-line block ×6, first 2 shown]
	v_cmp_gt_u32_e32 vcc, s43, v43
	s_mov_b64 s[8:9], 0
	s_mov_b64 s[4:5], 0
	s_mov_b32 s3, 0
	v_mov_b32_e32 v73, 0
	v_mov_b32_e32 v83, 0
	v_mov_b64_e32 v[34:35], v[70:71]
	v_mov_b32_e32 v82, 0
	v_mov_b64_e32 v[32:33], v[70:71]
	v_mov_b32_e32 v81, 0
	v_mov_b64_e32 v[28:29], v[70:71]
	v_mov_b32_e32 v80, 0
	v_mov_b64_e32 v[26:27], v[70:71]
	v_mov_b32_e32 v79, 0
	v_mov_b64_e32 v[22:23], v[70:71]
	v_mov_b32_e32 v78, 0
	v_mov_b64_e32 v[20:21], v[70:71]
	v_mov_b32_e32 v77, 0
	v_mov_b64_e32 v[16:17], v[70:71]
	v_mov_b32_e32 v76, 0
	v_mov_b64_e32 v[14:15], v[70:71]
	v_mov_b32_e32 v75, 0
	v_mov_b64_e32 v[10:11], v[70:71]
	v_mov_b32_e32 v74, 0
	v_mov_b64_e32 v[8:9], v[70:71]
	v_mov_b32_e32 v72, 0
	v_mov_b64_e32 v[4:5], v[70:71]
	v_mov_b32_e32 v1, 0
	v_mov_b64_e32 v[2:3], v[70:71]
	s_waitcnt lgkmcnt(0)
	s_barrier
	s_waitcnt lgkmcnt(0)
                                        ; implicit-def: $vgpr44_vgpr45
	s_and_saveexec_b64 s[6:7], vcc
	s_cbranch_execz .LBB697_71
; %bb.46:
	ds_read_b64 v[2:3], v42
	v_or_b32_e32 v4, 1, v43
	v_cmp_ne_u64_e32 vcc, 0, v[66:67]
	v_mov_b64_e32 v[70:71], 0
	s_mov_b64 s[10:11], 0
	v_cndmask_b32_e64 v1, 0, 1, vcc
	v_cmp_gt_u32_e32 vcc, s43, v4
	v_mov_b32_e32 v73, 0
	v_mov_b32_e32 v83, 0
	v_mov_b64_e32 v[34:35], v[70:71]
	v_mov_b32_e32 v82, 0
	v_mov_b64_e32 v[32:33], v[70:71]
	;; [unrolled: 2-line block ×11, first 2 shown]
                                        ; implicit-def: $vgpr44_vgpr45
	s_and_saveexec_b64 s[8:9], vcc
	s_cbranch_execz .LBB697_70
; %bb.47:
	ds_read2_b64 v[4:7], v42 offset0:1 offset1:2
	v_add_u32_e32 v8, 2, v43
	v_cmp_ne_u64_e32 vcc, 0, v[68:69]
	v_mov_b64_e32 v[70:71], 0
	s_mov_b64 s[12:13], 0
	v_cndmask_b32_e64 v72, 0, 1, vcc
	v_cmp_gt_u32_e32 vcc, s43, v8
	v_mov_b32_e32 v73, 0
	v_mov_b32_e32 v83, 0
	v_mov_b64_e32 v[34:35], v[70:71]
	v_mov_b32_e32 v82, 0
	v_mov_b64_e32 v[32:33], v[70:71]
	;; [unrolled: 2-line block ×10, first 2 shown]
                                        ; implicit-def: $vgpr44_vgpr45
	s_and_saveexec_b64 s[10:11], vcc
	s_cbranch_execz .LBB697_69
; %bb.48:
	s_waitcnt lgkmcnt(0)
	v_mov_b32_e32 v8, v6
	v_add_u32_e32 v6, 3, v43
	v_cmp_ne_u64_e32 vcc, 0, v[62:63]
	v_mov_b64_e32 v[70:71], 0
	v_mov_b32_e32 v9, v7
	s_mov_b64 s[14:15], 0
	v_cndmask_b32_e64 v74, 0, 1, vcc
	v_cmp_gt_u32_e32 vcc, s43, v6
	v_mov_b32_e32 v73, 0
	v_mov_b32_e32 v83, 0
	v_mov_b64_e32 v[34:35], v[70:71]
	v_mov_b32_e32 v82, 0
	v_mov_b64_e32 v[32:33], v[70:71]
	;; [unrolled: 2-line block ×9, first 2 shown]
                                        ; implicit-def: $vgpr44_vgpr45
	s_and_saveexec_b64 s[12:13], vcc
	s_cbranch_execz .LBB697_68
; %bb.49:
	ds_read2_b64 v[10:13], v42 offset0:3 offset1:4
	v_add_u32_e32 v6, 4, v43
	v_cmp_ne_u64_e32 vcc, 0, v[64:65]
	v_mov_b64_e32 v[70:71], 0
	s_mov_b64 s[16:17], 0
	v_cndmask_b32_e64 v75, 0, 1, vcc
	v_cmp_gt_u32_e32 vcc, s43, v6
	v_mov_b32_e32 v73, 0
	v_mov_b32_e32 v83, 0
	v_mov_b64_e32 v[34:35], v[70:71]
	v_mov_b32_e32 v82, 0
	v_mov_b64_e32 v[32:33], v[70:71]
	;; [unrolled: 2-line block ×8, first 2 shown]
                                        ; implicit-def: $vgpr44_vgpr45
	s_and_saveexec_b64 s[14:15], vcc
	s_cbranch_execz .LBB697_67
; %bb.50:
	v_add_u32_e32 v6, 5, v43
	v_cmp_ne_u64_e32 vcc, 0, v[58:59]
	v_mov_b64_e32 v[70:71], 0
	s_waitcnt lgkmcnt(0)
	v_mov_b32_e32 v14, v12
	v_mov_b32_e32 v15, v13
	s_mov_b64 s[18:19], 0
	v_cndmask_b32_e64 v76, 0, 1, vcc
	v_cmp_gt_u32_e32 vcc, s43, v6
	v_mov_b32_e32 v73, 0
	v_mov_b32_e32 v83, 0
	v_mov_b64_e32 v[34:35], v[70:71]
	v_mov_b32_e32 v82, 0
	v_mov_b64_e32 v[32:33], v[70:71]
	;; [unrolled: 2-line block ×7, first 2 shown]
                                        ; implicit-def: $vgpr44_vgpr45
	s_and_saveexec_b64 s[16:17], vcc
	s_cbranch_execz .LBB697_66
; %bb.51:
	ds_read2_b64 v[16:19], v42 offset0:5 offset1:6
	v_add_u32_e32 v6, 6, v43
	v_cmp_ne_u64_e32 vcc, 0, v[60:61]
	v_mov_b64_e32 v[70:71], 0
	s_mov_b64 s[20:21], 0
	v_cndmask_b32_e64 v77, 0, 1, vcc
	v_cmp_gt_u32_e32 vcc, s43, v6
	v_mov_b32_e32 v73, 0
	v_mov_b32_e32 v83, 0
	v_mov_b64_e32 v[34:35], v[70:71]
	v_mov_b32_e32 v82, 0
	v_mov_b64_e32 v[32:33], v[70:71]
	;; [unrolled: 2-line block ×6, first 2 shown]
                                        ; implicit-def: $vgpr44_vgpr45
	s_and_saveexec_b64 s[18:19], vcc
	s_cbranch_execz .LBB697_65
; %bb.52:
	v_add_u32_e32 v6, 7, v43
	v_cmp_ne_u64_e32 vcc, 0, v[54:55]
	v_mov_b64_e32 v[70:71], 0
	s_waitcnt lgkmcnt(0)
	v_mov_b32_e32 v20, v18
	v_mov_b32_e32 v21, v19
	s_mov_b64 s[22:23], 0
	v_cndmask_b32_e64 v78, 0, 1, vcc
	v_cmp_gt_u32_e32 vcc, s43, v6
	v_mov_b32_e32 v73, 0
	v_mov_b32_e32 v83, 0
	v_mov_b64_e32 v[34:35], v[70:71]
	v_mov_b32_e32 v82, 0
	v_mov_b64_e32 v[32:33], v[70:71]
	;; [unrolled: 2-line block ×5, first 2 shown]
                                        ; implicit-def: $vgpr44_vgpr45
	s_and_saveexec_b64 s[20:21], vcc
	s_cbranch_execz .LBB697_64
; %bb.53:
	ds_read2_b64 v[22:25], v42 offset0:7 offset1:8
	v_add_u32_e32 v6, 8, v43
	v_cmp_ne_u64_e32 vcc, 0, v[56:57]
	v_mov_b64_e32 v[70:71], 0
	s_mov_b64 s[24:25], 0
	v_cndmask_b32_e64 v79, 0, 1, vcc
	v_cmp_gt_u32_e32 vcc, s43, v6
	v_mov_b32_e32 v73, 0
	v_mov_b32_e32 v83, 0
	v_mov_b64_e32 v[34:35], v[70:71]
	v_mov_b32_e32 v82, 0
	v_mov_b64_e32 v[32:33], v[70:71]
	;; [unrolled: 2-line block ×4, first 2 shown]
                                        ; implicit-def: $vgpr44_vgpr45
	s_and_saveexec_b64 s[22:23], vcc
	s_cbranch_execz .LBB697_63
; %bb.54:
	v_add_u32_e32 v6, 9, v43
	v_cmp_ne_u64_e32 vcc, 0, v[50:51]
	v_mov_b64_e32 v[70:71], 0
	s_waitcnt lgkmcnt(0)
	v_mov_b32_e32 v26, v24
	v_mov_b32_e32 v27, v25
	s_mov_b64 s[26:27], 0
	v_cndmask_b32_e64 v80, 0, 1, vcc
	v_cmp_gt_u32_e32 vcc, s43, v6
	v_mov_b32_e32 v73, 0
	v_mov_b32_e32 v83, 0
	v_mov_b64_e32 v[34:35], v[70:71]
	v_mov_b32_e32 v82, 0
	v_mov_b64_e32 v[32:33], v[70:71]
	;; [unrolled: 2-line block ×3, first 2 shown]
                                        ; implicit-def: $vgpr44_vgpr45
	s_and_saveexec_b64 s[24:25], vcc
	s_cbranch_execz .LBB697_62
; %bb.55:
	ds_read2_b64 v[28:31], v42 offset0:9 offset1:10
	v_add_u32_e32 v6, 10, v43
	v_cmp_ne_u64_e32 vcc, 0, v[52:53]
	v_mov_b64_e32 v[70:71], 0
	s_mov_b64 s[28:29], 0
	v_cndmask_b32_e64 v81, 0, 1, vcc
	v_cmp_gt_u32_e32 vcc, s43, v6
	v_mov_b32_e32 v73, 0
	v_mov_b32_e32 v83, 0
	v_mov_b64_e32 v[34:35], v[70:71]
	v_mov_b32_e32 v82, 0
	v_mov_b64_e32 v[32:33], v[70:71]
                                        ; implicit-def: $vgpr44_vgpr45
	s_and_saveexec_b64 s[26:27], vcc
	s_cbranch_execz .LBB697_61
; %bb.56:
	v_add_u32_e32 v6, 11, v43
	v_cmp_ne_u64_e32 vcc, 0, v[46:47]
	v_mov_b64_e32 v[70:71], 0
	s_waitcnt lgkmcnt(0)
	v_mov_b32_e32 v32, v30
	v_mov_b32_e32 v33, v31
	s_mov_b64 s[48:49], 0
	v_cndmask_b32_e64 v82, 0, 1, vcc
	v_cmp_gt_u32_e32 vcc, s43, v6
	v_mov_b32_e32 v73, 0
	v_mov_b32_e32 v83, 0
	v_mov_b64_e32 v[34:35], v[70:71]
                                        ; implicit-def: $vgpr44_vgpr45
	s_and_saveexec_b64 s[28:29], vcc
	s_cbranch_execz .LBB697_60
; %bb.57:
	ds_read2_b64 v[34:37], v42 offset0:11 offset1:12
	v_add_u32_e32 v6, 12, v43
	v_cmp_ne_u64_e32 vcc, 0, v[48:49]
	v_mov_b32_e32 v73, 0
	v_mov_b64_e32 v[70:71], 0
	v_cndmask_b32_e64 v83, 0, 1, vcc
	v_cmp_gt_u32_e32 vcc, s43, v6
                                        ; implicit-def: $vgpr44_vgpr45
	s_and_saveexec_b64 s[52:53], vcc
	s_xor_b64 s[52:53], exec, s[52:53]
	s_cbranch_execz .LBB697_59
; %bb.58:
	ds_read_b64 v[44:45], v42 offset:104
	v_add_u32_e32 v6, 13, v43
	v_cmp_ne_u64_e32 vcc, 0, v[38:39]
	s_waitcnt lgkmcnt(1)
	v_mov_b64_e32 v[42:43], v[36:37]
	v_mov_b64_e32 v[70:71], v[36:37]
	v_cndmask_b32_e64 v73, 0, 1, vcc
	v_cmp_gt_u32_e32 vcc, s43, v6
	s_and_b64 s[48:49], vcc, exec
.LBB697_59:
	s_or_b64 exec, exec, s[52:53]
	s_and_b64 s[48:49], s[48:49], exec
.LBB697_60:
	s_or_b64 exec, exec, s[28:29]
	s_and_b64 s[28:29], s[48:49], exec
.LBB697_61:
	s_or_b64 exec, exec, s[26:27]
	s_and_b64 s[26:27], s[28:29], exec
.LBB697_62:
	s_or_b64 exec, exec, s[24:25]
	s_and_b64 s[24:25], s[26:27], exec
.LBB697_63:
	s_or_b64 exec, exec, s[22:23]
	s_and_b64 s[22:23], s[24:25], exec
.LBB697_64:
	s_or_b64 exec, exec, s[20:21]
	s_and_b64 s[20:21], s[22:23], exec
.LBB697_65:
	s_or_b64 exec, exec, s[18:19]
	s_and_b64 s[18:19], s[20:21], exec
.LBB697_66:
	s_or_b64 exec, exec, s[16:17]
	s_and_b64 s[16:17], s[18:19], exec
.LBB697_67:
	s_or_b64 exec, exec, s[14:15]
	s_and_b64 s[14:15], s[16:17], exec
.LBB697_68:
	s_or_b64 exec, exec, s[12:13]
	s_and_b64 s[12:13], s[14:15], exec
.LBB697_69:
	s_or_b64 exec, exec, s[10:11]
	s_and_b64 s[10:11], s[12:13], exec
.LBB697_70:
	s_or_b64 exec, exec, s[8:9]
	s_and_b64 s[8:9], s[10:11], exec
.LBB697_71:
	s_or_b64 exec, exec, s[6:7]
	s_mov_b64 s[6:7], 0
	s_and_b64 vcc, exec, s[4:5]
	s_waitcnt lgkmcnt(0)
	v_lshlrev_b32_e32 v30, 3, v0
	s_cbranch_vccnz .LBB697_73
	s_branch .LBB697_74
.LBB697_72:
	s_mov_b64 s[8:9], 0
                                        ; implicit-def: $vgpr40_vgpr41
                                        ; implicit-def: $vgpr44_vgpr45
                                        ; implicit-def: $vgpr73
                                        ; implicit-def: $vgpr83
                                        ; implicit-def: $vgpr34_vgpr35
                                        ; implicit-def: $vgpr82
                                        ; implicit-def: $vgpr32_vgpr33
                                        ; implicit-def: $vgpr81
                                        ; implicit-def: $vgpr28_vgpr29
                                        ; implicit-def: $vgpr80
                                        ; implicit-def: $vgpr26_vgpr27
                                        ; implicit-def: $vgpr79
                                        ; implicit-def: $vgpr22_vgpr23
                                        ; implicit-def: $vgpr78
                                        ; implicit-def: $vgpr20_vgpr21
                                        ; implicit-def: $vgpr77
                                        ; implicit-def: $vgpr16_vgpr17
                                        ; implicit-def: $vgpr76
                                        ; implicit-def: $vgpr14_vgpr15
                                        ; implicit-def: $vgpr75
                                        ; implicit-def: $vgpr10_vgpr11
                                        ; implicit-def: $vgpr74
                                        ; implicit-def: $vgpr8_vgpr9
                                        ; implicit-def: $vgpr72
                                        ; implicit-def: $vgpr4_vgpr5
                                        ; implicit-def: $vgpr1
                                        ; implicit-def: $vgpr2_vgpr3
                                        ; implicit-def: $sgpr3
                                        ; implicit-def: $sgpr6_sgpr7
                                        ; implicit-def: $vgpr70_vgpr71
	s_and_b64 vcc, exec, s[4:5]
	v_lshlrev_b32_e32 v30, 3, v0
	s_cbranch_vccz .LBB697_74
.LBB697_73:
	v_mov_b32_e32 v31, 0
	v_lshl_add_u64 v[2:3], s[34:35], 0, v[30:31]
	v_add_co_u32_e32 v4, vcc, 0x1000, v2
	s_movk_i32 s3, 0x1000
	s_nop 0
	v_addc_co_u32_e32 v5, vcc, 0, v3, vcc
	flat_load_dwordx2 v[6:7], v[2:3]
	flat_load_dwordx2 v[8:9], v[2:3] offset:2048
	flat_load_dwordx2 v[10:11], v[4:5]
	flat_load_dwordx2 v[12:13], v[4:5] offset:2048
	v_add_co_u32_e32 v4, vcc, 0x2000, v2
	v_lshl_add_u64 v[34:35], s[30:31], 0, v[30:31]
	s_nop 0
	v_addc_co_u32_e32 v5, vcc, 0, v3, vcc
	v_add_co_u32_e32 v14, vcc, 0x3000, v2
	s_movk_i32 s4, 0x2000
	s_nop 0
	v_addc_co_u32_e32 v15, vcc, 0, v3, vcc
	flat_load_dwordx2 v[16:17], v[4:5]
	flat_load_dwordx2 v[18:19], v[4:5] offset:2048
	flat_load_dwordx2 v[20:21], v[14:15]
	flat_load_dwordx2 v[22:23], v[14:15] offset:2048
	v_add_co_u32_e32 v4, vcc, 0x4000, v2
	s_movk_i32 s11, 0x68
	s_nop 0
	v_addc_co_u32_e32 v5, vcc, 0, v3, vcc
	v_add_co_u32_e32 v14, vcc, 0x5000, v2
	s_movk_i32 s12, 0xff98
	s_nop 0
	v_addc_co_u32_e32 v15, vcc, 0, v3, vcc
	v_add_co_u32_e32 v2, vcc, 0x6000, v2
	flat_load_dwordx2 v[24:25], v[4:5]
	flat_load_dwordx2 v[26:27], v[4:5] offset:2048
	flat_load_dwordx2 v[28:29], v[14:15]
	flat_load_dwordx2 v[32:33], v[14:15] offset:2048
	v_addc_co_u32_e32 v3, vcc, 0, v3, vcc
	flat_load_dwordx2 v[4:5], v[2:3]
	flat_load_dwordx2 v[14:15], v[2:3] offset:2048
	v_add_co_u32_e32 v36, vcc, s3, v34
	v_mad_u32_u24 v62, v0, s11, v30
	s_nop 0
	v_addc_co_u32_e32 v37, vcc, 0, v35, vcc
	v_add_co_u32_e32 v42, vcc, s4, v34
	s_movk_i32 s5, 0x3000
	v_mad_i32_i24 v1, v0, s12, v62
	v_addc_co_u32_e32 v43, vcc, 0, v35, vcc
	s_movk_i32 s6, 0x4000
	s_movk_i32 s7, 0x5000
	;; [unrolled: 1-line block ×3, first 2 shown]
	s_or_b64 s[8:9], s[8:9], exec
                                        ; implicit-def: $sgpr3
                                        ; implicit-def: $vgpr70_vgpr71
	s_waitcnt vmcnt(0) lgkmcnt(0)
	ds_write2st64_b64 v30, v[6:7], v[8:9] offset1:4
	ds_write2st64_b64 v30, v[10:11], v[12:13] offset0:8 offset1:12
	ds_write2st64_b64 v30, v[16:17], v[18:19] offset0:16 offset1:20
	;; [unrolled: 1-line block ×6, first 2 shown]
	s_waitcnt lgkmcnt(0)
	s_barrier
	ds_read_b128 v[2:5], v62
	ds_read_b128 v[6:9], v62 offset:16
	ds_read_b128 v[38:41], v62 offset:96
	ds_read_b128 v[10:13], v62 offset:32
	ds_read_b128 v[14:17], v62 offset:48
	ds_read_b128 v[18:21], v62 offset:64
	ds_read_b128 v[22:25], v62 offset:80
	s_waitcnt lgkmcnt(4)
	ds_write_b64 v1, v[40:41] offset:28672
	s_waitcnt lgkmcnt(0)
	s_barrier
	s_barrier
	flat_load_dwordx2 v[26:27], v[34:35]
	flat_load_dwordx2 v[28:29], v[34:35] offset:2048
	flat_load_dwordx2 v[32:33], v[36:37]
	flat_load_dwordx2 v[44:45], v[36:37] offset:2048
	v_add_co_u32_e32 v36, vcc, s5, v34
	s_nop 1
	v_addc_co_u32_e32 v37, vcc, 0, v35, vcc
	flat_load_dwordx2 v[46:47], v[42:43]
	flat_load_dwordx2 v[48:49], v[42:43] offset:2048
	flat_load_dwordx2 v[50:51], v[36:37]
	flat_load_dwordx2 v[52:53], v[36:37] offset:2048
	v_add_co_u32_e32 v36, vcc, s6, v34
	s_nop 1
	v_addc_co_u32_e32 v37, vcc, 0, v35, vcc
	v_add_co_u32_e32 v42, vcc, s7, v34
                                        ; implicit-def: $sgpr6_sgpr7
	s_nop 1
	v_addc_co_u32_e32 v43, vcc, 0, v35, vcc
	v_add_co_u32_e32 v34, vcc, s10, v34
	flat_load_dwordx2 v[54:55], v[36:37]
	flat_load_dwordx2 v[56:57], v[36:37] offset:2048
	flat_load_dwordx2 v[58:59], v[42:43]
	flat_load_dwordx2 v[60:61], v[42:43] offset:2048
	v_addc_co_u32_e32 v35, vcc, 0, v35, vcc
	flat_load_dwordx2 v[36:37], v[34:35]
	flat_load_dwordx2 v[42:43], v[34:35] offset:2048
	v_cmp_ne_u64_e32 vcc, 0, v[38:39]
	s_waitcnt vmcnt(0) lgkmcnt(0)
	ds_write2st64_b64 v30, v[26:27], v[28:29] offset1:4
	ds_write2st64_b64 v30, v[32:33], v[44:45] offset0:8 offset1:12
	ds_write2st64_b64 v30, v[46:47], v[48:49] offset0:16 offset1:20
	;; [unrolled: 1-line block ×6, first 2 shown]
	v_cndmask_b32_e64 v73, 0, 1, vcc
	v_cmp_ne_u64_e32 vcc, 0, v[24:25]
	s_waitcnt lgkmcnt(0)
	s_barrier
	v_cndmask_b32_e64 v83, 0, 1, vcc
	v_cmp_ne_u64_e32 vcc, 0, v[22:23]
	s_nop 1
	v_cndmask_b32_e64 v82, 0, 1, vcc
	v_cmp_ne_u64_e32 vcc, 0, v[20:21]
	s_nop 1
	;; [unrolled: 3-line block ×10, first 2 shown]
	v_cndmask_b32_e64 v72, 0, 1, vcc
	v_cmp_ne_u64_e32 vcc, 0, v[2:3]
	ds_read_b128 v[26:29], v62 offset:64
	ds_read_b128 v[32:35], v62 offset:80
	;; [unrolled: 1-line block ×4, first 2 shown]
	ds_read_b128 v[2:5], v62
	ds_read_b128 v[8:11], v62 offset:16
	ds_read_b128 v[42:45], v62 offset:96
	v_cndmask_b32_e64 v1, 0, 1, vcc
.LBB697_74:
	v_mov_b64_e32 v[6:7], s[6:7]
	v_mov_b32_e32 v31, s3
	s_and_saveexec_b64 s[4:5], s[8:9]
	s_cbranch_execz .LBB697_76
; %bb.75:
	v_cmp_ne_u64_e32 vcc, 0, v[40:41]
	s_waitcnt lgkmcnt(0)
	v_mov_b64_e32 v[70:71], v[42:43]
	v_mov_b64_e32 v[6:7], v[44:45]
	v_cndmask_b32_e64 v31, 0, 1, vcc
.LBB697_76:
	s_or_b64 exec, exec, s[4:5]
	v_or_b32_e32 v12, v31, v73
	s_cmp_lg_u32 s2, 0
	v_or_b32_e32 v65, v12, v83
	v_mbcnt_lo_u32_b32 v64, -1, 0
	s_waitcnt lgkmcnt(0)
	s_barrier
	s_cbranch_scc0 .LBB697_159
; %bb.77:
	v_mov_b32_e32 v18, 0
	v_cmp_eq_u16_sdwa s[30:31], v72, v18 src0_sel:BYTE_0 src1_sel:DWORD
	v_cmp_eq_u16_sdwa s[4:5], v74, v18 src0_sel:BYTE_0 src1_sel:DWORD
	v_cmp_eq_u16_sdwa s[6:7], v75, v18 src0_sel:BYTE_0 src1_sel:DWORD
	v_cndmask_b32_e64 v13, 0, v3, s[30:31]
	v_cndmask_b32_e64 v12, 0, v2, s[30:31]
	v_lshl_add_u64 v[12:13], v[12:13], 0, v[4:5]
	v_cndmask_b32_e64 v13, 0, v13, s[4:5]
	v_cndmask_b32_e64 v12, 0, v12, s[4:5]
	v_lshl_add_u64 v[12:13], v[12:13], 0, v[8:9]
	v_cndmask_b32_e64 v13, 0, v13, s[6:7]
	v_cndmask_b32_e64 v12, 0, v12, s[6:7]
	v_lshl_add_u64 v[12:13], v[12:13], 0, v[10:11]
	v_cmp_eq_u16_sdwa s[8:9], v76, v18 src0_sel:BYTE_0 src1_sel:DWORD
	v_cmp_eq_u16_sdwa s[10:11], v77, v18 src0_sel:BYTE_0 src1_sel:DWORD
	v_cmp_eq_u16_sdwa s[12:13], v78, v18 src0_sel:BYTE_0 src1_sel:DWORD
	v_cndmask_b32_e64 v13, 0, v13, s[8:9]
	v_cndmask_b32_e64 v12, 0, v12, s[8:9]
	v_lshl_add_u64 v[12:13], v[12:13], 0, v[14:15]
	v_cndmask_b32_e64 v13, 0, v13, s[10:11]
	v_cndmask_b32_e64 v12, 0, v12, s[10:11]
	v_lshl_add_u64 v[12:13], v[12:13], 0, v[16:17]
	v_cndmask_b32_e64 v13, 0, v13, s[12:13]
	v_cndmask_b32_e64 v12, 0, v12, s[12:13]
	v_lshl_add_u64 v[12:13], v[12:13], 0, v[20:21]
	;; [unrolled: 12-line block ×4, first 2 shown]
	v_cmp_eq_u16_sdwa s[26:27], v31, v18 src0_sel:BYTE_0 src1_sel:DWORD
	v_and_b32_e32 v24, 0xff, v1
	v_mbcnt_hi_u32_b32 v48, -1, v64
	v_cndmask_b32_e64 v13, 0, v13, s[26:27]
	v_cndmask_b32_e64 v12, 0, v12, s[26:27]
	v_lshl_add_u64 v[18:19], v[12:13], 0, v[6:7]
	v_or_b32_e32 v12, v65, v82
	v_or_b32_e32 v12, v12, v81
	;; [unrolled: 1-line block ×10, first 2 shown]
	v_and_b32_e32 v12, 1, v12
	v_cmp_eq_u32_e32 vcc, 1, v12
	v_and_b32_e32 v12, 15, v48
	v_mov_b32_dpp v25, v18 row_shr:1 row_mask:0xf bank_mask:0xf
	v_cndmask_b32_e64 v24, v24, 1, vcc
	v_mov_b32_dpp v36, v19 row_shr:1 row_mask:0xf bank_mask:0xf
	v_cmp_ne_u32_e32 vcc, 0, v12
	v_mov_b32_dpp v13, v24 row_shr:1 row_mask:0xf bank_mask:0xf
	s_and_saveexec_b64 s[28:29], vcc
; %bb.78:
	v_cmp_eq_u32_e32 vcc, 0, v24
	v_and_or_b32 v24, v13, 1, v24
	s_nop 0
	v_cndmask_b32_e32 v37, 0, v36, vcc
	v_cndmask_b32_e32 v36, 0, v25, vcc
	v_lshl_add_u64 v[18:19], v[36:37], 0, v[18:19]
; %bb.79:
	s_or_b64 exec, exec, s[28:29]
	s_nop 0
	v_mov_b32_dpp v25, v18 row_shr:2 row_mask:0xf bank_mask:0xf
	v_mov_b32_dpp v36, v19 row_shr:2 row_mask:0xf bank_mask:0xf
	v_mov_b32_dpp v13, v24 row_shr:2 row_mask:0xf bank_mask:0xf
	v_cmp_lt_u32_e32 vcc, 1, v12
	s_and_saveexec_b64 s[28:29], vcc
; %bb.80:
	v_cmp_eq_u32_e32 vcc, 0, v24
	v_or_b32_e32 v13, v13, v24
	v_and_b32_e32 v24, 1, v13
	v_cndmask_b32_e32 v37, 0, v36, vcc
	v_cndmask_b32_e32 v36, 0, v25, vcc
	v_lshl_add_u64 v[18:19], v[36:37], 0, v[18:19]
; %bb.81:
	s_or_b64 exec, exec, s[28:29]
	s_nop 0
	v_mov_b32_dpp v25, v18 row_shr:4 row_mask:0xf bank_mask:0xf
	v_mov_b32_dpp v36, v19 row_shr:4 row_mask:0xf bank_mask:0xf
	v_mov_b32_dpp v13, v24 row_shr:4 row_mask:0xf bank_mask:0xf
	v_cmp_lt_u32_e32 vcc, 3, v12
	s_and_saveexec_b64 s[28:29], vcc
; %bb.82:
	v_cmp_eq_u32_e32 vcc, 0, v24
	v_or_b32_e32 v13, v13, v24
	v_and_b32_e32 v24, 1, v13
	;; [unrolled: 15-line block ×3, first 2 shown]
	v_cndmask_b32_e32 v37, 0, v36, vcc
	v_cndmask_b32_e32 v36, 0, v25, vcc
	v_lshl_add_u64 v[18:19], v[36:37], 0, v[18:19]
; %bb.85:
	s_or_b64 exec, exec, s[28:29]
	v_and_b32_e32 v36, 16, v48
	v_mov_b32_dpp v13, v18 row_bcast:15 row_mask:0xf bank_mask:0xf
	v_mov_b32_dpp v25, v19 row_bcast:15 row_mask:0xf bank_mask:0xf
	;; [unrolled: 1-line block ×3, first 2 shown]
	v_cmp_ne_u32_e32 vcc, 0, v36
	s_and_saveexec_b64 s[28:29], vcc
; %bb.86:
	v_cmp_eq_u32_e32 vcc, 0, v24
	v_or_b32_e32 v12, v12, v24
	v_and_b32_e32 v24, 1, v12
	v_cndmask_b32_e32 v37, 0, v25, vcc
	v_cndmask_b32_e32 v36, 0, v13, vcc
	v_lshl_add_u64 v[18:19], v[36:37], 0, v[18:19]
; %bb.87:
	s_or_b64 exec, exec, s[28:29]
	s_nop 0
	v_mov_b32_dpp v25, v18 row_bcast:31 row_mask:0xf bank_mask:0xf
	v_mov_b32_dpp v36, v19 row_bcast:31 row_mask:0xf bank_mask:0xf
	v_mov_b32_dpp v13, v24 row_bcast:31 row_mask:0xf bank_mask:0xf
	v_cmp_lt_u32_e32 vcc, 31, v48
	v_mov_b32_e32 v12, v24
	s_and_saveexec_b64 s[28:29], vcc
; %bb.88:
	v_cmp_eq_u32_e32 vcc, 0, v24
	v_or_b32_e32 v13, v13, v24
	v_and_b32_e32 v12, 1, v13
	v_cndmask_b32_e32 v37, 0, v36, vcc
	v_cndmask_b32_e32 v36, 0, v25, vcc
	v_lshl_add_u64 v[18:19], v[36:37], 0, v[18:19]
	v_and_b32_e32 v24, 1, v13
; %bb.89:
	s_or_b64 exec, exec, s[28:29]
	v_or_b32_e32 v13, 63, v0
	v_lshrrev_b32_e32 v25, 6, v0
	v_cmp_eq_u32_e32 vcc, v13, v0
	s_and_saveexec_b64 s[28:29], vcc
	s_cbranch_execz .LBB697_91
; %bb.90:
	v_lshlrev_b32_e32 v13, 4, v25
	ds_write_b64 v13, v[18:19]
	ds_write_b8 v13, v12 offset:8
.LBB697_91:
	s_or_b64 exec, exec, s[28:29]
	v_cmp_gt_u32_e32 vcc, 4, v0
	s_waitcnt lgkmcnt(0)
	s_barrier
	s_and_saveexec_b64 s[34:35], vcc
	s_cbranch_execz .LBB697_97
; %bb.92:
	v_lshlrev_b32_e32 v36, 4, v0
	ds_read_b64 v[12:13], v36
	ds_read_b32 v37, v36 offset:8
	v_and_b32_e32 v38, 3, v48
	v_cmp_ne_u32_e32 vcc, 0, v38
	s_waitcnt lgkmcnt(1)
	v_mov_b32_dpp v42, v12 row_shr:1 row_mask:0xf bank_mask:0xf
	v_mov_b32_dpp v43, v13 row_shr:1 row_mask:0xf bank_mask:0xf
	s_waitcnt lgkmcnt(0)
	v_mov_b32_dpp v41, v37 row_shr:1 row_mask:0xf bank_mask:0xf
	v_mov_b32_e32 v39, v37
	v_mov_b32_e32 v40, v37
	s_and_saveexec_b64 s[28:29], vcc
; %bb.93:
	v_mov_b32_e32 v39, 0
	v_cmp_eq_u16_sdwa vcc, v37, v39 src0_sel:BYTE_0 src1_sel:DWORD
	v_or_b32_e32 v40, v41, v37
	v_and_b32_e32 v39, 1, v40
	v_cndmask_b32_e32 v43, 0, v43, vcc
	v_cndmask_b32_e32 v42, 0, v42, vcc
	v_and_b32_e32 v40, 1, v40
	s_movk_i32 s3, 0xff00
	v_lshl_add_u64 v[12:13], v[42:43], 0, v[12:13]
	v_and_or_b32 v37, v37, s3, v40
; %bb.94:
	s_or_b64 exec, exec, s[28:29]
	v_mov_b32_dpp v41, v12 row_shr:2 row_mask:0xf bank_mask:0xf
	v_mov_b32_dpp v42, v13 row_shr:2 row_mask:0xf bank_mask:0xf
	;; [unrolled: 1-line block ×3, first 2 shown]
	v_cmp_lt_u32_e32 vcc, 1, v38
	s_and_saveexec_b64 s[48:49], vcc
; %bb.95:
	v_mov_b32_e32 v38, 0
	v_cmp_eq_u16_sdwa vcc, v40, v38 src0_sel:BYTE_0 src1_sel:DWORD
	v_and_b32_e32 v37, 1, v37
	v_cmp_eq_u32_e64 s[28:29], 1, v37
	v_cndmask_b32_e32 v39, 0, v42, vcc
	v_cndmask_b32_e32 v38, 0, v41, vcc
	v_lshl_add_u64 v[12:13], v[38:39], 0, v[12:13]
	v_and_b32_e32 v38, 1, v40
	v_cmp_eq_u32_e32 vcc, 1, v38
	s_or_b64 s[28:29], vcc, s[28:29]
	v_cndmask_b32_e64 v39, 0, 1, s[28:29]
; %bb.96:
	s_or_b64 exec, exec, s[48:49]
	ds_write_b64 v36, v[12:13]
	ds_write_b8 v36, v39 offset:8
.LBB697_97:
	s_or_b64 exec, exec, s[34:35]
	v_cmp_gt_u32_e32 vcc, 64, v0
	v_cmp_lt_u32_e64 s[28:29], 63, v0
	v_mov_b32_e32 v44, 0
	v_mov_b64_e32 v[12:13], 0
	s_waitcnt lgkmcnt(0)
	s_barrier
	s_and_saveexec_b64 s[34:35], s[28:29]
	s_cbranch_execz .LBB697_99
; %bb.98:
	v_lshl_add_u32 v25, v25, 4, -16
	ds_read_b64 v[12:13], v25
	ds_read_u8 v44, v25 offset:8
	v_and_b32_e32 v36, 1, v24
	v_cmp_eq_u32_e64 s[28:29], 0, v24
	s_waitcnt lgkmcnt(1)
	s_nop 0
	v_cndmask_b32_e64 v25, 0, v13, s[28:29]
	v_cndmask_b32_e64 v24, 0, v12, s[28:29]
	v_cmp_eq_u32_e64 s[28:29], 1, v36
	v_lshl_add_u64 v[18:19], v[24:25], 0, v[18:19]
	s_waitcnt lgkmcnt(0)
	v_cndmask_b32_e64 v24, v44, 1, s[28:29]
.LBB697_99:
	s_or_b64 exec, exec, s[34:35]
	v_add_u32_e32 v25, -1, v48
	v_and_b32_e32 v36, 64, v48
	v_cmp_lt_i32_e64 s[28:29], v25, v36
	s_nop 1
	v_cndmask_b32_e64 v25, v25, v48, s[28:29]
	v_lshlrev_b32_e32 v25, 2, v25
	ds_bpermute_b32 v45, v25, v18
	ds_bpermute_b32 v46, v25, v19
	;; [unrolled: 1-line block ×3, first 2 shown]
	v_cmp_eq_u32_e64 s[28:29], 0, v48
	s_and_saveexec_b64 s[48:49], vcc
	s_cbranch_execz .LBB697_146
; %bb.100:
	v_mov_b32_e32 v25, 0
	ds_read2_b64 v[36:39], v25 offset0:6 offset1:7
	s_and_saveexec_b64 s[34:35], s[28:29]
	s_cbranch_execz .LBB697_102
; %bb.101:
	s_add_i32 s52, s2, 64
	s_mov_b32 s53, 0
	s_lshl_b64 s[58:59], s[52:53], 4
	s_add_u32 s58, s36, s58
	s_addc_u32 s59, s37, s59
	v_mov_b32_e32 v18, s52
	v_mov_b32_e32 v19, 1
	s_waitcnt lgkmcnt(0)
	global_store_dword v25, v36, s[58:59] sc1
	global_store_dword v25, v37, s[58:59] offset:4 sc1
	global_store_dword v25, v38, s[58:59] offset:8 sc1
	;; [unrolled: 1-line block ×3, first 2 shown]
	s_waitcnt vmcnt(0)
	global_store_byte v18, v19, s[40:41] sc1
.LBB697_102:
	s_or_b64 exec, exec, s[34:35]
	v_xad_u32 v18, v48, -1, s2
	v_add_u32_e32 v24, 64, v18
	s_waitcnt lgkmcnt(0)
	global_load_ubyte v39, v24, s[40:41] sc1
	s_waitcnt vmcnt(0)
	v_cmp_eq_u16_e32 vcc, 0, v39
	s_and_saveexec_b64 s[34:35], vcc
	s_cbranch_execz .LBB697_108
; %bb.103:
	v_lshl_add_u64 v[40:41], s[40:41], 0, v[24:25]
	s_mov_b32 s3, 1
	s_mov_b64 s[52:53], 0
.LBB697_104:                            ; =>This Loop Header: Depth=1
                                        ;     Child Loop BB697_105 Depth 2
	s_max_u32 s43, s3, 1
.LBB697_105:                            ;   Parent Loop BB697_104 Depth=1
                                        ; =>  This Inner Loop Header: Depth=2
	s_add_i32 s43, s43, -1
	s_cmp_eq_u32 s43, 0
	s_sleep 1
	s_cbranch_scc0 .LBB697_105
; %bb.106:                              ;   in Loop: Header=BB697_104 Depth=1
	global_load_ubyte v39, v[40:41], off sc1
	s_cmp_lt_u32 s3, 32
	s_cselect_b64 s[58:59], -1, 0
	s_cmp_lg_u64 s[58:59], 0
	s_addc_u32 s3, s3, 0
	s_waitcnt vmcnt(0)
	v_cmp_ne_u16_e32 vcc, 0, v39
	s_or_b64 s[52:53], vcc, s[52:53]
	s_andn2_b64 exec, exec, s[52:53]
	s_cbranch_execnz .LBB697_104
; %bb.107:
	s_or_b64 exec, exec, s[52:53]
.LBB697_108:
	s_or_b64 exec, exec, s[34:35]
	v_mov_b32_e32 v19, s39
	v_mov_b32_e32 v40, s37
	v_cmp_eq_u16_e32 vcc, 1, v39
	s_waitcnt vmcnt(0)
	s_nop 0
	v_cndmask_b32_e32 v41, v19, v40, vcc
	v_mov_b32_e32 v19, s38
	v_mov_b32_e32 v40, s36
	v_cndmask_b32_e32 v40, v19, v40, vcc
	v_lshl_add_u64 v[24:25], v[24:25], 4, v[40:41]
	global_load_dword v42, v[24:25], off sc1
	global_load_dword v43, v[24:25], off offset:4 sc1
	global_load_dword v62, v[24:25], off offset:8 sc1
	;; [unrolled: 1-line block ×3, first 2 shown]
	v_cmp_eq_u16_e32 vcc, 2, v39
	v_lshlrev_b64 v[24:25], v48, -1
	v_and_b32_e32 v49, 63, v48
	s_waitcnt vmcnt(0)
	v_and_b32_e32 v19, vcc_hi, v25
	v_and_b32_e32 v53, vcc_lo, v24
	v_cmp_ne_u32_e32 vcc, 63, v49
	v_or_b32_e32 v19, 0x80000000, v19
	v_ffbl_b32_e32 v19, v19
	v_addc_co_u32_e32 v40, vcc, 0, v48, vcc
	v_lshlrev_b32_e32 v50, 2, v40
	v_add_u32_e32 v19, 32, v19
	v_ffbl_b32_e32 v53, v53
	v_min_u32_e32 v19, v53, v19
	v_cmp_lt_u32_e32 vcc, v49, v19
	ds_bpermute_b32 v51, v50, v42
	ds_bpermute_b32 v52, v50, v43
	v_and_b32_e32 v40, 0xff, v62
	ds_bpermute_b32 v41, v50, v40
	s_and_saveexec_b64 s[34:35], vcc
	s_cbranch_execz .LBB697_110
; %bb.109:
	v_mov_b32_e32 v40, 0
	v_cmp_eq_u16_sdwa vcc, v62, v40 src0_sel:BYTE_0 src1_sel:DWORD
	s_waitcnt lgkmcnt(0)
	v_or_b32_e32 v40, v41, v62
	v_and_b32_e32 v62, 1, v40
	v_cndmask_b32_e32 v53, 0, v52, vcc
	v_cndmask_b32_e32 v52, 0, v51, vcc
	v_lshl_add_u64 v[42:43], v[52:53], 0, v[42:43]
	v_and_b32_e32 v40, 1, v40
.LBB697_110:
	s_or_b64 exec, exec, s[34:35]
	v_cmp_gt_u32_e32 vcc, 62, v49
	s_waitcnt lgkmcnt(1)
	v_add_u32_e32 v52, 2, v49
	s_waitcnt lgkmcnt(0)
	v_cndmask_b32_e64 v41, 0, 1, vcc
	v_lshlrev_b32_e32 v41, 1, v41
	v_add_lshl_u32 v51, v41, v48, 2
	ds_bpermute_b32 v53, v51, v42
	ds_bpermute_b32 v54, v51, v43
	ds_bpermute_b32 v41, v51, v40
	v_cmp_le_u32_e32 vcc, v52, v19
	s_and_saveexec_b64 s[52:53], vcc
	s_cbranch_execz .LBB697_112
; %bb.111:
	v_mov_b32_e32 v40, 0
	v_cmp_eq_u16_sdwa vcc, v62, v40 src0_sel:BYTE_0 src1_sel:DWORD
	v_and_b32_e32 v40, 1, v62
	s_waitcnt lgkmcnt(1)
	v_cndmask_b32_e32 v55, 0, v54, vcc
	v_cndmask_b32_e32 v54, 0, v53, vcc
	v_cmp_eq_u32_e32 vcc, 1, v40
	s_waitcnt lgkmcnt(0)
	v_and_b32_e32 v40, 1, v41
	v_cmp_eq_u32_e64 s[34:35], 1, v40
	s_or_b64 s[34:35], vcc, s[34:35]
	v_lshl_add_u64 v[42:43], v[54:55], 0, v[42:43]
	v_cndmask_b32_e64 v62, 0, 1, s[34:35]
	v_cndmask_b32_e64 v40, 0, 1, s[34:35]
.LBB697_112:
	s_or_b64 exec, exec, s[52:53]
	v_cmp_gt_u32_e32 vcc, 60, v49
	s_waitcnt lgkmcnt(1)
	v_add_u32_e32 v54, 4, v49
	s_waitcnt lgkmcnt(0)
	v_cndmask_b32_e64 v41, 0, 1, vcc
	v_lshlrev_b32_e32 v41, 2, v41
	v_add_lshl_u32 v53, v41, v48, 2
	ds_bpermute_b32 v55, v53, v42
	ds_bpermute_b32 v56, v53, v43
	ds_bpermute_b32 v41, v53, v40
	v_cmp_le_u32_e32 vcc, v54, v19
	s_and_saveexec_b64 s[52:53], vcc
	s_cbranch_execz .LBB697_114
; %bb.113:
	v_mov_b32_e32 v40, 0
	v_cmp_eq_u16_sdwa vcc, v62, v40 src0_sel:BYTE_0 src1_sel:DWORD
	v_and_b32_e32 v40, 1, v62
	s_waitcnt lgkmcnt(1)
	v_cndmask_b32_e32 v57, 0, v56, vcc
	v_cndmask_b32_e32 v56, 0, v55, vcc
	v_cmp_eq_u32_e32 vcc, 1, v40
	s_waitcnt lgkmcnt(0)
	v_and_b32_e32 v40, 1, v41
	v_cmp_eq_u32_e64 s[34:35], 1, v40
	s_or_b64 s[34:35], vcc, s[34:35]
	v_lshl_add_u64 v[42:43], v[56:57], 0, v[42:43]
	v_cndmask_b32_e64 v62, 0, 1, s[34:35]
	v_cndmask_b32_e64 v40, 0, 1, s[34:35]
.LBB697_114:
	;; [unrolled: 30-line block ×4, first 2 shown]
	s_or_b64 exec, exec, s[52:53]
	v_cmp_gt_u32_e32 vcc, 32, v49
	s_waitcnt lgkmcnt(1)
	v_add_u32_e32 v60, 32, v49
	s_waitcnt lgkmcnt(0)
	v_cndmask_b32_e64 v41, 0, 1, vcc
	v_lshlrev_b32_e32 v41, 5, v41
	v_add_lshl_u32 v59, v41, v48, 2
	ds_bpermute_b32 v41, v59, v42
	ds_bpermute_b32 v48, v59, v43
	;; [unrolled: 1-line block ×3, first 2 shown]
	v_cmp_le_u32_e32 vcc, v60, v19
	s_and_saveexec_b64 s[52:53], vcc
	s_cbranch_execz .LBB697_120
; %bb.119:
	v_mov_b32_e32 v19, 0
	v_cmp_eq_u16_sdwa vcc, v62, v19 src0_sel:BYTE_0 src1_sel:DWORD
	v_and_b32_e32 v19, 1, v62
	s_waitcnt lgkmcnt(1)
	v_cndmask_b32_e32 v67, 0, v48, vcc
	v_cndmask_b32_e32 v66, 0, v41, vcc
	v_cmp_eq_u32_e32 vcc, 1, v19
	s_waitcnt lgkmcnt(0)
	v_and_b32_e32 v19, 1, v40
	v_cmp_eq_u32_e64 s[34:35], 1, v19
	s_or_b64 s[34:35], vcc, s[34:35]
	v_lshl_add_u64 v[42:43], v[66:67], 0, v[42:43]
	v_cndmask_b32_e64 v62, 0, 1, s[34:35]
.LBB697_120:
	s_or_b64 exec, exec, s[52:53]
	v_mov_b32_e32 v19, 0
	v_mov_b32_e32 v61, 2
	s_branch .LBB697_122
.LBB697_121:                            ;   in Loop: Header=BB697_122 Depth=1
	s_or_b64 exec, exec, s[58:59]
	v_cmp_eq_u16_sdwa vcc, v48, v19 src0_sel:BYTE_0 src1_sel:DWORD
	v_and_b32_e32 v62, 1, v48
	v_subrev_u32_e32 v18, 64, v18
	v_cndmask_b32_e32 v43, 0, v43, vcc
	v_cndmask_b32_e32 v42, 0, v42, vcc
	v_cmp_eq_u32_e32 vcc, 1, v62
	s_or_b64 s[34:35], vcc, s[52:53]
	v_lshl_add_u64 v[42:43], v[42:43], 0, v[40:41]
	v_cndmask_b32_e64 v62, 0, 1, s[34:35]
.LBB697_122:                            ; =>This Loop Header: Depth=1
                                        ;     Child Loop BB697_125 Depth 2
                                        ;       Child Loop BB697_126 Depth 3
	v_cmp_ne_u16_sdwa s[34:35], v39, v61 src0_sel:BYTE_0 src1_sel:DWORD
	s_waitcnt lgkmcnt(1)
	v_mov_b32_e32 v48, v62
	s_waitcnt lgkmcnt(0)
	v_mov_b64_e32 v[40:41], v[42:43]
	v_cndmask_b32_e64 v39, 0, 1, s[34:35]
	;;#ASMSTART
	;;#ASMEND
	s_nop 0
	v_cmp_ne_u32_e32 vcc, 0, v39
	s_cmp_lg_u64 vcc, exec
	s_cbranch_scc1 .LBB697_141
; %bb.123:                              ;   in Loop: Header=BB697_122 Depth=1
	global_load_ubyte v39, v18, s[40:41] sc1
	s_waitcnt vmcnt(0)
	v_cmp_eq_u16_e32 vcc, 0, v39
	s_and_saveexec_b64 s[34:35], vcc
	s_cbranch_execz .LBB697_129
; %bb.124:                              ;   in Loop: Header=BB697_122 Depth=1
	v_lshl_add_u64 v[42:43], s[40:41], 0, v[18:19]
	s_mov_b32 s3, 1
	s_mov_b64 s[52:53], 0
.LBB697_125:                            ;   Parent Loop BB697_122 Depth=1
                                        ; =>  This Loop Header: Depth=2
                                        ;       Child Loop BB697_126 Depth 3
	s_max_u32 s43, s3, 1
.LBB697_126:                            ;   Parent Loop BB697_122 Depth=1
                                        ;     Parent Loop BB697_125 Depth=2
                                        ; =>    This Inner Loop Header: Depth=3
	s_add_i32 s43, s43, -1
	s_cmp_eq_u32 s43, 0
	s_sleep 1
	s_cbranch_scc0 .LBB697_126
; %bb.127:                              ;   in Loop: Header=BB697_125 Depth=2
	global_load_ubyte v39, v[42:43], off sc1
	s_cmp_lt_u32 s3, 32
	s_cselect_b64 s[58:59], -1, 0
	s_cmp_lg_u64 s[58:59], 0
	s_addc_u32 s3, s3, 0
	s_waitcnt vmcnt(0)
	v_cmp_ne_u16_e32 vcc, 0, v39
	s_or_b64 s[52:53], vcc, s[52:53]
	s_andn2_b64 exec, exec, s[52:53]
	s_cbranch_execnz .LBB697_125
; %bb.128:                              ;   in Loop: Header=BB697_122 Depth=1
	s_or_b64 exec, exec, s[52:53]
.LBB697_129:                            ;   in Loop: Header=BB697_122 Depth=1
	s_or_b64 exec, exec, s[34:35]
	v_mov_b32_e32 v42, s39
	v_mov_b32_e32 v43, s37
	v_cmp_eq_u16_e32 vcc, 1, v39
	v_mov_b32_e32 v62, s36
	s_waitcnt vmcnt(0)
	v_cndmask_b32_e32 v43, v42, v43, vcc
	v_mov_b32_e32 v42, s38
	v_cndmask_b32_e32 v42, v42, v62, vcc
	v_lshl_add_u64 v[66:67], v[18:19], 4, v[42:43]
	global_load_dword v42, v[66:67], off sc1
	global_load_dword v43, v[66:67], off offset:4 sc1
	global_load_dword v62, v[66:67], off offset:8 sc1
	;; [unrolled: 1-line block ×3, first 2 shown]
	v_cmp_eq_u16_e32 vcc, 2, v39
	s_waitcnt vmcnt(3)
	ds_bpermute_b32 v68, v50, v42
	s_waitcnt vmcnt(0)
	v_and_b32_e32 v63, vcc_hi, v25
	v_and_b32_e32 v66, 0xff, v62
	v_or_b32_e32 v63, 0x80000000, v63
	ds_bpermute_b32 v69, v50, v43
	ds_bpermute_b32 v67, v50, v66
	v_and_b32_e32 v84, vcc_lo, v24
	v_ffbl_b32_e32 v63, v63
	v_add_u32_e32 v63, 32, v63
	v_ffbl_b32_e32 v84, v84
	v_min_u32_e32 v63, v84, v63
	v_cmp_lt_u32_e32 vcc, v49, v63
	s_and_saveexec_b64 s[34:35], vcc
	s_cbranch_execz .LBB697_131
; %bb.130:                              ;   in Loop: Header=BB697_122 Depth=1
	v_cmp_eq_u16_sdwa vcc, v62, v19 src0_sel:BYTE_0 src1_sel:DWORD
	s_waitcnt lgkmcnt(0)
	v_or_b32_e32 v66, v67, v62
	v_and_b32_e32 v62, 1, v66
	v_cndmask_b32_e32 v69, 0, v69, vcc
	v_cndmask_b32_e32 v68, 0, v68, vcc
	v_lshl_add_u64 v[42:43], v[68:69], 0, v[42:43]
	v_and_b32_e32 v66, 1, v66
.LBB697_131:                            ;   in Loop: Header=BB697_122 Depth=1
	s_or_b64 exec, exec, s[34:35]
	s_waitcnt lgkmcnt(2)
	ds_bpermute_b32 v68, v51, v42
	s_waitcnt lgkmcnt(2)
	ds_bpermute_b32 v69, v51, v43
	;; [unrolled: 2-line block ×3, first 2 shown]
	v_and_b32_e32 v84, 1, v62
	v_cmp_le_u32_e32 vcc, v52, v63
	v_cmp_eq_u32_e64 s[52:53], 1, v84
	s_and_saveexec_b64 s[34:35], vcc
	s_cbranch_execz .LBB697_133
; %bb.132:                              ;   in Loop: Header=BB697_122 Depth=1
	v_cmp_eq_u16_sdwa vcc, v62, v19 src0_sel:BYTE_0 src1_sel:DWORD
	s_waitcnt lgkmcnt(0)
	v_and_b32_e32 v62, 1, v67
	v_cndmask_b32_e32 v69, 0, v69, vcc
	v_cndmask_b32_e32 v68, 0, v68, vcc
	v_cmp_eq_u32_e32 vcc, 1, v62
	s_or_b64 s[58:59], s[52:53], vcc
	v_cndmask_b32_e64 v62, 0, 1, s[58:59]
	v_cndmask_b32_e64 v66, 0, 1, s[58:59]
	s_andn2_b64 s[52:53], s[52:53], exec
	s_and_b64 s[58:59], s[58:59], exec
	v_lshl_add_u64 v[42:43], v[68:69], 0, v[42:43]
	s_or_b64 s[52:53], s[52:53], s[58:59]
.LBB697_133:                            ;   in Loop: Header=BB697_122 Depth=1
	s_or_b64 exec, exec, s[34:35]
	s_waitcnt lgkmcnt(2)
	ds_bpermute_b32 v68, v53, v42
	s_waitcnt lgkmcnt(2)
	ds_bpermute_b32 v69, v53, v43
	s_waitcnt lgkmcnt(2)
	ds_bpermute_b32 v67, v53, v66
	v_cmp_le_u32_e32 vcc, v54, v63
	s_and_saveexec_b64 s[58:59], vcc
	s_cbranch_execz .LBB697_135
; %bb.134:                              ;   in Loop: Header=BB697_122 Depth=1
	v_cmp_eq_u16_sdwa vcc, v62, v19 src0_sel:BYTE_0 src1_sel:DWORD
	v_and_b32_e32 v62, 1, v62
	s_andn2_b64 s[52:53], s[52:53], exec
	s_waitcnt lgkmcnt(1)
	v_cndmask_b32_e32 v69, 0, v69, vcc
	v_cndmask_b32_e32 v68, 0, v68, vcc
	v_cmp_eq_u32_e32 vcc, 1, v62
	s_waitcnt lgkmcnt(0)
	v_and_b32_e32 v62, 1, v67
	v_cmp_eq_u32_e64 s[34:35], 1, v62
	s_or_b64 s[34:35], vcc, s[34:35]
	v_lshl_add_u64 v[42:43], v[68:69], 0, v[42:43]
	v_cndmask_b32_e64 v62, 0, 1, s[34:35]
	v_cndmask_b32_e64 v66, 0, 1, s[34:35]
	s_and_b64 s[34:35], s[34:35], exec
	s_or_b64 s[52:53], s[52:53], s[34:35]
.LBB697_135:                            ;   in Loop: Header=BB697_122 Depth=1
	s_or_b64 exec, exec, s[58:59]
	s_waitcnt lgkmcnt(2)
	ds_bpermute_b32 v68, v55, v42
	s_waitcnt lgkmcnt(2)
	ds_bpermute_b32 v69, v55, v43
	s_waitcnt lgkmcnt(2)
	ds_bpermute_b32 v67, v55, v66
	v_cmp_le_u32_e32 vcc, v56, v63
	s_and_saveexec_b64 s[58:59], vcc
	s_cbranch_execz .LBB697_137
; %bb.136:                              ;   in Loop: Header=BB697_122 Depth=1
	v_cmp_eq_u16_sdwa vcc, v62, v19 src0_sel:BYTE_0 src1_sel:DWORD
	v_and_b32_e32 v62, 1, v62
	s_andn2_b64 s[52:53], s[52:53], exec
	s_waitcnt lgkmcnt(1)
	v_cndmask_b32_e32 v69, 0, v69, vcc
	v_cndmask_b32_e32 v68, 0, v68, vcc
	v_cmp_eq_u32_e32 vcc, 1, v62
	s_waitcnt lgkmcnt(0)
	v_and_b32_e32 v62, 1, v67
	v_cmp_eq_u32_e64 s[34:35], 1, v62
	s_or_b64 s[34:35], vcc, s[34:35]
	v_lshl_add_u64 v[42:43], v[68:69], 0, v[42:43]
	v_cndmask_b32_e64 v62, 0, 1, s[34:35]
	v_cndmask_b32_e64 v66, 0, 1, s[34:35]
	s_and_b64 s[34:35], s[34:35], exec
	s_or_b64 s[52:53], s[52:53], s[34:35]
.LBB697_137:                            ;   in Loop: Header=BB697_122 Depth=1
	;; [unrolled: 28-line block ×3, first 2 shown]
	s_or_b64 exec, exec, s[58:59]
	s_waitcnt lgkmcnt(0)
	ds_bpermute_b32 v67, v59, v42
	ds_bpermute_b32 v68, v59, v43
	;; [unrolled: 1-line block ×3, first 2 shown]
	v_cmp_le_u32_e32 vcc, v60, v63
	s_and_saveexec_b64 s[58:59], vcc
	s_cbranch_execz .LBB697_121
; %bb.140:                              ;   in Loop: Header=BB697_122 Depth=1
	v_cmp_eq_u16_sdwa vcc, v62, v19 src0_sel:BYTE_0 src1_sel:DWORD
	v_and_b32_e32 v62, 1, v62
	s_andn2_b64 s[52:53], s[52:53], exec
	s_waitcnt lgkmcnt(1)
	v_cndmask_b32_e32 v69, 0, v68, vcc
	v_cndmask_b32_e32 v68, 0, v67, vcc
	v_cmp_eq_u32_e32 vcc, 1, v62
	s_waitcnt lgkmcnt(0)
	v_and_b32_e32 v62, 1, v66
	v_cmp_eq_u32_e64 s[34:35], 1, v62
	s_or_b64 s[34:35], vcc, s[34:35]
	s_and_b64 s[34:35], s[34:35], exec
	v_lshl_add_u64 v[42:43], v[68:69], 0, v[42:43]
	s_or_b64 s[52:53], s[52:53], s[34:35]
	s_branch .LBB697_121
.LBB697_141:                            ;   in Loop: Header=BB697_122 Depth=1
                                        ; implicit-def: $vgpr62
                                        ; implicit-def: $vgpr42_vgpr43
                                        ; implicit-def: $vgpr39
	s_cbranch_execz .LBB697_122
; %bb.142:
	s_and_saveexec_b64 s[34:35], s[28:29]
	s_cbranch_execz .LBB697_144
; %bb.143:
	s_mov_b32 s3, 0
	v_mov_b32_e32 v24, 0
	s_add_i32 s2, s2, 64
	v_cmp_eq_u32_sdwa vcc, v38, v24 src0_sel:BYTE_0 src1_sel:DWORD
	s_lshl_b64 s[36:37], s[2:3], 4
	v_and_b32_e32 v25, 1, v38
	v_cndmask_b32_e32 v19, 0, v41, vcc
	v_cndmask_b32_e32 v18, 0, v40, vcc
	s_add_u32 s36, s38, s36
	v_lshl_add_u64 v[18:19], v[18:19], 0, v[36:37]
	v_and_b32_e32 v36, 1, v48
	v_cmp_eq_u32_e32 vcc, 1, v25
	s_addc_u32 s37, s39, s37
	s_nop 0
	v_cndmask_b32_e64 v25, v36, 1, vcc
	global_store_dword v24, v18, s[36:37] sc1
	global_store_dword v24, v19, s[36:37] offset:4 sc1
	global_store_dword v24, v25, s[36:37] offset:8 sc1
	global_store_dword v24, v24, s[36:37] offset:12 sc1
	v_mov_b32_e32 v18, s2
	v_mov_b32_e32 v19, 2
	s_waitcnt vmcnt(0) lgkmcnt(0)
	global_store_byte v18, v19, s[40:41] sc1
.LBB697_144:
	s_or_b64 exec, exec, s[34:35]
	v_cmp_eq_u32_e32 vcc, 0, v0
	s_and_b64 exec, exec, vcc
	s_cbranch_execz .LBB697_146
; %bb.145:
	v_mov_b32_e32 v18, 0
	ds_write_b64 v18, v[40:41] offset:48
	ds_write_b8 v18, v48 offset:56
.LBB697_146:
	s_or_b64 exec, exec, s[48:49]
	s_waitcnt lgkmcnt(0)
	v_cndmask_b32_e64 v18, v47, v44, s[28:29]
	v_mov_b32_e32 v25, 0
	v_cndmask_b32_e64 v19, v46, v13, s[28:29]
	v_cndmask_b32_e64 v24, v45, v12, s[28:29]
	v_cmp_eq_u16_sdwa vcc, v1, v25 src0_sel:BYTE_0 src1_sel:DWORD
	v_and_b32_e32 v36, 1, v1
	v_and_b32_e32 v18, 1, v18
	s_barrier
	ds_read_b64 v[12:13], v25 offset:48
	v_cndmask_b32_e32 v24, 0, v24, vcc
	v_cndmask_b32_e32 v19, 0, v19, vcc
	v_cmp_eq_u32_e32 vcc, 1, v36
	v_cmp_eq_u32_e64 s[2:3], 1, v18
	s_or_b64 s[2:3], vcc, s[2:3]
	v_cmp_eq_u32_e32 vcc, 0, v0
	v_cndmask_b32_e64 v18, 0, 1, s[2:3]
	s_nop 0
	v_cndmask_b32_e32 v36, v18, v1, vcc
	v_cndmask_b32_e64 v19, v19, 0, vcc
	v_cndmask_b32_e64 v18, v24, 0, vcc
	v_cmp_eq_u16_sdwa vcc, v36, v25 src0_sel:BYTE_0 src1_sel:DWORD
	v_lshl_add_u64 v[18:19], v[18:19], 0, v[2:3]
	s_waitcnt lgkmcnt(0)
	v_cndmask_b32_e32 v13, 0, v13, vcc
	v_cndmask_b32_e32 v12, 0, v12, vcc
	v_lshl_add_u64 v[36:37], v[18:19], 0, v[12:13]
	v_cndmask_b32_e64 v13, 0, v37, s[30:31]
	v_cndmask_b32_e64 v12, 0, v36, s[30:31]
	v_lshl_add_u64 v[38:39], v[12:13], 0, v[4:5]
	v_cndmask_b32_e64 v13, 0, v39, s[4:5]
	v_cndmask_b32_e64 v12, 0, v38, s[4:5]
	;; [unrolled: 3-line block ×13, first 2 shown]
	v_lshl_add_u64 v[62:63], v[12:13], 0, v[6:7]
	s_branch .LBB697_189
.LBB697_147:
	s_or_b64 exec, exec, s[48:49]
                                        ; implicit-def: $vgpr6_vgpr7
	s_and_saveexec_b64 s[48:49], s[28:29]
	s_cbranch_execz .LBB697_31
.LBB697_148:
	v_mov_b32_e32 v3, 0
	v_lshl_add_u64 v[6:7], s[30:31], 0, v[2:3]
	flat_load_dwordx2 v[6:7], v[6:7] offset:2048
	s_or_b64 exec, exec, s[48:49]
                                        ; implicit-def: $vgpr8_vgpr9
	s_and_saveexec_b64 s[28:29], s[4:5]
	s_cbranch_execnz .LBB697_32
.LBB697_149:
	s_or_b64 exec, exec, s[28:29]
                                        ; implicit-def: $vgpr10_vgpr11
	s_and_saveexec_b64 s[4:5], s[6:7]
	s_cbranch_execz .LBB697_33
.LBB697_150:
	v_lshlrev_b32_e32 v10, 3, v32
	v_mov_b32_e32 v11, 0
	v_lshl_add_u64 v[10:11], s[30:31], 0, v[10:11]
	flat_load_dwordx2 v[10:11], v[10:11]
	s_or_b64 exec, exec, s[4:5]
                                        ; implicit-def: $vgpr12_vgpr13
	s_and_saveexec_b64 s[4:5], s[8:9]
	s_cbranch_execnz .LBB697_34
.LBB697_151:
	s_or_b64 exec, exec, s[4:5]
                                        ; implicit-def: $vgpr14_vgpr15
	s_and_saveexec_b64 s[4:5], s[10:11]
	s_cbranch_execz .LBB697_35
.LBB697_152:
	v_lshlrev_b32_e32 v14, 3, v34
	v_mov_b32_e32 v15, 0
	v_lshl_add_u64 v[14:15], s[30:31], 0, v[14:15]
	flat_load_dwordx2 v[14:15], v[14:15]
	s_or_b64 exec, exec, s[4:5]
                                        ; implicit-def: $vgpr16_vgpr17
	s_and_saveexec_b64 s[4:5], s[12:13]
	s_cbranch_execnz .LBB697_36
.LBB697_153:
	s_or_b64 exec, exec, s[4:5]
                                        ; implicit-def: $vgpr18_vgpr19
	s_and_saveexec_b64 s[4:5], s[14:15]
	s_cbranch_execz .LBB697_37
.LBB697_154:
	v_lshlrev_b32_e32 v18, 3, v36
	v_mov_b32_e32 v19, 0
	v_lshl_add_u64 v[18:19], s[30:31], 0, v[18:19]
	flat_load_dwordx2 v[18:19], v[18:19]
	s_or_b64 exec, exec, s[4:5]
                                        ; implicit-def: $vgpr20_vgpr21
	s_and_saveexec_b64 s[4:5], s[16:17]
	s_cbranch_execnz .LBB697_38
.LBB697_155:
	s_or_b64 exec, exec, s[4:5]
                                        ; implicit-def: $vgpr22_vgpr23
	s_and_saveexec_b64 s[4:5], s[18:19]
	s_cbranch_execz .LBB697_39
.LBB697_156:
	v_lshlrev_b32_e32 v22, 3, v43
	v_mov_b32_e32 v23, 0
	v_lshl_add_u64 v[22:23], s[30:31], 0, v[22:23]
	flat_load_dwordx2 v[22:23], v[22:23]
	s_or_b64 exec, exec, s[4:5]
                                        ; implicit-def: $vgpr24_vgpr25
	s_and_saveexec_b64 s[4:5], s[20:21]
	s_cbranch_execnz .LBB697_40
.LBB697_157:
	s_or_b64 exec, exec, s[4:5]
                                        ; implicit-def: $vgpr26_vgpr27
	s_and_saveexec_b64 s[4:5], s[22:23]
	s_cbranch_execz .LBB697_41
.LBB697_158:
	v_lshlrev_b32_e32 v26, 3, v45
	v_mov_b32_e32 v27, 0
	v_lshl_add_u64 v[26:27], s[30:31], 0, v[26:27]
	flat_load_dwordx2 v[26:27], v[26:27]
	s_or_b64 exec, exec, s[4:5]
                                        ; implicit-def: $vgpr28_vgpr29
	s_and_saveexec_b64 s[4:5], s[24:25]
	s_cbranch_execz .LBB697_43
	s_branch .LBB697_42
.LBB697_159:
                                        ; implicit-def: $vgpr62_vgpr63
                                        ; implicit-def: $vgpr58_vgpr59
                                        ; implicit-def: $vgpr54_vgpr55
                                        ; implicit-def: $vgpr50_vgpr51
                                        ; implicit-def: $vgpr46_vgpr47
                                        ; implicit-def: $vgpr42_vgpr43
                                        ; implicit-def: $vgpr38_vgpr39
	s_cbranch_execz .LBB697_189
; %bb.160:
	s_cmp_lg_u64 s[56:57], 0
	s_cselect_b32 s5, s55, 0
	s_cselect_b32 s4, s54, 0
	s_cmp_lg_u64 s[4:5], 0
	s_cselect_b64 s[6:7], -1, 0
	v_cmp_eq_u32_e32 vcc, 0, v0
	v_cmp_ne_u32_e64 s[2:3], 0, v0
	s_and_b64 s[8:9], vcc, s[6:7]
	s_and_saveexec_b64 s[6:7], s[8:9]
	s_cbranch_execz .LBB697_162
; %bb.161:
	v_mov_b32_e32 v18, 0
	global_load_dwordx2 v[12:13], v18, s[4:5]
	global_load_ubyte v19, v18, s[4:5] offset:8
	v_cmp_eq_u16_sdwa s[4:5], v1, v18 src0_sel:BYTE_0 src1_sel:DWORD
	s_waitcnt vmcnt(0)
	v_or_b32_e32 v1, v1, v19
	v_cndmask_b32_e64 v13, 0, v13, s[4:5]
	v_cndmask_b32_e64 v12, 0, v12, s[4:5]
	v_lshl_add_u64 v[2:3], v[12:13], 0, v[2:3]
	v_and_b32_e32 v1, 1, v1
.LBB697_162:
	s_or_b64 exec, exec, s[6:7]
	v_mov_b32_e32 v19, 0
	v_cmp_eq_u16_sdwa s[4:5], v72, v19 src0_sel:BYTE_0 src1_sel:DWORD
	v_cmp_eq_u16_sdwa s[6:7], v74, v19 src0_sel:BYTE_0 src1_sel:DWORD
	v_cmp_eq_u16_sdwa s[8:9], v75, v19 src0_sel:BYTE_0 src1_sel:DWORD
	v_cndmask_b32_e64 v13, 0, v3, s[4:5]
	v_cndmask_b32_e64 v12, 0, v2, s[4:5]
	v_lshl_add_u64 v[38:39], v[12:13], 0, v[4:5]
	v_cndmask_b32_e64 v13, 0, v39, s[6:7]
	v_cndmask_b32_e64 v12, 0, v38, s[6:7]
	v_lshl_add_u64 v[40:41], v[12:13], 0, v[8:9]
	v_cndmask_b32_e64 v13, 0, v41, s[8:9]
	v_cndmask_b32_e64 v12, 0, v40, s[8:9]
	v_lshl_add_u64 v[42:43], v[12:13], 0, v[10:11]
	v_cmp_eq_u16_sdwa s[10:11], v76, v19 src0_sel:BYTE_0 src1_sel:DWORD
	v_cmp_eq_u16_sdwa s[12:13], v77, v19 src0_sel:BYTE_0 src1_sel:DWORD
	v_cmp_eq_u16_sdwa s[14:15], v78, v19 src0_sel:BYTE_0 src1_sel:DWORD
	v_cndmask_b32_e64 v13, 0, v43, s[10:11]
	v_cndmask_b32_e64 v12, 0, v42, s[10:11]
	v_lshl_add_u64 v[44:45], v[12:13], 0, v[14:15]
	v_cndmask_b32_e64 v13, 0, v45, s[12:13]
	v_cndmask_b32_e64 v12, 0, v44, s[12:13]
	v_lshl_add_u64 v[46:47], v[12:13], 0, v[16:17]
	v_cndmask_b32_e64 v13, 0, v47, s[14:15]
	v_cndmask_b32_e64 v12, 0, v46, s[14:15]
	v_lshl_add_u64 v[48:49], v[12:13], 0, v[20:21]
	;; [unrolled: 12-line block ×4, first 2 shown]
	v_cmp_eq_u16_sdwa s[28:29], v31, v19 src0_sel:BYTE_0 src1_sel:DWORD
	v_and_b32_e32 v18, 0xff, v1
	v_mbcnt_hi_u32_b32 v24, -1, v64
	v_cndmask_b32_e64 v13, 0, v61, s[28:29]
	v_cndmask_b32_e64 v12, 0, v60, s[28:29]
	v_lshl_add_u64 v[62:63], v[12:13], 0, v[6:7]
	v_or_b32_e32 v12, v65, v82
	v_or_b32_e32 v12, v12, v81
	;; [unrolled: 1-line block ×10, first 2 shown]
	v_and_b32_e32 v12, 1, v12
	v_cmp_eq_u32_e64 s[30:31], 1, v12
	v_and_b32_e32 v31, 15, v24
	v_mov_b32_dpp v37, v62 row_shr:1 row_mask:0xf bank_mask:0xf
	v_cndmask_b32_e64 v25, v18, 1, s[30:31]
	v_mov_b32_dpp v64, v63 row_shr:1 row_mask:0xf bank_mask:0xf
	v_cmp_ne_u32_e64 s[30:31], 0, v31
	v_mov_b32_dpp v36, v25 row_shr:1 row_mask:0xf bank_mask:0xf
	v_mov_b64_e32 v[12:13], v[62:63]
	v_mov_b32_e32 v19, v63
	v_mov_b32_e32 v18, v62
	s_and_saveexec_b64 s[34:35], s[30:31]
; %bb.163:
	v_cmp_eq_u32_e64 s[30:31], 0, v25
	v_and_or_b32 v25, v36, 1, v25
	s_nop 0
	v_cndmask_b32_e64 v13, 0, v64, s[30:31]
	v_cndmask_b32_e64 v12, 0, v37, s[30:31]
	v_lshl_add_u64 v[12:13], v[62:63], 0, v[12:13]
	v_mov_b32_e32 v19, v13
	v_mov_b32_e32 v18, v12
; %bb.164:
	s_or_b64 exec, exec, s[34:35]
	s_nop 0
	v_mov_b32_dpp v37, v18 row_shr:2 row_mask:0xf bank_mask:0xf
	v_mov_b32_dpp v64, v19 row_shr:2 row_mask:0xf bank_mask:0xf
	v_mov_b32_dpp v36, v25 row_shr:2 row_mask:0xf bank_mask:0xf
	v_cmp_lt_u32_e64 s[30:31], 1, v31
	s_and_saveexec_b64 s[34:35], s[30:31]
; %bb.165:
	v_cmp_eq_u32_e64 s[30:31], 0, v25
	s_nop 1
	v_cndmask_b32_e64 v19, 0, v64, s[30:31]
	v_cndmask_b32_e64 v18, 0, v37, s[30:31]
	v_lshl_add_u64 v[18:19], v[18:19], 0, v[12:13]
	v_or_b32_e32 v12, v36, v25
	v_and_b32_e32 v25, 1, v12
	v_mov_b64_e32 v[12:13], v[18:19]
; %bb.166:
	s_or_b64 exec, exec, s[34:35]
	v_mov_b32_dpp v37, v18 row_shr:4 row_mask:0xf bank_mask:0xf
	v_mov_b32_dpp v64, v19 row_shr:4 row_mask:0xf bank_mask:0xf
	v_mov_b32_dpp v36, v25 row_shr:4 row_mask:0xf bank_mask:0xf
	v_cmp_lt_u32_e64 s[30:31], 3, v31
	s_and_saveexec_b64 s[34:35], s[30:31]
; %bb.167:
	v_cmp_eq_u32_e64 s[30:31], 0, v25
	s_nop 1
	v_cndmask_b32_e64 v19, 0, v64, s[30:31]
	v_cndmask_b32_e64 v18, 0, v37, s[30:31]
	v_lshl_add_u64 v[18:19], v[18:19], 0, v[12:13]
	v_or_b32_e32 v12, v36, v25
	v_and_b32_e32 v25, 1, v12
	v_mov_b64_e32 v[12:13], v[18:19]
; %bb.168:
	s_or_b64 exec, exec, s[34:35]
	;; [unrolled: 16-line block ×3, first 2 shown]
	v_and_b32_e32 v64, 16, v24
	v_mov_b32_dpp v36, v18 row_bcast:15 row_mask:0xf bank_mask:0xf
	v_mov_b32_dpp v37, v19 row_bcast:15 row_mask:0xf bank_mask:0xf
	;; [unrolled: 1-line block ×3, first 2 shown]
	v_cmp_ne_u32_e64 s[30:31], 0, v64
	s_and_saveexec_b64 s[34:35], s[30:31]
; %bb.171:
	v_cmp_eq_u32_e64 s[30:31], 0, v25
	s_nop 1
	v_cndmask_b32_e64 v19, 0, v37, s[30:31]
	v_cndmask_b32_e64 v18, 0, v36, s[30:31]
	v_lshl_add_u64 v[12:13], v[18:19], 0, v[12:13]
	v_or_b32_e32 v18, v31, v25
	v_and_b32_e32 v25, 1, v18
	v_mov_b32_e32 v19, v13
	v_mov_b32_e32 v18, v12
; %bb.172:
	s_or_b64 exec, exec, s[34:35]
	s_nop 0
	v_mov_b32_dpp v31, v18 row_bcast:31 row_mask:0xf bank_mask:0xf
	v_mov_b32_dpp v36, v19 row_bcast:31 row_mask:0xf bank_mask:0xf
	;; [unrolled: 1-line block ×3, first 2 shown]
	v_cmp_lt_u32_e64 s[30:31], 31, v24
	v_mov_b32_e32 v18, v25
	s_and_saveexec_b64 s[34:35], s[30:31]
; %bb.173:
	v_cmp_eq_u32_e64 s[30:31], 0, v25
	v_or_b32_e32 v19, v19, v25
	v_and_b32_e32 v18, 1, v19
	v_cndmask_b32_e64 v37, 0, v36, s[30:31]
	v_cndmask_b32_e64 v36, 0, v31, s[30:31]
	v_lshl_add_u64 v[12:13], v[36:37], 0, v[12:13]
	v_and_b32_e32 v25, 1, v19
; %bb.174:
	s_or_b64 exec, exec, s[34:35]
	v_or_b32_e32 v19, 63, v0
	v_lshrrev_b32_e32 v31, 6, v0
	v_cmp_eq_u32_e64 s[30:31], v19, v0
	s_and_saveexec_b64 s[34:35], s[30:31]
	s_cbranch_execz .LBB697_176
; %bb.175:
	v_lshlrev_b32_e32 v19, 4, v31
	ds_write_b64 v19, v[12:13]
	ds_write_b8 v19, v18 offset:8
.LBB697_176:
	s_or_b64 exec, exec, s[34:35]
	v_cmp_gt_u32_e64 s[30:31], 4, v0
	s_waitcnt lgkmcnt(0)
	s_barrier
	s_and_saveexec_b64 s[36:37], s[30:31]
	s_cbranch_execz .LBB697_182
; %bb.177:
	v_lshlrev_b32_e32 v36, 4, v0
	ds_read_b64 v[18:19], v36
	ds_read_b32 v37, v36 offset:8
	v_and_b32_e32 v64, 3, v24
	v_cmp_ne_u32_e64 s[30:31], 0, v64
	s_waitcnt lgkmcnt(1)
	v_mov_b32_dpp v68, v18 row_shr:1 row_mask:0xf bank_mask:0xf
	v_mov_b32_dpp v69, v19 row_shr:1 row_mask:0xf bank_mask:0xf
	s_waitcnt lgkmcnt(0)
	v_mov_b32_dpp v67, v37 row_shr:1 row_mask:0xf bank_mask:0xf
	v_mov_b32_e32 v65, v37
	v_mov_b32_e32 v66, v37
	s_and_saveexec_b64 s[34:35], s[30:31]
; %bb.178:
	v_mov_b32_e32 v65, 0
	v_cmp_eq_u16_sdwa s[30:31], v37, v65 src0_sel:BYTE_0 src1_sel:DWORD
	v_or_b32_e32 v66, v67, v37
	v_and_b32_e32 v65, 1, v66
	v_cndmask_b32_e64 v69, 0, v69, s[30:31]
	v_cndmask_b32_e64 v68, 0, v68, s[30:31]
	v_and_b32_e32 v66, 1, v66
	s_movk_i32 s30, 0xff00
	v_lshl_add_u64 v[18:19], v[68:69], 0, v[18:19]
	v_and_or_b32 v37, v37, s30, v66
; %bb.179:
	s_or_b64 exec, exec, s[34:35]
	v_mov_b32_dpp v67, v18 row_shr:2 row_mask:0xf bank_mask:0xf
	v_mov_b32_dpp v68, v19 row_shr:2 row_mask:0xf bank_mask:0xf
	;; [unrolled: 1-line block ×3, first 2 shown]
	v_cmp_lt_u32_e64 s[30:31], 1, v64
	s_and_saveexec_b64 s[48:49], s[30:31]
; %bb.180:
	v_mov_b32_e32 v64, 0
	v_cmp_eq_u16_sdwa s[30:31], v66, v64 src0_sel:BYTE_0 src1_sel:DWORD
	v_and_b32_e32 v37, 1, v37
	v_cmp_eq_u32_e64 s[34:35], 1, v37
	v_cndmask_b32_e64 v65, 0, v68, s[30:31]
	v_cndmask_b32_e64 v64, 0, v67, s[30:31]
	v_lshl_add_u64 v[18:19], v[64:65], 0, v[18:19]
	v_and_b32_e32 v64, 1, v66
	v_cmp_eq_u32_e64 s[30:31], 1, v64
	s_or_b64 s[30:31], s[30:31], s[34:35]
	s_nop 0
	v_cndmask_b32_e64 v65, 0, 1, s[30:31]
; %bb.181:
	s_or_b64 exec, exec, s[48:49]
	ds_write_b64 v36, v[18:19]
	ds_write_b8 v36, v65 offset:8
.LBB697_182:
	s_or_b64 exec, exec, s[36:37]
	v_cmp_lt_u32_e64 s[30:31], 63, v0
	v_mov_b64_e32 v[18:19], 0
	s_waitcnt lgkmcnt(0)
	s_barrier
	s_and_saveexec_b64 s[34:35], s[30:31]
	s_cbranch_execz .LBB697_184
; %bb.183:
	v_lshl_add_u32 v18, v31, 4, -16
	ds_read_b64 v[18:19], v18
	v_cmp_eq_u32_e64 s[30:31], 0, v25
	s_waitcnt lgkmcnt(0)
	s_nop 0
	v_cndmask_b32_e64 v37, 0, v19, s[30:31]
	v_cndmask_b32_e64 v36, 0, v18, s[30:31]
	v_lshl_add_u64 v[12:13], v[36:37], 0, v[12:13]
.LBB697_184:
	s_or_b64 exec, exec, s[34:35]
	v_add_u32_e32 v25, -1, v24
	v_and_b32_e32 v31, 64, v24
	v_cmp_lt_i32_e64 s[30:31], v25, v31
	s_nop 1
	v_cndmask_b32_e64 v25, v25, v24, s[30:31]
	v_lshlrev_b32_e32 v25, 2, v25
	ds_bpermute_b32 v12, v25, v12
	ds_bpermute_b32 v13, v25, v13
	s_and_saveexec_b64 s[30:31], s[2:3]
	s_cbranch_execz .LBB697_186
; %bb.185:
	v_cmp_eq_u32_e64 s[2:3], 0, v24
	;;#ASMSTART
	;;#ASMEND
	s_waitcnt lgkmcnt(1)
	s_nop 0
	v_cndmask_b32_e64 v12, v12, v18, s[2:3]
	v_mov_b32_e32 v18, 0
	s_waitcnt lgkmcnt(0)
	v_cndmask_b32_e64 v13, v13, v19, s[2:3]
	v_cmp_eq_u16_sdwa s[2:3], v1, v18 src0_sel:BYTE_0 src1_sel:DWORD
	s_nop 1
	v_cndmask_b32_e64 v13, 0, v13, s[2:3]
	v_cndmask_b32_e64 v12, 0, v12, s[2:3]
	v_lshl_add_u64 v[2:3], v[12:13], 0, v[2:3]
	v_cndmask_b32_e64 v13, 0, v3, s[4:5]
	v_cndmask_b32_e64 v12, 0, v2, s[4:5]
	v_lshl_add_u64 v[38:39], v[12:13], 0, v[4:5]
	;; [unrolled: 3-line block ×14, first 2 shown]
.LBB697_186:
	s_or_b64 exec, exec, s[30:31]
	s_and_saveexec_b64 s[2:3], vcc
	s_cbranch_execz .LBB697_188
; %bb.187:
	v_mov_b32_e32 v1, 0
	ds_read_b64 v[4:5], v1 offset:48
	ds_read_u8 v6, v1 offset:56
	s_waitcnt lgkmcnt(1)
	global_store_dword v1, v4, s[38:39] offset:1024 sc1
	global_store_dword v1, v5, s[38:39] offset:1028 sc1
	s_waitcnt lgkmcnt(0)
	global_store_dword v1, v6, s[38:39] offset:1032 sc1
	global_store_dword v1, v1, s[38:39] offset:1036 sc1
	v_mov_b32_e32 v4, 2
	s_waitcnt vmcnt(0)
	global_store_byte v1, v4, s[40:41] offset:64 sc1
.LBB697_188:
	s_or_b64 exec, exec, s[2:3]
	v_mov_b64_e32 v[36:37], v[2:3]
.LBB697_189:
	s_add_u32 s2, s50, s46
	s_addc_u32 s3, s51, s47
	s_add_u32 s2, s2, s44
	v_mul_u32_u24_e32 v1, 14, v0
	s_addc_u32 s3, s3, s45
	s_and_b64 vcc, exec, s[0:1]
	v_lshlrev_b32_e32 v32, 3, v1
	s_cbranch_vccz .LBB697_217
; %bb.190:
	s_movk_i32 s0, 0xff98
	v_mad_i32_i24 v1, v0, s0, v32
	s_waitcnt lgkmcnt(0)
	s_barrier
	ds_write_b128 v32, v[36:39]
	ds_write_b128 v32, v[40:43] offset:16
	ds_write_b128 v32, v[44:47] offset:32
	;; [unrolled: 1-line block ×6, first 2 shown]
	s_waitcnt lgkmcnt(0)
	s_barrier
	ds_read2st64_b64 v[26:29], v1 offset0:4 offset1:8
	ds_read2st64_b64 v[22:25], v1 offset0:12 offset1:16
	;; [unrolled: 1-line block ×6, first 2 shown]
	ds_read_b64 v[4:5], v1 offset:26624
	s_add_i32 s33, s33, s42
	v_mov_b32_e32 v31, 0
	v_lshl_add_u64 v[2:3], s[2:3], 0, v[30:31]
	v_cmp_gt_u32_e32 vcc, s33, v0
	s_and_saveexec_b64 s[0:1], vcc
	s_cbranch_execz .LBB697_192
; %bb.191:
	v_mul_i32_i24_e32 v1, 0xffffff98, v0
	v_add_u32_e32 v1, v32, v1
	ds_read_b64 v[34:35], v1
	s_waitcnt lgkmcnt(0)
	flat_store_dwordx2 v[2:3], v[34:35]
.LBB697_192:
	s_or_b64 exec, exec, s[0:1]
	v_or_b32_e32 v1, 0x100, v0
	v_cmp_gt_u32_e32 vcc, s33, v1
	s_and_saveexec_b64 s[0:1], vcc
	s_cbranch_execz .LBB697_194
; %bb.193:
	s_waitcnt lgkmcnt(0)
	flat_store_dwordx2 v[2:3], v[26:27] offset:2048
.LBB697_194:
	s_or_b64 exec, exec, s[0:1]
	v_or_b32_e32 v1, 0x200, v0
	v_cmp_gt_u32_e32 vcc, s33, v1
	s_and_saveexec_b64 s[0:1], vcc
	s_cbranch_execz .LBB697_196
; %bb.195:
	s_waitcnt lgkmcnt(0)
	v_add_co_u32_e32 v26, vcc, 0x1000, v2
	s_nop 1
	v_addc_co_u32_e32 v27, vcc, 0, v3, vcc
	flat_store_dwordx2 v[26:27], v[28:29]
.LBB697_196:
	s_or_b64 exec, exec, s[0:1]
	v_or_b32_e32 v1, 0x300, v0
	v_cmp_gt_u32_e32 vcc, s33, v1
	s_and_saveexec_b64 s[0:1], vcc
	s_cbranch_execz .LBB697_198
; %bb.197:
	s_waitcnt lgkmcnt(0)
	v_add_co_u32_e32 v26, vcc, 0x1000, v2
	s_nop 1
	v_addc_co_u32_e32 v27, vcc, 0, v3, vcc
	flat_store_dwordx2 v[26:27], v[22:23] offset:2048
.LBB697_198:
	s_or_b64 exec, exec, s[0:1]
	v_or_b32_e32 v1, 0x400, v0
	v_cmp_gt_u32_e32 vcc, s33, v1
	s_and_saveexec_b64 s[0:1], vcc
	s_cbranch_execz .LBB697_200
; %bb.199:
	s_waitcnt lgkmcnt(0)
	v_add_co_u32_e32 v22, vcc, 0x2000, v2
	s_nop 1
	v_addc_co_u32_e32 v23, vcc, 0, v3, vcc
	flat_store_dwordx2 v[22:23], v[24:25]
.LBB697_200:
	s_or_b64 exec, exec, s[0:1]
	v_or_b32_e32 v1, 0x500, v0
	v_cmp_gt_u32_e32 vcc, s33, v1
	s_and_saveexec_b64 s[0:1], vcc
	s_cbranch_execz .LBB697_202
; %bb.201:
	s_waitcnt lgkmcnt(0)
	v_add_co_u32_e32 v22, vcc, 0x2000, v2
	s_nop 1
	v_addc_co_u32_e32 v23, vcc, 0, v3, vcc
	flat_store_dwordx2 v[22:23], v[18:19] offset:2048
.LBB697_202:
	s_or_b64 exec, exec, s[0:1]
	v_or_b32_e32 v1, 0x600, v0
	v_cmp_gt_u32_e32 vcc, s33, v1
	s_and_saveexec_b64 s[0:1], vcc
	s_cbranch_execz .LBB697_204
; %bb.203:
	s_waitcnt lgkmcnt(0)
	v_add_co_u32_e32 v18, vcc, 0x3000, v2
	s_nop 1
	v_addc_co_u32_e32 v19, vcc, 0, v3, vcc
	flat_store_dwordx2 v[18:19], v[20:21]
.LBB697_204:
	s_or_b64 exec, exec, s[0:1]
	v_or_b32_e32 v1, 0x700, v0
	v_cmp_gt_u32_e32 vcc, s33, v1
	s_and_saveexec_b64 s[0:1], vcc
	s_cbranch_execz .LBB697_206
; %bb.205:
	s_waitcnt lgkmcnt(0)
	v_add_co_u32_e32 v18, vcc, 0x3000, v2
	s_nop 1
	v_addc_co_u32_e32 v19, vcc, 0, v3, vcc
	flat_store_dwordx2 v[18:19], v[14:15] offset:2048
.LBB697_206:
	s_or_b64 exec, exec, s[0:1]
	v_or_b32_e32 v1, 0x800, v0
	v_cmp_gt_u32_e32 vcc, s33, v1
	s_and_saveexec_b64 s[0:1], vcc
	s_cbranch_execz .LBB697_208
; %bb.207:
	s_waitcnt lgkmcnt(0)
	v_add_co_u32_e32 v14, vcc, 0x4000, v2
	s_nop 1
	v_addc_co_u32_e32 v15, vcc, 0, v3, vcc
	flat_store_dwordx2 v[14:15], v[16:17]
.LBB697_208:
	s_or_b64 exec, exec, s[0:1]
	v_or_b32_e32 v1, 0x900, v0
	v_cmp_gt_u32_e32 vcc, s33, v1
	s_and_saveexec_b64 s[0:1], vcc
	s_cbranch_execz .LBB697_210
; %bb.209:
	s_waitcnt lgkmcnt(0)
	v_add_co_u32_e32 v14, vcc, 0x4000, v2
	s_nop 1
	v_addc_co_u32_e32 v15, vcc, 0, v3, vcc
	flat_store_dwordx2 v[14:15], v[10:11] offset:2048
.LBB697_210:
	s_or_b64 exec, exec, s[0:1]
	v_or_b32_e32 v1, 0xa00, v0
	v_cmp_gt_u32_e32 vcc, s33, v1
	s_and_saveexec_b64 s[0:1], vcc
	s_cbranch_execz .LBB697_212
; %bb.211:
	s_waitcnt lgkmcnt(0)
	v_add_co_u32_e32 v10, vcc, 0x5000, v2
	s_nop 1
	v_addc_co_u32_e32 v11, vcc, 0, v3, vcc
	flat_store_dwordx2 v[10:11], v[12:13]
.LBB697_212:
	s_or_b64 exec, exec, s[0:1]
	v_or_b32_e32 v1, 0xb00, v0
	v_cmp_gt_u32_e32 vcc, s33, v1
	s_and_saveexec_b64 s[0:1], vcc
	s_cbranch_execz .LBB697_214
; %bb.213:
	s_waitcnt lgkmcnt(0)
	v_add_co_u32_e32 v10, vcc, 0x5000, v2
	s_nop 1
	v_addc_co_u32_e32 v11, vcc, 0, v3, vcc
	flat_store_dwordx2 v[10:11], v[6:7] offset:2048
.LBB697_214:
	s_or_b64 exec, exec, s[0:1]
	v_or_b32_e32 v1, 0xc00, v0
	v_cmp_gt_u32_e32 vcc, s33, v1
	s_and_saveexec_b64 s[0:1], vcc
	s_cbranch_execz .LBB697_216
; %bb.215:
	v_add_co_u32_e32 v2, vcc, 0x6000, v2
	s_nop 1
	v_addc_co_u32_e32 v3, vcc, 0, v3, vcc
	s_waitcnt lgkmcnt(0)
	flat_store_dwordx2 v[2:3], v[8:9]
.LBB697_216:
	s_or_b64 exec, exec, s[0:1]
	v_or_b32_e32 v2, 0xd00, v0
	v_mov_b32_e32 v1, v31
	v_cmp_gt_u32_e64 s[0:1], s33, v2
	s_branch .LBB697_219
.LBB697_217:
	s_mov_b64 s[0:1], 0
                                        ; implicit-def: $vgpr4_vgpr5
	s_cbranch_execz .LBB697_219
; %bb.218:
	v_mov_b32_e32 v1, 0
	s_movk_i32 s4, 0xff98
	v_mad_i32_i24 v2, v0, s4, v32
	v_mov_b32_e32 v31, v1
	s_waitcnt lgkmcnt(0)
	s_barrier
	ds_write_b128 v32, v[36:39]
	ds_write_b128 v32, v[40:43] offset:16
	ds_write_b128 v32, v[44:47] offset:32
	ds_write_b128 v32, v[48:51] offset:48
	ds_write_b128 v32, v[52:55] offset:64
	ds_write_b128 v32, v[56:59] offset:80
	ds_write_b128 v32, v[60:63] offset:96
	s_waitcnt lgkmcnt(0)
	s_barrier
	ds_read2st64_b64 v[6:9], v2 offset1:4
	ds_read2st64_b64 v[10:13], v2 offset0:8 offset1:12
	ds_read2st64_b64 v[14:17], v2 offset0:16 offset1:20
	;; [unrolled: 1-line block ×6, first 2 shown]
	v_lshl_add_u64 v[30:31], s[2:3], 0, v[30:31]
	s_movk_i32 s4, 0x1000
	s_waitcnt lgkmcnt(0)
	flat_store_dwordx2 v[30:31], v[6:7]
	flat_store_dwordx2 v[30:31], v[8:9] offset:2048
	v_add_co_u32_e32 v6, vcc, s4, v30
	s_movk_i32 s4, 0x2000
	s_nop 0
	v_addc_co_u32_e32 v7, vcc, 0, v31, vcc
	flat_store_dwordx2 v[6:7], v[10:11]
	flat_store_dwordx2 v[6:7], v[12:13] offset:2048
	v_add_co_u32_e32 v6, vcc, s4, v30
	s_movk_i32 s4, 0x3000
	s_nop 0
	v_addc_co_u32_e32 v7, vcc, 0, v31, vcc
	;; [unrolled: 6-line block ×3, first 2 shown]
	flat_store_dwordx2 v[6:7], v[18:19]
	flat_store_dwordx2 v[6:7], v[20:21] offset:2048
	v_add_co_u32_e32 v6, vcc, s4, v30
	s_or_b64 s[0:1], s[0:1], exec
	s_nop 0
	v_addc_co_u32_e32 v7, vcc, 0, v31, vcc
	flat_store_dwordx2 v[6:7], v[22:23]
	flat_store_dwordx2 v[6:7], v[24:25] offset:2048
	v_add_co_u32_e32 v6, vcc, 0x5000, v30
	s_nop 1
	v_addc_co_u32_e32 v7, vcc, 0, v31, vcc
	flat_store_dwordx2 v[6:7], v[26:27]
	flat_store_dwordx2 v[6:7], v[28:29] offset:2048
	v_add_co_u32_e32 v6, vcc, 0x6000, v30
	s_nop 1
	v_addc_co_u32_e32 v7, vcc, 0, v31, vcc
	flat_store_dwordx2 v[6:7], v[2:3]
.LBB697_219:
	s_and_saveexec_b64 s[4:5], s[0:1]
	s_cbranch_execz .LBB697_221
; %bb.220:
	v_lshl_add_u64 v[0:1], v[0:1], 3, s[2:3]
	v_add_co_u32_e32 v0, vcc, 0x6000, v0
	s_nop 1
	v_addc_co_u32_e32 v1, vcc, 0, v1, vcc
	s_waitcnt lgkmcnt(0)
	flat_store_dwordx2 v[0:1], v[4:5] offset:2048
	s_endpgm
.LBB697_221:
	s_endpgm
	.section	.rodata,"a",@progbits
	.p2align	6, 0x0
	.amdhsa_kernel _ZN7rocprim17ROCPRIM_400000_NS6detail17trampoline_kernelINS0_14default_configENS1_27scan_by_key_config_selectorIxxEEZZNS1_16scan_by_key_implILNS1_25lookback_scan_determinismE0ELb0ES3_N6thrust23THRUST_200600_302600_NS6detail15normal_iteratorINS9_10device_ptrIxEEEESE_SE_xNS9_4plusIxEE19head_flag_predicatexEE10hipError_tPvRmT2_T3_T4_T5_mT6_T7_P12ihipStream_tbENKUlT_T0_E_clISt17integral_constantIbLb1EESX_IbLb0EEEEDaST_SU_EUlST_E_NS1_11comp_targetILNS1_3genE5ELNS1_11target_archE942ELNS1_3gpuE9ELNS1_3repE0EEENS1_30default_config_static_selectorELNS0_4arch9wavefront6targetE1EEEvT1_
		.amdhsa_group_segment_fixed_size 32768
		.amdhsa_private_segment_fixed_size 0
		.amdhsa_kernarg_size 136
		.amdhsa_user_sgpr_count 2
		.amdhsa_user_sgpr_dispatch_ptr 0
		.amdhsa_user_sgpr_queue_ptr 0
		.amdhsa_user_sgpr_kernarg_segment_ptr 1
		.amdhsa_user_sgpr_dispatch_id 0
		.amdhsa_user_sgpr_kernarg_preload_length 0
		.amdhsa_user_sgpr_kernarg_preload_offset 0
		.amdhsa_user_sgpr_private_segment_size 0
		.amdhsa_uses_dynamic_stack 0
		.amdhsa_enable_private_segment 0
		.amdhsa_system_sgpr_workgroup_id_x 1
		.amdhsa_system_sgpr_workgroup_id_y 0
		.amdhsa_system_sgpr_workgroup_id_z 0
		.amdhsa_system_sgpr_workgroup_info 0
		.amdhsa_system_vgpr_workitem_id 0
		.amdhsa_next_free_vgpr 85
		.amdhsa_next_free_sgpr 60
		.amdhsa_accum_offset 88
		.amdhsa_reserve_vcc 1
		.amdhsa_float_round_mode_32 0
		.amdhsa_float_round_mode_16_64 0
		.amdhsa_float_denorm_mode_32 3
		.amdhsa_float_denorm_mode_16_64 3
		.amdhsa_dx10_clamp 1
		.amdhsa_ieee_mode 1
		.amdhsa_fp16_overflow 0
		.amdhsa_tg_split 0
		.amdhsa_exception_fp_ieee_invalid_op 0
		.amdhsa_exception_fp_denorm_src 0
		.amdhsa_exception_fp_ieee_div_zero 0
		.amdhsa_exception_fp_ieee_overflow 0
		.amdhsa_exception_fp_ieee_underflow 0
		.amdhsa_exception_fp_ieee_inexact 0
		.amdhsa_exception_int_div_zero 0
	.end_amdhsa_kernel
	.section	.text._ZN7rocprim17ROCPRIM_400000_NS6detail17trampoline_kernelINS0_14default_configENS1_27scan_by_key_config_selectorIxxEEZZNS1_16scan_by_key_implILNS1_25lookback_scan_determinismE0ELb0ES3_N6thrust23THRUST_200600_302600_NS6detail15normal_iteratorINS9_10device_ptrIxEEEESE_SE_xNS9_4plusIxEE19head_flag_predicatexEE10hipError_tPvRmT2_T3_T4_T5_mT6_T7_P12ihipStream_tbENKUlT_T0_E_clISt17integral_constantIbLb1EESX_IbLb0EEEEDaST_SU_EUlST_E_NS1_11comp_targetILNS1_3genE5ELNS1_11target_archE942ELNS1_3gpuE9ELNS1_3repE0EEENS1_30default_config_static_selectorELNS0_4arch9wavefront6targetE1EEEvT1_,"axG",@progbits,_ZN7rocprim17ROCPRIM_400000_NS6detail17trampoline_kernelINS0_14default_configENS1_27scan_by_key_config_selectorIxxEEZZNS1_16scan_by_key_implILNS1_25lookback_scan_determinismE0ELb0ES3_N6thrust23THRUST_200600_302600_NS6detail15normal_iteratorINS9_10device_ptrIxEEEESE_SE_xNS9_4plusIxEE19head_flag_predicatexEE10hipError_tPvRmT2_T3_T4_T5_mT6_T7_P12ihipStream_tbENKUlT_T0_E_clISt17integral_constantIbLb1EESX_IbLb0EEEEDaST_SU_EUlST_E_NS1_11comp_targetILNS1_3genE5ELNS1_11target_archE942ELNS1_3gpuE9ELNS1_3repE0EEENS1_30default_config_static_selectorELNS0_4arch9wavefront6targetE1EEEvT1_,comdat
.Lfunc_end697:
	.size	_ZN7rocprim17ROCPRIM_400000_NS6detail17trampoline_kernelINS0_14default_configENS1_27scan_by_key_config_selectorIxxEEZZNS1_16scan_by_key_implILNS1_25lookback_scan_determinismE0ELb0ES3_N6thrust23THRUST_200600_302600_NS6detail15normal_iteratorINS9_10device_ptrIxEEEESE_SE_xNS9_4plusIxEE19head_flag_predicatexEE10hipError_tPvRmT2_T3_T4_T5_mT6_T7_P12ihipStream_tbENKUlT_T0_E_clISt17integral_constantIbLb1EESX_IbLb0EEEEDaST_SU_EUlST_E_NS1_11comp_targetILNS1_3genE5ELNS1_11target_archE942ELNS1_3gpuE9ELNS1_3repE0EEENS1_30default_config_static_selectorELNS0_4arch9wavefront6targetE1EEEvT1_, .Lfunc_end697-_ZN7rocprim17ROCPRIM_400000_NS6detail17trampoline_kernelINS0_14default_configENS1_27scan_by_key_config_selectorIxxEEZZNS1_16scan_by_key_implILNS1_25lookback_scan_determinismE0ELb0ES3_N6thrust23THRUST_200600_302600_NS6detail15normal_iteratorINS9_10device_ptrIxEEEESE_SE_xNS9_4plusIxEE19head_flag_predicatexEE10hipError_tPvRmT2_T3_T4_T5_mT6_T7_P12ihipStream_tbENKUlT_T0_E_clISt17integral_constantIbLb1EESX_IbLb0EEEEDaST_SU_EUlST_E_NS1_11comp_targetILNS1_3genE5ELNS1_11target_archE942ELNS1_3gpuE9ELNS1_3repE0EEENS1_30default_config_static_selectorELNS0_4arch9wavefront6targetE1EEEvT1_
                                        ; -- End function
	.section	.AMDGPU.csdata,"",@progbits
; Kernel info:
; codeLenInByte = 12088
; NumSgprs: 66
; NumVgprs: 85
; NumAgprs: 0
; TotalNumVgprs: 85
; ScratchSize: 0
; MemoryBound: 0
; FloatMode: 240
; IeeeMode: 1
; LDSByteSize: 32768 bytes/workgroup (compile time only)
; SGPRBlocks: 8
; VGPRBlocks: 10
; NumSGPRsForWavesPerEU: 66
; NumVGPRsForWavesPerEU: 85
; AccumOffset: 88
; Occupancy: 2
; WaveLimiterHint : 1
; COMPUTE_PGM_RSRC2:SCRATCH_EN: 0
; COMPUTE_PGM_RSRC2:USER_SGPR: 2
; COMPUTE_PGM_RSRC2:TRAP_HANDLER: 0
; COMPUTE_PGM_RSRC2:TGID_X_EN: 1
; COMPUTE_PGM_RSRC2:TGID_Y_EN: 0
; COMPUTE_PGM_RSRC2:TGID_Z_EN: 0
; COMPUTE_PGM_RSRC2:TIDIG_COMP_CNT: 0
; COMPUTE_PGM_RSRC3_GFX90A:ACCUM_OFFSET: 21
; COMPUTE_PGM_RSRC3_GFX90A:TG_SPLIT: 0
	.section	.text._ZN7rocprim17ROCPRIM_400000_NS6detail17trampoline_kernelINS0_14default_configENS1_27scan_by_key_config_selectorIxxEEZZNS1_16scan_by_key_implILNS1_25lookback_scan_determinismE0ELb0ES3_N6thrust23THRUST_200600_302600_NS6detail15normal_iteratorINS9_10device_ptrIxEEEESE_SE_xNS9_4plusIxEE19head_flag_predicatexEE10hipError_tPvRmT2_T3_T4_T5_mT6_T7_P12ihipStream_tbENKUlT_T0_E_clISt17integral_constantIbLb1EESX_IbLb0EEEEDaST_SU_EUlST_E_NS1_11comp_targetILNS1_3genE4ELNS1_11target_archE910ELNS1_3gpuE8ELNS1_3repE0EEENS1_30default_config_static_selectorELNS0_4arch9wavefront6targetE1EEEvT1_,"axG",@progbits,_ZN7rocprim17ROCPRIM_400000_NS6detail17trampoline_kernelINS0_14default_configENS1_27scan_by_key_config_selectorIxxEEZZNS1_16scan_by_key_implILNS1_25lookback_scan_determinismE0ELb0ES3_N6thrust23THRUST_200600_302600_NS6detail15normal_iteratorINS9_10device_ptrIxEEEESE_SE_xNS9_4plusIxEE19head_flag_predicatexEE10hipError_tPvRmT2_T3_T4_T5_mT6_T7_P12ihipStream_tbENKUlT_T0_E_clISt17integral_constantIbLb1EESX_IbLb0EEEEDaST_SU_EUlST_E_NS1_11comp_targetILNS1_3genE4ELNS1_11target_archE910ELNS1_3gpuE8ELNS1_3repE0EEENS1_30default_config_static_selectorELNS0_4arch9wavefront6targetE1EEEvT1_,comdat
	.protected	_ZN7rocprim17ROCPRIM_400000_NS6detail17trampoline_kernelINS0_14default_configENS1_27scan_by_key_config_selectorIxxEEZZNS1_16scan_by_key_implILNS1_25lookback_scan_determinismE0ELb0ES3_N6thrust23THRUST_200600_302600_NS6detail15normal_iteratorINS9_10device_ptrIxEEEESE_SE_xNS9_4plusIxEE19head_flag_predicatexEE10hipError_tPvRmT2_T3_T4_T5_mT6_T7_P12ihipStream_tbENKUlT_T0_E_clISt17integral_constantIbLb1EESX_IbLb0EEEEDaST_SU_EUlST_E_NS1_11comp_targetILNS1_3genE4ELNS1_11target_archE910ELNS1_3gpuE8ELNS1_3repE0EEENS1_30default_config_static_selectorELNS0_4arch9wavefront6targetE1EEEvT1_ ; -- Begin function _ZN7rocprim17ROCPRIM_400000_NS6detail17trampoline_kernelINS0_14default_configENS1_27scan_by_key_config_selectorIxxEEZZNS1_16scan_by_key_implILNS1_25lookback_scan_determinismE0ELb0ES3_N6thrust23THRUST_200600_302600_NS6detail15normal_iteratorINS9_10device_ptrIxEEEESE_SE_xNS9_4plusIxEE19head_flag_predicatexEE10hipError_tPvRmT2_T3_T4_T5_mT6_T7_P12ihipStream_tbENKUlT_T0_E_clISt17integral_constantIbLb1EESX_IbLb0EEEEDaST_SU_EUlST_E_NS1_11comp_targetILNS1_3genE4ELNS1_11target_archE910ELNS1_3gpuE8ELNS1_3repE0EEENS1_30default_config_static_selectorELNS0_4arch9wavefront6targetE1EEEvT1_
	.globl	_ZN7rocprim17ROCPRIM_400000_NS6detail17trampoline_kernelINS0_14default_configENS1_27scan_by_key_config_selectorIxxEEZZNS1_16scan_by_key_implILNS1_25lookback_scan_determinismE0ELb0ES3_N6thrust23THRUST_200600_302600_NS6detail15normal_iteratorINS9_10device_ptrIxEEEESE_SE_xNS9_4plusIxEE19head_flag_predicatexEE10hipError_tPvRmT2_T3_T4_T5_mT6_T7_P12ihipStream_tbENKUlT_T0_E_clISt17integral_constantIbLb1EESX_IbLb0EEEEDaST_SU_EUlST_E_NS1_11comp_targetILNS1_3genE4ELNS1_11target_archE910ELNS1_3gpuE8ELNS1_3repE0EEENS1_30default_config_static_selectorELNS0_4arch9wavefront6targetE1EEEvT1_
	.p2align	8
	.type	_ZN7rocprim17ROCPRIM_400000_NS6detail17trampoline_kernelINS0_14default_configENS1_27scan_by_key_config_selectorIxxEEZZNS1_16scan_by_key_implILNS1_25lookback_scan_determinismE0ELb0ES3_N6thrust23THRUST_200600_302600_NS6detail15normal_iteratorINS9_10device_ptrIxEEEESE_SE_xNS9_4plusIxEE19head_flag_predicatexEE10hipError_tPvRmT2_T3_T4_T5_mT6_T7_P12ihipStream_tbENKUlT_T0_E_clISt17integral_constantIbLb1EESX_IbLb0EEEEDaST_SU_EUlST_E_NS1_11comp_targetILNS1_3genE4ELNS1_11target_archE910ELNS1_3gpuE8ELNS1_3repE0EEENS1_30default_config_static_selectorELNS0_4arch9wavefront6targetE1EEEvT1_,@function
_ZN7rocprim17ROCPRIM_400000_NS6detail17trampoline_kernelINS0_14default_configENS1_27scan_by_key_config_selectorIxxEEZZNS1_16scan_by_key_implILNS1_25lookback_scan_determinismE0ELb0ES3_N6thrust23THRUST_200600_302600_NS6detail15normal_iteratorINS9_10device_ptrIxEEEESE_SE_xNS9_4plusIxEE19head_flag_predicatexEE10hipError_tPvRmT2_T3_T4_T5_mT6_T7_P12ihipStream_tbENKUlT_T0_E_clISt17integral_constantIbLb1EESX_IbLb0EEEEDaST_SU_EUlST_E_NS1_11comp_targetILNS1_3genE4ELNS1_11target_archE910ELNS1_3gpuE8ELNS1_3repE0EEENS1_30default_config_static_selectorELNS0_4arch9wavefront6targetE1EEEvT1_: ; @_ZN7rocprim17ROCPRIM_400000_NS6detail17trampoline_kernelINS0_14default_configENS1_27scan_by_key_config_selectorIxxEEZZNS1_16scan_by_key_implILNS1_25lookback_scan_determinismE0ELb0ES3_N6thrust23THRUST_200600_302600_NS6detail15normal_iteratorINS9_10device_ptrIxEEEESE_SE_xNS9_4plusIxEE19head_flag_predicatexEE10hipError_tPvRmT2_T3_T4_T5_mT6_T7_P12ihipStream_tbENKUlT_T0_E_clISt17integral_constantIbLb1EESX_IbLb0EEEEDaST_SU_EUlST_E_NS1_11comp_targetILNS1_3genE4ELNS1_11target_archE910ELNS1_3gpuE8ELNS1_3repE0EEENS1_30default_config_static_selectorELNS0_4arch9wavefront6targetE1EEEvT1_
; %bb.0:
	.section	.rodata,"a",@progbits
	.p2align	6, 0x0
	.amdhsa_kernel _ZN7rocprim17ROCPRIM_400000_NS6detail17trampoline_kernelINS0_14default_configENS1_27scan_by_key_config_selectorIxxEEZZNS1_16scan_by_key_implILNS1_25lookback_scan_determinismE0ELb0ES3_N6thrust23THRUST_200600_302600_NS6detail15normal_iteratorINS9_10device_ptrIxEEEESE_SE_xNS9_4plusIxEE19head_flag_predicatexEE10hipError_tPvRmT2_T3_T4_T5_mT6_T7_P12ihipStream_tbENKUlT_T0_E_clISt17integral_constantIbLb1EESX_IbLb0EEEEDaST_SU_EUlST_E_NS1_11comp_targetILNS1_3genE4ELNS1_11target_archE910ELNS1_3gpuE8ELNS1_3repE0EEENS1_30default_config_static_selectorELNS0_4arch9wavefront6targetE1EEEvT1_
		.amdhsa_group_segment_fixed_size 0
		.amdhsa_private_segment_fixed_size 0
		.amdhsa_kernarg_size 136
		.amdhsa_user_sgpr_count 2
		.amdhsa_user_sgpr_dispatch_ptr 0
		.amdhsa_user_sgpr_queue_ptr 0
		.amdhsa_user_sgpr_kernarg_segment_ptr 1
		.amdhsa_user_sgpr_dispatch_id 0
		.amdhsa_user_sgpr_kernarg_preload_length 0
		.amdhsa_user_sgpr_kernarg_preload_offset 0
		.amdhsa_user_sgpr_private_segment_size 0
		.amdhsa_uses_dynamic_stack 0
		.amdhsa_enable_private_segment 0
		.amdhsa_system_sgpr_workgroup_id_x 1
		.amdhsa_system_sgpr_workgroup_id_y 0
		.amdhsa_system_sgpr_workgroup_id_z 0
		.amdhsa_system_sgpr_workgroup_info 0
		.amdhsa_system_vgpr_workitem_id 0
		.amdhsa_next_free_vgpr 1
		.amdhsa_next_free_sgpr 0
		.amdhsa_accum_offset 4
		.amdhsa_reserve_vcc 0
		.amdhsa_float_round_mode_32 0
		.amdhsa_float_round_mode_16_64 0
		.amdhsa_float_denorm_mode_32 3
		.amdhsa_float_denorm_mode_16_64 3
		.amdhsa_dx10_clamp 1
		.amdhsa_ieee_mode 1
		.amdhsa_fp16_overflow 0
		.amdhsa_tg_split 0
		.amdhsa_exception_fp_ieee_invalid_op 0
		.amdhsa_exception_fp_denorm_src 0
		.amdhsa_exception_fp_ieee_div_zero 0
		.amdhsa_exception_fp_ieee_overflow 0
		.amdhsa_exception_fp_ieee_underflow 0
		.amdhsa_exception_fp_ieee_inexact 0
		.amdhsa_exception_int_div_zero 0
	.end_amdhsa_kernel
	.section	.text._ZN7rocprim17ROCPRIM_400000_NS6detail17trampoline_kernelINS0_14default_configENS1_27scan_by_key_config_selectorIxxEEZZNS1_16scan_by_key_implILNS1_25lookback_scan_determinismE0ELb0ES3_N6thrust23THRUST_200600_302600_NS6detail15normal_iteratorINS9_10device_ptrIxEEEESE_SE_xNS9_4plusIxEE19head_flag_predicatexEE10hipError_tPvRmT2_T3_T4_T5_mT6_T7_P12ihipStream_tbENKUlT_T0_E_clISt17integral_constantIbLb1EESX_IbLb0EEEEDaST_SU_EUlST_E_NS1_11comp_targetILNS1_3genE4ELNS1_11target_archE910ELNS1_3gpuE8ELNS1_3repE0EEENS1_30default_config_static_selectorELNS0_4arch9wavefront6targetE1EEEvT1_,"axG",@progbits,_ZN7rocprim17ROCPRIM_400000_NS6detail17trampoline_kernelINS0_14default_configENS1_27scan_by_key_config_selectorIxxEEZZNS1_16scan_by_key_implILNS1_25lookback_scan_determinismE0ELb0ES3_N6thrust23THRUST_200600_302600_NS6detail15normal_iteratorINS9_10device_ptrIxEEEESE_SE_xNS9_4plusIxEE19head_flag_predicatexEE10hipError_tPvRmT2_T3_T4_T5_mT6_T7_P12ihipStream_tbENKUlT_T0_E_clISt17integral_constantIbLb1EESX_IbLb0EEEEDaST_SU_EUlST_E_NS1_11comp_targetILNS1_3genE4ELNS1_11target_archE910ELNS1_3gpuE8ELNS1_3repE0EEENS1_30default_config_static_selectorELNS0_4arch9wavefront6targetE1EEEvT1_,comdat
.Lfunc_end698:
	.size	_ZN7rocprim17ROCPRIM_400000_NS6detail17trampoline_kernelINS0_14default_configENS1_27scan_by_key_config_selectorIxxEEZZNS1_16scan_by_key_implILNS1_25lookback_scan_determinismE0ELb0ES3_N6thrust23THRUST_200600_302600_NS6detail15normal_iteratorINS9_10device_ptrIxEEEESE_SE_xNS9_4plusIxEE19head_flag_predicatexEE10hipError_tPvRmT2_T3_T4_T5_mT6_T7_P12ihipStream_tbENKUlT_T0_E_clISt17integral_constantIbLb1EESX_IbLb0EEEEDaST_SU_EUlST_E_NS1_11comp_targetILNS1_3genE4ELNS1_11target_archE910ELNS1_3gpuE8ELNS1_3repE0EEENS1_30default_config_static_selectorELNS0_4arch9wavefront6targetE1EEEvT1_, .Lfunc_end698-_ZN7rocprim17ROCPRIM_400000_NS6detail17trampoline_kernelINS0_14default_configENS1_27scan_by_key_config_selectorIxxEEZZNS1_16scan_by_key_implILNS1_25lookback_scan_determinismE0ELb0ES3_N6thrust23THRUST_200600_302600_NS6detail15normal_iteratorINS9_10device_ptrIxEEEESE_SE_xNS9_4plusIxEE19head_flag_predicatexEE10hipError_tPvRmT2_T3_T4_T5_mT6_T7_P12ihipStream_tbENKUlT_T0_E_clISt17integral_constantIbLb1EESX_IbLb0EEEEDaST_SU_EUlST_E_NS1_11comp_targetILNS1_3genE4ELNS1_11target_archE910ELNS1_3gpuE8ELNS1_3repE0EEENS1_30default_config_static_selectorELNS0_4arch9wavefront6targetE1EEEvT1_
                                        ; -- End function
	.section	.AMDGPU.csdata,"",@progbits
; Kernel info:
; codeLenInByte = 0
; NumSgprs: 6
; NumVgprs: 0
; NumAgprs: 0
; TotalNumVgprs: 0
; ScratchSize: 0
; MemoryBound: 0
; FloatMode: 240
; IeeeMode: 1
; LDSByteSize: 0 bytes/workgroup (compile time only)
; SGPRBlocks: 0
; VGPRBlocks: 0
; NumSGPRsForWavesPerEU: 6
; NumVGPRsForWavesPerEU: 1
; AccumOffset: 4
; Occupancy: 8
; WaveLimiterHint : 0
; COMPUTE_PGM_RSRC2:SCRATCH_EN: 0
; COMPUTE_PGM_RSRC2:USER_SGPR: 2
; COMPUTE_PGM_RSRC2:TRAP_HANDLER: 0
; COMPUTE_PGM_RSRC2:TGID_X_EN: 1
; COMPUTE_PGM_RSRC2:TGID_Y_EN: 0
; COMPUTE_PGM_RSRC2:TGID_Z_EN: 0
; COMPUTE_PGM_RSRC2:TIDIG_COMP_CNT: 0
; COMPUTE_PGM_RSRC3_GFX90A:ACCUM_OFFSET: 0
; COMPUTE_PGM_RSRC3_GFX90A:TG_SPLIT: 0
	.section	.text._ZN7rocprim17ROCPRIM_400000_NS6detail17trampoline_kernelINS0_14default_configENS1_27scan_by_key_config_selectorIxxEEZZNS1_16scan_by_key_implILNS1_25lookback_scan_determinismE0ELb0ES3_N6thrust23THRUST_200600_302600_NS6detail15normal_iteratorINS9_10device_ptrIxEEEESE_SE_xNS9_4plusIxEE19head_flag_predicatexEE10hipError_tPvRmT2_T3_T4_T5_mT6_T7_P12ihipStream_tbENKUlT_T0_E_clISt17integral_constantIbLb1EESX_IbLb0EEEEDaST_SU_EUlST_E_NS1_11comp_targetILNS1_3genE3ELNS1_11target_archE908ELNS1_3gpuE7ELNS1_3repE0EEENS1_30default_config_static_selectorELNS0_4arch9wavefront6targetE1EEEvT1_,"axG",@progbits,_ZN7rocprim17ROCPRIM_400000_NS6detail17trampoline_kernelINS0_14default_configENS1_27scan_by_key_config_selectorIxxEEZZNS1_16scan_by_key_implILNS1_25lookback_scan_determinismE0ELb0ES3_N6thrust23THRUST_200600_302600_NS6detail15normal_iteratorINS9_10device_ptrIxEEEESE_SE_xNS9_4plusIxEE19head_flag_predicatexEE10hipError_tPvRmT2_T3_T4_T5_mT6_T7_P12ihipStream_tbENKUlT_T0_E_clISt17integral_constantIbLb1EESX_IbLb0EEEEDaST_SU_EUlST_E_NS1_11comp_targetILNS1_3genE3ELNS1_11target_archE908ELNS1_3gpuE7ELNS1_3repE0EEENS1_30default_config_static_selectorELNS0_4arch9wavefront6targetE1EEEvT1_,comdat
	.protected	_ZN7rocprim17ROCPRIM_400000_NS6detail17trampoline_kernelINS0_14default_configENS1_27scan_by_key_config_selectorIxxEEZZNS1_16scan_by_key_implILNS1_25lookback_scan_determinismE0ELb0ES3_N6thrust23THRUST_200600_302600_NS6detail15normal_iteratorINS9_10device_ptrIxEEEESE_SE_xNS9_4plusIxEE19head_flag_predicatexEE10hipError_tPvRmT2_T3_T4_T5_mT6_T7_P12ihipStream_tbENKUlT_T0_E_clISt17integral_constantIbLb1EESX_IbLb0EEEEDaST_SU_EUlST_E_NS1_11comp_targetILNS1_3genE3ELNS1_11target_archE908ELNS1_3gpuE7ELNS1_3repE0EEENS1_30default_config_static_selectorELNS0_4arch9wavefront6targetE1EEEvT1_ ; -- Begin function _ZN7rocprim17ROCPRIM_400000_NS6detail17trampoline_kernelINS0_14default_configENS1_27scan_by_key_config_selectorIxxEEZZNS1_16scan_by_key_implILNS1_25lookback_scan_determinismE0ELb0ES3_N6thrust23THRUST_200600_302600_NS6detail15normal_iteratorINS9_10device_ptrIxEEEESE_SE_xNS9_4plusIxEE19head_flag_predicatexEE10hipError_tPvRmT2_T3_T4_T5_mT6_T7_P12ihipStream_tbENKUlT_T0_E_clISt17integral_constantIbLb1EESX_IbLb0EEEEDaST_SU_EUlST_E_NS1_11comp_targetILNS1_3genE3ELNS1_11target_archE908ELNS1_3gpuE7ELNS1_3repE0EEENS1_30default_config_static_selectorELNS0_4arch9wavefront6targetE1EEEvT1_
	.globl	_ZN7rocprim17ROCPRIM_400000_NS6detail17trampoline_kernelINS0_14default_configENS1_27scan_by_key_config_selectorIxxEEZZNS1_16scan_by_key_implILNS1_25lookback_scan_determinismE0ELb0ES3_N6thrust23THRUST_200600_302600_NS6detail15normal_iteratorINS9_10device_ptrIxEEEESE_SE_xNS9_4plusIxEE19head_flag_predicatexEE10hipError_tPvRmT2_T3_T4_T5_mT6_T7_P12ihipStream_tbENKUlT_T0_E_clISt17integral_constantIbLb1EESX_IbLb0EEEEDaST_SU_EUlST_E_NS1_11comp_targetILNS1_3genE3ELNS1_11target_archE908ELNS1_3gpuE7ELNS1_3repE0EEENS1_30default_config_static_selectorELNS0_4arch9wavefront6targetE1EEEvT1_
	.p2align	8
	.type	_ZN7rocprim17ROCPRIM_400000_NS6detail17trampoline_kernelINS0_14default_configENS1_27scan_by_key_config_selectorIxxEEZZNS1_16scan_by_key_implILNS1_25lookback_scan_determinismE0ELb0ES3_N6thrust23THRUST_200600_302600_NS6detail15normal_iteratorINS9_10device_ptrIxEEEESE_SE_xNS9_4plusIxEE19head_flag_predicatexEE10hipError_tPvRmT2_T3_T4_T5_mT6_T7_P12ihipStream_tbENKUlT_T0_E_clISt17integral_constantIbLb1EESX_IbLb0EEEEDaST_SU_EUlST_E_NS1_11comp_targetILNS1_3genE3ELNS1_11target_archE908ELNS1_3gpuE7ELNS1_3repE0EEENS1_30default_config_static_selectorELNS0_4arch9wavefront6targetE1EEEvT1_,@function
_ZN7rocprim17ROCPRIM_400000_NS6detail17trampoline_kernelINS0_14default_configENS1_27scan_by_key_config_selectorIxxEEZZNS1_16scan_by_key_implILNS1_25lookback_scan_determinismE0ELb0ES3_N6thrust23THRUST_200600_302600_NS6detail15normal_iteratorINS9_10device_ptrIxEEEESE_SE_xNS9_4plusIxEE19head_flag_predicatexEE10hipError_tPvRmT2_T3_T4_T5_mT6_T7_P12ihipStream_tbENKUlT_T0_E_clISt17integral_constantIbLb1EESX_IbLb0EEEEDaST_SU_EUlST_E_NS1_11comp_targetILNS1_3genE3ELNS1_11target_archE908ELNS1_3gpuE7ELNS1_3repE0EEENS1_30default_config_static_selectorELNS0_4arch9wavefront6targetE1EEEvT1_: ; @_ZN7rocprim17ROCPRIM_400000_NS6detail17trampoline_kernelINS0_14default_configENS1_27scan_by_key_config_selectorIxxEEZZNS1_16scan_by_key_implILNS1_25lookback_scan_determinismE0ELb0ES3_N6thrust23THRUST_200600_302600_NS6detail15normal_iteratorINS9_10device_ptrIxEEEESE_SE_xNS9_4plusIxEE19head_flag_predicatexEE10hipError_tPvRmT2_T3_T4_T5_mT6_T7_P12ihipStream_tbENKUlT_T0_E_clISt17integral_constantIbLb1EESX_IbLb0EEEEDaST_SU_EUlST_E_NS1_11comp_targetILNS1_3genE3ELNS1_11target_archE908ELNS1_3gpuE7ELNS1_3repE0EEENS1_30default_config_static_selectorELNS0_4arch9wavefront6targetE1EEEvT1_
; %bb.0:
	.section	.rodata,"a",@progbits
	.p2align	6, 0x0
	.amdhsa_kernel _ZN7rocprim17ROCPRIM_400000_NS6detail17trampoline_kernelINS0_14default_configENS1_27scan_by_key_config_selectorIxxEEZZNS1_16scan_by_key_implILNS1_25lookback_scan_determinismE0ELb0ES3_N6thrust23THRUST_200600_302600_NS6detail15normal_iteratorINS9_10device_ptrIxEEEESE_SE_xNS9_4plusIxEE19head_flag_predicatexEE10hipError_tPvRmT2_T3_T4_T5_mT6_T7_P12ihipStream_tbENKUlT_T0_E_clISt17integral_constantIbLb1EESX_IbLb0EEEEDaST_SU_EUlST_E_NS1_11comp_targetILNS1_3genE3ELNS1_11target_archE908ELNS1_3gpuE7ELNS1_3repE0EEENS1_30default_config_static_selectorELNS0_4arch9wavefront6targetE1EEEvT1_
		.amdhsa_group_segment_fixed_size 0
		.amdhsa_private_segment_fixed_size 0
		.amdhsa_kernarg_size 136
		.amdhsa_user_sgpr_count 2
		.amdhsa_user_sgpr_dispatch_ptr 0
		.amdhsa_user_sgpr_queue_ptr 0
		.amdhsa_user_sgpr_kernarg_segment_ptr 1
		.amdhsa_user_sgpr_dispatch_id 0
		.amdhsa_user_sgpr_kernarg_preload_length 0
		.amdhsa_user_sgpr_kernarg_preload_offset 0
		.amdhsa_user_sgpr_private_segment_size 0
		.amdhsa_uses_dynamic_stack 0
		.amdhsa_enable_private_segment 0
		.amdhsa_system_sgpr_workgroup_id_x 1
		.amdhsa_system_sgpr_workgroup_id_y 0
		.amdhsa_system_sgpr_workgroup_id_z 0
		.amdhsa_system_sgpr_workgroup_info 0
		.amdhsa_system_vgpr_workitem_id 0
		.amdhsa_next_free_vgpr 1
		.amdhsa_next_free_sgpr 0
		.amdhsa_accum_offset 4
		.amdhsa_reserve_vcc 0
		.amdhsa_float_round_mode_32 0
		.amdhsa_float_round_mode_16_64 0
		.amdhsa_float_denorm_mode_32 3
		.amdhsa_float_denorm_mode_16_64 3
		.amdhsa_dx10_clamp 1
		.amdhsa_ieee_mode 1
		.amdhsa_fp16_overflow 0
		.amdhsa_tg_split 0
		.amdhsa_exception_fp_ieee_invalid_op 0
		.amdhsa_exception_fp_denorm_src 0
		.amdhsa_exception_fp_ieee_div_zero 0
		.amdhsa_exception_fp_ieee_overflow 0
		.amdhsa_exception_fp_ieee_underflow 0
		.amdhsa_exception_fp_ieee_inexact 0
		.amdhsa_exception_int_div_zero 0
	.end_amdhsa_kernel
	.section	.text._ZN7rocprim17ROCPRIM_400000_NS6detail17trampoline_kernelINS0_14default_configENS1_27scan_by_key_config_selectorIxxEEZZNS1_16scan_by_key_implILNS1_25lookback_scan_determinismE0ELb0ES3_N6thrust23THRUST_200600_302600_NS6detail15normal_iteratorINS9_10device_ptrIxEEEESE_SE_xNS9_4plusIxEE19head_flag_predicatexEE10hipError_tPvRmT2_T3_T4_T5_mT6_T7_P12ihipStream_tbENKUlT_T0_E_clISt17integral_constantIbLb1EESX_IbLb0EEEEDaST_SU_EUlST_E_NS1_11comp_targetILNS1_3genE3ELNS1_11target_archE908ELNS1_3gpuE7ELNS1_3repE0EEENS1_30default_config_static_selectorELNS0_4arch9wavefront6targetE1EEEvT1_,"axG",@progbits,_ZN7rocprim17ROCPRIM_400000_NS6detail17trampoline_kernelINS0_14default_configENS1_27scan_by_key_config_selectorIxxEEZZNS1_16scan_by_key_implILNS1_25lookback_scan_determinismE0ELb0ES3_N6thrust23THRUST_200600_302600_NS6detail15normal_iteratorINS9_10device_ptrIxEEEESE_SE_xNS9_4plusIxEE19head_flag_predicatexEE10hipError_tPvRmT2_T3_T4_T5_mT6_T7_P12ihipStream_tbENKUlT_T0_E_clISt17integral_constantIbLb1EESX_IbLb0EEEEDaST_SU_EUlST_E_NS1_11comp_targetILNS1_3genE3ELNS1_11target_archE908ELNS1_3gpuE7ELNS1_3repE0EEENS1_30default_config_static_selectorELNS0_4arch9wavefront6targetE1EEEvT1_,comdat
.Lfunc_end699:
	.size	_ZN7rocprim17ROCPRIM_400000_NS6detail17trampoline_kernelINS0_14default_configENS1_27scan_by_key_config_selectorIxxEEZZNS1_16scan_by_key_implILNS1_25lookback_scan_determinismE0ELb0ES3_N6thrust23THRUST_200600_302600_NS6detail15normal_iteratorINS9_10device_ptrIxEEEESE_SE_xNS9_4plusIxEE19head_flag_predicatexEE10hipError_tPvRmT2_T3_T4_T5_mT6_T7_P12ihipStream_tbENKUlT_T0_E_clISt17integral_constantIbLb1EESX_IbLb0EEEEDaST_SU_EUlST_E_NS1_11comp_targetILNS1_3genE3ELNS1_11target_archE908ELNS1_3gpuE7ELNS1_3repE0EEENS1_30default_config_static_selectorELNS0_4arch9wavefront6targetE1EEEvT1_, .Lfunc_end699-_ZN7rocprim17ROCPRIM_400000_NS6detail17trampoline_kernelINS0_14default_configENS1_27scan_by_key_config_selectorIxxEEZZNS1_16scan_by_key_implILNS1_25lookback_scan_determinismE0ELb0ES3_N6thrust23THRUST_200600_302600_NS6detail15normal_iteratorINS9_10device_ptrIxEEEESE_SE_xNS9_4plusIxEE19head_flag_predicatexEE10hipError_tPvRmT2_T3_T4_T5_mT6_T7_P12ihipStream_tbENKUlT_T0_E_clISt17integral_constantIbLb1EESX_IbLb0EEEEDaST_SU_EUlST_E_NS1_11comp_targetILNS1_3genE3ELNS1_11target_archE908ELNS1_3gpuE7ELNS1_3repE0EEENS1_30default_config_static_selectorELNS0_4arch9wavefront6targetE1EEEvT1_
                                        ; -- End function
	.section	.AMDGPU.csdata,"",@progbits
; Kernel info:
; codeLenInByte = 0
; NumSgprs: 6
; NumVgprs: 0
; NumAgprs: 0
; TotalNumVgprs: 0
; ScratchSize: 0
; MemoryBound: 0
; FloatMode: 240
; IeeeMode: 1
; LDSByteSize: 0 bytes/workgroup (compile time only)
; SGPRBlocks: 0
; VGPRBlocks: 0
; NumSGPRsForWavesPerEU: 6
; NumVGPRsForWavesPerEU: 1
; AccumOffset: 4
; Occupancy: 8
; WaveLimiterHint : 0
; COMPUTE_PGM_RSRC2:SCRATCH_EN: 0
; COMPUTE_PGM_RSRC2:USER_SGPR: 2
; COMPUTE_PGM_RSRC2:TRAP_HANDLER: 0
; COMPUTE_PGM_RSRC2:TGID_X_EN: 1
; COMPUTE_PGM_RSRC2:TGID_Y_EN: 0
; COMPUTE_PGM_RSRC2:TGID_Z_EN: 0
; COMPUTE_PGM_RSRC2:TIDIG_COMP_CNT: 0
; COMPUTE_PGM_RSRC3_GFX90A:ACCUM_OFFSET: 0
; COMPUTE_PGM_RSRC3_GFX90A:TG_SPLIT: 0
	.section	.text._ZN7rocprim17ROCPRIM_400000_NS6detail17trampoline_kernelINS0_14default_configENS1_27scan_by_key_config_selectorIxxEEZZNS1_16scan_by_key_implILNS1_25lookback_scan_determinismE0ELb0ES3_N6thrust23THRUST_200600_302600_NS6detail15normal_iteratorINS9_10device_ptrIxEEEESE_SE_xNS9_4plusIxEE19head_flag_predicatexEE10hipError_tPvRmT2_T3_T4_T5_mT6_T7_P12ihipStream_tbENKUlT_T0_E_clISt17integral_constantIbLb1EESX_IbLb0EEEEDaST_SU_EUlST_E_NS1_11comp_targetILNS1_3genE2ELNS1_11target_archE906ELNS1_3gpuE6ELNS1_3repE0EEENS1_30default_config_static_selectorELNS0_4arch9wavefront6targetE1EEEvT1_,"axG",@progbits,_ZN7rocprim17ROCPRIM_400000_NS6detail17trampoline_kernelINS0_14default_configENS1_27scan_by_key_config_selectorIxxEEZZNS1_16scan_by_key_implILNS1_25lookback_scan_determinismE0ELb0ES3_N6thrust23THRUST_200600_302600_NS6detail15normal_iteratorINS9_10device_ptrIxEEEESE_SE_xNS9_4plusIxEE19head_flag_predicatexEE10hipError_tPvRmT2_T3_T4_T5_mT6_T7_P12ihipStream_tbENKUlT_T0_E_clISt17integral_constantIbLb1EESX_IbLb0EEEEDaST_SU_EUlST_E_NS1_11comp_targetILNS1_3genE2ELNS1_11target_archE906ELNS1_3gpuE6ELNS1_3repE0EEENS1_30default_config_static_selectorELNS0_4arch9wavefront6targetE1EEEvT1_,comdat
	.protected	_ZN7rocprim17ROCPRIM_400000_NS6detail17trampoline_kernelINS0_14default_configENS1_27scan_by_key_config_selectorIxxEEZZNS1_16scan_by_key_implILNS1_25lookback_scan_determinismE0ELb0ES3_N6thrust23THRUST_200600_302600_NS6detail15normal_iteratorINS9_10device_ptrIxEEEESE_SE_xNS9_4plusIxEE19head_flag_predicatexEE10hipError_tPvRmT2_T3_T4_T5_mT6_T7_P12ihipStream_tbENKUlT_T0_E_clISt17integral_constantIbLb1EESX_IbLb0EEEEDaST_SU_EUlST_E_NS1_11comp_targetILNS1_3genE2ELNS1_11target_archE906ELNS1_3gpuE6ELNS1_3repE0EEENS1_30default_config_static_selectorELNS0_4arch9wavefront6targetE1EEEvT1_ ; -- Begin function _ZN7rocprim17ROCPRIM_400000_NS6detail17trampoline_kernelINS0_14default_configENS1_27scan_by_key_config_selectorIxxEEZZNS1_16scan_by_key_implILNS1_25lookback_scan_determinismE0ELb0ES3_N6thrust23THRUST_200600_302600_NS6detail15normal_iteratorINS9_10device_ptrIxEEEESE_SE_xNS9_4plusIxEE19head_flag_predicatexEE10hipError_tPvRmT2_T3_T4_T5_mT6_T7_P12ihipStream_tbENKUlT_T0_E_clISt17integral_constantIbLb1EESX_IbLb0EEEEDaST_SU_EUlST_E_NS1_11comp_targetILNS1_3genE2ELNS1_11target_archE906ELNS1_3gpuE6ELNS1_3repE0EEENS1_30default_config_static_selectorELNS0_4arch9wavefront6targetE1EEEvT1_
	.globl	_ZN7rocprim17ROCPRIM_400000_NS6detail17trampoline_kernelINS0_14default_configENS1_27scan_by_key_config_selectorIxxEEZZNS1_16scan_by_key_implILNS1_25lookback_scan_determinismE0ELb0ES3_N6thrust23THRUST_200600_302600_NS6detail15normal_iteratorINS9_10device_ptrIxEEEESE_SE_xNS9_4plusIxEE19head_flag_predicatexEE10hipError_tPvRmT2_T3_T4_T5_mT6_T7_P12ihipStream_tbENKUlT_T0_E_clISt17integral_constantIbLb1EESX_IbLb0EEEEDaST_SU_EUlST_E_NS1_11comp_targetILNS1_3genE2ELNS1_11target_archE906ELNS1_3gpuE6ELNS1_3repE0EEENS1_30default_config_static_selectorELNS0_4arch9wavefront6targetE1EEEvT1_
	.p2align	8
	.type	_ZN7rocprim17ROCPRIM_400000_NS6detail17trampoline_kernelINS0_14default_configENS1_27scan_by_key_config_selectorIxxEEZZNS1_16scan_by_key_implILNS1_25lookback_scan_determinismE0ELb0ES3_N6thrust23THRUST_200600_302600_NS6detail15normal_iteratorINS9_10device_ptrIxEEEESE_SE_xNS9_4plusIxEE19head_flag_predicatexEE10hipError_tPvRmT2_T3_T4_T5_mT6_T7_P12ihipStream_tbENKUlT_T0_E_clISt17integral_constantIbLb1EESX_IbLb0EEEEDaST_SU_EUlST_E_NS1_11comp_targetILNS1_3genE2ELNS1_11target_archE906ELNS1_3gpuE6ELNS1_3repE0EEENS1_30default_config_static_selectorELNS0_4arch9wavefront6targetE1EEEvT1_,@function
_ZN7rocprim17ROCPRIM_400000_NS6detail17trampoline_kernelINS0_14default_configENS1_27scan_by_key_config_selectorIxxEEZZNS1_16scan_by_key_implILNS1_25lookback_scan_determinismE0ELb0ES3_N6thrust23THRUST_200600_302600_NS6detail15normal_iteratorINS9_10device_ptrIxEEEESE_SE_xNS9_4plusIxEE19head_flag_predicatexEE10hipError_tPvRmT2_T3_T4_T5_mT6_T7_P12ihipStream_tbENKUlT_T0_E_clISt17integral_constantIbLb1EESX_IbLb0EEEEDaST_SU_EUlST_E_NS1_11comp_targetILNS1_3genE2ELNS1_11target_archE906ELNS1_3gpuE6ELNS1_3repE0EEENS1_30default_config_static_selectorELNS0_4arch9wavefront6targetE1EEEvT1_: ; @_ZN7rocprim17ROCPRIM_400000_NS6detail17trampoline_kernelINS0_14default_configENS1_27scan_by_key_config_selectorIxxEEZZNS1_16scan_by_key_implILNS1_25lookback_scan_determinismE0ELb0ES3_N6thrust23THRUST_200600_302600_NS6detail15normal_iteratorINS9_10device_ptrIxEEEESE_SE_xNS9_4plusIxEE19head_flag_predicatexEE10hipError_tPvRmT2_T3_T4_T5_mT6_T7_P12ihipStream_tbENKUlT_T0_E_clISt17integral_constantIbLb1EESX_IbLb0EEEEDaST_SU_EUlST_E_NS1_11comp_targetILNS1_3genE2ELNS1_11target_archE906ELNS1_3gpuE6ELNS1_3repE0EEENS1_30default_config_static_selectorELNS0_4arch9wavefront6targetE1EEEvT1_
; %bb.0:
	.section	.rodata,"a",@progbits
	.p2align	6, 0x0
	.amdhsa_kernel _ZN7rocprim17ROCPRIM_400000_NS6detail17trampoline_kernelINS0_14default_configENS1_27scan_by_key_config_selectorIxxEEZZNS1_16scan_by_key_implILNS1_25lookback_scan_determinismE0ELb0ES3_N6thrust23THRUST_200600_302600_NS6detail15normal_iteratorINS9_10device_ptrIxEEEESE_SE_xNS9_4plusIxEE19head_flag_predicatexEE10hipError_tPvRmT2_T3_T4_T5_mT6_T7_P12ihipStream_tbENKUlT_T0_E_clISt17integral_constantIbLb1EESX_IbLb0EEEEDaST_SU_EUlST_E_NS1_11comp_targetILNS1_3genE2ELNS1_11target_archE906ELNS1_3gpuE6ELNS1_3repE0EEENS1_30default_config_static_selectorELNS0_4arch9wavefront6targetE1EEEvT1_
		.amdhsa_group_segment_fixed_size 0
		.amdhsa_private_segment_fixed_size 0
		.amdhsa_kernarg_size 136
		.amdhsa_user_sgpr_count 2
		.amdhsa_user_sgpr_dispatch_ptr 0
		.amdhsa_user_sgpr_queue_ptr 0
		.amdhsa_user_sgpr_kernarg_segment_ptr 1
		.amdhsa_user_sgpr_dispatch_id 0
		.amdhsa_user_sgpr_kernarg_preload_length 0
		.amdhsa_user_sgpr_kernarg_preload_offset 0
		.amdhsa_user_sgpr_private_segment_size 0
		.amdhsa_uses_dynamic_stack 0
		.amdhsa_enable_private_segment 0
		.amdhsa_system_sgpr_workgroup_id_x 1
		.amdhsa_system_sgpr_workgroup_id_y 0
		.amdhsa_system_sgpr_workgroup_id_z 0
		.amdhsa_system_sgpr_workgroup_info 0
		.amdhsa_system_vgpr_workitem_id 0
		.amdhsa_next_free_vgpr 1
		.amdhsa_next_free_sgpr 0
		.amdhsa_accum_offset 4
		.amdhsa_reserve_vcc 0
		.amdhsa_float_round_mode_32 0
		.amdhsa_float_round_mode_16_64 0
		.amdhsa_float_denorm_mode_32 3
		.amdhsa_float_denorm_mode_16_64 3
		.amdhsa_dx10_clamp 1
		.amdhsa_ieee_mode 1
		.amdhsa_fp16_overflow 0
		.amdhsa_tg_split 0
		.amdhsa_exception_fp_ieee_invalid_op 0
		.amdhsa_exception_fp_denorm_src 0
		.amdhsa_exception_fp_ieee_div_zero 0
		.amdhsa_exception_fp_ieee_overflow 0
		.amdhsa_exception_fp_ieee_underflow 0
		.amdhsa_exception_fp_ieee_inexact 0
		.amdhsa_exception_int_div_zero 0
	.end_amdhsa_kernel
	.section	.text._ZN7rocprim17ROCPRIM_400000_NS6detail17trampoline_kernelINS0_14default_configENS1_27scan_by_key_config_selectorIxxEEZZNS1_16scan_by_key_implILNS1_25lookback_scan_determinismE0ELb0ES3_N6thrust23THRUST_200600_302600_NS6detail15normal_iteratorINS9_10device_ptrIxEEEESE_SE_xNS9_4plusIxEE19head_flag_predicatexEE10hipError_tPvRmT2_T3_T4_T5_mT6_T7_P12ihipStream_tbENKUlT_T0_E_clISt17integral_constantIbLb1EESX_IbLb0EEEEDaST_SU_EUlST_E_NS1_11comp_targetILNS1_3genE2ELNS1_11target_archE906ELNS1_3gpuE6ELNS1_3repE0EEENS1_30default_config_static_selectorELNS0_4arch9wavefront6targetE1EEEvT1_,"axG",@progbits,_ZN7rocprim17ROCPRIM_400000_NS6detail17trampoline_kernelINS0_14default_configENS1_27scan_by_key_config_selectorIxxEEZZNS1_16scan_by_key_implILNS1_25lookback_scan_determinismE0ELb0ES3_N6thrust23THRUST_200600_302600_NS6detail15normal_iteratorINS9_10device_ptrIxEEEESE_SE_xNS9_4plusIxEE19head_flag_predicatexEE10hipError_tPvRmT2_T3_T4_T5_mT6_T7_P12ihipStream_tbENKUlT_T0_E_clISt17integral_constantIbLb1EESX_IbLb0EEEEDaST_SU_EUlST_E_NS1_11comp_targetILNS1_3genE2ELNS1_11target_archE906ELNS1_3gpuE6ELNS1_3repE0EEENS1_30default_config_static_selectorELNS0_4arch9wavefront6targetE1EEEvT1_,comdat
.Lfunc_end700:
	.size	_ZN7rocprim17ROCPRIM_400000_NS6detail17trampoline_kernelINS0_14default_configENS1_27scan_by_key_config_selectorIxxEEZZNS1_16scan_by_key_implILNS1_25lookback_scan_determinismE0ELb0ES3_N6thrust23THRUST_200600_302600_NS6detail15normal_iteratorINS9_10device_ptrIxEEEESE_SE_xNS9_4plusIxEE19head_flag_predicatexEE10hipError_tPvRmT2_T3_T4_T5_mT6_T7_P12ihipStream_tbENKUlT_T0_E_clISt17integral_constantIbLb1EESX_IbLb0EEEEDaST_SU_EUlST_E_NS1_11comp_targetILNS1_3genE2ELNS1_11target_archE906ELNS1_3gpuE6ELNS1_3repE0EEENS1_30default_config_static_selectorELNS0_4arch9wavefront6targetE1EEEvT1_, .Lfunc_end700-_ZN7rocprim17ROCPRIM_400000_NS6detail17trampoline_kernelINS0_14default_configENS1_27scan_by_key_config_selectorIxxEEZZNS1_16scan_by_key_implILNS1_25lookback_scan_determinismE0ELb0ES3_N6thrust23THRUST_200600_302600_NS6detail15normal_iteratorINS9_10device_ptrIxEEEESE_SE_xNS9_4plusIxEE19head_flag_predicatexEE10hipError_tPvRmT2_T3_T4_T5_mT6_T7_P12ihipStream_tbENKUlT_T0_E_clISt17integral_constantIbLb1EESX_IbLb0EEEEDaST_SU_EUlST_E_NS1_11comp_targetILNS1_3genE2ELNS1_11target_archE906ELNS1_3gpuE6ELNS1_3repE0EEENS1_30default_config_static_selectorELNS0_4arch9wavefront6targetE1EEEvT1_
                                        ; -- End function
	.section	.AMDGPU.csdata,"",@progbits
; Kernel info:
; codeLenInByte = 0
; NumSgprs: 6
; NumVgprs: 0
; NumAgprs: 0
; TotalNumVgprs: 0
; ScratchSize: 0
; MemoryBound: 0
; FloatMode: 240
; IeeeMode: 1
; LDSByteSize: 0 bytes/workgroup (compile time only)
; SGPRBlocks: 0
; VGPRBlocks: 0
; NumSGPRsForWavesPerEU: 6
; NumVGPRsForWavesPerEU: 1
; AccumOffset: 4
; Occupancy: 8
; WaveLimiterHint : 0
; COMPUTE_PGM_RSRC2:SCRATCH_EN: 0
; COMPUTE_PGM_RSRC2:USER_SGPR: 2
; COMPUTE_PGM_RSRC2:TRAP_HANDLER: 0
; COMPUTE_PGM_RSRC2:TGID_X_EN: 1
; COMPUTE_PGM_RSRC2:TGID_Y_EN: 0
; COMPUTE_PGM_RSRC2:TGID_Z_EN: 0
; COMPUTE_PGM_RSRC2:TIDIG_COMP_CNT: 0
; COMPUTE_PGM_RSRC3_GFX90A:ACCUM_OFFSET: 0
; COMPUTE_PGM_RSRC3_GFX90A:TG_SPLIT: 0
	.section	.text._ZN7rocprim17ROCPRIM_400000_NS6detail17trampoline_kernelINS0_14default_configENS1_27scan_by_key_config_selectorIxxEEZZNS1_16scan_by_key_implILNS1_25lookback_scan_determinismE0ELb0ES3_N6thrust23THRUST_200600_302600_NS6detail15normal_iteratorINS9_10device_ptrIxEEEESE_SE_xNS9_4plusIxEE19head_flag_predicatexEE10hipError_tPvRmT2_T3_T4_T5_mT6_T7_P12ihipStream_tbENKUlT_T0_E_clISt17integral_constantIbLb1EESX_IbLb0EEEEDaST_SU_EUlST_E_NS1_11comp_targetILNS1_3genE10ELNS1_11target_archE1200ELNS1_3gpuE4ELNS1_3repE0EEENS1_30default_config_static_selectorELNS0_4arch9wavefront6targetE1EEEvT1_,"axG",@progbits,_ZN7rocprim17ROCPRIM_400000_NS6detail17trampoline_kernelINS0_14default_configENS1_27scan_by_key_config_selectorIxxEEZZNS1_16scan_by_key_implILNS1_25lookback_scan_determinismE0ELb0ES3_N6thrust23THRUST_200600_302600_NS6detail15normal_iteratorINS9_10device_ptrIxEEEESE_SE_xNS9_4plusIxEE19head_flag_predicatexEE10hipError_tPvRmT2_T3_T4_T5_mT6_T7_P12ihipStream_tbENKUlT_T0_E_clISt17integral_constantIbLb1EESX_IbLb0EEEEDaST_SU_EUlST_E_NS1_11comp_targetILNS1_3genE10ELNS1_11target_archE1200ELNS1_3gpuE4ELNS1_3repE0EEENS1_30default_config_static_selectorELNS0_4arch9wavefront6targetE1EEEvT1_,comdat
	.protected	_ZN7rocprim17ROCPRIM_400000_NS6detail17trampoline_kernelINS0_14default_configENS1_27scan_by_key_config_selectorIxxEEZZNS1_16scan_by_key_implILNS1_25lookback_scan_determinismE0ELb0ES3_N6thrust23THRUST_200600_302600_NS6detail15normal_iteratorINS9_10device_ptrIxEEEESE_SE_xNS9_4plusIxEE19head_flag_predicatexEE10hipError_tPvRmT2_T3_T4_T5_mT6_T7_P12ihipStream_tbENKUlT_T0_E_clISt17integral_constantIbLb1EESX_IbLb0EEEEDaST_SU_EUlST_E_NS1_11comp_targetILNS1_3genE10ELNS1_11target_archE1200ELNS1_3gpuE4ELNS1_3repE0EEENS1_30default_config_static_selectorELNS0_4arch9wavefront6targetE1EEEvT1_ ; -- Begin function _ZN7rocprim17ROCPRIM_400000_NS6detail17trampoline_kernelINS0_14default_configENS1_27scan_by_key_config_selectorIxxEEZZNS1_16scan_by_key_implILNS1_25lookback_scan_determinismE0ELb0ES3_N6thrust23THRUST_200600_302600_NS6detail15normal_iteratorINS9_10device_ptrIxEEEESE_SE_xNS9_4plusIxEE19head_flag_predicatexEE10hipError_tPvRmT2_T3_T4_T5_mT6_T7_P12ihipStream_tbENKUlT_T0_E_clISt17integral_constantIbLb1EESX_IbLb0EEEEDaST_SU_EUlST_E_NS1_11comp_targetILNS1_3genE10ELNS1_11target_archE1200ELNS1_3gpuE4ELNS1_3repE0EEENS1_30default_config_static_selectorELNS0_4arch9wavefront6targetE1EEEvT1_
	.globl	_ZN7rocprim17ROCPRIM_400000_NS6detail17trampoline_kernelINS0_14default_configENS1_27scan_by_key_config_selectorIxxEEZZNS1_16scan_by_key_implILNS1_25lookback_scan_determinismE0ELb0ES3_N6thrust23THRUST_200600_302600_NS6detail15normal_iteratorINS9_10device_ptrIxEEEESE_SE_xNS9_4plusIxEE19head_flag_predicatexEE10hipError_tPvRmT2_T3_T4_T5_mT6_T7_P12ihipStream_tbENKUlT_T0_E_clISt17integral_constantIbLb1EESX_IbLb0EEEEDaST_SU_EUlST_E_NS1_11comp_targetILNS1_3genE10ELNS1_11target_archE1200ELNS1_3gpuE4ELNS1_3repE0EEENS1_30default_config_static_selectorELNS0_4arch9wavefront6targetE1EEEvT1_
	.p2align	8
	.type	_ZN7rocprim17ROCPRIM_400000_NS6detail17trampoline_kernelINS0_14default_configENS1_27scan_by_key_config_selectorIxxEEZZNS1_16scan_by_key_implILNS1_25lookback_scan_determinismE0ELb0ES3_N6thrust23THRUST_200600_302600_NS6detail15normal_iteratorINS9_10device_ptrIxEEEESE_SE_xNS9_4plusIxEE19head_flag_predicatexEE10hipError_tPvRmT2_T3_T4_T5_mT6_T7_P12ihipStream_tbENKUlT_T0_E_clISt17integral_constantIbLb1EESX_IbLb0EEEEDaST_SU_EUlST_E_NS1_11comp_targetILNS1_3genE10ELNS1_11target_archE1200ELNS1_3gpuE4ELNS1_3repE0EEENS1_30default_config_static_selectorELNS0_4arch9wavefront6targetE1EEEvT1_,@function
_ZN7rocprim17ROCPRIM_400000_NS6detail17trampoline_kernelINS0_14default_configENS1_27scan_by_key_config_selectorIxxEEZZNS1_16scan_by_key_implILNS1_25lookback_scan_determinismE0ELb0ES3_N6thrust23THRUST_200600_302600_NS6detail15normal_iteratorINS9_10device_ptrIxEEEESE_SE_xNS9_4plusIxEE19head_flag_predicatexEE10hipError_tPvRmT2_T3_T4_T5_mT6_T7_P12ihipStream_tbENKUlT_T0_E_clISt17integral_constantIbLb1EESX_IbLb0EEEEDaST_SU_EUlST_E_NS1_11comp_targetILNS1_3genE10ELNS1_11target_archE1200ELNS1_3gpuE4ELNS1_3repE0EEENS1_30default_config_static_selectorELNS0_4arch9wavefront6targetE1EEEvT1_: ; @_ZN7rocprim17ROCPRIM_400000_NS6detail17trampoline_kernelINS0_14default_configENS1_27scan_by_key_config_selectorIxxEEZZNS1_16scan_by_key_implILNS1_25lookback_scan_determinismE0ELb0ES3_N6thrust23THRUST_200600_302600_NS6detail15normal_iteratorINS9_10device_ptrIxEEEESE_SE_xNS9_4plusIxEE19head_flag_predicatexEE10hipError_tPvRmT2_T3_T4_T5_mT6_T7_P12ihipStream_tbENKUlT_T0_E_clISt17integral_constantIbLb1EESX_IbLb0EEEEDaST_SU_EUlST_E_NS1_11comp_targetILNS1_3genE10ELNS1_11target_archE1200ELNS1_3gpuE4ELNS1_3repE0EEENS1_30default_config_static_selectorELNS0_4arch9wavefront6targetE1EEEvT1_
; %bb.0:
	.section	.rodata,"a",@progbits
	.p2align	6, 0x0
	.amdhsa_kernel _ZN7rocprim17ROCPRIM_400000_NS6detail17trampoline_kernelINS0_14default_configENS1_27scan_by_key_config_selectorIxxEEZZNS1_16scan_by_key_implILNS1_25lookback_scan_determinismE0ELb0ES3_N6thrust23THRUST_200600_302600_NS6detail15normal_iteratorINS9_10device_ptrIxEEEESE_SE_xNS9_4plusIxEE19head_flag_predicatexEE10hipError_tPvRmT2_T3_T4_T5_mT6_T7_P12ihipStream_tbENKUlT_T0_E_clISt17integral_constantIbLb1EESX_IbLb0EEEEDaST_SU_EUlST_E_NS1_11comp_targetILNS1_3genE10ELNS1_11target_archE1200ELNS1_3gpuE4ELNS1_3repE0EEENS1_30default_config_static_selectorELNS0_4arch9wavefront6targetE1EEEvT1_
		.amdhsa_group_segment_fixed_size 0
		.amdhsa_private_segment_fixed_size 0
		.amdhsa_kernarg_size 136
		.amdhsa_user_sgpr_count 2
		.amdhsa_user_sgpr_dispatch_ptr 0
		.amdhsa_user_sgpr_queue_ptr 0
		.amdhsa_user_sgpr_kernarg_segment_ptr 1
		.amdhsa_user_sgpr_dispatch_id 0
		.amdhsa_user_sgpr_kernarg_preload_length 0
		.amdhsa_user_sgpr_kernarg_preload_offset 0
		.amdhsa_user_sgpr_private_segment_size 0
		.amdhsa_uses_dynamic_stack 0
		.amdhsa_enable_private_segment 0
		.amdhsa_system_sgpr_workgroup_id_x 1
		.amdhsa_system_sgpr_workgroup_id_y 0
		.amdhsa_system_sgpr_workgroup_id_z 0
		.amdhsa_system_sgpr_workgroup_info 0
		.amdhsa_system_vgpr_workitem_id 0
		.amdhsa_next_free_vgpr 1
		.amdhsa_next_free_sgpr 0
		.amdhsa_accum_offset 4
		.amdhsa_reserve_vcc 0
		.amdhsa_float_round_mode_32 0
		.amdhsa_float_round_mode_16_64 0
		.amdhsa_float_denorm_mode_32 3
		.amdhsa_float_denorm_mode_16_64 3
		.amdhsa_dx10_clamp 1
		.amdhsa_ieee_mode 1
		.amdhsa_fp16_overflow 0
		.amdhsa_tg_split 0
		.amdhsa_exception_fp_ieee_invalid_op 0
		.amdhsa_exception_fp_denorm_src 0
		.amdhsa_exception_fp_ieee_div_zero 0
		.amdhsa_exception_fp_ieee_overflow 0
		.amdhsa_exception_fp_ieee_underflow 0
		.amdhsa_exception_fp_ieee_inexact 0
		.amdhsa_exception_int_div_zero 0
	.end_amdhsa_kernel
	.section	.text._ZN7rocprim17ROCPRIM_400000_NS6detail17trampoline_kernelINS0_14default_configENS1_27scan_by_key_config_selectorIxxEEZZNS1_16scan_by_key_implILNS1_25lookback_scan_determinismE0ELb0ES3_N6thrust23THRUST_200600_302600_NS6detail15normal_iteratorINS9_10device_ptrIxEEEESE_SE_xNS9_4plusIxEE19head_flag_predicatexEE10hipError_tPvRmT2_T3_T4_T5_mT6_T7_P12ihipStream_tbENKUlT_T0_E_clISt17integral_constantIbLb1EESX_IbLb0EEEEDaST_SU_EUlST_E_NS1_11comp_targetILNS1_3genE10ELNS1_11target_archE1200ELNS1_3gpuE4ELNS1_3repE0EEENS1_30default_config_static_selectorELNS0_4arch9wavefront6targetE1EEEvT1_,"axG",@progbits,_ZN7rocprim17ROCPRIM_400000_NS6detail17trampoline_kernelINS0_14default_configENS1_27scan_by_key_config_selectorIxxEEZZNS1_16scan_by_key_implILNS1_25lookback_scan_determinismE0ELb0ES3_N6thrust23THRUST_200600_302600_NS6detail15normal_iteratorINS9_10device_ptrIxEEEESE_SE_xNS9_4plusIxEE19head_flag_predicatexEE10hipError_tPvRmT2_T3_T4_T5_mT6_T7_P12ihipStream_tbENKUlT_T0_E_clISt17integral_constantIbLb1EESX_IbLb0EEEEDaST_SU_EUlST_E_NS1_11comp_targetILNS1_3genE10ELNS1_11target_archE1200ELNS1_3gpuE4ELNS1_3repE0EEENS1_30default_config_static_selectorELNS0_4arch9wavefront6targetE1EEEvT1_,comdat
.Lfunc_end701:
	.size	_ZN7rocprim17ROCPRIM_400000_NS6detail17trampoline_kernelINS0_14default_configENS1_27scan_by_key_config_selectorIxxEEZZNS1_16scan_by_key_implILNS1_25lookback_scan_determinismE0ELb0ES3_N6thrust23THRUST_200600_302600_NS6detail15normal_iteratorINS9_10device_ptrIxEEEESE_SE_xNS9_4plusIxEE19head_flag_predicatexEE10hipError_tPvRmT2_T3_T4_T5_mT6_T7_P12ihipStream_tbENKUlT_T0_E_clISt17integral_constantIbLb1EESX_IbLb0EEEEDaST_SU_EUlST_E_NS1_11comp_targetILNS1_3genE10ELNS1_11target_archE1200ELNS1_3gpuE4ELNS1_3repE0EEENS1_30default_config_static_selectorELNS0_4arch9wavefront6targetE1EEEvT1_, .Lfunc_end701-_ZN7rocprim17ROCPRIM_400000_NS6detail17trampoline_kernelINS0_14default_configENS1_27scan_by_key_config_selectorIxxEEZZNS1_16scan_by_key_implILNS1_25lookback_scan_determinismE0ELb0ES3_N6thrust23THRUST_200600_302600_NS6detail15normal_iteratorINS9_10device_ptrIxEEEESE_SE_xNS9_4plusIxEE19head_flag_predicatexEE10hipError_tPvRmT2_T3_T4_T5_mT6_T7_P12ihipStream_tbENKUlT_T0_E_clISt17integral_constantIbLb1EESX_IbLb0EEEEDaST_SU_EUlST_E_NS1_11comp_targetILNS1_3genE10ELNS1_11target_archE1200ELNS1_3gpuE4ELNS1_3repE0EEENS1_30default_config_static_selectorELNS0_4arch9wavefront6targetE1EEEvT1_
                                        ; -- End function
	.section	.AMDGPU.csdata,"",@progbits
; Kernel info:
; codeLenInByte = 0
; NumSgprs: 6
; NumVgprs: 0
; NumAgprs: 0
; TotalNumVgprs: 0
; ScratchSize: 0
; MemoryBound: 0
; FloatMode: 240
; IeeeMode: 1
; LDSByteSize: 0 bytes/workgroup (compile time only)
; SGPRBlocks: 0
; VGPRBlocks: 0
; NumSGPRsForWavesPerEU: 6
; NumVGPRsForWavesPerEU: 1
; AccumOffset: 4
; Occupancy: 8
; WaveLimiterHint : 0
; COMPUTE_PGM_RSRC2:SCRATCH_EN: 0
; COMPUTE_PGM_RSRC2:USER_SGPR: 2
; COMPUTE_PGM_RSRC2:TRAP_HANDLER: 0
; COMPUTE_PGM_RSRC2:TGID_X_EN: 1
; COMPUTE_PGM_RSRC2:TGID_Y_EN: 0
; COMPUTE_PGM_RSRC2:TGID_Z_EN: 0
; COMPUTE_PGM_RSRC2:TIDIG_COMP_CNT: 0
; COMPUTE_PGM_RSRC3_GFX90A:ACCUM_OFFSET: 0
; COMPUTE_PGM_RSRC3_GFX90A:TG_SPLIT: 0
	.section	.text._ZN7rocprim17ROCPRIM_400000_NS6detail17trampoline_kernelINS0_14default_configENS1_27scan_by_key_config_selectorIxxEEZZNS1_16scan_by_key_implILNS1_25lookback_scan_determinismE0ELb0ES3_N6thrust23THRUST_200600_302600_NS6detail15normal_iteratorINS9_10device_ptrIxEEEESE_SE_xNS9_4plusIxEE19head_flag_predicatexEE10hipError_tPvRmT2_T3_T4_T5_mT6_T7_P12ihipStream_tbENKUlT_T0_E_clISt17integral_constantIbLb1EESX_IbLb0EEEEDaST_SU_EUlST_E_NS1_11comp_targetILNS1_3genE9ELNS1_11target_archE1100ELNS1_3gpuE3ELNS1_3repE0EEENS1_30default_config_static_selectorELNS0_4arch9wavefront6targetE1EEEvT1_,"axG",@progbits,_ZN7rocprim17ROCPRIM_400000_NS6detail17trampoline_kernelINS0_14default_configENS1_27scan_by_key_config_selectorIxxEEZZNS1_16scan_by_key_implILNS1_25lookback_scan_determinismE0ELb0ES3_N6thrust23THRUST_200600_302600_NS6detail15normal_iteratorINS9_10device_ptrIxEEEESE_SE_xNS9_4plusIxEE19head_flag_predicatexEE10hipError_tPvRmT2_T3_T4_T5_mT6_T7_P12ihipStream_tbENKUlT_T0_E_clISt17integral_constantIbLb1EESX_IbLb0EEEEDaST_SU_EUlST_E_NS1_11comp_targetILNS1_3genE9ELNS1_11target_archE1100ELNS1_3gpuE3ELNS1_3repE0EEENS1_30default_config_static_selectorELNS0_4arch9wavefront6targetE1EEEvT1_,comdat
	.protected	_ZN7rocprim17ROCPRIM_400000_NS6detail17trampoline_kernelINS0_14default_configENS1_27scan_by_key_config_selectorIxxEEZZNS1_16scan_by_key_implILNS1_25lookback_scan_determinismE0ELb0ES3_N6thrust23THRUST_200600_302600_NS6detail15normal_iteratorINS9_10device_ptrIxEEEESE_SE_xNS9_4plusIxEE19head_flag_predicatexEE10hipError_tPvRmT2_T3_T4_T5_mT6_T7_P12ihipStream_tbENKUlT_T0_E_clISt17integral_constantIbLb1EESX_IbLb0EEEEDaST_SU_EUlST_E_NS1_11comp_targetILNS1_3genE9ELNS1_11target_archE1100ELNS1_3gpuE3ELNS1_3repE0EEENS1_30default_config_static_selectorELNS0_4arch9wavefront6targetE1EEEvT1_ ; -- Begin function _ZN7rocprim17ROCPRIM_400000_NS6detail17trampoline_kernelINS0_14default_configENS1_27scan_by_key_config_selectorIxxEEZZNS1_16scan_by_key_implILNS1_25lookback_scan_determinismE0ELb0ES3_N6thrust23THRUST_200600_302600_NS6detail15normal_iteratorINS9_10device_ptrIxEEEESE_SE_xNS9_4plusIxEE19head_flag_predicatexEE10hipError_tPvRmT2_T3_T4_T5_mT6_T7_P12ihipStream_tbENKUlT_T0_E_clISt17integral_constantIbLb1EESX_IbLb0EEEEDaST_SU_EUlST_E_NS1_11comp_targetILNS1_3genE9ELNS1_11target_archE1100ELNS1_3gpuE3ELNS1_3repE0EEENS1_30default_config_static_selectorELNS0_4arch9wavefront6targetE1EEEvT1_
	.globl	_ZN7rocprim17ROCPRIM_400000_NS6detail17trampoline_kernelINS0_14default_configENS1_27scan_by_key_config_selectorIxxEEZZNS1_16scan_by_key_implILNS1_25lookback_scan_determinismE0ELb0ES3_N6thrust23THRUST_200600_302600_NS6detail15normal_iteratorINS9_10device_ptrIxEEEESE_SE_xNS9_4plusIxEE19head_flag_predicatexEE10hipError_tPvRmT2_T3_T4_T5_mT6_T7_P12ihipStream_tbENKUlT_T0_E_clISt17integral_constantIbLb1EESX_IbLb0EEEEDaST_SU_EUlST_E_NS1_11comp_targetILNS1_3genE9ELNS1_11target_archE1100ELNS1_3gpuE3ELNS1_3repE0EEENS1_30default_config_static_selectorELNS0_4arch9wavefront6targetE1EEEvT1_
	.p2align	8
	.type	_ZN7rocprim17ROCPRIM_400000_NS6detail17trampoline_kernelINS0_14default_configENS1_27scan_by_key_config_selectorIxxEEZZNS1_16scan_by_key_implILNS1_25lookback_scan_determinismE0ELb0ES3_N6thrust23THRUST_200600_302600_NS6detail15normal_iteratorINS9_10device_ptrIxEEEESE_SE_xNS9_4plusIxEE19head_flag_predicatexEE10hipError_tPvRmT2_T3_T4_T5_mT6_T7_P12ihipStream_tbENKUlT_T0_E_clISt17integral_constantIbLb1EESX_IbLb0EEEEDaST_SU_EUlST_E_NS1_11comp_targetILNS1_3genE9ELNS1_11target_archE1100ELNS1_3gpuE3ELNS1_3repE0EEENS1_30default_config_static_selectorELNS0_4arch9wavefront6targetE1EEEvT1_,@function
_ZN7rocprim17ROCPRIM_400000_NS6detail17trampoline_kernelINS0_14default_configENS1_27scan_by_key_config_selectorIxxEEZZNS1_16scan_by_key_implILNS1_25lookback_scan_determinismE0ELb0ES3_N6thrust23THRUST_200600_302600_NS6detail15normal_iteratorINS9_10device_ptrIxEEEESE_SE_xNS9_4plusIxEE19head_flag_predicatexEE10hipError_tPvRmT2_T3_T4_T5_mT6_T7_P12ihipStream_tbENKUlT_T0_E_clISt17integral_constantIbLb1EESX_IbLb0EEEEDaST_SU_EUlST_E_NS1_11comp_targetILNS1_3genE9ELNS1_11target_archE1100ELNS1_3gpuE3ELNS1_3repE0EEENS1_30default_config_static_selectorELNS0_4arch9wavefront6targetE1EEEvT1_: ; @_ZN7rocprim17ROCPRIM_400000_NS6detail17trampoline_kernelINS0_14default_configENS1_27scan_by_key_config_selectorIxxEEZZNS1_16scan_by_key_implILNS1_25lookback_scan_determinismE0ELb0ES3_N6thrust23THRUST_200600_302600_NS6detail15normal_iteratorINS9_10device_ptrIxEEEESE_SE_xNS9_4plusIxEE19head_flag_predicatexEE10hipError_tPvRmT2_T3_T4_T5_mT6_T7_P12ihipStream_tbENKUlT_T0_E_clISt17integral_constantIbLb1EESX_IbLb0EEEEDaST_SU_EUlST_E_NS1_11comp_targetILNS1_3genE9ELNS1_11target_archE1100ELNS1_3gpuE3ELNS1_3repE0EEENS1_30default_config_static_selectorELNS0_4arch9wavefront6targetE1EEEvT1_
; %bb.0:
	.section	.rodata,"a",@progbits
	.p2align	6, 0x0
	.amdhsa_kernel _ZN7rocprim17ROCPRIM_400000_NS6detail17trampoline_kernelINS0_14default_configENS1_27scan_by_key_config_selectorIxxEEZZNS1_16scan_by_key_implILNS1_25lookback_scan_determinismE0ELb0ES3_N6thrust23THRUST_200600_302600_NS6detail15normal_iteratorINS9_10device_ptrIxEEEESE_SE_xNS9_4plusIxEE19head_flag_predicatexEE10hipError_tPvRmT2_T3_T4_T5_mT6_T7_P12ihipStream_tbENKUlT_T0_E_clISt17integral_constantIbLb1EESX_IbLb0EEEEDaST_SU_EUlST_E_NS1_11comp_targetILNS1_3genE9ELNS1_11target_archE1100ELNS1_3gpuE3ELNS1_3repE0EEENS1_30default_config_static_selectorELNS0_4arch9wavefront6targetE1EEEvT1_
		.amdhsa_group_segment_fixed_size 0
		.amdhsa_private_segment_fixed_size 0
		.amdhsa_kernarg_size 136
		.amdhsa_user_sgpr_count 2
		.amdhsa_user_sgpr_dispatch_ptr 0
		.amdhsa_user_sgpr_queue_ptr 0
		.amdhsa_user_sgpr_kernarg_segment_ptr 1
		.amdhsa_user_sgpr_dispatch_id 0
		.amdhsa_user_sgpr_kernarg_preload_length 0
		.amdhsa_user_sgpr_kernarg_preload_offset 0
		.amdhsa_user_sgpr_private_segment_size 0
		.amdhsa_uses_dynamic_stack 0
		.amdhsa_enable_private_segment 0
		.amdhsa_system_sgpr_workgroup_id_x 1
		.amdhsa_system_sgpr_workgroup_id_y 0
		.amdhsa_system_sgpr_workgroup_id_z 0
		.amdhsa_system_sgpr_workgroup_info 0
		.amdhsa_system_vgpr_workitem_id 0
		.amdhsa_next_free_vgpr 1
		.amdhsa_next_free_sgpr 0
		.amdhsa_accum_offset 4
		.amdhsa_reserve_vcc 0
		.amdhsa_float_round_mode_32 0
		.amdhsa_float_round_mode_16_64 0
		.amdhsa_float_denorm_mode_32 3
		.amdhsa_float_denorm_mode_16_64 3
		.amdhsa_dx10_clamp 1
		.amdhsa_ieee_mode 1
		.amdhsa_fp16_overflow 0
		.amdhsa_tg_split 0
		.amdhsa_exception_fp_ieee_invalid_op 0
		.amdhsa_exception_fp_denorm_src 0
		.amdhsa_exception_fp_ieee_div_zero 0
		.amdhsa_exception_fp_ieee_overflow 0
		.amdhsa_exception_fp_ieee_underflow 0
		.amdhsa_exception_fp_ieee_inexact 0
		.amdhsa_exception_int_div_zero 0
	.end_amdhsa_kernel
	.section	.text._ZN7rocprim17ROCPRIM_400000_NS6detail17trampoline_kernelINS0_14default_configENS1_27scan_by_key_config_selectorIxxEEZZNS1_16scan_by_key_implILNS1_25lookback_scan_determinismE0ELb0ES3_N6thrust23THRUST_200600_302600_NS6detail15normal_iteratorINS9_10device_ptrIxEEEESE_SE_xNS9_4plusIxEE19head_flag_predicatexEE10hipError_tPvRmT2_T3_T4_T5_mT6_T7_P12ihipStream_tbENKUlT_T0_E_clISt17integral_constantIbLb1EESX_IbLb0EEEEDaST_SU_EUlST_E_NS1_11comp_targetILNS1_3genE9ELNS1_11target_archE1100ELNS1_3gpuE3ELNS1_3repE0EEENS1_30default_config_static_selectorELNS0_4arch9wavefront6targetE1EEEvT1_,"axG",@progbits,_ZN7rocprim17ROCPRIM_400000_NS6detail17trampoline_kernelINS0_14default_configENS1_27scan_by_key_config_selectorIxxEEZZNS1_16scan_by_key_implILNS1_25lookback_scan_determinismE0ELb0ES3_N6thrust23THRUST_200600_302600_NS6detail15normal_iteratorINS9_10device_ptrIxEEEESE_SE_xNS9_4plusIxEE19head_flag_predicatexEE10hipError_tPvRmT2_T3_T4_T5_mT6_T7_P12ihipStream_tbENKUlT_T0_E_clISt17integral_constantIbLb1EESX_IbLb0EEEEDaST_SU_EUlST_E_NS1_11comp_targetILNS1_3genE9ELNS1_11target_archE1100ELNS1_3gpuE3ELNS1_3repE0EEENS1_30default_config_static_selectorELNS0_4arch9wavefront6targetE1EEEvT1_,comdat
.Lfunc_end702:
	.size	_ZN7rocprim17ROCPRIM_400000_NS6detail17trampoline_kernelINS0_14default_configENS1_27scan_by_key_config_selectorIxxEEZZNS1_16scan_by_key_implILNS1_25lookback_scan_determinismE0ELb0ES3_N6thrust23THRUST_200600_302600_NS6detail15normal_iteratorINS9_10device_ptrIxEEEESE_SE_xNS9_4plusIxEE19head_flag_predicatexEE10hipError_tPvRmT2_T3_T4_T5_mT6_T7_P12ihipStream_tbENKUlT_T0_E_clISt17integral_constantIbLb1EESX_IbLb0EEEEDaST_SU_EUlST_E_NS1_11comp_targetILNS1_3genE9ELNS1_11target_archE1100ELNS1_3gpuE3ELNS1_3repE0EEENS1_30default_config_static_selectorELNS0_4arch9wavefront6targetE1EEEvT1_, .Lfunc_end702-_ZN7rocprim17ROCPRIM_400000_NS6detail17trampoline_kernelINS0_14default_configENS1_27scan_by_key_config_selectorIxxEEZZNS1_16scan_by_key_implILNS1_25lookback_scan_determinismE0ELb0ES3_N6thrust23THRUST_200600_302600_NS6detail15normal_iteratorINS9_10device_ptrIxEEEESE_SE_xNS9_4plusIxEE19head_flag_predicatexEE10hipError_tPvRmT2_T3_T4_T5_mT6_T7_P12ihipStream_tbENKUlT_T0_E_clISt17integral_constantIbLb1EESX_IbLb0EEEEDaST_SU_EUlST_E_NS1_11comp_targetILNS1_3genE9ELNS1_11target_archE1100ELNS1_3gpuE3ELNS1_3repE0EEENS1_30default_config_static_selectorELNS0_4arch9wavefront6targetE1EEEvT1_
                                        ; -- End function
	.section	.AMDGPU.csdata,"",@progbits
; Kernel info:
; codeLenInByte = 0
; NumSgprs: 6
; NumVgprs: 0
; NumAgprs: 0
; TotalNumVgprs: 0
; ScratchSize: 0
; MemoryBound: 0
; FloatMode: 240
; IeeeMode: 1
; LDSByteSize: 0 bytes/workgroup (compile time only)
; SGPRBlocks: 0
; VGPRBlocks: 0
; NumSGPRsForWavesPerEU: 6
; NumVGPRsForWavesPerEU: 1
; AccumOffset: 4
; Occupancy: 8
; WaveLimiterHint : 0
; COMPUTE_PGM_RSRC2:SCRATCH_EN: 0
; COMPUTE_PGM_RSRC2:USER_SGPR: 2
; COMPUTE_PGM_RSRC2:TRAP_HANDLER: 0
; COMPUTE_PGM_RSRC2:TGID_X_EN: 1
; COMPUTE_PGM_RSRC2:TGID_Y_EN: 0
; COMPUTE_PGM_RSRC2:TGID_Z_EN: 0
; COMPUTE_PGM_RSRC2:TIDIG_COMP_CNT: 0
; COMPUTE_PGM_RSRC3_GFX90A:ACCUM_OFFSET: 0
; COMPUTE_PGM_RSRC3_GFX90A:TG_SPLIT: 0
	.section	.text._ZN7rocprim17ROCPRIM_400000_NS6detail17trampoline_kernelINS0_14default_configENS1_27scan_by_key_config_selectorIxxEEZZNS1_16scan_by_key_implILNS1_25lookback_scan_determinismE0ELb0ES3_N6thrust23THRUST_200600_302600_NS6detail15normal_iteratorINS9_10device_ptrIxEEEESE_SE_xNS9_4plusIxEE19head_flag_predicatexEE10hipError_tPvRmT2_T3_T4_T5_mT6_T7_P12ihipStream_tbENKUlT_T0_E_clISt17integral_constantIbLb1EESX_IbLb0EEEEDaST_SU_EUlST_E_NS1_11comp_targetILNS1_3genE8ELNS1_11target_archE1030ELNS1_3gpuE2ELNS1_3repE0EEENS1_30default_config_static_selectorELNS0_4arch9wavefront6targetE1EEEvT1_,"axG",@progbits,_ZN7rocprim17ROCPRIM_400000_NS6detail17trampoline_kernelINS0_14default_configENS1_27scan_by_key_config_selectorIxxEEZZNS1_16scan_by_key_implILNS1_25lookback_scan_determinismE0ELb0ES3_N6thrust23THRUST_200600_302600_NS6detail15normal_iteratorINS9_10device_ptrIxEEEESE_SE_xNS9_4plusIxEE19head_flag_predicatexEE10hipError_tPvRmT2_T3_T4_T5_mT6_T7_P12ihipStream_tbENKUlT_T0_E_clISt17integral_constantIbLb1EESX_IbLb0EEEEDaST_SU_EUlST_E_NS1_11comp_targetILNS1_3genE8ELNS1_11target_archE1030ELNS1_3gpuE2ELNS1_3repE0EEENS1_30default_config_static_selectorELNS0_4arch9wavefront6targetE1EEEvT1_,comdat
	.protected	_ZN7rocprim17ROCPRIM_400000_NS6detail17trampoline_kernelINS0_14default_configENS1_27scan_by_key_config_selectorIxxEEZZNS1_16scan_by_key_implILNS1_25lookback_scan_determinismE0ELb0ES3_N6thrust23THRUST_200600_302600_NS6detail15normal_iteratorINS9_10device_ptrIxEEEESE_SE_xNS9_4plusIxEE19head_flag_predicatexEE10hipError_tPvRmT2_T3_T4_T5_mT6_T7_P12ihipStream_tbENKUlT_T0_E_clISt17integral_constantIbLb1EESX_IbLb0EEEEDaST_SU_EUlST_E_NS1_11comp_targetILNS1_3genE8ELNS1_11target_archE1030ELNS1_3gpuE2ELNS1_3repE0EEENS1_30default_config_static_selectorELNS0_4arch9wavefront6targetE1EEEvT1_ ; -- Begin function _ZN7rocprim17ROCPRIM_400000_NS6detail17trampoline_kernelINS0_14default_configENS1_27scan_by_key_config_selectorIxxEEZZNS1_16scan_by_key_implILNS1_25lookback_scan_determinismE0ELb0ES3_N6thrust23THRUST_200600_302600_NS6detail15normal_iteratorINS9_10device_ptrIxEEEESE_SE_xNS9_4plusIxEE19head_flag_predicatexEE10hipError_tPvRmT2_T3_T4_T5_mT6_T7_P12ihipStream_tbENKUlT_T0_E_clISt17integral_constantIbLb1EESX_IbLb0EEEEDaST_SU_EUlST_E_NS1_11comp_targetILNS1_3genE8ELNS1_11target_archE1030ELNS1_3gpuE2ELNS1_3repE0EEENS1_30default_config_static_selectorELNS0_4arch9wavefront6targetE1EEEvT1_
	.globl	_ZN7rocprim17ROCPRIM_400000_NS6detail17trampoline_kernelINS0_14default_configENS1_27scan_by_key_config_selectorIxxEEZZNS1_16scan_by_key_implILNS1_25lookback_scan_determinismE0ELb0ES3_N6thrust23THRUST_200600_302600_NS6detail15normal_iteratorINS9_10device_ptrIxEEEESE_SE_xNS9_4plusIxEE19head_flag_predicatexEE10hipError_tPvRmT2_T3_T4_T5_mT6_T7_P12ihipStream_tbENKUlT_T0_E_clISt17integral_constantIbLb1EESX_IbLb0EEEEDaST_SU_EUlST_E_NS1_11comp_targetILNS1_3genE8ELNS1_11target_archE1030ELNS1_3gpuE2ELNS1_3repE0EEENS1_30default_config_static_selectorELNS0_4arch9wavefront6targetE1EEEvT1_
	.p2align	8
	.type	_ZN7rocprim17ROCPRIM_400000_NS6detail17trampoline_kernelINS0_14default_configENS1_27scan_by_key_config_selectorIxxEEZZNS1_16scan_by_key_implILNS1_25lookback_scan_determinismE0ELb0ES3_N6thrust23THRUST_200600_302600_NS6detail15normal_iteratorINS9_10device_ptrIxEEEESE_SE_xNS9_4plusIxEE19head_flag_predicatexEE10hipError_tPvRmT2_T3_T4_T5_mT6_T7_P12ihipStream_tbENKUlT_T0_E_clISt17integral_constantIbLb1EESX_IbLb0EEEEDaST_SU_EUlST_E_NS1_11comp_targetILNS1_3genE8ELNS1_11target_archE1030ELNS1_3gpuE2ELNS1_3repE0EEENS1_30default_config_static_selectorELNS0_4arch9wavefront6targetE1EEEvT1_,@function
_ZN7rocprim17ROCPRIM_400000_NS6detail17trampoline_kernelINS0_14default_configENS1_27scan_by_key_config_selectorIxxEEZZNS1_16scan_by_key_implILNS1_25lookback_scan_determinismE0ELb0ES3_N6thrust23THRUST_200600_302600_NS6detail15normal_iteratorINS9_10device_ptrIxEEEESE_SE_xNS9_4plusIxEE19head_flag_predicatexEE10hipError_tPvRmT2_T3_T4_T5_mT6_T7_P12ihipStream_tbENKUlT_T0_E_clISt17integral_constantIbLb1EESX_IbLb0EEEEDaST_SU_EUlST_E_NS1_11comp_targetILNS1_3genE8ELNS1_11target_archE1030ELNS1_3gpuE2ELNS1_3repE0EEENS1_30default_config_static_selectorELNS0_4arch9wavefront6targetE1EEEvT1_: ; @_ZN7rocprim17ROCPRIM_400000_NS6detail17trampoline_kernelINS0_14default_configENS1_27scan_by_key_config_selectorIxxEEZZNS1_16scan_by_key_implILNS1_25lookback_scan_determinismE0ELb0ES3_N6thrust23THRUST_200600_302600_NS6detail15normal_iteratorINS9_10device_ptrIxEEEESE_SE_xNS9_4plusIxEE19head_flag_predicatexEE10hipError_tPvRmT2_T3_T4_T5_mT6_T7_P12ihipStream_tbENKUlT_T0_E_clISt17integral_constantIbLb1EESX_IbLb0EEEEDaST_SU_EUlST_E_NS1_11comp_targetILNS1_3genE8ELNS1_11target_archE1030ELNS1_3gpuE2ELNS1_3repE0EEENS1_30default_config_static_selectorELNS0_4arch9wavefront6targetE1EEEvT1_
; %bb.0:
	.section	.rodata,"a",@progbits
	.p2align	6, 0x0
	.amdhsa_kernel _ZN7rocprim17ROCPRIM_400000_NS6detail17trampoline_kernelINS0_14default_configENS1_27scan_by_key_config_selectorIxxEEZZNS1_16scan_by_key_implILNS1_25lookback_scan_determinismE0ELb0ES3_N6thrust23THRUST_200600_302600_NS6detail15normal_iteratorINS9_10device_ptrIxEEEESE_SE_xNS9_4plusIxEE19head_flag_predicatexEE10hipError_tPvRmT2_T3_T4_T5_mT6_T7_P12ihipStream_tbENKUlT_T0_E_clISt17integral_constantIbLb1EESX_IbLb0EEEEDaST_SU_EUlST_E_NS1_11comp_targetILNS1_3genE8ELNS1_11target_archE1030ELNS1_3gpuE2ELNS1_3repE0EEENS1_30default_config_static_selectorELNS0_4arch9wavefront6targetE1EEEvT1_
		.amdhsa_group_segment_fixed_size 0
		.amdhsa_private_segment_fixed_size 0
		.amdhsa_kernarg_size 136
		.amdhsa_user_sgpr_count 2
		.amdhsa_user_sgpr_dispatch_ptr 0
		.amdhsa_user_sgpr_queue_ptr 0
		.amdhsa_user_sgpr_kernarg_segment_ptr 1
		.amdhsa_user_sgpr_dispatch_id 0
		.amdhsa_user_sgpr_kernarg_preload_length 0
		.amdhsa_user_sgpr_kernarg_preload_offset 0
		.amdhsa_user_sgpr_private_segment_size 0
		.amdhsa_uses_dynamic_stack 0
		.amdhsa_enable_private_segment 0
		.amdhsa_system_sgpr_workgroup_id_x 1
		.amdhsa_system_sgpr_workgroup_id_y 0
		.amdhsa_system_sgpr_workgroup_id_z 0
		.amdhsa_system_sgpr_workgroup_info 0
		.amdhsa_system_vgpr_workitem_id 0
		.amdhsa_next_free_vgpr 1
		.amdhsa_next_free_sgpr 0
		.amdhsa_accum_offset 4
		.amdhsa_reserve_vcc 0
		.amdhsa_float_round_mode_32 0
		.amdhsa_float_round_mode_16_64 0
		.amdhsa_float_denorm_mode_32 3
		.amdhsa_float_denorm_mode_16_64 3
		.amdhsa_dx10_clamp 1
		.amdhsa_ieee_mode 1
		.amdhsa_fp16_overflow 0
		.amdhsa_tg_split 0
		.amdhsa_exception_fp_ieee_invalid_op 0
		.amdhsa_exception_fp_denorm_src 0
		.amdhsa_exception_fp_ieee_div_zero 0
		.amdhsa_exception_fp_ieee_overflow 0
		.amdhsa_exception_fp_ieee_underflow 0
		.amdhsa_exception_fp_ieee_inexact 0
		.amdhsa_exception_int_div_zero 0
	.end_amdhsa_kernel
	.section	.text._ZN7rocprim17ROCPRIM_400000_NS6detail17trampoline_kernelINS0_14default_configENS1_27scan_by_key_config_selectorIxxEEZZNS1_16scan_by_key_implILNS1_25lookback_scan_determinismE0ELb0ES3_N6thrust23THRUST_200600_302600_NS6detail15normal_iteratorINS9_10device_ptrIxEEEESE_SE_xNS9_4plusIxEE19head_flag_predicatexEE10hipError_tPvRmT2_T3_T4_T5_mT6_T7_P12ihipStream_tbENKUlT_T0_E_clISt17integral_constantIbLb1EESX_IbLb0EEEEDaST_SU_EUlST_E_NS1_11comp_targetILNS1_3genE8ELNS1_11target_archE1030ELNS1_3gpuE2ELNS1_3repE0EEENS1_30default_config_static_selectorELNS0_4arch9wavefront6targetE1EEEvT1_,"axG",@progbits,_ZN7rocprim17ROCPRIM_400000_NS6detail17trampoline_kernelINS0_14default_configENS1_27scan_by_key_config_selectorIxxEEZZNS1_16scan_by_key_implILNS1_25lookback_scan_determinismE0ELb0ES3_N6thrust23THRUST_200600_302600_NS6detail15normal_iteratorINS9_10device_ptrIxEEEESE_SE_xNS9_4plusIxEE19head_flag_predicatexEE10hipError_tPvRmT2_T3_T4_T5_mT6_T7_P12ihipStream_tbENKUlT_T0_E_clISt17integral_constantIbLb1EESX_IbLb0EEEEDaST_SU_EUlST_E_NS1_11comp_targetILNS1_3genE8ELNS1_11target_archE1030ELNS1_3gpuE2ELNS1_3repE0EEENS1_30default_config_static_selectorELNS0_4arch9wavefront6targetE1EEEvT1_,comdat
.Lfunc_end703:
	.size	_ZN7rocprim17ROCPRIM_400000_NS6detail17trampoline_kernelINS0_14default_configENS1_27scan_by_key_config_selectorIxxEEZZNS1_16scan_by_key_implILNS1_25lookback_scan_determinismE0ELb0ES3_N6thrust23THRUST_200600_302600_NS6detail15normal_iteratorINS9_10device_ptrIxEEEESE_SE_xNS9_4plusIxEE19head_flag_predicatexEE10hipError_tPvRmT2_T3_T4_T5_mT6_T7_P12ihipStream_tbENKUlT_T0_E_clISt17integral_constantIbLb1EESX_IbLb0EEEEDaST_SU_EUlST_E_NS1_11comp_targetILNS1_3genE8ELNS1_11target_archE1030ELNS1_3gpuE2ELNS1_3repE0EEENS1_30default_config_static_selectorELNS0_4arch9wavefront6targetE1EEEvT1_, .Lfunc_end703-_ZN7rocprim17ROCPRIM_400000_NS6detail17trampoline_kernelINS0_14default_configENS1_27scan_by_key_config_selectorIxxEEZZNS1_16scan_by_key_implILNS1_25lookback_scan_determinismE0ELb0ES3_N6thrust23THRUST_200600_302600_NS6detail15normal_iteratorINS9_10device_ptrIxEEEESE_SE_xNS9_4plusIxEE19head_flag_predicatexEE10hipError_tPvRmT2_T3_T4_T5_mT6_T7_P12ihipStream_tbENKUlT_T0_E_clISt17integral_constantIbLb1EESX_IbLb0EEEEDaST_SU_EUlST_E_NS1_11comp_targetILNS1_3genE8ELNS1_11target_archE1030ELNS1_3gpuE2ELNS1_3repE0EEENS1_30default_config_static_selectorELNS0_4arch9wavefront6targetE1EEEvT1_
                                        ; -- End function
	.section	.AMDGPU.csdata,"",@progbits
; Kernel info:
; codeLenInByte = 0
; NumSgprs: 6
; NumVgprs: 0
; NumAgprs: 0
; TotalNumVgprs: 0
; ScratchSize: 0
; MemoryBound: 0
; FloatMode: 240
; IeeeMode: 1
; LDSByteSize: 0 bytes/workgroup (compile time only)
; SGPRBlocks: 0
; VGPRBlocks: 0
; NumSGPRsForWavesPerEU: 6
; NumVGPRsForWavesPerEU: 1
; AccumOffset: 4
; Occupancy: 8
; WaveLimiterHint : 0
; COMPUTE_PGM_RSRC2:SCRATCH_EN: 0
; COMPUTE_PGM_RSRC2:USER_SGPR: 2
; COMPUTE_PGM_RSRC2:TRAP_HANDLER: 0
; COMPUTE_PGM_RSRC2:TGID_X_EN: 1
; COMPUTE_PGM_RSRC2:TGID_Y_EN: 0
; COMPUTE_PGM_RSRC2:TGID_Z_EN: 0
; COMPUTE_PGM_RSRC2:TIDIG_COMP_CNT: 0
; COMPUTE_PGM_RSRC3_GFX90A:ACCUM_OFFSET: 0
; COMPUTE_PGM_RSRC3_GFX90A:TG_SPLIT: 0
	.section	.text._ZN7rocprim17ROCPRIM_400000_NS6detail17trampoline_kernelINS0_14default_configENS1_27scan_by_key_config_selectorIxxEEZZNS1_16scan_by_key_implILNS1_25lookback_scan_determinismE0ELb0ES3_N6thrust23THRUST_200600_302600_NS6detail15normal_iteratorINS9_10device_ptrIxEEEESE_SE_xNS9_4plusIxEE19head_flag_predicatexEE10hipError_tPvRmT2_T3_T4_T5_mT6_T7_P12ihipStream_tbENKUlT_T0_E_clISt17integral_constantIbLb0EESX_IbLb1EEEEDaST_SU_EUlST_E_NS1_11comp_targetILNS1_3genE0ELNS1_11target_archE4294967295ELNS1_3gpuE0ELNS1_3repE0EEENS1_30default_config_static_selectorELNS0_4arch9wavefront6targetE1EEEvT1_,"axG",@progbits,_ZN7rocprim17ROCPRIM_400000_NS6detail17trampoline_kernelINS0_14default_configENS1_27scan_by_key_config_selectorIxxEEZZNS1_16scan_by_key_implILNS1_25lookback_scan_determinismE0ELb0ES3_N6thrust23THRUST_200600_302600_NS6detail15normal_iteratorINS9_10device_ptrIxEEEESE_SE_xNS9_4plusIxEE19head_flag_predicatexEE10hipError_tPvRmT2_T3_T4_T5_mT6_T7_P12ihipStream_tbENKUlT_T0_E_clISt17integral_constantIbLb0EESX_IbLb1EEEEDaST_SU_EUlST_E_NS1_11comp_targetILNS1_3genE0ELNS1_11target_archE4294967295ELNS1_3gpuE0ELNS1_3repE0EEENS1_30default_config_static_selectorELNS0_4arch9wavefront6targetE1EEEvT1_,comdat
	.protected	_ZN7rocprim17ROCPRIM_400000_NS6detail17trampoline_kernelINS0_14default_configENS1_27scan_by_key_config_selectorIxxEEZZNS1_16scan_by_key_implILNS1_25lookback_scan_determinismE0ELb0ES3_N6thrust23THRUST_200600_302600_NS6detail15normal_iteratorINS9_10device_ptrIxEEEESE_SE_xNS9_4plusIxEE19head_flag_predicatexEE10hipError_tPvRmT2_T3_T4_T5_mT6_T7_P12ihipStream_tbENKUlT_T0_E_clISt17integral_constantIbLb0EESX_IbLb1EEEEDaST_SU_EUlST_E_NS1_11comp_targetILNS1_3genE0ELNS1_11target_archE4294967295ELNS1_3gpuE0ELNS1_3repE0EEENS1_30default_config_static_selectorELNS0_4arch9wavefront6targetE1EEEvT1_ ; -- Begin function _ZN7rocprim17ROCPRIM_400000_NS6detail17trampoline_kernelINS0_14default_configENS1_27scan_by_key_config_selectorIxxEEZZNS1_16scan_by_key_implILNS1_25lookback_scan_determinismE0ELb0ES3_N6thrust23THRUST_200600_302600_NS6detail15normal_iteratorINS9_10device_ptrIxEEEESE_SE_xNS9_4plusIxEE19head_flag_predicatexEE10hipError_tPvRmT2_T3_T4_T5_mT6_T7_P12ihipStream_tbENKUlT_T0_E_clISt17integral_constantIbLb0EESX_IbLb1EEEEDaST_SU_EUlST_E_NS1_11comp_targetILNS1_3genE0ELNS1_11target_archE4294967295ELNS1_3gpuE0ELNS1_3repE0EEENS1_30default_config_static_selectorELNS0_4arch9wavefront6targetE1EEEvT1_
	.globl	_ZN7rocprim17ROCPRIM_400000_NS6detail17trampoline_kernelINS0_14default_configENS1_27scan_by_key_config_selectorIxxEEZZNS1_16scan_by_key_implILNS1_25lookback_scan_determinismE0ELb0ES3_N6thrust23THRUST_200600_302600_NS6detail15normal_iteratorINS9_10device_ptrIxEEEESE_SE_xNS9_4plusIxEE19head_flag_predicatexEE10hipError_tPvRmT2_T3_T4_T5_mT6_T7_P12ihipStream_tbENKUlT_T0_E_clISt17integral_constantIbLb0EESX_IbLb1EEEEDaST_SU_EUlST_E_NS1_11comp_targetILNS1_3genE0ELNS1_11target_archE4294967295ELNS1_3gpuE0ELNS1_3repE0EEENS1_30default_config_static_selectorELNS0_4arch9wavefront6targetE1EEEvT1_
	.p2align	8
	.type	_ZN7rocprim17ROCPRIM_400000_NS6detail17trampoline_kernelINS0_14default_configENS1_27scan_by_key_config_selectorIxxEEZZNS1_16scan_by_key_implILNS1_25lookback_scan_determinismE0ELb0ES3_N6thrust23THRUST_200600_302600_NS6detail15normal_iteratorINS9_10device_ptrIxEEEESE_SE_xNS9_4plusIxEE19head_flag_predicatexEE10hipError_tPvRmT2_T3_T4_T5_mT6_T7_P12ihipStream_tbENKUlT_T0_E_clISt17integral_constantIbLb0EESX_IbLb1EEEEDaST_SU_EUlST_E_NS1_11comp_targetILNS1_3genE0ELNS1_11target_archE4294967295ELNS1_3gpuE0ELNS1_3repE0EEENS1_30default_config_static_selectorELNS0_4arch9wavefront6targetE1EEEvT1_,@function
_ZN7rocprim17ROCPRIM_400000_NS6detail17trampoline_kernelINS0_14default_configENS1_27scan_by_key_config_selectorIxxEEZZNS1_16scan_by_key_implILNS1_25lookback_scan_determinismE0ELb0ES3_N6thrust23THRUST_200600_302600_NS6detail15normal_iteratorINS9_10device_ptrIxEEEESE_SE_xNS9_4plusIxEE19head_flag_predicatexEE10hipError_tPvRmT2_T3_T4_T5_mT6_T7_P12ihipStream_tbENKUlT_T0_E_clISt17integral_constantIbLb0EESX_IbLb1EEEEDaST_SU_EUlST_E_NS1_11comp_targetILNS1_3genE0ELNS1_11target_archE4294967295ELNS1_3gpuE0ELNS1_3repE0EEENS1_30default_config_static_selectorELNS0_4arch9wavefront6targetE1EEEvT1_: ; @_ZN7rocprim17ROCPRIM_400000_NS6detail17trampoline_kernelINS0_14default_configENS1_27scan_by_key_config_selectorIxxEEZZNS1_16scan_by_key_implILNS1_25lookback_scan_determinismE0ELb0ES3_N6thrust23THRUST_200600_302600_NS6detail15normal_iteratorINS9_10device_ptrIxEEEESE_SE_xNS9_4plusIxEE19head_flag_predicatexEE10hipError_tPvRmT2_T3_T4_T5_mT6_T7_P12ihipStream_tbENKUlT_T0_E_clISt17integral_constantIbLb0EESX_IbLb1EEEEDaST_SU_EUlST_E_NS1_11comp_targetILNS1_3genE0ELNS1_11target_archE4294967295ELNS1_3gpuE0ELNS1_3repE0EEENS1_30default_config_static_selectorELNS0_4arch9wavefront6targetE1EEEvT1_
; %bb.0:
	.section	.rodata,"a",@progbits
	.p2align	6, 0x0
	.amdhsa_kernel _ZN7rocprim17ROCPRIM_400000_NS6detail17trampoline_kernelINS0_14default_configENS1_27scan_by_key_config_selectorIxxEEZZNS1_16scan_by_key_implILNS1_25lookback_scan_determinismE0ELb0ES3_N6thrust23THRUST_200600_302600_NS6detail15normal_iteratorINS9_10device_ptrIxEEEESE_SE_xNS9_4plusIxEE19head_flag_predicatexEE10hipError_tPvRmT2_T3_T4_T5_mT6_T7_P12ihipStream_tbENKUlT_T0_E_clISt17integral_constantIbLb0EESX_IbLb1EEEEDaST_SU_EUlST_E_NS1_11comp_targetILNS1_3genE0ELNS1_11target_archE4294967295ELNS1_3gpuE0ELNS1_3repE0EEENS1_30default_config_static_selectorELNS0_4arch9wavefront6targetE1EEEvT1_
		.amdhsa_group_segment_fixed_size 0
		.amdhsa_private_segment_fixed_size 0
		.amdhsa_kernarg_size 136
		.amdhsa_user_sgpr_count 2
		.amdhsa_user_sgpr_dispatch_ptr 0
		.amdhsa_user_sgpr_queue_ptr 0
		.amdhsa_user_sgpr_kernarg_segment_ptr 1
		.amdhsa_user_sgpr_dispatch_id 0
		.amdhsa_user_sgpr_kernarg_preload_length 0
		.amdhsa_user_sgpr_kernarg_preload_offset 0
		.amdhsa_user_sgpr_private_segment_size 0
		.amdhsa_uses_dynamic_stack 0
		.amdhsa_enable_private_segment 0
		.amdhsa_system_sgpr_workgroup_id_x 1
		.amdhsa_system_sgpr_workgroup_id_y 0
		.amdhsa_system_sgpr_workgroup_id_z 0
		.amdhsa_system_sgpr_workgroup_info 0
		.amdhsa_system_vgpr_workitem_id 0
		.amdhsa_next_free_vgpr 1
		.amdhsa_next_free_sgpr 0
		.amdhsa_accum_offset 4
		.amdhsa_reserve_vcc 0
		.amdhsa_float_round_mode_32 0
		.amdhsa_float_round_mode_16_64 0
		.amdhsa_float_denorm_mode_32 3
		.amdhsa_float_denorm_mode_16_64 3
		.amdhsa_dx10_clamp 1
		.amdhsa_ieee_mode 1
		.amdhsa_fp16_overflow 0
		.amdhsa_tg_split 0
		.amdhsa_exception_fp_ieee_invalid_op 0
		.amdhsa_exception_fp_denorm_src 0
		.amdhsa_exception_fp_ieee_div_zero 0
		.amdhsa_exception_fp_ieee_overflow 0
		.amdhsa_exception_fp_ieee_underflow 0
		.amdhsa_exception_fp_ieee_inexact 0
		.amdhsa_exception_int_div_zero 0
	.end_amdhsa_kernel
	.section	.text._ZN7rocprim17ROCPRIM_400000_NS6detail17trampoline_kernelINS0_14default_configENS1_27scan_by_key_config_selectorIxxEEZZNS1_16scan_by_key_implILNS1_25lookback_scan_determinismE0ELb0ES3_N6thrust23THRUST_200600_302600_NS6detail15normal_iteratorINS9_10device_ptrIxEEEESE_SE_xNS9_4plusIxEE19head_flag_predicatexEE10hipError_tPvRmT2_T3_T4_T5_mT6_T7_P12ihipStream_tbENKUlT_T0_E_clISt17integral_constantIbLb0EESX_IbLb1EEEEDaST_SU_EUlST_E_NS1_11comp_targetILNS1_3genE0ELNS1_11target_archE4294967295ELNS1_3gpuE0ELNS1_3repE0EEENS1_30default_config_static_selectorELNS0_4arch9wavefront6targetE1EEEvT1_,"axG",@progbits,_ZN7rocprim17ROCPRIM_400000_NS6detail17trampoline_kernelINS0_14default_configENS1_27scan_by_key_config_selectorIxxEEZZNS1_16scan_by_key_implILNS1_25lookback_scan_determinismE0ELb0ES3_N6thrust23THRUST_200600_302600_NS6detail15normal_iteratorINS9_10device_ptrIxEEEESE_SE_xNS9_4plusIxEE19head_flag_predicatexEE10hipError_tPvRmT2_T3_T4_T5_mT6_T7_P12ihipStream_tbENKUlT_T0_E_clISt17integral_constantIbLb0EESX_IbLb1EEEEDaST_SU_EUlST_E_NS1_11comp_targetILNS1_3genE0ELNS1_11target_archE4294967295ELNS1_3gpuE0ELNS1_3repE0EEENS1_30default_config_static_selectorELNS0_4arch9wavefront6targetE1EEEvT1_,comdat
.Lfunc_end704:
	.size	_ZN7rocprim17ROCPRIM_400000_NS6detail17trampoline_kernelINS0_14default_configENS1_27scan_by_key_config_selectorIxxEEZZNS1_16scan_by_key_implILNS1_25lookback_scan_determinismE0ELb0ES3_N6thrust23THRUST_200600_302600_NS6detail15normal_iteratorINS9_10device_ptrIxEEEESE_SE_xNS9_4plusIxEE19head_flag_predicatexEE10hipError_tPvRmT2_T3_T4_T5_mT6_T7_P12ihipStream_tbENKUlT_T0_E_clISt17integral_constantIbLb0EESX_IbLb1EEEEDaST_SU_EUlST_E_NS1_11comp_targetILNS1_3genE0ELNS1_11target_archE4294967295ELNS1_3gpuE0ELNS1_3repE0EEENS1_30default_config_static_selectorELNS0_4arch9wavefront6targetE1EEEvT1_, .Lfunc_end704-_ZN7rocprim17ROCPRIM_400000_NS6detail17trampoline_kernelINS0_14default_configENS1_27scan_by_key_config_selectorIxxEEZZNS1_16scan_by_key_implILNS1_25lookback_scan_determinismE0ELb0ES3_N6thrust23THRUST_200600_302600_NS6detail15normal_iteratorINS9_10device_ptrIxEEEESE_SE_xNS9_4plusIxEE19head_flag_predicatexEE10hipError_tPvRmT2_T3_T4_T5_mT6_T7_P12ihipStream_tbENKUlT_T0_E_clISt17integral_constantIbLb0EESX_IbLb1EEEEDaST_SU_EUlST_E_NS1_11comp_targetILNS1_3genE0ELNS1_11target_archE4294967295ELNS1_3gpuE0ELNS1_3repE0EEENS1_30default_config_static_selectorELNS0_4arch9wavefront6targetE1EEEvT1_
                                        ; -- End function
	.section	.AMDGPU.csdata,"",@progbits
; Kernel info:
; codeLenInByte = 0
; NumSgprs: 6
; NumVgprs: 0
; NumAgprs: 0
; TotalNumVgprs: 0
; ScratchSize: 0
; MemoryBound: 0
; FloatMode: 240
; IeeeMode: 1
; LDSByteSize: 0 bytes/workgroup (compile time only)
; SGPRBlocks: 0
; VGPRBlocks: 0
; NumSGPRsForWavesPerEU: 6
; NumVGPRsForWavesPerEU: 1
; AccumOffset: 4
; Occupancy: 8
; WaveLimiterHint : 0
; COMPUTE_PGM_RSRC2:SCRATCH_EN: 0
; COMPUTE_PGM_RSRC2:USER_SGPR: 2
; COMPUTE_PGM_RSRC2:TRAP_HANDLER: 0
; COMPUTE_PGM_RSRC2:TGID_X_EN: 1
; COMPUTE_PGM_RSRC2:TGID_Y_EN: 0
; COMPUTE_PGM_RSRC2:TGID_Z_EN: 0
; COMPUTE_PGM_RSRC2:TIDIG_COMP_CNT: 0
; COMPUTE_PGM_RSRC3_GFX90A:ACCUM_OFFSET: 0
; COMPUTE_PGM_RSRC3_GFX90A:TG_SPLIT: 0
	.section	.text._ZN7rocprim17ROCPRIM_400000_NS6detail17trampoline_kernelINS0_14default_configENS1_27scan_by_key_config_selectorIxxEEZZNS1_16scan_by_key_implILNS1_25lookback_scan_determinismE0ELb0ES3_N6thrust23THRUST_200600_302600_NS6detail15normal_iteratorINS9_10device_ptrIxEEEESE_SE_xNS9_4plusIxEE19head_flag_predicatexEE10hipError_tPvRmT2_T3_T4_T5_mT6_T7_P12ihipStream_tbENKUlT_T0_E_clISt17integral_constantIbLb0EESX_IbLb1EEEEDaST_SU_EUlST_E_NS1_11comp_targetILNS1_3genE10ELNS1_11target_archE1201ELNS1_3gpuE5ELNS1_3repE0EEENS1_30default_config_static_selectorELNS0_4arch9wavefront6targetE1EEEvT1_,"axG",@progbits,_ZN7rocprim17ROCPRIM_400000_NS6detail17trampoline_kernelINS0_14default_configENS1_27scan_by_key_config_selectorIxxEEZZNS1_16scan_by_key_implILNS1_25lookback_scan_determinismE0ELb0ES3_N6thrust23THRUST_200600_302600_NS6detail15normal_iteratorINS9_10device_ptrIxEEEESE_SE_xNS9_4plusIxEE19head_flag_predicatexEE10hipError_tPvRmT2_T3_T4_T5_mT6_T7_P12ihipStream_tbENKUlT_T0_E_clISt17integral_constantIbLb0EESX_IbLb1EEEEDaST_SU_EUlST_E_NS1_11comp_targetILNS1_3genE10ELNS1_11target_archE1201ELNS1_3gpuE5ELNS1_3repE0EEENS1_30default_config_static_selectorELNS0_4arch9wavefront6targetE1EEEvT1_,comdat
	.protected	_ZN7rocprim17ROCPRIM_400000_NS6detail17trampoline_kernelINS0_14default_configENS1_27scan_by_key_config_selectorIxxEEZZNS1_16scan_by_key_implILNS1_25lookback_scan_determinismE0ELb0ES3_N6thrust23THRUST_200600_302600_NS6detail15normal_iteratorINS9_10device_ptrIxEEEESE_SE_xNS9_4plusIxEE19head_flag_predicatexEE10hipError_tPvRmT2_T3_T4_T5_mT6_T7_P12ihipStream_tbENKUlT_T0_E_clISt17integral_constantIbLb0EESX_IbLb1EEEEDaST_SU_EUlST_E_NS1_11comp_targetILNS1_3genE10ELNS1_11target_archE1201ELNS1_3gpuE5ELNS1_3repE0EEENS1_30default_config_static_selectorELNS0_4arch9wavefront6targetE1EEEvT1_ ; -- Begin function _ZN7rocprim17ROCPRIM_400000_NS6detail17trampoline_kernelINS0_14default_configENS1_27scan_by_key_config_selectorIxxEEZZNS1_16scan_by_key_implILNS1_25lookback_scan_determinismE0ELb0ES3_N6thrust23THRUST_200600_302600_NS6detail15normal_iteratorINS9_10device_ptrIxEEEESE_SE_xNS9_4plusIxEE19head_flag_predicatexEE10hipError_tPvRmT2_T3_T4_T5_mT6_T7_P12ihipStream_tbENKUlT_T0_E_clISt17integral_constantIbLb0EESX_IbLb1EEEEDaST_SU_EUlST_E_NS1_11comp_targetILNS1_3genE10ELNS1_11target_archE1201ELNS1_3gpuE5ELNS1_3repE0EEENS1_30default_config_static_selectorELNS0_4arch9wavefront6targetE1EEEvT1_
	.globl	_ZN7rocprim17ROCPRIM_400000_NS6detail17trampoline_kernelINS0_14default_configENS1_27scan_by_key_config_selectorIxxEEZZNS1_16scan_by_key_implILNS1_25lookback_scan_determinismE0ELb0ES3_N6thrust23THRUST_200600_302600_NS6detail15normal_iteratorINS9_10device_ptrIxEEEESE_SE_xNS9_4plusIxEE19head_flag_predicatexEE10hipError_tPvRmT2_T3_T4_T5_mT6_T7_P12ihipStream_tbENKUlT_T0_E_clISt17integral_constantIbLb0EESX_IbLb1EEEEDaST_SU_EUlST_E_NS1_11comp_targetILNS1_3genE10ELNS1_11target_archE1201ELNS1_3gpuE5ELNS1_3repE0EEENS1_30default_config_static_selectorELNS0_4arch9wavefront6targetE1EEEvT1_
	.p2align	8
	.type	_ZN7rocprim17ROCPRIM_400000_NS6detail17trampoline_kernelINS0_14default_configENS1_27scan_by_key_config_selectorIxxEEZZNS1_16scan_by_key_implILNS1_25lookback_scan_determinismE0ELb0ES3_N6thrust23THRUST_200600_302600_NS6detail15normal_iteratorINS9_10device_ptrIxEEEESE_SE_xNS9_4plusIxEE19head_flag_predicatexEE10hipError_tPvRmT2_T3_T4_T5_mT6_T7_P12ihipStream_tbENKUlT_T0_E_clISt17integral_constantIbLb0EESX_IbLb1EEEEDaST_SU_EUlST_E_NS1_11comp_targetILNS1_3genE10ELNS1_11target_archE1201ELNS1_3gpuE5ELNS1_3repE0EEENS1_30default_config_static_selectorELNS0_4arch9wavefront6targetE1EEEvT1_,@function
_ZN7rocprim17ROCPRIM_400000_NS6detail17trampoline_kernelINS0_14default_configENS1_27scan_by_key_config_selectorIxxEEZZNS1_16scan_by_key_implILNS1_25lookback_scan_determinismE0ELb0ES3_N6thrust23THRUST_200600_302600_NS6detail15normal_iteratorINS9_10device_ptrIxEEEESE_SE_xNS9_4plusIxEE19head_flag_predicatexEE10hipError_tPvRmT2_T3_T4_T5_mT6_T7_P12ihipStream_tbENKUlT_T0_E_clISt17integral_constantIbLb0EESX_IbLb1EEEEDaST_SU_EUlST_E_NS1_11comp_targetILNS1_3genE10ELNS1_11target_archE1201ELNS1_3gpuE5ELNS1_3repE0EEENS1_30default_config_static_selectorELNS0_4arch9wavefront6targetE1EEEvT1_: ; @_ZN7rocprim17ROCPRIM_400000_NS6detail17trampoline_kernelINS0_14default_configENS1_27scan_by_key_config_selectorIxxEEZZNS1_16scan_by_key_implILNS1_25lookback_scan_determinismE0ELb0ES3_N6thrust23THRUST_200600_302600_NS6detail15normal_iteratorINS9_10device_ptrIxEEEESE_SE_xNS9_4plusIxEE19head_flag_predicatexEE10hipError_tPvRmT2_T3_T4_T5_mT6_T7_P12ihipStream_tbENKUlT_T0_E_clISt17integral_constantIbLb0EESX_IbLb1EEEEDaST_SU_EUlST_E_NS1_11comp_targetILNS1_3genE10ELNS1_11target_archE1201ELNS1_3gpuE5ELNS1_3repE0EEENS1_30default_config_static_selectorELNS0_4arch9wavefront6targetE1EEEvT1_
; %bb.0:
	.section	.rodata,"a",@progbits
	.p2align	6, 0x0
	.amdhsa_kernel _ZN7rocprim17ROCPRIM_400000_NS6detail17trampoline_kernelINS0_14default_configENS1_27scan_by_key_config_selectorIxxEEZZNS1_16scan_by_key_implILNS1_25lookback_scan_determinismE0ELb0ES3_N6thrust23THRUST_200600_302600_NS6detail15normal_iteratorINS9_10device_ptrIxEEEESE_SE_xNS9_4plusIxEE19head_flag_predicatexEE10hipError_tPvRmT2_T3_T4_T5_mT6_T7_P12ihipStream_tbENKUlT_T0_E_clISt17integral_constantIbLb0EESX_IbLb1EEEEDaST_SU_EUlST_E_NS1_11comp_targetILNS1_3genE10ELNS1_11target_archE1201ELNS1_3gpuE5ELNS1_3repE0EEENS1_30default_config_static_selectorELNS0_4arch9wavefront6targetE1EEEvT1_
		.amdhsa_group_segment_fixed_size 0
		.amdhsa_private_segment_fixed_size 0
		.amdhsa_kernarg_size 136
		.amdhsa_user_sgpr_count 2
		.amdhsa_user_sgpr_dispatch_ptr 0
		.amdhsa_user_sgpr_queue_ptr 0
		.amdhsa_user_sgpr_kernarg_segment_ptr 1
		.amdhsa_user_sgpr_dispatch_id 0
		.amdhsa_user_sgpr_kernarg_preload_length 0
		.amdhsa_user_sgpr_kernarg_preload_offset 0
		.amdhsa_user_sgpr_private_segment_size 0
		.amdhsa_uses_dynamic_stack 0
		.amdhsa_enable_private_segment 0
		.amdhsa_system_sgpr_workgroup_id_x 1
		.amdhsa_system_sgpr_workgroup_id_y 0
		.amdhsa_system_sgpr_workgroup_id_z 0
		.amdhsa_system_sgpr_workgroup_info 0
		.amdhsa_system_vgpr_workitem_id 0
		.amdhsa_next_free_vgpr 1
		.amdhsa_next_free_sgpr 0
		.amdhsa_accum_offset 4
		.amdhsa_reserve_vcc 0
		.amdhsa_float_round_mode_32 0
		.amdhsa_float_round_mode_16_64 0
		.amdhsa_float_denorm_mode_32 3
		.amdhsa_float_denorm_mode_16_64 3
		.amdhsa_dx10_clamp 1
		.amdhsa_ieee_mode 1
		.amdhsa_fp16_overflow 0
		.amdhsa_tg_split 0
		.amdhsa_exception_fp_ieee_invalid_op 0
		.amdhsa_exception_fp_denorm_src 0
		.amdhsa_exception_fp_ieee_div_zero 0
		.amdhsa_exception_fp_ieee_overflow 0
		.amdhsa_exception_fp_ieee_underflow 0
		.amdhsa_exception_fp_ieee_inexact 0
		.amdhsa_exception_int_div_zero 0
	.end_amdhsa_kernel
	.section	.text._ZN7rocprim17ROCPRIM_400000_NS6detail17trampoline_kernelINS0_14default_configENS1_27scan_by_key_config_selectorIxxEEZZNS1_16scan_by_key_implILNS1_25lookback_scan_determinismE0ELb0ES3_N6thrust23THRUST_200600_302600_NS6detail15normal_iteratorINS9_10device_ptrIxEEEESE_SE_xNS9_4plusIxEE19head_flag_predicatexEE10hipError_tPvRmT2_T3_T4_T5_mT6_T7_P12ihipStream_tbENKUlT_T0_E_clISt17integral_constantIbLb0EESX_IbLb1EEEEDaST_SU_EUlST_E_NS1_11comp_targetILNS1_3genE10ELNS1_11target_archE1201ELNS1_3gpuE5ELNS1_3repE0EEENS1_30default_config_static_selectorELNS0_4arch9wavefront6targetE1EEEvT1_,"axG",@progbits,_ZN7rocprim17ROCPRIM_400000_NS6detail17trampoline_kernelINS0_14default_configENS1_27scan_by_key_config_selectorIxxEEZZNS1_16scan_by_key_implILNS1_25lookback_scan_determinismE0ELb0ES3_N6thrust23THRUST_200600_302600_NS6detail15normal_iteratorINS9_10device_ptrIxEEEESE_SE_xNS9_4plusIxEE19head_flag_predicatexEE10hipError_tPvRmT2_T3_T4_T5_mT6_T7_P12ihipStream_tbENKUlT_T0_E_clISt17integral_constantIbLb0EESX_IbLb1EEEEDaST_SU_EUlST_E_NS1_11comp_targetILNS1_3genE10ELNS1_11target_archE1201ELNS1_3gpuE5ELNS1_3repE0EEENS1_30default_config_static_selectorELNS0_4arch9wavefront6targetE1EEEvT1_,comdat
.Lfunc_end705:
	.size	_ZN7rocprim17ROCPRIM_400000_NS6detail17trampoline_kernelINS0_14default_configENS1_27scan_by_key_config_selectorIxxEEZZNS1_16scan_by_key_implILNS1_25lookback_scan_determinismE0ELb0ES3_N6thrust23THRUST_200600_302600_NS6detail15normal_iteratorINS9_10device_ptrIxEEEESE_SE_xNS9_4plusIxEE19head_flag_predicatexEE10hipError_tPvRmT2_T3_T4_T5_mT6_T7_P12ihipStream_tbENKUlT_T0_E_clISt17integral_constantIbLb0EESX_IbLb1EEEEDaST_SU_EUlST_E_NS1_11comp_targetILNS1_3genE10ELNS1_11target_archE1201ELNS1_3gpuE5ELNS1_3repE0EEENS1_30default_config_static_selectorELNS0_4arch9wavefront6targetE1EEEvT1_, .Lfunc_end705-_ZN7rocprim17ROCPRIM_400000_NS6detail17trampoline_kernelINS0_14default_configENS1_27scan_by_key_config_selectorIxxEEZZNS1_16scan_by_key_implILNS1_25lookback_scan_determinismE0ELb0ES3_N6thrust23THRUST_200600_302600_NS6detail15normal_iteratorINS9_10device_ptrIxEEEESE_SE_xNS9_4plusIxEE19head_flag_predicatexEE10hipError_tPvRmT2_T3_T4_T5_mT6_T7_P12ihipStream_tbENKUlT_T0_E_clISt17integral_constantIbLb0EESX_IbLb1EEEEDaST_SU_EUlST_E_NS1_11comp_targetILNS1_3genE10ELNS1_11target_archE1201ELNS1_3gpuE5ELNS1_3repE0EEENS1_30default_config_static_selectorELNS0_4arch9wavefront6targetE1EEEvT1_
                                        ; -- End function
	.section	.AMDGPU.csdata,"",@progbits
; Kernel info:
; codeLenInByte = 0
; NumSgprs: 6
; NumVgprs: 0
; NumAgprs: 0
; TotalNumVgprs: 0
; ScratchSize: 0
; MemoryBound: 0
; FloatMode: 240
; IeeeMode: 1
; LDSByteSize: 0 bytes/workgroup (compile time only)
; SGPRBlocks: 0
; VGPRBlocks: 0
; NumSGPRsForWavesPerEU: 6
; NumVGPRsForWavesPerEU: 1
; AccumOffset: 4
; Occupancy: 8
; WaveLimiterHint : 0
; COMPUTE_PGM_RSRC2:SCRATCH_EN: 0
; COMPUTE_PGM_RSRC2:USER_SGPR: 2
; COMPUTE_PGM_RSRC2:TRAP_HANDLER: 0
; COMPUTE_PGM_RSRC2:TGID_X_EN: 1
; COMPUTE_PGM_RSRC2:TGID_Y_EN: 0
; COMPUTE_PGM_RSRC2:TGID_Z_EN: 0
; COMPUTE_PGM_RSRC2:TIDIG_COMP_CNT: 0
; COMPUTE_PGM_RSRC3_GFX90A:ACCUM_OFFSET: 0
; COMPUTE_PGM_RSRC3_GFX90A:TG_SPLIT: 0
	.section	.text._ZN7rocprim17ROCPRIM_400000_NS6detail17trampoline_kernelINS0_14default_configENS1_27scan_by_key_config_selectorIxxEEZZNS1_16scan_by_key_implILNS1_25lookback_scan_determinismE0ELb0ES3_N6thrust23THRUST_200600_302600_NS6detail15normal_iteratorINS9_10device_ptrIxEEEESE_SE_xNS9_4plusIxEE19head_flag_predicatexEE10hipError_tPvRmT2_T3_T4_T5_mT6_T7_P12ihipStream_tbENKUlT_T0_E_clISt17integral_constantIbLb0EESX_IbLb1EEEEDaST_SU_EUlST_E_NS1_11comp_targetILNS1_3genE5ELNS1_11target_archE942ELNS1_3gpuE9ELNS1_3repE0EEENS1_30default_config_static_selectorELNS0_4arch9wavefront6targetE1EEEvT1_,"axG",@progbits,_ZN7rocprim17ROCPRIM_400000_NS6detail17trampoline_kernelINS0_14default_configENS1_27scan_by_key_config_selectorIxxEEZZNS1_16scan_by_key_implILNS1_25lookback_scan_determinismE0ELb0ES3_N6thrust23THRUST_200600_302600_NS6detail15normal_iteratorINS9_10device_ptrIxEEEESE_SE_xNS9_4plusIxEE19head_flag_predicatexEE10hipError_tPvRmT2_T3_T4_T5_mT6_T7_P12ihipStream_tbENKUlT_T0_E_clISt17integral_constantIbLb0EESX_IbLb1EEEEDaST_SU_EUlST_E_NS1_11comp_targetILNS1_3genE5ELNS1_11target_archE942ELNS1_3gpuE9ELNS1_3repE0EEENS1_30default_config_static_selectorELNS0_4arch9wavefront6targetE1EEEvT1_,comdat
	.protected	_ZN7rocprim17ROCPRIM_400000_NS6detail17trampoline_kernelINS0_14default_configENS1_27scan_by_key_config_selectorIxxEEZZNS1_16scan_by_key_implILNS1_25lookback_scan_determinismE0ELb0ES3_N6thrust23THRUST_200600_302600_NS6detail15normal_iteratorINS9_10device_ptrIxEEEESE_SE_xNS9_4plusIxEE19head_flag_predicatexEE10hipError_tPvRmT2_T3_T4_T5_mT6_T7_P12ihipStream_tbENKUlT_T0_E_clISt17integral_constantIbLb0EESX_IbLb1EEEEDaST_SU_EUlST_E_NS1_11comp_targetILNS1_3genE5ELNS1_11target_archE942ELNS1_3gpuE9ELNS1_3repE0EEENS1_30default_config_static_selectorELNS0_4arch9wavefront6targetE1EEEvT1_ ; -- Begin function _ZN7rocprim17ROCPRIM_400000_NS6detail17trampoline_kernelINS0_14default_configENS1_27scan_by_key_config_selectorIxxEEZZNS1_16scan_by_key_implILNS1_25lookback_scan_determinismE0ELb0ES3_N6thrust23THRUST_200600_302600_NS6detail15normal_iteratorINS9_10device_ptrIxEEEESE_SE_xNS9_4plusIxEE19head_flag_predicatexEE10hipError_tPvRmT2_T3_T4_T5_mT6_T7_P12ihipStream_tbENKUlT_T0_E_clISt17integral_constantIbLb0EESX_IbLb1EEEEDaST_SU_EUlST_E_NS1_11comp_targetILNS1_3genE5ELNS1_11target_archE942ELNS1_3gpuE9ELNS1_3repE0EEENS1_30default_config_static_selectorELNS0_4arch9wavefront6targetE1EEEvT1_
	.globl	_ZN7rocprim17ROCPRIM_400000_NS6detail17trampoline_kernelINS0_14default_configENS1_27scan_by_key_config_selectorIxxEEZZNS1_16scan_by_key_implILNS1_25lookback_scan_determinismE0ELb0ES3_N6thrust23THRUST_200600_302600_NS6detail15normal_iteratorINS9_10device_ptrIxEEEESE_SE_xNS9_4plusIxEE19head_flag_predicatexEE10hipError_tPvRmT2_T3_T4_T5_mT6_T7_P12ihipStream_tbENKUlT_T0_E_clISt17integral_constantIbLb0EESX_IbLb1EEEEDaST_SU_EUlST_E_NS1_11comp_targetILNS1_3genE5ELNS1_11target_archE942ELNS1_3gpuE9ELNS1_3repE0EEENS1_30default_config_static_selectorELNS0_4arch9wavefront6targetE1EEEvT1_
	.p2align	8
	.type	_ZN7rocprim17ROCPRIM_400000_NS6detail17trampoline_kernelINS0_14default_configENS1_27scan_by_key_config_selectorIxxEEZZNS1_16scan_by_key_implILNS1_25lookback_scan_determinismE0ELb0ES3_N6thrust23THRUST_200600_302600_NS6detail15normal_iteratorINS9_10device_ptrIxEEEESE_SE_xNS9_4plusIxEE19head_flag_predicatexEE10hipError_tPvRmT2_T3_T4_T5_mT6_T7_P12ihipStream_tbENKUlT_T0_E_clISt17integral_constantIbLb0EESX_IbLb1EEEEDaST_SU_EUlST_E_NS1_11comp_targetILNS1_3genE5ELNS1_11target_archE942ELNS1_3gpuE9ELNS1_3repE0EEENS1_30default_config_static_selectorELNS0_4arch9wavefront6targetE1EEEvT1_,@function
_ZN7rocprim17ROCPRIM_400000_NS6detail17trampoline_kernelINS0_14default_configENS1_27scan_by_key_config_selectorIxxEEZZNS1_16scan_by_key_implILNS1_25lookback_scan_determinismE0ELb0ES3_N6thrust23THRUST_200600_302600_NS6detail15normal_iteratorINS9_10device_ptrIxEEEESE_SE_xNS9_4plusIxEE19head_flag_predicatexEE10hipError_tPvRmT2_T3_T4_T5_mT6_T7_P12ihipStream_tbENKUlT_T0_E_clISt17integral_constantIbLb0EESX_IbLb1EEEEDaST_SU_EUlST_E_NS1_11comp_targetILNS1_3genE5ELNS1_11target_archE942ELNS1_3gpuE9ELNS1_3repE0EEENS1_30default_config_static_selectorELNS0_4arch9wavefront6targetE1EEEvT1_: ; @_ZN7rocprim17ROCPRIM_400000_NS6detail17trampoline_kernelINS0_14default_configENS1_27scan_by_key_config_selectorIxxEEZZNS1_16scan_by_key_implILNS1_25lookback_scan_determinismE0ELb0ES3_N6thrust23THRUST_200600_302600_NS6detail15normal_iteratorINS9_10device_ptrIxEEEESE_SE_xNS9_4plusIxEE19head_flag_predicatexEE10hipError_tPvRmT2_T3_T4_T5_mT6_T7_P12ihipStream_tbENKUlT_T0_E_clISt17integral_constantIbLb0EESX_IbLb1EEEEDaST_SU_EUlST_E_NS1_11comp_targetILNS1_3genE5ELNS1_11target_archE942ELNS1_3gpuE9ELNS1_3repE0EEENS1_30default_config_static_selectorELNS0_4arch9wavefront6targetE1EEEvT1_
; %bb.0:
	s_load_dwordx8 s[40:47], s[0:1], 0x30
	s_load_dwordx2 s[60:61], s[0:1], 0x50
	v_cmp_ne_u32_e64 s[4:5], 0, v0
	v_cmp_eq_u32_e64 s[36:37], 0, v0
	s_and_saveexec_b64 s[2:3], s[36:37]
	s_cbranch_execz .LBB706_4
; %bb.1:
	s_mov_b64 s[8:9], exec
	v_mbcnt_lo_u32_b32 v1, s8, 0
	v_mbcnt_hi_u32_b32 v1, s9, v1
	v_cmp_eq_u32_e32 vcc, 0, v1
                                        ; implicit-def: $vgpr2
	s_and_saveexec_b64 s[6:7], vcc
	s_cbranch_execz .LBB706_3
; %bb.2:
	s_load_dwordx2 s[10:11], s[0:1], 0x80
	s_bcnt1_i32_b64 s8, s[8:9]
	v_mov_b32_e32 v2, 0
	v_mov_b32_e32 v3, s8
	s_waitcnt lgkmcnt(0)
	global_atomic_add v2, v2, v3, s[10:11] sc0
.LBB706_3:
	s_or_b64 exec, exec, s[6:7]
	s_waitcnt vmcnt(0)
	v_readfirstlane_b32 s6, v2
	v_mov_b32_e32 v2, 0
	s_nop 0
	v_add_u32_e32 v1, s6, v1
	ds_write_b32 v2, v1
.LBB706_4:
	s_or_b64 exec, exec, s[2:3]
	s_load_dwordx8 s[48:55], s[0:1], 0x0
	s_load_dword s2, s[0:1], 0x58
	s_load_dwordx4 s[56:59], s[0:1], 0x60
	v_mov_b32_e32 v3, 0
	s_waitcnt lgkmcnt(0)
	s_barrier
	ds_read_b32 v2, v3
	s_lshl_b64 s[38:39], s[50:51], 3
	s_add_u32 s6, s48, s38
	s_addc_u32 s7, s49, s39
	s_add_u32 s8, s52, s38
	s_mul_i32 s0, s61, s2
	s_mul_hi_u32 s1, s60, s2
	s_waitcnt lgkmcnt(0)
	v_readfirstlane_b32 s47, v2
	s_addc_u32 s9, s53, s39
	s_add_i32 s3, s1, s0
	s_mov_b32 s1, 0
	s_mul_i32 s0, s47, 0xe00
	s_lshl_b64 s[48:49], s[0:1], 3
	s_add_u32 s34, s6, s48
	s_addc_u32 s35, s7, s49
	s_add_u32 s0, s8, s48
	s_addc_u32 s1, s9, s49
	s_mul_i32 s2, s60, s2
	s_add_u32 s8, s56, -1
	v_lshl_add_u64 v[2:3], s[2:3], 0, v[2:3]
	s_addc_u32 s9, s57, -1
	v_cmp_le_u64_e64 s[2:3], s[8:9], v[2:3]
	s_mov_b64 s[6:7], -1
	s_and_b64 vcc, exec, s[2:3]
	s_mul_i32 s33, s8, 0xfffff200
	s_barrier
	s_barrier
	s_cbranch_vccz .LBB706_76
; %bb.5:
	v_mov_b64_e32 v[2:3], s[34:35]
	flat_load_dwordx2 v[26:27], v[2:3]
	s_add_i32 s57, s33, s46
	v_cmp_gt_u32_e32 vcc, s57, v0
	s_waitcnt vmcnt(0) lgkmcnt(0)
	v_mov_b64_e32 v[30:31], v[26:27]
	s_and_saveexec_b64 s[6:7], vcc
	s_cbranch_execz .LBB706_7
; %bb.6:
	v_lshlrev_b32_e32 v2, 3, v0
	v_mov_b32_e32 v3, 0
	v_lshl_add_u64 v[2:3], s[34:35], 0, v[2:3]
	flat_load_dwordx2 v[30:31], v[2:3]
.LBB706_7:
	s_or_b64 exec, exec, s[6:7]
	v_or_b32_e32 v1, 0x100, v0
	v_cmp_gt_u32_e64 s[6:7], s57, v1
	v_mov_b64_e32 v[32:33], v[26:27]
	s_and_saveexec_b64 s[8:9], s[6:7]
	s_cbranch_execz .LBB706_9
; %bb.8:
	v_lshlrev_b32_e32 v2, 3, v0
	v_mov_b32_e32 v3, 0
	v_lshl_add_u64 v[2:3], s[34:35], 0, v[2:3]
	flat_load_dwordx2 v[32:33], v[2:3] offset:2048
.LBB706_9:
	s_or_b64 exec, exec, s[8:9]
	v_or_b32_e32 v1, 0x200, v0
	v_cmp_gt_u32_e64 s[8:9], s57, v1
	v_lshlrev_b32_e32 v2, 3, v1
	v_mov_b64_e32 v[34:35], v[26:27]
	s_and_saveexec_b64 s[10:11], s[8:9]
	s_cbranch_execz .LBB706_11
; %bb.10:
	v_mov_b32_e32 v3, 0
	v_lshl_add_u64 v[4:5], s[34:35], 0, v[2:3]
	flat_load_dwordx2 v[34:35], v[4:5]
.LBB706_11:
	s_or_b64 exec, exec, s[10:11]
	v_or_b32_e32 v1, 0x300, v0
	v_cmp_gt_u32_e64 s[10:11], s57, v1
	v_lshlrev_b32_e32 v4, 3, v1
	v_mov_b64_e32 v[36:37], v[26:27]
	s_and_saveexec_b64 s[12:13], s[10:11]
	s_cbranch_execz .LBB706_13
; %bb.12:
	v_mov_b32_e32 v5, 0
	v_lshl_add_u64 v[6:7], s[34:35], 0, v[4:5]
	flat_load_dwordx2 v[36:37], v[6:7]
.LBB706_13:
	;; [unrolled: 12-line block ×11, first 2 shown]
	s_or_b64 exec, exec, s[30:31]
	v_or_b32_e32 v1, 0xd00, v0
	v_cmp_gt_u32_e64 s[30:31], s57, v1
	v_lshlrev_b32_e32 v24, 3, v1
	s_and_saveexec_b64 s[50:51], s[30:31]
	s_cbranch_execz .LBB706_33
; %bb.32:
	v_mov_b32_e32 v25, 0
	v_lshl_add_u64 v[26:27], s[34:35], 0, v[24:25]
	flat_load_dwordx2 v[26:27], v[26:27]
.LBB706_33:
	s_or_b64 exec, exec, s[50:51]
	v_lshlrev_b32_e32 v28, 3, v0
	s_movk_i32 s50, 0x68
	s_waitcnt vmcnt(0) lgkmcnt(0)
	ds_write2st64_b64 v28, v[30:31], v[32:33] offset1:4
	ds_write2st64_b64 v28, v[34:35], v[36:37] offset0:8 offset1:12
	ds_write2st64_b64 v28, v[38:39], v[40:41] offset0:16 offset1:20
	;; [unrolled: 1-line block ×6, first 2 shown]
	v_mad_u32_u24 v42, v0, s50, v28
	s_waitcnt lgkmcnt(0)
	s_barrier
	ds_read_b128 v[66:69], v42
	ds_read_b128 v[62:65], v42 offset:16
	ds_read_b128 v[58:61], v42 offset:32
	;; [unrolled: 1-line block ×6, first 2 shown]
	s_movk_i32 s50, 0xff98
	v_mad_i32_i24 v1, v0, s50, v42
	s_waitcnt lgkmcnt(2)
	ds_write_b64 v1, v[40:41] offset:28672
	s_waitcnt lgkmcnt(0)
	s_barrier
	s_barrier
	s_waitcnt lgkmcnt(0)
                                        ; implicit-def: $vgpr26_vgpr27
	s_and_saveexec_b64 s[50:51], vcc
	s_cbranch_execz .LBB706_147
; %bb.34:
	v_mov_b32_e32 v29, 0
	v_lshl_add_u64 v[26:27], s[0:1], 0, v[28:29]
	flat_load_dwordx2 v[26:27], v[26:27]
	s_or_b64 exec, exec, s[50:51]
                                        ; implicit-def: $vgpr30_vgpr31
	s_and_saveexec_b64 s[50:51], s[6:7]
	s_cbranch_execnz .LBB706_148
.LBB706_35:
	s_or_b64 exec, exec, s[50:51]
                                        ; implicit-def: $vgpr32_vgpr33
	s_and_saveexec_b64 s[6:7], s[8:9]
	s_cbranch_execz .LBB706_149
.LBB706_36:
	v_mov_b32_e32 v3, 0
	v_lshl_add_u64 v[2:3], s[0:1], 0, v[2:3]
	flat_load_dwordx2 v[32:33], v[2:3]
	s_or_b64 exec, exec, s[6:7]
                                        ; implicit-def: $vgpr2_vgpr3
	s_and_saveexec_b64 s[6:7], s[10:11]
	s_cbranch_execnz .LBB706_150
.LBB706_37:
	s_or_b64 exec, exec, s[6:7]
                                        ; implicit-def: $vgpr4_vgpr5
	s_and_saveexec_b64 s[6:7], s[12:13]
	s_cbranch_execz .LBB706_151
.LBB706_38:
	v_mov_b32_e32 v7, 0
	v_lshl_add_u64 v[4:5], s[0:1], 0, v[6:7]
	flat_load_dwordx2 v[4:5], v[4:5]
	s_or_b64 exec, exec, s[6:7]
                                        ; implicit-def: $vgpr6_vgpr7
	s_and_saveexec_b64 s[6:7], s[14:15]
	s_cbranch_execnz .LBB706_152
.LBB706_39:
	s_or_b64 exec, exec, s[6:7]
                                        ; implicit-def: $vgpr8_vgpr9
	s_and_saveexec_b64 s[6:7], s[16:17]
	s_cbranch_execz .LBB706_153
.LBB706_40:
	v_mov_b32_e32 v11, 0
	v_lshl_add_u64 v[8:9], s[0:1], 0, v[10:11]
	flat_load_dwordx2 v[8:9], v[8:9]
	s_or_b64 exec, exec, s[6:7]
                                        ; implicit-def: $vgpr10_vgpr11
	s_and_saveexec_b64 s[6:7], s[18:19]
	s_cbranch_execnz .LBB706_154
.LBB706_41:
	s_or_b64 exec, exec, s[6:7]
                                        ; implicit-def: $vgpr12_vgpr13
	s_and_saveexec_b64 s[6:7], s[20:21]
	s_cbranch_execz .LBB706_155
.LBB706_42:
	v_mov_b32_e32 v15, 0
	v_lshl_add_u64 v[12:13], s[0:1], 0, v[14:15]
	flat_load_dwordx2 v[12:13], v[12:13]
	s_or_b64 exec, exec, s[6:7]
                                        ; implicit-def: $vgpr14_vgpr15
	s_and_saveexec_b64 s[6:7], s[22:23]
	s_cbranch_execnz .LBB706_156
.LBB706_43:
	s_or_b64 exec, exec, s[6:7]
                                        ; implicit-def: $vgpr16_vgpr17
	s_and_saveexec_b64 s[6:7], s[24:25]
	s_cbranch_execz .LBB706_157
.LBB706_44:
	v_mov_b32_e32 v19, 0
	v_lshl_add_u64 v[16:17], s[0:1], 0, v[18:19]
	flat_load_dwordx2 v[16:17], v[16:17]
	s_or_b64 exec, exec, s[6:7]
                                        ; implicit-def: $vgpr18_vgpr19
	s_and_saveexec_b64 s[6:7], s[26:27]
	s_cbranch_execnz .LBB706_158
.LBB706_45:
	s_or_b64 exec, exec, s[6:7]
                                        ; implicit-def: $vgpr20_vgpr21
	s_and_saveexec_b64 s[6:7], s[28:29]
	s_cbranch_execz .LBB706_47
.LBB706_46:
	v_mov_b32_e32 v23, 0
	v_lshl_add_u64 v[20:21], s[0:1], 0, v[22:23]
	flat_load_dwordx2 v[20:21], v[20:21]
.LBB706_47:
	s_or_b64 exec, exec, s[6:7]
	v_mul_u32_u24_e32 v43, 14, v0
                                        ; implicit-def: $vgpr22_vgpr23
	s_and_saveexec_b64 s[6:7], s[30:31]
	s_cbranch_execz .LBB706_49
; %bb.48:
	v_mov_b32_e32 v25, 0
	v_lshl_add_u64 v[22:23], s[0:1], 0, v[24:25]
	flat_load_dwordx2 v[22:23], v[22:23]
.LBB706_49:
	s_or_b64 exec, exec, s[6:7]
	v_mov_b64_e32 v[70:71], 0
	s_waitcnt vmcnt(0) lgkmcnt(0)
	ds_write2st64_b64 v28, v[26:27], v[30:31] offset1:4
	ds_write2st64_b64 v28, v[32:33], v[2:3] offset0:8 offset1:12
	ds_write2st64_b64 v28, v[4:5], v[6:7] offset0:16 offset1:20
	;; [unrolled: 1-line block ×6, first 2 shown]
	v_cmp_gt_u32_e32 vcc, s57, v43
	s_mov_b64 s[10:11], 0
	s_mov_b64 s[6:7], 0
	s_mov_b32 s56, 0
	v_mov_b32_e32 v73, 0
	v_mov_b32_e32 v83, 0
	v_mov_b64_e32 v[34:35], v[70:71]
	v_mov_b32_e32 v82, 0
	v_mov_b64_e32 v[32:33], v[70:71]
	;; [unrolled: 2-line block ×12, first 2 shown]
	s_waitcnt lgkmcnt(0)
	s_barrier
	s_waitcnt lgkmcnt(0)
                                        ; implicit-def: $vgpr44_vgpr45
	s_and_saveexec_b64 s[8:9], vcc
	s_cbranch_execz .LBB706_75
; %bb.50:
	ds_read_b64 v[2:3], v42
	v_or_b32_e32 v4, 1, v43
	v_cmp_ne_u64_e32 vcc, 0, v[66:67]
	v_mov_b64_e32 v[70:71], 0
	s_mov_b64 s[12:13], 0
	v_cndmask_b32_e64 v1, 0, 1, vcc
	v_cmp_gt_u32_e32 vcc, s57, v4
	v_mov_b32_e32 v73, 0
	v_mov_b32_e32 v83, 0
	v_mov_b64_e32 v[34:35], v[70:71]
	v_mov_b32_e32 v82, 0
	v_mov_b64_e32 v[32:33], v[70:71]
	v_mov_b32_e32 v81, 0
	v_mov_b64_e32 v[28:29], v[70:71]
	v_mov_b32_e32 v80, 0
	v_mov_b64_e32 v[26:27], v[70:71]
	v_mov_b32_e32 v79, 0
	v_mov_b64_e32 v[22:23], v[70:71]
	v_mov_b32_e32 v78, 0
	v_mov_b64_e32 v[20:21], v[70:71]
	v_mov_b32_e32 v77, 0
	v_mov_b64_e32 v[16:17], v[70:71]
	v_mov_b32_e32 v76, 0
	v_mov_b64_e32 v[14:15], v[70:71]
	v_mov_b32_e32 v75, 0
	v_mov_b64_e32 v[10:11], v[70:71]
	v_mov_b32_e32 v74, 0
	v_mov_b64_e32 v[8:9], v[70:71]
	v_mov_b32_e32 v72, 0
	v_mov_b64_e32 v[4:5], v[70:71]
                                        ; implicit-def: $vgpr44_vgpr45
	s_and_saveexec_b64 s[10:11], vcc
	s_cbranch_execz .LBB706_74
; %bb.51:
	ds_read2_b64 v[4:7], v42 offset0:1 offset1:2
	v_add_u32_e32 v8, 2, v43
	v_cmp_ne_u64_e32 vcc, 0, v[68:69]
	v_mov_b64_e32 v[70:71], 0
	s_mov_b64 s[14:15], 0
	v_cndmask_b32_e64 v72, 0, 1, vcc
	v_cmp_gt_u32_e32 vcc, s57, v8
	v_mov_b32_e32 v73, 0
	v_mov_b32_e32 v83, 0
	v_mov_b64_e32 v[34:35], v[70:71]
	v_mov_b32_e32 v82, 0
	v_mov_b64_e32 v[32:33], v[70:71]
	;; [unrolled: 2-line block ×10, first 2 shown]
                                        ; implicit-def: $vgpr44_vgpr45
	s_and_saveexec_b64 s[12:13], vcc
	s_cbranch_execz .LBB706_73
; %bb.52:
	s_waitcnt lgkmcnt(0)
	v_mov_b32_e32 v8, v6
	v_add_u32_e32 v6, 3, v43
	v_cmp_ne_u64_e32 vcc, 0, v[62:63]
	v_mov_b64_e32 v[70:71], 0
	v_mov_b32_e32 v9, v7
	s_mov_b64 s[16:17], 0
	v_cndmask_b32_e64 v74, 0, 1, vcc
	v_cmp_gt_u32_e32 vcc, s57, v6
	v_mov_b32_e32 v73, 0
	v_mov_b32_e32 v83, 0
	v_mov_b64_e32 v[34:35], v[70:71]
	v_mov_b32_e32 v82, 0
	v_mov_b64_e32 v[32:33], v[70:71]
	;; [unrolled: 2-line block ×9, first 2 shown]
                                        ; implicit-def: $vgpr44_vgpr45
	s_and_saveexec_b64 s[14:15], vcc
	s_cbranch_execz .LBB706_72
; %bb.53:
	ds_read2_b64 v[10:13], v42 offset0:3 offset1:4
	v_add_u32_e32 v6, 4, v43
	v_cmp_ne_u64_e32 vcc, 0, v[64:65]
	v_mov_b64_e32 v[70:71], 0
	s_mov_b64 s[18:19], 0
	v_cndmask_b32_e64 v75, 0, 1, vcc
	v_cmp_gt_u32_e32 vcc, s57, v6
	v_mov_b32_e32 v73, 0
	v_mov_b32_e32 v83, 0
	v_mov_b64_e32 v[34:35], v[70:71]
	v_mov_b32_e32 v82, 0
	v_mov_b64_e32 v[32:33], v[70:71]
	;; [unrolled: 2-line block ×8, first 2 shown]
                                        ; implicit-def: $vgpr44_vgpr45
	s_and_saveexec_b64 s[16:17], vcc
	s_cbranch_execz .LBB706_71
; %bb.54:
	v_add_u32_e32 v6, 5, v43
	v_cmp_ne_u64_e32 vcc, 0, v[58:59]
	v_mov_b64_e32 v[70:71], 0
	s_waitcnt lgkmcnt(0)
	v_mov_b32_e32 v14, v12
	v_mov_b32_e32 v15, v13
	s_mov_b64 s[20:21], 0
	v_cndmask_b32_e64 v76, 0, 1, vcc
	v_cmp_gt_u32_e32 vcc, s57, v6
	v_mov_b32_e32 v73, 0
	v_mov_b32_e32 v83, 0
	v_mov_b64_e32 v[34:35], v[70:71]
	v_mov_b32_e32 v82, 0
	v_mov_b64_e32 v[32:33], v[70:71]
	;; [unrolled: 2-line block ×7, first 2 shown]
                                        ; implicit-def: $vgpr44_vgpr45
	s_and_saveexec_b64 s[18:19], vcc
	s_cbranch_execz .LBB706_70
; %bb.55:
	ds_read2_b64 v[16:19], v42 offset0:5 offset1:6
	v_add_u32_e32 v6, 6, v43
	v_cmp_ne_u64_e32 vcc, 0, v[60:61]
	v_mov_b64_e32 v[70:71], 0
	s_mov_b64 s[22:23], 0
	v_cndmask_b32_e64 v77, 0, 1, vcc
	v_cmp_gt_u32_e32 vcc, s57, v6
	v_mov_b32_e32 v73, 0
	v_mov_b32_e32 v83, 0
	v_mov_b64_e32 v[34:35], v[70:71]
	v_mov_b32_e32 v82, 0
	v_mov_b64_e32 v[32:33], v[70:71]
	;; [unrolled: 2-line block ×6, first 2 shown]
                                        ; implicit-def: $vgpr44_vgpr45
	s_and_saveexec_b64 s[20:21], vcc
	s_cbranch_execz .LBB706_69
; %bb.56:
	v_add_u32_e32 v6, 7, v43
	v_cmp_ne_u64_e32 vcc, 0, v[54:55]
	v_mov_b64_e32 v[70:71], 0
	s_waitcnt lgkmcnt(0)
	v_mov_b32_e32 v20, v18
	v_mov_b32_e32 v21, v19
	s_mov_b64 s[24:25], 0
	v_cndmask_b32_e64 v78, 0, 1, vcc
	v_cmp_gt_u32_e32 vcc, s57, v6
	v_mov_b32_e32 v73, 0
	v_mov_b32_e32 v83, 0
	v_mov_b64_e32 v[34:35], v[70:71]
	v_mov_b32_e32 v82, 0
	v_mov_b64_e32 v[32:33], v[70:71]
	;; [unrolled: 2-line block ×5, first 2 shown]
                                        ; implicit-def: $vgpr44_vgpr45
	s_and_saveexec_b64 s[22:23], vcc
	s_cbranch_execz .LBB706_68
; %bb.57:
	ds_read2_b64 v[22:25], v42 offset0:7 offset1:8
	v_add_u32_e32 v6, 8, v43
	v_cmp_ne_u64_e32 vcc, 0, v[56:57]
	v_mov_b64_e32 v[70:71], 0
	s_mov_b64 s[26:27], 0
	v_cndmask_b32_e64 v79, 0, 1, vcc
	v_cmp_gt_u32_e32 vcc, s57, v6
	v_mov_b32_e32 v73, 0
	v_mov_b32_e32 v83, 0
	v_mov_b64_e32 v[34:35], v[70:71]
	v_mov_b32_e32 v82, 0
	v_mov_b64_e32 v[32:33], v[70:71]
	;; [unrolled: 2-line block ×4, first 2 shown]
                                        ; implicit-def: $vgpr44_vgpr45
	s_and_saveexec_b64 s[24:25], vcc
	s_cbranch_execz .LBB706_67
; %bb.58:
	v_add_u32_e32 v6, 9, v43
	v_cmp_ne_u64_e32 vcc, 0, v[50:51]
	v_mov_b64_e32 v[70:71], 0
	s_waitcnt lgkmcnt(0)
	v_mov_b32_e32 v26, v24
	v_mov_b32_e32 v27, v25
	s_mov_b64 s[28:29], 0
	v_cndmask_b32_e64 v80, 0, 1, vcc
	v_cmp_gt_u32_e32 vcc, s57, v6
	v_mov_b32_e32 v73, 0
	v_mov_b32_e32 v83, 0
	v_mov_b64_e32 v[34:35], v[70:71]
	v_mov_b32_e32 v82, 0
	v_mov_b64_e32 v[32:33], v[70:71]
	v_mov_b32_e32 v81, 0
	v_mov_b64_e32 v[28:29], v[70:71]
                                        ; implicit-def: $vgpr44_vgpr45
	s_and_saveexec_b64 s[26:27], vcc
	s_cbranch_execz .LBB706_66
; %bb.59:
	ds_read2_b64 v[28:31], v42 offset0:9 offset1:10
	v_add_u32_e32 v6, 10, v43
	v_cmp_ne_u64_e32 vcc, 0, v[52:53]
	v_mov_b64_e32 v[70:71], 0
	s_mov_b64 s[30:31], 0
	v_cndmask_b32_e64 v81, 0, 1, vcc
	v_cmp_gt_u32_e32 vcc, s57, v6
	v_mov_b32_e32 v73, 0
	v_mov_b32_e32 v83, 0
	v_mov_b64_e32 v[34:35], v[70:71]
	v_mov_b32_e32 v82, 0
	v_mov_b64_e32 v[32:33], v[70:71]
                                        ; implicit-def: $vgpr44_vgpr45
	s_and_saveexec_b64 s[28:29], vcc
	s_cbranch_execz .LBB706_65
; %bb.60:
	v_add_u32_e32 v6, 11, v43
	v_cmp_ne_u64_e32 vcc, 0, v[46:47]
	v_mov_b64_e32 v[70:71], 0
	s_waitcnt lgkmcnt(0)
	v_mov_b32_e32 v32, v30
	v_mov_b32_e32 v33, v31
	s_mov_b64 s[50:51], 0
	v_cndmask_b32_e64 v82, 0, 1, vcc
	v_cmp_gt_u32_e32 vcc, s57, v6
	v_mov_b32_e32 v73, 0
	v_mov_b32_e32 v83, 0
	v_mov_b64_e32 v[34:35], v[70:71]
                                        ; implicit-def: $vgpr44_vgpr45
	s_and_saveexec_b64 s[30:31], vcc
	s_cbranch_execz .LBB706_64
; %bb.61:
	ds_read2_b64 v[34:37], v42 offset0:11 offset1:12
	v_add_u32_e32 v6, 12, v43
	v_cmp_ne_u64_e32 vcc, 0, v[48:49]
	v_mov_b32_e32 v73, 0
	v_mov_b64_e32 v[70:71], 0
	v_cndmask_b32_e64 v83, 0, 1, vcc
	v_cmp_gt_u32_e32 vcc, s57, v6
                                        ; implicit-def: $vgpr44_vgpr45
	s_and_saveexec_b64 s[52:53], vcc
	s_xor_b64 s[52:53], exec, s[52:53]
	s_cbranch_execz .LBB706_63
; %bb.62:
	ds_read_b64 v[44:45], v42 offset:104
	v_add_u32_e32 v6, 13, v43
	v_cmp_ne_u64_e32 vcc, 0, v[38:39]
	s_waitcnt lgkmcnt(1)
	v_mov_b64_e32 v[42:43], v[36:37]
	v_mov_b64_e32 v[70:71], v[36:37]
	v_cndmask_b32_e64 v73, 0, 1, vcc
	v_cmp_gt_u32_e32 vcc, s57, v6
	s_and_b64 s[50:51], vcc, exec
.LBB706_63:
	s_or_b64 exec, exec, s[52:53]
	s_and_b64 s[50:51], s[50:51], exec
.LBB706_64:
	s_or_b64 exec, exec, s[30:31]
	s_and_b64 s[30:31], s[50:51], exec
.LBB706_65:
	s_or_b64 exec, exec, s[28:29]
	s_and_b64 s[28:29], s[30:31], exec
.LBB706_66:
	s_or_b64 exec, exec, s[26:27]
	s_and_b64 s[26:27], s[28:29], exec
.LBB706_67:
	s_or_b64 exec, exec, s[24:25]
	s_and_b64 s[24:25], s[26:27], exec
.LBB706_68:
	s_or_b64 exec, exec, s[22:23]
	s_and_b64 s[22:23], s[24:25], exec
.LBB706_69:
	s_or_b64 exec, exec, s[20:21]
	s_and_b64 s[20:21], s[22:23], exec
.LBB706_70:
	s_or_b64 exec, exec, s[18:19]
	s_and_b64 s[18:19], s[20:21], exec
.LBB706_71:
	s_or_b64 exec, exec, s[16:17]
	s_and_b64 s[16:17], s[18:19], exec
.LBB706_72:
	s_or_b64 exec, exec, s[14:15]
	s_and_b64 s[14:15], s[16:17], exec
.LBB706_73:
	s_or_b64 exec, exec, s[12:13]
	s_and_b64 s[12:13], s[14:15], exec
.LBB706_74:
	s_or_b64 exec, exec, s[10:11]
	s_and_b64 s[10:11], s[12:13], exec
.LBB706_75:
	s_or_b64 exec, exec, s[8:9]
	s_mov_b64 s[8:9], 0
	s_and_b64 vcc, exec, s[6:7]
	s_waitcnt lgkmcnt(0)
	v_lshlrev_b32_e32 v30, 3, v0
	s_cbranch_vccnz .LBB706_77
	s_branch .LBB706_78
.LBB706_76:
	s_mov_b64 s[10:11], 0
                                        ; implicit-def: $vgpr40_vgpr41
                                        ; implicit-def: $vgpr44_vgpr45
                                        ; implicit-def: $vgpr73
                                        ; implicit-def: $vgpr83
                                        ; implicit-def: $vgpr34_vgpr35
                                        ; implicit-def: $vgpr82
                                        ; implicit-def: $vgpr32_vgpr33
                                        ; implicit-def: $vgpr81
                                        ; implicit-def: $vgpr28_vgpr29
                                        ; implicit-def: $vgpr80
                                        ; implicit-def: $vgpr26_vgpr27
                                        ; implicit-def: $vgpr79
                                        ; implicit-def: $vgpr22_vgpr23
                                        ; implicit-def: $vgpr78
                                        ; implicit-def: $vgpr20_vgpr21
                                        ; implicit-def: $vgpr77
                                        ; implicit-def: $vgpr16_vgpr17
                                        ; implicit-def: $vgpr76
                                        ; implicit-def: $vgpr14_vgpr15
                                        ; implicit-def: $vgpr75
                                        ; implicit-def: $vgpr10_vgpr11
                                        ; implicit-def: $vgpr74
                                        ; implicit-def: $vgpr8_vgpr9
                                        ; implicit-def: $vgpr72
                                        ; implicit-def: $vgpr4_vgpr5
                                        ; implicit-def: $vgpr1
                                        ; implicit-def: $vgpr2_vgpr3
                                        ; implicit-def: $sgpr56
                                        ; implicit-def: $sgpr8_sgpr9
                                        ; implicit-def: $vgpr70_vgpr71
	s_and_b64 vcc, exec, s[6:7]
	v_lshlrev_b32_e32 v30, 3, v0
	s_cbranch_vccz .LBB706_78
.LBB706_77:
	v_mov_b32_e32 v31, 0
	v_lshl_add_u64 v[2:3], s[34:35], 0, v[30:31]
	v_add_co_u32_e32 v4, vcc, 0x1000, v2
	s_movk_i32 s6, 0x1000
	s_nop 0
	v_addc_co_u32_e32 v5, vcc, 0, v3, vcc
	flat_load_dwordx2 v[6:7], v[2:3]
	flat_load_dwordx2 v[8:9], v[2:3] offset:2048
	flat_load_dwordx2 v[10:11], v[4:5]
	flat_load_dwordx2 v[12:13], v[4:5] offset:2048
	v_add_co_u32_e32 v4, vcc, 0x2000, v2
	v_lshl_add_u64 v[34:35], s[0:1], 0, v[30:31]
	s_nop 0
	v_addc_co_u32_e32 v5, vcc, 0, v3, vcc
	v_add_co_u32_e32 v14, vcc, 0x3000, v2
	s_movk_i32 s7, 0x2000
	s_nop 0
	v_addc_co_u32_e32 v15, vcc, 0, v3, vcc
	flat_load_dwordx2 v[16:17], v[4:5]
	flat_load_dwordx2 v[18:19], v[4:5] offset:2048
	flat_load_dwordx2 v[20:21], v[14:15]
	flat_load_dwordx2 v[22:23], v[14:15] offset:2048
	v_add_co_u32_e32 v4, vcc, 0x4000, v2
	s_movk_i32 s14, 0x68
	s_nop 0
	v_addc_co_u32_e32 v5, vcc, 0, v3, vcc
	v_add_co_u32_e32 v14, vcc, 0x5000, v2
	s_movk_i32 s15, 0xff98
	s_nop 0
	v_addc_co_u32_e32 v15, vcc, 0, v3, vcc
	v_add_co_u32_e32 v2, vcc, 0x6000, v2
	flat_load_dwordx2 v[24:25], v[4:5]
	flat_load_dwordx2 v[26:27], v[4:5] offset:2048
	flat_load_dwordx2 v[28:29], v[14:15]
	flat_load_dwordx2 v[32:33], v[14:15] offset:2048
	v_addc_co_u32_e32 v3, vcc, 0, v3, vcc
	flat_load_dwordx2 v[4:5], v[2:3]
	flat_load_dwordx2 v[14:15], v[2:3] offset:2048
	v_add_co_u32_e32 v36, vcc, s6, v34
	v_mad_u32_u24 v62, v0, s14, v30
	s_nop 0
	v_addc_co_u32_e32 v37, vcc, 0, v35, vcc
	v_add_co_u32_e32 v42, vcc, s7, v34
	s_movk_i32 s8, 0x3000
	v_mad_i32_i24 v1, v0, s15, v62
	v_addc_co_u32_e32 v43, vcc, 0, v35, vcc
	s_movk_i32 s9, 0x4000
	s_movk_i32 s12, 0x5000
	;; [unrolled: 1-line block ×3, first 2 shown]
	s_or_b64 s[10:11], s[10:11], exec
                                        ; implicit-def: $sgpr56
                                        ; implicit-def: $vgpr70_vgpr71
	s_waitcnt vmcnt(0) lgkmcnt(0)
	ds_write2st64_b64 v30, v[6:7], v[8:9] offset1:4
	ds_write2st64_b64 v30, v[10:11], v[12:13] offset0:8 offset1:12
	ds_write2st64_b64 v30, v[16:17], v[18:19] offset0:16 offset1:20
	ds_write2st64_b64 v30, v[20:21], v[22:23] offset0:24 offset1:28
	ds_write2st64_b64 v30, v[24:25], v[26:27] offset0:32 offset1:36
	ds_write2st64_b64 v30, v[28:29], v[32:33] offset0:40 offset1:44
	ds_write2st64_b64 v30, v[4:5], v[14:15] offset0:48 offset1:52
	s_waitcnt lgkmcnt(0)
	s_barrier
	ds_read_b128 v[2:5], v62
	ds_read_b128 v[6:9], v62 offset:16
	ds_read_b128 v[38:41], v62 offset:96
	;; [unrolled: 1-line block ×6, first 2 shown]
	s_waitcnt lgkmcnt(4)
	ds_write_b64 v1, v[40:41] offset:28672
	s_waitcnt lgkmcnt(0)
	s_barrier
	s_barrier
	flat_load_dwordx2 v[26:27], v[34:35]
	flat_load_dwordx2 v[28:29], v[34:35] offset:2048
	flat_load_dwordx2 v[32:33], v[36:37]
	flat_load_dwordx2 v[44:45], v[36:37] offset:2048
	v_add_co_u32_e32 v36, vcc, s8, v34
	s_nop 1
	v_addc_co_u32_e32 v37, vcc, 0, v35, vcc
	flat_load_dwordx2 v[46:47], v[42:43]
	flat_load_dwordx2 v[48:49], v[42:43] offset:2048
	flat_load_dwordx2 v[50:51], v[36:37]
	flat_load_dwordx2 v[52:53], v[36:37] offset:2048
	v_add_co_u32_e32 v36, vcc, s9, v34
                                        ; implicit-def: $sgpr8_sgpr9
	s_nop 1
	v_addc_co_u32_e32 v37, vcc, 0, v35, vcc
	v_add_co_u32_e32 v42, vcc, s12, v34
	s_nop 1
	v_addc_co_u32_e32 v43, vcc, 0, v35, vcc
	v_add_co_u32_e32 v34, vcc, s13, v34
	flat_load_dwordx2 v[54:55], v[36:37]
	flat_load_dwordx2 v[56:57], v[36:37] offset:2048
	flat_load_dwordx2 v[58:59], v[42:43]
	flat_load_dwordx2 v[60:61], v[42:43] offset:2048
	v_addc_co_u32_e32 v35, vcc, 0, v35, vcc
	flat_load_dwordx2 v[36:37], v[34:35]
	flat_load_dwordx2 v[42:43], v[34:35] offset:2048
	v_cmp_ne_u64_e32 vcc, 0, v[38:39]
	s_waitcnt vmcnt(0) lgkmcnt(0)
	ds_write2st64_b64 v30, v[26:27], v[28:29] offset1:4
	ds_write2st64_b64 v30, v[32:33], v[44:45] offset0:8 offset1:12
	ds_write2st64_b64 v30, v[46:47], v[48:49] offset0:16 offset1:20
	;; [unrolled: 1-line block ×6, first 2 shown]
	v_cndmask_b32_e64 v73, 0, 1, vcc
	v_cmp_ne_u64_e32 vcc, 0, v[24:25]
	s_waitcnt lgkmcnt(0)
	s_barrier
	v_cndmask_b32_e64 v83, 0, 1, vcc
	v_cmp_ne_u64_e32 vcc, 0, v[22:23]
	s_nop 1
	v_cndmask_b32_e64 v82, 0, 1, vcc
	v_cmp_ne_u64_e32 vcc, 0, v[20:21]
	s_nop 1
	;; [unrolled: 3-line block ×10, first 2 shown]
	v_cndmask_b32_e64 v72, 0, 1, vcc
	v_cmp_ne_u64_e32 vcc, 0, v[2:3]
	ds_read_b128 v[26:29], v62 offset:64
	ds_read_b128 v[32:35], v62 offset:80
	;; [unrolled: 1-line block ×4, first 2 shown]
	ds_read_b128 v[2:5], v62
	ds_read_b128 v[8:11], v62 offset:16
	ds_read_b128 v[42:45], v62 offset:96
	v_cndmask_b32_e64 v1, 0, 1, vcc
.LBB706_78:
	v_mov_b64_e32 v[6:7], s[8:9]
	v_mov_b32_e32 v31, s56
	s_and_saveexec_b64 s[0:1], s[10:11]
	s_cbranch_execz .LBB706_80
; %bb.79:
	v_cmp_ne_u64_e32 vcc, 0, v[40:41]
	s_waitcnt lgkmcnt(0)
	v_mov_b64_e32 v[70:71], v[42:43]
	v_mov_b64_e32 v[6:7], v[44:45]
	v_cndmask_b32_e64 v31, 0, 1, vcc
.LBB706_80:
	s_or_b64 exec, exec, s[0:1]
	v_or_b32_e32 v12, v31, v73
	s_cmp_lg_u32 s47, 0
	v_or_b32_e32 v65, v12, v83
	v_mbcnt_lo_u32_b32 v64, -1, 0
	s_waitcnt lgkmcnt(0)
	s_barrier
	s_cbranch_scc0 .LBB706_159
; %bb.81:
	v_mov_b32_e32 v18, 0
	v_cmp_eq_u16_sdwa s[6:7], v72, v18 src0_sel:BYTE_0 src1_sel:DWORD
	v_cmp_eq_u16_sdwa s[8:9], v74, v18 src0_sel:BYTE_0 src1_sel:DWORD
	v_cmp_eq_u16_sdwa s[10:11], v75, v18 src0_sel:BYTE_0 src1_sel:DWORD
	v_cndmask_b32_e64 v13, 0, v3, s[6:7]
	v_cndmask_b32_e64 v12, 0, v2, s[6:7]
	v_lshl_add_u64 v[12:13], v[12:13], 0, v[4:5]
	v_cndmask_b32_e64 v13, 0, v13, s[8:9]
	v_cndmask_b32_e64 v12, 0, v12, s[8:9]
	v_lshl_add_u64 v[12:13], v[12:13], 0, v[8:9]
	v_cndmask_b32_e64 v13, 0, v13, s[10:11]
	v_cndmask_b32_e64 v12, 0, v12, s[10:11]
	v_lshl_add_u64 v[12:13], v[12:13], 0, v[10:11]
	v_cmp_eq_u16_sdwa s[12:13], v76, v18 src0_sel:BYTE_0 src1_sel:DWORD
	v_cmp_eq_u16_sdwa s[14:15], v77, v18 src0_sel:BYTE_0 src1_sel:DWORD
	v_cmp_eq_u16_sdwa s[16:17], v78, v18 src0_sel:BYTE_0 src1_sel:DWORD
	v_cndmask_b32_e64 v13, 0, v13, s[12:13]
	v_cndmask_b32_e64 v12, 0, v12, s[12:13]
	v_lshl_add_u64 v[12:13], v[12:13], 0, v[14:15]
	v_cndmask_b32_e64 v13, 0, v13, s[14:15]
	v_cndmask_b32_e64 v12, 0, v12, s[14:15]
	v_lshl_add_u64 v[12:13], v[12:13], 0, v[16:17]
	v_cndmask_b32_e64 v13, 0, v13, s[16:17]
	v_cndmask_b32_e64 v12, 0, v12, s[16:17]
	v_lshl_add_u64 v[12:13], v[12:13], 0, v[20:21]
	;; [unrolled: 12-line block ×4, first 2 shown]
	v_cmp_eq_u16_sdwa s[30:31], v31, v18 src0_sel:BYTE_0 src1_sel:DWORD
	v_and_b32_e32 v24, 0xff, v1
	v_mbcnt_hi_u32_b32 v48, -1, v64
	v_cndmask_b32_e64 v13, 0, v13, s[30:31]
	v_cndmask_b32_e64 v12, 0, v12, s[30:31]
	v_lshl_add_u64 v[18:19], v[12:13], 0, v[6:7]
	v_or_b32_e32 v12, v65, v82
	v_or_b32_e32 v12, v12, v81
	v_or_b32_e32 v12, v12, v80
	v_or_b32_e32 v12, v12, v79
	v_or_b32_e32 v12, v12, v78
	v_or_b32_e32 v12, v12, v77
	v_or_b32_e32 v12, v12, v76
	v_or_b32_e32 v12, v12, v75
	v_or_b32_e32 v12, v12, v74
	v_or_b32_e32 v12, v12, v72
	v_and_b32_e32 v12, 1, v12
	v_cmp_eq_u32_e32 vcc, 1, v12
	v_and_b32_e32 v12, 15, v48
	v_mov_b32_dpp v25, v18 row_shr:1 row_mask:0xf bank_mask:0xf
	v_cndmask_b32_e64 v24, v24, 1, vcc
	v_mov_b32_dpp v36, v19 row_shr:1 row_mask:0xf bank_mask:0xf
	v_cmp_ne_u32_e32 vcc, 0, v12
	v_mov_b32_dpp v13, v24 row_shr:1 row_mask:0xf bank_mask:0xf
	s_and_saveexec_b64 s[0:1], vcc
; %bb.82:
	v_cmp_eq_u32_e32 vcc, 0, v24
	v_and_or_b32 v24, v13, 1, v24
	s_nop 0
	v_cndmask_b32_e32 v37, 0, v36, vcc
	v_cndmask_b32_e32 v36, 0, v25, vcc
	v_lshl_add_u64 v[18:19], v[36:37], 0, v[18:19]
; %bb.83:
	s_or_b64 exec, exec, s[0:1]
	s_nop 0
	v_mov_b32_dpp v25, v18 row_shr:2 row_mask:0xf bank_mask:0xf
	v_mov_b32_dpp v36, v19 row_shr:2 row_mask:0xf bank_mask:0xf
	v_mov_b32_dpp v13, v24 row_shr:2 row_mask:0xf bank_mask:0xf
	v_cmp_lt_u32_e32 vcc, 1, v12
	s_and_saveexec_b64 s[0:1], vcc
; %bb.84:
	v_cmp_eq_u32_e32 vcc, 0, v24
	v_or_b32_e32 v13, v13, v24
	v_and_b32_e32 v24, 1, v13
	v_cndmask_b32_e32 v37, 0, v36, vcc
	v_cndmask_b32_e32 v36, 0, v25, vcc
	v_lshl_add_u64 v[18:19], v[36:37], 0, v[18:19]
; %bb.85:
	s_or_b64 exec, exec, s[0:1]
	s_nop 0
	v_mov_b32_dpp v25, v18 row_shr:4 row_mask:0xf bank_mask:0xf
	v_mov_b32_dpp v36, v19 row_shr:4 row_mask:0xf bank_mask:0xf
	v_mov_b32_dpp v13, v24 row_shr:4 row_mask:0xf bank_mask:0xf
	v_cmp_lt_u32_e32 vcc, 3, v12
	s_and_saveexec_b64 s[0:1], vcc
; %bb.86:
	v_cmp_eq_u32_e32 vcc, 0, v24
	v_or_b32_e32 v13, v13, v24
	v_and_b32_e32 v24, 1, v13
	;; [unrolled: 15-line block ×3, first 2 shown]
	v_cndmask_b32_e32 v37, 0, v36, vcc
	v_cndmask_b32_e32 v36, 0, v25, vcc
	v_lshl_add_u64 v[18:19], v[36:37], 0, v[18:19]
; %bb.89:
	s_or_b64 exec, exec, s[0:1]
	v_and_b32_e32 v36, 16, v48
	v_mov_b32_dpp v13, v18 row_bcast:15 row_mask:0xf bank_mask:0xf
	v_mov_b32_dpp v25, v19 row_bcast:15 row_mask:0xf bank_mask:0xf
	;; [unrolled: 1-line block ×3, first 2 shown]
	v_cmp_ne_u32_e32 vcc, 0, v36
	s_and_saveexec_b64 s[0:1], vcc
; %bb.90:
	v_cmp_eq_u32_e32 vcc, 0, v24
	v_or_b32_e32 v12, v12, v24
	v_and_b32_e32 v24, 1, v12
	v_cndmask_b32_e32 v37, 0, v25, vcc
	v_cndmask_b32_e32 v36, 0, v13, vcc
	v_lshl_add_u64 v[18:19], v[36:37], 0, v[18:19]
; %bb.91:
	s_or_b64 exec, exec, s[0:1]
	s_nop 0
	v_mov_b32_dpp v25, v18 row_bcast:31 row_mask:0xf bank_mask:0xf
	v_mov_b32_dpp v36, v19 row_bcast:31 row_mask:0xf bank_mask:0xf
	;; [unrolled: 1-line block ×3, first 2 shown]
	v_cmp_lt_u32_e32 vcc, 31, v48
	v_mov_b32_e32 v12, v24
	s_and_saveexec_b64 s[0:1], vcc
; %bb.92:
	v_cmp_eq_u32_e32 vcc, 0, v24
	v_or_b32_e32 v13, v13, v24
	v_and_b32_e32 v12, 1, v13
	v_cndmask_b32_e32 v37, 0, v36, vcc
	v_cndmask_b32_e32 v36, 0, v25, vcc
	v_lshl_add_u64 v[18:19], v[36:37], 0, v[18:19]
	v_and_b32_e32 v24, 1, v13
; %bb.93:
	s_or_b64 exec, exec, s[0:1]
	v_or_b32_e32 v13, 63, v0
	v_lshrrev_b32_e32 v25, 6, v0
	v_cmp_eq_u32_e32 vcc, v13, v0
	s_and_saveexec_b64 s[0:1], vcc
	s_cbranch_execz .LBB706_95
; %bb.94:
	v_lshlrev_b32_e32 v13, 4, v25
	ds_write_b64 v13, v[18:19]
	ds_write_b8 v13, v12 offset:8
.LBB706_95:
	s_or_b64 exec, exec, s[0:1]
	v_cmp_gt_u32_e32 vcc, 4, v0
	s_waitcnt lgkmcnt(0)
	s_barrier
	s_and_saveexec_b64 s[34:35], vcc
	s_cbranch_execz .LBB706_101
; %bb.96:
	v_lshlrev_b32_e32 v36, 4, v0
	ds_read_b64 v[12:13], v36
	ds_read_b32 v37, v36 offset:8
	v_and_b32_e32 v38, 3, v48
	v_cmp_ne_u32_e32 vcc, 0, v38
	s_waitcnt lgkmcnt(1)
	v_mov_b32_dpp v42, v12 row_shr:1 row_mask:0xf bank_mask:0xf
	v_mov_b32_dpp v43, v13 row_shr:1 row_mask:0xf bank_mask:0xf
	s_waitcnt lgkmcnt(0)
	v_mov_b32_dpp v41, v37 row_shr:1 row_mask:0xf bank_mask:0xf
	v_mov_b32_e32 v39, v37
	v_mov_b32_e32 v40, v37
	s_and_saveexec_b64 s[0:1], vcc
; %bb.97:
	v_mov_b32_e32 v39, 0
	v_cmp_eq_u16_sdwa vcc, v37, v39 src0_sel:BYTE_0 src1_sel:DWORD
	v_or_b32_e32 v40, v41, v37
	v_and_b32_e32 v39, 1, v40
	v_cndmask_b32_e32 v43, 0, v43, vcc
	v_cndmask_b32_e32 v42, 0, v42, vcc
	v_and_b32_e32 v40, 1, v40
	s_movk_i32 s50, 0xff00
	v_lshl_add_u64 v[12:13], v[42:43], 0, v[12:13]
	v_and_or_b32 v37, v37, s50, v40
; %bb.98:
	s_or_b64 exec, exec, s[0:1]
	v_mov_b32_dpp v41, v12 row_shr:2 row_mask:0xf bank_mask:0xf
	v_mov_b32_dpp v42, v13 row_shr:2 row_mask:0xf bank_mask:0xf
	;; [unrolled: 1-line block ×3, first 2 shown]
	v_cmp_lt_u32_e32 vcc, 1, v38
	s_and_saveexec_b64 s[50:51], vcc
; %bb.99:
	v_mov_b32_e32 v38, 0
	v_cmp_eq_u16_sdwa vcc, v40, v38 src0_sel:BYTE_0 src1_sel:DWORD
	v_and_b32_e32 v37, 1, v37
	v_cmp_eq_u32_e64 s[0:1], 1, v37
	v_cndmask_b32_e32 v39, 0, v42, vcc
	v_cndmask_b32_e32 v38, 0, v41, vcc
	v_lshl_add_u64 v[12:13], v[38:39], 0, v[12:13]
	v_and_b32_e32 v38, 1, v40
	v_cmp_eq_u32_e32 vcc, 1, v38
	s_or_b64 s[0:1], vcc, s[0:1]
	v_cndmask_b32_e64 v39, 0, 1, s[0:1]
; %bb.100:
	s_or_b64 exec, exec, s[50:51]
	ds_write_b64 v36, v[12:13]
	ds_write_b8 v36, v39 offset:8
.LBB706_101:
	s_or_b64 exec, exec, s[34:35]
	v_cmp_gt_u32_e32 vcc, 64, v0
	v_cmp_lt_u32_e64 s[0:1], 63, v0
	v_mov_b32_e32 v44, 0
	v_mov_b64_e32 v[12:13], 0
	s_waitcnt lgkmcnt(0)
	s_barrier
	s_and_saveexec_b64 s[34:35], s[0:1]
	s_cbranch_execz .LBB706_103
; %bb.102:
	v_lshl_add_u32 v25, v25, 4, -16
	ds_read_b64 v[12:13], v25
	ds_read_u8 v44, v25 offset:8
	v_and_b32_e32 v36, 1, v24
	v_cmp_eq_u32_e64 s[0:1], 0, v24
	s_waitcnt lgkmcnt(1)
	s_nop 0
	v_cndmask_b32_e64 v25, 0, v13, s[0:1]
	v_cndmask_b32_e64 v24, 0, v12, s[0:1]
	v_cmp_eq_u32_e64 s[0:1], 1, v36
	v_lshl_add_u64 v[18:19], v[24:25], 0, v[18:19]
	s_waitcnt lgkmcnt(0)
	v_cndmask_b32_e64 v24, v44, 1, s[0:1]
.LBB706_103:
	s_or_b64 exec, exec, s[34:35]
	v_add_u32_e32 v25, -1, v48
	v_and_b32_e32 v36, 64, v48
	v_cmp_lt_i32_e64 s[0:1], v25, v36
	v_cmp_eq_u32_e64 s[34:35], 0, v48
	s_nop 0
	v_cndmask_b32_e64 v25, v25, v48, s[0:1]
	v_lshlrev_b32_e32 v25, 2, v25
	ds_bpermute_b32 v45, v25, v18
	ds_bpermute_b32 v46, v25, v19
	;; [unrolled: 1-line block ×3, first 2 shown]
	s_and_saveexec_b64 s[50:51], vcc
	s_cbranch_execz .LBB706_146
; %bb.104:
	v_mov_b32_e32 v25, 0
	ds_read2_b64 v[36:39], v25 offset0:6 offset1:7
	s_and_saveexec_b64 s[0:1], s[34:35]
	s_cbranch_execz .LBB706_106
; %bb.105:
	s_add_i32 s52, s47, 64
	s_mov_b32 s53, 0
	s_lshl_b64 s[56:57], s[52:53], 4
	s_add_u32 s56, s40, s56
	s_addc_u32 s57, s41, s57
	v_mov_b32_e32 v18, s52
	v_mov_b32_e32 v19, 1
	s_waitcnt lgkmcnt(0)
	global_store_dword v25, v36, s[56:57] sc1
	global_store_dword v25, v37, s[56:57] offset:4 sc1
	global_store_dword v25, v38, s[56:57] offset:8 sc1
	;; [unrolled: 1-line block ×3, first 2 shown]
	s_waitcnt vmcnt(0)
	global_store_byte v18, v19, s[44:45] sc1
.LBB706_106:
	s_or_b64 exec, exec, s[0:1]
	v_xad_u32 v18, v48, -1, s47
	v_add_u32_e32 v24, 64, v18
	s_waitcnt lgkmcnt(0)
	global_load_ubyte v39, v24, s[44:45] sc1
	s_waitcnt vmcnt(0)
	v_cmp_eq_u16_e32 vcc, 0, v39
	s_and_saveexec_b64 s[0:1], vcc
	s_cbranch_execz .LBB706_110
; %bb.107:
	v_lshl_add_u64 v[40:41], s[44:45], 0, v[24:25]
	s_mov_b64 s[52:53], 0
.LBB706_108:                            ; =>This Inner Loop Header: Depth=1
	global_load_ubyte v39, v[40:41], off sc1
	s_waitcnt vmcnt(0)
	v_cmp_ne_u16_e32 vcc, 0, v39
	s_or_b64 s[52:53], vcc, s[52:53]
	s_andn2_b64 exec, exec, s[52:53]
	s_cbranch_execnz .LBB706_108
; %bb.109:
	s_or_b64 exec, exec, s[52:53]
.LBB706_110:
	s_or_b64 exec, exec, s[0:1]
	v_mov_b32_e32 v19, s43
	v_mov_b32_e32 v40, s41
	v_cmp_eq_u16_e32 vcc, 1, v39
	s_waitcnt vmcnt(0)
	s_nop 0
	v_cndmask_b32_e32 v41, v19, v40, vcc
	v_mov_b32_e32 v19, s42
	v_mov_b32_e32 v40, s40
	v_cndmask_b32_e32 v40, v19, v40, vcc
	v_lshl_add_u64 v[24:25], v[24:25], 4, v[40:41]
	global_load_dword v42, v[24:25], off sc1
	global_load_dword v43, v[24:25], off offset:4 sc1
	global_load_dword v62, v[24:25], off offset:8 sc1
	;; [unrolled: 1-line block ×3, first 2 shown]
	v_cmp_eq_u16_e32 vcc, 2, v39
	v_lshlrev_b64 v[24:25], v48, -1
	v_and_b32_e32 v49, 63, v48
	s_waitcnt vmcnt(0)
	v_and_b32_e32 v19, vcc_hi, v25
	v_and_b32_e32 v53, vcc_lo, v24
	v_cmp_ne_u32_e32 vcc, 63, v49
	v_or_b32_e32 v19, 0x80000000, v19
	v_ffbl_b32_e32 v19, v19
	v_addc_co_u32_e32 v40, vcc, 0, v48, vcc
	v_lshlrev_b32_e32 v50, 2, v40
	v_add_u32_e32 v19, 32, v19
	v_ffbl_b32_e32 v53, v53
	v_min_u32_e32 v19, v53, v19
	v_cmp_lt_u32_e32 vcc, v49, v19
	ds_bpermute_b32 v51, v50, v42
	ds_bpermute_b32 v52, v50, v43
	v_and_b32_e32 v40, 0xff, v62
	ds_bpermute_b32 v41, v50, v40
	s_and_saveexec_b64 s[0:1], vcc
	s_cbranch_execz .LBB706_112
; %bb.111:
	v_mov_b32_e32 v40, 0
	v_cmp_eq_u16_sdwa vcc, v62, v40 src0_sel:BYTE_0 src1_sel:DWORD
	s_waitcnt lgkmcnt(0)
	v_or_b32_e32 v40, v41, v62
	v_and_b32_e32 v62, 1, v40
	v_cndmask_b32_e32 v53, 0, v52, vcc
	v_cndmask_b32_e32 v52, 0, v51, vcc
	v_lshl_add_u64 v[42:43], v[52:53], 0, v[42:43]
	v_and_b32_e32 v40, 1, v40
.LBB706_112:
	s_or_b64 exec, exec, s[0:1]
	v_cmp_gt_u32_e32 vcc, 62, v49
	s_waitcnt lgkmcnt(1)
	v_add_u32_e32 v52, 2, v49
	s_waitcnt lgkmcnt(0)
	v_cndmask_b32_e64 v41, 0, 1, vcc
	v_lshlrev_b32_e32 v41, 1, v41
	v_add_lshl_u32 v51, v41, v48, 2
	ds_bpermute_b32 v53, v51, v42
	ds_bpermute_b32 v54, v51, v43
	ds_bpermute_b32 v41, v51, v40
	v_cmp_le_u32_e32 vcc, v52, v19
	s_and_saveexec_b64 s[52:53], vcc
	s_cbranch_execz .LBB706_114
; %bb.113:
	v_mov_b32_e32 v40, 0
	v_cmp_eq_u16_sdwa vcc, v62, v40 src0_sel:BYTE_0 src1_sel:DWORD
	v_and_b32_e32 v40, 1, v62
	s_waitcnt lgkmcnt(1)
	v_cndmask_b32_e32 v55, 0, v54, vcc
	v_cndmask_b32_e32 v54, 0, v53, vcc
	v_cmp_eq_u32_e32 vcc, 1, v40
	s_waitcnt lgkmcnt(0)
	v_and_b32_e32 v40, 1, v41
	v_cmp_eq_u32_e64 s[0:1], 1, v40
	s_or_b64 s[0:1], vcc, s[0:1]
	v_lshl_add_u64 v[42:43], v[54:55], 0, v[42:43]
	v_cndmask_b32_e64 v62, 0, 1, s[0:1]
	v_cndmask_b32_e64 v40, 0, 1, s[0:1]
.LBB706_114:
	s_or_b64 exec, exec, s[52:53]
	v_cmp_gt_u32_e32 vcc, 60, v49
	s_waitcnt lgkmcnt(1)
	v_add_u32_e32 v54, 4, v49
	s_waitcnt lgkmcnt(0)
	v_cndmask_b32_e64 v41, 0, 1, vcc
	v_lshlrev_b32_e32 v41, 2, v41
	v_add_lshl_u32 v53, v41, v48, 2
	ds_bpermute_b32 v55, v53, v42
	ds_bpermute_b32 v56, v53, v43
	ds_bpermute_b32 v41, v53, v40
	v_cmp_le_u32_e32 vcc, v54, v19
	s_and_saveexec_b64 s[52:53], vcc
	s_cbranch_execz .LBB706_116
; %bb.115:
	v_mov_b32_e32 v40, 0
	v_cmp_eq_u16_sdwa vcc, v62, v40 src0_sel:BYTE_0 src1_sel:DWORD
	v_and_b32_e32 v40, 1, v62
	s_waitcnt lgkmcnt(1)
	v_cndmask_b32_e32 v57, 0, v56, vcc
	v_cndmask_b32_e32 v56, 0, v55, vcc
	v_cmp_eq_u32_e32 vcc, 1, v40
	s_waitcnt lgkmcnt(0)
	v_and_b32_e32 v40, 1, v41
	v_cmp_eq_u32_e64 s[0:1], 1, v40
	s_or_b64 s[0:1], vcc, s[0:1]
	v_lshl_add_u64 v[42:43], v[56:57], 0, v[42:43]
	v_cndmask_b32_e64 v62, 0, 1, s[0:1]
	v_cndmask_b32_e64 v40, 0, 1, s[0:1]
.LBB706_116:
	;; [unrolled: 30-line block ×4, first 2 shown]
	s_or_b64 exec, exec, s[52:53]
	v_cmp_gt_u32_e32 vcc, 32, v49
	s_waitcnt lgkmcnt(1)
	v_add_u32_e32 v60, 32, v49
	s_waitcnt lgkmcnt(0)
	v_cndmask_b32_e64 v41, 0, 1, vcc
	v_lshlrev_b32_e32 v41, 5, v41
	v_add_lshl_u32 v59, v41, v48, 2
	ds_bpermute_b32 v41, v59, v42
	ds_bpermute_b32 v48, v59, v43
	ds_bpermute_b32 v40, v59, v40
	v_cmp_le_u32_e32 vcc, v60, v19
	s_and_saveexec_b64 s[52:53], vcc
	s_cbranch_execz .LBB706_122
; %bb.121:
	v_mov_b32_e32 v19, 0
	v_cmp_eq_u16_sdwa vcc, v62, v19 src0_sel:BYTE_0 src1_sel:DWORD
	v_and_b32_e32 v19, 1, v62
	s_waitcnt lgkmcnt(1)
	v_cndmask_b32_e32 v67, 0, v48, vcc
	v_cndmask_b32_e32 v66, 0, v41, vcc
	v_cmp_eq_u32_e32 vcc, 1, v19
	s_waitcnt lgkmcnt(0)
	v_and_b32_e32 v19, 1, v40
	v_cmp_eq_u32_e64 s[0:1], 1, v19
	s_or_b64 s[0:1], vcc, s[0:1]
	v_lshl_add_u64 v[42:43], v[66:67], 0, v[42:43]
	v_cndmask_b32_e64 v62, 0, 1, s[0:1]
.LBB706_122:
	s_or_b64 exec, exec, s[52:53]
	v_mov_b32_e32 v19, 0
	v_mov_b32_e32 v61, 2
	s_branch .LBB706_124
.LBB706_123:                            ;   in Loop: Header=BB706_124 Depth=1
	s_or_b64 exec, exec, s[56:57]
	v_cmp_eq_u16_sdwa vcc, v48, v19 src0_sel:BYTE_0 src1_sel:DWORD
	v_and_b32_e32 v62, 1, v48
	v_subrev_u32_e32 v18, 64, v18
	v_cndmask_b32_e32 v43, 0, v43, vcc
	v_cndmask_b32_e32 v42, 0, v42, vcc
	v_cmp_eq_u32_e32 vcc, 1, v62
	s_or_b64 s[0:1], vcc, s[52:53]
	v_lshl_add_u64 v[42:43], v[42:43], 0, v[40:41]
	v_cndmask_b32_e64 v62, 0, 1, s[0:1]
.LBB706_124:                            ; =>This Loop Header: Depth=1
                                        ;     Child Loop BB706_127 Depth 2
	v_cmp_ne_u16_sdwa s[0:1], v39, v61 src0_sel:BYTE_0 src1_sel:DWORD
	s_waitcnt lgkmcnt(1)
	v_mov_b32_e32 v48, v62
	s_waitcnt lgkmcnt(0)
	v_mov_b64_e32 v[40:41], v[42:43]
	v_cndmask_b32_e64 v39, 0, 1, s[0:1]
	;;#ASMSTART
	;;#ASMEND
	s_nop 0
	v_cmp_ne_u32_e32 vcc, 0, v39
	s_cmp_lg_u64 vcc, exec
	s_cbranch_scc1 .LBB706_141
; %bb.125:                              ;   in Loop: Header=BB706_124 Depth=1
	global_load_ubyte v39, v18, s[44:45] sc1
	s_waitcnt vmcnt(0)
	v_cmp_eq_u16_e32 vcc, 0, v39
	s_and_saveexec_b64 s[0:1], vcc
	s_cbranch_execz .LBB706_129
; %bb.126:                              ;   in Loop: Header=BB706_124 Depth=1
	v_lshl_add_u64 v[42:43], s[44:45], 0, v[18:19]
	s_mov_b64 s[52:53], 0
.LBB706_127:                            ;   Parent Loop BB706_124 Depth=1
                                        ; =>  This Inner Loop Header: Depth=2
	global_load_ubyte v39, v[42:43], off sc1
	s_waitcnt vmcnt(0)
	v_cmp_ne_u16_e32 vcc, 0, v39
	s_or_b64 s[52:53], vcc, s[52:53]
	s_andn2_b64 exec, exec, s[52:53]
	s_cbranch_execnz .LBB706_127
; %bb.128:                              ;   in Loop: Header=BB706_124 Depth=1
	s_or_b64 exec, exec, s[52:53]
.LBB706_129:                            ;   in Loop: Header=BB706_124 Depth=1
	s_or_b64 exec, exec, s[0:1]
	v_mov_b32_e32 v42, s43
	v_mov_b32_e32 v43, s41
	v_cmp_eq_u16_e32 vcc, 1, v39
	v_mov_b32_e32 v62, s40
	s_waitcnt vmcnt(0)
	v_cndmask_b32_e32 v43, v42, v43, vcc
	v_mov_b32_e32 v42, s42
	v_cndmask_b32_e32 v42, v42, v62, vcc
	v_lshl_add_u64 v[66:67], v[18:19], 4, v[42:43]
	global_load_dword v42, v[66:67], off sc1
	global_load_dword v43, v[66:67], off offset:4 sc1
	global_load_dword v62, v[66:67], off offset:8 sc1
	;; [unrolled: 1-line block ×3, first 2 shown]
	v_cmp_eq_u16_e32 vcc, 2, v39
	s_waitcnt vmcnt(3)
	ds_bpermute_b32 v68, v50, v42
	s_waitcnt vmcnt(0)
	v_and_b32_e32 v63, vcc_hi, v25
	v_and_b32_e32 v66, 0xff, v62
	v_or_b32_e32 v63, 0x80000000, v63
	ds_bpermute_b32 v69, v50, v43
	ds_bpermute_b32 v67, v50, v66
	v_and_b32_e32 v84, vcc_lo, v24
	v_ffbl_b32_e32 v63, v63
	v_add_u32_e32 v63, 32, v63
	v_ffbl_b32_e32 v84, v84
	v_min_u32_e32 v63, v84, v63
	v_cmp_lt_u32_e32 vcc, v49, v63
	s_and_saveexec_b64 s[0:1], vcc
	s_cbranch_execz .LBB706_131
; %bb.130:                              ;   in Loop: Header=BB706_124 Depth=1
	v_cmp_eq_u16_sdwa vcc, v62, v19 src0_sel:BYTE_0 src1_sel:DWORD
	s_waitcnt lgkmcnt(0)
	v_or_b32_e32 v66, v67, v62
	v_and_b32_e32 v62, 1, v66
	v_cndmask_b32_e32 v69, 0, v69, vcc
	v_cndmask_b32_e32 v68, 0, v68, vcc
	v_lshl_add_u64 v[42:43], v[68:69], 0, v[42:43]
	v_and_b32_e32 v66, 1, v66
.LBB706_131:                            ;   in Loop: Header=BB706_124 Depth=1
	s_or_b64 exec, exec, s[0:1]
	s_waitcnt lgkmcnt(2)
	ds_bpermute_b32 v68, v51, v42
	s_waitcnt lgkmcnt(2)
	ds_bpermute_b32 v69, v51, v43
	;; [unrolled: 2-line block ×3, first 2 shown]
	v_and_b32_e32 v84, 1, v62
	v_cmp_le_u32_e32 vcc, v52, v63
	v_cmp_eq_u32_e64 s[52:53], 1, v84
	s_and_saveexec_b64 s[0:1], vcc
	s_cbranch_execz .LBB706_133
; %bb.132:                              ;   in Loop: Header=BB706_124 Depth=1
	v_cmp_eq_u16_sdwa vcc, v62, v19 src0_sel:BYTE_0 src1_sel:DWORD
	s_waitcnt lgkmcnt(0)
	v_and_b32_e32 v62, 1, v67
	v_cndmask_b32_e32 v69, 0, v69, vcc
	v_cndmask_b32_e32 v68, 0, v68, vcc
	v_cmp_eq_u32_e32 vcc, 1, v62
	s_or_b64 s[56:57], s[52:53], vcc
	v_cndmask_b32_e64 v62, 0, 1, s[56:57]
	v_cndmask_b32_e64 v66, 0, 1, s[56:57]
	s_andn2_b64 s[52:53], s[52:53], exec
	s_and_b64 s[56:57], s[56:57], exec
	v_lshl_add_u64 v[42:43], v[68:69], 0, v[42:43]
	s_or_b64 s[52:53], s[52:53], s[56:57]
.LBB706_133:                            ;   in Loop: Header=BB706_124 Depth=1
	s_or_b64 exec, exec, s[0:1]
	s_waitcnt lgkmcnt(2)
	ds_bpermute_b32 v68, v53, v42
	s_waitcnt lgkmcnt(2)
	ds_bpermute_b32 v69, v53, v43
	s_waitcnt lgkmcnt(2)
	ds_bpermute_b32 v67, v53, v66
	v_cmp_le_u32_e32 vcc, v54, v63
	s_and_saveexec_b64 s[56:57], vcc
	s_cbranch_execz .LBB706_135
; %bb.134:                              ;   in Loop: Header=BB706_124 Depth=1
	v_cmp_eq_u16_sdwa vcc, v62, v19 src0_sel:BYTE_0 src1_sel:DWORD
	v_and_b32_e32 v62, 1, v62
	s_andn2_b64 s[52:53], s[52:53], exec
	s_waitcnt lgkmcnt(1)
	v_cndmask_b32_e32 v69, 0, v69, vcc
	v_cndmask_b32_e32 v68, 0, v68, vcc
	v_cmp_eq_u32_e32 vcc, 1, v62
	s_waitcnt lgkmcnt(0)
	v_and_b32_e32 v62, 1, v67
	v_cmp_eq_u32_e64 s[0:1], 1, v62
	s_or_b64 s[0:1], vcc, s[0:1]
	v_lshl_add_u64 v[42:43], v[68:69], 0, v[42:43]
	v_cndmask_b32_e64 v62, 0, 1, s[0:1]
	v_cndmask_b32_e64 v66, 0, 1, s[0:1]
	s_and_b64 s[0:1], s[0:1], exec
	s_or_b64 s[52:53], s[52:53], s[0:1]
.LBB706_135:                            ;   in Loop: Header=BB706_124 Depth=1
	s_or_b64 exec, exec, s[56:57]
	s_waitcnt lgkmcnt(2)
	ds_bpermute_b32 v68, v55, v42
	s_waitcnt lgkmcnt(2)
	ds_bpermute_b32 v69, v55, v43
	s_waitcnt lgkmcnt(2)
	ds_bpermute_b32 v67, v55, v66
	v_cmp_le_u32_e32 vcc, v56, v63
	s_and_saveexec_b64 s[56:57], vcc
	s_cbranch_execz .LBB706_137
; %bb.136:                              ;   in Loop: Header=BB706_124 Depth=1
	v_cmp_eq_u16_sdwa vcc, v62, v19 src0_sel:BYTE_0 src1_sel:DWORD
	v_and_b32_e32 v62, 1, v62
	s_andn2_b64 s[52:53], s[52:53], exec
	s_waitcnt lgkmcnt(1)
	v_cndmask_b32_e32 v69, 0, v69, vcc
	v_cndmask_b32_e32 v68, 0, v68, vcc
	v_cmp_eq_u32_e32 vcc, 1, v62
	s_waitcnt lgkmcnt(0)
	v_and_b32_e32 v62, 1, v67
	v_cmp_eq_u32_e64 s[0:1], 1, v62
	s_or_b64 s[0:1], vcc, s[0:1]
	v_lshl_add_u64 v[42:43], v[68:69], 0, v[42:43]
	v_cndmask_b32_e64 v62, 0, 1, s[0:1]
	v_cndmask_b32_e64 v66, 0, 1, s[0:1]
	s_and_b64 s[0:1], s[0:1], exec
	s_or_b64 s[52:53], s[52:53], s[0:1]
.LBB706_137:                            ;   in Loop: Header=BB706_124 Depth=1
	;; [unrolled: 28-line block ×3, first 2 shown]
	s_or_b64 exec, exec, s[56:57]
	s_waitcnt lgkmcnt(0)
	ds_bpermute_b32 v67, v59, v42
	ds_bpermute_b32 v68, v59, v43
	;; [unrolled: 1-line block ×3, first 2 shown]
	v_cmp_le_u32_e32 vcc, v60, v63
	s_and_saveexec_b64 s[56:57], vcc
	s_cbranch_execz .LBB706_123
; %bb.140:                              ;   in Loop: Header=BB706_124 Depth=1
	v_cmp_eq_u16_sdwa vcc, v62, v19 src0_sel:BYTE_0 src1_sel:DWORD
	v_and_b32_e32 v62, 1, v62
	s_andn2_b64 s[52:53], s[52:53], exec
	s_waitcnt lgkmcnt(1)
	v_cndmask_b32_e32 v69, 0, v68, vcc
	v_cndmask_b32_e32 v68, 0, v67, vcc
	v_cmp_eq_u32_e32 vcc, 1, v62
	s_waitcnt lgkmcnt(0)
	v_and_b32_e32 v62, 1, v66
	v_cmp_eq_u32_e64 s[0:1], 1, v62
	s_or_b64 s[0:1], vcc, s[0:1]
	s_and_b64 s[0:1], s[0:1], exec
	v_lshl_add_u64 v[42:43], v[68:69], 0, v[42:43]
	s_or_b64 s[52:53], s[52:53], s[0:1]
	s_branch .LBB706_123
.LBB706_141:                            ;   in Loop: Header=BB706_124 Depth=1
                                        ; implicit-def: $vgpr62
                                        ; implicit-def: $vgpr42_vgpr43
                                        ; implicit-def: $vgpr39
	s_cbranch_execz .LBB706_124
; %bb.142:
	s_and_saveexec_b64 s[0:1], s[34:35]
	s_cbranch_execz .LBB706_144
; %bb.143:
	s_mov_b32 s41, 0
	v_mov_b32_e32 v24, 0
	s_add_i32 s40, s47, 64
	v_cmp_eq_u32_sdwa vcc, v38, v24 src0_sel:BYTE_0 src1_sel:DWORD
	s_lshl_b64 s[52:53], s[40:41], 4
	v_and_b32_e32 v25, 1, v38
	v_cndmask_b32_e32 v19, 0, v41, vcc
	v_cndmask_b32_e32 v18, 0, v40, vcc
	s_add_u32 s52, s42, s52
	v_lshl_add_u64 v[18:19], v[18:19], 0, v[36:37]
	v_and_b32_e32 v36, 1, v48
	v_cmp_eq_u32_e32 vcc, 1, v25
	s_addc_u32 s53, s43, s53
	s_nop 0
	v_cndmask_b32_e64 v25, v36, 1, vcc
	global_store_dword v24, v18, s[52:53] sc1
	global_store_dword v24, v19, s[52:53] offset:4 sc1
	global_store_dword v24, v25, s[52:53] offset:8 sc1
	;; [unrolled: 1-line block ×3, first 2 shown]
	v_mov_b32_e32 v18, s40
	v_mov_b32_e32 v19, 2
	s_waitcnt vmcnt(0) lgkmcnt(0)
	global_store_byte v18, v19, s[44:45] sc1
.LBB706_144:
	s_or_b64 exec, exec, s[0:1]
	s_and_b64 exec, exec, s[36:37]
	s_cbranch_execz .LBB706_146
; %bb.145:
	v_mov_b32_e32 v18, 0
	ds_write_b64 v18, v[40:41] offset:48
	ds_write_b8 v18, v48 offset:56
.LBB706_146:
	s_or_b64 exec, exec, s[50:51]
	s_waitcnt lgkmcnt(0)
	v_cndmask_b32_e64 v18, v47, v44, s[34:35]
	v_mov_b32_e32 v25, 0
	v_cndmask_b32_e64 v19, v46, v13, s[34:35]
	v_cndmask_b32_e64 v24, v45, v12, s[34:35]
	v_cmp_eq_u16_sdwa vcc, v1, v25 src0_sel:BYTE_0 src1_sel:DWORD
	v_and_b32_e32 v36, 1, v1
	v_and_b32_e32 v18, 1, v18
	s_barrier
	ds_read_b64 v[12:13], v25 offset:48
	v_cndmask_b32_e32 v24, 0, v24, vcc
	v_cndmask_b32_e32 v19, 0, v19, vcc
	v_cmp_eq_u32_e32 vcc, 1, v36
	v_cmp_eq_u32_e64 s[0:1], 1, v18
	s_or_b64 s[0:1], vcc, s[0:1]
	v_cndmask_b32_e64 v19, v19, 0, s[36:37]
	v_cndmask_b32_e64 v18, 0, 1, s[0:1]
	;; [unrolled: 1-line block ×4, first 2 shown]
	v_cmp_eq_u16_sdwa vcc, v36, v25 src0_sel:BYTE_0 src1_sel:DWORD
	v_lshl_add_u64 v[18:19], v[18:19], 0, v[2:3]
	s_waitcnt lgkmcnt(0)
	v_cndmask_b32_e32 v13, 0, v13, vcc
	v_cndmask_b32_e32 v12, 0, v12, vcc
	v_lshl_add_u64 v[36:37], v[18:19], 0, v[12:13]
	v_cndmask_b32_e64 v13, 0, v37, s[6:7]
	v_cndmask_b32_e64 v12, 0, v36, s[6:7]
	v_lshl_add_u64 v[38:39], v[12:13], 0, v[4:5]
	v_cndmask_b32_e64 v13, 0, v39, s[8:9]
	v_cndmask_b32_e64 v12, 0, v38, s[8:9]
	;; [unrolled: 3-line block ×13, first 2 shown]
	v_lshl_add_u64 v[62:63], v[12:13], 0, v[6:7]
	s_branch .LBB706_189
.LBB706_147:
	s_or_b64 exec, exec, s[50:51]
                                        ; implicit-def: $vgpr30_vgpr31
	s_and_saveexec_b64 s[50:51], s[6:7]
	s_cbranch_execz .LBB706_35
.LBB706_148:
	v_mov_b32_e32 v29, 0
	v_lshl_add_u64 v[30:31], s[0:1], 0, v[28:29]
	flat_load_dwordx2 v[30:31], v[30:31] offset:2048
	s_or_b64 exec, exec, s[50:51]
                                        ; implicit-def: $vgpr32_vgpr33
	s_and_saveexec_b64 s[6:7], s[8:9]
	s_cbranch_execnz .LBB706_36
.LBB706_149:
	s_or_b64 exec, exec, s[6:7]
                                        ; implicit-def: $vgpr2_vgpr3
	s_and_saveexec_b64 s[6:7], s[10:11]
	s_cbranch_execz .LBB706_37
.LBB706_150:
	v_mov_b32_e32 v5, 0
	v_lshl_add_u64 v[2:3], s[0:1], 0, v[4:5]
	flat_load_dwordx2 v[2:3], v[2:3]
	s_or_b64 exec, exec, s[6:7]
                                        ; implicit-def: $vgpr4_vgpr5
	s_and_saveexec_b64 s[6:7], s[12:13]
	s_cbranch_execnz .LBB706_38
.LBB706_151:
	s_or_b64 exec, exec, s[6:7]
                                        ; implicit-def: $vgpr6_vgpr7
	s_and_saveexec_b64 s[6:7], s[14:15]
	s_cbranch_execz .LBB706_39
.LBB706_152:
	v_mov_b32_e32 v9, 0
	v_lshl_add_u64 v[6:7], s[0:1], 0, v[8:9]
	flat_load_dwordx2 v[6:7], v[6:7]
	s_or_b64 exec, exec, s[6:7]
                                        ; implicit-def: $vgpr8_vgpr9
	s_and_saveexec_b64 s[6:7], s[16:17]
	s_cbranch_execnz .LBB706_40
.LBB706_153:
	s_or_b64 exec, exec, s[6:7]
                                        ; implicit-def: $vgpr10_vgpr11
	s_and_saveexec_b64 s[6:7], s[18:19]
	s_cbranch_execz .LBB706_41
.LBB706_154:
	v_mov_b32_e32 v13, 0
	v_lshl_add_u64 v[10:11], s[0:1], 0, v[12:13]
	flat_load_dwordx2 v[10:11], v[10:11]
	s_or_b64 exec, exec, s[6:7]
                                        ; implicit-def: $vgpr12_vgpr13
	s_and_saveexec_b64 s[6:7], s[20:21]
	s_cbranch_execnz .LBB706_42
.LBB706_155:
	s_or_b64 exec, exec, s[6:7]
                                        ; implicit-def: $vgpr14_vgpr15
	s_and_saveexec_b64 s[6:7], s[22:23]
	s_cbranch_execz .LBB706_43
.LBB706_156:
	v_mov_b32_e32 v17, 0
	v_lshl_add_u64 v[14:15], s[0:1], 0, v[16:17]
	flat_load_dwordx2 v[14:15], v[14:15]
	s_or_b64 exec, exec, s[6:7]
                                        ; implicit-def: $vgpr16_vgpr17
	s_and_saveexec_b64 s[6:7], s[24:25]
	s_cbranch_execnz .LBB706_44
.LBB706_157:
	s_or_b64 exec, exec, s[6:7]
                                        ; implicit-def: $vgpr18_vgpr19
	s_and_saveexec_b64 s[6:7], s[26:27]
	s_cbranch_execz .LBB706_45
.LBB706_158:
	v_mov_b32_e32 v21, 0
	v_lshl_add_u64 v[18:19], s[0:1], 0, v[20:21]
	flat_load_dwordx2 v[18:19], v[18:19]
	s_or_b64 exec, exec, s[6:7]
                                        ; implicit-def: $vgpr20_vgpr21
	s_and_saveexec_b64 s[6:7], s[28:29]
	s_cbranch_execz .LBB706_47
	s_branch .LBB706_46
.LBB706_159:
                                        ; implicit-def: $vgpr62_vgpr63
                                        ; implicit-def: $vgpr58_vgpr59
                                        ; implicit-def: $vgpr54_vgpr55
                                        ; implicit-def: $vgpr50_vgpr51
                                        ; implicit-def: $vgpr46_vgpr47
                                        ; implicit-def: $vgpr42_vgpr43
                                        ; implicit-def: $vgpr38_vgpr39
	s_cbranch_execz .LBB706_189
; %bb.160:
	s_cmp_lg_u64 s[60:61], 0
	s_cselect_b32 s7, s59, 0
	s_cselect_b32 s6, s58, 0
	s_cmp_lg_u64 s[6:7], 0
	s_cselect_b64 s[0:1], -1, 0
	s_and_b64 s[8:9], s[36:37], s[0:1]
	s_and_saveexec_b64 s[0:1], s[8:9]
	s_cbranch_execz .LBB706_162
; %bb.161:
	v_mov_b32_e32 v18, 0
	global_load_dwordx2 v[12:13], v18, s[6:7]
	global_load_ubyte v19, v18, s[6:7] offset:8
	v_cmp_eq_u16_sdwa vcc, v1, v18 src0_sel:BYTE_0 src1_sel:DWORD
	s_waitcnt vmcnt(0)
	v_or_b32_e32 v1, v1, v19
	v_cndmask_b32_e32 v13, 0, v13, vcc
	v_cndmask_b32_e32 v12, 0, v12, vcc
	v_lshl_add_u64 v[2:3], v[12:13], 0, v[2:3]
	v_and_b32_e32 v1, 1, v1
.LBB706_162:
	s_or_b64 exec, exec, s[0:1]
	v_mov_b32_e32 v19, 0
	v_cmp_eq_u16_sdwa vcc, v72, v19 src0_sel:BYTE_0 src1_sel:DWORD
	v_cmp_eq_u16_sdwa s[6:7], v74, v19 src0_sel:BYTE_0 src1_sel:DWORD
	v_cmp_eq_u16_sdwa s[8:9], v75, v19 src0_sel:BYTE_0 src1_sel:DWORD
	v_cndmask_b32_e32 v13, 0, v3, vcc
	v_cndmask_b32_e32 v12, 0, v2, vcc
	v_lshl_add_u64 v[38:39], v[12:13], 0, v[4:5]
	v_cndmask_b32_e64 v13, 0, v39, s[6:7]
	v_cndmask_b32_e64 v12, 0, v38, s[6:7]
	v_lshl_add_u64 v[40:41], v[12:13], 0, v[8:9]
	v_cndmask_b32_e64 v13, 0, v41, s[8:9]
	v_cndmask_b32_e64 v12, 0, v40, s[8:9]
	v_lshl_add_u64 v[42:43], v[12:13], 0, v[10:11]
	v_cmp_eq_u16_sdwa s[10:11], v76, v19 src0_sel:BYTE_0 src1_sel:DWORD
	v_cmp_eq_u16_sdwa s[12:13], v77, v19 src0_sel:BYTE_0 src1_sel:DWORD
	v_cmp_eq_u16_sdwa s[14:15], v78, v19 src0_sel:BYTE_0 src1_sel:DWORD
	v_cndmask_b32_e64 v13, 0, v43, s[10:11]
	v_cndmask_b32_e64 v12, 0, v42, s[10:11]
	v_lshl_add_u64 v[44:45], v[12:13], 0, v[14:15]
	v_cndmask_b32_e64 v13, 0, v45, s[12:13]
	v_cndmask_b32_e64 v12, 0, v44, s[12:13]
	v_lshl_add_u64 v[46:47], v[12:13], 0, v[16:17]
	v_cndmask_b32_e64 v13, 0, v47, s[14:15]
	v_cndmask_b32_e64 v12, 0, v46, s[14:15]
	v_lshl_add_u64 v[48:49], v[12:13], 0, v[20:21]
	v_cmp_eq_u16_sdwa s[16:17], v79, v19 src0_sel:BYTE_0 src1_sel:DWORD
	v_cmp_eq_u16_sdwa s[18:19], v80, v19 src0_sel:BYTE_0 src1_sel:DWORD
	v_cmp_eq_u16_sdwa s[20:21], v81, v19 src0_sel:BYTE_0 src1_sel:DWORD
	v_cndmask_b32_e64 v13, 0, v49, s[16:17]
	v_cndmask_b32_e64 v12, 0, v48, s[16:17]
	;; [unrolled: 12-line block ×3, first 2 shown]
	v_lshl_add_u64 v[56:57], v[12:13], 0, v[32:33]
	v_cndmask_b32_e64 v13, 0, v57, s[24:25]
	v_cndmask_b32_e64 v12, 0, v56, s[24:25]
	v_lshl_add_u64 v[58:59], v[12:13], 0, v[34:35]
	v_cndmask_b32_e64 v13, 0, v59, s[26:27]
	v_cndmask_b32_e64 v12, 0, v58, s[26:27]
	v_lshl_add_u64 v[60:61], v[12:13], 0, v[70:71]
	v_cmp_eq_u16_sdwa s[28:29], v31, v19 src0_sel:BYTE_0 src1_sel:DWORD
	v_and_b32_e32 v18, 0xff, v1
	v_mbcnt_hi_u32_b32 v24, -1, v64
	v_cndmask_b32_e64 v13, 0, v61, s[28:29]
	v_cndmask_b32_e64 v12, 0, v60, s[28:29]
	v_lshl_add_u64 v[62:63], v[12:13], 0, v[6:7]
	v_or_b32_e32 v12, v65, v82
	v_or_b32_e32 v12, v12, v81
	;; [unrolled: 1-line block ×10, first 2 shown]
	v_and_b32_e32 v12, 1, v12
	v_cmp_eq_u32_e64 s[0:1], 1, v12
	v_and_b32_e32 v31, 15, v24
	v_mov_b32_dpp v37, v62 row_shr:1 row_mask:0xf bank_mask:0xf
	v_cndmask_b32_e64 v25, v18, 1, s[0:1]
	v_mov_b32_dpp v64, v63 row_shr:1 row_mask:0xf bank_mask:0xf
	v_cmp_ne_u32_e64 s[0:1], 0, v31
	v_mov_b32_dpp v36, v25 row_shr:1 row_mask:0xf bank_mask:0xf
	v_mov_b64_e32 v[12:13], v[62:63]
	v_mov_b32_e32 v19, v63
	v_mov_b32_e32 v18, v62
	s_and_saveexec_b64 s[30:31], s[0:1]
; %bb.163:
	v_cmp_eq_u32_e64 s[0:1], 0, v25
	v_and_or_b32 v25, v36, 1, v25
	s_nop 0
	v_cndmask_b32_e64 v13, 0, v64, s[0:1]
	v_cndmask_b32_e64 v12, 0, v37, s[0:1]
	v_lshl_add_u64 v[12:13], v[62:63], 0, v[12:13]
	v_mov_b32_e32 v19, v13
	v_mov_b32_e32 v18, v12
; %bb.164:
	s_or_b64 exec, exec, s[30:31]
	s_nop 0
	v_mov_b32_dpp v37, v18 row_shr:2 row_mask:0xf bank_mask:0xf
	v_mov_b32_dpp v64, v19 row_shr:2 row_mask:0xf bank_mask:0xf
	v_mov_b32_dpp v36, v25 row_shr:2 row_mask:0xf bank_mask:0xf
	v_cmp_lt_u32_e64 s[0:1], 1, v31
	s_and_saveexec_b64 s[30:31], s[0:1]
; %bb.165:
	v_cmp_eq_u32_e64 s[0:1], 0, v25
	s_nop 1
	v_cndmask_b32_e64 v19, 0, v64, s[0:1]
	v_cndmask_b32_e64 v18, 0, v37, s[0:1]
	v_lshl_add_u64 v[18:19], v[18:19], 0, v[12:13]
	v_or_b32_e32 v12, v36, v25
	v_and_b32_e32 v25, 1, v12
	v_mov_b64_e32 v[12:13], v[18:19]
; %bb.166:
	s_or_b64 exec, exec, s[30:31]
	v_mov_b32_dpp v37, v18 row_shr:4 row_mask:0xf bank_mask:0xf
	v_mov_b32_dpp v64, v19 row_shr:4 row_mask:0xf bank_mask:0xf
	v_mov_b32_dpp v36, v25 row_shr:4 row_mask:0xf bank_mask:0xf
	v_cmp_lt_u32_e64 s[0:1], 3, v31
	s_and_saveexec_b64 s[30:31], s[0:1]
; %bb.167:
	v_cmp_eq_u32_e64 s[0:1], 0, v25
	s_nop 1
	v_cndmask_b32_e64 v19, 0, v64, s[0:1]
	v_cndmask_b32_e64 v18, 0, v37, s[0:1]
	v_lshl_add_u64 v[18:19], v[18:19], 0, v[12:13]
	v_or_b32_e32 v12, v36, v25
	v_and_b32_e32 v25, 1, v12
	v_mov_b64_e32 v[12:13], v[18:19]
; %bb.168:
	s_or_b64 exec, exec, s[30:31]
	;; [unrolled: 16-line block ×3, first 2 shown]
	v_and_b32_e32 v64, 16, v24
	v_mov_b32_dpp v36, v18 row_bcast:15 row_mask:0xf bank_mask:0xf
	v_mov_b32_dpp v37, v19 row_bcast:15 row_mask:0xf bank_mask:0xf
	;; [unrolled: 1-line block ×3, first 2 shown]
	v_cmp_ne_u32_e64 s[0:1], 0, v64
	s_and_saveexec_b64 s[30:31], s[0:1]
; %bb.171:
	v_cmp_eq_u32_e64 s[0:1], 0, v25
	s_nop 1
	v_cndmask_b32_e64 v19, 0, v37, s[0:1]
	v_cndmask_b32_e64 v18, 0, v36, s[0:1]
	v_lshl_add_u64 v[12:13], v[18:19], 0, v[12:13]
	v_or_b32_e32 v18, v31, v25
	v_and_b32_e32 v25, 1, v18
	v_mov_b32_e32 v19, v13
	v_mov_b32_e32 v18, v12
; %bb.172:
	s_or_b64 exec, exec, s[30:31]
	s_nop 0
	v_mov_b32_dpp v31, v18 row_bcast:31 row_mask:0xf bank_mask:0xf
	v_mov_b32_dpp v36, v19 row_bcast:31 row_mask:0xf bank_mask:0xf
	;; [unrolled: 1-line block ×3, first 2 shown]
	v_cmp_lt_u32_e64 s[0:1], 31, v24
	v_mov_b32_e32 v18, v25
	s_and_saveexec_b64 s[30:31], s[0:1]
; %bb.173:
	v_cmp_eq_u32_e64 s[0:1], 0, v25
	v_or_b32_e32 v19, v19, v25
	v_and_b32_e32 v18, 1, v19
	v_cndmask_b32_e64 v37, 0, v36, s[0:1]
	v_cndmask_b32_e64 v36, 0, v31, s[0:1]
	v_lshl_add_u64 v[12:13], v[36:37], 0, v[12:13]
	v_and_b32_e32 v25, 1, v19
; %bb.174:
	s_or_b64 exec, exec, s[30:31]
	v_or_b32_e32 v19, 63, v0
	v_lshrrev_b32_e32 v31, 6, v0
	v_cmp_eq_u32_e64 s[0:1], v19, v0
	s_and_saveexec_b64 s[30:31], s[0:1]
	s_cbranch_execz .LBB706_176
; %bb.175:
	v_lshlrev_b32_e32 v19, 4, v31
	ds_write_b64 v19, v[12:13]
	ds_write_b8 v19, v18 offset:8
.LBB706_176:
	s_or_b64 exec, exec, s[30:31]
	v_cmp_gt_u32_e64 s[0:1], 4, v0
	s_waitcnt lgkmcnt(0)
	s_barrier
	s_and_saveexec_b64 s[34:35], s[0:1]
	s_cbranch_execz .LBB706_182
; %bb.177:
	v_lshlrev_b32_e32 v36, 4, v0
	ds_read_b64 v[18:19], v36
	ds_read_b32 v37, v36 offset:8
	v_and_b32_e32 v64, 3, v24
	v_cmp_ne_u32_e64 s[0:1], 0, v64
	s_waitcnt lgkmcnt(1)
	v_mov_b32_dpp v68, v18 row_shr:1 row_mask:0xf bank_mask:0xf
	v_mov_b32_dpp v69, v19 row_shr:1 row_mask:0xf bank_mask:0xf
	s_waitcnt lgkmcnt(0)
	v_mov_b32_dpp v67, v37 row_shr:1 row_mask:0xf bank_mask:0xf
	v_mov_b32_e32 v65, v37
	v_mov_b32_e32 v66, v37
	s_and_saveexec_b64 s[30:31], s[0:1]
; %bb.178:
	v_mov_b32_e32 v65, 0
	v_cmp_eq_u16_sdwa s[0:1], v37, v65 src0_sel:BYTE_0 src1_sel:DWORD
	v_or_b32_e32 v66, v67, v37
	v_and_b32_e32 v65, 1, v66
	v_cndmask_b32_e64 v69, 0, v69, s[0:1]
	v_cndmask_b32_e64 v68, 0, v68, s[0:1]
	v_and_b32_e32 v66, 1, v66
	s_movk_i32 s0, 0xff00
	v_lshl_add_u64 v[18:19], v[68:69], 0, v[18:19]
	v_and_or_b32 v37, v37, s0, v66
; %bb.179:
	s_or_b64 exec, exec, s[30:31]
	v_mov_b32_dpp v67, v18 row_shr:2 row_mask:0xf bank_mask:0xf
	v_mov_b32_dpp v68, v19 row_shr:2 row_mask:0xf bank_mask:0xf
	v_mov_b32_dpp v37, v37 row_shr:2 row_mask:0xf bank_mask:0xf
	v_cmp_lt_u32_e64 s[0:1], 1, v64
	s_and_saveexec_b64 s[40:41], s[0:1]
; %bb.180:
	v_mov_b32_e32 v64, 0
	v_cmp_eq_u16_sdwa s[0:1], v66, v64 src0_sel:BYTE_0 src1_sel:DWORD
	v_and_b32_e32 v37, 1, v37
	v_cmp_eq_u32_e64 s[30:31], 1, v37
	v_cndmask_b32_e64 v65, 0, v68, s[0:1]
	v_cndmask_b32_e64 v64, 0, v67, s[0:1]
	v_lshl_add_u64 v[18:19], v[64:65], 0, v[18:19]
	v_and_b32_e32 v64, 1, v66
	v_cmp_eq_u32_e64 s[0:1], 1, v64
	s_or_b64 s[0:1], s[0:1], s[30:31]
	s_nop 0
	v_cndmask_b32_e64 v65, 0, 1, s[0:1]
; %bb.181:
	s_or_b64 exec, exec, s[40:41]
	ds_write_b64 v36, v[18:19]
	ds_write_b8 v36, v65 offset:8
.LBB706_182:
	s_or_b64 exec, exec, s[34:35]
	v_cmp_lt_u32_e64 s[0:1], 63, v0
	v_mov_b64_e32 v[18:19], 0
	s_waitcnt lgkmcnt(0)
	s_barrier
	s_and_saveexec_b64 s[30:31], s[0:1]
	s_cbranch_execz .LBB706_184
; %bb.183:
	v_lshl_add_u32 v18, v31, 4, -16
	ds_read_b64 v[18:19], v18
	v_cmp_eq_u32_e64 s[0:1], 0, v25
	s_waitcnt lgkmcnt(0)
	s_nop 0
	v_cndmask_b32_e64 v37, 0, v19, s[0:1]
	v_cndmask_b32_e64 v36, 0, v18, s[0:1]
	v_lshl_add_u64 v[12:13], v[36:37], 0, v[12:13]
.LBB706_184:
	s_or_b64 exec, exec, s[30:31]
	v_add_u32_e32 v25, -1, v24
	v_and_b32_e32 v31, 64, v24
	v_cmp_lt_i32_e64 s[0:1], v25, v31
	s_nop 1
	v_cndmask_b32_e64 v25, v25, v24, s[0:1]
	v_lshlrev_b32_e32 v25, 2, v25
	ds_bpermute_b32 v12, v25, v12
	ds_bpermute_b32 v13, v25, v13
	s_and_saveexec_b64 s[30:31], s[4:5]
	s_cbranch_execz .LBB706_186
; %bb.185:
	v_cmp_eq_u32_e64 s[0:1], 0, v24
	;;#ASMSTART
	;;#ASMEND
	s_waitcnt lgkmcnt(1)
	s_nop 0
	v_cndmask_b32_e64 v12, v12, v18, s[0:1]
	v_mov_b32_e32 v18, 0
	s_waitcnt lgkmcnt(0)
	v_cndmask_b32_e64 v13, v13, v19, s[0:1]
	v_cmp_eq_u16_sdwa s[0:1], v1, v18 src0_sel:BYTE_0 src1_sel:DWORD
	s_nop 1
	v_cndmask_b32_e64 v13, 0, v13, s[0:1]
	v_cndmask_b32_e64 v12, 0, v12, s[0:1]
	v_lshl_add_u64 v[2:3], v[12:13], 0, v[2:3]
	v_cndmask_b32_e32 v13, 0, v3, vcc
	v_cndmask_b32_e32 v12, 0, v2, vcc
	v_lshl_add_u64 v[38:39], v[12:13], 0, v[4:5]
	v_cndmask_b32_e64 v5, 0, v39, s[6:7]
	v_cndmask_b32_e64 v4, 0, v38, s[6:7]
	v_lshl_add_u64 v[40:41], v[4:5], 0, v[8:9]
	v_cndmask_b32_e64 v5, 0, v41, s[8:9]
	v_cndmask_b32_e64 v4, 0, v40, s[8:9]
	;; [unrolled: 3-line block ×12, first 2 shown]
	v_lshl_add_u64 v[62:63], v[4:5], 0, v[6:7]
.LBB706_186:
	s_or_b64 exec, exec, s[30:31]
	s_and_saveexec_b64 s[0:1], s[36:37]
	s_cbranch_execz .LBB706_188
; %bb.187:
	v_mov_b32_e32 v1, 0
	ds_read_b64 v[4:5], v1 offset:48
	ds_read_u8 v6, v1 offset:56
	s_waitcnt lgkmcnt(1)
	global_store_dword v1, v4, s[42:43] offset:1024 sc1
	global_store_dword v1, v5, s[42:43] offset:1028 sc1
	s_waitcnt lgkmcnt(0)
	global_store_dword v1, v6, s[42:43] offset:1032 sc1
	global_store_dword v1, v1, s[42:43] offset:1036 sc1
	v_mov_b32_e32 v4, 2
	s_waitcnt vmcnt(0)
	global_store_byte v1, v4, s[44:45] offset:64 sc1
.LBB706_188:
	s_or_b64 exec, exec, s[0:1]
	v_mov_b64_e32 v[36:37], v[2:3]
.LBB706_189:
	s_add_u32 s0, s54, s38
	s_addc_u32 s1, s55, s39
	s_add_u32 s0, s0, s48
	v_mul_u32_u24_e32 v1, 14, v0
	s_addc_u32 s1, s1, s49
	s_and_b64 vcc, exec, s[2:3]
	v_lshlrev_b32_e32 v32, 3, v1
	s_cbranch_vccz .LBB706_217
; %bb.190:
	s_movk_i32 s2, 0xff98
	v_mad_i32_i24 v1, v0, s2, v32
	s_waitcnt lgkmcnt(0)
	s_barrier
	ds_write_b128 v32, v[36:39]
	ds_write_b128 v32, v[40:43] offset:16
	ds_write_b128 v32, v[44:47] offset:32
	;; [unrolled: 1-line block ×6, first 2 shown]
	s_waitcnt lgkmcnt(0)
	s_barrier
	ds_read2st64_b64 v[26:29], v1 offset0:4 offset1:8
	ds_read2st64_b64 v[22:25], v1 offset0:12 offset1:16
	ds_read2st64_b64 v[18:21], v1 offset0:20 offset1:24
	ds_read2st64_b64 v[14:17], v1 offset0:28 offset1:32
	ds_read2st64_b64 v[10:13], v1 offset0:36 offset1:40
	ds_read2st64_b64 v[6:9], v1 offset0:44 offset1:48
	ds_read_b64 v[4:5], v1 offset:26624
	s_add_i32 s33, s33, s46
	v_mov_b32_e32 v31, 0
	v_lshl_add_u64 v[2:3], s[0:1], 0, v[30:31]
	v_cmp_gt_u32_e32 vcc, s33, v0
	s_and_saveexec_b64 s[2:3], vcc
	s_cbranch_execz .LBB706_192
; %bb.191:
	v_mul_i32_i24_e32 v1, 0xffffff98, v0
	v_add_u32_e32 v1, v32, v1
	ds_read_b64 v[34:35], v1
	s_waitcnt lgkmcnt(0)
	flat_store_dwordx2 v[2:3], v[34:35]
.LBB706_192:
	s_or_b64 exec, exec, s[2:3]
	v_or_b32_e32 v1, 0x100, v0
	v_cmp_gt_u32_e32 vcc, s33, v1
	s_and_saveexec_b64 s[2:3], vcc
	s_cbranch_execz .LBB706_194
; %bb.193:
	s_waitcnt lgkmcnt(0)
	flat_store_dwordx2 v[2:3], v[26:27] offset:2048
.LBB706_194:
	s_or_b64 exec, exec, s[2:3]
	v_or_b32_e32 v1, 0x200, v0
	v_cmp_gt_u32_e32 vcc, s33, v1
	s_and_saveexec_b64 s[2:3], vcc
	s_cbranch_execz .LBB706_196
; %bb.195:
	s_waitcnt lgkmcnt(0)
	v_add_co_u32_e32 v26, vcc, 0x1000, v2
	s_nop 1
	v_addc_co_u32_e32 v27, vcc, 0, v3, vcc
	flat_store_dwordx2 v[26:27], v[28:29]
.LBB706_196:
	s_or_b64 exec, exec, s[2:3]
	v_or_b32_e32 v1, 0x300, v0
	v_cmp_gt_u32_e32 vcc, s33, v1
	s_and_saveexec_b64 s[2:3], vcc
	s_cbranch_execz .LBB706_198
; %bb.197:
	s_waitcnt lgkmcnt(0)
	v_add_co_u32_e32 v26, vcc, 0x1000, v2
	s_nop 1
	v_addc_co_u32_e32 v27, vcc, 0, v3, vcc
	flat_store_dwordx2 v[26:27], v[22:23] offset:2048
.LBB706_198:
	s_or_b64 exec, exec, s[2:3]
	v_or_b32_e32 v1, 0x400, v0
	v_cmp_gt_u32_e32 vcc, s33, v1
	s_and_saveexec_b64 s[2:3], vcc
	s_cbranch_execz .LBB706_200
; %bb.199:
	s_waitcnt lgkmcnt(0)
	v_add_co_u32_e32 v22, vcc, 0x2000, v2
	s_nop 1
	v_addc_co_u32_e32 v23, vcc, 0, v3, vcc
	flat_store_dwordx2 v[22:23], v[24:25]
.LBB706_200:
	s_or_b64 exec, exec, s[2:3]
	v_or_b32_e32 v1, 0x500, v0
	v_cmp_gt_u32_e32 vcc, s33, v1
	s_and_saveexec_b64 s[2:3], vcc
	s_cbranch_execz .LBB706_202
; %bb.201:
	s_waitcnt lgkmcnt(0)
	v_add_co_u32_e32 v22, vcc, 0x2000, v2
	s_nop 1
	v_addc_co_u32_e32 v23, vcc, 0, v3, vcc
	flat_store_dwordx2 v[22:23], v[18:19] offset:2048
.LBB706_202:
	;; [unrolled: 24-line block ×5, first 2 shown]
	s_or_b64 exec, exec, s[2:3]
	v_or_b32_e32 v1, 0xc00, v0
	v_cmp_gt_u32_e32 vcc, s33, v1
	s_and_saveexec_b64 s[2:3], vcc
	s_cbranch_execz .LBB706_216
; %bb.215:
	v_add_co_u32_e32 v2, vcc, 0x6000, v2
	s_nop 1
	v_addc_co_u32_e32 v3, vcc, 0, v3, vcc
	s_waitcnt lgkmcnt(0)
	flat_store_dwordx2 v[2:3], v[8:9]
.LBB706_216:
	s_or_b64 exec, exec, s[2:3]
	v_or_b32_e32 v2, 0xd00, v0
	v_mov_b32_e32 v1, v31
	v_cmp_gt_u32_e64 s[2:3], s33, v2
	s_branch .LBB706_219
.LBB706_217:
	s_mov_b64 s[2:3], 0
                                        ; implicit-def: $vgpr4_vgpr5
	s_cbranch_execz .LBB706_219
; %bb.218:
	v_mov_b32_e32 v1, 0
	s_movk_i32 s4, 0xff98
	v_mad_i32_i24 v2, v0, s4, v32
	v_mov_b32_e32 v31, v1
	s_waitcnt lgkmcnt(0)
	s_barrier
	ds_write_b128 v32, v[36:39]
	ds_write_b128 v32, v[40:43] offset:16
	ds_write_b128 v32, v[44:47] offset:32
	;; [unrolled: 1-line block ×6, first 2 shown]
	s_waitcnt lgkmcnt(0)
	s_barrier
	ds_read2st64_b64 v[6:9], v2 offset1:4
	ds_read2st64_b64 v[10:13], v2 offset0:8 offset1:12
	ds_read2st64_b64 v[14:17], v2 offset0:16 offset1:20
	;; [unrolled: 1-line block ×6, first 2 shown]
	v_lshl_add_u64 v[30:31], s[0:1], 0, v[30:31]
	s_movk_i32 s4, 0x1000
	s_waitcnt lgkmcnt(0)
	flat_store_dwordx2 v[30:31], v[6:7]
	flat_store_dwordx2 v[30:31], v[8:9] offset:2048
	v_add_co_u32_e32 v6, vcc, s4, v30
	s_movk_i32 s4, 0x2000
	s_nop 0
	v_addc_co_u32_e32 v7, vcc, 0, v31, vcc
	flat_store_dwordx2 v[6:7], v[10:11]
	flat_store_dwordx2 v[6:7], v[12:13] offset:2048
	v_add_co_u32_e32 v6, vcc, s4, v30
	s_movk_i32 s4, 0x3000
	s_nop 0
	v_addc_co_u32_e32 v7, vcc, 0, v31, vcc
	;; [unrolled: 6-line block ×3, first 2 shown]
	flat_store_dwordx2 v[6:7], v[18:19]
	flat_store_dwordx2 v[6:7], v[20:21] offset:2048
	v_add_co_u32_e32 v6, vcc, s4, v30
	s_or_b64 s[2:3], s[2:3], exec
	s_nop 0
	v_addc_co_u32_e32 v7, vcc, 0, v31, vcc
	flat_store_dwordx2 v[6:7], v[22:23]
	flat_store_dwordx2 v[6:7], v[24:25] offset:2048
	v_add_co_u32_e32 v6, vcc, 0x5000, v30
	s_nop 1
	v_addc_co_u32_e32 v7, vcc, 0, v31, vcc
	flat_store_dwordx2 v[6:7], v[26:27]
	flat_store_dwordx2 v[6:7], v[28:29] offset:2048
	v_add_co_u32_e32 v6, vcc, 0x6000, v30
	s_nop 1
	v_addc_co_u32_e32 v7, vcc, 0, v31, vcc
	flat_store_dwordx2 v[6:7], v[2:3]
.LBB706_219:
	s_and_saveexec_b64 s[4:5], s[2:3]
	s_cbranch_execz .LBB706_221
; %bb.220:
	v_lshl_add_u64 v[0:1], v[0:1], 3, s[0:1]
	v_add_co_u32_e32 v0, vcc, 0x6000, v0
	s_nop 1
	v_addc_co_u32_e32 v1, vcc, 0, v1, vcc
	s_waitcnt lgkmcnt(0)
	flat_store_dwordx2 v[0:1], v[4:5] offset:2048
	s_endpgm
.LBB706_221:
	s_endpgm
	.section	.rodata,"a",@progbits
	.p2align	6, 0x0
	.amdhsa_kernel _ZN7rocprim17ROCPRIM_400000_NS6detail17trampoline_kernelINS0_14default_configENS1_27scan_by_key_config_selectorIxxEEZZNS1_16scan_by_key_implILNS1_25lookback_scan_determinismE0ELb0ES3_N6thrust23THRUST_200600_302600_NS6detail15normal_iteratorINS9_10device_ptrIxEEEESE_SE_xNS9_4plusIxEE19head_flag_predicatexEE10hipError_tPvRmT2_T3_T4_T5_mT6_T7_P12ihipStream_tbENKUlT_T0_E_clISt17integral_constantIbLb0EESX_IbLb1EEEEDaST_SU_EUlST_E_NS1_11comp_targetILNS1_3genE5ELNS1_11target_archE942ELNS1_3gpuE9ELNS1_3repE0EEENS1_30default_config_static_selectorELNS0_4arch9wavefront6targetE1EEEvT1_
		.amdhsa_group_segment_fixed_size 32768
		.amdhsa_private_segment_fixed_size 0
		.amdhsa_kernarg_size 136
		.amdhsa_user_sgpr_count 2
		.amdhsa_user_sgpr_dispatch_ptr 0
		.amdhsa_user_sgpr_queue_ptr 0
		.amdhsa_user_sgpr_kernarg_segment_ptr 1
		.amdhsa_user_sgpr_dispatch_id 0
		.amdhsa_user_sgpr_kernarg_preload_length 0
		.amdhsa_user_sgpr_kernarg_preload_offset 0
		.amdhsa_user_sgpr_private_segment_size 0
		.amdhsa_uses_dynamic_stack 0
		.amdhsa_enable_private_segment 0
		.amdhsa_system_sgpr_workgroup_id_x 1
		.amdhsa_system_sgpr_workgroup_id_y 0
		.amdhsa_system_sgpr_workgroup_id_z 0
		.amdhsa_system_sgpr_workgroup_info 0
		.amdhsa_system_vgpr_workitem_id 0
		.amdhsa_next_free_vgpr 85
		.amdhsa_next_free_sgpr 62
		.amdhsa_accum_offset 88
		.amdhsa_reserve_vcc 1
		.amdhsa_float_round_mode_32 0
		.amdhsa_float_round_mode_16_64 0
		.amdhsa_float_denorm_mode_32 3
		.amdhsa_float_denorm_mode_16_64 3
		.amdhsa_dx10_clamp 1
		.amdhsa_ieee_mode 1
		.amdhsa_fp16_overflow 0
		.amdhsa_tg_split 0
		.amdhsa_exception_fp_ieee_invalid_op 0
		.amdhsa_exception_fp_denorm_src 0
		.amdhsa_exception_fp_ieee_div_zero 0
		.amdhsa_exception_fp_ieee_overflow 0
		.amdhsa_exception_fp_ieee_underflow 0
		.amdhsa_exception_fp_ieee_inexact 0
		.amdhsa_exception_int_div_zero 0
	.end_amdhsa_kernel
	.section	.text._ZN7rocprim17ROCPRIM_400000_NS6detail17trampoline_kernelINS0_14default_configENS1_27scan_by_key_config_selectorIxxEEZZNS1_16scan_by_key_implILNS1_25lookback_scan_determinismE0ELb0ES3_N6thrust23THRUST_200600_302600_NS6detail15normal_iteratorINS9_10device_ptrIxEEEESE_SE_xNS9_4plusIxEE19head_flag_predicatexEE10hipError_tPvRmT2_T3_T4_T5_mT6_T7_P12ihipStream_tbENKUlT_T0_E_clISt17integral_constantIbLb0EESX_IbLb1EEEEDaST_SU_EUlST_E_NS1_11comp_targetILNS1_3genE5ELNS1_11target_archE942ELNS1_3gpuE9ELNS1_3repE0EEENS1_30default_config_static_selectorELNS0_4arch9wavefront6targetE1EEEvT1_,"axG",@progbits,_ZN7rocprim17ROCPRIM_400000_NS6detail17trampoline_kernelINS0_14default_configENS1_27scan_by_key_config_selectorIxxEEZZNS1_16scan_by_key_implILNS1_25lookback_scan_determinismE0ELb0ES3_N6thrust23THRUST_200600_302600_NS6detail15normal_iteratorINS9_10device_ptrIxEEEESE_SE_xNS9_4plusIxEE19head_flag_predicatexEE10hipError_tPvRmT2_T3_T4_T5_mT6_T7_P12ihipStream_tbENKUlT_T0_E_clISt17integral_constantIbLb0EESX_IbLb1EEEEDaST_SU_EUlST_E_NS1_11comp_targetILNS1_3genE5ELNS1_11target_archE942ELNS1_3gpuE9ELNS1_3repE0EEENS1_30default_config_static_selectorELNS0_4arch9wavefront6targetE1EEEvT1_,comdat
.Lfunc_end706:
	.size	_ZN7rocprim17ROCPRIM_400000_NS6detail17trampoline_kernelINS0_14default_configENS1_27scan_by_key_config_selectorIxxEEZZNS1_16scan_by_key_implILNS1_25lookback_scan_determinismE0ELb0ES3_N6thrust23THRUST_200600_302600_NS6detail15normal_iteratorINS9_10device_ptrIxEEEESE_SE_xNS9_4plusIxEE19head_flag_predicatexEE10hipError_tPvRmT2_T3_T4_T5_mT6_T7_P12ihipStream_tbENKUlT_T0_E_clISt17integral_constantIbLb0EESX_IbLb1EEEEDaST_SU_EUlST_E_NS1_11comp_targetILNS1_3genE5ELNS1_11target_archE942ELNS1_3gpuE9ELNS1_3repE0EEENS1_30default_config_static_selectorELNS0_4arch9wavefront6targetE1EEEvT1_, .Lfunc_end706-_ZN7rocprim17ROCPRIM_400000_NS6detail17trampoline_kernelINS0_14default_configENS1_27scan_by_key_config_selectorIxxEEZZNS1_16scan_by_key_implILNS1_25lookback_scan_determinismE0ELb0ES3_N6thrust23THRUST_200600_302600_NS6detail15normal_iteratorINS9_10device_ptrIxEEEESE_SE_xNS9_4plusIxEE19head_flag_predicatexEE10hipError_tPvRmT2_T3_T4_T5_mT6_T7_P12ihipStream_tbENKUlT_T0_E_clISt17integral_constantIbLb0EESX_IbLb1EEEEDaST_SU_EUlST_E_NS1_11comp_targetILNS1_3genE5ELNS1_11target_archE942ELNS1_3gpuE9ELNS1_3repE0EEENS1_30default_config_static_selectorELNS0_4arch9wavefront6targetE1EEEvT1_
                                        ; -- End function
	.section	.AMDGPU.csdata,"",@progbits
; Kernel info:
; codeLenInByte = 12064
; NumSgprs: 68
; NumVgprs: 85
; NumAgprs: 0
; TotalNumVgprs: 85
; ScratchSize: 0
; MemoryBound: 0
; FloatMode: 240
; IeeeMode: 1
; LDSByteSize: 32768 bytes/workgroup (compile time only)
; SGPRBlocks: 8
; VGPRBlocks: 10
; NumSGPRsForWavesPerEU: 68
; NumVGPRsForWavesPerEU: 85
; AccumOffset: 88
; Occupancy: 2
; WaveLimiterHint : 1
; COMPUTE_PGM_RSRC2:SCRATCH_EN: 0
; COMPUTE_PGM_RSRC2:USER_SGPR: 2
; COMPUTE_PGM_RSRC2:TRAP_HANDLER: 0
; COMPUTE_PGM_RSRC2:TGID_X_EN: 1
; COMPUTE_PGM_RSRC2:TGID_Y_EN: 0
; COMPUTE_PGM_RSRC2:TGID_Z_EN: 0
; COMPUTE_PGM_RSRC2:TIDIG_COMP_CNT: 0
; COMPUTE_PGM_RSRC3_GFX90A:ACCUM_OFFSET: 21
; COMPUTE_PGM_RSRC3_GFX90A:TG_SPLIT: 0
	.section	.text._ZN7rocprim17ROCPRIM_400000_NS6detail17trampoline_kernelINS0_14default_configENS1_27scan_by_key_config_selectorIxxEEZZNS1_16scan_by_key_implILNS1_25lookback_scan_determinismE0ELb0ES3_N6thrust23THRUST_200600_302600_NS6detail15normal_iteratorINS9_10device_ptrIxEEEESE_SE_xNS9_4plusIxEE19head_flag_predicatexEE10hipError_tPvRmT2_T3_T4_T5_mT6_T7_P12ihipStream_tbENKUlT_T0_E_clISt17integral_constantIbLb0EESX_IbLb1EEEEDaST_SU_EUlST_E_NS1_11comp_targetILNS1_3genE4ELNS1_11target_archE910ELNS1_3gpuE8ELNS1_3repE0EEENS1_30default_config_static_selectorELNS0_4arch9wavefront6targetE1EEEvT1_,"axG",@progbits,_ZN7rocprim17ROCPRIM_400000_NS6detail17trampoline_kernelINS0_14default_configENS1_27scan_by_key_config_selectorIxxEEZZNS1_16scan_by_key_implILNS1_25lookback_scan_determinismE0ELb0ES3_N6thrust23THRUST_200600_302600_NS6detail15normal_iteratorINS9_10device_ptrIxEEEESE_SE_xNS9_4plusIxEE19head_flag_predicatexEE10hipError_tPvRmT2_T3_T4_T5_mT6_T7_P12ihipStream_tbENKUlT_T0_E_clISt17integral_constantIbLb0EESX_IbLb1EEEEDaST_SU_EUlST_E_NS1_11comp_targetILNS1_3genE4ELNS1_11target_archE910ELNS1_3gpuE8ELNS1_3repE0EEENS1_30default_config_static_selectorELNS0_4arch9wavefront6targetE1EEEvT1_,comdat
	.protected	_ZN7rocprim17ROCPRIM_400000_NS6detail17trampoline_kernelINS0_14default_configENS1_27scan_by_key_config_selectorIxxEEZZNS1_16scan_by_key_implILNS1_25lookback_scan_determinismE0ELb0ES3_N6thrust23THRUST_200600_302600_NS6detail15normal_iteratorINS9_10device_ptrIxEEEESE_SE_xNS9_4plusIxEE19head_flag_predicatexEE10hipError_tPvRmT2_T3_T4_T5_mT6_T7_P12ihipStream_tbENKUlT_T0_E_clISt17integral_constantIbLb0EESX_IbLb1EEEEDaST_SU_EUlST_E_NS1_11comp_targetILNS1_3genE4ELNS1_11target_archE910ELNS1_3gpuE8ELNS1_3repE0EEENS1_30default_config_static_selectorELNS0_4arch9wavefront6targetE1EEEvT1_ ; -- Begin function _ZN7rocprim17ROCPRIM_400000_NS6detail17trampoline_kernelINS0_14default_configENS1_27scan_by_key_config_selectorIxxEEZZNS1_16scan_by_key_implILNS1_25lookback_scan_determinismE0ELb0ES3_N6thrust23THRUST_200600_302600_NS6detail15normal_iteratorINS9_10device_ptrIxEEEESE_SE_xNS9_4plusIxEE19head_flag_predicatexEE10hipError_tPvRmT2_T3_T4_T5_mT6_T7_P12ihipStream_tbENKUlT_T0_E_clISt17integral_constantIbLb0EESX_IbLb1EEEEDaST_SU_EUlST_E_NS1_11comp_targetILNS1_3genE4ELNS1_11target_archE910ELNS1_3gpuE8ELNS1_3repE0EEENS1_30default_config_static_selectorELNS0_4arch9wavefront6targetE1EEEvT1_
	.globl	_ZN7rocprim17ROCPRIM_400000_NS6detail17trampoline_kernelINS0_14default_configENS1_27scan_by_key_config_selectorIxxEEZZNS1_16scan_by_key_implILNS1_25lookback_scan_determinismE0ELb0ES3_N6thrust23THRUST_200600_302600_NS6detail15normal_iteratorINS9_10device_ptrIxEEEESE_SE_xNS9_4plusIxEE19head_flag_predicatexEE10hipError_tPvRmT2_T3_T4_T5_mT6_T7_P12ihipStream_tbENKUlT_T0_E_clISt17integral_constantIbLb0EESX_IbLb1EEEEDaST_SU_EUlST_E_NS1_11comp_targetILNS1_3genE4ELNS1_11target_archE910ELNS1_3gpuE8ELNS1_3repE0EEENS1_30default_config_static_selectorELNS0_4arch9wavefront6targetE1EEEvT1_
	.p2align	8
	.type	_ZN7rocprim17ROCPRIM_400000_NS6detail17trampoline_kernelINS0_14default_configENS1_27scan_by_key_config_selectorIxxEEZZNS1_16scan_by_key_implILNS1_25lookback_scan_determinismE0ELb0ES3_N6thrust23THRUST_200600_302600_NS6detail15normal_iteratorINS9_10device_ptrIxEEEESE_SE_xNS9_4plusIxEE19head_flag_predicatexEE10hipError_tPvRmT2_T3_T4_T5_mT6_T7_P12ihipStream_tbENKUlT_T0_E_clISt17integral_constantIbLb0EESX_IbLb1EEEEDaST_SU_EUlST_E_NS1_11comp_targetILNS1_3genE4ELNS1_11target_archE910ELNS1_3gpuE8ELNS1_3repE0EEENS1_30default_config_static_selectorELNS0_4arch9wavefront6targetE1EEEvT1_,@function
_ZN7rocprim17ROCPRIM_400000_NS6detail17trampoline_kernelINS0_14default_configENS1_27scan_by_key_config_selectorIxxEEZZNS1_16scan_by_key_implILNS1_25lookback_scan_determinismE0ELb0ES3_N6thrust23THRUST_200600_302600_NS6detail15normal_iteratorINS9_10device_ptrIxEEEESE_SE_xNS9_4plusIxEE19head_flag_predicatexEE10hipError_tPvRmT2_T3_T4_T5_mT6_T7_P12ihipStream_tbENKUlT_T0_E_clISt17integral_constantIbLb0EESX_IbLb1EEEEDaST_SU_EUlST_E_NS1_11comp_targetILNS1_3genE4ELNS1_11target_archE910ELNS1_3gpuE8ELNS1_3repE0EEENS1_30default_config_static_selectorELNS0_4arch9wavefront6targetE1EEEvT1_: ; @_ZN7rocprim17ROCPRIM_400000_NS6detail17trampoline_kernelINS0_14default_configENS1_27scan_by_key_config_selectorIxxEEZZNS1_16scan_by_key_implILNS1_25lookback_scan_determinismE0ELb0ES3_N6thrust23THRUST_200600_302600_NS6detail15normal_iteratorINS9_10device_ptrIxEEEESE_SE_xNS9_4plusIxEE19head_flag_predicatexEE10hipError_tPvRmT2_T3_T4_T5_mT6_T7_P12ihipStream_tbENKUlT_T0_E_clISt17integral_constantIbLb0EESX_IbLb1EEEEDaST_SU_EUlST_E_NS1_11comp_targetILNS1_3genE4ELNS1_11target_archE910ELNS1_3gpuE8ELNS1_3repE0EEENS1_30default_config_static_selectorELNS0_4arch9wavefront6targetE1EEEvT1_
; %bb.0:
	.section	.rodata,"a",@progbits
	.p2align	6, 0x0
	.amdhsa_kernel _ZN7rocprim17ROCPRIM_400000_NS6detail17trampoline_kernelINS0_14default_configENS1_27scan_by_key_config_selectorIxxEEZZNS1_16scan_by_key_implILNS1_25lookback_scan_determinismE0ELb0ES3_N6thrust23THRUST_200600_302600_NS6detail15normal_iteratorINS9_10device_ptrIxEEEESE_SE_xNS9_4plusIxEE19head_flag_predicatexEE10hipError_tPvRmT2_T3_T4_T5_mT6_T7_P12ihipStream_tbENKUlT_T0_E_clISt17integral_constantIbLb0EESX_IbLb1EEEEDaST_SU_EUlST_E_NS1_11comp_targetILNS1_3genE4ELNS1_11target_archE910ELNS1_3gpuE8ELNS1_3repE0EEENS1_30default_config_static_selectorELNS0_4arch9wavefront6targetE1EEEvT1_
		.amdhsa_group_segment_fixed_size 0
		.amdhsa_private_segment_fixed_size 0
		.amdhsa_kernarg_size 136
		.amdhsa_user_sgpr_count 2
		.amdhsa_user_sgpr_dispatch_ptr 0
		.amdhsa_user_sgpr_queue_ptr 0
		.amdhsa_user_sgpr_kernarg_segment_ptr 1
		.amdhsa_user_sgpr_dispatch_id 0
		.amdhsa_user_sgpr_kernarg_preload_length 0
		.amdhsa_user_sgpr_kernarg_preload_offset 0
		.amdhsa_user_sgpr_private_segment_size 0
		.amdhsa_uses_dynamic_stack 0
		.amdhsa_enable_private_segment 0
		.amdhsa_system_sgpr_workgroup_id_x 1
		.amdhsa_system_sgpr_workgroup_id_y 0
		.amdhsa_system_sgpr_workgroup_id_z 0
		.amdhsa_system_sgpr_workgroup_info 0
		.amdhsa_system_vgpr_workitem_id 0
		.amdhsa_next_free_vgpr 1
		.amdhsa_next_free_sgpr 0
		.amdhsa_accum_offset 4
		.amdhsa_reserve_vcc 0
		.amdhsa_float_round_mode_32 0
		.amdhsa_float_round_mode_16_64 0
		.amdhsa_float_denorm_mode_32 3
		.amdhsa_float_denorm_mode_16_64 3
		.amdhsa_dx10_clamp 1
		.amdhsa_ieee_mode 1
		.amdhsa_fp16_overflow 0
		.amdhsa_tg_split 0
		.amdhsa_exception_fp_ieee_invalid_op 0
		.amdhsa_exception_fp_denorm_src 0
		.amdhsa_exception_fp_ieee_div_zero 0
		.amdhsa_exception_fp_ieee_overflow 0
		.amdhsa_exception_fp_ieee_underflow 0
		.amdhsa_exception_fp_ieee_inexact 0
		.amdhsa_exception_int_div_zero 0
	.end_amdhsa_kernel
	.section	.text._ZN7rocprim17ROCPRIM_400000_NS6detail17trampoline_kernelINS0_14default_configENS1_27scan_by_key_config_selectorIxxEEZZNS1_16scan_by_key_implILNS1_25lookback_scan_determinismE0ELb0ES3_N6thrust23THRUST_200600_302600_NS6detail15normal_iteratorINS9_10device_ptrIxEEEESE_SE_xNS9_4plusIxEE19head_flag_predicatexEE10hipError_tPvRmT2_T3_T4_T5_mT6_T7_P12ihipStream_tbENKUlT_T0_E_clISt17integral_constantIbLb0EESX_IbLb1EEEEDaST_SU_EUlST_E_NS1_11comp_targetILNS1_3genE4ELNS1_11target_archE910ELNS1_3gpuE8ELNS1_3repE0EEENS1_30default_config_static_selectorELNS0_4arch9wavefront6targetE1EEEvT1_,"axG",@progbits,_ZN7rocprim17ROCPRIM_400000_NS6detail17trampoline_kernelINS0_14default_configENS1_27scan_by_key_config_selectorIxxEEZZNS1_16scan_by_key_implILNS1_25lookback_scan_determinismE0ELb0ES3_N6thrust23THRUST_200600_302600_NS6detail15normal_iteratorINS9_10device_ptrIxEEEESE_SE_xNS9_4plusIxEE19head_flag_predicatexEE10hipError_tPvRmT2_T3_T4_T5_mT6_T7_P12ihipStream_tbENKUlT_T0_E_clISt17integral_constantIbLb0EESX_IbLb1EEEEDaST_SU_EUlST_E_NS1_11comp_targetILNS1_3genE4ELNS1_11target_archE910ELNS1_3gpuE8ELNS1_3repE0EEENS1_30default_config_static_selectorELNS0_4arch9wavefront6targetE1EEEvT1_,comdat
.Lfunc_end707:
	.size	_ZN7rocprim17ROCPRIM_400000_NS6detail17trampoline_kernelINS0_14default_configENS1_27scan_by_key_config_selectorIxxEEZZNS1_16scan_by_key_implILNS1_25lookback_scan_determinismE0ELb0ES3_N6thrust23THRUST_200600_302600_NS6detail15normal_iteratorINS9_10device_ptrIxEEEESE_SE_xNS9_4plusIxEE19head_flag_predicatexEE10hipError_tPvRmT2_T3_T4_T5_mT6_T7_P12ihipStream_tbENKUlT_T0_E_clISt17integral_constantIbLb0EESX_IbLb1EEEEDaST_SU_EUlST_E_NS1_11comp_targetILNS1_3genE4ELNS1_11target_archE910ELNS1_3gpuE8ELNS1_3repE0EEENS1_30default_config_static_selectorELNS0_4arch9wavefront6targetE1EEEvT1_, .Lfunc_end707-_ZN7rocprim17ROCPRIM_400000_NS6detail17trampoline_kernelINS0_14default_configENS1_27scan_by_key_config_selectorIxxEEZZNS1_16scan_by_key_implILNS1_25lookback_scan_determinismE0ELb0ES3_N6thrust23THRUST_200600_302600_NS6detail15normal_iteratorINS9_10device_ptrIxEEEESE_SE_xNS9_4plusIxEE19head_flag_predicatexEE10hipError_tPvRmT2_T3_T4_T5_mT6_T7_P12ihipStream_tbENKUlT_T0_E_clISt17integral_constantIbLb0EESX_IbLb1EEEEDaST_SU_EUlST_E_NS1_11comp_targetILNS1_3genE4ELNS1_11target_archE910ELNS1_3gpuE8ELNS1_3repE0EEENS1_30default_config_static_selectorELNS0_4arch9wavefront6targetE1EEEvT1_
                                        ; -- End function
	.section	.AMDGPU.csdata,"",@progbits
; Kernel info:
; codeLenInByte = 0
; NumSgprs: 6
; NumVgprs: 0
; NumAgprs: 0
; TotalNumVgprs: 0
; ScratchSize: 0
; MemoryBound: 0
; FloatMode: 240
; IeeeMode: 1
; LDSByteSize: 0 bytes/workgroup (compile time only)
; SGPRBlocks: 0
; VGPRBlocks: 0
; NumSGPRsForWavesPerEU: 6
; NumVGPRsForWavesPerEU: 1
; AccumOffset: 4
; Occupancy: 8
; WaveLimiterHint : 0
; COMPUTE_PGM_RSRC2:SCRATCH_EN: 0
; COMPUTE_PGM_RSRC2:USER_SGPR: 2
; COMPUTE_PGM_RSRC2:TRAP_HANDLER: 0
; COMPUTE_PGM_RSRC2:TGID_X_EN: 1
; COMPUTE_PGM_RSRC2:TGID_Y_EN: 0
; COMPUTE_PGM_RSRC2:TGID_Z_EN: 0
; COMPUTE_PGM_RSRC2:TIDIG_COMP_CNT: 0
; COMPUTE_PGM_RSRC3_GFX90A:ACCUM_OFFSET: 0
; COMPUTE_PGM_RSRC3_GFX90A:TG_SPLIT: 0
	.section	.text._ZN7rocprim17ROCPRIM_400000_NS6detail17trampoline_kernelINS0_14default_configENS1_27scan_by_key_config_selectorIxxEEZZNS1_16scan_by_key_implILNS1_25lookback_scan_determinismE0ELb0ES3_N6thrust23THRUST_200600_302600_NS6detail15normal_iteratorINS9_10device_ptrIxEEEESE_SE_xNS9_4plusIxEE19head_flag_predicatexEE10hipError_tPvRmT2_T3_T4_T5_mT6_T7_P12ihipStream_tbENKUlT_T0_E_clISt17integral_constantIbLb0EESX_IbLb1EEEEDaST_SU_EUlST_E_NS1_11comp_targetILNS1_3genE3ELNS1_11target_archE908ELNS1_3gpuE7ELNS1_3repE0EEENS1_30default_config_static_selectorELNS0_4arch9wavefront6targetE1EEEvT1_,"axG",@progbits,_ZN7rocprim17ROCPRIM_400000_NS6detail17trampoline_kernelINS0_14default_configENS1_27scan_by_key_config_selectorIxxEEZZNS1_16scan_by_key_implILNS1_25lookback_scan_determinismE0ELb0ES3_N6thrust23THRUST_200600_302600_NS6detail15normal_iteratorINS9_10device_ptrIxEEEESE_SE_xNS9_4plusIxEE19head_flag_predicatexEE10hipError_tPvRmT2_T3_T4_T5_mT6_T7_P12ihipStream_tbENKUlT_T0_E_clISt17integral_constantIbLb0EESX_IbLb1EEEEDaST_SU_EUlST_E_NS1_11comp_targetILNS1_3genE3ELNS1_11target_archE908ELNS1_3gpuE7ELNS1_3repE0EEENS1_30default_config_static_selectorELNS0_4arch9wavefront6targetE1EEEvT1_,comdat
	.protected	_ZN7rocprim17ROCPRIM_400000_NS6detail17trampoline_kernelINS0_14default_configENS1_27scan_by_key_config_selectorIxxEEZZNS1_16scan_by_key_implILNS1_25lookback_scan_determinismE0ELb0ES3_N6thrust23THRUST_200600_302600_NS6detail15normal_iteratorINS9_10device_ptrIxEEEESE_SE_xNS9_4plusIxEE19head_flag_predicatexEE10hipError_tPvRmT2_T3_T4_T5_mT6_T7_P12ihipStream_tbENKUlT_T0_E_clISt17integral_constantIbLb0EESX_IbLb1EEEEDaST_SU_EUlST_E_NS1_11comp_targetILNS1_3genE3ELNS1_11target_archE908ELNS1_3gpuE7ELNS1_3repE0EEENS1_30default_config_static_selectorELNS0_4arch9wavefront6targetE1EEEvT1_ ; -- Begin function _ZN7rocprim17ROCPRIM_400000_NS6detail17trampoline_kernelINS0_14default_configENS1_27scan_by_key_config_selectorIxxEEZZNS1_16scan_by_key_implILNS1_25lookback_scan_determinismE0ELb0ES3_N6thrust23THRUST_200600_302600_NS6detail15normal_iteratorINS9_10device_ptrIxEEEESE_SE_xNS9_4plusIxEE19head_flag_predicatexEE10hipError_tPvRmT2_T3_T4_T5_mT6_T7_P12ihipStream_tbENKUlT_T0_E_clISt17integral_constantIbLb0EESX_IbLb1EEEEDaST_SU_EUlST_E_NS1_11comp_targetILNS1_3genE3ELNS1_11target_archE908ELNS1_3gpuE7ELNS1_3repE0EEENS1_30default_config_static_selectorELNS0_4arch9wavefront6targetE1EEEvT1_
	.globl	_ZN7rocprim17ROCPRIM_400000_NS6detail17trampoline_kernelINS0_14default_configENS1_27scan_by_key_config_selectorIxxEEZZNS1_16scan_by_key_implILNS1_25lookback_scan_determinismE0ELb0ES3_N6thrust23THRUST_200600_302600_NS6detail15normal_iteratorINS9_10device_ptrIxEEEESE_SE_xNS9_4plusIxEE19head_flag_predicatexEE10hipError_tPvRmT2_T3_T4_T5_mT6_T7_P12ihipStream_tbENKUlT_T0_E_clISt17integral_constantIbLb0EESX_IbLb1EEEEDaST_SU_EUlST_E_NS1_11comp_targetILNS1_3genE3ELNS1_11target_archE908ELNS1_3gpuE7ELNS1_3repE0EEENS1_30default_config_static_selectorELNS0_4arch9wavefront6targetE1EEEvT1_
	.p2align	8
	.type	_ZN7rocprim17ROCPRIM_400000_NS6detail17trampoline_kernelINS0_14default_configENS1_27scan_by_key_config_selectorIxxEEZZNS1_16scan_by_key_implILNS1_25lookback_scan_determinismE0ELb0ES3_N6thrust23THRUST_200600_302600_NS6detail15normal_iteratorINS9_10device_ptrIxEEEESE_SE_xNS9_4plusIxEE19head_flag_predicatexEE10hipError_tPvRmT2_T3_T4_T5_mT6_T7_P12ihipStream_tbENKUlT_T0_E_clISt17integral_constantIbLb0EESX_IbLb1EEEEDaST_SU_EUlST_E_NS1_11comp_targetILNS1_3genE3ELNS1_11target_archE908ELNS1_3gpuE7ELNS1_3repE0EEENS1_30default_config_static_selectorELNS0_4arch9wavefront6targetE1EEEvT1_,@function
_ZN7rocprim17ROCPRIM_400000_NS6detail17trampoline_kernelINS0_14default_configENS1_27scan_by_key_config_selectorIxxEEZZNS1_16scan_by_key_implILNS1_25lookback_scan_determinismE0ELb0ES3_N6thrust23THRUST_200600_302600_NS6detail15normal_iteratorINS9_10device_ptrIxEEEESE_SE_xNS9_4plusIxEE19head_flag_predicatexEE10hipError_tPvRmT2_T3_T4_T5_mT6_T7_P12ihipStream_tbENKUlT_T0_E_clISt17integral_constantIbLb0EESX_IbLb1EEEEDaST_SU_EUlST_E_NS1_11comp_targetILNS1_3genE3ELNS1_11target_archE908ELNS1_3gpuE7ELNS1_3repE0EEENS1_30default_config_static_selectorELNS0_4arch9wavefront6targetE1EEEvT1_: ; @_ZN7rocprim17ROCPRIM_400000_NS6detail17trampoline_kernelINS0_14default_configENS1_27scan_by_key_config_selectorIxxEEZZNS1_16scan_by_key_implILNS1_25lookback_scan_determinismE0ELb0ES3_N6thrust23THRUST_200600_302600_NS6detail15normal_iteratorINS9_10device_ptrIxEEEESE_SE_xNS9_4plusIxEE19head_flag_predicatexEE10hipError_tPvRmT2_T3_T4_T5_mT6_T7_P12ihipStream_tbENKUlT_T0_E_clISt17integral_constantIbLb0EESX_IbLb1EEEEDaST_SU_EUlST_E_NS1_11comp_targetILNS1_3genE3ELNS1_11target_archE908ELNS1_3gpuE7ELNS1_3repE0EEENS1_30default_config_static_selectorELNS0_4arch9wavefront6targetE1EEEvT1_
; %bb.0:
	.section	.rodata,"a",@progbits
	.p2align	6, 0x0
	.amdhsa_kernel _ZN7rocprim17ROCPRIM_400000_NS6detail17trampoline_kernelINS0_14default_configENS1_27scan_by_key_config_selectorIxxEEZZNS1_16scan_by_key_implILNS1_25lookback_scan_determinismE0ELb0ES3_N6thrust23THRUST_200600_302600_NS6detail15normal_iteratorINS9_10device_ptrIxEEEESE_SE_xNS9_4plusIxEE19head_flag_predicatexEE10hipError_tPvRmT2_T3_T4_T5_mT6_T7_P12ihipStream_tbENKUlT_T0_E_clISt17integral_constantIbLb0EESX_IbLb1EEEEDaST_SU_EUlST_E_NS1_11comp_targetILNS1_3genE3ELNS1_11target_archE908ELNS1_3gpuE7ELNS1_3repE0EEENS1_30default_config_static_selectorELNS0_4arch9wavefront6targetE1EEEvT1_
		.amdhsa_group_segment_fixed_size 0
		.amdhsa_private_segment_fixed_size 0
		.amdhsa_kernarg_size 136
		.amdhsa_user_sgpr_count 2
		.amdhsa_user_sgpr_dispatch_ptr 0
		.amdhsa_user_sgpr_queue_ptr 0
		.amdhsa_user_sgpr_kernarg_segment_ptr 1
		.amdhsa_user_sgpr_dispatch_id 0
		.amdhsa_user_sgpr_kernarg_preload_length 0
		.amdhsa_user_sgpr_kernarg_preload_offset 0
		.amdhsa_user_sgpr_private_segment_size 0
		.amdhsa_uses_dynamic_stack 0
		.amdhsa_enable_private_segment 0
		.amdhsa_system_sgpr_workgroup_id_x 1
		.amdhsa_system_sgpr_workgroup_id_y 0
		.amdhsa_system_sgpr_workgroup_id_z 0
		.amdhsa_system_sgpr_workgroup_info 0
		.amdhsa_system_vgpr_workitem_id 0
		.amdhsa_next_free_vgpr 1
		.amdhsa_next_free_sgpr 0
		.amdhsa_accum_offset 4
		.amdhsa_reserve_vcc 0
		.amdhsa_float_round_mode_32 0
		.amdhsa_float_round_mode_16_64 0
		.amdhsa_float_denorm_mode_32 3
		.amdhsa_float_denorm_mode_16_64 3
		.amdhsa_dx10_clamp 1
		.amdhsa_ieee_mode 1
		.amdhsa_fp16_overflow 0
		.amdhsa_tg_split 0
		.amdhsa_exception_fp_ieee_invalid_op 0
		.amdhsa_exception_fp_denorm_src 0
		.amdhsa_exception_fp_ieee_div_zero 0
		.amdhsa_exception_fp_ieee_overflow 0
		.amdhsa_exception_fp_ieee_underflow 0
		.amdhsa_exception_fp_ieee_inexact 0
		.amdhsa_exception_int_div_zero 0
	.end_amdhsa_kernel
	.section	.text._ZN7rocprim17ROCPRIM_400000_NS6detail17trampoline_kernelINS0_14default_configENS1_27scan_by_key_config_selectorIxxEEZZNS1_16scan_by_key_implILNS1_25lookback_scan_determinismE0ELb0ES3_N6thrust23THRUST_200600_302600_NS6detail15normal_iteratorINS9_10device_ptrIxEEEESE_SE_xNS9_4plusIxEE19head_flag_predicatexEE10hipError_tPvRmT2_T3_T4_T5_mT6_T7_P12ihipStream_tbENKUlT_T0_E_clISt17integral_constantIbLb0EESX_IbLb1EEEEDaST_SU_EUlST_E_NS1_11comp_targetILNS1_3genE3ELNS1_11target_archE908ELNS1_3gpuE7ELNS1_3repE0EEENS1_30default_config_static_selectorELNS0_4arch9wavefront6targetE1EEEvT1_,"axG",@progbits,_ZN7rocprim17ROCPRIM_400000_NS6detail17trampoline_kernelINS0_14default_configENS1_27scan_by_key_config_selectorIxxEEZZNS1_16scan_by_key_implILNS1_25lookback_scan_determinismE0ELb0ES3_N6thrust23THRUST_200600_302600_NS6detail15normal_iteratorINS9_10device_ptrIxEEEESE_SE_xNS9_4plusIxEE19head_flag_predicatexEE10hipError_tPvRmT2_T3_T4_T5_mT6_T7_P12ihipStream_tbENKUlT_T0_E_clISt17integral_constantIbLb0EESX_IbLb1EEEEDaST_SU_EUlST_E_NS1_11comp_targetILNS1_3genE3ELNS1_11target_archE908ELNS1_3gpuE7ELNS1_3repE0EEENS1_30default_config_static_selectorELNS0_4arch9wavefront6targetE1EEEvT1_,comdat
.Lfunc_end708:
	.size	_ZN7rocprim17ROCPRIM_400000_NS6detail17trampoline_kernelINS0_14default_configENS1_27scan_by_key_config_selectorIxxEEZZNS1_16scan_by_key_implILNS1_25lookback_scan_determinismE0ELb0ES3_N6thrust23THRUST_200600_302600_NS6detail15normal_iteratorINS9_10device_ptrIxEEEESE_SE_xNS9_4plusIxEE19head_flag_predicatexEE10hipError_tPvRmT2_T3_T4_T5_mT6_T7_P12ihipStream_tbENKUlT_T0_E_clISt17integral_constantIbLb0EESX_IbLb1EEEEDaST_SU_EUlST_E_NS1_11comp_targetILNS1_3genE3ELNS1_11target_archE908ELNS1_3gpuE7ELNS1_3repE0EEENS1_30default_config_static_selectorELNS0_4arch9wavefront6targetE1EEEvT1_, .Lfunc_end708-_ZN7rocprim17ROCPRIM_400000_NS6detail17trampoline_kernelINS0_14default_configENS1_27scan_by_key_config_selectorIxxEEZZNS1_16scan_by_key_implILNS1_25lookback_scan_determinismE0ELb0ES3_N6thrust23THRUST_200600_302600_NS6detail15normal_iteratorINS9_10device_ptrIxEEEESE_SE_xNS9_4plusIxEE19head_flag_predicatexEE10hipError_tPvRmT2_T3_T4_T5_mT6_T7_P12ihipStream_tbENKUlT_T0_E_clISt17integral_constantIbLb0EESX_IbLb1EEEEDaST_SU_EUlST_E_NS1_11comp_targetILNS1_3genE3ELNS1_11target_archE908ELNS1_3gpuE7ELNS1_3repE0EEENS1_30default_config_static_selectorELNS0_4arch9wavefront6targetE1EEEvT1_
                                        ; -- End function
	.section	.AMDGPU.csdata,"",@progbits
; Kernel info:
; codeLenInByte = 0
; NumSgprs: 6
; NumVgprs: 0
; NumAgprs: 0
; TotalNumVgprs: 0
; ScratchSize: 0
; MemoryBound: 0
; FloatMode: 240
; IeeeMode: 1
; LDSByteSize: 0 bytes/workgroup (compile time only)
; SGPRBlocks: 0
; VGPRBlocks: 0
; NumSGPRsForWavesPerEU: 6
; NumVGPRsForWavesPerEU: 1
; AccumOffset: 4
; Occupancy: 8
; WaveLimiterHint : 0
; COMPUTE_PGM_RSRC2:SCRATCH_EN: 0
; COMPUTE_PGM_RSRC2:USER_SGPR: 2
; COMPUTE_PGM_RSRC2:TRAP_HANDLER: 0
; COMPUTE_PGM_RSRC2:TGID_X_EN: 1
; COMPUTE_PGM_RSRC2:TGID_Y_EN: 0
; COMPUTE_PGM_RSRC2:TGID_Z_EN: 0
; COMPUTE_PGM_RSRC2:TIDIG_COMP_CNT: 0
; COMPUTE_PGM_RSRC3_GFX90A:ACCUM_OFFSET: 0
; COMPUTE_PGM_RSRC3_GFX90A:TG_SPLIT: 0
	.section	.text._ZN7rocprim17ROCPRIM_400000_NS6detail17trampoline_kernelINS0_14default_configENS1_27scan_by_key_config_selectorIxxEEZZNS1_16scan_by_key_implILNS1_25lookback_scan_determinismE0ELb0ES3_N6thrust23THRUST_200600_302600_NS6detail15normal_iteratorINS9_10device_ptrIxEEEESE_SE_xNS9_4plusIxEE19head_flag_predicatexEE10hipError_tPvRmT2_T3_T4_T5_mT6_T7_P12ihipStream_tbENKUlT_T0_E_clISt17integral_constantIbLb0EESX_IbLb1EEEEDaST_SU_EUlST_E_NS1_11comp_targetILNS1_3genE2ELNS1_11target_archE906ELNS1_3gpuE6ELNS1_3repE0EEENS1_30default_config_static_selectorELNS0_4arch9wavefront6targetE1EEEvT1_,"axG",@progbits,_ZN7rocprim17ROCPRIM_400000_NS6detail17trampoline_kernelINS0_14default_configENS1_27scan_by_key_config_selectorIxxEEZZNS1_16scan_by_key_implILNS1_25lookback_scan_determinismE0ELb0ES3_N6thrust23THRUST_200600_302600_NS6detail15normal_iteratorINS9_10device_ptrIxEEEESE_SE_xNS9_4plusIxEE19head_flag_predicatexEE10hipError_tPvRmT2_T3_T4_T5_mT6_T7_P12ihipStream_tbENKUlT_T0_E_clISt17integral_constantIbLb0EESX_IbLb1EEEEDaST_SU_EUlST_E_NS1_11comp_targetILNS1_3genE2ELNS1_11target_archE906ELNS1_3gpuE6ELNS1_3repE0EEENS1_30default_config_static_selectorELNS0_4arch9wavefront6targetE1EEEvT1_,comdat
	.protected	_ZN7rocprim17ROCPRIM_400000_NS6detail17trampoline_kernelINS0_14default_configENS1_27scan_by_key_config_selectorIxxEEZZNS1_16scan_by_key_implILNS1_25lookback_scan_determinismE0ELb0ES3_N6thrust23THRUST_200600_302600_NS6detail15normal_iteratorINS9_10device_ptrIxEEEESE_SE_xNS9_4plusIxEE19head_flag_predicatexEE10hipError_tPvRmT2_T3_T4_T5_mT6_T7_P12ihipStream_tbENKUlT_T0_E_clISt17integral_constantIbLb0EESX_IbLb1EEEEDaST_SU_EUlST_E_NS1_11comp_targetILNS1_3genE2ELNS1_11target_archE906ELNS1_3gpuE6ELNS1_3repE0EEENS1_30default_config_static_selectorELNS0_4arch9wavefront6targetE1EEEvT1_ ; -- Begin function _ZN7rocprim17ROCPRIM_400000_NS6detail17trampoline_kernelINS0_14default_configENS1_27scan_by_key_config_selectorIxxEEZZNS1_16scan_by_key_implILNS1_25lookback_scan_determinismE0ELb0ES3_N6thrust23THRUST_200600_302600_NS6detail15normal_iteratorINS9_10device_ptrIxEEEESE_SE_xNS9_4plusIxEE19head_flag_predicatexEE10hipError_tPvRmT2_T3_T4_T5_mT6_T7_P12ihipStream_tbENKUlT_T0_E_clISt17integral_constantIbLb0EESX_IbLb1EEEEDaST_SU_EUlST_E_NS1_11comp_targetILNS1_3genE2ELNS1_11target_archE906ELNS1_3gpuE6ELNS1_3repE0EEENS1_30default_config_static_selectorELNS0_4arch9wavefront6targetE1EEEvT1_
	.globl	_ZN7rocprim17ROCPRIM_400000_NS6detail17trampoline_kernelINS0_14default_configENS1_27scan_by_key_config_selectorIxxEEZZNS1_16scan_by_key_implILNS1_25lookback_scan_determinismE0ELb0ES3_N6thrust23THRUST_200600_302600_NS6detail15normal_iteratorINS9_10device_ptrIxEEEESE_SE_xNS9_4plusIxEE19head_flag_predicatexEE10hipError_tPvRmT2_T3_T4_T5_mT6_T7_P12ihipStream_tbENKUlT_T0_E_clISt17integral_constantIbLb0EESX_IbLb1EEEEDaST_SU_EUlST_E_NS1_11comp_targetILNS1_3genE2ELNS1_11target_archE906ELNS1_3gpuE6ELNS1_3repE0EEENS1_30default_config_static_selectorELNS0_4arch9wavefront6targetE1EEEvT1_
	.p2align	8
	.type	_ZN7rocprim17ROCPRIM_400000_NS6detail17trampoline_kernelINS0_14default_configENS1_27scan_by_key_config_selectorIxxEEZZNS1_16scan_by_key_implILNS1_25lookback_scan_determinismE0ELb0ES3_N6thrust23THRUST_200600_302600_NS6detail15normal_iteratorINS9_10device_ptrIxEEEESE_SE_xNS9_4plusIxEE19head_flag_predicatexEE10hipError_tPvRmT2_T3_T4_T5_mT6_T7_P12ihipStream_tbENKUlT_T0_E_clISt17integral_constantIbLb0EESX_IbLb1EEEEDaST_SU_EUlST_E_NS1_11comp_targetILNS1_3genE2ELNS1_11target_archE906ELNS1_3gpuE6ELNS1_3repE0EEENS1_30default_config_static_selectorELNS0_4arch9wavefront6targetE1EEEvT1_,@function
_ZN7rocprim17ROCPRIM_400000_NS6detail17trampoline_kernelINS0_14default_configENS1_27scan_by_key_config_selectorIxxEEZZNS1_16scan_by_key_implILNS1_25lookback_scan_determinismE0ELb0ES3_N6thrust23THRUST_200600_302600_NS6detail15normal_iteratorINS9_10device_ptrIxEEEESE_SE_xNS9_4plusIxEE19head_flag_predicatexEE10hipError_tPvRmT2_T3_T4_T5_mT6_T7_P12ihipStream_tbENKUlT_T0_E_clISt17integral_constantIbLb0EESX_IbLb1EEEEDaST_SU_EUlST_E_NS1_11comp_targetILNS1_3genE2ELNS1_11target_archE906ELNS1_3gpuE6ELNS1_3repE0EEENS1_30default_config_static_selectorELNS0_4arch9wavefront6targetE1EEEvT1_: ; @_ZN7rocprim17ROCPRIM_400000_NS6detail17trampoline_kernelINS0_14default_configENS1_27scan_by_key_config_selectorIxxEEZZNS1_16scan_by_key_implILNS1_25lookback_scan_determinismE0ELb0ES3_N6thrust23THRUST_200600_302600_NS6detail15normal_iteratorINS9_10device_ptrIxEEEESE_SE_xNS9_4plusIxEE19head_flag_predicatexEE10hipError_tPvRmT2_T3_T4_T5_mT6_T7_P12ihipStream_tbENKUlT_T0_E_clISt17integral_constantIbLb0EESX_IbLb1EEEEDaST_SU_EUlST_E_NS1_11comp_targetILNS1_3genE2ELNS1_11target_archE906ELNS1_3gpuE6ELNS1_3repE0EEENS1_30default_config_static_selectorELNS0_4arch9wavefront6targetE1EEEvT1_
; %bb.0:
	.section	.rodata,"a",@progbits
	.p2align	6, 0x0
	.amdhsa_kernel _ZN7rocprim17ROCPRIM_400000_NS6detail17trampoline_kernelINS0_14default_configENS1_27scan_by_key_config_selectorIxxEEZZNS1_16scan_by_key_implILNS1_25lookback_scan_determinismE0ELb0ES3_N6thrust23THRUST_200600_302600_NS6detail15normal_iteratorINS9_10device_ptrIxEEEESE_SE_xNS9_4plusIxEE19head_flag_predicatexEE10hipError_tPvRmT2_T3_T4_T5_mT6_T7_P12ihipStream_tbENKUlT_T0_E_clISt17integral_constantIbLb0EESX_IbLb1EEEEDaST_SU_EUlST_E_NS1_11comp_targetILNS1_3genE2ELNS1_11target_archE906ELNS1_3gpuE6ELNS1_3repE0EEENS1_30default_config_static_selectorELNS0_4arch9wavefront6targetE1EEEvT1_
		.amdhsa_group_segment_fixed_size 0
		.amdhsa_private_segment_fixed_size 0
		.amdhsa_kernarg_size 136
		.amdhsa_user_sgpr_count 2
		.amdhsa_user_sgpr_dispatch_ptr 0
		.amdhsa_user_sgpr_queue_ptr 0
		.amdhsa_user_sgpr_kernarg_segment_ptr 1
		.amdhsa_user_sgpr_dispatch_id 0
		.amdhsa_user_sgpr_kernarg_preload_length 0
		.amdhsa_user_sgpr_kernarg_preload_offset 0
		.amdhsa_user_sgpr_private_segment_size 0
		.amdhsa_uses_dynamic_stack 0
		.amdhsa_enable_private_segment 0
		.amdhsa_system_sgpr_workgroup_id_x 1
		.amdhsa_system_sgpr_workgroup_id_y 0
		.amdhsa_system_sgpr_workgroup_id_z 0
		.amdhsa_system_sgpr_workgroup_info 0
		.amdhsa_system_vgpr_workitem_id 0
		.amdhsa_next_free_vgpr 1
		.amdhsa_next_free_sgpr 0
		.amdhsa_accum_offset 4
		.amdhsa_reserve_vcc 0
		.amdhsa_float_round_mode_32 0
		.amdhsa_float_round_mode_16_64 0
		.amdhsa_float_denorm_mode_32 3
		.amdhsa_float_denorm_mode_16_64 3
		.amdhsa_dx10_clamp 1
		.amdhsa_ieee_mode 1
		.amdhsa_fp16_overflow 0
		.amdhsa_tg_split 0
		.amdhsa_exception_fp_ieee_invalid_op 0
		.amdhsa_exception_fp_denorm_src 0
		.amdhsa_exception_fp_ieee_div_zero 0
		.amdhsa_exception_fp_ieee_overflow 0
		.amdhsa_exception_fp_ieee_underflow 0
		.amdhsa_exception_fp_ieee_inexact 0
		.amdhsa_exception_int_div_zero 0
	.end_amdhsa_kernel
	.section	.text._ZN7rocprim17ROCPRIM_400000_NS6detail17trampoline_kernelINS0_14default_configENS1_27scan_by_key_config_selectorIxxEEZZNS1_16scan_by_key_implILNS1_25lookback_scan_determinismE0ELb0ES3_N6thrust23THRUST_200600_302600_NS6detail15normal_iteratorINS9_10device_ptrIxEEEESE_SE_xNS9_4plusIxEE19head_flag_predicatexEE10hipError_tPvRmT2_T3_T4_T5_mT6_T7_P12ihipStream_tbENKUlT_T0_E_clISt17integral_constantIbLb0EESX_IbLb1EEEEDaST_SU_EUlST_E_NS1_11comp_targetILNS1_3genE2ELNS1_11target_archE906ELNS1_3gpuE6ELNS1_3repE0EEENS1_30default_config_static_selectorELNS0_4arch9wavefront6targetE1EEEvT1_,"axG",@progbits,_ZN7rocprim17ROCPRIM_400000_NS6detail17trampoline_kernelINS0_14default_configENS1_27scan_by_key_config_selectorIxxEEZZNS1_16scan_by_key_implILNS1_25lookback_scan_determinismE0ELb0ES3_N6thrust23THRUST_200600_302600_NS6detail15normal_iteratorINS9_10device_ptrIxEEEESE_SE_xNS9_4plusIxEE19head_flag_predicatexEE10hipError_tPvRmT2_T3_T4_T5_mT6_T7_P12ihipStream_tbENKUlT_T0_E_clISt17integral_constantIbLb0EESX_IbLb1EEEEDaST_SU_EUlST_E_NS1_11comp_targetILNS1_3genE2ELNS1_11target_archE906ELNS1_3gpuE6ELNS1_3repE0EEENS1_30default_config_static_selectorELNS0_4arch9wavefront6targetE1EEEvT1_,comdat
.Lfunc_end709:
	.size	_ZN7rocprim17ROCPRIM_400000_NS6detail17trampoline_kernelINS0_14default_configENS1_27scan_by_key_config_selectorIxxEEZZNS1_16scan_by_key_implILNS1_25lookback_scan_determinismE0ELb0ES3_N6thrust23THRUST_200600_302600_NS6detail15normal_iteratorINS9_10device_ptrIxEEEESE_SE_xNS9_4plusIxEE19head_flag_predicatexEE10hipError_tPvRmT2_T3_T4_T5_mT6_T7_P12ihipStream_tbENKUlT_T0_E_clISt17integral_constantIbLb0EESX_IbLb1EEEEDaST_SU_EUlST_E_NS1_11comp_targetILNS1_3genE2ELNS1_11target_archE906ELNS1_3gpuE6ELNS1_3repE0EEENS1_30default_config_static_selectorELNS0_4arch9wavefront6targetE1EEEvT1_, .Lfunc_end709-_ZN7rocprim17ROCPRIM_400000_NS6detail17trampoline_kernelINS0_14default_configENS1_27scan_by_key_config_selectorIxxEEZZNS1_16scan_by_key_implILNS1_25lookback_scan_determinismE0ELb0ES3_N6thrust23THRUST_200600_302600_NS6detail15normal_iteratorINS9_10device_ptrIxEEEESE_SE_xNS9_4plusIxEE19head_flag_predicatexEE10hipError_tPvRmT2_T3_T4_T5_mT6_T7_P12ihipStream_tbENKUlT_T0_E_clISt17integral_constantIbLb0EESX_IbLb1EEEEDaST_SU_EUlST_E_NS1_11comp_targetILNS1_3genE2ELNS1_11target_archE906ELNS1_3gpuE6ELNS1_3repE0EEENS1_30default_config_static_selectorELNS0_4arch9wavefront6targetE1EEEvT1_
                                        ; -- End function
	.section	.AMDGPU.csdata,"",@progbits
; Kernel info:
; codeLenInByte = 0
; NumSgprs: 6
; NumVgprs: 0
; NumAgprs: 0
; TotalNumVgprs: 0
; ScratchSize: 0
; MemoryBound: 0
; FloatMode: 240
; IeeeMode: 1
; LDSByteSize: 0 bytes/workgroup (compile time only)
; SGPRBlocks: 0
; VGPRBlocks: 0
; NumSGPRsForWavesPerEU: 6
; NumVGPRsForWavesPerEU: 1
; AccumOffset: 4
; Occupancy: 8
; WaveLimiterHint : 0
; COMPUTE_PGM_RSRC2:SCRATCH_EN: 0
; COMPUTE_PGM_RSRC2:USER_SGPR: 2
; COMPUTE_PGM_RSRC2:TRAP_HANDLER: 0
; COMPUTE_PGM_RSRC2:TGID_X_EN: 1
; COMPUTE_PGM_RSRC2:TGID_Y_EN: 0
; COMPUTE_PGM_RSRC2:TGID_Z_EN: 0
; COMPUTE_PGM_RSRC2:TIDIG_COMP_CNT: 0
; COMPUTE_PGM_RSRC3_GFX90A:ACCUM_OFFSET: 0
; COMPUTE_PGM_RSRC3_GFX90A:TG_SPLIT: 0
	.section	.text._ZN7rocprim17ROCPRIM_400000_NS6detail17trampoline_kernelINS0_14default_configENS1_27scan_by_key_config_selectorIxxEEZZNS1_16scan_by_key_implILNS1_25lookback_scan_determinismE0ELb0ES3_N6thrust23THRUST_200600_302600_NS6detail15normal_iteratorINS9_10device_ptrIxEEEESE_SE_xNS9_4plusIxEE19head_flag_predicatexEE10hipError_tPvRmT2_T3_T4_T5_mT6_T7_P12ihipStream_tbENKUlT_T0_E_clISt17integral_constantIbLb0EESX_IbLb1EEEEDaST_SU_EUlST_E_NS1_11comp_targetILNS1_3genE10ELNS1_11target_archE1200ELNS1_3gpuE4ELNS1_3repE0EEENS1_30default_config_static_selectorELNS0_4arch9wavefront6targetE1EEEvT1_,"axG",@progbits,_ZN7rocprim17ROCPRIM_400000_NS6detail17trampoline_kernelINS0_14default_configENS1_27scan_by_key_config_selectorIxxEEZZNS1_16scan_by_key_implILNS1_25lookback_scan_determinismE0ELb0ES3_N6thrust23THRUST_200600_302600_NS6detail15normal_iteratorINS9_10device_ptrIxEEEESE_SE_xNS9_4plusIxEE19head_flag_predicatexEE10hipError_tPvRmT2_T3_T4_T5_mT6_T7_P12ihipStream_tbENKUlT_T0_E_clISt17integral_constantIbLb0EESX_IbLb1EEEEDaST_SU_EUlST_E_NS1_11comp_targetILNS1_3genE10ELNS1_11target_archE1200ELNS1_3gpuE4ELNS1_3repE0EEENS1_30default_config_static_selectorELNS0_4arch9wavefront6targetE1EEEvT1_,comdat
	.protected	_ZN7rocprim17ROCPRIM_400000_NS6detail17trampoline_kernelINS0_14default_configENS1_27scan_by_key_config_selectorIxxEEZZNS1_16scan_by_key_implILNS1_25lookback_scan_determinismE0ELb0ES3_N6thrust23THRUST_200600_302600_NS6detail15normal_iteratorINS9_10device_ptrIxEEEESE_SE_xNS9_4plusIxEE19head_flag_predicatexEE10hipError_tPvRmT2_T3_T4_T5_mT6_T7_P12ihipStream_tbENKUlT_T0_E_clISt17integral_constantIbLb0EESX_IbLb1EEEEDaST_SU_EUlST_E_NS1_11comp_targetILNS1_3genE10ELNS1_11target_archE1200ELNS1_3gpuE4ELNS1_3repE0EEENS1_30default_config_static_selectorELNS0_4arch9wavefront6targetE1EEEvT1_ ; -- Begin function _ZN7rocprim17ROCPRIM_400000_NS6detail17trampoline_kernelINS0_14default_configENS1_27scan_by_key_config_selectorIxxEEZZNS1_16scan_by_key_implILNS1_25lookback_scan_determinismE0ELb0ES3_N6thrust23THRUST_200600_302600_NS6detail15normal_iteratorINS9_10device_ptrIxEEEESE_SE_xNS9_4plusIxEE19head_flag_predicatexEE10hipError_tPvRmT2_T3_T4_T5_mT6_T7_P12ihipStream_tbENKUlT_T0_E_clISt17integral_constantIbLb0EESX_IbLb1EEEEDaST_SU_EUlST_E_NS1_11comp_targetILNS1_3genE10ELNS1_11target_archE1200ELNS1_3gpuE4ELNS1_3repE0EEENS1_30default_config_static_selectorELNS0_4arch9wavefront6targetE1EEEvT1_
	.globl	_ZN7rocprim17ROCPRIM_400000_NS6detail17trampoline_kernelINS0_14default_configENS1_27scan_by_key_config_selectorIxxEEZZNS1_16scan_by_key_implILNS1_25lookback_scan_determinismE0ELb0ES3_N6thrust23THRUST_200600_302600_NS6detail15normal_iteratorINS9_10device_ptrIxEEEESE_SE_xNS9_4plusIxEE19head_flag_predicatexEE10hipError_tPvRmT2_T3_T4_T5_mT6_T7_P12ihipStream_tbENKUlT_T0_E_clISt17integral_constantIbLb0EESX_IbLb1EEEEDaST_SU_EUlST_E_NS1_11comp_targetILNS1_3genE10ELNS1_11target_archE1200ELNS1_3gpuE4ELNS1_3repE0EEENS1_30default_config_static_selectorELNS0_4arch9wavefront6targetE1EEEvT1_
	.p2align	8
	.type	_ZN7rocprim17ROCPRIM_400000_NS6detail17trampoline_kernelINS0_14default_configENS1_27scan_by_key_config_selectorIxxEEZZNS1_16scan_by_key_implILNS1_25lookback_scan_determinismE0ELb0ES3_N6thrust23THRUST_200600_302600_NS6detail15normal_iteratorINS9_10device_ptrIxEEEESE_SE_xNS9_4plusIxEE19head_flag_predicatexEE10hipError_tPvRmT2_T3_T4_T5_mT6_T7_P12ihipStream_tbENKUlT_T0_E_clISt17integral_constantIbLb0EESX_IbLb1EEEEDaST_SU_EUlST_E_NS1_11comp_targetILNS1_3genE10ELNS1_11target_archE1200ELNS1_3gpuE4ELNS1_3repE0EEENS1_30default_config_static_selectorELNS0_4arch9wavefront6targetE1EEEvT1_,@function
_ZN7rocprim17ROCPRIM_400000_NS6detail17trampoline_kernelINS0_14default_configENS1_27scan_by_key_config_selectorIxxEEZZNS1_16scan_by_key_implILNS1_25lookback_scan_determinismE0ELb0ES3_N6thrust23THRUST_200600_302600_NS6detail15normal_iteratorINS9_10device_ptrIxEEEESE_SE_xNS9_4plusIxEE19head_flag_predicatexEE10hipError_tPvRmT2_T3_T4_T5_mT6_T7_P12ihipStream_tbENKUlT_T0_E_clISt17integral_constantIbLb0EESX_IbLb1EEEEDaST_SU_EUlST_E_NS1_11comp_targetILNS1_3genE10ELNS1_11target_archE1200ELNS1_3gpuE4ELNS1_3repE0EEENS1_30default_config_static_selectorELNS0_4arch9wavefront6targetE1EEEvT1_: ; @_ZN7rocprim17ROCPRIM_400000_NS6detail17trampoline_kernelINS0_14default_configENS1_27scan_by_key_config_selectorIxxEEZZNS1_16scan_by_key_implILNS1_25lookback_scan_determinismE0ELb0ES3_N6thrust23THRUST_200600_302600_NS6detail15normal_iteratorINS9_10device_ptrIxEEEESE_SE_xNS9_4plusIxEE19head_flag_predicatexEE10hipError_tPvRmT2_T3_T4_T5_mT6_T7_P12ihipStream_tbENKUlT_T0_E_clISt17integral_constantIbLb0EESX_IbLb1EEEEDaST_SU_EUlST_E_NS1_11comp_targetILNS1_3genE10ELNS1_11target_archE1200ELNS1_3gpuE4ELNS1_3repE0EEENS1_30default_config_static_selectorELNS0_4arch9wavefront6targetE1EEEvT1_
; %bb.0:
	.section	.rodata,"a",@progbits
	.p2align	6, 0x0
	.amdhsa_kernel _ZN7rocprim17ROCPRIM_400000_NS6detail17trampoline_kernelINS0_14default_configENS1_27scan_by_key_config_selectorIxxEEZZNS1_16scan_by_key_implILNS1_25lookback_scan_determinismE0ELb0ES3_N6thrust23THRUST_200600_302600_NS6detail15normal_iteratorINS9_10device_ptrIxEEEESE_SE_xNS9_4plusIxEE19head_flag_predicatexEE10hipError_tPvRmT2_T3_T4_T5_mT6_T7_P12ihipStream_tbENKUlT_T0_E_clISt17integral_constantIbLb0EESX_IbLb1EEEEDaST_SU_EUlST_E_NS1_11comp_targetILNS1_3genE10ELNS1_11target_archE1200ELNS1_3gpuE4ELNS1_3repE0EEENS1_30default_config_static_selectorELNS0_4arch9wavefront6targetE1EEEvT1_
		.amdhsa_group_segment_fixed_size 0
		.amdhsa_private_segment_fixed_size 0
		.amdhsa_kernarg_size 136
		.amdhsa_user_sgpr_count 2
		.amdhsa_user_sgpr_dispatch_ptr 0
		.amdhsa_user_sgpr_queue_ptr 0
		.amdhsa_user_sgpr_kernarg_segment_ptr 1
		.amdhsa_user_sgpr_dispatch_id 0
		.amdhsa_user_sgpr_kernarg_preload_length 0
		.amdhsa_user_sgpr_kernarg_preload_offset 0
		.amdhsa_user_sgpr_private_segment_size 0
		.amdhsa_uses_dynamic_stack 0
		.amdhsa_enable_private_segment 0
		.amdhsa_system_sgpr_workgroup_id_x 1
		.amdhsa_system_sgpr_workgroup_id_y 0
		.amdhsa_system_sgpr_workgroup_id_z 0
		.amdhsa_system_sgpr_workgroup_info 0
		.amdhsa_system_vgpr_workitem_id 0
		.amdhsa_next_free_vgpr 1
		.amdhsa_next_free_sgpr 0
		.amdhsa_accum_offset 4
		.amdhsa_reserve_vcc 0
		.amdhsa_float_round_mode_32 0
		.amdhsa_float_round_mode_16_64 0
		.amdhsa_float_denorm_mode_32 3
		.amdhsa_float_denorm_mode_16_64 3
		.amdhsa_dx10_clamp 1
		.amdhsa_ieee_mode 1
		.amdhsa_fp16_overflow 0
		.amdhsa_tg_split 0
		.amdhsa_exception_fp_ieee_invalid_op 0
		.amdhsa_exception_fp_denorm_src 0
		.amdhsa_exception_fp_ieee_div_zero 0
		.amdhsa_exception_fp_ieee_overflow 0
		.amdhsa_exception_fp_ieee_underflow 0
		.amdhsa_exception_fp_ieee_inexact 0
		.amdhsa_exception_int_div_zero 0
	.end_amdhsa_kernel
	.section	.text._ZN7rocprim17ROCPRIM_400000_NS6detail17trampoline_kernelINS0_14default_configENS1_27scan_by_key_config_selectorIxxEEZZNS1_16scan_by_key_implILNS1_25lookback_scan_determinismE0ELb0ES3_N6thrust23THRUST_200600_302600_NS6detail15normal_iteratorINS9_10device_ptrIxEEEESE_SE_xNS9_4plusIxEE19head_flag_predicatexEE10hipError_tPvRmT2_T3_T4_T5_mT6_T7_P12ihipStream_tbENKUlT_T0_E_clISt17integral_constantIbLb0EESX_IbLb1EEEEDaST_SU_EUlST_E_NS1_11comp_targetILNS1_3genE10ELNS1_11target_archE1200ELNS1_3gpuE4ELNS1_3repE0EEENS1_30default_config_static_selectorELNS0_4arch9wavefront6targetE1EEEvT1_,"axG",@progbits,_ZN7rocprim17ROCPRIM_400000_NS6detail17trampoline_kernelINS0_14default_configENS1_27scan_by_key_config_selectorIxxEEZZNS1_16scan_by_key_implILNS1_25lookback_scan_determinismE0ELb0ES3_N6thrust23THRUST_200600_302600_NS6detail15normal_iteratorINS9_10device_ptrIxEEEESE_SE_xNS9_4plusIxEE19head_flag_predicatexEE10hipError_tPvRmT2_T3_T4_T5_mT6_T7_P12ihipStream_tbENKUlT_T0_E_clISt17integral_constantIbLb0EESX_IbLb1EEEEDaST_SU_EUlST_E_NS1_11comp_targetILNS1_3genE10ELNS1_11target_archE1200ELNS1_3gpuE4ELNS1_3repE0EEENS1_30default_config_static_selectorELNS0_4arch9wavefront6targetE1EEEvT1_,comdat
.Lfunc_end710:
	.size	_ZN7rocprim17ROCPRIM_400000_NS6detail17trampoline_kernelINS0_14default_configENS1_27scan_by_key_config_selectorIxxEEZZNS1_16scan_by_key_implILNS1_25lookback_scan_determinismE0ELb0ES3_N6thrust23THRUST_200600_302600_NS6detail15normal_iteratorINS9_10device_ptrIxEEEESE_SE_xNS9_4plusIxEE19head_flag_predicatexEE10hipError_tPvRmT2_T3_T4_T5_mT6_T7_P12ihipStream_tbENKUlT_T0_E_clISt17integral_constantIbLb0EESX_IbLb1EEEEDaST_SU_EUlST_E_NS1_11comp_targetILNS1_3genE10ELNS1_11target_archE1200ELNS1_3gpuE4ELNS1_3repE0EEENS1_30default_config_static_selectorELNS0_4arch9wavefront6targetE1EEEvT1_, .Lfunc_end710-_ZN7rocprim17ROCPRIM_400000_NS6detail17trampoline_kernelINS0_14default_configENS1_27scan_by_key_config_selectorIxxEEZZNS1_16scan_by_key_implILNS1_25lookback_scan_determinismE0ELb0ES3_N6thrust23THRUST_200600_302600_NS6detail15normal_iteratorINS9_10device_ptrIxEEEESE_SE_xNS9_4plusIxEE19head_flag_predicatexEE10hipError_tPvRmT2_T3_T4_T5_mT6_T7_P12ihipStream_tbENKUlT_T0_E_clISt17integral_constantIbLb0EESX_IbLb1EEEEDaST_SU_EUlST_E_NS1_11comp_targetILNS1_3genE10ELNS1_11target_archE1200ELNS1_3gpuE4ELNS1_3repE0EEENS1_30default_config_static_selectorELNS0_4arch9wavefront6targetE1EEEvT1_
                                        ; -- End function
	.section	.AMDGPU.csdata,"",@progbits
; Kernel info:
; codeLenInByte = 0
; NumSgprs: 6
; NumVgprs: 0
; NumAgprs: 0
; TotalNumVgprs: 0
; ScratchSize: 0
; MemoryBound: 0
; FloatMode: 240
; IeeeMode: 1
; LDSByteSize: 0 bytes/workgroup (compile time only)
; SGPRBlocks: 0
; VGPRBlocks: 0
; NumSGPRsForWavesPerEU: 6
; NumVGPRsForWavesPerEU: 1
; AccumOffset: 4
; Occupancy: 8
; WaveLimiterHint : 0
; COMPUTE_PGM_RSRC2:SCRATCH_EN: 0
; COMPUTE_PGM_RSRC2:USER_SGPR: 2
; COMPUTE_PGM_RSRC2:TRAP_HANDLER: 0
; COMPUTE_PGM_RSRC2:TGID_X_EN: 1
; COMPUTE_PGM_RSRC2:TGID_Y_EN: 0
; COMPUTE_PGM_RSRC2:TGID_Z_EN: 0
; COMPUTE_PGM_RSRC2:TIDIG_COMP_CNT: 0
; COMPUTE_PGM_RSRC3_GFX90A:ACCUM_OFFSET: 0
; COMPUTE_PGM_RSRC3_GFX90A:TG_SPLIT: 0
	.section	.text._ZN7rocprim17ROCPRIM_400000_NS6detail17trampoline_kernelINS0_14default_configENS1_27scan_by_key_config_selectorIxxEEZZNS1_16scan_by_key_implILNS1_25lookback_scan_determinismE0ELb0ES3_N6thrust23THRUST_200600_302600_NS6detail15normal_iteratorINS9_10device_ptrIxEEEESE_SE_xNS9_4plusIxEE19head_flag_predicatexEE10hipError_tPvRmT2_T3_T4_T5_mT6_T7_P12ihipStream_tbENKUlT_T0_E_clISt17integral_constantIbLb0EESX_IbLb1EEEEDaST_SU_EUlST_E_NS1_11comp_targetILNS1_3genE9ELNS1_11target_archE1100ELNS1_3gpuE3ELNS1_3repE0EEENS1_30default_config_static_selectorELNS0_4arch9wavefront6targetE1EEEvT1_,"axG",@progbits,_ZN7rocprim17ROCPRIM_400000_NS6detail17trampoline_kernelINS0_14default_configENS1_27scan_by_key_config_selectorIxxEEZZNS1_16scan_by_key_implILNS1_25lookback_scan_determinismE0ELb0ES3_N6thrust23THRUST_200600_302600_NS6detail15normal_iteratorINS9_10device_ptrIxEEEESE_SE_xNS9_4plusIxEE19head_flag_predicatexEE10hipError_tPvRmT2_T3_T4_T5_mT6_T7_P12ihipStream_tbENKUlT_T0_E_clISt17integral_constantIbLb0EESX_IbLb1EEEEDaST_SU_EUlST_E_NS1_11comp_targetILNS1_3genE9ELNS1_11target_archE1100ELNS1_3gpuE3ELNS1_3repE0EEENS1_30default_config_static_selectorELNS0_4arch9wavefront6targetE1EEEvT1_,comdat
	.protected	_ZN7rocprim17ROCPRIM_400000_NS6detail17trampoline_kernelINS0_14default_configENS1_27scan_by_key_config_selectorIxxEEZZNS1_16scan_by_key_implILNS1_25lookback_scan_determinismE0ELb0ES3_N6thrust23THRUST_200600_302600_NS6detail15normal_iteratorINS9_10device_ptrIxEEEESE_SE_xNS9_4plusIxEE19head_flag_predicatexEE10hipError_tPvRmT2_T3_T4_T5_mT6_T7_P12ihipStream_tbENKUlT_T0_E_clISt17integral_constantIbLb0EESX_IbLb1EEEEDaST_SU_EUlST_E_NS1_11comp_targetILNS1_3genE9ELNS1_11target_archE1100ELNS1_3gpuE3ELNS1_3repE0EEENS1_30default_config_static_selectorELNS0_4arch9wavefront6targetE1EEEvT1_ ; -- Begin function _ZN7rocprim17ROCPRIM_400000_NS6detail17trampoline_kernelINS0_14default_configENS1_27scan_by_key_config_selectorIxxEEZZNS1_16scan_by_key_implILNS1_25lookback_scan_determinismE0ELb0ES3_N6thrust23THRUST_200600_302600_NS6detail15normal_iteratorINS9_10device_ptrIxEEEESE_SE_xNS9_4plusIxEE19head_flag_predicatexEE10hipError_tPvRmT2_T3_T4_T5_mT6_T7_P12ihipStream_tbENKUlT_T0_E_clISt17integral_constantIbLb0EESX_IbLb1EEEEDaST_SU_EUlST_E_NS1_11comp_targetILNS1_3genE9ELNS1_11target_archE1100ELNS1_3gpuE3ELNS1_3repE0EEENS1_30default_config_static_selectorELNS0_4arch9wavefront6targetE1EEEvT1_
	.globl	_ZN7rocprim17ROCPRIM_400000_NS6detail17trampoline_kernelINS0_14default_configENS1_27scan_by_key_config_selectorIxxEEZZNS1_16scan_by_key_implILNS1_25lookback_scan_determinismE0ELb0ES3_N6thrust23THRUST_200600_302600_NS6detail15normal_iteratorINS9_10device_ptrIxEEEESE_SE_xNS9_4plusIxEE19head_flag_predicatexEE10hipError_tPvRmT2_T3_T4_T5_mT6_T7_P12ihipStream_tbENKUlT_T0_E_clISt17integral_constantIbLb0EESX_IbLb1EEEEDaST_SU_EUlST_E_NS1_11comp_targetILNS1_3genE9ELNS1_11target_archE1100ELNS1_3gpuE3ELNS1_3repE0EEENS1_30default_config_static_selectorELNS0_4arch9wavefront6targetE1EEEvT1_
	.p2align	8
	.type	_ZN7rocprim17ROCPRIM_400000_NS6detail17trampoline_kernelINS0_14default_configENS1_27scan_by_key_config_selectorIxxEEZZNS1_16scan_by_key_implILNS1_25lookback_scan_determinismE0ELb0ES3_N6thrust23THRUST_200600_302600_NS6detail15normal_iteratorINS9_10device_ptrIxEEEESE_SE_xNS9_4plusIxEE19head_flag_predicatexEE10hipError_tPvRmT2_T3_T4_T5_mT6_T7_P12ihipStream_tbENKUlT_T0_E_clISt17integral_constantIbLb0EESX_IbLb1EEEEDaST_SU_EUlST_E_NS1_11comp_targetILNS1_3genE9ELNS1_11target_archE1100ELNS1_3gpuE3ELNS1_3repE0EEENS1_30default_config_static_selectorELNS0_4arch9wavefront6targetE1EEEvT1_,@function
_ZN7rocprim17ROCPRIM_400000_NS6detail17trampoline_kernelINS0_14default_configENS1_27scan_by_key_config_selectorIxxEEZZNS1_16scan_by_key_implILNS1_25lookback_scan_determinismE0ELb0ES3_N6thrust23THRUST_200600_302600_NS6detail15normal_iteratorINS9_10device_ptrIxEEEESE_SE_xNS9_4plusIxEE19head_flag_predicatexEE10hipError_tPvRmT2_T3_T4_T5_mT6_T7_P12ihipStream_tbENKUlT_T0_E_clISt17integral_constantIbLb0EESX_IbLb1EEEEDaST_SU_EUlST_E_NS1_11comp_targetILNS1_3genE9ELNS1_11target_archE1100ELNS1_3gpuE3ELNS1_3repE0EEENS1_30default_config_static_selectorELNS0_4arch9wavefront6targetE1EEEvT1_: ; @_ZN7rocprim17ROCPRIM_400000_NS6detail17trampoline_kernelINS0_14default_configENS1_27scan_by_key_config_selectorIxxEEZZNS1_16scan_by_key_implILNS1_25lookback_scan_determinismE0ELb0ES3_N6thrust23THRUST_200600_302600_NS6detail15normal_iteratorINS9_10device_ptrIxEEEESE_SE_xNS9_4plusIxEE19head_flag_predicatexEE10hipError_tPvRmT2_T3_T4_T5_mT6_T7_P12ihipStream_tbENKUlT_T0_E_clISt17integral_constantIbLb0EESX_IbLb1EEEEDaST_SU_EUlST_E_NS1_11comp_targetILNS1_3genE9ELNS1_11target_archE1100ELNS1_3gpuE3ELNS1_3repE0EEENS1_30default_config_static_selectorELNS0_4arch9wavefront6targetE1EEEvT1_
; %bb.0:
	.section	.rodata,"a",@progbits
	.p2align	6, 0x0
	.amdhsa_kernel _ZN7rocprim17ROCPRIM_400000_NS6detail17trampoline_kernelINS0_14default_configENS1_27scan_by_key_config_selectorIxxEEZZNS1_16scan_by_key_implILNS1_25lookback_scan_determinismE0ELb0ES3_N6thrust23THRUST_200600_302600_NS6detail15normal_iteratorINS9_10device_ptrIxEEEESE_SE_xNS9_4plusIxEE19head_flag_predicatexEE10hipError_tPvRmT2_T3_T4_T5_mT6_T7_P12ihipStream_tbENKUlT_T0_E_clISt17integral_constantIbLb0EESX_IbLb1EEEEDaST_SU_EUlST_E_NS1_11comp_targetILNS1_3genE9ELNS1_11target_archE1100ELNS1_3gpuE3ELNS1_3repE0EEENS1_30default_config_static_selectorELNS0_4arch9wavefront6targetE1EEEvT1_
		.amdhsa_group_segment_fixed_size 0
		.amdhsa_private_segment_fixed_size 0
		.amdhsa_kernarg_size 136
		.amdhsa_user_sgpr_count 2
		.amdhsa_user_sgpr_dispatch_ptr 0
		.amdhsa_user_sgpr_queue_ptr 0
		.amdhsa_user_sgpr_kernarg_segment_ptr 1
		.amdhsa_user_sgpr_dispatch_id 0
		.amdhsa_user_sgpr_kernarg_preload_length 0
		.amdhsa_user_sgpr_kernarg_preload_offset 0
		.amdhsa_user_sgpr_private_segment_size 0
		.amdhsa_uses_dynamic_stack 0
		.amdhsa_enable_private_segment 0
		.amdhsa_system_sgpr_workgroup_id_x 1
		.amdhsa_system_sgpr_workgroup_id_y 0
		.amdhsa_system_sgpr_workgroup_id_z 0
		.amdhsa_system_sgpr_workgroup_info 0
		.amdhsa_system_vgpr_workitem_id 0
		.amdhsa_next_free_vgpr 1
		.amdhsa_next_free_sgpr 0
		.amdhsa_accum_offset 4
		.amdhsa_reserve_vcc 0
		.amdhsa_float_round_mode_32 0
		.amdhsa_float_round_mode_16_64 0
		.amdhsa_float_denorm_mode_32 3
		.amdhsa_float_denorm_mode_16_64 3
		.amdhsa_dx10_clamp 1
		.amdhsa_ieee_mode 1
		.amdhsa_fp16_overflow 0
		.amdhsa_tg_split 0
		.amdhsa_exception_fp_ieee_invalid_op 0
		.amdhsa_exception_fp_denorm_src 0
		.amdhsa_exception_fp_ieee_div_zero 0
		.amdhsa_exception_fp_ieee_overflow 0
		.amdhsa_exception_fp_ieee_underflow 0
		.amdhsa_exception_fp_ieee_inexact 0
		.amdhsa_exception_int_div_zero 0
	.end_amdhsa_kernel
	.section	.text._ZN7rocprim17ROCPRIM_400000_NS6detail17trampoline_kernelINS0_14default_configENS1_27scan_by_key_config_selectorIxxEEZZNS1_16scan_by_key_implILNS1_25lookback_scan_determinismE0ELb0ES3_N6thrust23THRUST_200600_302600_NS6detail15normal_iteratorINS9_10device_ptrIxEEEESE_SE_xNS9_4plusIxEE19head_flag_predicatexEE10hipError_tPvRmT2_T3_T4_T5_mT6_T7_P12ihipStream_tbENKUlT_T0_E_clISt17integral_constantIbLb0EESX_IbLb1EEEEDaST_SU_EUlST_E_NS1_11comp_targetILNS1_3genE9ELNS1_11target_archE1100ELNS1_3gpuE3ELNS1_3repE0EEENS1_30default_config_static_selectorELNS0_4arch9wavefront6targetE1EEEvT1_,"axG",@progbits,_ZN7rocprim17ROCPRIM_400000_NS6detail17trampoline_kernelINS0_14default_configENS1_27scan_by_key_config_selectorIxxEEZZNS1_16scan_by_key_implILNS1_25lookback_scan_determinismE0ELb0ES3_N6thrust23THRUST_200600_302600_NS6detail15normal_iteratorINS9_10device_ptrIxEEEESE_SE_xNS9_4plusIxEE19head_flag_predicatexEE10hipError_tPvRmT2_T3_T4_T5_mT6_T7_P12ihipStream_tbENKUlT_T0_E_clISt17integral_constantIbLb0EESX_IbLb1EEEEDaST_SU_EUlST_E_NS1_11comp_targetILNS1_3genE9ELNS1_11target_archE1100ELNS1_3gpuE3ELNS1_3repE0EEENS1_30default_config_static_selectorELNS0_4arch9wavefront6targetE1EEEvT1_,comdat
.Lfunc_end711:
	.size	_ZN7rocprim17ROCPRIM_400000_NS6detail17trampoline_kernelINS0_14default_configENS1_27scan_by_key_config_selectorIxxEEZZNS1_16scan_by_key_implILNS1_25lookback_scan_determinismE0ELb0ES3_N6thrust23THRUST_200600_302600_NS6detail15normal_iteratorINS9_10device_ptrIxEEEESE_SE_xNS9_4plusIxEE19head_flag_predicatexEE10hipError_tPvRmT2_T3_T4_T5_mT6_T7_P12ihipStream_tbENKUlT_T0_E_clISt17integral_constantIbLb0EESX_IbLb1EEEEDaST_SU_EUlST_E_NS1_11comp_targetILNS1_3genE9ELNS1_11target_archE1100ELNS1_3gpuE3ELNS1_3repE0EEENS1_30default_config_static_selectorELNS0_4arch9wavefront6targetE1EEEvT1_, .Lfunc_end711-_ZN7rocprim17ROCPRIM_400000_NS6detail17trampoline_kernelINS0_14default_configENS1_27scan_by_key_config_selectorIxxEEZZNS1_16scan_by_key_implILNS1_25lookback_scan_determinismE0ELb0ES3_N6thrust23THRUST_200600_302600_NS6detail15normal_iteratorINS9_10device_ptrIxEEEESE_SE_xNS9_4plusIxEE19head_flag_predicatexEE10hipError_tPvRmT2_T3_T4_T5_mT6_T7_P12ihipStream_tbENKUlT_T0_E_clISt17integral_constantIbLb0EESX_IbLb1EEEEDaST_SU_EUlST_E_NS1_11comp_targetILNS1_3genE9ELNS1_11target_archE1100ELNS1_3gpuE3ELNS1_3repE0EEENS1_30default_config_static_selectorELNS0_4arch9wavefront6targetE1EEEvT1_
                                        ; -- End function
	.section	.AMDGPU.csdata,"",@progbits
; Kernel info:
; codeLenInByte = 0
; NumSgprs: 6
; NumVgprs: 0
; NumAgprs: 0
; TotalNumVgprs: 0
; ScratchSize: 0
; MemoryBound: 0
; FloatMode: 240
; IeeeMode: 1
; LDSByteSize: 0 bytes/workgroup (compile time only)
; SGPRBlocks: 0
; VGPRBlocks: 0
; NumSGPRsForWavesPerEU: 6
; NumVGPRsForWavesPerEU: 1
; AccumOffset: 4
; Occupancy: 8
; WaveLimiterHint : 0
; COMPUTE_PGM_RSRC2:SCRATCH_EN: 0
; COMPUTE_PGM_RSRC2:USER_SGPR: 2
; COMPUTE_PGM_RSRC2:TRAP_HANDLER: 0
; COMPUTE_PGM_RSRC2:TGID_X_EN: 1
; COMPUTE_PGM_RSRC2:TGID_Y_EN: 0
; COMPUTE_PGM_RSRC2:TGID_Z_EN: 0
; COMPUTE_PGM_RSRC2:TIDIG_COMP_CNT: 0
; COMPUTE_PGM_RSRC3_GFX90A:ACCUM_OFFSET: 0
; COMPUTE_PGM_RSRC3_GFX90A:TG_SPLIT: 0
	.section	.text._ZN7rocprim17ROCPRIM_400000_NS6detail17trampoline_kernelINS0_14default_configENS1_27scan_by_key_config_selectorIxxEEZZNS1_16scan_by_key_implILNS1_25lookback_scan_determinismE0ELb0ES3_N6thrust23THRUST_200600_302600_NS6detail15normal_iteratorINS9_10device_ptrIxEEEESE_SE_xNS9_4plusIxEE19head_flag_predicatexEE10hipError_tPvRmT2_T3_T4_T5_mT6_T7_P12ihipStream_tbENKUlT_T0_E_clISt17integral_constantIbLb0EESX_IbLb1EEEEDaST_SU_EUlST_E_NS1_11comp_targetILNS1_3genE8ELNS1_11target_archE1030ELNS1_3gpuE2ELNS1_3repE0EEENS1_30default_config_static_selectorELNS0_4arch9wavefront6targetE1EEEvT1_,"axG",@progbits,_ZN7rocprim17ROCPRIM_400000_NS6detail17trampoline_kernelINS0_14default_configENS1_27scan_by_key_config_selectorIxxEEZZNS1_16scan_by_key_implILNS1_25lookback_scan_determinismE0ELb0ES3_N6thrust23THRUST_200600_302600_NS6detail15normal_iteratorINS9_10device_ptrIxEEEESE_SE_xNS9_4plusIxEE19head_flag_predicatexEE10hipError_tPvRmT2_T3_T4_T5_mT6_T7_P12ihipStream_tbENKUlT_T0_E_clISt17integral_constantIbLb0EESX_IbLb1EEEEDaST_SU_EUlST_E_NS1_11comp_targetILNS1_3genE8ELNS1_11target_archE1030ELNS1_3gpuE2ELNS1_3repE0EEENS1_30default_config_static_selectorELNS0_4arch9wavefront6targetE1EEEvT1_,comdat
	.protected	_ZN7rocprim17ROCPRIM_400000_NS6detail17trampoline_kernelINS0_14default_configENS1_27scan_by_key_config_selectorIxxEEZZNS1_16scan_by_key_implILNS1_25lookback_scan_determinismE0ELb0ES3_N6thrust23THRUST_200600_302600_NS6detail15normal_iteratorINS9_10device_ptrIxEEEESE_SE_xNS9_4plusIxEE19head_flag_predicatexEE10hipError_tPvRmT2_T3_T4_T5_mT6_T7_P12ihipStream_tbENKUlT_T0_E_clISt17integral_constantIbLb0EESX_IbLb1EEEEDaST_SU_EUlST_E_NS1_11comp_targetILNS1_3genE8ELNS1_11target_archE1030ELNS1_3gpuE2ELNS1_3repE0EEENS1_30default_config_static_selectorELNS0_4arch9wavefront6targetE1EEEvT1_ ; -- Begin function _ZN7rocprim17ROCPRIM_400000_NS6detail17trampoline_kernelINS0_14default_configENS1_27scan_by_key_config_selectorIxxEEZZNS1_16scan_by_key_implILNS1_25lookback_scan_determinismE0ELb0ES3_N6thrust23THRUST_200600_302600_NS6detail15normal_iteratorINS9_10device_ptrIxEEEESE_SE_xNS9_4plusIxEE19head_flag_predicatexEE10hipError_tPvRmT2_T3_T4_T5_mT6_T7_P12ihipStream_tbENKUlT_T0_E_clISt17integral_constantIbLb0EESX_IbLb1EEEEDaST_SU_EUlST_E_NS1_11comp_targetILNS1_3genE8ELNS1_11target_archE1030ELNS1_3gpuE2ELNS1_3repE0EEENS1_30default_config_static_selectorELNS0_4arch9wavefront6targetE1EEEvT1_
	.globl	_ZN7rocprim17ROCPRIM_400000_NS6detail17trampoline_kernelINS0_14default_configENS1_27scan_by_key_config_selectorIxxEEZZNS1_16scan_by_key_implILNS1_25lookback_scan_determinismE0ELb0ES3_N6thrust23THRUST_200600_302600_NS6detail15normal_iteratorINS9_10device_ptrIxEEEESE_SE_xNS9_4plusIxEE19head_flag_predicatexEE10hipError_tPvRmT2_T3_T4_T5_mT6_T7_P12ihipStream_tbENKUlT_T0_E_clISt17integral_constantIbLb0EESX_IbLb1EEEEDaST_SU_EUlST_E_NS1_11comp_targetILNS1_3genE8ELNS1_11target_archE1030ELNS1_3gpuE2ELNS1_3repE0EEENS1_30default_config_static_selectorELNS0_4arch9wavefront6targetE1EEEvT1_
	.p2align	8
	.type	_ZN7rocprim17ROCPRIM_400000_NS6detail17trampoline_kernelINS0_14default_configENS1_27scan_by_key_config_selectorIxxEEZZNS1_16scan_by_key_implILNS1_25lookback_scan_determinismE0ELb0ES3_N6thrust23THRUST_200600_302600_NS6detail15normal_iteratorINS9_10device_ptrIxEEEESE_SE_xNS9_4plusIxEE19head_flag_predicatexEE10hipError_tPvRmT2_T3_T4_T5_mT6_T7_P12ihipStream_tbENKUlT_T0_E_clISt17integral_constantIbLb0EESX_IbLb1EEEEDaST_SU_EUlST_E_NS1_11comp_targetILNS1_3genE8ELNS1_11target_archE1030ELNS1_3gpuE2ELNS1_3repE0EEENS1_30default_config_static_selectorELNS0_4arch9wavefront6targetE1EEEvT1_,@function
_ZN7rocprim17ROCPRIM_400000_NS6detail17trampoline_kernelINS0_14default_configENS1_27scan_by_key_config_selectorIxxEEZZNS1_16scan_by_key_implILNS1_25lookback_scan_determinismE0ELb0ES3_N6thrust23THRUST_200600_302600_NS6detail15normal_iteratorINS9_10device_ptrIxEEEESE_SE_xNS9_4plusIxEE19head_flag_predicatexEE10hipError_tPvRmT2_T3_T4_T5_mT6_T7_P12ihipStream_tbENKUlT_T0_E_clISt17integral_constantIbLb0EESX_IbLb1EEEEDaST_SU_EUlST_E_NS1_11comp_targetILNS1_3genE8ELNS1_11target_archE1030ELNS1_3gpuE2ELNS1_3repE0EEENS1_30default_config_static_selectorELNS0_4arch9wavefront6targetE1EEEvT1_: ; @_ZN7rocprim17ROCPRIM_400000_NS6detail17trampoline_kernelINS0_14default_configENS1_27scan_by_key_config_selectorIxxEEZZNS1_16scan_by_key_implILNS1_25lookback_scan_determinismE0ELb0ES3_N6thrust23THRUST_200600_302600_NS6detail15normal_iteratorINS9_10device_ptrIxEEEESE_SE_xNS9_4plusIxEE19head_flag_predicatexEE10hipError_tPvRmT2_T3_T4_T5_mT6_T7_P12ihipStream_tbENKUlT_T0_E_clISt17integral_constantIbLb0EESX_IbLb1EEEEDaST_SU_EUlST_E_NS1_11comp_targetILNS1_3genE8ELNS1_11target_archE1030ELNS1_3gpuE2ELNS1_3repE0EEENS1_30default_config_static_selectorELNS0_4arch9wavefront6targetE1EEEvT1_
; %bb.0:
	.section	.rodata,"a",@progbits
	.p2align	6, 0x0
	.amdhsa_kernel _ZN7rocprim17ROCPRIM_400000_NS6detail17trampoline_kernelINS0_14default_configENS1_27scan_by_key_config_selectorIxxEEZZNS1_16scan_by_key_implILNS1_25lookback_scan_determinismE0ELb0ES3_N6thrust23THRUST_200600_302600_NS6detail15normal_iteratorINS9_10device_ptrIxEEEESE_SE_xNS9_4plusIxEE19head_flag_predicatexEE10hipError_tPvRmT2_T3_T4_T5_mT6_T7_P12ihipStream_tbENKUlT_T0_E_clISt17integral_constantIbLb0EESX_IbLb1EEEEDaST_SU_EUlST_E_NS1_11comp_targetILNS1_3genE8ELNS1_11target_archE1030ELNS1_3gpuE2ELNS1_3repE0EEENS1_30default_config_static_selectorELNS0_4arch9wavefront6targetE1EEEvT1_
		.amdhsa_group_segment_fixed_size 0
		.amdhsa_private_segment_fixed_size 0
		.amdhsa_kernarg_size 136
		.amdhsa_user_sgpr_count 2
		.amdhsa_user_sgpr_dispatch_ptr 0
		.amdhsa_user_sgpr_queue_ptr 0
		.amdhsa_user_sgpr_kernarg_segment_ptr 1
		.amdhsa_user_sgpr_dispatch_id 0
		.amdhsa_user_sgpr_kernarg_preload_length 0
		.amdhsa_user_sgpr_kernarg_preload_offset 0
		.amdhsa_user_sgpr_private_segment_size 0
		.amdhsa_uses_dynamic_stack 0
		.amdhsa_enable_private_segment 0
		.amdhsa_system_sgpr_workgroup_id_x 1
		.amdhsa_system_sgpr_workgroup_id_y 0
		.amdhsa_system_sgpr_workgroup_id_z 0
		.amdhsa_system_sgpr_workgroup_info 0
		.amdhsa_system_vgpr_workitem_id 0
		.amdhsa_next_free_vgpr 1
		.amdhsa_next_free_sgpr 0
		.amdhsa_accum_offset 4
		.amdhsa_reserve_vcc 0
		.amdhsa_float_round_mode_32 0
		.amdhsa_float_round_mode_16_64 0
		.amdhsa_float_denorm_mode_32 3
		.amdhsa_float_denorm_mode_16_64 3
		.amdhsa_dx10_clamp 1
		.amdhsa_ieee_mode 1
		.amdhsa_fp16_overflow 0
		.amdhsa_tg_split 0
		.amdhsa_exception_fp_ieee_invalid_op 0
		.amdhsa_exception_fp_denorm_src 0
		.amdhsa_exception_fp_ieee_div_zero 0
		.amdhsa_exception_fp_ieee_overflow 0
		.amdhsa_exception_fp_ieee_underflow 0
		.amdhsa_exception_fp_ieee_inexact 0
		.amdhsa_exception_int_div_zero 0
	.end_amdhsa_kernel
	.section	.text._ZN7rocprim17ROCPRIM_400000_NS6detail17trampoline_kernelINS0_14default_configENS1_27scan_by_key_config_selectorIxxEEZZNS1_16scan_by_key_implILNS1_25lookback_scan_determinismE0ELb0ES3_N6thrust23THRUST_200600_302600_NS6detail15normal_iteratorINS9_10device_ptrIxEEEESE_SE_xNS9_4plusIxEE19head_flag_predicatexEE10hipError_tPvRmT2_T3_T4_T5_mT6_T7_P12ihipStream_tbENKUlT_T0_E_clISt17integral_constantIbLb0EESX_IbLb1EEEEDaST_SU_EUlST_E_NS1_11comp_targetILNS1_3genE8ELNS1_11target_archE1030ELNS1_3gpuE2ELNS1_3repE0EEENS1_30default_config_static_selectorELNS0_4arch9wavefront6targetE1EEEvT1_,"axG",@progbits,_ZN7rocprim17ROCPRIM_400000_NS6detail17trampoline_kernelINS0_14default_configENS1_27scan_by_key_config_selectorIxxEEZZNS1_16scan_by_key_implILNS1_25lookback_scan_determinismE0ELb0ES3_N6thrust23THRUST_200600_302600_NS6detail15normal_iteratorINS9_10device_ptrIxEEEESE_SE_xNS9_4plusIxEE19head_flag_predicatexEE10hipError_tPvRmT2_T3_T4_T5_mT6_T7_P12ihipStream_tbENKUlT_T0_E_clISt17integral_constantIbLb0EESX_IbLb1EEEEDaST_SU_EUlST_E_NS1_11comp_targetILNS1_3genE8ELNS1_11target_archE1030ELNS1_3gpuE2ELNS1_3repE0EEENS1_30default_config_static_selectorELNS0_4arch9wavefront6targetE1EEEvT1_,comdat
.Lfunc_end712:
	.size	_ZN7rocprim17ROCPRIM_400000_NS6detail17trampoline_kernelINS0_14default_configENS1_27scan_by_key_config_selectorIxxEEZZNS1_16scan_by_key_implILNS1_25lookback_scan_determinismE0ELb0ES3_N6thrust23THRUST_200600_302600_NS6detail15normal_iteratorINS9_10device_ptrIxEEEESE_SE_xNS9_4plusIxEE19head_flag_predicatexEE10hipError_tPvRmT2_T3_T4_T5_mT6_T7_P12ihipStream_tbENKUlT_T0_E_clISt17integral_constantIbLb0EESX_IbLb1EEEEDaST_SU_EUlST_E_NS1_11comp_targetILNS1_3genE8ELNS1_11target_archE1030ELNS1_3gpuE2ELNS1_3repE0EEENS1_30default_config_static_selectorELNS0_4arch9wavefront6targetE1EEEvT1_, .Lfunc_end712-_ZN7rocprim17ROCPRIM_400000_NS6detail17trampoline_kernelINS0_14default_configENS1_27scan_by_key_config_selectorIxxEEZZNS1_16scan_by_key_implILNS1_25lookback_scan_determinismE0ELb0ES3_N6thrust23THRUST_200600_302600_NS6detail15normal_iteratorINS9_10device_ptrIxEEEESE_SE_xNS9_4plusIxEE19head_flag_predicatexEE10hipError_tPvRmT2_T3_T4_T5_mT6_T7_P12ihipStream_tbENKUlT_T0_E_clISt17integral_constantIbLb0EESX_IbLb1EEEEDaST_SU_EUlST_E_NS1_11comp_targetILNS1_3genE8ELNS1_11target_archE1030ELNS1_3gpuE2ELNS1_3repE0EEENS1_30default_config_static_selectorELNS0_4arch9wavefront6targetE1EEEvT1_
                                        ; -- End function
	.section	.AMDGPU.csdata,"",@progbits
; Kernel info:
; codeLenInByte = 0
; NumSgprs: 6
; NumVgprs: 0
; NumAgprs: 0
; TotalNumVgprs: 0
; ScratchSize: 0
; MemoryBound: 0
; FloatMode: 240
; IeeeMode: 1
; LDSByteSize: 0 bytes/workgroup (compile time only)
; SGPRBlocks: 0
; VGPRBlocks: 0
; NumSGPRsForWavesPerEU: 6
; NumVGPRsForWavesPerEU: 1
; AccumOffset: 4
; Occupancy: 8
; WaveLimiterHint : 0
; COMPUTE_PGM_RSRC2:SCRATCH_EN: 0
; COMPUTE_PGM_RSRC2:USER_SGPR: 2
; COMPUTE_PGM_RSRC2:TRAP_HANDLER: 0
; COMPUTE_PGM_RSRC2:TGID_X_EN: 1
; COMPUTE_PGM_RSRC2:TGID_Y_EN: 0
; COMPUTE_PGM_RSRC2:TGID_Z_EN: 0
; COMPUTE_PGM_RSRC2:TIDIG_COMP_CNT: 0
; COMPUTE_PGM_RSRC3_GFX90A:ACCUM_OFFSET: 0
; COMPUTE_PGM_RSRC3_GFX90A:TG_SPLIT: 0
	.section	.text._ZN7rocprim17ROCPRIM_400000_NS6detail17trampoline_kernelINS0_14default_configENS1_27scan_by_key_config_selectorIxxEEZZNS1_16scan_by_key_implILNS1_25lookback_scan_determinismE0ELb1ES3_N6thrust23THRUST_200600_302600_NS6detail15normal_iteratorINS9_10device_ptrIxEEEESE_SE_xNS9_4plusIxEE19head_flag_predicatexEE10hipError_tPvRmT2_T3_T4_T5_mT6_T7_P12ihipStream_tbENKUlT_T0_E_clISt17integral_constantIbLb0EESY_EEDaST_SU_EUlST_E_NS1_11comp_targetILNS1_3genE0ELNS1_11target_archE4294967295ELNS1_3gpuE0ELNS1_3repE0EEENS1_30default_config_static_selectorELNS0_4arch9wavefront6targetE1EEEvT1_,"axG",@progbits,_ZN7rocprim17ROCPRIM_400000_NS6detail17trampoline_kernelINS0_14default_configENS1_27scan_by_key_config_selectorIxxEEZZNS1_16scan_by_key_implILNS1_25lookback_scan_determinismE0ELb1ES3_N6thrust23THRUST_200600_302600_NS6detail15normal_iteratorINS9_10device_ptrIxEEEESE_SE_xNS9_4plusIxEE19head_flag_predicatexEE10hipError_tPvRmT2_T3_T4_T5_mT6_T7_P12ihipStream_tbENKUlT_T0_E_clISt17integral_constantIbLb0EESY_EEDaST_SU_EUlST_E_NS1_11comp_targetILNS1_3genE0ELNS1_11target_archE4294967295ELNS1_3gpuE0ELNS1_3repE0EEENS1_30default_config_static_selectorELNS0_4arch9wavefront6targetE1EEEvT1_,comdat
	.protected	_ZN7rocprim17ROCPRIM_400000_NS6detail17trampoline_kernelINS0_14default_configENS1_27scan_by_key_config_selectorIxxEEZZNS1_16scan_by_key_implILNS1_25lookback_scan_determinismE0ELb1ES3_N6thrust23THRUST_200600_302600_NS6detail15normal_iteratorINS9_10device_ptrIxEEEESE_SE_xNS9_4plusIxEE19head_flag_predicatexEE10hipError_tPvRmT2_T3_T4_T5_mT6_T7_P12ihipStream_tbENKUlT_T0_E_clISt17integral_constantIbLb0EESY_EEDaST_SU_EUlST_E_NS1_11comp_targetILNS1_3genE0ELNS1_11target_archE4294967295ELNS1_3gpuE0ELNS1_3repE0EEENS1_30default_config_static_selectorELNS0_4arch9wavefront6targetE1EEEvT1_ ; -- Begin function _ZN7rocprim17ROCPRIM_400000_NS6detail17trampoline_kernelINS0_14default_configENS1_27scan_by_key_config_selectorIxxEEZZNS1_16scan_by_key_implILNS1_25lookback_scan_determinismE0ELb1ES3_N6thrust23THRUST_200600_302600_NS6detail15normal_iteratorINS9_10device_ptrIxEEEESE_SE_xNS9_4plusIxEE19head_flag_predicatexEE10hipError_tPvRmT2_T3_T4_T5_mT6_T7_P12ihipStream_tbENKUlT_T0_E_clISt17integral_constantIbLb0EESY_EEDaST_SU_EUlST_E_NS1_11comp_targetILNS1_3genE0ELNS1_11target_archE4294967295ELNS1_3gpuE0ELNS1_3repE0EEENS1_30default_config_static_selectorELNS0_4arch9wavefront6targetE1EEEvT1_
	.globl	_ZN7rocprim17ROCPRIM_400000_NS6detail17trampoline_kernelINS0_14default_configENS1_27scan_by_key_config_selectorIxxEEZZNS1_16scan_by_key_implILNS1_25lookback_scan_determinismE0ELb1ES3_N6thrust23THRUST_200600_302600_NS6detail15normal_iteratorINS9_10device_ptrIxEEEESE_SE_xNS9_4plusIxEE19head_flag_predicatexEE10hipError_tPvRmT2_T3_T4_T5_mT6_T7_P12ihipStream_tbENKUlT_T0_E_clISt17integral_constantIbLb0EESY_EEDaST_SU_EUlST_E_NS1_11comp_targetILNS1_3genE0ELNS1_11target_archE4294967295ELNS1_3gpuE0ELNS1_3repE0EEENS1_30default_config_static_selectorELNS0_4arch9wavefront6targetE1EEEvT1_
	.p2align	8
	.type	_ZN7rocprim17ROCPRIM_400000_NS6detail17trampoline_kernelINS0_14default_configENS1_27scan_by_key_config_selectorIxxEEZZNS1_16scan_by_key_implILNS1_25lookback_scan_determinismE0ELb1ES3_N6thrust23THRUST_200600_302600_NS6detail15normal_iteratorINS9_10device_ptrIxEEEESE_SE_xNS9_4plusIxEE19head_flag_predicatexEE10hipError_tPvRmT2_T3_T4_T5_mT6_T7_P12ihipStream_tbENKUlT_T0_E_clISt17integral_constantIbLb0EESY_EEDaST_SU_EUlST_E_NS1_11comp_targetILNS1_3genE0ELNS1_11target_archE4294967295ELNS1_3gpuE0ELNS1_3repE0EEENS1_30default_config_static_selectorELNS0_4arch9wavefront6targetE1EEEvT1_,@function
_ZN7rocprim17ROCPRIM_400000_NS6detail17trampoline_kernelINS0_14default_configENS1_27scan_by_key_config_selectorIxxEEZZNS1_16scan_by_key_implILNS1_25lookback_scan_determinismE0ELb1ES3_N6thrust23THRUST_200600_302600_NS6detail15normal_iteratorINS9_10device_ptrIxEEEESE_SE_xNS9_4plusIxEE19head_flag_predicatexEE10hipError_tPvRmT2_T3_T4_T5_mT6_T7_P12ihipStream_tbENKUlT_T0_E_clISt17integral_constantIbLb0EESY_EEDaST_SU_EUlST_E_NS1_11comp_targetILNS1_3genE0ELNS1_11target_archE4294967295ELNS1_3gpuE0ELNS1_3repE0EEENS1_30default_config_static_selectorELNS0_4arch9wavefront6targetE1EEEvT1_: ; @_ZN7rocprim17ROCPRIM_400000_NS6detail17trampoline_kernelINS0_14default_configENS1_27scan_by_key_config_selectorIxxEEZZNS1_16scan_by_key_implILNS1_25lookback_scan_determinismE0ELb1ES3_N6thrust23THRUST_200600_302600_NS6detail15normal_iteratorINS9_10device_ptrIxEEEESE_SE_xNS9_4plusIxEE19head_flag_predicatexEE10hipError_tPvRmT2_T3_T4_T5_mT6_T7_P12ihipStream_tbENKUlT_T0_E_clISt17integral_constantIbLb0EESY_EEDaST_SU_EUlST_E_NS1_11comp_targetILNS1_3genE0ELNS1_11target_archE4294967295ELNS1_3gpuE0ELNS1_3repE0EEENS1_30default_config_static_selectorELNS0_4arch9wavefront6targetE1EEEvT1_
; %bb.0:
	.section	.rodata,"a",@progbits
	.p2align	6, 0x0
	.amdhsa_kernel _ZN7rocprim17ROCPRIM_400000_NS6detail17trampoline_kernelINS0_14default_configENS1_27scan_by_key_config_selectorIxxEEZZNS1_16scan_by_key_implILNS1_25lookback_scan_determinismE0ELb1ES3_N6thrust23THRUST_200600_302600_NS6detail15normal_iteratorINS9_10device_ptrIxEEEESE_SE_xNS9_4plusIxEE19head_flag_predicatexEE10hipError_tPvRmT2_T3_T4_T5_mT6_T7_P12ihipStream_tbENKUlT_T0_E_clISt17integral_constantIbLb0EESY_EEDaST_SU_EUlST_E_NS1_11comp_targetILNS1_3genE0ELNS1_11target_archE4294967295ELNS1_3gpuE0ELNS1_3repE0EEENS1_30default_config_static_selectorELNS0_4arch9wavefront6targetE1EEEvT1_
		.amdhsa_group_segment_fixed_size 0
		.amdhsa_private_segment_fixed_size 0
		.amdhsa_kernarg_size 136
		.amdhsa_user_sgpr_count 2
		.amdhsa_user_sgpr_dispatch_ptr 0
		.amdhsa_user_sgpr_queue_ptr 0
		.amdhsa_user_sgpr_kernarg_segment_ptr 1
		.amdhsa_user_sgpr_dispatch_id 0
		.amdhsa_user_sgpr_kernarg_preload_length 0
		.amdhsa_user_sgpr_kernarg_preload_offset 0
		.amdhsa_user_sgpr_private_segment_size 0
		.amdhsa_uses_dynamic_stack 0
		.amdhsa_enable_private_segment 0
		.amdhsa_system_sgpr_workgroup_id_x 1
		.amdhsa_system_sgpr_workgroup_id_y 0
		.amdhsa_system_sgpr_workgroup_id_z 0
		.amdhsa_system_sgpr_workgroup_info 0
		.amdhsa_system_vgpr_workitem_id 0
		.amdhsa_next_free_vgpr 1
		.amdhsa_next_free_sgpr 0
		.amdhsa_accum_offset 4
		.amdhsa_reserve_vcc 0
		.amdhsa_float_round_mode_32 0
		.amdhsa_float_round_mode_16_64 0
		.amdhsa_float_denorm_mode_32 3
		.amdhsa_float_denorm_mode_16_64 3
		.amdhsa_dx10_clamp 1
		.amdhsa_ieee_mode 1
		.amdhsa_fp16_overflow 0
		.amdhsa_tg_split 0
		.amdhsa_exception_fp_ieee_invalid_op 0
		.amdhsa_exception_fp_denorm_src 0
		.amdhsa_exception_fp_ieee_div_zero 0
		.amdhsa_exception_fp_ieee_overflow 0
		.amdhsa_exception_fp_ieee_underflow 0
		.amdhsa_exception_fp_ieee_inexact 0
		.amdhsa_exception_int_div_zero 0
	.end_amdhsa_kernel
	.section	.text._ZN7rocprim17ROCPRIM_400000_NS6detail17trampoline_kernelINS0_14default_configENS1_27scan_by_key_config_selectorIxxEEZZNS1_16scan_by_key_implILNS1_25lookback_scan_determinismE0ELb1ES3_N6thrust23THRUST_200600_302600_NS6detail15normal_iteratorINS9_10device_ptrIxEEEESE_SE_xNS9_4plusIxEE19head_flag_predicatexEE10hipError_tPvRmT2_T3_T4_T5_mT6_T7_P12ihipStream_tbENKUlT_T0_E_clISt17integral_constantIbLb0EESY_EEDaST_SU_EUlST_E_NS1_11comp_targetILNS1_3genE0ELNS1_11target_archE4294967295ELNS1_3gpuE0ELNS1_3repE0EEENS1_30default_config_static_selectorELNS0_4arch9wavefront6targetE1EEEvT1_,"axG",@progbits,_ZN7rocprim17ROCPRIM_400000_NS6detail17trampoline_kernelINS0_14default_configENS1_27scan_by_key_config_selectorIxxEEZZNS1_16scan_by_key_implILNS1_25lookback_scan_determinismE0ELb1ES3_N6thrust23THRUST_200600_302600_NS6detail15normal_iteratorINS9_10device_ptrIxEEEESE_SE_xNS9_4plusIxEE19head_flag_predicatexEE10hipError_tPvRmT2_T3_T4_T5_mT6_T7_P12ihipStream_tbENKUlT_T0_E_clISt17integral_constantIbLb0EESY_EEDaST_SU_EUlST_E_NS1_11comp_targetILNS1_3genE0ELNS1_11target_archE4294967295ELNS1_3gpuE0ELNS1_3repE0EEENS1_30default_config_static_selectorELNS0_4arch9wavefront6targetE1EEEvT1_,comdat
.Lfunc_end713:
	.size	_ZN7rocprim17ROCPRIM_400000_NS6detail17trampoline_kernelINS0_14default_configENS1_27scan_by_key_config_selectorIxxEEZZNS1_16scan_by_key_implILNS1_25lookback_scan_determinismE0ELb1ES3_N6thrust23THRUST_200600_302600_NS6detail15normal_iteratorINS9_10device_ptrIxEEEESE_SE_xNS9_4plusIxEE19head_flag_predicatexEE10hipError_tPvRmT2_T3_T4_T5_mT6_T7_P12ihipStream_tbENKUlT_T0_E_clISt17integral_constantIbLb0EESY_EEDaST_SU_EUlST_E_NS1_11comp_targetILNS1_3genE0ELNS1_11target_archE4294967295ELNS1_3gpuE0ELNS1_3repE0EEENS1_30default_config_static_selectorELNS0_4arch9wavefront6targetE1EEEvT1_, .Lfunc_end713-_ZN7rocprim17ROCPRIM_400000_NS6detail17trampoline_kernelINS0_14default_configENS1_27scan_by_key_config_selectorIxxEEZZNS1_16scan_by_key_implILNS1_25lookback_scan_determinismE0ELb1ES3_N6thrust23THRUST_200600_302600_NS6detail15normal_iteratorINS9_10device_ptrIxEEEESE_SE_xNS9_4plusIxEE19head_flag_predicatexEE10hipError_tPvRmT2_T3_T4_T5_mT6_T7_P12ihipStream_tbENKUlT_T0_E_clISt17integral_constantIbLb0EESY_EEDaST_SU_EUlST_E_NS1_11comp_targetILNS1_3genE0ELNS1_11target_archE4294967295ELNS1_3gpuE0ELNS1_3repE0EEENS1_30default_config_static_selectorELNS0_4arch9wavefront6targetE1EEEvT1_
                                        ; -- End function
	.section	.AMDGPU.csdata,"",@progbits
; Kernel info:
; codeLenInByte = 0
; NumSgprs: 6
; NumVgprs: 0
; NumAgprs: 0
; TotalNumVgprs: 0
; ScratchSize: 0
; MemoryBound: 0
; FloatMode: 240
; IeeeMode: 1
; LDSByteSize: 0 bytes/workgroup (compile time only)
; SGPRBlocks: 0
; VGPRBlocks: 0
; NumSGPRsForWavesPerEU: 6
; NumVGPRsForWavesPerEU: 1
; AccumOffset: 4
; Occupancy: 8
; WaveLimiterHint : 0
; COMPUTE_PGM_RSRC2:SCRATCH_EN: 0
; COMPUTE_PGM_RSRC2:USER_SGPR: 2
; COMPUTE_PGM_RSRC2:TRAP_HANDLER: 0
; COMPUTE_PGM_RSRC2:TGID_X_EN: 1
; COMPUTE_PGM_RSRC2:TGID_Y_EN: 0
; COMPUTE_PGM_RSRC2:TGID_Z_EN: 0
; COMPUTE_PGM_RSRC2:TIDIG_COMP_CNT: 0
; COMPUTE_PGM_RSRC3_GFX90A:ACCUM_OFFSET: 0
; COMPUTE_PGM_RSRC3_GFX90A:TG_SPLIT: 0
	.section	.text._ZN7rocprim17ROCPRIM_400000_NS6detail17trampoline_kernelINS0_14default_configENS1_27scan_by_key_config_selectorIxxEEZZNS1_16scan_by_key_implILNS1_25lookback_scan_determinismE0ELb1ES3_N6thrust23THRUST_200600_302600_NS6detail15normal_iteratorINS9_10device_ptrIxEEEESE_SE_xNS9_4plusIxEE19head_flag_predicatexEE10hipError_tPvRmT2_T3_T4_T5_mT6_T7_P12ihipStream_tbENKUlT_T0_E_clISt17integral_constantIbLb0EESY_EEDaST_SU_EUlST_E_NS1_11comp_targetILNS1_3genE10ELNS1_11target_archE1201ELNS1_3gpuE5ELNS1_3repE0EEENS1_30default_config_static_selectorELNS0_4arch9wavefront6targetE1EEEvT1_,"axG",@progbits,_ZN7rocprim17ROCPRIM_400000_NS6detail17trampoline_kernelINS0_14default_configENS1_27scan_by_key_config_selectorIxxEEZZNS1_16scan_by_key_implILNS1_25lookback_scan_determinismE0ELb1ES3_N6thrust23THRUST_200600_302600_NS6detail15normal_iteratorINS9_10device_ptrIxEEEESE_SE_xNS9_4plusIxEE19head_flag_predicatexEE10hipError_tPvRmT2_T3_T4_T5_mT6_T7_P12ihipStream_tbENKUlT_T0_E_clISt17integral_constantIbLb0EESY_EEDaST_SU_EUlST_E_NS1_11comp_targetILNS1_3genE10ELNS1_11target_archE1201ELNS1_3gpuE5ELNS1_3repE0EEENS1_30default_config_static_selectorELNS0_4arch9wavefront6targetE1EEEvT1_,comdat
	.protected	_ZN7rocprim17ROCPRIM_400000_NS6detail17trampoline_kernelINS0_14default_configENS1_27scan_by_key_config_selectorIxxEEZZNS1_16scan_by_key_implILNS1_25lookback_scan_determinismE0ELb1ES3_N6thrust23THRUST_200600_302600_NS6detail15normal_iteratorINS9_10device_ptrIxEEEESE_SE_xNS9_4plusIxEE19head_flag_predicatexEE10hipError_tPvRmT2_T3_T4_T5_mT6_T7_P12ihipStream_tbENKUlT_T0_E_clISt17integral_constantIbLb0EESY_EEDaST_SU_EUlST_E_NS1_11comp_targetILNS1_3genE10ELNS1_11target_archE1201ELNS1_3gpuE5ELNS1_3repE0EEENS1_30default_config_static_selectorELNS0_4arch9wavefront6targetE1EEEvT1_ ; -- Begin function _ZN7rocprim17ROCPRIM_400000_NS6detail17trampoline_kernelINS0_14default_configENS1_27scan_by_key_config_selectorIxxEEZZNS1_16scan_by_key_implILNS1_25lookback_scan_determinismE0ELb1ES3_N6thrust23THRUST_200600_302600_NS6detail15normal_iteratorINS9_10device_ptrIxEEEESE_SE_xNS9_4plusIxEE19head_flag_predicatexEE10hipError_tPvRmT2_T3_T4_T5_mT6_T7_P12ihipStream_tbENKUlT_T0_E_clISt17integral_constantIbLb0EESY_EEDaST_SU_EUlST_E_NS1_11comp_targetILNS1_3genE10ELNS1_11target_archE1201ELNS1_3gpuE5ELNS1_3repE0EEENS1_30default_config_static_selectorELNS0_4arch9wavefront6targetE1EEEvT1_
	.globl	_ZN7rocprim17ROCPRIM_400000_NS6detail17trampoline_kernelINS0_14default_configENS1_27scan_by_key_config_selectorIxxEEZZNS1_16scan_by_key_implILNS1_25lookback_scan_determinismE0ELb1ES3_N6thrust23THRUST_200600_302600_NS6detail15normal_iteratorINS9_10device_ptrIxEEEESE_SE_xNS9_4plusIxEE19head_flag_predicatexEE10hipError_tPvRmT2_T3_T4_T5_mT6_T7_P12ihipStream_tbENKUlT_T0_E_clISt17integral_constantIbLb0EESY_EEDaST_SU_EUlST_E_NS1_11comp_targetILNS1_3genE10ELNS1_11target_archE1201ELNS1_3gpuE5ELNS1_3repE0EEENS1_30default_config_static_selectorELNS0_4arch9wavefront6targetE1EEEvT1_
	.p2align	8
	.type	_ZN7rocprim17ROCPRIM_400000_NS6detail17trampoline_kernelINS0_14default_configENS1_27scan_by_key_config_selectorIxxEEZZNS1_16scan_by_key_implILNS1_25lookback_scan_determinismE0ELb1ES3_N6thrust23THRUST_200600_302600_NS6detail15normal_iteratorINS9_10device_ptrIxEEEESE_SE_xNS9_4plusIxEE19head_flag_predicatexEE10hipError_tPvRmT2_T3_T4_T5_mT6_T7_P12ihipStream_tbENKUlT_T0_E_clISt17integral_constantIbLb0EESY_EEDaST_SU_EUlST_E_NS1_11comp_targetILNS1_3genE10ELNS1_11target_archE1201ELNS1_3gpuE5ELNS1_3repE0EEENS1_30default_config_static_selectorELNS0_4arch9wavefront6targetE1EEEvT1_,@function
_ZN7rocprim17ROCPRIM_400000_NS6detail17trampoline_kernelINS0_14default_configENS1_27scan_by_key_config_selectorIxxEEZZNS1_16scan_by_key_implILNS1_25lookback_scan_determinismE0ELb1ES3_N6thrust23THRUST_200600_302600_NS6detail15normal_iteratorINS9_10device_ptrIxEEEESE_SE_xNS9_4plusIxEE19head_flag_predicatexEE10hipError_tPvRmT2_T3_T4_T5_mT6_T7_P12ihipStream_tbENKUlT_T0_E_clISt17integral_constantIbLb0EESY_EEDaST_SU_EUlST_E_NS1_11comp_targetILNS1_3genE10ELNS1_11target_archE1201ELNS1_3gpuE5ELNS1_3repE0EEENS1_30default_config_static_selectorELNS0_4arch9wavefront6targetE1EEEvT1_: ; @_ZN7rocprim17ROCPRIM_400000_NS6detail17trampoline_kernelINS0_14default_configENS1_27scan_by_key_config_selectorIxxEEZZNS1_16scan_by_key_implILNS1_25lookback_scan_determinismE0ELb1ES3_N6thrust23THRUST_200600_302600_NS6detail15normal_iteratorINS9_10device_ptrIxEEEESE_SE_xNS9_4plusIxEE19head_flag_predicatexEE10hipError_tPvRmT2_T3_T4_T5_mT6_T7_P12ihipStream_tbENKUlT_T0_E_clISt17integral_constantIbLb0EESY_EEDaST_SU_EUlST_E_NS1_11comp_targetILNS1_3genE10ELNS1_11target_archE1201ELNS1_3gpuE5ELNS1_3repE0EEENS1_30default_config_static_selectorELNS0_4arch9wavefront6targetE1EEEvT1_
; %bb.0:
	.section	.rodata,"a",@progbits
	.p2align	6, 0x0
	.amdhsa_kernel _ZN7rocprim17ROCPRIM_400000_NS6detail17trampoline_kernelINS0_14default_configENS1_27scan_by_key_config_selectorIxxEEZZNS1_16scan_by_key_implILNS1_25lookback_scan_determinismE0ELb1ES3_N6thrust23THRUST_200600_302600_NS6detail15normal_iteratorINS9_10device_ptrIxEEEESE_SE_xNS9_4plusIxEE19head_flag_predicatexEE10hipError_tPvRmT2_T3_T4_T5_mT6_T7_P12ihipStream_tbENKUlT_T0_E_clISt17integral_constantIbLb0EESY_EEDaST_SU_EUlST_E_NS1_11comp_targetILNS1_3genE10ELNS1_11target_archE1201ELNS1_3gpuE5ELNS1_3repE0EEENS1_30default_config_static_selectorELNS0_4arch9wavefront6targetE1EEEvT1_
		.amdhsa_group_segment_fixed_size 0
		.amdhsa_private_segment_fixed_size 0
		.amdhsa_kernarg_size 136
		.amdhsa_user_sgpr_count 2
		.amdhsa_user_sgpr_dispatch_ptr 0
		.amdhsa_user_sgpr_queue_ptr 0
		.amdhsa_user_sgpr_kernarg_segment_ptr 1
		.amdhsa_user_sgpr_dispatch_id 0
		.amdhsa_user_sgpr_kernarg_preload_length 0
		.amdhsa_user_sgpr_kernarg_preload_offset 0
		.amdhsa_user_sgpr_private_segment_size 0
		.amdhsa_uses_dynamic_stack 0
		.amdhsa_enable_private_segment 0
		.amdhsa_system_sgpr_workgroup_id_x 1
		.amdhsa_system_sgpr_workgroup_id_y 0
		.amdhsa_system_sgpr_workgroup_id_z 0
		.amdhsa_system_sgpr_workgroup_info 0
		.amdhsa_system_vgpr_workitem_id 0
		.amdhsa_next_free_vgpr 1
		.amdhsa_next_free_sgpr 0
		.amdhsa_accum_offset 4
		.amdhsa_reserve_vcc 0
		.amdhsa_float_round_mode_32 0
		.amdhsa_float_round_mode_16_64 0
		.amdhsa_float_denorm_mode_32 3
		.amdhsa_float_denorm_mode_16_64 3
		.amdhsa_dx10_clamp 1
		.amdhsa_ieee_mode 1
		.amdhsa_fp16_overflow 0
		.amdhsa_tg_split 0
		.amdhsa_exception_fp_ieee_invalid_op 0
		.amdhsa_exception_fp_denorm_src 0
		.amdhsa_exception_fp_ieee_div_zero 0
		.amdhsa_exception_fp_ieee_overflow 0
		.amdhsa_exception_fp_ieee_underflow 0
		.amdhsa_exception_fp_ieee_inexact 0
		.amdhsa_exception_int_div_zero 0
	.end_amdhsa_kernel
	.section	.text._ZN7rocprim17ROCPRIM_400000_NS6detail17trampoline_kernelINS0_14default_configENS1_27scan_by_key_config_selectorIxxEEZZNS1_16scan_by_key_implILNS1_25lookback_scan_determinismE0ELb1ES3_N6thrust23THRUST_200600_302600_NS6detail15normal_iteratorINS9_10device_ptrIxEEEESE_SE_xNS9_4plusIxEE19head_flag_predicatexEE10hipError_tPvRmT2_T3_T4_T5_mT6_T7_P12ihipStream_tbENKUlT_T0_E_clISt17integral_constantIbLb0EESY_EEDaST_SU_EUlST_E_NS1_11comp_targetILNS1_3genE10ELNS1_11target_archE1201ELNS1_3gpuE5ELNS1_3repE0EEENS1_30default_config_static_selectorELNS0_4arch9wavefront6targetE1EEEvT1_,"axG",@progbits,_ZN7rocprim17ROCPRIM_400000_NS6detail17trampoline_kernelINS0_14default_configENS1_27scan_by_key_config_selectorIxxEEZZNS1_16scan_by_key_implILNS1_25lookback_scan_determinismE0ELb1ES3_N6thrust23THRUST_200600_302600_NS6detail15normal_iteratorINS9_10device_ptrIxEEEESE_SE_xNS9_4plusIxEE19head_flag_predicatexEE10hipError_tPvRmT2_T3_T4_T5_mT6_T7_P12ihipStream_tbENKUlT_T0_E_clISt17integral_constantIbLb0EESY_EEDaST_SU_EUlST_E_NS1_11comp_targetILNS1_3genE10ELNS1_11target_archE1201ELNS1_3gpuE5ELNS1_3repE0EEENS1_30default_config_static_selectorELNS0_4arch9wavefront6targetE1EEEvT1_,comdat
.Lfunc_end714:
	.size	_ZN7rocprim17ROCPRIM_400000_NS6detail17trampoline_kernelINS0_14default_configENS1_27scan_by_key_config_selectorIxxEEZZNS1_16scan_by_key_implILNS1_25lookback_scan_determinismE0ELb1ES3_N6thrust23THRUST_200600_302600_NS6detail15normal_iteratorINS9_10device_ptrIxEEEESE_SE_xNS9_4plusIxEE19head_flag_predicatexEE10hipError_tPvRmT2_T3_T4_T5_mT6_T7_P12ihipStream_tbENKUlT_T0_E_clISt17integral_constantIbLb0EESY_EEDaST_SU_EUlST_E_NS1_11comp_targetILNS1_3genE10ELNS1_11target_archE1201ELNS1_3gpuE5ELNS1_3repE0EEENS1_30default_config_static_selectorELNS0_4arch9wavefront6targetE1EEEvT1_, .Lfunc_end714-_ZN7rocprim17ROCPRIM_400000_NS6detail17trampoline_kernelINS0_14default_configENS1_27scan_by_key_config_selectorIxxEEZZNS1_16scan_by_key_implILNS1_25lookback_scan_determinismE0ELb1ES3_N6thrust23THRUST_200600_302600_NS6detail15normal_iteratorINS9_10device_ptrIxEEEESE_SE_xNS9_4plusIxEE19head_flag_predicatexEE10hipError_tPvRmT2_T3_T4_T5_mT6_T7_P12ihipStream_tbENKUlT_T0_E_clISt17integral_constantIbLb0EESY_EEDaST_SU_EUlST_E_NS1_11comp_targetILNS1_3genE10ELNS1_11target_archE1201ELNS1_3gpuE5ELNS1_3repE0EEENS1_30default_config_static_selectorELNS0_4arch9wavefront6targetE1EEEvT1_
                                        ; -- End function
	.section	.AMDGPU.csdata,"",@progbits
; Kernel info:
; codeLenInByte = 0
; NumSgprs: 6
; NumVgprs: 0
; NumAgprs: 0
; TotalNumVgprs: 0
; ScratchSize: 0
; MemoryBound: 0
; FloatMode: 240
; IeeeMode: 1
; LDSByteSize: 0 bytes/workgroup (compile time only)
; SGPRBlocks: 0
; VGPRBlocks: 0
; NumSGPRsForWavesPerEU: 6
; NumVGPRsForWavesPerEU: 1
; AccumOffset: 4
; Occupancy: 8
; WaveLimiterHint : 0
; COMPUTE_PGM_RSRC2:SCRATCH_EN: 0
; COMPUTE_PGM_RSRC2:USER_SGPR: 2
; COMPUTE_PGM_RSRC2:TRAP_HANDLER: 0
; COMPUTE_PGM_RSRC2:TGID_X_EN: 1
; COMPUTE_PGM_RSRC2:TGID_Y_EN: 0
; COMPUTE_PGM_RSRC2:TGID_Z_EN: 0
; COMPUTE_PGM_RSRC2:TIDIG_COMP_CNT: 0
; COMPUTE_PGM_RSRC3_GFX90A:ACCUM_OFFSET: 0
; COMPUTE_PGM_RSRC3_GFX90A:TG_SPLIT: 0
	.section	.text._ZN7rocprim17ROCPRIM_400000_NS6detail17trampoline_kernelINS0_14default_configENS1_27scan_by_key_config_selectorIxxEEZZNS1_16scan_by_key_implILNS1_25lookback_scan_determinismE0ELb1ES3_N6thrust23THRUST_200600_302600_NS6detail15normal_iteratorINS9_10device_ptrIxEEEESE_SE_xNS9_4plusIxEE19head_flag_predicatexEE10hipError_tPvRmT2_T3_T4_T5_mT6_T7_P12ihipStream_tbENKUlT_T0_E_clISt17integral_constantIbLb0EESY_EEDaST_SU_EUlST_E_NS1_11comp_targetILNS1_3genE5ELNS1_11target_archE942ELNS1_3gpuE9ELNS1_3repE0EEENS1_30default_config_static_selectorELNS0_4arch9wavefront6targetE1EEEvT1_,"axG",@progbits,_ZN7rocprim17ROCPRIM_400000_NS6detail17trampoline_kernelINS0_14default_configENS1_27scan_by_key_config_selectorIxxEEZZNS1_16scan_by_key_implILNS1_25lookback_scan_determinismE0ELb1ES3_N6thrust23THRUST_200600_302600_NS6detail15normal_iteratorINS9_10device_ptrIxEEEESE_SE_xNS9_4plusIxEE19head_flag_predicatexEE10hipError_tPvRmT2_T3_T4_T5_mT6_T7_P12ihipStream_tbENKUlT_T0_E_clISt17integral_constantIbLb0EESY_EEDaST_SU_EUlST_E_NS1_11comp_targetILNS1_3genE5ELNS1_11target_archE942ELNS1_3gpuE9ELNS1_3repE0EEENS1_30default_config_static_selectorELNS0_4arch9wavefront6targetE1EEEvT1_,comdat
	.protected	_ZN7rocprim17ROCPRIM_400000_NS6detail17trampoline_kernelINS0_14default_configENS1_27scan_by_key_config_selectorIxxEEZZNS1_16scan_by_key_implILNS1_25lookback_scan_determinismE0ELb1ES3_N6thrust23THRUST_200600_302600_NS6detail15normal_iteratorINS9_10device_ptrIxEEEESE_SE_xNS9_4plusIxEE19head_flag_predicatexEE10hipError_tPvRmT2_T3_T4_T5_mT6_T7_P12ihipStream_tbENKUlT_T0_E_clISt17integral_constantIbLb0EESY_EEDaST_SU_EUlST_E_NS1_11comp_targetILNS1_3genE5ELNS1_11target_archE942ELNS1_3gpuE9ELNS1_3repE0EEENS1_30default_config_static_selectorELNS0_4arch9wavefront6targetE1EEEvT1_ ; -- Begin function _ZN7rocprim17ROCPRIM_400000_NS6detail17trampoline_kernelINS0_14default_configENS1_27scan_by_key_config_selectorIxxEEZZNS1_16scan_by_key_implILNS1_25lookback_scan_determinismE0ELb1ES3_N6thrust23THRUST_200600_302600_NS6detail15normal_iteratorINS9_10device_ptrIxEEEESE_SE_xNS9_4plusIxEE19head_flag_predicatexEE10hipError_tPvRmT2_T3_T4_T5_mT6_T7_P12ihipStream_tbENKUlT_T0_E_clISt17integral_constantIbLb0EESY_EEDaST_SU_EUlST_E_NS1_11comp_targetILNS1_3genE5ELNS1_11target_archE942ELNS1_3gpuE9ELNS1_3repE0EEENS1_30default_config_static_selectorELNS0_4arch9wavefront6targetE1EEEvT1_
	.globl	_ZN7rocprim17ROCPRIM_400000_NS6detail17trampoline_kernelINS0_14default_configENS1_27scan_by_key_config_selectorIxxEEZZNS1_16scan_by_key_implILNS1_25lookback_scan_determinismE0ELb1ES3_N6thrust23THRUST_200600_302600_NS6detail15normal_iteratorINS9_10device_ptrIxEEEESE_SE_xNS9_4plusIxEE19head_flag_predicatexEE10hipError_tPvRmT2_T3_T4_T5_mT6_T7_P12ihipStream_tbENKUlT_T0_E_clISt17integral_constantIbLb0EESY_EEDaST_SU_EUlST_E_NS1_11comp_targetILNS1_3genE5ELNS1_11target_archE942ELNS1_3gpuE9ELNS1_3repE0EEENS1_30default_config_static_selectorELNS0_4arch9wavefront6targetE1EEEvT1_
	.p2align	8
	.type	_ZN7rocprim17ROCPRIM_400000_NS6detail17trampoline_kernelINS0_14default_configENS1_27scan_by_key_config_selectorIxxEEZZNS1_16scan_by_key_implILNS1_25lookback_scan_determinismE0ELb1ES3_N6thrust23THRUST_200600_302600_NS6detail15normal_iteratorINS9_10device_ptrIxEEEESE_SE_xNS9_4plusIxEE19head_flag_predicatexEE10hipError_tPvRmT2_T3_T4_T5_mT6_T7_P12ihipStream_tbENKUlT_T0_E_clISt17integral_constantIbLb0EESY_EEDaST_SU_EUlST_E_NS1_11comp_targetILNS1_3genE5ELNS1_11target_archE942ELNS1_3gpuE9ELNS1_3repE0EEENS1_30default_config_static_selectorELNS0_4arch9wavefront6targetE1EEEvT1_,@function
_ZN7rocprim17ROCPRIM_400000_NS6detail17trampoline_kernelINS0_14default_configENS1_27scan_by_key_config_selectorIxxEEZZNS1_16scan_by_key_implILNS1_25lookback_scan_determinismE0ELb1ES3_N6thrust23THRUST_200600_302600_NS6detail15normal_iteratorINS9_10device_ptrIxEEEESE_SE_xNS9_4plusIxEE19head_flag_predicatexEE10hipError_tPvRmT2_T3_T4_T5_mT6_T7_P12ihipStream_tbENKUlT_T0_E_clISt17integral_constantIbLb0EESY_EEDaST_SU_EUlST_E_NS1_11comp_targetILNS1_3genE5ELNS1_11target_archE942ELNS1_3gpuE9ELNS1_3repE0EEENS1_30default_config_static_selectorELNS0_4arch9wavefront6targetE1EEEvT1_: ; @_ZN7rocprim17ROCPRIM_400000_NS6detail17trampoline_kernelINS0_14default_configENS1_27scan_by_key_config_selectorIxxEEZZNS1_16scan_by_key_implILNS1_25lookback_scan_determinismE0ELb1ES3_N6thrust23THRUST_200600_302600_NS6detail15normal_iteratorINS9_10device_ptrIxEEEESE_SE_xNS9_4plusIxEE19head_flag_predicatexEE10hipError_tPvRmT2_T3_T4_T5_mT6_T7_P12ihipStream_tbENKUlT_T0_E_clISt17integral_constantIbLb0EESY_EEDaST_SU_EUlST_E_NS1_11comp_targetILNS1_3genE5ELNS1_11target_archE942ELNS1_3gpuE9ELNS1_3repE0EEENS1_30default_config_static_selectorELNS0_4arch9wavefront6targetE1EEEvT1_
; %bb.0:
	s_load_dwordx8 s[44:51], s[0:1], 0x0
	s_load_dwordx2 s[56:57], s[0:1], 0x20
	s_load_dwordx8 s[36:43], s[0:1], 0x30
	s_load_dwordx2 s[58:59], s[0:1], 0x50
	s_load_dword s3, s[0:1], 0x58
	s_load_dwordx4 s[52:55], s[0:1], 0x60
	s_waitcnt lgkmcnt(0)
	s_lshl_b64 s[34:35], s[46:47], 3
	s_add_u32 s4, s44, s34
	s_addc_u32 s5, s45, s35
	s_add_u32 s6, s48, s34
	s_mul_i32 s0, s59, s3
	s_mul_hi_u32 s1, s58, s3
	s_addc_u32 s7, s49, s35
	s_add_i32 s8, s1, s0
	s_mul_i32 s0, s2, 0xe00
	s_mov_b32 s1, 0
	s_lshl_b64 s[44:45], s[0:1], 3
	s_add_u32 s48, s4, s44
	s_addc_u32 s49, s5, s45
	s_add_u32 s46, s6, s44
	s_mul_i32 s3, s58, s3
	s_addc_u32 s47, s7, s45
	s_add_u32 s0, s3, s2
	s_addc_u32 s1, s8, 0
	s_add_u32 s6, s52, -1
	s_addc_u32 s7, s53, -1
	v_mov_b64_e32 v[2:3], s[6:7]
	v_cmp_ge_u64_e64 s[0:1], s[0:1], v[2:3]
	s_mov_b64 s[4:5], -1
	s_and_b64 vcc, exec, s[0:1]
	s_mul_i32 s33, s6, 0xfffff200
	s_barrier
	s_cbranch_vccz .LBB715_76
; %bb.1:
	v_mov_b64_e32 v[2:3], s[48:49]
	flat_load_dwordx2 v[2:3], v[2:3]
	s_add_i32 s43, s33, s42
	v_cmp_gt_u32_e32 vcc, s43, v0
	s_waitcnt vmcnt(0) lgkmcnt(0)
	v_mov_b64_e32 v[4:5], v[2:3]
	s_and_saveexec_b64 s[4:5], vcc
	s_cbranch_execz .LBB715_3
; %bb.2:
	v_lshlrev_b32_e32 v4, 3, v0
	v_mov_b32_e32 v5, 0
	v_lshl_add_u64 v[4:5], s[48:49], 0, v[4:5]
	flat_load_dwordx2 v[4:5], v[4:5]
.LBB715_3:
	s_or_b64 exec, exec, s[4:5]
	v_or_b32_e32 v1, 0x100, v0
	v_cmp_gt_u32_e64 s[28:29], s43, v1
	v_mov_b64_e32 v[6:7], v[2:3]
	s_and_saveexec_b64 s[4:5], s[28:29]
	s_cbranch_execz .LBB715_5
; %bb.4:
	v_lshlrev_b32_e32 v6, 3, v0
	v_mov_b32_e32 v7, 0
	v_lshl_add_u64 v[6:7], s[48:49], 0, v[6:7]
	flat_load_dwordx2 v[6:7], v[6:7] offset:2048
.LBB715_5:
	s_or_b64 exec, exec, s[4:5]
	v_or_b32_e32 v1, 0x200, v0
	v_cmp_gt_u32_e64 s[4:5], s43, v1
	v_lshlrev_b32_e32 v30, 3, v1
	v_mov_b64_e32 v[8:9], v[2:3]
	s_and_saveexec_b64 s[6:7], s[4:5]
	s_cbranch_execz .LBB715_7
; %bb.6:
	v_mov_b32_e32 v31, 0
	v_lshl_add_u64 v[8:9], s[48:49], 0, v[30:31]
	flat_load_dwordx2 v[8:9], v[8:9]
.LBB715_7:
	s_or_b64 exec, exec, s[6:7]
	v_or_b32_e32 v1, 0x300, v0
	v_cmp_gt_u32_e64 s[6:7], s43, v1
	v_lshlrev_b32_e32 v32, 3, v1
	v_mov_b64_e32 v[10:11], v[2:3]
	s_and_saveexec_b64 s[8:9], s[6:7]
	s_cbranch_execz .LBB715_9
; %bb.8:
	v_mov_b32_e32 v33, 0
	v_lshl_add_u64 v[10:11], s[48:49], 0, v[32:33]
	flat_load_dwordx2 v[10:11], v[10:11]
.LBB715_9:
	;; [unrolled: 12-line block ×11, first 2 shown]
	s_or_b64 exec, exec, s[26:27]
	v_or_b32_e32 v1, 0xd00, v0
	v_cmp_gt_u32_e64 s[26:27], s43, v1
	v_lshlrev_b32_e32 v52, 3, v1
	s_and_saveexec_b64 s[30:31], s[26:27]
	s_cbranch_execz .LBB715_29
; %bb.28:
	v_mov_b32_e32 v53, 0
	v_lshl_add_u64 v[2:3], s[48:49], 0, v[52:53]
	flat_load_dwordx2 v[2:3], v[2:3]
.LBB715_29:
	s_or_b64 exec, exec, s[30:31]
	v_lshlrev_b32_e32 v54, 3, v0
	s_waitcnt vmcnt(0) lgkmcnt(0)
	ds_write2st64_b64 v54, v[4:5], v[6:7] offset1:4
	ds_write2st64_b64 v54, v[8:9], v[10:11] offset0:8 offset1:12
	ds_write2st64_b64 v54, v[12:13], v[14:15] offset0:16 offset1:20
	ds_write2st64_b64 v54, v[16:17], v[18:19] offset0:24 offset1:28
	ds_write2st64_b64 v54, v[20:21], v[22:23] offset0:32 offset1:36
	ds_write2st64_b64 v54, v[24:25], v[26:27] offset0:40 offset1:44
	ds_write2st64_b64 v54, v[28:29], v[2:3] offset0:48 offset1:52
	v_mov_b64_e32 v[2:3], s[48:49]
	s_waitcnt lgkmcnt(0)
	s_barrier
	flat_load_dwordx2 v[56:57], v[2:3]
	s_movk_i32 s3, 0x68
	v_mad_u32_u24 v74, v0, s3, v54
	s_movk_i32 s3, 0xff98
	v_mad_i32_i24 v1, v0, s3, v74
	s_movk_i32 s3, 0xff
	v_cmp_ne_u32_e64 s[30:31], s3, v0
	ds_read_b128 v[26:29], v74
	ds_read_b128 v[22:25], v74 offset:16
	ds_read_b128 v[18:21], v74 offset:32
	;; [unrolled: 1-line block ×6, first 2 shown]
	s_waitcnt lgkmcnt(0)
	ds_write_b64 v1, v[26:27] offset:30720
	s_waitcnt lgkmcnt(0)
	s_barrier
	s_and_saveexec_b64 s[52:53], s[30:31]
	s_cbranch_execz .LBB715_31
; %bb.30:
	s_waitcnt vmcnt(0)
	ds_read_b64 v[56:57], v54 offset:30728
.LBB715_31:
	s_or_b64 exec, exec, s[52:53]
	v_mov_b32_e32 v55, 0
	s_waitcnt lgkmcnt(0)
	s_barrier
	s_waitcnt lgkmcnt(0)
                                        ; implicit-def: $vgpr26_vgpr27
	s_and_saveexec_b64 s[30:31], vcc
	s_cbranch_execz .LBB715_151
; %bb.32:
	v_lshl_add_u64 v[26:27], s[46:47], 0, v[54:55]
	flat_load_dwordx2 v[26:27], v[26:27]
	s_or_b64 exec, exec, s[30:31]
                                        ; implicit-def: $vgpr58_vgpr59
	s_and_saveexec_b64 s[30:31], s[28:29]
	s_cbranch_execnz .LBB715_152
.LBB715_33:
	s_or_b64 exec, exec, s[30:31]
                                        ; implicit-def: $vgpr60_vgpr61
	s_and_saveexec_b64 s[28:29], s[4:5]
	s_cbranch_execz .LBB715_153
.LBB715_34:
	v_mov_b32_e32 v31, 0
	v_lshl_add_u64 v[30:31], s[46:47], 0, v[30:31]
	flat_load_dwordx2 v[60:61], v[30:31]
	s_or_b64 exec, exec, s[28:29]
                                        ; implicit-def: $vgpr30_vgpr31
	s_and_saveexec_b64 s[4:5], s[6:7]
	s_cbranch_execnz .LBB715_154
.LBB715_35:
	s_or_b64 exec, exec, s[4:5]
                                        ; implicit-def: $vgpr32_vgpr33
	s_and_saveexec_b64 s[4:5], s[8:9]
	s_cbranch_execz .LBB715_155
.LBB715_36:
	v_mov_b32_e32 v35, 0
	v_lshl_add_u64 v[32:33], s[46:47], 0, v[34:35]
	flat_load_dwordx2 v[32:33], v[32:33]
	s_or_b64 exec, exec, s[4:5]
                                        ; implicit-def: $vgpr34_vgpr35
	s_and_saveexec_b64 s[4:5], s[10:11]
	s_cbranch_execnz .LBB715_156
.LBB715_37:
	s_or_b64 exec, exec, s[4:5]
                                        ; implicit-def: $vgpr36_vgpr37
	s_and_saveexec_b64 s[4:5], s[12:13]
	s_cbranch_execz .LBB715_157
.LBB715_38:
	v_mov_b32_e32 v39, 0
	v_lshl_add_u64 v[36:37], s[46:47], 0, v[38:39]
	flat_load_dwordx2 v[36:37], v[36:37]
	s_or_b64 exec, exec, s[4:5]
                                        ; implicit-def: $vgpr38_vgpr39
	s_and_saveexec_b64 s[4:5], s[14:15]
	s_cbranch_execnz .LBB715_158
.LBB715_39:
	s_or_b64 exec, exec, s[4:5]
                                        ; implicit-def: $vgpr40_vgpr41
	s_and_saveexec_b64 s[4:5], s[16:17]
	s_cbranch_execz .LBB715_159
.LBB715_40:
	v_mov_b32_e32 v43, 0
	v_lshl_add_u64 v[40:41], s[46:47], 0, v[42:43]
	flat_load_dwordx2 v[40:41], v[40:41]
	s_or_b64 exec, exec, s[4:5]
                                        ; implicit-def: $vgpr42_vgpr43
	s_and_saveexec_b64 s[4:5], s[18:19]
	s_cbranch_execnz .LBB715_160
.LBB715_41:
	s_or_b64 exec, exec, s[4:5]
                                        ; implicit-def: $vgpr44_vgpr45
	s_and_saveexec_b64 s[4:5], s[20:21]
	s_cbranch_execz .LBB715_161
.LBB715_42:
	v_mov_b32_e32 v47, 0
	v_lshl_add_u64 v[44:45], s[46:47], 0, v[46:47]
	flat_load_dwordx2 v[44:45], v[44:45]
	s_or_b64 exec, exec, s[4:5]
                                        ; implicit-def: $vgpr46_vgpr47
	s_and_saveexec_b64 s[4:5], s[22:23]
	s_cbranch_execnz .LBB715_162
.LBB715_43:
	s_or_b64 exec, exec, s[4:5]
                                        ; implicit-def: $vgpr48_vgpr49
	s_and_saveexec_b64 s[4:5], s[24:25]
	s_cbranch_execz .LBB715_45
.LBB715_44:
	v_mov_b32_e32 v51, 0
	v_lshl_add_u64 v[48:49], s[46:47], 0, v[50:51]
	flat_load_dwordx2 v[48:49], v[48:49]
.LBB715_45:
	s_or_b64 exec, exec, s[4:5]
	v_mul_u32_u24_e32 v75, 14, v0
                                        ; implicit-def: $vgpr50_vgpr51
	s_and_saveexec_b64 s[4:5], s[26:27]
	s_cbranch_execz .LBB715_47
; %bb.46:
	v_mov_b32_e32 v53, 0
	v_lshl_add_u64 v[50:51], s[46:47], 0, v[52:53]
	flat_load_dwordx2 v[50:51], v[50:51]
.LBB715_47:
	s_or_b64 exec, exec, s[4:5]
	s_waitcnt vmcnt(0) lgkmcnt(0)
	ds_write2st64_b64 v54, v[26:27], v[58:59] offset1:4
	ds_write2st64_b64 v54, v[60:61], v[30:31] offset0:8 offset1:12
	ds_write2st64_b64 v54, v[32:33], v[34:35] offset0:16 offset1:20
	;; [unrolled: 1-line block ×6, first 2 shown]
	v_mov_b64_e32 v[46:47], 0
	v_cmp_gt_u32_e32 vcc, s43, v75
	s_mov_b64 s[10:11], 0
	s_mov_b32 s3, 0
	s_mov_b64 s[4:5], 0
	v_mov_b32_e32 v64, 0
	v_mov_b64_e32 v[30:31], v[46:47]
	v_mov_b32_e32 v73, 0
	v_mov_b64_e32 v[54:55], v[46:47]
	;; [unrolled: 2-line block ×12, first 2 shown]
	v_mov_b32_e32 v1, 0
	s_waitcnt lgkmcnt(0)
	s_barrier
	s_waitcnt lgkmcnt(0)
                                        ; implicit-def: $sgpr8_sgpr9
                                        ; implicit-def: $vgpr26_vgpr27
	s_and_saveexec_b64 s[6:7], vcc
	s_cbranch_execz .LBB715_75
; %bb.48:
	ds_read_b64 v[26:27], v74
	v_cmp_ne_u64_e32 vcc, 0, v[28:29]
	v_mov_b32_e32 v28, s57
	v_or_b32_e32 v30, 1, v75
	v_cndmask_b32_e64 v1, 0, 1, vcc
	s_waitcnt lgkmcnt(0)
	v_cndmask_b32_e32 v47, v27, v28, vcc
	v_mov_b32_e32 v27, s56
	v_cndmask_b32_e32 v46, v26, v27, vcc
	v_cmp_gt_u32_e32 vcc, s43, v30
	v_mov_b64_e32 v[30:31], 0
	v_mov_b32_e32 v64, 0
	v_mov_b32_e32 v73, 0
	v_mov_b64_e32 v[54:55], v[30:31]
	v_mov_b32_e32 v72, 0
	v_mov_b64_e32 v[32:33], v[30:31]
	;; [unrolled: 2-line block ×11, first 2 shown]
                                        ; implicit-def: $sgpr14_sgpr15
                                        ; implicit-def: $vgpr26_vgpr27
	s_and_saveexec_b64 s[8:9], vcc
	s_cbranch_execz .LBB715_74
; %bb.49:
	ds_read2_b64 v[26:29], v74 offset0:1 offset1:2
	v_cmp_ne_u64_e32 vcc, 0, v[22:23]
	v_mov_b32_e32 v22, s57
	v_add_u32_e32 v30, 2, v75
	v_cndmask_b32_e64 v62, 0, 1, vcc
	s_waitcnt lgkmcnt(0)
	v_cndmask_b32_e32 v49, v27, v22, vcc
	v_mov_b32_e32 v22, s56
	v_cndmask_b32_e32 v48, v26, v22, vcc
	v_cmp_gt_u32_e32 vcc, s43, v30
	v_mov_b64_e32 v[30:31], 0
	s_mov_b64 s[12:13], 0
	v_mov_b32_e32 v64, 0
	v_mov_b32_e32 v73, 0
	v_mov_b64_e32 v[54:55], v[30:31]
	v_mov_b32_e32 v72, 0
	v_mov_b64_e32 v[32:33], v[30:31]
	;; [unrolled: 2-line block ×10, first 2 shown]
                                        ; implicit-def: $sgpr16_sgpr17
                                        ; implicit-def: $vgpr26_vgpr27
	s_and_saveexec_b64 s[10:11], vcc
	s_cbranch_execz .LBB715_73
; %bb.50:
	v_cmp_ne_u64_e32 vcc, 0, v[24:25]
	v_mov_b32_e32 v23, s57
	v_add_u32_e32 v22, 3, v75
	v_cndmask_b32_e32 v51, v29, v23, vcc
	v_mov_b32_e32 v23, s56
	v_mov_b64_e32 v[30:31], 0
	s_mov_b64 s[14:15], 0
	v_cndmask_b32_e64 v63, 0, 1, vcc
	v_cndmask_b32_e32 v50, v28, v23, vcc
	v_cmp_gt_u32_e32 vcc, s43, v22
	v_mov_b32_e32 v64, 0
	v_mov_b32_e32 v73, 0
	v_mov_b64_e32 v[54:55], v[30:31]
	v_mov_b32_e32 v72, 0
	v_mov_b64_e32 v[32:33], v[30:31]
	;; [unrolled: 2-line block ×9, first 2 shown]
                                        ; implicit-def: $sgpr18_sgpr19
                                        ; implicit-def: $vgpr26_vgpr27
	s_and_saveexec_b64 s[12:13], vcc
	s_cbranch_execz .LBB715_72
; %bb.51:
	ds_read2_b64 v[22:25], v74 offset0:3 offset1:4
	v_cmp_ne_u64_e32 vcc, 0, v[18:19]
	v_mov_b32_e32 v18, s57
	v_add_u32_e32 v26, 4, v75
	v_mov_b64_e32 v[30:31], 0
	s_waitcnt lgkmcnt(0)
	v_cndmask_b32_e32 v43, v23, v18, vcc
	v_mov_b32_e32 v18, s56
	s_mov_b64 s[16:17], 0
	v_cndmask_b32_e64 v65, 0, 1, vcc
	v_cndmask_b32_e32 v42, v22, v18, vcc
	v_cmp_gt_u32_e32 vcc, s43, v26
	v_mov_b32_e32 v64, 0
	v_mov_b32_e32 v73, 0
	v_mov_b64_e32 v[54:55], v[30:31]
	v_mov_b32_e32 v72, 0
	v_mov_b64_e32 v[32:33], v[30:31]
	;; [unrolled: 2-line block ×8, first 2 shown]
                                        ; implicit-def: $sgpr20_sgpr21
                                        ; implicit-def: $vgpr26_vgpr27
	s_and_saveexec_b64 s[14:15], vcc
	s_cbranch_execz .LBB715_71
; %bb.52:
	v_cmp_ne_u64_e32 vcc, 0, v[20:21]
	v_mov_b32_e32 v19, s57
	v_add_u32_e32 v18, 5, v75
	v_cndmask_b32_e32 v45, v25, v19, vcc
	v_mov_b32_e32 v19, s56
	v_mov_b64_e32 v[30:31], 0
	s_mov_b64 s[18:19], 0
	v_cndmask_b32_e64 v66, 0, 1, vcc
	v_cndmask_b32_e32 v44, v24, v19, vcc
	v_cmp_gt_u32_e32 vcc, s43, v18
	v_mov_b32_e32 v64, 0
	v_mov_b32_e32 v73, 0
	v_mov_b64_e32 v[54:55], v[30:31]
	v_mov_b32_e32 v72, 0
	v_mov_b64_e32 v[32:33], v[30:31]
	v_mov_b32_e32 v71, 0
	v_mov_b64_e32 v[52:53], v[30:31]
	v_mov_b32_e32 v70, 0
	v_mov_b64_e32 v[36:37], v[30:31]
	v_mov_b32_e32 v69, 0
	v_mov_b64_e32 v[34:35], v[30:31]
	v_mov_b32_e32 v68, 0
	v_mov_b64_e32 v[40:41], v[30:31]
	v_mov_b32_e32 v67, 0
	v_mov_b64_e32 v[38:39], v[30:31]
                                        ; implicit-def: $sgpr22_sgpr23
                                        ; implicit-def: $vgpr26_vgpr27
	s_and_saveexec_b64 s[16:17], vcc
	s_cbranch_execz .LBB715_70
; %bb.53:
	ds_read2_b64 v[18:21], v74 offset0:5 offset1:6
	v_cmp_ne_u64_e32 vcc, 0, v[14:15]
	v_mov_b32_e32 v14, s57
	v_add_u32_e32 v22, 6, v75
	v_mov_b64_e32 v[30:31], 0
	s_waitcnt lgkmcnt(0)
	v_cndmask_b32_e32 v39, v19, v14, vcc
	v_mov_b32_e32 v14, s56
	s_mov_b64 s[20:21], 0
	v_cndmask_b32_e64 v67, 0, 1, vcc
	v_cndmask_b32_e32 v38, v18, v14, vcc
	v_cmp_gt_u32_e32 vcc, s43, v22
	v_mov_b32_e32 v64, 0
	v_mov_b32_e32 v73, 0
	v_mov_b64_e32 v[54:55], v[30:31]
	v_mov_b32_e32 v72, 0
	v_mov_b64_e32 v[32:33], v[30:31]
	;; [unrolled: 2-line block ×6, first 2 shown]
                                        ; implicit-def: $sgpr24_sgpr25
                                        ; implicit-def: $vgpr26_vgpr27
	s_and_saveexec_b64 s[18:19], vcc
	s_cbranch_execz .LBB715_69
; %bb.54:
	v_cmp_ne_u64_e32 vcc, 0, v[16:17]
	v_mov_b32_e32 v15, s57
	v_add_u32_e32 v14, 7, v75
	v_cndmask_b32_e32 v41, v21, v15, vcc
	v_mov_b32_e32 v15, s56
	v_mov_b64_e32 v[30:31], 0
	s_mov_b64 s[22:23], 0
	v_cndmask_b32_e64 v68, 0, 1, vcc
	v_cndmask_b32_e32 v40, v20, v15, vcc
	v_cmp_gt_u32_e32 vcc, s43, v14
	v_mov_b32_e32 v64, 0
	v_mov_b32_e32 v73, 0
	v_mov_b64_e32 v[54:55], v[30:31]
	v_mov_b32_e32 v72, 0
	v_mov_b64_e32 v[32:33], v[30:31]
	;; [unrolled: 2-line block ×5, first 2 shown]
                                        ; implicit-def: $sgpr26_sgpr27
                                        ; implicit-def: $vgpr26_vgpr27
	s_and_saveexec_b64 s[20:21], vcc
	s_cbranch_execz .LBB715_68
; %bb.55:
	ds_read2_b64 v[14:17], v74 offset0:7 offset1:8
	v_cmp_ne_u64_e32 vcc, 0, v[10:11]
	v_mov_b32_e32 v10, s57
	v_add_u32_e32 v18, 8, v75
	v_mov_b64_e32 v[30:31], 0
	s_waitcnt lgkmcnt(0)
	v_cndmask_b32_e32 v35, v15, v10, vcc
	v_mov_b32_e32 v10, s56
	s_mov_b64 s[24:25], 0
	v_cndmask_b32_e64 v69, 0, 1, vcc
	v_cndmask_b32_e32 v34, v14, v10, vcc
	v_cmp_gt_u32_e32 vcc, s43, v18
	v_mov_b32_e32 v64, 0
	v_mov_b32_e32 v73, 0
	v_mov_b64_e32 v[54:55], v[30:31]
	v_mov_b32_e32 v72, 0
	v_mov_b64_e32 v[32:33], v[30:31]
	;; [unrolled: 2-line block ×4, first 2 shown]
                                        ; implicit-def: $sgpr28_sgpr29
                                        ; implicit-def: $vgpr26_vgpr27
	s_and_saveexec_b64 s[22:23], vcc
	s_cbranch_execz .LBB715_67
; %bb.56:
	v_cmp_ne_u64_e32 vcc, 0, v[12:13]
	v_mov_b32_e32 v11, s57
	v_add_u32_e32 v10, 9, v75
	v_cndmask_b32_e32 v37, v17, v11, vcc
	v_mov_b32_e32 v11, s56
	v_mov_b64_e32 v[30:31], 0
	s_mov_b64 s[26:27], 0
	v_cndmask_b32_e64 v70, 0, 1, vcc
	v_cndmask_b32_e32 v36, v16, v11, vcc
	v_cmp_gt_u32_e32 vcc, s43, v10
	v_mov_b32_e32 v64, 0
	v_mov_b32_e32 v73, 0
	v_mov_b64_e32 v[54:55], v[30:31]
	v_mov_b32_e32 v72, 0
	v_mov_b64_e32 v[32:33], v[30:31]
	;; [unrolled: 2-line block ×3, first 2 shown]
                                        ; implicit-def: $sgpr30_sgpr31
                                        ; implicit-def: $vgpr26_vgpr27
	s_and_saveexec_b64 s[24:25], vcc
	s_cbranch_execz .LBB715_66
; %bb.57:
	ds_read2_b64 v[10:13], v74 offset0:9 offset1:10
	v_cmp_ne_u64_e32 vcc, 0, v[6:7]
	v_mov_b32_e32 v6, s57
	v_add_u32_e32 v14, 10, v75
	v_mov_b64_e32 v[30:31], 0
	s_waitcnt lgkmcnt(0)
	v_cndmask_b32_e32 v53, v11, v6, vcc
	v_mov_b32_e32 v6, s56
	s_mov_b64 s[28:29], 0
	v_cndmask_b32_e64 v71, 0, 1, vcc
	v_cndmask_b32_e32 v52, v10, v6, vcc
	v_cmp_gt_u32_e32 vcc, s43, v14
	v_mov_b32_e32 v64, 0
	v_mov_b32_e32 v73, 0
	v_mov_b64_e32 v[54:55], v[30:31]
	v_mov_b32_e32 v72, 0
	v_mov_b64_e32 v[32:33], v[30:31]
                                        ; implicit-def: $sgpr52_sgpr53
                                        ; implicit-def: $vgpr26_vgpr27
	s_and_saveexec_b64 s[26:27], vcc
	s_cbranch_execz .LBB715_65
; %bb.58:
	v_cmp_ne_u64_e32 vcc, 0, v[8:9]
	v_mov_b32_e32 v7, s57
	v_add_u32_e32 v6, 11, v75
	v_cndmask_b32_e32 v33, v13, v7, vcc
	v_mov_b32_e32 v7, s56
	v_mov_b64_e32 v[30:31], 0
	s_mov_b64 s[30:31], 0
	v_cndmask_b32_e64 v72, 0, 1, vcc
	v_cndmask_b32_e32 v32, v12, v7, vcc
	v_cmp_gt_u32_e32 vcc, s43, v6
	v_mov_b32_e32 v64, 0
	v_mov_b32_e32 v73, 0
	v_mov_b64_e32 v[54:55], v[30:31]
                                        ; implicit-def: $sgpr60_sgpr61
                                        ; implicit-def: $vgpr26_vgpr27
	s_and_saveexec_b64 s[28:29], vcc
	s_cbranch_execz .LBB715_64
; %bb.59:
	ds_read2_b64 v[6:9], v74 offset0:11 offset1:12
	v_cmp_ne_u64_e32 vcc, 0, v[2:3]
	v_mov_b32_e32 v2, s57
	v_add_u32_e32 v10, 12, v75
	s_mov_b64 s[52:53], 0
	s_waitcnt lgkmcnt(0)
	v_cndmask_b32_e32 v55, v7, v2, vcc
	v_mov_b32_e32 v2, s56
	v_cndmask_b32_e64 v73, 0, 1, vcc
	v_cndmask_b32_e32 v54, v6, v2, vcc
	v_cmp_gt_u32_e32 vcc, s43, v10
	v_mov_b32_e32 v64, 0
	v_mov_b64_e32 v[30:31], 0
                                        ; implicit-def: $sgpr60_sgpr61
                                        ; implicit-def: $vgpr26_vgpr27
	s_and_saveexec_b64 s[30:31], vcc
	s_cbranch_execz .LBB715_63
; %bb.60:
	v_cmp_ne_u64_e32 vcc, 0, v[4:5]
	v_mov_b32_e32 v3, s57
	v_add_u32_e32 v2, 13, v75
	v_cndmask_b32_e32 v31, v9, v3, vcc
	v_mov_b32_e32 v3, s56
	v_cndmask_b32_e64 v64, 0, 1, vcc
	v_cndmask_b32_e32 v30, v8, v3, vcc
	v_cmp_gt_u32_e32 vcc, s43, v2
                                        ; implicit-def: $sgpr60_sgpr61
                                        ; implicit-def: $vgpr26_vgpr27
	s_and_saveexec_b64 s[62:63], vcc
	s_xor_b64 s[62:63], exec, s[62:63]
	s_cbranch_execz .LBB715_62
; %bb.61:
	ds_read_b64 v[2:3], v74 offset:104
	v_mov_b32_e32 v4, s57
	v_mov_b32_e32 v5, s56
	v_cmp_ne_u64_e32 vcc, 0, v[56:57]
	s_mov_b64 s[52:53], exec
	s_and_b64 s[60:61], vcc, exec
	s_waitcnt lgkmcnt(0)
	v_cndmask_b32_e32 v27, v3, v4, vcc
	v_cndmask_b32_e32 v26, v2, v5, vcc
.LBB715_62:
	s_or_b64 exec, exec, s[62:63]
	s_and_b64 s[60:61], s[60:61], exec
	s_and_b64 s[52:53], s[52:53], exec
.LBB715_63:
	s_or_b64 exec, exec, s[30:31]
	s_and_b64 s[60:61], s[60:61], exec
	s_and_b64 s[30:31], s[52:53], exec
.LBB715_64:
	s_or_b64 exec, exec, s[28:29]
	s_and_b64 s[52:53], s[60:61], exec
	s_and_b64 s[28:29], s[30:31], exec
.LBB715_65:
	s_or_b64 exec, exec, s[26:27]
	s_and_b64 s[30:31], s[52:53], exec
	s_and_b64 s[26:27], s[28:29], exec
.LBB715_66:
	s_or_b64 exec, exec, s[24:25]
	s_and_b64 s[28:29], s[30:31], exec
	s_and_b64 s[24:25], s[26:27], exec
.LBB715_67:
	s_or_b64 exec, exec, s[22:23]
	s_and_b64 s[26:27], s[28:29], exec
	s_and_b64 s[22:23], s[24:25], exec
.LBB715_68:
	s_or_b64 exec, exec, s[20:21]
	s_and_b64 s[24:25], s[26:27], exec
	s_and_b64 s[20:21], s[22:23], exec
.LBB715_69:
	s_or_b64 exec, exec, s[18:19]
	s_and_b64 s[22:23], s[24:25], exec
	s_and_b64 s[18:19], s[20:21], exec
.LBB715_70:
	s_or_b64 exec, exec, s[16:17]
	s_and_b64 s[20:21], s[22:23], exec
	s_and_b64 s[16:17], s[18:19], exec
.LBB715_71:
	s_or_b64 exec, exec, s[14:15]
	s_and_b64 s[18:19], s[20:21], exec
	s_and_b64 s[14:15], s[16:17], exec
.LBB715_72:
	s_or_b64 exec, exec, s[12:13]
	s_and_b64 s[16:17], s[18:19], exec
	s_and_b64 s[12:13], s[14:15], exec
.LBB715_73:
	s_or_b64 exec, exec, s[10:11]
	s_and_b64 s[14:15], s[16:17], exec
	s_and_b64 s[10:11], s[12:13], exec
.LBB715_74:
	s_or_b64 exec, exec, s[8:9]
	s_and_b64 s[8:9], s[14:15], exec
	s_and_b64 s[10:11], s[10:11], exec
.LBB715_75:
	s_or_b64 exec, exec, s[6:7]
	s_mov_b64 s[6:7], 0
	s_and_b64 vcc, exec, s[4:5]
	v_lshlrev_b32_e32 v56, 3, v0
	s_cbranch_vccnz .LBB715_77
	s_branch .LBB715_82
.LBB715_76:
	s_mov_b64 s[10:11], 0
                                        ; implicit-def: $sgpr8_sgpr9
                                        ; implicit-def: $vgpr26_vgpr27
                                        ; implicit-def: $vgpr46_vgpr47
                                        ; implicit-def: $vgpr64
                                        ; implicit-def: $vgpr30_vgpr31
                                        ; implicit-def: $vgpr73
                                        ; implicit-def: $vgpr54_vgpr55
                                        ; implicit-def: $vgpr72
                                        ; implicit-def: $vgpr32_vgpr33
                                        ; implicit-def: $vgpr71
                                        ; implicit-def: $vgpr52_vgpr53
                                        ; implicit-def: $vgpr70
                                        ; implicit-def: $vgpr36_vgpr37
                                        ; implicit-def: $vgpr69
                                        ; implicit-def: $vgpr34_vgpr35
                                        ; implicit-def: $vgpr68
                                        ; implicit-def: $vgpr40_vgpr41
                                        ; implicit-def: $vgpr67
                                        ; implicit-def: $vgpr38_vgpr39
                                        ; implicit-def: $vgpr66
                                        ; implicit-def: $vgpr44_vgpr45
                                        ; implicit-def: $vgpr65
                                        ; implicit-def: $vgpr42_vgpr43
                                        ; implicit-def: $vgpr63
                                        ; implicit-def: $vgpr50_vgpr51
                                        ; implicit-def: $vgpr62
                                        ; implicit-def: $vgpr48_vgpr49
                                        ; implicit-def: $vgpr1
                                        ; implicit-def: $sgpr3
                                        ; implicit-def: $sgpr6_sgpr7
	s_and_b64 vcc, exec, s[4:5]
	v_lshlrev_b32_e32 v56, 3, v0
	s_cbranch_vccz .LBB715_82
.LBB715_77:
	v_mov_b32_e32 v57, 0
	v_lshl_add_u64 v[2:3], s[48:49], 0, v[56:57]
	v_add_co_u32_e32 v4, vcc, 0x1000, v2
	v_mov_b32_e32 v1, s48
	s_nop 0
	v_addc_co_u32_e32 v5, vcc, 0, v3, vcc
	flat_load_dwordx2 v[6:7], v[2:3]
	flat_load_dwordx2 v[8:9], v[2:3] offset:2048
	flat_load_dwordx2 v[10:11], v[4:5]
	flat_load_dwordx2 v[12:13], v[4:5] offset:2048
	v_add_co_u32_e32 v4, vcc, 0x2000, v2
	s_movk_i32 s4, 0x68
	s_nop 0
	v_addc_co_u32_e32 v5, vcc, 0, v3, vcc
	v_add_co_u32_e32 v14, vcc, 0x3000, v2
	s_movk_i32 s10, 0x1000
	s_nop 0
	v_addc_co_u32_e32 v15, vcc, 0, v3, vcc
	flat_load_dwordx2 v[16:17], v[4:5]
	flat_load_dwordx2 v[18:19], v[4:5] offset:2048
	flat_load_dwordx2 v[20:21], v[14:15]
	flat_load_dwordx2 v[22:23], v[14:15] offset:2048
	v_add_co_u32_e32 v4, vcc, 0x4000, v2
	s_movk_i32 s9, 0x2000
	s_nop 0
	v_addc_co_u32_e32 v5, vcc, 0, v3, vcc
	v_add_co_u32_e32 v14, vcc, 0x5000, v2
	s_movk_i32 s8, 0x3000
	s_nop 0
	v_addc_co_u32_e32 v15, vcc, 0, v3, vcc
	v_add_co_u32_e32 v2, vcc, 0x6000, v2
	flat_load_dwordx2 v[24:25], v[4:5]
	flat_load_dwordx2 v[26:27], v[4:5] offset:2048
	flat_load_dwordx2 v[28:29], v[14:15]
	flat_load_dwordx2 v[30:31], v[14:15] offset:2048
	v_addc_co_u32_e32 v3, vcc, 0, v3, vcc
	flat_load_dwordx2 v[4:5], v[2:3]
	flat_load_dwordx2 v[14:15], v[2:3] offset:2048
	v_mov_b32_e32 v3, s49
	v_add_co_u32_e32 v2, vcc, 0x7000, v1
	v_mad_u32_u24 v1, v0, s4, v56
	s_nop 0
	v_addc_co_u32_e32 v3, vcc, 0, v3, vcc
	s_movk_i32 s4, 0xff98
	s_movk_i32 s7, 0x4000
	;; [unrolled: 1-line block ×4, first 2 shown]
	s_waitcnt vmcnt(0) lgkmcnt(0)
	ds_write2st64_b64 v56, v[6:7], v[8:9] offset1:4
	ds_write2st64_b64 v56, v[10:11], v[12:13] offset0:8 offset1:12
	ds_write2st64_b64 v56, v[16:17], v[18:19] offset0:16 offset1:20
	;; [unrolled: 1-line block ×6, first 2 shown]
	s_waitcnt lgkmcnt(0)
	s_barrier
	flat_load_dwordx2 v[58:59], v[2:3]
	v_mad_i32_i24 v26, v0, s4, v1
	s_movk_i32 s4, 0xff
	v_cmp_ne_u32_e32 vcc, s4, v0
	ds_read_b128 v[44:47], v1
	ds_read_b128 v[22:25], v1 offset:16
	ds_read_b128 v[18:21], v1 offset:32
	;; [unrolled: 1-line block ×6, first 2 shown]
	s_waitcnt lgkmcnt(0)
	ds_write_b64 v26, v[44:45] offset:30720
	s_waitcnt lgkmcnt(0)
	s_barrier
	s_and_saveexec_b64 s[4:5], vcc
	s_cbranch_execz .LBB715_79
; %bb.78:
	s_waitcnt vmcnt(0)
	ds_read_b64 v[58:59], v56 offset:30728
.LBB715_79:
	s_or_b64 exec, exec, s[4:5]
	v_lshl_add_u64 v[26:27], s[46:47], 0, v[56:57]
	v_add_co_u32_e32 v28, vcc, s10, v26
	s_waitcnt lgkmcnt(0)
	s_nop 0
	v_addc_co_u32_e32 v29, vcc, 0, v27, vcc
	s_barrier
	flat_load_dwordx2 v[30:31], v[26:27]
	flat_load_dwordx2 v[32:33], v[26:27] offset:2048
	flat_load_dwordx2 v[34:35], v[28:29]
	flat_load_dwordx2 v[36:37], v[28:29] offset:2048
	v_add_co_u32_e32 v28, vcc, s9, v26
	v_cmp_eq_u64_e64 s[4:5], 0, v[46:47]
	s_nop 0
	v_addc_co_u32_e32 v29, vcc, 0, v27, vcc
	v_add_co_u32_e32 v38, vcc, s8, v26
	s_nop 1
	v_addc_co_u32_e32 v39, vcc, 0, v27, vcc
	flat_load_dwordx2 v[40:41], v[28:29]
	flat_load_dwordx2 v[42:43], v[28:29] offset:2048
	flat_load_dwordx2 v[44:45], v[38:39]
	flat_load_dwordx2 v[48:49], v[38:39] offset:2048
	v_add_co_u32_e32 v28, vcc, s7, v26
	s_nop 1
	v_addc_co_u32_e32 v29, vcc, 0, v27, vcc
	v_add_co_u32_e32 v38, vcc, s6, v26
	s_nop 1
	v_addc_co_u32_e32 v39, vcc, 0, v27, vcc
	v_add_co_u32_e32 v26, vcc, s3, v26
	flat_load_dwordx2 v[50:51], v[28:29]
	flat_load_dwordx2 v[52:53], v[28:29] offset:2048
	flat_load_dwordx2 v[54:55], v[38:39]
	flat_load_dwordx2 v[60:61], v[38:39] offset:2048
	v_addc_co_u32_e32 v27, vcc, 0, v27, vcc
	flat_load_dwordx2 v[28:29], v[26:27]
	flat_load_dwordx2 v[38:39], v[26:27] offset:2048
	v_cmp_ne_u64_e32 vcc, 0, v[46:47]
	v_mov_b64_e32 v[46:47], s[56:57]
	s_waitcnt vmcnt(0) lgkmcnt(0)
	ds_write2st64_b64 v56, v[30:31], v[32:33] offset1:4
	ds_write2st64_b64 v56, v[34:35], v[36:37] offset0:8 offset1:12
	ds_write2st64_b64 v56, v[40:41], v[42:43] offset0:16 offset1:20
	;; [unrolled: 1-line block ×6, first 2 shown]
	s_waitcnt lgkmcnt(0)
	s_barrier
	ds_read2_b64 v[48:51], v1 offset0:1 offset1:2
	ds_read2_b64 v[42:45], v1 offset0:3 offset1:4
	;; [unrolled: 1-line block ×6, first 2 shown]
	ds_read_b64 v[60:61], v1 offset:104
	s_and_saveexec_b64 s[6:7], s[4:5]
	s_cbranch_execz .LBB715_81
; %bb.80:
	ds_read_b64 v[46:47], v1
.LBB715_81:
	s_or_b64 exec, exec, s[6:7]
	v_cmp_ne_u64_e64 s[8:9], 0, v[20:21]
	v_cmp_ne_u64_e64 s[22:23], 0, v[2:3]
	v_mov_b32_e32 v2, s57
	v_mov_b32_e32 v3, s56
	v_cndmask_b32_e64 v1, 0, 1, vcc
	v_cmp_ne_u64_e32 vcc, 0, v[22:23]
	v_cmp_ne_u64_e64 s[4:5], 0, v[24:25]
	v_cmp_ne_u64_e64 s[6:7], 0, v[18:19]
	v_cndmask_b32_e64 v66, 0, 1, s[8:9]
	v_cmp_ne_u64_e64 s[10:11], 0, v[14:15]
	v_cmp_ne_u64_e64 s[12:13], 0, v[16:17]
	;; [unrolled: 1-line block ×7, first 2 shown]
	s_waitcnt lgkmcnt(5)
	v_cndmask_b32_e64 v45, v45, v2, s[8:9]
	v_cndmask_b32_e64 v44, v44, v3, s[8:9]
	v_cmp_ne_u64_e64 s[8:9], 0, v[58:59]
	v_cndmask_b32_e64 v62, 0, 1, vcc
	v_cndmask_b32_e64 v63, 0, 1, s[4:5]
	v_cndmask_b32_e64 v65, 0, 1, s[6:7]
	;; [unrolled: 1-line block ×10, first 2 shown]
	v_cndmask_b32_e32 v49, v49, v2, vcc
	v_cndmask_b32_e32 v48, v48, v3, vcc
	v_cndmask_b32_e64 v51, v51, v2, s[4:5]
	v_cndmask_b32_e64 v50, v50, v3, s[4:5]
	v_cndmask_b32_e64 v43, v43, v2, s[6:7]
	v_cndmask_b32_e64 v42, v42, v3, s[6:7]
	s_waitcnt lgkmcnt(4)
	v_cndmask_b32_e64 v39, v39, v2, s[10:11]
	v_cndmask_b32_e64 v38, v38, v3, s[10:11]
	v_cndmask_b32_e64 v41, v41, v2, s[12:13]
	v_cndmask_b32_e64 v40, v40, v3, s[12:13]
	s_waitcnt lgkmcnt(3)
	;; [unrolled: 5-line block ×5, first 2 shown]
	v_cndmask_b32_e64 v27, v61, v2, s[8:9]
	v_cndmask_b32_e64 v26, v60, v3, s[8:9]
	s_mov_b64 s[10:11], -1
                                        ; implicit-def: $sgpr3
                                        ; implicit-def: $sgpr6_sgpr7
.LBB715_82:
	v_mov_b64_e32 v[28:29], s[6:7]
	v_mov_b32_e32 v57, s3
	s_and_saveexec_b64 s[4:5], s[10:11]
; %bb.83:
	v_cndmask_b32_e64 v57, 0, 1, s[8:9]
	v_mov_b64_e32 v[28:29], v[26:27]
; %bb.84:
	s_or_b64 exec, exec, s[4:5]
	v_or_b32_e32 v2, v57, v64
	s_cmp_lg_u32 s2, 0
	v_or_b32_e32 v75, v2, v73
	v_mbcnt_lo_u32_b32 v74, -1, 0
	s_barrier
	s_cbranch_scc0 .LBB715_163
; %bb.85:
	v_mov_b32_e32 v4, 0
	v_cmp_eq_u16_sdwa s[28:29], v62, v4 src0_sel:BYTE_0 src1_sel:DWORD
	v_cmp_eq_u16_sdwa s[4:5], v63, v4 src0_sel:BYTE_0 src1_sel:DWORD
	;; [unrolled: 1-line block ×3, first 2 shown]
	v_cndmask_b32_e64 v3, 0, v47, s[28:29]
	v_cndmask_b32_e64 v2, 0, v46, s[28:29]
	v_lshl_add_u64 v[2:3], v[2:3], 0, v[48:49]
	v_cndmask_b32_e64 v3, 0, v3, s[4:5]
	v_cndmask_b32_e64 v2, 0, v2, s[4:5]
	v_lshl_add_u64 v[2:3], v[2:3], 0, v[50:51]
	v_cndmask_b32_e64 v3, 0, v3, s[6:7]
	v_cndmask_b32_e64 v2, 0, v2, s[6:7]
	v_lshl_add_u64 v[2:3], v[2:3], 0, v[42:43]
	v_cmp_eq_u16_sdwa s[8:9], v66, v4 src0_sel:BYTE_0 src1_sel:DWORD
	v_cmp_eq_u16_sdwa s[10:11], v67, v4 src0_sel:BYTE_0 src1_sel:DWORD
	;; [unrolled: 1-line block ×3, first 2 shown]
	v_cndmask_b32_e64 v3, 0, v3, s[8:9]
	v_cndmask_b32_e64 v2, 0, v2, s[8:9]
	v_lshl_add_u64 v[2:3], v[2:3], 0, v[44:45]
	v_cndmask_b32_e64 v3, 0, v3, s[10:11]
	v_cndmask_b32_e64 v2, 0, v2, s[10:11]
	v_lshl_add_u64 v[2:3], v[2:3], 0, v[38:39]
	v_cndmask_b32_e64 v3, 0, v3, s[12:13]
	v_cndmask_b32_e64 v2, 0, v2, s[12:13]
	v_lshl_add_u64 v[2:3], v[2:3], 0, v[40:41]
	v_cmp_eq_u16_sdwa s[14:15], v69, v4 src0_sel:BYTE_0 src1_sel:DWORD
	v_cmp_eq_u16_sdwa s[16:17], v70, v4 src0_sel:BYTE_0 src1_sel:DWORD
	;; [unrolled: 1-line block ×3, first 2 shown]
	v_cndmask_b32_e64 v3, 0, v3, s[14:15]
	v_cndmask_b32_e64 v2, 0, v2, s[14:15]
	v_lshl_add_u64 v[2:3], v[2:3], 0, v[34:35]
	v_cndmask_b32_e64 v3, 0, v3, s[16:17]
	v_cndmask_b32_e64 v2, 0, v2, s[16:17]
	v_cmp_eq_u16_sdwa s[20:21], v72, v4 src0_sel:BYTE_0 src1_sel:DWORD
	v_cmp_eq_u16_sdwa s[22:23], v73, v4 src0_sel:BYTE_0 src1_sel:DWORD
	;; [unrolled: 1-line block ×3, first 2 shown]
	v_cmp_eq_u16_sdwa vcc, v57, v4 src0_sel:BYTE_0 src1_sel:DWORD
	v_or_b32_e32 v4, v75, v72
	v_lshl_add_u64 v[2:3], v[2:3], 0, v[36:37]
	v_or_b32_e32 v4, v4, v71
	v_cndmask_b32_e64 v3, 0, v3, s[18:19]
	v_cndmask_b32_e64 v2, 0, v2, s[18:19]
	v_or_b32_e32 v4, v4, v70
	v_lshl_add_u64 v[2:3], v[2:3], 0, v[52:53]
	v_or_b32_e32 v4, v4, v69
	v_cndmask_b32_e64 v3, 0, v3, s[20:21]
	v_cndmask_b32_e64 v2, 0, v2, s[20:21]
	;; [unrolled: 5-line block ×4, first 2 shown]
	v_or_b32_e32 v4, v4, v63
	v_lshl_add_u64 v[2:3], v[2:3], 0, v[30:31]
	v_or_b32_e32 v4, v4, v62
	v_cndmask_b32_e32 v3, 0, v3, vcc
	v_cndmask_b32_e32 v2, 0, v2, vcc
	v_or_b32_e32 v4, v4, v1
	v_mbcnt_hi_u32_b32 v9, -1, v74
	v_lshl_add_u64 v[2:3], v[2:3], 0, v[28:29]
	v_and_b32_e32 v8, 1, v4
	v_and_b32_e32 v5, 15, v9
	v_cmp_eq_u32_e32 vcc, 1, v8
	v_mov_b32_dpp v7, v2 row_shr:1 row_mask:0xf bank_mask:0xf
	v_mov_b32_dpp v10, v3 row_shr:1 row_mask:0xf bank_mask:0xf
	;; [unrolled: 1-line block ×3, first 2 shown]
	v_cmp_ne_u32_e64 s[26:27], 0, v5
	v_mov_b32_e32 v4, v8
	s_and_saveexec_b64 s[30:31], s[26:27]
; %bb.86:
	v_and_b32_e32 v4, 1, v6
	v_cndmask_b32_e64 v11, v10, 0, vcc
	v_cndmask_b32_e64 v10, v7, 0, vcc
	v_or_b32_e32 v8, v4, v8
	v_lshl_add_u64 v[2:3], v[10:11], 0, v[2:3]
	v_and_b32_e32 v4, 0xffff, v8
; %bb.87:
	s_or_b64 exec, exec, s[30:31]
	v_mov_b32_dpp v7, v2 row_shr:2 row_mask:0xf bank_mask:0xf
	v_mov_b32_dpp v10, v3 row_shr:2 row_mask:0xf bank_mask:0xf
	;; [unrolled: 1-line block ×3, first 2 shown]
	v_cmp_lt_u32_e32 vcc, 1, v5
	s_and_saveexec_b64 s[30:31], vcc
; %bb.88:
	v_cmp_eq_u16_e32 vcc, 0, v8
	v_and_b32_e32 v4, 1, v8
	s_nop 0
	v_cndmask_b32_e32 v11, 0, v10, vcc
	v_cndmask_b32_e32 v10, 0, v7, vcc
	v_cmp_eq_u32_e32 vcc, 1, v4
	v_and_b32_e32 v4, 1, v6
	v_cmp_eq_u32_e64 s[26:27], 1, v4
	s_or_b64 s[26:27], vcc, s[26:27]
	v_lshl_add_u64 v[2:3], v[10:11], 0, v[2:3]
	v_cndmask_b32_e64 v8, 0, 1, s[26:27]
	v_cndmask_b32_e64 v4, 0, 1, s[26:27]
; %bb.89:
	s_or_b64 exec, exec, s[30:31]
	v_mov_b32_dpp v7, v2 row_shr:4 row_mask:0xf bank_mask:0xf
	v_mov_b32_dpp v10, v3 row_shr:4 row_mask:0xf bank_mask:0xf
	;; [unrolled: 1-line block ×3, first 2 shown]
	v_cmp_lt_u32_e32 vcc, 3, v5
	s_and_saveexec_b64 s[30:31], vcc
; %bb.90:
	v_cmp_eq_u16_e32 vcc, 0, v8
	v_and_b32_e32 v4, 1, v8
	s_nop 0
	v_cndmask_b32_e32 v11, 0, v10, vcc
	v_cndmask_b32_e32 v10, 0, v7, vcc
	v_cmp_eq_u32_e32 vcc, 1, v4
	v_and_b32_e32 v4, 1, v6
	v_cmp_eq_u32_e64 s[26:27], 1, v4
	s_or_b64 s[26:27], vcc, s[26:27]
	v_lshl_add_u64 v[2:3], v[10:11], 0, v[2:3]
	v_cndmask_b32_e64 v8, 0, 1, s[26:27]
	v_cndmask_b32_e64 v4, 0, 1, s[26:27]
; %bb.91:
	s_or_b64 exec, exec, s[30:31]
	v_mov_b32_dpp v7, v2 row_shr:8 row_mask:0xf bank_mask:0xf
	v_mov_b32_dpp v10, v3 row_shr:8 row_mask:0xf bank_mask:0xf
	;; [unrolled: 1-line block ×3, first 2 shown]
	v_cmp_lt_u32_e32 vcc, 7, v5
	s_and_saveexec_b64 s[30:31], vcc
; %bb.92:
	v_cmp_eq_u16_e32 vcc, 0, v8
	s_nop 1
	v_cndmask_b32_e32 v5, 0, v10, vcc
	v_cndmask_b32_e32 v4, 0, v7, vcc
	v_lshl_add_u64 v[2:3], v[4:5], 0, v[2:3]
	v_and_b32_e32 v4, 1, v8
	v_cmp_eq_u32_e32 vcc, 1, v4
	v_and_b32_e32 v4, 1, v6
	v_cmp_eq_u32_e64 s[26:27], 1, v4
	s_or_b64 s[26:27], vcc, s[26:27]
	s_nop 0
	v_cndmask_b32_e64 v8, 0, 1, s[26:27]
	v_cndmask_b32_e64 v4, 0, 1, s[26:27]
; %bb.93:
	s_or_b64 exec, exec, s[30:31]
	v_and_b32_e32 v10, 16, v9
	v_mov_b32_dpp v6, v2 row_bcast:15 row_mask:0xf bank_mask:0xf
	v_mov_b32_dpp v7, v3 row_bcast:15 row_mask:0xf bank_mask:0xf
	;; [unrolled: 1-line block ×3, first 2 shown]
	v_cmp_ne_u32_e32 vcc, 0, v10
	s_and_saveexec_b64 s[30:31], vcc
; %bb.94:
	v_cmp_eq_u16_e32 vcc, 0, v8
	v_and_b32_e32 v4, 1, v8
	s_nop 0
	v_cndmask_b32_e32 v7, 0, v7, vcc
	v_cndmask_b32_e32 v6, 0, v6, vcc
	v_cmp_eq_u32_e32 vcc, 1, v4
	v_and_b32_e32 v4, 1, v5
	v_cmp_eq_u32_e64 s[26:27], 1, v4
	s_or_b64 s[26:27], vcc, s[26:27]
	v_lshl_add_u64 v[2:3], v[6:7], 0, v[2:3]
	v_cndmask_b32_e64 v8, 0, 1, s[26:27]
	v_cndmask_b32_e64 v4, 0, 1, s[26:27]
; %bb.95:
	s_or_b64 exec, exec, s[30:31]
	v_mov_b32_dpp v5, v2 row_bcast:31 row_mask:0xf bank_mask:0xf
	v_mov_b32_dpp v6, v3 row_bcast:31 row_mask:0xf bank_mask:0xf
	;; [unrolled: 1-line block ×3, first 2 shown]
	v_cmp_lt_u32_e32 vcc, 31, v9
	s_and_saveexec_b64 s[30:31], vcc
; %bb.96:
	v_cmp_eq_u16_e32 vcc, 0, v8
	v_and_b32_e32 v4, 1, v4
	v_cmp_eq_u32_e64 s[26:27], 1, v4
	v_cndmask_b32_e32 v7, 0, v6, vcc
	v_cndmask_b32_e32 v6, 0, v5, vcc
	v_and_b32_e32 v5, 1, v8
	v_cmp_eq_u32_e32 vcc, 1, v5
	s_or_b64 s[26:27], vcc, s[26:27]
	v_lshl_add_u64 v[2:3], v[6:7], 0, v[2:3]
	v_cndmask_b32_e64 v8, 0, 1, s[26:27]
; %bb.97:
	s_or_b64 exec, exec, s[30:31]
	v_or_b32_e32 v4, 63, v0
	v_lshrrev_b32_e32 v10, 6, v0
	v_cmp_eq_u32_e32 vcc, v4, v0
	s_and_saveexec_b64 s[26:27], vcc
	s_cbranch_execz .LBB715_99
; %bb.98:
	v_lshlrev_b32_e32 v4, 4, v10
	ds_write_b64 v4, v[2:3]
	ds_write_b8 v4, v8 offset:8
.LBB715_99:
	s_or_b64 exec, exec, s[26:27]
	v_cmp_gt_u32_e32 vcc, 4, v0
	s_waitcnt lgkmcnt(0)
	s_barrier
	s_and_saveexec_b64 s[30:31], vcc
	s_cbranch_execz .LBB715_105
; %bb.100:
	v_lshlrev_b32_e32 v6, 4, v0
	ds_read_b64 v[4:5], v6
	ds_read_b32 v7, v6 offset:8
	v_and_b32_e32 v11, 3, v9
	v_cmp_ne_u32_e32 vcc, 0, v11
	s_waitcnt lgkmcnt(1)
	v_mov_b32_dpp v15, v4 row_shr:1 row_mask:0xf bank_mask:0xf
	v_mov_b32_dpp v16, v5 row_shr:1 row_mask:0xf bank_mask:0xf
	s_waitcnt lgkmcnt(0)
	v_mov_b32_dpp v14, v7 row_shr:1 row_mask:0xf bank_mask:0xf
	v_mov_b32_e32 v12, v7
	v_mov_b32_e32 v13, v7
	s_and_saveexec_b64 s[26:27], vcc
; %bb.101:
	v_mov_b32_e32 v12, 0
	v_cmp_eq_u16_sdwa vcc, v7, v12 src0_sel:BYTE_0 src1_sel:DWORD
	s_movk_i32 s3, 0xff00
	s_nop 0
	v_cndmask_b32_e32 v13, 0, v16, vcc
	v_cndmask_b32_e32 v12, 0, v15, vcc
	v_lshl_add_u64 v[4:5], v[12:13], 0, v[4:5]
	v_or_b32_e32 v13, v14, v7
	v_and_b32_e32 v12, 1, v13
	v_and_b32_e32 v13, 1, v13
	v_and_or_b32 v7, v7, s3, v13
; %bb.102:
	s_or_b64 exec, exec, s[26:27]
	v_mov_b32_dpp v14, v4 row_shr:2 row_mask:0xf bank_mask:0xf
	v_mov_b32_dpp v15, v5 row_shr:2 row_mask:0xf bank_mask:0xf
	v_mov_b32_dpp v7, v7 row_shr:2 row_mask:0xf bank_mask:0xf
	v_cmp_lt_u32_e32 vcc, 1, v11
	s_and_saveexec_b64 s[46:47], vcc
; %bb.103:
	v_mov_b32_e32 v11, 0
	v_cmp_eq_u16_sdwa vcc, v13, v11 src0_sel:BYTE_0 src1_sel:DWORD
	v_and_b32_e32 v11, 1, v13
	v_and_b32_e32 v7, 1, v7
	v_cndmask_b32_e32 v15, 0, v15, vcc
	v_cndmask_b32_e32 v14, 0, v14, vcc
	v_cmp_eq_u32_e32 vcc, 1, v11
	v_cmp_eq_u32_e64 s[26:27], 1, v7
	s_or_b64 s[26:27], vcc, s[26:27]
	v_lshl_add_u64 v[4:5], v[14:15], 0, v[4:5]
	v_cndmask_b32_e64 v12, 0, 1, s[26:27]
; %bb.104:
	s_or_b64 exec, exec, s[46:47]
	ds_write_b64 v6, v[4:5]
	ds_write_b8 v6, v12 offset:8
.LBB715_105:
	s_or_b64 exec, exec, s[30:31]
	v_cmp_gt_u32_e32 vcc, 64, v0
	v_cmp_lt_u32_e64 s[26:27], 63, v0
	v_mov_b32_e32 v16, 0
	v_mov_b64_e32 v[6:7], 0
	s_waitcnt lgkmcnt(0)
	s_barrier
	s_and_saveexec_b64 s[30:31], s[26:27]
	s_cbranch_execz .LBB715_107
; %bb.106:
	v_lshl_add_u32 v4, v10, 4, -16
	ds_read_b64 v[6:7], v4
	ds_read_u8 v16, v4 offset:8
	v_cmp_eq_u16_e64 s[26:27], 0, v8
	s_waitcnt lgkmcnt(0)
	v_or_b32_e32 v8, v8, v16
	v_cndmask_b32_e64 v5, 0, v7, s[26:27]
	v_cndmask_b32_e64 v4, 0, v6, s[26:27]
	v_lshl_add_u64 v[2:3], v[2:3], 0, v[4:5]
	v_and_b32_e32 v8, 1, v8
.LBB715_107:
	s_or_b64 exec, exec, s[30:31]
	v_add_u32_e32 v4, -1, v9
	v_and_b32_e32 v5, 64, v9
	v_cmp_lt_i32_e64 s[26:27], v4, v5
	s_nop 1
	v_cndmask_b32_e64 v4, v4, v9, s[26:27]
	v_lshlrev_b32_e32 v4, 2, v4
	ds_bpermute_b32 v17, v4, v2
	v_and_b32_e32 v2, 0xffff, v8
	ds_bpermute_b32 v18, v4, v3
	ds_bpermute_b32 v19, v4, v2
	v_cmp_eq_u32_e64 s[26:27], 0, v9
	s_and_saveexec_b64 s[46:47], vcc
	s_cbranch_execz .LBB715_150
; %bb.108:
	v_mov_b32_e32 v11, 0
	ds_read2_b64 v[2:5], v11 offset0:6 offset1:7
	s_and_saveexec_b64 s[30:31], s[26:27]
	s_cbranch_execz .LBB715_110
; %bb.109:
	s_add_i32 s48, s2, 64
	s_mov_b32 s49, 0
	s_lshl_b64 s[52:53], s[48:49], 4
	s_add_u32 s52, s36, s52
	s_addc_u32 s53, s37, s53
	s_waitcnt lgkmcnt(0)
	global_store_dword v11, v2, s[52:53] sc1
	global_store_dword v11, v3, s[52:53] offset:4 sc1
	global_store_dword v11, v4, s[52:53] offset:8 sc1
	global_store_dword v11, v5, s[52:53] offset:12 sc1
	v_mov_b32_e32 v5, s48
	v_mov_b32_e32 v8, 1
	s_waitcnt vmcnt(0)
	global_store_byte v5, v8, s[40:41] sc1
.LBB715_110:
	s_or_b64 exec, exec, s[30:31]
	v_xad_u32 v8, v9, -1, s2
	v_add_u32_e32 v10, 64, v8
	s_waitcnt lgkmcnt(0)
	global_load_ubyte v5, v10, s[40:41] sc1
	s_waitcnt vmcnt(0)
	v_cmp_eq_u16_e32 vcc, 0, v5
	s_and_saveexec_b64 s[30:31], vcc
	s_cbranch_execz .LBB715_114
; %bb.111:
	v_lshl_add_u64 v[12:13], s[40:41], 0, v[10:11]
	s_mov_b64 s[48:49], 0
.LBB715_112:                            ; =>This Inner Loop Header: Depth=1
	global_load_ubyte v5, v[12:13], off sc1
	s_waitcnt vmcnt(0)
	v_cmp_ne_u16_e32 vcc, 0, v5
	s_or_b64 s[48:49], vcc, s[48:49]
	s_andn2_b64 exec, exec, s[48:49]
	s_cbranch_execnz .LBB715_112
; %bb.113:
	s_or_b64 exec, exec, s[48:49]
.LBB715_114:
	s_or_b64 exec, exec, s[30:31]
	v_mov_b32_e32 v12, s39
	v_mov_b32_e32 v13, s37
	v_cmp_eq_u16_e32 vcc, 1, v5
	v_mov_b32_e32 v14, s36
	s_waitcnt vmcnt(0)
	v_cndmask_b32_e32 v13, v12, v13, vcc
	v_mov_b32_e32 v12, s38
	v_cndmask_b32_e32 v12, v12, v14, vcc
	v_lshl_add_u64 v[10:11], v[10:11], 4, v[12:13]
	global_load_dword v14, v[10:11], off sc1
	global_load_dword v15, v[10:11], off offset:4 sc1
	global_load_dword v78, v[10:11], off offset:8 sc1
	s_nop 0
	global_load_dword v10, v[10:11], off offset:12 sc1
	v_cmp_eq_u16_e32 vcc, 2, v5
	s_waitcnt vmcnt(0)
	v_lshlrev_b64 v[10:11], v9, -1
	v_and_b32_e32 v20, 63, v9
	v_and_b32_e32 v12, vcc_hi, v11
	v_and_b32_e32 v25, vcc_lo, v10
	v_cmp_ne_u32_e32 vcc, 63, v20
	v_or_b32_e32 v12, 0x80000000, v12
	v_ffbl_b32_e32 v12, v12
	v_addc_co_u32_e32 v13, vcc, 0, v9, vcc
	v_lshlrev_b32_e32 v21, 2, v13
	v_add_u32_e32 v12, 32, v12
	v_ffbl_b32_e32 v25, v25
	v_min_u32_e32 v12, v25, v12
	v_cmp_lt_u32_e32 vcc, v20, v12
	ds_bpermute_b32 v23, v21, v14
	ds_bpermute_b32 v24, v21, v15
	v_and_b32_e32 v13, 0xff, v78
	ds_bpermute_b32 v22, v21, v13
	s_and_saveexec_b64 s[30:31], vcc
	s_cbranch_execz .LBB715_116
; %bb.115:
	v_mov_b32_e32 v13, 0
	v_cmp_eq_u16_sdwa vcc, v78, v13 src0_sel:BYTE_0 src1_sel:DWORD
	s_waitcnt lgkmcnt(0)
	v_or_b32_e32 v13, v22, v78
	v_and_b32_e32 v78, 1, v13
	v_cndmask_b32_e32 v25, 0, v24, vcc
	v_cndmask_b32_e32 v24, 0, v23, vcc
	v_lshl_add_u64 v[14:15], v[24:25], 0, v[14:15]
	v_and_b32_e32 v13, 1, v13
.LBB715_116:
	s_or_b64 exec, exec, s[30:31]
	v_cmp_gt_u32_e32 vcc, 62, v20
	s_waitcnt lgkmcnt(2)
	v_add_u32_e32 v23, 2, v20
	s_waitcnt lgkmcnt(0)
	v_cndmask_b32_e64 v22, 0, 1, vcc
	v_lshlrev_b32_e32 v22, 1, v22
	v_add_lshl_u32 v22, v22, v9, 2
	ds_bpermute_b32 v25, v22, v14
	ds_bpermute_b32 v26, v22, v15
	ds_bpermute_b32 v24, v22, v13
	v_cmp_le_u32_e32 vcc, v23, v12
	s_and_saveexec_b64 s[48:49], vcc
	s_cbranch_execz .LBB715_118
; %bb.117:
	v_mov_b32_e32 v13, 0
	v_cmp_eq_u16_sdwa vcc, v78, v13 src0_sel:BYTE_0 src1_sel:DWORD
	v_and_b32_e32 v13, 1, v78
	s_waitcnt lgkmcnt(1)
	v_cndmask_b32_e32 v27, 0, v26, vcc
	v_cndmask_b32_e32 v26, 0, v25, vcc
	v_cmp_eq_u32_e32 vcc, 1, v13
	s_waitcnt lgkmcnt(0)
	v_and_b32_e32 v13, 1, v24
	v_cmp_eq_u32_e64 s[30:31], 1, v13
	s_or_b64 s[30:31], vcc, s[30:31]
	v_lshl_add_u64 v[14:15], v[26:27], 0, v[14:15]
	v_cndmask_b32_e64 v78, 0, 1, s[30:31]
	v_cndmask_b32_e64 v13, 0, 1, s[30:31]
.LBB715_118:
	s_or_b64 exec, exec, s[48:49]
	v_cmp_gt_u32_e32 vcc, 60, v20
	s_waitcnt lgkmcnt(2)
	v_add_u32_e32 v25, 4, v20
	s_waitcnt lgkmcnt(0)
	v_cndmask_b32_e64 v24, 0, 1, vcc
	v_lshlrev_b32_e32 v24, 2, v24
	v_add_lshl_u32 v24, v24, v9, 2
	ds_bpermute_b32 v27, v24, v14
	ds_bpermute_b32 v58, v24, v15
	ds_bpermute_b32 v26, v24, v13
	v_cmp_le_u32_e32 vcc, v25, v12
	s_and_saveexec_b64 s[48:49], vcc
	s_cbranch_execz .LBB715_120
; %bb.119:
	v_mov_b32_e32 v13, 0
	v_cmp_eq_u16_sdwa vcc, v78, v13 src0_sel:BYTE_0 src1_sel:DWORD
	v_and_b32_e32 v13, 1, v78
	s_waitcnt lgkmcnt(1)
	v_cndmask_b32_e32 v59, 0, v58, vcc
	v_cndmask_b32_e32 v58, 0, v27, vcc
	v_cmp_eq_u32_e32 vcc, 1, v13
	s_waitcnt lgkmcnt(0)
	v_and_b32_e32 v13, 1, v26
	v_cmp_eq_u32_e64 s[30:31], 1, v13
	s_or_b64 s[30:31], vcc, s[30:31]
	v_lshl_add_u64 v[14:15], v[58:59], 0, v[14:15]
	v_cndmask_b32_e64 v78, 0, 1, s[30:31]
	v_cndmask_b32_e64 v13, 0, 1, s[30:31]
.LBB715_120:
	;; [unrolled: 30-line block ×4, first 2 shown]
	s_or_b64 exec, exec, s[48:49]
	v_cmp_gt_u32_e32 vcc, 32, v20
	s_waitcnt lgkmcnt(1)
	v_add_u32_e32 v76, 32, v20
	s_waitcnt lgkmcnt(0)
	v_cndmask_b32_e64 v60, 0, 1, vcc
	v_lshlrev_b32_e32 v60, 5, v60
	v_add_lshl_u32 v61, v60, v9, 2
	ds_bpermute_b32 v60, v61, v14
	ds_bpermute_b32 v77, v61, v15
	;; [unrolled: 1-line block ×3, first 2 shown]
	v_cmp_le_u32_e32 vcc, v76, v12
	s_and_saveexec_b64 s[48:49], vcc
	s_cbranch_execz .LBB715_126
; %bb.125:
	v_mov_b32_e32 v12, 0
	v_cmp_eq_u16_sdwa vcc, v78, v12 src0_sel:BYTE_0 src1_sel:DWORD
	s_waitcnt lgkmcnt(0)
	v_and_b32_e32 v9, 1, v9
	v_cmp_eq_u32_e64 s[30:31], 1, v9
	v_cndmask_b32_e32 v13, 0, v77, vcc
	v_cndmask_b32_e32 v12, 0, v60, vcc
	v_lshl_add_u64 v[14:15], v[12:13], 0, v[14:15]
	v_and_b32_e32 v12, 1, v78
	v_cmp_eq_u32_e32 vcc, 1, v12
	s_or_b64 s[30:31], vcc, s[30:31]
	v_cndmask_b32_e64 v78, 0, 1, s[30:31]
.LBB715_126:
	s_or_b64 exec, exec, s[48:49]
	s_waitcnt lgkmcnt(0)
	v_mov_b32_e32 v9, 0
	v_mov_b32_e32 v77, 2
	s_branch .LBB715_128
.LBB715_127:                            ;   in Loop: Header=BB715_128 Depth=1
	s_or_b64 exec, exec, s[52:53]
	v_cmp_eq_u16_sdwa vcc, v60, v9 src0_sel:BYTE_0 src1_sel:DWORD
	v_and_b32_e32 v78, 1, v60
	v_subrev_u32_e32 v8, 64, v8
	v_cndmask_b32_e32 v15, 0, v15, vcc
	v_cndmask_b32_e32 v14, 0, v14, vcc
	v_cmp_eq_u32_e32 vcc, 1, v78
	s_or_b64 s[30:31], vcc, s[48:49]
	v_lshl_add_u64 v[14:15], v[14:15], 0, v[12:13]
	v_cndmask_b32_e64 v78, 0, 1, s[30:31]
.LBB715_128:                            ; =>This Loop Header: Depth=1
                                        ;     Child Loop BB715_131 Depth 2
	v_cmp_ne_u16_sdwa s[30:31], v5, v77 src0_sel:BYTE_0 src1_sel:DWORD
	v_mov_b32_e32 v60, v78
	v_mov_b64_e32 v[12:13], v[14:15]
	v_cndmask_b32_e64 v5, 0, 1, s[30:31]
	;;#ASMSTART
	;;#ASMEND
	s_nop 0
	v_cmp_ne_u32_e32 vcc, 0, v5
	s_cmp_lg_u64 vcc, exec
	s_cbranch_scc1 .LBB715_145
; %bb.129:                              ;   in Loop: Header=BB715_128 Depth=1
	global_load_ubyte v5, v8, s[40:41] sc1
	s_waitcnt vmcnt(0)
	v_cmp_eq_u16_e32 vcc, 0, v5
	s_and_saveexec_b64 s[30:31], vcc
	s_cbranch_execz .LBB715_133
; %bb.130:                              ;   in Loop: Header=BB715_128 Depth=1
	v_lshl_add_u64 v[14:15], s[40:41], 0, v[8:9]
	s_mov_b64 s[48:49], 0
.LBB715_131:                            ;   Parent Loop BB715_128 Depth=1
                                        ; =>  This Inner Loop Header: Depth=2
	global_load_ubyte v5, v[14:15], off sc1
	s_waitcnt vmcnt(0)
	v_cmp_ne_u16_e32 vcc, 0, v5
	s_or_b64 s[48:49], vcc, s[48:49]
	s_andn2_b64 exec, exec, s[48:49]
	s_cbranch_execnz .LBB715_131
; %bb.132:                              ;   in Loop: Header=BB715_128 Depth=1
	s_or_b64 exec, exec, s[48:49]
.LBB715_133:                            ;   in Loop: Header=BB715_128 Depth=1
	s_or_b64 exec, exec, s[30:31]
	v_mov_b32_e32 v14, s39
	v_mov_b32_e32 v15, s37
	v_cmp_eq_u16_e32 vcc, 1, v5
	v_mov_b32_e32 v78, s36
	s_waitcnt vmcnt(0)
	v_cndmask_b32_e32 v15, v14, v15, vcc
	v_mov_b32_e32 v14, s38
	v_cndmask_b32_e32 v14, v14, v78, vcc
	s_waitcnt lgkmcnt(0)
	v_lshl_add_u64 v[80:81], v[8:9], 4, v[14:15]
	global_load_dword v14, v[80:81], off sc1
	global_load_dword v15, v[80:81], off offset:4 sc1
	global_load_dword v78, v[80:81], off offset:8 sc1
	;; [unrolled: 1-line block ×3, first 2 shown]
	v_cmp_eq_u16_e32 vcc, 2, v5
	s_waitcnt vmcnt(3)
	ds_bpermute_b32 v82, v21, v14
	s_waitcnt vmcnt(0)
	v_and_b32_e32 v79, vcc_hi, v11
	v_and_b32_e32 v80, 0xff, v78
	v_or_b32_e32 v79, 0x80000000, v79
	ds_bpermute_b32 v83, v21, v15
	ds_bpermute_b32 v81, v21, v80
	v_and_b32_e32 v84, vcc_lo, v10
	v_ffbl_b32_e32 v79, v79
	v_add_u32_e32 v79, 32, v79
	v_ffbl_b32_e32 v84, v84
	v_min_u32_e32 v79, v84, v79
	v_cmp_lt_u32_e32 vcc, v20, v79
	s_and_saveexec_b64 s[30:31], vcc
	s_cbranch_execz .LBB715_135
; %bb.134:                              ;   in Loop: Header=BB715_128 Depth=1
	v_cmp_eq_u16_sdwa vcc, v78, v9 src0_sel:BYTE_0 src1_sel:DWORD
	s_waitcnt lgkmcnt(0)
	v_or_b32_e32 v80, v81, v78
	v_and_b32_e32 v78, 1, v80
	v_cndmask_b32_e32 v83, 0, v83, vcc
	v_cndmask_b32_e32 v82, 0, v82, vcc
	v_lshl_add_u64 v[14:15], v[82:83], 0, v[14:15]
	v_and_b32_e32 v80, 1, v80
.LBB715_135:                            ;   in Loop: Header=BB715_128 Depth=1
	s_or_b64 exec, exec, s[30:31]
	s_waitcnt lgkmcnt(2)
	ds_bpermute_b32 v82, v22, v14
	s_waitcnt lgkmcnt(2)
	ds_bpermute_b32 v83, v22, v15
	;; [unrolled: 2-line block ×3, first 2 shown]
	v_and_b32_e32 v84, 1, v78
	v_cmp_le_u32_e32 vcc, v23, v79
	v_cmp_eq_u32_e64 s[48:49], 1, v84
	s_and_saveexec_b64 s[30:31], vcc
	s_cbranch_execz .LBB715_137
; %bb.136:                              ;   in Loop: Header=BB715_128 Depth=1
	v_cmp_eq_u16_sdwa vcc, v78, v9 src0_sel:BYTE_0 src1_sel:DWORD
	s_waitcnt lgkmcnt(0)
	v_and_b32_e32 v78, 1, v81
	v_cndmask_b32_e32 v83, 0, v83, vcc
	v_cndmask_b32_e32 v82, 0, v82, vcc
	v_cmp_eq_u32_e32 vcc, 1, v78
	s_or_b64 s[52:53], s[48:49], vcc
	v_cndmask_b32_e64 v78, 0, 1, s[52:53]
	v_cndmask_b32_e64 v80, 0, 1, s[52:53]
	s_andn2_b64 s[48:49], s[48:49], exec
	s_and_b64 s[52:53], s[52:53], exec
	v_lshl_add_u64 v[14:15], v[82:83], 0, v[14:15]
	s_or_b64 s[48:49], s[48:49], s[52:53]
.LBB715_137:                            ;   in Loop: Header=BB715_128 Depth=1
	s_or_b64 exec, exec, s[30:31]
	s_waitcnt lgkmcnt(2)
	ds_bpermute_b32 v82, v24, v14
	s_waitcnt lgkmcnt(2)
	ds_bpermute_b32 v83, v24, v15
	s_waitcnt lgkmcnt(2)
	ds_bpermute_b32 v81, v24, v80
	v_cmp_le_u32_e32 vcc, v25, v79
	s_and_saveexec_b64 s[52:53], vcc
	s_cbranch_execz .LBB715_139
; %bb.138:                              ;   in Loop: Header=BB715_128 Depth=1
	v_cmp_eq_u16_sdwa vcc, v78, v9 src0_sel:BYTE_0 src1_sel:DWORD
	v_and_b32_e32 v78, 1, v78
	s_andn2_b64 s[48:49], s[48:49], exec
	s_waitcnt lgkmcnt(1)
	v_cndmask_b32_e32 v83, 0, v83, vcc
	v_cndmask_b32_e32 v82, 0, v82, vcc
	v_cmp_eq_u32_e32 vcc, 1, v78
	s_waitcnt lgkmcnt(0)
	v_and_b32_e32 v78, 1, v81
	v_cmp_eq_u32_e64 s[30:31], 1, v78
	s_or_b64 s[30:31], vcc, s[30:31]
	v_lshl_add_u64 v[14:15], v[82:83], 0, v[14:15]
	v_cndmask_b32_e64 v78, 0, 1, s[30:31]
	v_cndmask_b32_e64 v80, 0, 1, s[30:31]
	s_and_b64 s[30:31], s[30:31], exec
	s_or_b64 s[48:49], s[48:49], s[30:31]
.LBB715_139:                            ;   in Loop: Header=BB715_128 Depth=1
	s_or_b64 exec, exec, s[52:53]
	s_waitcnt lgkmcnt(2)
	ds_bpermute_b32 v82, v26, v14
	s_waitcnt lgkmcnt(2)
	ds_bpermute_b32 v83, v26, v15
	s_waitcnt lgkmcnt(2)
	ds_bpermute_b32 v81, v26, v80
	v_cmp_le_u32_e32 vcc, v27, v79
	s_and_saveexec_b64 s[52:53], vcc
	s_cbranch_execz .LBB715_141
; %bb.140:                              ;   in Loop: Header=BB715_128 Depth=1
	v_cmp_eq_u16_sdwa vcc, v78, v9 src0_sel:BYTE_0 src1_sel:DWORD
	v_and_b32_e32 v78, 1, v78
	s_andn2_b64 s[48:49], s[48:49], exec
	s_waitcnt lgkmcnt(1)
	v_cndmask_b32_e32 v83, 0, v83, vcc
	v_cndmask_b32_e32 v82, 0, v82, vcc
	v_cmp_eq_u32_e32 vcc, 1, v78
	s_waitcnt lgkmcnt(0)
	v_and_b32_e32 v78, 1, v81
	v_cmp_eq_u32_e64 s[30:31], 1, v78
	s_or_b64 s[30:31], vcc, s[30:31]
	v_lshl_add_u64 v[14:15], v[82:83], 0, v[14:15]
	v_cndmask_b32_e64 v78, 0, 1, s[30:31]
	v_cndmask_b32_e64 v80, 0, 1, s[30:31]
	s_and_b64 s[30:31], s[30:31], exec
	s_or_b64 s[48:49], s[48:49], s[30:31]
.LBB715_141:                            ;   in Loop: Header=BB715_128 Depth=1
	;; [unrolled: 28-line block ×3, first 2 shown]
	s_or_b64 exec, exec, s[52:53]
	s_waitcnt lgkmcnt(0)
	ds_bpermute_b32 v81, v61, v14
	ds_bpermute_b32 v82, v61, v15
	ds_bpermute_b32 v80, v61, v80
	v_cmp_le_u32_e32 vcc, v76, v79
	s_and_saveexec_b64 s[52:53], vcc
	s_cbranch_execz .LBB715_127
; %bb.144:                              ;   in Loop: Header=BB715_128 Depth=1
	v_cmp_eq_u16_sdwa vcc, v78, v9 src0_sel:BYTE_0 src1_sel:DWORD
	v_and_b32_e32 v78, 1, v78
	s_andn2_b64 s[48:49], s[48:49], exec
	s_waitcnt lgkmcnt(1)
	v_cndmask_b32_e32 v83, 0, v82, vcc
	v_cndmask_b32_e32 v82, 0, v81, vcc
	v_cmp_eq_u32_e32 vcc, 1, v78
	s_waitcnt lgkmcnt(0)
	v_and_b32_e32 v78, 1, v80
	v_cmp_eq_u32_e64 s[30:31], 1, v78
	s_or_b64 s[30:31], vcc, s[30:31]
	s_and_b64 s[30:31], s[30:31], exec
	v_lshl_add_u64 v[14:15], v[82:83], 0, v[14:15]
	s_or_b64 s[48:49], s[48:49], s[30:31]
	s_branch .LBB715_127
.LBB715_145:                            ;   in Loop: Header=BB715_128 Depth=1
                                        ; implicit-def: $vgpr78
                                        ; implicit-def: $vgpr14_vgpr15
                                        ; implicit-def: $vgpr5
	s_cbranch_execz .LBB715_128
; %bb.146:
	s_and_saveexec_b64 s[30:31], s[26:27]
	s_cbranch_execz .LBB715_148
; %bb.147:
	s_mov_b32 s3, 0
	v_mov_b32_e32 v5, 0
	s_add_i32 s2, s2, 64
	v_cmp_eq_u32_sdwa vcc, v4, v5 src0_sel:BYTE_0 src1_sel:DWORD
	s_lshl_b64 s[36:37], s[2:3], 4
	v_and_b32_e32 v4, 1, v4
	v_cndmask_b32_e32 v9, 0, v13, vcc
	v_cndmask_b32_e32 v8, 0, v12, vcc
	s_add_u32 s36, s38, s36
	v_lshl_add_u64 v[2:3], v[8:9], 0, v[2:3]
	v_and_b32_e32 v8, 1, v60
	v_cmp_eq_u32_e32 vcc, 1, v4
	s_addc_u32 s37, s39, s37
	s_nop 0
	v_cndmask_b32_e64 v4, v8, 1, vcc
	global_store_dword v5, v2, s[36:37] sc1
	global_store_dword v5, v3, s[36:37] offset:4 sc1
	global_store_dword v5, v4, s[36:37] offset:8 sc1
	;; [unrolled: 1-line block ×3, first 2 shown]
	v_mov_b32_e32 v2, s2
	v_mov_b32_e32 v3, 2
	s_waitcnt vmcnt(0) lgkmcnt(0)
	global_store_byte v2, v3, s[40:41] sc1
.LBB715_148:
	s_or_b64 exec, exec, s[30:31]
	v_cmp_eq_u32_e32 vcc, 0, v0
	s_and_b64 exec, exec, vcc
	s_cbranch_execz .LBB715_150
; %bb.149:
	v_mov_b32_e32 v2, 0
	ds_write_b64 v2, v[12:13] offset:48
	ds_write_b8 v2, v60 offset:56
.LBB715_150:
	s_or_b64 exec, exec, s[46:47]
	v_mov_b32_e32 v8, 0
	s_waitcnt lgkmcnt(0)
	s_barrier
	ds_read_b64 v[2:3], v8 offset:48
	v_cndmask_b32_e64 v9, v19, v16, s[26:27]
	v_cmp_eq_u16_sdwa vcc, v9, v8 src0_sel:BYTE_0 src1_sel:DWORD
	v_cndmask_b32_e64 v4, v17, v6, s[26:27]
	v_cndmask_b32_e64 v5, v18, v7, s[26:27]
	s_waitcnt lgkmcnt(0)
	v_cndmask_b32_e32 v7, 0, v3, vcc
	v_cndmask_b32_e32 v6, 0, v2, vcc
	v_lshl_add_u64 v[4:5], v[4:5], 0, v[6:7]
	v_cmp_eq_u32_e32 vcc, 0, v0
	s_nop 1
	v_cndmask_b32_e32 v3, v5, v3, vcc
	v_cndmask_b32_e32 v2, v4, v2, vcc
	v_cmp_eq_u16_sdwa vcc, v1, v8 src0_sel:BYTE_0 src1_sel:DWORD
	s_nop 1
	v_cndmask_b32_e32 v5, 0, v3, vcc
	v_cndmask_b32_e32 v4, 0, v2, vcc
	v_lshl_add_u64 v[4:5], v[4:5], 0, v[46:47]
	v_cndmask_b32_e64 v7, 0, v5, s[28:29]
	v_cndmask_b32_e64 v6, 0, v4, s[28:29]
	v_lshl_add_u64 v[6:7], v[6:7], 0, v[48:49]
	v_cndmask_b32_e64 v9, 0, v7, s[4:5]
	v_cndmask_b32_e64 v8, 0, v6, s[4:5]
	;; [unrolled: 3-line block ×12, first 2 shown]
	s_branch .LBB715_191
.LBB715_151:
	s_or_b64 exec, exec, s[30:31]
                                        ; implicit-def: $vgpr58_vgpr59
	s_and_saveexec_b64 s[30:31], s[28:29]
	s_cbranch_execz .LBB715_33
.LBB715_152:
	v_mov_b32_e32 v55, 0
	v_lshl_add_u64 v[58:59], s[46:47], 0, v[54:55]
	flat_load_dwordx2 v[58:59], v[58:59] offset:2048
	s_or_b64 exec, exec, s[30:31]
                                        ; implicit-def: $vgpr60_vgpr61
	s_and_saveexec_b64 s[28:29], s[4:5]
	s_cbranch_execnz .LBB715_34
.LBB715_153:
	s_or_b64 exec, exec, s[28:29]
                                        ; implicit-def: $vgpr30_vgpr31
	s_and_saveexec_b64 s[4:5], s[6:7]
	s_cbranch_execz .LBB715_35
.LBB715_154:
	v_mov_b32_e32 v33, 0
	v_lshl_add_u64 v[30:31], s[46:47], 0, v[32:33]
	flat_load_dwordx2 v[30:31], v[30:31]
	s_or_b64 exec, exec, s[4:5]
                                        ; implicit-def: $vgpr32_vgpr33
	s_and_saveexec_b64 s[4:5], s[8:9]
	s_cbranch_execnz .LBB715_36
.LBB715_155:
	s_or_b64 exec, exec, s[4:5]
                                        ; implicit-def: $vgpr34_vgpr35
	s_and_saveexec_b64 s[4:5], s[10:11]
	s_cbranch_execz .LBB715_37
.LBB715_156:
	v_mov_b32_e32 v37, 0
	v_lshl_add_u64 v[34:35], s[46:47], 0, v[36:37]
	flat_load_dwordx2 v[34:35], v[34:35]
	s_or_b64 exec, exec, s[4:5]
                                        ; implicit-def: $vgpr36_vgpr37
	s_and_saveexec_b64 s[4:5], s[12:13]
	s_cbranch_execnz .LBB715_38
.LBB715_157:
	s_or_b64 exec, exec, s[4:5]
                                        ; implicit-def: $vgpr38_vgpr39
	s_and_saveexec_b64 s[4:5], s[14:15]
	s_cbranch_execz .LBB715_39
.LBB715_158:
	v_mov_b32_e32 v41, 0
	v_lshl_add_u64 v[38:39], s[46:47], 0, v[40:41]
	flat_load_dwordx2 v[38:39], v[38:39]
	s_or_b64 exec, exec, s[4:5]
                                        ; implicit-def: $vgpr40_vgpr41
	s_and_saveexec_b64 s[4:5], s[16:17]
	s_cbranch_execnz .LBB715_40
.LBB715_159:
	s_or_b64 exec, exec, s[4:5]
                                        ; implicit-def: $vgpr42_vgpr43
	s_and_saveexec_b64 s[4:5], s[18:19]
	s_cbranch_execz .LBB715_41
.LBB715_160:
	v_mov_b32_e32 v45, 0
	v_lshl_add_u64 v[42:43], s[46:47], 0, v[44:45]
	flat_load_dwordx2 v[42:43], v[42:43]
	s_or_b64 exec, exec, s[4:5]
                                        ; implicit-def: $vgpr44_vgpr45
	s_and_saveexec_b64 s[4:5], s[20:21]
	s_cbranch_execnz .LBB715_42
.LBB715_161:
	s_or_b64 exec, exec, s[4:5]
                                        ; implicit-def: $vgpr46_vgpr47
	s_and_saveexec_b64 s[4:5], s[22:23]
	s_cbranch_execz .LBB715_43
.LBB715_162:
	v_mov_b32_e32 v49, 0
	v_lshl_add_u64 v[46:47], s[46:47], 0, v[48:49]
	flat_load_dwordx2 v[46:47], v[46:47]
	s_or_b64 exec, exec, s[4:5]
                                        ; implicit-def: $vgpr48_vgpr49
	s_and_saveexec_b64 s[4:5], s[24:25]
	s_cbranch_execz .LBB715_45
	s_branch .LBB715_44
.LBB715_163:
                                        ; implicit-def: $vgpr2_vgpr3
                                        ; implicit-def: $vgpr60_vgpr61
                                        ; implicit-def: $vgpr26_vgpr27
                                        ; implicit-def: $vgpr24_vgpr25
                                        ; implicit-def: $vgpr20_vgpr21
                                        ; implicit-def: $vgpr16_vgpr17
                                        ; implicit-def: $vgpr12_vgpr13
                                        ; implicit-def: $vgpr8_vgpr9
	s_cbranch_execz .LBB715_191
; %bb.164:
	s_cmp_lg_u64 s[58:59], 0
	s_cselect_b32 s3, s55, 0
	s_cselect_b32 s2, s54, 0
	s_cmp_eq_u64 s[2:3], 0
	v_mov_b64_e32 v[58:59], s[56:57]
	s_cbranch_scc1 .LBB715_166
; %bb.165:
	v_mov_b32_e32 v2, 0
	global_load_dwordx2 v[58:59], v2, s[2:3]
.LBB715_166:
	v_mov_b32_e32 v4, 0
	v_cmp_eq_u16_sdwa vcc, v62, v4 src0_sel:BYTE_0 src1_sel:DWORD
	v_cmp_eq_u16_sdwa s[2:3], v63, v4 src0_sel:BYTE_0 src1_sel:DWORD
	v_cmp_eq_u16_sdwa s[4:5], v65, v4 src0_sel:BYTE_0 src1_sel:DWORD
	v_cndmask_b32_e32 v3, 0, v47, vcc
	v_cndmask_b32_e32 v2, 0, v46, vcc
	v_lshl_add_u64 v[2:3], v[2:3], 0, v[48:49]
	v_cndmask_b32_e64 v3, 0, v3, s[2:3]
	v_cndmask_b32_e64 v2, 0, v2, s[2:3]
	v_lshl_add_u64 v[2:3], v[2:3], 0, v[50:51]
	v_cndmask_b32_e64 v3, 0, v3, s[4:5]
	v_cndmask_b32_e64 v2, 0, v2, s[4:5]
	v_lshl_add_u64 v[2:3], v[2:3], 0, v[42:43]
	v_cmp_eq_u16_sdwa s[6:7], v66, v4 src0_sel:BYTE_0 src1_sel:DWORD
	v_cmp_eq_u16_sdwa s[8:9], v67, v4 src0_sel:BYTE_0 src1_sel:DWORD
	;; [unrolled: 1-line block ×3, first 2 shown]
	v_cndmask_b32_e64 v3, 0, v3, s[6:7]
	v_cndmask_b32_e64 v2, 0, v2, s[6:7]
	v_lshl_add_u64 v[2:3], v[2:3], 0, v[44:45]
	v_cndmask_b32_e64 v3, 0, v3, s[8:9]
	v_cndmask_b32_e64 v2, 0, v2, s[8:9]
	v_lshl_add_u64 v[2:3], v[2:3], 0, v[38:39]
	;; [unrolled: 3-line block ×3, first 2 shown]
	v_cmp_eq_u16_sdwa s[12:13], v69, v4 src0_sel:BYTE_0 src1_sel:DWORD
	v_cmp_eq_u16_sdwa s[14:15], v70, v4 src0_sel:BYTE_0 src1_sel:DWORD
	;; [unrolled: 1-line block ×3, first 2 shown]
	v_cndmask_b32_e64 v3, 0, v3, s[12:13]
	v_cndmask_b32_e64 v2, 0, v2, s[12:13]
	v_lshl_add_u64 v[2:3], v[2:3], 0, v[34:35]
	v_cndmask_b32_e64 v3, 0, v3, s[14:15]
	v_cndmask_b32_e64 v2, 0, v2, s[14:15]
	v_cmp_eq_u16_sdwa s[18:19], v72, v4 src0_sel:BYTE_0 src1_sel:DWORD
	v_cmp_eq_u16_sdwa s[20:21], v73, v4 src0_sel:BYTE_0 src1_sel:DWORD
	;; [unrolled: 1-line block ×4, first 2 shown]
	v_or_b32_e32 v4, v75, v72
	v_lshl_add_u64 v[2:3], v[2:3], 0, v[36:37]
	v_or_b32_e32 v4, v4, v71
	v_cndmask_b32_e64 v3, 0, v3, s[16:17]
	v_cndmask_b32_e64 v2, 0, v2, s[16:17]
	v_or_b32_e32 v4, v4, v70
	v_lshl_add_u64 v[2:3], v[2:3], 0, v[52:53]
	v_or_b32_e32 v4, v4, v69
	v_cndmask_b32_e64 v3, 0, v3, s[18:19]
	v_cndmask_b32_e64 v2, 0, v2, s[18:19]
	;; [unrolled: 5-line block ×5, first 2 shown]
	v_or_b32_e32 v4, v4, v1
	v_mbcnt_hi_u32_b32 v6, -1, v74
	v_lshl_add_u64 v[2:3], v[2:3], 0, v[28:29]
	v_and_b32_e32 v7, 1, v4
	v_and_b32_e32 v5, 15, v6
	v_cmp_eq_u32_e64 s[24:25], 1, v7
	v_mov_b32_dpp v9, v2 row_shr:1 row_mask:0xf bank_mask:0xf
	v_mov_b32_dpp v10, v3 row_shr:1 row_mask:0xf bank_mask:0xf
	;; [unrolled: 1-line block ×3, first 2 shown]
	v_cmp_ne_u32_e64 s[26:27], 0, v5
	v_mov_b32_e32 v4, v7
	s_and_saveexec_b64 s[28:29], s[26:27]
; %bb.167:
	v_and_b32_e32 v4, 1, v8
	v_cndmask_b32_e64 v11, v10, 0, s[24:25]
	v_cndmask_b32_e64 v10, v9, 0, s[24:25]
	v_or_b32_e32 v7, v4, v7
	v_lshl_add_u64 v[2:3], v[10:11], 0, v[2:3]
	v_and_b32_e32 v4, 0xffff, v7
; %bb.168:
	s_or_b64 exec, exec, s[28:29]
	v_mov_b32_dpp v9, v2 row_shr:2 row_mask:0xf bank_mask:0xf
	v_mov_b32_dpp v10, v3 row_shr:2 row_mask:0xf bank_mask:0xf
	;; [unrolled: 1-line block ×3, first 2 shown]
	v_cmp_lt_u32_e64 s[24:25], 1, v5
	s_and_saveexec_b64 s[28:29], s[24:25]
; %bb.169:
	v_cmp_eq_u16_e64 s[24:25], 0, v7
	v_and_b32_e32 v4, 1, v7
	s_nop 0
	v_cndmask_b32_e64 v11, 0, v10, s[24:25]
	v_cndmask_b32_e64 v10, 0, v9, s[24:25]
	v_cmp_eq_u32_e64 s[24:25], 1, v4
	v_and_b32_e32 v4, 1, v8
	v_cmp_eq_u32_e64 s[26:27], 1, v4
	s_or_b64 s[24:25], s[24:25], s[26:27]
	v_lshl_add_u64 v[2:3], v[10:11], 0, v[2:3]
	v_cndmask_b32_e64 v7, 0, 1, s[24:25]
	v_cndmask_b32_e64 v4, 0, 1, s[24:25]
; %bb.170:
	s_or_b64 exec, exec, s[28:29]
	v_mov_b32_dpp v9, v2 row_shr:4 row_mask:0xf bank_mask:0xf
	v_mov_b32_dpp v10, v3 row_shr:4 row_mask:0xf bank_mask:0xf
	;; [unrolled: 1-line block ×3, first 2 shown]
	v_cmp_lt_u32_e64 s[24:25], 3, v5
	s_and_saveexec_b64 s[28:29], s[24:25]
; %bb.171:
	v_cmp_eq_u16_e64 s[24:25], 0, v7
	v_and_b32_e32 v4, 1, v7
	s_nop 0
	v_cndmask_b32_e64 v11, 0, v10, s[24:25]
	v_cndmask_b32_e64 v10, 0, v9, s[24:25]
	v_cmp_eq_u32_e64 s[24:25], 1, v4
	v_and_b32_e32 v4, 1, v8
	v_cmp_eq_u32_e64 s[26:27], 1, v4
	s_or_b64 s[24:25], s[24:25], s[26:27]
	v_lshl_add_u64 v[2:3], v[10:11], 0, v[2:3]
	v_cndmask_b32_e64 v7, 0, 1, s[24:25]
	v_cndmask_b32_e64 v4, 0, 1, s[24:25]
; %bb.172:
	s_or_b64 exec, exec, s[28:29]
	v_mov_b32_dpp v9, v2 row_shr:8 row_mask:0xf bank_mask:0xf
	v_mov_b32_dpp v10, v3 row_shr:8 row_mask:0xf bank_mask:0xf
	;; [unrolled: 1-line block ×3, first 2 shown]
	v_cmp_lt_u32_e64 s[24:25], 7, v5
	s_and_saveexec_b64 s[28:29], s[24:25]
; %bb.173:
	v_cmp_eq_u16_e64 s[24:25], 0, v7
	s_nop 1
	v_cndmask_b32_e64 v5, 0, v10, s[24:25]
	v_cndmask_b32_e64 v4, 0, v9, s[24:25]
	v_lshl_add_u64 v[2:3], v[4:5], 0, v[2:3]
	v_and_b32_e32 v4, 1, v7
	v_cmp_eq_u32_e64 s[24:25], 1, v4
	v_and_b32_e32 v4, 1, v8
	v_cmp_eq_u32_e64 s[26:27], 1, v4
	s_or_b64 s[24:25], s[24:25], s[26:27]
	v_cndmask_b32_e64 v7, 0, 1, s[24:25]
	v_cndmask_b32_e64 v4, 0, 1, s[24:25]
; %bb.174:
	s_or_b64 exec, exec, s[28:29]
	v_and_b32_e32 v10, 16, v6
	v_mov_b32_dpp v8, v2 row_bcast:15 row_mask:0xf bank_mask:0xf
	v_mov_b32_dpp v9, v3 row_bcast:15 row_mask:0xf bank_mask:0xf
	;; [unrolled: 1-line block ×3, first 2 shown]
	v_cmp_ne_u32_e64 s[24:25], 0, v10
	s_and_saveexec_b64 s[28:29], s[24:25]
; %bb.175:
	v_cmp_eq_u16_e64 s[24:25], 0, v7
	v_and_b32_e32 v4, 1, v7
	s_nop 0
	v_cndmask_b32_e64 v9, 0, v9, s[24:25]
	v_cndmask_b32_e64 v8, 0, v8, s[24:25]
	v_cmp_eq_u32_e64 s[24:25], 1, v4
	v_and_b32_e32 v4, 1, v5
	v_cmp_eq_u32_e64 s[26:27], 1, v4
	s_or_b64 s[24:25], s[24:25], s[26:27]
	v_lshl_add_u64 v[2:3], v[8:9], 0, v[2:3]
	v_cndmask_b32_e64 v7, 0, 1, s[24:25]
	v_cndmask_b32_e64 v4, 0, 1, s[24:25]
; %bb.176:
	s_or_b64 exec, exec, s[28:29]
	v_mov_b32_dpp v5, v2 row_bcast:31 row_mask:0xf bank_mask:0xf
	v_mov_b32_dpp v8, v3 row_bcast:31 row_mask:0xf bank_mask:0xf
	;; [unrolled: 1-line block ×3, first 2 shown]
	v_cmp_lt_u32_e64 s[24:25], 31, v6
	s_and_saveexec_b64 s[28:29], s[24:25]
; %bb.177:
	v_cmp_eq_u16_e64 s[24:25], 0, v7
	v_and_b32_e32 v4, 1, v4
	v_cmp_eq_u32_e64 s[26:27], 1, v4
	v_cndmask_b32_e64 v9, 0, v8, s[24:25]
	v_cndmask_b32_e64 v8, 0, v5, s[24:25]
	v_and_b32_e32 v5, 1, v7
	v_cmp_eq_u32_e64 s[24:25], 1, v5
	s_or_b64 s[24:25], s[24:25], s[26:27]
	v_lshl_add_u64 v[2:3], v[8:9], 0, v[2:3]
	v_cndmask_b32_e64 v7, 0, 1, s[24:25]
; %bb.178:
	s_or_b64 exec, exec, s[28:29]
	v_or_b32_e32 v4, 63, v0
	v_lshrrev_b32_e32 v8, 6, v0
	v_cmp_eq_u32_e64 s[24:25], v4, v0
	s_and_saveexec_b64 s[26:27], s[24:25]
	s_cbranch_execz .LBB715_180
; %bb.179:
	v_lshlrev_b32_e32 v4, 4, v8
	ds_write_b64 v4, v[2:3]
	ds_write_b8 v4, v7 offset:8
.LBB715_180:
	s_or_b64 exec, exec, s[26:27]
	v_cmp_gt_u32_e64 s[24:25], 4, v0
	s_waitcnt lgkmcnt(0)
	s_barrier
	s_and_saveexec_b64 s[28:29], s[24:25]
	s_cbranch_execz .LBB715_186
; %bb.181:
	v_lshlrev_b32_e32 v9, 4, v0
	ds_read_b64 v[4:5], v9
	ds_read_b32 v10, v9 offset:8
	v_and_b32_e32 v11, 3, v6
	v_cmp_ne_u32_e64 s[24:25], 0, v11
	s_waitcnt lgkmcnt(1)
	v_mov_b32_dpp v15, v4 row_shr:1 row_mask:0xf bank_mask:0xf
	v_mov_b32_dpp v16, v5 row_shr:1 row_mask:0xf bank_mask:0xf
	s_waitcnt lgkmcnt(0)
	v_mov_b32_dpp v14, v10 row_shr:1 row_mask:0xf bank_mask:0xf
	v_mov_b32_e32 v12, v10
	v_mov_b32_e32 v13, v10
	s_and_saveexec_b64 s[26:27], s[24:25]
; %bb.182:
	v_mov_b32_e32 v12, 0
	v_cmp_eq_u16_sdwa s[24:25], v10, v12 src0_sel:BYTE_0 src1_sel:DWORD
	s_nop 1
	v_cndmask_b32_e64 v13, 0, v16, s[24:25]
	v_cndmask_b32_e64 v12, 0, v15, s[24:25]
	v_lshl_add_u64 v[4:5], v[12:13], 0, v[4:5]
	v_or_b32_e32 v13, v14, v10
	v_and_b32_e32 v12, 1, v13
	v_and_b32_e32 v13, 1, v13
	s_movk_i32 s24, 0xff00
	v_and_or_b32 v10, v10, s24, v13
; %bb.183:
	s_or_b64 exec, exec, s[26:27]
	v_mov_b32_dpp v14, v4 row_shr:2 row_mask:0xf bank_mask:0xf
	v_mov_b32_dpp v15, v5 row_shr:2 row_mask:0xf bank_mask:0xf
	;; [unrolled: 1-line block ×3, first 2 shown]
	v_cmp_lt_u32_e64 s[24:25], 1, v11
	s_and_saveexec_b64 s[30:31], s[24:25]
; %bb.184:
	v_mov_b32_e32 v11, 0
	v_cmp_eq_u16_sdwa s[24:25], v13, v11 src0_sel:BYTE_0 src1_sel:DWORD
	v_and_b32_e32 v11, 1, v13
	v_and_b32_e32 v10, 1, v10
	v_cndmask_b32_e64 v15, 0, v15, s[24:25]
	v_cndmask_b32_e64 v14, 0, v14, s[24:25]
	v_cmp_eq_u32_e64 s[24:25], 1, v11
	v_cmp_eq_u32_e64 s[26:27], 1, v10
	s_or_b64 s[24:25], s[24:25], s[26:27]
	v_lshl_add_u64 v[4:5], v[14:15], 0, v[4:5]
	v_cndmask_b32_e64 v12, 0, 1, s[24:25]
; %bb.185:
	s_or_b64 exec, exec, s[30:31]
	ds_write_b64 v9, v[4:5]
	ds_write_b8 v9, v12 offset:8
.LBB715_186:
	s_or_b64 exec, exec, s[28:29]
	v_cmp_lt_u32_e64 s[24:25], 63, v0
	s_waitcnt vmcnt(0)
	v_mov_b64_e32 v[4:5], v[58:59]
	s_waitcnt lgkmcnt(0)
	s_barrier
	s_and_saveexec_b64 s[26:27], s[24:25]
	s_cbranch_execz .LBB715_188
; %bb.187:
	v_lshl_add_u32 v4, v8, 4, -16
	ds_read_u8 v8, v4 offset:8
	ds_read_b64 v[4:5], v4
	s_waitcnt lgkmcnt(1)
	v_cmp_eq_u16_e64 s[24:25], 0, v8
	s_nop 1
	v_cndmask_b32_e64 v9, 0, v59, s[24:25]
	v_cndmask_b32_e64 v8, 0, v58, s[24:25]
	s_waitcnt lgkmcnt(0)
	v_lshl_add_u64 v[4:5], v[8:9], 0, v[4:5]
.LBB715_188:
	s_or_b64 exec, exec, s[26:27]
	v_cmp_eq_u16_e64 s[24:25], 0, v7
	v_add_u32_e32 v7, -1, v6
	v_mov_b32_e32 v28, 0
	v_cndmask_b32_e64 v9, 0, v5, s[24:25]
	v_cndmask_b32_e64 v8, 0, v4, s[24:25]
	v_lshl_add_u64 v[2:3], v[8:9], 0, v[2:3]
	v_and_b32_e32 v8, 64, v6
	v_cmp_lt_i32_e64 s[24:25], v7, v8
	v_cmp_eq_u16_sdwa s[26:27], v1, v28 src0_sel:BYTE_0 src1_sel:DWORD
	s_nop 0
	v_cndmask_b32_e64 v7, v7, v6, s[24:25]
	v_lshlrev_b32_e32 v7, 2, v7
	ds_bpermute_b32 v3, v7, v3
	ds_bpermute_b32 v2, v7, v2
	v_cmp_eq_u32_e64 s[24:25], 0, v6
	s_waitcnt lgkmcnt(1)
	s_nop 0
	v_cndmask_b32_e64 v3, v3, v5, s[24:25]
	s_waitcnt lgkmcnt(0)
	v_cndmask_b32_e64 v2, v2, v4, s[24:25]
	v_cmp_eq_u32_e64 s[24:25], 0, v0
	s_nop 1
	v_cndmask_b32_e64 v4, v2, v58, s[24:25]
	v_cndmask_b32_e64 v5, v3, v59, s[24:25]
	;; [unrolled: 1-line block ×4, first 2 shown]
	v_lshl_add_u64 v[4:5], v[4:5], 0, v[46:47]
	v_cndmask_b32_e32 v7, 0, v5, vcc
	v_cndmask_b32_e32 v6, 0, v4, vcc
	v_lshl_add_u64 v[6:7], v[6:7], 0, v[48:49]
	v_cndmask_b32_e64 v9, 0, v7, s[2:3]
	v_cndmask_b32_e64 v8, 0, v6, s[2:3]
	v_lshl_add_u64 v[8:9], v[8:9], 0, v[50:51]
	v_cndmask_b32_e64 v11, 0, v9, s[4:5]
	v_cndmask_b32_e64 v10, 0, v8, s[4:5]
	;; [unrolled: 3-line block ×11, first 2 shown]
	s_and_saveexec_b64 s[2:3], s[24:25]
	s_cbranch_execz .LBB715_190
; %bb.189:
	ds_read_u8 v1, v28 offset:56
	ds_read_b64 v[2:3], v28 offset:48
	s_waitcnt lgkmcnt(1)
	v_cmp_eq_u32_e32 vcc, 0, v1
	s_nop 1
	v_cndmask_b32_e32 v33, 0, v59, vcc
	v_cndmask_b32_e32 v32, 0, v58, vcc
	s_waitcnt lgkmcnt(0)
	v_lshl_add_u64 v[2:3], v[32:33], 0, v[2:3]
	global_store_dword v28, v2, s[38:39] offset:1024 sc1
	global_store_dword v28, v3, s[38:39] offset:1028 sc1
	;; [unrolled: 1-line block ×4, first 2 shown]
	v_mov_b32_e32 v1, 2
	v_mov_b64_e32 v[2:3], v[58:59]
	s_waitcnt vmcnt(0)
	global_store_byte v28, v1, s[40:41] offset:64 sc1
.LBB715_190:
	s_or_b64 exec, exec, s[2:3]
.LBB715_191:
	s_add_u32 s2, s50, s34
	s_addc_u32 s3, s51, s35
	s_add_u32 s2, s2, s44
	v_mul_u32_u24_e32 v1, 14, v0
	v_lshl_add_u64 v[28:29], v[60:61], 0, v[30:31]
	s_addc_u32 s3, s3, s45
	s_and_b64 vcc, exec, s[0:1]
	v_lshlrev_b32_e32 v60, 3, v1
	s_cbranch_vccz .LBB715_219
; %bb.192:
	s_movk_i32 s0, 0xff98
	v_mad_i32_i24 v1, v0, s0, v60
	s_barrier
	ds_write_b128 v60, v[2:5]
	ds_write_b128 v60, v[6:9] offset:16
	ds_write_b128 v60, v[10:13] offset:32
	;; [unrolled: 1-line block ×6, first 2 shown]
	s_waitcnt lgkmcnt(0)
	s_barrier
	ds_read2st64_b64 v[52:55], v1 offset0:4 offset1:8
	ds_read2st64_b64 v[48:51], v1 offset0:12 offset1:16
	;; [unrolled: 1-line block ×6, first 2 shown]
	ds_read_b64 v[30:31], v1 offset:26624
	s_add_i32 s33, s33, s42
	v_mov_b32_e32 v57, 0
	v_lshl_add_u64 v[58:59], s[2:3], 0, v[56:57]
	v_cmp_gt_u32_e32 vcc, s33, v0
	s_and_saveexec_b64 s[0:1], vcc
	s_cbranch_execz .LBB715_194
; %bb.193:
	v_mul_i32_i24_e32 v1, 0xffffff98, v0
	v_add_u32_e32 v1, v60, v1
	ds_read_b64 v[62:63], v1
	s_waitcnt lgkmcnt(0)
	flat_store_dwordx2 v[58:59], v[62:63]
.LBB715_194:
	s_or_b64 exec, exec, s[0:1]
	v_or_b32_e32 v1, 0x100, v0
	v_cmp_gt_u32_e32 vcc, s33, v1
	s_and_saveexec_b64 s[0:1], vcc
	s_cbranch_execz .LBB715_196
; %bb.195:
	s_waitcnt lgkmcnt(0)
	flat_store_dwordx2 v[58:59], v[52:53] offset:2048
.LBB715_196:
	s_or_b64 exec, exec, s[0:1]
	v_or_b32_e32 v1, 0x200, v0
	v_cmp_gt_u32_e32 vcc, s33, v1
	s_and_saveexec_b64 s[0:1], vcc
	s_cbranch_execz .LBB715_198
; %bb.197:
	s_waitcnt lgkmcnt(0)
	v_add_co_u32_e32 v52, vcc, 0x1000, v58
	s_nop 1
	v_addc_co_u32_e32 v53, vcc, 0, v59, vcc
	flat_store_dwordx2 v[52:53], v[54:55]
.LBB715_198:
	s_or_b64 exec, exec, s[0:1]
	v_or_b32_e32 v1, 0x300, v0
	v_cmp_gt_u32_e32 vcc, s33, v1
	s_and_saveexec_b64 s[0:1], vcc
	s_cbranch_execz .LBB715_200
; %bb.199:
	s_waitcnt lgkmcnt(0)
	v_add_co_u32_e32 v52, vcc, 0x1000, v58
	s_nop 1
	v_addc_co_u32_e32 v53, vcc, 0, v59, vcc
	flat_store_dwordx2 v[52:53], v[48:49] offset:2048
.LBB715_200:
	s_or_b64 exec, exec, s[0:1]
	v_or_b32_e32 v1, 0x400, v0
	v_cmp_gt_u32_e32 vcc, s33, v1
	s_and_saveexec_b64 s[0:1], vcc
	s_cbranch_execz .LBB715_202
; %bb.201:
	s_waitcnt lgkmcnt(0)
	v_add_co_u32_e32 v48, vcc, 0x2000, v58
	s_nop 1
	v_addc_co_u32_e32 v49, vcc, 0, v59, vcc
	flat_store_dwordx2 v[48:49], v[50:51]
.LBB715_202:
	s_or_b64 exec, exec, s[0:1]
	v_or_b32_e32 v1, 0x500, v0
	v_cmp_gt_u32_e32 vcc, s33, v1
	s_and_saveexec_b64 s[0:1], vcc
	s_cbranch_execz .LBB715_204
; %bb.203:
	s_waitcnt lgkmcnt(0)
	v_add_co_u32_e32 v48, vcc, 0x2000, v58
	s_nop 1
	v_addc_co_u32_e32 v49, vcc, 0, v59, vcc
	flat_store_dwordx2 v[48:49], v[44:45] offset:2048
.LBB715_204:
	;; [unrolled: 24-line block ×5, first 2 shown]
	s_or_b64 exec, exec, s[0:1]
	v_or_b32_e32 v1, 0xc00, v0
	v_cmp_gt_u32_e32 vcc, s33, v1
	s_and_saveexec_b64 s[0:1], vcc
	s_cbranch_execz .LBB715_218
; %bb.217:
	s_waitcnt lgkmcnt(0)
	v_add_co_u32_e32 v32, vcc, 0x6000, v58
	s_nop 1
	v_addc_co_u32_e32 v33, vcc, 0, v59, vcc
	flat_store_dwordx2 v[32:33], v[34:35]
.LBB715_218:
	s_or_b64 exec, exec, s[0:1]
	s_waitcnt lgkmcnt(0)
	v_or_b32_e32 v32, 0xd00, v0
	v_mov_b32_e32 v1, v57
	v_cmp_gt_u32_e64 s[0:1], s33, v32
	s_branch .LBB715_221
.LBB715_219:
	s_mov_b64 s[0:1], 0
                                        ; implicit-def: $vgpr30_vgpr31
	s_cbranch_execz .LBB715_221
; %bb.220:
	v_mov_b32_e32 v1, 0
	s_movk_i32 s4, 0xff98
	s_barrier
	ds_write_b128 v60, v[2:5]
	ds_write_b128 v60, v[6:9] offset:16
	ds_write_b128 v60, v[10:13] offset:32
	ds_write_b128 v60, v[14:17] offset:48
	ds_write_b128 v60, v[18:21] offset:64
	ds_write_b128 v60, v[22:25] offset:80
	ds_write_b128 v60, v[26:29] offset:96
	v_mad_i32_i24 v26, v0, s4, v60
	v_mov_b32_e32 v57, v1
	s_waitcnt lgkmcnt(0)
	s_barrier
	ds_read2st64_b64 v[2:5], v26 offset1:4
	ds_read2st64_b64 v[6:9], v26 offset0:8 offset1:12
	ds_read2st64_b64 v[10:13], v26 offset0:16 offset1:20
	;; [unrolled: 1-line block ×6, first 2 shown]
	v_lshl_add_u64 v[26:27], s[2:3], 0, v[56:57]
	s_movk_i32 s4, 0x1000
	s_waitcnt lgkmcnt(0)
	flat_store_dwordx2 v[26:27], v[2:3]
	flat_store_dwordx2 v[26:27], v[4:5] offset:2048
	v_add_co_u32_e32 v2, vcc, s4, v26
	s_movk_i32 s4, 0x2000
	s_nop 0
	v_addc_co_u32_e32 v3, vcc, 0, v27, vcc
	flat_store_dwordx2 v[2:3], v[6:7]
	flat_store_dwordx2 v[2:3], v[8:9] offset:2048
	v_add_co_u32_e32 v2, vcc, s4, v26
	s_movk_i32 s4, 0x3000
	s_nop 0
	v_addc_co_u32_e32 v3, vcc, 0, v27, vcc
	;; [unrolled: 6-line block ×3, first 2 shown]
	flat_store_dwordx2 v[2:3], v[14:15]
	flat_store_dwordx2 v[2:3], v[16:17] offset:2048
	v_add_co_u32_e32 v2, vcc, s4, v26
	s_or_b64 s[0:1], s[0:1], exec
	s_nop 0
	v_addc_co_u32_e32 v3, vcc, 0, v27, vcc
	flat_store_dwordx2 v[2:3], v[18:19]
	flat_store_dwordx2 v[2:3], v[20:21] offset:2048
	v_add_co_u32_e32 v2, vcc, 0x5000, v26
	s_nop 1
	v_addc_co_u32_e32 v3, vcc, 0, v27, vcc
	flat_store_dwordx2 v[2:3], v[22:23]
	flat_store_dwordx2 v[2:3], v[24:25] offset:2048
	v_add_co_u32_e32 v2, vcc, 0x6000, v26
	s_nop 1
	v_addc_co_u32_e32 v3, vcc, 0, v27, vcc
	flat_store_dwordx2 v[2:3], v[28:29]
.LBB715_221:
	s_and_saveexec_b64 s[4:5], s[0:1]
	s_cbranch_execz .LBB715_223
; %bb.222:
	v_lshl_add_u64 v[0:1], v[0:1], 3, s[2:3]
	v_add_co_u32_e32 v0, vcc, 0x6000, v0
	s_nop 1
	v_addc_co_u32_e32 v1, vcc, 0, v1, vcc
	flat_store_dwordx2 v[0:1], v[30:31] offset:2048
	s_endpgm
.LBB715_223:
	s_endpgm
	.section	.rodata,"a",@progbits
	.p2align	6, 0x0
	.amdhsa_kernel _ZN7rocprim17ROCPRIM_400000_NS6detail17trampoline_kernelINS0_14default_configENS1_27scan_by_key_config_selectorIxxEEZZNS1_16scan_by_key_implILNS1_25lookback_scan_determinismE0ELb1ES3_N6thrust23THRUST_200600_302600_NS6detail15normal_iteratorINS9_10device_ptrIxEEEESE_SE_xNS9_4plusIxEE19head_flag_predicatexEE10hipError_tPvRmT2_T3_T4_T5_mT6_T7_P12ihipStream_tbENKUlT_T0_E_clISt17integral_constantIbLb0EESY_EEDaST_SU_EUlST_E_NS1_11comp_targetILNS1_3genE5ELNS1_11target_archE942ELNS1_3gpuE9ELNS1_3repE0EEENS1_30default_config_static_selectorELNS0_4arch9wavefront6targetE1EEEvT1_
		.amdhsa_group_segment_fixed_size 32768
		.amdhsa_private_segment_fixed_size 0
		.amdhsa_kernarg_size 136
		.amdhsa_user_sgpr_count 2
		.amdhsa_user_sgpr_dispatch_ptr 0
		.amdhsa_user_sgpr_queue_ptr 0
		.amdhsa_user_sgpr_kernarg_segment_ptr 1
		.amdhsa_user_sgpr_dispatch_id 0
		.amdhsa_user_sgpr_kernarg_preload_length 0
		.amdhsa_user_sgpr_kernarg_preload_offset 0
		.amdhsa_user_sgpr_private_segment_size 0
		.amdhsa_uses_dynamic_stack 0
		.amdhsa_enable_private_segment 0
		.amdhsa_system_sgpr_workgroup_id_x 1
		.amdhsa_system_sgpr_workgroup_id_y 0
		.amdhsa_system_sgpr_workgroup_id_z 0
		.amdhsa_system_sgpr_workgroup_info 0
		.amdhsa_system_vgpr_workitem_id 0
		.amdhsa_next_free_vgpr 85
		.amdhsa_next_free_sgpr 64
		.amdhsa_accum_offset 88
		.amdhsa_reserve_vcc 1
		.amdhsa_float_round_mode_32 0
		.amdhsa_float_round_mode_16_64 0
		.amdhsa_float_denorm_mode_32 3
		.amdhsa_float_denorm_mode_16_64 3
		.amdhsa_dx10_clamp 1
		.amdhsa_ieee_mode 1
		.amdhsa_fp16_overflow 0
		.amdhsa_tg_split 0
		.amdhsa_exception_fp_ieee_invalid_op 0
		.amdhsa_exception_fp_denorm_src 0
		.amdhsa_exception_fp_ieee_div_zero 0
		.amdhsa_exception_fp_ieee_overflow 0
		.amdhsa_exception_fp_ieee_underflow 0
		.amdhsa_exception_fp_ieee_inexact 0
		.amdhsa_exception_int_div_zero 0
	.end_amdhsa_kernel
	.section	.text._ZN7rocprim17ROCPRIM_400000_NS6detail17trampoline_kernelINS0_14default_configENS1_27scan_by_key_config_selectorIxxEEZZNS1_16scan_by_key_implILNS1_25lookback_scan_determinismE0ELb1ES3_N6thrust23THRUST_200600_302600_NS6detail15normal_iteratorINS9_10device_ptrIxEEEESE_SE_xNS9_4plusIxEE19head_flag_predicatexEE10hipError_tPvRmT2_T3_T4_T5_mT6_T7_P12ihipStream_tbENKUlT_T0_E_clISt17integral_constantIbLb0EESY_EEDaST_SU_EUlST_E_NS1_11comp_targetILNS1_3genE5ELNS1_11target_archE942ELNS1_3gpuE9ELNS1_3repE0EEENS1_30default_config_static_selectorELNS0_4arch9wavefront6targetE1EEEvT1_,"axG",@progbits,_ZN7rocprim17ROCPRIM_400000_NS6detail17trampoline_kernelINS0_14default_configENS1_27scan_by_key_config_selectorIxxEEZZNS1_16scan_by_key_implILNS1_25lookback_scan_determinismE0ELb1ES3_N6thrust23THRUST_200600_302600_NS6detail15normal_iteratorINS9_10device_ptrIxEEEESE_SE_xNS9_4plusIxEE19head_flag_predicatexEE10hipError_tPvRmT2_T3_T4_T5_mT6_T7_P12ihipStream_tbENKUlT_T0_E_clISt17integral_constantIbLb0EESY_EEDaST_SU_EUlST_E_NS1_11comp_targetILNS1_3genE5ELNS1_11target_archE942ELNS1_3gpuE9ELNS1_3repE0EEENS1_30default_config_static_selectorELNS0_4arch9wavefront6targetE1EEEvT1_,comdat
.Lfunc_end715:
	.size	_ZN7rocprim17ROCPRIM_400000_NS6detail17trampoline_kernelINS0_14default_configENS1_27scan_by_key_config_selectorIxxEEZZNS1_16scan_by_key_implILNS1_25lookback_scan_determinismE0ELb1ES3_N6thrust23THRUST_200600_302600_NS6detail15normal_iteratorINS9_10device_ptrIxEEEESE_SE_xNS9_4plusIxEE19head_flag_predicatexEE10hipError_tPvRmT2_T3_T4_T5_mT6_T7_P12ihipStream_tbENKUlT_T0_E_clISt17integral_constantIbLb0EESY_EEDaST_SU_EUlST_E_NS1_11comp_targetILNS1_3genE5ELNS1_11target_archE942ELNS1_3gpuE9ELNS1_3repE0EEENS1_30default_config_static_selectorELNS0_4arch9wavefront6targetE1EEEvT1_, .Lfunc_end715-_ZN7rocprim17ROCPRIM_400000_NS6detail17trampoline_kernelINS0_14default_configENS1_27scan_by_key_config_selectorIxxEEZZNS1_16scan_by_key_implILNS1_25lookback_scan_determinismE0ELb1ES3_N6thrust23THRUST_200600_302600_NS6detail15normal_iteratorINS9_10device_ptrIxEEEESE_SE_xNS9_4plusIxEE19head_flag_predicatexEE10hipError_tPvRmT2_T3_T4_T5_mT6_T7_P12ihipStream_tbENKUlT_T0_E_clISt17integral_constantIbLb0EESY_EEDaST_SU_EUlST_E_NS1_11comp_targetILNS1_3genE5ELNS1_11target_archE942ELNS1_3gpuE9ELNS1_3repE0EEENS1_30default_config_static_selectorELNS0_4arch9wavefront6targetE1EEEvT1_
                                        ; -- End function
	.section	.AMDGPU.csdata,"",@progbits
; Kernel info:
; codeLenInByte = 12724
; NumSgprs: 70
; NumVgprs: 85
; NumAgprs: 0
; TotalNumVgprs: 85
; ScratchSize: 0
; MemoryBound: 0
; FloatMode: 240
; IeeeMode: 1
; LDSByteSize: 32768 bytes/workgroup (compile time only)
; SGPRBlocks: 8
; VGPRBlocks: 10
; NumSGPRsForWavesPerEU: 70
; NumVGPRsForWavesPerEU: 85
; AccumOffset: 88
; Occupancy: 2
; WaveLimiterHint : 1
; COMPUTE_PGM_RSRC2:SCRATCH_EN: 0
; COMPUTE_PGM_RSRC2:USER_SGPR: 2
; COMPUTE_PGM_RSRC2:TRAP_HANDLER: 0
; COMPUTE_PGM_RSRC2:TGID_X_EN: 1
; COMPUTE_PGM_RSRC2:TGID_Y_EN: 0
; COMPUTE_PGM_RSRC2:TGID_Z_EN: 0
; COMPUTE_PGM_RSRC2:TIDIG_COMP_CNT: 0
; COMPUTE_PGM_RSRC3_GFX90A:ACCUM_OFFSET: 21
; COMPUTE_PGM_RSRC3_GFX90A:TG_SPLIT: 0
	.section	.text._ZN7rocprim17ROCPRIM_400000_NS6detail17trampoline_kernelINS0_14default_configENS1_27scan_by_key_config_selectorIxxEEZZNS1_16scan_by_key_implILNS1_25lookback_scan_determinismE0ELb1ES3_N6thrust23THRUST_200600_302600_NS6detail15normal_iteratorINS9_10device_ptrIxEEEESE_SE_xNS9_4plusIxEE19head_flag_predicatexEE10hipError_tPvRmT2_T3_T4_T5_mT6_T7_P12ihipStream_tbENKUlT_T0_E_clISt17integral_constantIbLb0EESY_EEDaST_SU_EUlST_E_NS1_11comp_targetILNS1_3genE4ELNS1_11target_archE910ELNS1_3gpuE8ELNS1_3repE0EEENS1_30default_config_static_selectorELNS0_4arch9wavefront6targetE1EEEvT1_,"axG",@progbits,_ZN7rocprim17ROCPRIM_400000_NS6detail17trampoline_kernelINS0_14default_configENS1_27scan_by_key_config_selectorIxxEEZZNS1_16scan_by_key_implILNS1_25lookback_scan_determinismE0ELb1ES3_N6thrust23THRUST_200600_302600_NS6detail15normal_iteratorINS9_10device_ptrIxEEEESE_SE_xNS9_4plusIxEE19head_flag_predicatexEE10hipError_tPvRmT2_T3_T4_T5_mT6_T7_P12ihipStream_tbENKUlT_T0_E_clISt17integral_constantIbLb0EESY_EEDaST_SU_EUlST_E_NS1_11comp_targetILNS1_3genE4ELNS1_11target_archE910ELNS1_3gpuE8ELNS1_3repE0EEENS1_30default_config_static_selectorELNS0_4arch9wavefront6targetE1EEEvT1_,comdat
	.protected	_ZN7rocprim17ROCPRIM_400000_NS6detail17trampoline_kernelINS0_14default_configENS1_27scan_by_key_config_selectorIxxEEZZNS1_16scan_by_key_implILNS1_25lookback_scan_determinismE0ELb1ES3_N6thrust23THRUST_200600_302600_NS6detail15normal_iteratorINS9_10device_ptrIxEEEESE_SE_xNS9_4plusIxEE19head_flag_predicatexEE10hipError_tPvRmT2_T3_T4_T5_mT6_T7_P12ihipStream_tbENKUlT_T0_E_clISt17integral_constantIbLb0EESY_EEDaST_SU_EUlST_E_NS1_11comp_targetILNS1_3genE4ELNS1_11target_archE910ELNS1_3gpuE8ELNS1_3repE0EEENS1_30default_config_static_selectorELNS0_4arch9wavefront6targetE1EEEvT1_ ; -- Begin function _ZN7rocprim17ROCPRIM_400000_NS6detail17trampoline_kernelINS0_14default_configENS1_27scan_by_key_config_selectorIxxEEZZNS1_16scan_by_key_implILNS1_25lookback_scan_determinismE0ELb1ES3_N6thrust23THRUST_200600_302600_NS6detail15normal_iteratorINS9_10device_ptrIxEEEESE_SE_xNS9_4plusIxEE19head_flag_predicatexEE10hipError_tPvRmT2_T3_T4_T5_mT6_T7_P12ihipStream_tbENKUlT_T0_E_clISt17integral_constantIbLb0EESY_EEDaST_SU_EUlST_E_NS1_11comp_targetILNS1_3genE4ELNS1_11target_archE910ELNS1_3gpuE8ELNS1_3repE0EEENS1_30default_config_static_selectorELNS0_4arch9wavefront6targetE1EEEvT1_
	.globl	_ZN7rocprim17ROCPRIM_400000_NS6detail17trampoline_kernelINS0_14default_configENS1_27scan_by_key_config_selectorIxxEEZZNS1_16scan_by_key_implILNS1_25lookback_scan_determinismE0ELb1ES3_N6thrust23THRUST_200600_302600_NS6detail15normal_iteratorINS9_10device_ptrIxEEEESE_SE_xNS9_4plusIxEE19head_flag_predicatexEE10hipError_tPvRmT2_T3_T4_T5_mT6_T7_P12ihipStream_tbENKUlT_T0_E_clISt17integral_constantIbLb0EESY_EEDaST_SU_EUlST_E_NS1_11comp_targetILNS1_3genE4ELNS1_11target_archE910ELNS1_3gpuE8ELNS1_3repE0EEENS1_30default_config_static_selectorELNS0_4arch9wavefront6targetE1EEEvT1_
	.p2align	8
	.type	_ZN7rocprim17ROCPRIM_400000_NS6detail17trampoline_kernelINS0_14default_configENS1_27scan_by_key_config_selectorIxxEEZZNS1_16scan_by_key_implILNS1_25lookback_scan_determinismE0ELb1ES3_N6thrust23THRUST_200600_302600_NS6detail15normal_iteratorINS9_10device_ptrIxEEEESE_SE_xNS9_4plusIxEE19head_flag_predicatexEE10hipError_tPvRmT2_T3_T4_T5_mT6_T7_P12ihipStream_tbENKUlT_T0_E_clISt17integral_constantIbLb0EESY_EEDaST_SU_EUlST_E_NS1_11comp_targetILNS1_3genE4ELNS1_11target_archE910ELNS1_3gpuE8ELNS1_3repE0EEENS1_30default_config_static_selectorELNS0_4arch9wavefront6targetE1EEEvT1_,@function
_ZN7rocprim17ROCPRIM_400000_NS6detail17trampoline_kernelINS0_14default_configENS1_27scan_by_key_config_selectorIxxEEZZNS1_16scan_by_key_implILNS1_25lookback_scan_determinismE0ELb1ES3_N6thrust23THRUST_200600_302600_NS6detail15normal_iteratorINS9_10device_ptrIxEEEESE_SE_xNS9_4plusIxEE19head_flag_predicatexEE10hipError_tPvRmT2_T3_T4_T5_mT6_T7_P12ihipStream_tbENKUlT_T0_E_clISt17integral_constantIbLb0EESY_EEDaST_SU_EUlST_E_NS1_11comp_targetILNS1_3genE4ELNS1_11target_archE910ELNS1_3gpuE8ELNS1_3repE0EEENS1_30default_config_static_selectorELNS0_4arch9wavefront6targetE1EEEvT1_: ; @_ZN7rocprim17ROCPRIM_400000_NS6detail17trampoline_kernelINS0_14default_configENS1_27scan_by_key_config_selectorIxxEEZZNS1_16scan_by_key_implILNS1_25lookback_scan_determinismE0ELb1ES3_N6thrust23THRUST_200600_302600_NS6detail15normal_iteratorINS9_10device_ptrIxEEEESE_SE_xNS9_4plusIxEE19head_flag_predicatexEE10hipError_tPvRmT2_T3_T4_T5_mT6_T7_P12ihipStream_tbENKUlT_T0_E_clISt17integral_constantIbLb0EESY_EEDaST_SU_EUlST_E_NS1_11comp_targetILNS1_3genE4ELNS1_11target_archE910ELNS1_3gpuE8ELNS1_3repE0EEENS1_30default_config_static_selectorELNS0_4arch9wavefront6targetE1EEEvT1_
; %bb.0:
	.section	.rodata,"a",@progbits
	.p2align	6, 0x0
	.amdhsa_kernel _ZN7rocprim17ROCPRIM_400000_NS6detail17trampoline_kernelINS0_14default_configENS1_27scan_by_key_config_selectorIxxEEZZNS1_16scan_by_key_implILNS1_25lookback_scan_determinismE0ELb1ES3_N6thrust23THRUST_200600_302600_NS6detail15normal_iteratorINS9_10device_ptrIxEEEESE_SE_xNS9_4plusIxEE19head_flag_predicatexEE10hipError_tPvRmT2_T3_T4_T5_mT6_T7_P12ihipStream_tbENKUlT_T0_E_clISt17integral_constantIbLb0EESY_EEDaST_SU_EUlST_E_NS1_11comp_targetILNS1_3genE4ELNS1_11target_archE910ELNS1_3gpuE8ELNS1_3repE0EEENS1_30default_config_static_selectorELNS0_4arch9wavefront6targetE1EEEvT1_
		.amdhsa_group_segment_fixed_size 0
		.amdhsa_private_segment_fixed_size 0
		.amdhsa_kernarg_size 136
		.amdhsa_user_sgpr_count 2
		.amdhsa_user_sgpr_dispatch_ptr 0
		.amdhsa_user_sgpr_queue_ptr 0
		.amdhsa_user_sgpr_kernarg_segment_ptr 1
		.amdhsa_user_sgpr_dispatch_id 0
		.amdhsa_user_sgpr_kernarg_preload_length 0
		.amdhsa_user_sgpr_kernarg_preload_offset 0
		.amdhsa_user_sgpr_private_segment_size 0
		.amdhsa_uses_dynamic_stack 0
		.amdhsa_enable_private_segment 0
		.amdhsa_system_sgpr_workgroup_id_x 1
		.amdhsa_system_sgpr_workgroup_id_y 0
		.amdhsa_system_sgpr_workgroup_id_z 0
		.amdhsa_system_sgpr_workgroup_info 0
		.amdhsa_system_vgpr_workitem_id 0
		.amdhsa_next_free_vgpr 1
		.amdhsa_next_free_sgpr 0
		.amdhsa_accum_offset 4
		.amdhsa_reserve_vcc 0
		.amdhsa_float_round_mode_32 0
		.amdhsa_float_round_mode_16_64 0
		.amdhsa_float_denorm_mode_32 3
		.amdhsa_float_denorm_mode_16_64 3
		.amdhsa_dx10_clamp 1
		.amdhsa_ieee_mode 1
		.amdhsa_fp16_overflow 0
		.amdhsa_tg_split 0
		.amdhsa_exception_fp_ieee_invalid_op 0
		.amdhsa_exception_fp_denorm_src 0
		.amdhsa_exception_fp_ieee_div_zero 0
		.amdhsa_exception_fp_ieee_overflow 0
		.amdhsa_exception_fp_ieee_underflow 0
		.amdhsa_exception_fp_ieee_inexact 0
		.amdhsa_exception_int_div_zero 0
	.end_amdhsa_kernel
	.section	.text._ZN7rocprim17ROCPRIM_400000_NS6detail17trampoline_kernelINS0_14default_configENS1_27scan_by_key_config_selectorIxxEEZZNS1_16scan_by_key_implILNS1_25lookback_scan_determinismE0ELb1ES3_N6thrust23THRUST_200600_302600_NS6detail15normal_iteratorINS9_10device_ptrIxEEEESE_SE_xNS9_4plusIxEE19head_flag_predicatexEE10hipError_tPvRmT2_T3_T4_T5_mT6_T7_P12ihipStream_tbENKUlT_T0_E_clISt17integral_constantIbLb0EESY_EEDaST_SU_EUlST_E_NS1_11comp_targetILNS1_3genE4ELNS1_11target_archE910ELNS1_3gpuE8ELNS1_3repE0EEENS1_30default_config_static_selectorELNS0_4arch9wavefront6targetE1EEEvT1_,"axG",@progbits,_ZN7rocprim17ROCPRIM_400000_NS6detail17trampoline_kernelINS0_14default_configENS1_27scan_by_key_config_selectorIxxEEZZNS1_16scan_by_key_implILNS1_25lookback_scan_determinismE0ELb1ES3_N6thrust23THRUST_200600_302600_NS6detail15normal_iteratorINS9_10device_ptrIxEEEESE_SE_xNS9_4plusIxEE19head_flag_predicatexEE10hipError_tPvRmT2_T3_T4_T5_mT6_T7_P12ihipStream_tbENKUlT_T0_E_clISt17integral_constantIbLb0EESY_EEDaST_SU_EUlST_E_NS1_11comp_targetILNS1_3genE4ELNS1_11target_archE910ELNS1_3gpuE8ELNS1_3repE0EEENS1_30default_config_static_selectorELNS0_4arch9wavefront6targetE1EEEvT1_,comdat
.Lfunc_end716:
	.size	_ZN7rocprim17ROCPRIM_400000_NS6detail17trampoline_kernelINS0_14default_configENS1_27scan_by_key_config_selectorIxxEEZZNS1_16scan_by_key_implILNS1_25lookback_scan_determinismE0ELb1ES3_N6thrust23THRUST_200600_302600_NS6detail15normal_iteratorINS9_10device_ptrIxEEEESE_SE_xNS9_4plusIxEE19head_flag_predicatexEE10hipError_tPvRmT2_T3_T4_T5_mT6_T7_P12ihipStream_tbENKUlT_T0_E_clISt17integral_constantIbLb0EESY_EEDaST_SU_EUlST_E_NS1_11comp_targetILNS1_3genE4ELNS1_11target_archE910ELNS1_3gpuE8ELNS1_3repE0EEENS1_30default_config_static_selectorELNS0_4arch9wavefront6targetE1EEEvT1_, .Lfunc_end716-_ZN7rocprim17ROCPRIM_400000_NS6detail17trampoline_kernelINS0_14default_configENS1_27scan_by_key_config_selectorIxxEEZZNS1_16scan_by_key_implILNS1_25lookback_scan_determinismE0ELb1ES3_N6thrust23THRUST_200600_302600_NS6detail15normal_iteratorINS9_10device_ptrIxEEEESE_SE_xNS9_4plusIxEE19head_flag_predicatexEE10hipError_tPvRmT2_T3_T4_T5_mT6_T7_P12ihipStream_tbENKUlT_T0_E_clISt17integral_constantIbLb0EESY_EEDaST_SU_EUlST_E_NS1_11comp_targetILNS1_3genE4ELNS1_11target_archE910ELNS1_3gpuE8ELNS1_3repE0EEENS1_30default_config_static_selectorELNS0_4arch9wavefront6targetE1EEEvT1_
                                        ; -- End function
	.section	.AMDGPU.csdata,"",@progbits
; Kernel info:
; codeLenInByte = 0
; NumSgprs: 6
; NumVgprs: 0
; NumAgprs: 0
; TotalNumVgprs: 0
; ScratchSize: 0
; MemoryBound: 0
; FloatMode: 240
; IeeeMode: 1
; LDSByteSize: 0 bytes/workgroup (compile time only)
; SGPRBlocks: 0
; VGPRBlocks: 0
; NumSGPRsForWavesPerEU: 6
; NumVGPRsForWavesPerEU: 1
; AccumOffset: 4
; Occupancy: 8
; WaveLimiterHint : 0
; COMPUTE_PGM_RSRC2:SCRATCH_EN: 0
; COMPUTE_PGM_RSRC2:USER_SGPR: 2
; COMPUTE_PGM_RSRC2:TRAP_HANDLER: 0
; COMPUTE_PGM_RSRC2:TGID_X_EN: 1
; COMPUTE_PGM_RSRC2:TGID_Y_EN: 0
; COMPUTE_PGM_RSRC2:TGID_Z_EN: 0
; COMPUTE_PGM_RSRC2:TIDIG_COMP_CNT: 0
; COMPUTE_PGM_RSRC3_GFX90A:ACCUM_OFFSET: 0
; COMPUTE_PGM_RSRC3_GFX90A:TG_SPLIT: 0
	.section	.text._ZN7rocprim17ROCPRIM_400000_NS6detail17trampoline_kernelINS0_14default_configENS1_27scan_by_key_config_selectorIxxEEZZNS1_16scan_by_key_implILNS1_25lookback_scan_determinismE0ELb1ES3_N6thrust23THRUST_200600_302600_NS6detail15normal_iteratorINS9_10device_ptrIxEEEESE_SE_xNS9_4plusIxEE19head_flag_predicatexEE10hipError_tPvRmT2_T3_T4_T5_mT6_T7_P12ihipStream_tbENKUlT_T0_E_clISt17integral_constantIbLb0EESY_EEDaST_SU_EUlST_E_NS1_11comp_targetILNS1_3genE3ELNS1_11target_archE908ELNS1_3gpuE7ELNS1_3repE0EEENS1_30default_config_static_selectorELNS0_4arch9wavefront6targetE1EEEvT1_,"axG",@progbits,_ZN7rocprim17ROCPRIM_400000_NS6detail17trampoline_kernelINS0_14default_configENS1_27scan_by_key_config_selectorIxxEEZZNS1_16scan_by_key_implILNS1_25lookback_scan_determinismE0ELb1ES3_N6thrust23THRUST_200600_302600_NS6detail15normal_iteratorINS9_10device_ptrIxEEEESE_SE_xNS9_4plusIxEE19head_flag_predicatexEE10hipError_tPvRmT2_T3_T4_T5_mT6_T7_P12ihipStream_tbENKUlT_T0_E_clISt17integral_constantIbLb0EESY_EEDaST_SU_EUlST_E_NS1_11comp_targetILNS1_3genE3ELNS1_11target_archE908ELNS1_3gpuE7ELNS1_3repE0EEENS1_30default_config_static_selectorELNS0_4arch9wavefront6targetE1EEEvT1_,comdat
	.protected	_ZN7rocprim17ROCPRIM_400000_NS6detail17trampoline_kernelINS0_14default_configENS1_27scan_by_key_config_selectorIxxEEZZNS1_16scan_by_key_implILNS1_25lookback_scan_determinismE0ELb1ES3_N6thrust23THRUST_200600_302600_NS6detail15normal_iteratorINS9_10device_ptrIxEEEESE_SE_xNS9_4plusIxEE19head_flag_predicatexEE10hipError_tPvRmT2_T3_T4_T5_mT6_T7_P12ihipStream_tbENKUlT_T0_E_clISt17integral_constantIbLb0EESY_EEDaST_SU_EUlST_E_NS1_11comp_targetILNS1_3genE3ELNS1_11target_archE908ELNS1_3gpuE7ELNS1_3repE0EEENS1_30default_config_static_selectorELNS0_4arch9wavefront6targetE1EEEvT1_ ; -- Begin function _ZN7rocprim17ROCPRIM_400000_NS6detail17trampoline_kernelINS0_14default_configENS1_27scan_by_key_config_selectorIxxEEZZNS1_16scan_by_key_implILNS1_25lookback_scan_determinismE0ELb1ES3_N6thrust23THRUST_200600_302600_NS6detail15normal_iteratorINS9_10device_ptrIxEEEESE_SE_xNS9_4plusIxEE19head_flag_predicatexEE10hipError_tPvRmT2_T3_T4_T5_mT6_T7_P12ihipStream_tbENKUlT_T0_E_clISt17integral_constantIbLb0EESY_EEDaST_SU_EUlST_E_NS1_11comp_targetILNS1_3genE3ELNS1_11target_archE908ELNS1_3gpuE7ELNS1_3repE0EEENS1_30default_config_static_selectorELNS0_4arch9wavefront6targetE1EEEvT1_
	.globl	_ZN7rocprim17ROCPRIM_400000_NS6detail17trampoline_kernelINS0_14default_configENS1_27scan_by_key_config_selectorIxxEEZZNS1_16scan_by_key_implILNS1_25lookback_scan_determinismE0ELb1ES3_N6thrust23THRUST_200600_302600_NS6detail15normal_iteratorINS9_10device_ptrIxEEEESE_SE_xNS9_4plusIxEE19head_flag_predicatexEE10hipError_tPvRmT2_T3_T4_T5_mT6_T7_P12ihipStream_tbENKUlT_T0_E_clISt17integral_constantIbLb0EESY_EEDaST_SU_EUlST_E_NS1_11comp_targetILNS1_3genE3ELNS1_11target_archE908ELNS1_3gpuE7ELNS1_3repE0EEENS1_30default_config_static_selectorELNS0_4arch9wavefront6targetE1EEEvT1_
	.p2align	8
	.type	_ZN7rocprim17ROCPRIM_400000_NS6detail17trampoline_kernelINS0_14default_configENS1_27scan_by_key_config_selectorIxxEEZZNS1_16scan_by_key_implILNS1_25lookback_scan_determinismE0ELb1ES3_N6thrust23THRUST_200600_302600_NS6detail15normal_iteratorINS9_10device_ptrIxEEEESE_SE_xNS9_4plusIxEE19head_flag_predicatexEE10hipError_tPvRmT2_T3_T4_T5_mT6_T7_P12ihipStream_tbENKUlT_T0_E_clISt17integral_constantIbLb0EESY_EEDaST_SU_EUlST_E_NS1_11comp_targetILNS1_3genE3ELNS1_11target_archE908ELNS1_3gpuE7ELNS1_3repE0EEENS1_30default_config_static_selectorELNS0_4arch9wavefront6targetE1EEEvT1_,@function
_ZN7rocprim17ROCPRIM_400000_NS6detail17trampoline_kernelINS0_14default_configENS1_27scan_by_key_config_selectorIxxEEZZNS1_16scan_by_key_implILNS1_25lookback_scan_determinismE0ELb1ES3_N6thrust23THRUST_200600_302600_NS6detail15normal_iteratorINS9_10device_ptrIxEEEESE_SE_xNS9_4plusIxEE19head_flag_predicatexEE10hipError_tPvRmT2_T3_T4_T5_mT6_T7_P12ihipStream_tbENKUlT_T0_E_clISt17integral_constantIbLb0EESY_EEDaST_SU_EUlST_E_NS1_11comp_targetILNS1_3genE3ELNS1_11target_archE908ELNS1_3gpuE7ELNS1_3repE0EEENS1_30default_config_static_selectorELNS0_4arch9wavefront6targetE1EEEvT1_: ; @_ZN7rocprim17ROCPRIM_400000_NS6detail17trampoline_kernelINS0_14default_configENS1_27scan_by_key_config_selectorIxxEEZZNS1_16scan_by_key_implILNS1_25lookback_scan_determinismE0ELb1ES3_N6thrust23THRUST_200600_302600_NS6detail15normal_iteratorINS9_10device_ptrIxEEEESE_SE_xNS9_4plusIxEE19head_flag_predicatexEE10hipError_tPvRmT2_T3_T4_T5_mT6_T7_P12ihipStream_tbENKUlT_T0_E_clISt17integral_constantIbLb0EESY_EEDaST_SU_EUlST_E_NS1_11comp_targetILNS1_3genE3ELNS1_11target_archE908ELNS1_3gpuE7ELNS1_3repE0EEENS1_30default_config_static_selectorELNS0_4arch9wavefront6targetE1EEEvT1_
; %bb.0:
	.section	.rodata,"a",@progbits
	.p2align	6, 0x0
	.amdhsa_kernel _ZN7rocprim17ROCPRIM_400000_NS6detail17trampoline_kernelINS0_14default_configENS1_27scan_by_key_config_selectorIxxEEZZNS1_16scan_by_key_implILNS1_25lookback_scan_determinismE0ELb1ES3_N6thrust23THRUST_200600_302600_NS6detail15normal_iteratorINS9_10device_ptrIxEEEESE_SE_xNS9_4plusIxEE19head_flag_predicatexEE10hipError_tPvRmT2_T3_T4_T5_mT6_T7_P12ihipStream_tbENKUlT_T0_E_clISt17integral_constantIbLb0EESY_EEDaST_SU_EUlST_E_NS1_11comp_targetILNS1_3genE3ELNS1_11target_archE908ELNS1_3gpuE7ELNS1_3repE0EEENS1_30default_config_static_selectorELNS0_4arch9wavefront6targetE1EEEvT1_
		.amdhsa_group_segment_fixed_size 0
		.amdhsa_private_segment_fixed_size 0
		.amdhsa_kernarg_size 136
		.amdhsa_user_sgpr_count 2
		.amdhsa_user_sgpr_dispatch_ptr 0
		.amdhsa_user_sgpr_queue_ptr 0
		.amdhsa_user_sgpr_kernarg_segment_ptr 1
		.amdhsa_user_sgpr_dispatch_id 0
		.amdhsa_user_sgpr_kernarg_preload_length 0
		.amdhsa_user_sgpr_kernarg_preload_offset 0
		.amdhsa_user_sgpr_private_segment_size 0
		.amdhsa_uses_dynamic_stack 0
		.amdhsa_enable_private_segment 0
		.amdhsa_system_sgpr_workgroup_id_x 1
		.amdhsa_system_sgpr_workgroup_id_y 0
		.amdhsa_system_sgpr_workgroup_id_z 0
		.amdhsa_system_sgpr_workgroup_info 0
		.amdhsa_system_vgpr_workitem_id 0
		.amdhsa_next_free_vgpr 1
		.amdhsa_next_free_sgpr 0
		.amdhsa_accum_offset 4
		.amdhsa_reserve_vcc 0
		.amdhsa_float_round_mode_32 0
		.amdhsa_float_round_mode_16_64 0
		.amdhsa_float_denorm_mode_32 3
		.amdhsa_float_denorm_mode_16_64 3
		.amdhsa_dx10_clamp 1
		.amdhsa_ieee_mode 1
		.amdhsa_fp16_overflow 0
		.amdhsa_tg_split 0
		.amdhsa_exception_fp_ieee_invalid_op 0
		.amdhsa_exception_fp_denorm_src 0
		.amdhsa_exception_fp_ieee_div_zero 0
		.amdhsa_exception_fp_ieee_overflow 0
		.amdhsa_exception_fp_ieee_underflow 0
		.amdhsa_exception_fp_ieee_inexact 0
		.amdhsa_exception_int_div_zero 0
	.end_amdhsa_kernel
	.section	.text._ZN7rocprim17ROCPRIM_400000_NS6detail17trampoline_kernelINS0_14default_configENS1_27scan_by_key_config_selectorIxxEEZZNS1_16scan_by_key_implILNS1_25lookback_scan_determinismE0ELb1ES3_N6thrust23THRUST_200600_302600_NS6detail15normal_iteratorINS9_10device_ptrIxEEEESE_SE_xNS9_4plusIxEE19head_flag_predicatexEE10hipError_tPvRmT2_T3_T4_T5_mT6_T7_P12ihipStream_tbENKUlT_T0_E_clISt17integral_constantIbLb0EESY_EEDaST_SU_EUlST_E_NS1_11comp_targetILNS1_3genE3ELNS1_11target_archE908ELNS1_3gpuE7ELNS1_3repE0EEENS1_30default_config_static_selectorELNS0_4arch9wavefront6targetE1EEEvT1_,"axG",@progbits,_ZN7rocprim17ROCPRIM_400000_NS6detail17trampoline_kernelINS0_14default_configENS1_27scan_by_key_config_selectorIxxEEZZNS1_16scan_by_key_implILNS1_25lookback_scan_determinismE0ELb1ES3_N6thrust23THRUST_200600_302600_NS6detail15normal_iteratorINS9_10device_ptrIxEEEESE_SE_xNS9_4plusIxEE19head_flag_predicatexEE10hipError_tPvRmT2_T3_T4_T5_mT6_T7_P12ihipStream_tbENKUlT_T0_E_clISt17integral_constantIbLb0EESY_EEDaST_SU_EUlST_E_NS1_11comp_targetILNS1_3genE3ELNS1_11target_archE908ELNS1_3gpuE7ELNS1_3repE0EEENS1_30default_config_static_selectorELNS0_4arch9wavefront6targetE1EEEvT1_,comdat
.Lfunc_end717:
	.size	_ZN7rocprim17ROCPRIM_400000_NS6detail17trampoline_kernelINS0_14default_configENS1_27scan_by_key_config_selectorIxxEEZZNS1_16scan_by_key_implILNS1_25lookback_scan_determinismE0ELb1ES3_N6thrust23THRUST_200600_302600_NS6detail15normal_iteratorINS9_10device_ptrIxEEEESE_SE_xNS9_4plusIxEE19head_flag_predicatexEE10hipError_tPvRmT2_T3_T4_T5_mT6_T7_P12ihipStream_tbENKUlT_T0_E_clISt17integral_constantIbLb0EESY_EEDaST_SU_EUlST_E_NS1_11comp_targetILNS1_3genE3ELNS1_11target_archE908ELNS1_3gpuE7ELNS1_3repE0EEENS1_30default_config_static_selectorELNS0_4arch9wavefront6targetE1EEEvT1_, .Lfunc_end717-_ZN7rocprim17ROCPRIM_400000_NS6detail17trampoline_kernelINS0_14default_configENS1_27scan_by_key_config_selectorIxxEEZZNS1_16scan_by_key_implILNS1_25lookback_scan_determinismE0ELb1ES3_N6thrust23THRUST_200600_302600_NS6detail15normal_iteratorINS9_10device_ptrIxEEEESE_SE_xNS9_4plusIxEE19head_flag_predicatexEE10hipError_tPvRmT2_T3_T4_T5_mT6_T7_P12ihipStream_tbENKUlT_T0_E_clISt17integral_constantIbLb0EESY_EEDaST_SU_EUlST_E_NS1_11comp_targetILNS1_3genE3ELNS1_11target_archE908ELNS1_3gpuE7ELNS1_3repE0EEENS1_30default_config_static_selectorELNS0_4arch9wavefront6targetE1EEEvT1_
                                        ; -- End function
	.section	.AMDGPU.csdata,"",@progbits
; Kernel info:
; codeLenInByte = 0
; NumSgprs: 6
; NumVgprs: 0
; NumAgprs: 0
; TotalNumVgprs: 0
; ScratchSize: 0
; MemoryBound: 0
; FloatMode: 240
; IeeeMode: 1
; LDSByteSize: 0 bytes/workgroup (compile time only)
; SGPRBlocks: 0
; VGPRBlocks: 0
; NumSGPRsForWavesPerEU: 6
; NumVGPRsForWavesPerEU: 1
; AccumOffset: 4
; Occupancy: 8
; WaveLimiterHint : 0
; COMPUTE_PGM_RSRC2:SCRATCH_EN: 0
; COMPUTE_PGM_RSRC2:USER_SGPR: 2
; COMPUTE_PGM_RSRC2:TRAP_HANDLER: 0
; COMPUTE_PGM_RSRC2:TGID_X_EN: 1
; COMPUTE_PGM_RSRC2:TGID_Y_EN: 0
; COMPUTE_PGM_RSRC2:TGID_Z_EN: 0
; COMPUTE_PGM_RSRC2:TIDIG_COMP_CNT: 0
; COMPUTE_PGM_RSRC3_GFX90A:ACCUM_OFFSET: 0
; COMPUTE_PGM_RSRC3_GFX90A:TG_SPLIT: 0
	.section	.text._ZN7rocprim17ROCPRIM_400000_NS6detail17trampoline_kernelINS0_14default_configENS1_27scan_by_key_config_selectorIxxEEZZNS1_16scan_by_key_implILNS1_25lookback_scan_determinismE0ELb1ES3_N6thrust23THRUST_200600_302600_NS6detail15normal_iteratorINS9_10device_ptrIxEEEESE_SE_xNS9_4plusIxEE19head_flag_predicatexEE10hipError_tPvRmT2_T3_T4_T5_mT6_T7_P12ihipStream_tbENKUlT_T0_E_clISt17integral_constantIbLb0EESY_EEDaST_SU_EUlST_E_NS1_11comp_targetILNS1_3genE2ELNS1_11target_archE906ELNS1_3gpuE6ELNS1_3repE0EEENS1_30default_config_static_selectorELNS0_4arch9wavefront6targetE1EEEvT1_,"axG",@progbits,_ZN7rocprim17ROCPRIM_400000_NS6detail17trampoline_kernelINS0_14default_configENS1_27scan_by_key_config_selectorIxxEEZZNS1_16scan_by_key_implILNS1_25lookback_scan_determinismE0ELb1ES3_N6thrust23THRUST_200600_302600_NS6detail15normal_iteratorINS9_10device_ptrIxEEEESE_SE_xNS9_4plusIxEE19head_flag_predicatexEE10hipError_tPvRmT2_T3_T4_T5_mT6_T7_P12ihipStream_tbENKUlT_T0_E_clISt17integral_constantIbLb0EESY_EEDaST_SU_EUlST_E_NS1_11comp_targetILNS1_3genE2ELNS1_11target_archE906ELNS1_3gpuE6ELNS1_3repE0EEENS1_30default_config_static_selectorELNS0_4arch9wavefront6targetE1EEEvT1_,comdat
	.protected	_ZN7rocprim17ROCPRIM_400000_NS6detail17trampoline_kernelINS0_14default_configENS1_27scan_by_key_config_selectorIxxEEZZNS1_16scan_by_key_implILNS1_25lookback_scan_determinismE0ELb1ES3_N6thrust23THRUST_200600_302600_NS6detail15normal_iteratorINS9_10device_ptrIxEEEESE_SE_xNS9_4plusIxEE19head_flag_predicatexEE10hipError_tPvRmT2_T3_T4_T5_mT6_T7_P12ihipStream_tbENKUlT_T0_E_clISt17integral_constantIbLb0EESY_EEDaST_SU_EUlST_E_NS1_11comp_targetILNS1_3genE2ELNS1_11target_archE906ELNS1_3gpuE6ELNS1_3repE0EEENS1_30default_config_static_selectorELNS0_4arch9wavefront6targetE1EEEvT1_ ; -- Begin function _ZN7rocprim17ROCPRIM_400000_NS6detail17trampoline_kernelINS0_14default_configENS1_27scan_by_key_config_selectorIxxEEZZNS1_16scan_by_key_implILNS1_25lookback_scan_determinismE0ELb1ES3_N6thrust23THRUST_200600_302600_NS6detail15normal_iteratorINS9_10device_ptrIxEEEESE_SE_xNS9_4plusIxEE19head_flag_predicatexEE10hipError_tPvRmT2_T3_T4_T5_mT6_T7_P12ihipStream_tbENKUlT_T0_E_clISt17integral_constantIbLb0EESY_EEDaST_SU_EUlST_E_NS1_11comp_targetILNS1_3genE2ELNS1_11target_archE906ELNS1_3gpuE6ELNS1_3repE0EEENS1_30default_config_static_selectorELNS0_4arch9wavefront6targetE1EEEvT1_
	.globl	_ZN7rocprim17ROCPRIM_400000_NS6detail17trampoline_kernelINS0_14default_configENS1_27scan_by_key_config_selectorIxxEEZZNS1_16scan_by_key_implILNS1_25lookback_scan_determinismE0ELb1ES3_N6thrust23THRUST_200600_302600_NS6detail15normal_iteratorINS9_10device_ptrIxEEEESE_SE_xNS9_4plusIxEE19head_flag_predicatexEE10hipError_tPvRmT2_T3_T4_T5_mT6_T7_P12ihipStream_tbENKUlT_T0_E_clISt17integral_constantIbLb0EESY_EEDaST_SU_EUlST_E_NS1_11comp_targetILNS1_3genE2ELNS1_11target_archE906ELNS1_3gpuE6ELNS1_3repE0EEENS1_30default_config_static_selectorELNS0_4arch9wavefront6targetE1EEEvT1_
	.p2align	8
	.type	_ZN7rocprim17ROCPRIM_400000_NS6detail17trampoline_kernelINS0_14default_configENS1_27scan_by_key_config_selectorIxxEEZZNS1_16scan_by_key_implILNS1_25lookback_scan_determinismE0ELb1ES3_N6thrust23THRUST_200600_302600_NS6detail15normal_iteratorINS9_10device_ptrIxEEEESE_SE_xNS9_4plusIxEE19head_flag_predicatexEE10hipError_tPvRmT2_T3_T4_T5_mT6_T7_P12ihipStream_tbENKUlT_T0_E_clISt17integral_constantIbLb0EESY_EEDaST_SU_EUlST_E_NS1_11comp_targetILNS1_3genE2ELNS1_11target_archE906ELNS1_3gpuE6ELNS1_3repE0EEENS1_30default_config_static_selectorELNS0_4arch9wavefront6targetE1EEEvT1_,@function
_ZN7rocprim17ROCPRIM_400000_NS6detail17trampoline_kernelINS0_14default_configENS1_27scan_by_key_config_selectorIxxEEZZNS1_16scan_by_key_implILNS1_25lookback_scan_determinismE0ELb1ES3_N6thrust23THRUST_200600_302600_NS6detail15normal_iteratorINS9_10device_ptrIxEEEESE_SE_xNS9_4plusIxEE19head_flag_predicatexEE10hipError_tPvRmT2_T3_T4_T5_mT6_T7_P12ihipStream_tbENKUlT_T0_E_clISt17integral_constantIbLb0EESY_EEDaST_SU_EUlST_E_NS1_11comp_targetILNS1_3genE2ELNS1_11target_archE906ELNS1_3gpuE6ELNS1_3repE0EEENS1_30default_config_static_selectorELNS0_4arch9wavefront6targetE1EEEvT1_: ; @_ZN7rocprim17ROCPRIM_400000_NS6detail17trampoline_kernelINS0_14default_configENS1_27scan_by_key_config_selectorIxxEEZZNS1_16scan_by_key_implILNS1_25lookback_scan_determinismE0ELb1ES3_N6thrust23THRUST_200600_302600_NS6detail15normal_iteratorINS9_10device_ptrIxEEEESE_SE_xNS9_4plusIxEE19head_flag_predicatexEE10hipError_tPvRmT2_T3_T4_T5_mT6_T7_P12ihipStream_tbENKUlT_T0_E_clISt17integral_constantIbLb0EESY_EEDaST_SU_EUlST_E_NS1_11comp_targetILNS1_3genE2ELNS1_11target_archE906ELNS1_3gpuE6ELNS1_3repE0EEENS1_30default_config_static_selectorELNS0_4arch9wavefront6targetE1EEEvT1_
; %bb.0:
	.section	.rodata,"a",@progbits
	.p2align	6, 0x0
	.amdhsa_kernel _ZN7rocprim17ROCPRIM_400000_NS6detail17trampoline_kernelINS0_14default_configENS1_27scan_by_key_config_selectorIxxEEZZNS1_16scan_by_key_implILNS1_25lookback_scan_determinismE0ELb1ES3_N6thrust23THRUST_200600_302600_NS6detail15normal_iteratorINS9_10device_ptrIxEEEESE_SE_xNS9_4plusIxEE19head_flag_predicatexEE10hipError_tPvRmT2_T3_T4_T5_mT6_T7_P12ihipStream_tbENKUlT_T0_E_clISt17integral_constantIbLb0EESY_EEDaST_SU_EUlST_E_NS1_11comp_targetILNS1_3genE2ELNS1_11target_archE906ELNS1_3gpuE6ELNS1_3repE0EEENS1_30default_config_static_selectorELNS0_4arch9wavefront6targetE1EEEvT1_
		.amdhsa_group_segment_fixed_size 0
		.amdhsa_private_segment_fixed_size 0
		.amdhsa_kernarg_size 136
		.amdhsa_user_sgpr_count 2
		.amdhsa_user_sgpr_dispatch_ptr 0
		.amdhsa_user_sgpr_queue_ptr 0
		.amdhsa_user_sgpr_kernarg_segment_ptr 1
		.amdhsa_user_sgpr_dispatch_id 0
		.amdhsa_user_sgpr_kernarg_preload_length 0
		.amdhsa_user_sgpr_kernarg_preload_offset 0
		.amdhsa_user_sgpr_private_segment_size 0
		.amdhsa_uses_dynamic_stack 0
		.amdhsa_enable_private_segment 0
		.amdhsa_system_sgpr_workgroup_id_x 1
		.amdhsa_system_sgpr_workgroup_id_y 0
		.amdhsa_system_sgpr_workgroup_id_z 0
		.amdhsa_system_sgpr_workgroup_info 0
		.amdhsa_system_vgpr_workitem_id 0
		.amdhsa_next_free_vgpr 1
		.amdhsa_next_free_sgpr 0
		.amdhsa_accum_offset 4
		.amdhsa_reserve_vcc 0
		.amdhsa_float_round_mode_32 0
		.amdhsa_float_round_mode_16_64 0
		.amdhsa_float_denorm_mode_32 3
		.amdhsa_float_denorm_mode_16_64 3
		.amdhsa_dx10_clamp 1
		.amdhsa_ieee_mode 1
		.amdhsa_fp16_overflow 0
		.amdhsa_tg_split 0
		.amdhsa_exception_fp_ieee_invalid_op 0
		.amdhsa_exception_fp_denorm_src 0
		.amdhsa_exception_fp_ieee_div_zero 0
		.amdhsa_exception_fp_ieee_overflow 0
		.amdhsa_exception_fp_ieee_underflow 0
		.amdhsa_exception_fp_ieee_inexact 0
		.amdhsa_exception_int_div_zero 0
	.end_amdhsa_kernel
	.section	.text._ZN7rocprim17ROCPRIM_400000_NS6detail17trampoline_kernelINS0_14default_configENS1_27scan_by_key_config_selectorIxxEEZZNS1_16scan_by_key_implILNS1_25lookback_scan_determinismE0ELb1ES3_N6thrust23THRUST_200600_302600_NS6detail15normal_iteratorINS9_10device_ptrIxEEEESE_SE_xNS9_4plusIxEE19head_flag_predicatexEE10hipError_tPvRmT2_T3_T4_T5_mT6_T7_P12ihipStream_tbENKUlT_T0_E_clISt17integral_constantIbLb0EESY_EEDaST_SU_EUlST_E_NS1_11comp_targetILNS1_3genE2ELNS1_11target_archE906ELNS1_3gpuE6ELNS1_3repE0EEENS1_30default_config_static_selectorELNS0_4arch9wavefront6targetE1EEEvT1_,"axG",@progbits,_ZN7rocprim17ROCPRIM_400000_NS6detail17trampoline_kernelINS0_14default_configENS1_27scan_by_key_config_selectorIxxEEZZNS1_16scan_by_key_implILNS1_25lookback_scan_determinismE0ELb1ES3_N6thrust23THRUST_200600_302600_NS6detail15normal_iteratorINS9_10device_ptrIxEEEESE_SE_xNS9_4plusIxEE19head_flag_predicatexEE10hipError_tPvRmT2_T3_T4_T5_mT6_T7_P12ihipStream_tbENKUlT_T0_E_clISt17integral_constantIbLb0EESY_EEDaST_SU_EUlST_E_NS1_11comp_targetILNS1_3genE2ELNS1_11target_archE906ELNS1_3gpuE6ELNS1_3repE0EEENS1_30default_config_static_selectorELNS0_4arch9wavefront6targetE1EEEvT1_,comdat
.Lfunc_end718:
	.size	_ZN7rocprim17ROCPRIM_400000_NS6detail17trampoline_kernelINS0_14default_configENS1_27scan_by_key_config_selectorIxxEEZZNS1_16scan_by_key_implILNS1_25lookback_scan_determinismE0ELb1ES3_N6thrust23THRUST_200600_302600_NS6detail15normal_iteratorINS9_10device_ptrIxEEEESE_SE_xNS9_4plusIxEE19head_flag_predicatexEE10hipError_tPvRmT2_T3_T4_T5_mT6_T7_P12ihipStream_tbENKUlT_T0_E_clISt17integral_constantIbLb0EESY_EEDaST_SU_EUlST_E_NS1_11comp_targetILNS1_3genE2ELNS1_11target_archE906ELNS1_3gpuE6ELNS1_3repE0EEENS1_30default_config_static_selectorELNS0_4arch9wavefront6targetE1EEEvT1_, .Lfunc_end718-_ZN7rocprim17ROCPRIM_400000_NS6detail17trampoline_kernelINS0_14default_configENS1_27scan_by_key_config_selectorIxxEEZZNS1_16scan_by_key_implILNS1_25lookback_scan_determinismE0ELb1ES3_N6thrust23THRUST_200600_302600_NS6detail15normal_iteratorINS9_10device_ptrIxEEEESE_SE_xNS9_4plusIxEE19head_flag_predicatexEE10hipError_tPvRmT2_T3_T4_T5_mT6_T7_P12ihipStream_tbENKUlT_T0_E_clISt17integral_constantIbLb0EESY_EEDaST_SU_EUlST_E_NS1_11comp_targetILNS1_3genE2ELNS1_11target_archE906ELNS1_3gpuE6ELNS1_3repE0EEENS1_30default_config_static_selectorELNS0_4arch9wavefront6targetE1EEEvT1_
                                        ; -- End function
	.section	.AMDGPU.csdata,"",@progbits
; Kernel info:
; codeLenInByte = 0
; NumSgprs: 6
; NumVgprs: 0
; NumAgprs: 0
; TotalNumVgprs: 0
; ScratchSize: 0
; MemoryBound: 0
; FloatMode: 240
; IeeeMode: 1
; LDSByteSize: 0 bytes/workgroup (compile time only)
; SGPRBlocks: 0
; VGPRBlocks: 0
; NumSGPRsForWavesPerEU: 6
; NumVGPRsForWavesPerEU: 1
; AccumOffset: 4
; Occupancy: 8
; WaveLimiterHint : 0
; COMPUTE_PGM_RSRC2:SCRATCH_EN: 0
; COMPUTE_PGM_RSRC2:USER_SGPR: 2
; COMPUTE_PGM_RSRC2:TRAP_HANDLER: 0
; COMPUTE_PGM_RSRC2:TGID_X_EN: 1
; COMPUTE_PGM_RSRC2:TGID_Y_EN: 0
; COMPUTE_PGM_RSRC2:TGID_Z_EN: 0
; COMPUTE_PGM_RSRC2:TIDIG_COMP_CNT: 0
; COMPUTE_PGM_RSRC3_GFX90A:ACCUM_OFFSET: 0
; COMPUTE_PGM_RSRC3_GFX90A:TG_SPLIT: 0
	.section	.text._ZN7rocprim17ROCPRIM_400000_NS6detail17trampoline_kernelINS0_14default_configENS1_27scan_by_key_config_selectorIxxEEZZNS1_16scan_by_key_implILNS1_25lookback_scan_determinismE0ELb1ES3_N6thrust23THRUST_200600_302600_NS6detail15normal_iteratorINS9_10device_ptrIxEEEESE_SE_xNS9_4plusIxEE19head_flag_predicatexEE10hipError_tPvRmT2_T3_T4_T5_mT6_T7_P12ihipStream_tbENKUlT_T0_E_clISt17integral_constantIbLb0EESY_EEDaST_SU_EUlST_E_NS1_11comp_targetILNS1_3genE10ELNS1_11target_archE1200ELNS1_3gpuE4ELNS1_3repE0EEENS1_30default_config_static_selectorELNS0_4arch9wavefront6targetE1EEEvT1_,"axG",@progbits,_ZN7rocprim17ROCPRIM_400000_NS6detail17trampoline_kernelINS0_14default_configENS1_27scan_by_key_config_selectorIxxEEZZNS1_16scan_by_key_implILNS1_25lookback_scan_determinismE0ELb1ES3_N6thrust23THRUST_200600_302600_NS6detail15normal_iteratorINS9_10device_ptrIxEEEESE_SE_xNS9_4plusIxEE19head_flag_predicatexEE10hipError_tPvRmT2_T3_T4_T5_mT6_T7_P12ihipStream_tbENKUlT_T0_E_clISt17integral_constantIbLb0EESY_EEDaST_SU_EUlST_E_NS1_11comp_targetILNS1_3genE10ELNS1_11target_archE1200ELNS1_3gpuE4ELNS1_3repE0EEENS1_30default_config_static_selectorELNS0_4arch9wavefront6targetE1EEEvT1_,comdat
	.protected	_ZN7rocprim17ROCPRIM_400000_NS6detail17trampoline_kernelINS0_14default_configENS1_27scan_by_key_config_selectorIxxEEZZNS1_16scan_by_key_implILNS1_25lookback_scan_determinismE0ELb1ES3_N6thrust23THRUST_200600_302600_NS6detail15normal_iteratorINS9_10device_ptrIxEEEESE_SE_xNS9_4plusIxEE19head_flag_predicatexEE10hipError_tPvRmT2_T3_T4_T5_mT6_T7_P12ihipStream_tbENKUlT_T0_E_clISt17integral_constantIbLb0EESY_EEDaST_SU_EUlST_E_NS1_11comp_targetILNS1_3genE10ELNS1_11target_archE1200ELNS1_3gpuE4ELNS1_3repE0EEENS1_30default_config_static_selectorELNS0_4arch9wavefront6targetE1EEEvT1_ ; -- Begin function _ZN7rocprim17ROCPRIM_400000_NS6detail17trampoline_kernelINS0_14default_configENS1_27scan_by_key_config_selectorIxxEEZZNS1_16scan_by_key_implILNS1_25lookback_scan_determinismE0ELb1ES3_N6thrust23THRUST_200600_302600_NS6detail15normal_iteratorINS9_10device_ptrIxEEEESE_SE_xNS9_4plusIxEE19head_flag_predicatexEE10hipError_tPvRmT2_T3_T4_T5_mT6_T7_P12ihipStream_tbENKUlT_T0_E_clISt17integral_constantIbLb0EESY_EEDaST_SU_EUlST_E_NS1_11comp_targetILNS1_3genE10ELNS1_11target_archE1200ELNS1_3gpuE4ELNS1_3repE0EEENS1_30default_config_static_selectorELNS0_4arch9wavefront6targetE1EEEvT1_
	.globl	_ZN7rocprim17ROCPRIM_400000_NS6detail17trampoline_kernelINS0_14default_configENS1_27scan_by_key_config_selectorIxxEEZZNS1_16scan_by_key_implILNS1_25lookback_scan_determinismE0ELb1ES3_N6thrust23THRUST_200600_302600_NS6detail15normal_iteratorINS9_10device_ptrIxEEEESE_SE_xNS9_4plusIxEE19head_flag_predicatexEE10hipError_tPvRmT2_T3_T4_T5_mT6_T7_P12ihipStream_tbENKUlT_T0_E_clISt17integral_constantIbLb0EESY_EEDaST_SU_EUlST_E_NS1_11comp_targetILNS1_3genE10ELNS1_11target_archE1200ELNS1_3gpuE4ELNS1_3repE0EEENS1_30default_config_static_selectorELNS0_4arch9wavefront6targetE1EEEvT1_
	.p2align	8
	.type	_ZN7rocprim17ROCPRIM_400000_NS6detail17trampoline_kernelINS0_14default_configENS1_27scan_by_key_config_selectorIxxEEZZNS1_16scan_by_key_implILNS1_25lookback_scan_determinismE0ELb1ES3_N6thrust23THRUST_200600_302600_NS6detail15normal_iteratorINS9_10device_ptrIxEEEESE_SE_xNS9_4plusIxEE19head_flag_predicatexEE10hipError_tPvRmT2_T3_T4_T5_mT6_T7_P12ihipStream_tbENKUlT_T0_E_clISt17integral_constantIbLb0EESY_EEDaST_SU_EUlST_E_NS1_11comp_targetILNS1_3genE10ELNS1_11target_archE1200ELNS1_3gpuE4ELNS1_3repE0EEENS1_30default_config_static_selectorELNS0_4arch9wavefront6targetE1EEEvT1_,@function
_ZN7rocprim17ROCPRIM_400000_NS6detail17trampoline_kernelINS0_14default_configENS1_27scan_by_key_config_selectorIxxEEZZNS1_16scan_by_key_implILNS1_25lookback_scan_determinismE0ELb1ES3_N6thrust23THRUST_200600_302600_NS6detail15normal_iteratorINS9_10device_ptrIxEEEESE_SE_xNS9_4plusIxEE19head_flag_predicatexEE10hipError_tPvRmT2_T3_T4_T5_mT6_T7_P12ihipStream_tbENKUlT_T0_E_clISt17integral_constantIbLb0EESY_EEDaST_SU_EUlST_E_NS1_11comp_targetILNS1_3genE10ELNS1_11target_archE1200ELNS1_3gpuE4ELNS1_3repE0EEENS1_30default_config_static_selectorELNS0_4arch9wavefront6targetE1EEEvT1_: ; @_ZN7rocprim17ROCPRIM_400000_NS6detail17trampoline_kernelINS0_14default_configENS1_27scan_by_key_config_selectorIxxEEZZNS1_16scan_by_key_implILNS1_25lookback_scan_determinismE0ELb1ES3_N6thrust23THRUST_200600_302600_NS6detail15normal_iteratorINS9_10device_ptrIxEEEESE_SE_xNS9_4plusIxEE19head_flag_predicatexEE10hipError_tPvRmT2_T3_T4_T5_mT6_T7_P12ihipStream_tbENKUlT_T0_E_clISt17integral_constantIbLb0EESY_EEDaST_SU_EUlST_E_NS1_11comp_targetILNS1_3genE10ELNS1_11target_archE1200ELNS1_3gpuE4ELNS1_3repE0EEENS1_30default_config_static_selectorELNS0_4arch9wavefront6targetE1EEEvT1_
; %bb.0:
	.section	.rodata,"a",@progbits
	.p2align	6, 0x0
	.amdhsa_kernel _ZN7rocprim17ROCPRIM_400000_NS6detail17trampoline_kernelINS0_14default_configENS1_27scan_by_key_config_selectorIxxEEZZNS1_16scan_by_key_implILNS1_25lookback_scan_determinismE0ELb1ES3_N6thrust23THRUST_200600_302600_NS6detail15normal_iteratorINS9_10device_ptrIxEEEESE_SE_xNS9_4plusIxEE19head_flag_predicatexEE10hipError_tPvRmT2_T3_T4_T5_mT6_T7_P12ihipStream_tbENKUlT_T0_E_clISt17integral_constantIbLb0EESY_EEDaST_SU_EUlST_E_NS1_11comp_targetILNS1_3genE10ELNS1_11target_archE1200ELNS1_3gpuE4ELNS1_3repE0EEENS1_30default_config_static_selectorELNS0_4arch9wavefront6targetE1EEEvT1_
		.amdhsa_group_segment_fixed_size 0
		.amdhsa_private_segment_fixed_size 0
		.amdhsa_kernarg_size 136
		.amdhsa_user_sgpr_count 2
		.amdhsa_user_sgpr_dispatch_ptr 0
		.amdhsa_user_sgpr_queue_ptr 0
		.amdhsa_user_sgpr_kernarg_segment_ptr 1
		.amdhsa_user_sgpr_dispatch_id 0
		.amdhsa_user_sgpr_kernarg_preload_length 0
		.amdhsa_user_sgpr_kernarg_preload_offset 0
		.amdhsa_user_sgpr_private_segment_size 0
		.amdhsa_uses_dynamic_stack 0
		.amdhsa_enable_private_segment 0
		.amdhsa_system_sgpr_workgroup_id_x 1
		.amdhsa_system_sgpr_workgroup_id_y 0
		.amdhsa_system_sgpr_workgroup_id_z 0
		.amdhsa_system_sgpr_workgroup_info 0
		.amdhsa_system_vgpr_workitem_id 0
		.amdhsa_next_free_vgpr 1
		.amdhsa_next_free_sgpr 0
		.amdhsa_accum_offset 4
		.amdhsa_reserve_vcc 0
		.amdhsa_float_round_mode_32 0
		.amdhsa_float_round_mode_16_64 0
		.amdhsa_float_denorm_mode_32 3
		.amdhsa_float_denorm_mode_16_64 3
		.amdhsa_dx10_clamp 1
		.amdhsa_ieee_mode 1
		.amdhsa_fp16_overflow 0
		.amdhsa_tg_split 0
		.amdhsa_exception_fp_ieee_invalid_op 0
		.amdhsa_exception_fp_denorm_src 0
		.amdhsa_exception_fp_ieee_div_zero 0
		.amdhsa_exception_fp_ieee_overflow 0
		.amdhsa_exception_fp_ieee_underflow 0
		.amdhsa_exception_fp_ieee_inexact 0
		.amdhsa_exception_int_div_zero 0
	.end_amdhsa_kernel
	.section	.text._ZN7rocprim17ROCPRIM_400000_NS6detail17trampoline_kernelINS0_14default_configENS1_27scan_by_key_config_selectorIxxEEZZNS1_16scan_by_key_implILNS1_25lookback_scan_determinismE0ELb1ES3_N6thrust23THRUST_200600_302600_NS6detail15normal_iteratorINS9_10device_ptrIxEEEESE_SE_xNS9_4plusIxEE19head_flag_predicatexEE10hipError_tPvRmT2_T3_T4_T5_mT6_T7_P12ihipStream_tbENKUlT_T0_E_clISt17integral_constantIbLb0EESY_EEDaST_SU_EUlST_E_NS1_11comp_targetILNS1_3genE10ELNS1_11target_archE1200ELNS1_3gpuE4ELNS1_3repE0EEENS1_30default_config_static_selectorELNS0_4arch9wavefront6targetE1EEEvT1_,"axG",@progbits,_ZN7rocprim17ROCPRIM_400000_NS6detail17trampoline_kernelINS0_14default_configENS1_27scan_by_key_config_selectorIxxEEZZNS1_16scan_by_key_implILNS1_25lookback_scan_determinismE0ELb1ES3_N6thrust23THRUST_200600_302600_NS6detail15normal_iteratorINS9_10device_ptrIxEEEESE_SE_xNS9_4plusIxEE19head_flag_predicatexEE10hipError_tPvRmT2_T3_T4_T5_mT6_T7_P12ihipStream_tbENKUlT_T0_E_clISt17integral_constantIbLb0EESY_EEDaST_SU_EUlST_E_NS1_11comp_targetILNS1_3genE10ELNS1_11target_archE1200ELNS1_3gpuE4ELNS1_3repE0EEENS1_30default_config_static_selectorELNS0_4arch9wavefront6targetE1EEEvT1_,comdat
.Lfunc_end719:
	.size	_ZN7rocprim17ROCPRIM_400000_NS6detail17trampoline_kernelINS0_14default_configENS1_27scan_by_key_config_selectorIxxEEZZNS1_16scan_by_key_implILNS1_25lookback_scan_determinismE0ELb1ES3_N6thrust23THRUST_200600_302600_NS6detail15normal_iteratorINS9_10device_ptrIxEEEESE_SE_xNS9_4plusIxEE19head_flag_predicatexEE10hipError_tPvRmT2_T3_T4_T5_mT6_T7_P12ihipStream_tbENKUlT_T0_E_clISt17integral_constantIbLb0EESY_EEDaST_SU_EUlST_E_NS1_11comp_targetILNS1_3genE10ELNS1_11target_archE1200ELNS1_3gpuE4ELNS1_3repE0EEENS1_30default_config_static_selectorELNS0_4arch9wavefront6targetE1EEEvT1_, .Lfunc_end719-_ZN7rocprim17ROCPRIM_400000_NS6detail17trampoline_kernelINS0_14default_configENS1_27scan_by_key_config_selectorIxxEEZZNS1_16scan_by_key_implILNS1_25lookback_scan_determinismE0ELb1ES3_N6thrust23THRUST_200600_302600_NS6detail15normal_iteratorINS9_10device_ptrIxEEEESE_SE_xNS9_4plusIxEE19head_flag_predicatexEE10hipError_tPvRmT2_T3_T4_T5_mT6_T7_P12ihipStream_tbENKUlT_T0_E_clISt17integral_constantIbLb0EESY_EEDaST_SU_EUlST_E_NS1_11comp_targetILNS1_3genE10ELNS1_11target_archE1200ELNS1_3gpuE4ELNS1_3repE0EEENS1_30default_config_static_selectorELNS0_4arch9wavefront6targetE1EEEvT1_
                                        ; -- End function
	.section	.AMDGPU.csdata,"",@progbits
; Kernel info:
; codeLenInByte = 0
; NumSgprs: 6
; NumVgprs: 0
; NumAgprs: 0
; TotalNumVgprs: 0
; ScratchSize: 0
; MemoryBound: 0
; FloatMode: 240
; IeeeMode: 1
; LDSByteSize: 0 bytes/workgroup (compile time only)
; SGPRBlocks: 0
; VGPRBlocks: 0
; NumSGPRsForWavesPerEU: 6
; NumVGPRsForWavesPerEU: 1
; AccumOffset: 4
; Occupancy: 8
; WaveLimiterHint : 0
; COMPUTE_PGM_RSRC2:SCRATCH_EN: 0
; COMPUTE_PGM_RSRC2:USER_SGPR: 2
; COMPUTE_PGM_RSRC2:TRAP_HANDLER: 0
; COMPUTE_PGM_RSRC2:TGID_X_EN: 1
; COMPUTE_PGM_RSRC2:TGID_Y_EN: 0
; COMPUTE_PGM_RSRC2:TGID_Z_EN: 0
; COMPUTE_PGM_RSRC2:TIDIG_COMP_CNT: 0
; COMPUTE_PGM_RSRC3_GFX90A:ACCUM_OFFSET: 0
; COMPUTE_PGM_RSRC3_GFX90A:TG_SPLIT: 0
	.section	.text._ZN7rocprim17ROCPRIM_400000_NS6detail17trampoline_kernelINS0_14default_configENS1_27scan_by_key_config_selectorIxxEEZZNS1_16scan_by_key_implILNS1_25lookback_scan_determinismE0ELb1ES3_N6thrust23THRUST_200600_302600_NS6detail15normal_iteratorINS9_10device_ptrIxEEEESE_SE_xNS9_4plusIxEE19head_flag_predicatexEE10hipError_tPvRmT2_T3_T4_T5_mT6_T7_P12ihipStream_tbENKUlT_T0_E_clISt17integral_constantIbLb0EESY_EEDaST_SU_EUlST_E_NS1_11comp_targetILNS1_3genE9ELNS1_11target_archE1100ELNS1_3gpuE3ELNS1_3repE0EEENS1_30default_config_static_selectorELNS0_4arch9wavefront6targetE1EEEvT1_,"axG",@progbits,_ZN7rocprim17ROCPRIM_400000_NS6detail17trampoline_kernelINS0_14default_configENS1_27scan_by_key_config_selectorIxxEEZZNS1_16scan_by_key_implILNS1_25lookback_scan_determinismE0ELb1ES3_N6thrust23THRUST_200600_302600_NS6detail15normal_iteratorINS9_10device_ptrIxEEEESE_SE_xNS9_4plusIxEE19head_flag_predicatexEE10hipError_tPvRmT2_T3_T4_T5_mT6_T7_P12ihipStream_tbENKUlT_T0_E_clISt17integral_constantIbLb0EESY_EEDaST_SU_EUlST_E_NS1_11comp_targetILNS1_3genE9ELNS1_11target_archE1100ELNS1_3gpuE3ELNS1_3repE0EEENS1_30default_config_static_selectorELNS0_4arch9wavefront6targetE1EEEvT1_,comdat
	.protected	_ZN7rocprim17ROCPRIM_400000_NS6detail17trampoline_kernelINS0_14default_configENS1_27scan_by_key_config_selectorIxxEEZZNS1_16scan_by_key_implILNS1_25lookback_scan_determinismE0ELb1ES3_N6thrust23THRUST_200600_302600_NS6detail15normal_iteratorINS9_10device_ptrIxEEEESE_SE_xNS9_4plusIxEE19head_flag_predicatexEE10hipError_tPvRmT2_T3_T4_T5_mT6_T7_P12ihipStream_tbENKUlT_T0_E_clISt17integral_constantIbLb0EESY_EEDaST_SU_EUlST_E_NS1_11comp_targetILNS1_3genE9ELNS1_11target_archE1100ELNS1_3gpuE3ELNS1_3repE0EEENS1_30default_config_static_selectorELNS0_4arch9wavefront6targetE1EEEvT1_ ; -- Begin function _ZN7rocprim17ROCPRIM_400000_NS6detail17trampoline_kernelINS0_14default_configENS1_27scan_by_key_config_selectorIxxEEZZNS1_16scan_by_key_implILNS1_25lookback_scan_determinismE0ELb1ES3_N6thrust23THRUST_200600_302600_NS6detail15normal_iteratorINS9_10device_ptrIxEEEESE_SE_xNS9_4plusIxEE19head_flag_predicatexEE10hipError_tPvRmT2_T3_T4_T5_mT6_T7_P12ihipStream_tbENKUlT_T0_E_clISt17integral_constantIbLb0EESY_EEDaST_SU_EUlST_E_NS1_11comp_targetILNS1_3genE9ELNS1_11target_archE1100ELNS1_3gpuE3ELNS1_3repE0EEENS1_30default_config_static_selectorELNS0_4arch9wavefront6targetE1EEEvT1_
	.globl	_ZN7rocprim17ROCPRIM_400000_NS6detail17trampoline_kernelINS0_14default_configENS1_27scan_by_key_config_selectorIxxEEZZNS1_16scan_by_key_implILNS1_25lookback_scan_determinismE0ELb1ES3_N6thrust23THRUST_200600_302600_NS6detail15normal_iteratorINS9_10device_ptrIxEEEESE_SE_xNS9_4plusIxEE19head_flag_predicatexEE10hipError_tPvRmT2_T3_T4_T5_mT6_T7_P12ihipStream_tbENKUlT_T0_E_clISt17integral_constantIbLb0EESY_EEDaST_SU_EUlST_E_NS1_11comp_targetILNS1_3genE9ELNS1_11target_archE1100ELNS1_3gpuE3ELNS1_3repE0EEENS1_30default_config_static_selectorELNS0_4arch9wavefront6targetE1EEEvT1_
	.p2align	8
	.type	_ZN7rocprim17ROCPRIM_400000_NS6detail17trampoline_kernelINS0_14default_configENS1_27scan_by_key_config_selectorIxxEEZZNS1_16scan_by_key_implILNS1_25lookback_scan_determinismE0ELb1ES3_N6thrust23THRUST_200600_302600_NS6detail15normal_iteratorINS9_10device_ptrIxEEEESE_SE_xNS9_4plusIxEE19head_flag_predicatexEE10hipError_tPvRmT2_T3_T4_T5_mT6_T7_P12ihipStream_tbENKUlT_T0_E_clISt17integral_constantIbLb0EESY_EEDaST_SU_EUlST_E_NS1_11comp_targetILNS1_3genE9ELNS1_11target_archE1100ELNS1_3gpuE3ELNS1_3repE0EEENS1_30default_config_static_selectorELNS0_4arch9wavefront6targetE1EEEvT1_,@function
_ZN7rocprim17ROCPRIM_400000_NS6detail17trampoline_kernelINS0_14default_configENS1_27scan_by_key_config_selectorIxxEEZZNS1_16scan_by_key_implILNS1_25lookback_scan_determinismE0ELb1ES3_N6thrust23THRUST_200600_302600_NS6detail15normal_iteratorINS9_10device_ptrIxEEEESE_SE_xNS9_4plusIxEE19head_flag_predicatexEE10hipError_tPvRmT2_T3_T4_T5_mT6_T7_P12ihipStream_tbENKUlT_T0_E_clISt17integral_constantIbLb0EESY_EEDaST_SU_EUlST_E_NS1_11comp_targetILNS1_3genE9ELNS1_11target_archE1100ELNS1_3gpuE3ELNS1_3repE0EEENS1_30default_config_static_selectorELNS0_4arch9wavefront6targetE1EEEvT1_: ; @_ZN7rocprim17ROCPRIM_400000_NS6detail17trampoline_kernelINS0_14default_configENS1_27scan_by_key_config_selectorIxxEEZZNS1_16scan_by_key_implILNS1_25lookback_scan_determinismE0ELb1ES3_N6thrust23THRUST_200600_302600_NS6detail15normal_iteratorINS9_10device_ptrIxEEEESE_SE_xNS9_4plusIxEE19head_flag_predicatexEE10hipError_tPvRmT2_T3_T4_T5_mT6_T7_P12ihipStream_tbENKUlT_T0_E_clISt17integral_constantIbLb0EESY_EEDaST_SU_EUlST_E_NS1_11comp_targetILNS1_3genE9ELNS1_11target_archE1100ELNS1_3gpuE3ELNS1_3repE0EEENS1_30default_config_static_selectorELNS0_4arch9wavefront6targetE1EEEvT1_
; %bb.0:
	.section	.rodata,"a",@progbits
	.p2align	6, 0x0
	.amdhsa_kernel _ZN7rocprim17ROCPRIM_400000_NS6detail17trampoline_kernelINS0_14default_configENS1_27scan_by_key_config_selectorIxxEEZZNS1_16scan_by_key_implILNS1_25lookback_scan_determinismE0ELb1ES3_N6thrust23THRUST_200600_302600_NS6detail15normal_iteratorINS9_10device_ptrIxEEEESE_SE_xNS9_4plusIxEE19head_flag_predicatexEE10hipError_tPvRmT2_T3_T4_T5_mT6_T7_P12ihipStream_tbENKUlT_T0_E_clISt17integral_constantIbLb0EESY_EEDaST_SU_EUlST_E_NS1_11comp_targetILNS1_3genE9ELNS1_11target_archE1100ELNS1_3gpuE3ELNS1_3repE0EEENS1_30default_config_static_selectorELNS0_4arch9wavefront6targetE1EEEvT1_
		.amdhsa_group_segment_fixed_size 0
		.amdhsa_private_segment_fixed_size 0
		.amdhsa_kernarg_size 136
		.amdhsa_user_sgpr_count 2
		.amdhsa_user_sgpr_dispatch_ptr 0
		.amdhsa_user_sgpr_queue_ptr 0
		.amdhsa_user_sgpr_kernarg_segment_ptr 1
		.amdhsa_user_sgpr_dispatch_id 0
		.amdhsa_user_sgpr_kernarg_preload_length 0
		.amdhsa_user_sgpr_kernarg_preload_offset 0
		.amdhsa_user_sgpr_private_segment_size 0
		.amdhsa_uses_dynamic_stack 0
		.amdhsa_enable_private_segment 0
		.amdhsa_system_sgpr_workgroup_id_x 1
		.amdhsa_system_sgpr_workgroup_id_y 0
		.amdhsa_system_sgpr_workgroup_id_z 0
		.amdhsa_system_sgpr_workgroup_info 0
		.amdhsa_system_vgpr_workitem_id 0
		.amdhsa_next_free_vgpr 1
		.amdhsa_next_free_sgpr 0
		.amdhsa_accum_offset 4
		.amdhsa_reserve_vcc 0
		.amdhsa_float_round_mode_32 0
		.amdhsa_float_round_mode_16_64 0
		.amdhsa_float_denorm_mode_32 3
		.amdhsa_float_denorm_mode_16_64 3
		.amdhsa_dx10_clamp 1
		.amdhsa_ieee_mode 1
		.amdhsa_fp16_overflow 0
		.amdhsa_tg_split 0
		.amdhsa_exception_fp_ieee_invalid_op 0
		.amdhsa_exception_fp_denorm_src 0
		.amdhsa_exception_fp_ieee_div_zero 0
		.amdhsa_exception_fp_ieee_overflow 0
		.amdhsa_exception_fp_ieee_underflow 0
		.amdhsa_exception_fp_ieee_inexact 0
		.amdhsa_exception_int_div_zero 0
	.end_amdhsa_kernel
	.section	.text._ZN7rocprim17ROCPRIM_400000_NS6detail17trampoline_kernelINS0_14default_configENS1_27scan_by_key_config_selectorIxxEEZZNS1_16scan_by_key_implILNS1_25lookback_scan_determinismE0ELb1ES3_N6thrust23THRUST_200600_302600_NS6detail15normal_iteratorINS9_10device_ptrIxEEEESE_SE_xNS9_4plusIxEE19head_flag_predicatexEE10hipError_tPvRmT2_T3_T4_T5_mT6_T7_P12ihipStream_tbENKUlT_T0_E_clISt17integral_constantIbLb0EESY_EEDaST_SU_EUlST_E_NS1_11comp_targetILNS1_3genE9ELNS1_11target_archE1100ELNS1_3gpuE3ELNS1_3repE0EEENS1_30default_config_static_selectorELNS0_4arch9wavefront6targetE1EEEvT1_,"axG",@progbits,_ZN7rocprim17ROCPRIM_400000_NS6detail17trampoline_kernelINS0_14default_configENS1_27scan_by_key_config_selectorIxxEEZZNS1_16scan_by_key_implILNS1_25lookback_scan_determinismE0ELb1ES3_N6thrust23THRUST_200600_302600_NS6detail15normal_iteratorINS9_10device_ptrIxEEEESE_SE_xNS9_4plusIxEE19head_flag_predicatexEE10hipError_tPvRmT2_T3_T4_T5_mT6_T7_P12ihipStream_tbENKUlT_T0_E_clISt17integral_constantIbLb0EESY_EEDaST_SU_EUlST_E_NS1_11comp_targetILNS1_3genE9ELNS1_11target_archE1100ELNS1_3gpuE3ELNS1_3repE0EEENS1_30default_config_static_selectorELNS0_4arch9wavefront6targetE1EEEvT1_,comdat
.Lfunc_end720:
	.size	_ZN7rocprim17ROCPRIM_400000_NS6detail17trampoline_kernelINS0_14default_configENS1_27scan_by_key_config_selectorIxxEEZZNS1_16scan_by_key_implILNS1_25lookback_scan_determinismE0ELb1ES3_N6thrust23THRUST_200600_302600_NS6detail15normal_iteratorINS9_10device_ptrIxEEEESE_SE_xNS9_4plusIxEE19head_flag_predicatexEE10hipError_tPvRmT2_T3_T4_T5_mT6_T7_P12ihipStream_tbENKUlT_T0_E_clISt17integral_constantIbLb0EESY_EEDaST_SU_EUlST_E_NS1_11comp_targetILNS1_3genE9ELNS1_11target_archE1100ELNS1_3gpuE3ELNS1_3repE0EEENS1_30default_config_static_selectorELNS0_4arch9wavefront6targetE1EEEvT1_, .Lfunc_end720-_ZN7rocprim17ROCPRIM_400000_NS6detail17trampoline_kernelINS0_14default_configENS1_27scan_by_key_config_selectorIxxEEZZNS1_16scan_by_key_implILNS1_25lookback_scan_determinismE0ELb1ES3_N6thrust23THRUST_200600_302600_NS6detail15normal_iteratorINS9_10device_ptrIxEEEESE_SE_xNS9_4plusIxEE19head_flag_predicatexEE10hipError_tPvRmT2_T3_T4_T5_mT6_T7_P12ihipStream_tbENKUlT_T0_E_clISt17integral_constantIbLb0EESY_EEDaST_SU_EUlST_E_NS1_11comp_targetILNS1_3genE9ELNS1_11target_archE1100ELNS1_3gpuE3ELNS1_3repE0EEENS1_30default_config_static_selectorELNS0_4arch9wavefront6targetE1EEEvT1_
                                        ; -- End function
	.section	.AMDGPU.csdata,"",@progbits
; Kernel info:
; codeLenInByte = 0
; NumSgprs: 6
; NumVgprs: 0
; NumAgprs: 0
; TotalNumVgprs: 0
; ScratchSize: 0
; MemoryBound: 0
; FloatMode: 240
; IeeeMode: 1
; LDSByteSize: 0 bytes/workgroup (compile time only)
; SGPRBlocks: 0
; VGPRBlocks: 0
; NumSGPRsForWavesPerEU: 6
; NumVGPRsForWavesPerEU: 1
; AccumOffset: 4
; Occupancy: 8
; WaveLimiterHint : 0
; COMPUTE_PGM_RSRC2:SCRATCH_EN: 0
; COMPUTE_PGM_RSRC2:USER_SGPR: 2
; COMPUTE_PGM_RSRC2:TRAP_HANDLER: 0
; COMPUTE_PGM_RSRC2:TGID_X_EN: 1
; COMPUTE_PGM_RSRC2:TGID_Y_EN: 0
; COMPUTE_PGM_RSRC2:TGID_Z_EN: 0
; COMPUTE_PGM_RSRC2:TIDIG_COMP_CNT: 0
; COMPUTE_PGM_RSRC3_GFX90A:ACCUM_OFFSET: 0
; COMPUTE_PGM_RSRC3_GFX90A:TG_SPLIT: 0
	.section	.text._ZN7rocprim17ROCPRIM_400000_NS6detail17trampoline_kernelINS0_14default_configENS1_27scan_by_key_config_selectorIxxEEZZNS1_16scan_by_key_implILNS1_25lookback_scan_determinismE0ELb1ES3_N6thrust23THRUST_200600_302600_NS6detail15normal_iteratorINS9_10device_ptrIxEEEESE_SE_xNS9_4plusIxEE19head_flag_predicatexEE10hipError_tPvRmT2_T3_T4_T5_mT6_T7_P12ihipStream_tbENKUlT_T0_E_clISt17integral_constantIbLb0EESY_EEDaST_SU_EUlST_E_NS1_11comp_targetILNS1_3genE8ELNS1_11target_archE1030ELNS1_3gpuE2ELNS1_3repE0EEENS1_30default_config_static_selectorELNS0_4arch9wavefront6targetE1EEEvT1_,"axG",@progbits,_ZN7rocprim17ROCPRIM_400000_NS6detail17trampoline_kernelINS0_14default_configENS1_27scan_by_key_config_selectorIxxEEZZNS1_16scan_by_key_implILNS1_25lookback_scan_determinismE0ELb1ES3_N6thrust23THRUST_200600_302600_NS6detail15normal_iteratorINS9_10device_ptrIxEEEESE_SE_xNS9_4plusIxEE19head_flag_predicatexEE10hipError_tPvRmT2_T3_T4_T5_mT6_T7_P12ihipStream_tbENKUlT_T0_E_clISt17integral_constantIbLb0EESY_EEDaST_SU_EUlST_E_NS1_11comp_targetILNS1_3genE8ELNS1_11target_archE1030ELNS1_3gpuE2ELNS1_3repE0EEENS1_30default_config_static_selectorELNS0_4arch9wavefront6targetE1EEEvT1_,comdat
	.protected	_ZN7rocprim17ROCPRIM_400000_NS6detail17trampoline_kernelINS0_14default_configENS1_27scan_by_key_config_selectorIxxEEZZNS1_16scan_by_key_implILNS1_25lookback_scan_determinismE0ELb1ES3_N6thrust23THRUST_200600_302600_NS6detail15normal_iteratorINS9_10device_ptrIxEEEESE_SE_xNS9_4plusIxEE19head_flag_predicatexEE10hipError_tPvRmT2_T3_T4_T5_mT6_T7_P12ihipStream_tbENKUlT_T0_E_clISt17integral_constantIbLb0EESY_EEDaST_SU_EUlST_E_NS1_11comp_targetILNS1_3genE8ELNS1_11target_archE1030ELNS1_3gpuE2ELNS1_3repE0EEENS1_30default_config_static_selectorELNS0_4arch9wavefront6targetE1EEEvT1_ ; -- Begin function _ZN7rocprim17ROCPRIM_400000_NS6detail17trampoline_kernelINS0_14default_configENS1_27scan_by_key_config_selectorIxxEEZZNS1_16scan_by_key_implILNS1_25lookback_scan_determinismE0ELb1ES3_N6thrust23THRUST_200600_302600_NS6detail15normal_iteratorINS9_10device_ptrIxEEEESE_SE_xNS9_4plusIxEE19head_flag_predicatexEE10hipError_tPvRmT2_T3_T4_T5_mT6_T7_P12ihipStream_tbENKUlT_T0_E_clISt17integral_constantIbLb0EESY_EEDaST_SU_EUlST_E_NS1_11comp_targetILNS1_3genE8ELNS1_11target_archE1030ELNS1_3gpuE2ELNS1_3repE0EEENS1_30default_config_static_selectorELNS0_4arch9wavefront6targetE1EEEvT1_
	.globl	_ZN7rocprim17ROCPRIM_400000_NS6detail17trampoline_kernelINS0_14default_configENS1_27scan_by_key_config_selectorIxxEEZZNS1_16scan_by_key_implILNS1_25lookback_scan_determinismE0ELb1ES3_N6thrust23THRUST_200600_302600_NS6detail15normal_iteratorINS9_10device_ptrIxEEEESE_SE_xNS9_4plusIxEE19head_flag_predicatexEE10hipError_tPvRmT2_T3_T4_T5_mT6_T7_P12ihipStream_tbENKUlT_T0_E_clISt17integral_constantIbLb0EESY_EEDaST_SU_EUlST_E_NS1_11comp_targetILNS1_3genE8ELNS1_11target_archE1030ELNS1_3gpuE2ELNS1_3repE0EEENS1_30default_config_static_selectorELNS0_4arch9wavefront6targetE1EEEvT1_
	.p2align	8
	.type	_ZN7rocprim17ROCPRIM_400000_NS6detail17trampoline_kernelINS0_14default_configENS1_27scan_by_key_config_selectorIxxEEZZNS1_16scan_by_key_implILNS1_25lookback_scan_determinismE0ELb1ES3_N6thrust23THRUST_200600_302600_NS6detail15normal_iteratorINS9_10device_ptrIxEEEESE_SE_xNS9_4plusIxEE19head_flag_predicatexEE10hipError_tPvRmT2_T3_T4_T5_mT6_T7_P12ihipStream_tbENKUlT_T0_E_clISt17integral_constantIbLb0EESY_EEDaST_SU_EUlST_E_NS1_11comp_targetILNS1_3genE8ELNS1_11target_archE1030ELNS1_3gpuE2ELNS1_3repE0EEENS1_30default_config_static_selectorELNS0_4arch9wavefront6targetE1EEEvT1_,@function
_ZN7rocprim17ROCPRIM_400000_NS6detail17trampoline_kernelINS0_14default_configENS1_27scan_by_key_config_selectorIxxEEZZNS1_16scan_by_key_implILNS1_25lookback_scan_determinismE0ELb1ES3_N6thrust23THRUST_200600_302600_NS6detail15normal_iteratorINS9_10device_ptrIxEEEESE_SE_xNS9_4plusIxEE19head_flag_predicatexEE10hipError_tPvRmT2_T3_T4_T5_mT6_T7_P12ihipStream_tbENKUlT_T0_E_clISt17integral_constantIbLb0EESY_EEDaST_SU_EUlST_E_NS1_11comp_targetILNS1_3genE8ELNS1_11target_archE1030ELNS1_3gpuE2ELNS1_3repE0EEENS1_30default_config_static_selectorELNS0_4arch9wavefront6targetE1EEEvT1_: ; @_ZN7rocprim17ROCPRIM_400000_NS6detail17trampoline_kernelINS0_14default_configENS1_27scan_by_key_config_selectorIxxEEZZNS1_16scan_by_key_implILNS1_25lookback_scan_determinismE0ELb1ES3_N6thrust23THRUST_200600_302600_NS6detail15normal_iteratorINS9_10device_ptrIxEEEESE_SE_xNS9_4plusIxEE19head_flag_predicatexEE10hipError_tPvRmT2_T3_T4_T5_mT6_T7_P12ihipStream_tbENKUlT_T0_E_clISt17integral_constantIbLb0EESY_EEDaST_SU_EUlST_E_NS1_11comp_targetILNS1_3genE8ELNS1_11target_archE1030ELNS1_3gpuE2ELNS1_3repE0EEENS1_30default_config_static_selectorELNS0_4arch9wavefront6targetE1EEEvT1_
; %bb.0:
	.section	.rodata,"a",@progbits
	.p2align	6, 0x0
	.amdhsa_kernel _ZN7rocprim17ROCPRIM_400000_NS6detail17trampoline_kernelINS0_14default_configENS1_27scan_by_key_config_selectorIxxEEZZNS1_16scan_by_key_implILNS1_25lookback_scan_determinismE0ELb1ES3_N6thrust23THRUST_200600_302600_NS6detail15normal_iteratorINS9_10device_ptrIxEEEESE_SE_xNS9_4plusIxEE19head_flag_predicatexEE10hipError_tPvRmT2_T3_T4_T5_mT6_T7_P12ihipStream_tbENKUlT_T0_E_clISt17integral_constantIbLb0EESY_EEDaST_SU_EUlST_E_NS1_11comp_targetILNS1_3genE8ELNS1_11target_archE1030ELNS1_3gpuE2ELNS1_3repE0EEENS1_30default_config_static_selectorELNS0_4arch9wavefront6targetE1EEEvT1_
		.amdhsa_group_segment_fixed_size 0
		.amdhsa_private_segment_fixed_size 0
		.amdhsa_kernarg_size 136
		.amdhsa_user_sgpr_count 2
		.amdhsa_user_sgpr_dispatch_ptr 0
		.amdhsa_user_sgpr_queue_ptr 0
		.amdhsa_user_sgpr_kernarg_segment_ptr 1
		.amdhsa_user_sgpr_dispatch_id 0
		.amdhsa_user_sgpr_kernarg_preload_length 0
		.amdhsa_user_sgpr_kernarg_preload_offset 0
		.amdhsa_user_sgpr_private_segment_size 0
		.amdhsa_uses_dynamic_stack 0
		.amdhsa_enable_private_segment 0
		.amdhsa_system_sgpr_workgroup_id_x 1
		.amdhsa_system_sgpr_workgroup_id_y 0
		.amdhsa_system_sgpr_workgroup_id_z 0
		.amdhsa_system_sgpr_workgroup_info 0
		.amdhsa_system_vgpr_workitem_id 0
		.amdhsa_next_free_vgpr 1
		.amdhsa_next_free_sgpr 0
		.amdhsa_accum_offset 4
		.amdhsa_reserve_vcc 0
		.amdhsa_float_round_mode_32 0
		.amdhsa_float_round_mode_16_64 0
		.amdhsa_float_denorm_mode_32 3
		.amdhsa_float_denorm_mode_16_64 3
		.amdhsa_dx10_clamp 1
		.amdhsa_ieee_mode 1
		.amdhsa_fp16_overflow 0
		.amdhsa_tg_split 0
		.amdhsa_exception_fp_ieee_invalid_op 0
		.amdhsa_exception_fp_denorm_src 0
		.amdhsa_exception_fp_ieee_div_zero 0
		.amdhsa_exception_fp_ieee_overflow 0
		.amdhsa_exception_fp_ieee_underflow 0
		.amdhsa_exception_fp_ieee_inexact 0
		.amdhsa_exception_int_div_zero 0
	.end_amdhsa_kernel
	.section	.text._ZN7rocprim17ROCPRIM_400000_NS6detail17trampoline_kernelINS0_14default_configENS1_27scan_by_key_config_selectorIxxEEZZNS1_16scan_by_key_implILNS1_25lookback_scan_determinismE0ELb1ES3_N6thrust23THRUST_200600_302600_NS6detail15normal_iteratorINS9_10device_ptrIxEEEESE_SE_xNS9_4plusIxEE19head_flag_predicatexEE10hipError_tPvRmT2_T3_T4_T5_mT6_T7_P12ihipStream_tbENKUlT_T0_E_clISt17integral_constantIbLb0EESY_EEDaST_SU_EUlST_E_NS1_11comp_targetILNS1_3genE8ELNS1_11target_archE1030ELNS1_3gpuE2ELNS1_3repE0EEENS1_30default_config_static_selectorELNS0_4arch9wavefront6targetE1EEEvT1_,"axG",@progbits,_ZN7rocprim17ROCPRIM_400000_NS6detail17trampoline_kernelINS0_14default_configENS1_27scan_by_key_config_selectorIxxEEZZNS1_16scan_by_key_implILNS1_25lookback_scan_determinismE0ELb1ES3_N6thrust23THRUST_200600_302600_NS6detail15normal_iteratorINS9_10device_ptrIxEEEESE_SE_xNS9_4plusIxEE19head_flag_predicatexEE10hipError_tPvRmT2_T3_T4_T5_mT6_T7_P12ihipStream_tbENKUlT_T0_E_clISt17integral_constantIbLb0EESY_EEDaST_SU_EUlST_E_NS1_11comp_targetILNS1_3genE8ELNS1_11target_archE1030ELNS1_3gpuE2ELNS1_3repE0EEENS1_30default_config_static_selectorELNS0_4arch9wavefront6targetE1EEEvT1_,comdat
.Lfunc_end721:
	.size	_ZN7rocprim17ROCPRIM_400000_NS6detail17trampoline_kernelINS0_14default_configENS1_27scan_by_key_config_selectorIxxEEZZNS1_16scan_by_key_implILNS1_25lookback_scan_determinismE0ELb1ES3_N6thrust23THRUST_200600_302600_NS6detail15normal_iteratorINS9_10device_ptrIxEEEESE_SE_xNS9_4plusIxEE19head_flag_predicatexEE10hipError_tPvRmT2_T3_T4_T5_mT6_T7_P12ihipStream_tbENKUlT_T0_E_clISt17integral_constantIbLb0EESY_EEDaST_SU_EUlST_E_NS1_11comp_targetILNS1_3genE8ELNS1_11target_archE1030ELNS1_3gpuE2ELNS1_3repE0EEENS1_30default_config_static_selectorELNS0_4arch9wavefront6targetE1EEEvT1_, .Lfunc_end721-_ZN7rocprim17ROCPRIM_400000_NS6detail17trampoline_kernelINS0_14default_configENS1_27scan_by_key_config_selectorIxxEEZZNS1_16scan_by_key_implILNS1_25lookback_scan_determinismE0ELb1ES3_N6thrust23THRUST_200600_302600_NS6detail15normal_iteratorINS9_10device_ptrIxEEEESE_SE_xNS9_4plusIxEE19head_flag_predicatexEE10hipError_tPvRmT2_T3_T4_T5_mT6_T7_P12ihipStream_tbENKUlT_T0_E_clISt17integral_constantIbLb0EESY_EEDaST_SU_EUlST_E_NS1_11comp_targetILNS1_3genE8ELNS1_11target_archE1030ELNS1_3gpuE2ELNS1_3repE0EEENS1_30default_config_static_selectorELNS0_4arch9wavefront6targetE1EEEvT1_
                                        ; -- End function
	.section	.AMDGPU.csdata,"",@progbits
; Kernel info:
; codeLenInByte = 0
; NumSgprs: 6
; NumVgprs: 0
; NumAgprs: 0
; TotalNumVgprs: 0
; ScratchSize: 0
; MemoryBound: 0
; FloatMode: 240
; IeeeMode: 1
; LDSByteSize: 0 bytes/workgroup (compile time only)
; SGPRBlocks: 0
; VGPRBlocks: 0
; NumSGPRsForWavesPerEU: 6
; NumVGPRsForWavesPerEU: 1
; AccumOffset: 4
; Occupancy: 8
; WaveLimiterHint : 0
; COMPUTE_PGM_RSRC2:SCRATCH_EN: 0
; COMPUTE_PGM_RSRC2:USER_SGPR: 2
; COMPUTE_PGM_RSRC2:TRAP_HANDLER: 0
; COMPUTE_PGM_RSRC2:TGID_X_EN: 1
; COMPUTE_PGM_RSRC2:TGID_Y_EN: 0
; COMPUTE_PGM_RSRC2:TGID_Z_EN: 0
; COMPUTE_PGM_RSRC2:TIDIG_COMP_CNT: 0
; COMPUTE_PGM_RSRC3_GFX90A:ACCUM_OFFSET: 0
; COMPUTE_PGM_RSRC3_GFX90A:TG_SPLIT: 0
	.section	.text._ZN7rocprim17ROCPRIM_400000_NS6detail17trampoline_kernelINS0_14default_configENS1_27scan_by_key_config_selectorIxxEEZZNS1_16scan_by_key_implILNS1_25lookback_scan_determinismE0ELb1ES3_N6thrust23THRUST_200600_302600_NS6detail15normal_iteratorINS9_10device_ptrIxEEEESE_SE_xNS9_4plusIxEE19head_flag_predicatexEE10hipError_tPvRmT2_T3_T4_T5_mT6_T7_P12ihipStream_tbENKUlT_T0_E_clISt17integral_constantIbLb1EESY_EEDaST_SU_EUlST_E_NS1_11comp_targetILNS1_3genE0ELNS1_11target_archE4294967295ELNS1_3gpuE0ELNS1_3repE0EEENS1_30default_config_static_selectorELNS0_4arch9wavefront6targetE1EEEvT1_,"axG",@progbits,_ZN7rocprim17ROCPRIM_400000_NS6detail17trampoline_kernelINS0_14default_configENS1_27scan_by_key_config_selectorIxxEEZZNS1_16scan_by_key_implILNS1_25lookback_scan_determinismE0ELb1ES3_N6thrust23THRUST_200600_302600_NS6detail15normal_iteratorINS9_10device_ptrIxEEEESE_SE_xNS9_4plusIxEE19head_flag_predicatexEE10hipError_tPvRmT2_T3_T4_T5_mT6_T7_P12ihipStream_tbENKUlT_T0_E_clISt17integral_constantIbLb1EESY_EEDaST_SU_EUlST_E_NS1_11comp_targetILNS1_3genE0ELNS1_11target_archE4294967295ELNS1_3gpuE0ELNS1_3repE0EEENS1_30default_config_static_selectorELNS0_4arch9wavefront6targetE1EEEvT1_,comdat
	.protected	_ZN7rocprim17ROCPRIM_400000_NS6detail17trampoline_kernelINS0_14default_configENS1_27scan_by_key_config_selectorIxxEEZZNS1_16scan_by_key_implILNS1_25lookback_scan_determinismE0ELb1ES3_N6thrust23THRUST_200600_302600_NS6detail15normal_iteratorINS9_10device_ptrIxEEEESE_SE_xNS9_4plusIxEE19head_flag_predicatexEE10hipError_tPvRmT2_T3_T4_T5_mT6_T7_P12ihipStream_tbENKUlT_T0_E_clISt17integral_constantIbLb1EESY_EEDaST_SU_EUlST_E_NS1_11comp_targetILNS1_3genE0ELNS1_11target_archE4294967295ELNS1_3gpuE0ELNS1_3repE0EEENS1_30default_config_static_selectorELNS0_4arch9wavefront6targetE1EEEvT1_ ; -- Begin function _ZN7rocprim17ROCPRIM_400000_NS6detail17trampoline_kernelINS0_14default_configENS1_27scan_by_key_config_selectorIxxEEZZNS1_16scan_by_key_implILNS1_25lookback_scan_determinismE0ELb1ES3_N6thrust23THRUST_200600_302600_NS6detail15normal_iteratorINS9_10device_ptrIxEEEESE_SE_xNS9_4plusIxEE19head_flag_predicatexEE10hipError_tPvRmT2_T3_T4_T5_mT6_T7_P12ihipStream_tbENKUlT_T0_E_clISt17integral_constantIbLb1EESY_EEDaST_SU_EUlST_E_NS1_11comp_targetILNS1_3genE0ELNS1_11target_archE4294967295ELNS1_3gpuE0ELNS1_3repE0EEENS1_30default_config_static_selectorELNS0_4arch9wavefront6targetE1EEEvT1_
	.globl	_ZN7rocprim17ROCPRIM_400000_NS6detail17trampoline_kernelINS0_14default_configENS1_27scan_by_key_config_selectorIxxEEZZNS1_16scan_by_key_implILNS1_25lookback_scan_determinismE0ELb1ES3_N6thrust23THRUST_200600_302600_NS6detail15normal_iteratorINS9_10device_ptrIxEEEESE_SE_xNS9_4plusIxEE19head_flag_predicatexEE10hipError_tPvRmT2_T3_T4_T5_mT6_T7_P12ihipStream_tbENKUlT_T0_E_clISt17integral_constantIbLb1EESY_EEDaST_SU_EUlST_E_NS1_11comp_targetILNS1_3genE0ELNS1_11target_archE4294967295ELNS1_3gpuE0ELNS1_3repE0EEENS1_30default_config_static_selectorELNS0_4arch9wavefront6targetE1EEEvT1_
	.p2align	8
	.type	_ZN7rocprim17ROCPRIM_400000_NS6detail17trampoline_kernelINS0_14default_configENS1_27scan_by_key_config_selectorIxxEEZZNS1_16scan_by_key_implILNS1_25lookback_scan_determinismE0ELb1ES3_N6thrust23THRUST_200600_302600_NS6detail15normal_iteratorINS9_10device_ptrIxEEEESE_SE_xNS9_4plusIxEE19head_flag_predicatexEE10hipError_tPvRmT2_T3_T4_T5_mT6_T7_P12ihipStream_tbENKUlT_T0_E_clISt17integral_constantIbLb1EESY_EEDaST_SU_EUlST_E_NS1_11comp_targetILNS1_3genE0ELNS1_11target_archE4294967295ELNS1_3gpuE0ELNS1_3repE0EEENS1_30default_config_static_selectorELNS0_4arch9wavefront6targetE1EEEvT1_,@function
_ZN7rocprim17ROCPRIM_400000_NS6detail17trampoline_kernelINS0_14default_configENS1_27scan_by_key_config_selectorIxxEEZZNS1_16scan_by_key_implILNS1_25lookback_scan_determinismE0ELb1ES3_N6thrust23THRUST_200600_302600_NS6detail15normal_iteratorINS9_10device_ptrIxEEEESE_SE_xNS9_4plusIxEE19head_flag_predicatexEE10hipError_tPvRmT2_T3_T4_T5_mT6_T7_P12ihipStream_tbENKUlT_T0_E_clISt17integral_constantIbLb1EESY_EEDaST_SU_EUlST_E_NS1_11comp_targetILNS1_3genE0ELNS1_11target_archE4294967295ELNS1_3gpuE0ELNS1_3repE0EEENS1_30default_config_static_selectorELNS0_4arch9wavefront6targetE1EEEvT1_: ; @_ZN7rocprim17ROCPRIM_400000_NS6detail17trampoline_kernelINS0_14default_configENS1_27scan_by_key_config_selectorIxxEEZZNS1_16scan_by_key_implILNS1_25lookback_scan_determinismE0ELb1ES3_N6thrust23THRUST_200600_302600_NS6detail15normal_iteratorINS9_10device_ptrIxEEEESE_SE_xNS9_4plusIxEE19head_flag_predicatexEE10hipError_tPvRmT2_T3_T4_T5_mT6_T7_P12ihipStream_tbENKUlT_T0_E_clISt17integral_constantIbLb1EESY_EEDaST_SU_EUlST_E_NS1_11comp_targetILNS1_3genE0ELNS1_11target_archE4294967295ELNS1_3gpuE0ELNS1_3repE0EEENS1_30default_config_static_selectorELNS0_4arch9wavefront6targetE1EEEvT1_
; %bb.0:
	.section	.rodata,"a",@progbits
	.p2align	6, 0x0
	.amdhsa_kernel _ZN7rocprim17ROCPRIM_400000_NS6detail17trampoline_kernelINS0_14default_configENS1_27scan_by_key_config_selectorIxxEEZZNS1_16scan_by_key_implILNS1_25lookback_scan_determinismE0ELb1ES3_N6thrust23THRUST_200600_302600_NS6detail15normal_iteratorINS9_10device_ptrIxEEEESE_SE_xNS9_4plusIxEE19head_flag_predicatexEE10hipError_tPvRmT2_T3_T4_T5_mT6_T7_P12ihipStream_tbENKUlT_T0_E_clISt17integral_constantIbLb1EESY_EEDaST_SU_EUlST_E_NS1_11comp_targetILNS1_3genE0ELNS1_11target_archE4294967295ELNS1_3gpuE0ELNS1_3repE0EEENS1_30default_config_static_selectorELNS0_4arch9wavefront6targetE1EEEvT1_
		.amdhsa_group_segment_fixed_size 0
		.amdhsa_private_segment_fixed_size 0
		.amdhsa_kernarg_size 136
		.amdhsa_user_sgpr_count 2
		.amdhsa_user_sgpr_dispatch_ptr 0
		.amdhsa_user_sgpr_queue_ptr 0
		.amdhsa_user_sgpr_kernarg_segment_ptr 1
		.amdhsa_user_sgpr_dispatch_id 0
		.amdhsa_user_sgpr_kernarg_preload_length 0
		.amdhsa_user_sgpr_kernarg_preload_offset 0
		.amdhsa_user_sgpr_private_segment_size 0
		.amdhsa_uses_dynamic_stack 0
		.amdhsa_enable_private_segment 0
		.amdhsa_system_sgpr_workgroup_id_x 1
		.amdhsa_system_sgpr_workgroup_id_y 0
		.amdhsa_system_sgpr_workgroup_id_z 0
		.amdhsa_system_sgpr_workgroup_info 0
		.amdhsa_system_vgpr_workitem_id 0
		.amdhsa_next_free_vgpr 1
		.amdhsa_next_free_sgpr 0
		.amdhsa_accum_offset 4
		.amdhsa_reserve_vcc 0
		.amdhsa_float_round_mode_32 0
		.amdhsa_float_round_mode_16_64 0
		.amdhsa_float_denorm_mode_32 3
		.amdhsa_float_denorm_mode_16_64 3
		.amdhsa_dx10_clamp 1
		.amdhsa_ieee_mode 1
		.amdhsa_fp16_overflow 0
		.amdhsa_tg_split 0
		.amdhsa_exception_fp_ieee_invalid_op 0
		.amdhsa_exception_fp_denorm_src 0
		.amdhsa_exception_fp_ieee_div_zero 0
		.amdhsa_exception_fp_ieee_overflow 0
		.amdhsa_exception_fp_ieee_underflow 0
		.amdhsa_exception_fp_ieee_inexact 0
		.amdhsa_exception_int_div_zero 0
	.end_amdhsa_kernel
	.section	.text._ZN7rocprim17ROCPRIM_400000_NS6detail17trampoline_kernelINS0_14default_configENS1_27scan_by_key_config_selectorIxxEEZZNS1_16scan_by_key_implILNS1_25lookback_scan_determinismE0ELb1ES3_N6thrust23THRUST_200600_302600_NS6detail15normal_iteratorINS9_10device_ptrIxEEEESE_SE_xNS9_4plusIxEE19head_flag_predicatexEE10hipError_tPvRmT2_T3_T4_T5_mT6_T7_P12ihipStream_tbENKUlT_T0_E_clISt17integral_constantIbLb1EESY_EEDaST_SU_EUlST_E_NS1_11comp_targetILNS1_3genE0ELNS1_11target_archE4294967295ELNS1_3gpuE0ELNS1_3repE0EEENS1_30default_config_static_selectorELNS0_4arch9wavefront6targetE1EEEvT1_,"axG",@progbits,_ZN7rocprim17ROCPRIM_400000_NS6detail17trampoline_kernelINS0_14default_configENS1_27scan_by_key_config_selectorIxxEEZZNS1_16scan_by_key_implILNS1_25lookback_scan_determinismE0ELb1ES3_N6thrust23THRUST_200600_302600_NS6detail15normal_iteratorINS9_10device_ptrIxEEEESE_SE_xNS9_4plusIxEE19head_flag_predicatexEE10hipError_tPvRmT2_T3_T4_T5_mT6_T7_P12ihipStream_tbENKUlT_T0_E_clISt17integral_constantIbLb1EESY_EEDaST_SU_EUlST_E_NS1_11comp_targetILNS1_3genE0ELNS1_11target_archE4294967295ELNS1_3gpuE0ELNS1_3repE0EEENS1_30default_config_static_selectorELNS0_4arch9wavefront6targetE1EEEvT1_,comdat
.Lfunc_end722:
	.size	_ZN7rocprim17ROCPRIM_400000_NS6detail17trampoline_kernelINS0_14default_configENS1_27scan_by_key_config_selectorIxxEEZZNS1_16scan_by_key_implILNS1_25lookback_scan_determinismE0ELb1ES3_N6thrust23THRUST_200600_302600_NS6detail15normal_iteratorINS9_10device_ptrIxEEEESE_SE_xNS9_4plusIxEE19head_flag_predicatexEE10hipError_tPvRmT2_T3_T4_T5_mT6_T7_P12ihipStream_tbENKUlT_T0_E_clISt17integral_constantIbLb1EESY_EEDaST_SU_EUlST_E_NS1_11comp_targetILNS1_3genE0ELNS1_11target_archE4294967295ELNS1_3gpuE0ELNS1_3repE0EEENS1_30default_config_static_selectorELNS0_4arch9wavefront6targetE1EEEvT1_, .Lfunc_end722-_ZN7rocprim17ROCPRIM_400000_NS6detail17trampoline_kernelINS0_14default_configENS1_27scan_by_key_config_selectorIxxEEZZNS1_16scan_by_key_implILNS1_25lookback_scan_determinismE0ELb1ES3_N6thrust23THRUST_200600_302600_NS6detail15normal_iteratorINS9_10device_ptrIxEEEESE_SE_xNS9_4plusIxEE19head_flag_predicatexEE10hipError_tPvRmT2_T3_T4_T5_mT6_T7_P12ihipStream_tbENKUlT_T0_E_clISt17integral_constantIbLb1EESY_EEDaST_SU_EUlST_E_NS1_11comp_targetILNS1_3genE0ELNS1_11target_archE4294967295ELNS1_3gpuE0ELNS1_3repE0EEENS1_30default_config_static_selectorELNS0_4arch9wavefront6targetE1EEEvT1_
                                        ; -- End function
	.section	.AMDGPU.csdata,"",@progbits
; Kernel info:
; codeLenInByte = 0
; NumSgprs: 6
; NumVgprs: 0
; NumAgprs: 0
; TotalNumVgprs: 0
; ScratchSize: 0
; MemoryBound: 0
; FloatMode: 240
; IeeeMode: 1
; LDSByteSize: 0 bytes/workgroup (compile time only)
; SGPRBlocks: 0
; VGPRBlocks: 0
; NumSGPRsForWavesPerEU: 6
; NumVGPRsForWavesPerEU: 1
; AccumOffset: 4
; Occupancy: 8
; WaveLimiterHint : 0
; COMPUTE_PGM_RSRC2:SCRATCH_EN: 0
; COMPUTE_PGM_RSRC2:USER_SGPR: 2
; COMPUTE_PGM_RSRC2:TRAP_HANDLER: 0
; COMPUTE_PGM_RSRC2:TGID_X_EN: 1
; COMPUTE_PGM_RSRC2:TGID_Y_EN: 0
; COMPUTE_PGM_RSRC2:TGID_Z_EN: 0
; COMPUTE_PGM_RSRC2:TIDIG_COMP_CNT: 0
; COMPUTE_PGM_RSRC3_GFX90A:ACCUM_OFFSET: 0
; COMPUTE_PGM_RSRC3_GFX90A:TG_SPLIT: 0
	.section	.text._ZN7rocprim17ROCPRIM_400000_NS6detail17trampoline_kernelINS0_14default_configENS1_27scan_by_key_config_selectorIxxEEZZNS1_16scan_by_key_implILNS1_25lookback_scan_determinismE0ELb1ES3_N6thrust23THRUST_200600_302600_NS6detail15normal_iteratorINS9_10device_ptrIxEEEESE_SE_xNS9_4plusIxEE19head_flag_predicatexEE10hipError_tPvRmT2_T3_T4_T5_mT6_T7_P12ihipStream_tbENKUlT_T0_E_clISt17integral_constantIbLb1EESY_EEDaST_SU_EUlST_E_NS1_11comp_targetILNS1_3genE10ELNS1_11target_archE1201ELNS1_3gpuE5ELNS1_3repE0EEENS1_30default_config_static_selectorELNS0_4arch9wavefront6targetE1EEEvT1_,"axG",@progbits,_ZN7rocprim17ROCPRIM_400000_NS6detail17trampoline_kernelINS0_14default_configENS1_27scan_by_key_config_selectorIxxEEZZNS1_16scan_by_key_implILNS1_25lookback_scan_determinismE0ELb1ES3_N6thrust23THRUST_200600_302600_NS6detail15normal_iteratorINS9_10device_ptrIxEEEESE_SE_xNS9_4plusIxEE19head_flag_predicatexEE10hipError_tPvRmT2_T3_T4_T5_mT6_T7_P12ihipStream_tbENKUlT_T0_E_clISt17integral_constantIbLb1EESY_EEDaST_SU_EUlST_E_NS1_11comp_targetILNS1_3genE10ELNS1_11target_archE1201ELNS1_3gpuE5ELNS1_3repE0EEENS1_30default_config_static_selectorELNS0_4arch9wavefront6targetE1EEEvT1_,comdat
	.protected	_ZN7rocprim17ROCPRIM_400000_NS6detail17trampoline_kernelINS0_14default_configENS1_27scan_by_key_config_selectorIxxEEZZNS1_16scan_by_key_implILNS1_25lookback_scan_determinismE0ELb1ES3_N6thrust23THRUST_200600_302600_NS6detail15normal_iteratorINS9_10device_ptrIxEEEESE_SE_xNS9_4plusIxEE19head_flag_predicatexEE10hipError_tPvRmT2_T3_T4_T5_mT6_T7_P12ihipStream_tbENKUlT_T0_E_clISt17integral_constantIbLb1EESY_EEDaST_SU_EUlST_E_NS1_11comp_targetILNS1_3genE10ELNS1_11target_archE1201ELNS1_3gpuE5ELNS1_3repE0EEENS1_30default_config_static_selectorELNS0_4arch9wavefront6targetE1EEEvT1_ ; -- Begin function _ZN7rocprim17ROCPRIM_400000_NS6detail17trampoline_kernelINS0_14default_configENS1_27scan_by_key_config_selectorIxxEEZZNS1_16scan_by_key_implILNS1_25lookback_scan_determinismE0ELb1ES3_N6thrust23THRUST_200600_302600_NS6detail15normal_iteratorINS9_10device_ptrIxEEEESE_SE_xNS9_4plusIxEE19head_flag_predicatexEE10hipError_tPvRmT2_T3_T4_T5_mT6_T7_P12ihipStream_tbENKUlT_T0_E_clISt17integral_constantIbLb1EESY_EEDaST_SU_EUlST_E_NS1_11comp_targetILNS1_3genE10ELNS1_11target_archE1201ELNS1_3gpuE5ELNS1_3repE0EEENS1_30default_config_static_selectorELNS0_4arch9wavefront6targetE1EEEvT1_
	.globl	_ZN7rocprim17ROCPRIM_400000_NS6detail17trampoline_kernelINS0_14default_configENS1_27scan_by_key_config_selectorIxxEEZZNS1_16scan_by_key_implILNS1_25lookback_scan_determinismE0ELb1ES3_N6thrust23THRUST_200600_302600_NS6detail15normal_iteratorINS9_10device_ptrIxEEEESE_SE_xNS9_4plusIxEE19head_flag_predicatexEE10hipError_tPvRmT2_T3_T4_T5_mT6_T7_P12ihipStream_tbENKUlT_T0_E_clISt17integral_constantIbLb1EESY_EEDaST_SU_EUlST_E_NS1_11comp_targetILNS1_3genE10ELNS1_11target_archE1201ELNS1_3gpuE5ELNS1_3repE0EEENS1_30default_config_static_selectorELNS0_4arch9wavefront6targetE1EEEvT1_
	.p2align	8
	.type	_ZN7rocprim17ROCPRIM_400000_NS6detail17trampoline_kernelINS0_14default_configENS1_27scan_by_key_config_selectorIxxEEZZNS1_16scan_by_key_implILNS1_25lookback_scan_determinismE0ELb1ES3_N6thrust23THRUST_200600_302600_NS6detail15normal_iteratorINS9_10device_ptrIxEEEESE_SE_xNS9_4plusIxEE19head_flag_predicatexEE10hipError_tPvRmT2_T3_T4_T5_mT6_T7_P12ihipStream_tbENKUlT_T0_E_clISt17integral_constantIbLb1EESY_EEDaST_SU_EUlST_E_NS1_11comp_targetILNS1_3genE10ELNS1_11target_archE1201ELNS1_3gpuE5ELNS1_3repE0EEENS1_30default_config_static_selectorELNS0_4arch9wavefront6targetE1EEEvT1_,@function
_ZN7rocprim17ROCPRIM_400000_NS6detail17trampoline_kernelINS0_14default_configENS1_27scan_by_key_config_selectorIxxEEZZNS1_16scan_by_key_implILNS1_25lookback_scan_determinismE0ELb1ES3_N6thrust23THRUST_200600_302600_NS6detail15normal_iteratorINS9_10device_ptrIxEEEESE_SE_xNS9_4plusIxEE19head_flag_predicatexEE10hipError_tPvRmT2_T3_T4_T5_mT6_T7_P12ihipStream_tbENKUlT_T0_E_clISt17integral_constantIbLb1EESY_EEDaST_SU_EUlST_E_NS1_11comp_targetILNS1_3genE10ELNS1_11target_archE1201ELNS1_3gpuE5ELNS1_3repE0EEENS1_30default_config_static_selectorELNS0_4arch9wavefront6targetE1EEEvT1_: ; @_ZN7rocprim17ROCPRIM_400000_NS6detail17trampoline_kernelINS0_14default_configENS1_27scan_by_key_config_selectorIxxEEZZNS1_16scan_by_key_implILNS1_25lookback_scan_determinismE0ELb1ES3_N6thrust23THRUST_200600_302600_NS6detail15normal_iteratorINS9_10device_ptrIxEEEESE_SE_xNS9_4plusIxEE19head_flag_predicatexEE10hipError_tPvRmT2_T3_T4_T5_mT6_T7_P12ihipStream_tbENKUlT_T0_E_clISt17integral_constantIbLb1EESY_EEDaST_SU_EUlST_E_NS1_11comp_targetILNS1_3genE10ELNS1_11target_archE1201ELNS1_3gpuE5ELNS1_3repE0EEENS1_30default_config_static_selectorELNS0_4arch9wavefront6targetE1EEEvT1_
; %bb.0:
	.section	.rodata,"a",@progbits
	.p2align	6, 0x0
	.amdhsa_kernel _ZN7rocprim17ROCPRIM_400000_NS6detail17trampoline_kernelINS0_14default_configENS1_27scan_by_key_config_selectorIxxEEZZNS1_16scan_by_key_implILNS1_25lookback_scan_determinismE0ELb1ES3_N6thrust23THRUST_200600_302600_NS6detail15normal_iteratorINS9_10device_ptrIxEEEESE_SE_xNS9_4plusIxEE19head_flag_predicatexEE10hipError_tPvRmT2_T3_T4_T5_mT6_T7_P12ihipStream_tbENKUlT_T0_E_clISt17integral_constantIbLb1EESY_EEDaST_SU_EUlST_E_NS1_11comp_targetILNS1_3genE10ELNS1_11target_archE1201ELNS1_3gpuE5ELNS1_3repE0EEENS1_30default_config_static_selectorELNS0_4arch9wavefront6targetE1EEEvT1_
		.amdhsa_group_segment_fixed_size 0
		.amdhsa_private_segment_fixed_size 0
		.amdhsa_kernarg_size 136
		.amdhsa_user_sgpr_count 2
		.amdhsa_user_sgpr_dispatch_ptr 0
		.amdhsa_user_sgpr_queue_ptr 0
		.amdhsa_user_sgpr_kernarg_segment_ptr 1
		.amdhsa_user_sgpr_dispatch_id 0
		.amdhsa_user_sgpr_kernarg_preload_length 0
		.amdhsa_user_sgpr_kernarg_preload_offset 0
		.amdhsa_user_sgpr_private_segment_size 0
		.amdhsa_uses_dynamic_stack 0
		.amdhsa_enable_private_segment 0
		.amdhsa_system_sgpr_workgroup_id_x 1
		.amdhsa_system_sgpr_workgroup_id_y 0
		.amdhsa_system_sgpr_workgroup_id_z 0
		.amdhsa_system_sgpr_workgroup_info 0
		.amdhsa_system_vgpr_workitem_id 0
		.amdhsa_next_free_vgpr 1
		.amdhsa_next_free_sgpr 0
		.amdhsa_accum_offset 4
		.amdhsa_reserve_vcc 0
		.amdhsa_float_round_mode_32 0
		.amdhsa_float_round_mode_16_64 0
		.amdhsa_float_denorm_mode_32 3
		.amdhsa_float_denorm_mode_16_64 3
		.amdhsa_dx10_clamp 1
		.amdhsa_ieee_mode 1
		.amdhsa_fp16_overflow 0
		.amdhsa_tg_split 0
		.amdhsa_exception_fp_ieee_invalid_op 0
		.amdhsa_exception_fp_denorm_src 0
		.amdhsa_exception_fp_ieee_div_zero 0
		.amdhsa_exception_fp_ieee_overflow 0
		.amdhsa_exception_fp_ieee_underflow 0
		.amdhsa_exception_fp_ieee_inexact 0
		.amdhsa_exception_int_div_zero 0
	.end_amdhsa_kernel
	.section	.text._ZN7rocprim17ROCPRIM_400000_NS6detail17trampoline_kernelINS0_14default_configENS1_27scan_by_key_config_selectorIxxEEZZNS1_16scan_by_key_implILNS1_25lookback_scan_determinismE0ELb1ES3_N6thrust23THRUST_200600_302600_NS6detail15normal_iteratorINS9_10device_ptrIxEEEESE_SE_xNS9_4plusIxEE19head_flag_predicatexEE10hipError_tPvRmT2_T3_T4_T5_mT6_T7_P12ihipStream_tbENKUlT_T0_E_clISt17integral_constantIbLb1EESY_EEDaST_SU_EUlST_E_NS1_11comp_targetILNS1_3genE10ELNS1_11target_archE1201ELNS1_3gpuE5ELNS1_3repE0EEENS1_30default_config_static_selectorELNS0_4arch9wavefront6targetE1EEEvT1_,"axG",@progbits,_ZN7rocprim17ROCPRIM_400000_NS6detail17trampoline_kernelINS0_14default_configENS1_27scan_by_key_config_selectorIxxEEZZNS1_16scan_by_key_implILNS1_25lookback_scan_determinismE0ELb1ES3_N6thrust23THRUST_200600_302600_NS6detail15normal_iteratorINS9_10device_ptrIxEEEESE_SE_xNS9_4plusIxEE19head_flag_predicatexEE10hipError_tPvRmT2_T3_T4_T5_mT6_T7_P12ihipStream_tbENKUlT_T0_E_clISt17integral_constantIbLb1EESY_EEDaST_SU_EUlST_E_NS1_11comp_targetILNS1_3genE10ELNS1_11target_archE1201ELNS1_3gpuE5ELNS1_3repE0EEENS1_30default_config_static_selectorELNS0_4arch9wavefront6targetE1EEEvT1_,comdat
.Lfunc_end723:
	.size	_ZN7rocprim17ROCPRIM_400000_NS6detail17trampoline_kernelINS0_14default_configENS1_27scan_by_key_config_selectorIxxEEZZNS1_16scan_by_key_implILNS1_25lookback_scan_determinismE0ELb1ES3_N6thrust23THRUST_200600_302600_NS6detail15normal_iteratorINS9_10device_ptrIxEEEESE_SE_xNS9_4plusIxEE19head_flag_predicatexEE10hipError_tPvRmT2_T3_T4_T5_mT6_T7_P12ihipStream_tbENKUlT_T0_E_clISt17integral_constantIbLb1EESY_EEDaST_SU_EUlST_E_NS1_11comp_targetILNS1_3genE10ELNS1_11target_archE1201ELNS1_3gpuE5ELNS1_3repE0EEENS1_30default_config_static_selectorELNS0_4arch9wavefront6targetE1EEEvT1_, .Lfunc_end723-_ZN7rocprim17ROCPRIM_400000_NS6detail17trampoline_kernelINS0_14default_configENS1_27scan_by_key_config_selectorIxxEEZZNS1_16scan_by_key_implILNS1_25lookback_scan_determinismE0ELb1ES3_N6thrust23THRUST_200600_302600_NS6detail15normal_iteratorINS9_10device_ptrIxEEEESE_SE_xNS9_4plusIxEE19head_flag_predicatexEE10hipError_tPvRmT2_T3_T4_T5_mT6_T7_P12ihipStream_tbENKUlT_T0_E_clISt17integral_constantIbLb1EESY_EEDaST_SU_EUlST_E_NS1_11comp_targetILNS1_3genE10ELNS1_11target_archE1201ELNS1_3gpuE5ELNS1_3repE0EEENS1_30default_config_static_selectorELNS0_4arch9wavefront6targetE1EEEvT1_
                                        ; -- End function
	.section	.AMDGPU.csdata,"",@progbits
; Kernel info:
; codeLenInByte = 0
; NumSgprs: 6
; NumVgprs: 0
; NumAgprs: 0
; TotalNumVgprs: 0
; ScratchSize: 0
; MemoryBound: 0
; FloatMode: 240
; IeeeMode: 1
; LDSByteSize: 0 bytes/workgroup (compile time only)
; SGPRBlocks: 0
; VGPRBlocks: 0
; NumSGPRsForWavesPerEU: 6
; NumVGPRsForWavesPerEU: 1
; AccumOffset: 4
; Occupancy: 8
; WaveLimiterHint : 0
; COMPUTE_PGM_RSRC2:SCRATCH_EN: 0
; COMPUTE_PGM_RSRC2:USER_SGPR: 2
; COMPUTE_PGM_RSRC2:TRAP_HANDLER: 0
; COMPUTE_PGM_RSRC2:TGID_X_EN: 1
; COMPUTE_PGM_RSRC2:TGID_Y_EN: 0
; COMPUTE_PGM_RSRC2:TGID_Z_EN: 0
; COMPUTE_PGM_RSRC2:TIDIG_COMP_CNT: 0
; COMPUTE_PGM_RSRC3_GFX90A:ACCUM_OFFSET: 0
; COMPUTE_PGM_RSRC3_GFX90A:TG_SPLIT: 0
	.section	.text._ZN7rocprim17ROCPRIM_400000_NS6detail17trampoline_kernelINS0_14default_configENS1_27scan_by_key_config_selectorIxxEEZZNS1_16scan_by_key_implILNS1_25lookback_scan_determinismE0ELb1ES3_N6thrust23THRUST_200600_302600_NS6detail15normal_iteratorINS9_10device_ptrIxEEEESE_SE_xNS9_4plusIxEE19head_flag_predicatexEE10hipError_tPvRmT2_T3_T4_T5_mT6_T7_P12ihipStream_tbENKUlT_T0_E_clISt17integral_constantIbLb1EESY_EEDaST_SU_EUlST_E_NS1_11comp_targetILNS1_3genE5ELNS1_11target_archE942ELNS1_3gpuE9ELNS1_3repE0EEENS1_30default_config_static_selectorELNS0_4arch9wavefront6targetE1EEEvT1_,"axG",@progbits,_ZN7rocprim17ROCPRIM_400000_NS6detail17trampoline_kernelINS0_14default_configENS1_27scan_by_key_config_selectorIxxEEZZNS1_16scan_by_key_implILNS1_25lookback_scan_determinismE0ELb1ES3_N6thrust23THRUST_200600_302600_NS6detail15normal_iteratorINS9_10device_ptrIxEEEESE_SE_xNS9_4plusIxEE19head_flag_predicatexEE10hipError_tPvRmT2_T3_T4_T5_mT6_T7_P12ihipStream_tbENKUlT_T0_E_clISt17integral_constantIbLb1EESY_EEDaST_SU_EUlST_E_NS1_11comp_targetILNS1_3genE5ELNS1_11target_archE942ELNS1_3gpuE9ELNS1_3repE0EEENS1_30default_config_static_selectorELNS0_4arch9wavefront6targetE1EEEvT1_,comdat
	.protected	_ZN7rocprim17ROCPRIM_400000_NS6detail17trampoline_kernelINS0_14default_configENS1_27scan_by_key_config_selectorIxxEEZZNS1_16scan_by_key_implILNS1_25lookback_scan_determinismE0ELb1ES3_N6thrust23THRUST_200600_302600_NS6detail15normal_iteratorINS9_10device_ptrIxEEEESE_SE_xNS9_4plusIxEE19head_flag_predicatexEE10hipError_tPvRmT2_T3_T4_T5_mT6_T7_P12ihipStream_tbENKUlT_T0_E_clISt17integral_constantIbLb1EESY_EEDaST_SU_EUlST_E_NS1_11comp_targetILNS1_3genE5ELNS1_11target_archE942ELNS1_3gpuE9ELNS1_3repE0EEENS1_30default_config_static_selectorELNS0_4arch9wavefront6targetE1EEEvT1_ ; -- Begin function _ZN7rocprim17ROCPRIM_400000_NS6detail17trampoline_kernelINS0_14default_configENS1_27scan_by_key_config_selectorIxxEEZZNS1_16scan_by_key_implILNS1_25lookback_scan_determinismE0ELb1ES3_N6thrust23THRUST_200600_302600_NS6detail15normal_iteratorINS9_10device_ptrIxEEEESE_SE_xNS9_4plusIxEE19head_flag_predicatexEE10hipError_tPvRmT2_T3_T4_T5_mT6_T7_P12ihipStream_tbENKUlT_T0_E_clISt17integral_constantIbLb1EESY_EEDaST_SU_EUlST_E_NS1_11comp_targetILNS1_3genE5ELNS1_11target_archE942ELNS1_3gpuE9ELNS1_3repE0EEENS1_30default_config_static_selectorELNS0_4arch9wavefront6targetE1EEEvT1_
	.globl	_ZN7rocprim17ROCPRIM_400000_NS6detail17trampoline_kernelINS0_14default_configENS1_27scan_by_key_config_selectorIxxEEZZNS1_16scan_by_key_implILNS1_25lookback_scan_determinismE0ELb1ES3_N6thrust23THRUST_200600_302600_NS6detail15normal_iteratorINS9_10device_ptrIxEEEESE_SE_xNS9_4plusIxEE19head_flag_predicatexEE10hipError_tPvRmT2_T3_T4_T5_mT6_T7_P12ihipStream_tbENKUlT_T0_E_clISt17integral_constantIbLb1EESY_EEDaST_SU_EUlST_E_NS1_11comp_targetILNS1_3genE5ELNS1_11target_archE942ELNS1_3gpuE9ELNS1_3repE0EEENS1_30default_config_static_selectorELNS0_4arch9wavefront6targetE1EEEvT1_
	.p2align	8
	.type	_ZN7rocprim17ROCPRIM_400000_NS6detail17trampoline_kernelINS0_14default_configENS1_27scan_by_key_config_selectorIxxEEZZNS1_16scan_by_key_implILNS1_25lookback_scan_determinismE0ELb1ES3_N6thrust23THRUST_200600_302600_NS6detail15normal_iteratorINS9_10device_ptrIxEEEESE_SE_xNS9_4plusIxEE19head_flag_predicatexEE10hipError_tPvRmT2_T3_T4_T5_mT6_T7_P12ihipStream_tbENKUlT_T0_E_clISt17integral_constantIbLb1EESY_EEDaST_SU_EUlST_E_NS1_11comp_targetILNS1_3genE5ELNS1_11target_archE942ELNS1_3gpuE9ELNS1_3repE0EEENS1_30default_config_static_selectorELNS0_4arch9wavefront6targetE1EEEvT1_,@function
_ZN7rocprim17ROCPRIM_400000_NS6detail17trampoline_kernelINS0_14default_configENS1_27scan_by_key_config_selectorIxxEEZZNS1_16scan_by_key_implILNS1_25lookback_scan_determinismE0ELb1ES3_N6thrust23THRUST_200600_302600_NS6detail15normal_iteratorINS9_10device_ptrIxEEEESE_SE_xNS9_4plusIxEE19head_flag_predicatexEE10hipError_tPvRmT2_T3_T4_T5_mT6_T7_P12ihipStream_tbENKUlT_T0_E_clISt17integral_constantIbLb1EESY_EEDaST_SU_EUlST_E_NS1_11comp_targetILNS1_3genE5ELNS1_11target_archE942ELNS1_3gpuE9ELNS1_3repE0EEENS1_30default_config_static_selectorELNS0_4arch9wavefront6targetE1EEEvT1_: ; @_ZN7rocprim17ROCPRIM_400000_NS6detail17trampoline_kernelINS0_14default_configENS1_27scan_by_key_config_selectorIxxEEZZNS1_16scan_by_key_implILNS1_25lookback_scan_determinismE0ELb1ES3_N6thrust23THRUST_200600_302600_NS6detail15normal_iteratorINS9_10device_ptrIxEEEESE_SE_xNS9_4plusIxEE19head_flag_predicatexEE10hipError_tPvRmT2_T3_T4_T5_mT6_T7_P12ihipStream_tbENKUlT_T0_E_clISt17integral_constantIbLb1EESY_EEDaST_SU_EUlST_E_NS1_11comp_targetILNS1_3genE5ELNS1_11target_archE942ELNS1_3gpuE9ELNS1_3repE0EEENS1_30default_config_static_selectorELNS0_4arch9wavefront6targetE1EEEvT1_
; %bb.0:
	s_load_dwordx8 s[44:51], s[0:1], 0x0
	s_load_dwordx2 s[56:57], s[0:1], 0x20
	s_load_dwordx8 s[36:43], s[0:1], 0x30
	s_load_dwordx2 s[58:59], s[0:1], 0x50
	v_cmp_eq_u32_e64 s[30:31], 0, v0
	s_and_saveexec_b64 s[2:3], s[30:31]
	s_cbranch_execz .LBB724_4
; %bb.1:
	s_mov_b64 s[6:7], exec
	v_mbcnt_lo_u32_b32 v1, s6, 0
	v_mbcnt_hi_u32_b32 v1, s7, v1
	v_cmp_eq_u32_e32 vcc, 0, v1
                                        ; implicit-def: $vgpr2
	s_and_saveexec_b64 s[4:5], vcc
	s_cbranch_execz .LBB724_3
; %bb.2:
	s_load_dwordx2 s[8:9], s[0:1], 0x80
	s_bcnt1_i32_b64 s6, s[6:7]
	v_mov_b32_e32 v2, 0
	v_mov_b32_e32 v3, s6
	s_waitcnt lgkmcnt(0)
	global_atomic_add v2, v2, v3, s[8:9] sc0
.LBB724_3:
	s_or_b64 exec, exec, s[4:5]
	s_waitcnt vmcnt(0)
	v_readfirstlane_b32 s4, v2
	v_mov_b32_e32 v2, 0
	s_nop 0
	v_add_u32_e32 v1, s4, v1
	ds_write_b32 v2, v1
.LBB724_4:
	s_or_b64 exec, exec, s[2:3]
	s_load_dword s2, s[0:1], 0x58
	s_load_dwordx4 s[52:55], s[0:1], 0x60
	v_mov_b32_e32 v3, 0
	s_waitcnt lgkmcnt(0)
	s_lshl_b64 s[34:35], s[46:47], 3
	s_barrier
	ds_read_b32 v2, v3
	s_add_u32 s0, s44, s34
	s_addc_u32 s1, s45, s35
	s_add_u32 s4, s48, s34
	s_mul_i32 s3, s59, s2
	s_mul_hi_u32 s6, s58, s2
	s_addc_u32 s5, s49, s35
	s_add_i32 s3, s6, s3
	s_movk_i32 s6, 0xe00
	s_waitcnt lgkmcnt(0)
	v_mul_lo_u32 v4, v2, s6
	v_mov_b32_e32 v5, v3
	v_lshlrev_b64 v[52:53], 3, v[4:5]
	s_mul_i32 s2, s58, s2
	v_lshl_add_u64 v[60:61], s[4:5], 0, v[52:53]
	s_add_u32 s4, s52, -1
	v_readfirstlane_b32 s43, v2
	v_lshl_add_u64 v[2:3], s[2:3], 0, v[2:3]
	s_addc_u32 s5, s53, -1
	v_cmp_le_u64_e64 s[2:3], s[4:5], v[2:3]
	v_lshl_add_u64 v[62:63], s[0:1], 0, v[52:53]
	s_mov_b64 s[0:1], -1
	s_and_b64 vcc, exec, s[2:3]
	s_mul_i32 s33, s4, 0xfffff200
	s_barrier
	s_barrier
	s_cbranch_vccz .LBB724_80
; %bb.5:
	flat_load_dwordx2 v[2:3], v[62:63]
	s_add_i32 s48, s33, s42
	v_cmp_gt_u32_e32 vcc, s48, v0
	s_waitcnt vmcnt(0) lgkmcnt(0)
	v_mov_b64_e32 v[4:5], v[2:3]
	s_and_saveexec_b64 s[0:1], vcc
	s_cbranch_execz .LBB724_7
; %bb.6:
	v_lshlrev_b32_e32 v4, 3, v0
	v_mov_b32_e32 v5, 0
	v_lshl_add_u64 v[4:5], v[62:63], 0, v[4:5]
	flat_load_dwordx2 v[4:5], v[4:5]
.LBB724_7:
	s_or_b64 exec, exec, s[0:1]
	v_or_b32_e32 v1, 0x100, v0
	v_cmp_gt_u32_e64 s[4:5], s48, v1
	v_mov_b64_e32 v[6:7], v[2:3]
	s_and_saveexec_b64 s[0:1], s[4:5]
	s_cbranch_execz .LBB724_9
; %bb.8:
	v_lshlrev_b32_e32 v6, 3, v0
	v_mov_b32_e32 v7, 0
	v_lshl_add_u64 v[6:7], v[62:63], 0, v[6:7]
	flat_load_dwordx2 v[6:7], v[6:7] offset:2048
.LBB724_9:
	s_or_b64 exec, exec, s[0:1]
	v_or_b32_e32 v1, 0x200, v0
	v_cmp_gt_u32_e64 s[6:7], s48, v1
	v_mov_b64_e32 v[8:9], v[2:3]
	s_and_saveexec_b64 s[0:1], s[6:7]
	s_cbranch_execz .LBB724_11
; %bb.10:
	v_lshlrev_b32_e32 v8, 3, v1
	v_mov_b32_e32 v9, 0
	v_lshl_add_u64 v[8:9], v[62:63], 0, v[8:9]
	flat_load_dwordx2 v[8:9], v[8:9]
.LBB724_11:
	s_or_b64 exec, exec, s[0:1]
	v_or_b32_e32 v38, 0x300, v0
	v_cmp_gt_u32_e64 s[8:9], s48, v38
	v_mov_b64_e32 v[10:11], v[2:3]
	s_and_saveexec_b64 s[0:1], s[8:9]
	s_cbranch_execz .LBB724_13
; %bb.12:
	v_lshlrev_b32_e32 v10, 3, v38
	v_mov_b32_e32 v11, 0
	v_lshl_add_u64 v[10:11], v[62:63], 0, v[10:11]
	flat_load_dwordx2 v[10:11], v[10:11]
.LBB724_13:
	;; [unrolled: 12-line block ×11, first 2 shown]
	s_or_b64 exec, exec, s[0:1]
	v_or_b32_e32 v66, 0xd00, v0
	v_cmp_gt_u32_e64 s[28:29], s48, v66
	s_and_saveexec_b64 s[0:1], s[28:29]
	s_cbranch_execz .LBB724_33
; %bb.32:
	v_lshlrev_b32_e32 v2, 3, v66
	v_mov_b32_e32 v3, 0
	v_lshl_add_u64 v[2:3], v[62:63], 0, v[2:3]
	flat_load_dwordx2 v[2:3], v[2:3]
.LBB724_33:
	s_or_b64 exec, exec, s[0:1]
	v_lshlrev_b32_e32 v30, 3, v0
	s_waitcnt vmcnt(0) lgkmcnt(0)
	ds_write2st64_b64 v30, v[4:5], v[6:7] offset1:4
	ds_write2st64_b64 v30, v[8:9], v[10:11] offset0:8 offset1:12
	ds_write2st64_b64 v30, v[12:13], v[14:15] offset0:16 offset1:20
	;; [unrolled: 1-line block ×6, first 2 shown]
	s_waitcnt lgkmcnt(0)
	s_barrier
	flat_load_dwordx2 v[58:59], v[62:63]
	s_movk_i32 s0, 0x68
	v_mad_u32_u24 v76, v0, s0, v30
	s_movk_i32 s0, 0xff98
	v_mad_i32_i24 v31, v0, s0, v76
	s_movk_i32 s0, 0xff
	v_cmp_ne_u32_e64 s[0:1], s0, v0
	ds_read_b128 v[26:29], v76
	ds_read_b128 v[22:25], v76 offset:16
	ds_read_b128 v[18:21], v76 offset:32
	;; [unrolled: 1-line block ×6, first 2 shown]
	s_waitcnt lgkmcnt(0)
	ds_write_b64 v31, v[26:27] offset:30720
	s_waitcnt lgkmcnt(0)
	s_barrier
	s_and_saveexec_b64 s[44:45], s[0:1]
	s_cbranch_execz .LBB724_35
; %bb.34:
	s_waitcnt vmcnt(0)
	ds_read_b64 v[58:59], v30 offset:30728
.LBB724_35:
	s_or_b64 exec, exec, s[44:45]
	v_mov_b32_e32 v31, 0
	s_waitcnt lgkmcnt(0)
	s_barrier
	s_waitcnt lgkmcnt(0)
                                        ; implicit-def: $vgpr26_vgpr27
	s_and_saveexec_b64 s[0:1], vcc
	s_cbranch_execz .LBB724_159
; %bb.36:
	v_lshl_add_u64 v[26:27], v[60:61], 0, v[30:31]
	flat_load_dwordx2 v[26:27], v[26:27]
	s_or_b64 exec, exec, s[0:1]
                                        ; implicit-def: $vgpr32_vgpr33
	s_and_saveexec_b64 s[0:1], s[4:5]
	s_cbranch_execnz .LBB724_160
.LBB724_37:
	s_or_b64 exec, exec, s[0:1]
                                        ; implicit-def: $vgpr34_vgpr35
	s_and_saveexec_b64 s[0:1], s[6:7]
	s_cbranch_execz .LBB724_161
.LBB724_38:
	v_lshlrev_b32_e32 v34, 3, v1
	v_mov_b32_e32 v35, 0
	v_lshl_add_u64 v[34:35], v[60:61], 0, v[34:35]
	flat_load_dwordx2 v[34:35], v[34:35]
	s_or_b64 exec, exec, s[0:1]
                                        ; implicit-def: $vgpr36_vgpr37
	s_and_saveexec_b64 s[0:1], s[8:9]
	s_cbranch_execnz .LBB724_162
.LBB724_39:
	s_or_b64 exec, exec, s[0:1]
                                        ; implicit-def: $vgpr38_vgpr39
	s_and_saveexec_b64 s[0:1], s[10:11]
	s_cbranch_execz .LBB724_163
.LBB724_40:
	v_lshlrev_b32_e32 v38, 3, v40
	v_mov_b32_e32 v39, 0
	v_lshl_add_u64 v[38:39], v[60:61], 0, v[38:39]
	flat_load_dwordx2 v[38:39], v[38:39]
	s_or_b64 exec, exec, s[0:1]
                                        ; implicit-def: $vgpr40_vgpr41
	s_and_saveexec_b64 s[0:1], s[12:13]
	s_cbranch_execnz .LBB724_164
.LBB724_41:
	s_or_b64 exec, exec, s[0:1]
                                        ; implicit-def: $vgpr42_vgpr43
	s_and_saveexec_b64 s[0:1], s[14:15]
	s_cbranch_execz .LBB724_165
.LBB724_42:
	v_lshlrev_b32_e32 v42, 3, v44
	v_mov_b32_e32 v43, 0
	v_lshl_add_u64 v[42:43], v[60:61], 0, v[42:43]
	flat_load_dwordx2 v[42:43], v[42:43]
	s_or_b64 exec, exec, s[0:1]
                                        ; implicit-def: $vgpr44_vgpr45
	s_and_saveexec_b64 s[0:1], s[16:17]
	s_cbranch_execnz .LBB724_166
.LBB724_43:
	s_or_b64 exec, exec, s[0:1]
                                        ; implicit-def: $vgpr46_vgpr47
	s_and_saveexec_b64 s[0:1], s[18:19]
	s_cbranch_execz .LBB724_167
.LBB724_44:
	v_lshlrev_b32_e32 v46, 3, v48
	v_mov_b32_e32 v47, 0
	v_lshl_add_u64 v[46:47], v[60:61], 0, v[46:47]
	flat_load_dwordx2 v[46:47], v[46:47]
	s_or_b64 exec, exec, s[0:1]
                                        ; implicit-def: $vgpr48_vgpr49
	s_and_saveexec_b64 s[0:1], s[20:21]
	s_cbranch_execnz .LBB724_168
.LBB724_45:
	s_or_b64 exec, exec, s[0:1]
                                        ; implicit-def: $vgpr50_vgpr51
	s_and_saveexec_b64 s[0:1], s[22:23]
	s_cbranch_execz .LBB724_169
.LBB724_46:
	v_lshlrev_b32_e32 v50, 3, v54
	v_mov_b32_e32 v51, 0
	v_lshl_add_u64 v[50:51], v[60:61], 0, v[50:51]
	flat_load_dwordx2 v[50:51], v[50:51]
	s_or_b64 exec, exec, s[0:1]
                                        ; implicit-def: $vgpr54_vgpr55
	s_and_saveexec_b64 s[0:1], s[24:25]
	s_cbranch_execnz .LBB724_170
.LBB724_47:
	s_or_b64 exec, exec, s[0:1]
                                        ; implicit-def: $vgpr56_vgpr57
	s_and_saveexec_b64 s[0:1], s[26:27]
	s_cbranch_execz .LBB724_49
.LBB724_48:
	v_lshlrev_b32_e32 v56, 3, v64
	v_mov_b32_e32 v57, 0
	v_lshl_add_u64 v[56:57], v[60:61], 0, v[56:57]
	flat_load_dwordx2 v[56:57], v[56:57]
.LBB724_49:
	s_or_b64 exec, exec, s[0:1]
	v_mul_u32_u24_e32 v77, 14, v0
                                        ; implicit-def: $vgpr64_vgpr65
	s_and_saveexec_b64 s[0:1], s[28:29]
	s_cbranch_execz .LBB724_51
; %bb.50:
	v_lshlrev_b32_e32 v64, 3, v66
	v_mov_b32_e32 v65, 0
	v_lshl_add_u64 v[64:65], v[60:61], 0, v[64:65]
	flat_load_dwordx2 v[64:65], v[64:65]
.LBB724_51:
	s_or_b64 exec, exec, s[0:1]
	s_waitcnt vmcnt(0) lgkmcnt(0)
	ds_write2st64_b64 v30, v[26:27], v[32:33] offset1:4
	ds_write2st64_b64 v30, v[34:35], v[36:37] offset0:8 offset1:12
	ds_write2st64_b64 v30, v[38:39], v[40:41] offset0:16 offset1:20
	;; [unrolled: 1-line block ×6, first 2 shown]
	v_mov_b64_e32 v[46:47], 0
	v_cmp_gt_u32_e32 vcc, s48, v77
	s_mov_b64 s[8:9], 0
	s_mov_b32 s52, 0
	s_mov_b64 s[0:1], 0
	v_mov_b32_e32 v66, 0
	v_mov_b64_e32 v[30:31], v[46:47]
	v_mov_b32_e32 v75, 0
	v_mov_b64_e32 v[56:57], v[46:47]
	;; [unrolled: 2-line block ×12, first 2 shown]
	v_mov_b32_e32 v1, 0
	s_waitcnt lgkmcnt(0)
	s_barrier
	s_waitcnt lgkmcnt(0)
                                        ; implicit-def: $sgpr6_sgpr7
                                        ; implicit-def: $vgpr26_vgpr27
	s_and_saveexec_b64 s[4:5], vcc
	s_cbranch_execz .LBB724_79
; %bb.52:
	ds_read_b64 v[26:27], v76
	v_cmp_ne_u64_e32 vcc, 0, v[28:29]
	v_mov_b32_e32 v28, s57
	v_or_b32_e32 v30, 1, v77
	v_cndmask_b32_e64 v1, 0, 1, vcc
	s_waitcnt lgkmcnt(0)
	v_cndmask_b32_e32 v47, v27, v28, vcc
	v_mov_b32_e32 v27, s56
	v_cndmask_b32_e32 v46, v26, v27, vcc
	v_cmp_gt_u32_e32 vcc, s48, v30
	v_mov_b64_e32 v[30:31], 0
	v_mov_b32_e32 v66, 0
	v_mov_b32_e32 v75, 0
	v_mov_b64_e32 v[56:57], v[30:31]
	v_mov_b32_e32 v74, 0
	v_mov_b64_e32 v[32:33], v[30:31]
	;; [unrolled: 2-line block ×11, first 2 shown]
                                        ; implicit-def: $sgpr12_sgpr13
                                        ; implicit-def: $vgpr26_vgpr27
	s_and_saveexec_b64 s[6:7], vcc
	s_cbranch_execz .LBB724_78
; %bb.53:
	ds_read2_b64 v[26:29], v76 offset0:1 offset1:2
	v_cmp_ne_u64_e32 vcc, 0, v[22:23]
	v_mov_b32_e32 v22, s57
	v_add_u32_e32 v30, 2, v77
	v_cndmask_b32_e64 v64, 0, 1, vcc
	s_waitcnt lgkmcnt(0)
	v_cndmask_b32_e32 v49, v27, v22, vcc
	v_mov_b32_e32 v22, s56
	v_cndmask_b32_e32 v48, v26, v22, vcc
	v_cmp_gt_u32_e32 vcc, s48, v30
	v_mov_b64_e32 v[30:31], 0
	s_mov_b64 s[10:11], 0
	v_mov_b32_e32 v66, 0
	v_mov_b32_e32 v75, 0
	v_mov_b64_e32 v[56:57], v[30:31]
	v_mov_b32_e32 v74, 0
	v_mov_b64_e32 v[32:33], v[30:31]
	;; [unrolled: 2-line block ×10, first 2 shown]
                                        ; implicit-def: $sgpr14_sgpr15
                                        ; implicit-def: $vgpr26_vgpr27
	s_and_saveexec_b64 s[8:9], vcc
	s_cbranch_execz .LBB724_77
; %bb.54:
	v_cmp_ne_u64_e32 vcc, 0, v[24:25]
	v_mov_b32_e32 v23, s57
	v_add_u32_e32 v22, 3, v77
	v_cndmask_b32_e32 v51, v29, v23, vcc
	v_mov_b32_e32 v23, s56
	v_mov_b64_e32 v[30:31], 0
	s_mov_b64 s[12:13], 0
	v_cndmask_b32_e64 v65, 0, 1, vcc
	v_cndmask_b32_e32 v50, v28, v23, vcc
	v_cmp_gt_u32_e32 vcc, s48, v22
	v_mov_b32_e32 v66, 0
	v_mov_b32_e32 v75, 0
	v_mov_b64_e32 v[56:57], v[30:31]
	v_mov_b32_e32 v74, 0
	v_mov_b64_e32 v[32:33], v[30:31]
	v_mov_b32_e32 v73, 0
	v_mov_b64_e32 v[54:55], v[30:31]
	v_mov_b32_e32 v72, 0
	v_mov_b64_e32 v[36:37], v[30:31]
	v_mov_b32_e32 v71, 0
	v_mov_b64_e32 v[34:35], v[30:31]
	v_mov_b32_e32 v70, 0
	v_mov_b64_e32 v[40:41], v[30:31]
	v_mov_b32_e32 v69, 0
	v_mov_b64_e32 v[38:39], v[30:31]
	v_mov_b32_e32 v68, 0
	v_mov_b64_e32 v[44:45], v[30:31]
	v_mov_b32_e32 v67, 0
	v_mov_b64_e32 v[42:43], v[30:31]
                                        ; implicit-def: $sgpr16_sgpr17
                                        ; implicit-def: $vgpr26_vgpr27
	s_and_saveexec_b64 s[10:11], vcc
	s_cbranch_execz .LBB724_76
; %bb.55:
	ds_read2_b64 v[22:25], v76 offset0:3 offset1:4
	v_cmp_ne_u64_e32 vcc, 0, v[18:19]
	v_mov_b32_e32 v18, s57
	v_add_u32_e32 v26, 4, v77
	v_mov_b64_e32 v[30:31], 0
	s_waitcnt lgkmcnt(0)
	v_cndmask_b32_e32 v43, v23, v18, vcc
	v_mov_b32_e32 v18, s56
	s_mov_b64 s[14:15], 0
	v_cndmask_b32_e64 v67, 0, 1, vcc
	v_cndmask_b32_e32 v42, v22, v18, vcc
	v_cmp_gt_u32_e32 vcc, s48, v26
	v_mov_b32_e32 v66, 0
	v_mov_b32_e32 v75, 0
	v_mov_b64_e32 v[56:57], v[30:31]
	v_mov_b32_e32 v74, 0
	v_mov_b64_e32 v[32:33], v[30:31]
	;; [unrolled: 2-line block ×8, first 2 shown]
                                        ; implicit-def: $sgpr18_sgpr19
                                        ; implicit-def: $vgpr26_vgpr27
	s_and_saveexec_b64 s[12:13], vcc
	s_cbranch_execz .LBB724_75
; %bb.56:
	v_cmp_ne_u64_e32 vcc, 0, v[20:21]
	v_mov_b32_e32 v19, s57
	v_add_u32_e32 v18, 5, v77
	v_cndmask_b32_e32 v45, v25, v19, vcc
	v_mov_b32_e32 v19, s56
	v_mov_b64_e32 v[30:31], 0
	s_mov_b64 s[16:17], 0
	v_cndmask_b32_e64 v68, 0, 1, vcc
	v_cndmask_b32_e32 v44, v24, v19, vcc
	v_cmp_gt_u32_e32 vcc, s48, v18
	v_mov_b32_e32 v66, 0
	v_mov_b32_e32 v75, 0
	v_mov_b64_e32 v[56:57], v[30:31]
	v_mov_b32_e32 v74, 0
	v_mov_b64_e32 v[32:33], v[30:31]
	;; [unrolled: 2-line block ×7, first 2 shown]
                                        ; implicit-def: $sgpr20_sgpr21
                                        ; implicit-def: $vgpr26_vgpr27
	s_and_saveexec_b64 s[14:15], vcc
	s_cbranch_execz .LBB724_74
; %bb.57:
	ds_read2_b64 v[18:21], v76 offset0:5 offset1:6
	v_cmp_ne_u64_e32 vcc, 0, v[14:15]
	v_mov_b32_e32 v14, s57
	v_add_u32_e32 v22, 6, v77
	v_mov_b64_e32 v[30:31], 0
	s_waitcnt lgkmcnt(0)
	v_cndmask_b32_e32 v39, v19, v14, vcc
	v_mov_b32_e32 v14, s56
	s_mov_b64 s[18:19], 0
	v_cndmask_b32_e64 v69, 0, 1, vcc
	v_cndmask_b32_e32 v38, v18, v14, vcc
	v_cmp_gt_u32_e32 vcc, s48, v22
	v_mov_b32_e32 v66, 0
	v_mov_b32_e32 v75, 0
	v_mov_b64_e32 v[56:57], v[30:31]
	v_mov_b32_e32 v74, 0
	v_mov_b64_e32 v[32:33], v[30:31]
	;; [unrolled: 2-line block ×6, first 2 shown]
                                        ; implicit-def: $sgpr22_sgpr23
                                        ; implicit-def: $vgpr26_vgpr27
	s_and_saveexec_b64 s[16:17], vcc
	s_cbranch_execz .LBB724_73
; %bb.58:
	v_cmp_ne_u64_e32 vcc, 0, v[16:17]
	v_mov_b32_e32 v15, s57
	v_add_u32_e32 v14, 7, v77
	v_cndmask_b32_e32 v41, v21, v15, vcc
	v_mov_b32_e32 v15, s56
	v_mov_b64_e32 v[30:31], 0
	s_mov_b64 s[20:21], 0
	v_cndmask_b32_e64 v70, 0, 1, vcc
	v_cndmask_b32_e32 v40, v20, v15, vcc
	v_cmp_gt_u32_e32 vcc, s48, v14
	v_mov_b32_e32 v66, 0
	v_mov_b32_e32 v75, 0
	v_mov_b64_e32 v[56:57], v[30:31]
	v_mov_b32_e32 v74, 0
	v_mov_b64_e32 v[32:33], v[30:31]
	;; [unrolled: 2-line block ×5, first 2 shown]
                                        ; implicit-def: $sgpr24_sgpr25
                                        ; implicit-def: $vgpr26_vgpr27
	s_and_saveexec_b64 s[18:19], vcc
	s_cbranch_execz .LBB724_72
; %bb.59:
	ds_read2_b64 v[14:17], v76 offset0:7 offset1:8
	v_cmp_ne_u64_e32 vcc, 0, v[10:11]
	v_mov_b32_e32 v10, s57
	v_add_u32_e32 v18, 8, v77
	v_mov_b64_e32 v[30:31], 0
	s_waitcnt lgkmcnt(0)
	v_cndmask_b32_e32 v35, v15, v10, vcc
	v_mov_b32_e32 v10, s56
	s_mov_b64 s[22:23], 0
	v_cndmask_b32_e64 v71, 0, 1, vcc
	v_cndmask_b32_e32 v34, v14, v10, vcc
	v_cmp_gt_u32_e32 vcc, s48, v18
	v_mov_b32_e32 v66, 0
	v_mov_b32_e32 v75, 0
	v_mov_b64_e32 v[56:57], v[30:31]
	v_mov_b32_e32 v74, 0
	v_mov_b64_e32 v[32:33], v[30:31]
	;; [unrolled: 2-line block ×4, first 2 shown]
                                        ; implicit-def: $sgpr26_sgpr27
                                        ; implicit-def: $vgpr26_vgpr27
	s_and_saveexec_b64 s[20:21], vcc
	s_cbranch_execz .LBB724_71
; %bb.60:
	v_cmp_ne_u64_e32 vcc, 0, v[12:13]
	v_mov_b32_e32 v11, s57
	v_add_u32_e32 v10, 9, v77
	v_cndmask_b32_e32 v37, v17, v11, vcc
	v_mov_b32_e32 v11, s56
	v_mov_b64_e32 v[30:31], 0
	s_mov_b64 s[24:25], 0
	v_cndmask_b32_e64 v72, 0, 1, vcc
	v_cndmask_b32_e32 v36, v16, v11, vcc
	v_cmp_gt_u32_e32 vcc, s48, v10
	v_mov_b32_e32 v66, 0
	v_mov_b32_e32 v75, 0
	v_mov_b64_e32 v[56:57], v[30:31]
	v_mov_b32_e32 v74, 0
	v_mov_b64_e32 v[32:33], v[30:31]
	;; [unrolled: 2-line block ×3, first 2 shown]
                                        ; implicit-def: $sgpr28_sgpr29
                                        ; implicit-def: $vgpr26_vgpr27
	s_and_saveexec_b64 s[22:23], vcc
	s_cbranch_execz .LBB724_70
; %bb.61:
	ds_read2_b64 v[10:13], v76 offset0:9 offset1:10
	v_cmp_ne_u64_e32 vcc, 0, v[6:7]
	v_mov_b32_e32 v6, s57
	v_add_u32_e32 v14, 10, v77
	v_mov_b64_e32 v[30:31], 0
	s_waitcnt lgkmcnt(0)
	v_cndmask_b32_e32 v55, v11, v6, vcc
	v_mov_b32_e32 v6, s56
	s_mov_b64 s[26:27], 0
	v_cndmask_b32_e64 v73, 0, 1, vcc
	v_cndmask_b32_e32 v54, v10, v6, vcc
	v_cmp_gt_u32_e32 vcc, s48, v14
	v_mov_b32_e32 v66, 0
	v_mov_b32_e32 v75, 0
	v_mov_b64_e32 v[56:57], v[30:31]
	v_mov_b32_e32 v74, 0
	v_mov_b64_e32 v[32:33], v[30:31]
                                        ; implicit-def: $sgpr44_sgpr45
                                        ; implicit-def: $vgpr26_vgpr27
	s_and_saveexec_b64 s[24:25], vcc
	s_cbranch_execz .LBB724_69
; %bb.62:
	v_cmp_ne_u64_e32 vcc, 0, v[8:9]
	v_mov_b32_e32 v7, s57
	v_add_u32_e32 v6, 11, v77
	v_cndmask_b32_e32 v33, v13, v7, vcc
	v_mov_b32_e32 v7, s56
	v_mov_b64_e32 v[30:31], 0
	s_mov_b64 s[28:29], 0
	v_cndmask_b32_e64 v74, 0, 1, vcc
	v_cndmask_b32_e32 v32, v12, v7, vcc
	v_cmp_gt_u32_e32 vcc, s48, v6
	v_mov_b32_e32 v66, 0
	v_mov_b32_e32 v75, 0
	v_mov_b64_e32 v[56:57], v[30:31]
                                        ; implicit-def: $sgpr46_sgpr47
                                        ; implicit-def: $vgpr26_vgpr27
	s_and_saveexec_b64 s[26:27], vcc
	s_cbranch_execz .LBB724_68
; %bb.63:
	ds_read2_b64 v[6:9], v76 offset0:11 offset1:12
	v_cmp_ne_u64_e32 vcc, 0, v[2:3]
	v_mov_b32_e32 v2, s57
	v_add_u32_e32 v10, 12, v77
	s_mov_b64 s[44:45], 0
	s_waitcnt lgkmcnt(0)
	v_cndmask_b32_e32 v57, v7, v2, vcc
	v_mov_b32_e32 v2, s56
	v_cndmask_b32_e64 v75, 0, 1, vcc
	v_cndmask_b32_e32 v56, v6, v2, vcc
	v_cmp_gt_u32_e32 vcc, s48, v10
	v_mov_b32_e32 v66, 0
	v_mov_b64_e32 v[30:31], 0
                                        ; implicit-def: $sgpr46_sgpr47
                                        ; implicit-def: $vgpr26_vgpr27
	s_and_saveexec_b64 s[28:29], vcc
	s_cbranch_execz .LBB724_67
; %bb.64:
	v_cmp_ne_u64_e32 vcc, 0, v[4:5]
	v_mov_b32_e32 v3, s57
	v_add_u32_e32 v2, 13, v77
	v_cndmask_b32_e32 v31, v9, v3, vcc
	v_mov_b32_e32 v3, s56
	v_cndmask_b32_e64 v66, 0, 1, vcc
	v_cndmask_b32_e32 v30, v8, v3, vcc
	v_cmp_gt_u32_e32 vcc, s48, v2
                                        ; implicit-def: $sgpr46_sgpr47
                                        ; implicit-def: $vgpr26_vgpr27
	s_and_saveexec_b64 s[48:49], vcc
	s_xor_b64 s[48:49], exec, s[48:49]
	s_cbranch_execz .LBB724_66
; %bb.65:
	ds_read_b64 v[2:3], v76 offset:104
	v_mov_b32_e32 v4, s57
	v_mov_b32_e32 v5, s56
	v_cmp_ne_u64_e32 vcc, 0, v[58:59]
	s_mov_b64 s[44:45], exec
	s_and_b64 s[46:47], vcc, exec
	s_waitcnt lgkmcnt(0)
	v_cndmask_b32_e32 v27, v3, v4, vcc
	v_cndmask_b32_e32 v26, v2, v5, vcc
.LBB724_66:
	s_or_b64 exec, exec, s[48:49]
	s_and_b64 s[46:47], s[46:47], exec
	s_and_b64 s[44:45], s[44:45], exec
.LBB724_67:
	s_or_b64 exec, exec, s[28:29]
	s_and_b64 s[46:47], s[46:47], exec
	s_and_b64 s[28:29], s[44:45], exec
.LBB724_68:
	s_or_b64 exec, exec, s[26:27]
	s_and_b64 s[44:45], s[46:47], exec
	s_and_b64 s[26:27], s[28:29], exec
.LBB724_69:
	s_or_b64 exec, exec, s[24:25]
	s_and_b64 s[28:29], s[44:45], exec
	s_and_b64 s[24:25], s[26:27], exec
.LBB724_70:
	s_or_b64 exec, exec, s[22:23]
	s_and_b64 s[26:27], s[28:29], exec
	s_and_b64 s[22:23], s[24:25], exec
.LBB724_71:
	s_or_b64 exec, exec, s[20:21]
	s_and_b64 s[24:25], s[26:27], exec
	s_and_b64 s[20:21], s[22:23], exec
.LBB724_72:
	s_or_b64 exec, exec, s[18:19]
	s_and_b64 s[22:23], s[24:25], exec
	s_and_b64 s[18:19], s[20:21], exec
.LBB724_73:
	s_or_b64 exec, exec, s[16:17]
	s_and_b64 s[20:21], s[22:23], exec
	s_and_b64 s[16:17], s[18:19], exec
.LBB724_74:
	s_or_b64 exec, exec, s[14:15]
	s_and_b64 s[18:19], s[20:21], exec
	s_and_b64 s[14:15], s[16:17], exec
.LBB724_75:
	s_or_b64 exec, exec, s[12:13]
	s_and_b64 s[16:17], s[18:19], exec
	s_and_b64 s[12:13], s[14:15], exec
.LBB724_76:
	s_or_b64 exec, exec, s[10:11]
	s_and_b64 s[14:15], s[16:17], exec
	s_and_b64 s[10:11], s[12:13], exec
.LBB724_77:
	s_or_b64 exec, exec, s[8:9]
	s_and_b64 s[12:13], s[14:15], exec
	s_and_b64 s[8:9], s[10:11], exec
.LBB724_78:
	s_or_b64 exec, exec, s[6:7]
	s_and_b64 s[6:7], s[12:13], exec
	s_and_b64 s[8:9], s[8:9], exec
.LBB724_79:
	s_or_b64 exec, exec, s[4:5]
	s_mov_b64 s[4:5], 0
	s_and_b64 vcc, exec, s[0:1]
	v_lshlrev_b32_e32 v58, 3, v0
	s_cbranch_vccnz .LBB724_81
	s_branch .LBB724_86
.LBB724_80:
	s_mov_b64 s[8:9], 0
                                        ; implicit-def: $sgpr6_sgpr7
                                        ; implicit-def: $vgpr26_vgpr27
                                        ; implicit-def: $vgpr46_vgpr47
                                        ; implicit-def: $vgpr66
                                        ; implicit-def: $vgpr30_vgpr31
                                        ; implicit-def: $vgpr75
                                        ; implicit-def: $vgpr56_vgpr57
                                        ; implicit-def: $vgpr74
                                        ; implicit-def: $vgpr32_vgpr33
                                        ; implicit-def: $vgpr73
                                        ; implicit-def: $vgpr54_vgpr55
                                        ; implicit-def: $vgpr72
                                        ; implicit-def: $vgpr36_vgpr37
                                        ; implicit-def: $vgpr71
                                        ; implicit-def: $vgpr34_vgpr35
                                        ; implicit-def: $vgpr70
                                        ; implicit-def: $vgpr40_vgpr41
                                        ; implicit-def: $vgpr69
                                        ; implicit-def: $vgpr38_vgpr39
                                        ; implicit-def: $vgpr68
                                        ; implicit-def: $vgpr44_vgpr45
                                        ; implicit-def: $vgpr67
                                        ; implicit-def: $vgpr42_vgpr43
                                        ; implicit-def: $vgpr65
                                        ; implicit-def: $vgpr50_vgpr51
                                        ; implicit-def: $vgpr64
                                        ; implicit-def: $vgpr48_vgpr49
                                        ; implicit-def: $vgpr1
                                        ; implicit-def: $sgpr52
                                        ; implicit-def: $sgpr4_sgpr5
	s_and_b64 vcc, exec, s[0:1]
	v_lshlrev_b32_e32 v58, 3, v0
	s_cbranch_vccz .LBB724_86
.LBB724_81:
	v_mov_b32_e32 v59, 0
	v_lshl_add_u64 v[2:3], v[62:63], 0, v[58:59]
	v_add_co_u32_e32 v4, vcc, 0x1000, v2
	s_movk_i32 s0, 0x68
	s_nop 0
	v_addc_co_u32_e32 v5, vcc, 0, v3, vcc
	flat_load_dwordx2 v[6:7], v[2:3]
	flat_load_dwordx2 v[8:9], v[2:3] offset:2048
	flat_load_dwordx2 v[10:11], v[4:5]
	flat_load_dwordx2 v[12:13], v[4:5] offset:2048
	v_add_co_u32_e32 v4, vcc, 0x2000, v2
	v_mad_u32_u24 v1, v0, s0, v58
	s_nop 0
	v_addc_co_u32_e32 v5, vcc, 0, v3, vcc
	v_add_co_u32_e32 v14, vcc, 0x3000, v2
	s_movk_i32 s0, 0xff98
	s_nop 0
	v_addc_co_u32_e32 v15, vcc, 0, v3, vcc
	flat_load_dwordx2 v[16:17], v[4:5]
	flat_load_dwordx2 v[18:19], v[4:5] offset:2048
	flat_load_dwordx2 v[20:21], v[14:15]
	flat_load_dwordx2 v[22:23], v[14:15] offset:2048
	v_add_co_u32_e32 v4, vcc, 0x4000, v2
	s_movk_i32 s9, 0x1000
	s_nop 0
	v_addc_co_u32_e32 v5, vcc, 0, v3, vcc
	v_add_co_u32_e32 v14, vcc, 0x5000, v2
	s_movk_i32 s8, 0x2000
	s_nop 0
	v_addc_co_u32_e32 v15, vcc, 0, v3, vcc
	v_add_co_u32_e32 v2, vcc, 0x6000, v2
	flat_load_dwordx2 v[24:25], v[4:5]
	flat_load_dwordx2 v[26:27], v[4:5] offset:2048
	flat_load_dwordx2 v[28:29], v[14:15]
	flat_load_dwordx2 v[30:31], v[14:15] offset:2048
	v_addc_co_u32_e32 v3, vcc, 0, v3, vcc
	flat_load_dwordx2 v[4:5], v[2:3]
	flat_load_dwordx2 v[14:15], v[2:3] offset:2048
	v_add_co_u32_e32 v2, vcc, 0x7000, v62
	s_movk_i32 s7, 0x3000
	s_nop 0
	v_addc_co_u32_e32 v3, vcc, 0, v63, vcc
	s_movk_i32 s6, 0x4000
	s_movk_i32 s5, 0x5000
	;; [unrolled: 1-line block ×3, first 2 shown]
	s_waitcnt vmcnt(0) lgkmcnt(0)
	ds_write2st64_b64 v58, v[6:7], v[8:9] offset1:4
	ds_write2st64_b64 v58, v[10:11], v[12:13] offset0:8 offset1:12
	ds_write2st64_b64 v58, v[16:17], v[18:19] offset0:16 offset1:20
	;; [unrolled: 1-line block ×6, first 2 shown]
	s_waitcnt lgkmcnt(0)
	s_barrier
	flat_load_dwordx2 v[62:63], v[2:3]
	v_mad_i32_i24 v26, v0, s0, v1
	s_movk_i32 s0, 0xff
	v_cmp_ne_u32_e32 vcc, s0, v0
	ds_read_b128 v[44:47], v1
	ds_read_b128 v[22:25], v1 offset:16
	ds_read_b128 v[18:21], v1 offset:32
	;; [unrolled: 1-line block ×6, first 2 shown]
	s_waitcnt lgkmcnt(0)
	ds_write_b64 v26, v[44:45] offset:30720
	s_waitcnt lgkmcnt(0)
	s_barrier
	s_and_saveexec_b64 s[0:1], vcc
	s_cbranch_execz .LBB724_83
; %bb.82:
	s_waitcnt vmcnt(0)
	ds_read_b64 v[62:63], v58 offset:30728
.LBB724_83:
	s_or_b64 exec, exec, s[0:1]
	v_lshl_add_u64 v[26:27], v[60:61], 0, v[58:59]
	v_add_co_u32_e32 v28, vcc, s9, v26
	s_waitcnt lgkmcnt(0)
	s_nop 0
	v_addc_co_u32_e32 v29, vcc, 0, v27, vcc
	s_barrier
	flat_load_dwordx2 v[30:31], v[26:27]
	flat_load_dwordx2 v[32:33], v[26:27] offset:2048
	flat_load_dwordx2 v[34:35], v[28:29]
	flat_load_dwordx2 v[36:37], v[28:29] offset:2048
	v_add_co_u32_e32 v28, vcc, s8, v26
	v_cmp_eq_u64_e64 s[0:1], 0, v[46:47]
	s_nop 0
	v_addc_co_u32_e32 v29, vcc, 0, v27, vcc
	v_add_co_u32_e32 v38, vcc, s7, v26
	s_nop 1
	v_addc_co_u32_e32 v39, vcc, 0, v27, vcc
	flat_load_dwordx2 v[40:41], v[28:29]
	flat_load_dwordx2 v[42:43], v[28:29] offset:2048
	flat_load_dwordx2 v[44:45], v[38:39]
	flat_load_dwordx2 v[48:49], v[38:39] offset:2048
	v_add_co_u32_e32 v28, vcc, s6, v26
	s_nop 1
	v_addc_co_u32_e32 v29, vcc, 0, v27, vcc
	v_add_co_u32_e32 v38, vcc, s5, v26
	s_nop 1
	v_addc_co_u32_e32 v39, vcc, 0, v27, vcc
	v_add_co_u32_e32 v26, vcc, s4, v26
	flat_load_dwordx2 v[50:51], v[28:29]
	flat_load_dwordx2 v[54:55], v[28:29] offset:2048
	flat_load_dwordx2 v[56:57], v[38:39]
	flat_load_dwordx2 v[60:61], v[38:39] offset:2048
	v_addc_co_u32_e32 v27, vcc, 0, v27, vcc
	flat_load_dwordx2 v[28:29], v[26:27]
	flat_load_dwordx2 v[38:39], v[26:27] offset:2048
	v_cmp_ne_u64_e32 vcc, 0, v[46:47]
	v_mov_b64_e32 v[46:47], s[56:57]
	s_waitcnt vmcnt(0) lgkmcnt(0)
	ds_write2st64_b64 v58, v[30:31], v[32:33] offset1:4
	ds_write2st64_b64 v58, v[34:35], v[36:37] offset0:8 offset1:12
	ds_write2st64_b64 v58, v[40:41], v[42:43] offset0:16 offset1:20
	;; [unrolled: 1-line block ×6, first 2 shown]
	s_waitcnt lgkmcnt(0)
	s_barrier
	ds_read2_b64 v[48:51], v1 offset0:1 offset1:2
	ds_read2_b64 v[42:45], v1 offset0:3 offset1:4
	;; [unrolled: 1-line block ×6, first 2 shown]
	ds_read_b64 v[60:61], v1 offset:104
	s_and_saveexec_b64 s[4:5], s[0:1]
	s_cbranch_execz .LBB724_85
; %bb.84:
	ds_read_b64 v[46:47], v1
.LBB724_85:
	s_or_b64 exec, exec, s[4:5]
	v_cmp_ne_u64_e64 s[6:7], 0, v[20:21]
	v_cmp_ne_u64_e64 s[20:21], 0, v[2:3]
	v_mov_b32_e32 v2, s57
	v_mov_b32_e32 v3, s56
	v_cndmask_b32_e64 v1, 0, 1, vcc
	v_cmp_ne_u64_e32 vcc, 0, v[22:23]
	v_cmp_ne_u64_e64 s[0:1], 0, v[24:25]
	v_cmp_ne_u64_e64 s[4:5], 0, v[18:19]
	v_cndmask_b32_e64 v68, 0, 1, s[6:7]
	v_cmp_ne_u64_e64 s[8:9], 0, v[14:15]
	v_cmp_ne_u64_e64 s[10:11], 0, v[16:17]
	;; [unrolled: 1-line block ×7, first 2 shown]
	s_waitcnt lgkmcnt(5)
	v_cndmask_b32_e64 v45, v45, v2, s[6:7]
	v_cndmask_b32_e64 v44, v44, v3, s[6:7]
	v_cmp_ne_u64_e64 s[6:7], 0, v[62:63]
	v_cndmask_b32_e64 v64, 0, 1, vcc
	v_cndmask_b32_e64 v65, 0, 1, s[0:1]
	v_cndmask_b32_e64 v67, 0, 1, s[4:5]
	v_cndmask_b32_e64 v69, 0, 1, s[8:9]
	v_cndmask_b32_e64 v70, 0, 1, s[10:11]
	v_cndmask_b32_e64 v71, 0, 1, s[12:13]
	v_cndmask_b32_e64 v72, 0, 1, s[14:15]
	v_cndmask_b32_e64 v73, 0, 1, s[16:17]
	v_cndmask_b32_e64 v74, 0, 1, s[18:19]
	v_cndmask_b32_e64 v75, 0, 1, s[20:21]
	v_cndmask_b32_e64 v66, 0, 1, s[22:23]
	v_cndmask_b32_e32 v49, v49, v2, vcc
	v_cndmask_b32_e32 v48, v48, v3, vcc
	v_cndmask_b32_e64 v51, v51, v2, s[0:1]
	v_cndmask_b32_e64 v50, v50, v3, s[0:1]
	v_cndmask_b32_e64 v43, v43, v2, s[4:5]
	v_cndmask_b32_e64 v42, v42, v3, s[4:5]
	s_waitcnt lgkmcnt(4)
	v_cndmask_b32_e64 v39, v39, v2, s[8:9]
	v_cndmask_b32_e64 v38, v38, v3, s[8:9]
	v_cndmask_b32_e64 v41, v41, v2, s[10:11]
	v_cndmask_b32_e64 v40, v40, v3, s[10:11]
	s_waitcnt lgkmcnt(3)
	;; [unrolled: 5-line block ×5, first 2 shown]
	v_cndmask_b32_e64 v27, v61, v2, s[6:7]
	v_cndmask_b32_e64 v26, v60, v3, s[6:7]
	s_mov_b64 s[8:9], -1
                                        ; implicit-def: $sgpr52
                                        ; implicit-def: $sgpr4_sgpr5
.LBB724_86:
	v_mov_b64_e32 v[28:29], s[4:5]
	v_mov_b32_e32 v59, s52
	s_and_saveexec_b64 s[0:1], s[8:9]
; %bb.87:
	v_cndmask_b32_e64 v59, 0, 1, s[6:7]
	v_mov_b64_e32 v[28:29], v[26:27]
; %bb.88:
	s_or_b64 exec, exec, s[0:1]
	v_or_b32_e32 v2, v59, v66
	s_cmp_lg_u32 s43, 0
	v_or_b32_e32 v77, v2, v75
	v_mbcnt_lo_u32_b32 v76, -1, 0
	s_barrier
	s_cbranch_scc0 .LBB724_171
; %bb.89:
	v_mov_b32_e32 v4, 0
	v_cmp_eq_u16_sdwa s[4:5], v64, v4 src0_sel:BYTE_0 src1_sel:DWORD
	v_cmp_eq_u16_sdwa s[6:7], v65, v4 src0_sel:BYTE_0 src1_sel:DWORD
	;; [unrolled: 1-line block ×3, first 2 shown]
	v_cndmask_b32_e64 v3, 0, v47, s[4:5]
	v_cndmask_b32_e64 v2, 0, v46, s[4:5]
	v_lshl_add_u64 v[2:3], v[2:3], 0, v[48:49]
	v_cndmask_b32_e64 v3, 0, v3, s[6:7]
	v_cndmask_b32_e64 v2, 0, v2, s[6:7]
	v_lshl_add_u64 v[2:3], v[2:3], 0, v[50:51]
	;; [unrolled: 3-line block ×3, first 2 shown]
	v_cmp_eq_u16_sdwa s[10:11], v68, v4 src0_sel:BYTE_0 src1_sel:DWORD
	v_cmp_eq_u16_sdwa s[12:13], v69, v4 src0_sel:BYTE_0 src1_sel:DWORD
	;; [unrolled: 1-line block ×3, first 2 shown]
	v_cndmask_b32_e64 v3, 0, v3, s[10:11]
	v_cndmask_b32_e64 v2, 0, v2, s[10:11]
	v_lshl_add_u64 v[2:3], v[2:3], 0, v[44:45]
	v_cndmask_b32_e64 v3, 0, v3, s[12:13]
	v_cndmask_b32_e64 v2, 0, v2, s[12:13]
	v_lshl_add_u64 v[2:3], v[2:3], 0, v[38:39]
	;; [unrolled: 3-line block ×3, first 2 shown]
	v_cmp_eq_u16_sdwa s[16:17], v71, v4 src0_sel:BYTE_0 src1_sel:DWORD
	v_cmp_eq_u16_sdwa s[18:19], v72, v4 src0_sel:BYTE_0 src1_sel:DWORD
	;; [unrolled: 1-line block ×3, first 2 shown]
	v_cndmask_b32_e64 v3, 0, v3, s[16:17]
	v_cndmask_b32_e64 v2, 0, v2, s[16:17]
	v_lshl_add_u64 v[2:3], v[2:3], 0, v[34:35]
	v_cndmask_b32_e64 v3, 0, v3, s[18:19]
	v_cndmask_b32_e64 v2, 0, v2, s[18:19]
	v_cmp_eq_u16_sdwa s[22:23], v74, v4 src0_sel:BYTE_0 src1_sel:DWORD
	v_cmp_eq_u16_sdwa s[24:25], v75, v4 src0_sel:BYTE_0 src1_sel:DWORD
	;; [unrolled: 1-line block ×3, first 2 shown]
	v_cmp_eq_u16_sdwa vcc, v59, v4 src0_sel:BYTE_0 src1_sel:DWORD
	v_or_b32_e32 v4, v77, v74
	v_lshl_add_u64 v[2:3], v[2:3], 0, v[36:37]
	v_or_b32_e32 v4, v4, v73
	v_cndmask_b32_e64 v3, 0, v3, s[20:21]
	v_cndmask_b32_e64 v2, 0, v2, s[20:21]
	v_or_b32_e32 v4, v4, v72
	v_lshl_add_u64 v[2:3], v[2:3], 0, v[54:55]
	v_or_b32_e32 v4, v4, v71
	v_cndmask_b32_e64 v3, 0, v3, s[22:23]
	v_cndmask_b32_e64 v2, 0, v2, s[22:23]
	;; [unrolled: 5-line block ×4, first 2 shown]
	v_or_b32_e32 v4, v4, v65
	v_lshl_add_u64 v[2:3], v[2:3], 0, v[30:31]
	v_or_b32_e32 v4, v4, v64
	v_cndmask_b32_e32 v3, 0, v3, vcc
	v_cndmask_b32_e32 v2, 0, v2, vcc
	v_or_b32_e32 v4, v4, v1
	v_mbcnt_hi_u32_b32 v9, -1, v76
	v_lshl_add_u64 v[2:3], v[2:3], 0, v[28:29]
	v_and_b32_e32 v8, 1, v4
	v_and_b32_e32 v5, 15, v9
	v_cmp_eq_u32_e32 vcc, 1, v8
	v_mov_b32_dpp v7, v2 row_shr:1 row_mask:0xf bank_mask:0xf
	v_mov_b32_dpp v10, v3 row_shr:1 row_mask:0xf bank_mask:0xf
	;; [unrolled: 1-line block ×3, first 2 shown]
	v_cmp_ne_u32_e64 s[0:1], 0, v5
	v_mov_b32_e32 v4, v8
	s_and_saveexec_b64 s[28:29], s[0:1]
; %bb.90:
	v_and_b32_e32 v4, 1, v6
	v_cndmask_b32_e64 v11, v10, 0, vcc
	v_cndmask_b32_e64 v10, v7, 0, vcc
	v_or_b32_e32 v8, v4, v8
	v_lshl_add_u64 v[2:3], v[10:11], 0, v[2:3]
	v_and_b32_e32 v4, 0xffff, v8
; %bb.91:
	s_or_b64 exec, exec, s[28:29]
	v_mov_b32_dpp v7, v2 row_shr:2 row_mask:0xf bank_mask:0xf
	v_mov_b32_dpp v10, v3 row_shr:2 row_mask:0xf bank_mask:0xf
	;; [unrolled: 1-line block ×3, first 2 shown]
	v_cmp_lt_u32_e32 vcc, 1, v5
	s_and_saveexec_b64 s[28:29], vcc
; %bb.92:
	v_cmp_eq_u16_e32 vcc, 0, v8
	v_and_b32_e32 v4, 1, v8
	s_nop 0
	v_cndmask_b32_e32 v11, 0, v10, vcc
	v_cndmask_b32_e32 v10, 0, v7, vcc
	v_cmp_eq_u32_e32 vcc, 1, v4
	v_and_b32_e32 v4, 1, v6
	v_cmp_eq_u32_e64 s[0:1], 1, v4
	s_or_b64 s[0:1], vcc, s[0:1]
	v_lshl_add_u64 v[2:3], v[10:11], 0, v[2:3]
	v_cndmask_b32_e64 v8, 0, 1, s[0:1]
	v_cndmask_b32_e64 v4, 0, 1, s[0:1]
; %bb.93:
	s_or_b64 exec, exec, s[28:29]
	v_mov_b32_dpp v7, v2 row_shr:4 row_mask:0xf bank_mask:0xf
	v_mov_b32_dpp v10, v3 row_shr:4 row_mask:0xf bank_mask:0xf
	;; [unrolled: 1-line block ×3, first 2 shown]
	v_cmp_lt_u32_e32 vcc, 3, v5
	s_and_saveexec_b64 s[28:29], vcc
; %bb.94:
	v_cmp_eq_u16_e32 vcc, 0, v8
	v_and_b32_e32 v4, 1, v8
	s_nop 0
	v_cndmask_b32_e32 v11, 0, v10, vcc
	v_cndmask_b32_e32 v10, 0, v7, vcc
	v_cmp_eq_u32_e32 vcc, 1, v4
	v_and_b32_e32 v4, 1, v6
	v_cmp_eq_u32_e64 s[0:1], 1, v4
	s_or_b64 s[0:1], vcc, s[0:1]
	v_lshl_add_u64 v[2:3], v[10:11], 0, v[2:3]
	v_cndmask_b32_e64 v8, 0, 1, s[0:1]
	v_cndmask_b32_e64 v4, 0, 1, s[0:1]
; %bb.95:
	s_or_b64 exec, exec, s[28:29]
	v_mov_b32_dpp v7, v2 row_shr:8 row_mask:0xf bank_mask:0xf
	v_mov_b32_dpp v10, v3 row_shr:8 row_mask:0xf bank_mask:0xf
	;; [unrolled: 1-line block ×3, first 2 shown]
	v_cmp_lt_u32_e32 vcc, 7, v5
	s_and_saveexec_b64 s[28:29], vcc
; %bb.96:
	v_cmp_eq_u16_e32 vcc, 0, v8
	s_nop 1
	v_cndmask_b32_e32 v5, 0, v10, vcc
	v_cndmask_b32_e32 v4, 0, v7, vcc
	v_lshl_add_u64 v[2:3], v[4:5], 0, v[2:3]
	v_and_b32_e32 v4, 1, v8
	v_cmp_eq_u32_e32 vcc, 1, v4
	v_and_b32_e32 v4, 1, v6
	v_cmp_eq_u32_e64 s[0:1], 1, v4
	s_or_b64 s[0:1], vcc, s[0:1]
	s_nop 0
	v_cndmask_b32_e64 v8, 0, 1, s[0:1]
	v_cndmask_b32_e64 v4, 0, 1, s[0:1]
; %bb.97:
	s_or_b64 exec, exec, s[28:29]
	v_and_b32_e32 v10, 16, v9
	v_mov_b32_dpp v6, v2 row_bcast:15 row_mask:0xf bank_mask:0xf
	v_mov_b32_dpp v7, v3 row_bcast:15 row_mask:0xf bank_mask:0xf
	;; [unrolled: 1-line block ×3, first 2 shown]
	v_cmp_ne_u32_e32 vcc, 0, v10
	s_and_saveexec_b64 s[28:29], vcc
; %bb.98:
	v_cmp_eq_u16_e32 vcc, 0, v8
	v_and_b32_e32 v4, 1, v8
	s_nop 0
	v_cndmask_b32_e32 v7, 0, v7, vcc
	v_cndmask_b32_e32 v6, 0, v6, vcc
	v_cmp_eq_u32_e32 vcc, 1, v4
	v_and_b32_e32 v4, 1, v5
	v_cmp_eq_u32_e64 s[0:1], 1, v4
	s_or_b64 s[0:1], vcc, s[0:1]
	v_lshl_add_u64 v[2:3], v[6:7], 0, v[2:3]
	v_cndmask_b32_e64 v8, 0, 1, s[0:1]
	v_cndmask_b32_e64 v4, 0, 1, s[0:1]
; %bb.99:
	s_or_b64 exec, exec, s[28:29]
	v_mov_b32_dpp v5, v2 row_bcast:31 row_mask:0xf bank_mask:0xf
	v_mov_b32_dpp v6, v3 row_bcast:31 row_mask:0xf bank_mask:0xf
	;; [unrolled: 1-line block ×3, first 2 shown]
	v_cmp_lt_u32_e32 vcc, 31, v9
	s_and_saveexec_b64 s[28:29], vcc
; %bb.100:
	v_cmp_eq_u16_e32 vcc, 0, v8
	v_and_b32_e32 v4, 1, v4
	v_cmp_eq_u32_e64 s[0:1], 1, v4
	v_cndmask_b32_e32 v7, 0, v6, vcc
	v_cndmask_b32_e32 v6, 0, v5, vcc
	v_and_b32_e32 v5, 1, v8
	v_cmp_eq_u32_e32 vcc, 1, v5
	s_or_b64 s[0:1], vcc, s[0:1]
	v_lshl_add_u64 v[2:3], v[6:7], 0, v[2:3]
	v_cndmask_b32_e64 v8, 0, 1, s[0:1]
; %bb.101:
	s_or_b64 exec, exec, s[28:29]
	v_or_b32_e32 v4, 63, v0
	v_lshrrev_b32_e32 v10, 6, v0
	v_cmp_eq_u32_e32 vcc, v4, v0
	s_and_saveexec_b64 s[0:1], vcc
	s_cbranch_execz .LBB724_103
; %bb.102:
	v_lshlrev_b32_e32 v4, 4, v10
	ds_write_b64 v4, v[2:3]
	ds_write_b8 v4, v8 offset:8
.LBB724_103:
	s_or_b64 exec, exec, s[0:1]
	v_cmp_gt_u32_e32 vcc, 4, v0
	s_waitcnt lgkmcnt(0)
	s_barrier
	s_and_saveexec_b64 s[28:29], vcc
	s_cbranch_execz .LBB724_109
; %bb.104:
	v_lshlrev_b32_e32 v6, 4, v0
	ds_read_b64 v[4:5], v6
	ds_read_b32 v7, v6 offset:8
	v_and_b32_e32 v11, 3, v9
	v_cmp_ne_u32_e32 vcc, 0, v11
	s_waitcnt lgkmcnt(1)
	v_mov_b32_dpp v15, v4 row_shr:1 row_mask:0xf bank_mask:0xf
	v_mov_b32_dpp v16, v5 row_shr:1 row_mask:0xf bank_mask:0xf
	s_waitcnt lgkmcnt(0)
	v_mov_b32_dpp v14, v7 row_shr:1 row_mask:0xf bank_mask:0xf
	v_mov_b32_e32 v12, v7
	v_mov_b32_e32 v13, v7
	s_and_saveexec_b64 s[0:1], vcc
; %bb.105:
	v_mov_b32_e32 v12, 0
	v_cmp_eq_u16_sdwa vcc, v7, v12 src0_sel:BYTE_0 src1_sel:DWORD
	s_movk_i32 s44, 0xff00
	s_nop 0
	v_cndmask_b32_e32 v13, 0, v16, vcc
	v_cndmask_b32_e32 v12, 0, v15, vcc
	v_lshl_add_u64 v[4:5], v[12:13], 0, v[4:5]
	v_or_b32_e32 v13, v14, v7
	v_and_b32_e32 v12, 1, v13
	v_and_b32_e32 v13, 1, v13
	v_and_or_b32 v7, v7, s44, v13
; %bb.106:
	s_or_b64 exec, exec, s[0:1]
	v_mov_b32_dpp v14, v4 row_shr:2 row_mask:0xf bank_mask:0xf
	v_mov_b32_dpp v15, v5 row_shr:2 row_mask:0xf bank_mask:0xf
	;; [unrolled: 1-line block ×3, first 2 shown]
	v_cmp_lt_u32_e32 vcc, 1, v11
	s_and_saveexec_b64 s[44:45], vcc
; %bb.107:
	v_mov_b32_e32 v11, 0
	v_cmp_eq_u16_sdwa vcc, v13, v11 src0_sel:BYTE_0 src1_sel:DWORD
	v_and_b32_e32 v11, 1, v13
	v_and_b32_e32 v7, 1, v7
	v_cndmask_b32_e32 v15, 0, v15, vcc
	v_cndmask_b32_e32 v14, 0, v14, vcc
	v_cmp_eq_u32_e32 vcc, 1, v11
	v_cmp_eq_u32_e64 s[0:1], 1, v7
	s_or_b64 s[0:1], vcc, s[0:1]
	v_lshl_add_u64 v[4:5], v[14:15], 0, v[4:5]
	v_cndmask_b32_e64 v12, 0, 1, s[0:1]
; %bb.108:
	s_or_b64 exec, exec, s[44:45]
	ds_write_b64 v6, v[4:5]
	ds_write_b8 v6, v12 offset:8
.LBB724_109:
	s_or_b64 exec, exec, s[28:29]
	v_cmp_gt_u32_e32 vcc, 64, v0
	v_cmp_lt_u32_e64 s[0:1], 63, v0
	v_mov_b32_e32 v16, 0
	v_mov_b64_e32 v[6:7], 0
	s_waitcnt lgkmcnt(0)
	s_barrier
	s_and_saveexec_b64 s[28:29], s[0:1]
	s_cbranch_execz .LBB724_111
; %bb.110:
	v_lshl_add_u32 v4, v10, 4, -16
	ds_read_b64 v[6:7], v4
	ds_read_u8 v16, v4 offset:8
	v_cmp_eq_u16_e64 s[0:1], 0, v8
	s_waitcnt lgkmcnt(0)
	v_or_b32_e32 v8, v8, v16
	v_cndmask_b32_e64 v5, 0, v7, s[0:1]
	v_cndmask_b32_e64 v4, 0, v6, s[0:1]
	v_lshl_add_u64 v[2:3], v[2:3], 0, v[4:5]
	v_and_b32_e32 v8, 1, v8
.LBB724_111:
	s_or_b64 exec, exec, s[28:29]
	v_add_u32_e32 v4, -1, v9
	v_and_b32_e32 v5, 64, v9
	v_cmp_lt_i32_e64 s[0:1], v4, v5
	v_cmp_eq_u32_e64 s[28:29], 0, v9
	s_nop 0
	v_cndmask_b32_e64 v4, v4, v9, s[0:1]
	v_lshlrev_b32_e32 v4, 2, v4
	ds_bpermute_b32 v17, v4, v2
	v_and_b32_e32 v2, 0xffff, v8
	ds_bpermute_b32 v18, v4, v3
	ds_bpermute_b32 v19, v4, v2
	s_and_saveexec_b64 s[44:45], vcc
	s_cbranch_execz .LBB724_158
; %bb.112:
	v_mov_b32_e32 v11, 0
	ds_read2_b64 v[2:5], v11 offset0:6 offset1:7
	s_and_saveexec_b64 s[0:1], s[28:29]
	s_cbranch_execz .LBB724_114
; %bb.113:
	s_add_i32 s46, s43, 64
	s_mov_b32 s47, 0
	s_lshl_b64 s[48:49], s[46:47], 4
	s_add_u32 s48, s36, s48
	s_addc_u32 s49, s37, s49
	s_waitcnt lgkmcnt(0)
	global_store_dword v11, v2, s[48:49] sc1
	global_store_dword v11, v3, s[48:49] offset:4 sc1
	global_store_dword v11, v4, s[48:49] offset:8 sc1
	;; [unrolled: 1-line block ×3, first 2 shown]
	v_mov_b32_e32 v5, s46
	v_mov_b32_e32 v8, 1
	s_waitcnt vmcnt(0)
	global_store_byte v5, v8, s[40:41] sc1
.LBB724_114:
	s_or_b64 exec, exec, s[0:1]
	v_xad_u32 v8, v9, -1, s43
	v_add_u32_e32 v10, 64, v8
	s_waitcnt lgkmcnt(0)
	global_load_ubyte v5, v10, s[40:41] sc1
	s_waitcnt vmcnt(0)
	v_cmp_eq_u16_e32 vcc, 0, v5
	s_and_saveexec_b64 s[0:1], vcc
	s_cbranch_execz .LBB724_120
; %bb.115:
	v_lshl_add_u64 v[12:13], s[40:41], 0, v[10:11]
	s_mov_b32 s48, 1
	s_mov_b64 s[46:47], 0
.LBB724_116:                            ; =>This Loop Header: Depth=1
                                        ;     Child Loop BB724_117 Depth 2
	s_max_u32 s49, s48, 1
.LBB724_117:                            ;   Parent Loop BB724_116 Depth=1
                                        ; =>  This Inner Loop Header: Depth=2
	s_add_i32 s49, s49, -1
	s_cmp_eq_u32 s49, 0
	s_sleep 1
	s_cbranch_scc0 .LBB724_117
; %bb.118:                              ;   in Loop: Header=BB724_116 Depth=1
	global_load_ubyte v5, v[12:13], off sc1
	s_cmp_lt_u32 s48, 32
	s_cselect_b64 s[52:53], -1, 0
	s_cmp_lg_u64 s[52:53], 0
	s_addc_u32 s48, s48, 0
	s_waitcnt vmcnt(0)
	v_cmp_ne_u16_e32 vcc, 0, v5
	s_or_b64 s[46:47], vcc, s[46:47]
	s_andn2_b64 exec, exec, s[46:47]
	s_cbranch_execnz .LBB724_116
; %bb.119:
	s_or_b64 exec, exec, s[46:47]
.LBB724_120:
	s_or_b64 exec, exec, s[0:1]
	v_mov_b32_e32 v12, s39
	v_mov_b32_e32 v13, s37
	v_cmp_eq_u16_e32 vcc, 1, v5
	v_mov_b32_e32 v14, s36
	s_waitcnt vmcnt(0)
	v_cndmask_b32_e32 v13, v12, v13, vcc
	v_mov_b32_e32 v12, s38
	v_cndmask_b32_e32 v12, v12, v14, vcc
	v_lshl_add_u64 v[10:11], v[10:11], 4, v[12:13]
	global_load_dword v14, v[10:11], off sc1
	global_load_dword v15, v[10:11], off offset:4 sc1
	global_load_dword v80, v[10:11], off offset:8 sc1
	s_nop 0
	global_load_dword v10, v[10:11], off offset:12 sc1
	v_cmp_eq_u16_e32 vcc, 2, v5
	s_waitcnt vmcnt(0)
	v_lshlrev_b64 v[10:11], v9, -1
	v_and_b32_e32 v20, 63, v9
	v_and_b32_e32 v12, vcc_hi, v11
	v_and_b32_e32 v25, vcc_lo, v10
	v_cmp_ne_u32_e32 vcc, 63, v20
	v_or_b32_e32 v12, 0x80000000, v12
	v_ffbl_b32_e32 v12, v12
	v_addc_co_u32_e32 v13, vcc, 0, v9, vcc
	v_lshlrev_b32_e32 v21, 2, v13
	v_add_u32_e32 v12, 32, v12
	v_ffbl_b32_e32 v25, v25
	v_min_u32_e32 v12, v25, v12
	v_cmp_lt_u32_e32 vcc, v20, v12
	ds_bpermute_b32 v23, v21, v14
	ds_bpermute_b32 v24, v21, v15
	v_and_b32_e32 v13, 0xff, v80
	ds_bpermute_b32 v22, v21, v13
	s_and_saveexec_b64 s[0:1], vcc
	s_cbranch_execz .LBB724_122
; %bb.121:
	v_mov_b32_e32 v13, 0
	v_cmp_eq_u16_sdwa vcc, v80, v13 src0_sel:BYTE_0 src1_sel:DWORD
	s_waitcnt lgkmcnt(0)
	v_or_b32_e32 v13, v22, v80
	v_and_b32_e32 v80, 1, v13
	v_cndmask_b32_e32 v25, 0, v24, vcc
	v_cndmask_b32_e32 v24, 0, v23, vcc
	v_lshl_add_u64 v[14:15], v[24:25], 0, v[14:15]
	v_and_b32_e32 v13, 1, v13
.LBB724_122:
	s_or_b64 exec, exec, s[0:1]
	v_cmp_gt_u32_e32 vcc, 62, v20
	s_waitcnt lgkmcnt(2)
	v_add_u32_e32 v23, 2, v20
	s_waitcnt lgkmcnt(0)
	v_cndmask_b32_e64 v22, 0, 1, vcc
	v_lshlrev_b32_e32 v22, 1, v22
	v_add_lshl_u32 v22, v22, v9, 2
	ds_bpermute_b32 v25, v22, v14
	ds_bpermute_b32 v26, v22, v15
	ds_bpermute_b32 v24, v22, v13
	v_cmp_le_u32_e32 vcc, v23, v12
	s_and_saveexec_b64 s[46:47], vcc
	s_cbranch_execz .LBB724_124
; %bb.123:
	v_mov_b32_e32 v13, 0
	v_cmp_eq_u16_sdwa vcc, v80, v13 src0_sel:BYTE_0 src1_sel:DWORD
	v_and_b32_e32 v13, 1, v80
	s_waitcnt lgkmcnt(1)
	v_cndmask_b32_e32 v27, 0, v26, vcc
	v_cndmask_b32_e32 v26, 0, v25, vcc
	v_cmp_eq_u32_e32 vcc, 1, v13
	s_waitcnt lgkmcnt(0)
	v_and_b32_e32 v13, 1, v24
	v_cmp_eq_u32_e64 s[0:1], 1, v13
	s_or_b64 s[0:1], vcc, s[0:1]
	v_lshl_add_u64 v[14:15], v[26:27], 0, v[14:15]
	v_cndmask_b32_e64 v80, 0, 1, s[0:1]
	v_cndmask_b32_e64 v13, 0, 1, s[0:1]
.LBB724_124:
	s_or_b64 exec, exec, s[46:47]
	v_cmp_gt_u32_e32 vcc, 60, v20
	s_waitcnt lgkmcnt(2)
	v_add_u32_e32 v25, 4, v20
	s_waitcnt lgkmcnt(0)
	v_cndmask_b32_e64 v24, 0, 1, vcc
	v_lshlrev_b32_e32 v24, 2, v24
	v_add_lshl_u32 v24, v24, v9, 2
	ds_bpermute_b32 v27, v24, v14
	ds_bpermute_b32 v60, v24, v15
	ds_bpermute_b32 v26, v24, v13
	v_cmp_le_u32_e32 vcc, v25, v12
	s_and_saveexec_b64 s[46:47], vcc
	s_cbranch_execz .LBB724_126
; %bb.125:
	v_mov_b32_e32 v13, 0
	v_cmp_eq_u16_sdwa vcc, v80, v13 src0_sel:BYTE_0 src1_sel:DWORD
	v_and_b32_e32 v13, 1, v80
	s_waitcnt lgkmcnt(1)
	v_cndmask_b32_e32 v61, 0, v60, vcc
	v_cndmask_b32_e32 v60, 0, v27, vcc
	v_cmp_eq_u32_e32 vcc, 1, v13
	s_waitcnt lgkmcnt(0)
	v_and_b32_e32 v13, 1, v26
	v_cmp_eq_u32_e64 s[0:1], 1, v13
	s_or_b64 s[0:1], vcc, s[0:1]
	v_lshl_add_u64 v[14:15], v[60:61], 0, v[14:15]
	v_cndmask_b32_e64 v80, 0, 1, s[0:1]
	v_cndmask_b32_e64 v13, 0, 1, s[0:1]
.LBB724_126:
	;; [unrolled: 30-line block ×4, first 2 shown]
	s_or_b64 exec, exec, s[46:47]
	v_cmp_gt_u32_e32 vcc, 32, v20
	s_waitcnt lgkmcnt(1)
	v_add_u32_e32 v78, 32, v20
	s_waitcnt lgkmcnt(0)
	v_cndmask_b32_e64 v62, 0, 1, vcc
	v_lshlrev_b32_e32 v62, 5, v62
	v_add_lshl_u32 v63, v62, v9, 2
	ds_bpermute_b32 v62, v63, v14
	ds_bpermute_b32 v79, v63, v15
	ds_bpermute_b32 v9, v63, v13
	v_cmp_le_u32_e32 vcc, v78, v12
	s_and_saveexec_b64 s[46:47], vcc
	s_cbranch_execz .LBB724_132
; %bb.131:
	v_mov_b32_e32 v12, 0
	v_cmp_eq_u16_sdwa vcc, v80, v12 src0_sel:BYTE_0 src1_sel:DWORD
	s_waitcnt lgkmcnt(0)
	v_and_b32_e32 v9, 1, v9
	v_cmp_eq_u32_e64 s[0:1], 1, v9
	v_cndmask_b32_e32 v13, 0, v79, vcc
	v_cndmask_b32_e32 v12, 0, v62, vcc
	v_lshl_add_u64 v[14:15], v[12:13], 0, v[14:15]
	v_and_b32_e32 v12, 1, v80
	v_cmp_eq_u32_e32 vcc, 1, v12
	s_or_b64 s[0:1], vcc, s[0:1]
	v_cndmask_b32_e64 v80, 0, 1, s[0:1]
.LBB724_132:
	s_or_b64 exec, exec, s[46:47]
	s_waitcnt lgkmcnt(0)
	v_mov_b32_e32 v9, 0
	v_mov_b32_e32 v79, 2
	s_branch .LBB724_134
.LBB724_133:                            ;   in Loop: Header=BB724_134 Depth=1
	s_or_b64 exec, exec, s[48:49]
	v_cmp_eq_u16_sdwa vcc, v62, v9 src0_sel:BYTE_0 src1_sel:DWORD
	v_and_b32_e32 v80, 1, v62
	v_subrev_u32_e32 v8, 64, v8
	v_cndmask_b32_e32 v15, 0, v15, vcc
	v_cndmask_b32_e32 v14, 0, v14, vcc
	v_cmp_eq_u32_e32 vcc, 1, v80
	s_or_b64 s[0:1], vcc, s[46:47]
	v_lshl_add_u64 v[14:15], v[14:15], 0, v[12:13]
	v_cndmask_b32_e64 v80, 0, 1, s[0:1]
.LBB724_134:                            ; =>This Loop Header: Depth=1
                                        ;     Child Loop BB724_137 Depth 2
                                        ;       Child Loop BB724_138 Depth 3
	v_cmp_ne_u16_sdwa s[0:1], v5, v79 src0_sel:BYTE_0 src1_sel:DWORD
	v_mov_b32_e32 v62, v80
	v_mov_b64_e32 v[12:13], v[14:15]
	v_cndmask_b32_e64 v5, 0, 1, s[0:1]
	;;#ASMSTART
	;;#ASMEND
	s_nop 0
	v_cmp_ne_u32_e32 vcc, 0, v5
	s_cmp_lg_u64 vcc, exec
	s_cbranch_scc1 .LBB724_153
; %bb.135:                              ;   in Loop: Header=BB724_134 Depth=1
	global_load_ubyte v5, v8, s[40:41] sc1
	s_waitcnt vmcnt(0)
	v_cmp_eq_u16_e32 vcc, 0, v5
	s_and_saveexec_b64 s[0:1], vcc
	s_cbranch_execz .LBB724_141
; %bb.136:                              ;   in Loop: Header=BB724_134 Depth=1
	v_lshl_add_u64 v[14:15], s[40:41], 0, v[8:9]
	s_mov_b32 s48, 1
	s_mov_b64 s[46:47], 0
.LBB724_137:                            ;   Parent Loop BB724_134 Depth=1
                                        ; =>  This Loop Header: Depth=2
                                        ;       Child Loop BB724_138 Depth 3
	s_max_u32 s49, s48, 1
.LBB724_138:                            ;   Parent Loop BB724_134 Depth=1
                                        ;     Parent Loop BB724_137 Depth=2
                                        ; =>    This Inner Loop Header: Depth=3
	s_add_i32 s49, s49, -1
	s_cmp_eq_u32 s49, 0
	s_sleep 1
	s_cbranch_scc0 .LBB724_138
; %bb.139:                              ;   in Loop: Header=BB724_137 Depth=2
	global_load_ubyte v5, v[14:15], off sc1
	s_cmp_lt_u32 s48, 32
	s_cselect_b64 s[52:53], -1, 0
	s_cmp_lg_u64 s[52:53], 0
	s_addc_u32 s48, s48, 0
	s_waitcnt vmcnt(0)
	v_cmp_ne_u16_e32 vcc, 0, v5
	s_or_b64 s[46:47], vcc, s[46:47]
	s_andn2_b64 exec, exec, s[46:47]
	s_cbranch_execnz .LBB724_137
; %bb.140:                              ;   in Loop: Header=BB724_134 Depth=1
	s_or_b64 exec, exec, s[46:47]
.LBB724_141:                            ;   in Loop: Header=BB724_134 Depth=1
	s_or_b64 exec, exec, s[0:1]
	v_mov_b32_e32 v14, s39
	v_mov_b32_e32 v15, s37
	v_cmp_eq_u16_e32 vcc, 1, v5
	v_mov_b32_e32 v80, s36
	s_waitcnt vmcnt(0)
	v_cndmask_b32_e32 v15, v14, v15, vcc
	v_mov_b32_e32 v14, s38
	v_cndmask_b32_e32 v14, v14, v80, vcc
	s_waitcnt lgkmcnt(0)
	v_lshl_add_u64 v[82:83], v[8:9], 4, v[14:15]
	global_load_dword v14, v[82:83], off sc1
	global_load_dword v15, v[82:83], off offset:4 sc1
	global_load_dword v80, v[82:83], off offset:8 sc1
	;; [unrolled: 1-line block ×3, first 2 shown]
	v_cmp_eq_u16_e32 vcc, 2, v5
	s_waitcnt vmcnt(3)
	ds_bpermute_b32 v84, v21, v14
	s_waitcnt vmcnt(0)
	v_and_b32_e32 v81, vcc_hi, v11
	v_and_b32_e32 v82, 0xff, v80
	v_or_b32_e32 v81, 0x80000000, v81
	ds_bpermute_b32 v85, v21, v15
	ds_bpermute_b32 v83, v21, v82
	v_and_b32_e32 v86, vcc_lo, v10
	v_ffbl_b32_e32 v81, v81
	v_add_u32_e32 v81, 32, v81
	v_ffbl_b32_e32 v86, v86
	v_min_u32_e32 v81, v86, v81
	v_cmp_lt_u32_e32 vcc, v20, v81
	s_and_saveexec_b64 s[0:1], vcc
	s_cbranch_execz .LBB724_143
; %bb.142:                              ;   in Loop: Header=BB724_134 Depth=1
	v_cmp_eq_u16_sdwa vcc, v80, v9 src0_sel:BYTE_0 src1_sel:DWORD
	s_waitcnt lgkmcnt(0)
	v_or_b32_e32 v82, v83, v80
	v_and_b32_e32 v80, 1, v82
	v_cndmask_b32_e32 v85, 0, v85, vcc
	v_cndmask_b32_e32 v84, 0, v84, vcc
	v_lshl_add_u64 v[14:15], v[84:85], 0, v[14:15]
	v_and_b32_e32 v82, 1, v82
.LBB724_143:                            ;   in Loop: Header=BB724_134 Depth=1
	s_or_b64 exec, exec, s[0:1]
	s_waitcnt lgkmcnt(2)
	ds_bpermute_b32 v84, v22, v14
	s_waitcnt lgkmcnt(2)
	ds_bpermute_b32 v85, v22, v15
	;; [unrolled: 2-line block ×3, first 2 shown]
	v_and_b32_e32 v86, 1, v80
	v_cmp_le_u32_e32 vcc, v23, v81
	v_cmp_eq_u32_e64 s[46:47], 1, v86
	s_and_saveexec_b64 s[0:1], vcc
	s_cbranch_execz .LBB724_145
; %bb.144:                              ;   in Loop: Header=BB724_134 Depth=1
	v_cmp_eq_u16_sdwa vcc, v80, v9 src0_sel:BYTE_0 src1_sel:DWORD
	s_waitcnt lgkmcnt(0)
	v_and_b32_e32 v80, 1, v83
	v_cndmask_b32_e32 v85, 0, v85, vcc
	v_cndmask_b32_e32 v84, 0, v84, vcc
	v_cmp_eq_u32_e32 vcc, 1, v80
	s_or_b64 s[48:49], s[46:47], vcc
	v_cndmask_b32_e64 v80, 0, 1, s[48:49]
	v_cndmask_b32_e64 v82, 0, 1, s[48:49]
	s_andn2_b64 s[46:47], s[46:47], exec
	s_and_b64 s[48:49], s[48:49], exec
	v_lshl_add_u64 v[14:15], v[84:85], 0, v[14:15]
	s_or_b64 s[46:47], s[46:47], s[48:49]
.LBB724_145:                            ;   in Loop: Header=BB724_134 Depth=1
	s_or_b64 exec, exec, s[0:1]
	s_waitcnt lgkmcnt(2)
	ds_bpermute_b32 v84, v24, v14
	s_waitcnt lgkmcnt(2)
	ds_bpermute_b32 v85, v24, v15
	s_waitcnt lgkmcnt(2)
	ds_bpermute_b32 v83, v24, v82
	v_cmp_le_u32_e32 vcc, v25, v81
	s_and_saveexec_b64 s[48:49], vcc
	s_cbranch_execz .LBB724_147
; %bb.146:                              ;   in Loop: Header=BB724_134 Depth=1
	v_cmp_eq_u16_sdwa vcc, v80, v9 src0_sel:BYTE_0 src1_sel:DWORD
	v_and_b32_e32 v80, 1, v80
	s_andn2_b64 s[46:47], s[46:47], exec
	s_waitcnt lgkmcnt(1)
	v_cndmask_b32_e32 v85, 0, v85, vcc
	v_cndmask_b32_e32 v84, 0, v84, vcc
	v_cmp_eq_u32_e32 vcc, 1, v80
	s_waitcnt lgkmcnt(0)
	v_and_b32_e32 v80, 1, v83
	v_cmp_eq_u32_e64 s[0:1], 1, v80
	s_or_b64 s[0:1], vcc, s[0:1]
	v_lshl_add_u64 v[14:15], v[84:85], 0, v[14:15]
	v_cndmask_b32_e64 v80, 0, 1, s[0:1]
	v_cndmask_b32_e64 v82, 0, 1, s[0:1]
	s_and_b64 s[0:1], s[0:1], exec
	s_or_b64 s[46:47], s[46:47], s[0:1]
.LBB724_147:                            ;   in Loop: Header=BB724_134 Depth=1
	s_or_b64 exec, exec, s[48:49]
	s_waitcnt lgkmcnt(2)
	ds_bpermute_b32 v84, v26, v14
	s_waitcnt lgkmcnt(2)
	ds_bpermute_b32 v85, v26, v15
	s_waitcnt lgkmcnt(2)
	ds_bpermute_b32 v83, v26, v82
	v_cmp_le_u32_e32 vcc, v27, v81
	s_and_saveexec_b64 s[48:49], vcc
	s_cbranch_execz .LBB724_149
; %bb.148:                              ;   in Loop: Header=BB724_134 Depth=1
	v_cmp_eq_u16_sdwa vcc, v80, v9 src0_sel:BYTE_0 src1_sel:DWORD
	v_and_b32_e32 v80, 1, v80
	s_andn2_b64 s[46:47], s[46:47], exec
	s_waitcnt lgkmcnt(1)
	v_cndmask_b32_e32 v85, 0, v85, vcc
	v_cndmask_b32_e32 v84, 0, v84, vcc
	v_cmp_eq_u32_e32 vcc, 1, v80
	s_waitcnt lgkmcnt(0)
	v_and_b32_e32 v80, 1, v83
	v_cmp_eq_u32_e64 s[0:1], 1, v80
	s_or_b64 s[0:1], vcc, s[0:1]
	v_lshl_add_u64 v[14:15], v[84:85], 0, v[14:15]
	v_cndmask_b32_e64 v80, 0, 1, s[0:1]
	v_cndmask_b32_e64 v82, 0, 1, s[0:1]
	s_and_b64 s[0:1], s[0:1], exec
	s_or_b64 s[46:47], s[46:47], s[0:1]
.LBB724_149:                            ;   in Loop: Header=BB724_134 Depth=1
	;; [unrolled: 28-line block ×3, first 2 shown]
	s_or_b64 exec, exec, s[48:49]
	s_waitcnt lgkmcnt(0)
	ds_bpermute_b32 v83, v63, v14
	ds_bpermute_b32 v84, v63, v15
	;; [unrolled: 1-line block ×3, first 2 shown]
	v_cmp_le_u32_e32 vcc, v78, v81
	s_and_saveexec_b64 s[48:49], vcc
	s_cbranch_execz .LBB724_133
; %bb.152:                              ;   in Loop: Header=BB724_134 Depth=1
	v_cmp_eq_u16_sdwa vcc, v80, v9 src0_sel:BYTE_0 src1_sel:DWORD
	v_and_b32_e32 v80, 1, v80
	s_andn2_b64 s[46:47], s[46:47], exec
	s_waitcnt lgkmcnt(1)
	v_cndmask_b32_e32 v85, 0, v84, vcc
	v_cndmask_b32_e32 v84, 0, v83, vcc
	v_cmp_eq_u32_e32 vcc, 1, v80
	s_waitcnt lgkmcnt(0)
	v_and_b32_e32 v80, 1, v82
	v_cmp_eq_u32_e64 s[0:1], 1, v80
	s_or_b64 s[0:1], vcc, s[0:1]
	s_and_b64 s[0:1], s[0:1], exec
	v_lshl_add_u64 v[14:15], v[84:85], 0, v[14:15]
	s_or_b64 s[46:47], s[46:47], s[0:1]
	s_branch .LBB724_133
.LBB724_153:                            ;   in Loop: Header=BB724_134 Depth=1
                                        ; implicit-def: $vgpr80
                                        ; implicit-def: $vgpr14_vgpr15
                                        ; implicit-def: $vgpr5
	s_cbranch_execz .LBB724_134
; %bb.154:
	s_and_saveexec_b64 s[0:1], s[28:29]
	s_cbranch_execz .LBB724_156
; %bb.155:
	s_mov_b32 s37, 0
	v_mov_b32_e32 v5, 0
	s_add_i32 s36, s43, 64
	v_cmp_eq_u32_sdwa vcc, v4, v5 src0_sel:BYTE_0 src1_sel:DWORD
	s_lshl_b64 s[46:47], s[36:37], 4
	v_and_b32_e32 v4, 1, v4
	v_cndmask_b32_e32 v9, 0, v13, vcc
	v_cndmask_b32_e32 v8, 0, v12, vcc
	s_add_u32 s46, s38, s46
	v_lshl_add_u64 v[2:3], v[8:9], 0, v[2:3]
	v_and_b32_e32 v8, 1, v62
	v_cmp_eq_u32_e32 vcc, 1, v4
	s_addc_u32 s47, s39, s47
	s_nop 0
	v_cndmask_b32_e64 v4, v8, 1, vcc
	global_store_dword v5, v2, s[46:47] sc1
	global_store_dword v5, v3, s[46:47] offset:4 sc1
	global_store_dword v5, v4, s[46:47] offset:8 sc1
	global_store_dword v5, v5, s[46:47] offset:12 sc1
	v_mov_b32_e32 v2, s36
	v_mov_b32_e32 v3, 2
	s_waitcnt vmcnt(0) lgkmcnt(0)
	global_store_byte v2, v3, s[40:41] sc1
.LBB724_156:
	s_or_b64 exec, exec, s[0:1]
	s_and_b64 exec, exec, s[30:31]
	s_cbranch_execz .LBB724_158
; %bb.157:
	v_mov_b32_e32 v2, 0
	ds_write_b64 v2, v[12:13] offset:48
	ds_write_b8 v2, v62 offset:56
.LBB724_158:
	s_or_b64 exec, exec, s[44:45]
	v_mov_b32_e32 v8, 0
	s_waitcnt lgkmcnt(0)
	s_barrier
	ds_read_b64 v[2:3], v8 offset:48
	v_cndmask_b32_e64 v9, v19, v16, s[28:29]
	v_cmp_eq_u16_sdwa vcc, v9, v8 src0_sel:BYTE_0 src1_sel:DWORD
	v_cndmask_b32_e64 v4, v17, v6, s[28:29]
	v_cndmask_b32_e64 v5, v18, v7, s[28:29]
	s_waitcnt lgkmcnt(0)
	v_cndmask_b32_e32 v7, 0, v3, vcc
	v_cndmask_b32_e32 v6, 0, v2, vcc
	v_lshl_add_u64 v[4:5], v[4:5], 0, v[6:7]
	v_cndmask_b32_e64 v3, v5, v3, s[30:31]
	v_cndmask_b32_e64 v2, v4, v2, s[30:31]
	v_cmp_eq_u16_sdwa vcc, v1, v8 src0_sel:BYTE_0 src1_sel:DWORD
	s_nop 1
	v_cndmask_b32_e32 v5, 0, v3, vcc
	v_cndmask_b32_e32 v4, 0, v2, vcc
	v_lshl_add_u64 v[4:5], v[4:5], 0, v[46:47]
	v_cndmask_b32_e64 v7, 0, v5, s[4:5]
	v_cndmask_b32_e64 v6, 0, v4, s[4:5]
	v_lshl_add_u64 v[6:7], v[6:7], 0, v[48:49]
	v_cndmask_b32_e64 v9, 0, v7, s[6:7]
	v_cndmask_b32_e64 v8, 0, v6, s[6:7]
	;; [unrolled: 3-line block ×12, first 2 shown]
	s_branch .LBB724_199
.LBB724_159:
	s_or_b64 exec, exec, s[0:1]
                                        ; implicit-def: $vgpr32_vgpr33
	s_and_saveexec_b64 s[0:1], s[4:5]
	s_cbranch_execz .LBB724_37
.LBB724_160:
	v_mov_b32_e32 v31, 0
	v_lshl_add_u64 v[32:33], v[60:61], 0, v[30:31]
	flat_load_dwordx2 v[32:33], v[32:33] offset:2048
	s_or_b64 exec, exec, s[0:1]
                                        ; implicit-def: $vgpr34_vgpr35
	s_and_saveexec_b64 s[0:1], s[6:7]
	s_cbranch_execnz .LBB724_38
.LBB724_161:
	s_or_b64 exec, exec, s[0:1]
                                        ; implicit-def: $vgpr36_vgpr37
	s_and_saveexec_b64 s[0:1], s[8:9]
	s_cbranch_execz .LBB724_39
.LBB724_162:
	v_lshlrev_b32_e32 v36, 3, v38
	v_mov_b32_e32 v37, 0
	v_lshl_add_u64 v[36:37], v[60:61], 0, v[36:37]
	flat_load_dwordx2 v[36:37], v[36:37]
	s_or_b64 exec, exec, s[0:1]
                                        ; implicit-def: $vgpr38_vgpr39
	s_and_saveexec_b64 s[0:1], s[10:11]
	s_cbranch_execnz .LBB724_40
.LBB724_163:
	s_or_b64 exec, exec, s[0:1]
                                        ; implicit-def: $vgpr40_vgpr41
	s_and_saveexec_b64 s[0:1], s[12:13]
	s_cbranch_execz .LBB724_41
.LBB724_164:
	v_lshlrev_b32_e32 v40, 3, v42
	v_mov_b32_e32 v41, 0
	v_lshl_add_u64 v[40:41], v[60:61], 0, v[40:41]
	flat_load_dwordx2 v[40:41], v[40:41]
	s_or_b64 exec, exec, s[0:1]
                                        ; implicit-def: $vgpr42_vgpr43
	s_and_saveexec_b64 s[0:1], s[14:15]
	s_cbranch_execnz .LBB724_42
.LBB724_165:
	s_or_b64 exec, exec, s[0:1]
                                        ; implicit-def: $vgpr44_vgpr45
	s_and_saveexec_b64 s[0:1], s[16:17]
	s_cbranch_execz .LBB724_43
.LBB724_166:
	v_lshlrev_b32_e32 v44, 3, v46
	v_mov_b32_e32 v45, 0
	v_lshl_add_u64 v[44:45], v[60:61], 0, v[44:45]
	flat_load_dwordx2 v[44:45], v[44:45]
	s_or_b64 exec, exec, s[0:1]
                                        ; implicit-def: $vgpr46_vgpr47
	s_and_saveexec_b64 s[0:1], s[18:19]
	s_cbranch_execnz .LBB724_44
.LBB724_167:
	s_or_b64 exec, exec, s[0:1]
                                        ; implicit-def: $vgpr48_vgpr49
	s_and_saveexec_b64 s[0:1], s[20:21]
	s_cbranch_execz .LBB724_45
.LBB724_168:
	v_lshlrev_b32_e32 v48, 3, v50
	v_mov_b32_e32 v49, 0
	v_lshl_add_u64 v[48:49], v[60:61], 0, v[48:49]
	flat_load_dwordx2 v[48:49], v[48:49]
	s_or_b64 exec, exec, s[0:1]
                                        ; implicit-def: $vgpr50_vgpr51
	s_and_saveexec_b64 s[0:1], s[22:23]
	s_cbranch_execnz .LBB724_46
.LBB724_169:
	s_or_b64 exec, exec, s[0:1]
                                        ; implicit-def: $vgpr54_vgpr55
	s_and_saveexec_b64 s[0:1], s[24:25]
	s_cbranch_execz .LBB724_47
.LBB724_170:
	v_lshlrev_b32_e32 v54, 3, v56
	v_mov_b32_e32 v55, 0
	v_lshl_add_u64 v[54:55], v[60:61], 0, v[54:55]
	flat_load_dwordx2 v[54:55], v[54:55]
	s_or_b64 exec, exec, s[0:1]
                                        ; implicit-def: $vgpr56_vgpr57
	s_and_saveexec_b64 s[0:1], s[26:27]
	s_cbranch_execz .LBB724_49
	s_branch .LBB724_48
.LBB724_171:
                                        ; implicit-def: $vgpr2_vgpr3
                                        ; implicit-def: $vgpr62_vgpr63
                                        ; implicit-def: $vgpr26_vgpr27
                                        ; implicit-def: $vgpr24_vgpr25
                                        ; implicit-def: $vgpr20_vgpr21
                                        ; implicit-def: $vgpr16_vgpr17
                                        ; implicit-def: $vgpr12_vgpr13
                                        ; implicit-def: $vgpr8_vgpr9
	s_cbranch_execz .LBB724_199
; %bb.172:
	s_cmp_lg_u64 s[58:59], 0
	s_cselect_b32 s1, s55, 0
	s_cselect_b32 s0, s54, 0
	s_cmp_eq_u64 s[0:1], 0
	v_mov_b64_e32 v[60:61], s[56:57]
	s_cbranch_scc1 .LBB724_174
; %bb.173:
	v_mov_b32_e32 v2, 0
	global_load_dwordx2 v[60:61], v2, s[0:1]
.LBB724_174:
	v_mov_b32_e32 v4, 0
	v_cmp_eq_u16_sdwa vcc, v64, v4 src0_sel:BYTE_0 src1_sel:DWORD
	v_cmp_eq_u16_sdwa s[4:5], v65, v4 src0_sel:BYTE_0 src1_sel:DWORD
	v_cmp_eq_u16_sdwa s[6:7], v67, v4 src0_sel:BYTE_0 src1_sel:DWORD
	v_cndmask_b32_e32 v3, 0, v47, vcc
	v_cndmask_b32_e32 v2, 0, v46, vcc
	v_lshl_add_u64 v[2:3], v[2:3], 0, v[48:49]
	v_cndmask_b32_e64 v3, 0, v3, s[4:5]
	v_cndmask_b32_e64 v2, 0, v2, s[4:5]
	v_lshl_add_u64 v[2:3], v[2:3], 0, v[50:51]
	v_cndmask_b32_e64 v3, 0, v3, s[6:7]
	v_cndmask_b32_e64 v2, 0, v2, s[6:7]
	v_lshl_add_u64 v[2:3], v[2:3], 0, v[42:43]
	v_cmp_eq_u16_sdwa s[8:9], v68, v4 src0_sel:BYTE_0 src1_sel:DWORD
	v_cmp_eq_u16_sdwa s[10:11], v69, v4 src0_sel:BYTE_0 src1_sel:DWORD
	;; [unrolled: 1-line block ×3, first 2 shown]
	v_cndmask_b32_e64 v3, 0, v3, s[8:9]
	v_cndmask_b32_e64 v2, 0, v2, s[8:9]
	v_lshl_add_u64 v[2:3], v[2:3], 0, v[44:45]
	v_cndmask_b32_e64 v3, 0, v3, s[10:11]
	v_cndmask_b32_e64 v2, 0, v2, s[10:11]
	v_lshl_add_u64 v[2:3], v[2:3], 0, v[38:39]
	;; [unrolled: 3-line block ×3, first 2 shown]
	v_cmp_eq_u16_sdwa s[14:15], v71, v4 src0_sel:BYTE_0 src1_sel:DWORD
	v_cmp_eq_u16_sdwa s[16:17], v72, v4 src0_sel:BYTE_0 src1_sel:DWORD
	v_cmp_eq_u16_sdwa s[18:19], v73, v4 src0_sel:BYTE_0 src1_sel:DWORD
	v_cndmask_b32_e64 v3, 0, v3, s[14:15]
	v_cndmask_b32_e64 v2, 0, v2, s[14:15]
	v_lshl_add_u64 v[2:3], v[2:3], 0, v[34:35]
	v_cndmask_b32_e64 v3, 0, v3, s[16:17]
	v_cndmask_b32_e64 v2, 0, v2, s[16:17]
	v_cmp_eq_u16_sdwa s[20:21], v74, v4 src0_sel:BYTE_0 src1_sel:DWORD
	v_cmp_eq_u16_sdwa s[22:23], v75, v4 src0_sel:BYTE_0 src1_sel:DWORD
	;; [unrolled: 1-line block ×4, first 2 shown]
	v_or_b32_e32 v4, v77, v74
	v_lshl_add_u64 v[2:3], v[2:3], 0, v[36:37]
	v_or_b32_e32 v4, v4, v73
	v_cndmask_b32_e64 v3, 0, v3, s[18:19]
	v_cndmask_b32_e64 v2, 0, v2, s[18:19]
	v_or_b32_e32 v4, v4, v72
	v_lshl_add_u64 v[2:3], v[2:3], 0, v[54:55]
	v_or_b32_e32 v4, v4, v71
	v_cndmask_b32_e64 v3, 0, v3, s[20:21]
	v_cndmask_b32_e64 v2, 0, v2, s[20:21]
	;; [unrolled: 5-line block ×5, first 2 shown]
	v_or_b32_e32 v4, v4, v1
	v_mbcnt_hi_u32_b32 v6, -1, v76
	v_lshl_add_u64 v[2:3], v[2:3], 0, v[28:29]
	v_and_b32_e32 v7, 1, v4
	v_and_b32_e32 v5, 15, v6
	v_cmp_eq_u32_e64 s[0:1], 1, v7
	v_mov_b32_dpp v9, v2 row_shr:1 row_mask:0xf bank_mask:0xf
	v_mov_b32_dpp v10, v3 row_shr:1 row_mask:0xf bank_mask:0xf
	;; [unrolled: 1-line block ×3, first 2 shown]
	v_cmp_ne_u32_e64 s[26:27], 0, v5
	v_mov_b32_e32 v4, v7
	s_and_saveexec_b64 s[28:29], s[26:27]
; %bb.175:
	v_and_b32_e32 v4, 1, v8
	v_cndmask_b32_e64 v11, v10, 0, s[0:1]
	v_cndmask_b32_e64 v10, v9, 0, s[0:1]
	v_or_b32_e32 v7, v4, v7
	v_lshl_add_u64 v[2:3], v[10:11], 0, v[2:3]
	v_and_b32_e32 v4, 0xffff, v7
; %bb.176:
	s_or_b64 exec, exec, s[28:29]
	v_mov_b32_dpp v9, v2 row_shr:2 row_mask:0xf bank_mask:0xf
	v_mov_b32_dpp v10, v3 row_shr:2 row_mask:0xf bank_mask:0xf
	;; [unrolled: 1-line block ×3, first 2 shown]
	v_cmp_lt_u32_e64 s[0:1], 1, v5
	s_and_saveexec_b64 s[28:29], s[0:1]
; %bb.177:
	v_cmp_eq_u16_e64 s[0:1], 0, v7
	v_and_b32_e32 v4, 1, v7
	s_nop 0
	v_cndmask_b32_e64 v11, 0, v10, s[0:1]
	v_cndmask_b32_e64 v10, 0, v9, s[0:1]
	v_cmp_eq_u32_e64 s[0:1], 1, v4
	v_and_b32_e32 v4, 1, v8
	v_cmp_eq_u32_e64 s[26:27], 1, v4
	s_or_b64 s[0:1], s[0:1], s[26:27]
	v_lshl_add_u64 v[2:3], v[10:11], 0, v[2:3]
	v_cndmask_b32_e64 v7, 0, 1, s[0:1]
	v_cndmask_b32_e64 v4, 0, 1, s[0:1]
; %bb.178:
	s_or_b64 exec, exec, s[28:29]
	v_mov_b32_dpp v9, v2 row_shr:4 row_mask:0xf bank_mask:0xf
	v_mov_b32_dpp v10, v3 row_shr:4 row_mask:0xf bank_mask:0xf
	;; [unrolled: 1-line block ×3, first 2 shown]
	v_cmp_lt_u32_e64 s[0:1], 3, v5
	s_and_saveexec_b64 s[28:29], s[0:1]
; %bb.179:
	v_cmp_eq_u16_e64 s[0:1], 0, v7
	v_and_b32_e32 v4, 1, v7
	s_nop 0
	v_cndmask_b32_e64 v11, 0, v10, s[0:1]
	v_cndmask_b32_e64 v10, 0, v9, s[0:1]
	v_cmp_eq_u32_e64 s[0:1], 1, v4
	v_and_b32_e32 v4, 1, v8
	v_cmp_eq_u32_e64 s[26:27], 1, v4
	s_or_b64 s[0:1], s[0:1], s[26:27]
	v_lshl_add_u64 v[2:3], v[10:11], 0, v[2:3]
	v_cndmask_b32_e64 v7, 0, 1, s[0:1]
	v_cndmask_b32_e64 v4, 0, 1, s[0:1]
; %bb.180:
	s_or_b64 exec, exec, s[28:29]
	v_mov_b32_dpp v9, v2 row_shr:8 row_mask:0xf bank_mask:0xf
	v_mov_b32_dpp v10, v3 row_shr:8 row_mask:0xf bank_mask:0xf
	;; [unrolled: 1-line block ×3, first 2 shown]
	v_cmp_lt_u32_e64 s[0:1], 7, v5
	s_and_saveexec_b64 s[28:29], s[0:1]
; %bb.181:
	v_cmp_eq_u16_e64 s[0:1], 0, v7
	s_nop 1
	v_cndmask_b32_e64 v5, 0, v10, s[0:1]
	v_cndmask_b32_e64 v4, 0, v9, s[0:1]
	v_lshl_add_u64 v[2:3], v[4:5], 0, v[2:3]
	v_and_b32_e32 v4, 1, v7
	v_cmp_eq_u32_e64 s[0:1], 1, v4
	v_and_b32_e32 v4, 1, v8
	v_cmp_eq_u32_e64 s[26:27], 1, v4
	s_or_b64 s[0:1], s[0:1], s[26:27]
	v_cndmask_b32_e64 v7, 0, 1, s[0:1]
	v_cndmask_b32_e64 v4, 0, 1, s[0:1]
; %bb.182:
	s_or_b64 exec, exec, s[28:29]
	v_and_b32_e32 v10, 16, v6
	v_mov_b32_dpp v8, v2 row_bcast:15 row_mask:0xf bank_mask:0xf
	v_mov_b32_dpp v9, v3 row_bcast:15 row_mask:0xf bank_mask:0xf
	;; [unrolled: 1-line block ×3, first 2 shown]
	v_cmp_ne_u32_e64 s[0:1], 0, v10
	s_and_saveexec_b64 s[28:29], s[0:1]
; %bb.183:
	v_cmp_eq_u16_e64 s[0:1], 0, v7
	v_and_b32_e32 v4, 1, v7
	s_nop 0
	v_cndmask_b32_e64 v9, 0, v9, s[0:1]
	v_cndmask_b32_e64 v8, 0, v8, s[0:1]
	v_cmp_eq_u32_e64 s[0:1], 1, v4
	v_and_b32_e32 v4, 1, v5
	v_cmp_eq_u32_e64 s[26:27], 1, v4
	s_or_b64 s[0:1], s[0:1], s[26:27]
	v_lshl_add_u64 v[2:3], v[8:9], 0, v[2:3]
	v_cndmask_b32_e64 v7, 0, 1, s[0:1]
	v_cndmask_b32_e64 v4, 0, 1, s[0:1]
; %bb.184:
	s_or_b64 exec, exec, s[28:29]
	v_mov_b32_dpp v5, v2 row_bcast:31 row_mask:0xf bank_mask:0xf
	v_mov_b32_dpp v8, v3 row_bcast:31 row_mask:0xf bank_mask:0xf
	;; [unrolled: 1-line block ×3, first 2 shown]
	v_cmp_lt_u32_e64 s[0:1], 31, v6
	s_and_saveexec_b64 s[28:29], s[0:1]
; %bb.185:
	v_cmp_eq_u16_e64 s[0:1], 0, v7
	v_and_b32_e32 v4, 1, v4
	v_cmp_eq_u32_e64 s[26:27], 1, v4
	v_cndmask_b32_e64 v9, 0, v8, s[0:1]
	v_cndmask_b32_e64 v8, 0, v5, s[0:1]
	v_and_b32_e32 v5, 1, v7
	v_cmp_eq_u32_e64 s[0:1], 1, v5
	s_or_b64 s[0:1], s[0:1], s[26:27]
	v_lshl_add_u64 v[2:3], v[8:9], 0, v[2:3]
	v_cndmask_b32_e64 v7, 0, 1, s[0:1]
; %bb.186:
	s_or_b64 exec, exec, s[28:29]
	v_or_b32_e32 v4, 63, v0
	v_lshrrev_b32_e32 v8, 6, v0
	v_cmp_eq_u32_e64 s[0:1], v4, v0
	s_and_saveexec_b64 s[26:27], s[0:1]
	s_cbranch_execz .LBB724_188
; %bb.187:
	v_lshlrev_b32_e32 v4, 4, v8
	ds_write_b64 v4, v[2:3]
	ds_write_b8 v4, v7 offset:8
.LBB724_188:
	s_or_b64 exec, exec, s[26:27]
	v_cmp_gt_u32_e64 s[0:1], 4, v0
	s_waitcnt lgkmcnt(0)
	s_barrier
	s_and_saveexec_b64 s[28:29], s[0:1]
	s_cbranch_execz .LBB724_194
; %bb.189:
	v_lshlrev_b32_e32 v9, 4, v0
	ds_read_b64 v[4:5], v9
	ds_read_b32 v10, v9 offset:8
	v_and_b32_e32 v11, 3, v6
	v_cmp_ne_u32_e64 s[0:1], 0, v11
	s_waitcnt lgkmcnt(1)
	v_mov_b32_dpp v15, v4 row_shr:1 row_mask:0xf bank_mask:0xf
	v_mov_b32_dpp v16, v5 row_shr:1 row_mask:0xf bank_mask:0xf
	s_waitcnt lgkmcnt(0)
	v_mov_b32_dpp v14, v10 row_shr:1 row_mask:0xf bank_mask:0xf
	v_mov_b32_e32 v12, v10
	v_mov_b32_e32 v13, v10
	s_and_saveexec_b64 s[26:27], s[0:1]
; %bb.190:
	v_mov_b32_e32 v12, 0
	v_cmp_eq_u16_sdwa s[0:1], v10, v12 src0_sel:BYTE_0 src1_sel:DWORD
	s_nop 1
	v_cndmask_b32_e64 v13, 0, v16, s[0:1]
	v_cndmask_b32_e64 v12, 0, v15, s[0:1]
	v_lshl_add_u64 v[4:5], v[12:13], 0, v[4:5]
	v_or_b32_e32 v13, v14, v10
	v_and_b32_e32 v12, 1, v13
	v_and_b32_e32 v13, 1, v13
	s_movk_i32 s0, 0xff00
	v_and_or_b32 v10, v10, s0, v13
; %bb.191:
	s_or_b64 exec, exec, s[26:27]
	v_mov_b32_dpp v14, v4 row_shr:2 row_mask:0xf bank_mask:0xf
	v_mov_b32_dpp v15, v5 row_shr:2 row_mask:0xf bank_mask:0xf
	;; [unrolled: 1-line block ×3, first 2 shown]
	v_cmp_lt_u32_e64 s[0:1], 1, v11
	s_and_saveexec_b64 s[36:37], s[0:1]
; %bb.192:
	v_mov_b32_e32 v11, 0
	v_cmp_eq_u16_sdwa s[0:1], v13, v11 src0_sel:BYTE_0 src1_sel:DWORD
	v_and_b32_e32 v11, 1, v13
	v_and_b32_e32 v10, 1, v10
	v_cndmask_b32_e64 v15, 0, v15, s[0:1]
	v_cndmask_b32_e64 v14, 0, v14, s[0:1]
	v_cmp_eq_u32_e64 s[0:1], 1, v11
	v_cmp_eq_u32_e64 s[26:27], 1, v10
	s_or_b64 s[0:1], s[0:1], s[26:27]
	v_lshl_add_u64 v[4:5], v[14:15], 0, v[4:5]
	v_cndmask_b32_e64 v12, 0, 1, s[0:1]
; %bb.193:
	s_or_b64 exec, exec, s[36:37]
	ds_write_b64 v9, v[4:5]
	ds_write_b8 v9, v12 offset:8
.LBB724_194:
	s_or_b64 exec, exec, s[28:29]
	v_cmp_lt_u32_e64 s[0:1], 63, v0
	s_waitcnt vmcnt(0)
	v_mov_b64_e32 v[4:5], v[60:61]
	s_waitcnt lgkmcnt(0)
	s_barrier
	s_and_saveexec_b64 s[26:27], s[0:1]
	s_cbranch_execz .LBB724_196
; %bb.195:
	v_lshl_add_u32 v4, v8, 4, -16
	ds_read_u8 v8, v4 offset:8
	ds_read_b64 v[4:5], v4
	s_waitcnt lgkmcnt(1)
	v_cmp_eq_u16_e64 s[0:1], 0, v8
	s_nop 1
	v_cndmask_b32_e64 v9, 0, v61, s[0:1]
	v_cndmask_b32_e64 v8, 0, v60, s[0:1]
	s_waitcnt lgkmcnt(0)
	v_lshl_add_u64 v[4:5], v[8:9], 0, v[4:5]
.LBB724_196:
	s_or_b64 exec, exec, s[26:27]
	v_cmp_eq_u16_e64 s[0:1], 0, v7
	v_add_u32_e32 v7, -1, v6
	v_mov_b32_e32 v28, 0
	v_cndmask_b32_e64 v9, 0, v5, s[0:1]
	v_cndmask_b32_e64 v8, 0, v4, s[0:1]
	v_lshl_add_u64 v[2:3], v[8:9], 0, v[2:3]
	v_and_b32_e32 v8, 64, v6
	v_cmp_lt_i32_e64 s[0:1], v7, v8
	s_nop 1
	v_cndmask_b32_e64 v7, v7, v6, s[0:1]
	v_lshlrev_b32_e32 v7, 2, v7
	ds_bpermute_b32 v3, v7, v3
	ds_bpermute_b32 v2, v7, v2
	v_cmp_eq_u32_e64 s[0:1], 0, v6
	s_waitcnt lgkmcnt(1)
	s_nop 0
	v_cndmask_b32_e64 v3, v3, v5, s[0:1]
	s_waitcnt lgkmcnt(0)
	v_cndmask_b32_e64 v2, v2, v4, s[0:1]
	v_cndmask_b32_e64 v4, v2, v60, s[30:31]
	v_cndmask_b32_e64 v5, v3, v61, s[30:31]
	v_cmp_eq_u16_sdwa s[0:1], v1, v28 src0_sel:BYTE_0 src1_sel:DWORD
	s_nop 1
	v_cndmask_b32_e64 v5, 0, v5, s[0:1]
	v_cndmask_b32_e64 v4, 0, v4, s[0:1]
	v_lshl_add_u64 v[4:5], v[4:5], 0, v[46:47]
	v_cndmask_b32_e32 v7, 0, v5, vcc
	v_cndmask_b32_e32 v6, 0, v4, vcc
	v_lshl_add_u64 v[6:7], v[6:7], 0, v[48:49]
	v_cndmask_b32_e64 v9, 0, v7, s[4:5]
	v_cndmask_b32_e64 v8, 0, v6, s[4:5]
	v_lshl_add_u64 v[8:9], v[8:9], 0, v[50:51]
	v_cndmask_b32_e64 v11, 0, v9, s[6:7]
	v_cndmask_b32_e64 v10, 0, v8, s[6:7]
	v_lshl_add_u64 v[10:11], v[10:11], 0, v[42:43]
	v_cndmask_b32_e64 v13, 0, v11, s[8:9]
	v_cndmask_b32_e64 v12, 0, v10, s[8:9]
	v_lshl_add_u64 v[12:13], v[12:13], 0, v[44:45]
	v_cndmask_b32_e64 v15, 0, v13, s[10:11]
	v_cndmask_b32_e64 v14, 0, v12, s[10:11]
	v_lshl_add_u64 v[14:15], v[14:15], 0, v[38:39]
	v_cndmask_b32_e64 v17, 0, v15, s[12:13]
	v_cndmask_b32_e64 v16, 0, v14, s[12:13]
	v_lshl_add_u64 v[16:17], v[16:17], 0, v[40:41]
	v_cndmask_b32_e64 v19, 0, v17, s[14:15]
	v_cndmask_b32_e64 v18, 0, v16, s[14:15]
	v_lshl_add_u64 v[18:19], v[18:19], 0, v[34:35]
	v_cndmask_b32_e64 v21, 0, v19, s[16:17]
	v_cndmask_b32_e64 v20, 0, v18, s[16:17]
	v_lshl_add_u64 v[20:21], v[20:21], 0, v[36:37]
	v_cndmask_b32_e64 v23, 0, v21, s[18:19]
	v_cndmask_b32_e64 v22, 0, v20, s[18:19]
	v_lshl_add_u64 v[22:23], v[22:23], 0, v[54:55]
	v_cndmask_b32_e64 v25, 0, v23, s[20:21]
	v_cndmask_b32_e64 v24, 0, v22, s[20:21]
	v_lshl_add_u64 v[24:25], v[24:25], 0, v[32:33]
	v_cndmask_b32_e64 v27, 0, v25, s[22:23]
	v_cndmask_b32_e64 v26, 0, v24, s[22:23]
	v_lshl_add_u64 v[26:27], v[26:27], 0, v[56:57]
	v_cndmask_b32_e64 v63, 0, v27, s[24:25]
	v_cndmask_b32_e64 v62, 0, v26, s[24:25]
	s_and_saveexec_b64 s[0:1], s[30:31]
	s_cbranch_execz .LBB724_198
; %bb.197:
	ds_read_u8 v1, v28 offset:56
	ds_read_b64 v[2:3], v28 offset:48
	s_waitcnt lgkmcnt(1)
	v_cmp_eq_u32_e32 vcc, 0, v1
	s_nop 1
	v_cndmask_b32_e32 v33, 0, v61, vcc
	v_cndmask_b32_e32 v32, 0, v60, vcc
	s_waitcnt lgkmcnt(0)
	v_lshl_add_u64 v[2:3], v[32:33], 0, v[2:3]
	global_store_dword v28, v2, s[38:39] offset:1024 sc1
	global_store_dword v28, v3, s[38:39] offset:1028 sc1
	;; [unrolled: 1-line block ×4, first 2 shown]
	v_mov_b32_e32 v1, 2
	v_mov_b64_e32 v[2:3], v[60:61]
	s_waitcnt vmcnt(0)
	global_store_byte v28, v1, s[40:41] offset:64 sc1
.LBB724_198:
	s_or_b64 exec, exec, s[0:1]
.LBB724_199:
	s_add_u32 s0, s50, s34
	s_addc_u32 s1, s51, s35
	v_mul_u32_u24_e32 v1, 14, v0
	v_lshl_add_u64 v[28:29], v[62:63], 0, v[30:31]
	v_lshl_add_u64 v[56:57], s[0:1], 0, v[52:53]
	s_and_b64 vcc, exec, s[2:3]
	v_lshlrev_b32_e32 v62, 3, v1
	s_cbranch_vccz .LBB724_227
; %bb.200:
	s_movk_i32 s0, 0xff98
	v_mad_i32_i24 v1, v0, s0, v62
	s_barrier
	ds_write_b128 v62, v[2:5]
	ds_write_b128 v62, v[6:9] offset:16
	ds_write_b128 v62, v[10:13] offset:32
	;; [unrolled: 1-line block ×6, first 2 shown]
	s_waitcnt lgkmcnt(0)
	s_barrier
	ds_read2st64_b64 v[52:55], v1 offset0:4 offset1:8
	ds_read2st64_b64 v[48:51], v1 offset0:12 offset1:16
	;; [unrolled: 1-line block ×6, first 2 shown]
	ds_read_b64 v[30:31], v1 offset:26624
	s_add_i32 s33, s33, s42
	v_mov_b32_e32 v59, 0
	v_lshl_add_u64 v[60:61], v[56:57], 0, v[58:59]
	v_cmp_gt_u32_e32 vcc, s33, v0
	s_and_saveexec_b64 s[0:1], vcc
	s_cbranch_execz .LBB724_202
; %bb.201:
	v_mul_i32_i24_e32 v1, 0xffffff98, v0
	v_add_u32_e32 v1, v62, v1
	ds_read_b64 v[64:65], v1
	s_waitcnt lgkmcnt(0)
	flat_store_dwordx2 v[60:61], v[64:65]
.LBB724_202:
	s_or_b64 exec, exec, s[0:1]
	v_or_b32_e32 v1, 0x100, v0
	v_cmp_gt_u32_e32 vcc, s33, v1
	s_and_saveexec_b64 s[0:1], vcc
	s_cbranch_execz .LBB724_204
; %bb.203:
	s_waitcnt lgkmcnt(0)
	flat_store_dwordx2 v[60:61], v[52:53] offset:2048
.LBB724_204:
	s_or_b64 exec, exec, s[0:1]
	v_or_b32_e32 v1, 0x200, v0
	v_cmp_gt_u32_e32 vcc, s33, v1
	s_and_saveexec_b64 s[0:1], vcc
	s_cbranch_execz .LBB724_206
; %bb.205:
	s_waitcnt lgkmcnt(0)
	v_add_co_u32_e32 v52, vcc, 0x1000, v60
	s_nop 1
	v_addc_co_u32_e32 v53, vcc, 0, v61, vcc
	flat_store_dwordx2 v[52:53], v[54:55]
.LBB724_206:
	s_or_b64 exec, exec, s[0:1]
	v_or_b32_e32 v1, 0x300, v0
	v_cmp_gt_u32_e32 vcc, s33, v1
	s_and_saveexec_b64 s[0:1], vcc
	s_cbranch_execz .LBB724_208
; %bb.207:
	s_waitcnt lgkmcnt(0)
	v_add_co_u32_e32 v52, vcc, 0x1000, v60
	s_nop 1
	v_addc_co_u32_e32 v53, vcc, 0, v61, vcc
	flat_store_dwordx2 v[52:53], v[48:49] offset:2048
.LBB724_208:
	s_or_b64 exec, exec, s[0:1]
	v_or_b32_e32 v1, 0x400, v0
	v_cmp_gt_u32_e32 vcc, s33, v1
	s_and_saveexec_b64 s[0:1], vcc
	s_cbranch_execz .LBB724_210
; %bb.209:
	s_waitcnt lgkmcnt(0)
	v_add_co_u32_e32 v48, vcc, 0x2000, v60
	s_nop 1
	v_addc_co_u32_e32 v49, vcc, 0, v61, vcc
	flat_store_dwordx2 v[48:49], v[50:51]
.LBB724_210:
	s_or_b64 exec, exec, s[0:1]
	v_or_b32_e32 v1, 0x500, v0
	v_cmp_gt_u32_e32 vcc, s33, v1
	s_and_saveexec_b64 s[0:1], vcc
	s_cbranch_execz .LBB724_212
; %bb.211:
	s_waitcnt lgkmcnt(0)
	v_add_co_u32_e32 v48, vcc, 0x2000, v60
	s_nop 1
	v_addc_co_u32_e32 v49, vcc, 0, v61, vcc
	flat_store_dwordx2 v[48:49], v[44:45] offset:2048
.LBB724_212:
	;; [unrolled: 24-line block ×5, first 2 shown]
	s_or_b64 exec, exec, s[0:1]
	v_or_b32_e32 v1, 0xc00, v0
	v_cmp_gt_u32_e32 vcc, s33, v1
	s_and_saveexec_b64 s[0:1], vcc
	s_cbranch_execz .LBB724_226
; %bb.225:
	s_waitcnt lgkmcnt(0)
	v_add_co_u32_e32 v32, vcc, 0x6000, v60
	s_nop 1
	v_addc_co_u32_e32 v33, vcc, 0, v61, vcc
	flat_store_dwordx2 v[32:33], v[34:35]
.LBB724_226:
	s_or_b64 exec, exec, s[0:1]
	s_waitcnt lgkmcnt(0)
	v_or_b32_e32 v32, 0xd00, v0
	v_mov_b32_e32 v1, v59
	v_cmp_gt_u32_e64 s[0:1], s33, v32
	s_branch .LBB724_229
.LBB724_227:
	s_mov_b64 s[0:1], 0
                                        ; implicit-def: $vgpr30_vgpr31
	s_cbranch_execz .LBB724_229
; %bb.228:
	v_mov_b32_e32 v1, 0
	s_movk_i32 s2, 0xff98
	s_barrier
	ds_write_b128 v62, v[2:5]
	ds_write_b128 v62, v[6:9] offset:16
	ds_write_b128 v62, v[10:13] offset:32
	;; [unrolled: 1-line block ×6, first 2 shown]
	v_mad_i32_i24 v26, v0, s2, v62
	v_mov_b32_e32 v59, v1
	s_waitcnt lgkmcnt(0)
	s_barrier
	ds_read2st64_b64 v[2:5], v26 offset1:4
	ds_read2st64_b64 v[6:9], v26 offset0:8 offset1:12
	ds_read2st64_b64 v[10:13], v26 offset0:16 offset1:20
	;; [unrolled: 1-line block ×6, first 2 shown]
	v_lshl_add_u64 v[26:27], v[56:57], 0, v[58:59]
	s_movk_i32 s2, 0x1000
	s_waitcnt lgkmcnt(0)
	flat_store_dwordx2 v[26:27], v[2:3]
	flat_store_dwordx2 v[26:27], v[4:5] offset:2048
	v_add_co_u32_e32 v2, vcc, s2, v26
	s_movk_i32 s2, 0x2000
	s_nop 0
	v_addc_co_u32_e32 v3, vcc, 0, v27, vcc
	flat_store_dwordx2 v[2:3], v[6:7]
	flat_store_dwordx2 v[2:3], v[8:9] offset:2048
	v_add_co_u32_e32 v2, vcc, s2, v26
	s_movk_i32 s2, 0x3000
	s_nop 0
	v_addc_co_u32_e32 v3, vcc, 0, v27, vcc
	;; [unrolled: 6-line block ×3, first 2 shown]
	flat_store_dwordx2 v[2:3], v[14:15]
	flat_store_dwordx2 v[2:3], v[16:17] offset:2048
	v_add_co_u32_e32 v2, vcc, s2, v26
	s_or_b64 s[0:1], s[0:1], exec
	s_nop 0
	v_addc_co_u32_e32 v3, vcc, 0, v27, vcc
	flat_store_dwordx2 v[2:3], v[18:19]
	flat_store_dwordx2 v[2:3], v[20:21] offset:2048
	v_add_co_u32_e32 v2, vcc, 0x5000, v26
	s_nop 1
	v_addc_co_u32_e32 v3, vcc, 0, v27, vcc
	flat_store_dwordx2 v[2:3], v[22:23]
	flat_store_dwordx2 v[2:3], v[24:25] offset:2048
	v_add_co_u32_e32 v2, vcc, 0x6000, v26
	s_nop 1
	v_addc_co_u32_e32 v3, vcc, 0, v27, vcc
	flat_store_dwordx2 v[2:3], v[28:29]
.LBB724_229:
	s_and_saveexec_b64 s[2:3], s[0:1]
	s_cbranch_execz .LBB724_231
; %bb.230:
	v_lshl_add_u64 v[0:1], v[0:1], 3, v[56:57]
	v_add_co_u32_e32 v0, vcc, 0x6000, v0
	s_nop 1
	v_addc_co_u32_e32 v1, vcc, 0, v1, vcc
	flat_store_dwordx2 v[0:1], v[30:31] offset:2048
	s_endpgm
.LBB724_231:
	s_endpgm
	.section	.rodata,"a",@progbits
	.p2align	6, 0x0
	.amdhsa_kernel _ZN7rocprim17ROCPRIM_400000_NS6detail17trampoline_kernelINS0_14default_configENS1_27scan_by_key_config_selectorIxxEEZZNS1_16scan_by_key_implILNS1_25lookback_scan_determinismE0ELb1ES3_N6thrust23THRUST_200600_302600_NS6detail15normal_iteratorINS9_10device_ptrIxEEEESE_SE_xNS9_4plusIxEE19head_flag_predicatexEE10hipError_tPvRmT2_T3_T4_T5_mT6_T7_P12ihipStream_tbENKUlT_T0_E_clISt17integral_constantIbLb1EESY_EEDaST_SU_EUlST_E_NS1_11comp_targetILNS1_3genE5ELNS1_11target_archE942ELNS1_3gpuE9ELNS1_3repE0EEENS1_30default_config_static_selectorELNS0_4arch9wavefront6targetE1EEEvT1_
		.amdhsa_group_segment_fixed_size 32768
		.amdhsa_private_segment_fixed_size 0
		.amdhsa_kernarg_size 136
		.amdhsa_user_sgpr_count 2
		.amdhsa_user_sgpr_dispatch_ptr 0
		.amdhsa_user_sgpr_queue_ptr 0
		.amdhsa_user_sgpr_kernarg_segment_ptr 1
		.amdhsa_user_sgpr_dispatch_id 0
		.amdhsa_user_sgpr_kernarg_preload_length 0
		.amdhsa_user_sgpr_kernarg_preload_offset 0
		.amdhsa_user_sgpr_private_segment_size 0
		.amdhsa_uses_dynamic_stack 0
		.amdhsa_enable_private_segment 0
		.amdhsa_system_sgpr_workgroup_id_x 1
		.amdhsa_system_sgpr_workgroup_id_y 0
		.amdhsa_system_sgpr_workgroup_id_z 0
		.amdhsa_system_sgpr_workgroup_info 0
		.amdhsa_system_vgpr_workitem_id 0
		.amdhsa_next_free_vgpr 87
		.amdhsa_next_free_sgpr 60
		.amdhsa_accum_offset 88
		.amdhsa_reserve_vcc 1
		.amdhsa_float_round_mode_32 0
		.amdhsa_float_round_mode_16_64 0
		.amdhsa_float_denorm_mode_32 3
		.amdhsa_float_denorm_mode_16_64 3
		.amdhsa_dx10_clamp 1
		.amdhsa_ieee_mode 1
		.amdhsa_fp16_overflow 0
		.amdhsa_tg_split 0
		.amdhsa_exception_fp_ieee_invalid_op 0
		.amdhsa_exception_fp_denorm_src 0
		.amdhsa_exception_fp_ieee_div_zero 0
		.amdhsa_exception_fp_ieee_overflow 0
		.amdhsa_exception_fp_ieee_underflow 0
		.amdhsa_exception_fp_ieee_inexact 0
		.amdhsa_exception_int_div_zero 0
	.end_amdhsa_kernel
	.section	.text._ZN7rocprim17ROCPRIM_400000_NS6detail17trampoline_kernelINS0_14default_configENS1_27scan_by_key_config_selectorIxxEEZZNS1_16scan_by_key_implILNS1_25lookback_scan_determinismE0ELb1ES3_N6thrust23THRUST_200600_302600_NS6detail15normal_iteratorINS9_10device_ptrIxEEEESE_SE_xNS9_4plusIxEE19head_flag_predicatexEE10hipError_tPvRmT2_T3_T4_T5_mT6_T7_P12ihipStream_tbENKUlT_T0_E_clISt17integral_constantIbLb1EESY_EEDaST_SU_EUlST_E_NS1_11comp_targetILNS1_3genE5ELNS1_11target_archE942ELNS1_3gpuE9ELNS1_3repE0EEENS1_30default_config_static_selectorELNS0_4arch9wavefront6targetE1EEEvT1_,"axG",@progbits,_ZN7rocprim17ROCPRIM_400000_NS6detail17trampoline_kernelINS0_14default_configENS1_27scan_by_key_config_selectorIxxEEZZNS1_16scan_by_key_implILNS1_25lookback_scan_determinismE0ELb1ES3_N6thrust23THRUST_200600_302600_NS6detail15normal_iteratorINS9_10device_ptrIxEEEESE_SE_xNS9_4plusIxEE19head_flag_predicatexEE10hipError_tPvRmT2_T3_T4_T5_mT6_T7_P12ihipStream_tbENKUlT_T0_E_clISt17integral_constantIbLb1EESY_EEDaST_SU_EUlST_E_NS1_11comp_targetILNS1_3genE5ELNS1_11target_archE942ELNS1_3gpuE9ELNS1_3repE0EEENS1_30default_config_static_selectorELNS0_4arch9wavefront6targetE1EEEvT1_,comdat
.Lfunc_end724:
	.size	_ZN7rocprim17ROCPRIM_400000_NS6detail17trampoline_kernelINS0_14default_configENS1_27scan_by_key_config_selectorIxxEEZZNS1_16scan_by_key_implILNS1_25lookback_scan_determinismE0ELb1ES3_N6thrust23THRUST_200600_302600_NS6detail15normal_iteratorINS9_10device_ptrIxEEEESE_SE_xNS9_4plusIxEE19head_flag_predicatexEE10hipError_tPvRmT2_T3_T4_T5_mT6_T7_P12ihipStream_tbENKUlT_T0_E_clISt17integral_constantIbLb1EESY_EEDaST_SU_EUlST_E_NS1_11comp_targetILNS1_3genE5ELNS1_11target_archE942ELNS1_3gpuE9ELNS1_3repE0EEENS1_30default_config_static_selectorELNS0_4arch9wavefront6targetE1EEEvT1_, .Lfunc_end724-_ZN7rocprim17ROCPRIM_400000_NS6detail17trampoline_kernelINS0_14default_configENS1_27scan_by_key_config_selectorIxxEEZZNS1_16scan_by_key_implILNS1_25lookback_scan_determinismE0ELb1ES3_N6thrust23THRUST_200600_302600_NS6detail15normal_iteratorINS9_10device_ptrIxEEEESE_SE_xNS9_4plusIxEE19head_flag_predicatexEE10hipError_tPvRmT2_T3_T4_T5_mT6_T7_P12ihipStream_tbENKUlT_T0_E_clISt17integral_constantIbLb1EESY_EEDaST_SU_EUlST_E_NS1_11comp_targetILNS1_3genE5ELNS1_11target_archE942ELNS1_3gpuE9ELNS1_3repE0EEENS1_30default_config_static_selectorELNS0_4arch9wavefront6targetE1EEEvT1_
                                        ; -- End function
	.section	.AMDGPU.csdata,"",@progbits
; Kernel info:
; codeLenInByte = 12972
; NumSgprs: 66
; NumVgprs: 87
; NumAgprs: 0
; TotalNumVgprs: 87
; ScratchSize: 0
; MemoryBound: 0
; FloatMode: 240
; IeeeMode: 1
; LDSByteSize: 32768 bytes/workgroup (compile time only)
; SGPRBlocks: 8
; VGPRBlocks: 10
; NumSGPRsForWavesPerEU: 66
; NumVGPRsForWavesPerEU: 87
; AccumOffset: 88
; Occupancy: 2
; WaveLimiterHint : 1
; COMPUTE_PGM_RSRC2:SCRATCH_EN: 0
; COMPUTE_PGM_RSRC2:USER_SGPR: 2
; COMPUTE_PGM_RSRC2:TRAP_HANDLER: 0
; COMPUTE_PGM_RSRC2:TGID_X_EN: 1
; COMPUTE_PGM_RSRC2:TGID_Y_EN: 0
; COMPUTE_PGM_RSRC2:TGID_Z_EN: 0
; COMPUTE_PGM_RSRC2:TIDIG_COMP_CNT: 0
; COMPUTE_PGM_RSRC3_GFX90A:ACCUM_OFFSET: 21
; COMPUTE_PGM_RSRC3_GFX90A:TG_SPLIT: 0
	.section	.text._ZN7rocprim17ROCPRIM_400000_NS6detail17trampoline_kernelINS0_14default_configENS1_27scan_by_key_config_selectorIxxEEZZNS1_16scan_by_key_implILNS1_25lookback_scan_determinismE0ELb1ES3_N6thrust23THRUST_200600_302600_NS6detail15normal_iteratorINS9_10device_ptrIxEEEESE_SE_xNS9_4plusIxEE19head_flag_predicatexEE10hipError_tPvRmT2_T3_T4_T5_mT6_T7_P12ihipStream_tbENKUlT_T0_E_clISt17integral_constantIbLb1EESY_EEDaST_SU_EUlST_E_NS1_11comp_targetILNS1_3genE4ELNS1_11target_archE910ELNS1_3gpuE8ELNS1_3repE0EEENS1_30default_config_static_selectorELNS0_4arch9wavefront6targetE1EEEvT1_,"axG",@progbits,_ZN7rocprim17ROCPRIM_400000_NS6detail17trampoline_kernelINS0_14default_configENS1_27scan_by_key_config_selectorIxxEEZZNS1_16scan_by_key_implILNS1_25lookback_scan_determinismE0ELb1ES3_N6thrust23THRUST_200600_302600_NS6detail15normal_iteratorINS9_10device_ptrIxEEEESE_SE_xNS9_4plusIxEE19head_flag_predicatexEE10hipError_tPvRmT2_T3_T4_T5_mT6_T7_P12ihipStream_tbENKUlT_T0_E_clISt17integral_constantIbLb1EESY_EEDaST_SU_EUlST_E_NS1_11comp_targetILNS1_3genE4ELNS1_11target_archE910ELNS1_3gpuE8ELNS1_3repE0EEENS1_30default_config_static_selectorELNS0_4arch9wavefront6targetE1EEEvT1_,comdat
	.protected	_ZN7rocprim17ROCPRIM_400000_NS6detail17trampoline_kernelINS0_14default_configENS1_27scan_by_key_config_selectorIxxEEZZNS1_16scan_by_key_implILNS1_25lookback_scan_determinismE0ELb1ES3_N6thrust23THRUST_200600_302600_NS6detail15normal_iteratorINS9_10device_ptrIxEEEESE_SE_xNS9_4plusIxEE19head_flag_predicatexEE10hipError_tPvRmT2_T3_T4_T5_mT6_T7_P12ihipStream_tbENKUlT_T0_E_clISt17integral_constantIbLb1EESY_EEDaST_SU_EUlST_E_NS1_11comp_targetILNS1_3genE4ELNS1_11target_archE910ELNS1_3gpuE8ELNS1_3repE0EEENS1_30default_config_static_selectorELNS0_4arch9wavefront6targetE1EEEvT1_ ; -- Begin function _ZN7rocprim17ROCPRIM_400000_NS6detail17trampoline_kernelINS0_14default_configENS1_27scan_by_key_config_selectorIxxEEZZNS1_16scan_by_key_implILNS1_25lookback_scan_determinismE0ELb1ES3_N6thrust23THRUST_200600_302600_NS6detail15normal_iteratorINS9_10device_ptrIxEEEESE_SE_xNS9_4plusIxEE19head_flag_predicatexEE10hipError_tPvRmT2_T3_T4_T5_mT6_T7_P12ihipStream_tbENKUlT_T0_E_clISt17integral_constantIbLb1EESY_EEDaST_SU_EUlST_E_NS1_11comp_targetILNS1_3genE4ELNS1_11target_archE910ELNS1_3gpuE8ELNS1_3repE0EEENS1_30default_config_static_selectorELNS0_4arch9wavefront6targetE1EEEvT1_
	.globl	_ZN7rocprim17ROCPRIM_400000_NS6detail17trampoline_kernelINS0_14default_configENS1_27scan_by_key_config_selectorIxxEEZZNS1_16scan_by_key_implILNS1_25lookback_scan_determinismE0ELb1ES3_N6thrust23THRUST_200600_302600_NS6detail15normal_iteratorINS9_10device_ptrIxEEEESE_SE_xNS9_4plusIxEE19head_flag_predicatexEE10hipError_tPvRmT2_T3_T4_T5_mT6_T7_P12ihipStream_tbENKUlT_T0_E_clISt17integral_constantIbLb1EESY_EEDaST_SU_EUlST_E_NS1_11comp_targetILNS1_3genE4ELNS1_11target_archE910ELNS1_3gpuE8ELNS1_3repE0EEENS1_30default_config_static_selectorELNS0_4arch9wavefront6targetE1EEEvT1_
	.p2align	8
	.type	_ZN7rocprim17ROCPRIM_400000_NS6detail17trampoline_kernelINS0_14default_configENS1_27scan_by_key_config_selectorIxxEEZZNS1_16scan_by_key_implILNS1_25lookback_scan_determinismE0ELb1ES3_N6thrust23THRUST_200600_302600_NS6detail15normal_iteratorINS9_10device_ptrIxEEEESE_SE_xNS9_4plusIxEE19head_flag_predicatexEE10hipError_tPvRmT2_T3_T4_T5_mT6_T7_P12ihipStream_tbENKUlT_T0_E_clISt17integral_constantIbLb1EESY_EEDaST_SU_EUlST_E_NS1_11comp_targetILNS1_3genE4ELNS1_11target_archE910ELNS1_3gpuE8ELNS1_3repE0EEENS1_30default_config_static_selectorELNS0_4arch9wavefront6targetE1EEEvT1_,@function
_ZN7rocprim17ROCPRIM_400000_NS6detail17trampoline_kernelINS0_14default_configENS1_27scan_by_key_config_selectorIxxEEZZNS1_16scan_by_key_implILNS1_25lookback_scan_determinismE0ELb1ES3_N6thrust23THRUST_200600_302600_NS6detail15normal_iteratorINS9_10device_ptrIxEEEESE_SE_xNS9_4plusIxEE19head_flag_predicatexEE10hipError_tPvRmT2_T3_T4_T5_mT6_T7_P12ihipStream_tbENKUlT_T0_E_clISt17integral_constantIbLb1EESY_EEDaST_SU_EUlST_E_NS1_11comp_targetILNS1_3genE4ELNS1_11target_archE910ELNS1_3gpuE8ELNS1_3repE0EEENS1_30default_config_static_selectorELNS0_4arch9wavefront6targetE1EEEvT1_: ; @_ZN7rocprim17ROCPRIM_400000_NS6detail17trampoline_kernelINS0_14default_configENS1_27scan_by_key_config_selectorIxxEEZZNS1_16scan_by_key_implILNS1_25lookback_scan_determinismE0ELb1ES3_N6thrust23THRUST_200600_302600_NS6detail15normal_iteratorINS9_10device_ptrIxEEEESE_SE_xNS9_4plusIxEE19head_flag_predicatexEE10hipError_tPvRmT2_T3_T4_T5_mT6_T7_P12ihipStream_tbENKUlT_T0_E_clISt17integral_constantIbLb1EESY_EEDaST_SU_EUlST_E_NS1_11comp_targetILNS1_3genE4ELNS1_11target_archE910ELNS1_3gpuE8ELNS1_3repE0EEENS1_30default_config_static_selectorELNS0_4arch9wavefront6targetE1EEEvT1_
; %bb.0:
	.section	.rodata,"a",@progbits
	.p2align	6, 0x0
	.amdhsa_kernel _ZN7rocprim17ROCPRIM_400000_NS6detail17trampoline_kernelINS0_14default_configENS1_27scan_by_key_config_selectorIxxEEZZNS1_16scan_by_key_implILNS1_25lookback_scan_determinismE0ELb1ES3_N6thrust23THRUST_200600_302600_NS6detail15normal_iteratorINS9_10device_ptrIxEEEESE_SE_xNS9_4plusIxEE19head_flag_predicatexEE10hipError_tPvRmT2_T3_T4_T5_mT6_T7_P12ihipStream_tbENKUlT_T0_E_clISt17integral_constantIbLb1EESY_EEDaST_SU_EUlST_E_NS1_11comp_targetILNS1_3genE4ELNS1_11target_archE910ELNS1_3gpuE8ELNS1_3repE0EEENS1_30default_config_static_selectorELNS0_4arch9wavefront6targetE1EEEvT1_
		.amdhsa_group_segment_fixed_size 0
		.amdhsa_private_segment_fixed_size 0
		.amdhsa_kernarg_size 136
		.amdhsa_user_sgpr_count 2
		.amdhsa_user_sgpr_dispatch_ptr 0
		.amdhsa_user_sgpr_queue_ptr 0
		.amdhsa_user_sgpr_kernarg_segment_ptr 1
		.amdhsa_user_sgpr_dispatch_id 0
		.amdhsa_user_sgpr_kernarg_preload_length 0
		.amdhsa_user_sgpr_kernarg_preload_offset 0
		.amdhsa_user_sgpr_private_segment_size 0
		.amdhsa_uses_dynamic_stack 0
		.amdhsa_enable_private_segment 0
		.amdhsa_system_sgpr_workgroup_id_x 1
		.amdhsa_system_sgpr_workgroup_id_y 0
		.amdhsa_system_sgpr_workgroup_id_z 0
		.amdhsa_system_sgpr_workgroup_info 0
		.amdhsa_system_vgpr_workitem_id 0
		.amdhsa_next_free_vgpr 1
		.amdhsa_next_free_sgpr 0
		.amdhsa_accum_offset 4
		.amdhsa_reserve_vcc 0
		.amdhsa_float_round_mode_32 0
		.amdhsa_float_round_mode_16_64 0
		.amdhsa_float_denorm_mode_32 3
		.amdhsa_float_denorm_mode_16_64 3
		.amdhsa_dx10_clamp 1
		.amdhsa_ieee_mode 1
		.amdhsa_fp16_overflow 0
		.amdhsa_tg_split 0
		.amdhsa_exception_fp_ieee_invalid_op 0
		.amdhsa_exception_fp_denorm_src 0
		.amdhsa_exception_fp_ieee_div_zero 0
		.amdhsa_exception_fp_ieee_overflow 0
		.amdhsa_exception_fp_ieee_underflow 0
		.amdhsa_exception_fp_ieee_inexact 0
		.amdhsa_exception_int_div_zero 0
	.end_amdhsa_kernel
	.section	.text._ZN7rocprim17ROCPRIM_400000_NS6detail17trampoline_kernelINS0_14default_configENS1_27scan_by_key_config_selectorIxxEEZZNS1_16scan_by_key_implILNS1_25lookback_scan_determinismE0ELb1ES3_N6thrust23THRUST_200600_302600_NS6detail15normal_iteratorINS9_10device_ptrIxEEEESE_SE_xNS9_4plusIxEE19head_flag_predicatexEE10hipError_tPvRmT2_T3_T4_T5_mT6_T7_P12ihipStream_tbENKUlT_T0_E_clISt17integral_constantIbLb1EESY_EEDaST_SU_EUlST_E_NS1_11comp_targetILNS1_3genE4ELNS1_11target_archE910ELNS1_3gpuE8ELNS1_3repE0EEENS1_30default_config_static_selectorELNS0_4arch9wavefront6targetE1EEEvT1_,"axG",@progbits,_ZN7rocprim17ROCPRIM_400000_NS6detail17trampoline_kernelINS0_14default_configENS1_27scan_by_key_config_selectorIxxEEZZNS1_16scan_by_key_implILNS1_25lookback_scan_determinismE0ELb1ES3_N6thrust23THRUST_200600_302600_NS6detail15normal_iteratorINS9_10device_ptrIxEEEESE_SE_xNS9_4plusIxEE19head_flag_predicatexEE10hipError_tPvRmT2_T3_T4_T5_mT6_T7_P12ihipStream_tbENKUlT_T0_E_clISt17integral_constantIbLb1EESY_EEDaST_SU_EUlST_E_NS1_11comp_targetILNS1_3genE4ELNS1_11target_archE910ELNS1_3gpuE8ELNS1_3repE0EEENS1_30default_config_static_selectorELNS0_4arch9wavefront6targetE1EEEvT1_,comdat
.Lfunc_end725:
	.size	_ZN7rocprim17ROCPRIM_400000_NS6detail17trampoline_kernelINS0_14default_configENS1_27scan_by_key_config_selectorIxxEEZZNS1_16scan_by_key_implILNS1_25lookback_scan_determinismE0ELb1ES3_N6thrust23THRUST_200600_302600_NS6detail15normal_iteratorINS9_10device_ptrIxEEEESE_SE_xNS9_4plusIxEE19head_flag_predicatexEE10hipError_tPvRmT2_T3_T4_T5_mT6_T7_P12ihipStream_tbENKUlT_T0_E_clISt17integral_constantIbLb1EESY_EEDaST_SU_EUlST_E_NS1_11comp_targetILNS1_3genE4ELNS1_11target_archE910ELNS1_3gpuE8ELNS1_3repE0EEENS1_30default_config_static_selectorELNS0_4arch9wavefront6targetE1EEEvT1_, .Lfunc_end725-_ZN7rocprim17ROCPRIM_400000_NS6detail17trampoline_kernelINS0_14default_configENS1_27scan_by_key_config_selectorIxxEEZZNS1_16scan_by_key_implILNS1_25lookback_scan_determinismE0ELb1ES3_N6thrust23THRUST_200600_302600_NS6detail15normal_iteratorINS9_10device_ptrIxEEEESE_SE_xNS9_4plusIxEE19head_flag_predicatexEE10hipError_tPvRmT2_T3_T4_T5_mT6_T7_P12ihipStream_tbENKUlT_T0_E_clISt17integral_constantIbLb1EESY_EEDaST_SU_EUlST_E_NS1_11comp_targetILNS1_3genE4ELNS1_11target_archE910ELNS1_3gpuE8ELNS1_3repE0EEENS1_30default_config_static_selectorELNS0_4arch9wavefront6targetE1EEEvT1_
                                        ; -- End function
	.section	.AMDGPU.csdata,"",@progbits
; Kernel info:
; codeLenInByte = 0
; NumSgprs: 6
; NumVgprs: 0
; NumAgprs: 0
; TotalNumVgprs: 0
; ScratchSize: 0
; MemoryBound: 0
; FloatMode: 240
; IeeeMode: 1
; LDSByteSize: 0 bytes/workgroup (compile time only)
; SGPRBlocks: 0
; VGPRBlocks: 0
; NumSGPRsForWavesPerEU: 6
; NumVGPRsForWavesPerEU: 1
; AccumOffset: 4
; Occupancy: 8
; WaveLimiterHint : 0
; COMPUTE_PGM_RSRC2:SCRATCH_EN: 0
; COMPUTE_PGM_RSRC2:USER_SGPR: 2
; COMPUTE_PGM_RSRC2:TRAP_HANDLER: 0
; COMPUTE_PGM_RSRC2:TGID_X_EN: 1
; COMPUTE_PGM_RSRC2:TGID_Y_EN: 0
; COMPUTE_PGM_RSRC2:TGID_Z_EN: 0
; COMPUTE_PGM_RSRC2:TIDIG_COMP_CNT: 0
; COMPUTE_PGM_RSRC3_GFX90A:ACCUM_OFFSET: 0
; COMPUTE_PGM_RSRC3_GFX90A:TG_SPLIT: 0
	.section	.text._ZN7rocprim17ROCPRIM_400000_NS6detail17trampoline_kernelINS0_14default_configENS1_27scan_by_key_config_selectorIxxEEZZNS1_16scan_by_key_implILNS1_25lookback_scan_determinismE0ELb1ES3_N6thrust23THRUST_200600_302600_NS6detail15normal_iteratorINS9_10device_ptrIxEEEESE_SE_xNS9_4plusIxEE19head_flag_predicatexEE10hipError_tPvRmT2_T3_T4_T5_mT6_T7_P12ihipStream_tbENKUlT_T0_E_clISt17integral_constantIbLb1EESY_EEDaST_SU_EUlST_E_NS1_11comp_targetILNS1_3genE3ELNS1_11target_archE908ELNS1_3gpuE7ELNS1_3repE0EEENS1_30default_config_static_selectorELNS0_4arch9wavefront6targetE1EEEvT1_,"axG",@progbits,_ZN7rocprim17ROCPRIM_400000_NS6detail17trampoline_kernelINS0_14default_configENS1_27scan_by_key_config_selectorIxxEEZZNS1_16scan_by_key_implILNS1_25lookback_scan_determinismE0ELb1ES3_N6thrust23THRUST_200600_302600_NS6detail15normal_iteratorINS9_10device_ptrIxEEEESE_SE_xNS9_4plusIxEE19head_flag_predicatexEE10hipError_tPvRmT2_T3_T4_T5_mT6_T7_P12ihipStream_tbENKUlT_T0_E_clISt17integral_constantIbLb1EESY_EEDaST_SU_EUlST_E_NS1_11comp_targetILNS1_3genE3ELNS1_11target_archE908ELNS1_3gpuE7ELNS1_3repE0EEENS1_30default_config_static_selectorELNS0_4arch9wavefront6targetE1EEEvT1_,comdat
	.protected	_ZN7rocprim17ROCPRIM_400000_NS6detail17trampoline_kernelINS0_14default_configENS1_27scan_by_key_config_selectorIxxEEZZNS1_16scan_by_key_implILNS1_25lookback_scan_determinismE0ELb1ES3_N6thrust23THRUST_200600_302600_NS6detail15normal_iteratorINS9_10device_ptrIxEEEESE_SE_xNS9_4plusIxEE19head_flag_predicatexEE10hipError_tPvRmT2_T3_T4_T5_mT6_T7_P12ihipStream_tbENKUlT_T0_E_clISt17integral_constantIbLb1EESY_EEDaST_SU_EUlST_E_NS1_11comp_targetILNS1_3genE3ELNS1_11target_archE908ELNS1_3gpuE7ELNS1_3repE0EEENS1_30default_config_static_selectorELNS0_4arch9wavefront6targetE1EEEvT1_ ; -- Begin function _ZN7rocprim17ROCPRIM_400000_NS6detail17trampoline_kernelINS0_14default_configENS1_27scan_by_key_config_selectorIxxEEZZNS1_16scan_by_key_implILNS1_25lookback_scan_determinismE0ELb1ES3_N6thrust23THRUST_200600_302600_NS6detail15normal_iteratorINS9_10device_ptrIxEEEESE_SE_xNS9_4plusIxEE19head_flag_predicatexEE10hipError_tPvRmT2_T3_T4_T5_mT6_T7_P12ihipStream_tbENKUlT_T0_E_clISt17integral_constantIbLb1EESY_EEDaST_SU_EUlST_E_NS1_11comp_targetILNS1_3genE3ELNS1_11target_archE908ELNS1_3gpuE7ELNS1_3repE0EEENS1_30default_config_static_selectorELNS0_4arch9wavefront6targetE1EEEvT1_
	.globl	_ZN7rocprim17ROCPRIM_400000_NS6detail17trampoline_kernelINS0_14default_configENS1_27scan_by_key_config_selectorIxxEEZZNS1_16scan_by_key_implILNS1_25lookback_scan_determinismE0ELb1ES3_N6thrust23THRUST_200600_302600_NS6detail15normal_iteratorINS9_10device_ptrIxEEEESE_SE_xNS9_4plusIxEE19head_flag_predicatexEE10hipError_tPvRmT2_T3_T4_T5_mT6_T7_P12ihipStream_tbENKUlT_T0_E_clISt17integral_constantIbLb1EESY_EEDaST_SU_EUlST_E_NS1_11comp_targetILNS1_3genE3ELNS1_11target_archE908ELNS1_3gpuE7ELNS1_3repE0EEENS1_30default_config_static_selectorELNS0_4arch9wavefront6targetE1EEEvT1_
	.p2align	8
	.type	_ZN7rocprim17ROCPRIM_400000_NS6detail17trampoline_kernelINS0_14default_configENS1_27scan_by_key_config_selectorIxxEEZZNS1_16scan_by_key_implILNS1_25lookback_scan_determinismE0ELb1ES3_N6thrust23THRUST_200600_302600_NS6detail15normal_iteratorINS9_10device_ptrIxEEEESE_SE_xNS9_4plusIxEE19head_flag_predicatexEE10hipError_tPvRmT2_T3_T4_T5_mT6_T7_P12ihipStream_tbENKUlT_T0_E_clISt17integral_constantIbLb1EESY_EEDaST_SU_EUlST_E_NS1_11comp_targetILNS1_3genE3ELNS1_11target_archE908ELNS1_3gpuE7ELNS1_3repE0EEENS1_30default_config_static_selectorELNS0_4arch9wavefront6targetE1EEEvT1_,@function
_ZN7rocprim17ROCPRIM_400000_NS6detail17trampoline_kernelINS0_14default_configENS1_27scan_by_key_config_selectorIxxEEZZNS1_16scan_by_key_implILNS1_25lookback_scan_determinismE0ELb1ES3_N6thrust23THRUST_200600_302600_NS6detail15normal_iteratorINS9_10device_ptrIxEEEESE_SE_xNS9_4plusIxEE19head_flag_predicatexEE10hipError_tPvRmT2_T3_T4_T5_mT6_T7_P12ihipStream_tbENKUlT_T0_E_clISt17integral_constantIbLb1EESY_EEDaST_SU_EUlST_E_NS1_11comp_targetILNS1_3genE3ELNS1_11target_archE908ELNS1_3gpuE7ELNS1_3repE0EEENS1_30default_config_static_selectorELNS0_4arch9wavefront6targetE1EEEvT1_: ; @_ZN7rocprim17ROCPRIM_400000_NS6detail17trampoline_kernelINS0_14default_configENS1_27scan_by_key_config_selectorIxxEEZZNS1_16scan_by_key_implILNS1_25lookback_scan_determinismE0ELb1ES3_N6thrust23THRUST_200600_302600_NS6detail15normal_iteratorINS9_10device_ptrIxEEEESE_SE_xNS9_4plusIxEE19head_flag_predicatexEE10hipError_tPvRmT2_T3_T4_T5_mT6_T7_P12ihipStream_tbENKUlT_T0_E_clISt17integral_constantIbLb1EESY_EEDaST_SU_EUlST_E_NS1_11comp_targetILNS1_3genE3ELNS1_11target_archE908ELNS1_3gpuE7ELNS1_3repE0EEENS1_30default_config_static_selectorELNS0_4arch9wavefront6targetE1EEEvT1_
; %bb.0:
	.section	.rodata,"a",@progbits
	.p2align	6, 0x0
	.amdhsa_kernel _ZN7rocprim17ROCPRIM_400000_NS6detail17trampoline_kernelINS0_14default_configENS1_27scan_by_key_config_selectorIxxEEZZNS1_16scan_by_key_implILNS1_25lookback_scan_determinismE0ELb1ES3_N6thrust23THRUST_200600_302600_NS6detail15normal_iteratorINS9_10device_ptrIxEEEESE_SE_xNS9_4plusIxEE19head_flag_predicatexEE10hipError_tPvRmT2_T3_T4_T5_mT6_T7_P12ihipStream_tbENKUlT_T0_E_clISt17integral_constantIbLb1EESY_EEDaST_SU_EUlST_E_NS1_11comp_targetILNS1_3genE3ELNS1_11target_archE908ELNS1_3gpuE7ELNS1_3repE0EEENS1_30default_config_static_selectorELNS0_4arch9wavefront6targetE1EEEvT1_
		.amdhsa_group_segment_fixed_size 0
		.amdhsa_private_segment_fixed_size 0
		.amdhsa_kernarg_size 136
		.amdhsa_user_sgpr_count 2
		.amdhsa_user_sgpr_dispatch_ptr 0
		.amdhsa_user_sgpr_queue_ptr 0
		.amdhsa_user_sgpr_kernarg_segment_ptr 1
		.amdhsa_user_sgpr_dispatch_id 0
		.amdhsa_user_sgpr_kernarg_preload_length 0
		.amdhsa_user_sgpr_kernarg_preload_offset 0
		.amdhsa_user_sgpr_private_segment_size 0
		.amdhsa_uses_dynamic_stack 0
		.amdhsa_enable_private_segment 0
		.amdhsa_system_sgpr_workgroup_id_x 1
		.amdhsa_system_sgpr_workgroup_id_y 0
		.amdhsa_system_sgpr_workgroup_id_z 0
		.amdhsa_system_sgpr_workgroup_info 0
		.amdhsa_system_vgpr_workitem_id 0
		.amdhsa_next_free_vgpr 1
		.amdhsa_next_free_sgpr 0
		.amdhsa_accum_offset 4
		.amdhsa_reserve_vcc 0
		.amdhsa_float_round_mode_32 0
		.amdhsa_float_round_mode_16_64 0
		.amdhsa_float_denorm_mode_32 3
		.amdhsa_float_denorm_mode_16_64 3
		.amdhsa_dx10_clamp 1
		.amdhsa_ieee_mode 1
		.amdhsa_fp16_overflow 0
		.amdhsa_tg_split 0
		.amdhsa_exception_fp_ieee_invalid_op 0
		.amdhsa_exception_fp_denorm_src 0
		.amdhsa_exception_fp_ieee_div_zero 0
		.amdhsa_exception_fp_ieee_overflow 0
		.amdhsa_exception_fp_ieee_underflow 0
		.amdhsa_exception_fp_ieee_inexact 0
		.amdhsa_exception_int_div_zero 0
	.end_amdhsa_kernel
	.section	.text._ZN7rocprim17ROCPRIM_400000_NS6detail17trampoline_kernelINS0_14default_configENS1_27scan_by_key_config_selectorIxxEEZZNS1_16scan_by_key_implILNS1_25lookback_scan_determinismE0ELb1ES3_N6thrust23THRUST_200600_302600_NS6detail15normal_iteratorINS9_10device_ptrIxEEEESE_SE_xNS9_4plusIxEE19head_flag_predicatexEE10hipError_tPvRmT2_T3_T4_T5_mT6_T7_P12ihipStream_tbENKUlT_T0_E_clISt17integral_constantIbLb1EESY_EEDaST_SU_EUlST_E_NS1_11comp_targetILNS1_3genE3ELNS1_11target_archE908ELNS1_3gpuE7ELNS1_3repE0EEENS1_30default_config_static_selectorELNS0_4arch9wavefront6targetE1EEEvT1_,"axG",@progbits,_ZN7rocprim17ROCPRIM_400000_NS6detail17trampoline_kernelINS0_14default_configENS1_27scan_by_key_config_selectorIxxEEZZNS1_16scan_by_key_implILNS1_25lookback_scan_determinismE0ELb1ES3_N6thrust23THRUST_200600_302600_NS6detail15normal_iteratorINS9_10device_ptrIxEEEESE_SE_xNS9_4plusIxEE19head_flag_predicatexEE10hipError_tPvRmT2_T3_T4_T5_mT6_T7_P12ihipStream_tbENKUlT_T0_E_clISt17integral_constantIbLb1EESY_EEDaST_SU_EUlST_E_NS1_11comp_targetILNS1_3genE3ELNS1_11target_archE908ELNS1_3gpuE7ELNS1_3repE0EEENS1_30default_config_static_selectorELNS0_4arch9wavefront6targetE1EEEvT1_,comdat
.Lfunc_end726:
	.size	_ZN7rocprim17ROCPRIM_400000_NS6detail17trampoline_kernelINS0_14default_configENS1_27scan_by_key_config_selectorIxxEEZZNS1_16scan_by_key_implILNS1_25lookback_scan_determinismE0ELb1ES3_N6thrust23THRUST_200600_302600_NS6detail15normal_iteratorINS9_10device_ptrIxEEEESE_SE_xNS9_4plusIxEE19head_flag_predicatexEE10hipError_tPvRmT2_T3_T4_T5_mT6_T7_P12ihipStream_tbENKUlT_T0_E_clISt17integral_constantIbLb1EESY_EEDaST_SU_EUlST_E_NS1_11comp_targetILNS1_3genE3ELNS1_11target_archE908ELNS1_3gpuE7ELNS1_3repE0EEENS1_30default_config_static_selectorELNS0_4arch9wavefront6targetE1EEEvT1_, .Lfunc_end726-_ZN7rocprim17ROCPRIM_400000_NS6detail17trampoline_kernelINS0_14default_configENS1_27scan_by_key_config_selectorIxxEEZZNS1_16scan_by_key_implILNS1_25lookback_scan_determinismE0ELb1ES3_N6thrust23THRUST_200600_302600_NS6detail15normal_iteratorINS9_10device_ptrIxEEEESE_SE_xNS9_4plusIxEE19head_flag_predicatexEE10hipError_tPvRmT2_T3_T4_T5_mT6_T7_P12ihipStream_tbENKUlT_T0_E_clISt17integral_constantIbLb1EESY_EEDaST_SU_EUlST_E_NS1_11comp_targetILNS1_3genE3ELNS1_11target_archE908ELNS1_3gpuE7ELNS1_3repE0EEENS1_30default_config_static_selectorELNS0_4arch9wavefront6targetE1EEEvT1_
                                        ; -- End function
	.section	.AMDGPU.csdata,"",@progbits
; Kernel info:
; codeLenInByte = 0
; NumSgprs: 6
; NumVgprs: 0
; NumAgprs: 0
; TotalNumVgprs: 0
; ScratchSize: 0
; MemoryBound: 0
; FloatMode: 240
; IeeeMode: 1
; LDSByteSize: 0 bytes/workgroup (compile time only)
; SGPRBlocks: 0
; VGPRBlocks: 0
; NumSGPRsForWavesPerEU: 6
; NumVGPRsForWavesPerEU: 1
; AccumOffset: 4
; Occupancy: 8
; WaveLimiterHint : 0
; COMPUTE_PGM_RSRC2:SCRATCH_EN: 0
; COMPUTE_PGM_RSRC2:USER_SGPR: 2
; COMPUTE_PGM_RSRC2:TRAP_HANDLER: 0
; COMPUTE_PGM_RSRC2:TGID_X_EN: 1
; COMPUTE_PGM_RSRC2:TGID_Y_EN: 0
; COMPUTE_PGM_RSRC2:TGID_Z_EN: 0
; COMPUTE_PGM_RSRC2:TIDIG_COMP_CNT: 0
; COMPUTE_PGM_RSRC3_GFX90A:ACCUM_OFFSET: 0
; COMPUTE_PGM_RSRC3_GFX90A:TG_SPLIT: 0
	.section	.text._ZN7rocprim17ROCPRIM_400000_NS6detail17trampoline_kernelINS0_14default_configENS1_27scan_by_key_config_selectorIxxEEZZNS1_16scan_by_key_implILNS1_25lookback_scan_determinismE0ELb1ES3_N6thrust23THRUST_200600_302600_NS6detail15normal_iteratorINS9_10device_ptrIxEEEESE_SE_xNS9_4plusIxEE19head_flag_predicatexEE10hipError_tPvRmT2_T3_T4_T5_mT6_T7_P12ihipStream_tbENKUlT_T0_E_clISt17integral_constantIbLb1EESY_EEDaST_SU_EUlST_E_NS1_11comp_targetILNS1_3genE2ELNS1_11target_archE906ELNS1_3gpuE6ELNS1_3repE0EEENS1_30default_config_static_selectorELNS0_4arch9wavefront6targetE1EEEvT1_,"axG",@progbits,_ZN7rocprim17ROCPRIM_400000_NS6detail17trampoline_kernelINS0_14default_configENS1_27scan_by_key_config_selectorIxxEEZZNS1_16scan_by_key_implILNS1_25lookback_scan_determinismE0ELb1ES3_N6thrust23THRUST_200600_302600_NS6detail15normal_iteratorINS9_10device_ptrIxEEEESE_SE_xNS9_4plusIxEE19head_flag_predicatexEE10hipError_tPvRmT2_T3_T4_T5_mT6_T7_P12ihipStream_tbENKUlT_T0_E_clISt17integral_constantIbLb1EESY_EEDaST_SU_EUlST_E_NS1_11comp_targetILNS1_3genE2ELNS1_11target_archE906ELNS1_3gpuE6ELNS1_3repE0EEENS1_30default_config_static_selectorELNS0_4arch9wavefront6targetE1EEEvT1_,comdat
	.protected	_ZN7rocprim17ROCPRIM_400000_NS6detail17trampoline_kernelINS0_14default_configENS1_27scan_by_key_config_selectorIxxEEZZNS1_16scan_by_key_implILNS1_25lookback_scan_determinismE0ELb1ES3_N6thrust23THRUST_200600_302600_NS6detail15normal_iteratorINS9_10device_ptrIxEEEESE_SE_xNS9_4plusIxEE19head_flag_predicatexEE10hipError_tPvRmT2_T3_T4_T5_mT6_T7_P12ihipStream_tbENKUlT_T0_E_clISt17integral_constantIbLb1EESY_EEDaST_SU_EUlST_E_NS1_11comp_targetILNS1_3genE2ELNS1_11target_archE906ELNS1_3gpuE6ELNS1_3repE0EEENS1_30default_config_static_selectorELNS0_4arch9wavefront6targetE1EEEvT1_ ; -- Begin function _ZN7rocprim17ROCPRIM_400000_NS6detail17trampoline_kernelINS0_14default_configENS1_27scan_by_key_config_selectorIxxEEZZNS1_16scan_by_key_implILNS1_25lookback_scan_determinismE0ELb1ES3_N6thrust23THRUST_200600_302600_NS6detail15normal_iteratorINS9_10device_ptrIxEEEESE_SE_xNS9_4plusIxEE19head_flag_predicatexEE10hipError_tPvRmT2_T3_T4_T5_mT6_T7_P12ihipStream_tbENKUlT_T0_E_clISt17integral_constantIbLb1EESY_EEDaST_SU_EUlST_E_NS1_11comp_targetILNS1_3genE2ELNS1_11target_archE906ELNS1_3gpuE6ELNS1_3repE0EEENS1_30default_config_static_selectorELNS0_4arch9wavefront6targetE1EEEvT1_
	.globl	_ZN7rocprim17ROCPRIM_400000_NS6detail17trampoline_kernelINS0_14default_configENS1_27scan_by_key_config_selectorIxxEEZZNS1_16scan_by_key_implILNS1_25lookback_scan_determinismE0ELb1ES3_N6thrust23THRUST_200600_302600_NS6detail15normal_iteratorINS9_10device_ptrIxEEEESE_SE_xNS9_4plusIxEE19head_flag_predicatexEE10hipError_tPvRmT2_T3_T4_T5_mT6_T7_P12ihipStream_tbENKUlT_T0_E_clISt17integral_constantIbLb1EESY_EEDaST_SU_EUlST_E_NS1_11comp_targetILNS1_3genE2ELNS1_11target_archE906ELNS1_3gpuE6ELNS1_3repE0EEENS1_30default_config_static_selectorELNS0_4arch9wavefront6targetE1EEEvT1_
	.p2align	8
	.type	_ZN7rocprim17ROCPRIM_400000_NS6detail17trampoline_kernelINS0_14default_configENS1_27scan_by_key_config_selectorIxxEEZZNS1_16scan_by_key_implILNS1_25lookback_scan_determinismE0ELb1ES3_N6thrust23THRUST_200600_302600_NS6detail15normal_iteratorINS9_10device_ptrIxEEEESE_SE_xNS9_4plusIxEE19head_flag_predicatexEE10hipError_tPvRmT2_T3_T4_T5_mT6_T7_P12ihipStream_tbENKUlT_T0_E_clISt17integral_constantIbLb1EESY_EEDaST_SU_EUlST_E_NS1_11comp_targetILNS1_3genE2ELNS1_11target_archE906ELNS1_3gpuE6ELNS1_3repE0EEENS1_30default_config_static_selectorELNS0_4arch9wavefront6targetE1EEEvT1_,@function
_ZN7rocprim17ROCPRIM_400000_NS6detail17trampoline_kernelINS0_14default_configENS1_27scan_by_key_config_selectorIxxEEZZNS1_16scan_by_key_implILNS1_25lookback_scan_determinismE0ELb1ES3_N6thrust23THRUST_200600_302600_NS6detail15normal_iteratorINS9_10device_ptrIxEEEESE_SE_xNS9_4plusIxEE19head_flag_predicatexEE10hipError_tPvRmT2_T3_T4_T5_mT6_T7_P12ihipStream_tbENKUlT_T0_E_clISt17integral_constantIbLb1EESY_EEDaST_SU_EUlST_E_NS1_11comp_targetILNS1_3genE2ELNS1_11target_archE906ELNS1_3gpuE6ELNS1_3repE0EEENS1_30default_config_static_selectorELNS0_4arch9wavefront6targetE1EEEvT1_: ; @_ZN7rocprim17ROCPRIM_400000_NS6detail17trampoline_kernelINS0_14default_configENS1_27scan_by_key_config_selectorIxxEEZZNS1_16scan_by_key_implILNS1_25lookback_scan_determinismE0ELb1ES3_N6thrust23THRUST_200600_302600_NS6detail15normal_iteratorINS9_10device_ptrIxEEEESE_SE_xNS9_4plusIxEE19head_flag_predicatexEE10hipError_tPvRmT2_T3_T4_T5_mT6_T7_P12ihipStream_tbENKUlT_T0_E_clISt17integral_constantIbLb1EESY_EEDaST_SU_EUlST_E_NS1_11comp_targetILNS1_3genE2ELNS1_11target_archE906ELNS1_3gpuE6ELNS1_3repE0EEENS1_30default_config_static_selectorELNS0_4arch9wavefront6targetE1EEEvT1_
; %bb.0:
	.section	.rodata,"a",@progbits
	.p2align	6, 0x0
	.amdhsa_kernel _ZN7rocprim17ROCPRIM_400000_NS6detail17trampoline_kernelINS0_14default_configENS1_27scan_by_key_config_selectorIxxEEZZNS1_16scan_by_key_implILNS1_25lookback_scan_determinismE0ELb1ES3_N6thrust23THRUST_200600_302600_NS6detail15normal_iteratorINS9_10device_ptrIxEEEESE_SE_xNS9_4plusIxEE19head_flag_predicatexEE10hipError_tPvRmT2_T3_T4_T5_mT6_T7_P12ihipStream_tbENKUlT_T0_E_clISt17integral_constantIbLb1EESY_EEDaST_SU_EUlST_E_NS1_11comp_targetILNS1_3genE2ELNS1_11target_archE906ELNS1_3gpuE6ELNS1_3repE0EEENS1_30default_config_static_selectorELNS0_4arch9wavefront6targetE1EEEvT1_
		.amdhsa_group_segment_fixed_size 0
		.amdhsa_private_segment_fixed_size 0
		.amdhsa_kernarg_size 136
		.amdhsa_user_sgpr_count 2
		.amdhsa_user_sgpr_dispatch_ptr 0
		.amdhsa_user_sgpr_queue_ptr 0
		.amdhsa_user_sgpr_kernarg_segment_ptr 1
		.amdhsa_user_sgpr_dispatch_id 0
		.amdhsa_user_sgpr_kernarg_preload_length 0
		.amdhsa_user_sgpr_kernarg_preload_offset 0
		.amdhsa_user_sgpr_private_segment_size 0
		.amdhsa_uses_dynamic_stack 0
		.amdhsa_enable_private_segment 0
		.amdhsa_system_sgpr_workgroup_id_x 1
		.amdhsa_system_sgpr_workgroup_id_y 0
		.amdhsa_system_sgpr_workgroup_id_z 0
		.amdhsa_system_sgpr_workgroup_info 0
		.amdhsa_system_vgpr_workitem_id 0
		.amdhsa_next_free_vgpr 1
		.amdhsa_next_free_sgpr 0
		.amdhsa_accum_offset 4
		.amdhsa_reserve_vcc 0
		.amdhsa_float_round_mode_32 0
		.amdhsa_float_round_mode_16_64 0
		.amdhsa_float_denorm_mode_32 3
		.amdhsa_float_denorm_mode_16_64 3
		.amdhsa_dx10_clamp 1
		.amdhsa_ieee_mode 1
		.amdhsa_fp16_overflow 0
		.amdhsa_tg_split 0
		.amdhsa_exception_fp_ieee_invalid_op 0
		.amdhsa_exception_fp_denorm_src 0
		.amdhsa_exception_fp_ieee_div_zero 0
		.amdhsa_exception_fp_ieee_overflow 0
		.amdhsa_exception_fp_ieee_underflow 0
		.amdhsa_exception_fp_ieee_inexact 0
		.amdhsa_exception_int_div_zero 0
	.end_amdhsa_kernel
	.section	.text._ZN7rocprim17ROCPRIM_400000_NS6detail17trampoline_kernelINS0_14default_configENS1_27scan_by_key_config_selectorIxxEEZZNS1_16scan_by_key_implILNS1_25lookback_scan_determinismE0ELb1ES3_N6thrust23THRUST_200600_302600_NS6detail15normal_iteratorINS9_10device_ptrIxEEEESE_SE_xNS9_4plusIxEE19head_flag_predicatexEE10hipError_tPvRmT2_T3_T4_T5_mT6_T7_P12ihipStream_tbENKUlT_T0_E_clISt17integral_constantIbLb1EESY_EEDaST_SU_EUlST_E_NS1_11comp_targetILNS1_3genE2ELNS1_11target_archE906ELNS1_3gpuE6ELNS1_3repE0EEENS1_30default_config_static_selectorELNS0_4arch9wavefront6targetE1EEEvT1_,"axG",@progbits,_ZN7rocprim17ROCPRIM_400000_NS6detail17trampoline_kernelINS0_14default_configENS1_27scan_by_key_config_selectorIxxEEZZNS1_16scan_by_key_implILNS1_25lookback_scan_determinismE0ELb1ES3_N6thrust23THRUST_200600_302600_NS6detail15normal_iteratorINS9_10device_ptrIxEEEESE_SE_xNS9_4plusIxEE19head_flag_predicatexEE10hipError_tPvRmT2_T3_T4_T5_mT6_T7_P12ihipStream_tbENKUlT_T0_E_clISt17integral_constantIbLb1EESY_EEDaST_SU_EUlST_E_NS1_11comp_targetILNS1_3genE2ELNS1_11target_archE906ELNS1_3gpuE6ELNS1_3repE0EEENS1_30default_config_static_selectorELNS0_4arch9wavefront6targetE1EEEvT1_,comdat
.Lfunc_end727:
	.size	_ZN7rocprim17ROCPRIM_400000_NS6detail17trampoline_kernelINS0_14default_configENS1_27scan_by_key_config_selectorIxxEEZZNS1_16scan_by_key_implILNS1_25lookback_scan_determinismE0ELb1ES3_N6thrust23THRUST_200600_302600_NS6detail15normal_iteratorINS9_10device_ptrIxEEEESE_SE_xNS9_4plusIxEE19head_flag_predicatexEE10hipError_tPvRmT2_T3_T4_T5_mT6_T7_P12ihipStream_tbENKUlT_T0_E_clISt17integral_constantIbLb1EESY_EEDaST_SU_EUlST_E_NS1_11comp_targetILNS1_3genE2ELNS1_11target_archE906ELNS1_3gpuE6ELNS1_3repE0EEENS1_30default_config_static_selectorELNS0_4arch9wavefront6targetE1EEEvT1_, .Lfunc_end727-_ZN7rocprim17ROCPRIM_400000_NS6detail17trampoline_kernelINS0_14default_configENS1_27scan_by_key_config_selectorIxxEEZZNS1_16scan_by_key_implILNS1_25lookback_scan_determinismE0ELb1ES3_N6thrust23THRUST_200600_302600_NS6detail15normal_iteratorINS9_10device_ptrIxEEEESE_SE_xNS9_4plusIxEE19head_flag_predicatexEE10hipError_tPvRmT2_T3_T4_T5_mT6_T7_P12ihipStream_tbENKUlT_T0_E_clISt17integral_constantIbLb1EESY_EEDaST_SU_EUlST_E_NS1_11comp_targetILNS1_3genE2ELNS1_11target_archE906ELNS1_3gpuE6ELNS1_3repE0EEENS1_30default_config_static_selectorELNS0_4arch9wavefront6targetE1EEEvT1_
                                        ; -- End function
	.section	.AMDGPU.csdata,"",@progbits
; Kernel info:
; codeLenInByte = 0
; NumSgprs: 6
; NumVgprs: 0
; NumAgprs: 0
; TotalNumVgprs: 0
; ScratchSize: 0
; MemoryBound: 0
; FloatMode: 240
; IeeeMode: 1
; LDSByteSize: 0 bytes/workgroup (compile time only)
; SGPRBlocks: 0
; VGPRBlocks: 0
; NumSGPRsForWavesPerEU: 6
; NumVGPRsForWavesPerEU: 1
; AccumOffset: 4
; Occupancy: 8
; WaveLimiterHint : 0
; COMPUTE_PGM_RSRC2:SCRATCH_EN: 0
; COMPUTE_PGM_RSRC2:USER_SGPR: 2
; COMPUTE_PGM_RSRC2:TRAP_HANDLER: 0
; COMPUTE_PGM_RSRC2:TGID_X_EN: 1
; COMPUTE_PGM_RSRC2:TGID_Y_EN: 0
; COMPUTE_PGM_RSRC2:TGID_Z_EN: 0
; COMPUTE_PGM_RSRC2:TIDIG_COMP_CNT: 0
; COMPUTE_PGM_RSRC3_GFX90A:ACCUM_OFFSET: 0
; COMPUTE_PGM_RSRC3_GFX90A:TG_SPLIT: 0
	.section	.text._ZN7rocprim17ROCPRIM_400000_NS6detail17trampoline_kernelINS0_14default_configENS1_27scan_by_key_config_selectorIxxEEZZNS1_16scan_by_key_implILNS1_25lookback_scan_determinismE0ELb1ES3_N6thrust23THRUST_200600_302600_NS6detail15normal_iteratorINS9_10device_ptrIxEEEESE_SE_xNS9_4plusIxEE19head_flag_predicatexEE10hipError_tPvRmT2_T3_T4_T5_mT6_T7_P12ihipStream_tbENKUlT_T0_E_clISt17integral_constantIbLb1EESY_EEDaST_SU_EUlST_E_NS1_11comp_targetILNS1_3genE10ELNS1_11target_archE1200ELNS1_3gpuE4ELNS1_3repE0EEENS1_30default_config_static_selectorELNS0_4arch9wavefront6targetE1EEEvT1_,"axG",@progbits,_ZN7rocprim17ROCPRIM_400000_NS6detail17trampoline_kernelINS0_14default_configENS1_27scan_by_key_config_selectorIxxEEZZNS1_16scan_by_key_implILNS1_25lookback_scan_determinismE0ELb1ES3_N6thrust23THRUST_200600_302600_NS6detail15normal_iteratorINS9_10device_ptrIxEEEESE_SE_xNS9_4plusIxEE19head_flag_predicatexEE10hipError_tPvRmT2_T3_T4_T5_mT6_T7_P12ihipStream_tbENKUlT_T0_E_clISt17integral_constantIbLb1EESY_EEDaST_SU_EUlST_E_NS1_11comp_targetILNS1_3genE10ELNS1_11target_archE1200ELNS1_3gpuE4ELNS1_3repE0EEENS1_30default_config_static_selectorELNS0_4arch9wavefront6targetE1EEEvT1_,comdat
	.protected	_ZN7rocprim17ROCPRIM_400000_NS6detail17trampoline_kernelINS0_14default_configENS1_27scan_by_key_config_selectorIxxEEZZNS1_16scan_by_key_implILNS1_25lookback_scan_determinismE0ELb1ES3_N6thrust23THRUST_200600_302600_NS6detail15normal_iteratorINS9_10device_ptrIxEEEESE_SE_xNS9_4plusIxEE19head_flag_predicatexEE10hipError_tPvRmT2_T3_T4_T5_mT6_T7_P12ihipStream_tbENKUlT_T0_E_clISt17integral_constantIbLb1EESY_EEDaST_SU_EUlST_E_NS1_11comp_targetILNS1_3genE10ELNS1_11target_archE1200ELNS1_3gpuE4ELNS1_3repE0EEENS1_30default_config_static_selectorELNS0_4arch9wavefront6targetE1EEEvT1_ ; -- Begin function _ZN7rocprim17ROCPRIM_400000_NS6detail17trampoline_kernelINS0_14default_configENS1_27scan_by_key_config_selectorIxxEEZZNS1_16scan_by_key_implILNS1_25lookback_scan_determinismE0ELb1ES3_N6thrust23THRUST_200600_302600_NS6detail15normal_iteratorINS9_10device_ptrIxEEEESE_SE_xNS9_4plusIxEE19head_flag_predicatexEE10hipError_tPvRmT2_T3_T4_T5_mT6_T7_P12ihipStream_tbENKUlT_T0_E_clISt17integral_constantIbLb1EESY_EEDaST_SU_EUlST_E_NS1_11comp_targetILNS1_3genE10ELNS1_11target_archE1200ELNS1_3gpuE4ELNS1_3repE0EEENS1_30default_config_static_selectorELNS0_4arch9wavefront6targetE1EEEvT1_
	.globl	_ZN7rocprim17ROCPRIM_400000_NS6detail17trampoline_kernelINS0_14default_configENS1_27scan_by_key_config_selectorIxxEEZZNS1_16scan_by_key_implILNS1_25lookback_scan_determinismE0ELb1ES3_N6thrust23THRUST_200600_302600_NS6detail15normal_iteratorINS9_10device_ptrIxEEEESE_SE_xNS9_4plusIxEE19head_flag_predicatexEE10hipError_tPvRmT2_T3_T4_T5_mT6_T7_P12ihipStream_tbENKUlT_T0_E_clISt17integral_constantIbLb1EESY_EEDaST_SU_EUlST_E_NS1_11comp_targetILNS1_3genE10ELNS1_11target_archE1200ELNS1_3gpuE4ELNS1_3repE0EEENS1_30default_config_static_selectorELNS0_4arch9wavefront6targetE1EEEvT1_
	.p2align	8
	.type	_ZN7rocprim17ROCPRIM_400000_NS6detail17trampoline_kernelINS0_14default_configENS1_27scan_by_key_config_selectorIxxEEZZNS1_16scan_by_key_implILNS1_25lookback_scan_determinismE0ELb1ES3_N6thrust23THRUST_200600_302600_NS6detail15normal_iteratorINS9_10device_ptrIxEEEESE_SE_xNS9_4plusIxEE19head_flag_predicatexEE10hipError_tPvRmT2_T3_T4_T5_mT6_T7_P12ihipStream_tbENKUlT_T0_E_clISt17integral_constantIbLb1EESY_EEDaST_SU_EUlST_E_NS1_11comp_targetILNS1_3genE10ELNS1_11target_archE1200ELNS1_3gpuE4ELNS1_3repE0EEENS1_30default_config_static_selectorELNS0_4arch9wavefront6targetE1EEEvT1_,@function
_ZN7rocprim17ROCPRIM_400000_NS6detail17trampoline_kernelINS0_14default_configENS1_27scan_by_key_config_selectorIxxEEZZNS1_16scan_by_key_implILNS1_25lookback_scan_determinismE0ELb1ES3_N6thrust23THRUST_200600_302600_NS6detail15normal_iteratorINS9_10device_ptrIxEEEESE_SE_xNS9_4plusIxEE19head_flag_predicatexEE10hipError_tPvRmT2_T3_T4_T5_mT6_T7_P12ihipStream_tbENKUlT_T0_E_clISt17integral_constantIbLb1EESY_EEDaST_SU_EUlST_E_NS1_11comp_targetILNS1_3genE10ELNS1_11target_archE1200ELNS1_3gpuE4ELNS1_3repE0EEENS1_30default_config_static_selectorELNS0_4arch9wavefront6targetE1EEEvT1_: ; @_ZN7rocprim17ROCPRIM_400000_NS6detail17trampoline_kernelINS0_14default_configENS1_27scan_by_key_config_selectorIxxEEZZNS1_16scan_by_key_implILNS1_25lookback_scan_determinismE0ELb1ES3_N6thrust23THRUST_200600_302600_NS6detail15normal_iteratorINS9_10device_ptrIxEEEESE_SE_xNS9_4plusIxEE19head_flag_predicatexEE10hipError_tPvRmT2_T3_T4_T5_mT6_T7_P12ihipStream_tbENKUlT_T0_E_clISt17integral_constantIbLb1EESY_EEDaST_SU_EUlST_E_NS1_11comp_targetILNS1_3genE10ELNS1_11target_archE1200ELNS1_3gpuE4ELNS1_3repE0EEENS1_30default_config_static_selectorELNS0_4arch9wavefront6targetE1EEEvT1_
; %bb.0:
	.section	.rodata,"a",@progbits
	.p2align	6, 0x0
	.amdhsa_kernel _ZN7rocprim17ROCPRIM_400000_NS6detail17trampoline_kernelINS0_14default_configENS1_27scan_by_key_config_selectorIxxEEZZNS1_16scan_by_key_implILNS1_25lookback_scan_determinismE0ELb1ES3_N6thrust23THRUST_200600_302600_NS6detail15normal_iteratorINS9_10device_ptrIxEEEESE_SE_xNS9_4plusIxEE19head_flag_predicatexEE10hipError_tPvRmT2_T3_T4_T5_mT6_T7_P12ihipStream_tbENKUlT_T0_E_clISt17integral_constantIbLb1EESY_EEDaST_SU_EUlST_E_NS1_11comp_targetILNS1_3genE10ELNS1_11target_archE1200ELNS1_3gpuE4ELNS1_3repE0EEENS1_30default_config_static_selectorELNS0_4arch9wavefront6targetE1EEEvT1_
		.amdhsa_group_segment_fixed_size 0
		.amdhsa_private_segment_fixed_size 0
		.amdhsa_kernarg_size 136
		.amdhsa_user_sgpr_count 2
		.amdhsa_user_sgpr_dispatch_ptr 0
		.amdhsa_user_sgpr_queue_ptr 0
		.amdhsa_user_sgpr_kernarg_segment_ptr 1
		.amdhsa_user_sgpr_dispatch_id 0
		.amdhsa_user_sgpr_kernarg_preload_length 0
		.amdhsa_user_sgpr_kernarg_preload_offset 0
		.amdhsa_user_sgpr_private_segment_size 0
		.amdhsa_uses_dynamic_stack 0
		.amdhsa_enable_private_segment 0
		.amdhsa_system_sgpr_workgroup_id_x 1
		.amdhsa_system_sgpr_workgroup_id_y 0
		.amdhsa_system_sgpr_workgroup_id_z 0
		.amdhsa_system_sgpr_workgroup_info 0
		.amdhsa_system_vgpr_workitem_id 0
		.amdhsa_next_free_vgpr 1
		.amdhsa_next_free_sgpr 0
		.amdhsa_accum_offset 4
		.amdhsa_reserve_vcc 0
		.amdhsa_float_round_mode_32 0
		.amdhsa_float_round_mode_16_64 0
		.amdhsa_float_denorm_mode_32 3
		.amdhsa_float_denorm_mode_16_64 3
		.amdhsa_dx10_clamp 1
		.amdhsa_ieee_mode 1
		.amdhsa_fp16_overflow 0
		.amdhsa_tg_split 0
		.amdhsa_exception_fp_ieee_invalid_op 0
		.amdhsa_exception_fp_denorm_src 0
		.amdhsa_exception_fp_ieee_div_zero 0
		.amdhsa_exception_fp_ieee_overflow 0
		.amdhsa_exception_fp_ieee_underflow 0
		.amdhsa_exception_fp_ieee_inexact 0
		.amdhsa_exception_int_div_zero 0
	.end_amdhsa_kernel
	.section	.text._ZN7rocprim17ROCPRIM_400000_NS6detail17trampoline_kernelINS0_14default_configENS1_27scan_by_key_config_selectorIxxEEZZNS1_16scan_by_key_implILNS1_25lookback_scan_determinismE0ELb1ES3_N6thrust23THRUST_200600_302600_NS6detail15normal_iteratorINS9_10device_ptrIxEEEESE_SE_xNS9_4plusIxEE19head_flag_predicatexEE10hipError_tPvRmT2_T3_T4_T5_mT6_T7_P12ihipStream_tbENKUlT_T0_E_clISt17integral_constantIbLb1EESY_EEDaST_SU_EUlST_E_NS1_11comp_targetILNS1_3genE10ELNS1_11target_archE1200ELNS1_3gpuE4ELNS1_3repE0EEENS1_30default_config_static_selectorELNS0_4arch9wavefront6targetE1EEEvT1_,"axG",@progbits,_ZN7rocprim17ROCPRIM_400000_NS6detail17trampoline_kernelINS0_14default_configENS1_27scan_by_key_config_selectorIxxEEZZNS1_16scan_by_key_implILNS1_25lookback_scan_determinismE0ELb1ES3_N6thrust23THRUST_200600_302600_NS6detail15normal_iteratorINS9_10device_ptrIxEEEESE_SE_xNS9_4plusIxEE19head_flag_predicatexEE10hipError_tPvRmT2_T3_T4_T5_mT6_T7_P12ihipStream_tbENKUlT_T0_E_clISt17integral_constantIbLb1EESY_EEDaST_SU_EUlST_E_NS1_11comp_targetILNS1_3genE10ELNS1_11target_archE1200ELNS1_3gpuE4ELNS1_3repE0EEENS1_30default_config_static_selectorELNS0_4arch9wavefront6targetE1EEEvT1_,comdat
.Lfunc_end728:
	.size	_ZN7rocprim17ROCPRIM_400000_NS6detail17trampoline_kernelINS0_14default_configENS1_27scan_by_key_config_selectorIxxEEZZNS1_16scan_by_key_implILNS1_25lookback_scan_determinismE0ELb1ES3_N6thrust23THRUST_200600_302600_NS6detail15normal_iteratorINS9_10device_ptrIxEEEESE_SE_xNS9_4plusIxEE19head_flag_predicatexEE10hipError_tPvRmT2_T3_T4_T5_mT6_T7_P12ihipStream_tbENKUlT_T0_E_clISt17integral_constantIbLb1EESY_EEDaST_SU_EUlST_E_NS1_11comp_targetILNS1_3genE10ELNS1_11target_archE1200ELNS1_3gpuE4ELNS1_3repE0EEENS1_30default_config_static_selectorELNS0_4arch9wavefront6targetE1EEEvT1_, .Lfunc_end728-_ZN7rocprim17ROCPRIM_400000_NS6detail17trampoline_kernelINS0_14default_configENS1_27scan_by_key_config_selectorIxxEEZZNS1_16scan_by_key_implILNS1_25lookback_scan_determinismE0ELb1ES3_N6thrust23THRUST_200600_302600_NS6detail15normal_iteratorINS9_10device_ptrIxEEEESE_SE_xNS9_4plusIxEE19head_flag_predicatexEE10hipError_tPvRmT2_T3_T4_T5_mT6_T7_P12ihipStream_tbENKUlT_T0_E_clISt17integral_constantIbLb1EESY_EEDaST_SU_EUlST_E_NS1_11comp_targetILNS1_3genE10ELNS1_11target_archE1200ELNS1_3gpuE4ELNS1_3repE0EEENS1_30default_config_static_selectorELNS0_4arch9wavefront6targetE1EEEvT1_
                                        ; -- End function
	.section	.AMDGPU.csdata,"",@progbits
; Kernel info:
; codeLenInByte = 0
; NumSgprs: 6
; NumVgprs: 0
; NumAgprs: 0
; TotalNumVgprs: 0
; ScratchSize: 0
; MemoryBound: 0
; FloatMode: 240
; IeeeMode: 1
; LDSByteSize: 0 bytes/workgroup (compile time only)
; SGPRBlocks: 0
; VGPRBlocks: 0
; NumSGPRsForWavesPerEU: 6
; NumVGPRsForWavesPerEU: 1
; AccumOffset: 4
; Occupancy: 8
; WaveLimiterHint : 0
; COMPUTE_PGM_RSRC2:SCRATCH_EN: 0
; COMPUTE_PGM_RSRC2:USER_SGPR: 2
; COMPUTE_PGM_RSRC2:TRAP_HANDLER: 0
; COMPUTE_PGM_RSRC2:TGID_X_EN: 1
; COMPUTE_PGM_RSRC2:TGID_Y_EN: 0
; COMPUTE_PGM_RSRC2:TGID_Z_EN: 0
; COMPUTE_PGM_RSRC2:TIDIG_COMP_CNT: 0
; COMPUTE_PGM_RSRC3_GFX90A:ACCUM_OFFSET: 0
; COMPUTE_PGM_RSRC3_GFX90A:TG_SPLIT: 0
	.section	.text._ZN7rocprim17ROCPRIM_400000_NS6detail17trampoline_kernelINS0_14default_configENS1_27scan_by_key_config_selectorIxxEEZZNS1_16scan_by_key_implILNS1_25lookback_scan_determinismE0ELb1ES3_N6thrust23THRUST_200600_302600_NS6detail15normal_iteratorINS9_10device_ptrIxEEEESE_SE_xNS9_4plusIxEE19head_flag_predicatexEE10hipError_tPvRmT2_T3_T4_T5_mT6_T7_P12ihipStream_tbENKUlT_T0_E_clISt17integral_constantIbLb1EESY_EEDaST_SU_EUlST_E_NS1_11comp_targetILNS1_3genE9ELNS1_11target_archE1100ELNS1_3gpuE3ELNS1_3repE0EEENS1_30default_config_static_selectorELNS0_4arch9wavefront6targetE1EEEvT1_,"axG",@progbits,_ZN7rocprim17ROCPRIM_400000_NS6detail17trampoline_kernelINS0_14default_configENS1_27scan_by_key_config_selectorIxxEEZZNS1_16scan_by_key_implILNS1_25lookback_scan_determinismE0ELb1ES3_N6thrust23THRUST_200600_302600_NS6detail15normal_iteratorINS9_10device_ptrIxEEEESE_SE_xNS9_4plusIxEE19head_flag_predicatexEE10hipError_tPvRmT2_T3_T4_T5_mT6_T7_P12ihipStream_tbENKUlT_T0_E_clISt17integral_constantIbLb1EESY_EEDaST_SU_EUlST_E_NS1_11comp_targetILNS1_3genE9ELNS1_11target_archE1100ELNS1_3gpuE3ELNS1_3repE0EEENS1_30default_config_static_selectorELNS0_4arch9wavefront6targetE1EEEvT1_,comdat
	.protected	_ZN7rocprim17ROCPRIM_400000_NS6detail17trampoline_kernelINS0_14default_configENS1_27scan_by_key_config_selectorIxxEEZZNS1_16scan_by_key_implILNS1_25lookback_scan_determinismE0ELb1ES3_N6thrust23THRUST_200600_302600_NS6detail15normal_iteratorINS9_10device_ptrIxEEEESE_SE_xNS9_4plusIxEE19head_flag_predicatexEE10hipError_tPvRmT2_T3_T4_T5_mT6_T7_P12ihipStream_tbENKUlT_T0_E_clISt17integral_constantIbLb1EESY_EEDaST_SU_EUlST_E_NS1_11comp_targetILNS1_3genE9ELNS1_11target_archE1100ELNS1_3gpuE3ELNS1_3repE0EEENS1_30default_config_static_selectorELNS0_4arch9wavefront6targetE1EEEvT1_ ; -- Begin function _ZN7rocprim17ROCPRIM_400000_NS6detail17trampoline_kernelINS0_14default_configENS1_27scan_by_key_config_selectorIxxEEZZNS1_16scan_by_key_implILNS1_25lookback_scan_determinismE0ELb1ES3_N6thrust23THRUST_200600_302600_NS6detail15normal_iteratorINS9_10device_ptrIxEEEESE_SE_xNS9_4plusIxEE19head_flag_predicatexEE10hipError_tPvRmT2_T3_T4_T5_mT6_T7_P12ihipStream_tbENKUlT_T0_E_clISt17integral_constantIbLb1EESY_EEDaST_SU_EUlST_E_NS1_11comp_targetILNS1_3genE9ELNS1_11target_archE1100ELNS1_3gpuE3ELNS1_3repE0EEENS1_30default_config_static_selectorELNS0_4arch9wavefront6targetE1EEEvT1_
	.globl	_ZN7rocprim17ROCPRIM_400000_NS6detail17trampoline_kernelINS0_14default_configENS1_27scan_by_key_config_selectorIxxEEZZNS1_16scan_by_key_implILNS1_25lookback_scan_determinismE0ELb1ES3_N6thrust23THRUST_200600_302600_NS6detail15normal_iteratorINS9_10device_ptrIxEEEESE_SE_xNS9_4plusIxEE19head_flag_predicatexEE10hipError_tPvRmT2_T3_T4_T5_mT6_T7_P12ihipStream_tbENKUlT_T0_E_clISt17integral_constantIbLb1EESY_EEDaST_SU_EUlST_E_NS1_11comp_targetILNS1_3genE9ELNS1_11target_archE1100ELNS1_3gpuE3ELNS1_3repE0EEENS1_30default_config_static_selectorELNS0_4arch9wavefront6targetE1EEEvT1_
	.p2align	8
	.type	_ZN7rocprim17ROCPRIM_400000_NS6detail17trampoline_kernelINS0_14default_configENS1_27scan_by_key_config_selectorIxxEEZZNS1_16scan_by_key_implILNS1_25lookback_scan_determinismE0ELb1ES3_N6thrust23THRUST_200600_302600_NS6detail15normal_iteratorINS9_10device_ptrIxEEEESE_SE_xNS9_4plusIxEE19head_flag_predicatexEE10hipError_tPvRmT2_T3_T4_T5_mT6_T7_P12ihipStream_tbENKUlT_T0_E_clISt17integral_constantIbLb1EESY_EEDaST_SU_EUlST_E_NS1_11comp_targetILNS1_3genE9ELNS1_11target_archE1100ELNS1_3gpuE3ELNS1_3repE0EEENS1_30default_config_static_selectorELNS0_4arch9wavefront6targetE1EEEvT1_,@function
_ZN7rocprim17ROCPRIM_400000_NS6detail17trampoline_kernelINS0_14default_configENS1_27scan_by_key_config_selectorIxxEEZZNS1_16scan_by_key_implILNS1_25lookback_scan_determinismE0ELb1ES3_N6thrust23THRUST_200600_302600_NS6detail15normal_iteratorINS9_10device_ptrIxEEEESE_SE_xNS9_4plusIxEE19head_flag_predicatexEE10hipError_tPvRmT2_T3_T4_T5_mT6_T7_P12ihipStream_tbENKUlT_T0_E_clISt17integral_constantIbLb1EESY_EEDaST_SU_EUlST_E_NS1_11comp_targetILNS1_3genE9ELNS1_11target_archE1100ELNS1_3gpuE3ELNS1_3repE0EEENS1_30default_config_static_selectorELNS0_4arch9wavefront6targetE1EEEvT1_: ; @_ZN7rocprim17ROCPRIM_400000_NS6detail17trampoline_kernelINS0_14default_configENS1_27scan_by_key_config_selectorIxxEEZZNS1_16scan_by_key_implILNS1_25lookback_scan_determinismE0ELb1ES3_N6thrust23THRUST_200600_302600_NS6detail15normal_iteratorINS9_10device_ptrIxEEEESE_SE_xNS9_4plusIxEE19head_flag_predicatexEE10hipError_tPvRmT2_T3_T4_T5_mT6_T7_P12ihipStream_tbENKUlT_T0_E_clISt17integral_constantIbLb1EESY_EEDaST_SU_EUlST_E_NS1_11comp_targetILNS1_3genE9ELNS1_11target_archE1100ELNS1_3gpuE3ELNS1_3repE0EEENS1_30default_config_static_selectorELNS0_4arch9wavefront6targetE1EEEvT1_
; %bb.0:
	.section	.rodata,"a",@progbits
	.p2align	6, 0x0
	.amdhsa_kernel _ZN7rocprim17ROCPRIM_400000_NS6detail17trampoline_kernelINS0_14default_configENS1_27scan_by_key_config_selectorIxxEEZZNS1_16scan_by_key_implILNS1_25lookback_scan_determinismE0ELb1ES3_N6thrust23THRUST_200600_302600_NS6detail15normal_iteratorINS9_10device_ptrIxEEEESE_SE_xNS9_4plusIxEE19head_flag_predicatexEE10hipError_tPvRmT2_T3_T4_T5_mT6_T7_P12ihipStream_tbENKUlT_T0_E_clISt17integral_constantIbLb1EESY_EEDaST_SU_EUlST_E_NS1_11comp_targetILNS1_3genE9ELNS1_11target_archE1100ELNS1_3gpuE3ELNS1_3repE0EEENS1_30default_config_static_selectorELNS0_4arch9wavefront6targetE1EEEvT1_
		.amdhsa_group_segment_fixed_size 0
		.amdhsa_private_segment_fixed_size 0
		.amdhsa_kernarg_size 136
		.amdhsa_user_sgpr_count 2
		.amdhsa_user_sgpr_dispatch_ptr 0
		.amdhsa_user_sgpr_queue_ptr 0
		.amdhsa_user_sgpr_kernarg_segment_ptr 1
		.amdhsa_user_sgpr_dispatch_id 0
		.amdhsa_user_sgpr_kernarg_preload_length 0
		.amdhsa_user_sgpr_kernarg_preload_offset 0
		.amdhsa_user_sgpr_private_segment_size 0
		.amdhsa_uses_dynamic_stack 0
		.amdhsa_enable_private_segment 0
		.amdhsa_system_sgpr_workgroup_id_x 1
		.amdhsa_system_sgpr_workgroup_id_y 0
		.amdhsa_system_sgpr_workgroup_id_z 0
		.amdhsa_system_sgpr_workgroup_info 0
		.amdhsa_system_vgpr_workitem_id 0
		.amdhsa_next_free_vgpr 1
		.amdhsa_next_free_sgpr 0
		.amdhsa_accum_offset 4
		.amdhsa_reserve_vcc 0
		.amdhsa_float_round_mode_32 0
		.amdhsa_float_round_mode_16_64 0
		.amdhsa_float_denorm_mode_32 3
		.amdhsa_float_denorm_mode_16_64 3
		.amdhsa_dx10_clamp 1
		.amdhsa_ieee_mode 1
		.amdhsa_fp16_overflow 0
		.amdhsa_tg_split 0
		.amdhsa_exception_fp_ieee_invalid_op 0
		.amdhsa_exception_fp_denorm_src 0
		.amdhsa_exception_fp_ieee_div_zero 0
		.amdhsa_exception_fp_ieee_overflow 0
		.amdhsa_exception_fp_ieee_underflow 0
		.amdhsa_exception_fp_ieee_inexact 0
		.amdhsa_exception_int_div_zero 0
	.end_amdhsa_kernel
	.section	.text._ZN7rocprim17ROCPRIM_400000_NS6detail17trampoline_kernelINS0_14default_configENS1_27scan_by_key_config_selectorIxxEEZZNS1_16scan_by_key_implILNS1_25lookback_scan_determinismE0ELb1ES3_N6thrust23THRUST_200600_302600_NS6detail15normal_iteratorINS9_10device_ptrIxEEEESE_SE_xNS9_4plusIxEE19head_flag_predicatexEE10hipError_tPvRmT2_T3_T4_T5_mT6_T7_P12ihipStream_tbENKUlT_T0_E_clISt17integral_constantIbLb1EESY_EEDaST_SU_EUlST_E_NS1_11comp_targetILNS1_3genE9ELNS1_11target_archE1100ELNS1_3gpuE3ELNS1_3repE0EEENS1_30default_config_static_selectorELNS0_4arch9wavefront6targetE1EEEvT1_,"axG",@progbits,_ZN7rocprim17ROCPRIM_400000_NS6detail17trampoline_kernelINS0_14default_configENS1_27scan_by_key_config_selectorIxxEEZZNS1_16scan_by_key_implILNS1_25lookback_scan_determinismE0ELb1ES3_N6thrust23THRUST_200600_302600_NS6detail15normal_iteratorINS9_10device_ptrIxEEEESE_SE_xNS9_4plusIxEE19head_flag_predicatexEE10hipError_tPvRmT2_T3_T4_T5_mT6_T7_P12ihipStream_tbENKUlT_T0_E_clISt17integral_constantIbLb1EESY_EEDaST_SU_EUlST_E_NS1_11comp_targetILNS1_3genE9ELNS1_11target_archE1100ELNS1_3gpuE3ELNS1_3repE0EEENS1_30default_config_static_selectorELNS0_4arch9wavefront6targetE1EEEvT1_,comdat
.Lfunc_end729:
	.size	_ZN7rocprim17ROCPRIM_400000_NS6detail17trampoline_kernelINS0_14default_configENS1_27scan_by_key_config_selectorIxxEEZZNS1_16scan_by_key_implILNS1_25lookback_scan_determinismE0ELb1ES3_N6thrust23THRUST_200600_302600_NS6detail15normal_iteratorINS9_10device_ptrIxEEEESE_SE_xNS9_4plusIxEE19head_flag_predicatexEE10hipError_tPvRmT2_T3_T4_T5_mT6_T7_P12ihipStream_tbENKUlT_T0_E_clISt17integral_constantIbLb1EESY_EEDaST_SU_EUlST_E_NS1_11comp_targetILNS1_3genE9ELNS1_11target_archE1100ELNS1_3gpuE3ELNS1_3repE0EEENS1_30default_config_static_selectorELNS0_4arch9wavefront6targetE1EEEvT1_, .Lfunc_end729-_ZN7rocprim17ROCPRIM_400000_NS6detail17trampoline_kernelINS0_14default_configENS1_27scan_by_key_config_selectorIxxEEZZNS1_16scan_by_key_implILNS1_25lookback_scan_determinismE0ELb1ES3_N6thrust23THRUST_200600_302600_NS6detail15normal_iteratorINS9_10device_ptrIxEEEESE_SE_xNS9_4plusIxEE19head_flag_predicatexEE10hipError_tPvRmT2_T3_T4_T5_mT6_T7_P12ihipStream_tbENKUlT_T0_E_clISt17integral_constantIbLb1EESY_EEDaST_SU_EUlST_E_NS1_11comp_targetILNS1_3genE9ELNS1_11target_archE1100ELNS1_3gpuE3ELNS1_3repE0EEENS1_30default_config_static_selectorELNS0_4arch9wavefront6targetE1EEEvT1_
                                        ; -- End function
	.section	.AMDGPU.csdata,"",@progbits
; Kernel info:
; codeLenInByte = 0
; NumSgprs: 6
; NumVgprs: 0
; NumAgprs: 0
; TotalNumVgprs: 0
; ScratchSize: 0
; MemoryBound: 0
; FloatMode: 240
; IeeeMode: 1
; LDSByteSize: 0 bytes/workgroup (compile time only)
; SGPRBlocks: 0
; VGPRBlocks: 0
; NumSGPRsForWavesPerEU: 6
; NumVGPRsForWavesPerEU: 1
; AccumOffset: 4
; Occupancy: 8
; WaveLimiterHint : 0
; COMPUTE_PGM_RSRC2:SCRATCH_EN: 0
; COMPUTE_PGM_RSRC2:USER_SGPR: 2
; COMPUTE_PGM_RSRC2:TRAP_HANDLER: 0
; COMPUTE_PGM_RSRC2:TGID_X_EN: 1
; COMPUTE_PGM_RSRC2:TGID_Y_EN: 0
; COMPUTE_PGM_RSRC2:TGID_Z_EN: 0
; COMPUTE_PGM_RSRC2:TIDIG_COMP_CNT: 0
; COMPUTE_PGM_RSRC3_GFX90A:ACCUM_OFFSET: 0
; COMPUTE_PGM_RSRC3_GFX90A:TG_SPLIT: 0
	.section	.text._ZN7rocprim17ROCPRIM_400000_NS6detail17trampoline_kernelINS0_14default_configENS1_27scan_by_key_config_selectorIxxEEZZNS1_16scan_by_key_implILNS1_25lookback_scan_determinismE0ELb1ES3_N6thrust23THRUST_200600_302600_NS6detail15normal_iteratorINS9_10device_ptrIxEEEESE_SE_xNS9_4plusIxEE19head_flag_predicatexEE10hipError_tPvRmT2_T3_T4_T5_mT6_T7_P12ihipStream_tbENKUlT_T0_E_clISt17integral_constantIbLb1EESY_EEDaST_SU_EUlST_E_NS1_11comp_targetILNS1_3genE8ELNS1_11target_archE1030ELNS1_3gpuE2ELNS1_3repE0EEENS1_30default_config_static_selectorELNS0_4arch9wavefront6targetE1EEEvT1_,"axG",@progbits,_ZN7rocprim17ROCPRIM_400000_NS6detail17trampoline_kernelINS0_14default_configENS1_27scan_by_key_config_selectorIxxEEZZNS1_16scan_by_key_implILNS1_25lookback_scan_determinismE0ELb1ES3_N6thrust23THRUST_200600_302600_NS6detail15normal_iteratorINS9_10device_ptrIxEEEESE_SE_xNS9_4plusIxEE19head_flag_predicatexEE10hipError_tPvRmT2_T3_T4_T5_mT6_T7_P12ihipStream_tbENKUlT_T0_E_clISt17integral_constantIbLb1EESY_EEDaST_SU_EUlST_E_NS1_11comp_targetILNS1_3genE8ELNS1_11target_archE1030ELNS1_3gpuE2ELNS1_3repE0EEENS1_30default_config_static_selectorELNS0_4arch9wavefront6targetE1EEEvT1_,comdat
	.protected	_ZN7rocprim17ROCPRIM_400000_NS6detail17trampoline_kernelINS0_14default_configENS1_27scan_by_key_config_selectorIxxEEZZNS1_16scan_by_key_implILNS1_25lookback_scan_determinismE0ELb1ES3_N6thrust23THRUST_200600_302600_NS6detail15normal_iteratorINS9_10device_ptrIxEEEESE_SE_xNS9_4plusIxEE19head_flag_predicatexEE10hipError_tPvRmT2_T3_T4_T5_mT6_T7_P12ihipStream_tbENKUlT_T0_E_clISt17integral_constantIbLb1EESY_EEDaST_SU_EUlST_E_NS1_11comp_targetILNS1_3genE8ELNS1_11target_archE1030ELNS1_3gpuE2ELNS1_3repE0EEENS1_30default_config_static_selectorELNS0_4arch9wavefront6targetE1EEEvT1_ ; -- Begin function _ZN7rocprim17ROCPRIM_400000_NS6detail17trampoline_kernelINS0_14default_configENS1_27scan_by_key_config_selectorIxxEEZZNS1_16scan_by_key_implILNS1_25lookback_scan_determinismE0ELb1ES3_N6thrust23THRUST_200600_302600_NS6detail15normal_iteratorINS9_10device_ptrIxEEEESE_SE_xNS9_4plusIxEE19head_flag_predicatexEE10hipError_tPvRmT2_T3_T4_T5_mT6_T7_P12ihipStream_tbENKUlT_T0_E_clISt17integral_constantIbLb1EESY_EEDaST_SU_EUlST_E_NS1_11comp_targetILNS1_3genE8ELNS1_11target_archE1030ELNS1_3gpuE2ELNS1_3repE0EEENS1_30default_config_static_selectorELNS0_4arch9wavefront6targetE1EEEvT1_
	.globl	_ZN7rocprim17ROCPRIM_400000_NS6detail17trampoline_kernelINS0_14default_configENS1_27scan_by_key_config_selectorIxxEEZZNS1_16scan_by_key_implILNS1_25lookback_scan_determinismE0ELb1ES3_N6thrust23THRUST_200600_302600_NS6detail15normal_iteratorINS9_10device_ptrIxEEEESE_SE_xNS9_4plusIxEE19head_flag_predicatexEE10hipError_tPvRmT2_T3_T4_T5_mT6_T7_P12ihipStream_tbENKUlT_T0_E_clISt17integral_constantIbLb1EESY_EEDaST_SU_EUlST_E_NS1_11comp_targetILNS1_3genE8ELNS1_11target_archE1030ELNS1_3gpuE2ELNS1_3repE0EEENS1_30default_config_static_selectorELNS0_4arch9wavefront6targetE1EEEvT1_
	.p2align	8
	.type	_ZN7rocprim17ROCPRIM_400000_NS6detail17trampoline_kernelINS0_14default_configENS1_27scan_by_key_config_selectorIxxEEZZNS1_16scan_by_key_implILNS1_25lookback_scan_determinismE0ELb1ES3_N6thrust23THRUST_200600_302600_NS6detail15normal_iteratorINS9_10device_ptrIxEEEESE_SE_xNS9_4plusIxEE19head_flag_predicatexEE10hipError_tPvRmT2_T3_T4_T5_mT6_T7_P12ihipStream_tbENKUlT_T0_E_clISt17integral_constantIbLb1EESY_EEDaST_SU_EUlST_E_NS1_11comp_targetILNS1_3genE8ELNS1_11target_archE1030ELNS1_3gpuE2ELNS1_3repE0EEENS1_30default_config_static_selectorELNS0_4arch9wavefront6targetE1EEEvT1_,@function
_ZN7rocprim17ROCPRIM_400000_NS6detail17trampoline_kernelINS0_14default_configENS1_27scan_by_key_config_selectorIxxEEZZNS1_16scan_by_key_implILNS1_25lookback_scan_determinismE0ELb1ES3_N6thrust23THRUST_200600_302600_NS6detail15normal_iteratorINS9_10device_ptrIxEEEESE_SE_xNS9_4plusIxEE19head_flag_predicatexEE10hipError_tPvRmT2_T3_T4_T5_mT6_T7_P12ihipStream_tbENKUlT_T0_E_clISt17integral_constantIbLb1EESY_EEDaST_SU_EUlST_E_NS1_11comp_targetILNS1_3genE8ELNS1_11target_archE1030ELNS1_3gpuE2ELNS1_3repE0EEENS1_30default_config_static_selectorELNS0_4arch9wavefront6targetE1EEEvT1_: ; @_ZN7rocprim17ROCPRIM_400000_NS6detail17trampoline_kernelINS0_14default_configENS1_27scan_by_key_config_selectorIxxEEZZNS1_16scan_by_key_implILNS1_25lookback_scan_determinismE0ELb1ES3_N6thrust23THRUST_200600_302600_NS6detail15normal_iteratorINS9_10device_ptrIxEEEESE_SE_xNS9_4plusIxEE19head_flag_predicatexEE10hipError_tPvRmT2_T3_T4_T5_mT6_T7_P12ihipStream_tbENKUlT_T0_E_clISt17integral_constantIbLb1EESY_EEDaST_SU_EUlST_E_NS1_11comp_targetILNS1_3genE8ELNS1_11target_archE1030ELNS1_3gpuE2ELNS1_3repE0EEENS1_30default_config_static_selectorELNS0_4arch9wavefront6targetE1EEEvT1_
; %bb.0:
	.section	.rodata,"a",@progbits
	.p2align	6, 0x0
	.amdhsa_kernel _ZN7rocprim17ROCPRIM_400000_NS6detail17trampoline_kernelINS0_14default_configENS1_27scan_by_key_config_selectorIxxEEZZNS1_16scan_by_key_implILNS1_25lookback_scan_determinismE0ELb1ES3_N6thrust23THRUST_200600_302600_NS6detail15normal_iteratorINS9_10device_ptrIxEEEESE_SE_xNS9_4plusIxEE19head_flag_predicatexEE10hipError_tPvRmT2_T3_T4_T5_mT6_T7_P12ihipStream_tbENKUlT_T0_E_clISt17integral_constantIbLb1EESY_EEDaST_SU_EUlST_E_NS1_11comp_targetILNS1_3genE8ELNS1_11target_archE1030ELNS1_3gpuE2ELNS1_3repE0EEENS1_30default_config_static_selectorELNS0_4arch9wavefront6targetE1EEEvT1_
		.amdhsa_group_segment_fixed_size 0
		.amdhsa_private_segment_fixed_size 0
		.amdhsa_kernarg_size 136
		.amdhsa_user_sgpr_count 2
		.amdhsa_user_sgpr_dispatch_ptr 0
		.amdhsa_user_sgpr_queue_ptr 0
		.amdhsa_user_sgpr_kernarg_segment_ptr 1
		.amdhsa_user_sgpr_dispatch_id 0
		.amdhsa_user_sgpr_kernarg_preload_length 0
		.amdhsa_user_sgpr_kernarg_preload_offset 0
		.amdhsa_user_sgpr_private_segment_size 0
		.amdhsa_uses_dynamic_stack 0
		.amdhsa_enable_private_segment 0
		.amdhsa_system_sgpr_workgroup_id_x 1
		.amdhsa_system_sgpr_workgroup_id_y 0
		.amdhsa_system_sgpr_workgroup_id_z 0
		.amdhsa_system_sgpr_workgroup_info 0
		.amdhsa_system_vgpr_workitem_id 0
		.amdhsa_next_free_vgpr 1
		.amdhsa_next_free_sgpr 0
		.amdhsa_accum_offset 4
		.amdhsa_reserve_vcc 0
		.amdhsa_float_round_mode_32 0
		.amdhsa_float_round_mode_16_64 0
		.amdhsa_float_denorm_mode_32 3
		.amdhsa_float_denorm_mode_16_64 3
		.amdhsa_dx10_clamp 1
		.amdhsa_ieee_mode 1
		.amdhsa_fp16_overflow 0
		.amdhsa_tg_split 0
		.amdhsa_exception_fp_ieee_invalid_op 0
		.amdhsa_exception_fp_denorm_src 0
		.amdhsa_exception_fp_ieee_div_zero 0
		.amdhsa_exception_fp_ieee_overflow 0
		.amdhsa_exception_fp_ieee_underflow 0
		.amdhsa_exception_fp_ieee_inexact 0
		.amdhsa_exception_int_div_zero 0
	.end_amdhsa_kernel
	.section	.text._ZN7rocprim17ROCPRIM_400000_NS6detail17trampoline_kernelINS0_14default_configENS1_27scan_by_key_config_selectorIxxEEZZNS1_16scan_by_key_implILNS1_25lookback_scan_determinismE0ELb1ES3_N6thrust23THRUST_200600_302600_NS6detail15normal_iteratorINS9_10device_ptrIxEEEESE_SE_xNS9_4plusIxEE19head_flag_predicatexEE10hipError_tPvRmT2_T3_T4_T5_mT6_T7_P12ihipStream_tbENKUlT_T0_E_clISt17integral_constantIbLb1EESY_EEDaST_SU_EUlST_E_NS1_11comp_targetILNS1_3genE8ELNS1_11target_archE1030ELNS1_3gpuE2ELNS1_3repE0EEENS1_30default_config_static_selectorELNS0_4arch9wavefront6targetE1EEEvT1_,"axG",@progbits,_ZN7rocprim17ROCPRIM_400000_NS6detail17trampoline_kernelINS0_14default_configENS1_27scan_by_key_config_selectorIxxEEZZNS1_16scan_by_key_implILNS1_25lookback_scan_determinismE0ELb1ES3_N6thrust23THRUST_200600_302600_NS6detail15normal_iteratorINS9_10device_ptrIxEEEESE_SE_xNS9_4plusIxEE19head_flag_predicatexEE10hipError_tPvRmT2_T3_T4_T5_mT6_T7_P12ihipStream_tbENKUlT_T0_E_clISt17integral_constantIbLb1EESY_EEDaST_SU_EUlST_E_NS1_11comp_targetILNS1_3genE8ELNS1_11target_archE1030ELNS1_3gpuE2ELNS1_3repE0EEENS1_30default_config_static_selectorELNS0_4arch9wavefront6targetE1EEEvT1_,comdat
.Lfunc_end730:
	.size	_ZN7rocprim17ROCPRIM_400000_NS6detail17trampoline_kernelINS0_14default_configENS1_27scan_by_key_config_selectorIxxEEZZNS1_16scan_by_key_implILNS1_25lookback_scan_determinismE0ELb1ES3_N6thrust23THRUST_200600_302600_NS6detail15normal_iteratorINS9_10device_ptrIxEEEESE_SE_xNS9_4plusIxEE19head_flag_predicatexEE10hipError_tPvRmT2_T3_T4_T5_mT6_T7_P12ihipStream_tbENKUlT_T0_E_clISt17integral_constantIbLb1EESY_EEDaST_SU_EUlST_E_NS1_11comp_targetILNS1_3genE8ELNS1_11target_archE1030ELNS1_3gpuE2ELNS1_3repE0EEENS1_30default_config_static_selectorELNS0_4arch9wavefront6targetE1EEEvT1_, .Lfunc_end730-_ZN7rocprim17ROCPRIM_400000_NS6detail17trampoline_kernelINS0_14default_configENS1_27scan_by_key_config_selectorIxxEEZZNS1_16scan_by_key_implILNS1_25lookback_scan_determinismE0ELb1ES3_N6thrust23THRUST_200600_302600_NS6detail15normal_iteratorINS9_10device_ptrIxEEEESE_SE_xNS9_4plusIxEE19head_flag_predicatexEE10hipError_tPvRmT2_T3_T4_T5_mT6_T7_P12ihipStream_tbENKUlT_T0_E_clISt17integral_constantIbLb1EESY_EEDaST_SU_EUlST_E_NS1_11comp_targetILNS1_3genE8ELNS1_11target_archE1030ELNS1_3gpuE2ELNS1_3repE0EEENS1_30default_config_static_selectorELNS0_4arch9wavefront6targetE1EEEvT1_
                                        ; -- End function
	.section	.AMDGPU.csdata,"",@progbits
; Kernel info:
; codeLenInByte = 0
; NumSgprs: 6
; NumVgprs: 0
; NumAgprs: 0
; TotalNumVgprs: 0
; ScratchSize: 0
; MemoryBound: 0
; FloatMode: 240
; IeeeMode: 1
; LDSByteSize: 0 bytes/workgroup (compile time only)
; SGPRBlocks: 0
; VGPRBlocks: 0
; NumSGPRsForWavesPerEU: 6
; NumVGPRsForWavesPerEU: 1
; AccumOffset: 4
; Occupancy: 8
; WaveLimiterHint : 0
; COMPUTE_PGM_RSRC2:SCRATCH_EN: 0
; COMPUTE_PGM_RSRC2:USER_SGPR: 2
; COMPUTE_PGM_RSRC2:TRAP_HANDLER: 0
; COMPUTE_PGM_RSRC2:TGID_X_EN: 1
; COMPUTE_PGM_RSRC2:TGID_Y_EN: 0
; COMPUTE_PGM_RSRC2:TGID_Z_EN: 0
; COMPUTE_PGM_RSRC2:TIDIG_COMP_CNT: 0
; COMPUTE_PGM_RSRC3_GFX90A:ACCUM_OFFSET: 0
; COMPUTE_PGM_RSRC3_GFX90A:TG_SPLIT: 0
	.section	.text._ZN7rocprim17ROCPRIM_400000_NS6detail17trampoline_kernelINS0_14default_configENS1_27scan_by_key_config_selectorIxxEEZZNS1_16scan_by_key_implILNS1_25lookback_scan_determinismE0ELb1ES3_N6thrust23THRUST_200600_302600_NS6detail15normal_iteratorINS9_10device_ptrIxEEEESE_SE_xNS9_4plusIxEE19head_flag_predicatexEE10hipError_tPvRmT2_T3_T4_T5_mT6_T7_P12ihipStream_tbENKUlT_T0_E_clISt17integral_constantIbLb1EESX_IbLb0EEEEDaST_SU_EUlST_E_NS1_11comp_targetILNS1_3genE0ELNS1_11target_archE4294967295ELNS1_3gpuE0ELNS1_3repE0EEENS1_30default_config_static_selectorELNS0_4arch9wavefront6targetE1EEEvT1_,"axG",@progbits,_ZN7rocprim17ROCPRIM_400000_NS6detail17trampoline_kernelINS0_14default_configENS1_27scan_by_key_config_selectorIxxEEZZNS1_16scan_by_key_implILNS1_25lookback_scan_determinismE0ELb1ES3_N6thrust23THRUST_200600_302600_NS6detail15normal_iteratorINS9_10device_ptrIxEEEESE_SE_xNS9_4plusIxEE19head_flag_predicatexEE10hipError_tPvRmT2_T3_T4_T5_mT6_T7_P12ihipStream_tbENKUlT_T0_E_clISt17integral_constantIbLb1EESX_IbLb0EEEEDaST_SU_EUlST_E_NS1_11comp_targetILNS1_3genE0ELNS1_11target_archE4294967295ELNS1_3gpuE0ELNS1_3repE0EEENS1_30default_config_static_selectorELNS0_4arch9wavefront6targetE1EEEvT1_,comdat
	.protected	_ZN7rocprim17ROCPRIM_400000_NS6detail17trampoline_kernelINS0_14default_configENS1_27scan_by_key_config_selectorIxxEEZZNS1_16scan_by_key_implILNS1_25lookback_scan_determinismE0ELb1ES3_N6thrust23THRUST_200600_302600_NS6detail15normal_iteratorINS9_10device_ptrIxEEEESE_SE_xNS9_4plusIxEE19head_flag_predicatexEE10hipError_tPvRmT2_T3_T4_T5_mT6_T7_P12ihipStream_tbENKUlT_T0_E_clISt17integral_constantIbLb1EESX_IbLb0EEEEDaST_SU_EUlST_E_NS1_11comp_targetILNS1_3genE0ELNS1_11target_archE4294967295ELNS1_3gpuE0ELNS1_3repE0EEENS1_30default_config_static_selectorELNS0_4arch9wavefront6targetE1EEEvT1_ ; -- Begin function _ZN7rocprim17ROCPRIM_400000_NS6detail17trampoline_kernelINS0_14default_configENS1_27scan_by_key_config_selectorIxxEEZZNS1_16scan_by_key_implILNS1_25lookback_scan_determinismE0ELb1ES3_N6thrust23THRUST_200600_302600_NS6detail15normal_iteratorINS9_10device_ptrIxEEEESE_SE_xNS9_4plusIxEE19head_flag_predicatexEE10hipError_tPvRmT2_T3_T4_T5_mT6_T7_P12ihipStream_tbENKUlT_T0_E_clISt17integral_constantIbLb1EESX_IbLb0EEEEDaST_SU_EUlST_E_NS1_11comp_targetILNS1_3genE0ELNS1_11target_archE4294967295ELNS1_3gpuE0ELNS1_3repE0EEENS1_30default_config_static_selectorELNS0_4arch9wavefront6targetE1EEEvT1_
	.globl	_ZN7rocprim17ROCPRIM_400000_NS6detail17trampoline_kernelINS0_14default_configENS1_27scan_by_key_config_selectorIxxEEZZNS1_16scan_by_key_implILNS1_25lookback_scan_determinismE0ELb1ES3_N6thrust23THRUST_200600_302600_NS6detail15normal_iteratorINS9_10device_ptrIxEEEESE_SE_xNS9_4plusIxEE19head_flag_predicatexEE10hipError_tPvRmT2_T3_T4_T5_mT6_T7_P12ihipStream_tbENKUlT_T0_E_clISt17integral_constantIbLb1EESX_IbLb0EEEEDaST_SU_EUlST_E_NS1_11comp_targetILNS1_3genE0ELNS1_11target_archE4294967295ELNS1_3gpuE0ELNS1_3repE0EEENS1_30default_config_static_selectorELNS0_4arch9wavefront6targetE1EEEvT1_
	.p2align	8
	.type	_ZN7rocprim17ROCPRIM_400000_NS6detail17trampoline_kernelINS0_14default_configENS1_27scan_by_key_config_selectorIxxEEZZNS1_16scan_by_key_implILNS1_25lookback_scan_determinismE0ELb1ES3_N6thrust23THRUST_200600_302600_NS6detail15normal_iteratorINS9_10device_ptrIxEEEESE_SE_xNS9_4plusIxEE19head_flag_predicatexEE10hipError_tPvRmT2_T3_T4_T5_mT6_T7_P12ihipStream_tbENKUlT_T0_E_clISt17integral_constantIbLb1EESX_IbLb0EEEEDaST_SU_EUlST_E_NS1_11comp_targetILNS1_3genE0ELNS1_11target_archE4294967295ELNS1_3gpuE0ELNS1_3repE0EEENS1_30default_config_static_selectorELNS0_4arch9wavefront6targetE1EEEvT1_,@function
_ZN7rocprim17ROCPRIM_400000_NS6detail17trampoline_kernelINS0_14default_configENS1_27scan_by_key_config_selectorIxxEEZZNS1_16scan_by_key_implILNS1_25lookback_scan_determinismE0ELb1ES3_N6thrust23THRUST_200600_302600_NS6detail15normal_iteratorINS9_10device_ptrIxEEEESE_SE_xNS9_4plusIxEE19head_flag_predicatexEE10hipError_tPvRmT2_T3_T4_T5_mT6_T7_P12ihipStream_tbENKUlT_T0_E_clISt17integral_constantIbLb1EESX_IbLb0EEEEDaST_SU_EUlST_E_NS1_11comp_targetILNS1_3genE0ELNS1_11target_archE4294967295ELNS1_3gpuE0ELNS1_3repE0EEENS1_30default_config_static_selectorELNS0_4arch9wavefront6targetE1EEEvT1_: ; @_ZN7rocprim17ROCPRIM_400000_NS6detail17trampoline_kernelINS0_14default_configENS1_27scan_by_key_config_selectorIxxEEZZNS1_16scan_by_key_implILNS1_25lookback_scan_determinismE0ELb1ES3_N6thrust23THRUST_200600_302600_NS6detail15normal_iteratorINS9_10device_ptrIxEEEESE_SE_xNS9_4plusIxEE19head_flag_predicatexEE10hipError_tPvRmT2_T3_T4_T5_mT6_T7_P12ihipStream_tbENKUlT_T0_E_clISt17integral_constantIbLb1EESX_IbLb0EEEEDaST_SU_EUlST_E_NS1_11comp_targetILNS1_3genE0ELNS1_11target_archE4294967295ELNS1_3gpuE0ELNS1_3repE0EEENS1_30default_config_static_selectorELNS0_4arch9wavefront6targetE1EEEvT1_
; %bb.0:
	.section	.rodata,"a",@progbits
	.p2align	6, 0x0
	.amdhsa_kernel _ZN7rocprim17ROCPRIM_400000_NS6detail17trampoline_kernelINS0_14default_configENS1_27scan_by_key_config_selectorIxxEEZZNS1_16scan_by_key_implILNS1_25lookback_scan_determinismE0ELb1ES3_N6thrust23THRUST_200600_302600_NS6detail15normal_iteratorINS9_10device_ptrIxEEEESE_SE_xNS9_4plusIxEE19head_flag_predicatexEE10hipError_tPvRmT2_T3_T4_T5_mT6_T7_P12ihipStream_tbENKUlT_T0_E_clISt17integral_constantIbLb1EESX_IbLb0EEEEDaST_SU_EUlST_E_NS1_11comp_targetILNS1_3genE0ELNS1_11target_archE4294967295ELNS1_3gpuE0ELNS1_3repE0EEENS1_30default_config_static_selectorELNS0_4arch9wavefront6targetE1EEEvT1_
		.amdhsa_group_segment_fixed_size 0
		.amdhsa_private_segment_fixed_size 0
		.amdhsa_kernarg_size 136
		.amdhsa_user_sgpr_count 2
		.amdhsa_user_sgpr_dispatch_ptr 0
		.amdhsa_user_sgpr_queue_ptr 0
		.amdhsa_user_sgpr_kernarg_segment_ptr 1
		.amdhsa_user_sgpr_dispatch_id 0
		.amdhsa_user_sgpr_kernarg_preload_length 0
		.amdhsa_user_sgpr_kernarg_preload_offset 0
		.amdhsa_user_sgpr_private_segment_size 0
		.amdhsa_uses_dynamic_stack 0
		.amdhsa_enable_private_segment 0
		.amdhsa_system_sgpr_workgroup_id_x 1
		.amdhsa_system_sgpr_workgroup_id_y 0
		.amdhsa_system_sgpr_workgroup_id_z 0
		.amdhsa_system_sgpr_workgroup_info 0
		.amdhsa_system_vgpr_workitem_id 0
		.amdhsa_next_free_vgpr 1
		.amdhsa_next_free_sgpr 0
		.amdhsa_accum_offset 4
		.amdhsa_reserve_vcc 0
		.amdhsa_float_round_mode_32 0
		.amdhsa_float_round_mode_16_64 0
		.amdhsa_float_denorm_mode_32 3
		.amdhsa_float_denorm_mode_16_64 3
		.amdhsa_dx10_clamp 1
		.amdhsa_ieee_mode 1
		.amdhsa_fp16_overflow 0
		.amdhsa_tg_split 0
		.amdhsa_exception_fp_ieee_invalid_op 0
		.amdhsa_exception_fp_denorm_src 0
		.amdhsa_exception_fp_ieee_div_zero 0
		.amdhsa_exception_fp_ieee_overflow 0
		.amdhsa_exception_fp_ieee_underflow 0
		.amdhsa_exception_fp_ieee_inexact 0
		.amdhsa_exception_int_div_zero 0
	.end_amdhsa_kernel
	.section	.text._ZN7rocprim17ROCPRIM_400000_NS6detail17trampoline_kernelINS0_14default_configENS1_27scan_by_key_config_selectorIxxEEZZNS1_16scan_by_key_implILNS1_25lookback_scan_determinismE0ELb1ES3_N6thrust23THRUST_200600_302600_NS6detail15normal_iteratorINS9_10device_ptrIxEEEESE_SE_xNS9_4plusIxEE19head_flag_predicatexEE10hipError_tPvRmT2_T3_T4_T5_mT6_T7_P12ihipStream_tbENKUlT_T0_E_clISt17integral_constantIbLb1EESX_IbLb0EEEEDaST_SU_EUlST_E_NS1_11comp_targetILNS1_3genE0ELNS1_11target_archE4294967295ELNS1_3gpuE0ELNS1_3repE0EEENS1_30default_config_static_selectorELNS0_4arch9wavefront6targetE1EEEvT1_,"axG",@progbits,_ZN7rocprim17ROCPRIM_400000_NS6detail17trampoline_kernelINS0_14default_configENS1_27scan_by_key_config_selectorIxxEEZZNS1_16scan_by_key_implILNS1_25lookback_scan_determinismE0ELb1ES3_N6thrust23THRUST_200600_302600_NS6detail15normal_iteratorINS9_10device_ptrIxEEEESE_SE_xNS9_4plusIxEE19head_flag_predicatexEE10hipError_tPvRmT2_T3_T4_T5_mT6_T7_P12ihipStream_tbENKUlT_T0_E_clISt17integral_constantIbLb1EESX_IbLb0EEEEDaST_SU_EUlST_E_NS1_11comp_targetILNS1_3genE0ELNS1_11target_archE4294967295ELNS1_3gpuE0ELNS1_3repE0EEENS1_30default_config_static_selectorELNS0_4arch9wavefront6targetE1EEEvT1_,comdat
.Lfunc_end731:
	.size	_ZN7rocprim17ROCPRIM_400000_NS6detail17trampoline_kernelINS0_14default_configENS1_27scan_by_key_config_selectorIxxEEZZNS1_16scan_by_key_implILNS1_25lookback_scan_determinismE0ELb1ES3_N6thrust23THRUST_200600_302600_NS6detail15normal_iteratorINS9_10device_ptrIxEEEESE_SE_xNS9_4plusIxEE19head_flag_predicatexEE10hipError_tPvRmT2_T3_T4_T5_mT6_T7_P12ihipStream_tbENKUlT_T0_E_clISt17integral_constantIbLb1EESX_IbLb0EEEEDaST_SU_EUlST_E_NS1_11comp_targetILNS1_3genE0ELNS1_11target_archE4294967295ELNS1_3gpuE0ELNS1_3repE0EEENS1_30default_config_static_selectorELNS0_4arch9wavefront6targetE1EEEvT1_, .Lfunc_end731-_ZN7rocprim17ROCPRIM_400000_NS6detail17trampoline_kernelINS0_14default_configENS1_27scan_by_key_config_selectorIxxEEZZNS1_16scan_by_key_implILNS1_25lookback_scan_determinismE0ELb1ES3_N6thrust23THRUST_200600_302600_NS6detail15normal_iteratorINS9_10device_ptrIxEEEESE_SE_xNS9_4plusIxEE19head_flag_predicatexEE10hipError_tPvRmT2_T3_T4_T5_mT6_T7_P12ihipStream_tbENKUlT_T0_E_clISt17integral_constantIbLb1EESX_IbLb0EEEEDaST_SU_EUlST_E_NS1_11comp_targetILNS1_3genE0ELNS1_11target_archE4294967295ELNS1_3gpuE0ELNS1_3repE0EEENS1_30default_config_static_selectorELNS0_4arch9wavefront6targetE1EEEvT1_
                                        ; -- End function
	.section	.AMDGPU.csdata,"",@progbits
; Kernel info:
; codeLenInByte = 0
; NumSgprs: 6
; NumVgprs: 0
; NumAgprs: 0
; TotalNumVgprs: 0
; ScratchSize: 0
; MemoryBound: 0
; FloatMode: 240
; IeeeMode: 1
; LDSByteSize: 0 bytes/workgroup (compile time only)
; SGPRBlocks: 0
; VGPRBlocks: 0
; NumSGPRsForWavesPerEU: 6
; NumVGPRsForWavesPerEU: 1
; AccumOffset: 4
; Occupancy: 8
; WaveLimiterHint : 0
; COMPUTE_PGM_RSRC2:SCRATCH_EN: 0
; COMPUTE_PGM_RSRC2:USER_SGPR: 2
; COMPUTE_PGM_RSRC2:TRAP_HANDLER: 0
; COMPUTE_PGM_RSRC2:TGID_X_EN: 1
; COMPUTE_PGM_RSRC2:TGID_Y_EN: 0
; COMPUTE_PGM_RSRC2:TGID_Z_EN: 0
; COMPUTE_PGM_RSRC2:TIDIG_COMP_CNT: 0
; COMPUTE_PGM_RSRC3_GFX90A:ACCUM_OFFSET: 0
; COMPUTE_PGM_RSRC3_GFX90A:TG_SPLIT: 0
	.section	.text._ZN7rocprim17ROCPRIM_400000_NS6detail17trampoline_kernelINS0_14default_configENS1_27scan_by_key_config_selectorIxxEEZZNS1_16scan_by_key_implILNS1_25lookback_scan_determinismE0ELb1ES3_N6thrust23THRUST_200600_302600_NS6detail15normal_iteratorINS9_10device_ptrIxEEEESE_SE_xNS9_4plusIxEE19head_flag_predicatexEE10hipError_tPvRmT2_T3_T4_T5_mT6_T7_P12ihipStream_tbENKUlT_T0_E_clISt17integral_constantIbLb1EESX_IbLb0EEEEDaST_SU_EUlST_E_NS1_11comp_targetILNS1_3genE10ELNS1_11target_archE1201ELNS1_3gpuE5ELNS1_3repE0EEENS1_30default_config_static_selectorELNS0_4arch9wavefront6targetE1EEEvT1_,"axG",@progbits,_ZN7rocprim17ROCPRIM_400000_NS6detail17trampoline_kernelINS0_14default_configENS1_27scan_by_key_config_selectorIxxEEZZNS1_16scan_by_key_implILNS1_25lookback_scan_determinismE0ELb1ES3_N6thrust23THRUST_200600_302600_NS6detail15normal_iteratorINS9_10device_ptrIxEEEESE_SE_xNS9_4plusIxEE19head_flag_predicatexEE10hipError_tPvRmT2_T3_T4_T5_mT6_T7_P12ihipStream_tbENKUlT_T0_E_clISt17integral_constantIbLb1EESX_IbLb0EEEEDaST_SU_EUlST_E_NS1_11comp_targetILNS1_3genE10ELNS1_11target_archE1201ELNS1_3gpuE5ELNS1_3repE0EEENS1_30default_config_static_selectorELNS0_4arch9wavefront6targetE1EEEvT1_,comdat
	.protected	_ZN7rocprim17ROCPRIM_400000_NS6detail17trampoline_kernelINS0_14default_configENS1_27scan_by_key_config_selectorIxxEEZZNS1_16scan_by_key_implILNS1_25lookback_scan_determinismE0ELb1ES3_N6thrust23THRUST_200600_302600_NS6detail15normal_iteratorINS9_10device_ptrIxEEEESE_SE_xNS9_4plusIxEE19head_flag_predicatexEE10hipError_tPvRmT2_T3_T4_T5_mT6_T7_P12ihipStream_tbENKUlT_T0_E_clISt17integral_constantIbLb1EESX_IbLb0EEEEDaST_SU_EUlST_E_NS1_11comp_targetILNS1_3genE10ELNS1_11target_archE1201ELNS1_3gpuE5ELNS1_3repE0EEENS1_30default_config_static_selectorELNS0_4arch9wavefront6targetE1EEEvT1_ ; -- Begin function _ZN7rocprim17ROCPRIM_400000_NS6detail17trampoline_kernelINS0_14default_configENS1_27scan_by_key_config_selectorIxxEEZZNS1_16scan_by_key_implILNS1_25lookback_scan_determinismE0ELb1ES3_N6thrust23THRUST_200600_302600_NS6detail15normal_iteratorINS9_10device_ptrIxEEEESE_SE_xNS9_4plusIxEE19head_flag_predicatexEE10hipError_tPvRmT2_T3_T4_T5_mT6_T7_P12ihipStream_tbENKUlT_T0_E_clISt17integral_constantIbLb1EESX_IbLb0EEEEDaST_SU_EUlST_E_NS1_11comp_targetILNS1_3genE10ELNS1_11target_archE1201ELNS1_3gpuE5ELNS1_3repE0EEENS1_30default_config_static_selectorELNS0_4arch9wavefront6targetE1EEEvT1_
	.globl	_ZN7rocprim17ROCPRIM_400000_NS6detail17trampoline_kernelINS0_14default_configENS1_27scan_by_key_config_selectorIxxEEZZNS1_16scan_by_key_implILNS1_25lookback_scan_determinismE0ELb1ES3_N6thrust23THRUST_200600_302600_NS6detail15normal_iteratorINS9_10device_ptrIxEEEESE_SE_xNS9_4plusIxEE19head_flag_predicatexEE10hipError_tPvRmT2_T3_T4_T5_mT6_T7_P12ihipStream_tbENKUlT_T0_E_clISt17integral_constantIbLb1EESX_IbLb0EEEEDaST_SU_EUlST_E_NS1_11comp_targetILNS1_3genE10ELNS1_11target_archE1201ELNS1_3gpuE5ELNS1_3repE0EEENS1_30default_config_static_selectorELNS0_4arch9wavefront6targetE1EEEvT1_
	.p2align	8
	.type	_ZN7rocprim17ROCPRIM_400000_NS6detail17trampoline_kernelINS0_14default_configENS1_27scan_by_key_config_selectorIxxEEZZNS1_16scan_by_key_implILNS1_25lookback_scan_determinismE0ELb1ES3_N6thrust23THRUST_200600_302600_NS6detail15normal_iteratorINS9_10device_ptrIxEEEESE_SE_xNS9_4plusIxEE19head_flag_predicatexEE10hipError_tPvRmT2_T3_T4_T5_mT6_T7_P12ihipStream_tbENKUlT_T0_E_clISt17integral_constantIbLb1EESX_IbLb0EEEEDaST_SU_EUlST_E_NS1_11comp_targetILNS1_3genE10ELNS1_11target_archE1201ELNS1_3gpuE5ELNS1_3repE0EEENS1_30default_config_static_selectorELNS0_4arch9wavefront6targetE1EEEvT1_,@function
_ZN7rocprim17ROCPRIM_400000_NS6detail17trampoline_kernelINS0_14default_configENS1_27scan_by_key_config_selectorIxxEEZZNS1_16scan_by_key_implILNS1_25lookback_scan_determinismE0ELb1ES3_N6thrust23THRUST_200600_302600_NS6detail15normal_iteratorINS9_10device_ptrIxEEEESE_SE_xNS9_4plusIxEE19head_flag_predicatexEE10hipError_tPvRmT2_T3_T4_T5_mT6_T7_P12ihipStream_tbENKUlT_T0_E_clISt17integral_constantIbLb1EESX_IbLb0EEEEDaST_SU_EUlST_E_NS1_11comp_targetILNS1_3genE10ELNS1_11target_archE1201ELNS1_3gpuE5ELNS1_3repE0EEENS1_30default_config_static_selectorELNS0_4arch9wavefront6targetE1EEEvT1_: ; @_ZN7rocprim17ROCPRIM_400000_NS6detail17trampoline_kernelINS0_14default_configENS1_27scan_by_key_config_selectorIxxEEZZNS1_16scan_by_key_implILNS1_25lookback_scan_determinismE0ELb1ES3_N6thrust23THRUST_200600_302600_NS6detail15normal_iteratorINS9_10device_ptrIxEEEESE_SE_xNS9_4plusIxEE19head_flag_predicatexEE10hipError_tPvRmT2_T3_T4_T5_mT6_T7_P12ihipStream_tbENKUlT_T0_E_clISt17integral_constantIbLb1EESX_IbLb0EEEEDaST_SU_EUlST_E_NS1_11comp_targetILNS1_3genE10ELNS1_11target_archE1201ELNS1_3gpuE5ELNS1_3repE0EEENS1_30default_config_static_selectorELNS0_4arch9wavefront6targetE1EEEvT1_
; %bb.0:
	.section	.rodata,"a",@progbits
	.p2align	6, 0x0
	.amdhsa_kernel _ZN7rocprim17ROCPRIM_400000_NS6detail17trampoline_kernelINS0_14default_configENS1_27scan_by_key_config_selectorIxxEEZZNS1_16scan_by_key_implILNS1_25lookback_scan_determinismE0ELb1ES3_N6thrust23THRUST_200600_302600_NS6detail15normal_iteratorINS9_10device_ptrIxEEEESE_SE_xNS9_4plusIxEE19head_flag_predicatexEE10hipError_tPvRmT2_T3_T4_T5_mT6_T7_P12ihipStream_tbENKUlT_T0_E_clISt17integral_constantIbLb1EESX_IbLb0EEEEDaST_SU_EUlST_E_NS1_11comp_targetILNS1_3genE10ELNS1_11target_archE1201ELNS1_3gpuE5ELNS1_3repE0EEENS1_30default_config_static_selectorELNS0_4arch9wavefront6targetE1EEEvT1_
		.amdhsa_group_segment_fixed_size 0
		.amdhsa_private_segment_fixed_size 0
		.amdhsa_kernarg_size 136
		.amdhsa_user_sgpr_count 2
		.amdhsa_user_sgpr_dispatch_ptr 0
		.amdhsa_user_sgpr_queue_ptr 0
		.amdhsa_user_sgpr_kernarg_segment_ptr 1
		.amdhsa_user_sgpr_dispatch_id 0
		.amdhsa_user_sgpr_kernarg_preload_length 0
		.amdhsa_user_sgpr_kernarg_preload_offset 0
		.amdhsa_user_sgpr_private_segment_size 0
		.amdhsa_uses_dynamic_stack 0
		.amdhsa_enable_private_segment 0
		.amdhsa_system_sgpr_workgroup_id_x 1
		.amdhsa_system_sgpr_workgroup_id_y 0
		.amdhsa_system_sgpr_workgroup_id_z 0
		.amdhsa_system_sgpr_workgroup_info 0
		.amdhsa_system_vgpr_workitem_id 0
		.amdhsa_next_free_vgpr 1
		.amdhsa_next_free_sgpr 0
		.amdhsa_accum_offset 4
		.amdhsa_reserve_vcc 0
		.amdhsa_float_round_mode_32 0
		.amdhsa_float_round_mode_16_64 0
		.amdhsa_float_denorm_mode_32 3
		.amdhsa_float_denorm_mode_16_64 3
		.amdhsa_dx10_clamp 1
		.amdhsa_ieee_mode 1
		.amdhsa_fp16_overflow 0
		.amdhsa_tg_split 0
		.amdhsa_exception_fp_ieee_invalid_op 0
		.amdhsa_exception_fp_denorm_src 0
		.amdhsa_exception_fp_ieee_div_zero 0
		.amdhsa_exception_fp_ieee_overflow 0
		.amdhsa_exception_fp_ieee_underflow 0
		.amdhsa_exception_fp_ieee_inexact 0
		.amdhsa_exception_int_div_zero 0
	.end_amdhsa_kernel
	.section	.text._ZN7rocprim17ROCPRIM_400000_NS6detail17trampoline_kernelINS0_14default_configENS1_27scan_by_key_config_selectorIxxEEZZNS1_16scan_by_key_implILNS1_25lookback_scan_determinismE0ELb1ES3_N6thrust23THRUST_200600_302600_NS6detail15normal_iteratorINS9_10device_ptrIxEEEESE_SE_xNS9_4plusIxEE19head_flag_predicatexEE10hipError_tPvRmT2_T3_T4_T5_mT6_T7_P12ihipStream_tbENKUlT_T0_E_clISt17integral_constantIbLb1EESX_IbLb0EEEEDaST_SU_EUlST_E_NS1_11comp_targetILNS1_3genE10ELNS1_11target_archE1201ELNS1_3gpuE5ELNS1_3repE0EEENS1_30default_config_static_selectorELNS0_4arch9wavefront6targetE1EEEvT1_,"axG",@progbits,_ZN7rocprim17ROCPRIM_400000_NS6detail17trampoline_kernelINS0_14default_configENS1_27scan_by_key_config_selectorIxxEEZZNS1_16scan_by_key_implILNS1_25lookback_scan_determinismE0ELb1ES3_N6thrust23THRUST_200600_302600_NS6detail15normal_iteratorINS9_10device_ptrIxEEEESE_SE_xNS9_4plusIxEE19head_flag_predicatexEE10hipError_tPvRmT2_T3_T4_T5_mT6_T7_P12ihipStream_tbENKUlT_T0_E_clISt17integral_constantIbLb1EESX_IbLb0EEEEDaST_SU_EUlST_E_NS1_11comp_targetILNS1_3genE10ELNS1_11target_archE1201ELNS1_3gpuE5ELNS1_3repE0EEENS1_30default_config_static_selectorELNS0_4arch9wavefront6targetE1EEEvT1_,comdat
.Lfunc_end732:
	.size	_ZN7rocprim17ROCPRIM_400000_NS6detail17trampoline_kernelINS0_14default_configENS1_27scan_by_key_config_selectorIxxEEZZNS1_16scan_by_key_implILNS1_25lookback_scan_determinismE0ELb1ES3_N6thrust23THRUST_200600_302600_NS6detail15normal_iteratorINS9_10device_ptrIxEEEESE_SE_xNS9_4plusIxEE19head_flag_predicatexEE10hipError_tPvRmT2_T3_T4_T5_mT6_T7_P12ihipStream_tbENKUlT_T0_E_clISt17integral_constantIbLb1EESX_IbLb0EEEEDaST_SU_EUlST_E_NS1_11comp_targetILNS1_3genE10ELNS1_11target_archE1201ELNS1_3gpuE5ELNS1_3repE0EEENS1_30default_config_static_selectorELNS0_4arch9wavefront6targetE1EEEvT1_, .Lfunc_end732-_ZN7rocprim17ROCPRIM_400000_NS6detail17trampoline_kernelINS0_14default_configENS1_27scan_by_key_config_selectorIxxEEZZNS1_16scan_by_key_implILNS1_25lookback_scan_determinismE0ELb1ES3_N6thrust23THRUST_200600_302600_NS6detail15normal_iteratorINS9_10device_ptrIxEEEESE_SE_xNS9_4plusIxEE19head_flag_predicatexEE10hipError_tPvRmT2_T3_T4_T5_mT6_T7_P12ihipStream_tbENKUlT_T0_E_clISt17integral_constantIbLb1EESX_IbLb0EEEEDaST_SU_EUlST_E_NS1_11comp_targetILNS1_3genE10ELNS1_11target_archE1201ELNS1_3gpuE5ELNS1_3repE0EEENS1_30default_config_static_selectorELNS0_4arch9wavefront6targetE1EEEvT1_
                                        ; -- End function
	.section	.AMDGPU.csdata,"",@progbits
; Kernel info:
; codeLenInByte = 0
; NumSgprs: 6
; NumVgprs: 0
; NumAgprs: 0
; TotalNumVgprs: 0
; ScratchSize: 0
; MemoryBound: 0
; FloatMode: 240
; IeeeMode: 1
; LDSByteSize: 0 bytes/workgroup (compile time only)
; SGPRBlocks: 0
; VGPRBlocks: 0
; NumSGPRsForWavesPerEU: 6
; NumVGPRsForWavesPerEU: 1
; AccumOffset: 4
; Occupancy: 8
; WaveLimiterHint : 0
; COMPUTE_PGM_RSRC2:SCRATCH_EN: 0
; COMPUTE_PGM_RSRC2:USER_SGPR: 2
; COMPUTE_PGM_RSRC2:TRAP_HANDLER: 0
; COMPUTE_PGM_RSRC2:TGID_X_EN: 1
; COMPUTE_PGM_RSRC2:TGID_Y_EN: 0
; COMPUTE_PGM_RSRC2:TGID_Z_EN: 0
; COMPUTE_PGM_RSRC2:TIDIG_COMP_CNT: 0
; COMPUTE_PGM_RSRC3_GFX90A:ACCUM_OFFSET: 0
; COMPUTE_PGM_RSRC3_GFX90A:TG_SPLIT: 0
	.section	.text._ZN7rocprim17ROCPRIM_400000_NS6detail17trampoline_kernelINS0_14default_configENS1_27scan_by_key_config_selectorIxxEEZZNS1_16scan_by_key_implILNS1_25lookback_scan_determinismE0ELb1ES3_N6thrust23THRUST_200600_302600_NS6detail15normal_iteratorINS9_10device_ptrIxEEEESE_SE_xNS9_4plusIxEE19head_flag_predicatexEE10hipError_tPvRmT2_T3_T4_T5_mT6_T7_P12ihipStream_tbENKUlT_T0_E_clISt17integral_constantIbLb1EESX_IbLb0EEEEDaST_SU_EUlST_E_NS1_11comp_targetILNS1_3genE5ELNS1_11target_archE942ELNS1_3gpuE9ELNS1_3repE0EEENS1_30default_config_static_selectorELNS0_4arch9wavefront6targetE1EEEvT1_,"axG",@progbits,_ZN7rocprim17ROCPRIM_400000_NS6detail17trampoline_kernelINS0_14default_configENS1_27scan_by_key_config_selectorIxxEEZZNS1_16scan_by_key_implILNS1_25lookback_scan_determinismE0ELb1ES3_N6thrust23THRUST_200600_302600_NS6detail15normal_iteratorINS9_10device_ptrIxEEEESE_SE_xNS9_4plusIxEE19head_flag_predicatexEE10hipError_tPvRmT2_T3_T4_T5_mT6_T7_P12ihipStream_tbENKUlT_T0_E_clISt17integral_constantIbLb1EESX_IbLb0EEEEDaST_SU_EUlST_E_NS1_11comp_targetILNS1_3genE5ELNS1_11target_archE942ELNS1_3gpuE9ELNS1_3repE0EEENS1_30default_config_static_selectorELNS0_4arch9wavefront6targetE1EEEvT1_,comdat
	.protected	_ZN7rocprim17ROCPRIM_400000_NS6detail17trampoline_kernelINS0_14default_configENS1_27scan_by_key_config_selectorIxxEEZZNS1_16scan_by_key_implILNS1_25lookback_scan_determinismE0ELb1ES3_N6thrust23THRUST_200600_302600_NS6detail15normal_iteratorINS9_10device_ptrIxEEEESE_SE_xNS9_4plusIxEE19head_flag_predicatexEE10hipError_tPvRmT2_T3_T4_T5_mT6_T7_P12ihipStream_tbENKUlT_T0_E_clISt17integral_constantIbLb1EESX_IbLb0EEEEDaST_SU_EUlST_E_NS1_11comp_targetILNS1_3genE5ELNS1_11target_archE942ELNS1_3gpuE9ELNS1_3repE0EEENS1_30default_config_static_selectorELNS0_4arch9wavefront6targetE1EEEvT1_ ; -- Begin function _ZN7rocprim17ROCPRIM_400000_NS6detail17trampoline_kernelINS0_14default_configENS1_27scan_by_key_config_selectorIxxEEZZNS1_16scan_by_key_implILNS1_25lookback_scan_determinismE0ELb1ES3_N6thrust23THRUST_200600_302600_NS6detail15normal_iteratorINS9_10device_ptrIxEEEESE_SE_xNS9_4plusIxEE19head_flag_predicatexEE10hipError_tPvRmT2_T3_T4_T5_mT6_T7_P12ihipStream_tbENKUlT_T0_E_clISt17integral_constantIbLb1EESX_IbLb0EEEEDaST_SU_EUlST_E_NS1_11comp_targetILNS1_3genE5ELNS1_11target_archE942ELNS1_3gpuE9ELNS1_3repE0EEENS1_30default_config_static_selectorELNS0_4arch9wavefront6targetE1EEEvT1_
	.globl	_ZN7rocprim17ROCPRIM_400000_NS6detail17trampoline_kernelINS0_14default_configENS1_27scan_by_key_config_selectorIxxEEZZNS1_16scan_by_key_implILNS1_25lookback_scan_determinismE0ELb1ES3_N6thrust23THRUST_200600_302600_NS6detail15normal_iteratorINS9_10device_ptrIxEEEESE_SE_xNS9_4plusIxEE19head_flag_predicatexEE10hipError_tPvRmT2_T3_T4_T5_mT6_T7_P12ihipStream_tbENKUlT_T0_E_clISt17integral_constantIbLb1EESX_IbLb0EEEEDaST_SU_EUlST_E_NS1_11comp_targetILNS1_3genE5ELNS1_11target_archE942ELNS1_3gpuE9ELNS1_3repE0EEENS1_30default_config_static_selectorELNS0_4arch9wavefront6targetE1EEEvT1_
	.p2align	8
	.type	_ZN7rocprim17ROCPRIM_400000_NS6detail17trampoline_kernelINS0_14default_configENS1_27scan_by_key_config_selectorIxxEEZZNS1_16scan_by_key_implILNS1_25lookback_scan_determinismE0ELb1ES3_N6thrust23THRUST_200600_302600_NS6detail15normal_iteratorINS9_10device_ptrIxEEEESE_SE_xNS9_4plusIxEE19head_flag_predicatexEE10hipError_tPvRmT2_T3_T4_T5_mT6_T7_P12ihipStream_tbENKUlT_T0_E_clISt17integral_constantIbLb1EESX_IbLb0EEEEDaST_SU_EUlST_E_NS1_11comp_targetILNS1_3genE5ELNS1_11target_archE942ELNS1_3gpuE9ELNS1_3repE0EEENS1_30default_config_static_selectorELNS0_4arch9wavefront6targetE1EEEvT1_,@function
_ZN7rocprim17ROCPRIM_400000_NS6detail17trampoline_kernelINS0_14default_configENS1_27scan_by_key_config_selectorIxxEEZZNS1_16scan_by_key_implILNS1_25lookback_scan_determinismE0ELb1ES3_N6thrust23THRUST_200600_302600_NS6detail15normal_iteratorINS9_10device_ptrIxEEEESE_SE_xNS9_4plusIxEE19head_flag_predicatexEE10hipError_tPvRmT2_T3_T4_T5_mT6_T7_P12ihipStream_tbENKUlT_T0_E_clISt17integral_constantIbLb1EESX_IbLb0EEEEDaST_SU_EUlST_E_NS1_11comp_targetILNS1_3genE5ELNS1_11target_archE942ELNS1_3gpuE9ELNS1_3repE0EEENS1_30default_config_static_selectorELNS0_4arch9wavefront6targetE1EEEvT1_: ; @_ZN7rocprim17ROCPRIM_400000_NS6detail17trampoline_kernelINS0_14default_configENS1_27scan_by_key_config_selectorIxxEEZZNS1_16scan_by_key_implILNS1_25lookback_scan_determinismE0ELb1ES3_N6thrust23THRUST_200600_302600_NS6detail15normal_iteratorINS9_10device_ptrIxEEEESE_SE_xNS9_4plusIxEE19head_flag_predicatexEE10hipError_tPvRmT2_T3_T4_T5_mT6_T7_P12ihipStream_tbENKUlT_T0_E_clISt17integral_constantIbLb1EESX_IbLb0EEEEDaST_SU_EUlST_E_NS1_11comp_targetILNS1_3genE5ELNS1_11target_archE942ELNS1_3gpuE9ELNS1_3repE0EEENS1_30default_config_static_selectorELNS0_4arch9wavefront6targetE1EEEvT1_
; %bb.0:
	s_load_dwordx8 s[44:51], s[0:1], 0x0
	s_load_dwordx2 s[56:57], s[0:1], 0x20
	s_load_dwordx8 s[36:43], s[0:1], 0x30
	s_load_dwordx2 s[58:59], s[0:1], 0x50
	s_load_dword s3, s[0:1], 0x58
	s_load_dwordx4 s[52:55], s[0:1], 0x60
	s_waitcnt lgkmcnt(0)
	s_lshl_b64 s[34:35], s[46:47], 3
	s_add_u32 s4, s44, s34
	s_addc_u32 s5, s45, s35
	s_add_u32 s6, s48, s34
	s_mul_i32 s0, s59, s3
	s_mul_hi_u32 s1, s58, s3
	s_addc_u32 s7, s49, s35
	s_add_i32 s8, s1, s0
	s_mul_i32 s0, s2, 0xe00
	s_mov_b32 s1, 0
	s_lshl_b64 s[44:45], s[0:1], 3
	s_add_u32 s48, s4, s44
	s_addc_u32 s49, s5, s45
	s_add_u32 s46, s6, s44
	s_mul_i32 s3, s58, s3
	s_addc_u32 s47, s7, s45
	s_add_u32 s0, s3, s2
	s_addc_u32 s1, s8, 0
	s_add_u32 s6, s52, -1
	s_addc_u32 s7, s53, -1
	v_mov_b64_e32 v[2:3], s[6:7]
	v_cmp_ge_u64_e64 s[0:1], s[0:1], v[2:3]
	s_mov_b64 s[4:5], -1
	s_and_b64 vcc, exec, s[0:1]
	s_mul_i32 s33, s6, 0xfffff200
	s_barrier
	s_cbranch_vccz .LBB733_76
; %bb.1:
	v_mov_b64_e32 v[2:3], s[48:49]
	flat_load_dwordx2 v[2:3], v[2:3]
	s_add_i32 s43, s33, s42
	v_cmp_gt_u32_e32 vcc, s43, v0
	s_waitcnt vmcnt(0) lgkmcnt(0)
	v_mov_b64_e32 v[4:5], v[2:3]
	s_and_saveexec_b64 s[4:5], vcc
	s_cbranch_execz .LBB733_3
; %bb.2:
	v_lshlrev_b32_e32 v4, 3, v0
	v_mov_b32_e32 v5, 0
	v_lshl_add_u64 v[4:5], s[48:49], 0, v[4:5]
	flat_load_dwordx2 v[4:5], v[4:5]
.LBB733_3:
	s_or_b64 exec, exec, s[4:5]
	v_or_b32_e32 v1, 0x100, v0
	v_cmp_gt_u32_e64 s[28:29], s43, v1
	v_mov_b64_e32 v[6:7], v[2:3]
	s_and_saveexec_b64 s[4:5], s[28:29]
	s_cbranch_execz .LBB733_5
; %bb.4:
	v_lshlrev_b32_e32 v6, 3, v0
	v_mov_b32_e32 v7, 0
	v_lshl_add_u64 v[6:7], s[48:49], 0, v[6:7]
	flat_load_dwordx2 v[6:7], v[6:7] offset:2048
.LBB733_5:
	s_or_b64 exec, exec, s[4:5]
	v_or_b32_e32 v1, 0x200, v0
	v_cmp_gt_u32_e64 s[4:5], s43, v1
	v_mov_b64_e32 v[8:9], v[2:3]
	s_and_saveexec_b64 s[6:7], s[4:5]
	s_cbranch_execz .LBB733_7
; %bb.6:
	v_lshlrev_b32_e32 v8, 3, v1
	v_mov_b32_e32 v9, 0
	v_lshl_add_u64 v[8:9], s[48:49], 0, v[8:9]
	flat_load_dwordx2 v[8:9], v[8:9]
.LBB733_7:
	s_or_b64 exec, exec, s[6:7]
	v_or_b32_e32 v38, 0x300, v0
	v_cmp_gt_u32_e64 s[6:7], s43, v38
	v_mov_b64_e32 v[10:11], v[2:3]
	s_and_saveexec_b64 s[8:9], s[6:7]
	s_cbranch_execz .LBB733_9
; %bb.8:
	v_lshlrev_b32_e32 v10, 3, v38
	v_mov_b32_e32 v11, 0
	v_lshl_add_u64 v[10:11], s[48:49], 0, v[10:11]
	flat_load_dwordx2 v[10:11], v[10:11]
.LBB733_9:
	;; [unrolled: 12-line block ×11, first 2 shown]
	s_or_b64 exec, exec, s[26:27]
	v_or_b32_e32 v62, 0xd00, v0
	v_cmp_gt_u32_e64 s[26:27], s43, v62
	s_and_saveexec_b64 s[30:31], s[26:27]
	s_cbranch_execz .LBB733_29
; %bb.28:
	v_lshlrev_b32_e32 v2, 3, v62
	v_mov_b32_e32 v3, 0
	v_lshl_add_u64 v[2:3], s[48:49], 0, v[2:3]
	flat_load_dwordx2 v[2:3], v[2:3]
.LBB733_29:
	s_or_b64 exec, exec, s[30:31]
	v_lshlrev_b32_e32 v30, 3, v0
	s_waitcnt vmcnt(0) lgkmcnt(0)
	ds_write2st64_b64 v30, v[4:5], v[6:7] offset1:4
	ds_write2st64_b64 v30, v[8:9], v[10:11] offset0:8 offset1:12
	ds_write2st64_b64 v30, v[12:13], v[14:15] offset0:16 offset1:20
	;; [unrolled: 1-line block ×6, first 2 shown]
	v_mov_b64_e32 v[2:3], s[48:49]
	s_waitcnt lgkmcnt(0)
	s_barrier
	flat_load_dwordx2 v[56:57], v[2:3]
	s_movk_i32 s3, 0x68
	v_mad_u32_u24 v60, v0, s3, v30
	s_movk_i32 s3, 0xff98
	v_mad_i32_i24 v31, v0, s3, v60
	s_movk_i32 s3, 0xff
	v_cmp_ne_u32_e64 s[30:31], s3, v0
	ds_read_b128 v[26:29], v60
	ds_read_b128 v[22:25], v60 offset:16
	ds_read_b128 v[18:21], v60 offset:32
	;; [unrolled: 1-line block ×6, first 2 shown]
	s_waitcnt lgkmcnt(0)
	ds_write_b64 v31, v[26:27] offset:30720
	s_waitcnt lgkmcnt(0)
	s_barrier
	s_and_saveexec_b64 s[52:53], s[30:31]
	s_cbranch_execz .LBB733_31
; %bb.30:
	s_waitcnt vmcnt(0)
	ds_read_b64 v[56:57], v30 offset:30728
.LBB733_31:
	s_or_b64 exec, exec, s[52:53]
	v_mov_b32_e32 v31, 0
	s_waitcnt lgkmcnt(0)
	s_barrier
	s_waitcnt lgkmcnt(0)
                                        ; implicit-def: $vgpr26_vgpr27
	s_and_saveexec_b64 s[30:31], vcc
	s_cbranch_execz .LBB733_155
; %bb.32:
	v_lshl_add_u64 v[26:27], s[46:47], 0, v[30:31]
	flat_load_dwordx2 v[26:27], v[26:27]
	s_or_b64 exec, exec, s[30:31]
                                        ; implicit-def: $vgpr32_vgpr33
	s_and_saveexec_b64 s[30:31], s[28:29]
	s_cbranch_execnz .LBB733_156
.LBB733_33:
	s_or_b64 exec, exec, s[30:31]
                                        ; implicit-def: $vgpr34_vgpr35
	s_and_saveexec_b64 s[28:29], s[4:5]
	s_cbranch_execz .LBB733_157
.LBB733_34:
	v_lshlrev_b32_e32 v34, 3, v1
	v_mov_b32_e32 v35, 0
	v_lshl_add_u64 v[34:35], s[46:47], 0, v[34:35]
	flat_load_dwordx2 v[34:35], v[34:35]
	s_or_b64 exec, exec, s[28:29]
                                        ; implicit-def: $vgpr36_vgpr37
	s_and_saveexec_b64 s[4:5], s[6:7]
	s_cbranch_execnz .LBB733_158
.LBB733_35:
	s_or_b64 exec, exec, s[4:5]
                                        ; implicit-def: $vgpr38_vgpr39
	s_and_saveexec_b64 s[4:5], s[8:9]
	s_cbranch_execz .LBB733_159
.LBB733_36:
	v_lshlrev_b32_e32 v38, 3, v40
	v_mov_b32_e32 v39, 0
	v_lshl_add_u64 v[38:39], s[46:47], 0, v[38:39]
	flat_load_dwordx2 v[38:39], v[38:39]
	s_or_b64 exec, exec, s[4:5]
                                        ; implicit-def: $vgpr40_vgpr41
	s_and_saveexec_b64 s[4:5], s[10:11]
	s_cbranch_execnz .LBB733_160
.LBB733_37:
	s_or_b64 exec, exec, s[4:5]
                                        ; implicit-def: $vgpr42_vgpr43
	s_and_saveexec_b64 s[4:5], s[12:13]
	s_cbranch_execz .LBB733_161
.LBB733_38:
	v_lshlrev_b32_e32 v42, 3, v44
	v_mov_b32_e32 v43, 0
	v_lshl_add_u64 v[42:43], s[46:47], 0, v[42:43]
	flat_load_dwordx2 v[42:43], v[42:43]
	s_or_b64 exec, exec, s[4:5]
                                        ; implicit-def: $vgpr44_vgpr45
	s_and_saveexec_b64 s[4:5], s[14:15]
	s_cbranch_execnz .LBB733_162
.LBB733_39:
	s_or_b64 exec, exec, s[4:5]
                                        ; implicit-def: $vgpr46_vgpr47
	s_and_saveexec_b64 s[4:5], s[16:17]
	s_cbranch_execz .LBB733_163
.LBB733_40:
	v_lshlrev_b32_e32 v46, 3, v48
	v_mov_b32_e32 v47, 0
	v_lshl_add_u64 v[46:47], s[46:47], 0, v[46:47]
	flat_load_dwordx2 v[46:47], v[46:47]
	s_or_b64 exec, exec, s[4:5]
                                        ; implicit-def: $vgpr48_vgpr49
	s_and_saveexec_b64 s[4:5], s[18:19]
	s_cbranch_execnz .LBB733_164
.LBB733_41:
	s_or_b64 exec, exec, s[4:5]
                                        ; implicit-def: $vgpr50_vgpr51
	s_and_saveexec_b64 s[4:5], s[20:21]
	s_cbranch_execz .LBB733_165
.LBB733_42:
	v_lshlrev_b32_e32 v50, 3, v52
	v_mov_b32_e32 v51, 0
	v_lshl_add_u64 v[50:51], s[46:47], 0, v[50:51]
	flat_load_dwordx2 v[50:51], v[50:51]
	s_or_b64 exec, exec, s[4:5]
                                        ; implicit-def: $vgpr52_vgpr53
	s_and_saveexec_b64 s[4:5], s[22:23]
	s_cbranch_execnz .LBB733_166
.LBB733_43:
	s_or_b64 exec, exec, s[4:5]
                                        ; implicit-def: $vgpr54_vgpr55
	s_and_saveexec_b64 s[4:5], s[24:25]
	s_cbranch_execz .LBB733_45
.LBB733_44:
	v_lshlrev_b32_e32 v54, 3, v58
	v_mov_b32_e32 v55, 0
	v_lshl_add_u64 v[54:55], s[46:47], 0, v[54:55]
	flat_load_dwordx2 v[54:55], v[54:55]
.LBB733_45:
	s_or_b64 exec, exec, s[4:5]
	v_mul_u32_u24_e32 v61, 14, v0
                                        ; implicit-def: $vgpr58_vgpr59
	s_and_saveexec_b64 s[4:5], s[26:27]
	s_cbranch_execz .LBB733_47
; %bb.46:
	v_lshlrev_b32_e32 v58, 3, v62
	v_mov_b32_e32 v59, 0
	v_lshl_add_u64 v[58:59], s[46:47], 0, v[58:59]
	flat_load_dwordx2 v[58:59], v[58:59]
.LBB733_47:
	s_or_b64 exec, exec, s[4:5]
	s_waitcnt vmcnt(0) lgkmcnt(0)
	ds_write2st64_b64 v30, v[26:27], v[32:33] offset1:4
	ds_write2st64_b64 v30, v[34:35], v[36:37] offset0:8 offset1:12
	ds_write2st64_b64 v30, v[38:39], v[40:41] offset0:16 offset1:20
	;; [unrolled: 1-line block ×6, first 2 shown]
	v_mov_b64_e32 v[46:47], 0
	v_cmp_gt_u32_e32 vcc, s43, v61
	s_mov_b64 s[10:11], 0
	s_mov_b32 s3, 0
	s_mov_b64 s[4:5], 0
	v_mov_b32_e32 v64, 0
	v_mov_b64_e32 v[30:31], v[46:47]
	v_mov_b32_e32 v73, 0
	v_mov_b64_e32 v[54:55], v[46:47]
	v_mov_b32_e32 v72, 0
	v_mov_b64_e32 v[32:33], v[46:47]
	v_mov_b32_e32 v71, 0
	v_mov_b64_e32 v[52:53], v[46:47]
	v_mov_b32_e32 v70, 0
	v_mov_b64_e32 v[36:37], v[46:47]
	v_mov_b32_e32 v69, 0
	v_mov_b64_e32 v[34:35], v[46:47]
	v_mov_b32_e32 v68, 0
	v_mov_b64_e32 v[40:41], v[46:47]
	v_mov_b32_e32 v67, 0
	v_mov_b64_e32 v[38:39], v[46:47]
	v_mov_b32_e32 v66, 0
	v_mov_b64_e32 v[44:45], v[46:47]
	v_mov_b32_e32 v65, 0
	v_mov_b64_e32 v[42:43], v[46:47]
	v_mov_b32_e32 v63, 0
	v_mov_b64_e32 v[50:51], v[46:47]
	v_mov_b32_e32 v62, 0
	v_mov_b64_e32 v[48:49], v[46:47]
	v_mov_b32_e32 v1, 0
	s_waitcnt lgkmcnt(0)
	s_barrier
	s_waitcnt lgkmcnt(0)
                                        ; implicit-def: $sgpr8_sgpr9
                                        ; implicit-def: $vgpr26_vgpr27
	s_and_saveexec_b64 s[6:7], vcc
	s_cbranch_execz .LBB733_75
; %bb.48:
	ds_read_b64 v[26:27], v60
	v_cmp_ne_u64_e32 vcc, 0, v[28:29]
	v_mov_b32_e32 v28, s57
	v_or_b32_e32 v30, 1, v61
	v_cndmask_b32_e64 v1, 0, 1, vcc
	s_waitcnt lgkmcnt(0)
	v_cndmask_b32_e32 v47, v27, v28, vcc
	v_mov_b32_e32 v27, s56
	v_cndmask_b32_e32 v46, v26, v27, vcc
	v_cmp_gt_u32_e32 vcc, s43, v30
	v_mov_b64_e32 v[30:31], 0
	v_mov_b32_e32 v64, 0
	v_mov_b32_e32 v73, 0
	v_mov_b64_e32 v[54:55], v[30:31]
	v_mov_b32_e32 v72, 0
	v_mov_b64_e32 v[32:33], v[30:31]
	;; [unrolled: 2-line block ×11, first 2 shown]
                                        ; implicit-def: $sgpr14_sgpr15
                                        ; implicit-def: $vgpr26_vgpr27
	s_and_saveexec_b64 s[8:9], vcc
	s_cbranch_execz .LBB733_74
; %bb.49:
	ds_read2_b64 v[26:29], v60 offset0:1 offset1:2
	v_cmp_ne_u64_e32 vcc, 0, v[22:23]
	v_mov_b32_e32 v22, s57
	v_add_u32_e32 v30, 2, v61
	v_cndmask_b32_e64 v62, 0, 1, vcc
	s_waitcnt lgkmcnt(0)
	v_cndmask_b32_e32 v49, v27, v22, vcc
	v_mov_b32_e32 v22, s56
	v_cndmask_b32_e32 v48, v26, v22, vcc
	v_cmp_gt_u32_e32 vcc, s43, v30
	v_mov_b64_e32 v[30:31], 0
	s_mov_b64 s[12:13], 0
	v_mov_b32_e32 v64, 0
	v_mov_b32_e32 v73, 0
	v_mov_b64_e32 v[54:55], v[30:31]
	v_mov_b32_e32 v72, 0
	v_mov_b64_e32 v[32:33], v[30:31]
	;; [unrolled: 2-line block ×10, first 2 shown]
                                        ; implicit-def: $sgpr16_sgpr17
                                        ; implicit-def: $vgpr26_vgpr27
	s_and_saveexec_b64 s[10:11], vcc
	s_cbranch_execz .LBB733_73
; %bb.50:
	v_cmp_ne_u64_e32 vcc, 0, v[24:25]
	v_mov_b32_e32 v23, s57
	v_add_u32_e32 v22, 3, v61
	v_cndmask_b32_e32 v51, v29, v23, vcc
	v_mov_b32_e32 v23, s56
	v_mov_b64_e32 v[30:31], 0
	s_mov_b64 s[14:15], 0
	v_cndmask_b32_e64 v63, 0, 1, vcc
	v_cndmask_b32_e32 v50, v28, v23, vcc
	v_cmp_gt_u32_e32 vcc, s43, v22
	v_mov_b32_e32 v64, 0
	v_mov_b32_e32 v73, 0
	v_mov_b64_e32 v[54:55], v[30:31]
	v_mov_b32_e32 v72, 0
	v_mov_b64_e32 v[32:33], v[30:31]
	;; [unrolled: 2-line block ×9, first 2 shown]
                                        ; implicit-def: $sgpr18_sgpr19
                                        ; implicit-def: $vgpr26_vgpr27
	s_and_saveexec_b64 s[12:13], vcc
	s_cbranch_execz .LBB733_72
; %bb.51:
	ds_read2_b64 v[22:25], v60 offset0:3 offset1:4
	v_cmp_ne_u64_e32 vcc, 0, v[18:19]
	v_mov_b32_e32 v18, s57
	v_add_u32_e32 v26, 4, v61
	v_mov_b64_e32 v[30:31], 0
	s_waitcnt lgkmcnt(0)
	v_cndmask_b32_e32 v43, v23, v18, vcc
	v_mov_b32_e32 v18, s56
	s_mov_b64 s[16:17], 0
	v_cndmask_b32_e64 v65, 0, 1, vcc
	v_cndmask_b32_e32 v42, v22, v18, vcc
	v_cmp_gt_u32_e32 vcc, s43, v26
	v_mov_b32_e32 v64, 0
	v_mov_b32_e32 v73, 0
	v_mov_b64_e32 v[54:55], v[30:31]
	v_mov_b32_e32 v72, 0
	v_mov_b64_e32 v[32:33], v[30:31]
	;; [unrolled: 2-line block ×8, first 2 shown]
                                        ; implicit-def: $sgpr20_sgpr21
                                        ; implicit-def: $vgpr26_vgpr27
	s_and_saveexec_b64 s[14:15], vcc
	s_cbranch_execz .LBB733_71
; %bb.52:
	v_cmp_ne_u64_e32 vcc, 0, v[20:21]
	v_mov_b32_e32 v19, s57
	v_add_u32_e32 v18, 5, v61
	v_cndmask_b32_e32 v45, v25, v19, vcc
	v_mov_b32_e32 v19, s56
	v_mov_b64_e32 v[30:31], 0
	s_mov_b64 s[18:19], 0
	v_cndmask_b32_e64 v66, 0, 1, vcc
	v_cndmask_b32_e32 v44, v24, v19, vcc
	v_cmp_gt_u32_e32 vcc, s43, v18
	v_mov_b32_e32 v64, 0
	v_mov_b32_e32 v73, 0
	v_mov_b64_e32 v[54:55], v[30:31]
	v_mov_b32_e32 v72, 0
	v_mov_b64_e32 v[32:33], v[30:31]
	;; [unrolled: 2-line block ×7, first 2 shown]
                                        ; implicit-def: $sgpr22_sgpr23
                                        ; implicit-def: $vgpr26_vgpr27
	s_and_saveexec_b64 s[16:17], vcc
	s_cbranch_execz .LBB733_70
; %bb.53:
	ds_read2_b64 v[18:21], v60 offset0:5 offset1:6
	v_cmp_ne_u64_e32 vcc, 0, v[14:15]
	v_mov_b32_e32 v14, s57
	v_add_u32_e32 v22, 6, v61
	v_mov_b64_e32 v[30:31], 0
	s_waitcnt lgkmcnt(0)
	v_cndmask_b32_e32 v39, v19, v14, vcc
	v_mov_b32_e32 v14, s56
	s_mov_b64 s[20:21], 0
	v_cndmask_b32_e64 v67, 0, 1, vcc
	v_cndmask_b32_e32 v38, v18, v14, vcc
	v_cmp_gt_u32_e32 vcc, s43, v22
	v_mov_b32_e32 v64, 0
	v_mov_b32_e32 v73, 0
	v_mov_b64_e32 v[54:55], v[30:31]
	v_mov_b32_e32 v72, 0
	v_mov_b64_e32 v[32:33], v[30:31]
	;; [unrolled: 2-line block ×6, first 2 shown]
                                        ; implicit-def: $sgpr24_sgpr25
                                        ; implicit-def: $vgpr26_vgpr27
	s_and_saveexec_b64 s[18:19], vcc
	s_cbranch_execz .LBB733_69
; %bb.54:
	v_cmp_ne_u64_e32 vcc, 0, v[16:17]
	v_mov_b32_e32 v15, s57
	v_add_u32_e32 v14, 7, v61
	v_cndmask_b32_e32 v41, v21, v15, vcc
	v_mov_b32_e32 v15, s56
	v_mov_b64_e32 v[30:31], 0
	s_mov_b64 s[22:23], 0
	v_cndmask_b32_e64 v68, 0, 1, vcc
	v_cndmask_b32_e32 v40, v20, v15, vcc
	v_cmp_gt_u32_e32 vcc, s43, v14
	v_mov_b32_e32 v64, 0
	v_mov_b32_e32 v73, 0
	v_mov_b64_e32 v[54:55], v[30:31]
	v_mov_b32_e32 v72, 0
	v_mov_b64_e32 v[32:33], v[30:31]
	;; [unrolled: 2-line block ×5, first 2 shown]
                                        ; implicit-def: $sgpr26_sgpr27
                                        ; implicit-def: $vgpr26_vgpr27
	s_and_saveexec_b64 s[20:21], vcc
	s_cbranch_execz .LBB733_68
; %bb.55:
	ds_read2_b64 v[14:17], v60 offset0:7 offset1:8
	v_cmp_ne_u64_e32 vcc, 0, v[10:11]
	v_mov_b32_e32 v10, s57
	v_add_u32_e32 v18, 8, v61
	v_mov_b64_e32 v[30:31], 0
	s_waitcnt lgkmcnt(0)
	v_cndmask_b32_e32 v35, v15, v10, vcc
	v_mov_b32_e32 v10, s56
	s_mov_b64 s[24:25], 0
	v_cndmask_b32_e64 v69, 0, 1, vcc
	v_cndmask_b32_e32 v34, v14, v10, vcc
	v_cmp_gt_u32_e32 vcc, s43, v18
	v_mov_b32_e32 v64, 0
	v_mov_b32_e32 v73, 0
	v_mov_b64_e32 v[54:55], v[30:31]
	v_mov_b32_e32 v72, 0
	v_mov_b64_e32 v[32:33], v[30:31]
	;; [unrolled: 2-line block ×4, first 2 shown]
                                        ; implicit-def: $sgpr28_sgpr29
                                        ; implicit-def: $vgpr26_vgpr27
	s_and_saveexec_b64 s[22:23], vcc
	s_cbranch_execz .LBB733_67
; %bb.56:
	v_cmp_ne_u64_e32 vcc, 0, v[12:13]
	v_mov_b32_e32 v11, s57
	v_add_u32_e32 v10, 9, v61
	v_cndmask_b32_e32 v37, v17, v11, vcc
	v_mov_b32_e32 v11, s56
	v_mov_b64_e32 v[30:31], 0
	s_mov_b64 s[26:27], 0
	v_cndmask_b32_e64 v70, 0, 1, vcc
	v_cndmask_b32_e32 v36, v16, v11, vcc
	v_cmp_gt_u32_e32 vcc, s43, v10
	v_mov_b32_e32 v64, 0
	v_mov_b32_e32 v73, 0
	v_mov_b64_e32 v[54:55], v[30:31]
	v_mov_b32_e32 v72, 0
	v_mov_b64_e32 v[32:33], v[30:31]
	;; [unrolled: 2-line block ×3, first 2 shown]
                                        ; implicit-def: $sgpr30_sgpr31
                                        ; implicit-def: $vgpr26_vgpr27
	s_and_saveexec_b64 s[24:25], vcc
	s_cbranch_execz .LBB733_66
; %bb.57:
	ds_read2_b64 v[10:13], v60 offset0:9 offset1:10
	v_cmp_ne_u64_e32 vcc, 0, v[6:7]
	v_mov_b32_e32 v6, s57
	v_add_u32_e32 v14, 10, v61
	v_mov_b64_e32 v[30:31], 0
	s_waitcnt lgkmcnt(0)
	v_cndmask_b32_e32 v53, v11, v6, vcc
	v_mov_b32_e32 v6, s56
	s_mov_b64 s[28:29], 0
	v_cndmask_b32_e64 v71, 0, 1, vcc
	v_cndmask_b32_e32 v52, v10, v6, vcc
	v_cmp_gt_u32_e32 vcc, s43, v14
	v_mov_b32_e32 v64, 0
	v_mov_b32_e32 v73, 0
	v_mov_b64_e32 v[54:55], v[30:31]
	v_mov_b32_e32 v72, 0
	v_mov_b64_e32 v[32:33], v[30:31]
                                        ; implicit-def: $sgpr52_sgpr53
                                        ; implicit-def: $vgpr26_vgpr27
	s_and_saveexec_b64 s[26:27], vcc
	s_cbranch_execz .LBB733_65
; %bb.58:
	v_cmp_ne_u64_e32 vcc, 0, v[8:9]
	v_mov_b32_e32 v7, s57
	v_add_u32_e32 v6, 11, v61
	v_cndmask_b32_e32 v33, v13, v7, vcc
	v_mov_b32_e32 v7, s56
	v_mov_b64_e32 v[30:31], 0
	s_mov_b64 s[30:31], 0
	v_cndmask_b32_e64 v72, 0, 1, vcc
	v_cndmask_b32_e32 v32, v12, v7, vcc
	v_cmp_gt_u32_e32 vcc, s43, v6
	v_mov_b32_e32 v64, 0
	v_mov_b32_e32 v73, 0
	v_mov_b64_e32 v[54:55], v[30:31]
                                        ; implicit-def: $sgpr60_sgpr61
                                        ; implicit-def: $vgpr26_vgpr27
	s_and_saveexec_b64 s[28:29], vcc
	s_cbranch_execz .LBB733_64
; %bb.59:
	ds_read2_b64 v[6:9], v60 offset0:11 offset1:12
	v_cmp_ne_u64_e32 vcc, 0, v[2:3]
	v_mov_b32_e32 v2, s57
	v_add_u32_e32 v10, 12, v61
	s_mov_b64 s[52:53], 0
	s_waitcnt lgkmcnt(0)
	v_cndmask_b32_e32 v55, v7, v2, vcc
	v_mov_b32_e32 v2, s56
	v_cndmask_b32_e64 v73, 0, 1, vcc
	v_cndmask_b32_e32 v54, v6, v2, vcc
	v_cmp_gt_u32_e32 vcc, s43, v10
	v_mov_b32_e32 v64, 0
	v_mov_b64_e32 v[30:31], 0
                                        ; implicit-def: $sgpr60_sgpr61
                                        ; implicit-def: $vgpr26_vgpr27
	s_and_saveexec_b64 s[30:31], vcc
	s_cbranch_execz .LBB733_63
; %bb.60:
	v_cmp_ne_u64_e32 vcc, 0, v[4:5]
	v_mov_b32_e32 v3, s57
	v_add_u32_e32 v2, 13, v61
	v_cndmask_b32_e32 v31, v9, v3, vcc
	v_mov_b32_e32 v3, s56
	v_cndmask_b32_e64 v64, 0, 1, vcc
	v_cndmask_b32_e32 v30, v8, v3, vcc
	v_cmp_gt_u32_e32 vcc, s43, v2
                                        ; implicit-def: $sgpr60_sgpr61
                                        ; implicit-def: $vgpr26_vgpr27
	s_and_saveexec_b64 s[62:63], vcc
	s_xor_b64 s[62:63], exec, s[62:63]
	s_cbranch_execz .LBB733_62
; %bb.61:
	ds_read_b64 v[2:3], v60 offset:104
	v_mov_b32_e32 v4, s57
	v_mov_b32_e32 v5, s56
	v_cmp_ne_u64_e32 vcc, 0, v[56:57]
	s_mov_b64 s[52:53], exec
	s_and_b64 s[60:61], vcc, exec
	s_waitcnt lgkmcnt(0)
	v_cndmask_b32_e32 v27, v3, v4, vcc
	v_cndmask_b32_e32 v26, v2, v5, vcc
.LBB733_62:
	s_or_b64 exec, exec, s[62:63]
	s_and_b64 s[60:61], s[60:61], exec
	s_and_b64 s[52:53], s[52:53], exec
.LBB733_63:
	s_or_b64 exec, exec, s[30:31]
	s_and_b64 s[60:61], s[60:61], exec
	s_and_b64 s[30:31], s[52:53], exec
.LBB733_64:
	s_or_b64 exec, exec, s[28:29]
	s_and_b64 s[52:53], s[60:61], exec
	s_and_b64 s[28:29], s[30:31], exec
.LBB733_65:
	s_or_b64 exec, exec, s[26:27]
	s_and_b64 s[30:31], s[52:53], exec
	s_and_b64 s[26:27], s[28:29], exec
.LBB733_66:
	s_or_b64 exec, exec, s[24:25]
	s_and_b64 s[28:29], s[30:31], exec
	s_and_b64 s[24:25], s[26:27], exec
.LBB733_67:
	s_or_b64 exec, exec, s[22:23]
	s_and_b64 s[26:27], s[28:29], exec
	s_and_b64 s[22:23], s[24:25], exec
.LBB733_68:
	s_or_b64 exec, exec, s[20:21]
	s_and_b64 s[24:25], s[26:27], exec
	s_and_b64 s[20:21], s[22:23], exec
.LBB733_69:
	s_or_b64 exec, exec, s[18:19]
	s_and_b64 s[22:23], s[24:25], exec
	s_and_b64 s[18:19], s[20:21], exec
.LBB733_70:
	s_or_b64 exec, exec, s[16:17]
	s_and_b64 s[20:21], s[22:23], exec
	s_and_b64 s[16:17], s[18:19], exec
.LBB733_71:
	s_or_b64 exec, exec, s[14:15]
	s_and_b64 s[18:19], s[20:21], exec
	s_and_b64 s[14:15], s[16:17], exec
.LBB733_72:
	s_or_b64 exec, exec, s[12:13]
	s_and_b64 s[16:17], s[18:19], exec
	s_and_b64 s[12:13], s[14:15], exec
.LBB733_73:
	s_or_b64 exec, exec, s[10:11]
	s_and_b64 s[14:15], s[16:17], exec
	s_and_b64 s[10:11], s[12:13], exec
.LBB733_74:
	s_or_b64 exec, exec, s[8:9]
	s_and_b64 s[8:9], s[14:15], exec
	s_and_b64 s[10:11], s[10:11], exec
.LBB733_75:
	s_or_b64 exec, exec, s[6:7]
	s_mov_b64 s[6:7], 0
	s_and_b64 vcc, exec, s[4:5]
	v_lshlrev_b32_e32 v56, 3, v0
	s_cbranch_vccnz .LBB733_77
	s_branch .LBB733_82
.LBB733_76:
	s_mov_b64 s[10:11], 0
                                        ; implicit-def: $sgpr8_sgpr9
                                        ; implicit-def: $vgpr26_vgpr27
                                        ; implicit-def: $vgpr46_vgpr47
                                        ; implicit-def: $vgpr64
                                        ; implicit-def: $vgpr30_vgpr31
                                        ; implicit-def: $vgpr73
                                        ; implicit-def: $vgpr54_vgpr55
                                        ; implicit-def: $vgpr72
                                        ; implicit-def: $vgpr32_vgpr33
                                        ; implicit-def: $vgpr71
                                        ; implicit-def: $vgpr52_vgpr53
                                        ; implicit-def: $vgpr70
                                        ; implicit-def: $vgpr36_vgpr37
                                        ; implicit-def: $vgpr69
                                        ; implicit-def: $vgpr34_vgpr35
                                        ; implicit-def: $vgpr68
                                        ; implicit-def: $vgpr40_vgpr41
                                        ; implicit-def: $vgpr67
                                        ; implicit-def: $vgpr38_vgpr39
                                        ; implicit-def: $vgpr66
                                        ; implicit-def: $vgpr44_vgpr45
                                        ; implicit-def: $vgpr65
                                        ; implicit-def: $vgpr42_vgpr43
                                        ; implicit-def: $vgpr63
                                        ; implicit-def: $vgpr50_vgpr51
                                        ; implicit-def: $vgpr62
                                        ; implicit-def: $vgpr48_vgpr49
                                        ; implicit-def: $vgpr1
                                        ; implicit-def: $sgpr3
                                        ; implicit-def: $sgpr6_sgpr7
	s_and_b64 vcc, exec, s[4:5]
	v_lshlrev_b32_e32 v56, 3, v0
	s_cbranch_vccz .LBB733_82
.LBB733_77:
	v_mov_b32_e32 v57, 0
	v_lshl_add_u64 v[2:3], s[48:49], 0, v[56:57]
	v_add_co_u32_e32 v4, vcc, 0x1000, v2
	v_mov_b32_e32 v1, s48
	s_nop 0
	v_addc_co_u32_e32 v5, vcc, 0, v3, vcc
	flat_load_dwordx2 v[6:7], v[2:3]
	flat_load_dwordx2 v[8:9], v[2:3] offset:2048
	flat_load_dwordx2 v[10:11], v[4:5]
	flat_load_dwordx2 v[12:13], v[4:5] offset:2048
	v_add_co_u32_e32 v4, vcc, 0x2000, v2
	s_movk_i32 s4, 0x68
	s_nop 0
	v_addc_co_u32_e32 v5, vcc, 0, v3, vcc
	v_add_co_u32_e32 v14, vcc, 0x3000, v2
	s_movk_i32 s10, 0x1000
	s_nop 0
	v_addc_co_u32_e32 v15, vcc, 0, v3, vcc
	flat_load_dwordx2 v[16:17], v[4:5]
	flat_load_dwordx2 v[18:19], v[4:5] offset:2048
	flat_load_dwordx2 v[20:21], v[14:15]
	flat_load_dwordx2 v[22:23], v[14:15] offset:2048
	v_add_co_u32_e32 v4, vcc, 0x4000, v2
	s_movk_i32 s9, 0x2000
	s_nop 0
	v_addc_co_u32_e32 v5, vcc, 0, v3, vcc
	v_add_co_u32_e32 v14, vcc, 0x5000, v2
	s_movk_i32 s8, 0x3000
	s_nop 0
	v_addc_co_u32_e32 v15, vcc, 0, v3, vcc
	v_add_co_u32_e32 v2, vcc, 0x6000, v2
	flat_load_dwordx2 v[24:25], v[4:5]
	flat_load_dwordx2 v[26:27], v[4:5] offset:2048
	flat_load_dwordx2 v[28:29], v[14:15]
	flat_load_dwordx2 v[30:31], v[14:15] offset:2048
	v_addc_co_u32_e32 v3, vcc, 0, v3, vcc
	flat_load_dwordx2 v[4:5], v[2:3]
	flat_load_dwordx2 v[14:15], v[2:3] offset:2048
	v_mov_b32_e32 v3, s49
	v_add_co_u32_e32 v2, vcc, 0x7000, v1
	v_mad_u32_u24 v1, v0, s4, v56
	s_nop 0
	v_addc_co_u32_e32 v3, vcc, 0, v3, vcc
	s_movk_i32 s4, 0xff98
	s_movk_i32 s7, 0x4000
	;; [unrolled: 1-line block ×4, first 2 shown]
	s_waitcnt vmcnt(0) lgkmcnt(0)
	ds_write2st64_b64 v56, v[6:7], v[8:9] offset1:4
	ds_write2st64_b64 v56, v[10:11], v[12:13] offset0:8 offset1:12
	ds_write2st64_b64 v56, v[16:17], v[18:19] offset0:16 offset1:20
	ds_write2st64_b64 v56, v[20:21], v[22:23] offset0:24 offset1:28
	ds_write2st64_b64 v56, v[24:25], v[26:27] offset0:32 offset1:36
	ds_write2st64_b64 v56, v[28:29], v[30:31] offset0:40 offset1:44
	ds_write2st64_b64 v56, v[4:5], v[14:15] offset0:48 offset1:52
	s_waitcnt lgkmcnt(0)
	s_barrier
	flat_load_dwordx2 v[58:59], v[2:3]
	v_mad_i32_i24 v26, v0, s4, v1
	s_movk_i32 s4, 0xff
	v_cmp_ne_u32_e32 vcc, s4, v0
	ds_read_b128 v[44:47], v1
	ds_read_b128 v[22:25], v1 offset:16
	ds_read_b128 v[18:21], v1 offset:32
	;; [unrolled: 1-line block ×6, first 2 shown]
	s_waitcnt lgkmcnt(0)
	ds_write_b64 v26, v[44:45] offset:30720
	s_waitcnt lgkmcnt(0)
	s_barrier
	s_and_saveexec_b64 s[4:5], vcc
	s_cbranch_execz .LBB733_79
; %bb.78:
	s_waitcnt vmcnt(0)
	ds_read_b64 v[58:59], v56 offset:30728
.LBB733_79:
	s_or_b64 exec, exec, s[4:5]
	v_lshl_add_u64 v[26:27], s[46:47], 0, v[56:57]
	v_add_co_u32_e32 v28, vcc, s10, v26
	s_waitcnt lgkmcnt(0)
	s_nop 0
	v_addc_co_u32_e32 v29, vcc, 0, v27, vcc
	s_barrier
	flat_load_dwordx2 v[30:31], v[26:27]
	flat_load_dwordx2 v[32:33], v[26:27] offset:2048
	flat_load_dwordx2 v[34:35], v[28:29]
	flat_load_dwordx2 v[36:37], v[28:29] offset:2048
	v_add_co_u32_e32 v28, vcc, s9, v26
	v_cmp_eq_u64_e64 s[4:5], 0, v[46:47]
	s_nop 0
	v_addc_co_u32_e32 v29, vcc, 0, v27, vcc
	v_add_co_u32_e32 v38, vcc, s8, v26
	s_nop 1
	v_addc_co_u32_e32 v39, vcc, 0, v27, vcc
	flat_load_dwordx2 v[40:41], v[28:29]
	flat_load_dwordx2 v[42:43], v[28:29] offset:2048
	flat_load_dwordx2 v[44:45], v[38:39]
	flat_load_dwordx2 v[48:49], v[38:39] offset:2048
	v_add_co_u32_e32 v28, vcc, s7, v26
	s_nop 1
	v_addc_co_u32_e32 v29, vcc, 0, v27, vcc
	v_add_co_u32_e32 v38, vcc, s6, v26
	s_nop 1
	v_addc_co_u32_e32 v39, vcc, 0, v27, vcc
	v_add_co_u32_e32 v26, vcc, s3, v26
	flat_load_dwordx2 v[50:51], v[28:29]
	flat_load_dwordx2 v[52:53], v[28:29] offset:2048
	flat_load_dwordx2 v[54:55], v[38:39]
	flat_load_dwordx2 v[60:61], v[38:39] offset:2048
	v_addc_co_u32_e32 v27, vcc, 0, v27, vcc
	flat_load_dwordx2 v[28:29], v[26:27]
	flat_load_dwordx2 v[38:39], v[26:27] offset:2048
	v_cmp_ne_u64_e32 vcc, 0, v[46:47]
	v_mov_b64_e32 v[46:47], s[56:57]
	s_waitcnt vmcnt(0) lgkmcnt(0)
	ds_write2st64_b64 v56, v[30:31], v[32:33] offset1:4
	ds_write2st64_b64 v56, v[34:35], v[36:37] offset0:8 offset1:12
	ds_write2st64_b64 v56, v[40:41], v[42:43] offset0:16 offset1:20
	;; [unrolled: 1-line block ×6, first 2 shown]
	s_waitcnt lgkmcnt(0)
	s_barrier
	ds_read2_b64 v[48:51], v1 offset0:1 offset1:2
	ds_read2_b64 v[42:45], v1 offset0:3 offset1:4
	;; [unrolled: 1-line block ×6, first 2 shown]
	ds_read_b64 v[60:61], v1 offset:104
	s_and_saveexec_b64 s[6:7], s[4:5]
	s_cbranch_execz .LBB733_81
; %bb.80:
	ds_read_b64 v[46:47], v1
.LBB733_81:
	s_or_b64 exec, exec, s[6:7]
	v_cmp_ne_u64_e64 s[8:9], 0, v[20:21]
	v_cmp_ne_u64_e64 s[22:23], 0, v[2:3]
	v_mov_b32_e32 v2, s57
	v_mov_b32_e32 v3, s56
	v_cndmask_b32_e64 v1, 0, 1, vcc
	v_cmp_ne_u64_e32 vcc, 0, v[22:23]
	v_cmp_ne_u64_e64 s[4:5], 0, v[24:25]
	v_cmp_ne_u64_e64 s[6:7], 0, v[18:19]
	v_cndmask_b32_e64 v66, 0, 1, s[8:9]
	v_cmp_ne_u64_e64 s[10:11], 0, v[14:15]
	v_cmp_ne_u64_e64 s[12:13], 0, v[16:17]
	;; [unrolled: 1-line block ×7, first 2 shown]
	s_waitcnt lgkmcnt(5)
	v_cndmask_b32_e64 v45, v45, v2, s[8:9]
	v_cndmask_b32_e64 v44, v44, v3, s[8:9]
	v_cmp_ne_u64_e64 s[8:9], 0, v[58:59]
	v_cndmask_b32_e64 v62, 0, 1, vcc
	v_cndmask_b32_e64 v63, 0, 1, s[4:5]
	v_cndmask_b32_e64 v65, 0, 1, s[6:7]
	v_cndmask_b32_e64 v67, 0, 1, s[10:11]
	v_cndmask_b32_e64 v68, 0, 1, s[12:13]
	v_cndmask_b32_e64 v69, 0, 1, s[14:15]
	v_cndmask_b32_e64 v70, 0, 1, s[16:17]
	v_cndmask_b32_e64 v71, 0, 1, s[18:19]
	v_cndmask_b32_e64 v72, 0, 1, s[20:21]
	v_cndmask_b32_e64 v73, 0, 1, s[22:23]
	v_cndmask_b32_e64 v64, 0, 1, s[24:25]
	v_cndmask_b32_e32 v49, v49, v2, vcc
	v_cndmask_b32_e32 v48, v48, v3, vcc
	v_cndmask_b32_e64 v51, v51, v2, s[4:5]
	v_cndmask_b32_e64 v50, v50, v3, s[4:5]
	v_cndmask_b32_e64 v43, v43, v2, s[6:7]
	v_cndmask_b32_e64 v42, v42, v3, s[6:7]
	s_waitcnt lgkmcnt(4)
	v_cndmask_b32_e64 v39, v39, v2, s[10:11]
	v_cndmask_b32_e64 v38, v38, v3, s[10:11]
	v_cndmask_b32_e64 v41, v41, v2, s[12:13]
	v_cndmask_b32_e64 v40, v40, v3, s[12:13]
	s_waitcnt lgkmcnt(3)
	;; [unrolled: 5-line block ×5, first 2 shown]
	v_cndmask_b32_e64 v27, v61, v2, s[8:9]
	v_cndmask_b32_e64 v26, v60, v3, s[8:9]
	s_mov_b64 s[10:11], -1
                                        ; implicit-def: $sgpr3
                                        ; implicit-def: $sgpr6_sgpr7
.LBB733_82:
	v_mov_b64_e32 v[28:29], s[6:7]
	v_mov_b32_e32 v57, s3
	s_and_saveexec_b64 s[4:5], s[10:11]
; %bb.83:
	v_cndmask_b32_e64 v57, 0, 1, s[8:9]
	v_mov_b64_e32 v[28:29], v[26:27]
; %bb.84:
	s_or_b64 exec, exec, s[4:5]
	v_or_b32_e32 v2, v57, v64
	s_cmp_lg_u32 s2, 0
	v_or_b32_e32 v75, v2, v73
	v_mbcnt_lo_u32_b32 v74, -1, 0
	s_barrier
	s_cbranch_scc0 .LBB733_167
; %bb.85:
	v_mov_b32_e32 v4, 0
	v_cmp_eq_u16_sdwa s[28:29], v62, v4 src0_sel:BYTE_0 src1_sel:DWORD
	v_cmp_eq_u16_sdwa s[4:5], v63, v4 src0_sel:BYTE_0 src1_sel:DWORD
	;; [unrolled: 1-line block ×3, first 2 shown]
	v_cndmask_b32_e64 v3, 0, v47, s[28:29]
	v_cndmask_b32_e64 v2, 0, v46, s[28:29]
	v_lshl_add_u64 v[2:3], v[2:3], 0, v[48:49]
	v_cndmask_b32_e64 v3, 0, v3, s[4:5]
	v_cndmask_b32_e64 v2, 0, v2, s[4:5]
	v_lshl_add_u64 v[2:3], v[2:3], 0, v[50:51]
	;; [unrolled: 3-line block ×3, first 2 shown]
	v_cmp_eq_u16_sdwa s[8:9], v66, v4 src0_sel:BYTE_0 src1_sel:DWORD
	v_cmp_eq_u16_sdwa s[10:11], v67, v4 src0_sel:BYTE_0 src1_sel:DWORD
	v_cmp_eq_u16_sdwa s[12:13], v68, v4 src0_sel:BYTE_0 src1_sel:DWORD
	v_cndmask_b32_e64 v3, 0, v3, s[8:9]
	v_cndmask_b32_e64 v2, 0, v2, s[8:9]
	v_lshl_add_u64 v[2:3], v[2:3], 0, v[44:45]
	v_cndmask_b32_e64 v3, 0, v3, s[10:11]
	v_cndmask_b32_e64 v2, 0, v2, s[10:11]
	v_lshl_add_u64 v[2:3], v[2:3], 0, v[38:39]
	;; [unrolled: 3-line block ×3, first 2 shown]
	v_cmp_eq_u16_sdwa s[14:15], v69, v4 src0_sel:BYTE_0 src1_sel:DWORD
	v_cmp_eq_u16_sdwa s[16:17], v70, v4 src0_sel:BYTE_0 src1_sel:DWORD
	;; [unrolled: 1-line block ×3, first 2 shown]
	v_cndmask_b32_e64 v3, 0, v3, s[14:15]
	v_cndmask_b32_e64 v2, 0, v2, s[14:15]
	v_lshl_add_u64 v[2:3], v[2:3], 0, v[34:35]
	v_cndmask_b32_e64 v3, 0, v3, s[16:17]
	v_cndmask_b32_e64 v2, 0, v2, s[16:17]
	v_cmp_eq_u16_sdwa s[20:21], v72, v4 src0_sel:BYTE_0 src1_sel:DWORD
	v_cmp_eq_u16_sdwa s[22:23], v73, v4 src0_sel:BYTE_0 src1_sel:DWORD
	;; [unrolled: 1-line block ×3, first 2 shown]
	v_cmp_eq_u16_sdwa vcc, v57, v4 src0_sel:BYTE_0 src1_sel:DWORD
	v_or_b32_e32 v4, v75, v72
	v_lshl_add_u64 v[2:3], v[2:3], 0, v[36:37]
	v_or_b32_e32 v4, v4, v71
	v_cndmask_b32_e64 v3, 0, v3, s[18:19]
	v_cndmask_b32_e64 v2, 0, v2, s[18:19]
	v_or_b32_e32 v4, v4, v70
	v_lshl_add_u64 v[2:3], v[2:3], 0, v[52:53]
	v_or_b32_e32 v4, v4, v69
	v_cndmask_b32_e64 v3, 0, v3, s[20:21]
	v_cndmask_b32_e64 v2, 0, v2, s[20:21]
	;; [unrolled: 5-line block ×4, first 2 shown]
	v_or_b32_e32 v4, v4, v63
	v_lshl_add_u64 v[2:3], v[2:3], 0, v[30:31]
	v_or_b32_e32 v4, v4, v62
	v_cndmask_b32_e32 v3, 0, v3, vcc
	v_cndmask_b32_e32 v2, 0, v2, vcc
	v_or_b32_e32 v4, v4, v1
	v_mbcnt_hi_u32_b32 v9, -1, v74
	v_lshl_add_u64 v[2:3], v[2:3], 0, v[28:29]
	v_and_b32_e32 v8, 1, v4
	v_and_b32_e32 v5, 15, v9
	v_cmp_eq_u32_e32 vcc, 1, v8
	v_mov_b32_dpp v7, v2 row_shr:1 row_mask:0xf bank_mask:0xf
	v_mov_b32_dpp v10, v3 row_shr:1 row_mask:0xf bank_mask:0xf
	;; [unrolled: 1-line block ×3, first 2 shown]
	v_cmp_ne_u32_e64 s[26:27], 0, v5
	v_mov_b32_e32 v4, v8
	s_and_saveexec_b64 s[30:31], s[26:27]
; %bb.86:
	v_and_b32_e32 v4, 1, v6
	v_cndmask_b32_e64 v11, v10, 0, vcc
	v_cndmask_b32_e64 v10, v7, 0, vcc
	v_or_b32_e32 v8, v4, v8
	v_lshl_add_u64 v[2:3], v[10:11], 0, v[2:3]
	v_and_b32_e32 v4, 0xffff, v8
; %bb.87:
	s_or_b64 exec, exec, s[30:31]
	v_mov_b32_dpp v7, v2 row_shr:2 row_mask:0xf bank_mask:0xf
	v_mov_b32_dpp v10, v3 row_shr:2 row_mask:0xf bank_mask:0xf
	;; [unrolled: 1-line block ×3, first 2 shown]
	v_cmp_lt_u32_e32 vcc, 1, v5
	s_and_saveexec_b64 s[30:31], vcc
; %bb.88:
	v_cmp_eq_u16_e32 vcc, 0, v8
	v_and_b32_e32 v4, 1, v8
	s_nop 0
	v_cndmask_b32_e32 v11, 0, v10, vcc
	v_cndmask_b32_e32 v10, 0, v7, vcc
	v_cmp_eq_u32_e32 vcc, 1, v4
	v_and_b32_e32 v4, 1, v6
	v_cmp_eq_u32_e64 s[26:27], 1, v4
	s_or_b64 s[26:27], vcc, s[26:27]
	v_lshl_add_u64 v[2:3], v[10:11], 0, v[2:3]
	v_cndmask_b32_e64 v8, 0, 1, s[26:27]
	v_cndmask_b32_e64 v4, 0, 1, s[26:27]
; %bb.89:
	s_or_b64 exec, exec, s[30:31]
	v_mov_b32_dpp v7, v2 row_shr:4 row_mask:0xf bank_mask:0xf
	v_mov_b32_dpp v10, v3 row_shr:4 row_mask:0xf bank_mask:0xf
	;; [unrolled: 1-line block ×3, first 2 shown]
	v_cmp_lt_u32_e32 vcc, 3, v5
	s_and_saveexec_b64 s[30:31], vcc
; %bb.90:
	v_cmp_eq_u16_e32 vcc, 0, v8
	v_and_b32_e32 v4, 1, v8
	s_nop 0
	v_cndmask_b32_e32 v11, 0, v10, vcc
	v_cndmask_b32_e32 v10, 0, v7, vcc
	v_cmp_eq_u32_e32 vcc, 1, v4
	v_and_b32_e32 v4, 1, v6
	v_cmp_eq_u32_e64 s[26:27], 1, v4
	s_or_b64 s[26:27], vcc, s[26:27]
	v_lshl_add_u64 v[2:3], v[10:11], 0, v[2:3]
	v_cndmask_b32_e64 v8, 0, 1, s[26:27]
	v_cndmask_b32_e64 v4, 0, 1, s[26:27]
; %bb.91:
	s_or_b64 exec, exec, s[30:31]
	v_mov_b32_dpp v7, v2 row_shr:8 row_mask:0xf bank_mask:0xf
	v_mov_b32_dpp v10, v3 row_shr:8 row_mask:0xf bank_mask:0xf
	;; [unrolled: 1-line block ×3, first 2 shown]
	v_cmp_lt_u32_e32 vcc, 7, v5
	s_and_saveexec_b64 s[30:31], vcc
; %bb.92:
	v_cmp_eq_u16_e32 vcc, 0, v8
	s_nop 1
	v_cndmask_b32_e32 v5, 0, v10, vcc
	v_cndmask_b32_e32 v4, 0, v7, vcc
	v_lshl_add_u64 v[2:3], v[4:5], 0, v[2:3]
	v_and_b32_e32 v4, 1, v8
	v_cmp_eq_u32_e32 vcc, 1, v4
	v_and_b32_e32 v4, 1, v6
	v_cmp_eq_u32_e64 s[26:27], 1, v4
	s_or_b64 s[26:27], vcc, s[26:27]
	s_nop 0
	v_cndmask_b32_e64 v8, 0, 1, s[26:27]
	v_cndmask_b32_e64 v4, 0, 1, s[26:27]
; %bb.93:
	s_or_b64 exec, exec, s[30:31]
	v_and_b32_e32 v10, 16, v9
	v_mov_b32_dpp v6, v2 row_bcast:15 row_mask:0xf bank_mask:0xf
	v_mov_b32_dpp v7, v3 row_bcast:15 row_mask:0xf bank_mask:0xf
	;; [unrolled: 1-line block ×3, first 2 shown]
	v_cmp_ne_u32_e32 vcc, 0, v10
	s_and_saveexec_b64 s[30:31], vcc
; %bb.94:
	v_cmp_eq_u16_e32 vcc, 0, v8
	v_and_b32_e32 v4, 1, v8
	s_nop 0
	v_cndmask_b32_e32 v7, 0, v7, vcc
	v_cndmask_b32_e32 v6, 0, v6, vcc
	v_cmp_eq_u32_e32 vcc, 1, v4
	v_and_b32_e32 v4, 1, v5
	v_cmp_eq_u32_e64 s[26:27], 1, v4
	s_or_b64 s[26:27], vcc, s[26:27]
	v_lshl_add_u64 v[2:3], v[6:7], 0, v[2:3]
	v_cndmask_b32_e64 v8, 0, 1, s[26:27]
	v_cndmask_b32_e64 v4, 0, 1, s[26:27]
; %bb.95:
	s_or_b64 exec, exec, s[30:31]
	v_mov_b32_dpp v5, v2 row_bcast:31 row_mask:0xf bank_mask:0xf
	v_mov_b32_dpp v6, v3 row_bcast:31 row_mask:0xf bank_mask:0xf
	;; [unrolled: 1-line block ×3, first 2 shown]
	v_cmp_lt_u32_e32 vcc, 31, v9
	s_and_saveexec_b64 s[30:31], vcc
; %bb.96:
	v_cmp_eq_u16_e32 vcc, 0, v8
	v_and_b32_e32 v4, 1, v4
	v_cmp_eq_u32_e64 s[26:27], 1, v4
	v_cndmask_b32_e32 v7, 0, v6, vcc
	v_cndmask_b32_e32 v6, 0, v5, vcc
	v_and_b32_e32 v5, 1, v8
	v_cmp_eq_u32_e32 vcc, 1, v5
	s_or_b64 s[26:27], vcc, s[26:27]
	v_lshl_add_u64 v[2:3], v[6:7], 0, v[2:3]
	v_cndmask_b32_e64 v8, 0, 1, s[26:27]
; %bb.97:
	s_or_b64 exec, exec, s[30:31]
	v_or_b32_e32 v4, 63, v0
	v_lshrrev_b32_e32 v10, 6, v0
	v_cmp_eq_u32_e32 vcc, v4, v0
	s_and_saveexec_b64 s[26:27], vcc
	s_cbranch_execz .LBB733_99
; %bb.98:
	v_lshlrev_b32_e32 v4, 4, v10
	ds_write_b64 v4, v[2:3]
	ds_write_b8 v4, v8 offset:8
.LBB733_99:
	s_or_b64 exec, exec, s[26:27]
	v_cmp_gt_u32_e32 vcc, 4, v0
	s_waitcnt lgkmcnt(0)
	s_barrier
	s_and_saveexec_b64 s[30:31], vcc
	s_cbranch_execz .LBB733_105
; %bb.100:
	v_lshlrev_b32_e32 v6, 4, v0
	ds_read_b64 v[4:5], v6
	ds_read_b32 v7, v6 offset:8
	v_and_b32_e32 v11, 3, v9
	v_cmp_ne_u32_e32 vcc, 0, v11
	s_waitcnt lgkmcnt(1)
	v_mov_b32_dpp v15, v4 row_shr:1 row_mask:0xf bank_mask:0xf
	v_mov_b32_dpp v16, v5 row_shr:1 row_mask:0xf bank_mask:0xf
	s_waitcnt lgkmcnt(0)
	v_mov_b32_dpp v14, v7 row_shr:1 row_mask:0xf bank_mask:0xf
	v_mov_b32_e32 v12, v7
	v_mov_b32_e32 v13, v7
	s_and_saveexec_b64 s[26:27], vcc
; %bb.101:
	v_mov_b32_e32 v12, 0
	v_cmp_eq_u16_sdwa vcc, v7, v12 src0_sel:BYTE_0 src1_sel:DWORD
	s_movk_i32 s3, 0xff00
	s_nop 0
	v_cndmask_b32_e32 v13, 0, v16, vcc
	v_cndmask_b32_e32 v12, 0, v15, vcc
	v_lshl_add_u64 v[4:5], v[12:13], 0, v[4:5]
	v_or_b32_e32 v13, v14, v7
	v_and_b32_e32 v12, 1, v13
	v_and_b32_e32 v13, 1, v13
	v_and_or_b32 v7, v7, s3, v13
; %bb.102:
	s_or_b64 exec, exec, s[26:27]
	v_mov_b32_dpp v14, v4 row_shr:2 row_mask:0xf bank_mask:0xf
	v_mov_b32_dpp v15, v5 row_shr:2 row_mask:0xf bank_mask:0xf
	;; [unrolled: 1-line block ×3, first 2 shown]
	v_cmp_lt_u32_e32 vcc, 1, v11
	s_and_saveexec_b64 s[46:47], vcc
; %bb.103:
	v_mov_b32_e32 v11, 0
	v_cmp_eq_u16_sdwa vcc, v13, v11 src0_sel:BYTE_0 src1_sel:DWORD
	v_and_b32_e32 v11, 1, v13
	v_and_b32_e32 v7, 1, v7
	v_cndmask_b32_e32 v15, 0, v15, vcc
	v_cndmask_b32_e32 v14, 0, v14, vcc
	v_cmp_eq_u32_e32 vcc, 1, v11
	v_cmp_eq_u32_e64 s[26:27], 1, v7
	s_or_b64 s[26:27], vcc, s[26:27]
	v_lshl_add_u64 v[4:5], v[14:15], 0, v[4:5]
	v_cndmask_b32_e64 v12, 0, 1, s[26:27]
; %bb.104:
	s_or_b64 exec, exec, s[46:47]
	ds_write_b64 v6, v[4:5]
	ds_write_b8 v6, v12 offset:8
.LBB733_105:
	s_or_b64 exec, exec, s[30:31]
	v_cmp_gt_u32_e32 vcc, 64, v0
	v_cmp_lt_u32_e64 s[26:27], 63, v0
	v_mov_b32_e32 v16, 0
	v_mov_b64_e32 v[6:7], 0
	s_waitcnt lgkmcnt(0)
	s_barrier
	s_and_saveexec_b64 s[30:31], s[26:27]
	s_cbranch_execz .LBB733_107
; %bb.106:
	v_lshl_add_u32 v4, v10, 4, -16
	ds_read_b64 v[6:7], v4
	ds_read_u8 v16, v4 offset:8
	v_cmp_eq_u16_e64 s[26:27], 0, v8
	s_waitcnt lgkmcnt(0)
	v_or_b32_e32 v8, v8, v16
	v_cndmask_b32_e64 v5, 0, v7, s[26:27]
	v_cndmask_b32_e64 v4, 0, v6, s[26:27]
	v_lshl_add_u64 v[2:3], v[2:3], 0, v[4:5]
	v_and_b32_e32 v8, 1, v8
.LBB733_107:
	s_or_b64 exec, exec, s[30:31]
	v_add_u32_e32 v4, -1, v9
	v_and_b32_e32 v5, 64, v9
	v_cmp_lt_i32_e64 s[26:27], v4, v5
	s_nop 1
	v_cndmask_b32_e64 v4, v4, v9, s[26:27]
	v_lshlrev_b32_e32 v4, 2, v4
	ds_bpermute_b32 v17, v4, v2
	v_and_b32_e32 v2, 0xffff, v8
	ds_bpermute_b32 v18, v4, v3
	ds_bpermute_b32 v19, v4, v2
	v_cmp_eq_u32_e64 s[26:27], 0, v9
	s_and_saveexec_b64 s[46:47], vcc
	s_cbranch_execz .LBB733_154
; %bb.108:
	v_mov_b32_e32 v11, 0
	ds_read2_b64 v[2:5], v11 offset0:6 offset1:7
	s_and_saveexec_b64 s[30:31], s[26:27]
	s_cbranch_execz .LBB733_110
; %bb.109:
	s_add_i32 s48, s2, 64
	s_mov_b32 s49, 0
	s_lshl_b64 s[52:53], s[48:49], 4
	s_add_u32 s52, s36, s52
	s_addc_u32 s53, s37, s53
	s_waitcnt lgkmcnt(0)
	global_store_dword v11, v2, s[52:53] sc1
	global_store_dword v11, v3, s[52:53] offset:4 sc1
	global_store_dword v11, v4, s[52:53] offset:8 sc1
	;; [unrolled: 1-line block ×3, first 2 shown]
	v_mov_b32_e32 v5, s48
	v_mov_b32_e32 v8, 1
	s_waitcnt vmcnt(0)
	global_store_byte v5, v8, s[40:41] sc1
.LBB733_110:
	s_or_b64 exec, exec, s[30:31]
	v_xad_u32 v8, v9, -1, s2
	v_add_u32_e32 v10, 64, v8
	s_waitcnt lgkmcnt(0)
	global_load_ubyte v5, v10, s[40:41] sc1
	s_waitcnt vmcnt(0)
	v_cmp_eq_u16_e32 vcc, 0, v5
	s_and_saveexec_b64 s[30:31], vcc
	s_cbranch_execz .LBB733_116
; %bb.111:
	v_lshl_add_u64 v[12:13], s[40:41], 0, v[10:11]
	s_mov_b32 s3, 1
	s_mov_b64 s[48:49], 0
.LBB733_112:                            ; =>This Loop Header: Depth=1
                                        ;     Child Loop BB733_113 Depth 2
	s_max_u32 s43, s3, 1
.LBB733_113:                            ;   Parent Loop BB733_112 Depth=1
                                        ; =>  This Inner Loop Header: Depth=2
	s_add_i32 s43, s43, -1
	s_cmp_eq_u32 s43, 0
	s_sleep 1
	s_cbranch_scc0 .LBB733_113
; %bb.114:                              ;   in Loop: Header=BB733_112 Depth=1
	global_load_ubyte v5, v[12:13], off sc1
	s_cmp_lt_u32 s3, 32
	s_cselect_b64 s[52:53], -1, 0
	s_cmp_lg_u64 s[52:53], 0
	s_addc_u32 s3, s3, 0
	s_waitcnt vmcnt(0)
	v_cmp_ne_u16_e32 vcc, 0, v5
	s_or_b64 s[48:49], vcc, s[48:49]
	s_andn2_b64 exec, exec, s[48:49]
	s_cbranch_execnz .LBB733_112
; %bb.115:
	s_or_b64 exec, exec, s[48:49]
.LBB733_116:
	s_or_b64 exec, exec, s[30:31]
	v_mov_b32_e32 v12, s39
	v_mov_b32_e32 v13, s37
	v_cmp_eq_u16_e32 vcc, 1, v5
	v_mov_b32_e32 v14, s36
	s_waitcnt vmcnt(0)
	v_cndmask_b32_e32 v13, v12, v13, vcc
	v_mov_b32_e32 v12, s38
	v_cndmask_b32_e32 v12, v12, v14, vcc
	v_lshl_add_u64 v[10:11], v[10:11], 4, v[12:13]
	global_load_dword v14, v[10:11], off sc1
	global_load_dword v15, v[10:11], off offset:4 sc1
	global_load_dword v78, v[10:11], off offset:8 sc1
	s_nop 0
	global_load_dword v10, v[10:11], off offset:12 sc1
	v_cmp_eq_u16_e32 vcc, 2, v5
	s_waitcnt vmcnt(0)
	v_lshlrev_b64 v[10:11], v9, -1
	v_and_b32_e32 v20, 63, v9
	v_and_b32_e32 v12, vcc_hi, v11
	v_and_b32_e32 v25, vcc_lo, v10
	v_cmp_ne_u32_e32 vcc, 63, v20
	v_or_b32_e32 v12, 0x80000000, v12
	v_ffbl_b32_e32 v12, v12
	v_addc_co_u32_e32 v13, vcc, 0, v9, vcc
	v_lshlrev_b32_e32 v21, 2, v13
	v_add_u32_e32 v12, 32, v12
	v_ffbl_b32_e32 v25, v25
	v_min_u32_e32 v12, v25, v12
	v_cmp_lt_u32_e32 vcc, v20, v12
	ds_bpermute_b32 v23, v21, v14
	ds_bpermute_b32 v24, v21, v15
	v_and_b32_e32 v13, 0xff, v78
	ds_bpermute_b32 v22, v21, v13
	s_and_saveexec_b64 s[30:31], vcc
	s_cbranch_execz .LBB733_118
; %bb.117:
	v_mov_b32_e32 v13, 0
	v_cmp_eq_u16_sdwa vcc, v78, v13 src0_sel:BYTE_0 src1_sel:DWORD
	s_waitcnt lgkmcnt(0)
	v_or_b32_e32 v13, v22, v78
	v_and_b32_e32 v78, 1, v13
	v_cndmask_b32_e32 v25, 0, v24, vcc
	v_cndmask_b32_e32 v24, 0, v23, vcc
	v_lshl_add_u64 v[14:15], v[24:25], 0, v[14:15]
	v_and_b32_e32 v13, 1, v13
.LBB733_118:
	s_or_b64 exec, exec, s[30:31]
	v_cmp_gt_u32_e32 vcc, 62, v20
	s_waitcnt lgkmcnt(2)
	v_add_u32_e32 v23, 2, v20
	s_waitcnt lgkmcnt(0)
	v_cndmask_b32_e64 v22, 0, 1, vcc
	v_lshlrev_b32_e32 v22, 1, v22
	v_add_lshl_u32 v22, v22, v9, 2
	ds_bpermute_b32 v25, v22, v14
	ds_bpermute_b32 v26, v22, v15
	ds_bpermute_b32 v24, v22, v13
	v_cmp_le_u32_e32 vcc, v23, v12
	s_and_saveexec_b64 s[48:49], vcc
	s_cbranch_execz .LBB733_120
; %bb.119:
	v_mov_b32_e32 v13, 0
	v_cmp_eq_u16_sdwa vcc, v78, v13 src0_sel:BYTE_0 src1_sel:DWORD
	v_and_b32_e32 v13, 1, v78
	s_waitcnt lgkmcnt(1)
	v_cndmask_b32_e32 v27, 0, v26, vcc
	v_cndmask_b32_e32 v26, 0, v25, vcc
	v_cmp_eq_u32_e32 vcc, 1, v13
	s_waitcnt lgkmcnt(0)
	v_and_b32_e32 v13, 1, v24
	v_cmp_eq_u32_e64 s[30:31], 1, v13
	s_or_b64 s[30:31], vcc, s[30:31]
	v_lshl_add_u64 v[14:15], v[26:27], 0, v[14:15]
	v_cndmask_b32_e64 v78, 0, 1, s[30:31]
	v_cndmask_b32_e64 v13, 0, 1, s[30:31]
.LBB733_120:
	s_or_b64 exec, exec, s[48:49]
	v_cmp_gt_u32_e32 vcc, 60, v20
	s_waitcnt lgkmcnt(2)
	v_add_u32_e32 v25, 4, v20
	s_waitcnt lgkmcnt(0)
	v_cndmask_b32_e64 v24, 0, 1, vcc
	v_lshlrev_b32_e32 v24, 2, v24
	v_add_lshl_u32 v24, v24, v9, 2
	ds_bpermute_b32 v27, v24, v14
	ds_bpermute_b32 v58, v24, v15
	ds_bpermute_b32 v26, v24, v13
	v_cmp_le_u32_e32 vcc, v25, v12
	s_and_saveexec_b64 s[48:49], vcc
	s_cbranch_execz .LBB733_122
; %bb.121:
	v_mov_b32_e32 v13, 0
	v_cmp_eq_u16_sdwa vcc, v78, v13 src0_sel:BYTE_0 src1_sel:DWORD
	v_and_b32_e32 v13, 1, v78
	s_waitcnt lgkmcnt(1)
	v_cndmask_b32_e32 v59, 0, v58, vcc
	v_cndmask_b32_e32 v58, 0, v27, vcc
	v_cmp_eq_u32_e32 vcc, 1, v13
	s_waitcnt lgkmcnt(0)
	v_and_b32_e32 v13, 1, v26
	v_cmp_eq_u32_e64 s[30:31], 1, v13
	s_or_b64 s[30:31], vcc, s[30:31]
	v_lshl_add_u64 v[14:15], v[58:59], 0, v[14:15]
	v_cndmask_b32_e64 v78, 0, 1, s[30:31]
	v_cndmask_b32_e64 v13, 0, 1, s[30:31]
.LBB733_122:
	;; [unrolled: 30-line block ×4, first 2 shown]
	s_or_b64 exec, exec, s[48:49]
	v_cmp_gt_u32_e32 vcc, 32, v20
	s_waitcnt lgkmcnt(1)
	v_add_u32_e32 v76, 32, v20
	s_waitcnt lgkmcnt(0)
	v_cndmask_b32_e64 v60, 0, 1, vcc
	v_lshlrev_b32_e32 v60, 5, v60
	v_add_lshl_u32 v61, v60, v9, 2
	ds_bpermute_b32 v60, v61, v14
	ds_bpermute_b32 v77, v61, v15
	ds_bpermute_b32 v9, v61, v13
	v_cmp_le_u32_e32 vcc, v76, v12
	s_and_saveexec_b64 s[48:49], vcc
	s_cbranch_execz .LBB733_128
; %bb.127:
	v_mov_b32_e32 v12, 0
	v_cmp_eq_u16_sdwa vcc, v78, v12 src0_sel:BYTE_0 src1_sel:DWORD
	s_waitcnt lgkmcnt(0)
	v_and_b32_e32 v9, 1, v9
	v_cmp_eq_u32_e64 s[30:31], 1, v9
	v_cndmask_b32_e32 v13, 0, v77, vcc
	v_cndmask_b32_e32 v12, 0, v60, vcc
	v_lshl_add_u64 v[14:15], v[12:13], 0, v[14:15]
	v_and_b32_e32 v12, 1, v78
	v_cmp_eq_u32_e32 vcc, 1, v12
	s_or_b64 s[30:31], vcc, s[30:31]
	v_cndmask_b32_e64 v78, 0, 1, s[30:31]
.LBB733_128:
	s_or_b64 exec, exec, s[48:49]
	s_waitcnt lgkmcnt(0)
	v_mov_b32_e32 v9, 0
	v_mov_b32_e32 v77, 2
	s_branch .LBB733_130
.LBB733_129:                            ;   in Loop: Header=BB733_130 Depth=1
	s_or_b64 exec, exec, s[52:53]
	v_cmp_eq_u16_sdwa vcc, v60, v9 src0_sel:BYTE_0 src1_sel:DWORD
	v_and_b32_e32 v78, 1, v60
	v_subrev_u32_e32 v8, 64, v8
	v_cndmask_b32_e32 v15, 0, v15, vcc
	v_cndmask_b32_e32 v14, 0, v14, vcc
	v_cmp_eq_u32_e32 vcc, 1, v78
	s_or_b64 s[30:31], vcc, s[48:49]
	v_lshl_add_u64 v[14:15], v[14:15], 0, v[12:13]
	v_cndmask_b32_e64 v78, 0, 1, s[30:31]
.LBB733_130:                            ; =>This Loop Header: Depth=1
                                        ;     Child Loop BB733_133 Depth 2
                                        ;       Child Loop BB733_134 Depth 3
	v_cmp_ne_u16_sdwa s[30:31], v5, v77 src0_sel:BYTE_0 src1_sel:DWORD
	v_mov_b32_e32 v60, v78
	v_mov_b64_e32 v[12:13], v[14:15]
	v_cndmask_b32_e64 v5, 0, 1, s[30:31]
	;;#ASMSTART
	;;#ASMEND
	s_nop 0
	v_cmp_ne_u32_e32 vcc, 0, v5
	s_cmp_lg_u64 vcc, exec
	s_cbranch_scc1 .LBB733_149
; %bb.131:                              ;   in Loop: Header=BB733_130 Depth=1
	global_load_ubyte v5, v8, s[40:41] sc1
	s_waitcnt vmcnt(0)
	v_cmp_eq_u16_e32 vcc, 0, v5
	s_and_saveexec_b64 s[30:31], vcc
	s_cbranch_execz .LBB733_137
; %bb.132:                              ;   in Loop: Header=BB733_130 Depth=1
	v_lshl_add_u64 v[14:15], s[40:41], 0, v[8:9]
	s_mov_b32 s3, 1
	s_mov_b64 s[48:49], 0
.LBB733_133:                            ;   Parent Loop BB733_130 Depth=1
                                        ; =>  This Loop Header: Depth=2
                                        ;       Child Loop BB733_134 Depth 3
	s_max_u32 s43, s3, 1
.LBB733_134:                            ;   Parent Loop BB733_130 Depth=1
                                        ;     Parent Loop BB733_133 Depth=2
                                        ; =>    This Inner Loop Header: Depth=3
	s_add_i32 s43, s43, -1
	s_cmp_eq_u32 s43, 0
	s_sleep 1
	s_cbranch_scc0 .LBB733_134
; %bb.135:                              ;   in Loop: Header=BB733_133 Depth=2
	global_load_ubyte v5, v[14:15], off sc1
	s_cmp_lt_u32 s3, 32
	s_cselect_b64 s[52:53], -1, 0
	s_cmp_lg_u64 s[52:53], 0
	s_addc_u32 s3, s3, 0
	s_waitcnt vmcnt(0)
	v_cmp_ne_u16_e32 vcc, 0, v5
	s_or_b64 s[48:49], vcc, s[48:49]
	s_andn2_b64 exec, exec, s[48:49]
	s_cbranch_execnz .LBB733_133
; %bb.136:                              ;   in Loop: Header=BB733_130 Depth=1
	s_or_b64 exec, exec, s[48:49]
.LBB733_137:                            ;   in Loop: Header=BB733_130 Depth=1
	s_or_b64 exec, exec, s[30:31]
	v_mov_b32_e32 v14, s39
	v_mov_b32_e32 v15, s37
	v_cmp_eq_u16_e32 vcc, 1, v5
	v_mov_b32_e32 v78, s36
	s_waitcnt vmcnt(0)
	v_cndmask_b32_e32 v15, v14, v15, vcc
	v_mov_b32_e32 v14, s38
	v_cndmask_b32_e32 v14, v14, v78, vcc
	s_waitcnt lgkmcnt(0)
	v_lshl_add_u64 v[80:81], v[8:9], 4, v[14:15]
	global_load_dword v14, v[80:81], off sc1
	global_load_dword v15, v[80:81], off offset:4 sc1
	global_load_dword v78, v[80:81], off offset:8 sc1
	;; [unrolled: 1-line block ×3, first 2 shown]
	v_cmp_eq_u16_e32 vcc, 2, v5
	s_waitcnt vmcnt(3)
	ds_bpermute_b32 v82, v21, v14
	s_waitcnt vmcnt(0)
	v_and_b32_e32 v79, vcc_hi, v11
	v_and_b32_e32 v80, 0xff, v78
	v_or_b32_e32 v79, 0x80000000, v79
	ds_bpermute_b32 v83, v21, v15
	ds_bpermute_b32 v81, v21, v80
	v_and_b32_e32 v84, vcc_lo, v10
	v_ffbl_b32_e32 v79, v79
	v_add_u32_e32 v79, 32, v79
	v_ffbl_b32_e32 v84, v84
	v_min_u32_e32 v79, v84, v79
	v_cmp_lt_u32_e32 vcc, v20, v79
	s_and_saveexec_b64 s[30:31], vcc
	s_cbranch_execz .LBB733_139
; %bb.138:                              ;   in Loop: Header=BB733_130 Depth=1
	v_cmp_eq_u16_sdwa vcc, v78, v9 src0_sel:BYTE_0 src1_sel:DWORD
	s_waitcnt lgkmcnt(0)
	v_or_b32_e32 v80, v81, v78
	v_and_b32_e32 v78, 1, v80
	v_cndmask_b32_e32 v83, 0, v83, vcc
	v_cndmask_b32_e32 v82, 0, v82, vcc
	v_lshl_add_u64 v[14:15], v[82:83], 0, v[14:15]
	v_and_b32_e32 v80, 1, v80
.LBB733_139:                            ;   in Loop: Header=BB733_130 Depth=1
	s_or_b64 exec, exec, s[30:31]
	s_waitcnt lgkmcnt(2)
	ds_bpermute_b32 v82, v22, v14
	s_waitcnt lgkmcnt(2)
	ds_bpermute_b32 v83, v22, v15
	;; [unrolled: 2-line block ×3, first 2 shown]
	v_and_b32_e32 v84, 1, v78
	v_cmp_le_u32_e32 vcc, v23, v79
	v_cmp_eq_u32_e64 s[48:49], 1, v84
	s_and_saveexec_b64 s[30:31], vcc
	s_cbranch_execz .LBB733_141
; %bb.140:                              ;   in Loop: Header=BB733_130 Depth=1
	v_cmp_eq_u16_sdwa vcc, v78, v9 src0_sel:BYTE_0 src1_sel:DWORD
	s_waitcnt lgkmcnt(0)
	v_and_b32_e32 v78, 1, v81
	v_cndmask_b32_e32 v83, 0, v83, vcc
	v_cndmask_b32_e32 v82, 0, v82, vcc
	v_cmp_eq_u32_e32 vcc, 1, v78
	s_or_b64 s[52:53], s[48:49], vcc
	v_cndmask_b32_e64 v78, 0, 1, s[52:53]
	v_cndmask_b32_e64 v80, 0, 1, s[52:53]
	s_andn2_b64 s[48:49], s[48:49], exec
	s_and_b64 s[52:53], s[52:53], exec
	v_lshl_add_u64 v[14:15], v[82:83], 0, v[14:15]
	s_or_b64 s[48:49], s[48:49], s[52:53]
.LBB733_141:                            ;   in Loop: Header=BB733_130 Depth=1
	s_or_b64 exec, exec, s[30:31]
	s_waitcnt lgkmcnt(2)
	ds_bpermute_b32 v82, v24, v14
	s_waitcnt lgkmcnt(2)
	ds_bpermute_b32 v83, v24, v15
	s_waitcnt lgkmcnt(2)
	ds_bpermute_b32 v81, v24, v80
	v_cmp_le_u32_e32 vcc, v25, v79
	s_and_saveexec_b64 s[52:53], vcc
	s_cbranch_execz .LBB733_143
; %bb.142:                              ;   in Loop: Header=BB733_130 Depth=1
	v_cmp_eq_u16_sdwa vcc, v78, v9 src0_sel:BYTE_0 src1_sel:DWORD
	v_and_b32_e32 v78, 1, v78
	s_andn2_b64 s[48:49], s[48:49], exec
	s_waitcnt lgkmcnt(1)
	v_cndmask_b32_e32 v83, 0, v83, vcc
	v_cndmask_b32_e32 v82, 0, v82, vcc
	v_cmp_eq_u32_e32 vcc, 1, v78
	s_waitcnt lgkmcnt(0)
	v_and_b32_e32 v78, 1, v81
	v_cmp_eq_u32_e64 s[30:31], 1, v78
	s_or_b64 s[30:31], vcc, s[30:31]
	v_lshl_add_u64 v[14:15], v[82:83], 0, v[14:15]
	v_cndmask_b32_e64 v78, 0, 1, s[30:31]
	v_cndmask_b32_e64 v80, 0, 1, s[30:31]
	s_and_b64 s[30:31], s[30:31], exec
	s_or_b64 s[48:49], s[48:49], s[30:31]
.LBB733_143:                            ;   in Loop: Header=BB733_130 Depth=1
	s_or_b64 exec, exec, s[52:53]
	s_waitcnt lgkmcnt(2)
	ds_bpermute_b32 v82, v26, v14
	s_waitcnt lgkmcnt(2)
	ds_bpermute_b32 v83, v26, v15
	s_waitcnt lgkmcnt(2)
	ds_bpermute_b32 v81, v26, v80
	v_cmp_le_u32_e32 vcc, v27, v79
	s_and_saveexec_b64 s[52:53], vcc
	s_cbranch_execz .LBB733_145
; %bb.144:                              ;   in Loop: Header=BB733_130 Depth=1
	v_cmp_eq_u16_sdwa vcc, v78, v9 src0_sel:BYTE_0 src1_sel:DWORD
	v_and_b32_e32 v78, 1, v78
	s_andn2_b64 s[48:49], s[48:49], exec
	s_waitcnt lgkmcnt(1)
	v_cndmask_b32_e32 v83, 0, v83, vcc
	v_cndmask_b32_e32 v82, 0, v82, vcc
	v_cmp_eq_u32_e32 vcc, 1, v78
	s_waitcnt lgkmcnt(0)
	v_and_b32_e32 v78, 1, v81
	v_cmp_eq_u32_e64 s[30:31], 1, v78
	s_or_b64 s[30:31], vcc, s[30:31]
	v_lshl_add_u64 v[14:15], v[82:83], 0, v[14:15]
	v_cndmask_b32_e64 v78, 0, 1, s[30:31]
	v_cndmask_b32_e64 v80, 0, 1, s[30:31]
	s_and_b64 s[30:31], s[30:31], exec
	s_or_b64 s[48:49], s[48:49], s[30:31]
.LBB733_145:                            ;   in Loop: Header=BB733_130 Depth=1
	;; [unrolled: 28-line block ×3, first 2 shown]
	s_or_b64 exec, exec, s[52:53]
	s_waitcnt lgkmcnt(0)
	ds_bpermute_b32 v81, v61, v14
	ds_bpermute_b32 v82, v61, v15
	;; [unrolled: 1-line block ×3, first 2 shown]
	v_cmp_le_u32_e32 vcc, v76, v79
	s_and_saveexec_b64 s[52:53], vcc
	s_cbranch_execz .LBB733_129
; %bb.148:                              ;   in Loop: Header=BB733_130 Depth=1
	v_cmp_eq_u16_sdwa vcc, v78, v9 src0_sel:BYTE_0 src1_sel:DWORD
	v_and_b32_e32 v78, 1, v78
	s_andn2_b64 s[48:49], s[48:49], exec
	s_waitcnt lgkmcnt(1)
	v_cndmask_b32_e32 v83, 0, v82, vcc
	v_cndmask_b32_e32 v82, 0, v81, vcc
	v_cmp_eq_u32_e32 vcc, 1, v78
	s_waitcnt lgkmcnt(0)
	v_and_b32_e32 v78, 1, v80
	v_cmp_eq_u32_e64 s[30:31], 1, v78
	s_or_b64 s[30:31], vcc, s[30:31]
	s_and_b64 s[30:31], s[30:31], exec
	v_lshl_add_u64 v[14:15], v[82:83], 0, v[14:15]
	s_or_b64 s[48:49], s[48:49], s[30:31]
	s_branch .LBB733_129
.LBB733_149:                            ;   in Loop: Header=BB733_130 Depth=1
                                        ; implicit-def: $vgpr78
                                        ; implicit-def: $vgpr14_vgpr15
                                        ; implicit-def: $vgpr5
	s_cbranch_execz .LBB733_130
; %bb.150:
	s_and_saveexec_b64 s[30:31], s[26:27]
	s_cbranch_execz .LBB733_152
; %bb.151:
	s_mov_b32 s3, 0
	v_mov_b32_e32 v5, 0
	s_add_i32 s2, s2, 64
	v_cmp_eq_u32_sdwa vcc, v4, v5 src0_sel:BYTE_0 src1_sel:DWORD
	s_lshl_b64 s[36:37], s[2:3], 4
	v_and_b32_e32 v4, 1, v4
	v_cndmask_b32_e32 v9, 0, v13, vcc
	v_cndmask_b32_e32 v8, 0, v12, vcc
	s_add_u32 s36, s38, s36
	v_lshl_add_u64 v[2:3], v[8:9], 0, v[2:3]
	v_and_b32_e32 v8, 1, v60
	v_cmp_eq_u32_e32 vcc, 1, v4
	s_addc_u32 s37, s39, s37
	s_nop 0
	v_cndmask_b32_e64 v4, v8, 1, vcc
	global_store_dword v5, v2, s[36:37] sc1
	global_store_dword v5, v3, s[36:37] offset:4 sc1
	global_store_dword v5, v4, s[36:37] offset:8 sc1
	;; [unrolled: 1-line block ×3, first 2 shown]
	v_mov_b32_e32 v2, s2
	v_mov_b32_e32 v3, 2
	s_waitcnt vmcnt(0) lgkmcnt(0)
	global_store_byte v2, v3, s[40:41] sc1
.LBB733_152:
	s_or_b64 exec, exec, s[30:31]
	v_cmp_eq_u32_e32 vcc, 0, v0
	s_and_b64 exec, exec, vcc
	s_cbranch_execz .LBB733_154
; %bb.153:
	v_mov_b32_e32 v2, 0
	ds_write_b64 v2, v[12:13] offset:48
	ds_write_b8 v2, v60 offset:56
.LBB733_154:
	s_or_b64 exec, exec, s[46:47]
	v_mov_b32_e32 v8, 0
	s_waitcnt lgkmcnt(0)
	s_barrier
	ds_read_b64 v[2:3], v8 offset:48
	v_cndmask_b32_e64 v9, v19, v16, s[26:27]
	v_cmp_eq_u16_sdwa vcc, v9, v8 src0_sel:BYTE_0 src1_sel:DWORD
	v_cndmask_b32_e64 v4, v17, v6, s[26:27]
	v_cndmask_b32_e64 v5, v18, v7, s[26:27]
	s_waitcnt lgkmcnt(0)
	v_cndmask_b32_e32 v7, 0, v3, vcc
	v_cndmask_b32_e32 v6, 0, v2, vcc
	v_lshl_add_u64 v[4:5], v[4:5], 0, v[6:7]
	v_cmp_eq_u32_e32 vcc, 0, v0
	s_nop 1
	v_cndmask_b32_e32 v3, v5, v3, vcc
	v_cndmask_b32_e32 v2, v4, v2, vcc
	v_cmp_eq_u16_sdwa vcc, v1, v8 src0_sel:BYTE_0 src1_sel:DWORD
	s_nop 1
	v_cndmask_b32_e32 v5, 0, v3, vcc
	v_cndmask_b32_e32 v4, 0, v2, vcc
	v_lshl_add_u64 v[4:5], v[4:5], 0, v[46:47]
	v_cndmask_b32_e64 v7, 0, v5, s[28:29]
	v_cndmask_b32_e64 v6, 0, v4, s[28:29]
	v_lshl_add_u64 v[6:7], v[6:7], 0, v[48:49]
	v_cndmask_b32_e64 v9, 0, v7, s[4:5]
	v_cndmask_b32_e64 v8, 0, v6, s[4:5]
	;; [unrolled: 3-line block ×12, first 2 shown]
	s_branch .LBB733_195
.LBB733_155:
	s_or_b64 exec, exec, s[30:31]
                                        ; implicit-def: $vgpr32_vgpr33
	s_and_saveexec_b64 s[30:31], s[28:29]
	s_cbranch_execz .LBB733_33
.LBB733_156:
	v_mov_b32_e32 v31, 0
	v_lshl_add_u64 v[32:33], s[46:47], 0, v[30:31]
	flat_load_dwordx2 v[32:33], v[32:33] offset:2048
	s_or_b64 exec, exec, s[30:31]
                                        ; implicit-def: $vgpr34_vgpr35
	s_and_saveexec_b64 s[28:29], s[4:5]
	s_cbranch_execnz .LBB733_34
.LBB733_157:
	s_or_b64 exec, exec, s[28:29]
                                        ; implicit-def: $vgpr36_vgpr37
	s_and_saveexec_b64 s[4:5], s[6:7]
	s_cbranch_execz .LBB733_35
.LBB733_158:
	v_lshlrev_b32_e32 v36, 3, v38
	v_mov_b32_e32 v37, 0
	v_lshl_add_u64 v[36:37], s[46:47], 0, v[36:37]
	flat_load_dwordx2 v[36:37], v[36:37]
	s_or_b64 exec, exec, s[4:5]
                                        ; implicit-def: $vgpr38_vgpr39
	s_and_saveexec_b64 s[4:5], s[8:9]
	s_cbranch_execnz .LBB733_36
.LBB733_159:
	s_or_b64 exec, exec, s[4:5]
                                        ; implicit-def: $vgpr40_vgpr41
	s_and_saveexec_b64 s[4:5], s[10:11]
	s_cbranch_execz .LBB733_37
.LBB733_160:
	v_lshlrev_b32_e32 v40, 3, v42
	v_mov_b32_e32 v41, 0
	v_lshl_add_u64 v[40:41], s[46:47], 0, v[40:41]
	flat_load_dwordx2 v[40:41], v[40:41]
	s_or_b64 exec, exec, s[4:5]
                                        ; implicit-def: $vgpr42_vgpr43
	s_and_saveexec_b64 s[4:5], s[12:13]
	s_cbranch_execnz .LBB733_38
.LBB733_161:
	s_or_b64 exec, exec, s[4:5]
                                        ; implicit-def: $vgpr44_vgpr45
	s_and_saveexec_b64 s[4:5], s[14:15]
	s_cbranch_execz .LBB733_39
.LBB733_162:
	v_lshlrev_b32_e32 v44, 3, v46
	v_mov_b32_e32 v45, 0
	v_lshl_add_u64 v[44:45], s[46:47], 0, v[44:45]
	flat_load_dwordx2 v[44:45], v[44:45]
	s_or_b64 exec, exec, s[4:5]
                                        ; implicit-def: $vgpr46_vgpr47
	s_and_saveexec_b64 s[4:5], s[16:17]
	s_cbranch_execnz .LBB733_40
.LBB733_163:
	s_or_b64 exec, exec, s[4:5]
                                        ; implicit-def: $vgpr48_vgpr49
	s_and_saveexec_b64 s[4:5], s[18:19]
	s_cbranch_execz .LBB733_41
.LBB733_164:
	v_lshlrev_b32_e32 v48, 3, v50
	v_mov_b32_e32 v49, 0
	v_lshl_add_u64 v[48:49], s[46:47], 0, v[48:49]
	flat_load_dwordx2 v[48:49], v[48:49]
	s_or_b64 exec, exec, s[4:5]
                                        ; implicit-def: $vgpr50_vgpr51
	s_and_saveexec_b64 s[4:5], s[20:21]
	s_cbranch_execnz .LBB733_42
.LBB733_165:
	s_or_b64 exec, exec, s[4:5]
                                        ; implicit-def: $vgpr52_vgpr53
	s_and_saveexec_b64 s[4:5], s[22:23]
	s_cbranch_execz .LBB733_43
.LBB733_166:
	v_lshlrev_b32_e32 v52, 3, v54
	v_mov_b32_e32 v53, 0
	v_lshl_add_u64 v[52:53], s[46:47], 0, v[52:53]
	flat_load_dwordx2 v[52:53], v[52:53]
	s_or_b64 exec, exec, s[4:5]
                                        ; implicit-def: $vgpr54_vgpr55
	s_and_saveexec_b64 s[4:5], s[24:25]
	s_cbranch_execz .LBB733_45
	s_branch .LBB733_44
.LBB733_167:
                                        ; implicit-def: $vgpr2_vgpr3
                                        ; implicit-def: $vgpr60_vgpr61
                                        ; implicit-def: $vgpr26_vgpr27
                                        ; implicit-def: $vgpr24_vgpr25
                                        ; implicit-def: $vgpr20_vgpr21
                                        ; implicit-def: $vgpr16_vgpr17
                                        ; implicit-def: $vgpr12_vgpr13
                                        ; implicit-def: $vgpr8_vgpr9
	s_cbranch_execz .LBB733_195
; %bb.168:
	s_cmp_lg_u64 s[58:59], 0
	s_cselect_b32 s3, s55, 0
	s_cselect_b32 s2, s54, 0
	s_cmp_eq_u64 s[2:3], 0
	v_mov_b64_e32 v[58:59], s[56:57]
	s_cbranch_scc1 .LBB733_170
; %bb.169:
	v_mov_b32_e32 v2, 0
	global_load_dwordx2 v[58:59], v2, s[2:3]
.LBB733_170:
	v_mov_b32_e32 v4, 0
	v_cmp_eq_u16_sdwa vcc, v62, v4 src0_sel:BYTE_0 src1_sel:DWORD
	v_cmp_eq_u16_sdwa s[2:3], v63, v4 src0_sel:BYTE_0 src1_sel:DWORD
	v_cmp_eq_u16_sdwa s[4:5], v65, v4 src0_sel:BYTE_0 src1_sel:DWORD
	v_cndmask_b32_e32 v3, 0, v47, vcc
	v_cndmask_b32_e32 v2, 0, v46, vcc
	v_lshl_add_u64 v[2:3], v[2:3], 0, v[48:49]
	v_cndmask_b32_e64 v3, 0, v3, s[2:3]
	v_cndmask_b32_e64 v2, 0, v2, s[2:3]
	v_lshl_add_u64 v[2:3], v[2:3], 0, v[50:51]
	v_cndmask_b32_e64 v3, 0, v3, s[4:5]
	v_cndmask_b32_e64 v2, 0, v2, s[4:5]
	v_lshl_add_u64 v[2:3], v[2:3], 0, v[42:43]
	v_cmp_eq_u16_sdwa s[6:7], v66, v4 src0_sel:BYTE_0 src1_sel:DWORD
	v_cmp_eq_u16_sdwa s[8:9], v67, v4 src0_sel:BYTE_0 src1_sel:DWORD
	;; [unrolled: 1-line block ×3, first 2 shown]
	v_cndmask_b32_e64 v3, 0, v3, s[6:7]
	v_cndmask_b32_e64 v2, 0, v2, s[6:7]
	v_lshl_add_u64 v[2:3], v[2:3], 0, v[44:45]
	v_cndmask_b32_e64 v3, 0, v3, s[8:9]
	v_cndmask_b32_e64 v2, 0, v2, s[8:9]
	v_lshl_add_u64 v[2:3], v[2:3], 0, v[38:39]
	;; [unrolled: 3-line block ×3, first 2 shown]
	v_cmp_eq_u16_sdwa s[12:13], v69, v4 src0_sel:BYTE_0 src1_sel:DWORD
	v_cmp_eq_u16_sdwa s[14:15], v70, v4 src0_sel:BYTE_0 src1_sel:DWORD
	;; [unrolled: 1-line block ×3, first 2 shown]
	v_cndmask_b32_e64 v3, 0, v3, s[12:13]
	v_cndmask_b32_e64 v2, 0, v2, s[12:13]
	v_lshl_add_u64 v[2:3], v[2:3], 0, v[34:35]
	v_cndmask_b32_e64 v3, 0, v3, s[14:15]
	v_cndmask_b32_e64 v2, 0, v2, s[14:15]
	v_cmp_eq_u16_sdwa s[18:19], v72, v4 src0_sel:BYTE_0 src1_sel:DWORD
	v_cmp_eq_u16_sdwa s[20:21], v73, v4 src0_sel:BYTE_0 src1_sel:DWORD
	;; [unrolled: 1-line block ×4, first 2 shown]
	v_or_b32_e32 v4, v75, v72
	v_lshl_add_u64 v[2:3], v[2:3], 0, v[36:37]
	v_or_b32_e32 v4, v4, v71
	v_cndmask_b32_e64 v3, 0, v3, s[16:17]
	v_cndmask_b32_e64 v2, 0, v2, s[16:17]
	v_or_b32_e32 v4, v4, v70
	v_lshl_add_u64 v[2:3], v[2:3], 0, v[52:53]
	v_or_b32_e32 v4, v4, v69
	v_cndmask_b32_e64 v3, 0, v3, s[18:19]
	v_cndmask_b32_e64 v2, 0, v2, s[18:19]
	v_or_b32_e32 v4, v4, v68
	v_lshl_add_u64 v[2:3], v[2:3], 0, v[32:33]
	v_or_b32_e32 v4, v4, v67
	v_cndmask_b32_e64 v3, 0, v3, s[20:21]
	v_cndmask_b32_e64 v2, 0, v2, s[20:21]
	v_or_b32_e32 v4, v4, v66
	v_lshl_add_u64 v[2:3], v[2:3], 0, v[54:55]
	v_or_b32_e32 v4, v4, v65
	v_cndmask_b32_e64 v3, 0, v3, s[22:23]
	v_cndmask_b32_e64 v2, 0, v2, s[22:23]
	v_or_b32_e32 v4, v4, v63
	v_lshl_add_u64 v[2:3], v[2:3], 0, v[30:31]
	v_or_b32_e32 v4, v4, v62
	v_cndmask_b32_e64 v3, 0, v3, s[24:25]
	v_cndmask_b32_e64 v2, 0, v2, s[24:25]
	v_or_b32_e32 v4, v4, v1
	v_mbcnt_hi_u32_b32 v6, -1, v74
	v_lshl_add_u64 v[2:3], v[2:3], 0, v[28:29]
	v_and_b32_e32 v7, 1, v4
	v_and_b32_e32 v5, 15, v6
	v_cmp_eq_u32_e64 s[24:25], 1, v7
	v_mov_b32_dpp v9, v2 row_shr:1 row_mask:0xf bank_mask:0xf
	v_mov_b32_dpp v10, v3 row_shr:1 row_mask:0xf bank_mask:0xf
	v_mov_b32_dpp v8, v7 row_shr:1 row_mask:0xf bank_mask:0xf
	v_cmp_ne_u32_e64 s[26:27], 0, v5
	v_mov_b32_e32 v4, v7
	s_and_saveexec_b64 s[28:29], s[26:27]
; %bb.171:
	v_and_b32_e32 v4, 1, v8
	v_cndmask_b32_e64 v11, v10, 0, s[24:25]
	v_cndmask_b32_e64 v10, v9, 0, s[24:25]
	v_or_b32_e32 v7, v4, v7
	v_lshl_add_u64 v[2:3], v[10:11], 0, v[2:3]
	v_and_b32_e32 v4, 0xffff, v7
; %bb.172:
	s_or_b64 exec, exec, s[28:29]
	v_mov_b32_dpp v9, v2 row_shr:2 row_mask:0xf bank_mask:0xf
	v_mov_b32_dpp v10, v3 row_shr:2 row_mask:0xf bank_mask:0xf
	;; [unrolled: 1-line block ×3, first 2 shown]
	v_cmp_lt_u32_e64 s[24:25], 1, v5
	s_and_saveexec_b64 s[28:29], s[24:25]
; %bb.173:
	v_cmp_eq_u16_e64 s[24:25], 0, v7
	v_and_b32_e32 v4, 1, v7
	s_nop 0
	v_cndmask_b32_e64 v11, 0, v10, s[24:25]
	v_cndmask_b32_e64 v10, 0, v9, s[24:25]
	v_cmp_eq_u32_e64 s[24:25], 1, v4
	v_and_b32_e32 v4, 1, v8
	v_cmp_eq_u32_e64 s[26:27], 1, v4
	s_or_b64 s[24:25], s[24:25], s[26:27]
	v_lshl_add_u64 v[2:3], v[10:11], 0, v[2:3]
	v_cndmask_b32_e64 v7, 0, 1, s[24:25]
	v_cndmask_b32_e64 v4, 0, 1, s[24:25]
; %bb.174:
	s_or_b64 exec, exec, s[28:29]
	v_mov_b32_dpp v9, v2 row_shr:4 row_mask:0xf bank_mask:0xf
	v_mov_b32_dpp v10, v3 row_shr:4 row_mask:0xf bank_mask:0xf
	;; [unrolled: 1-line block ×3, first 2 shown]
	v_cmp_lt_u32_e64 s[24:25], 3, v5
	s_and_saveexec_b64 s[28:29], s[24:25]
; %bb.175:
	v_cmp_eq_u16_e64 s[24:25], 0, v7
	v_and_b32_e32 v4, 1, v7
	s_nop 0
	v_cndmask_b32_e64 v11, 0, v10, s[24:25]
	v_cndmask_b32_e64 v10, 0, v9, s[24:25]
	v_cmp_eq_u32_e64 s[24:25], 1, v4
	v_and_b32_e32 v4, 1, v8
	v_cmp_eq_u32_e64 s[26:27], 1, v4
	s_or_b64 s[24:25], s[24:25], s[26:27]
	v_lshl_add_u64 v[2:3], v[10:11], 0, v[2:3]
	v_cndmask_b32_e64 v7, 0, 1, s[24:25]
	v_cndmask_b32_e64 v4, 0, 1, s[24:25]
; %bb.176:
	s_or_b64 exec, exec, s[28:29]
	v_mov_b32_dpp v9, v2 row_shr:8 row_mask:0xf bank_mask:0xf
	v_mov_b32_dpp v10, v3 row_shr:8 row_mask:0xf bank_mask:0xf
	;; [unrolled: 1-line block ×3, first 2 shown]
	v_cmp_lt_u32_e64 s[24:25], 7, v5
	s_and_saveexec_b64 s[28:29], s[24:25]
; %bb.177:
	v_cmp_eq_u16_e64 s[24:25], 0, v7
	s_nop 1
	v_cndmask_b32_e64 v5, 0, v10, s[24:25]
	v_cndmask_b32_e64 v4, 0, v9, s[24:25]
	v_lshl_add_u64 v[2:3], v[4:5], 0, v[2:3]
	v_and_b32_e32 v4, 1, v7
	v_cmp_eq_u32_e64 s[24:25], 1, v4
	v_and_b32_e32 v4, 1, v8
	v_cmp_eq_u32_e64 s[26:27], 1, v4
	s_or_b64 s[24:25], s[24:25], s[26:27]
	v_cndmask_b32_e64 v7, 0, 1, s[24:25]
	v_cndmask_b32_e64 v4, 0, 1, s[24:25]
; %bb.178:
	s_or_b64 exec, exec, s[28:29]
	v_and_b32_e32 v10, 16, v6
	v_mov_b32_dpp v8, v2 row_bcast:15 row_mask:0xf bank_mask:0xf
	v_mov_b32_dpp v9, v3 row_bcast:15 row_mask:0xf bank_mask:0xf
	;; [unrolled: 1-line block ×3, first 2 shown]
	v_cmp_ne_u32_e64 s[24:25], 0, v10
	s_and_saveexec_b64 s[28:29], s[24:25]
; %bb.179:
	v_cmp_eq_u16_e64 s[24:25], 0, v7
	v_and_b32_e32 v4, 1, v7
	s_nop 0
	v_cndmask_b32_e64 v9, 0, v9, s[24:25]
	v_cndmask_b32_e64 v8, 0, v8, s[24:25]
	v_cmp_eq_u32_e64 s[24:25], 1, v4
	v_and_b32_e32 v4, 1, v5
	v_cmp_eq_u32_e64 s[26:27], 1, v4
	s_or_b64 s[24:25], s[24:25], s[26:27]
	v_lshl_add_u64 v[2:3], v[8:9], 0, v[2:3]
	v_cndmask_b32_e64 v7, 0, 1, s[24:25]
	v_cndmask_b32_e64 v4, 0, 1, s[24:25]
; %bb.180:
	s_or_b64 exec, exec, s[28:29]
	v_mov_b32_dpp v5, v2 row_bcast:31 row_mask:0xf bank_mask:0xf
	v_mov_b32_dpp v8, v3 row_bcast:31 row_mask:0xf bank_mask:0xf
	;; [unrolled: 1-line block ×3, first 2 shown]
	v_cmp_lt_u32_e64 s[24:25], 31, v6
	s_and_saveexec_b64 s[28:29], s[24:25]
; %bb.181:
	v_cmp_eq_u16_e64 s[24:25], 0, v7
	v_and_b32_e32 v4, 1, v4
	v_cmp_eq_u32_e64 s[26:27], 1, v4
	v_cndmask_b32_e64 v9, 0, v8, s[24:25]
	v_cndmask_b32_e64 v8, 0, v5, s[24:25]
	v_and_b32_e32 v5, 1, v7
	v_cmp_eq_u32_e64 s[24:25], 1, v5
	s_or_b64 s[24:25], s[24:25], s[26:27]
	v_lshl_add_u64 v[2:3], v[8:9], 0, v[2:3]
	v_cndmask_b32_e64 v7, 0, 1, s[24:25]
; %bb.182:
	s_or_b64 exec, exec, s[28:29]
	v_or_b32_e32 v4, 63, v0
	v_lshrrev_b32_e32 v8, 6, v0
	v_cmp_eq_u32_e64 s[24:25], v4, v0
	s_and_saveexec_b64 s[26:27], s[24:25]
	s_cbranch_execz .LBB733_184
; %bb.183:
	v_lshlrev_b32_e32 v4, 4, v8
	ds_write_b64 v4, v[2:3]
	ds_write_b8 v4, v7 offset:8
.LBB733_184:
	s_or_b64 exec, exec, s[26:27]
	v_cmp_gt_u32_e64 s[24:25], 4, v0
	s_waitcnt lgkmcnt(0)
	s_barrier
	s_and_saveexec_b64 s[28:29], s[24:25]
	s_cbranch_execz .LBB733_190
; %bb.185:
	v_lshlrev_b32_e32 v9, 4, v0
	ds_read_b64 v[4:5], v9
	ds_read_b32 v10, v9 offset:8
	v_and_b32_e32 v11, 3, v6
	v_cmp_ne_u32_e64 s[24:25], 0, v11
	s_waitcnt lgkmcnt(1)
	v_mov_b32_dpp v15, v4 row_shr:1 row_mask:0xf bank_mask:0xf
	v_mov_b32_dpp v16, v5 row_shr:1 row_mask:0xf bank_mask:0xf
	s_waitcnt lgkmcnt(0)
	v_mov_b32_dpp v14, v10 row_shr:1 row_mask:0xf bank_mask:0xf
	v_mov_b32_e32 v12, v10
	v_mov_b32_e32 v13, v10
	s_and_saveexec_b64 s[26:27], s[24:25]
; %bb.186:
	v_mov_b32_e32 v12, 0
	v_cmp_eq_u16_sdwa s[24:25], v10, v12 src0_sel:BYTE_0 src1_sel:DWORD
	s_nop 1
	v_cndmask_b32_e64 v13, 0, v16, s[24:25]
	v_cndmask_b32_e64 v12, 0, v15, s[24:25]
	v_lshl_add_u64 v[4:5], v[12:13], 0, v[4:5]
	v_or_b32_e32 v13, v14, v10
	v_and_b32_e32 v12, 1, v13
	v_and_b32_e32 v13, 1, v13
	s_movk_i32 s24, 0xff00
	v_and_or_b32 v10, v10, s24, v13
; %bb.187:
	s_or_b64 exec, exec, s[26:27]
	v_mov_b32_dpp v14, v4 row_shr:2 row_mask:0xf bank_mask:0xf
	v_mov_b32_dpp v15, v5 row_shr:2 row_mask:0xf bank_mask:0xf
	;; [unrolled: 1-line block ×3, first 2 shown]
	v_cmp_lt_u32_e64 s[24:25], 1, v11
	s_and_saveexec_b64 s[30:31], s[24:25]
; %bb.188:
	v_mov_b32_e32 v11, 0
	v_cmp_eq_u16_sdwa s[24:25], v13, v11 src0_sel:BYTE_0 src1_sel:DWORD
	v_and_b32_e32 v11, 1, v13
	v_and_b32_e32 v10, 1, v10
	v_cndmask_b32_e64 v15, 0, v15, s[24:25]
	v_cndmask_b32_e64 v14, 0, v14, s[24:25]
	v_cmp_eq_u32_e64 s[24:25], 1, v11
	v_cmp_eq_u32_e64 s[26:27], 1, v10
	s_or_b64 s[24:25], s[24:25], s[26:27]
	v_lshl_add_u64 v[4:5], v[14:15], 0, v[4:5]
	v_cndmask_b32_e64 v12, 0, 1, s[24:25]
; %bb.189:
	s_or_b64 exec, exec, s[30:31]
	ds_write_b64 v9, v[4:5]
	ds_write_b8 v9, v12 offset:8
.LBB733_190:
	s_or_b64 exec, exec, s[28:29]
	v_cmp_lt_u32_e64 s[24:25], 63, v0
	s_waitcnt vmcnt(0)
	v_mov_b64_e32 v[4:5], v[58:59]
	s_waitcnt lgkmcnt(0)
	s_barrier
	s_and_saveexec_b64 s[26:27], s[24:25]
	s_cbranch_execz .LBB733_192
; %bb.191:
	v_lshl_add_u32 v4, v8, 4, -16
	ds_read_u8 v8, v4 offset:8
	ds_read_b64 v[4:5], v4
	s_waitcnt lgkmcnt(1)
	v_cmp_eq_u16_e64 s[24:25], 0, v8
	s_nop 1
	v_cndmask_b32_e64 v9, 0, v59, s[24:25]
	v_cndmask_b32_e64 v8, 0, v58, s[24:25]
	s_waitcnt lgkmcnt(0)
	v_lshl_add_u64 v[4:5], v[8:9], 0, v[4:5]
.LBB733_192:
	s_or_b64 exec, exec, s[26:27]
	v_cmp_eq_u16_e64 s[24:25], 0, v7
	v_add_u32_e32 v7, -1, v6
	v_mov_b32_e32 v28, 0
	v_cndmask_b32_e64 v9, 0, v5, s[24:25]
	v_cndmask_b32_e64 v8, 0, v4, s[24:25]
	v_lshl_add_u64 v[2:3], v[8:9], 0, v[2:3]
	v_and_b32_e32 v8, 64, v6
	v_cmp_lt_i32_e64 s[24:25], v7, v8
	v_cmp_eq_u16_sdwa s[26:27], v1, v28 src0_sel:BYTE_0 src1_sel:DWORD
	s_nop 0
	v_cndmask_b32_e64 v7, v7, v6, s[24:25]
	v_lshlrev_b32_e32 v7, 2, v7
	ds_bpermute_b32 v3, v7, v3
	ds_bpermute_b32 v2, v7, v2
	v_cmp_eq_u32_e64 s[24:25], 0, v6
	s_waitcnt lgkmcnt(1)
	s_nop 0
	v_cndmask_b32_e64 v3, v3, v5, s[24:25]
	s_waitcnt lgkmcnt(0)
	v_cndmask_b32_e64 v2, v2, v4, s[24:25]
	v_cmp_eq_u32_e64 s[24:25], 0, v0
	s_nop 1
	v_cndmask_b32_e64 v4, v2, v58, s[24:25]
	v_cndmask_b32_e64 v5, v3, v59, s[24:25]
	;; [unrolled: 1-line block ×4, first 2 shown]
	v_lshl_add_u64 v[4:5], v[4:5], 0, v[46:47]
	v_cndmask_b32_e32 v7, 0, v5, vcc
	v_cndmask_b32_e32 v6, 0, v4, vcc
	v_lshl_add_u64 v[6:7], v[6:7], 0, v[48:49]
	v_cndmask_b32_e64 v9, 0, v7, s[2:3]
	v_cndmask_b32_e64 v8, 0, v6, s[2:3]
	v_lshl_add_u64 v[8:9], v[8:9], 0, v[50:51]
	v_cndmask_b32_e64 v11, 0, v9, s[4:5]
	v_cndmask_b32_e64 v10, 0, v8, s[4:5]
	v_lshl_add_u64 v[10:11], v[10:11], 0, v[42:43]
	v_cndmask_b32_e64 v13, 0, v11, s[6:7]
	v_cndmask_b32_e64 v12, 0, v10, s[6:7]
	v_lshl_add_u64 v[12:13], v[12:13], 0, v[44:45]
	v_cndmask_b32_e64 v15, 0, v13, s[8:9]
	v_cndmask_b32_e64 v14, 0, v12, s[8:9]
	v_lshl_add_u64 v[14:15], v[14:15], 0, v[38:39]
	v_cndmask_b32_e64 v17, 0, v15, s[10:11]
	v_cndmask_b32_e64 v16, 0, v14, s[10:11]
	v_lshl_add_u64 v[16:17], v[16:17], 0, v[40:41]
	v_cndmask_b32_e64 v19, 0, v17, s[12:13]
	v_cndmask_b32_e64 v18, 0, v16, s[12:13]
	v_lshl_add_u64 v[18:19], v[18:19], 0, v[34:35]
	v_cndmask_b32_e64 v21, 0, v19, s[14:15]
	v_cndmask_b32_e64 v20, 0, v18, s[14:15]
	v_lshl_add_u64 v[20:21], v[20:21], 0, v[36:37]
	v_cndmask_b32_e64 v23, 0, v21, s[16:17]
	v_cndmask_b32_e64 v22, 0, v20, s[16:17]
	v_lshl_add_u64 v[22:23], v[22:23], 0, v[52:53]
	v_cndmask_b32_e64 v25, 0, v23, s[18:19]
	v_cndmask_b32_e64 v24, 0, v22, s[18:19]
	v_lshl_add_u64 v[24:25], v[24:25], 0, v[32:33]
	v_cndmask_b32_e64 v27, 0, v25, s[20:21]
	v_cndmask_b32_e64 v26, 0, v24, s[20:21]
	v_lshl_add_u64 v[26:27], v[26:27], 0, v[54:55]
	v_cndmask_b32_e64 v61, 0, v27, s[22:23]
	v_cndmask_b32_e64 v60, 0, v26, s[22:23]
	s_and_saveexec_b64 s[2:3], s[24:25]
	s_cbranch_execz .LBB733_194
; %bb.193:
	ds_read_u8 v1, v28 offset:56
	ds_read_b64 v[2:3], v28 offset:48
	s_waitcnt lgkmcnt(1)
	v_cmp_eq_u32_e32 vcc, 0, v1
	s_nop 1
	v_cndmask_b32_e32 v33, 0, v59, vcc
	v_cndmask_b32_e32 v32, 0, v58, vcc
	s_waitcnt lgkmcnt(0)
	v_lshl_add_u64 v[2:3], v[32:33], 0, v[2:3]
	global_store_dword v28, v2, s[38:39] offset:1024 sc1
	global_store_dword v28, v3, s[38:39] offset:1028 sc1
	;; [unrolled: 1-line block ×4, first 2 shown]
	v_mov_b32_e32 v1, 2
	v_mov_b64_e32 v[2:3], v[58:59]
	s_waitcnt vmcnt(0)
	global_store_byte v28, v1, s[40:41] offset:64 sc1
.LBB733_194:
	s_or_b64 exec, exec, s[2:3]
.LBB733_195:
	s_add_u32 s2, s50, s34
	s_addc_u32 s3, s51, s35
	s_add_u32 s2, s2, s44
	v_mul_u32_u24_e32 v1, 14, v0
	v_lshl_add_u64 v[28:29], v[60:61], 0, v[30:31]
	s_addc_u32 s3, s3, s45
	s_and_b64 vcc, exec, s[0:1]
	v_lshlrev_b32_e32 v60, 3, v1
	s_cbranch_vccz .LBB733_223
; %bb.196:
	s_movk_i32 s0, 0xff98
	v_mad_i32_i24 v1, v0, s0, v60
	s_barrier
	ds_write_b128 v60, v[2:5]
	ds_write_b128 v60, v[6:9] offset:16
	ds_write_b128 v60, v[10:13] offset:32
	;; [unrolled: 1-line block ×6, first 2 shown]
	s_waitcnt lgkmcnt(0)
	s_barrier
	ds_read2st64_b64 v[52:55], v1 offset0:4 offset1:8
	ds_read2st64_b64 v[48:51], v1 offset0:12 offset1:16
	;; [unrolled: 1-line block ×6, first 2 shown]
	ds_read_b64 v[30:31], v1 offset:26624
	s_add_i32 s33, s33, s42
	v_mov_b32_e32 v57, 0
	v_lshl_add_u64 v[58:59], s[2:3], 0, v[56:57]
	v_cmp_gt_u32_e32 vcc, s33, v0
	s_and_saveexec_b64 s[0:1], vcc
	s_cbranch_execz .LBB733_198
; %bb.197:
	v_mul_i32_i24_e32 v1, 0xffffff98, v0
	v_add_u32_e32 v1, v60, v1
	ds_read_b64 v[62:63], v1
	s_waitcnt lgkmcnt(0)
	flat_store_dwordx2 v[58:59], v[62:63]
.LBB733_198:
	s_or_b64 exec, exec, s[0:1]
	v_or_b32_e32 v1, 0x100, v0
	v_cmp_gt_u32_e32 vcc, s33, v1
	s_and_saveexec_b64 s[0:1], vcc
	s_cbranch_execz .LBB733_200
; %bb.199:
	s_waitcnt lgkmcnt(0)
	flat_store_dwordx2 v[58:59], v[52:53] offset:2048
.LBB733_200:
	s_or_b64 exec, exec, s[0:1]
	v_or_b32_e32 v1, 0x200, v0
	v_cmp_gt_u32_e32 vcc, s33, v1
	s_and_saveexec_b64 s[0:1], vcc
	s_cbranch_execz .LBB733_202
; %bb.201:
	s_waitcnt lgkmcnt(0)
	v_add_co_u32_e32 v52, vcc, 0x1000, v58
	s_nop 1
	v_addc_co_u32_e32 v53, vcc, 0, v59, vcc
	flat_store_dwordx2 v[52:53], v[54:55]
.LBB733_202:
	s_or_b64 exec, exec, s[0:1]
	v_or_b32_e32 v1, 0x300, v0
	v_cmp_gt_u32_e32 vcc, s33, v1
	s_and_saveexec_b64 s[0:1], vcc
	s_cbranch_execz .LBB733_204
; %bb.203:
	s_waitcnt lgkmcnt(0)
	v_add_co_u32_e32 v52, vcc, 0x1000, v58
	s_nop 1
	v_addc_co_u32_e32 v53, vcc, 0, v59, vcc
	flat_store_dwordx2 v[52:53], v[48:49] offset:2048
.LBB733_204:
	s_or_b64 exec, exec, s[0:1]
	v_or_b32_e32 v1, 0x400, v0
	v_cmp_gt_u32_e32 vcc, s33, v1
	s_and_saveexec_b64 s[0:1], vcc
	s_cbranch_execz .LBB733_206
; %bb.205:
	s_waitcnt lgkmcnt(0)
	v_add_co_u32_e32 v48, vcc, 0x2000, v58
	s_nop 1
	v_addc_co_u32_e32 v49, vcc, 0, v59, vcc
	flat_store_dwordx2 v[48:49], v[50:51]
.LBB733_206:
	s_or_b64 exec, exec, s[0:1]
	v_or_b32_e32 v1, 0x500, v0
	v_cmp_gt_u32_e32 vcc, s33, v1
	s_and_saveexec_b64 s[0:1], vcc
	s_cbranch_execz .LBB733_208
; %bb.207:
	s_waitcnt lgkmcnt(0)
	v_add_co_u32_e32 v48, vcc, 0x2000, v58
	s_nop 1
	v_addc_co_u32_e32 v49, vcc, 0, v59, vcc
	flat_store_dwordx2 v[48:49], v[44:45] offset:2048
.LBB733_208:
	;; [unrolled: 24-line block ×5, first 2 shown]
	s_or_b64 exec, exec, s[0:1]
	v_or_b32_e32 v1, 0xc00, v0
	v_cmp_gt_u32_e32 vcc, s33, v1
	s_and_saveexec_b64 s[0:1], vcc
	s_cbranch_execz .LBB733_222
; %bb.221:
	s_waitcnt lgkmcnt(0)
	v_add_co_u32_e32 v32, vcc, 0x6000, v58
	s_nop 1
	v_addc_co_u32_e32 v33, vcc, 0, v59, vcc
	flat_store_dwordx2 v[32:33], v[34:35]
.LBB733_222:
	s_or_b64 exec, exec, s[0:1]
	s_waitcnt lgkmcnt(0)
	v_or_b32_e32 v32, 0xd00, v0
	v_mov_b32_e32 v1, v57
	v_cmp_gt_u32_e64 s[0:1], s33, v32
	s_branch .LBB733_225
.LBB733_223:
	s_mov_b64 s[0:1], 0
                                        ; implicit-def: $vgpr30_vgpr31
	s_cbranch_execz .LBB733_225
; %bb.224:
	v_mov_b32_e32 v1, 0
	s_movk_i32 s4, 0xff98
	s_barrier
	ds_write_b128 v60, v[2:5]
	ds_write_b128 v60, v[6:9] offset:16
	ds_write_b128 v60, v[10:13] offset:32
	ds_write_b128 v60, v[14:17] offset:48
	ds_write_b128 v60, v[18:21] offset:64
	ds_write_b128 v60, v[22:25] offset:80
	ds_write_b128 v60, v[26:29] offset:96
	v_mad_i32_i24 v26, v0, s4, v60
	v_mov_b32_e32 v57, v1
	s_waitcnt lgkmcnt(0)
	s_barrier
	ds_read2st64_b64 v[2:5], v26 offset1:4
	ds_read2st64_b64 v[6:9], v26 offset0:8 offset1:12
	ds_read2st64_b64 v[10:13], v26 offset0:16 offset1:20
	;; [unrolled: 1-line block ×6, first 2 shown]
	v_lshl_add_u64 v[26:27], s[2:3], 0, v[56:57]
	s_movk_i32 s4, 0x1000
	s_waitcnt lgkmcnt(0)
	flat_store_dwordx2 v[26:27], v[2:3]
	flat_store_dwordx2 v[26:27], v[4:5] offset:2048
	v_add_co_u32_e32 v2, vcc, s4, v26
	s_movk_i32 s4, 0x2000
	s_nop 0
	v_addc_co_u32_e32 v3, vcc, 0, v27, vcc
	flat_store_dwordx2 v[2:3], v[6:7]
	flat_store_dwordx2 v[2:3], v[8:9] offset:2048
	v_add_co_u32_e32 v2, vcc, s4, v26
	s_movk_i32 s4, 0x3000
	s_nop 0
	v_addc_co_u32_e32 v3, vcc, 0, v27, vcc
	;; [unrolled: 6-line block ×3, first 2 shown]
	flat_store_dwordx2 v[2:3], v[14:15]
	flat_store_dwordx2 v[2:3], v[16:17] offset:2048
	v_add_co_u32_e32 v2, vcc, s4, v26
	s_or_b64 s[0:1], s[0:1], exec
	s_nop 0
	v_addc_co_u32_e32 v3, vcc, 0, v27, vcc
	flat_store_dwordx2 v[2:3], v[18:19]
	flat_store_dwordx2 v[2:3], v[20:21] offset:2048
	v_add_co_u32_e32 v2, vcc, 0x5000, v26
	s_nop 1
	v_addc_co_u32_e32 v3, vcc, 0, v27, vcc
	flat_store_dwordx2 v[2:3], v[22:23]
	flat_store_dwordx2 v[2:3], v[24:25] offset:2048
	v_add_co_u32_e32 v2, vcc, 0x6000, v26
	s_nop 1
	v_addc_co_u32_e32 v3, vcc, 0, v27, vcc
	flat_store_dwordx2 v[2:3], v[28:29]
.LBB733_225:
	s_and_saveexec_b64 s[4:5], s[0:1]
	s_cbranch_execz .LBB733_227
; %bb.226:
	v_lshl_add_u64 v[0:1], v[0:1], 3, s[2:3]
	v_add_co_u32_e32 v0, vcc, 0x6000, v0
	s_nop 1
	v_addc_co_u32_e32 v1, vcc, 0, v1, vcc
	flat_store_dwordx2 v[0:1], v[30:31] offset:2048
	s_endpgm
.LBB733_227:
	s_endpgm
	.section	.rodata,"a",@progbits
	.p2align	6, 0x0
	.amdhsa_kernel _ZN7rocprim17ROCPRIM_400000_NS6detail17trampoline_kernelINS0_14default_configENS1_27scan_by_key_config_selectorIxxEEZZNS1_16scan_by_key_implILNS1_25lookback_scan_determinismE0ELb1ES3_N6thrust23THRUST_200600_302600_NS6detail15normal_iteratorINS9_10device_ptrIxEEEESE_SE_xNS9_4plusIxEE19head_flag_predicatexEE10hipError_tPvRmT2_T3_T4_T5_mT6_T7_P12ihipStream_tbENKUlT_T0_E_clISt17integral_constantIbLb1EESX_IbLb0EEEEDaST_SU_EUlST_E_NS1_11comp_targetILNS1_3genE5ELNS1_11target_archE942ELNS1_3gpuE9ELNS1_3repE0EEENS1_30default_config_static_selectorELNS0_4arch9wavefront6targetE1EEEvT1_
		.amdhsa_group_segment_fixed_size 32768
		.amdhsa_private_segment_fixed_size 0
		.amdhsa_kernarg_size 136
		.amdhsa_user_sgpr_count 2
		.amdhsa_user_sgpr_dispatch_ptr 0
		.amdhsa_user_sgpr_queue_ptr 0
		.amdhsa_user_sgpr_kernarg_segment_ptr 1
		.amdhsa_user_sgpr_dispatch_id 0
		.amdhsa_user_sgpr_kernarg_preload_length 0
		.amdhsa_user_sgpr_kernarg_preload_offset 0
		.amdhsa_user_sgpr_private_segment_size 0
		.amdhsa_uses_dynamic_stack 0
		.amdhsa_enable_private_segment 0
		.amdhsa_system_sgpr_workgroup_id_x 1
		.amdhsa_system_sgpr_workgroup_id_y 0
		.amdhsa_system_sgpr_workgroup_id_z 0
		.amdhsa_system_sgpr_workgroup_info 0
		.amdhsa_system_vgpr_workitem_id 0
		.amdhsa_next_free_vgpr 85
		.amdhsa_next_free_sgpr 64
		.amdhsa_accum_offset 88
		.amdhsa_reserve_vcc 1
		.amdhsa_float_round_mode_32 0
		.amdhsa_float_round_mode_16_64 0
		.amdhsa_float_denorm_mode_32 3
		.amdhsa_float_denorm_mode_16_64 3
		.amdhsa_dx10_clamp 1
		.amdhsa_ieee_mode 1
		.amdhsa_fp16_overflow 0
		.amdhsa_tg_split 0
		.amdhsa_exception_fp_ieee_invalid_op 0
		.amdhsa_exception_fp_denorm_src 0
		.amdhsa_exception_fp_ieee_div_zero 0
		.amdhsa_exception_fp_ieee_overflow 0
		.amdhsa_exception_fp_ieee_underflow 0
		.amdhsa_exception_fp_ieee_inexact 0
		.amdhsa_exception_int_div_zero 0
	.end_amdhsa_kernel
	.section	.text._ZN7rocprim17ROCPRIM_400000_NS6detail17trampoline_kernelINS0_14default_configENS1_27scan_by_key_config_selectorIxxEEZZNS1_16scan_by_key_implILNS1_25lookback_scan_determinismE0ELb1ES3_N6thrust23THRUST_200600_302600_NS6detail15normal_iteratorINS9_10device_ptrIxEEEESE_SE_xNS9_4plusIxEE19head_flag_predicatexEE10hipError_tPvRmT2_T3_T4_T5_mT6_T7_P12ihipStream_tbENKUlT_T0_E_clISt17integral_constantIbLb1EESX_IbLb0EEEEDaST_SU_EUlST_E_NS1_11comp_targetILNS1_3genE5ELNS1_11target_archE942ELNS1_3gpuE9ELNS1_3repE0EEENS1_30default_config_static_selectorELNS0_4arch9wavefront6targetE1EEEvT1_,"axG",@progbits,_ZN7rocprim17ROCPRIM_400000_NS6detail17trampoline_kernelINS0_14default_configENS1_27scan_by_key_config_selectorIxxEEZZNS1_16scan_by_key_implILNS1_25lookback_scan_determinismE0ELb1ES3_N6thrust23THRUST_200600_302600_NS6detail15normal_iteratorINS9_10device_ptrIxEEEESE_SE_xNS9_4plusIxEE19head_flag_predicatexEE10hipError_tPvRmT2_T3_T4_T5_mT6_T7_P12ihipStream_tbENKUlT_T0_E_clISt17integral_constantIbLb1EESX_IbLb0EEEEDaST_SU_EUlST_E_NS1_11comp_targetILNS1_3genE5ELNS1_11target_archE942ELNS1_3gpuE9ELNS1_3repE0EEENS1_30default_config_static_selectorELNS0_4arch9wavefront6targetE1EEEvT1_,comdat
.Lfunc_end733:
	.size	_ZN7rocprim17ROCPRIM_400000_NS6detail17trampoline_kernelINS0_14default_configENS1_27scan_by_key_config_selectorIxxEEZZNS1_16scan_by_key_implILNS1_25lookback_scan_determinismE0ELb1ES3_N6thrust23THRUST_200600_302600_NS6detail15normal_iteratorINS9_10device_ptrIxEEEESE_SE_xNS9_4plusIxEE19head_flag_predicatexEE10hipError_tPvRmT2_T3_T4_T5_mT6_T7_P12ihipStream_tbENKUlT_T0_E_clISt17integral_constantIbLb1EESX_IbLb0EEEEDaST_SU_EUlST_E_NS1_11comp_targetILNS1_3genE5ELNS1_11target_archE942ELNS1_3gpuE9ELNS1_3repE0EEENS1_30default_config_static_selectorELNS0_4arch9wavefront6targetE1EEEvT1_, .Lfunc_end733-_ZN7rocprim17ROCPRIM_400000_NS6detail17trampoline_kernelINS0_14default_configENS1_27scan_by_key_config_selectorIxxEEZZNS1_16scan_by_key_implILNS1_25lookback_scan_determinismE0ELb1ES3_N6thrust23THRUST_200600_302600_NS6detail15normal_iteratorINS9_10device_ptrIxEEEESE_SE_xNS9_4plusIxEE19head_flag_predicatexEE10hipError_tPvRmT2_T3_T4_T5_mT6_T7_P12ihipStream_tbENKUlT_T0_E_clISt17integral_constantIbLb1EESX_IbLb0EEEEDaST_SU_EUlST_E_NS1_11comp_targetILNS1_3genE5ELNS1_11target_archE942ELNS1_3gpuE9ELNS1_3repE0EEENS1_30default_config_static_selectorELNS0_4arch9wavefront6targetE1EEEvT1_
                                        ; -- End function
	.section	.AMDGPU.csdata,"",@progbits
; Kernel info:
; codeLenInByte = 12852
; NumSgprs: 70
; NumVgprs: 85
; NumAgprs: 0
; TotalNumVgprs: 85
; ScratchSize: 0
; MemoryBound: 0
; FloatMode: 240
; IeeeMode: 1
; LDSByteSize: 32768 bytes/workgroup (compile time only)
; SGPRBlocks: 8
; VGPRBlocks: 10
; NumSGPRsForWavesPerEU: 70
; NumVGPRsForWavesPerEU: 85
; AccumOffset: 88
; Occupancy: 2
; WaveLimiterHint : 1
; COMPUTE_PGM_RSRC2:SCRATCH_EN: 0
; COMPUTE_PGM_RSRC2:USER_SGPR: 2
; COMPUTE_PGM_RSRC2:TRAP_HANDLER: 0
; COMPUTE_PGM_RSRC2:TGID_X_EN: 1
; COMPUTE_PGM_RSRC2:TGID_Y_EN: 0
; COMPUTE_PGM_RSRC2:TGID_Z_EN: 0
; COMPUTE_PGM_RSRC2:TIDIG_COMP_CNT: 0
; COMPUTE_PGM_RSRC3_GFX90A:ACCUM_OFFSET: 21
; COMPUTE_PGM_RSRC3_GFX90A:TG_SPLIT: 0
	.section	.text._ZN7rocprim17ROCPRIM_400000_NS6detail17trampoline_kernelINS0_14default_configENS1_27scan_by_key_config_selectorIxxEEZZNS1_16scan_by_key_implILNS1_25lookback_scan_determinismE0ELb1ES3_N6thrust23THRUST_200600_302600_NS6detail15normal_iteratorINS9_10device_ptrIxEEEESE_SE_xNS9_4plusIxEE19head_flag_predicatexEE10hipError_tPvRmT2_T3_T4_T5_mT6_T7_P12ihipStream_tbENKUlT_T0_E_clISt17integral_constantIbLb1EESX_IbLb0EEEEDaST_SU_EUlST_E_NS1_11comp_targetILNS1_3genE4ELNS1_11target_archE910ELNS1_3gpuE8ELNS1_3repE0EEENS1_30default_config_static_selectorELNS0_4arch9wavefront6targetE1EEEvT1_,"axG",@progbits,_ZN7rocprim17ROCPRIM_400000_NS6detail17trampoline_kernelINS0_14default_configENS1_27scan_by_key_config_selectorIxxEEZZNS1_16scan_by_key_implILNS1_25lookback_scan_determinismE0ELb1ES3_N6thrust23THRUST_200600_302600_NS6detail15normal_iteratorINS9_10device_ptrIxEEEESE_SE_xNS9_4plusIxEE19head_flag_predicatexEE10hipError_tPvRmT2_T3_T4_T5_mT6_T7_P12ihipStream_tbENKUlT_T0_E_clISt17integral_constantIbLb1EESX_IbLb0EEEEDaST_SU_EUlST_E_NS1_11comp_targetILNS1_3genE4ELNS1_11target_archE910ELNS1_3gpuE8ELNS1_3repE0EEENS1_30default_config_static_selectorELNS0_4arch9wavefront6targetE1EEEvT1_,comdat
	.protected	_ZN7rocprim17ROCPRIM_400000_NS6detail17trampoline_kernelINS0_14default_configENS1_27scan_by_key_config_selectorIxxEEZZNS1_16scan_by_key_implILNS1_25lookback_scan_determinismE0ELb1ES3_N6thrust23THRUST_200600_302600_NS6detail15normal_iteratorINS9_10device_ptrIxEEEESE_SE_xNS9_4plusIxEE19head_flag_predicatexEE10hipError_tPvRmT2_T3_T4_T5_mT6_T7_P12ihipStream_tbENKUlT_T0_E_clISt17integral_constantIbLb1EESX_IbLb0EEEEDaST_SU_EUlST_E_NS1_11comp_targetILNS1_3genE4ELNS1_11target_archE910ELNS1_3gpuE8ELNS1_3repE0EEENS1_30default_config_static_selectorELNS0_4arch9wavefront6targetE1EEEvT1_ ; -- Begin function _ZN7rocprim17ROCPRIM_400000_NS6detail17trampoline_kernelINS0_14default_configENS1_27scan_by_key_config_selectorIxxEEZZNS1_16scan_by_key_implILNS1_25lookback_scan_determinismE0ELb1ES3_N6thrust23THRUST_200600_302600_NS6detail15normal_iteratorINS9_10device_ptrIxEEEESE_SE_xNS9_4plusIxEE19head_flag_predicatexEE10hipError_tPvRmT2_T3_T4_T5_mT6_T7_P12ihipStream_tbENKUlT_T0_E_clISt17integral_constantIbLb1EESX_IbLb0EEEEDaST_SU_EUlST_E_NS1_11comp_targetILNS1_3genE4ELNS1_11target_archE910ELNS1_3gpuE8ELNS1_3repE0EEENS1_30default_config_static_selectorELNS0_4arch9wavefront6targetE1EEEvT1_
	.globl	_ZN7rocprim17ROCPRIM_400000_NS6detail17trampoline_kernelINS0_14default_configENS1_27scan_by_key_config_selectorIxxEEZZNS1_16scan_by_key_implILNS1_25lookback_scan_determinismE0ELb1ES3_N6thrust23THRUST_200600_302600_NS6detail15normal_iteratorINS9_10device_ptrIxEEEESE_SE_xNS9_4plusIxEE19head_flag_predicatexEE10hipError_tPvRmT2_T3_T4_T5_mT6_T7_P12ihipStream_tbENKUlT_T0_E_clISt17integral_constantIbLb1EESX_IbLb0EEEEDaST_SU_EUlST_E_NS1_11comp_targetILNS1_3genE4ELNS1_11target_archE910ELNS1_3gpuE8ELNS1_3repE0EEENS1_30default_config_static_selectorELNS0_4arch9wavefront6targetE1EEEvT1_
	.p2align	8
	.type	_ZN7rocprim17ROCPRIM_400000_NS6detail17trampoline_kernelINS0_14default_configENS1_27scan_by_key_config_selectorIxxEEZZNS1_16scan_by_key_implILNS1_25lookback_scan_determinismE0ELb1ES3_N6thrust23THRUST_200600_302600_NS6detail15normal_iteratorINS9_10device_ptrIxEEEESE_SE_xNS9_4plusIxEE19head_flag_predicatexEE10hipError_tPvRmT2_T3_T4_T5_mT6_T7_P12ihipStream_tbENKUlT_T0_E_clISt17integral_constantIbLb1EESX_IbLb0EEEEDaST_SU_EUlST_E_NS1_11comp_targetILNS1_3genE4ELNS1_11target_archE910ELNS1_3gpuE8ELNS1_3repE0EEENS1_30default_config_static_selectorELNS0_4arch9wavefront6targetE1EEEvT1_,@function
_ZN7rocprim17ROCPRIM_400000_NS6detail17trampoline_kernelINS0_14default_configENS1_27scan_by_key_config_selectorIxxEEZZNS1_16scan_by_key_implILNS1_25lookback_scan_determinismE0ELb1ES3_N6thrust23THRUST_200600_302600_NS6detail15normal_iteratorINS9_10device_ptrIxEEEESE_SE_xNS9_4plusIxEE19head_flag_predicatexEE10hipError_tPvRmT2_T3_T4_T5_mT6_T7_P12ihipStream_tbENKUlT_T0_E_clISt17integral_constantIbLb1EESX_IbLb0EEEEDaST_SU_EUlST_E_NS1_11comp_targetILNS1_3genE4ELNS1_11target_archE910ELNS1_3gpuE8ELNS1_3repE0EEENS1_30default_config_static_selectorELNS0_4arch9wavefront6targetE1EEEvT1_: ; @_ZN7rocprim17ROCPRIM_400000_NS6detail17trampoline_kernelINS0_14default_configENS1_27scan_by_key_config_selectorIxxEEZZNS1_16scan_by_key_implILNS1_25lookback_scan_determinismE0ELb1ES3_N6thrust23THRUST_200600_302600_NS6detail15normal_iteratorINS9_10device_ptrIxEEEESE_SE_xNS9_4plusIxEE19head_flag_predicatexEE10hipError_tPvRmT2_T3_T4_T5_mT6_T7_P12ihipStream_tbENKUlT_T0_E_clISt17integral_constantIbLb1EESX_IbLb0EEEEDaST_SU_EUlST_E_NS1_11comp_targetILNS1_3genE4ELNS1_11target_archE910ELNS1_3gpuE8ELNS1_3repE0EEENS1_30default_config_static_selectorELNS0_4arch9wavefront6targetE1EEEvT1_
; %bb.0:
	.section	.rodata,"a",@progbits
	.p2align	6, 0x0
	.amdhsa_kernel _ZN7rocprim17ROCPRIM_400000_NS6detail17trampoline_kernelINS0_14default_configENS1_27scan_by_key_config_selectorIxxEEZZNS1_16scan_by_key_implILNS1_25lookback_scan_determinismE0ELb1ES3_N6thrust23THRUST_200600_302600_NS6detail15normal_iteratorINS9_10device_ptrIxEEEESE_SE_xNS9_4plusIxEE19head_flag_predicatexEE10hipError_tPvRmT2_T3_T4_T5_mT6_T7_P12ihipStream_tbENKUlT_T0_E_clISt17integral_constantIbLb1EESX_IbLb0EEEEDaST_SU_EUlST_E_NS1_11comp_targetILNS1_3genE4ELNS1_11target_archE910ELNS1_3gpuE8ELNS1_3repE0EEENS1_30default_config_static_selectorELNS0_4arch9wavefront6targetE1EEEvT1_
		.amdhsa_group_segment_fixed_size 0
		.amdhsa_private_segment_fixed_size 0
		.amdhsa_kernarg_size 136
		.amdhsa_user_sgpr_count 2
		.amdhsa_user_sgpr_dispatch_ptr 0
		.amdhsa_user_sgpr_queue_ptr 0
		.amdhsa_user_sgpr_kernarg_segment_ptr 1
		.amdhsa_user_sgpr_dispatch_id 0
		.amdhsa_user_sgpr_kernarg_preload_length 0
		.amdhsa_user_sgpr_kernarg_preload_offset 0
		.amdhsa_user_sgpr_private_segment_size 0
		.amdhsa_uses_dynamic_stack 0
		.amdhsa_enable_private_segment 0
		.amdhsa_system_sgpr_workgroup_id_x 1
		.amdhsa_system_sgpr_workgroup_id_y 0
		.amdhsa_system_sgpr_workgroup_id_z 0
		.amdhsa_system_sgpr_workgroup_info 0
		.amdhsa_system_vgpr_workitem_id 0
		.amdhsa_next_free_vgpr 1
		.amdhsa_next_free_sgpr 0
		.amdhsa_accum_offset 4
		.amdhsa_reserve_vcc 0
		.amdhsa_float_round_mode_32 0
		.amdhsa_float_round_mode_16_64 0
		.amdhsa_float_denorm_mode_32 3
		.amdhsa_float_denorm_mode_16_64 3
		.amdhsa_dx10_clamp 1
		.amdhsa_ieee_mode 1
		.amdhsa_fp16_overflow 0
		.amdhsa_tg_split 0
		.amdhsa_exception_fp_ieee_invalid_op 0
		.amdhsa_exception_fp_denorm_src 0
		.amdhsa_exception_fp_ieee_div_zero 0
		.amdhsa_exception_fp_ieee_overflow 0
		.amdhsa_exception_fp_ieee_underflow 0
		.amdhsa_exception_fp_ieee_inexact 0
		.amdhsa_exception_int_div_zero 0
	.end_amdhsa_kernel
	.section	.text._ZN7rocprim17ROCPRIM_400000_NS6detail17trampoline_kernelINS0_14default_configENS1_27scan_by_key_config_selectorIxxEEZZNS1_16scan_by_key_implILNS1_25lookback_scan_determinismE0ELb1ES3_N6thrust23THRUST_200600_302600_NS6detail15normal_iteratorINS9_10device_ptrIxEEEESE_SE_xNS9_4plusIxEE19head_flag_predicatexEE10hipError_tPvRmT2_T3_T4_T5_mT6_T7_P12ihipStream_tbENKUlT_T0_E_clISt17integral_constantIbLb1EESX_IbLb0EEEEDaST_SU_EUlST_E_NS1_11comp_targetILNS1_3genE4ELNS1_11target_archE910ELNS1_3gpuE8ELNS1_3repE0EEENS1_30default_config_static_selectorELNS0_4arch9wavefront6targetE1EEEvT1_,"axG",@progbits,_ZN7rocprim17ROCPRIM_400000_NS6detail17trampoline_kernelINS0_14default_configENS1_27scan_by_key_config_selectorIxxEEZZNS1_16scan_by_key_implILNS1_25lookback_scan_determinismE0ELb1ES3_N6thrust23THRUST_200600_302600_NS6detail15normal_iteratorINS9_10device_ptrIxEEEESE_SE_xNS9_4plusIxEE19head_flag_predicatexEE10hipError_tPvRmT2_T3_T4_T5_mT6_T7_P12ihipStream_tbENKUlT_T0_E_clISt17integral_constantIbLb1EESX_IbLb0EEEEDaST_SU_EUlST_E_NS1_11comp_targetILNS1_3genE4ELNS1_11target_archE910ELNS1_3gpuE8ELNS1_3repE0EEENS1_30default_config_static_selectorELNS0_4arch9wavefront6targetE1EEEvT1_,comdat
.Lfunc_end734:
	.size	_ZN7rocprim17ROCPRIM_400000_NS6detail17trampoline_kernelINS0_14default_configENS1_27scan_by_key_config_selectorIxxEEZZNS1_16scan_by_key_implILNS1_25lookback_scan_determinismE0ELb1ES3_N6thrust23THRUST_200600_302600_NS6detail15normal_iteratorINS9_10device_ptrIxEEEESE_SE_xNS9_4plusIxEE19head_flag_predicatexEE10hipError_tPvRmT2_T3_T4_T5_mT6_T7_P12ihipStream_tbENKUlT_T0_E_clISt17integral_constantIbLb1EESX_IbLb0EEEEDaST_SU_EUlST_E_NS1_11comp_targetILNS1_3genE4ELNS1_11target_archE910ELNS1_3gpuE8ELNS1_3repE0EEENS1_30default_config_static_selectorELNS0_4arch9wavefront6targetE1EEEvT1_, .Lfunc_end734-_ZN7rocprim17ROCPRIM_400000_NS6detail17trampoline_kernelINS0_14default_configENS1_27scan_by_key_config_selectorIxxEEZZNS1_16scan_by_key_implILNS1_25lookback_scan_determinismE0ELb1ES3_N6thrust23THRUST_200600_302600_NS6detail15normal_iteratorINS9_10device_ptrIxEEEESE_SE_xNS9_4plusIxEE19head_flag_predicatexEE10hipError_tPvRmT2_T3_T4_T5_mT6_T7_P12ihipStream_tbENKUlT_T0_E_clISt17integral_constantIbLb1EESX_IbLb0EEEEDaST_SU_EUlST_E_NS1_11comp_targetILNS1_3genE4ELNS1_11target_archE910ELNS1_3gpuE8ELNS1_3repE0EEENS1_30default_config_static_selectorELNS0_4arch9wavefront6targetE1EEEvT1_
                                        ; -- End function
	.section	.AMDGPU.csdata,"",@progbits
; Kernel info:
; codeLenInByte = 0
; NumSgprs: 6
; NumVgprs: 0
; NumAgprs: 0
; TotalNumVgprs: 0
; ScratchSize: 0
; MemoryBound: 0
; FloatMode: 240
; IeeeMode: 1
; LDSByteSize: 0 bytes/workgroup (compile time only)
; SGPRBlocks: 0
; VGPRBlocks: 0
; NumSGPRsForWavesPerEU: 6
; NumVGPRsForWavesPerEU: 1
; AccumOffset: 4
; Occupancy: 8
; WaveLimiterHint : 0
; COMPUTE_PGM_RSRC2:SCRATCH_EN: 0
; COMPUTE_PGM_RSRC2:USER_SGPR: 2
; COMPUTE_PGM_RSRC2:TRAP_HANDLER: 0
; COMPUTE_PGM_RSRC2:TGID_X_EN: 1
; COMPUTE_PGM_RSRC2:TGID_Y_EN: 0
; COMPUTE_PGM_RSRC2:TGID_Z_EN: 0
; COMPUTE_PGM_RSRC2:TIDIG_COMP_CNT: 0
; COMPUTE_PGM_RSRC3_GFX90A:ACCUM_OFFSET: 0
; COMPUTE_PGM_RSRC3_GFX90A:TG_SPLIT: 0
	.section	.text._ZN7rocprim17ROCPRIM_400000_NS6detail17trampoline_kernelINS0_14default_configENS1_27scan_by_key_config_selectorIxxEEZZNS1_16scan_by_key_implILNS1_25lookback_scan_determinismE0ELb1ES3_N6thrust23THRUST_200600_302600_NS6detail15normal_iteratorINS9_10device_ptrIxEEEESE_SE_xNS9_4plusIxEE19head_flag_predicatexEE10hipError_tPvRmT2_T3_T4_T5_mT6_T7_P12ihipStream_tbENKUlT_T0_E_clISt17integral_constantIbLb1EESX_IbLb0EEEEDaST_SU_EUlST_E_NS1_11comp_targetILNS1_3genE3ELNS1_11target_archE908ELNS1_3gpuE7ELNS1_3repE0EEENS1_30default_config_static_selectorELNS0_4arch9wavefront6targetE1EEEvT1_,"axG",@progbits,_ZN7rocprim17ROCPRIM_400000_NS6detail17trampoline_kernelINS0_14default_configENS1_27scan_by_key_config_selectorIxxEEZZNS1_16scan_by_key_implILNS1_25lookback_scan_determinismE0ELb1ES3_N6thrust23THRUST_200600_302600_NS6detail15normal_iteratorINS9_10device_ptrIxEEEESE_SE_xNS9_4plusIxEE19head_flag_predicatexEE10hipError_tPvRmT2_T3_T4_T5_mT6_T7_P12ihipStream_tbENKUlT_T0_E_clISt17integral_constantIbLb1EESX_IbLb0EEEEDaST_SU_EUlST_E_NS1_11comp_targetILNS1_3genE3ELNS1_11target_archE908ELNS1_3gpuE7ELNS1_3repE0EEENS1_30default_config_static_selectorELNS0_4arch9wavefront6targetE1EEEvT1_,comdat
	.protected	_ZN7rocprim17ROCPRIM_400000_NS6detail17trampoline_kernelINS0_14default_configENS1_27scan_by_key_config_selectorIxxEEZZNS1_16scan_by_key_implILNS1_25lookback_scan_determinismE0ELb1ES3_N6thrust23THRUST_200600_302600_NS6detail15normal_iteratorINS9_10device_ptrIxEEEESE_SE_xNS9_4plusIxEE19head_flag_predicatexEE10hipError_tPvRmT2_T3_T4_T5_mT6_T7_P12ihipStream_tbENKUlT_T0_E_clISt17integral_constantIbLb1EESX_IbLb0EEEEDaST_SU_EUlST_E_NS1_11comp_targetILNS1_3genE3ELNS1_11target_archE908ELNS1_3gpuE7ELNS1_3repE0EEENS1_30default_config_static_selectorELNS0_4arch9wavefront6targetE1EEEvT1_ ; -- Begin function _ZN7rocprim17ROCPRIM_400000_NS6detail17trampoline_kernelINS0_14default_configENS1_27scan_by_key_config_selectorIxxEEZZNS1_16scan_by_key_implILNS1_25lookback_scan_determinismE0ELb1ES3_N6thrust23THRUST_200600_302600_NS6detail15normal_iteratorINS9_10device_ptrIxEEEESE_SE_xNS9_4plusIxEE19head_flag_predicatexEE10hipError_tPvRmT2_T3_T4_T5_mT6_T7_P12ihipStream_tbENKUlT_T0_E_clISt17integral_constantIbLb1EESX_IbLb0EEEEDaST_SU_EUlST_E_NS1_11comp_targetILNS1_3genE3ELNS1_11target_archE908ELNS1_3gpuE7ELNS1_3repE0EEENS1_30default_config_static_selectorELNS0_4arch9wavefront6targetE1EEEvT1_
	.globl	_ZN7rocprim17ROCPRIM_400000_NS6detail17trampoline_kernelINS0_14default_configENS1_27scan_by_key_config_selectorIxxEEZZNS1_16scan_by_key_implILNS1_25lookback_scan_determinismE0ELb1ES3_N6thrust23THRUST_200600_302600_NS6detail15normal_iteratorINS9_10device_ptrIxEEEESE_SE_xNS9_4plusIxEE19head_flag_predicatexEE10hipError_tPvRmT2_T3_T4_T5_mT6_T7_P12ihipStream_tbENKUlT_T0_E_clISt17integral_constantIbLb1EESX_IbLb0EEEEDaST_SU_EUlST_E_NS1_11comp_targetILNS1_3genE3ELNS1_11target_archE908ELNS1_3gpuE7ELNS1_3repE0EEENS1_30default_config_static_selectorELNS0_4arch9wavefront6targetE1EEEvT1_
	.p2align	8
	.type	_ZN7rocprim17ROCPRIM_400000_NS6detail17trampoline_kernelINS0_14default_configENS1_27scan_by_key_config_selectorIxxEEZZNS1_16scan_by_key_implILNS1_25lookback_scan_determinismE0ELb1ES3_N6thrust23THRUST_200600_302600_NS6detail15normal_iteratorINS9_10device_ptrIxEEEESE_SE_xNS9_4plusIxEE19head_flag_predicatexEE10hipError_tPvRmT2_T3_T4_T5_mT6_T7_P12ihipStream_tbENKUlT_T0_E_clISt17integral_constantIbLb1EESX_IbLb0EEEEDaST_SU_EUlST_E_NS1_11comp_targetILNS1_3genE3ELNS1_11target_archE908ELNS1_3gpuE7ELNS1_3repE0EEENS1_30default_config_static_selectorELNS0_4arch9wavefront6targetE1EEEvT1_,@function
_ZN7rocprim17ROCPRIM_400000_NS6detail17trampoline_kernelINS0_14default_configENS1_27scan_by_key_config_selectorIxxEEZZNS1_16scan_by_key_implILNS1_25lookback_scan_determinismE0ELb1ES3_N6thrust23THRUST_200600_302600_NS6detail15normal_iteratorINS9_10device_ptrIxEEEESE_SE_xNS9_4plusIxEE19head_flag_predicatexEE10hipError_tPvRmT2_T3_T4_T5_mT6_T7_P12ihipStream_tbENKUlT_T0_E_clISt17integral_constantIbLb1EESX_IbLb0EEEEDaST_SU_EUlST_E_NS1_11comp_targetILNS1_3genE3ELNS1_11target_archE908ELNS1_3gpuE7ELNS1_3repE0EEENS1_30default_config_static_selectorELNS0_4arch9wavefront6targetE1EEEvT1_: ; @_ZN7rocprim17ROCPRIM_400000_NS6detail17trampoline_kernelINS0_14default_configENS1_27scan_by_key_config_selectorIxxEEZZNS1_16scan_by_key_implILNS1_25lookback_scan_determinismE0ELb1ES3_N6thrust23THRUST_200600_302600_NS6detail15normal_iteratorINS9_10device_ptrIxEEEESE_SE_xNS9_4plusIxEE19head_flag_predicatexEE10hipError_tPvRmT2_T3_T4_T5_mT6_T7_P12ihipStream_tbENKUlT_T0_E_clISt17integral_constantIbLb1EESX_IbLb0EEEEDaST_SU_EUlST_E_NS1_11comp_targetILNS1_3genE3ELNS1_11target_archE908ELNS1_3gpuE7ELNS1_3repE0EEENS1_30default_config_static_selectorELNS0_4arch9wavefront6targetE1EEEvT1_
; %bb.0:
	.section	.rodata,"a",@progbits
	.p2align	6, 0x0
	.amdhsa_kernel _ZN7rocprim17ROCPRIM_400000_NS6detail17trampoline_kernelINS0_14default_configENS1_27scan_by_key_config_selectorIxxEEZZNS1_16scan_by_key_implILNS1_25lookback_scan_determinismE0ELb1ES3_N6thrust23THRUST_200600_302600_NS6detail15normal_iteratorINS9_10device_ptrIxEEEESE_SE_xNS9_4plusIxEE19head_flag_predicatexEE10hipError_tPvRmT2_T3_T4_T5_mT6_T7_P12ihipStream_tbENKUlT_T0_E_clISt17integral_constantIbLb1EESX_IbLb0EEEEDaST_SU_EUlST_E_NS1_11comp_targetILNS1_3genE3ELNS1_11target_archE908ELNS1_3gpuE7ELNS1_3repE0EEENS1_30default_config_static_selectorELNS0_4arch9wavefront6targetE1EEEvT1_
		.amdhsa_group_segment_fixed_size 0
		.amdhsa_private_segment_fixed_size 0
		.amdhsa_kernarg_size 136
		.amdhsa_user_sgpr_count 2
		.amdhsa_user_sgpr_dispatch_ptr 0
		.amdhsa_user_sgpr_queue_ptr 0
		.amdhsa_user_sgpr_kernarg_segment_ptr 1
		.amdhsa_user_sgpr_dispatch_id 0
		.amdhsa_user_sgpr_kernarg_preload_length 0
		.amdhsa_user_sgpr_kernarg_preload_offset 0
		.amdhsa_user_sgpr_private_segment_size 0
		.amdhsa_uses_dynamic_stack 0
		.amdhsa_enable_private_segment 0
		.amdhsa_system_sgpr_workgroup_id_x 1
		.amdhsa_system_sgpr_workgroup_id_y 0
		.amdhsa_system_sgpr_workgroup_id_z 0
		.amdhsa_system_sgpr_workgroup_info 0
		.amdhsa_system_vgpr_workitem_id 0
		.amdhsa_next_free_vgpr 1
		.amdhsa_next_free_sgpr 0
		.amdhsa_accum_offset 4
		.amdhsa_reserve_vcc 0
		.amdhsa_float_round_mode_32 0
		.amdhsa_float_round_mode_16_64 0
		.amdhsa_float_denorm_mode_32 3
		.amdhsa_float_denorm_mode_16_64 3
		.amdhsa_dx10_clamp 1
		.amdhsa_ieee_mode 1
		.amdhsa_fp16_overflow 0
		.amdhsa_tg_split 0
		.amdhsa_exception_fp_ieee_invalid_op 0
		.amdhsa_exception_fp_denorm_src 0
		.amdhsa_exception_fp_ieee_div_zero 0
		.amdhsa_exception_fp_ieee_overflow 0
		.amdhsa_exception_fp_ieee_underflow 0
		.amdhsa_exception_fp_ieee_inexact 0
		.amdhsa_exception_int_div_zero 0
	.end_amdhsa_kernel
	.section	.text._ZN7rocprim17ROCPRIM_400000_NS6detail17trampoline_kernelINS0_14default_configENS1_27scan_by_key_config_selectorIxxEEZZNS1_16scan_by_key_implILNS1_25lookback_scan_determinismE0ELb1ES3_N6thrust23THRUST_200600_302600_NS6detail15normal_iteratorINS9_10device_ptrIxEEEESE_SE_xNS9_4plusIxEE19head_flag_predicatexEE10hipError_tPvRmT2_T3_T4_T5_mT6_T7_P12ihipStream_tbENKUlT_T0_E_clISt17integral_constantIbLb1EESX_IbLb0EEEEDaST_SU_EUlST_E_NS1_11comp_targetILNS1_3genE3ELNS1_11target_archE908ELNS1_3gpuE7ELNS1_3repE0EEENS1_30default_config_static_selectorELNS0_4arch9wavefront6targetE1EEEvT1_,"axG",@progbits,_ZN7rocprim17ROCPRIM_400000_NS6detail17trampoline_kernelINS0_14default_configENS1_27scan_by_key_config_selectorIxxEEZZNS1_16scan_by_key_implILNS1_25lookback_scan_determinismE0ELb1ES3_N6thrust23THRUST_200600_302600_NS6detail15normal_iteratorINS9_10device_ptrIxEEEESE_SE_xNS9_4plusIxEE19head_flag_predicatexEE10hipError_tPvRmT2_T3_T4_T5_mT6_T7_P12ihipStream_tbENKUlT_T0_E_clISt17integral_constantIbLb1EESX_IbLb0EEEEDaST_SU_EUlST_E_NS1_11comp_targetILNS1_3genE3ELNS1_11target_archE908ELNS1_3gpuE7ELNS1_3repE0EEENS1_30default_config_static_selectorELNS0_4arch9wavefront6targetE1EEEvT1_,comdat
.Lfunc_end735:
	.size	_ZN7rocprim17ROCPRIM_400000_NS6detail17trampoline_kernelINS0_14default_configENS1_27scan_by_key_config_selectorIxxEEZZNS1_16scan_by_key_implILNS1_25lookback_scan_determinismE0ELb1ES3_N6thrust23THRUST_200600_302600_NS6detail15normal_iteratorINS9_10device_ptrIxEEEESE_SE_xNS9_4plusIxEE19head_flag_predicatexEE10hipError_tPvRmT2_T3_T4_T5_mT6_T7_P12ihipStream_tbENKUlT_T0_E_clISt17integral_constantIbLb1EESX_IbLb0EEEEDaST_SU_EUlST_E_NS1_11comp_targetILNS1_3genE3ELNS1_11target_archE908ELNS1_3gpuE7ELNS1_3repE0EEENS1_30default_config_static_selectorELNS0_4arch9wavefront6targetE1EEEvT1_, .Lfunc_end735-_ZN7rocprim17ROCPRIM_400000_NS6detail17trampoline_kernelINS0_14default_configENS1_27scan_by_key_config_selectorIxxEEZZNS1_16scan_by_key_implILNS1_25lookback_scan_determinismE0ELb1ES3_N6thrust23THRUST_200600_302600_NS6detail15normal_iteratorINS9_10device_ptrIxEEEESE_SE_xNS9_4plusIxEE19head_flag_predicatexEE10hipError_tPvRmT2_T3_T4_T5_mT6_T7_P12ihipStream_tbENKUlT_T0_E_clISt17integral_constantIbLb1EESX_IbLb0EEEEDaST_SU_EUlST_E_NS1_11comp_targetILNS1_3genE3ELNS1_11target_archE908ELNS1_3gpuE7ELNS1_3repE0EEENS1_30default_config_static_selectorELNS0_4arch9wavefront6targetE1EEEvT1_
                                        ; -- End function
	.section	.AMDGPU.csdata,"",@progbits
; Kernel info:
; codeLenInByte = 0
; NumSgprs: 6
; NumVgprs: 0
; NumAgprs: 0
; TotalNumVgprs: 0
; ScratchSize: 0
; MemoryBound: 0
; FloatMode: 240
; IeeeMode: 1
; LDSByteSize: 0 bytes/workgroup (compile time only)
; SGPRBlocks: 0
; VGPRBlocks: 0
; NumSGPRsForWavesPerEU: 6
; NumVGPRsForWavesPerEU: 1
; AccumOffset: 4
; Occupancy: 8
; WaveLimiterHint : 0
; COMPUTE_PGM_RSRC2:SCRATCH_EN: 0
; COMPUTE_PGM_RSRC2:USER_SGPR: 2
; COMPUTE_PGM_RSRC2:TRAP_HANDLER: 0
; COMPUTE_PGM_RSRC2:TGID_X_EN: 1
; COMPUTE_PGM_RSRC2:TGID_Y_EN: 0
; COMPUTE_PGM_RSRC2:TGID_Z_EN: 0
; COMPUTE_PGM_RSRC2:TIDIG_COMP_CNT: 0
; COMPUTE_PGM_RSRC3_GFX90A:ACCUM_OFFSET: 0
; COMPUTE_PGM_RSRC3_GFX90A:TG_SPLIT: 0
	.section	.text._ZN7rocprim17ROCPRIM_400000_NS6detail17trampoline_kernelINS0_14default_configENS1_27scan_by_key_config_selectorIxxEEZZNS1_16scan_by_key_implILNS1_25lookback_scan_determinismE0ELb1ES3_N6thrust23THRUST_200600_302600_NS6detail15normal_iteratorINS9_10device_ptrIxEEEESE_SE_xNS9_4plusIxEE19head_flag_predicatexEE10hipError_tPvRmT2_T3_T4_T5_mT6_T7_P12ihipStream_tbENKUlT_T0_E_clISt17integral_constantIbLb1EESX_IbLb0EEEEDaST_SU_EUlST_E_NS1_11comp_targetILNS1_3genE2ELNS1_11target_archE906ELNS1_3gpuE6ELNS1_3repE0EEENS1_30default_config_static_selectorELNS0_4arch9wavefront6targetE1EEEvT1_,"axG",@progbits,_ZN7rocprim17ROCPRIM_400000_NS6detail17trampoline_kernelINS0_14default_configENS1_27scan_by_key_config_selectorIxxEEZZNS1_16scan_by_key_implILNS1_25lookback_scan_determinismE0ELb1ES3_N6thrust23THRUST_200600_302600_NS6detail15normal_iteratorINS9_10device_ptrIxEEEESE_SE_xNS9_4plusIxEE19head_flag_predicatexEE10hipError_tPvRmT2_T3_T4_T5_mT6_T7_P12ihipStream_tbENKUlT_T0_E_clISt17integral_constantIbLb1EESX_IbLb0EEEEDaST_SU_EUlST_E_NS1_11comp_targetILNS1_3genE2ELNS1_11target_archE906ELNS1_3gpuE6ELNS1_3repE0EEENS1_30default_config_static_selectorELNS0_4arch9wavefront6targetE1EEEvT1_,comdat
	.protected	_ZN7rocprim17ROCPRIM_400000_NS6detail17trampoline_kernelINS0_14default_configENS1_27scan_by_key_config_selectorIxxEEZZNS1_16scan_by_key_implILNS1_25lookback_scan_determinismE0ELb1ES3_N6thrust23THRUST_200600_302600_NS6detail15normal_iteratorINS9_10device_ptrIxEEEESE_SE_xNS9_4plusIxEE19head_flag_predicatexEE10hipError_tPvRmT2_T3_T4_T5_mT6_T7_P12ihipStream_tbENKUlT_T0_E_clISt17integral_constantIbLb1EESX_IbLb0EEEEDaST_SU_EUlST_E_NS1_11comp_targetILNS1_3genE2ELNS1_11target_archE906ELNS1_3gpuE6ELNS1_3repE0EEENS1_30default_config_static_selectorELNS0_4arch9wavefront6targetE1EEEvT1_ ; -- Begin function _ZN7rocprim17ROCPRIM_400000_NS6detail17trampoline_kernelINS0_14default_configENS1_27scan_by_key_config_selectorIxxEEZZNS1_16scan_by_key_implILNS1_25lookback_scan_determinismE0ELb1ES3_N6thrust23THRUST_200600_302600_NS6detail15normal_iteratorINS9_10device_ptrIxEEEESE_SE_xNS9_4plusIxEE19head_flag_predicatexEE10hipError_tPvRmT2_T3_T4_T5_mT6_T7_P12ihipStream_tbENKUlT_T0_E_clISt17integral_constantIbLb1EESX_IbLb0EEEEDaST_SU_EUlST_E_NS1_11comp_targetILNS1_3genE2ELNS1_11target_archE906ELNS1_3gpuE6ELNS1_3repE0EEENS1_30default_config_static_selectorELNS0_4arch9wavefront6targetE1EEEvT1_
	.globl	_ZN7rocprim17ROCPRIM_400000_NS6detail17trampoline_kernelINS0_14default_configENS1_27scan_by_key_config_selectorIxxEEZZNS1_16scan_by_key_implILNS1_25lookback_scan_determinismE0ELb1ES3_N6thrust23THRUST_200600_302600_NS6detail15normal_iteratorINS9_10device_ptrIxEEEESE_SE_xNS9_4plusIxEE19head_flag_predicatexEE10hipError_tPvRmT2_T3_T4_T5_mT6_T7_P12ihipStream_tbENKUlT_T0_E_clISt17integral_constantIbLb1EESX_IbLb0EEEEDaST_SU_EUlST_E_NS1_11comp_targetILNS1_3genE2ELNS1_11target_archE906ELNS1_3gpuE6ELNS1_3repE0EEENS1_30default_config_static_selectorELNS0_4arch9wavefront6targetE1EEEvT1_
	.p2align	8
	.type	_ZN7rocprim17ROCPRIM_400000_NS6detail17trampoline_kernelINS0_14default_configENS1_27scan_by_key_config_selectorIxxEEZZNS1_16scan_by_key_implILNS1_25lookback_scan_determinismE0ELb1ES3_N6thrust23THRUST_200600_302600_NS6detail15normal_iteratorINS9_10device_ptrIxEEEESE_SE_xNS9_4plusIxEE19head_flag_predicatexEE10hipError_tPvRmT2_T3_T4_T5_mT6_T7_P12ihipStream_tbENKUlT_T0_E_clISt17integral_constantIbLb1EESX_IbLb0EEEEDaST_SU_EUlST_E_NS1_11comp_targetILNS1_3genE2ELNS1_11target_archE906ELNS1_3gpuE6ELNS1_3repE0EEENS1_30default_config_static_selectorELNS0_4arch9wavefront6targetE1EEEvT1_,@function
_ZN7rocprim17ROCPRIM_400000_NS6detail17trampoline_kernelINS0_14default_configENS1_27scan_by_key_config_selectorIxxEEZZNS1_16scan_by_key_implILNS1_25lookback_scan_determinismE0ELb1ES3_N6thrust23THRUST_200600_302600_NS6detail15normal_iteratorINS9_10device_ptrIxEEEESE_SE_xNS9_4plusIxEE19head_flag_predicatexEE10hipError_tPvRmT2_T3_T4_T5_mT6_T7_P12ihipStream_tbENKUlT_T0_E_clISt17integral_constantIbLb1EESX_IbLb0EEEEDaST_SU_EUlST_E_NS1_11comp_targetILNS1_3genE2ELNS1_11target_archE906ELNS1_3gpuE6ELNS1_3repE0EEENS1_30default_config_static_selectorELNS0_4arch9wavefront6targetE1EEEvT1_: ; @_ZN7rocprim17ROCPRIM_400000_NS6detail17trampoline_kernelINS0_14default_configENS1_27scan_by_key_config_selectorIxxEEZZNS1_16scan_by_key_implILNS1_25lookback_scan_determinismE0ELb1ES3_N6thrust23THRUST_200600_302600_NS6detail15normal_iteratorINS9_10device_ptrIxEEEESE_SE_xNS9_4plusIxEE19head_flag_predicatexEE10hipError_tPvRmT2_T3_T4_T5_mT6_T7_P12ihipStream_tbENKUlT_T0_E_clISt17integral_constantIbLb1EESX_IbLb0EEEEDaST_SU_EUlST_E_NS1_11comp_targetILNS1_3genE2ELNS1_11target_archE906ELNS1_3gpuE6ELNS1_3repE0EEENS1_30default_config_static_selectorELNS0_4arch9wavefront6targetE1EEEvT1_
; %bb.0:
	.section	.rodata,"a",@progbits
	.p2align	6, 0x0
	.amdhsa_kernel _ZN7rocprim17ROCPRIM_400000_NS6detail17trampoline_kernelINS0_14default_configENS1_27scan_by_key_config_selectorIxxEEZZNS1_16scan_by_key_implILNS1_25lookback_scan_determinismE0ELb1ES3_N6thrust23THRUST_200600_302600_NS6detail15normal_iteratorINS9_10device_ptrIxEEEESE_SE_xNS9_4plusIxEE19head_flag_predicatexEE10hipError_tPvRmT2_T3_T4_T5_mT6_T7_P12ihipStream_tbENKUlT_T0_E_clISt17integral_constantIbLb1EESX_IbLb0EEEEDaST_SU_EUlST_E_NS1_11comp_targetILNS1_3genE2ELNS1_11target_archE906ELNS1_3gpuE6ELNS1_3repE0EEENS1_30default_config_static_selectorELNS0_4arch9wavefront6targetE1EEEvT1_
		.amdhsa_group_segment_fixed_size 0
		.amdhsa_private_segment_fixed_size 0
		.amdhsa_kernarg_size 136
		.amdhsa_user_sgpr_count 2
		.amdhsa_user_sgpr_dispatch_ptr 0
		.amdhsa_user_sgpr_queue_ptr 0
		.amdhsa_user_sgpr_kernarg_segment_ptr 1
		.amdhsa_user_sgpr_dispatch_id 0
		.amdhsa_user_sgpr_kernarg_preload_length 0
		.amdhsa_user_sgpr_kernarg_preload_offset 0
		.amdhsa_user_sgpr_private_segment_size 0
		.amdhsa_uses_dynamic_stack 0
		.amdhsa_enable_private_segment 0
		.amdhsa_system_sgpr_workgroup_id_x 1
		.amdhsa_system_sgpr_workgroup_id_y 0
		.amdhsa_system_sgpr_workgroup_id_z 0
		.amdhsa_system_sgpr_workgroup_info 0
		.amdhsa_system_vgpr_workitem_id 0
		.amdhsa_next_free_vgpr 1
		.amdhsa_next_free_sgpr 0
		.amdhsa_accum_offset 4
		.amdhsa_reserve_vcc 0
		.amdhsa_float_round_mode_32 0
		.amdhsa_float_round_mode_16_64 0
		.amdhsa_float_denorm_mode_32 3
		.amdhsa_float_denorm_mode_16_64 3
		.amdhsa_dx10_clamp 1
		.amdhsa_ieee_mode 1
		.amdhsa_fp16_overflow 0
		.amdhsa_tg_split 0
		.amdhsa_exception_fp_ieee_invalid_op 0
		.amdhsa_exception_fp_denorm_src 0
		.amdhsa_exception_fp_ieee_div_zero 0
		.amdhsa_exception_fp_ieee_overflow 0
		.amdhsa_exception_fp_ieee_underflow 0
		.amdhsa_exception_fp_ieee_inexact 0
		.amdhsa_exception_int_div_zero 0
	.end_amdhsa_kernel
	.section	.text._ZN7rocprim17ROCPRIM_400000_NS6detail17trampoline_kernelINS0_14default_configENS1_27scan_by_key_config_selectorIxxEEZZNS1_16scan_by_key_implILNS1_25lookback_scan_determinismE0ELb1ES3_N6thrust23THRUST_200600_302600_NS6detail15normal_iteratorINS9_10device_ptrIxEEEESE_SE_xNS9_4plusIxEE19head_flag_predicatexEE10hipError_tPvRmT2_T3_T4_T5_mT6_T7_P12ihipStream_tbENKUlT_T0_E_clISt17integral_constantIbLb1EESX_IbLb0EEEEDaST_SU_EUlST_E_NS1_11comp_targetILNS1_3genE2ELNS1_11target_archE906ELNS1_3gpuE6ELNS1_3repE0EEENS1_30default_config_static_selectorELNS0_4arch9wavefront6targetE1EEEvT1_,"axG",@progbits,_ZN7rocprim17ROCPRIM_400000_NS6detail17trampoline_kernelINS0_14default_configENS1_27scan_by_key_config_selectorIxxEEZZNS1_16scan_by_key_implILNS1_25lookback_scan_determinismE0ELb1ES3_N6thrust23THRUST_200600_302600_NS6detail15normal_iteratorINS9_10device_ptrIxEEEESE_SE_xNS9_4plusIxEE19head_flag_predicatexEE10hipError_tPvRmT2_T3_T4_T5_mT6_T7_P12ihipStream_tbENKUlT_T0_E_clISt17integral_constantIbLb1EESX_IbLb0EEEEDaST_SU_EUlST_E_NS1_11comp_targetILNS1_3genE2ELNS1_11target_archE906ELNS1_3gpuE6ELNS1_3repE0EEENS1_30default_config_static_selectorELNS0_4arch9wavefront6targetE1EEEvT1_,comdat
.Lfunc_end736:
	.size	_ZN7rocprim17ROCPRIM_400000_NS6detail17trampoline_kernelINS0_14default_configENS1_27scan_by_key_config_selectorIxxEEZZNS1_16scan_by_key_implILNS1_25lookback_scan_determinismE0ELb1ES3_N6thrust23THRUST_200600_302600_NS6detail15normal_iteratorINS9_10device_ptrIxEEEESE_SE_xNS9_4plusIxEE19head_flag_predicatexEE10hipError_tPvRmT2_T3_T4_T5_mT6_T7_P12ihipStream_tbENKUlT_T0_E_clISt17integral_constantIbLb1EESX_IbLb0EEEEDaST_SU_EUlST_E_NS1_11comp_targetILNS1_3genE2ELNS1_11target_archE906ELNS1_3gpuE6ELNS1_3repE0EEENS1_30default_config_static_selectorELNS0_4arch9wavefront6targetE1EEEvT1_, .Lfunc_end736-_ZN7rocprim17ROCPRIM_400000_NS6detail17trampoline_kernelINS0_14default_configENS1_27scan_by_key_config_selectorIxxEEZZNS1_16scan_by_key_implILNS1_25lookback_scan_determinismE0ELb1ES3_N6thrust23THRUST_200600_302600_NS6detail15normal_iteratorINS9_10device_ptrIxEEEESE_SE_xNS9_4plusIxEE19head_flag_predicatexEE10hipError_tPvRmT2_T3_T4_T5_mT6_T7_P12ihipStream_tbENKUlT_T0_E_clISt17integral_constantIbLb1EESX_IbLb0EEEEDaST_SU_EUlST_E_NS1_11comp_targetILNS1_3genE2ELNS1_11target_archE906ELNS1_3gpuE6ELNS1_3repE0EEENS1_30default_config_static_selectorELNS0_4arch9wavefront6targetE1EEEvT1_
                                        ; -- End function
	.section	.AMDGPU.csdata,"",@progbits
; Kernel info:
; codeLenInByte = 0
; NumSgprs: 6
; NumVgprs: 0
; NumAgprs: 0
; TotalNumVgprs: 0
; ScratchSize: 0
; MemoryBound: 0
; FloatMode: 240
; IeeeMode: 1
; LDSByteSize: 0 bytes/workgroup (compile time only)
; SGPRBlocks: 0
; VGPRBlocks: 0
; NumSGPRsForWavesPerEU: 6
; NumVGPRsForWavesPerEU: 1
; AccumOffset: 4
; Occupancy: 8
; WaveLimiterHint : 0
; COMPUTE_PGM_RSRC2:SCRATCH_EN: 0
; COMPUTE_PGM_RSRC2:USER_SGPR: 2
; COMPUTE_PGM_RSRC2:TRAP_HANDLER: 0
; COMPUTE_PGM_RSRC2:TGID_X_EN: 1
; COMPUTE_PGM_RSRC2:TGID_Y_EN: 0
; COMPUTE_PGM_RSRC2:TGID_Z_EN: 0
; COMPUTE_PGM_RSRC2:TIDIG_COMP_CNT: 0
; COMPUTE_PGM_RSRC3_GFX90A:ACCUM_OFFSET: 0
; COMPUTE_PGM_RSRC3_GFX90A:TG_SPLIT: 0
	.section	.text._ZN7rocprim17ROCPRIM_400000_NS6detail17trampoline_kernelINS0_14default_configENS1_27scan_by_key_config_selectorIxxEEZZNS1_16scan_by_key_implILNS1_25lookback_scan_determinismE0ELb1ES3_N6thrust23THRUST_200600_302600_NS6detail15normal_iteratorINS9_10device_ptrIxEEEESE_SE_xNS9_4plusIxEE19head_flag_predicatexEE10hipError_tPvRmT2_T3_T4_T5_mT6_T7_P12ihipStream_tbENKUlT_T0_E_clISt17integral_constantIbLb1EESX_IbLb0EEEEDaST_SU_EUlST_E_NS1_11comp_targetILNS1_3genE10ELNS1_11target_archE1200ELNS1_3gpuE4ELNS1_3repE0EEENS1_30default_config_static_selectorELNS0_4arch9wavefront6targetE1EEEvT1_,"axG",@progbits,_ZN7rocprim17ROCPRIM_400000_NS6detail17trampoline_kernelINS0_14default_configENS1_27scan_by_key_config_selectorIxxEEZZNS1_16scan_by_key_implILNS1_25lookback_scan_determinismE0ELb1ES3_N6thrust23THRUST_200600_302600_NS6detail15normal_iteratorINS9_10device_ptrIxEEEESE_SE_xNS9_4plusIxEE19head_flag_predicatexEE10hipError_tPvRmT2_T3_T4_T5_mT6_T7_P12ihipStream_tbENKUlT_T0_E_clISt17integral_constantIbLb1EESX_IbLb0EEEEDaST_SU_EUlST_E_NS1_11comp_targetILNS1_3genE10ELNS1_11target_archE1200ELNS1_3gpuE4ELNS1_3repE0EEENS1_30default_config_static_selectorELNS0_4arch9wavefront6targetE1EEEvT1_,comdat
	.protected	_ZN7rocprim17ROCPRIM_400000_NS6detail17trampoline_kernelINS0_14default_configENS1_27scan_by_key_config_selectorIxxEEZZNS1_16scan_by_key_implILNS1_25lookback_scan_determinismE0ELb1ES3_N6thrust23THRUST_200600_302600_NS6detail15normal_iteratorINS9_10device_ptrIxEEEESE_SE_xNS9_4plusIxEE19head_flag_predicatexEE10hipError_tPvRmT2_T3_T4_T5_mT6_T7_P12ihipStream_tbENKUlT_T0_E_clISt17integral_constantIbLb1EESX_IbLb0EEEEDaST_SU_EUlST_E_NS1_11comp_targetILNS1_3genE10ELNS1_11target_archE1200ELNS1_3gpuE4ELNS1_3repE0EEENS1_30default_config_static_selectorELNS0_4arch9wavefront6targetE1EEEvT1_ ; -- Begin function _ZN7rocprim17ROCPRIM_400000_NS6detail17trampoline_kernelINS0_14default_configENS1_27scan_by_key_config_selectorIxxEEZZNS1_16scan_by_key_implILNS1_25lookback_scan_determinismE0ELb1ES3_N6thrust23THRUST_200600_302600_NS6detail15normal_iteratorINS9_10device_ptrIxEEEESE_SE_xNS9_4plusIxEE19head_flag_predicatexEE10hipError_tPvRmT2_T3_T4_T5_mT6_T7_P12ihipStream_tbENKUlT_T0_E_clISt17integral_constantIbLb1EESX_IbLb0EEEEDaST_SU_EUlST_E_NS1_11comp_targetILNS1_3genE10ELNS1_11target_archE1200ELNS1_3gpuE4ELNS1_3repE0EEENS1_30default_config_static_selectorELNS0_4arch9wavefront6targetE1EEEvT1_
	.globl	_ZN7rocprim17ROCPRIM_400000_NS6detail17trampoline_kernelINS0_14default_configENS1_27scan_by_key_config_selectorIxxEEZZNS1_16scan_by_key_implILNS1_25lookback_scan_determinismE0ELb1ES3_N6thrust23THRUST_200600_302600_NS6detail15normal_iteratorINS9_10device_ptrIxEEEESE_SE_xNS9_4plusIxEE19head_flag_predicatexEE10hipError_tPvRmT2_T3_T4_T5_mT6_T7_P12ihipStream_tbENKUlT_T0_E_clISt17integral_constantIbLb1EESX_IbLb0EEEEDaST_SU_EUlST_E_NS1_11comp_targetILNS1_3genE10ELNS1_11target_archE1200ELNS1_3gpuE4ELNS1_3repE0EEENS1_30default_config_static_selectorELNS0_4arch9wavefront6targetE1EEEvT1_
	.p2align	8
	.type	_ZN7rocprim17ROCPRIM_400000_NS6detail17trampoline_kernelINS0_14default_configENS1_27scan_by_key_config_selectorIxxEEZZNS1_16scan_by_key_implILNS1_25lookback_scan_determinismE0ELb1ES3_N6thrust23THRUST_200600_302600_NS6detail15normal_iteratorINS9_10device_ptrIxEEEESE_SE_xNS9_4plusIxEE19head_flag_predicatexEE10hipError_tPvRmT2_T3_T4_T5_mT6_T7_P12ihipStream_tbENKUlT_T0_E_clISt17integral_constantIbLb1EESX_IbLb0EEEEDaST_SU_EUlST_E_NS1_11comp_targetILNS1_3genE10ELNS1_11target_archE1200ELNS1_3gpuE4ELNS1_3repE0EEENS1_30default_config_static_selectorELNS0_4arch9wavefront6targetE1EEEvT1_,@function
_ZN7rocprim17ROCPRIM_400000_NS6detail17trampoline_kernelINS0_14default_configENS1_27scan_by_key_config_selectorIxxEEZZNS1_16scan_by_key_implILNS1_25lookback_scan_determinismE0ELb1ES3_N6thrust23THRUST_200600_302600_NS6detail15normal_iteratorINS9_10device_ptrIxEEEESE_SE_xNS9_4plusIxEE19head_flag_predicatexEE10hipError_tPvRmT2_T3_T4_T5_mT6_T7_P12ihipStream_tbENKUlT_T0_E_clISt17integral_constantIbLb1EESX_IbLb0EEEEDaST_SU_EUlST_E_NS1_11comp_targetILNS1_3genE10ELNS1_11target_archE1200ELNS1_3gpuE4ELNS1_3repE0EEENS1_30default_config_static_selectorELNS0_4arch9wavefront6targetE1EEEvT1_: ; @_ZN7rocprim17ROCPRIM_400000_NS6detail17trampoline_kernelINS0_14default_configENS1_27scan_by_key_config_selectorIxxEEZZNS1_16scan_by_key_implILNS1_25lookback_scan_determinismE0ELb1ES3_N6thrust23THRUST_200600_302600_NS6detail15normal_iteratorINS9_10device_ptrIxEEEESE_SE_xNS9_4plusIxEE19head_flag_predicatexEE10hipError_tPvRmT2_T3_T4_T5_mT6_T7_P12ihipStream_tbENKUlT_T0_E_clISt17integral_constantIbLb1EESX_IbLb0EEEEDaST_SU_EUlST_E_NS1_11comp_targetILNS1_3genE10ELNS1_11target_archE1200ELNS1_3gpuE4ELNS1_3repE0EEENS1_30default_config_static_selectorELNS0_4arch9wavefront6targetE1EEEvT1_
; %bb.0:
	.section	.rodata,"a",@progbits
	.p2align	6, 0x0
	.amdhsa_kernel _ZN7rocprim17ROCPRIM_400000_NS6detail17trampoline_kernelINS0_14default_configENS1_27scan_by_key_config_selectorIxxEEZZNS1_16scan_by_key_implILNS1_25lookback_scan_determinismE0ELb1ES3_N6thrust23THRUST_200600_302600_NS6detail15normal_iteratorINS9_10device_ptrIxEEEESE_SE_xNS9_4plusIxEE19head_flag_predicatexEE10hipError_tPvRmT2_T3_T4_T5_mT6_T7_P12ihipStream_tbENKUlT_T0_E_clISt17integral_constantIbLb1EESX_IbLb0EEEEDaST_SU_EUlST_E_NS1_11comp_targetILNS1_3genE10ELNS1_11target_archE1200ELNS1_3gpuE4ELNS1_3repE0EEENS1_30default_config_static_selectorELNS0_4arch9wavefront6targetE1EEEvT1_
		.amdhsa_group_segment_fixed_size 0
		.amdhsa_private_segment_fixed_size 0
		.amdhsa_kernarg_size 136
		.amdhsa_user_sgpr_count 2
		.amdhsa_user_sgpr_dispatch_ptr 0
		.amdhsa_user_sgpr_queue_ptr 0
		.amdhsa_user_sgpr_kernarg_segment_ptr 1
		.amdhsa_user_sgpr_dispatch_id 0
		.amdhsa_user_sgpr_kernarg_preload_length 0
		.amdhsa_user_sgpr_kernarg_preload_offset 0
		.amdhsa_user_sgpr_private_segment_size 0
		.amdhsa_uses_dynamic_stack 0
		.amdhsa_enable_private_segment 0
		.amdhsa_system_sgpr_workgroup_id_x 1
		.amdhsa_system_sgpr_workgroup_id_y 0
		.amdhsa_system_sgpr_workgroup_id_z 0
		.amdhsa_system_sgpr_workgroup_info 0
		.amdhsa_system_vgpr_workitem_id 0
		.amdhsa_next_free_vgpr 1
		.amdhsa_next_free_sgpr 0
		.amdhsa_accum_offset 4
		.amdhsa_reserve_vcc 0
		.amdhsa_float_round_mode_32 0
		.amdhsa_float_round_mode_16_64 0
		.amdhsa_float_denorm_mode_32 3
		.amdhsa_float_denorm_mode_16_64 3
		.amdhsa_dx10_clamp 1
		.amdhsa_ieee_mode 1
		.amdhsa_fp16_overflow 0
		.amdhsa_tg_split 0
		.amdhsa_exception_fp_ieee_invalid_op 0
		.amdhsa_exception_fp_denorm_src 0
		.amdhsa_exception_fp_ieee_div_zero 0
		.amdhsa_exception_fp_ieee_overflow 0
		.amdhsa_exception_fp_ieee_underflow 0
		.amdhsa_exception_fp_ieee_inexact 0
		.amdhsa_exception_int_div_zero 0
	.end_amdhsa_kernel
	.section	.text._ZN7rocprim17ROCPRIM_400000_NS6detail17trampoline_kernelINS0_14default_configENS1_27scan_by_key_config_selectorIxxEEZZNS1_16scan_by_key_implILNS1_25lookback_scan_determinismE0ELb1ES3_N6thrust23THRUST_200600_302600_NS6detail15normal_iteratorINS9_10device_ptrIxEEEESE_SE_xNS9_4plusIxEE19head_flag_predicatexEE10hipError_tPvRmT2_T3_T4_T5_mT6_T7_P12ihipStream_tbENKUlT_T0_E_clISt17integral_constantIbLb1EESX_IbLb0EEEEDaST_SU_EUlST_E_NS1_11comp_targetILNS1_3genE10ELNS1_11target_archE1200ELNS1_3gpuE4ELNS1_3repE0EEENS1_30default_config_static_selectorELNS0_4arch9wavefront6targetE1EEEvT1_,"axG",@progbits,_ZN7rocprim17ROCPRIM_400000_NS6detail17trampoline_kernelINS0_14default_configENS1_27scan_by_key_config_selectorIxxEEZZNS1_16scan_by_key_implILNS1_25lookback_scan_determinismE0ELb1ES3_N6thrust23THRUST_200600_302600_NS6detail15normal_iteratorINS9_10device_ptrIxEEEESE_SE_xNS9_4plusIxEE19head_flag_predicatexEE10hipError_tPvRmT2_T3_T4_T5_mT6_T7_P12ihipStream_tbENKUlT_T0_E_clISt17integral_constantIbLb1EESX_IbLb0EEEEDaST_SU_EUlST_E_NS1_11comp_targetILNS1_3genE10ELNS1_11target_archE1200ELNS1_3gpuE4ELNS1_3repE0EEENS1_30default_config_static_selectorELNS0_4arch9wavefront6targetE1EEEvT1_,comdat
.Lfunc_end737:
	.size	_ZN7rocprim17ROCPRIM_400000_NS6detail17trampoline_kernelINS0_14default_configENS1_27scan_by_key_config_selectorIxxEEZZNS1_16scan_by_key_implILNS1_25lookback_scan_determinismE0ELb1ES3_N6thrust23THRUST_200600_302600_NS6detail15normal_iteratorINS9_10device_ptrIxEEEESE_SE_xNS9_4plusIxEE19head_flag_predicatexEE10hipError_tPvRmT2_T3_T4_T5_mT6_T7_P12ihipStream_tbENKUlT_T0_E_clISt17integral_constantIbLb1EESX_IbLb0EEEEDaST_SU_EUlST_E_NS1_11comp_targetILNS1_3genE10ELNS1_11target_archE1200ELNS1_3gpuE4ELNS1_3repE0EEENS1_30default_config_static_selectorELNS0_4arch9wavefront6targetE1EEEvT1_, .Lfunc_end737-_ZN7rocprim17ROCPRIM_400000_NS6detail17trampoline_kernelINS0_14default_configENS1_27scan_by_key_config_selectorIxxEEZZNS1_16scan_by_key_implILNS1_25lookback_scan_determinismE0ELb1ES3_N6thrust23THRUST_200600_302600_NS6detail15normal_iteratorINS9_10device_ptrIxEEEESE_SE_xNS9_4plusIxEE19head_flag_predicatexEE10hipError_tPvRmT2_T3_T4_T5_mT6_T7_P12ihipStream_tbENKUlT_T0_E_clISt17integral_constantIbLb1EESX_IbLb0EEEEDaST_SU_EUlST_E_NS1_11comp_targetILNS1_3genE10ELNS1_11target_archE1200ELNS1_3gpuE4ELNS1_3repE0EEENS1_30default_config_static_selectorELNS0_4arch9wavefront6targetE1EEEvT1_
                                        ; -- End function
	.section	.AMDGPU.csdata,"",@progbits
; Kernel info:
; codeLenInByte = 0
; NumSgprs: 6
; NumVgprs: 0
; NumAgprs: 0
; TotalNumVgprs: 0
; ScratchSize: 0
; MemoryBound: 0
; FloatMode: 240
; IeeeMode: 1
; LDSByteSize: 0 bytes/workgroup (compile time only)
; SGPRBlocks: 0
; VGPRBlocks: 0
; NumSGPRsForWavesPerEU: 6
; NumVGPRsForWavesPerEU: 1
; AccumOffset: 4
; Occupancy: 8
; WaveLimiterHint : 0
; COMPUTE_PGM_RSRC2:SCRATCH_EN: 0
; COMPUTE_PGM_RSRC2:USER_SGPR: 2
; COMPUTE_PGM_RSRC2:TRAP_HANDLER: 0
; COMPUTE_PGM_RSRC2:TGID_X_EN: 1
; COMPUTE_PGM_RSRC2:TGID_Y_EN: 0
; COMPUTE_PGM_RSRC2:TGID_Z_EN: 0
; COMPUTE_PGM_RSRC2:TIDIG_COMP_CNT: 0
; COMPUTE_PGM_RSRC3_GFX90A:ACCUM_OFFSET: 0
; COMPUTE_PGM_RSRC3_GFX90A:TG_SPLIT: 0
	.section	.text._ZN7rocprim17ROCPRIM_400000_NS6detail17trampoline_kernelINS0_14default_configENS1_27scan_by_key_config_selectorIxxEEZZNS1_16scan_by_key_implILNS1_25lookback_scan_determinismE0ELb1ES3_N6thrust23THRUST_200600_302600_NS6detail15normal_iteratorINS9_10device_ptrIxEEEESE_SE_xNS9_4plusIxEE19head_flag_predicatexEE10hipError_tPvRmT2_T3_T4_T5_mT6_T7_P12ihipStream_tbENKUlT_T0_E_clISt17integral_constantIbLb1EESX_IbLb0EEEEDaST_SU_EUlST_E_NS1_11comp_targetILNS1_3genE9ELNS1_11target_archE1100ELNS1_3gpuE3ELNS1_3repE0EEENS1_30default_config_static_selectorELNS0_4arch9wavefront6targetE1EEEvT1_,"axG",@progbits,_ZN7rocprim17ROCPRIM_400000_NS6detail17trampoline_kernelINS0_14default_configENS1_27scan_by_key_config_selectorIxxEEZZNS1_16scan_by_key_implILNS1_25lookback_scan_determinismE0ELb1ES3_N6thrust23THRUST_200600_302600_NS6detail15normal_iteratorINS9_10device_ptrIxEEEESE_SE_xNS9_4plusIxEE19head_flag_predicatexEE10hipError_tPvRmT2_T3_T4_T5_mT6_T7_P12ihipStream_tbENKUlT_T0_E_clISt17integral_constantIbLb1EESX_IbLb0EEEEDaST_SU_EUlST_E_NS1_11comp_targetILNS1_3genE9ELNS1_11target_archE1100ELNS1_3gpuE3ELNS1_3repE0EEENS1_30default_config_static_selectorELNS0_4arch9wavefront6targetE1EEEvT1_,comdat
	.protected	_ZN7rocprim17ROCPRIM_400000_NS6detail17trampoline_kernelINS0_14default_configENS1_27scan_by_key_config_selectorIxxEEZZNS1_16scan_by_key_implILNS1_25lookback_scan_determinismE0ELb1ES3_N6thrust23THRUST_200600_302600_NS6detail15normal_iteratorINS9_10device_ptrIxEEEESE_SE_xNS9_4plusIxEE19head_flag_predicatexEE10hipError_tPvRmT2_T3_T4_T5_mT6_T7_P12ihipStream_tbENKUlT_T0_E_clISt17integral_constantIbLb1EESX_IbLb0EEEEDaST_SU_EUlST_E_NS1_11comp_targetILNS1_3genE9ELNS1_11target_archE1100ELNS1_3gpuE3ELNS1_3repE0EEENS1_30default_config_static_selectorELNS0_4arch9wavefront6targetE1EEEvT1_ ; -- Begin function _ZN7rocprim17ROCPRIM_400000_NS6detail17trampoline_kernelINS0_14default_configENS1_27scan_by_key_config_selectorIxxEEZZNS1_16scan_by_key_implILNS1_25lookback_scan_determinismE0ELb1ES3_N6thrust23THRUST_200600_302600_NS6detail15normal_iteratorINS9_10device_ptrIxEEEESE_SE_xNS9_4plusIxEE19head_flag_predicatexEE10hipError_tPvRmT2_T3_T4_T5_mT6_T7_P12ihipStream_tbENKUlT_T0_E_clISt17integral_constantIbLb1EESX_IbLb0EEEEDaST_SU_EUlST_E_NS1_11comp_targetILNS1_3genE9ELNS1_11target_archE1100ELNS1_3gpuE3ELNS1_3repE0EEENS1_30default_config_static_selectorELNS0_4arch9wavefront6targetE1EEEvT1_
	.globl	_ZN7rocprim17ROCPRIM_400000_NS6detail17trampoline_kernelINS0_14default_configENS1_27scan_by_key_config_selectorIxxEEZZNS1_16scan_by_key_implILNS1_25lookback_scan_determinismE0ELb1ES3_N6thrust23THRUST_200600_302600_NS6detail15normal_iteratorINS9_10device_ptrIxEEEESE_SE_xNS9_4plusIxEE19head_flag_predicatexEE10hipError_tPvRmT2_T3_T4_T5_mT6_T7_P12ihipStream_tbENKUlT_T0_E_clISt17integral_constantIbLb1EESX_IbLb0EEEEDaST_SU_EUlST_E_NS1_11comp_targetILNS1_3genE9ELNS1_11target_archE1100ELNS1_3gpuE3ELNS1_3repE0EEENS1_30default_config_static_selectorELNS0_4arch9wavefront6targetE1EEEvT1_
	.p2align	8
	.type	_ZN7rocprim17ROCPRIM_400000_NS6detail17trampoline_kernelINS0_14default_configENS1_27scan_by_key_config_selectorIxxEEZZNS1_16scan_by_key_implILNS1_25lookback_scan_determinismE0ELb1ES3_N6thrust23THRUST_200600_302600_NS6detail15normal_iteratorINS9_10device_ptrIxEEEESE_SE_xNS9_4plusIxEE19head_flag_predicatexEE10hipError_tPvRmT2_T3_T4_T5_mT6_T7_P12ihipStream_tbENKUlT_T0_E_clISt17integral_constantIbLb1EESX_IbLb0EEEEDaST_SU_EUlST_E_NS1_11comp_targetILNS1_3genE9ELNS1_11target_archE1100ELNS1_3gpuE3ELNS1_3repE0EEENS1_30default_config_static_selectorELNS0_4arch9wavefront6targetE1EEEvT1_,@function
_ZN7rocprim17ROCPRIM_400000_NS6detail17trampoline_kernelINS0_14default_configENS1_27scan_by_key_config_selectorIxxEEZZNS1_16scan_by_key_implILNS1_25lookback_scan_determinismE0ELb1ES3_N6thrust23THRUST_200600_302600_NS6detail15normal_iteratorINS9_10device_ptrIxEEEESE_SE_xNS9_4plusIxEE19head_flag_predicatexEE10hipError_tPvRmT2_T3_T4_T5_mT6_T7_P12ihipStream_tbENKUlT_T0_E_clISt17integral_constantIbLb1EESX_IbLb0EEEEDaST_SU_EUlST_E_NS1_11comp_targetILNS1_3genE9ELNS1_11target_archE1100ELNS1_3gpuE3ELNS1_3repE0EEENS1_30default_config_static_selectorELNS0_4arch9wavefront6targetE1EEEvT1_: ; @_ZN7rocprim17ROCPRIM_400000_NS6detail17trampoline_kernelINS0_14default_configENS1_27scan_by_key_config_selectorIxxEEZZNS1_16scan_by_key_implILNS1_25lookback_scan_determinismE0ELb1ES3_N6thrust23THRUST_200600_302600_NS6detail15normal_iteratorINS9_10device_ptrIxEEEESE_SE_xNS9_4plusIxEE19head_flag_predicatexEE10hipError_tPvRmT2_T3_T4_T5_mT6_T7_P12ihipStream_tbENKUlT_T0_E_clISt17integral_constantIbLb1EESX_IbLb0EEEEDaST_SU_EUlST_E_NS1_11comp_targetILNS1_3genE9ELNS1_11target_archE1100ELNS1_3gpuE3ELNS1_3repE0EEENS1_30default_config_static_selectorELNS0_4arch9wavefront6targetE1EEEvT1_
; %bb.0:
	.section	.rodata,"a",@progbits
	.p2align	6, 0x0
	.amdhsa_kernel _ZN7rocprim17ROCPRIM_400000_NS6detail17trampoline_kernelINS0_14default_configENS1_27scan_by_key_config_selectorIxxEEZZNS1_16scan_by_key_implILNS1_25lookback_scan_determinismE0ELb1ES3_N6thrust23THRUST_200600_302600_NS6detail15normal_iteratorINS9_10device_ptrIxEEEESE_SE_xNS9_4plusIxEE19head_flag_predicatexEE10hipError_tPvRmT2_T3_T4_T5_mT6_T7_P12ihipStream_tbENKUlT_T0_E_clISt17integral_constantIbLb1EESX_IbLb0EEEEDaST_SU_EUlST_E_NS1_11comp_targetILNS1_3genE9ELNS1_11target_archE1100ELNS1_3gpuE3ELNS1_3repE0EEENS1_30default_config_static_selectorELNS0_4arch9wavefront6targetE1EEEvT1_
		.amdhsa_group_segment_fixed_size 0
		.amdhsa_private_segment_fixed_size 0
		.amdhsa_kernarg_size 136
		.amdhsa_user_sgpr_count 2
		.amdhsa_user_sgpr_dispatch_ptr 0
		.amdhsa_user_sgpr_queue_ptr 0
		.amdhsa_user_sgpr_kernarg_segment_ptr 1
		.amdhsa_user_sgpr_dispatch_id 0
		.amdhsa_user_sgpr_kernarg_preload_length 0
		.amdhsa_user_sgpr_kernarg_preload_offset 0
		.amdhsa_user_sgpr_private_segment_size 0
		.amdhsa_uses_dynamic_stack 0
		.amdhsa_enable_private_segment 0
		.amdhsa_system_sgpr_workgroup_id_x 1
		.amdhsa_system_sgpr_workgroup_id_y 0
		.amdhsa_system_sgpr_workgroup_id_z 0
		.amdhsa_system_sgpr_workgroup_info 0
		.amdhsa_system_vgpr_workitem_id 0
		.amdhsa_next_free_vgpr 1
		.amdhsa_next_free_sgpr 0
		.amdhsa_accum_offset 4
		.amdhsa_reserve_vcc 0
		.amdhsa_float_round_mode_32 0
		.amdhsa_float_round_mode_16_64 0
		.amdhsa_float_denorm_mode_32 3
		.amdhsa_float_denorm_mode_16_64 3
		.amdhsa_dx10_clamp 1
		.amdhsa_ieee_mode 1
		.amdhsa_fp16_overflow 0
		.amdhsa_tg_split 0
		.amdhsa_exception_fp_ieee_invalid_op 0
		.amdhsa_exception_fp_denorm_src 0
		.amdhsa_exception_fp_ieee_div_zero 0
		.amdhsa_exception_fp_ieee_overflow 0
		.amdhsa_exception_fp_ieee_underflow 0
		.amdhsa_exception_fp_ieee_inexact 0
		.amdhsa_exception_int_div_zero 0
	.end_amdhsa_kernel
	.section	.text._ZN7rocprim17ROCPRIM_400000_NS6detail17trampoline_kernelINS0_14default_configENS1_27scan_by_key_config_selectorIxxEEZZNS1_16scan_by_key_implILNS1_25lookback_scan_determinismE0ELb1ES3_N6thrust23THRUST_200600_302600_NS6detail15normal_iteratorINS9_10device_ptrIxEEEESE_SE_xNS9_4plusIxEE19head_flag_predicatexEE10hipError_tPvRmT2_T3_T4_T5_mT6_T7_P12ihipStream_tbENKUlT_T0_E_clISt17integral_constantIbLb1EESX_IbLb0EEEEDaST_SU_EUlST_E_NS1_11comp_targetILNS1_3genE9ELNS1_11target_archE1100ELNS1_3gpuE3ELNS1_3repE0EEENS1_30default_config_static_selectorELNS0_4arch9wavefront6targetE1EEEvT1_,"axG",@progbits,_ZN7rocprim17ROCPRIM_400000_NS6detail17trampoline_kernelINS0_14default_configENS1_27scan_by_key_config_selectorIxxEEZZNS1_16scan_by_key_implILNS1_25lookback_scan_determinismE0ELb1ES3_N6thrust23THRUST_200600_302600_NS6detail15normal_iteratorINS9_10device_ptrIxEEEESE_SE_xNS9_4plusIxEE19head_flag_predicatexEE10hipError_tPvRmT2_T3_T4_T5_mT6_T7_P12ihipStream_tbENKUlT_T0_E_clISt17integral_constantIbLb1EESX_IbLb0EEEEDaST_SU_EUlST_E_NS1_11comp_targetILNS1_3genE9ELNS1_11target_archE1100ELNS1_3gpuE3ELNS1_3repE0EEENS1_30default_config_static_selectorELNS0_4arch9wavefront6targetE1EEEvT1_,comdat
.Lfunc_end738:
	.size	_ZN7rocprim17ROCPRIM_400000_NS6detail17trampoline_kernelINS0_14default_configENS1_27scan_by_key_config_selectorIxxEEZZNS1_16scan_by_key_implILNS1_25lookback_scan_determinismE0ELb1ES3_N6thrust23THRUST_200600_302600_NS6detail15normal_iteratorINS9_10device_ptrIxEEEESE_SE_xNS9_4plusIxEE19head_flag_predicatexEE10hipError_tPvRmT2_T3_T4_T5_mT6_T7_P12ihipStream_tbENKUlT_T0_E_clISt17integral_constantIbLb1EESX_IbLb0EEEEDaST_SU_EUlST_E_NS1_11comp_targetILNS1_3genE9ELNS1_11target_archE1100ELNS1_3gpuE3ELNS1_3repE0EEENS1_30default_config_static_selectorELNS0_4arch9wavefront6targetE1EEEvT1_, .Lfunc_end738-_ZN7rocprim17ROCPRIM_400000_NS6detail17trampoline_kernelINS0_14default_configENS1_27scan_by_key_config_selectorIxxEEZZNS1_16scan_by_key_implILNS1_25lookback_scan_determinismE0ELb1ES3_N6thrust23THRUST_200600_302600_NS6detail15normal_iteratorINS9_10device_ptrIxEEEESE_SE_xNS9_4plusIxEE19head_flag_predicatexEE10hipError_tPvRmT2_T3_T4_T5_mT6_T7_P12ihipStream_tbENKUlT_T0_E_clISt17integral_constantIbLb1EESX_IbLb0EEEEDaST_SU_EUlST_E_NS1_11comp_targetILNS1_3genE9ELNS1_11target_archE1100ELNS1_3gpuE3ELNS1_3repE0EEENS1_30default_config_static_selectorELNS0_4arch9wavefront6targetE1EEEvT1_
                                        ; -- End function
	.section	.AMDGPU.csdata,"",@progbits
; Kernel info:
; codeLenInByte = 0
; NumSgprs: 6
; NumVgprs: 0
; NumAgprs: 0
; TotalNumVgprs: 0
; ScratchSize: 0
; MemoryBound: 0
; FloatMode: 240
; IeeeMode: 1
; LDSByteSize: 0 bytes/workgroup (compile time only)
; SGPRBlocks: 0
; VGPRBlocks: 0
; NumSGPRsForWavesPerEU: 6
; NumVGPRsForWavesPerEU: 1
; AccumOffset: 4
; Occupancy: 8
; WaveLimiterHint : 0
; COMPUTE_PGM_RSRC2:SCRATCH_EN: 0
; COMPUTE_PGM_RSRC2:USER_SGPR: 2
; COMPUTE_PGM_RSRC2:TRAP_HANDLER: 0
; COMPUTE_PGM_RSRC2:TGID_X_EN: 1
; COMPUTE_PGM_RSRC2:TGID_Y_EN: 0
; COMPUTE_PGM_RSRC2:TGID_Z_EN: 0
; COMPUTE_PGM_RSRC2:TIDIG_COMP_CNT: 0
; COMPUTE_PGM_RSRC3_GFX90A:ACCUM_OFFSET: 0
; COMPUTE_PGM_RSRC3_GFX90A:TG_SPLIT: 0
	.section	.text._ZN7rocprim17ROCPRIM_400000_NS6detail17trampoline_kernelINS0_14default_configENS1_27scan_by_key_config_selectorIxxEEZZNS1_16scan_by_key_implILNS1_25lookback_scan_determinismE0ELb1ES3_N6thrust23THRUST_200600_302600_NS6detail15normal_iteratorINS9_10device_ptrIxEEEESE_SE_xNS9_4plusIxEE19head_flag_predicatexEE10hipError_tPvRmT2_T3_T4_T5_mT6_T7_P12ihipStream_tbENKUlT_T0_E_clISt17integral_constantIbLb1EESX_IbLb0EEEEDaST_SU_EUlST_E_NS1_11comp_targetILNS1_3genE8ELNS1_11target_archE1030ELNS1_3gpuE2ELNS1_3repE0EEENS1_30default_config_static_selectorELNS0_4arch9wavefront6targetE1EEEvT1_,"axG",@progbits,_ZN7rocprim17ROCPRIM_400000_NS6detail17trampoline_kernelINS0_14default_configENS1_27scan_by_key_config_selectorIxxEEZZNS1_16scan_by_key_implILNS1_25lookback_scan_determinismE0ELb1ES3_N6thrust23THRUST_200600_302600_NS6detail15normal_iteratorINS9_10device_ptrIxEEEESE_SE_xNS9_4plusIxEE19head_flag_predicatexEE10hipError_tPvRmT2_T3_T4_T5_mT6_T7_P12ihipStream_tbENKUlT_T0_E_clISt17integral_constantIbLb1EESX_IbLb0EEEEDaST_SU_EUlST_E_NS1_11comp_targetILNS1_3genE8ELNS1_11target_archE1030ELNS1_3gpuE2ELNS1_3repE0EEENS1_30default_config_static_selectorELNS0_4arch9wavefront6targetE1EEEvT1_,comdat
	.protected	_ZN7rocprim17ROCPRIM_400000_NS6detail17trampoline_kernelINS0_14default_configENS1_27scan_by_key_config_selectorIxxEEZZNS1_16scan_by_key_implILNS1_25lookback_scan_determinismE0ELb1ES3_N6thrust23THRUST_200600_302600_NS6detail15normal_iteratorINS9_10device_ptrIxEEEESE_SE_xNS9_4plusIxEE19head_flag_predicatexEE10hipError_tPvRmT2_T3_T4_T5_mT6_T7_P12ihipStream_tbENKUlT_T0_E_clISt17integral_constantIbLb1EESX_IbLb0EEEEDaST_SU_EUlST_E_NS1_11comp_targetILNS1_3genE8ELNS1_11target_archE1030ELNS1_3gpuE2ELNS1_3repE0EEENS1_30default_config_static_selectorELNS0_4arch9wavefront6targetE1EEEvT1_ ; -- Begin function _ZN7rocprim17ROCPRIM_400000_NS6detail17trampoline_kernelINS0_14default_configENS1_27scan_by_key_config_selectorIxxEEZZNS1_16scan_by_key_implILNS1_25lookback_scan_determinismE0ELb1ES3_N6thrust23THRUST_200600_302600_NS6detail15normal_iteratorINS9_10device_ptrIxEEEESE_SE_xNS9_4plusIxEE19head_flag_predicatexEE10hipError_tPvRmT2_T3_T4_T5_mT6_T7_P12ihipStream_tbENKUlT_T0_E_clISt17integral_constantIbLb1EESX_IbLb0EEEEDaST_SU_EUlST_E_NS1_11comp_targetILNS1_3genE8ELNS1_11target_archE1030ELNS1_3gpuE2ELNS1_3repE0EEENS1_30default_config_static_selectorELNS0_4arch9wavefront6targetE1EEEvT1_
	.globl	_ZN7rocprim17ROCPRIM_400000_NS6detail17trampoline_kernelINS0_14default_configENS1_27scan_by_key_config_selectorIxxEEZZNS1_16scan_by_key_implILNS1_25lookback_scan_determinismE0ELb1ES3_N6thrust23THRUST_200600_302600_NS6detail15normal_iteratorINS9_10device_ptrIxEEEESE_SE_xNS9_4plusIxEE19head_flag_predicatexEE10hipError_tPvRmT2_T3_T4_T5_mT6_T7_P12ihipStream_tbENKUlT_T0_E_clISt17integral_constantIbLb1EESX_IbLb0EEEEDaST_SU_EUlST_E_NS1_11comp_targetILNS1_3genE8ELNS1_11target_archE1030ELNS1_3gpuE2ELNS1_3repE0EEENS1_30default_config_static_selectorELNS0_4arch9wavefront6targetE1EEEvT1_
	.p2align	8
	.type	_ZN7rocprim17ROCPRIM_400000_NS6detail17trampoline_kernelINS0_14default_configENS1_27scan_by_key_config_selectorIxxEEZZNS1_16scan_by_key_implILNS1_25lookback_scan_determinismE0ELb1ES3_N6thrust23THRUST_200600_302600_NS6detail15normal_iteratorINS9_10device_ptrIxEEEESE_SE_xNS9_4plusIxEE19head_flag_predicatexEE10hipError_tPvRmT2_T3_T4_T5_mT6_T7_P12ihipStream_tbENKUlT_T0_E_clISt17integral_constantIbLb1EESX_IbLb0EEEEDaST_SU_EUlST_E_NS1_11comp_targetILNS1_3genE8ELNS1_11target_archE1030ELNS1_3gpuE2ELNS1_3repE0EEENS1_30default_config_static_selectorELNS0_4arch9wavefront6targetE1EEEvT1_,@function
_ZN7rocprim17ROCPRIM_400000_NS6detail17trampoline_kernelINS0_14default_configENS1_27scan_by_key_config_selectorIxxEEZZNS1_16scan_by_key_implILNS1_25lookback_scan_determinismE0ELb1ES3_N6thrust23THRUST_200600_302600_NS6detail15normal_iteratorINS9_10device_ptrIxEEEESE_SE_xNS9_4plusIxEE19head_flag_predicatexEE10hipError_tPvRmT2_T3_T4_T5_mT6_T7_P12ihipStream_tbENKUlT_T0_E_clISt17integral_constantIbLb1EESX_IbLb0EEEEDaST_SU_EUlST_E_NS1_11comp_targetILNS1_3genE8ELNS1_11target_archE1030ELNS1_3gpuE2ELNS1_3repE0EEENS1_30default_config_static_selectorELNS0_4arch9wavefront6targetE1EEEvT1_: ; @_ZN7rocprim17ROCPRIM_400000_NS6detail17trampoline_kernelINS0_14default_configENS1_27scan_by_key_config_selectorIxxEEZZNS1_16scan_by_key_implILNS1_25lookback_scan_determinismE0ELb1ES3_N6thrust23THRUST_200600_302600_NS6detail15normal_iteratorINS9_10device_ptrIxEEEESE_SE_xNS9_4plusIxEE19head_flag_predicatexEE10hipError_tPvRmT2_T3_T4_T5_mT6_T7_P12ihipStream_tbENKUlT_T0_E_clISt17integral_constantIbLb1EESX_IbLb0EEEEDaST_SU_EUlST_E_NS1_11comp_targetILNS1_3genE8ELNS1_11target_archE1030ELNS1_3gpuE2ELNS1_3repE0EEENS1_30default_config_static_selectorELNS0_4arch9wavefront6targetE1EEEvT1_
; %bb.0:
	.section	.rodata,"a",@progbits
	.p2align	6, 0x0
	.amdhsa_kernel _ZN7rocprim17ROCPRIM_400000_NS6detail17trampoline_kernelINS0_14default_configENS1_27scan_by_key_config_selectorIxxEEZZNS1_16scan_by_key_implILNS1_25lookback_scan_determinismE0ELb1ES3_N6thrust23THRUST_200600_302600_NS6detail15normal_iteratorINS9_10device_ptrIxEEEESE_SE_xNS9_4plusIxEE19head_flag_predicatexEE10hipError_tPvRmT2_T3_T4_T5_mT6_T7_P12ihipStream_tbENKUlT_T0_E_clISt17integral_constantIbLb1EESX_IbLb0EEEEDaST_SU_EUlST_E_NS1_11comp_targetILNS1_3genE8ELNS1_11target_archE1030ELNS1_3gpuE2ELNS1_3repE0EEENS1_30default_config_static_selectorELNS0_4arch9wavefront6targetE1EEEvT1_
		.amdhsa_group_segment_fixed_size 0
		.amdhsa_private_segment_fixed_size 0
		.amdhsa_kernarg_size 136
		.amdhsa_user_sgpr_count 2
		.amdhsa_user_sgpr_dispatch_ptr 0
		.amdhsa_user_sgpr_queue_ptr 0
		.amdhsa_user_sgpr_kernarg_segment_ptr 1
		.amdhsa_user_sgpr_dispatch_id 0
		.amdhsa_user_sgpr_kernarg_preload_length 0
		.amdhsa_user_sgpr_kernarg_preload_offset 0
		.amdhsa_user_sgpr_private_segment_size 0
		.amdhsa_uses_dynamic_stack 0
		.amdhsa_enable_private_segment 0
		.amdhsa_system_sgpr_workgroup_id_x 1
		.amdhsa_system_sgpr_workgroup_id_y 0
		.amdhsa_system_sgpr_workgroup_id_z 0
		.amdhsa_system_sgpr_workgroup_info 0
		.amdhsa_system_vgpr_workitem_id 0
		.amdhsa_next_free_vgpr 1
		.amdhsa_next_free_sgpr 0
		.amdhsa_accum_offset 4
		.amdhsa_reserve_vcc 0
		.amdhsa_float_round_mode_32 0
		.amdhsa_float_round_mode_16_64 0
		.amdhsa_float_denorm_mode_32 3
		.amdhsa_float_denorm_mode_16_64 3
		.amdhsa_dx10_clamp 1
		.amdhsa_ieee_mode 1
		.amdhsa_fp16_overflow 0
		.amdhsa_tg_split 0
		.amdhsa_exception_fp_ieee_invalid_op 0
		.amdhsa_exception_fp_denorm_src 0
		.amdhsa_exception_fp_ieee_div_zero 0
		.amdhsa_exception_fp_ieee_overflow 0
		.amdhsa_exception_fp_ieee_underflow 0
		.amdhsa_exception_fp_ieee_inexact 0
		.amdhsa_exception_int_div_zero 0
	.end_amdhsa_kernel
	.section	.text._ZN7rocprim17ROCPRIM_400000_NS6detail17trampoline_kernelINS0_14default_configENS1_27scan_by_key_config_selectorIxxEEZZNS1_16scan_by_key_implILNS1_25lookback_scan_determinismE0ELb1ES3_N6thrust23THRUST_200600_302600_NS6detail15normal_iteratorINS9_10device_ptrIxEEEESE_SE_xNS9_4plusIxEE19head_flag_predicatexEE10hipError_tPvRmT2_T3_T4_T5_mT6_T7_P12ihipStream_tbENKUlT_T0_E_clISt17integral_constantIbLb1EESX_IbLb0EEEEDaST_SU_EUlST_E_NS1_11comp_targetILNS1_3genE8ELNS1_11target_archE1030ELNS1_3gpuE2ELNS1_3repE0EEENS1_30default_config_static_selectorELNS0_4arch9wavefront6targetE1EEEvT1_,"axG",@progbits,_ZN7rocprim17ROCPRIM_400000_NS6detail17trampoline_kernelINS0_14default_configENS1_27scan_by_key_config_selectorIxxEEZZNS1_16scan_by_key_implILNS1_25lookback_scan_determinismE0ELb1ES3_N6thrust23THRUST_200600_302600_NS6detail15normal_iteratorINS9_10device_ptrIxEEEESE_SE_xNS9_4plusIxEE19head_flag_predicatexEE10hipError_tPvRmT2_T3_T4_T5_mT6_T7_P12ihipStream_tbENKUlT_T0_E_clISt17integral_constantIbLb1EESX_IbLb0EEEEDaST_SU_EUlST_E_NS1_11comp_targetILNS1_3genE8ELNS1_11target_archE1030ELNS1_3gpuE2ELNS1_3repE0EEENS1_30default_config_static_selectorELNS0_4arch9wavefront6targetE1EEEvT1_,comdat
.Lfunc_end739:
	.size	_ZN7rocprim17ROCPRIM_400000_NS6detail17trampoline_kernelINS0_14default_configENS1_27scan_by_key_config_selectorIxxEEZZNS1_16scan_by_key_implILNS1_25lookback_scan_determinismE0ELb1ES3_N6thrust23THRUST_200600_302600_NS6detail15normal_iteratorINS9_10device_ptrIxEEEESE_SE_xNS9_4plusIxEE19head_flag_predicatexEE10hipError_tPvRmT2_T3_T4_T5_mT6_T7_P12ihipStream_tbENKUlT_T0_E_clISt17integral_constantIbLb1EESX_IbLb0EEEEDaST_SU_EUlST_E_NS1_11comp_targetILNS1_3genE8ELNS1_11target_archE1030ELNS1_3gpuE2ELNS1_3repE0EEENS1_30default_config_static_selectorELNS0_4arch9wavefront6targetE1EEEvT1_, .Lfunc_end739-_ZN7rocprim17ROCPRIM_400000_NS6detail17trampoline_kernelINS0_14default_configENS1_27scan_by_key_config_selectorIxxEEZZNS1_16scan_by_key_implILNS1_25lookback_scan_determinismE0ELb1ES3_N6thrust23THRUST_200600_302600_NS6detail15normal_iteratorINS9_10device_ptrIxEEEESE_SE_xNS9_4plusIxEE19head_flag_predicatexEE10hipError_tPvRmT2_T3_T4_T5_mT6_T7_P12ihipStream_tbENKUlT_T0_E_clISt17integral_constantIbLb1EESX_IbLb0EEEEDaST_SU_EUlST_E_NS1_11comp_targetILNS1_3genE8ELNS1_11target_archE1030ELNS1_3gpuE2ELNS1_3repE0EEENS1_30default_config_static_selectorELNS0_4arch9wavefront6targetE1EEEvT1_
                                        ; -- End function
	.section	.AMDGPU.csdata,"",@progbits
; Kernel info:
; codeLenInByte = 0
; NumSgprs: 6
; NumVgprs: 0
; NumAgprs: 0
; TotalNumVgprs: 0
; ScratchSize: 0
; MemoryBound: 0
; FloatMode: 240
; IeeeMode: 1
; LDSByteSize: 0 bytes/workgroup (compile time only)
; SGPRBlocks: 0
; VGPRBlocks: 0
; NumSGPRsForWavesPerEU: 6
; NumVGPRsForWavesPerEU: 1
; AccumOffset: 4
; Occupancy: 8
; WaveLimiterHint : 0
; COMPUTE_PGM_RSRC2:SCRATCH_EN: 0
; COMPUTE_PGM_RSRC2:USER_SGPR: 2
; COMPUTE_PGM_RSRC2:TRAP_HANDLER: 0
; COMPUTE_PGM_RSRC2:TGID_X_EN: 1
; COMPUTE_PGM_RSRC2:TGID_Y_EN: 0
; COMPUTE_PGM_RSRC2:TGID_Z_EN: 0
; COMPUTE_PGM_RSRC2:TIDIG_COMP_CNT: 0
; COMPUTE_PGM_RSRC3_GFX90A:ACCUM_OFFSET: 0
; COMPUTE_PGM_RSRC3_GFX90A:TG_SPLIT: 0
	.section	.text._ZN7rocprim17ROCPRIM_400000_NS6detail17trampoline_kernelINS0_14default_configENS1_27scan_by_key_config_selectorIxxEEZZNS1_16scan_by_key_implILNS1_25lookback_scan_determinismE0ELb1ES3_N6thrust23THRUST_200600_302600_NS6detail15normal_iteratorINS9_10device_ptrIxEEEESE_SE_xNS9_4plusIxEE19head_flag_predicatexEE10hipError_tPvRmT2_T3_T4_T5_mT6_T7_P12ihipStream_tbENKUlT_T0_E_clISt17integral_constantIbLb0EESX_IbLb1EEEEDaST_SU_EUlST_E_NS1_11comp_targetILNS1_3genE0ELNS1_11target_archE4294967295ELNS1_3gpuE0ELNS1_3repE0EEENS1_30default_config_static_selectorELNS0_4arch9wavefront6targetE1EEEvT1_,"axG",@progbits,_ZN7rocprim17ROCPRIM_400000_NS6detail17trampoline_kernelINS0_14default_configENS1_27scan_by_key_config_selectorIxxEEZZNS1_16scan_by_key_implILNS1_25lookback_scan_determinismE0ELb1ES3_N6thrust23THRUST_200600_302600_NS6detail15normal_iteratorINS9_10device_ptrIxEEEESE_SE_xNS9_4plusIxEE19head_flag_predicatexEE10hipError_tPvRmT2_T3_T4_T5_mT6_T7_P12ihipStream_tbENKUlT_T0_E_clISt17integral_constantIbLb0EESX_IbLb1EEEEDaST_SU_EUlST_E_NS1_11comp_targetILNS1_3genE0ELNS1_11target_archE4294967295ELNS1_3gpuE0ELNS1_3repE0EEENS1_30default_config_static_selectorELNS0_4arch9wavefront6targetE1EEEvT1_,comdat
	.protected	_ZN7rocprim17ROCPRIM_400000_NS6detail17trampoline_kernelINS0_14default_configENS1_27scan_by_key_config_selectorIxxEEZZNS1_16scan_by_key_implILNS1_25lookback_scan_determinismE0ELb1ES3_N6thrust23THRUST_200600_302600_NS6detail15normal_iteratorINS9_10device_ptrIxEEEESE_SE_xNS9_4plusIxEE19head_flag_predicatexEE10hipError_tPvRmT2_T3_T4_T5_mT6_T7_P12ihipStream_tbENKUlT_T0_E_clISt17integral_constantIbLb0EESX_IbLb1EEEEDaST_SU_EUlST_E_NS1_11comp_targetILNS1_3genE0ELNS1_11target_archE4294967295ELNS1_3gpuE0ELNS1_3repE0EEENS1_30default_config_static_selectorELNS0_4arch9wavefront6targetE1EEEvT1_ ; -- Begin function _ZN7rocprim17ROCPRIM_400000_NS6detail17trampoline_kernelINS0_14default_configENS1_27scan_by_key_config_selectorIxxEEZZNS1_16scan_by_key_implILNS1_25lookback_scan_determinismE0ELb1ES3_N6thrust23THRUST_200600_302600_NS6detail15normal_iteratorINS9_10device_ptrIxEEEESE_SE_xNS9_4plusIxEE19head_flag_predicatexEE10hipError_tPvRmT2_T3_T4_T5_mT6_T7_P12ihipStream_tbENKUlT_T0_E_clISt17integral_constantIbLb0EESX_IbLb1EEEEDaST_SU_EUlST_E_NS1_11comp_targetILNS1_3genE0ELNS1_11target_archE4294967295ELNS1_3gpuE0ELNS1_3repE0EEENS1_30default_config_static_selectorELNS0_4arch9wavefront6targetE1EEEvT1_
	.globl	_ZN7rocprim17ROCPRIM_400000_NS6detail17trampoline_kernelINS0_14default_configENS1_27scan_by_key_config_selectorIxxEEZZNS1_16scan_by_key_implILNS1_25lookback_scan_determinismE0ELb1ES3_N6thrust23THRUST_200600_302600_NS6detail15normal_iteratorINS9_10device_ptrIxEEEESE_SE_xNS9_4plusIxEE19head_flag_predicatexEE10hipError_tPvRmT2_T3_T4_T5_mT6_T7_P12ihipStream_tbENKUlT_T0_E_clISt17integral_constantIbLb0EESX_IbLb1EEEEDaST_SU_EUlST_E_NS1_11comp_targetILNS1_3genE0ELNS1_11target_archE4294967295ELNS1_3gpuE0ELNS1_3repE0EEENS1_30default_config_static_selectorELNS0_4arch9wavefront6targetE1EEEvT1_
	.p2align	8
	.type	_ZN7rocprim17ROCPRIM_400000_NS6detail17trampoline_kernelINS0_14default_configENS1_27scan_by_key_config_selectorIxxEEZZNS1_16scan_by_key_implILNS1_25lookback_scan_determinismE0ELb1ES3_N6thrust23THRUST_200600_302600_NS6detail15normal_iteratorINS9_10device_ptrIxEEEESE_SE_xNS9_4plusIxEE19head_flag_predicatexEE10hipError_tPvRmT2_T3_T4_T5_mT6_T7_P12ihipStream_tbENKUlT_T0_E_clISt17integral_constantIbLb0EESX_IbLb1EEEEDaST_SU_EUlST_E_NS1_11comp_targetILNS1_3genE0ELNS1_11target_archE4294967295ELNS1_3gpuE0ELNS1_3repE0EEENS1_30default_config_static_selectorELNS0_4arch9wavefront6targetE1EEEvT1_,@function
_ZN7rocprim17ROCPRIM_400000_NS6detail17trampoline_kernelINS0_14default_configENS1_27scan_by_key_config_selectorIxxEEZZNS1_16scan_by_key_implILNS1_25lookback_scan_determinismE0ELb1ES3_N6thrust23THRUST_200600_302600_NS6detail15normal_iteratorINS9_10device_ptrIxEEEESE_SE_xNS9_4plusIxEE19head_flag_predicatexEE10hipError_tPvRmT2_T3_T4_T5_mT6_T7_P12ihipStream_tbENKUlT_T0_E_clISt17integral_constantIbLb0EESX_IbLb1EEEEDaST_SU_EUlST_E_NS1_11comp_targetILNS1_3genE0ELNS1_11target_archE4294967295ELNS1_3gpuE0ELNS1_3repE0EEENS1_30default_config_static_selectorELNS0_4arch9wavefront6targetE1EEEvT1_: ; @_ZN7rocprim17ROCPRIM_400000_NS6detail17trampoline_kernelINS0_14default_configENS1_27scan_by_key_config_selectorIxxEEZZNS1_16scan_by_key_implILNS1_25lookback_scan_determinismE0ELb1ES3_N6thrust23THRUST_200600_302600_NS6detail15normal_iteratorINS9_10device_ptrIxEEEESE_SE_xNS9_4plusIxEE19head_flag_predicatexEE10hipError_tPvRmT2_T3_T4_T5_mT6_T7_P12ihipStream_tbENKUlT_T0_E_clISt17integral_constantIbLb0EESX_IbLb1EEEEDaST_SU_EUlST_E_NS1_11comp_targetILNS1_3genE0ELNS1_11target_archE4294967295ELNS1_3gpuE0ELNS1_3repE0EEENS1_30default_config_static_selectorELNS0_4arch9wavefront6targetE1EEEvT1_
; %bb.0:
	.section	.rodata,"a",@progbits
	.p2align	6, 0x0
	.amdhsa_kernel _ZN7rocprim17ROCPRIM_400000_NS6detail17trampoline_kernelINS0_14default_configENS1_27scan_by_key_config_selectorIxxEEZZNS1_16scan_by_key_implILNS1_25lookback_scan_determinismE0ELb1ES3_N6thrust23THRUST_200600_302600_NS6detail15normal_iteratorINS9_10device_ptrIxEEEESE_SE_xNS9_4plusIxEE19head_flag_predicatexEE10hipError_tPvRmT2_T3_T4_T5_mT6_T7_P12ihipStream_tbENKUlT_T0_E_clISt17integral_constantIbLb0EESX_IbLb1EEEEDaST_SU_EUlST_E_NS1_11comp_targetILNS1_3genE0ELNS1_11target_archE4294967295ELNS1_3gpuE0ELNS1_3repE0EEENS1_30default_config_static_selectorELNS0_4arch9wavefront6targetE1EEEvT1_
		.amdhsa_group_segment_fixed_size 0
		.amdhsa_private_segment_fixed_size 0
		.amdhsa_kernarg_size 136
		.amdhsa_user_sgpr_count 2
		.amdhsa_user_sgpr_dispatch_ptr 0
		.amdhsa_user_sgpr_queue_ptr 0
		.amdhsa_user_sgpr_kernarg_segment_ptr 1
		.amdhsa_user_sgpr_dispatch_id 0
		.amdhsa_user_sgpr_kernarg_preload_length 0
		.amdhsa_user_sgpr_kernarg_preload_offset 0
		.amdhsa_user_sgpr_private_segment_size 0
		.amdhsa_uses_dynamic_stack 0
		.amdhsa_enable_private_segment 0
		.amdhsa_system_sgpr_workgroup_id_x 1
		.amdhsa_system_sgpr_workgroup_id_y 0
		.amdhsa_system_sgpr_workgroup_id_z 0
		.amdhsa_system_sgpr_workgroup_info 0
		.amdhsa_system_vgpr_workitem_id 0
		.amdhsa_next_free_vgpr 1
		.amdhsa_next_free_sgpr 0
		.amdhsa_accum_offset 4
		.amdhsa_reserve_vcc 0
		.amdhsa_float_round_mode_32 0
		.amdhsa_float_round_mode_16_64 0
		.amdhsa_float_denorm_mode_32 3
		.amdhsa_float_denorm_mode_16_64 3
		.amdhsa_dx10_clamp 1
		.amdhsa_ieee_mode 1
		.amdhsa_fp16_overflow 0
		.amdhsa_tg_split 0
		.amdhsa_exception_fp_ieee_invalid_op 0
		.amdhsa_exception_fp_denorm_src 0
		.amdhsa_exception_fp_ieee_div_zero 0
		.amdhsa_exception_fp_ieee_overflow 0
		.amdhsa_exception_fp_ieee_underflow 0
		.amdhsa_exception_fp_ieee_inexact 0
		.amdhsa_exception_int_div_zero 0
	.end_amdhsa_kernel
	.section	.text._ZN7rocprim17ROCPRIM_400000_NS6detail17trampoline_kernelINS0_14default_configENS1_27scan_by_key_config_selectorIxxEEZZNS1_16scan_by_key_implILNS1_25lookback_scan_determinismE0ELb1ES3_N6thrust23THRUST_200600_302600_NS6detail15normal_iteratorINS9_10device_ptrIxEEEESE_SE_xNS9_4plusIxEE19head_flag_predicatexEE10hipError_tPvRmT2_T3_T4_T5_mT6_T7_P12ihipStream_tbENKUlT_T0_E_clISt17integral_constantIbLb0EESX_IbLb1EEEEDaST_SU_EUlST_E_NS1_11comp_targetILNS1_3genE0ELNS1_11target_archE4294967295ELNS1_3gpuE0ELNS1_3repE0EEENS1_30default_config_static_selectorELNS0_4arch9wavefront6targetE1EEEvT1_,"axG",@progbits,_ZN7rocprim17ROCPRIM_400000_NS6detail17trampoline_kernelINS0_14default_configENS1_27scan_by_key_config_selectorIxxEEZZNS1_16scan_by_key_implILNS1_25lookback_scan_determinismE0ELb1ES3_N6thrust23THRUST_200600_302600_NS6detail15normal_iteratorINS9_10device_ptrIxEEEESE_SE_xNS9_4plusIxEE19head_flag_predicatexEE10hipError_tPvRmT2_T3_T4_T5_mT6_T7_P12ihipStream_tbENKUlT_T0_E_clISt17integral_constantIbLb0EESX_IbLb1EEEEDaST_SU_EUlST_E_NS1_11comp_targetILNS1_3genE0ELNS1_11target_archE4294967295ELNS1_3gpuE0ELNS1_3repE0EEENS1_30default_config_static_selectorELNS0_4arch9wavefront6targetE1EEEvT1_,comdat
.Lfunc_end740:
	.size	_ZN7rocprim17ROCPRIM_400000_NS6detail17trampoline_kernelINS0_14default_configENS1_27scan_by_key_config_selectorIxxEEZZNS1_16scan_by_key_implILNS1_25lookback_scan_determinismE0ELb1ES3_N6thrust23THRUST_200600_302600_NS6detail15normal_iteratorINS9_10device_ptrIxEEEESE_SE_xNS9_4plusIxEE19head_flag_predicatexEE10hipError_tPvRmT2_T3_T4_T5_mT6_T7_P12ihipStream_tbENKUlT_T0_E_clISt17integral_constantIbLb0EESX_IbLb1EEEEDaST_SU_EUlST_E_NS1_11comp_targetILNS1_3genE0ELNS1_11target_archE4294967295ELNS1_3gpuE0ELNS1_3repE0EEENS1_30default_config_static_selectorELNS0_4arch9wavefront6targetE1EEEvT1_, .Lfunc_end740-_ZN7rocprim17ROCPRIM_400000_NS6detail17trampoline_kernelINS0_14default_configENS1_27scan_by_key_config_selectorIxxEEZZNS1_16scan_by_key_implILNS1_25lookback_scan_determinismE0ELb1ES3_N6thrust23THRUST_200600_302600_NS6detail15normal_iteratorINS9_10device_ptrIxEEEESE_SE_xNS9_4plusIxEE19head_flag_predicatexEE10hipError_tPvRmT2_T3_T4_T5_mT6_T7_P12ihipStream_tbENKUlT_T0_E_clISt17integral_constantIbLb0EESX_IbLb1EEEEDaST_SU_EUlST_E_NS1_11comp_targetILNS1_3genE0ELNS1_11target_archE4294967295ELNS1_3gpuE0ELNS1_3repE0EEENS1_30default_config_static_selectorELNS0_4arch9wavefront6targetE1EEEvT1_
                                        ; -- End function
	.section	.AMDGPU.csdata,"",@progbits
; Kernel info:
; codeLenInByte = 0
; NumSgprs: 6
; NumVgprs: 0
; NumAgprs: 0
; TotalNumVgprs: 0
; ScratchSize: 0
; MemoryBound: 0
; FloatMode: 240
; IeeeMode: 1
; LDSByteSize: 0 bytes/workgroup (compile time only)
; SGPRBlocks: 0
; VGPRBlocks: 0
; NumSGPRsForWavesPerEU: 6
; NumVGPRsForWavesPerEU: 1
; AccumOffset: 4
; Occupancy: 8
; WaveLimiterHint : 0
; COMPUTE_PGM_RSRC2:SCRATCH_EN: 0
; COMPUTE_PGM_RSRC2:USER_SGPR: 2
; COMPUTE_PGM_RSRC2:TRAP_HANDLER: 0
; COMPUTE_PGM_RSRC2:TGID_X_EN: 1
; COMPUTE_PGM_RSRC2:TGID_Y_EN: 0
; COMPUTE_PGM_RSRC2:TGID_Z_EN: 0
; COMPUTE_PGM_RSRC2:TIDIG_COMP_CNT: 0
; COMPUTE_PGM_RSRC3_GFX90A:ACCUM_OFFSET: 0
; COMPUTE_PGM_RSRC3_GFX90A:TG_SPLIT: 0
	.section	.text._ZN7rocprim17ROCPRIM_400000_NS6detail17trampoline_kernelINS0_14default_configENS1_27scan_by_key_config_selectorIxxEEZZNS1_16scan_by_key_implILNS1_25lookback_scan_determinismE0ELb1ES3_N6thrust23THRUST_200600_302600_NS6detail15normal_iteratorINS9_10device_ptrIxEEEESE_SE_xNS9_4plusIxEE19head_flag_predicatexEE10hipError_tPvRmT2_T3_T4_T5_mT6_T7_P12ihipStream_tbENKUlT_T0_E_clISt17integral_constantIbLb0EESX_IbLb1EEEEDaST_SU_EUlST_E_NS1_11comp_targetILNS1_3genE10ELNS1_11target_archE1201ELNS1_3gpuE5ELNS1_3repE0EEENS1_30default_config_static_selectorELNS0_4arch9wavefront6targetE1EEEvT1_,"axG",@progbits,_ZN7rocprim17ROCPRIM_400000_NS6detail17trampoline_kernelINS0_14default_configENS1_27scan_by_key_config_selectorIxxEEZZNS1_16scan_by_key_implILNS1_25lookback_scan_determinismE0ELb1ES3_N6thrust23THRUST_200600_302600_NS6detail15normal_iteratorINS9_10device_ptrIxEEEESE_SE_xNS9_4plusIxEE19head_flag_predicatexEE10hipError_tPvRmT2_T3_T4_T5_mT6_T7_P12ihipStream_tbENKUlT_T0_E_clISt17integral_constantIbLb0EESX_IbLb1EEEEDaST_SU_EUlST_E_NS1_11comp_targetILNS1_3genE10ELNS1_11target_archE1201ELNS1_3gpuE5ELNS1_3repE0EEENS1_30default_config_static_selectorELNS0_4arch9wavefront6targetE1EEEvT1_,comdat
	.protected	_ZN7rocprim17ROCPRIM_400000_NS6detail17trampoline_kernelINS0_14default_configENS1_27scan_by_key_config_selectorIxxEEZZNS1_16scan_by_key_implILNS1_25lookback_scan_determinismE0ELb1ES3_N6thrust23THRUST_200600_302600_NS6detail15normal_iteratorINS9_10device_ptrIxEEEESE_SE_xNS9_4plusIxEE19head_flag_predicatexEE10hipError_tPvRmT2_T3_T4_T5_mT6_T7_P12ihipStream_tbENKUlT_T0_E_clISt17integral_constantIbLb0EESX_IbLb1EEEEDaST_SU_EUlST_E_NS1_11comp_targetILNS1_3genE10ELNS1_11target_archE1201ELNS1_3gpuE5ELNS1_3repE0EEENS1_30default_config_static_selectorELNS0_4arch9wavefront6targetE1EEEvT1_ ; -- Begin function _ZN7rocprim17ROCPRIM_400000_NS6detail17trampoline_kernelINS0_14default_configENS1_27scan_by_key_config_selectorIxxEEZZNS1_16scan_by_key_implILNS1_25lookback_scan_determinismE0ELb1ES3_N6thrust23THRUST_200600_302600_NS6detail15normal_iteratorINS9_10device_ptrIxEEEESE_SE_xNS9_4plusIxEE19head_flag_predicatexEE10hipError_tPvRmT2_T3_T4_T5_mT6_T7_P12ihipStream_tbENKUlT_T0_E_clISt17integral_constantIbLb0EESX_IbLb1EEEEDaST_SU_EUlST_E_NS1_11comp_targetILNS1_3genE10ELNS1_11target_archE1201ELNS1_3gpuE5ELNS1_3repE0EEENS1_30default_config_static_selectorELNS0_4arch9wavefront6targetE1EEEvT1_
	.globl	_ZN7rocprim17ROCPRIM_400000_NS6detail17trampoline_kernelINS0_14default_configENS1_27scan_by_key_config_selectorIxxEEZZNS1_16scan_by_key_implILNS1_25lookback_scan_determinismE0ELb1ES3_N6thrust23THRUST_200600_302600_NS6detail15normal_iteratorINS9_10device_ptrIxEEEESE_SE_xNS9_4plusIxEE19head_flag_predicatexEE10hipError_tPvRmT2_T3_T4_T5_mT6_T7_P12ihipStream_tbENKUlT_T0_E_clISt17integral_constantIbLb0EESX_IbLb1EEEEDaST_SU_EUlST_E_NS1_11comp_targetILNS1_3genE10ELNS1_11target_archE1201ELNS1_3gpuE5ELNS1_3repE0EEENS1_30default_config_static_selectorELNS0_4arch9wavefront6targetE1EEEvT1_
	.p2align	8
	.type	_ZN7rocprim17ROCPRIM_400000_NS6detail17trampoline_kernelINS0_14default_configENS1_27scan_by_key_config_selectorIxxEEZZNS1_16scan_by_key_implILNS1_25lookback_scan_determinismE0ELb1ES3_N6thrust23THRUST_200600_302600_NS6detail15normal_iteratorINS9_10device_ptrIxEEEESE_SE_xNS9_4plusIxEE19head_flag_predicatexEE10hipError_tPvRmT2_T3_T4_T5_mT6_T7_P12ihipStream_tbENKUlT_T0_E_clISt17integral_constantIbLb0EESX_IbLb1EEEEDaST_SU_EUlST_E_NS1_11comp_targetILNS1_3genE10ELNS1_11target_archE1201ELNS1_3gpuE5ELNS1_3repE0EEENS1_30default_config_static_selectorELNS0_4arch9wavefront6targetE1EEEvT1_,@function
_ZN7rocprim17ROCPRIM_400000_NS6detail17trampoline_kernelINS0_14default_configENS1_27scan_by_key_config_selectorIxxEEZZNS1_16scan_by_key_implILNS1_25lookback_scan_determinismE0ELb1ES3_N6thrust23THRUST_200600_302600_NS6detail15normal_iteratorINS9_10device_ptrIxEEEESE_SE_xNS9_4plusIxEE19head_flag_predicatexEE10hipError_tPvRmT2_T3_T4_T5_mT6_T7_P12ihipStream_tbENKUlT_T0_E_clISt17integral_constantIbLb0EESX_IbLb1EEEEDaST_SU_EUlST_E_NS1_11comp_targetILNS1_3genE10ELNS1_11target_archE1201ELNS1_3gpuE5ELNS1_3repE0EEENS1_30default_config_static_selectorELNS0_4arch9wavefront6targetE1EEEvT1_: ; @_ZN7rocprim17ROCPRIM_400000_NS6detail17trampoline_kernelINS0_14default_configENS1_27scan_by_key_config_selectorIxxEEZZNS1_16scan_by_key_implILNS1_25lookback_scan_determinismE0ELb1ES3_N6thrust23THRUST_200600_302600_NS6detail15normal_iteratorINS9_10device_ptrIxEEEESE_SE_xNS9_4plusIxEE19head_flag_predicatexEE10hipError_tPvRmT2_T3_T4_T5_mT6_T7_P12ihipStream_tbENKUlT_T0_E_clISt17integral_constantIbLb0EESX_IbLb1EEEEDaST_SU_EUlST_E_NS1_11comp_targetILNS1_3genE10ELNS1_11target_archE1201ELNS1_3gpuE5ELNS1_3repE0EEENS1_30default_config_static_selectorELNS0_4arch9wavefront6targetE1EEEvT1_
; %bb.0:
	.section	.rodata,"a",@progbits
	.p2align	6, 0x0
	.amdhsa_kernel _ZN7rocprim17ROCPRIM_400000_NS6detail17trampoline_kernelINS0_14default_configENS1_27scan_by_key_config_selectorIxxEEZZNS1_16scan_by_key_implILNS1_25lookback_scan_determinismE0ELb1ES3_N6thrust23THRUST_200600_302600_NS6detail15normal_iteratorINS9_10device_ptrIxEEEESE_SE_xNS9_4plusIxEE19head_flag_predicatexEE10hipError_tPvRmT2_T3_T4_T5_mT6_T7_P12ihipStream_tbENKUlT_T0_E_clISt17integral_constantIbLb0EESX_IbLb1EEEEDaST_SU_EUlST_E_NS1_11comp_targetILNS1_3genE10ELNS1_11target_archE1201ELNS1_3gpuE5ELNS1_3repE0EEENS1_30default_config_static_selectorELNS0_4arch9wavefront6targetE1EEEvT1_
		.amdhsa_group_segment_fixed_size 0
		.amdhsa_private_segment_fixed_size 0
		.amdhsa_kernarg_size 136
		.amdhsa_user_sgpr_count 2
		.amdhsa_user_sgpr_dispatch_ptr 0
		.amdhsa_user_sgpr_queue_ptr 0
		.amdhsa_user_sgpr_kernarg_segment_ptr 1
		.amdhsa_user_sgpr_dispatch_id 0
		.amdhsa_user_sgpr_kernarg_preload_length 0
		.amdhsa_user_sgpr_kernarg_preload_offset 0
		.amdhsa_user_sgpr_private_segment_size 0
		.amdhsa_uses_dynamic_stack 0
		.amdhsa_enable_private_segment 0
		.amdhsa_system_sgpr_workgroup_id_x 1
		.amdhsa_system_sgpr_workgroup_id_y 0
		.amdhsa_system_sgpr_workgroup_id_z 0
		.amdhsa_system_sgpr_workgroup_info 0
		.amdhsa_system_vgpr_workitem_id 0
		.amdhsa_next_free_vgpr 1
		.amdhsa_next_free_sgpr 0
		.amdhsa_accum_offset 4
		.amdhsa_reserve_vcc 0
		.amdhsa_float_round_mode_32 0
		.amdhsa_float_round_mode_16_64 0
		.amdhsa_float_denorm_mode_32 3
		.amdhsa_float_denorm_mode_16_64 3
		.amdhsa_dx10_clamp 1
		.amdhsa_ieee_mode 1
		.amdhsa_fp16_overflow 0
		.amdhsa_tg_split 0
		.amdhsa_exception_fp_ieee_invalid_op 0
		.amdhsa_exception_fp_denorm_src 0
		.amdhsa_exception_fp_ieee_div_zero 0
		.amdhsa_exception_fp_ieee_overflow 0
		.amdhsa_exception_fp_ieee_underflow 0
		.amdhsa_exception_fp_ieee_inexact 0
		.amdhsa_exception_int_div_zero 0
	.end_amdhsa_kernel
	.section	.text._ZN7rocprim17ROCPRIM_400000_NS6detail17trampoline_kernelINS0_14default_configENS1_27scan_by_key_config_selectorIxxEEZZNS1_16scan_by_key_implILNS1_25lookback_scan_determinismE0ELb1ES3_N6thrust23THRUST_200600_302600_NS6detail15normal_iteratorINS9_10device_ptrIxEEEESE_SE_xNS9_4plusIxEE19head_flag_predicatexEE10hipError_tPvRmT2_T3_T4_T5_mT6_T7_P12ihipStream_tbENKUlT_T0_E_clISt17integral_constantIbLb0EESX_IbLb1EEEEDaST_SU_EUlST_E_NS1_11comp_targetILNS1_3genE10ELNS1_11target_archE1201ELNS1_3gpuE5ELNS1_3repE0EEENS1_30default_config_static_selectorELNS0_4arch9wavefront6targetE1EEEvT1_,"axG",@progbits,_ZN7rocprim17ROCPRIM_400000_NS6detail17trampoline_kernelINS0_14default_configENS1_27scan_by_key_config_selectorIxxEEZZNS1_16scan_by_key_implILNS1_25lookback_scan_determinismE0ELb1ES3_N6thrust23THRUST_200600_302600_NS6detail15normal_iteratorINS9_10device_ptrIxEEEESE_SE_xNS9_4plusIxEE19head_flag_predicatexEE10hipError_tPvRmT2_T3_T4_T5_mT6_T7_P12ihipStream_tbENKUlT_T0_E_clISt17integral_constantIbLb0EESX_IbLb1EEEEDaST_SU_EUlST_E_NS1_11comp_targetILNS1_3genE10ELNS1_11target_archE1201ELNS1_3gpuE5ELNS1_3repE0EEENS1_30default_config_static_selectorELNS0_4arch9wavefront6targetE1EEEvT1_,comdat
.Lfunc_end741:
	.size	_ZN7rocprim17ROCPRIM_400000_NS6detail17trampoline_kernelINS0_14default_configENS1_27scan_by_key_config_selectorIxxEEZZNS1_16scan_by_key_implILNS1_25lookback_scan_determinismE0ELb1ES3_N6thrust23THRUST_200600_302600_NS6detail15normal_iteratorINS9_10device_ptrIxEEEESE_SE_xNS9_4plusIxEE19head_flag_predicatexEE10hipError_tPvRmT2_T3_T4_T5_mT6_T7_P12ihipStream_tbENKUlT_T0_E_clISt17integral_constantIbLb0EESX_IbLb1EEEEDaST_SU_EUlST_E_NS1_11comp_targetILNS1_3genE10ELNS1_11target_archE1201ELNS1_3gpuE5ELNS1_3repE0EEENS1_30default_config_static_selectorELNS0_4arch9wavefront6targetE1EEEvT1_, .Lfunc_end741-_ZN7rocprim17ROCPRIM_400000_NS6detail17trampoline_kernelINS0_14default_configENS1_27scan_by_key_config_selectorIxxEEZZNS1_16scan_by_key_implILNS1_25lookback_scan_determinismE0ELb1ES3_N6thrust23THRUST_200600_302600_NS6detail15normal_iteratorINS9_10device_ptrIxEEEESE_SE_xNS9_4plusIxEE19head_flag_predicatexEE10hipError_tPvRmT2_T3_T4_T5_mT6_T7_P12ihipStream_tbENKUlT_T0_E_clISt17integral_constantIbLb0EESX_IbLb1EEEEDaST_SU_EUlST_E_NS1_11comp_targetILNS1_3genE10ELNS1_11target_archE1201ELNS1_3gpuE5ELNS1_3repE0EEENS1_30default_config_static_selectorELNS0_4arch9wavefront6targetE1EEEvT1_
                                        ; -- End function
	.section	.AMDGPU.csdata,"",@progbits
; Kernel info:
; codeLenInByte = 0
; NumSgprs: 6
; NumVgprs: 0
; NumAgprs: 0
; TotalNumVgprs: 0
; ScratchSize: 0
; MemoryBound: 0
; FloatMode: 240
; IeeeMode: 1
; LDSByteSize: 0 bytes/workgroup (compile time only)
; SGPRBlocks: 0
; VGPRBlocks: 0
; NumSGPRsForWavesPerEU: 6
; NumVGPRsForWavesPerEU: 1
; AccumOffset: 4
; Occupancy: 8
; WaveLimiterHint : 0
; COMPUTE_PGM_RSRC2:SCRATCH_EN: 0
; COMPUTE_PGM_RSRC2:USER_SGPR: 2
; COMPUTE_PGM_RSRC2:TRAP_HANDLER: 0
; COMPUTE_PGM_RSRC2:TGID_X_EN: 1
; COMPUTE_PGM_RSRC2:TGID_Y_EN: 0
; COMPUTE_PGM_RSRC2:TGID_Z_EN: 0
; COMPUTE_PGM_RSRC2:TIDIG_COMP_CNT: 0
; COMPUTE_PGM_RSRC3_GFX90A:ACCUM_OFFSET: 0
; COMPUTE_PGM_RSRC3_GFX90A:TG_SPLIT: 0
	.section	.text._ZN7rocprim17ROCPRIM_400000_NS6detail17trampoline_kernelINS0_14default_configENS1_27scan_by_key_config_selectorIxxEEZZNS1_16scan_by_key_implILNS1_25lookback_scan_determinismE0ELb1ES3_N6thrust23THRUST_200600_302600_NS6detail15normal_iteratorINS9_10device_ptrIxEEEESE_SE_xNS9_4plusIxEE19head_flag_predicatexEE10hipError_tPvRmT2_T3_T4_T5_mT6_T7_P12ihipStream_tbENKUlT_T0_E_clISt17integral_constantIbLb0EESX_IbLb1EEEEDaST_SU_EUlST_E_NS1_11comp_targetILNS1_3genE5ELNS1_11target_archE942ELNS1_3gpuE9ELNS1_3repE0EEENS1_30default_config_static_selectorELNS0_4arch9wavefront6targetE1EEEvT1_,"axG",@progbits,_ZN7rocprim17ROCPRIM_400000_NS6detail17trampoline_kernelINS0_14default_configENS1_27scan_by_key_config_selectorIxxEEZZNS1_16scan_by_key_implILNS1_25lookback_scan_determinismE0ELb1ES3_N6thrust23THRUST_200600_302600_NS6detail15normal_iteratorINS9_10device_ptrIxEEEESE_SE_xNS9_4plusIxEE19head_flag_predicatexEE10hipError_tPvRmT2_T3_T4_T5_mT6_T7_P12ihipStream_tbENKUlT_T0_E_clISt17integral_constantIbLb0EESX_IbLb1EEEEDaST_SU_EUlST_E_NS1_11comp_targetILNS1_3genE5ELNS1_11target_archE942ELNS1_3gpuE9ELNS1_3repE0EEENS1_30default_config_static_selectorELNS0_4arch9wavefront6targetE1EEEvT1_,comdat
	.protected	_ZN7rocprim17ROCPRIM_400000_NS6detail17trampoline_kernelINS0_14default_configENS1_27scan_by_key_config_selectorIxxEEZZNS1_16scan_by_key_implILNS1_25lookback_scan_determinismE0ELb1ES3_N6thrust23THRUST_200600_302600_NS6detail15normal_iteratorINS9_10device_ptrIxEEEESE_SE_xNS9_4plusIxEE19head_flag_predicatexEE10hipError_tPvRmT2_T3_T4_T5_mT6_T7_P12ihipStream_tbENKUlT_T0_E_clISt17integral_constantIbLb0EESX_IbLb1EEEEDaST_SU_EUlST_E_NS1_11comp_targetILNS1_3genE5ELNS1_11target_archE942ELNS1_3gpuE9ELNS1_3repE0EEENS1_30default_config_static_selectorELNS0_4arch9wavefront6targetE1EEEvT1_ ; -- Begin function _ZN7rocprim17ROCPRIM_400000_NS6detail17trampoline_kernelINS0_14default_configENS1_27scan_by_key_config_selectorIxxEEZZNS1_16scan_by_key_implILNS1_25lookback_scan_determinismE0ELb1ES3_N6thrust23THRUST_200600_302600_NS6detail15normal_iteratorINS9_10device_ptrIxEEEESE_SE_xNS9_4plusIxEE19head_flag_predicatexEE10hipError_tPvRmT2_T3_T4_T5_mT6_T7_P12ihipStream_tbENKUlT_T0_E_clISt17integral_constantIbLb0EESX_IbLb1EEEEDaST_SU_EUlST_E_NS1_11comp_targetILNS1_3genE5ELNS1_11target_archE942ELNS1_3gpuE9ELNS1_3repE0EEENS1_30default_config_static_selectorELNS0_4arch9wavefront6targetE1EEEvT1_
	.globl	_ZN7rocprim17ROCPRIM_400000_NS6detail17trampoline_kernelINS0_14default_configENS1_27scan_by_key_config_selectorIxxEEZZNS1_16scan_by_key_implILNS1_25lookback_scan_determinismE0ELb1ES3_N6thrust23THRUST_200600_302600_NS6detail15normal_iteratorINS9_10device_ptrIxEEEESE_SE_xNS9_4plusIxEE19head_flag_predicatexEE10hipError_tPvRmT2_T3_T4_T5_mT6_T7_P12ihipStream_tbENKUlT_T0_E_clISt17integral_constantIbLb0EESX_IbLb1EEEEDaST_SU_EUlST_E_NS1_11comp_targetILNS1_3genE5ELNS1_11target_archE942ELNS1_3gpuE9ELNS1_3repE0EEENS1_30default_config_static_selectorELNS0_4arch9wavefront6targetE1EEEvT1_
	.p2align	8
	.type	_ZN7rocprim17ROCPRIM_400000_NS6detail17trampoline_kernelINS0_14default_configENS1_27scan_by_key_config_selectorIxxEEZZNS1_16scan_by_key_implILNS1_25lookback_scan_determinismE0ELb1ES3_N6thrust23THRUST_200600_302600_NS6detail15normal_iteratorINS9_10device_ptrIxEEEESE_SE_xNS9_4plusIxEE19head_flag_predicatexEE10hipError_tPvRmT2_T3_T4_T5_mT6_T7_P12ihipStream_tbENKUlT_T0_E_clISt17integral_constantIbLb0EESX_IbLb1EEEEDaST_SU_EUlST_E_NS1_11comp_targetILNS1_3genE5ELNS1_11target_archE942ELNS1_3gpuE9ELNS1_3repE0EEENS1_30default_config_static_selectorELNS0_4arch9wavefront6targetE1EEEvT1_,@function
_ZN7rocprim17ROCPRIM_400000_NS6detail17trampoline_kernelINS0_14default_configENS1_27scan_by_key_config_selectorIxxEEZZNS1_16scan_by_key_implILNS1_25lookback_scan_determinismE0ELb1ES3_N6thrust23THRUST_200600_302600_NS6detail15normal_iteratorINS9_10device_ptrIxEEEESE_SE_xNS9_4plusIxEE19head_flag_predicatexEE10hipError_tPvRmT2_T3_T4_T5_mT6_T7_P12ihipStream_tbENKUlT_T0_E_clISt17integral_constantIbLb0EESX_IbLb1EEEEDaST_SU_EUlST_E_NS1_11comp_targetILNS1_3genE5ELNS1_11target_archE942ELNS1_3gpuE9ELNS1_3repE0EEENS1_30default_config_static_selectorELNS0_4arch9wavefront6targetE1EEEvT1_: ; @_ZN7rocprim17ROCPRIM_400000_NS6detail17trampoline_kernelINS0_14default_configENS1_27scan_by_key_config_selectorIxxEEZZNS1_16scan_by_key_implILNS1_25lookback_scan_determinismE0ELb1ES3_N6thrust23THRUST_200600_302600_NS6detail15normal_iteratorINS9_10device_ptrIxEEEESE_SE_xNS9_4plusIxEE19head_flag_predicatexEE10hipError_tPvRmT2_T3_T4_T5_mT6_T7_P12ihipStream_tbENKUlT_T0_E_clISt17integral_constantIbLb0EESX_IbLb1EEEEDaST_SU_EUlST_E_NS1_11comp_targetILNS1_3genE5ELNS1_11target_archE942ELNS1_3gpuE9ELNS1_3repE0EEENS1_30default_config_static_selectorELNS0_4arch9wavefront6targetE1EEEvT1_
; %bb.0:
	s_load_dwordx8 s[44:51], s[0:1], 0x0
	s_load_dwordx2 s[56:57], s[0:1], 0x20
	s_load_dwordx8 s[36:43], s[0:1], 0x30
	s_load_dwordx2 s[58:59], s[0:1], 0x50
	v_cmp_eq_u32_e64 s[30:31], 0, v0
	s_and_saveexec_b64 s[2:3], s[30:31]
	s_cbranch_execz .LBB742_4
; %bb.1:
	s_mov_b64 s[6:7], exec
	v_mbcnt_lo_u32_b32 v1, s6, 0
	v_mbcnt_hi_u32_b32 v1, s7, v1
	v_cmp_eq_u32_e32 vcc, 0, v1
                                        ; implicit-def: $vgpr2
	s_and_saveexec_b64 s[4:5], vcc
	s_cbranch_execz .LBB742_3
; %bb.2:
	s_load_dwordx2 s[8:9], s[0:1], 0x80
	s_bcnt1_i32_b64 s6, s[6:7]
	v_mov_b32_e32 v2, 0
	v_mov_b32_e32 v3, s6
	s_waitcnt lgkmcnt(0)
	global_atomic_add v2, v2, v3, s[8:9] sc0
.LBB742_3:
	s_or_b64 exec, exec, s[4:5]
	s_waitcnt vmcnt(0)
	v_readfirstlane_b32 s4, v2
	v_mov_b32_e32 v2, 0
	s_nop 0
	v_add_u32_e32 v1, s4, v1
	ds_write_b32 v2, v1
.LBB742_4:
	s_or_b64 exec, exec, s[2:3]
	s_load_dword s2, s[0:1], 0x58
	s_load_dwordx4 s[52:55], s[0:1], 0x60
	v_mov_b32_e32 v3, 0
	s_waitcnt lgkmcnt(0)
	s_lshl_b64 s[34:35], s[46:47], 3
	s_barrier
	ds_read_b32 v2, v3
	s_add_u32 s0, s44, s34
	s_addc_u32 s1, s45, s35
	s_add_u32 s4, s48, s34
	s_mul_i32 s3, s59, s2
	s_mul_hi_u32 s6, s58, s2
	s_addc_u32 s5, s49, s35
	s_add_i32 s3, s6, s3
	s_movk_i32 s6, 0xe00
	s_waitcnt lgkmcnt(0)
	v_mul_lo_u32 v4, v2, s6
	v_mov_b32_e32 v5, v3
	v_lshlrev_b64 v[52:53], 3, v[4:5]
	s_mul_i32 s2, s58, s2
	v_lshl_add_u64 v[60:61], s[4:5], 0, v[52:53]
	s_add_u32 s4, s52, -1
	v_readfirstlane_b32 s43, v2
	v_lshl_add_u64 v[2:3], s[2:3], 0, v[2:3]
	s_addc_u32 s5, s53, -1
	v_cmp_le_u64_e64 s[2:3], s[4:5], v[2:3]
	v_lshl_add_u64 v[62:63], s[0:1], 0, v[52:53]
	s_mov_b64 s[0:1], -1
	s_and_b64 vcc, exec, s[2:3]
	s_mul_i32 s33, s4, 0xfffff200
	s_barrier
	s_barrier
	s_cbranch_vccz .LBB742_80
; %bb.5:
	flat_load_dwordx2 v[2:3], v[62:63]
	s_add_i32 s48, s33, s42
	v_cmp_gt_u32_e32 vcc, s48, v0
	s_waitcnt vmcnt(0) lgkmcnt(0)
	v_mov_b64_e32 v[4:5], v[2:3]
	s_and_saveexec_b64 s[0:1], vcc
	s_cbranch_execz .LBB742_7
; %bb.6:
	v_lshlrev_b32_e32 v4, 3, v0
	v_mov_b32_e32 v5, 0
	v_lshl_add_u64 v[4:5], v[62:63], 0, v[4:5]
	flat_load_dwordx2 v[4:5], v[4:5]
.LBB742_7:
	s_or_b64 exec, exec, s[0:1]
	v_or_b32_e32 v1, 0x100, v0
	v_cmp_gt_u32_e64 s[4:5], s48, v1
	v_mov_b64_e32 v[6:7], v[2:3]
	s_and_saveexec_b64 s[0:1], s[4:5]
	s_cbranch_execz .LBB742_9
; %bb.8:
	v_lshlrev_b32_e32 v6, 3, v0
	v_mov_b32_e32 v7, 0
	v_lshl_add_u64 v[6:7], v[62:63], 0, v[6:7]
	flat_load_dwordx2 v[6:7], v[6:7] offset:2048
.LBB742_9:
	s_or_b64 exec, exec, s[0:1]
	v_or_b32_e32 v1, 0x200, v0
	v_cmp_gt_u32_e64 s[6:7], s48, v1
	v_lshlrev_b32_e32 v30, 3, v1
	v_mov_b64_e32 v[8:9], v[2:3]
	s_and_saveexec_b64 s[0:1], s[6:7]
	s_cbranch_execz .LBB742_11
; %bb.10:
	v_mov_b32_e32 v31, 0
	v_lshl_add_u64 v[8:9], v[62:63], 0, v[30:31]
	flat_load_dwordx2 v[8:9], v[8:9]
.LBB742_11:
	s_or_b64 exec, exec, s[0:1]
	v_or_b32_e32 v1, 0x300, v0
	v_cmp_gt_u32_e64 s[8:9], s48, v1
	v_lshlrev_b32_e32 v32, 3, v1
	v_mov_b64_e32 v[10:11], v[2:3]
	s_and_saveexec_b64 s[0:1], s[8:9]
	s_cbranch_execz .LBB742_13
; %bb.12:
	v_mov_b32_e32 v33, 0
	v_lshl_add_u64 v[10:11], v[62:63], 0, v[32:33]
	flat_load_dwordx2 v[10:11], v[10:11]
.LBB742_13:
	;; [unrolled: 12-line block ×11, first 2 shown]
	s_or_b64 exec, exec, s[0:1]
	v_or_b32_e32 v1, 0xd00, v0
	v_cmp_gt_u32_e64 s[28:29], s48, v1
	v_lshlrev_b32_e32 v54, 3, v1
	s_and_saveexec_b64 s[0:1], s[28:29]
	s_cbranch_execz .LBB742_33
; %bb.32:
	v_mov_b32_e32 v55, 0
	v_lshl_add_u64 v[2:3], v[62:63], 0, v[54:55]
	flat_load_dwordx2 v[2:3], v[2:3]
.LBB742_33:
	s_or_b64 exec, exec, s[0:1]
	v_lshlrev_b32_e32 v56, 3, v0
	s_waitcnt vmcnt(0) lgkmcnt(0)
	ds_write2st64_b64 v56, v[4:5], v[6:7] offset1:4
	ds_write2st64_b64 v56, v[8:9], v[10:11] offset0:8 offset1:12
	ds_write2st64_b64 v56, v[12:13], v[14:15] offset0:16 offset1:20
	;; [unrolled: 1-line block ×6, first 2 shown]
	s_waitcnt lgkmcnt(0)
	s_barrier
	flat_load_dwordx2 v[58:59], v[62:63]
	s_movk_i32 s0, 0x68
	v_mad_u32_u24 v76, v0, s0, v56
	s_movk_i32 s0, 0xff98
	v_mad_i32_i24 v1, v0, s0, v76
	s_movk_i32 s0, 0xff
	v_cmp_ne_u32_e64 s[0:1], s0, v0
	ds_read_b128 v[26:29], v76
	ds_read_b128 v[22:25], v76 offset:16
	ds_read_b128 v[18:21], v76 offset:32
	;; [unrolled: 1-line block ×6, first 2 shown]
	s_waitcnt lgkmcnt(0)
	ds_write_b64 v1, v[26:27] offset:30720
	s_waitcnt lgkmcnt(0)
	s_barrier
	s_and_saveexec_b64 s[44:45], s[0:1]
	s_cbranch_execz .LBB742_35
; %bb.34:
	s_waitcnt vmcnt(0)
	ds_read_b64 v[58:59], v56 offset:30728
.LBB742_35:
	s_or_b64 exec, exec, s[44:45]
	v_mov_b32_e32 v57, 0
	s_waitcnt lgkmcnt(0)
	s_barrier
	s_waitcnt lgkmcnt(0)
                                        ; implicit-def: $vgpr26_vgpr27
	s_and_saveexec_b64 s[0:1], vcc
	s_cbranch_execz .LBB742_155
; %bb.36:
	v_lshl_add_u64 v[26:27], v[60:61], 0, v[56:57]
	flat_load_dwordx2 v[26:27], v[26:27]
	s_or_b64 exec, exec, s[0:1]
                                        ; implicit-def: $vgpr64_vgpr65
	s_and_saveexec_b64 s[0:1], s[4:5]
	s_cbranch_execnz .LBB742_156
.LBB742_37:
	s_or_b64 exec, exec, s[0:1]
                                        ; implicit-def: $vgpr66_vgpr67
	s_and_saveexec_b64 s[0:1], s[6:7]
	s_cbranch_execz .LBB742_157
.LBB742_38:
	v_mov_b32_e32 v31, 0
	v_lshl_add_u64 v[30:31], v[60:61], 0, v[30:31]
	flat_load_dwordx2 v[66:67], v[30:31]
	s_or_b64 exec, exec, s[0:1]
                                        ; implicit-def: $vgpr30_vgpr31
	s_and_saveexec_b64 s[0:1], s[8:9]
	s_cbranch_execnz .LBB742_158
.LBB742_39:
	s_or_b64 exec, exec, s[0:1]
                                        ; implicit-def: $vgpr32_vgpr33
	s_and_saveexec_b64 s[0:1], s[10:11]
	s_cbranch_execz .LBB742_159
.LBB742_40:
	v_mov_b32_e32 v35, 0
	v_lshl_add_u64 v[32:33], v[60:61], 0, v[34:35]
	flat_load_dwordx2 v[32:33], v[32:33]
	s_or_b64 exec, exec, s[0:1]
                                        ; implicit-def: $vgpr34_vgpr35
	s_and_saveexec_b64 s[0:1], s[12:13]
	s_cbranch_execnz .LBB742_160
.LBB742_41:
	s_or_b64 exec, exec, s[0:1]
                                        ; implicit-def: $vgpr36_vgpr37
	s_and_saveexec_b64 s[0:1], s[14:15]
	s_cbranch_execz .LBB742_161
.LBB742_42:
	v_mov_b32_e32 v39, 0
	v_lshl_add_u64 v[36:37], v[60:61], 0, v[38:39]
	flat_load_dwordx2 v[36:37], v[36:37]
	s_or_b64 exec, exec, s[0:1]
                                        ; implicit-def: $vgpr38_vgpr39
	s_and_saveexec_b64 s[0:1], s[16:17]
	s_cbranch_execnz .LBB742_162
.LBB742_43:
	s_or_b64 exec, exec, s[0:1]
                                        ; implicit-def: $vgpr40_vgpr41
	s_and_saveexec_b64 s[0:1], s[18:19]
	s_cbranch_execz .LBB742_163
.LBB742_44:
	v_mov_b32_e32 v43, 0
	v_lshl_add_u64 v[40:41], v[60:61], 0, v[42:43]
	flat_load_dwordx2 v[40:41], v[40:41]
	s_or_b64 exec, exec, s[0:1]
                                        ; implicit-def: $vgpr42_vgpr43
	s_and_saveexec_b64 s[0:1], s[20:21]
	s_cbranch_execnz .LBB742_164
.LBB742_45:
	s_or_b64 exec, exec, s[0:1]
                                        ; implicit-def: $vgpr44_vgpr45
	s_and_saveexec_b64 s[0:1], s[22:23]
	s_cbranch_execz .LBB742_165
.LBB742_46:
	v_mov_b32_e32 v47, 0
	v_lshl_add_u64 v[44:45], v[60:61], 0, v[46:47]
	flat_load_dwordx2 v[44:45], v[44:45]
	s_or_b64 exec, exec, s[0:1]
                                        ; implicit-def: $vgpr46_vgpr47
	s_and_saveexec_b64 s[0:1], s[24:25]
	s_cbranch_execnz .LBB742_166
.LBB742_47:
	s_or_b64 exec, exec, s[0:1]
                                        ; implicit-def: $vgpr48_vgpr49
	s_and_saveexec_b64 s[0:1], s[26:27]
	s_cbranch_execz .LBB742_49
.LBB742_48:
	v_mov_b32_e32 v51, 0
	v_lshl_add_u64 v[48:49], v[60:61], 0, v[50:51]
	flat_load_dwordx2 v[48:49], v[48:49]
.LBB742_49:
	s_or_b64 exec, exec, s[0:1]
	v_mul_u32_u24_e32 v77, 14, v0
                                        ; implicit-def: $vgpr50_vgpr51
	s_and_saveexec_b64 s[0:1], s[28:29]
	s_cbranch_execz .LBB742_51
; %bb.50:
	v_mov_b32_e32 v55, 0
	v_lshl_add_u64 v[50:51], v[60:61], 0, v[54:55]
	flat_load_dwordx2 v[50:51], v[50:51]
.LBB742_51:
	s_or_b64 exec, exec, s[0:1]
	s_waitcnt vmcnt(0) lgkmcnt(0)
	ds_write2st64_b64 v56, v[26:27], v[64:65] offset1:4
	ds_write2st64_b64 v56, v[66:67], v[30:31] offset0:8 offset1:12
	ds_write2st64_b64 v56, v[32:33], v[34:35] offset0:16 offset1:20
	;; [unrolled: 1-line block ×6, first 2 shown]
	v_mov_b64_e32 v[46:47], 0
	v_cmp_gt_u32_e32 vcc, s48, v77
	s_mov_b64 s[8:9], 0
	s_mov_b32 s52, 0
	s_mov_b64 s[0:1], 0
	v_mov_b32_e32 v66, 0
	v_mov_b64_e32 v[30:31], v[46:47]
	v_mov_b32_e32 v75, 0
	v_mov_b64_e32 v[56:57], v[46:47]
	;; [unrolled: 2-line block ×12, first 2 shown]
	v_mov_b32_e32 v1, 0
	s_waitcnt lgkmcnt(0)
	s_barrier
	s_waitcnt lgkmcnt(0)
                                        ; implicit-def: $sgpr6_sgpr7
                                        ; implicit-def: $vgpr26_vgpr27
	s_and_saveexec_b64 s[4:5], vcc
	s_cbranch_execz .LBB742_79
; %bb.52:
	ds_read_b64 v[26:27], v76
	v_cmp_ne_u64_e32 vcc, 0, v[28:29]
	v_mov_b32_e32 v28, s57
	v_or_b32_e32 v30, 1, v77
	v_cndmask_b32_e64 v1, 0, 1, vcc
	s_waitcnt lgkmcnt(0)
	v_cndmask_b32_e32 v47, v27, v28, vcc
	v_mov_b32_e32 v27, s56
	v_cndmask_b32_e32 v46, v26, v27, vcc
	v_cmp_gt_u32_e32 vcc, s48, v30
	v_mov_b64_e32 v[30:31], 0
	v_mov_b32_e32 v66, 0
	v_mov_b32_e32 v75, 0
	v_mov_b64_e32 v[56:57], v[30:31]
	v_mov_b32_e32 v74, 0
	v_mov_b64_e32 v[32:33], v[30:31]
	;; [unrolled: 2-line block ×11, first 2 shown]
                                        ; implicit-def: $sgpr12_sgpr13
                                        ; implicit-def: $vgpr26_vgpr27
	s_and_saveexec_b64 s[6:7], vcc
	s_cbranch_execz .LBB742_78
; %bb.53:
	ds_read2_b64 v[26:29], v76 offset0:1 offset1:2
	v_cmp_ne_u64_e32 vcc, 0, v[22:23]
	v_mov_b32_e32 v22, s57
	v_add_u32_e32 v30, 2, v77
	v_cndmask_b32_e64 v64, 0, 1, vcc
	s_waitcnt lgkmcnt(0)
	v_cndmask_b32_e32 v49, v27, v22, vcc
	v_mov_b32_e32 v22, s56
	v_cndmask_b32_e32 v48, v26, v22, vcc
	v_cmp_gt_u32_e32 vcc, s48, v30
	v_mov_b64_e32 v[30:31], 0
	s_mov_b64 s[10:11], 0
	v_mov_b32_e32 v66, 0
	v_mov_b32_e32 v75, 0
	v_mov_b64_e32 v[56:57], v[30:31]
	v_mov_b32_e32 v74, 0
	v_mov_b64_e32 v[32:33], v[30:31]
	;; [unrolled: 2-line block ×10, first 2 shown]
                                        ; implicit-def: $sgpr14_sgpr15
                                        ; implicit-def: $vgpr26_vgpr27
	s_and_saveexec_b64 s[8:9], vcc
	s_cbranch_execz .LBB742_77
; %bb.54:
	v_cmp_ne_u64_e32 vcc, 0, v[24:25]
	v_mov_b32_e32 v23, s57
	v_add_u32_e32 v22, 3, v77
	v_cndmask_b32_e32 v51, v29, v23, vcc
	v_mov_b32_e32 v23, s56
	v_mov_b64_e32 v[30:31], 0
	s_mov_b64 s[12:13], 0
	v_cndmask_b32_e64 v65, 0, 1, vcc
	v_cndmask_b32_e32 v50, v28, v23, vcc
	v_cmp_gt_u32_e32 vcc, s48, v22
	v_mov_b32_e32 v66, 0
	v_mov_b32_e32 v75, 0
	v_mov_b64_e32 v[56:57], v[30:31]
	v_mov_b32_e32 v74, 0
	v_mov_b64_e32 v[32:33], v[30:31]
	;; [unrolled: 2-line block ×9, first 2 shown]
                                        ; implicit-def: $sgpr16_sgpr17
                                        ; implicit-def: $vgpr26_vgpr27
	s_and_saveexec_b64 s[10:11], vcc
	s_cbranch_execz .LBB742_76
; %bb.55:
	ds_read2_b64 v[22:25], v76 offset0:3 offset1:4
	v_cmp_ne_u64_e32 vcc, 0, v[18:19]
	v_mov_b32_e32 v18, s57
	v_add_u32_e32 v26, 4, v77
	v_mov_b64_e32 v[30:31], 0
	s_waitcnt lgkmcnt(0)
	v_cndmask_b32_e32 v43, v23, v18, vcc
	v_mov_b32_e32 v18, s56
	s_mov_b64 s[14:15], 0
	v_cndmask_b32_e64 v67, 0, 1, vcc
	v_cndmask_b32_e32 v42, v22, v18, vcc
	v_cmp_gt_u32_e32 vcc, s48, v26
	v_mov_b32_e32 v66, 0
	v_mov_b32_e32 v75, 0
	v_mov_b64_e32 v[56:57], v[30:31]
	v_mov_b32_e32 v74, 0
	v_mov_b64_e32 v[32:33], v[30:31]
	;; [unrolled: 2-line block ×8, first 2 shown]
                                        ; implicit-def: $sgpr18_sgpr19
                                        ; implicit-def: $vgpr26_vgpr27
	s_and_saveexec_b64 s[12:13], vcc
	s_cbranch_execz .LBB742_75
; %bb.56:
	v_cmp_ne_u64_e32 vcc, 0, v[20:21]
	v_mov_b32_e32 v19, s57
	v_add_u32_e32 v18, 5, v77
	v_cndmask_b32_e32 v45, v25, v19, vcc
	v_mov_b32_e32 v19, s56
	v_mov_b64_e32 v[30:31], 0
	s_mov_b64 s[16:17], 0
	v_cndmask_b32_e64 v68, 0, 1, vcc
	v_cndmask_b32_e32 v44, v24, v19, vcc
	v_cmp_gt_u32_e32 vcc, s48, v18
	v_mov_b32_e32 v66, 0
	v_mov_b32_e32 v75, 0
	v_mov_b64_e32 v[56:57], v[30:31]
	v_mov_b32_e32 v74, 0
	v_mov_b64_e32 v[32:33], v[30:31]
	;; [unrolled: 2-line block ×7, first 2 shown]
                                        ; implicit-def: $sgpr20_sgpr21
                                        ; implicit-def: $vgpr26_vgpr27
	s_and_saveexec_b64 s[14:15], vcc
	s_cbranch_execz .LBB742_74
; %bb.57:
	ds_read2_b64 v[18:21], v76 offset0:5 offset1:6
	v_cmp_ne_u64_e32 vcc, 0, v[14:15]
	v_mov_b32_e32 v14, s57
	v_add_u32_e32 v22, 6, v77
	v_mov_b64_e32 v[30:31], 0
	s_waitcnt lgkmcnt(0)
	v_cndmask_b32_e32 v39, v19, v14, vcc
	v_mov_b32_e32 v14, s56
	s_mov_b64 s[18:19], 0
	v_cndmask_b32_e64 v69, 0, 1, vcc
	v_cndmask_b32_e32 v38, v18, v14, vcc
	v_cmp_gt_u32_e32 vcc, s48, v22
	v_mov_b32_e32 v66, 0
	v_mov_b32_e32 v75, 0
	v_mov_b64_e32 v[56:57], v[30:31]
	v_mov_b32_e32 v74, 0
	v_mov_b64_e32 v[32:33], v[30:31]
	;; [unrolled: 2-line block ×6, first 2 shown]
                                        ; implicit-def: $sgpr22_sgpr23
                                        ; implicit-def: $vgpr26_vgpr27
	s_and_saveexec_b64 s[16:17], vcc
	s_cbranch_execz .LBB742_73
; %bb.58:
	v_cmp_ne_u64_e32 vcc, 0, v[16:17]
	v_mov_b32_e32 v15, s57
	v_add_u32_e32 v14, 7, v77
	v_cndmask_b32_e32 v41, v21, v15, vcc
	v_mov_b32_e32 v15, s56
	v_mov_b64_e32 v[30:31], 0
	s_mov_b64 s[20:21], 0
	v_cndmask_b32_e64 v70, 0, 1, vcc
	v_cndmask_b32_e32 v40, v20, v15, vcc
	v_cmp_gt_u32_e32 vcc, s48, v14
	v_mov_b32_e32 v66, 0
	v_mov_b32_e32 v75, 0
	v_mov_b64_e32 v[56:57], v[30:31]
	v_mov_b32_e32 v74, 0
	v_mov_b64_e32 v[32:33], v[30:31]
	;; [unrolled: 2-line block ×5, first 2 shown]
                                        ; implicit-def: $sgpr24_sgpr25
                                        ; implicit-def: $vgpr26_vgpr27
	s_and_saveexec_b64 s[18:19], vcc
	s_cbranch_execz .LBB742_72
; %bb.59:
	ds_read2_b64 v[14:17], v76 offset0:7 offset1:8
	v_cmp_ne_u64_e32 vcc, 0, v[10:11]
	v_mov_b32_e32 v10, s57
	v_add_u32_e32 v18, 8, v77
	v_mov_b64_e32 v[30:31], 0
	s_waitcnt lgkmcnt(0)
	v_cndmask_b32_e32 v35, v15, v10, vcc
	v_mov_b32_e32 v10, s56
	s_mov_b64 s[22:23], 0
	v_cndmask_b32_e64 v71, 0, 1, vcc
	v_cndmask_b32_e32 v34, v14, v10, vcc
	v_cmp_gt_u32_e32 vcc, s48, v18
	v_mov_b32_e32 v66, 0
	v_mov_b32_e32 v75, 0
	v_mov_b64_e32 v[56:57], v[30:31]
	v_mov_b32_e32 v74, 0
	v_mov_b64_e32 v[32:33], v[30:31]
	;; [unrolled: 2-line block ×4, first 2 shown]
                                        ; implicit-def: $sgpr26_sgpr27
                                        ; implicit-def: $vgpr26_vgpr27
	s_and_saveexec_b64 s[20:21], vcc
	s_cbranch_execz .LBB742_71
; %bb.60:
	v_cmp_ne_u64_e32 vcc, 0, v[12:13]
	v_mov_b32_e32 v11, s57
	v_add_u32_e32 v10, 9, v77
	v_cndmask_b32_e32 v37, v17, v11, vcc
	v_mov_b32_e32 v11, s56
	v_mov_b64_e32 v[30:31], 0
	s_mov_b64 s[24:25], 0
	v_cndmask_b32_e64 v72, 0, 1, vcc
	v_cndmask_b32_e32 v36, v16, v11, vcc
	v_cmp_gt_u32_e32 vcc, s48, v10
	v_mov_b32_e32 v66, 0
	v_mov_b32_e32 v75, 0
	v_mov_b64_e32 v[56:57], v[30:31]
	v_mov_b32_e32 v74, 0
	v_mov_b64_e32 v[32:33], v[30:31]
	;; [unrolled: 2-line block ×3, first 2 shown]
                                        ; implicit-def: $sgpr28_sgpr29
                                        ; implicit-def: $vgpr26_vgpr27
	s_and_saveexec_b64 s[22:23], vcc
	s_cbranch_execz .LBB742_70
; %bb.61:
	ds_read2_b64 v[10:13], v76 offset0:9 offset1:10
	v_cmp_ne_u64_e32 vcc, 0, v[6:7]
	v_mov_b32_e32 v6, s57
	v_add_u32_e32 v14, 10, v77
	v_mov_b64_e32 v[30:31], 0
	s_waitcnt lgkmcnt(0)
	v_cndmask_b32_e32 v55, v11, v6, vcc
	v_mov_b32_e32 v6, s56
	s_mov_b64 s[26:27], 0
	v_cndmask_b32_e64 v73, 0, 1, vcc
	v_cndmask_b32_e32 v54, v10, v6, vcc
	v_cmp_gt_u32_e32 vcc, s48, v14
	v_mov_b32_e32 v66, 0
	v_mov_b32_e32 v75, 0
	v_mov_b64_e32 v[56:57], v[30:31]
	v_mov_b32_e32 v74, 0
	v_mov_b64_e32 v[32:33], v[30:31]
                                        ; implicit-def: $sgpr44_sgpr45
                                        ; implicit-def: $vgpr26_vgpr27
	s_and_saveexec_b64 s[24:25], vcc
	s_cbranch_execz .LBB742_69
; %bb.62:
	v_cmp_ne_u64_e32 vcc, 0, v[8:9]
	v_mov_b32_e32 v7, s57
	v_add_u32_e32 v6, 11, v77
	v_cndmask_b32_e32 v33, v13, v7, vcc
	v_mov_b32_e32 v7, s56
	v_mov_b64_e32 v[30:31], 0
	s_mov_b64 s[28:29], 0
	v_cndmask_b32_e64 v74, 0, 1, vcc
	v_cndmask_b32_e32 v32, v12, v7, vcc
	v_cmp_gt_u32_e32 vcc, s48, v6
	v_mov_b32_e32 v66, 0
	v_mov_b32_e32 v75, 0
	v_mov_b64_e32 v[56:57], v[30:31]
                                        ; implicit-def: $sgpr46_sgpr47
                                        ; implicit-def: $vgpr26_vgpr27
	s_and_saveexec_b64 s[26:27], vcc
	s_cbranch_execz .LBB742_68
; %bb.63:
	ds_read2_b64 v[6:9], v76 offset0:11 offset1:12
	v_cmp_ne_u64_e32 vcc, 0, v[2:3]
	v_mov_b32_e32 v2, s57
	v_add_u32_e32 v10, 12, v77
	s_mov_b64 s[44:45], 0
	s_waitcnt lgkmcnt(0)
	v_cndmask_b32_e32 v57, v7, v2, vcc
	v_mov_b32_e32 v2, s56
	v_cndmask_b32_e64 v75, 0, 1, vcc
	v_cndmask_b32_e32 v56, v6, v2, vcc
	v_cmp_gt_u32_e32 vcc, s48, v10
	v_mov_b32_e32 v66, 0
	v_mov_b64_e32 v[30:31], 0
                                        ; implicit-def: $sgpr46_sgpr47
                                        ; implicit-def: $vgpr26_vgpr27
	s_and_saveexec_b64 s[28:29], vcc
	s_cbranch_execz .LBB742_67
; %bb.64:
	v_cmp_ne_u64_e32 vcc, 0, v[4:5]
	v_mov_b32_e32 v3, s57
	v_add_u32_e32 v2, 13, v77
	v_cndmask_b32_e32 v31, v9, v3, vcc
	v_mov_b32_e32 v3, s56
	v_cndmask_b32_e64 v66, 0, 1, vcc
	v_cndmask_b32_e32 v30, v8, v3, vcc
	v_cmp_gt_u32_e32 vcc, s48, v2
                                        ; implicit-def: $sgpr46_sgpr47
                                        ; implicit-def: $vgpr26_vgpr27
	s_and_saveexec_b64 s[48:49], vcc
	s_xor_b64 s[48:49], exec, s[48:49]
	s_cbranch_execz .LBB742_66
; %bb.65:
	ds_read_b64 v[2:3], v76 offset:104
	v_mov_b32_e32 v4, s57
	v_mov_b32_e32 v5, s56
	v_cmp_ne_u64_e32 vcc, 0, v[58:59]
	s_mov_b64 s[44:45], exec
	s_and_b64 s[46:47], vcc, exec
	s_waitcnt lgkmcnt(0)
	v_cndmask_b32_e32 v27, v3, v4, vcc
	v_cndmask_b32_e32 v26, v2, v5, vcc
.LBB742_66:
	s_or_b64 exec, exec, s[48:49]
	s_and_b64 s[46:47], s[46:47], exec
	s_and_b64 s[44:45], s[44:45], exec
.LBB742_67:
	s_or_b64 exec, exec, s[28:29]
	s_and_b64 s[46:47], s[46:47], exec
	s_and_b64 s[28:29], s[44:45], exec
.LBB742_68:
	s_or_b64 exec, exec, s[26:27]
	s_and_b64 s[44:45], s[46:47], exec
	s_and_b64 s[26:27], s[28:29], exec
.LBB742_69:
	s_or_b64 exec, exec, s[24:25]
	s_and_b64 s[28:29], s[44:45], exec
	s_and_b64 s[24:25], s[26:27], exec
.LBB742_70:
	s_or_b64 exec, exec, s[22:23]
	s_and_b64 s[26:27], s[28:29], exec
	s_and_b64 s[22:23], s[24:25], exec
.LBB742_71:
	s_or_b64 exec, exec, s[20:21]
	s_and_b64 s[24:25], s[26:27], exec
	s_and_b64 s[20:21], s[22:23], exec
.LBB742_72:
	s_or_b64 exec, exec, s[18:19]
	s_and_b64 s[22:23], s[24:25], exec
	s_and_b64 s[18:19], s[20:21], exec
.LBB742_73:
	s_or_b64 exec, exec, s[16:17]
	s_and_b64 s[20:21], s[22:23], exec
	s_and_b64 s[16:17], s[18:19], exec
.LBB742_74:
	s_or_b64 exec, exec, s[14:15]
	s_and_b64 s[18:19], s[20:21], exec
	s_and_b64 s[14:15], s[16:17], exec
.LBB742_75:
	s_or_b64 exec, exec, s[12:13]
	s_and_b64 s[16:17], s[18:19], exec
	s_and_b64 s[12:13], s[14:15], exec
.LBB742_76:
	s_or_b64 exec, exec, s[10:11]
	s_and_b64 s[14:15], s[16:17], exec
	s_and_b64 s[10:11], s[12:13], exec
.LBB742_77:
	s_or_b64 exec, exec, s[8:9]
	s_and_b64 s[12:13], s[14:15], exec
	s_and_b64 s[8:9], s[10:11], exec
.LBB742_78:
	s_or_b64 exec, exec, s[6:7]
	s_and_b64 s[6:7], s[12:13], exec
	s_and_b64 s[8:9], s[8:9], exec
.LBB742_79:
	s_or_b64 exec, exec, s[4:5]
	s_mov_b64 s[4:5], 0
	s_and_b64 vcc, exec, s[0:1]
	v_lshlrev_b32_e32 v58, 3, v0
	s_cbranch_vccnz .LBB742_81
	s_branch .LBB742_86
.LBB742_80:
	s_mov_b64 s[8:9], 0
                                        ; implicit-def: $sgpr6_sgpr7
                                        ; implicit-def: $vgpr26_vgpr27
                                        ; implicit-def: $vgpr46_vgpr47
                                        ; implicit-def: $vgpr66
                                        ; implicit-def: $vgpr30_vgpr31
                                        ; implicit-def: $vgpr75
                                        ; implicit-def: $vgpr56_vgpr57
                                        ; implicit-def: $vgpr74
                                        ; implicit-def: $vgpr32_vgpr33
                                        ; implicit-def: $vgpr73
                                        ; implicit-def: $vgpr54_vgpr55
                                        ; implicit-def: $vgpr72
                                        ; implicit-def: $vgpr36_vgpr37
                                        ; implicit-def: $vgpr71
                                        ; implicit-def: $vgpr34_vgpr35
                                        ; implicit-def: $vgpr70
                                        ; implicit-def: $vgpr40_vgpr41
                                        ; implicit-def: $vgpr69
                                        ; implicit-def: $vgpr38_vgpr39
                                        ; implicit-def: $vgpr68
                                        ; implicit-def: $vgpr44_vgpr45
                                        ; implicit-def: $vgpr67
                                        ; implicit-def: $vgpr42_vgpr43
                                        ; implicit-def: $vgpr65
                                        ; implicit-def: $vgpr50_vgpr51
                                        ; implicit-def: $vgpr64
                                        ; implicit-def: $vgpr48_vgpr49
                                        ; implicit-def: $vgpr1
                                        ; implicit-def: $sgpr52
                                        ; implicit-def: $sgpr4_sgpr5
	s_and_b64 vcc, exec, s[0:1]
	v_lshlrev_b32_e32 v58, 3, v0
	s_cbranch_vccz .LBB742_86
.LBB742_81:
	v_mov_b32_e32 v59, 0
	v_lshl_add_u64 v[2:3], v[62:63], 0, v[58:59]
	v_add_co_u32_e32 v4, vcc, 0x1000, v2
	s_movk_i32 s0, 0x68
	s_nop 0
	v_addc_co_u32_e32 v5, vcc, 0, v3, vcc
	flat_load_dwordx2 v[6:7], v[2:3]
	flat_load_dwordx2 v[8:9], v[2:3] offset:2048
	flat_load_dwordx2 v[10:11], v[4:5]
	flat_load_dwordx2 v[12:13], v[4:5] offset:2048
	v_add_co_u32_e32 v4, vcc, 0x2000, v2
	v_mad_u32_u24 v1, v0, s0, v58
	s_nop 0
	v_addc_co_u32_e32 v5, vcc, 0, v3, vcc
	v_add_co_u32_e32 v14, vcc, 0x3000, v2
	s_movk_i32 s0, 0xff98
	s_nop 0
	v_addc_co_u32_e32 v15, vcc, 0, v3, vcc
	flat_load_dwordx2 v[16:17], v[4:5]
	flat_load_dwordx2 v[18:19], v[4:5] offset:2048
	flat_load_dwordx2 v[20:21], v[14:15]
	flat_load_dwordx2 v[22:23], v[14:15] offset:2048
	v_add_co_u32_e32 v4, vcc, 0x4000, v2
	s_movk_i32 s9, 0x1000
	s_nop 0
	v_addc_co_u32_e32 v5, vcc, 0, v3, vcc
	v_add_co_u32_e32 v14, vcc, 0x5000, v2
	s_movk_i32 s8, 0x2000
	s_nop 0
	v_addc_co_u32_e32 v15, vcc, 0, v3, vcc
	v_add_co_u32_e32 v2, vcc, 0x6000, v2
	flat_load_dwordx2 v[24:25], v[4:5]
	flat_load_dwordx2 v[26:27], v[4:5] offset:2048
	flat_load_dwordx2 v[28:29], v[14:15]
	flat_load_dwordx2 v[30:31], v[14:15] offset:2048
	v_addc_co_u32_e32 v3, vcc, 0, v3, vcc
	flat_load_dwordx2 v[4:5], v[2:3]
	flat_load_dwordx2 v[14:15], v[2:3] offset:2048
	v_add_co_u32_e32 v2, vcc, 0x7000, v62
	s_movk_i32 s7, 0x3000
	s_nop 0
	v_addc_co_u32_e32 v3, vcc, 0, v63, vcc
	s_movk_i32 s6, 0x4000
	s_movk_i32 s5, 0x5000
	s_movk_i32 s4, 0x6000
	s_waitcnt vmcnt(0) lgkmcnt(0)
	ds_write2st64_b64 v58, v[6:7], v[8:9] offset1:4
	ds_write2st64_b64 v58, v[10:11], v[12:13] offset0:8 offset1:12
	ds_write2st64_b64 v58, v[16:17], v[18:19] offset0:16 offset1:20
	;; [unrolled: 1-line block ×6, first 2 shown]
	s_waitcnt lgkmcnt(0)
	s_barrier
	flat_load_dwordx2 v[62:63], v[2:3]
	v_mad_i32_i24 v26, v0, s0, v1
	s_movk_i32 s0, 0xff
	v_cmp_ne_u32_e32 vcc, s0, v0
	ds_read_b128 v[44:47], v1
	ds_read_b128 v[22:25], v1 offset:16
	ds_read_b128 v[18:21], v1 offset:32
	;; [unrolled: 1-line block ×6, first 2 shown]
	s_waitcnt lgkmcnt(0)
	ds_write_b64 v26, v[44:45] offset:30720
	s_waitcnt lgkmcnt(0)
	s_barrier
	s_and_saveexec_b64 s[0:1], vcc
	s_cbranch_execz .LBB742_83
; %bb.82:
	s_waitcnt vmcnt(0)
	ds_read_b64 v[62:63], v58 offset:30728
.LBB742_83:
	s_or_b64 exec, exec, s[0:1]
	v_lshl_add_u64 v[26:27], v[60:61], 0, v[58:59]
	v_add_co_u32_e32 v28, vcc, s9, v26
	s_waitcnt lgkmcnt(0)
	s_nop 0
	v_addc_co_u32_e32 v29, vcc, 0, v27, vcc
	s_barrier
	flat_load_dwordx2 v[30:31], v[26:27]
	flat_load_dwordx2 v[32:33], v[26:27] offset:2048
	flat_load_dwordx2 v[34:35], v[28:29]
	flat_load_dwordx2 v[36:37], v[28:29] offset:2048
	v_add_co_u32_e32 v28, vcc, s8, v26
	v_cmp_eq_u64_e64 s[0:1], 0, v[46:47]
	s_nop 0
	v_addc_co_u32_e32 v29, vcc, 0, v27, vcc
	v_add_co_u32_e32 v38, vcc, s7, v26
	s_nop 1
	v_addc_co_u32_e32 v39, vcc, 0, v27, vcc
	flat_load_dwordx2 v[40:41], v[28:29]
	flat_load_dwordx2 v[42:43], v[28:29] offset:2048
	flat_load_dwordx2 v[44:45], v[38:39]
	flat_load_dwordx2 v[48:49], v[38:39] offset:2048
	v_add_co_u32_e32 v28, vcc, s6, v26
	s_nop 1
	v_addc_co_u32_e32 v29, vcc, 0, v27, vcc
	v_add_co_u32_e32 v38, vcc, s5, v26
	s_nop 1
	v_addc_co_u32_e32 v39, vcc, 0, v27, vcc
	v_add_co_u32_e32 v26, vcc, s4, v26
	flat_load_dwordx2 v[50:51], v[28:29]
	flat_load_dwordx2 v[54:55], v[28:29] offset:2048
	flat_load_dwordx2 v[56:57], v[38:39]
	flat_load_dwordx2 v[60:61], v[38:39] offset:2048
	v_addc_co_u32_e32 v27, vcc, 0, v27, vcc
	flat_load_dwordx2 v[28:29], v[26:27]
	flat_load_dwordx2 v[38:39], v[26:27] offset:2048
	v_cmp_ne_u64_e32 vcc, 0, v[46:47]
	v_mov_b64_e32 v[46:47], s[56:57]
	s_waitcnt vmcnt(0) lgkmcnt(0)
	ds_write2st64_b64 v58, v[30:31], v[32:33] offset1:4
	ds_write2st64_b64 v58, v[34:35], v[36:37] offset0:8 offset1:12
	ds_write2st64_b64 v58, v[40:41], v[42:43] offset0:16 offset1:20
	;; [unrolled: 1-line block ×6, first 2 shown]
	s_waitcnt lgkmcnt(0)
	s_barrier
	ds_read2_b64 v[48:51], v1 offset0:1 offset1:2
	ds_read2_b64 v[42:45], v1 offset0:3 offset1:4
	;; [unrolled: 1-line block ×6, first 2 shown]
	ds_read_b64 v[60:61], v1 offset:104
	s_and_saveexec_b64 s[4:5], s[0:1]
	s_cbranch_execz .LBB742_85
; %bb.84:
	ds_read_b64 v[46:47], v1
.LBB742_85:
	s_or_b64 exec, exec, s[4:5]
	v_cmp_ne_u64_e64 s[6:7], 0, v[20:21]
	v_cmp_ne_u64_e64 s[20:21], 0, v[2:3]
	v_mov_b32_e32 v2, s57
	v_mov_b32_e32 v3, s56
	v_cndmask_b32_e64 v1, 0, 1, vcc
	v_cmp_ne_u64_e32 vcc, 0, v[22:23]
	v_cmp_ne_u64_e64 s[0:1], 0, v[24:25]
	v_cmp_ne_u64_e64 s[4:5], 0, v[18:19]
	v_cndmask_b32_e64 v68, 0, 1, s[6:7]
	v_cmp_ne_u64_e64 s[8:9], 0, v[14:15]
	v_cmp_ne_u64_e64 s[10:11], 0, v[16:17]
	;; [unrolled: 1-line block ×7, first 2 shown]
	s_waitcnt lgkmcnt(5)
	v_cndmask_b32_e64 v45, v45, v2, s[6:7]
	v_cndmask_b32_e64 v44, v44, v3, s[6:7]
	v_cmp_ne_u64_e64 s[6:7], 0, v[62:63]
	v_cndmask_b32_e64 v64, 0, 1, vcc
	v_cndmask_b32_e64 v65, 0, 1, s[0:1]
	v_cndmask_b32_e64 v67, 0, 1, s[4:5]
	;; [unrolled: 1-line block ×10, first 2 shown]
	v_cndmask_b32_e32 v49, v49, v2, vcc
	v_cndmask_b32_e32 v48, v48, v3, vcc
	v_cndmask_b32_e64 v51, v51, v2, s[0:1]
	v_cndmask_b32_e64 v50, v50, v3, s[0:1]
	v_cndmask_b32_e64 v43, v43, v2, s[4:5]
	v_cndmask_b32_e64 v42, v42, v3, s[4:5]
	s_waitcnt lgkmcnt(4)
	v_cndmask_b32_e64 v39, v39, v2, s[8:9]
	v_cndmask_b32_e64 v38, v38, v3, s[8:9]
	v_cndmask_b32_e64 v41, v41, v2, s[10:11]
	v_cndmask_b32_e64 v40, v40, v3, s[10:11]
	s_waitcnt lgkmcnt(3)
	;; [unrolled: 5-line block ×5, first 2 shown]
	v_cndmask_b32_e64 v27, v61, v2, s[6:7]
	v_cndmask_b32_e64 v26, v60, v3, s[6:7]
	s_mov_b64 s[8:9], -1
                                        ; implicit-def: $sgpr52
                                        ; implicit-def: $sgpr4_sgpr5
.LBB742_86:
	v_mov_b64_e32 v[28:29], s[4:5]
	v_mov_b32_e32 v59, s52
	s_and_saveexec_b64 s[0:1], s[8:9]
; %bb.87:
	v_cndmask_b32_e64 v59, 0, 1, s[6:7]
	v_mov_b64_e32 v[28:29], v[26:27]
; %bb.88:
	s_or_b64 exec, exec, s[0:1]
	v_or_b32_e32 v2, v59, v66
	s_cmp_lg_u32 s43, 0
	v_or_b32_e32 v77, v2, v75
	v_mbcnt_lo_u32_b32 v76, -1, 0
	s_barrier
	s_cbranch_scc0 .LBB742_167
; %bb.89:
	v_mov_b32_e32 v4, 0
	v_cmp_eq_u16_sdwa s[4:5], v64, v4 src0_sel:BYTE_0 src1_sel:DWORD
	v_cmp_eq_u16_sdwa s[6:7], v65, v4 src0_sel:BYTE_0 src1_sel:DWORD
	;; [unrolled: 1-line block ×3, first 2 shown]
	v_cndmask_b32_e64 v3, 0, v47, s[4:5]
	v_cndmask_b32_e64 v2, 0, v46, s[4:5]
	v_lshl_add_u64 v[2:3], v[2:3], 0, v[48:49]
	v_cndmask_b32_e64 v3, 0, v3, s[6:7]
	v_cndmask_b32_e64 v2, 0, v2, s[6:7]
	v_lshl_add_u64 v[2:3], v[2:3], 0, v[50:51]
	;; [unrolled: 3-line block ×3, first 2 shown]
	v_cmp_eq_u16_sdwa s[10:11], v68, v4 src0_sel:BYTE_0 src1_sel:DWORD
	v_cmp_eq_u16_sdwa s[12:13], v69, v4 src0_sel:BYTE_0 src1_sel:DWORD
	;; [unrolled: 1-line block ×3, first 2 shown]
	v_cndmask_b32_e64 v3, 0, v3, s[10:11]
	v_cndmask_b32_e64 v2, 0, v2, s[10:11]
	v_lshl_add_u64 v[2:3], v[2:3], 0, v[44:45]
	v_cndmask_b32_e64 v3, 0, v3, s[12:13]
	v_cndmask_b32_e64 v2, 0, v2, s[12:13]
	v_lshl_add_u64 v[2:3], v[2:3], 0, v[38:39]
	;; [unrolled: 3-line block ×3, first 2 shown]
	v_cmp_eq_u16_sdwa s[16:17], v71, v4 src0_sel:BYTE_0 src1_sel:DWORD
	v_cmp_eq_u16_sdwa s[18:19], v72, v4 src0_sel:BYTE_0 src1_sel:DWORD
	;; [unrolled: 1-line block ×3, first 2 shown]
	v_cndmask_b32_e64 v3, 0, v3, s[16:17]
	v_cndmask_b32_e64 v2, 0, v2, s[16:17]
	v_lshl_add_u64 v[2:3], v[2:3], 0, v[34:35]
	v_cndmask_b32_e64 v3, 0, v3, s[18:19]
	v_cndmask_b32_e64 v2, 0, v2, s[18:19]
	v_cmp_eq_u16_sdwa s[22:23], v74, v4 src0_sel:BYTE_0 src1_sel:DWORD
	v_cmp_eq_u16_sdwa s[24:25], v75, v4 src0_sel:BYTE_0 src1_sel:DWORD
	;; [unrolled: 1-line block ×3, first 2 shown]
	v_cmp_eq_u16_sdwa vcc, v59, v4 src0_sel:BYTE_0 src1_sel:DWORD
	v_or_b32_e32 v4, v77, v74
	v_lshl_add_u64 v[2:3], v[2:3], 0, v[36:37]
	v_or_b32_e32 v4, v4, v73
	v_cndmask_b32_e64 v3, 0, v3, s[20:21]
	v_cndmask_b32_e64 v2, 0, v2, s[20:21]
	v_or_b32_e32 v4, v4, v72
	v_lshl_add_u64 v[2:3], v[2:3], 0, v[54:55]
	v_or_b32_e32 v4, v4, v71
	v_cndmask_b32_e64 v3, 0, v3, s[22:23]
	v_cndmask_b32_e64 v2, 0, v2, s[22:23]
	;; [unrolled: 5-line block ×4, first 2 shown]
	v_or_b32_e32 v4, v4, v65
	v_lshl_add_u64 v[2:3], v[2:3], 0, v[30:31]
	v_or_b32_e32 v4, v4, v64
	v_cndmask_b32_e32 v3, 0, v3, vcc
	v_cndmask_b32_e32 v2, 0, v2, vcc
	v_or_b32_e32 v4, v4, v1
	v_mbcnt_hi_u32_b32 v9, -1, v76
	v_lshl_add_u64 v[2:3], v[2:3], 0, v[28:29]
	v_and_b32_e32 v8, 1, v4
	v_and_b32_e32 v5, 15, v9
	v_cmp_eq_u32_e32 vcc, 1, v8
	v_mov_b32_dpp v7, v2 row_shr:1 row_mask:0xf bank_mask:0xf
	v_mov_b32_dpp v10, v3 row_shr:1 row_mask:0xf bank_mask:0xf
	;; [unrolled: 1-line block ×3, first 2 shown]
	v_cmp_ne_u32_e64 s[0:1], 0, v5
	v_mov_b32_e32 v4, v8
	s_and_saveexec_b64 s[28:29], s[0:1]
; %bb.90:
	v_and_b32_e32 v4, 1, v6
	v_cndmask_b32_e64 v11, v10, 0, vcc
	v_cndmask_b32_e64 v10, v7, 0, vcc
	v_or_b32_e32 v8, v4, v8
	v_lshl_add_u64 v[2:3], v[10:11], 0, v[2:3]
	v_and_b32_e32 v4, 0xffff, v8
; %bb.91:
	s_or_b64 exec, exec, s[28:29]
	v_mov_b32_dpp v7, v2 row_shr:2 row_mask:0xf bank_mask:0xf
	v_mov_b32_dpp v10, v3 row_shr:2 row_mask:0xf bank_mask:0xf
	;; [unrolled: 1-line block ×3, first 2 shown]
	v_cmp_lt_u32_e32 vcc, 1, v5
	s_and_saveexec_b64 s[28:29], vcc
; %bb.92:
	v_cmp_eq_u16_e32 vcc, 0, v8
	v_and_b32_e32 v4, 1, v8
	s_nop 0
	v_cndmask_b32_e32 v11, 0, v10, vcc
	v_cndmask_b32_e32 v10, 0, v7, vcc
	v_cmp_eq_u32_e32 vcc, 1, v4
	v_and_b32_e32 v4, 1, v6
	v_cmp_eq_u32_e64 s[0:1], 1, v4
	s_or_b64 s[0:1], vcc, s[0:1]
	v_lshl_add_u64 v[2:3], v[10:11], 0, v[2:3]
	v_cndmask_b32_e64 v8, 0, 1, s[0:1]
	v_cndmask_b32_e64 v4, 0, 1, s[0:1]
; %bb.93:
	s_or_b64 exec, exec, s[28:29]
	v_mov_b32_dpp v7, v2 row_shr:4 row_mask:0xf bank_mask:0xf
	v_mov_b32_dpp v10, v3 row_shr:4 row_mask:0xf bank_mask:0xf
	;; [unrolled: 1-line block ×3, first 2 shown]
	v_cmp_lt_u32_e32 vcc, 3, v5
	s_and_saveexec_b64 s[28:29], vcc
; %bb.94:
	v_cmp_eq_u16_e32 vcc, 0, v8
	v_and_b32_e32 v4, 1, v8
	s_nop 0
	v_cndmask_b32_e32 v11, 0, v10, vcc
	v_cndmask_b32_e32 v10, 0, v7, vcc
	v_cmp_eq_u32_e32 vcc, 1, v4
	v_and_b32_e32 v4, 1, v6
	v_cmp_eq_u32_e64 s[0:1], 1, v4
	s_or_b64 s[0:1], vcc, s[0:1]
	v_lshl_add_u64 v[2:3], v[10:11], 0, v[2:3]
	v_cndmask_b32_e64 v8, 0, 1, s[0:1]
	v_cndmask_b32_e64 v4, 0, 1, s[0:1]
; %bb.95:
	s_or_b64 exec, exec, s[28:29]
	v_mov_b32_dpp v7, v2 row_shr:8 row_mask:0xf bank_mask:0xf
	v_mov_b32_dpp v10, v3 row_shr:8 row_mask:0xf bank_mask:0xf
	;; [unrolled: 1-line block ×3, first 2 shown]
	v_cmp_lt_u32_e32 vcc, 7, v5
	s_and_saveexec_b64 s[28:29], vcc
; %bb.96:
	v_cmp_eq_u16_e32 vcc, 0, v8
	s_nop 1
	v_cndmask_b32_e32 v5, 0, v10, vcc
	v_cndmask_b32_e32 v4, 0, v7, vcc
	v_lshl_add_u64 v[2:3], v[4:5], 0, v[2:3]
	v_and_b32_e32 v4, 1, v8
	v_cmp_eq_u32_e32 vcc, 1, v4
	v_and_b32_e32 v4, 1, v6
	v_cmp_eq_u32_e64 s[0:1], 1, v4
	s_or_b64 s[0:1], vcc, s[0:1]
	s_nop 0
	v_cndmask_b32_e64 v8, 0, 1, s[0:1]
	v_cndmask_b32_e64 v4, 0, 1, s[0:1]
; %bb.97:
	s_or_b64 exec, exec, s[28:29]
	v_and_b32_e32 v10, 16, v9
	v_mov_b32_dpp v6, v2 row_bcast:15 row_mask:0xf bank_mask:0xf
	v_mov_b32_dpp v7, v3 row_bcast:15 row_mask:0xf bank_mask:0xf
	;; [unrolled: 1-line block ×3, first 2 shown]
	v_cmp_ne_u32_e32 vcc, 0, v10
	s_and_saveexec_b64 s[28:29], vcc
; %bb.98:
	v_cmp_eq_u16_e32 vcc, 0, v8
	v_and_b32_e32 v4, 1, v8
	s_nop 0
	v_cndmask_b32_e32 v7, 0, v7, vcc
	v_cndmask_b32_e32 v6, 0, v6, vcc
	v_cmp_eq_u32_e32 vcc, 1, v4
	v_and_b32_e32 v4, 1, v5
	v_cmp_eq_u32_e64 s[0:1], 1, v4
	s_or_b64 s[0:1], vcc, s[0:1]
	v_lshl_add_u64 v[2:3], v[6:7], 0, v[2:3]
	v_cndmask_b32_e64 v8, 0, 1, s[0:1]
	v_cndmask_b32_e64 v4, 0, 1, s[0:1]
; %bb.99:
	s_or_b64 exec, exec, s[28:29]
	v_mov_b32_dpp v5, v2 row_bcast:31 row_mask:0xf bank_mask:0xf
	v_mov_b32_dpp v6, v3 row_bcast:31 row_mask:0xf bank_mask:0xf
	;; [unrolled: 1-line block ×3, first 2 shown]
	v_cmp_lt_u32_e32 vcc, 31, v9
	s_and_saveexec_b64 s[28:29], vcc
; %bb.100:
	v_cmp_eq_u16_e32 vcc, 0, v8
	v_and_b32_e32 v4, 1, v4
	v_cmp_eq_u32_e64 s[0:1], 1, v4
	v_cndmask_b32_e32 v7, 0, v6, vcc
	v_cndmask_b32_e32 v6, 0, v5, vcc
	v_and_b32_e32 v5, 1, v8
	v_cmp_eq_u32_e32 vcc, 1, v5
	s_or_b64 s[0:1], vcc, s[0:1]
	v_lshl_add_u64 v[2:3], v[6:7], 0, v[2:3]
	v_cndmask_b32_e64 v8, 0, 1, s[0:1]
; %bb.101:
	s_or_b64 exec, exec, s[28:29]
	v_or_b32_e32 v4, 63, v0
	v_lshrrev_b32_e32 v10, 6, v0
	v_cmp_eq_u32_e32 vcc, v4, v0
	s_and_saveexec_b64 s[0:1], vcc
	s_cbranch_execz .LBB742_103
; %bb.102:
	v_lshlrev_b32_e32 v4, 4, v10
	ds_write_b64 v4, v[2:3]
	ds_write_b8 v4, v8 offset:8
.LBB742_103:
	s_or_b64 exec, exec, s[0:1]
	v_cmp_gt_u32_e32 vcc, 4, v0
	s_waitcnt lgkmcnt(0)
	s_barrier
	s_and_saveexec_b64 s[28:29], vcc
	s_cbranch_execz .LBB742_109
; %bb.104:
	v_lshlrev_b32_e32 v6, 4, v0
	ds_read_b64 v[4:5], v6
	ds_read_b32 v7, v6 offset:8
	v_and_b32_e32 v11, 3, v9
	v_cmp_ne_u32_e32 vcc, 0, v11
	s_waitcnt lgkmcnt(1)
	v_mov_b32_dpp v15, v4 row_shr:1 row_mask:0xf bank_mask:0xf
	v_mov_b32_dpp v16, v5 row_shr:1 row_mask:0xf bank_mask:0xf
	s_waitcnt lgkmcnt(0)
	v_mov_b32_dpp v14, v7 row_shr:1 row_mask:0xf bank_mask:0xf
	v_mov_b32_e32 v12, v7
	v_mov_b32_e32 v13, v7
	s_and_saveexec_b64 s[0:1], vcc
; %bb.105:
	v_mov_b32_e32 v12, 0
	v_cmp_eq_u16_sdwa vcc, v7, v12 src0_sel:BYTE_0 src1_sel:DWORD
	s_movk_i32 s44, 0xff00
	s_nop 0
	v_cndmask_b32_e32 v13, 0, v16, vcc
	v_cndmask_b32_e32 v12, 0, v15, vcc
	v_lshl_add_u64 v[4:5], v[12:13], 0, v[4:5]
	v_or_b32_e32 v13, v14, v7
	v_and_b32_e32 v12, 1, v13
	v_and_b32_e32 v13, 1, v13
	v_and_or_b32 v7, v7, s44, v13
; %bb.106:
	s_or_b64 exec, exec, s[0:1]
	v_mov_b32_dpp v14, v4 row_shr:2 row_mask:0xf bank_mask:0xf
	v_mov_b32_dpp v15, v5 row_shr:2 row_mask:0xf bank_mask:0xf
	;; [unrolled: 1-line block ×3, first 2 shown]
	v_cmp_lt_u32_e32 vcc, 1, v11
	s_and_saveexec_b64 s[44:45], vcc
; %bb.107:
	v_mov_b32_e32 v11, 0
	v_cmp_eq_u16_sdwa vcc, v13, v11 src0_sel:BYTE_0 src1_sel:DWORD
	v_and_b32_e32 v11, 1, v13
	v_and_b32_e32 v7, 1, v7
	v_cndmask_b32_e32 v15, 0, v15, vcc
	v_cndmask_b32_e32 v14, 0, v14, vcc
	v_cmp_eq_u32_e32 vcc, 1, v11
	v_cmp_eq_u32_e64 s[0:1], 1, v7
	s_or_b64 s[0:1], vcc, s[0:1]
	v_lshl_add_u64 v[4:5], v[14:15], 0, v[4:5]
	v_cndmask_b32_e64 v12, 0, 1, s[0:1]
; %bb.108:
	s_or_b64 exec, exec, s[44:45]
	ds_write_b64 v6, v[4:5]
	ds_write_b8 v6, v12 offset:8
.LBB742_109:
	s_or_b64 exec, exec, s[28:29]
	v_cmp_gt_u32_e32 vcc, 64, v0
	v_cmp_lt_u32_e64 s[0:1], 63, v0
	v_mov_b32_e32 v16, 0
	v_mov_b64_e32 v[6:7], 0
	s_waitcnt lgkmcnt(0)
	s_barrier
	s_and_saveexec_b64 s[28:29], s[0:1]
	s_cbranch_execz .LBB742_111
; %bb.110:
	v_lshl_add_u32 v4, v10, 4, -16
	ds_read_b64 v[6:7], v4
	ds_read_u8 v16, v4 offset:8
	v_cmp_eq_u16_e64 s[0:1], 0, v8
	s_waitcnt lgkmcnt(0)
	v_or_b32_e32 v8, v8, v16
	v_cndmask_b32_e64 v5, 0, v7, s[0:1]
	v_cndmask_b32_e64 v4, 0, v6, s[0:1]
	v_lshl_add_u64 v[2:3], v[2:3], 0, v[4:5]
	v_and_b32_e32 v8, 1, v8
.LBB742_111:
	s_or_b64 exec, exec, s[28:29]
	v_add_u32_e32 v4, -1, v9
	v_and_b32_e32 v5, 64, v9
	v_cmp_lt_i32_e64 s[0:1], v4, v5
	v_cmp_eq_u32_e64 s[28:29], 0, v9
	s_nop 0
	v_cndmask_b32_e64 v4, v4, v9, s[0:1]
	v_lshlrev_b32_e32 v4, 2, v4
	ds_bpermute_b32 v17, v4, v2
	v_and_b32_e32 v2, 0xffff, v8
	ds_bpermute_b32 v18, v4, v3
	ds_bpermute_b32 v19, v4, v2
	s_and_saveexec_b64 s[44:45], vcc
	s_cbranch_execz .LBB742_154
; %bb.112:
	v_mov_b32_e32 v11, 0
	ds_read2_b64 v[2:5], v11 offset0:6 offset1:7
	s_and_saveexec_b64 s[0:1], s[28:29]
	s_cbranch_execz .LBB742_114
; %bb.113:
	s_add_i32 s46, s43, 64
	s_mov_b32 s47, 0
	s_lshl_b64 s[48:49], s[46:47], 4
	s_add_u32 s48, s36, s48
	s_addc_u32 s49, s37, s49
	s_waitcnt lgkmcnt(0)
	global_store_dword v11, v2, s[48:49] sc1
	global_store_dword v11, v3, s[48:49] offset:4 sc1
	global_store_dword v11, v4, s[48:49] offset:8 sc1
	;; [unrolled: 1-line block ×3, first 2 shown]
	v_mov_b32_e32 v5, s46
	v_mov_b32_e32 v8, 1
	s_waitcnt vmcnt(0)
	global_store_byte v5, v8, s[40:41] sc1
.LBB742_114:
	s_or_b64 exec, exec, s[0:1]
	v_xad_u32 v8, v9, -1, s43
	v_add_u32_e32 v10, 64, v8
	s_waitcnt lgkmcnt(0)
	global_load_ubyte v5, v10, s[40:41] sc1
	s_waitcnt vmcnt(0)
	v_cmp_eq_u16_e32 vcc, 0, v5
	s_and_saveexec_b64 s[0:1], vcc
	s_cbranch_execz .LBB742_118
; %bb.115:
	v_lshl_add_u64 v[12:13], s[40:41], 0, v[10:11]
	s_mov_b64 s[46:47], 0
.LBB742_116:                            ; =>This Inner Loop Header: Depth=1
	global_load_ubyte v5, v[12:13], off sc1
	s_waitcnt vmcnt(0)
	v_cmp_ne_u16_e32 vcc, 0, v5
	s_or_b64 s[46:47], vcc, s[46:47]
	s_andn2_b64 exec, exec, s[46:47]
	s_cbranch_execnz .LBB742_116
; %bb.117:
	s_or_b64 exec, exec, s[46:47]
.LBB742_118:
	s_or_b64 exec, exec, s[0:1]
	v_mov_b32_e32 v12, s39
	v_mov_b32_e32 v13, s37
	v_cmp_eq_u16_e32 vcc, 1, v5
	v_mov_b32_e32 v14, s36
	s_waitcnt vmcnt(0)
	v_cndmask_b32_e32 v13, v12, v13, vcc
	v_mov_b32_e32 v12, s38
	v_cndmask_b32_e32 v12, v12, v14, vcc
	v_lshl_add_u64 v[10:11], v[10:11], 4, v[12:13]
	global_load_dword v14, v[10:11], off sc1
	global_load_dword v15, v[10:11], off offset:4 sc1
	global_load_dword v80, v[10:11], off offset:8 sc1
	s_nop 0
	global_load_dword v10, v[10:11], off offset:12 sc1
	v_cmp_eq_u16_e32 vcc, 2, v5
	s_waitcnt vmcnt(0)
	v_lshlrev_b64 v[10:11], v9, -1
	v_and_b32_e32 v20, 63, v9
	v_and_b32_e32 v12, vcc_hi, v11
	v_and_b32_e32 v25, vcc_lo, v10
	v_cmp_ne_u32_e32 vcc, 63, v20
	v_or_b32_e32 v12, 0x80000000, v12
	v_ffbl_b32_e32 v12, v12
	v_addc_co_u32_e32 v13, vcc, 0, v9, vcc
	v_lshlrev_b32_e32 v21, 2, v13
	v_add_u32_e32 v12, 32, v12
	v_ffbl_b32_e32 v25, v25
	v_min_u32_e32 v12, v25, v12
	v_cmp_lt_u32_e32 vcc, v20, v12
	ds_bpermute_b32 v23, v21, v14
	ds_bpermute_b32 v24, v21, v15
	v_and_b32_e32 v13, 0xff, v80
	ds_bpermute_b32 v22, v21, v13
	s_and_saveexec_b64 s[0:1], vcc
	s_cbranch_execz .LBB742_120
; %bb.119:
	v_mov_b32_e32 v13, 0
	v_cmp_eq_u16_sdwa vcc, v80, v13 src0_sel:BYTE_0 src1_sel:DWORD
	s_waitcnt lgkmcnt(0)
	v_or_b32_e32 v13, v22, v80
	v_and_b32_e32 v80, 1, v13
	v_cndmask_b32_e32 v25, 0, v24, vcc
	v_cndmask_b32_e32 v24, 0, v23, vcc
	v_lshl_add_u64 v[14:15], v[24:25], 0, v[14:15]
	v_and_b32_e32 v13, 1, v13
.LBB742_120:
	s_or_b64 exec, exec, s[0:1]
	v_cmp_gt_u32_e32 vcc, 62, v20
	s_waitcnt lgkmcnt(2)
	v_add_u32_e32 v23, 2, v20
	s_waitcnt lgkmcnt(0)
	v_cndmask_b32_e64 v22, 0, 1, vcc
	v_lshlrev_b32_e32 v22, 1, v22
	v_add_lshl_u32 v22, v22, v9, 2
	ds_bpermute_b32 v25, v22, v14
	ds_bpermute_b32 v26, v22, v15
	ds_bpermute_b32 v24, v22, v13
	v_cmp_le_u32_e32 vcc, v23, v12
	s_and_saveexec_b64 s[46:47], vcc
	s_cbranch_execz .LBB742_122
; %bb.121:
	v_mov_b32_e32 v13, 0
	v_cmp_eq_u16_sdwa vcc, v80, v13 src0_sel:BYTE_0 src1_sel:DWORD
	v_and_b32_e32 v13, 1, v80
	s_waitcnt lgkmcnt(1)
	v_cndmask_b32_e32 v27, 0, v26, vcc
	v_cndmask_b32_e32 v26, 0, v25, vcc
	v_cmp_eq_u32_e32 vcc, 1, v13
	s_waitcnt lgkmcnt(0)
	v_and_b32_e32 v13, 1, v24
	v_cmp_eq_u32_e64 s[0:1], 1, v13
	s_or_b64 s[0:1], vcc, s[0:1]
	v_lshl_add_u64 v[14:15], v[26:27], 0, v[14:15]
	v_cndmask_b32_e64 v80, 0, 1, s[0:1]
	v_cndmask_b32_e64 v13, 0, 1, s[0:1]
.LBB742_122:
	s_or_b64 exec, exec, s[46:47]
	v_cmp_gt_u32_e32 vcc, 60, v20
	s_waitcnt lgkmcnt(2)
	v_add_u32_e32 v25, 4, v20
	s_waitcnt lgkmcnt(0)
	v_cndmask_b32_e64 v24, 0, 1, vcc
	v_lshlrev_b32_e32 v24, 2, v24
	v_add_lshl_u32 v24, v24, v9, 2
	ds_bpermute_b32 v27, v24, v14
	ds_bpermute_b32 v60, v24, v15
	ds_bpermute_b32 v26, v24, v13
	v_cmp_le_u32_e32 vcc, v25, v12
	s_and_saveexec_b64 s[46:47], vcc
	s_cbranch_execz .LBB742_124
; %bb.123:
	v_mov_b32_e32 v13, 0
	v_cmp_eq_u16_sdwa vcc, v80, v13 src0_sel:BYTE_0 src1_sel:DWORD
	v_and_b32_e32 v13, 1, v80
	s_waitcnt lgkmcnt(1)
	v_cndmask_b32_e32 v61, 0, v60, vcc
	v_cndmask_b32_e32 v60, 0, v27, vcc
	v_cmp_eq_u32_e32 vcc, 1, v13
	s_waitcnt lgkmcnt(0)
	v_and_b32_e32 v13, 1, v26
	v_cmp_eq_u32_e64 s[0:1], 1, v13
	s_or_b64 s[0:1], vcc, s[0:1]
	v_lshl_add_u64 v[14:15], v[60:61], 0, v[14:15]
	v_cndmask_b32_e64 v80, 0, 1, s[0:1]
	v_cndmask_b32_e64 v13, 0, 1, s[0:1]
.LBB742_124:
	;; [unrolled: 30-line block ×4, first 2 shown]
	s_or_b64 exec, exec, s[46:47]
	v_cmp_gt_u32_e32 vcc, 32, v20
	s_waitcnt lgkmcnt(1)
	v_add_u32_e32 v78, 32, v20
	s_waitcnt lgkmcnt(0)
	v_cndmask_b32_e64 v62, 0, 1, vcc
	v_lshlrev_b32_e32 v62, 5, v62
	v_add_lshl_u32 v63, v62, v9, 2
	ds_bpermute_b32 v62, v63, v14
	ds_bpermute_b32 v79, v63, v15
	;; [unrolled: 1-line block ×3, first 2 shown]
	v_cmp_le_u32_e32 vcc, v78, v12
	s_and_saveexec_b64 s[46:47], vcc
	s_cbranch_execz .LBB742_130
; %bb.129:
	v_mov_b32_e32 v12, 0
	v_cmp_eq_u16_sdwa vcc, v80, v12 src0_sel:BYTE_0 src1_sel:DWORD
	s_waitcnt lgkmcnt(0)
	v_and_b32_e32 v9, 1, v9
	v_cmp_eq_u32_e64 s[0:1], 1, v9
	v_cndmask_b32_e32 v13, 0, v79, vcc
	v_cndmask_b32_e32 v12, 0, v62, vcc
	v_lshl_add_u64 v[14:15], v[12:13], 0, v[14:15]
	v_and_b32_e32 v12, 1, v80
	v_cmp_eq_u32_e32 vcc, 1, v12
	s_or_b64 s[0:1], vcc, s[0:1]
	v_cndmask_b32_e64 v80, 0, 1, s[0:1]
.LBB742_130:
	s_or_b64 exec, exec, s[46:47]
	s_waitcnt lgkmcnt(0)
	v_mov_b32_e32 v9, 0
	v_mov_b32_e32 v79, 2
	s_branch .LBB742_132
.LBB742_131:                            ;   in Loop: Header=BB742_132 Depth=1
	s_or_b64 exec, exec, s[48:49]
	v_cmp_eq_u16_sdwa vcc, v62, v9 src0_sel:BYTE_0 src1_sel:DWORD
	v_and_b32_e32 v80, 1, v62
	v_subrev_u32_e32 v8, 64, v8
	v_cndmask_b32_e32 v15, 0, v15, vcc
	v_cndmask_b32_e32 v14, 0, v14, vcc
	v_cmp_eq_u32_e32 vcc, 1, v80
	s_or_b64 s[0:1], vcc, s[46:47]
	v_lshl_add_u64 v[14:15], v[14:15], 0, v[12:13]
	v_cndmask_b32_e64 v80, 0, 1, s[0:1]
.LBB742_132:                            ; =>This Loop Header: Depth=1
                                        ;     Child Loop BB742_135 Depth 2
	v_cmp_ne_u16_sdwa s[0:1], v5, v79 src0_sel:BYTE_0 src1_sel:DWORD
	v_mov_b32_e32 v62, v80
	v_mov_b64_e32 v[12:13], v[14:15]
	v_cndmask_b32_e64 v5, 0, 1, s[0:1]
	;;#ASMSTART
	;;#ASMEND
	s_nop 0
	v_cmp_ne_u32_e32 vcc, 0, v5
	s_cmp_lg_u64 vcc, exec
	s_cbranch_scc1 .LBB742_149
; %bb.133:                              ;   in Loop: Header=BB742_132 Depth=1
	global_load_ubyte v5, v8, s[40:41] sc1
	s_waitcnt vmcnt(0)
	v_cmp_eq_u16_e32 vcc, 0, v5
	s_and_saveexec_b64 s[0:1], vcc
	s_cbranch_execz .LBB742_137
; %bb.134:                              ;   in Loop: Header=BB742_132 Depth=1
	v_lshl_add_u64 v[14:15], s[40:41], 0, v[8:9]
	s_mov_b64 s[46:47], 0
.LBB742_135:                            ;   Parent Loop BB742_132 Depth=1
                                        ; =>  This Inner Loop Header: Depth=2
	global_load_ubyte v5, v[14:15], off sc1
	s_waitcnt vmcnt(0)
	v_cmp_ne_u16_e32 vcc, 0, v5
	s_or_b64 s[46:47], vcc, s[46:47]
	s_andn2_b64 exec, exec, s[46:47]
	s_cbranch_execnz .LBB742_135
; %bb.136:                              ;   in Loop: Header=BB742_132 Depth=1
	s_or_b64 exec, exec, s[46:47]
.LBB742_137:                            ;   in Loop: Header=BB742_132 Depth=1
	s_or_b64 exec, exec, s[0:1]
	v_mov_b32_e32 v14, s39
	v_mov_b32_e32 v15, s37
	v_cmp_eq_u16_e32 vcc, 1, v5
	v_mov_b32_e32 v80, s36
	s_waitcnt vmcnt(0)
	v_cndmask_b32_e32 v15, v14, v15, vcc
	v_mov_b32_e32 v14, s38
	v_cndmask_b32_e32 v14, v14, v80, vcc
	s_waitcnt lgkmcnt(0)
	v_lshl_add_u64 v[82:83], v[8:9], 4, v[14:15]
	global_load_dword v14, v[82:83], off sc1
	global_load_dword v15, v[82:83], off offset:4 sc1
	global_load_dword v80, v[82:83], off offset:8 sc1
	;; [unrolled: 1-line block ×3, first 2 shown]
	v_cmp_eq_u16_e32 vcc, 2, v5
	s_waitcnt vmcnt(3)
	ds_bpermute_b32 v84, v21, v14
	s_waitcnt vmcnt(0)
	v_and_b32_e32 v81, vcc_hi, v11
	v_and_b32_e32 v82, 0xff, v80
	v_or_b32_e32 v81, 0x80000000, v81
	ds_bpermute_b32 v85, v21, v15
	ds_bpermute_b32 v83, v21, v82
	v_and_b32_e32 v86, vcc_lo, v10
	v_ffbl_b32_e32 v81, v81
	v_add_u32_e32 v81, 32, v81
	v_ffbl_b32_e32 v86, v86
	v_min_u32_e32 v81, v86, v81
	v_cmp_lt_u32_e32 vcc, v20, v81
	s_and_saveexec_b64 s[0:1], vcc
	s_cbranch_execz .LBB742_139
; %bb.138:                              ;   in Loop: Header=BB742_132 Depth=1
	v_cmp_eq_u16_sdwa vcc, v80, v9 src0_sel:BYTE_0 src1_sel:DWORD
	s_waitcnt lgkmcnt(0)
	v_or_b32_e32 v82, v83, v80
	v_and_b32_e32 v80, 1, v82
	v_cndmask_b32_e32 v85, 0, v85, vcc
	v_cndmask_b32_e32 v84, 0, v84, vcc
	v_lshl_add_u64 v[14:15], v[84:85], 0, v[14:15]
	v_and_b32_e32 v82, 1, v82
.LBB742_139:                            ;   in Loop: Header=BB742_132 Depth=1
	s_or_b64 exec, exec, s[0:1]
	s_waitcnt lgkmcnt(2)
	ds_bpermute_b32 v84, v22, v14
	s_waitcnt lgkmcnt(2)
	ds_bpermute_b32 v85, v22, v15
	;; [unrolled: 2-line block ×3, first 2 shown]
	v_and_b32_e32 v86, 1, v80
	v_cmp_le_u32_e32 vcc, v23, v81
	v_cmp_eq_u32_e64 s[46:47], 1, v86
	s_and_saveexec_b64 s[0:1], vcc
	s_cbranch_execz .LBB742_141
; %bb.140:                              ;   in Loop: Header=BB742_132 Depth=1
	v_cmp_eq_u16_sdwa vcc, v80, v9 src0_sel:BYTE_0 src1_sel:DWORD
	s_waitcnt lgkmcnt(0)
	v_and_b32_e32 v80, 1, v83
	v_cndmask_b32_e32 v85, 0, v85, vcc
	v_cndmask_b32_e32 v84, 0, v84, vcc
	v_cmp_eq_u32_e32 vcc, 1, v80
	s_or_b64 s[48:49], s[46:47], vcc
	v_cndmask_b32_e64 v80, 0, 1, s[48:49]
	v_cndmask_b32_e64 v82, 0, 1, s[48:49]
	s_andn2_b64 s[46:47], s[46:47], exec
	s_and_b64 s[48:49], s[48:49], exec
	v_lshl_add_u64 v[14:15], v[84:85], 0, v[14:15]
	s_or_b64 s[46:47], s[46:47], s[48:49]
.LBB742_141:                            ;   in Loop: Header=BB742_132 Depth=1
	s_or_b64 exec, exec, s[0:1]
	s_waitcnt lgkmcnt(2)
	ds_bpermute_b32 v84, v24, v14
	s_waitcnt lgkmcnt(2)
	ds_bpermute_b32 v85, v24, v15
	s_waitcnt lgkmcnt(2)
	ds_bpermute_b32 v83, v24, v82
	v_cmp_le_u32_e32 vcc, v25, v81
	s_and_saveexec_b64 s[48:49], vcc
	s_cbranch_execz .LBB742_143
; %bb.142:                              ;   in Loop: Header=BB742_132 Depth=1
	v_cmp_eq_u16_sdwa vcc, v80, v9 src0_sel:BYTE_0 src1_sel:DWORD
	v_and_b32_e32 v80, 1, v80
	s_andn2_b64 s[46:47], s[46:47], exec
	s_waitcnt lgkmcnt(1)
	v_cndmask_b32_e32 v85, 0, v85, vcc
	v_cndmask_b32_e32 v84, 0, v84, vcc
	v_cmp_eq_u32_e32 vcc, 1, v80
	s_waitcnt lgkmcnt(0)
	v_and_b32_e32 v80, 1, v83
	v_cmp_eq_u32_e64 s[0:1], 1, v80
	s_or_b64 s[0:1], vcc, s[0:1]
	v_lshl_add_u64 v[14:15], v[84:85], 0, v[14:15]
	v_cndmask_b32_e64 v80, 0, 1, s[0:1]
	v_cndmask_b32_e64 v82, 0, 1, s[0:1]
	s_and_b64 s[0:1], s[0:1], exec
	s_or_b64 s[46:47], s[46:47], s[0:1]
.LBB742_143:                            ;   in Loop: Header=BB742_132 Depth=1
	s_or_b64 exec, exec, s[48:49]
	s_waitcnt lgkmcnt(2)
	ds_bpermute_b32 v84, v26, v14
	s_waitcnt lgkmcnt(2)
	ds_bpermute_b32 v85, v26, v15
	s_waitcnt lgkmcnt(2)
	ds_bpermute_b32 v83, v26, v82
	v_cmp_le_u32_e32 vcc, v27, v81
	s_and_saveexec_b64 s[48:49], vcc
	s_cbranch_execz .LBB742_145
; %bb.144:                              ;   in Loop: Header=BB742_132 Depth=1
	v_cmp_eq_u16_sdwa vcc, v80, v9 src0_sel:BYTE_0 src1_sel:DWORD
	v_and_b32_e32 v80, 1, v80
	s_andn2_b64 s[46:47], s[46:47], exec
	s_waitcnt lgkmcnt(1)
	v_cndmask_b32_e32 v85, 0, v85, vcc
	v_cndmask_b32_e32 v84, 0, v84, vcc
	v_cmp_eq_u32_e32 vcc, 1, v80
	s_waitcnt lgkmcnt(0)
	v_and_b32_e32 v80, 1, v83
	v_cmp_eq_u32_e64 s[0:1], 1, v80
	s_or_b64 s[0:1], vcc, s[0:1]
	v_lshl_add_u64 v[14:15], v[84:85], 0, v[14:15]
	v_cndmask_b32_e64 v80, 0, 1, s[0:1]
	v_cndmask_b32_e64 v82, 0, 1, s[0:1]
	s_and_b64 s[0:1], s[0:1], exec
	s_or_b64 s[46:47], s[46:47], s[0:1]
.LBB742_145:                            ;   in Loop: Header=BB742_132 Depth=1
	;; [unrolled: 28-line block ×3, first 2 shown]
	s_or_b64 exec, exec, s[48:49]
	s_waitcnt lgkmcnt(0)
	ds_bpermute_b32 v83, v63, v14
	ds_bpermute_b32 v84, v63, v15
	ds_bpermute_b32 v82, v63, v82
	v_cmp_le_u32_e32 vcc, v78, v81
	s_and_saveexec_b64 s[48:49], vcc
	s_cbranch_execz .LBB742_131
; %bb.148:                              ;   in Loop: Header=BB742_132 Depth=1
	v_cmp_eq_u16_sdwa vcc, v80, v9 src0_sel:BYTE_0 src1_sel:DWORD
	v_and_b32_e32 v80, 1, v80
	s_andn2_b64 s[46:47], s[46:47], exec
	s_waitcnt lgkmcnt(1)
	v_cndmask_b32_e32 v85, 0, v84, vcc
	v_cndmask_b32_e32 v84, 0, v83, vcc
	v_cmp_eq_u32_e32 vcc, 1, v80
	s_waitcnt lgkmcnt(0)
	v_and_b32_e32 v80, 1, v82
	v_cmp_eq_u32_e64 s[0:1], 1, v80
	s_or_b64 s[0:1], vcc, s[0:1]
	s_and_b64 s[0:1], s[0:1], exec
	v_lshl_add_u64 v[14:15], v[84:85], 0, v[14:15]
	s_or_b64 s[46:47], s[46:47], s[0:1]
	s_branch .LBB742_131
.LBB742_149:                            ;   in Loop: Header=BB742_132 Depth=1
                                        ; implicit-def: $vgpr80
                                        ; implicit-def: $vgpr14_vgpr15
                                        ; implicit-def: $vgpr5
	s_cbranch_execz .LBB742_132
; %bb.150:
	s_and_saveexec_b64 s[0:1], s[28:29]
	s_cbranch_execz .LBB742_152
; %bb.151:
	s_mov_b32 s37, 0
	v_mov_b32_e32 v5, 0
	s_add_i32 s36, s43, 64
	v_cmp_eq_u32_sdwa vcc, v4, v5 src0_sel:BYTE_0 src1_sel:DWORD
	s_lshl_b64 s[46:47], s[36:37], 4
	v_and_b32_e32 v4, 1, v4
	v_cndmask_b32_e32 v9, 0, v13, vcc
	v_cndmask_b32_e32 v8, 0, v12, vcc
	s_add_u32 s46, s38, s46
	v_lshl_add_u64 v[2:3], v[8:9], 0, v[2:3]
	v_and_b32_e32 v8, 1, v62
	v_cmp_eq_u32_e32 vcc, 1, v4
	s_addc_u32 s47, s39, s47
	s_nop 0
	v_cndmask_b32_e64 v4, v8, 1, vcc
	global_store_dword v5, v2, s[46:47] sc1
	global_store_dword v5, v3, s[46:47] offset:4 sc1
	global_store_dword v5, v4, s[46:47] offset:8 sc1
	;; [unrolled: 1-line block ×3, first 2 shown]
	v_mov_b32_e32 v2, s36
	v_mov_b32_e32 v3, 2
	s_waitcnt vmcnt(0) lgkmcnt(0)
	global_store_byte v2, v3, s[40:41] sc1
.LBB742_152:
	s_or_b64 exec, exec, s[0:1]
	s_and_b64 exec, exec, s[30:31]
	s_cbranch_execz .LBB742_154
; %bb.153:
	v_mov_b32_e32 v2, 0
	ds_write_b64 v2, v[12:13] offset:48
	ds_write_b8 v2, v62 offset:56
.LBB742_154:
	s_or_b64 exec, exec, s[44:45]
	v_mov_b32_e32 v8, 0
	s_waitcnt lgkmcnt(0)
	s_barrier
	ds_read_b64 v[2:3], v8 offset:48
	v_cndmask_b32_e64 v9, v19, v16, s[28:29]
	v_cmp_eq_u16_sdwa vcc, v9, v8 src0_sel:BYTE_0 src1_sel:DWORD
	v_cndmask_b32_e64 v4, v17, v6, s[28:29]
	v_cndmask_b32_e64 v5, v18, v7, s[28:29]
	s_waitcnt lgkmcnt(0)
	v_cndmask_b32_e32 v7, 0, v3, vcc
	v_cndmask_b32_e32 v6, 0, v2, vcc
	v_lshl_add_u64 v[4:5], v[4:5], 0, v[6:7]
	v_cndmask_b32_e64 v3, v5, v3, s[30:31]
	v_cndmask_b32_e64 v2, v4, v2, s[30:31]
	v_cmp_eq_u16_sdwa vcc, v1, v8 src0_sel:BYTE_0 src1_sel:DWORD
	s_nop 1
	v_cndmask_b32_e32 v5, 0, v3, vcc
	v_cndmask_b32_e32 v4, 0, v2, vcc
	v_lshl_add_u64 v[4:5], v[4:5], 0, v[46:47]
	v_cndmask_b32_e64 v7, 0, v5, s[4:5]
	v_cndmask_b32_e64 v6, 0, v4, s[4:5]
	v_lshl_add_u64 v[6:7], v[6:7], 0, v[48:49]
	v_cndmask_b32_e64 v9, 0, v7, s[6:7]
	v_cndmask_b32_e64 v8, 0, v6, s[6:7]
	;; [unrolled: 3-line block ×12, first 2 shown]
	s_branch .LBB742_195
.LBB742_155:
	s_or_b64 exec, exec, s[0:1]
                                        ; implicit-def: $vgpr64_vgpr65
	s_and_saveexec_b64 s[0:1], s[4:5]
	s_cbranch_execz .LBB742_37
.LBB742_156:
	v_mov_b32_e32 v57, 0
	v_lshl_add_u64 v[64:65], v[60:61], 0, v[56:57]
	flat_load_dwordx2 v[64:65], v[64:65] offset:2048
	s_or_b64 exec, exec, s[0:1]
                                        ; implicit-def: $vgpr66_vgpr67
	s_and_saveexec_b64 s[0:1], s[6:7]
	s_cbranch_execnz .LBB742_38
.LBB742_157:
	s_or_b64 exec, exec, s[0:1]
                                        ; implicit-def: $vgpr30_vgpr31
	s_and_saveexec_b64 s[0:1], s[8:9]
	s_cbranch_execz .LBB742_39
.LBB742_158:
	v_mov_b32_e32 v33, 0
	v_lshl_add_u64 v[30:31], v[60:61], 0, v[32:33]
	flat_load_dwordx2 v[30:31], v[30:31]
	s_or_b64 exec, exec, s[0:1]
                                        ; implicit-def: $vgpr32_vgpr33
	s_and_saveexec_b64 s[0:1], s[10:11]
	s_cbranch_execnz .LBB742_40
.LBB742_159:
	s_or_b64 exec, exec, s[0:1]
                                        ; implicit-def: $vgpr34_vgpr35
	s_and_saveexec_b64 s[0:1], s[12:13]
	s_cbranch_execz .LBB742_41
.LBB742_160:
	v_mov_b32_e32 v37, 0
	v_lshl_add_u64 v[34:35], v[60:61], 0, v[36:37]
	flat_load_dwordx2 v[34:35], v[34:35]
	s_or_b64 exec, exec, s[0:1]
                                        ; implicit-def: $vgpr36_vgpr37
	s_and_saveexec_b64 s[0:1], s[14:15]
	s_cbranch_execnz .LBB742_42
.LBB742_161:
	s_or_b64 exec, exec, s[0:1]
                                        ; implicit-def: $vgpr38_vgpr39
	s_and_saveexec_b64 s[0:1], s[16:17]
	s_cbranch_execz .LBB742_43
.LBB742_162:
	v_mov_b32_e32 v41, 0
	v_lshl_add_u64 v[38:39], v[60:61], 0, v[40:41]
	flat_load_dwordx2 v[38:39], v[38:39]
	s_or_b64 exec, exec, s[0:1]
                                        ; implicit-def: $vgpr40_vgpr41
	s_and_saveexec_b64 s[0:1], s[18:19]
	s_cbranch_execnz .LBB742_44
.LBB742_163:
	s_or_b64 exec, exec, s[0:1]
                                        ; implicit-def: $vgpr42_vgpr43
	s_and_saveexec_b64 s[0:1], s[20:21]
	s_cbranch_execz .LBB742_45
.LBB742_164:
	v_mov_b32_e32 v45, 0
	v_lshl_add_u64 v[42:43], v[60:61], 0, v[44:45]
	flat_load_dwordx2 v[42:43], v[42:43]
	s_or_b64 exec, exec, s[0:1]
                                        ; implicit-def: $vgpr44_vgpr45
	s_and_saveexec_b64 s[0:1], s[22:23]
	s_cbranch_execnz .LBB742_46
.LBB742_165:
	s_or_b64 exec, exec, s[0:1]
                                        ; implicit-def: $vgpr46_vgpr47
	s_and_saveexec_b64 s[0:1], s[24:25]
	s_cbranch_execz .LBB742_47
.LBB742_166:
	v_mov_b32_e32 v49, 0
	v_lshl_add_u64 v[46:47], v[60:61], 0, v[48:49]
	flat_load_dwordx2 v[46:47], v[46:47]
	s_or_b64 exec, exec, s[0:1]
                                        ; implicit-def: $vgpr48_vgpr49
	s_and_saveexec_b64 s[0:1], s[26:27]
	s_cbranch_execz .LBB742_49
	s_branch .LBB742_48
.LBB742_167:
                                        ; implicit-def: $vgpr2_vgpr3
                                        ; implicit-def: $vgpr62_vgpr63
                                        ; implicit-def: $vgpr26_vgpr27
                                        ; implicit-def: $vgpr24_vgpr25
                                        ; implicit-def: $vgpr20_vgpr21
                                        ; implicit-def: $vgpr16_vgpr17
                                        ; implicit-def: $vgpr12_vgpr13
                                        ; implicit-def: $vgpr8_vgpr9
	s_cbranch_execz .LBB742_195
; %bb.168:
	s_cmp_lg_u64 s[58:59], 0
	s_cselect_b32 s1, s55, 0
	s_cselect_b32 s0, s54, 0
	s_cmp_eq_u64 s[0:1], 0
	v_mov_b64_e32 v[60:61], s[56:57]
	s_cbranch_scc1 .LBB742_170
; %bb.169:
	v_mov_b32_e32 v2, 0
	global_load_dwordx2 v[60:61], v2, s[0:1]
.LBB742_170:
	v_mov_b32_e32 v4, 0
	v_cmp_eq_u16_sdwa vcc, v64, v4 src0_sel:BYTE_0 src1_sel:DWORD
	v_cmp_eq_u16_sdwa s[4:5], v65, v4 src0_sel:BYTE_0 src1_sel:DWORD
	v_cmp_eq_u16_sdwa s[6:7], v67, v4 src0_sel:BYTE_0 src1_sel:DWORD
	v_cndmask_b32_e32 v3, 0, v47, vcc
	v_cndmask_b32_e32 v2, 0, v46, vcc
	v_lshl_add_u64 v[2:3], v[2:3], 0, v[48:49]
	v_cndmask_b32_e64 v3, 0, v3, s[4:5]
	v_cndmask_b32_e64 v2, 0, v2, s[4:5]
	v_lshl_add_u64 v[2:3], v[2:3], 0, v[50:51]
	v_cndmask_b32_e64 v3, 0, v3, s[6:7]
	v_cndmask_b32_e64 v2, 0, v2, s[6:7]
	v_lshl_add_u64 v[2:3], v[2:3], 0, v[42:43]
	v_cmp_eq_u16_sdwa s[8:9], v68, v4 src0_sel:BYTE_0 src1_sel:DWORD
	v_cmp_eq_u16_sdwa s[10:11], v69, v4 src0_sel:BYTE_0 src1_sel:DWORD
	;; [unrolled: 1-line block ×3, first 2 shown]
	v_cndmask_b32_e64 v3, 0, v3, s[8:9]
	v_cndmask_b32_e64 v2, 0, v2, s[8:9]
	v_lshl_add_u64 v[2:3], v[2:3], 0, v[44:45]
	v_cndmask_b32_e64 v3, 0, v3, s[10:11]
	v_cndmask_b32_e64 v2, 0, v2, s[10:11]
	v_lshl_add_u64 v[2:3], v[2:3], 0, v[38:39]
	;; [unrolled: 3-line block ×3, first 2 shown]
	v_cmp_eq_u16_sdwa s[14:15], v71, v4 src0_sel:BYTE_0 src1_sel:DWORD
	v_cmp_eq_u16_sdwa s[16:17], v72, v4 src0_sel:BYTE_0 src1_sel:DWORD
	;; [unrolled: 1-line block ×3, first 2 shown]
	v_cndmask_b32_e64 v3, 0, v3, s[14:15]
	v_cndmask_b32_e64 v2, 0, v2, s[14:15]
	v_lshl_add_u64 v[2:3], v[2:3], 0, v[34:35]
	v_cndmask_b32_e64 v3, 0, v3, s[16:17]
	v_cndmask_b32_e64 v2, 0, v2, s[16:17]
	v_cmp_eq_u16_sdwa s[20:21], v74, v4 src0_sel:BYTE_0 src1_sel:DWORD
	v_cmp_eq_u16_sdwa s[22:23], v75, v4 src0_sel:BYTE_0 src1_sel:DWORD
	;; [unrolled: 1-line block ×4, first 2 shown]
	v_or_b32_e32 v4, v77, v74
	v_lshl_add_u64 v[2:3], v[2:3], 0, v[36:37]
	v_or_b32_e32 v4, v4, v73
	v_cndmask_b32_e64 v3, 0, v3, s[18:19]
	v_cndmask_b32_e64 v2, 0, v2, s[18:19]
	v_or_b32_e32 v4, v4, v72
	v_lshl_add_u64 v[2:3], v[2:3], 0, v[54:55]
	v_or_b32_e32 v4, v4, v71
	v_cndmask_b32_e64 v3, 0, v3, s[20:21]
	v_cndmask_b32_e64 v2, 0, v2, s[20:21]
	;; [unrolled: 5-line block ×5, first 2 shown]
	v_or_b32_e32 v4, v4, v1
	v_mbcnt_hi_u32_b32 v6, -1, v76
	v_lshl_add_u64 v[2:3], v[2:3], 0, v[28:29]
	v_and_b32_e32 v7, 1, v4
	v_and_b32_e32 v5, 15, v6
	v_cmp_eq_u32_e64 s[0:1], 1, v7
	v_mov_b32_dpp v9, v2 row_shr:1 row_mask:0xf bank_mask:0xf
	v_mov_b32_dpp v10, v3 row_shr:1 row_mask:0xf bank_mask:0xf
	;; [unrolled: 1-line block ×3, first 2 shown]
	v_cmp_ne_u32_e64 s[26:27], 0, v5
	v_mov_b32_e32 v4, v7
	s_and_saveexec_b64 s[28:29], s[26:27]
; %bb.171:
	v_and_b32_e32 v4, 1, v8
	v_cndmask_b32_e64 v11, v10, 0, s[0:1]
	v_cndmask_b32_e64 v10, v9, 0, s[0:1]
	v_or_b32_e32 v7, v4, v7
	v_lshl_add_u64 v[2:3], v[10:11], 0, v[2:3]
	v_and_b32_e32 v4, 0xffff, v7
; %bb.172:
	s_or_b64 exec, exec, s[28:29]
	v_mov_b32_dpp v9, v2 row_shr:2 row_mask:0xf bank_mask:0xf
	v_mov_b32_dpp v10, v3 row_shr:2 row_mask:0xf bank_mask:0xf
	;; [unrolled: 1-line block ×3, first 2 shown]
	v_cmp_lt_u32_e64 s[0:1], 1, v5
	s_and_saveexec_b64 s[28:29], s[0:1]
; %bb.173:
	v_cmp_eq_u16_e64 s[0:1], 0, v7
	v_and_b32_e32 v4, 1, v7
	s_nop 0
	v_cndmask_b32_e64 v11, 0, v10, s[0:1]
	v_cndmask_b32_e64 v10, 0, v9, s[0:1]
	v_cmp_eq_u32_e64 s[0:1], 1, v4
	v_and_b32_e32 v4, 1, v8
	v_cmp_eq_u32_e64 s[26:27], 1, v4
	s_or_b64 s[0:1], s[0:1], s[26:27]
	v_lshl_add_u64 v[2:3], v[10:11], 0, v[2:3]
	v_cndmask_b32_e64 v7, 0, 1, s[0:1]
	v_cndmask_b32_e64 v4, 0, 1, s[0:1]
; %bb.174:
	s_or_b64 exec, exec, s[28:29]
	v_mov_b32_dpp v9, v2 row_shr:4 row_mask:0xf bank_mask:0xf
	v_mov_b32_dpp v10, v3 row_shr:4 row_mask:0xf bank_mask:0xf
	;; [unrolled: 1-line block ×3, first 2 shown]
	v_cmp_lt_u32_e64 s[0:1], 3, v5
	s_and_saveexec_b64 s[28:29], s[0:1]
; %bb.175:
	v_cmp_eq_u16_e64 s[0:1], 0, v7
	v_and_b32_e32 v4, 1, v7
	s_nop 0
	v_cndmask_b32_e64 v11, 0, v10, s[0:1]
	v_cndmask_b32_e64 v10, 0, v9, s[0:1]
	v_cmp_eq_u32_e64 s[0:1], 1, v4
	v_and_b32_e32 v4, 1, v8
	v_cmp_eq_u32_e64 s[26:27], 1, v4
	s_or_b64 s[0:1], s[0:1], s[26:27]
	v_lshl_add_u64 v[2:3], v[10:11], 0, v[2:3]
	v_cndmask_b32_e64 v7, 0, 1, s[0:1]
	v_cndmask_b32_e64 v4, 0, 1, s[0:1]
; %bb.176:
	s_or_b64 exec, exec, s[28:29]
	v_mov_b32_dpp v9, v2 row_shr:8 row_mask:0xf bank_mask:0xf
	v_mov_b32_dpp v10, v3 row_shr:8 row_mask:0xf bank_mask:0xf
	;; [unrolled: 1-line block ×3, first 2 shown]
	v_cmp_lt_u32_e64 s[0:1], 7, v5
	s_and_saveexec_b64 s[28:29], s[0:1]
; %bb.177:
	v_cmp_eq_u16_e64 s[0:1], 0, v7
	s_nop 1
	v_cndmask_b32_e64 v5, 0, v10, s[0:1]
	v_cndmask_b32_e64 v4, 0, v9, s[0:1]
	v_lshl_add_u64 v[2:3], v[4:5], 0, v[2:3]
	v_and_b32_e32 v4, 1, v7
	v_cmp_eq_u32_e64 s[0:1], 1, v4
	v_and_b32_e32 v4, 1, v8
	v_cmp_eq_u32_e64 s[26:27], 1, v4
	s_or_b64 s[0:1], s[0:1], s[26:27]
	v_cndmask_b32_e64 v7, 0, 1, s[0:1]
	v_cndmask_b32_e64 v4, 0, 1, s[0:1]
; %bb.178:
	s_or_b64 exec, exec, s[28:29]
	v_and_b32_e32 v10, 16, v6
	v_mov_b32_dpp v8, v2 row_bcast:15 row_mask:0xf bank_mask:0xf
	v_mov_b32_dpp v9, v3 row_bcast:15 row_mask:0xf bank_mask:0xf
	;; [unrolled: 1-line block ×3, first 2 shown]
	v_cmp_ne_u32_e64 s[0:1], 0, v10
	s_and_saveexec_b64 s[28:29], s[0:1]
; %bb.179:
	v_cmp_eq_u16_e64 s[0:1], 0, v7
	v_and_b32_e32 v4, 1, v7
	s_nop 0
	v_cndmask_b32_e64 v9, 0, v9, s[0:1]
	v_cndmask_b32_e64 v8, 0, v8, s[0:1]
	v_cmp_eq_u32_e64 s[0:1], 1, v4
	v_and_b32_e32 v4, 1, v5
	v_cmp_eq_u32_e64 s[26:27], 1, v4
	s_or_b64 s[0:1], s[0:1], s[26:27]
	v_lshl_add_u64 v[2:3], v[8:9], 0, v[2:3]
	v_cndmask_b32_e64 v7, 0, 1, s[0:1]
	v_cndmask_b32_e64 v4, 0, 1, s[0:1]
; %bb.180:
	s_or_b64 exec, exec, s[28:29]
	v_mov_b32_dpp v5, v2 row_bcast:31 row_mask:0xf bank_mask:0xf
	v_mov_b32_dpp v8, v3 row_bcast:31 row_mask:0xf bank_mask:0xf
	;; [unrolled: 1-line block ×3, first 2 shown]
	v_cmp_lt_u32_e64 s[0:1], 31, v6
	s_and_saveexec_b64 s[28:29], s[0:1]
; %bb.181:
	v_cmp_eq_u16_e64 s[0:1], 0, v7
	v_and_b32_e32 v4, 1, v4
	v_cmp_eq_u32_e64 s[26:27], 1, v4
	v_cndmask_b32_e64 v9, 0, v8, s[0:1]
	v_cndmask_b32_e64 v8, 0, v5, s[0:1]
	v_and_b32_e32 v5, 1, v7
	v_cmp_eq_u32_e64 s[0:1], 1, v5
	s_or_b64 s[0:1], s[0:1], s[26:27]
	v_lshl_add_u64 v[2:3], v[8:9], 0, v[2:3]
	v_cndmask_b32_e64 v7, 0, 1, s[0:1]
; %bb.182:
	s_or_b64 exec, exec, s[28:29]
	v_or_b32_e32 v4, 63, v0
	v_lshrrev_b32_e32 v8, 6, v0
	v_cmp_eq_u32_e64 s[0:1], v4, v0
	s_and_saveexec_b64 s[26:27], s[0:1]
	s_cbranch_execz .LBB742_184
; %bb.183:
	v_lshlrev_b32_e32 v4, 4, v8
	ds_write_b64 v4, v[2:3]
	ds_write_b8 v4, v7 offset:8
.LBB742_184:
	s_or_b64 exec, exec, s[26:27]
	v_cmp_gt_u32_e64 s[0:1], 4, v0
	s_waitcnt lgkmcnt(0)
	s_barrier
	s_and_saveexec_b64 s[28:29], s[0:1]
	s_cbranch_execz .LBB742_190
; %bb.185:
	v_lshlrev_b32_e32 v9, 4, v0
	ds_read_b64 v[4:5], v9
	ds_read_b32 v10, v9 offset:8
	v_and_b32_e32 v11, 3, v6
	v_cmp_ne_u32_e64 s[0:1], 0, v11
	s_waitcnt lgkmcnt(1)
	v_mov_b32_dpp v15, v4 row_shr:1 row_mask:0xf bank_mask:0xf
	v_mov_b32_dpp v16, v5 row_shr:1 row_mask:0xf bank_mask:0xf
	s_waitcnt lgkmcnt(0)
	v_mov_b32_dpp v14, v10 row_shr:1 row_mask:0xf bank_mask:0xf
	v_mov_b32_e32 v12, v10
	v_mov_b32_e32 v13, v10
	s_and_saveexec_b64 s[26:27], s[0:1]
; %bb.186:
	v_mov_b32_e32 v12, 0
	v_cmp_eq_u16_sdwa s[0:1], v10, v12 src0_sel:BYTE_0 src1_sel:DWORD
	s_nop 1
	v_cndmask_b32_e64 v13, 0, v16, s[0:1]
	v_cndmask_b32_e64 v12, 0, v15, s[0:1]
	v_lshl_add_u64 v[4:5], v[12:13], 0, v[4:5]
	v_or_b32_e32 v13, v14, v10
	v_and_b32_e32 v12, 1, v13
	v_and_b32_e32 v13, 1, v13
	s_movk_i32 s0, 0xff00
	v_and_or_b32 v10, v10, s0, v13
; %bb.187:
	s_or_b64 exec, exec, s[26:27]
	v_mov_b32_dpp v14, v4 row_shr:2 row_mask:0xf bank_mask:0xf
	v_mov_b32_dpp v15, v5 row_shr:2 row_mask:0xf bank_mask:0xf
	;; [unrolled: 1-line block ×3, first 2 shown]
	v_cmp_lt_u32_e64 s[0:1], 1, v11
	s_and_saveexec_b64 s[36:37], s[0:1]
; %bb.188:
	v_mov_b32_e32 v11, 0
	v_cmp_eq_u16_sdwa s[0:1], v13, v11 src0_sel:BYTE_0 src1_sel:DWORD
	v_and_b32_e32 v11, 1, v13
	v_and_b32_e32 v10, 1, v10
	v_cndmask_b32_e64 v15, 0, v15, s[0:1]
	v_cndmask_b32_e64 v14, 0, v14, s[0:1]
	v_cmp_eq_u32_e64 s[0:1], 1, v11
	v_cmp_eq_u32_e64 s[26:27], 1, v10
	s_or_b64 s[0:1], s[0:1], s[26:27]
	v_lshl_add_u64 v[4:5], v[14:15], 0, v[4:5]
	v_cndmask_b32_e64 v12, 0, 1, s[0:1]
; %bb.189:
	s_or_b64 exec, exec, s[36:37]
	ds_write_b64 v9, v[4:5]
	ds_write_b8 v9, v12 offset:8
.LBB742_190:
	s_or_b64 exec, exec, s[28:29]
	v_cmp_lt_u32_e64 s[0:1], 63, v0
	s_waitcnt vmcnt(0)
	v_mov_b64_e32 v[4:5], v[60:61]
	s_waitcnt lgkmcnt(0)
	s_barrier
	s_and_saveexec_b64 s[26:27], s[0:1]
	s_cbranch_execz .LBB742_192
; %bb.191:
	v_lshl_add_u32 v4, v8, 4, -16
	ds_read_u8 v8, v4 offset:8
	ds_read_b64 v[4:5], v4
	s_waitcnt lgkmcnt(1)
	v_cmp_eq_u16_e64 s[0:1], 0, v8
	s_nop 1
	v_cndmask_b32_e64 v9, 0, v61, s[0:1]
	v_cndmask_b32_e64 v8, 0, v60, s[0:1]
	s_waitcnt lgkmcnt(0)
	v_lshl_add_u64 v[4:5], v[8:9], 0, v[4:5]
.LBB742_192:
	s_or_b64 exec, exec, s[26:27]
	v_cmp_eq_u16_e64 s[0:1], 0, v7
	v_add_u32_e32 v7, -1, v6
	v_mov_b32_e32 v28, 0
	v_cndmask_b32_e64 v9, 0, v5, s[0:1]
	v_cndmask_b32_e64 v8, 0, v4, s[0:1]
	v_lshl_add_u64 v[2:3], v[8:9], 0, v[2:3]
	v_and_b32_e32 v8, 64, v6
	v_cmp_lt_i32_e64 s[0:1], v7, v8
	s_nop 1
	v_cndmask_b32_e64 v7, v7, v6, s[0:1]
	v_lshlrev_b32_e32 v7, 2, v7
	ds_bpermute_b32 v3, v7, v3
	ds_bpermute_b32 v2, v7, v2
	v_cmp_eq_u32_e64 s[0:1], 0, v6
	s_waitcnt lgkmcnt(1)
	s_nop 0
	v_cndmask_b32_e64 v3, v3, v5, s[0:1]
	s_waitcnt lgkmcnt(0)
	v_cndmask_b32_e64 v2, v2, v4, s[0:1]
	v_cndmask_b32_e64 v4, v2, v60, s[30:31]
	;; [unrolled: 1-line block ×3, first 2 shown]
	v_cmp_eq_u16_sdwa s[0:1], v1, v28 src0_sel:BYTE_0 src1_sel:DWORD
	s_nop 1
	v_cndmask_b32_e64 v5, 0, v5, s[0:1]
	v_cndmask_b32_e64 v4, 0, v4, s[0:1]
	v_lshl_add_u64 v[4:5], v[4:5], 0, v[46:47]
	v_cndmask_b32_e32 v7, 0, v5, vcc
	v_cndmask_b32_e32 v6, 0, v4, vcc
	v_lshl_add_u64 v[6:7], v[6:7], 0, v[48:49]
	v_cndmask_b32_e64 v9, 0, v7, s[4:5]
	v_cndmask_b32_e64 v8, 0, v6, s[4:5]
	v_lshl_add_u64 v[8:9], v[8:9], 0, v[50:51]
	v_cndmask_b32_e64 v11, 0, v9, s[6:7]
	v_cndmask_b32_e64 v10, 0, v8, s[6:7]
	;; [unrolled: 3-line block ×11, first 2 shown]
	s_and_saveexec_b64 s[0:1], s[30:31]
	s_cbranch_execz .LBB742_194
; %bb.193:
	ds_read_u8 v1, v28 offset:56
	ds_read_b64 v[2:3], v28 offset:48
	s_waitcnt lgkmcnt(1)
	v_cmp_eq_u32_e32 vcc, 0, v1
	s_nop 1
	v_cndmask_b32_e32 v33, 0, v61, vcc
	v_cndmask_b32_e32 v32, 0, v60, vcc
	s_waitcnt lgkmcnt(0)
	v_lshl_add_u64 v[2:3], v[32:33], 0, v[2:3]
	global_store_dword v28, v2, s[38:39] offset:1024 sc1
	global_store_dword v28, v3, s[38:39] offset:1028 sc1
	;; [unrolled: 1-line block ×4, first 2 shown]
	v_mov_b32_e32 v1, 2
	v_mov_b64_e32 v[2:3], v[60:61]
	s_waitcnt vmcnt(0)
	global_store_byte v28, v1, s[40:41] offset:64 sc1
.LBB742_194:
	s_or_b64 exec, exec, s[0:1]
.LBB742_195:
	s_add_u32 s0, s50, s34
	s_addc_u32 s1, s51, s35
	v_mul_u32_u24_e32 v1, 14, v0
	v_lshl_add_u64 v[28:29], v[62:63], 0, v[30:31]
	v_lshl_add_u64 v[56:57], s[0:1], 0, v[52:53]
	s_and_b64 vcc, exec, s[2:3]
	v_lshlrev_b32_e32 v62, 3, v1
	s_cbranch_vccz .LBB742_223
; %bb.196:
	s_movk_i32 s0, 0xff98
	v_mad_i32_i24 v1, v0, s0, v62
	s_barrier
	ds_write_b128 v62, v[2:5]
	ds_write_b128 v62, v[6:9] offset:16
	ds_write_b128 v62, v[10:13] offset:32
	;; [unrolled: 1-line block ×6, first 2 shown]
	s_waitcnt lgkmcnt(0)
	s_barrier
	ds_read2st64_b64 v[52:55], v1 offset0:4 offset1:8
	ds_read2st64_b64 v[48:51], v1 offset0:12 offset1:16
	;; [unrolled: 1-line block ×6, first 2 shown]
	ds_read_b64 v[30:31], v1 offset:26624
	s_add_i32 s33, s33, s42
	v_mov_b32_e32 v59, 0
	v_lshl_add_u64 v[60:61], v[56:57], 0, v[58:59]
	v_cmp_gt_u32_e32 vcc, s33, v0
	s_and_saveexec_b64 s[0:1], vcc
	s_cbranch_execz .LBB742_198
; %bb.197:
	v_mul_i32_i24_e32 v1, 0xffffff98, v0
	v_add_u32_e32 v1, v62, v1
	ds_read_b64 v[64:65], v1
	s_waitcnt lgkmcnt(0)
	flat_store_dwordx2 v[60:61], v[64:65]
.LBB742_198:
	s_or_b64 exec, exec, s[0:1]
	v_or_b32_e32 v1, 0x100, v0
	v_cmp_gt_u32_e32 vcc, s33, v1
	s_and_saveexec_b64 s[0:1], vcc
	s_cbranch_execz .LBB742_200
; %bb.199:
	s_waitcnt lgkmcnt(0)
	flat_store_dwordx2 v[60:61], v[52:53] offset:2048
.LBB742_200:
	s_or_b64 exec, exec, s[0:1]
	v_or_b32_e32 v1, 0x200, v0
	v_cmp_gt_u32_e32 vcc, s33, v1
	s_and_saveexec_b64 s[0:1], vcc
	s_cbranch_execz .LBB742_202
; %bb.201:
	s_waitcnt lgkmcnt(0)
	v_add_co_u32_e32 v52, vcc, 0x1000, v60
	s_nop 1
	v_addc_co_u32_e32 v53, vcc, 0, v61, vcc
	flat_store_dwordx2 v[52:53], v[54:55]
.LBB742_202:
	s_or_b64 exec, exec, s[0:1]
	v_or_b32_e32 v1, 0x300, v0
	v_cmp_gt_u32_e32 vcc, s33, v1
	s_and_saveexec_b64 s[0:1], vcc
	s_cbranch_execz .LBB742_204
; %bb.203:
	s_waitcnt lgkmcnt(0)
	v_add_co_u32_e32 v52, vcc, 0x1000, v60
	s_nop 1
	v_addc_co_u32_e32 v53, vcc, 0, v61, vcc
	flat_store_dwordx2 v[52:53], v[48:49] offset:2048
.LBB742_204:
	s_or_b64 exec, exec, s[0:1]
	v_or_b32_e32 v1, 0x400, v0
	v_cmp_gt_u32_e32 vcc, s33, v1
	s_and_saveexec_b64 s[0:1], vcc
	s_cbranch_execz .LBB742_206
; %bb.205:
	s_waitcnt lgkmcnt(0)
	v_add_co_u32_e32 v48, vcc, 0x2000, v60
	s_nop 1
	v_addc_co_u32_e32 v49, vcc, 0, v61, vcc
	flat_store_dwordx2 v[48:49], v[50:51]
.LBB742_206:
	s_or_b64 exec, exec, s[0:1]
	v_or_b32_e32 v1, 0x500, v0
	v_cmp_gt_u32_e32 vcc, s33, v1
	s_and_saveexec_b64 s[0:1], vcc
	s_cbranch_execz .LBB742_208
; %bb.207:
	s_waitcnt lgkmcnt(0)
	v_add_co_u32_e32 v48, vcc, 0x2000, v60
	s_nop 1
	v_addc_co_u32_e32 v49, vcc, 0, v61, vcc
	flat_store_dwordx2 v[48:49], v[44:45] offset:2048
.LBB742_208:
	;; [unrolled: 24-line block ×5, first 2 shown]
	s_or_b64 exec, exec, s[0:1]
	v_or_b32_e32 v1, 0xc00, v0
	v_cmp_gt_u32_e32 vcc, s33, v1
	s_and_saveexec_b64 s[0:1], vcc
	s_cbranch_execz .LBB742_222
; %bb.221:
	s_waitcnt lgkmcnt(0)
	v_add_co_u32_e32 v32, vcc, 0x6000, v60
	s_nop 1
	v_addc_co_u32_e32 v33, vcc, 0, v61, vcc
	flat_store_dwordx2 v[32:33], v[34:35]
.LBB742_222:
	s_or_b64 exec, exec, s[0:1]
	s_waitcnt lgkmcnt(0)
	v_or_b32_e32 v32, 0xd00, v0
	v_mov_b32_e32 v1, v59
	v_cmp_gt_u32_e64 s[0:1], s33, v32
	s_branch .LBB742_225
.LBB742_223:
	s_mov_b64 s[0:1], 0
                                        ; implicit-def: $vgpr30_vgpr31
	s_cbranch_execz .LBB742_225
; %bb.224:
	v_mov_b32_e32 v1, 0
	s_movk_i32 s2, 0xff98
	s_barrier
	ds_write_b128 v62, v[2:5]
	ds_write_b128 v62, v[6:9] offset:16
	ds_write_b128 v62, v[10:13] offset:32
	;; [unrolled: 1-line block ×6, first 2 shown]
	v_mad_i32_i24 v26, v0, s2, v62
	v_mov_b32_e32 v59, v1
	s_waitcnt lgkmcnt(0)
	s_barrier
	ds_read2st64_b64 v[2:5], v26 offset1:4
	ds_read2st64_b64 v[6:9], v26 offset0:8 offset1:12
	ds_read2st64_b64 v[10:13], v26 offset0:16 offset1:20
	;; [unrolled: 1-line block ×6, first 2 shown]
	v_lshl_add_u64 v[26:27], v[56:57], 0, v[58:59]
	s_movk_i32 s2, 0x1000
	s_waitcnt lgkmcnt(0)
	flat_store_dwordx2 v[26:27], v[2:3]
	flat_store_dwordx2 v[26:27], v[4:5] offset:2048
	v_add_co_u32_e32 v2, vcc, s2, v26
	s_movk_i32 s2, 0x2000
	s_nop 0
	v_addc_co_u32_e32 v3, vcc, 0, v27, vcc
	flat_store_dwordx2 v[2:3], v[6:7]
	flat_store_dwordx2 v[2:3], v[8:9] offset:2048
	v_add_co_u32_e32 v2, vcc, s2, v26
	s_movk_i32 s2, 0x3000
	s_nop 0
	v_addc_co_u32_e32 v3, vcc, 0, v27, vcc
	;; [unrolled: 6-line block ×3, first 2 shown]
	flat_store_dwordx2 v[2:3], v[14:15]
	flat_store_dwordx2 v[2:3], v[16:17] offset:2048
	v_add_co_u32_e32 v2, vcc, s2, v26
	s_or_b64 s[0:1], s[0:1], exec
	s_nop 0
	v_addc_co_u32_e32 v3, vcc, 0, v27, vcc
	flat_store_dwordx2 v[2:3], v[18:19]
	flat_store_dwordx2 v[2:3], v[20:21] offset:2048
	v_add_co_u32_e32 v2, vcc, 0x5000, v26
	s_nop 1
	v_addc_co_u32_e32 v3, vcc, 0, v27, vcc
	flat_store_dwordx2 v[2:3], v[22:23]
	flat_store_dwordx2 v[2:3], v[24:25] offset:2048
	v_add_co_u32_e32 v2, vcc, 0x6000, v26
	s_nop 1
	v_addc_co_u32_e32 v3, vcc, 0, v27, vcc
	flat_store_dwordx2 v[2:3], v[28:29]
.LBB742_225:
	s_and_saveexec_b64 s[2:3], s[0:1]
	s_cbranch_execz .LBB742_227
; %bb.226:
	v_lshl_add_u64 v[0:1], v[0:1], 3, v[56:57]
	v_add_co_u32_e32 v0, vcc, 0x6000, v0
	s_nop 1
	v_addc_co_u32_e32 v1, vcc, 0, v1, vcc
	flat_store_dwordx2 v[0:1], v[30:31] offset:2048
	s_endpgm
.LBB742_227:
	s_endpgm
	.section	.rodata,"a",@progbits
	.p2align	6, 0x0
	.amdhsa_kernel _ZN7rocprim17ROCPRIM_400000_NS6detail17trampoline_kernelINS0_14default_configENS1_27scan_by_key_config_selectorIxxEEZZNS1_16scan_by_key_implILNS1_25lookback_scan_determinismE0ELb1ES3_N6thrust23THRUST_200600_302600_NS6detail15normal_iteratorINS9_10device_ptrIxEEEESE_SE_xNS9_4plusIxEE19head_flag_predicatexEE10hipError_tPvRmT2_T3_T4_T5_mT6_T7_P12ihipStream_tbENKUlT_T0_E_clISt17integral_constantIbLb0EESX_IbLb1EEEEDaST_SU_EUlST_E_NS1_11comp_targetILNS1_3genE5ELNS1_11target_archE942ELNS1_3gpuE9ELNS1_3repE0EEENS1_30default_config_static_selectorELNS0_4arch9wavefront6targetE1EEEvT1_
		.amdhsa_group_segment_fixed_size 32768
		.amdhsa_private_segment_fixed_size 0
		.amdhsa_kernarg_size 136
		.amdhsa_user_sgpr_count 2
		.amdhsa_user_sgpr_dispatch_ptr 0
		.amdhsa_user_sgpr_queue_ptr 0
		.amdhsa_user_sgpr_kernarg_segment_ptr 1
		.amdhsa_user_sgpr_dispatch_id 0
		.amdhsa_user_sgpr_kernarg_preload_length 0
		.amdhsa_user_sgpr_kernarg_preload_offset 0
		.amdhsa_user_sgpr_private_segment_size 0
		.amdhsa_uses_dynamic_stack 0
		.amdhsa_enable_private_segment 0
		.amdhsa_system_sgpr_workgroup_id_x 1
		.amdhsa_system_sgpr_workgroup_id_y 0
		.amdhsa_system_sgpr_workgroup_id_z 0
		.amdhsa_system_sgpr_workgroup_info 0
		.amdhsa_system_vgpr_workitem_id 0
		.amdhsa_next_free_vgpr 87
		.amdhsa_next_free_sgpr 60
		.amdhsa_accum_offset 88
		.amdhsa_reserve_vcc 1
		.amdhsa_float_round_mode_32 0
		.amdhsa_float_round_mode_16_64 0
		.amdhsa_float_denorm_mode_32 3
		.amdhsa_float_denorm_mode_16_64 3
		.amdhsa_dx10_clamp 1
		.amdhsa_ieee_mode 1
		.amdhsa_fp16_overflow 0
		.amdhsa_tg_split 0
		.amdhsa_exception_fp_ieee_invalid_op 0
		.amdhsa_exception_fp_denorm_src 0
		.amdhsa_exception_fp_ieee_div_zero 0
		.amdhsa_exception_fp_ieee_overflow 0
		.amdhsa_exception_fp_ieee_underflow 0
		.amdhsa_exception_fp_ieee_inexact 0
		.amdhsa_exception_int_div_zero 0
	.end_amdhsa_kernel
	.section	.text._ZN7rocprim17ROCPRIM_400000_NS6detail17trampoline_kernelINS0_14default_configENS1_27scan_by_key_config_selectorIxxEEZZNS1_16scan_by_key_implILNS1_25lookback_scan_determinismE0ELb1ES3_N6thrust23THRUST_200600_302600_NS6detail15normal_iteratorINS9_10device_ptrIxEEEESE_SE_xNS9_4plusIxEE19head_flag_predicatexEE10hipError_tPvRmT2_T3_T4_T5_mT6_T7_P12ihipStream_tbENKUlT_T0_E_clISt17integral_constantIbLb0EESX_IbLb1EEEEDaST_SU_EUlST_E_NS1_11comp_targetILNS1_3genE5ELNS1_11target_archE942ELNS1_3gpuE9ELNS1_3repE0EEENS1_30default_config_static_selectorELNS0_4arch9wavefront6targetE1EEEvT1_,"axG",@progbits,_ZN7rocprim17ROCPRIM_400000_NS6detail17trampoline_kernelINS0_14default_configENS1_27scan_by_key_config_selectorIxxEEZZNS1_16scan_by_key_implILNS1_25lookback_scan_determinismE0ELb1ES3_N6thrust23THRUST_200600_302600_NS6detail15normal_iteratorINS9_10device_ptrIxEEEESE_SE_xNS9_4plusIxEE19head_flag_predicatexEE10hipError_tPvRmT2_T3_T4_T5_mT6_T7_P12ihipStream_tbENKUlT_T0_E_clISt17integral_constantIbLb0EESX_IbLb1EEEEDaST_SU_EUlST_E_NS1_11comp_targetILNS1_3genE5ELNS1_11target_archE942ELNS1_3gpuE9ELNS1_3repE0EEENS1_30default_config_static_selectorELNS0_4arch9wavefront6targetE1EEEvT1_,comdat
.Lfunc_end742:
	.size	_ZN7rocprim17ROCPRIM_400000_NS6detail17trampoline_kernelINS0_14default_configENS1_27scan_by_key_config_selectorIxxEEZZNS1_16scan_by_key_implILNS1_25lookback_scan_determinismE0ELb1ES3_N6thrust23THRUST_200600_302600_NS6detail15normal_iteratorINS9_10device_ptrIxEEEESE_SE_xNS9_4plusIxEE19head_flag_predicatexEE10hipError_tPvRmT2_T3_T4_T5_mT6_T7_P12ihipStream_tbENKUlT_T0_E_clISt17integral_constantIbLb0EESX_IbLb1EEEEDaST_SU_EUlST_E_NS1_11comp_targetILNS1_3genE5ELNS1_11target_archE942ELNS1_3gpuE9ELNS1_3repE0EEENS1_30default_config_static_selectorELNS0_4arch9wavefront6targetE1EEEvT1_, .Lfunc_end742-_ZN7rocprim17ROCPRIM_400000_NS6detail17trampoline_kernelINS0_14default_configENS1_27scan_by_key_config_selectorIxxEEZZNS1_16scan_by_key_implILNS1_25lookback_scan_determinismE0ELb1ES3_N6thrust23THRUST_200600_302600_NS6detail15normal_iteratorINS9_10device_ptrIxEEEESE_SE_xNS9_4plusIxEE19head_flag_predicatexEE10hipError_tPvRmT2_T3_T4_T5_mT6_T7_P12ihipStream_tbENKUlT_T0_E_clISt17integral_constantIbLb0EESX_IbLb1EEEEDaST_SU_EUlST_E_NS1_11comp_targetILNS1_3genE5ELNS1_11target_archE942ELNS1_3gpuE9ELNS1_3repE0EEENS1_30default_config_static_selectorELNS0_4arch9wavefront6targetE1EEEvT1_
                                        ; -- End function
	.section	.AMDGPU.csdata,"",@progbits
; Kernel info:
; codeLenInByte = 12844
; NumSgprs: 66
; NumVgprs: 87
; NumAgprs: 0
; TotalNumVgprs: 87
; ScratchSize: 0
; MemoryBound: 0
; FloatMode: 240
; IeeeMode: 1
; LDSByteSize: 32768 bytes/workgroup (compile time only)
; SGPRBlocks: 8
; VGPRBlocks: 10
; NumSGPRsForWavesPerEU: 66
; NumVGPRsForWavesPerEU: 87
; AccumOffset: 88
; Occupancy: 2
; WaveLimiterHint : 1
; COMPUTE_PGM_RSRC2:SCRATCH_EN: 0
; COMPUTE_PGM_RSRC2:USER_SGPR: 2
; COMPUTE_PGM_RSRC2:TRAP_HANDLER: 0
; COMPUTE_PGM_RSRC2:TGID_X_EN: 1
; COMPUTE_PGM_RSRC2:TGID_Y_EN: 0
; COMPUTE_PGM_RSRC2:TGID_Z_EN: 0
; COMPUTE_PGM_RSRC2:TIDIG_COMP_CNT: 0
; COMPUTE_PGM_RSRC3_GFX90A:ACCUM_OFFSET: 21
; COMPUTE_PGM_RSRC3_GFX90A:TG_SPLIT: 0
	.section	.text._ZN7rocprim17ROCPRIM_400000_NS6detail17trampoline_kernelINS0_14default_configENS1_27scan_by_key_config_selectorIxxEEZZNS1_16scan_by_key_implILNS1_25lookback_scan_determinismE0ELb1ES3_N6thrust23THRUST_200600_302600_NS6detail15normal_iteratorINS9_10device_ptrIxEEEESE_SE_xNS9_4plusIxEE19head_flag_predicatexEE10hipError_tPvRmT2_T3_T4_T5_mT6_T7_P12ihipStream_tbENKUlT_T0_E_clISt17integral_constantIbLb0EESX_IbLb1EEEEDaST_SU_EUlST_E_NS1_11comp_targetILNS1_3genE4ELNS1_11target_archE910ELNS1_3gpuE8ELNS1_3repE0EEENS1_30default_config_static_selectorELNS0_4arch9wavefront6targetE1EEEvT1_,"axG",@progbits,_ZN7rocprim17ROCPRIM_400000_NS6detail17trampoline_kernelINS0_14default_configENS1_27scan_by_key_config_selectorIxxEEZZNS1_16scan_by_key_implILNS1_25lookback_scan_determinismE0ELb1ES3_N6thrust23THRUST_200600_302600_NS6detail15normal_iteratorINS9_10device_ptrIxEEEESE_SE_xNS9_4plusIxEE19head_flag_predicatexEE10hipError_tPvRmT2_T3_T4_T5_mT6_T7_P12ihipStream_tbENKUlT_T0_E_clISt17integral_constantIbLb0EESX_IbLb1EEEEDaST_SU_EUlST_E_NS1_11comp_targetILNS1_3genE4ELNS1_11target_archE910ELNS1_3gpuE8ELNS1_3repE0EEENS1_30default_config_static_selectorELNS0_4arch9wavefront6targetE1EEEvT1_,comdat
	.protected	_ZN7rocprim17ROCPRIM_400000_NS6detail17trampoline_kernelINS0_14default_configENS1_27scan_by_key_config_selectorIxxEEZZNS1_16scan_by_key_implILNS1_25lookback_scan_determinismE0ELb1ES3_N6thrust23THRUST_200600_302600_NS6detail15normal_iteratorINS9_10device_ptrIxEEEESE_SE_xNS9_4plusIxEE19head_flag_predicatexEE10hipError_tPvRmT2_T3_T4_T5_mT6_T7_P12ihipStream_tbENKUlT_T0_E_clISt17integral_constantIbLb0EESX_IbLb1EEEEDaST_SU_EUlST_E_NS1_11comp_targetILNS1_3genE4ELNS1_11target_archE910ELNS1_3gpuE8ELNS1_3repE0EEENS1_30default_config_static_selectorELNS0_4arch9wavefront6targetE1EEEvT1_ ; -- Begin function _ZN7rocprim17ROCPRIM_400000_NS6detail17trampoline_kernelINS0_14default_configENS1_27scan_by_key_config_selectorIxxEEZZNS1_16scan_by_key_implILNS1_25lookback_scan_determinismE0ELb1ES3_N6thrust23THRUST_200600_302600_NS6detail15normal_iteratorINS9_10device_ptrIxEEEESE_SE_xNS9_4plusIxEE19head_flag_predicatexEE10hipError_tPvRmT2_T3_T4_T5_mT6_T7_P12ihipStream_tbENKUlT_T0_E_clISt17integral_constantIbLb0EESX_IbLb1EEEEDaST_SU_EUlST_E_NS1_11comp_targetILNS1_3genE4ELNS1_11target_archE910ELNS1_3gpuE8ELNS1_3repE0EEENS1_30default_config_static_selectorELNS0_4arch9wavefront6targetE1EEEvT1_
	.globl	_ZN7rocprim17ROCPRIM_400000_NS6detail17trampoline_kernelINS0_14default_configENS1_27scan_by_key_config_selectorIxxEEZZNS1_16scan_by_key_implILNS1_25lookback_scan_determinismE0ELb1ES3_N6thrust23THRUST_200600_302600_NS6detail15normal_iteratorINS9_10device_ptrIxEEEESE_SE_xNS9_4plusIxEE19head_flag_predicatexEE10hipError_tPvRmT2_T3_T4_T5_mT6_T7_P12ihipStream_tbENKUlT_T0_E_clISt17integral_constantIbLb0EESX_IbLb1EEEEDaST_SU_EUlST_E_NS1_11comp_targetILNS1_3genE4ELNS1_11target_archE910ELNS1_3gpuE8ELNS1_3repE0EEENS1_30default_config_static_selectorELNS0_4arch9wavefront6targetE1EEEvT1_
	.p2align	8
	.type	_ZN7rocprim17ROCPRIM_400000_NS6detail17trampoline_kernelINS0_14default_configENS1_27scan_by_key_config_selectorIxxEEZZNS1_16scan_by_key_implILNS1_25lookback_scan_determinismE0ELb1ES3_N6thrust23THRUST_200600_302600_NS6detail15normal_iteratorINS9_10device_ptrIxEEEESE_SE_xNS9_4plusIxEE19head_flag_predicatexEE10hipError_tPvRmT2_T3_T4_T5_mT6_T7_P12ihipStream_tbENKUlT_T0_E_clISt17integral_constantIbLb0EESX_IbLb1EEEEDaST_SU_EUlST_E_NS1_11comp_targetILNS1_3genE4ELNS1_11target_archE910ELNS1_3gpuE8ELNS1_3repE0EEENS1_30default_config_static_selectorELNS0_4arch9wavefront6targetE1EEEvT1_,@function
_ZN7rocprim17ROCPRIM_400000_NS6detail17trampoline_kernelINS0_14default_configENS1_27scan_by_key_config_selectorIxxEEZZNS1_16scan_by_key_implILNS1_25lookback_scan_determinismE0ELb1ES3_N6thrust23THRUST_200600_302600_NS6detail15normal_iteratorINS9_10device_ptrIxEEEESE_SE_xNS9_4plusIxEE19head_flag_predicatexEE10hipError_tPvRmT2_T3_T4_T5_mT6_T7_P12ihipStream_tbENKUlT_T0_E_clISt17integral_constantIbLb0EESX_IbLb1EEEEDaST_SU_EUlST_E_NS1_11comp_targetILNS1_3genE4ELNS1_11target_archE910ELNS1_3gpuE8ELNS1_3repE0EEENS1_30default_config_static_selectorELNS0_4arch9wavefront6targetE1EEEvT1_: ; @_ZN7rocprim17ROCPRIM_400000_NS6detail17trampoline_kernelINS0_14default_configENS1_27scan_by_key_config_selectorIxxEEZZNS1_16scan_by_key_implILNS1_25lookback_scan_determinismE0ELb1ES3_N6thrust23THRUST_200600_302600_NS6detail15normal_iteratorINS9_10device_ptrIxEEEESE_SE_xNS9_4plusIxEE19head_flag_predicatexEE10hipError_tPvRmT2_T3_T4_T5_mT6_T7_P12ihipStream_tbENKUlT_T0_E_clISt17integral_constantIbLb0EESX_IbLb1EEEEDaST_SU_EUlST_E_NS1_11comp_targetILNS1_3genE4ELNS1_11target_archE910ELNS1_3gpuE8ELNS1_3repE0EEENS1_30default_config_static_selectorELNS0_4arch9wavefront6targetE1EEEvT1_
; %bb.0:
	.section	.rodata,"a",@progbits
	.p2align	6, 0x0
	.amdhsa_kernel _ZN7rocprim17ROCPRIM_400000_NS6detail17trampoline_kernelINS0_14default_configENS1_27scan_by_key_config_selectorIxxEEZZNS1_16scan_by_key_implILNS1_25lookback_scan_determinismE0ELb1ES3_N6thrust23THRUST_200600_302600_NS6detail15normal_iteratorINS9_10device_ptrIxEEEESE_SE_xNS9_4plusIxEE19head_flag_predicatexEE10hipError_tPvRmT2_T3_T4_T5_mT6_T7_P12ihipStream_tbENKUlT_T0_E_clISt17integral_constantIbLb0EESX_IbLb1EEEEDaST_SU_EUlST_E_NS1_11comp_targetILNS1_3genE4ELNS1_11target_archE910ELNS1_3gpuE8ELNS1_3repE0EEENS1_30default_config_static_selectorELNS0_4arch9wavefront6targetE1EEEvT1_
		.amdhsa_group_segment_fixed_size 0
		.amdhsa_private_segment_fixed_size 0
		.amdhsa_kernarg_size 136
		.amdhsa_user_sgpr_count 2
		.amdhsa_user_sgpr_dispatch_ptr 0
		.amdhsa_user_sgpr_queue_ptr 0
		.amdhsa_user_sgpr_kernarg_segment_ptr 1
		.amdhsa_user_sgpr_dispatch_id 0
		.amdhsa_user_sgpr_kernarg_preload_length 0
		.amdhsa_user_sgpr_kernarg_preload_offset 0
		.amdhsa_user_sgpr_private_segment_size 0
		.amdhsa_uses_dynamic_stack 0
		.amdhsa_enable_private_segment 0
		.amdhsa_system_sgpr_workgroup_id_x 1
		.amdhsa_system_sgpr_workgroup_id_y 0
		.amdhsa_system_sgpr_workgroup_id_z 0
		.amdhsa_system_sgpr_workgroup_info 0
		.amdhsa_system_vgpr_workitem_id 0
		.amdhsa_next_free_vgpr 1
		.amdhsa_next_free_sgpr 0
		.amdhsa_accum_offset 4
		.amdhsa_reserve_vcc 0
		.amdhsa_float_round_mode_32 0
		.amdhsa_float_round_mode_16_64 0
		.amdhsa_float_denorm_mode_32 3
		.amdhsa_float_denorm_mode_16_64 3
		.amdhsa_dx10_clamp 1
		.amdhsa_ieee_mode 1
		.amdhsa_fp16_overflow 0
		.amdhsa_tg_split 0
		.amdhsa_exception_fp_ieee_invalid_op 0
		.amdhsa_exception_fp_denorm_src 0
		.amdhsa_exception_fp_ieee_div_zero 0
		.amdhsa_exception_fp_ieee_overflow 0
		.amdhsa_exception_fp_ieee_underflow 0
		.amdhsa_exception_fp_ieee_inexact 0
		.amdhsa_exception_int_div_zero 0
	.end_amdhsa_kernel
	.section	.text._ZN7rocprim17ROCPRIM_400000_NS6detail17trampoline_kernelINS0_14default_configENS1_27scan_by_key_config_selectorIxxEEZZNS1_16scan_by_key_implILNS1_25lookback_scan_determinismE0ELb1ES3_N6thrust23THRUST_200600_302600_NS6detail15normal_iteratorINS9_10device_ptrIxEEEESE_SE_xNS9_4plusIxEE19head_flag_predicatexEE10hipError_tPvRmT2_T3_T4_T5_mT6_T7_P12ihipStream_tbENKUlT_T0_E_clISt17integral_constantIbLb0EESX_IbLb1EEEEDaST_SU_EUlST_E_NS1_11comp_targetILNS1_3genE4ELNS1_11target_archE910ELNS1_3gpuE8ELNS1_3repE0EEENS1_30default_config_static_selectorELNS0_4arch9wavefront6targetE1EEEvT1_,"axG",@progbits,_ZN7rocprim17ROCPRIM_400000_NS6detail17trampoline_kernelINS0_14default_configENS1_27scan_by_key_config_selectorIxxEEZZNS1_16scan_by_key_implILNS1_25lookback_scan_determinismE0ELb1ES3_N6thrust23THRUST_200600_302600_NS6detail15normal_iteratorINS9_10device_ptrIxEEEESE_SE_xNS9_4plusIxEE19head_flag_predicatexEE10hipError_tPvRmT2_T3_T4_T5_mT6_T7_P12ihipStream_tbENKUlT_T0_E_clISt17integral_constantIbLb0EESX_IbLb1EEEEDaST_SU_EUlST_E_NS1_11comp_targetILNS1_3genE4ELNS1_11target_archE910ELNS1_3gpuE8ELNS1_3repE0EEENS1_30default_config_static_selectorELNS0_4arch9wavefront6targetE1EEEvT1_,comdat
.Lfunc_end743:
	.size	_ZN7rocprim17ROCPRIM_400000_NS6detail17trampoline_kernelINS0_14default_configENS1_27scan_by_key_config_selectorIxxEEZZNS1_16scan_by_key_implILNS1_25lookback_scan_determinismE0ELb1ES3_N6thrust23THRUST_200600_302600_NS6detail15normal_iteratorINS9_10device_ptrIxEEEESE_SE_xNS9_4plusIxEE19head_flag_predicatexEE10hipError_tPvRmT2_T3_T4_T5_mT6_T7_P12ihipStream_tbENKUlT_T0_E_clISt17integral_constantIbLb0EESX_IbLb1EEEEDaST_SU_EUlST_E_NS1_11comp_targetILNS1_3genE4ELNS1_11target_archE910ELNS1_3gpuE8ELNS1_3repE0EEENS1_30default_config_static_selectorELNS0_4arch9wavefront6targetE1EEEvT1_, .Lfunc_end743-_ZN7rocprim17ROCPRIM_400000_NS6detail17trampoline_kernelINS0_14default_configENS1_27scan_by_key_config_selectorIxxEEZZNS1_16scan_by_key_implILNS1_25lookback_scan_determinismE0ELb1ES3_N6thrust23THRUST_200600_302600_NS6detail15normal_iteratorINS9_10device_ptrIxEEEESE_SE_xNS9_4plusIxEE19head_flag_predicatexEE10hipError_tPvRmT2_T3_T4_T5_mT6_T7_P12ihipStream_tbENKUlT_T0_E_clISt17integral_constantIbLb0EESX_IbLb1EEEEDaST_SU_EUlST_E_NS1_11comp_targetILNS1_3genE4ELNS1_11target_archE910ELNS1_3gpuE8ELNS1_3repE0EEENS1_30default_config_static_selectorELNS0_4arch9wavefront6targetE1EEEvT1_
                                        ; -- End function
	.section	.AMDGPU.csdata,"",@progbits
; Kernel info:
; codeLenInByte = 0
; NumSgprs: 6
; NumVgprs: 0
; NumAgprs: 0
; TotalNumVgprs: 0
; ScratchSize: 0
; MemoryBound: 0
; FloatMode: 240
; IeeeMode: 1
; LDSByteSize: 0 bytes/workgroup (compile time only)
; SGPRBlocks: 0
; VGPRBlocks: 0
; NumSGPRsForWavesPerEU: 6
; NumVGPRsForWavesPerEU: 1
; AccumOffset: 4
; Occupancy: 8
; WaveLimiterHint : 0
; COMPUTE_PGM_RSRC2:SCRATCH_EN: 0
; COMPUTE_PGM_RSRC2:USER_SGPR: 2
; COMPUTE_PGM_RSRC2:TRAP_HANDLER: 0
; COMPUTE_PGM_RSRC2:TGID_X_EN: 1
; COMPUTE_PGM_RSRC2:TGID_Y_EN: 0
; COMPUTE_PGM_RSRC2:TGID_Z_EN: 0
; COMPUTE_PGM_RSRC2:TIDIG_COMP_CNT: 0
; COMPUTE_PGM_RSRC3_GFX90A:ACCUM_OFFSET: 0
; COMPUTE_PGM_RSRC3_GFX90A:TG_SPLIT: 0
	.section	.text._ZN7rocprim17ROCPRIM_400000_NS6detail17trampoline_kernelINS0_14default_configENS1_27scan_by_key_config_selectorIxxEEZZNS1_16scan_by_key_implILNS1_25lookback_scan_determinismE0ELb1ES3_N6thrust23THRUST_200600_302600_NS6detail15normal_iteratorINS9_10device_ptrIxEEEESE_SE_xNS9_4plusIxEE19head_flag_predicatexEE10hipError_tPvRmT2_T3_T4_T5_mT6_T7_P12ihipStream_tbENKUlT_T0_E_clISt17integral_constantIbLb0EESX_IbLb1EEEEDaST_SU_EUlST_E_NS1_11comp_targetILNS1_3genE3ELNS1_11target_archE908ELNS1_3gpuE7ELNS1_3repE0EEENS1_30default_config_static_selectorELNS0_4arch9wavefront6targetE1EEEvT1_,"axG",@progbits,_ZN7rocprim17ROCPRIM_400000_NS6detail17trampoline_kernelINS0_14default_configENS1_27scan_by_key_config_selectorIxxEEZZNS1_16scan_by_key_implILNS1_25lookback_scan_determinismE0ELb1ES3_N6thrust23THRUST_200600_302600_NS6detail15normal_iteratorINS9_10device_ptrIxEEEESE_SE_xNS9_4plusIxEE19head_flag_predicatexEE10hipError_tPvRmT2_T3_T4_T5_mT6_T7_P12ihipStream_tbENKUlT_T0_E_clISt17integral_constantIbLb0EESX_IbLb1EEEEDaST_SU_EUlST_E_NS1_11comp_targetILNS1_3genE3ELNS1_11target_archE908ELNS1_3gpuE7ELNS1_3repE0EEENS1_30default_config_static_selectorELNS0_4arch9wavefront6targetE1EEEvT1_,comdat
	.protected	_ZN7rocprim17ROCPRIM_400000_NS6detail17trampoline_kernelINS0_14default_configENS1_27scan_by_key_config_selectorIxxEEZZNS1_16scan_by_key_implILNS1_25lookback_scan_determinismE0ELb1ES3_N6thrust23THRUST_200600_302600_NS6detail15normal_iteratorINS9_10device_ptrIxEEEESE_SE_xNS9_4plusIxEE19head_flag_predicatexEE10hipError_tPvRmT2_T3_T4_T5_mT6_T7_P12ihipStream_tbENKUlT_T0_E_clISt17integral_constantIbLb0EESX_IbLb1EEEEDaST_SU_EUlST_E_NS1_11comp_targetILNS1_3genE3ELNS1_11target_archE908ELNS1_3gpuE7ELNS1_3repE0EEENS1_30default_config_static_selectorELNS0_4arch9wavefront6targetE1EEEvT1_ ; -- Begin function _ZN7rocprim17ROCPRIM_400000_NS6detail17trampoline_kernelINS0_14default_configENS1_27scan_by_key_config_selectorIxxEEZZNS1_16scan_by_key_implILNS1_25lookback_scan_determinismE0ELb1ES3_N6thrust23THRUST_200600_302600_NS6detail15normal_iteratorINS9_10device_ptrIxEEEESE_SE_xNS9_4plusIxEE19head_flag_predicatexEE10hipError_tPvRmT2_T3_T4_T5_mT6_T7_P12ihipStream_tbENKUlT_T0_E_clISt17integral_constantIbLb0EESX_IbLb1EEEEDaST_SU_EUlST_E_NS1_11comp_targetILNS1_3genE3ELNS1_11target_archE908ELNS1_3gpuE7ELNS1_3repE0EEENS1_30default_config_static_selectorELNS0_4arch9wavefront6targetE1EEEvT1_
	.globl	_ZN7rocprim17ROCPRIM_400000_NS6detail17trampoline_kernelINS0_14default_configENS1_27scan_by_key_config_selectorIxxEEZZNS1_16scan_by_key_implILNS1_25lookback_scan_determinismE0ELb1ES3_N6thrust23THRUST_200600_302600_NS6detail15normal_iteratorINS9_10device_ptrIxEEEESE_SE_xNS9_4plusIxEE19head_flag_predicatexEE10hipError_tPvRmT2_T3_T4_T5_mT6_T7_P12ihipStream_tbENKUlT_T0_E_clISt17integral_constantIbLb0EESX_IbLb1EEEEDaST_SU_EUlST_E_NS1_11comp_targetILNS1_3genE3ELNS1_11target_archE908ELNS1_3gpuE7ELNS1_3repE0EEENS1_30default_config_static_selectorELNS0_4arch9wavefront6targetE1EEEvT1_
	.p2align	8
	.type	_ZN7rocprim17ROCPRIM_400000_NS6detail17trampoline_kernelINS0_14default_configENS1_27scan_by_key_config_selectorIxxEEZZNS1_16scan_by_key_implILNS1_25lookback_scan_determinismE0ELb1ES3_N6thrust23THRUST_200600_302600_NS6detail15normal_iteratorINS9_10device_ptrIxEEEESE_SE_xNS9_4plusIxEE19head_flag_predicatexEE10hipError_tPvRmT2_T3_T4_T5_mT6_T7_P12ihipStream_tbENKUlT_T0_E_clISt17integral_constantIbLb0EESX_IbLb1EEEEDaST_SU_EUlST_E_NS1_11comp_targetILNS1_3genE3ELNS1_11target_archE908ELNS1_3gpuE7ELNS1_3repE0EEENS1_30default_config_static_selectorELNS0_4arch9wavefront6targetE1EEEvT1_,@function
_ZN7rocprim17ROCPRIM_400000_NS6detail17trampoline_kernelINS0_14default_configENS1_27scan_by_key_config_selectorIxxEEZZNS1_16scan_by_key_implILNS1_25lookback_scan_determinismE0ELb1ES3_N6thrust23THRUST_200600_302600_NS6detail15normal_iteratorINS9_10device_ptrIxEEEESE_SE_xNS9_4plusIxEE19head_flag_predicatexEE10hipError_tPvRmT2_T3_T4_T5_mT6_T7_P12ihipStream_tbENKUlT_T0_E_clISt17integral_constantIbLb0EESX_IbLb1EEEEDaST_SU_EUlST_E_NS1_11comp_targetILNS1_3genE3ELNS1_11target_archE908ELNS1_3gpuE7ELNS1_3repE0EEENS1_30default_config_static_selectorELNS0_4arch9wavefront6targetE1EEEvT1_: ; @_ZN7rocprim17ROCPRIM_400000_NS6detail17trampoline_kernelINS0_14default_configENS1_27scan_by_key_config_selectorIxxEEZZNS1_16scan_by_key_implILNS1_25lookback_scan_determinismE0ELb1ES3_N6thrust23THRUST_200600_302600_NS6detail15normal_iteratorINS9_10device_ptrIxEEEESE_SE_xNS9_4plusIxEE19head_flag_predicatexEE10hipError_tPvRmT2_T3_T4_T5_mT6_T7_P12ihipStream_tbENKUlT_T0_E_clISt17integral_constantIbLb0EESX_IbLb1EEEEDaST_SU_EUlST_E_NS1_11comp_targetILNS1_3genE3ELNS1_11target_archE908ELNS1_3gpuE7ELNS1_3repE0EEENS1_30default_config_static_selectorELNS0_4arch9wavefront6targetE1EEEvT1_
; %bb.0:
	.section	.rodata,"a",@progbits
	.p2align	6, 0x0
	.amdhsa_kernel _ZN7rocprim17ROCPRIM_400000_NS6detail17trampoline_kernelINS0_14default_configENS1_27scan_by_key_config_selectorIxxEEZZNS1_16scan_by_key_implILNS1_25lookback_scan_determinismE0ELb1ES3_N6thrust23THRUST_200600_302600_NS6detail15normal_iteratorINS9_10device_ptrIxEEEESE_SE_xNS9_4plusIxEE19head_flag_predicatexEE10hipError_tPvRmT2_T3_T4_T5_mT6_T7_P12ihipStream_tbENKUlT_T0_E_clISt17integral_constantIbLb0EESX_IbLb1EEEEDaST_SU_EUlST_E_NS1_11comp_targetILNS1_3genE3ELNS1_11target_archE908ELNS1_3gpuE7ELNS1_3repE0EEENS1_30default_config_static_selectorELNS0_4arch9wavefront6targetE1EEEvT1_
		.amdhsa_group_segment_fixed_size 0
		.amdhsa_private_segment_fixed_size 0
		.amdhsa_kernarg_size 136
		.amdhsa_user_sgpr_count 2
		.amdhsa_user_sgpr_dispatch_ptr 0
		.amdhsa_user_sgpr_queue_ptr 0
		.amdhsa_user_sgpr_kernarg_segment_ptr 1
		.amdhsa_user_sgpr_dispatch_id 0
		.amdhsa_user_sgpr_kernarg_preload_length 0
		.amdhsa_user_sgpr_kernarg_preload_offset 0
		.amdhsa_user_sgpr_private_segment_size 0
		.amdhsa_uses_dynamic_stack 0
		.amdhsa_enable_private_segment 0
		.amdhsa_system_sgpr_workgroup_id_x 1
		.amdhsa_system_sgpr_workgroup_id_y 0
		.amdhsa_system_sgpr_workgroup_id_z 0
		.amdhsa_system_sgpr_workgroup_info 0
		.amdhsa_system_vgpr_workitem_id 0
		.amdhsa_next_free_vgpr 1
		.amdhsa_next_free_sgpr 0
		.amdhsa_accum_offset 4
		.amdhsa_reserve_vcc 0
		.amdhsa_float_round_mode_32 0
		.amdhsa_float_round_mode_16_64 0
		.amdhsa_float_denorm_mode_32 3
		.amdhsa_float_denorm_mode_16_64 3
		.amdhsa_dx10_clamp 1
		.amdhsa_ieee_mode 1
		.amdhsa_fp16_overflow 0
		.amdhsa_tg_split 0
		.amdhsa_exception_fp_ieee_invalid_op 0
		.amdhsa_exception_fp_denorm_src 0
		.amdhsa_exception_fp_ieee_div_zero 0
		.amdhsa_exception_fp_ieee_overflow 0
		.amdhsa_exception_fp_ieee_underflow 0
		.amdhsa_exception_fp_ieee_inexact 0
		.amdhsa_exception_int_div_zero 0
	.end_amdhsa_kernel
	.section	.text._ZN7rocprim17ROCPRIM_400000_NS6detail17trampoline_kernelINS0_14default_configENS1_27scan_by_key_config_selectorIxxEEZZNS1_16scan_by_key_implILNS1_25lookback_scan_determinismE0ELb1ES3_N6thrust23THRUST_200600_302600_NS6detail15normal_iteratorINS9_10device_ptrIxEEEESE_SE_xNS9_4plusIxEE19head_flag_predicatexEE10hipError_tPvRmT2_T3_T4_T5_mT6_T7_P12ihipStream_tbENKUlT_T0_E_clISt17integral_constantIbLb0EESX_IbLb1EEEEDaST_SU_EUlST_E_NS1_11comp_targetILNS1_3genE3ELNS1_11target_archE908ELNS1_3gpuE7ELNS1_3repE0EEENS1_30default_config_static_selectorELNS0_4arch9wavefront6targetE1EEEvT1_,"axG",@progbits,_ZN7rocprim17ROCPRIM_400000_NS6detail17trampoline_kernelINS0_14default_configENS1_27scan_by_key_config_selectorIxxEEZZNS1_16scan_by_key_implILNS1_25lookback_scan_determinismE0ELb1ES3_N6thrust23THRUST_200600_302600_NS6detail15normal_iteratorINS9_10device_ptrIxEEEESE_SE_xNS9_4plusIxEE19head_flag_predicatexEE10hipError_tPvRmT2_T3_T4_T5_mT6_T7_P12ihipStream_tbENKUlT_T0_E_clISt17integral_constantIbLb0EESX_IbLb1EEEEDaST_SU_EUlST_E_NS1_11comp_targetILNS1_3genE3ELNS1_11target_archE908ELNS1_3gpuE7ELNS1_3repE0EEENS1_30default_config_static_selectorELNS0_4arch9wavefront6targetE1EEEvT1_,comdat
.Lfunc_end744:
	.size	_ZN7rocprim17ROCPRIM_400000_NS6detail17trampoline_kernelINS0_14default_configENS1_27scan_by_key_config_selectorIxxEEZZNS1_16scan_by_key_implILNS1_25lookback_scan_determinismE0ELb1ES3_N6thrust23THRUST_200600_302600_NS6detail15normal_iteratorINS9_10device_ptrIxEEEESE_SE_xNS9_4plusIxEE19head_flag_predicatexEE10hipError_tPvRmT2_T3_T4_T5_mT6_T7_P12ihipStream_tbENKUlT_T0_E_clISt17integral_constantIbLb0EESX_IbLb1EEEEDaST_SU_EUlST_E_NS1_11comp_targetILNS1_3genE3ELNS1_11target_archE908ELNS1_3gpuE7ELNS1_3repE0EEENS1_30default_config_static_selectorELNS0_4arch9wavefront6targetE1EEEvT1_, .Lfunc_end744-_ZN7rocprim17ROCPRIM_400000_NS6detail17trampoline_kernelINS0_14default_configENS1_27scan_by_key_config_selectorIxxEEZZNS1_16scan_by_key_implILNS1_25lookback_scan_determinismE0ELb1ES3_N6thrust23THRUST_200600_302600_NS6detail15normal_iteratorINS9_10device_ptrIxEEEESE_SE_xNS9_4plusIxEE19head_flag_predicatexEE10hipError_tPvRmT2_T3_T4_T5_mT6_T7_P12ihipStream_tbENKUlT_T0_E_clISt17integral_constantIbLb0EESX_IbLb1EEEEDaST_SU_EUlST_E_NS1_11comp_targetILNS1_3genE3ELNS1_11target_archE908ELNS1_3gpuE7ELNS1_3repE0EEENS1_30default_config_static_selectorELNS0_4arch9wavefront6targetE1EEEvT1_
                                        ; -- End function
	.section	.AMDGPU.csdata,"",@progbits
; Kernel info:
; codeLenInByte = 0
; NumSgprs: 6
; NumVgprs: 0
; NumAgprs: 0
; TotalNumVgprs: 0
; ScratchSize: 0
; MemoryBound: 0
; FloatMode: 240
; IeeeMode: 1
; LDSByteSize: 0 bytes/workgroup (compile time only)
; SGPRBlocks: 0
; VGPRBlocks: 0
; NumSGPRsForWavesPerEU: 6
; NumVGPRsForWavesPerEU: 1
; AccumOffset: 4
; Occupancy: 8
; WaveLimiterHint : 0
; COMPUTE_PGM_RSRC2:SCRATCH_EN: 0
; COMPUTE_PGM_RSRC2:USER_SGPR: 2
; COMPUTE_PGM_RSRC2:TRAP_HANDLER: 0
; COMPUTE_PGM_RSRC2:TGID_X_EN: 1
; COMPUTE_PGM_RSRC2:TGID_Y_EN: 0
; COMPUTE_PGM_RSRC2:TGID_Z_EN: 0
; COMPUTE_PGM_RSRC2:TIDIG_COMP_CNT: 0
; COMPUTE_PGM_RSRC3_GFX90A:ACCUM_OFFSET: 0
; COMPUTE_PGM_RSRC3_GFX90A:TG_SPLIT: 0
	.section	.text._ZN7rocprim17ROCPRIM_400000_NS6detail17trampoline_kernelINS0_14default_configENS1_27scan_by_key_config_selectorIxxEEZZNS1_16scan_by_key_implILNS1_25lookback_scan_determinismE0ELb1ES3_N6thrust23THRUST_200600_302600_NS6detail15normal_iteratorINS9_10device_ptrIxEEEESE_SE_xNS9_4plusIxEE19head_flag_predicatexEE10hipError_tPvRmT2_T3_T4_T5_mT6_T7_P12ihipStream_tbENKUlT_T0_E_clISt17integral_constantIbLb0EESX_IbLb1EEEEDaST_SU_EUlST_E_NS1_11comp_targetILNS1_3genE2ELNS1_11target_archE906ELNS1_3gpuE6ELNS1_3repE0EEENS1_30default_config_static_selectorELNS0_4arch9wavefront6targetE1EEEvT1_,"axG",@progbits,_ZN7rocprim17ROCPRIM_400000_NS6detail17trampoline_kernelINS0_14default_configENS1_27scan_by_key_config_selectorIxxEEZZNS1_16scan_by_key_implILNS1_25lookback_scan_determinismE0ELb1ES3_N6thrust23THRUST_200600_302600_NS6detail15normal_iteratorINS9_10device_ptrIxEEEESE_SE_xNS9_4plusIxEE19head_flag_predicatexEE10hipError_tPvRmT2_T3_T4_T5_mT6_T7_P12ihipStream_tbENKUlT_T0_E_clISt17integral_constantIbLb0EESX_IbLb1EEEEDaST_SU_EUlST_E_NS1_11comp_targetILNS1_3genE2ELNS1_11target_archE906ELNS1_3gpuE6ELNS1_3repE0EEENS1_30default_config_static_selectorELNS0_4arch9wavefront6targetE1EEEvT1_,comdat
	.protected	_ZN7rocprim17ROCPRIM_400000_NS6detail17trampoline_kernelINS0_14default_configENS1_27scan_by_key_config_selectorIxxEEZZNS1_16scan_by_key_implILNS1_25lookback_scan_determinismE0ELb1ES3_N6thrust23THRUST_200600_302600_NS6detail15normal_iteratorINS9_10device_ptrIxEEEESE_SE_xNS9_4plusIxEE19head_flag_predicatexEE10hipError_tPvRmT2_T3_T4_T5_mT6_T7_P12ihipStream_tbENKUlT_T0_E_clISt17integral_constantIbLb0EESX_IbLb1EEEEDaST_SU_EUlST_E_NS1_11comp_targetILNS1_3genE2ELNS1_11target_archE906ELNS1_3gpuE6ELNS1_3repE0EEENS1_30default_config_static_selectorELNS0_4arch9wavefront6targetE1EEEvT1_ ; -- Begin function _ZN7rocprim17ROCPRIM_400000_NS6detail17trampoline_kernelINS0_14default_configENS1_27scan_by_key_config_selectorIxxEEZZNS1_16scan_by_key_implILNS1_25lookback_scan_determinismE0ELb1ES3_N6thrust23THRUST_200600_302600_NS6detail15normal_iteratorINS9_10device_ptrIxEEEESE_SE_xNS9_4plusIxEE19head_flag_predicatexEE10hipError_tPvRmT2_T3_T4_T5_mT6_T7_P12ihipStream_tbENKUlT_T0_E_clISt17integral_constantIbLb0EESX_IbLb1EEEEDaST_SU_EUlST_E_NS1_11comp_targetILNS1_3genE2ELNS1_11target_archE906ELNS1_3gpuE6ELNS1_3repE0EEENS1_30default_config_static_selectorELNS0_4arch9wavefront6targetE1EEEvT1_
	.globl	_ZN7rocprim17ROCPRIM_400000_NS6detail17trampoline_kernelINS0_14default_configENS1_27scan_by_key_config_selectorIxxEEZZNS1_16scan_by_key_implILNS1_25lookback_scan_determinismE0ELb1ES3_N6thrust23THRUST_200600_302600_NS6detail15normal_iteratorINS9_10device_ptrIxEEEESE_SE_xNS9_4plusIxEE19head_flag_predicatexEE10hipError_tPvRmT2_T3_T4_T5_mT6_T7_P12ihipStream_tbENKUlT_T0_E_clISt17integral_constantIbLb0EESX_IbLb1EEEEDaST_SU_EUlST_E_NS1_11comp_targetILNS1_3genE2ELNS1_11target_archE906ELNS1_3gpuE6ELNS1_3repE0EEENS1_30default_config_static_selectorELNS0_4arch9wavefront6targetE1EEEvT1_
	.p2align	8
	.type	_ZN7rocprim17ROCPRIM_400000_NS6detail17trampoline_kernelINS0_14default_configENS1_27scan_by_key_config_selectorIxxEEZZNS1_16scan_by_key_implILNS1_25lookback_scan_determinismE0ELb1ES3_N6thrust23THRUST_200600_302600_NS6detail15normal_iteratorINS9_10device_ptrIxEEEESE_SE_xNS9_4plusIxEE19head_flag_predicatexEE10hipError_tPvRmT2_T3_T4_T5_mT6_T7_P12ihipStream_tbENKUlT_T0_E_clISt17integral_constantIbLb0EESX_IbLb1EEEEDaST_SU_EUlST_E_NS1_11comp_targetILNS1_3genE2ELNS1_11target_archE906ELNS1_3gpuE6ELNS1_3repE0EEENS1_30default_config_static_selectorELNS0_4arch9wavefront6targetE1EEEvT1_,@function
_ZN7rocprim17ROCPRIM_400000_NS6detail17trampoline_kernelINS0_14default_configENS1_27scan_by_key_config_selectorIxxEEZZNS1_16scan_by_key_implILNS1_25lookback_scan_determinismE0ELb1ES3_N6thrust23THRUST_200600_302600_NS6detail15normal_iteratorINS9_10device_ptrIxEEEESE_SE_xNS9_4plusIxEE19head_flag_predicatexEE10hipError_tPvRmT2_T3_T4_T5_mT6_T7_P12ihipStream_tbENKUlT_T0_E_clISt17integral_constantIbLb0EESX_IbLb1EEEEDaST_SU_EUlST_E_NS1_11comp_targetILNS1_3genE2ELNS1_11target_archE906ELNS1_3gpuE6ELNS1_3repE0EEENS1_30default_config_static_selectorELNS0_4arch9wavefront6targetE1EEEvT1_: ; @_ZN7rocprim17ROCPRIM_400000_NS6detail17trampoline_kernelINS0_14default_configENS1_27scan_by_key_config_selectorIxxEEZZNS1_16scan_by_key_implILNS1_25lookback_scan_determinismE0ELb1ES3_N6thrust23THRUST_200600_302600_NS6detail15normal_iteratorINS9_10device_ptrIxEEEESE_SE_xNS9_4plusIxEE19head_flag_predicatexEE10hipError_tPvRmT2_T3_T4_T5_mT6_T7_P12ihipStream_tbENKUlT_T0_E_clISt17integral_constantIbLb0EESX_IbLb1EEEEDaST_SU_EUlST_E_NS1_11comp_targetILNS1_3genE2ELNS1_11target_archE906ELNS1_3gpuE6ELNS1_3repE0EEENS1_30default_config_static_selectorELNS0_4arch9wavefront6targetE1EEEvT1_
; %bb.0:
	.section	.rodata,"a",@progbits
	.p2align	6, 0x0
	.amdhsa_kernel _ZN7rocprim17ROCPRIM_400000_NS6detail17trampoline_kernelINS0_14default_configENS1_27scan_by_key_config_selectorIxxEEZZNS1_16scan_by_key_implILNS1_25lookback_scan_determinismE0ELb1ES3_N6thrust23THRUST_200600_302600_NS6detail15normal_iteratorINS9_10device_ptrIxEEEESE_SE_xNS9_4plusIxEE19head_flag_predicatexEE10hipError_tPvRmT2_T3_T4_T5_mT6_T7_P12ihipStream_tbENKUlT_T0_E_clISt17integral_constantIbLb0EESX_IbLb1EEEEDaST_SU_EUlST_E_NS1_11comp_targetILNS1_3genE2ELNS1_11target_archE906ELNS1_3gpuE6ELNS1_3repE0EEENS1_30default_config_static_selectorELNS0_4arch9wavefront6targetE1EEEvT1_
		.amdhsa_group_segment_fixed_size 0
		.amdhsa_private_segment_fixed_size 0
		.amdhsa_kernarg_size 136
		.amdhsa_user_sgpr_count 2
		.amdhsa_user_sgpr_dispatch_ptr 0
		.amdhsa_user_sgpr_queue_ptr 0
		.amdhsa_user_sgpr_kernarg_segment_ptr 1
		.amdhsa_user_sgpr_dispatch_id 0
		.amdhsa_user_sgpr_kernarg_preload_length 0
		.amdhsa_user_sgpr_kernarg_preload_offset 0
		.amdhsa_user_sgpr_private_segment_size 0
		.amdhsa_uses_dynamic_stack 0
		.amdhsa_enable_private_segment 0
		.amdhsa_system_sgpr_workgroup_id_x 1
		.amdhsa_system_sgpr_workgroup_id_y 0
		.amdhsa_system_sgpr_workgroup_id_z 0
		.amdhsa_system_sgpr_workgroup_info 0
		.amdhsa_system_vgpr_workitem_id 0
		.amdhsa_next_free_vgpr 1
		.amdhsa_next_free_sgpr 0
		.amdhsa_accum_offset 4
		.amdhsa_reserve_vcc 0
		.amdhsa_float_round_mode_32 0
		.amdhsa_float_round_mode_16_64 0
		.amdhsa_float_denorm_mode_32 3
		.amdhsa_float_denorm_mode_16_64 3
		.amdhsa_dx10_clamp 1
		.amdhsa_ieee_mode 1
		.amdhsa_fp16_overflow 0
		.amdhsa_tg_split 0
		.amdhsa_exception_fp_ieee_invalid_op 0
		.amdhsa_exception_fp_denorm_src 0
		.amdhsa_exception_fp_ieee_div_zero 0
		.amdhsa_exception_fp_ieee_overflow 0
		.amdhsa_exception_fp_ieee_underflow 0
		.amdhsa_exception_fp_ieee_inexact 0
		.amdhsa_exception_int_div_zero 0
	.end_amdhsa_kernel
	.section	.text._ZN7rocprim17ROCPRIM_400000_NS6detail17trampoline_kernelINS0_14default_configENS1_27scan_by_key_config_selectorIxxEEZZNS1_16scan_by_key_implILNS1_25lookback_scan_determinismE0ELb1ES3_N6thrust23THRUST_200600_302600_NS6detail15normal_iteratorINS9_10device_ptrIxEEEESE_SE_xNS9_4plusIxEE19head_flag_predicatexEE10hipError_tPvRmT2_T3_T4_T5_mT6_T7_P12ihipStream_tbENKUlT_T0_E_clISt17integral_constantIbLb0EESX_IbLb1EEEEDaST_SU_EUlST_E_NS1_11comp_targetILNS1_3genE2ELNS1_11target_archE906ELNS1_3gpuE6ELNS1_3repE0EEENS1_30default_config_static_selectorELNS0_4arch9wavefront6targetE1EEEvT1_,"axG",@progbits,_ZN7rocprim17ROCPRIM_400000_NS6detail17trampoline_kernelINS0_14default_configENS1_27scan_by_key_config_selectorIxxEEZZNS1_16scan_by_key_implILNS1_25lookback_scan_determinismE0ELb1ES3_N6thrust23THRUST_200600_302600_NS6detail15normal_iteratorINS9_10device_ptrIxEEEESE_SE_xNS9_4plusIxEE19head_flag_predicatexEE10hipError_tPvRmT2_T3_T4_T5_mT6_T7_P12ihipStream_tbENKUlT_T0_E_clISt17integral_constantIbLb0EESX_IbLb1EEEEDaST_SU_EUlST_E_NS1_11comp_targetILNS1_3genE2ELNS1_11target_archE906ELNS1_3gpuE6ELNS1_3repE0EEENS1_30default_config_static_selectorELNS0_4arch9wavefront6targetE1EEEvT1_,comdat
.Lfunc_end745:
	.size	_ZN7rocprim17ROCPRIM_400000_NS6detail17trampoline_kernelINS0_14default_configENS1_27scan_by_key_config_selectorIxxEEZZNS1_16scan_by_key_implILNS1_25lookback_scan_determinismE0ELb1ES3_N6thrust23THRUST_200600_302600_NS6detail15normal_iteratorINS9_10device_ptrIxEEEESE_SE_xNS9_4plusIxEE19head_flag_predicatexEE10hipError_tPvRmT2_T3_T4_T5_mT6_T7_P12ihipStream_tbENKUlT_T0_E_clISt17integral_constantIbLb0EESX_IbLb1EEEEDaST_SU_EUlST_E_NS1_11comp_targetILNS1_3genE2ELNS1_11target_archE906ELNS1_3gpuE6ELNS1_3repE0EEENS1_30default_config_static_selectorELNS0_4arch9wavefront6targetE1EEEvT1_, .Lfunc_end745-_ZN7rocprim17ROCPRIM_400000_NS6detail17trampoline_kernelINS0_14default_configENS1_27scan_by_key_config_selectorIxxEEZZNS1_16scan_by_key_implILNS1_25lookback_scan_determinismE0ELb1ES3_N6thrust23THRUST_200600_302600_NS6detail15normal_iteratorINS9_10device_ptrIxEEEESE_SE_xNS9_4plusIxEE19head_flag_predicatexEE10hipError_tPvRmT2_T3_T4_T5_mT6_T7_P12ihipStream_tbENKUlT_T0_E_clISt17integral_constantIbLb0EESX_IbLb1EEEEDaST_SU_EUlST_E_NS1_11comp_targetILNS1_3genE2ELNS1_11target_archE906ELNS1_3gpuE6ELNS1_3repE0EEENS1_30default_config_static_selectorELNS0_4arch9wavefront6targetE1EEEvT1_
                                        ; -- End function
	.section	.AMDGPU.csdata,"",@progbits
; Kernel info:
; codeLenInByte = 0
; NumSgprs: 6
; NumVgprs: 0
; NumAgprs: 0
; TotalNumVgprs: 0
; ScratchSize: 0
; MemoryBound: 0
; FloatMode: 240
; IeeeMode: 1
; LDSByteSize: 0 bytes/workgroup (compile time only)
; SGPRBlocks: 0
; VGPRBlocks: 0
; NumSGPRsForWavesPerEU: 6
; NumVGPRsForWavesPerEU: 1
; AccumOffset: 4
; Occupancy: 8
; WaveLimiterHint : 0
; COMPUTE_PGM_RSRC2:SCRATCH_EN: 0
; COMPUTE_PGM_RSRC2:USER_SGPR: 2
; COMPUTE_PGM_RSRC2:TRAP_HANDLER: 0
; COMPUTE_PGM_RSRC2:TGID_X_EN: 1
; COMPUTE_PGM_RSRC2:TGID_Y_EN: 0
; COMPUTE_PGM_RSRC2:TGID_Z_EN: 0
; COMPUTE_PGM_RSRC2:TIDIG_COMP_CNT: 0
; COMPUTE_PGM_RSRC3_GFX90A:ACCUM_OFFSET: 0
; COMPUTE_PGM_RSRC3_GFX90A:TG_SPLIT: 0
	.section	.text._ZN7rocprim17ROCPRIM_400000_NS6detail17trampoline_kernelINS0_14default_configENS1_27scan_by_key_config_selectorIxxEEZZNS1_16scan_by_key_implILNS1_25lookback_scan_determinismE0ELb1ES3_N6thrust23THRUST_200600_302600_NS6detail15normal_iteratorINS9_10device_ptrIxEEEESE_SE_xNS9_4plusIxEE19head_flag_predicatexEE10hipError_tPvRmT2_T3_T4_T5_mT6_T7_P12ihipStream_tbENKUlT_T0_E_clISt17integral_constantIbLb0EESX_IbLb1EEEEDaST_SU_EUlST_E_NS1_11comp_targetILNS1_3genE10ELNS1_11target_archE1200ELNS1_3gpuE4ELNS1_3repE0EEENS1_30default_config_static_selectorELNS0_4arch9wavefront6targetE1EEEvT1_,"axG",@progbits,_ZN7rocprim17ROCPRIM_400000_NS6detail17trampoline_kernelINS0_14default_configENS1_27scan_by_key_config_selectorIxxEEZZNS1_16scan_by_key_implILNS1_25lookback_scan_determinismE0ELb1ES3_N6thrust23THRUST_200600_302600_NS6detail15normal_iteratorINS9_10device_ptrIxEEEESE_SE_xNS9_4plusIxEE19head_flag_predicatexEE10hipError_tPvRmT2_T3_T4_T5_mT6_T7_P12ihipStream_tbENKUlT_T0_E_clISt17integral_constantIbLb0EESX_IbLb1EEEEDaST_SU_EUlST_E_NS1_11comp_targetILNS1_3genE10ELNS1_11target_archE1200ELNS1_3gpuE4ELNS1_3repE0EEENS1_30default_config_static_selectorELNS0_4arch9wavefront6targetE1EEEvT1_,comdat
	.protected	_ZN7rocprim17ROCPRIM_400000_NS6detail17trampoline_kernelINS0_14default_configENS1_27scan_by_key_config_selectorIxxEEZZNS1_16scan_by_key_implILNS1_25lookback_scan_determinismE0ELb1ES3_N6thrust23THRUST_200600_302600_NS6detail15normal_iteratorINS9_10device_ptrIxEEEESE_SE_xNS9_4plusIxEE19head_flag_predicatexEE10hipError_tPvRmT2_T3_T4_T5_mT6_T7_P12ihipStream_tbENKUlT_T0_E_clISt17integral_constantIbLb0EESX_IbLb1EEEEDaST_SU_EUlST_E_NS1_11comp_targetILNS1_3genE10ELNS1_11target_archE1200ELNS1_3gpuE4ELNS1_3repE0EEENS1_30default_config_static_selectorELNS0_4arch9wavefront6targetE1EEEvT1_ ; -- Begin function _ZN7rocprim17ROCPRIM_400000_NS6detail17trampoline_kernelINS0_14default_configENS1_27scan_by_key_config_selectorIxxEEZZNS1_16scan_by_key_implILNS1_25lookback_scan_determinismE0ELb1ES3_N6thrust23THRUST_200600_302600_NS6detail15normal_iteratorINS9_10device_ptrIxEEEESE_SE_xNS9_4plusIxEE19head_flag_predicatexEE10hipError_tPvRmT2_T3_T4_T5_mT6_T7_P12ihipStream_tbENKUlT_T0_E_clISt17integral_constantIbLb0EESX_IbLb1EEEEDaST_SU_EUlST_E_NS1_11comp_targetILNS1_3genE10ELNS1_11target_archE1200ELNS1_3gpuE4ELNS1_3repE0EEENS1_30default_config_static_selectorELNS0_4arch9wavefront6targetE1EEEvT1_
	.globl	_ZN7rocprim17ROCPRIM_400000_NS6detail17trampoline_kernelINS0_14default_configENS1_27scan_by_key_config_selectorIxxEEZZNS1_16scan_by_key_implILNS1_25lookback_scan_determinismE0ELb1ES3_N6thrust23THRUST_200600_302600_NS6detail15normal_iteratorINS9_10device_ptrIxEEEESE_SE_xNS9_4plusIxEE19head_flag_predicatexEE10hipError_tPvRmT2_T3_T4_T5_mT6_T7_P12ihipStream_tbENKUlT_T0_E_clISt17integral_constantIbLb0EESX_IbLb1EEEEDaST_SU_EUlST_E_NS1_11comp_targetILNS1_3genE10ELNS1_11target_archE1200ELNS1_3gpuE4ELNS1_3repE0EEENS1_30default_config_static_selectorELNS0_4arch9wavefront6targetE1EEEvT1_
	.p2align	8
	.type	_ZN7rocprim17ROCPRIM_400000_NS6detail17trampoline_kernelINS0_14default_configENS1_27scan_by_key_config_selectorIxxEEZZNS1_16scan_by_key_implILNS1_25lookback_scan_determinismE0ELb1ES3_N6thrust23THRUST_200600_302600_NS6detail15normal_iteratorINS9_10device_ptrIxEEEESE_SE_xNS9_4plusIxEE19head_flag_predicatexEE10hipError_tPvRmT2_T3_T4_T5_mT6_T7_P12ihipStream_tbENKUlT_T0_E_clISt17integral_constantIbLb0EESX_IbLb1EEEEDaST_SU_EUlST_E_NS1_11comp_targetILNS1_3genE10ELNS1_11target_archE1200ELNS1_3gpuE4ELNS1_3repE0EEENS1_30default_config_static_selectorELNS0_4arch9wavefront6targetE1EEEvT1_,@function
_ZN7rocprim17ROCPRIM_400000_NS6detail17trampoline_kernelINS0_14default_configENS1_27scan_by_key_config_selectorIxxEEZZNS1_16scan_by_key_implILNS1_25lookback_scan_determinismE0ELb1ES3_N6thrust23THRUST_200600_302600_NS6detail15normal_iteratorINS9_10device_ptrIxEEEESE_SE_xNS9_4plusIxEE19head_flag_predicatexEE10hipError_tPvRmT2_T3_T4_T5_mT6_T7_P12ihipStream_tbENKUlT_T0_E_clISt17integral_constantIbLb0EESX_IbLb1EEEEDaST_SU_EUlST_E_NS1_11comp_targetILNS1_3genE10ELNS1_11target_archE1200ELNS1_3gpuE4ELNS1_3repE0EEENS1_30default_config_static_selectorELNS0_4arch9wavefront6targetE1EEEvT1_: ; @_ZN7rocprim17ROCPRIM_400000_NS6detail17trampoline_kernelINS0_14default_configENS1_27scan_by_key_config_selectorIxxEEZZNS1_16scan_by_key_implILNS1_25lookback_scan_determinismE0ELb1ES3_N6thrust23THRUST_200600_302600_NS6detail15normal_iteratorINS9_10device_ptrIxEEEESE_SE_xNS9_4plusIxEE19head_flag_predicatexEE10hipError_tPvRmT2_T3_T4_T5_mT6_T7_P12ihipStream_tbENKUlT_T0_E_clISt17integral_constantIbLb0EESX_IbLb1EEEEDaST_SU_EUlST_E_NS1_11comp_targetILNS1_3genE10ELNS1_11target_archE1200ELNS1_3gpuE4ELNS1_3repE0EEENS1_30default_config_static_selectorELNS0_4arch9wavefront6targetE1EEEvT1_
; %bb.0:
	.section	.rodata,"a",@progbits
	.p2align	6, 0x0
	.amdhsa_kernel _ZN7rocprim17ROCPRIM_400000_NS6detail17trampoline_kernelINS0_14default_configENS1_27scan_by_key_config_selectorIxxEEZZNS1_16scan_by_key_implILNS1_25lookback_scan_determinismE0ELb1ES3_N6thrust23THRUST_200600_302600_NS6detail15normal_iteratorINS9_10device_ptrIxEEEESE_SE_xNS9_4plusIxEE19head_flag_predicatexEE10hipError_tPvRmT2_T3_T4_T5_mT6_T7_P12ihipStream_tbENKUlT_T0_E_clISt17integral_constantIbLb0EESX_IbLb1EEEEDaST_SU_EUlST_E_NS1_11comp_targetILNS1_3genE10ELNS1_11target_archE1200ELNS1_3gpuE4ELNS1_3repE0EEENS1_30default_config_static_selectorELNS0_4arch9wavefront6targetE1EEEvT1_
		.amdhsa_group_segment_fixed_size 0
		.amdhsa_private_segment_fixed_size 0
		.amdhsa_kernarg_size 136
		.amdhsa_user_sgpr_count 2
		.amdhsa_user_sgpr_dispatch_ptr 0
		.amdhsa_user_sgpr_queue_ptr 0
		.amdhsa_user_sgpr_kernarg_segment_ptr 1
		.amdhsa_user_sgpr_dispatch_id 0
		.amdhsa_user_sgpr_kernarg_preload_length 0
		.amdhsa_user_sgpr_kernarg_preload_offset 0
		.amdhsa_user_sgpr_private_segment_size 0
		.amdhsa_uses_dynamic_stack 0
		.amdhsa_enable_private_segment 0
		.amdhsa_system_sgpr_workgroup_id_x 1
		.amdhsa_system_sgpr_workgroup_id_y 0
		.amdhsa_system_sgpr_workgroup_id_z 0
		.amdhsa_system_sgpr_workgroup_info 0
		.amdhsa_system_vgpr_workitem_id 0
		.amdhsa_next_free_vgpr 1
		.amdhsa_next_free_sgpr 0
		.amdhsa_accum_offset 4
		.amdhsa_reserve_vcc 0
		.amdhsa_float_round_mode_32 0
		.amdhsa_float_round_mode_16_64 0
		.amdhsa_float_denorm_mode_32 3
		.amdhsa_float_denorm_mode_16_64 3
		.amdhsa_dx10_clamp 1
		.amdhsa_ieee_mode 1
		.amdhsa_fp16_overflow 0
		.amdhsa_tg_split 0
		.amdhsa_exception_fp_ieee_invalid_op 0
		.amdhsa_exception_fp_denorm_src 0
		.amdhsa_exception_fp_ieee_div_zero 0
		.amdhsa_exception_fp_ieee_overflow 0
		.amdhsa_exception_fp_ieee_underflow 0
		.amdhsa_exception_fp_ieee_inexact 0
		.amdhsa_exception_int_div_zero 0
	.end_amdhsa_kernel
	.section	.text._ZN7rocprim17ROCPRIM_400000_NS6detail17trampoline_kernelINS0_14default_configENS1_27scan_by_key_config_selectorIxxEEZZNS1_16scan_by_key_implILNS1_25lookback_scan_determinismE0ELb1ES3_N6thrust23THRUST_200600_302600_NS6detail15normal_iteratorINS9_10device_ptrIxEEEESE_SE_xNS9_4plusIxEE19head_flag_predicatexEE10hipError_tPvRmT2_T3_T4_T5_mT6_T7_P12ihipStream_tbENKUlT_T0_E_clISt17integral_constantIbLb0EESX_IbLb1EEEEDaST_SU_EUlST_E_NS1_11comp_targetILNS1_3genE10ELNS1_11target_archE1200ELNS1_3gpuE4ELNS1_3repE0EEENS1_30default_config_static_selectorELNS0_4arch9wavefront6targetE1EEEvT1_,"axG",@progbits,_ZN7rocprim17ROCPRIM_400000_NS6detail17trampoline_kernelINS0_14default_configENS1_27scan_by_key_config_selectorIxxEEZZNS1_16scan_by_key_implILNS1_25lookback_scan_determinismE0ELb1ES3_N6thrust23THRUST_200600_302600_NS6detail15normal_iteratorINS9_10device_ptrIxEEEESE_SE_xNS9_4plusIxEE19head_flag_predicatexEE10hipError_tPvRmT2_T3_T4_T5_mT6_T7_P12ihipStream_tbENKUlT_T0_E_clISt17integral_constantIbLb0EESX_IbLb1EEEEDaST_SU_EUlST_E_NS1_11comp_targetILNS1_3genE10ELNS1_11target_archE1200ELNS1_3gpuE4ELNS1_3repE0EEENS1_30default_config_static_selectorELNS0_4arch9wavefront6targetE1EEEvT1_,comdat
.Lfunc_end746:
	.size	_ZN7rocprim17ROCPRIM_400000_NS6detail17trampoline_kernelINS0_14default_configENS1_27scan_by_key_config_selectorIxxEEZZNS1_16scan_by_key_implILNS1_25lookback_scan_determinismE0ELb1ES3_N6thrust23THRUST_200600_302600_NS6detail15normal_iteratorINS9_10device_ptrIxEEEESE_SE_xNS9_4plusIxEE19head_flag_predicatexEE10hipError_tPvRmT2_T3_T4_T5_mT6_T7_P12ihipStream_tbENKUlT_T0_E_clISt17integral_constantIbLb0EESX_IbLb1EEEEDaST_SU_EUlST_E_NS1_11comp_targetILNS1_3genE10ELNS1_11target_archE1200ELNS1_3gpuE4ELNS1_3repE0EEENS1_30default_config_static_selectorELNS0_4arch9wavefront6targetE1EEEvT1_, .Lfunc_end746-_ZN7rocprim17ROCPRIM_400000_NS6detail17trampoline_kernelINS0_14default_configENS1_27scan_by_key_config_selectorIxxEEZZNS1_16scan_by_key_implILNS1_25lookback_scan_determinismE0ELb1ES3_N6thrust23THRUST_200600_302600_NS6detail15normal_iteratorINS9_10device_ptrIxEEEESE_SE_xNS9_4plusIxEE19head_flag_predicatexEE10hipError_tPvRmT2_T3_T4_T5_mT6_T7_P12ihipStream_tbENKUlT_T0_E_clISt17integral_constantIbLb0EESX_IbLb1EEEEDaST_SU_EUlST_E_NS1_11comp_targetILNS1_3genE10ELNS1_11target_archE1200ELNS1_3gpuE4ELNS1_3repE0EEENS1_30default_config_static_selectorELNS0_4arch9wavefront6targetE1EEEvT1_
                                        ; -- End function
	.section	.AMDGPU.csdata,"",@progbits
; Kernel info:
; codeLenInByte = 0
; NumSgprs: 6
; NumVgprs: 0
; NumAgprs: 0
; TotalNumVgprs: 0
; ScratchSize: 0
; MemoryBound: 0
; FloatMode: 240
; IeeeMode: 1
; LDSByteSize: 0 bytes/workgroup (compile time only)
; SGPRBlocks: 0
; VGPRBlocks: 0
; NumSGPRsForWavesPerEU: 6
; NumVGPRsForWavesPerEU: 1
; AccumOffset: 4
; Occupancy: 8
; WaveLimiterHint : 0
; COMPUTE_PGM_RSRC2:SCRATCH_EN: 0
; COMPUTE_PGM_RSRC2:USER_SGPR: 2
; COMPUTE_PGM_RSRC2:TRAP_HANDLER: 0
; COMPUTE_PGM_RSRC2:TGID_X_EN: 1
; COMPUTE_PGM_RSRC2:TGID_Y_EN: 0
; COMPUTE_PGM_RSRC2:TGID_Z_EN: 0
; COMPUTE_PGM_RSRC2:TIDIG_COMP_CNT: 0
; COMPUTE_PGM_RSRC3_GFX90A:ACCUM_OFFSET: 0
; COMPUTE_PGM_RSRC3_GFX90A:TG_SPLIT: 0
	.section	.text._ZN7rocprim17ROCPRIM_400000_NS6detail17trampoline_kernelINS0_14default_configENS1_27scan_by_key_config_selectorIxxEEZZNS1_16scan_by_key_implILNS1_25lookback_scan_determinismE0ELb1ES3_N6thrust23THRUST_200600_302600_NS6detail15normal_iteratorINS9_10device_ptrIxEEEESE_SE_xNS9_4plusIxEE19head_flag_predicatexEE10hipError_tPvRmT2_T3_T4_T5_mT6_T7_P12ihipStream_tbENKUlT_T0_E_clISt17integral_constantIbLb0EESX_IbLb1EEEEDaST_SU_EUlST_E_NS1_11comp_targetILNS1_3genE9ELNS1_11target_archE1100ELNS1_3gpuE3ELNS1_3repE0EEENS1_30default_config_static_selectorELNS0_4arch9wavefront6targetE1EEEvT1_,"axG",@progbits,_ZN7rocprim17ROCPRIM_400000_NS6detail17trampoline_kernelINS0_14default_configENS1_27scan_by_key_config_selectorIxxEEZZNS1_16scan_by_key_implILNS1_25lookback_scan_determinismE0ELb1ES3_N6thrust23THRUST_200600_302600_NS6detail15normal_iteratorINS9_10device_ptrIxEEEESE_SE_xNS9_4plusIxEE19head_flag_predicatexEE10hipError_tPvRmT2_T3_T4_T5_mT6_T7_P12ihipStream_tbENKUlT_T0_E_clISt17integral_constantIbLb0EESX_IbLb1EEEEDaST_SU_EUlST_E_NS1_11comp_targetILNS1_3genE9ELNS1_11target_archE1100ELNS1_3gpuE3ELNS1_3repE0EEENS1_30default_config_static_selectorELNS0_4arch9wavefront6targetE1EEEvT1_,comdat
	.protected	_ZN7rocprim17ROCPRIM_400000_NS6detail17trampoline_kernelINS0_14default_configENS1_27scan_by_key_config_selectorIxxEEZZNS1_16scan_by_key_implILNS1_25lookback_scan_determinismE0ELb1ES3_N6thrust23THRUST_200600_302600_NS6detail15normal_iteratorINS9_10device_ptrIxEEEESE_SE_xNS9_4plusIxEE19head_flag_predicatexEE10hipError_tPvRmT2_T3_T4_T5_mT6_T7_P12ihipStream_tbENKUlT_T0_E_clISt17integral_constantIbLb0EESX_IbLb1EEEEDaST_SU_EUlST_E_NS1_11comp_targetILNS1_3genE9ELNS1_11target_archE1100ELNS1_3gpuE3ELNS1_3repE0EEENS1_30default_config_static_selectorELNS0_4arch9wavefront6targetE1EEEvT1_ ; -- Begin function _ZN7rocprim17ROCPRIM_400000_NS6detail17trampoline_kernelINS0_14default_configENS1_27scan_by_key_config_selectorIxxEEZZNS1_16scan_by_key_implILNS1_25lookback_scan_determinismE0ELb1ES3_N6thrust23THRUST_200600_302600_NS6detail15normal_iteratorINS9_10device_ptrIxEEEESE_SE_xNS9_4plusIxEE19head_flag_predicatexEE10hipError_tPvRmT2_T3_T4_T5_mT6_T7_P12ihipStream_tbENKUlT_T0_E_clISt17integral_constantIbLb0EESX_IbLb1EEEEDaST_SU_EUlST_E_NS1_11comp_targetILNS1_3genE9ELNS1_11target_archE1100ELNS1_3gpuE3ELNS1_3repE0EEENS1_30default_config_static_selectorELNS0_4arch9wavefront6targetE1EEEvT1_
	.globl	_ZN7rocprim17ROCPRIM_400000_NS6detail17trampoline_kernelINS0_14default_configENS1_27scan_by_key_config_selectorIxxEEZZNS1_16scan_by_key_implILNS1_25lookback_scan_determinismE0ELb1ES3_N6thrust23THRUST_200600_302600_NS6detail15normal_iteratorINS9_10device_ptrIxEEEESE_SE_xNS9_4plusIxEE19head_flag_predicatexEE10hipError_tPvRmT2_T3_T4_T5_mT6_T7_P12ihipStream_tbENKUlT_T0_E_clISt17integral_constantIbLb0EESX_IbLb1EEEEDaST_SU_EUlST_E_NS1_11comp_targetILNS1_3genE9ELNS1_11target_archE1100ELNS1_3gpuE3ELNS1_3repE0EEENS1_30default_config_static_selectorELNS0_4arch9wavefront6targetE1EEEvT1_
	.p2align	8
	.type	_ZN7rocprim17ROCPRIM_400000_NS6detail17trampoline_kernelINS0_14default_configENS1_27scan_by_key_config_selectorIxxEEZZNS1_16scan_by_key_implILNS1_25lookback_scan_determinismE0ELb1ES3_N6thrust23THRUST_200600_302600_NS6detail15normal_iteratorINS9_10device_ptrIxEEEESE_SE_xNS9_4plusIxEE19head_flag_predicatexEE10hipError_tPvRmT2_T3_T4_T5_mT6_T7_P12ihipStream_tbENKUlT_T0_E_clISt17integral_constantIbLb0EESX_IbLb1EEEEDaST_SU_EUlST_E_NS1_11comp_targetILNS1_3genE9ELNS1_11target_archE1100ELNS1_3gpuE3ELNS1_3repE0EEENS1_30default_config_static_selectorELNS0_4arch9wavefront6targetE1EEEvT1_,@function
_ZN7rocprim17ROCPRIM_400000_NS6detail17trampoline_kernelINS0_14default_configENS1_27scan_by_key_config_selectorIxxEEZZNS1_16scan_by_key_implILNS1_25lookback_scan_determinismE0ELb1ES3_N6thrust23THRUST_200600_302600_NS6detail15normal_iteratorINS9_10device_ptrIxEEEESE_SE_xNS9_4plusIxEE19head_flag_predicatexEE10hipError_tPvRmT2_T3_T4_T5_mT6_T7_P12ihipStream_tbENKUlT_T0_E_clISt17integral_constantIbLb0EESX_IbLb1EEEEDaST_SU_EUlST_E_NS1_11comp_targetILNS1_3genE9ELNS1_11target_archE1100ELNS1_3gpuE3ELNS1_3repE0EEENS1_30default_config_static_selectorELNS0_4arch9wavefront6targetE1EEEvT1_: ; @_ZN7rocprim17ROCPRIM_400000_NS6detail17trampoline_kernelINS0_14default_configENS1_27scan_by_key_config_selectorIxxEEZZNS1_16scan_by_key_implILNS1_25lookback_scan_determinismE0ELb1ES3_N6thrust23THRUST_200600_302600_NS6detail15normal_iteratorINS9_10device_ptrIxEEEESE_SE_xNS9_4plusIxEE19head_flag_predicatexEE10hipError_tPvRmT2_T3_T4_T5_mT6_T7_P12ihipStream_tbENKUlT_T0_E_clISt17integral_constantIbLb0EESX_IbLb1EEEEDaST_SU_EUlST_E_NS1_11comp_targetILNS1_3genE9ELNS1_11target_archE1100ELNS1_3gpuE3ELNS1_3repE0EEENS1_30default_config_static_selectorELNS0_4arch9wavefront6targetE1EEEvT1_
; %bb.0:
	.section	.rodata,"a",@progbits
	.p2align	6, 0x0
	.amdhsa_kernel _ZN7rocprim17ROCPRIM_400000_NS6detail17trampoline_kernelINS0_14default_configENS1_27scan_by_key_config_selectorIxxEEZZNS1_16scan_by_key_implILNS1_25lookback_scan_determinismE0ELb1ES3_N6thrust23THRUST_200600_302600_NS6detail15normal_iteratorINS9_10device_ptrIxEEEESE_SE_xNS9_4plusIxEE19head_flag_predicatexEE10hipError_tPvRmT2_T3_T4_T5_mT6_T7_P12ihipStream_tbENKUlT_T0_E_clISt17integral_constantIbLb0EESX_IbLb1EEEEDaST_SU_EUlST_E_NS1_11comp_targetILNS1_3genE9ELNS1_11target_archE1100ELNS1_3gpuE3ELNS1_3repE0EEENS1_30default_config_static_selectorELNS0_4arch9wavefront6targetE1EEEvT1_
		.amdhsa_group_segment_fixed_size 0
		.amdhsa_private_segment_fixed_size 0
		.amdhsa_kernarg_size 136
		.amdhsa_user_sgpr_count 2
		.amdhsa_user_sgpr_dispatch_ptr 0
		.amdhsa_user_sgpr_queue_ptr 0
		.amdhsa_user_sgpr_kernarg_segment_ptr 1
		.amdhsa_user_sgpr_dispatch_id 0
		.amdhsa_user_sgpr_kernarg_preload_length 0
		.amdhsa_user_sgpr_kernarg_preload_offset 0
		.amdhsa_user_sgpr_private_segment_size 0
		.amdhsa_uses_dynamic_stack 0
		.amdhsa_enable_private_segment 0
		.amdhsa_system_sgpr_workgroup_id_x 1
		.amdhsa_system_sgpr_workgroup_id_y 0
		.amdhsa_system_sgpr_workgroup_id_z 0
		.amdhsa_system_sgpr_workgroup_info 0
		.amdhsa_system_vgpr_workitem_id 0
		.amdhsa_next_free_vgpr 1
		.amdhsa_next_free_sgpr 0
		.amdhsa_accum_offset 4
		.amdhsa_reserve_vcc 0
		.amdhsa_float_round_mode_32 0
		.amdhsa_float_round_mode_16_64 0
		.amdhsa_float_denorm_mode_32 3
		.amdhsa_float_denorm_mode_16_64 3
		.amdhsa_dx10_clamp 1
		.amdhsa_ieee_mode 1
		.amdhsa_fp16_overflow 0
		.amdhsa_tg_split 0
		.amdhsa_exception_fp_ieee_invalid_op 0
		.amdhsa_exception_fp_denorm_src 0
		.amdhsa_exception_fp_ieee_div_zero 0
		.amdhsa_exception_fp_ieee_overflow 0
		.amdhsa_exception_fp_ieee_underflow 0
		.amdhsa_exception_fp_ieee_inexact 0
		.amdhsa_exception_int_div_zero 0
	.end_amdhsa_kernel
	.section	.text._ZN7rocprim17ROCPRIM_400000_NS6detail17trampoline_kernelINS0_14default_configENS1_27scan_by_key_config_selectorIxxEEZZNS1_16scan_by_key_implILNS1_25lookback_scan_determinismE0ELb1ES3_N6thrust23THRUST_200600_302600_NS6detail15normal_iteratorINS9_10device_ptrIxEEEESE_SE_xNS9_4plusIxEE19head_flag_predicatexEE10hipError_tPvRmT2_T3_T4_T5_mT6_T7_P12ihipStream_tbENKUlT_T0_E_clISt17integral_constantIbLb0EESX_IbLb1EEEEDaST_SU_EUlST_E_NS1_11comp_targetILNS1_3genE9ELNS1_11target_archE1100ELNS1_3gpuE3ELNS1_3repE0EEENS1_30default_config_static_selectorELNS0_4arch9wavefront6targetE1EEEvT1_,"axG",@progbits,_ZN7rocprim17ROCPRIM_400000_NS6detail17trampoline_kernelINS0_14default_configENS1_27scan_by_key_config_selectorIxxEEZZNS1_16scan_by_key_implILNS1_25lookback_scan_determinismE0ELb1ES3_N6thrust23THRUST_200600_302600_NS6detail15normal_iteratorINS9_10device_ptrIxEEEESE_SE_xNS9_4plusIxEE19head_flag_predicatexEE10hipError_tPvRmT2_T3_T4_T5_mT6_T7_P12ihipStream_tbENKUlT_T0_E_clISt17integral_constantIbLb0EESX_IbLb1EEEEDaST_SU_EUlST_E_NS1_11comp_targetILNS1_3genE9ELNS1_11target_archE1100ELNS1_3gpuE3ELNS1_3repE0EEENS1_30default_config_static_selectorELNS0_4arch9wavefront6targetE1EEEvT1_,comdat
.Lfunc_end747:
	.size	_ZN7rocprim17ROCPRIM_400000_NS6detail17trampoline_kernelINS0_14default_configENS1_27scan_by_key_config_selectorIxxEEZZNS1_16scan_by_key_implILNS1_25lookback_scan_determinismE0ELb1ES3_N6thrust23THRUST_200600_302600_NS6detail15normal_iteratorINS9_10device_ptrIxEEEESE_SE_xNS9_4plusIxEE19head_flag_predicatexEE10hipError_tPvRmT2_T3_T4_T5_mT6_T7_P12ihipStream_tbENKUlT_T0_E_clISt17integral_constantIbLb0EESX_IbLb1EEEEDaST_SU_EUlST_E_NS1_11comp_targetILNS1_3genE9ELNS1_11target_archE1100ELNS1_3gpuE3ELNS1_3repE0EEENS1_30default_config_static_selectorELNS0_4arch9wavefront6targetE1EEEvT1_, .Lfunc_end747-_ZN7rocprim17ROCPRIM_400000_NS6detail17trampoline_kernelINS0_14default_configENS1_27scan_by_key_config_selectorIxxEEZZNS1_16scan_by_key_implILNS1_25lookback_scan_determinismE0ELb1ES3_N6thrust23THRUST_200600_302600_NS6detail15normal_iteratorINS9_10device_ptrIxEEEESE_SE_xNS9_4plusIxEE19head_flag_predicatexEE10hipError_tPvRmT2_T3_T4_T5_mT6_T7_P12ihipStream_tbENKUlT_T0_E_clISt17integral_constantIbLb0EESX_IbLb1EEEEDaST_SU_EUlST_E_NS1_11comp_targetILNS1_3genE9ELNS1_11target_archE1100ELNS1_3gpuE3ELNS1_3repE0EEENS1_30default_config_static_selectorELNS0_4arch9wavefront6targetE1EEEvT1_
                                        ; -- End function
	.section	.AMDGPU.csdata,"",@progbits
; Kernel info:
; codeLenInByte = 0
; NumSgprs: 6
; NumVgprs: 0
; NumAgprs: 0
; TotalNumVgprs: 0
; ScratchSize: 0
; MemoryBound: 0
; FloatMode: 240
; IeeeMode: 1
; LDSByteSize: 0 bytes/workgroup (compile time only)
; SGPRBlocks: 0
; VGPRBlocks: 0
; NumSGPRsForWavesPerEU: 6
; NumVGPRsForWavesPerEU: 1
; AccumOffset: 4
; Occupancy: 8
; WaveLimiterHint : 0
; COMPUTE_PGM_RSRC2:SCRATCH_EN: 0
; COMPUTE_PGM_RSRC2:USER_SGPR: 2
; COMPUTE_PGM_RSRC2:TRAP_HANDLER: 0
; COMPUTE_PGM_RSRC2:TGID_X_EN: 1
; COMPUTE_PGM_RSRC2:TGID_Y_EN: 0
; COMPUTE_PGM_RSRC2:TGID_Z_EN: 0
; COMPUTE_PGM_RSRC2:TIDIG_COMP_CNT: 0
; COMPUTE_PGM_RSRC3_GFX90A:ACCUM_OFFSET: 0
; COMPUTE_PGM_RSRC3_GFX90A:TG_SPLIT: 0
	.section	.text._ZN7rocprim17ROCPRIM_400000_NS6detail17trampoline_kernelINS0_14default_configENS1_27scan_by_key_config_selectorIxxEEZZNS1_16scan_by_key_implILNS1_25lookback_scan_determinismE0ELb1ES3_N6thrust23THRUST_200600_302600_NS6detail15normal_iteratorINS9_10device_ptrIxEEEESE_SE_xNS9_4plusIxEE19head_flag_predicatexEE10hipError_tPvRmT2_T3_T4_T5_mT6_T7_P12ihipStream_tbENKUlT_T0_E_clISt17integral_constantIbLb0EESX_IbLb1EEEEDaST_SU_EUlST_E_NS1_11comp_targetILNS1_3genE8ELNS1_11target_archE1030ELNS1_3gpuE2ELNS1_3repE0EEENS1_30default_config_static_selectorELNS0_4arch9wavefront6targetE1EEEvT1_,"axG",@progbits,_ZN7rocprim17ROCPRIM_400000_NS6detail17trampoline_kernelINS0_14default_configENS1_27scan_by_key_config_selectorIxxEEZZNS1_16scan_by_key_implILNS1_25lookback_scan_determinismE0ELb1ES3_N6thrust23THRUST_200600_302600_NS6detail15normal_iteratorINS9_10device_ptrIxEEEESE_SE_xNS9_4plusIxEE19head_flag_predicatexEE10hipError_tPvRmT2_T3_T4_T5_mT6_T7_P12ihipStream_tbENKUlT_T0_E_clISt17integral_constantIbLb0EESX_IbLb1EEEEDaST_SU_EUlST_E_NS1_11comp_targetILNS1_3genE8ELNS1_11target_archE1030ELNS1_3gpuE2ELNS1_3repE0EEENS1_30default_config_static_selectorELNS0_4arch9wavefront6targetE1EEEvT1_,comdat
	.protected	_ZN7rocprim17ROCPRIM_400000_NS6detail17trampoline_kernelINS0_14default_configENS1_27scan_by_key_config_selectorIxxEEZZNS1_16scan_by_key_implILNS1_25lookback_scan_determinismE0ELb1ES3_N6thrust23THRUST_200600_302600_NS6detail15normal_iteratorINS9_10device_ptrIxEEEESE_SE_xNS9_4plusIxEE19head_flag_predicatexEE10hipError_tPvRmT2_T3_T4_T5_mT6_T7_P12ihipStream_tbENKUlT_T0_E_clISt17integral_constantIbLb0EESX_IbLb1EEEEDaST_SU_EUlST_E_NS1_11comp_targetILNS1_3genE8ELNS1_11target_archE1030ELNS1_3gpuE2ELNS1_3repE0EEENS1_30default_config_static_selectorELNS0_4arch9wavefront6targetE1EEEvT1_ ; -- Begin function _ZN7rocprim17ROCPRIM_400000_NS6detail17trampoline_kernelINS0_14default_configENS1_27scan_by_key_config_selectorIxxEEZZNS1_16scan_by_key_implILNS1_25lookback_scan_determinismE0ELb1ES3_N6thrust23THRUST_200600_302600_NS6detail15normal_iteratorINS9_10device_ptrIxEEEESE_SE_xNS9_4plusIxEE19head_flag_predicatexEE10hipError_tPvRmT2_T3_T4_T5_mT6_T7_P12ihipStream_tbENKUlT_T0_E_clISt17integral_constantIbLb0EESX_IbLb1EEEEDaST_SU_EUlST_E_NS1_11comp_targetILNS1_3genE8ELNS1_11target_archE1030ELNS1_3gpuE2ELNS1_3repE0EEENS1_30default_config_static_selectorELNS0_4arch9wavefront6targetE1EEEvT1_
	.globl	_ZN7rocprim17ROCPRIM_400000_NS6detail17trampoline_kernelINS0_14default_configENS1_27scan_by_key_config_selectorIxxEEZZNS1_16scan_by_key_implILNS1_25lookback_scan_determinismE0ELb1ES3_N6thrust23THRUST_200600_302600_NS6detail15normal_iteratorINS9_10device_ptrIxEEEESE_SE_xNS9_4plusIxEE19head_flag_predicatexEE10hipError_tPvRmT2_T3_T4_T5_mT6_T7_P12ihipStream_tbENKUlT_T0_E_clISt17integral_constantIbLb0EESX_IbLb1EEEEDaST_SU_EUlST_E_NS1_11comp_targetILNS1_3genE8ELNS1_11target_archE1030ELNS1_3gpuE2ELNS1_3repE0EEENS1_30default_config_static_selectorELNS0_4arch9wavefront6targetE1EEEvT1_
	.p2align	8
	.type	_ZN7rocprim17ROCPRIM_400000_NS6detail17trampoline_kernelINS0_14default_configENS1_27scan_by_key_config_selectorIxxEEZZNS1_16scan_by_key_implILNS1_25lookback_scan_determinismE0ELb1ES3_N6thrust23THRUST_200600_302600_NS6detail15normal_iteratorINS9_10device_ptrIxEEEESE_SE_xNS9_4plusIxEE19head_flag_predicatexEE10hipError_tPvRmT2_T3_T4_T5_mT6_T7_P12ihipStream_tbENKUlT_T0_E_clISt17integral_constantIbLb0EESX_IbLb1EEEEDaST_SU_EUlST_E_NS1_11comp_targetILNS1_3genE8ELNS1_11target_archE1030ELNS1_3gpuE2ELNS1_3repE0EEENS1_30default_config_static_selectorELNS0_4arch9wavefront6targetE1EEEvT1_,@function
_ZN7rocprim17ROCPRIM_400000_NS6detail17trampoline_kernelINS0_14default_configENS1_27scan_by_key_config_selectorIxxEEZZNS1_16scan_by_key_implILNS1_25lookback_scan_determinismE0ELb1ES3_N6thrust23THRUST_200600_302600_NS6detail15normal_iteratorINS9_10device_ptrIxEEEESE_SE_xNS9_4plusIxEE19head_flag_predicatexEE10hipError_tPvRmT2_T3_T4_T5_mT6_T7_P12ihipStream_tbENKUlT_T0_E_clISt17integral_constantIbLb0EESX_IbLb1EEEEDaST_SU_EUlST_E_NS1_11comp_targetILNS1_3genE8ELNS1_11target_archE1030ELNS1_3gpuE2ELNS1_3repE0EEENS1_30default_config_static_selectorELNS0_4arch9wavefront6targetE1EEEvT1_: ; @_ZN7rocprim17ROCPRIM_400000_NS6detail17trampoline_kernelINS0_14default_configENS1_27scan_by_key_config_selectorIxxEEZZNS1_16scan_by_key_implILNS1_25lookback_scan_determinismE0ELb1ES3_N6thrust23THRUST_200600_302600_NS6detail15normal_iteratorINS9_10device_ptrIxEEEESE_SE_xNS9_4plusIxEE19head_flag_predicatexEE10hipError_tPvRmT2_T3_T4_T5_mT6_T7_P12ihipStream_tbENKUlT_T0_E_clISt17integral_constantIbLb0EESX_IbLb1EEEEDaST_SU_EUlST_E_NS1_11comp_targetILNS1_3genE8ELNS1_11target_archE1030ELNS1_3gpuE2ELNS1_3repE0EEENS1_30default_config_static_selectorELNS0_4arch9wavefront6targetE1EEEvT1_
; %bb.0:
	.section	.rodata,"a",@progbits
	.p2align	6, 0x0
	.amdhsa_kernel _ZN7rocprim17ROCPRIM_400000_NS6detail17trampoline_kernelINS0_14default_configENS1_27scan_by_key_config_selectorIxxEEZZNS1_16scan_by_key_implILNS1_25lookback_scan_determinismE0ELb1ES3_N6thrust23THRUST_200600_302600_NS6detail15normal_iteratorINS9_10device_ptrIxEEEESE_SE_xNS9_4plusIxEE19head_flag_predicatexEE10hipError_tPvRmT2_T3_T4_T5_mT6_T7_P12ihipStream_tbENKUlT_T0_E_clISt17integral_constantIbLb0EESX_IbLb1EEEEDaST_SU_EUlST_E_NS1_11comp_targetILNS1_3genE8ELNS1_11target_archE1030ELNS1_3gpuE2ELNS1_3repE0EEENS1_30default_config_static_selectorELNS0_4arch9wavefront6targetE1EEEvT1_
		.amdhsa_group_segment_fixed_size 0
		.amdhsa_private_segment_fixed_size 0
		.amdhsa_kernarg_size 136
		.amdhsa_user_sgpr_count 2
		.amdhsa_user_sgpr_dispatch_ptr 0
		.amdhsa_user_sgpr_queue_ptr 0
		.amdhsa_user_sgpr_kernarg_segment_ptr 1
		.amdhsa_user_sgpr_dispatch_id 0
		.amdhsa_user_sgpr_kernarg_preload_length 0
		.amdhsa_user_sgpr_kernarg_preload_offset 0
		.amdhsa_user_sgpr_private_segment_size 0
		.amdhsa_uses_dynamic_stack 0
		.amdhsa_enable_private_segment 0
		.amdhsa_system_sgpr_workgroup_id_x 1
		.amdhsa_system_sgpr_workgroup_id_y 0
		.amdhsa_system_sgpr_workgroup_id_z 0
		.amdhsa_system_sgpr_workgroup_info 0
		.amdhsa_system_vgpr_workitem_id 0
		.amdhsa_next_free_vgpr 1
		.amdhsa_next_free_sgpr 0
		.amdhsa_accum_offset 4
		.amdhsa_reserve_vcc 0
		.amdhsa_float_round_mode_32 0
		.amdhsa_float_round_mode_16_64 0
		.amdhsa_float_denorm_mode_32 3
		.amdhsa_float_denorm_mode_16_64 3
		.amdhsa_dx10_clamp 1
		.amdhsa_ieee_mode 1
		.amdhsa_fp16_overflow 0
		.amdhsa_tg_split 0
		.amdhsa_exception_fp_ieee_invalid_op 0
		.amdhsa_exception_fp_denorm_src 0
		.amdhsa_exception_fp_ieee_div_zero 0
		.amdhsa_exception_fp_ieee_overflow 0
		.amdhsa_exception_fp_ieee_underflow 0
		.amdhsa_exception_fp_ieee_inexact 0
		.amdhsa_exception_int_div_zero 0
	.end_amdhsa_kernel
	.section	.text._ZN7rocprim17ROCPRIM_400000_NS6detail17trampoline_kernelINS0_14default_configENS1_27scan_by_key_config_selectorIxxEEZZNS1_16scan_by_key_implILNS1_25lookback_scan_determinismE0ELb1ES3_N6thrust23THRUST_200600_302600_NS6detail15normal_iteratorINS9_10device_ptrIxEEEESE_SE_xNS9_4plusIxEE19head_flag_predicatexEE10hipError_tPvRmT2_T3_T4_T5_mT6_T7_P12ihipStream_tbENKUlT_T0_E_clISt17integral_constantIbLb0EESX_IbLb1EEEEDaST_SU_EUlST_E_NS1_11comp_targetILNS1_3genE8ELNS1_11target_archE1030ELNS1_3gpuE2ELNS1_3repE0EEENS1_30default_config_static_selectorELNS0_4arch9wavefront6targetE1EEEvT1_,"axG",@progbits,_ZN7rocprim17ROCPRIM_400000_NS6detail17trampoline_kernelINS0_14default_configENS1_27scan_by_key_config_selectorIxxEEZZNS1_16scan_by_key_implILNS1_25lookback_scan_determinismE0ELb1ES3_N6thrust23THRUST_200600_302600_NS6detail15normal_iteratorINS9_10device_ptrIxEEEESE_SE_xNS9_4plusIxEE19head_flag_predicatexEE10hipError_tPvRmT2_T3_T4_T5_mT6_T7_P12ihipStream_tbENKUlT_T0_E_clISt17integral_constantIbLb0EESX_IbLb1EEEEDaST_SU_EUlST_E_NS1_11comp_targetILNS1_3genE8ELNS1_11target_archE1030ELNS1_3gpuE2ELNS1_3repE0EEENS1_30default_config_static_selectorELNS0_4arch9wavefront6targetE1EEEvT1_,comdat
.Lfunc_end748:
	.size	_ZN7rocprim17ROCPRIM_400000_NS6detail17trampoline_kernelINS0_14default_configENS1_27scan_by_key_config_selectorIxxEEZZNS1_16scan_by_key_implILNS1_25lookback_scan_determinismE0ELb1ES3_N6thrust23THRUST_200600_302600_NS6detail15normal_iteratorINS9_10device_ptrIxEEEESE_SE_xNS9_4plusIxEE19head_flag_predicatexEE10hipError_tPvRmT2_T3_T4_T5_mT6_T7_P12ihipStream_tbENKUlT_T0_E_clISt17integral_constantIbLb0EESX_IbLb1EEEEDaST_SU_EUlST_E_NS1_11comp_targetILNS1_3genE8ELNS1_11target_archE1030ELNS1_3gpuE2ELNS1_3repE0EEENS1_30default_config_static_selectorELNS0_4arch9wavefront6targetE1EEEvT1_, .Lfunc_end748-_ZN7rocprim17ROCPRIM_400000_NS6detail17trampoline_kernelINS0_14default_configENS1_27scan_by_key_config_selectorIxxEEZZNS1_16scan_by_key_implILNS1_25lookback_scan_determinismE0ELb1ES3_N6thrust23THRUST_200600_302600_NS6detail15normal_iteratorINS9_10device_ptrIxEEEESE_SE_xNS9_4plusIxEE19head_flag_predicatexEE10hipError_tPvRmT2_T3_T4_T5_mT6_T7_P12ihipStream_tbENKUlT_T0_E_clISt17integral_constantIbLb0EESX_IbLb1EEEEDaST_SU_EUlST_E_NS1_11comp_targetILNS1_3genE8ELNS1_11target_archE1030ELNS1_3gpuE2ELNS1_3repE0EEENS1_30default_config_static_selectorELNS0_4arch9wavefront6targetE1EEEvT1_
                                        ; -- End function
	.section	.AMDGPU.csdata,"",@progbits
; Kernel info:
; codeLenInByte = 0
; NumSgprs: 6
; NumVgprs: 0
; NumAgprs: 0
; TotalNumVgprs: 0
; ScratchSize: 0
; MemoryBound: 0
; FloatMode: 240
; IeeeMode: 1
; LDSByteSize: 0 bytes/workgroup (compile time only)
; SGPRBlocks: 0
; VGPRBlocks: 0
; NumSGPRsForWavesPerEU: 6
; NumVGPRsForWavesPerEU: 1
; AccumOffset: 4
; Occupancy: 8
; WaveLimiterHint : 0
; COMPUTE_PGM_RSRC2:SCRATCH_EN: 0
; COMPUTE_PGM_RSRC2:USER_SGPR: 2
; COMPUTE_PGM_RSRC2:TRAP_HANDLER: 0
; COMPUTE_PGM_RSRC2:TGID_X_EN: 1
; COMPUTE_PGM_RSRC2:TGID_Y_EN: 0
; COMPUTE_PGM_RSRC2:TGID_Z_EN: 0
; COMPUTE_PGM_RSRC2:TIDIG_COMP_CNT: 0
; COMPUTE_PGM_RSRC3_GFX90A:ACCUM_OFFSET: 0
; COMPUTE_PGM_RSRC3_GFX90A:TG_SPLIT: 0
	.section	.text._ZN7rocprim17ROCPRIM_400000_NS6detail17trampoline_kernelINS0_14default_configENS1_27scan_by_key_config_selectorIiiEEZZNS1_16scan_by_key_implILNS1_25lookback_scan_determinismE0ELb0ES3_N6thrust23THRUST_200600_302600_NS6detail15normal_iteratorINS9_10device_ptrIiEEEESE_SE_iNS9_4plusIiEE19head_flag_predicateiEE10hipError_tPvRmT2_T3_T4_T5_mT6_T7_P12ihipStream_tbENKUlT_T0_E_clISt17integral_constantIbLb0EESY_EEDaST_SU_EUlST_E_NS1_11comp_targetILNS1_3genE0ELNS1_11target_archE4294967295ELNS1_3gpuE0ELNS1_3repE0EEENS1_30default_config_static_selectorELNS0_4arch9wavefront6targetE1EEEvT1_,"axG",@progbits,_ZN7rocprim17ROCPRIM_400000_NS6detail17trampoline_kernelINS0_14default_configENS1_27scan_by_key_config_selectorIiiEEZZNS1_16scan_by_key_implILNS1_25lookback_scan_determinismE0ELb0ES3_N6thrust23THRUST_200600_302600_NS6detail15normal_iteratorINS9_10device_ptrIiEEEESE_SE_iNS9_4plusIiEE19head_flag_predicateiEE10hipError_tPvRmT2_T3_T4_T5_mT6_T7_P12ihipStream_tbENKUlT_T0_E_clISt17integral_constantIbLb0EESY_EEDaST_SU_EUlST_E_NS1_11comp_targetILNS1_3genE0ELNS1_11target_archE4294967295ELNS1_3gpuE0ELNS1_3repE0EEENS1_30default_config_static_selectorELNS0_4arch9wavefront6targetE1EEEvT1_,comdat
	.protected	_ZN7rocprim17ROCPRIM_400000_NS6detail17trampoline_kernelINS0_14default_configENS1_27scan_by_key_config_selectorIiiEEZZNS1_16scan_by_key_implILNS1_25lookback_scan_determinismE0ELb0ES3_N6thrust23THRUST_200600_302600_NS6detail15normal_iteratorINS9_10device_ptrIiEEEESE_SE_iNS9_4plusIiEE19head_flag_predicateiEE10hipError_tPvRmT2_T3_T4_T5_mT6_T7_P12ihipStream_tbENKUlT_T0_E_clISt17integral_constantIbLb0EESY_EEDaST_SU_EUlST_E_NS1_11comp_targetILNS1_3genE0ELNS1_11target_archE4294967295ELNS1_3gpuE0ELNS1_3repE0EEENS1_30default_config_static_selectorELNS0_4arch9wavefront6targetE1EEEvT1_ ; -- Begin function _ZN7rocprim17ROCPRIM_400000_NS6detail17trampoline_kernelINS0_14default_configENS1_27scan_by_key_config_selectorIiiEEZZNS1_16scan_by_key_implILNS1_25lookback_scan_determinismE0ELb0ES3_N6thrust23THRUST_200600_302600_NS6detail15normal_iteratorINS9_10device_ptrIiEEEESE_SE_iNS9_4plusIiEE19head_flag_predicateiEE10hipError_tPvRmT2_T3_T4_T5_mT6_T7_P12ihipStream_tbENKUlT_T0_E_clISt17integral_constantIbLb0EESY_EEDaST_SU_EUlST_E_NS1_11comp_targetILNS1_3genE0ELNS1_11target_archE4294967295ELNS1_3gpuE0ELNS1_3repE0EEENS1_30default_config_static_selectorELNS0_4arch9wavefront6targetE1EEEvT1_
	.globl	_ZN7rocprim17ROCPRIM_400000_NS6detail17trampoline_kernelINS0_14default_configENS1_27scan_by_key_config_selectorIiiEEZZNS1_16scan_by_key_implILNS1_25lookback_scan_determinismE0ELb0ES3_N6thrust23THRUST_200600_302600_NS6detail15normal_iteratorINS9_10device_ptrIiEEEESE_SE_iNS9_4plusIiEE19head_flag_predicateiEE10hipError_tPvRmT2_T3_T4_T5_mT6_T7_P12ihipStream_tbENKUlT_T0_E_clISt17integral_constantIbLb0EESY_EEDaST_SU_EUlST_E_NS1_11comp_targetILNS1_3genE0ELNS1_11target_archE4294967295ELNS1_3gpuE0ELNS1_3repE0EEENS1_30default_config_static_selectorELNS0_4arch9wavefront6targetE1EEEvT1_
	.p2align	8
	.type	_ZN7rocprim17ROCPRIM_400000_NS6detail17trampoline_kernelINS0_14default_configENS1_27scan_by_key_config_selectorIiiEEZZNS1_16scan_by_key_implILNS1_25lookback_scan_determinismE0ELb0ES3_N6thrust23THRUST_200600_302600_NS6detail15normal_iteratorINS9_10device_ptrIiEEEESE_SE_iNS9_4plusIiEE19head_flag_predicateiEE10hipError_tPvRmT2_T3_T4_T5_mT6_T7_P12ihipStream_tbENKUlT_T0_E_clISt17integral_constantIbLb0EESY_EEDaST_SU_EUlST_E_NS1_11comp_targetILNS1_3genE0ELNS1_11target_archE4294967295ELNS1_3gpuE0ELNS1_3repE0EEENS1_30default_config_static_selectorELNS0_4arch9wavefront6targetE1EEEvT1_,@function
_ZN7rocprim17ROCPRIM_400000_NS6detail17trampoline_kernelINS0_14default_configENS1_27scan_by_key_config_selectorIiiEEZZNS1_16scan_by_key_implILNS1_25lookback_scan_determinismE0ELb0ES3_N6thrust23THRUST_200600_302600_NS6detail15normal_iteratorINS9_10device_ptrIiEEEESE_SE_iNS9_4plusIiEE19head_flag_predicateiEE10hipError_tPvRmT2_T3_T4_T5_mT6_T7_P12ihipStream_tbENKUlT_T0_E_clISt17integral_constantIbLb0EESY_EEDaST_SU_EUlST_E_NS1_11comp_targetILNS1_3genE0ELNS1_11target_archE4294967295ELNS1_3gpuE0ELNS1_3repE0EEENS1_30default_config_static_selectorELNS0_4arch9wavefront6targetE1EEEvT1_: ; @_ZN7rocprim17ROCPRIM_400000_NS6detail17trampoline_kernelINS0_14default_configENS1_27scan_by_key_config_selectorIiiEEZZNS1_16scan_by_key_implILNS1_25lookback_scan_determinismE0ELb0ES3_N6thrust23THRUST_200600_302600_NS6detail15normal_iteratorINS9_10device_ptrIiEEEESE_SE_iNS9_4plusIiEE19head_flag_predicateiEE10hipError_tPvRmT2_T3_T4_T5_mT6_T7_P12ihipStream_tbENKUlT_T0_E_clISt17integral_constantIbLb0EESY_EEDaST_SU_EUlST_E_NS1_11comp_targetILNS1_3genE0ELNS1_11target_archE4294967295ELNS1_3gpuE0ELNS1_3repE0EEENS1_30default_config_static_selectorELNS0_4arch9wavefront6targetE1EEEvT1_
; %bb.0:
	.section	.rodata,"a",@progbits
	.p2align	6, 0x0
	.amdhsa_kernel _ZN7rocprim17ROCPRIM_400000_NS6detail17trampoline_kernelINS0_14default_configENS1_27scan_by_key_config_selectorIiiEEZZNS1_16scan_by_key_implILNS1_25lookback_scan_determinismE0ELb0ES3_N6thrust23THRUST_200600_302600_NS6detail15normal_iteratorINS9_10device_ptrIiEEEESE_SE_iNS9_4plusIiEE19head_flag_predicateiEE10hipError_tPvRmT2_T3_T4_T5_mT6_T7_P12ihipStream_tbENKUlT_T0_E_clISt17integral_constantIbLb0EESY_EEDaST_SU_EUlST_E_NS1_11comp_targetILNS1_3genE0ELNS1_11target_archE4294967295ELNS1_3gpuE0ELNS1_3repE0EEENS1_30default_config_static_selectorELNS0_4arch9wavefront6targetE1EEEvT1_
		.amdhsa_group_segment_fixed_size 0
		.amdhsa_private_segment_fixed_size 0
		.amdhsa_kernarg_size 112
		.amdhsa_user_sgpr_count 2
		.amdhsa_user_sgpr_dispatch_ptr 0
		.amdhsa_user_sgpr_queue_ptr 0
		.amdhsa_user_sgpr_kernarg_segment_ptr 1
		.amdhsa_user_sgpr_dispatch_id 0
		.amdhsa_user_sgpr_kernarg_preload_length 0
		.amdhsa_user_sgpr_kernarg_preload_offset 0
		.amdhsa_user_sgpr_private_segment_size 0
		.amdhsa_uses_dynamic_stack 0
		.amdhsa_enable_private_segment 0
		.amdhsa_system_sgpr_workgroup_id_x 1
		.amdhsa_system_sgpr_workgroup_id_y 0
		.amdhsa_system_sgpr_workgroup_id_z 0
		.amdhsa_system_sgpr_workgroup_info 0
		.amdhsa_system_vgpr_workitem_id 0
		.amdhsa_next_free_vgpr 1
		.amdhsa_next_free_sgpr 0
		.amdhsa_accum_offset 4
		.amdhsa_reserve_vcc 0
		.amdhsa_float_round_mode_32 0
		.amdhsa_float_round_mode_16_64 0
		.amdhsa_float_denorm_mode_32 3
		.amdhsa_float_denorm_mode_16_64 3
		.amdhsa_dx10_clamp 1
		.amdhsa_ieee_mode 1
		.amdhsa_fp16_overflow 0
		.amdhsa_tg_split 0
		.amdhsa_exception_fp_ieee_invalid_op 0
		.amdhsa_exception_fp_denorm_src 0
		.amdhsa_exception_fp_ieee_div_zero 0
		.amdhsa_exception_fp_ieee_overflow 0
		.amdhsa_exception_fp_ieee_underflow 0
		.amdhsa_exception_fp_ieee_inexact 0
		.amdhsa_exception_int_div_zero 0
	.end_amdhsa_kernel
	.section	.text._ZN7rocprim17ROCPRIM_400000_NS6detail17trampoline_kernelINS0_14default_configENS1_27scan_by_key_config_selectorIiiEEZZNS1_16scan_by_key_implILNS1_25lookback_scan_determinismE0ELb0ES3_N6thrust23THRUST_200600_302600_NS6detail15normal_iteratorINS9_10device_ptrIiEEEESE_SE_iNS9_4plusIiEE19head_flag_predicateiEE10hipError_tPvRmT2_T3_T4_T5_mT6_T7_P12ihipStream_tbENKUlT_T0_E_clISt17integral_constantIbLb0EESY_EEDaST_SU_EUlST_E_NS1_11comp_targetILNS1_3genE0ELNS1_11target_archE4294967295ELNS1_3gpuE0ELNS1_3repE0EEENS1_30default_config_static_selectorELNS0_4arch9wavefront6targetE1EEEvT1_,"axG",@progbits,_ZN7rocprim17ROCPRIM_400000_NS6detail17trampoline_kernelINS0_14default_configENS1_27scan_by_key_config_selectorIiiEEZZNS1_16scan_by_key_implILNS1_25lookback_scan_determinismE0ELb0ES3_N6thrust23THRUST_200600_302600_NS6detail15normal_iteratorINS9_10device_ptrIiEEEESE_SE_iNS9_4plusIiEE19head_flag_predicateiEE10hipError_tPvRmT2_T3_T4_T5_mT6_T7_P12ihipStream_tbENKUlT_T0_E_clISt17integral_constantIbLb0EESY_EEDaST_SU_EUlST_E_NS1_11comp_targetILNS1_3genE0ELNS1_11target_archE4294967295ELNS1_3gpuE0ELNS1_3repE0EEENS1_30default_config_static_selectorELNS0_4arch9wavefront6targetE1EEEvT1_,comdat
.Lfunc_end749:
	.size	_ZN7rocprim17ROCPRIM_400000_NS6detail17trampoline_kernelINS0_14default_configENS1_27scan_by_key_config_selectorIiiEEZZNS1_16scan_by_key_implILNS1_25lookback_scan_determinismE0ELb0ES3_N6thrust23THRUST_200600_302600_NS6detail15normal_iteratorINS9_10device_ptrIiEEEESE_SE_iNS9_4plusIiEE19head_flag_predicateiEE10hipError_tPvRmT2_T3_T4_T5_mT6_T7_P12ihipStream_tbENKUlT_T0_E_clISt17integral_constantIbLb0EESY_EEDaST_SU_EUlST_E_NS1_11comp_targetILNS1_3genE0ELNS1_11target_archE4294967295ELNS1_3gpuE0ELNS1_3repE0EEENS1_30default_config_static_selectorELNS0_4arch9wavefront6targetE1EEEvT1_, .Lfunc_end749-_ZN7rocprim17ROCPRIM_400000_NS6detail17trampoline_kernelINS0_14default_configENS1_27scan_by_key_config_selectorIiiEEZZNS1_16scan_by_key_implILNS1_25lookback_scan_determinismE0ELb0ES3_N6thrust23THRUST_200600_302600_NS6detail15normal_iteratorINS9_10device_ptrIiEEEESE_SE_iNS9_4plusIiEE19head_flag_predicateiEE10hipError_tPvRmT2_T3_T4_T5_mT6_T7_P12ihipStream_tbENKUlT_T0_E_clISt17integral_constantIbLb0EESY_EEDaST_SU_EUlST_E_NS1_11comp_targetILNS1_3genE0ELNS1_11target_archE4294967295ELNS1_3gpuE0ELNS1_3repE0EEENS1_30default_config_static_selectorELNS0_4arch9wavefront6targetE1EEEvT1_
                                        ; -- End function
	.section	.AMDGPU.csdata,"",@progbits
; Kernel info:
; codeLenInByte = 0
; NumSgprs: 6
; NumVgprs: 0
; NumAgprs: 0
; TotalNumVgprs: 0
; ScratchSize: 0
; MemoryBound: 0
; FloatMode: 240
; IeeeMode: 1
; LDSByteSize: 0 bytes/workgroup (compile time only)
; SGPRBlocks: 0
; VGPRBlocks: 0
; NumSGPRsForWavesPerEU: 6
; NumVGPRsForWavesPerEU: 1
; AccumOffset: 4
; Occupancy: 8
; WaveLimiterHint : 0
; COMPUTE_PGM_RSRC2:SCRATCH_EN: 0
; COMPUTE_PGM_RSRC2:USER_SGPR: 2
; COMPUTE_PGM_RSRC2:TRAP_HANDLER: 0
; COMPUTE_PGM_RSRC2:TGID_X_EN: 1
; COMPUTE_PGM_RSRC2:TGID_Y_EN: 0
; COMPUTE_PGM_RSRC2:TGID_Z_EN: 0
; COMPUTE_PGM_RSRC2:TIDIG_COMP_CNT: 0
; COMPUTE_PGM_RSRC3_GFX90A:ACCUM_OFFSET: 0
; COMPUTE_PGM_RSRC3_GFX90A:TG_SPLIT: 0
	.section	.text._ZN7rocprim17ROCPRIM_400000_NS6detail17trampoline_kernelINS0_14default_configENS1_27scan_by_key_config_selectorIiiEEZZNS1_16scan_by_key_implILNS1_25lookback_scan_determinismE0ELb0ES3_N6thrust23THRUST_200600_302600_NS6detail15normal_iteratorINS9_10device_ptrIiEEEESE_SE_iNS9_4plusIiEE19head_flag_predicateiEE10hipError_tPvRmT2_T3_T4_T5_mT6_T7_P12ihipStream_tbENKUlT_T0_E_clISt17integral_constantIbLb0EESY_EEDaST_SU_EUlST_E_NS1_11comp_targetILNS1_3genE10ELNS1_11target_archE1201ELNS1_3gpuE5ELNS1_3repE0EEENS1_30default_config_static_selectorELNS0_4arch9wavefront6targetE1EEEvT1_,"axG",@progbits,_ZN7rocprim17ROCPRIM_400000_NS6detail17trampoline_kernelINS0_14default_configENS1_27scan_by_key_config_selectorIiiEEZZNS1_16scan_by_key_implILNS1_25lookback_scan_determinismE0ELb0ES3_N6thrust23THRUST_200600_302600_NS6detail15normal_iteratorINS9_10device_ptrIiEEEESE_SE_iNS9_4plusIiEE19head_flag_predicateiEE10hipError_tPvRmT2_T3_T4_T5_mT6_T7_P12ihipStream_tbENKUlT_T0_E_clISt17integral_constantIbLb0EESY_EEDaST_SU_EUlST_E_NS1_11comp_targetILNS1_3genE10ELNS1_11target_archE1201ELNS1_3gpuE5ELNS1_3repE0EEENS1_30default_config_static_selectorELNS0_4arch9wavefront6targetE1EEEvT1_,comdat
	.protected	_ZN7rocprim17ROCPRIM_400000_NS6detail17trampoline_kernelINS0_14default_configENS1_27scan_by_key_config_selectorIiiEEZZNS1_16scan_by_key_implILNS1_25lookback_scan_determinismE0ELb0ES3_N6thrust23THRUST_200600_302600_NS6detail15normal_iteratorINS9_10device_ptrIiEEEESE_SE_iNS9_4plusIiEE19head_flag_predicateiEE10hipError_tPvRmT2_T3_T4_T5_mT6_T7_P12ihipStream_tbENKUlT_T0_E_clISt17integral_constantIbLb0EESY_EEDaST_SU_EUlST_E_NS1_11comp_targetILNS1_3genE10ELNS1_11target_archE1201ELNS1_3gpuE5ELNS1_3repE0EEENS1_30default_config_static_selectorELNS0_4arch9wavefront6targetE1EEEvT1_ ; -- Begin function _ZN7rocprim17ROCPRIM_400000_NS6detail17trampoline_kernelINS0_14default_configENS1_27scan_by_key_config_selectorIiiEEZZNS1_16scan_by_key_implILNS1_25lookback_scan_determinismE0ELb0ES3_N6thrust23THRUST_200600_302600_NS6detail15normal_iteratorINS9_10device_ptrIiEEEESE_SE_iNS9_4plusIiEE19head_flag_predicateiEE10hipError_tPvRmT2_T3_T4_T5_mT6_T7_P12ihipStream_tbENKUlT_T0_E_clISt17integral_constantIbLb0EESY_EEDaST_SU_EUlST_E_NS1_11comp_targetILNS1_3genE10ELNS1_11target_archE1201ELNS1_3gpuE5ELNS1_3repE0EEENS1_30default_config_static_selectorELNS0_4arch9wavefront6targetE1EEEvT1_
	.globl	_ZN7rocprim17ROCPRIM_400000_NS6detail17trampoline_kernelINS0_14default_configENS1_27scan_by_key_config_selectorIiiEEZZNS1_16scan_by_key_implILNS1_25lookback_scan_determinismE0ELb0ES3_N6thrust23THRUST_200600_302600_NS6detail15normal_iteratorINS9_10device_ptrIiEEEESE_SE_iNS9_4plusIiEE19head_flag_predicateiEE10hipError_tPvRmT2_T3_T4_T5_mT6_T7_P12ihipStream_tbENKUlT_T0_E_clISt17integral_constantIbLb0EESY_EEDaST_SU_EUlST_E_NS1_11comp_targetILNS1_3genE10ELNS1_11target_archE1201ELNS1_3gpuE5ELNS1_3repE0EEENS1_30default_config_static_selectorELNS0_4arch9wavefront6targetE1EEEvT1_
	.p2align	8
	.type	_ZN7rocprim17ROCPRIM_400000_NS6detail17trampoline_kernelINS0_14default_configENS1_27scan_by_key_config_selectorIiiEEZZNS1_16scan_by_key_implILNS1_25lookback_scan_determinismE0ELb0ES3_N6thrust23THRUST_200600_302600_NS6detail15normal_iteratorINS9_10device_ptrIiEEEESE_SE_iNS9_4plusIiEE19head_flag_predicateiEE10hipError_tPvRmT2_T3_T4_T5_mT6_T7_P12ihipStream_tbENKUlT_T0_E_clISt17integral_constantIbLb0EESY_EEDaST_SU_EUlST_E_NS1_11comp_targetILNS1_3genE10ELNS1_11target_archE1201ELNS1_3gpuE5ELNS1_3repE0EEENS1_30default_config_static_selectorELNS0_4arch9wavefront6targetE1EEEvT1_,@function
_ZN7rocprim17ROCPRIM_400000_NS6detail17trampoline_kernelINS0_14default_configENS1_27scan_by_key_config_selectorIiiEEZZNS1_16scan_by_key_implILNS1_25lookback_scan_determinismE0ELb0ES3_N6thrust23THRUST_200600_302600_NS6detail15normal_iteratorINS9_10device_ptrIiEEEESE_SE_iNS9_4plusIiEE19head_flag_predicateiEE10hipError_tPvRmT2_T3_T4_T5_mT6_T7_P12ihipStream_tbENKUlT_T0_E_clISt17integral_constantIbLb0EESY_EEDaST_SU_EUlST_E_NS1_11comp_targetILNS1_3genE10ELNS1_11target_archE1201ELNS1_3gpuE5ELNS1_3repE0EEENS1_30default_config_static_selectorELNS0_4arch9wavefront6targetE1EEEvT1_: ; @_ZN7rocprim17ROCPRIM_400000_NS6detail17trampoline_kernelINS0_14default_configENS1_27scan_by_key_config_selectorIiiEEZZNS1_16scan_by_key_implILNS1_25lookback_scan_determinismE0ELb0ES3_N6thrust23THRUST_200600_302600_NS6detail15normal_iteratorINS9_10device_ptrIiEEEESE_SE_iNS9_4plusIiEE19head_flag_predicateiEE10hipError_tPvRmT2_T3_T4_T5_mT6_T7_P12ihipStream_tbENKUlT_T0_E_clISt17integral_constantIbLb0EESY_EEDaST_SU_EUlST_E_NS1_11comp_targetILNS1_3genE10ELNS1_11target_archE1201ELNS1_3gpuE5ELNS1_3repE0EEENS1_30default_config_static_selectorELNS0_4arch9wavefront6targetE1EEEvT1_
; %bb.0:
	.section	.rodata,"a",@progbits
	.p2align	6, 0x0
	.amdhsa_kernel _ZN7rocprim17ROCPRIM_400000_NS6detail17trampoline_kernelINS0_14default_configENS1_27scan_by_key_config_selectorIiiEEZZNS1_16scan_by_key_implILNS1_25lookback_scan_determinismE0ELb0ES3_N6thrust23THRUST_200600_302600_NS6detail15normal_iteratorINS9_10device_ptrIiEEEESE_SE_iNS9_4plusIiEE19head_flag_predicateiEE10hipError_tPvRmT2_T3_T4_T5_mT6_T7_P12ihipStream_tbENKUlT_T0_E_clISt17integral_constantIbLb0EESY_EEDaST_SU_EUlST_E_NS1_11comp_targetILNS1_3genE10ELNS1_11target_archE1201ELNS1_3gpuE5ELNS1_3repE0EEENS1_30default_config_static_selectorELNS0_4arch9wavefront6targetE1EEEvT1_
		.amdhsa_group_segment_fixed_size 0
		.amdhsa_private_segment_fixed_size 0
		.amdhsa_kernarg_size 112
		.amdhsa_user_sgpr_count 2
		.amdhsa_user_sgpr_dispatch_ptr 0
		.amdhsa_user_sgpr_queue_ptr 0
		.amdhsa_user_sgpr_kernarg_segment_ptr 1
		.amdhsa_user_sgpr_dispatch_id 0
		.amdhsa_user_sgpr_kernarg_preload_length 0
		.amdhsa_user_sgpr_kernarg_preload_offset 0
		.amdhsa_user_sgpr_private_segment_size 0
		.amdhsa_uses_dynamic_stack 0
		.amdhsa_enable_private_segment 0
		.amdhsa_system_sgpr_workgroup_id_x 1
		.amdhsa_system_sgpr_workgroup_id_y 0
		.amdhsa_system_sgpr_workgroup_id_z 0
		.amdhsa_system_sgpr_workgroup_info 0
		.amdhsa_system_vgpr_workitem_id 0
		.amdhsa_next_free_vgpr 1
		.amdhsa_next_free_sgpr 0
		.amdhsa_accum_offset 4
		.amdhsa_reserve_vcc 0
		.amdhsa_float_round_mode_32 0
		.amdhsa_float_round_mode_16_64 0
		.amdhsa_float_denorm_mode_32 3
		.amdhsa_float_denorm_mode_16_64 3
		.amdhsa_dx10_clamp 1
		.amdhsa_ieee_mode 1
		.amdhsa_fp16_overflow 0
		.amdhsa_tg_split 0
		.amdhsa_exception_fp_ieee_invalid_op 0
		.amdhsa_exception_fp_denorm_src 0
		.amdhsa_exception_fp_ieee_div_zero 0
		.amdhsa_exception_fp_ieee_overflow 0
		.amdhsa_exception_fp_ieee_underflow 0
		.amdhsa_exception_fp_ieee_inexact 0
		.amdhsa_exception_int_div_zero 0
	.end_amdhsa_kernel
	.section	.text._ZN7rocprim17ROCPRIM_400000_NS6detail17trampoline_kernelINS0_14default_configENS1_27scan_by_key_config_selectorIiiEEZZNS1_16scan_by_key_implILNS1_25lookback_scan_determinismE0ELb0ES3_N6thrust23THRUST_200600_302600_NS6detail15normal_iteratorINS9_10device_ptrIiEEEESE_SE_iNS9_4plusIiEE19head_flag_predicateiEE10hipError_tPvRmT2_T3_T4_T5_mT6_T7_P12ihipStream_tbENKUlT_T0_E_clISt17integral_constantIbLb0EESY_EEDaST_SU_EUlST_E_NS1_11comp_targetILNS1_3genE10ELNS1_11target_archE1201ELNS1_3gpuE5ELNS1_3repE0EEENS1_30default_config_static_selectorELNS0_4arch9wavefront6targetE1EEEvT1_,"axG",@progbits,_ZN7rocprim17ROCPRIM_400000_NS6detail17trampoline_kernelINS0_14default_configENS1_27scan_by_key_config_selectorIiiEEZZNS1_16scan_by_key_implILNS1_25lookback_scan_determinismE0ELb0ES3_N6thrust23THRUST_200600_302600_NS6detail15normal_iteratorINS9_10device_ptrIiEEEESE_SE_iNS9_4plusIiEE19head_flag_predicateiEE10hipError_tPvRmT2_T3_T4_T5_mT6_T7_P12ihipStream_tbENKUlT_T0_E_clISt17integral_constantIbLb0EESY_EEDaST_SU_EUlST_E_NS1_11comp_targetILNS1_3genE10ELNS1_11target_archE1201ELNS1_3gpuE5ELNS1_3repE0EEENS1_30default_config_static_selectorELNS0_4arch9wavefront6targetE1EEEvT1_,comdat
.Lfunc_end750:
	.size	_ZN7rocprim17ROCPRIM_400000_NS6detail17trampoline_kernelINS0_14default_configENS1_27scan_by_key_config_selectorIiiEEZZNS1_16scan_by_key_implILNS1_25lookback_scan_determinismE0ELb0ES3_N6thrust23THRUST_200600_302600_NS6detail15normal_iteratorINS9_10device_ptrIiEEEESE_SE_iNS9_4plusIiEE19head_flag_predicateiEE10hipError_tPvRmT2_T3_T4_T5_mT6_T7_P12ihipStream_tbENKUlT_T0_E_clISt17integral_constantIbLb0EESY_EEDaST_SU_EUlST_E_NS1_11comp_targetILNS1_3genE10ELNS1_11target_archE1201ELNS1_3gpuE5ELNS1_3repE0EEENS1_30default_config_static_selectorELNS0_4arch9wavefront6targetE1EEEvT1_, .Lfunc_end750-_ZN7rocprim17ROCPRIM_400000_NS6detail17trampoline_kernelINS0_14default_configENS1_27scan_by_key_config_selectorIiiEEZZNS1_16scan_by_key_implILNS1_25lookback_scan_determinismE0ELb0ES3_N6thrust23THRUST_200600_302600_NS6detail15normal_iteratorINS9_10device_ptrIiEEEESE_SE_iNS9_4plusIiEE19head_flag_predicateiEE10hipError_tPvRmT2_T3_T4_T5_mT6_T7_P12ihipStream_tbENKUlT_T0_E_clISt17integral_constantIbLb0EESY_EEDaST_SU_EUlST_E_NS1_11comp_targetILNS1_3genE10ELNS1_11target_archE1201ELNS1_3gpuE5ELNS1_3repE0EEENS1_30default_config_static_selectorELNS0_4arch9wavefront6targetE1EEEvT1_
                                        ; -- End function
	.section	.AMDGPU.csdata,"",@progbits
; Kernel info:
; codeLenInByte = 0
; NumSgprs: 6
; NumVgprs: 0
; NumAgprs: 0
; TotalNumVgprs: 0
; ScratchSize: 0
; MemoryBound: 0
; FloatMode: 240
; IeeeMode: 1
; LDSByteSize: 0 bytes/workgroup (compile time only)
; SGPRBlocks: 0
; VGPRBlocks: 0
; NumSGPRsForWavesPerEU: 6
; NumVGPRsForWavesPerEU: 1
; AccumOffset: 4
; Occupancy: 8
; WaveLimiterHint : 0
; COMPUTE_PGM_RSRC2:SCRATCH_EN: 0
; COMPUTE_PGM_RSRC2:USER_SGPR: 2
; COMPUTE_PGM_RSRC2:TRAP_HANDLER: 0
; COMPUTE_PGM_RSRC2:TGID_X_EN: 1
; COMPUTE_PGM_RSRC2:TGID_Y_EN: 0
; COMPUTE_PGM_RSRC2:TGID_Z_EN: 0
; COMPUTE_PGM_RSRC2:TIDIG_COMP_CNT: 0
; COMPUTE_PGM_RSRC3_GFX90A:ACCUM_OFFSET: 0
; COMPUTE_PGM_RSRC3_GFX90A:TG_SPLIT: 0
	.section	.text._ZN7rocprim17ROCPRIM_400000_NS6detail17trampoline_kernelINS0_14default_configENS1_27scan_by_key_config_selectorIiiEEZZNS1_16scan_by_key_implILNS1_25lookback_scan_determinismE0ELb0ES3_N6thrust23THRUST_200600_302600_NS6detail15normal_iteratorINS9_10device_ptrIiEEEESE_SE_iNS9_4plusIiEE19head_flag_predicateiEE10hipError_tPvRmT2_T3_T4_T5_mT6_T7_P12ihipStream_tbENKUlT_T0_E_clISt17integral_constantIbLb0EESY_EEDaST_SU_EUlST_E_NS1_11comp_targetILNS1_3genE5ELNS1_11target_archE942ELNS1_3gpuE9ELNS1_3repE0EEENS1_30default_config_static_selectorELNS0_4arch9wavefront6targetE1EEEvT1_,"axG",@progbits,_ZN7rocprim17ROCPRIM_400000_NS6detail17trampoline_kernelINS0_14default_configENS1_27scan_by_key_config_selectorIiiEEZZNS1_16scan_by_key_implILNS1_25lookback_scan_determinismE0ELb0ES3_N6thrust23THRUST_200600_302600_NS6detail15normal_iteratorINS9_10device_ptrIiEEEESE_SE_iNS9_4plusIiEE19head_flag_predicateiEE10hipError_tPvRmT2_T3_T4_T5_mT6_T7_P12ihipStream_tbENKUlT_T0_E_clISt17integral_constantIbLb0EESY_EEDaST_SU_EUlST_E_NS1_11comp_targetILNS1_3genE5ELNS1_11target_archE942ELNS1_3gpuE9ELNS1_3repE0EEENS1_30default_config_static_selectorELNS0_4arch9wavefront6targetE1EEEvT1_,comdat
	.protected	_ZN7rocprim17ROCPRIM_400000_NS6detail17trampoline_kernelINS0_14default_configENS1_27scan_by_key_config_selectorIiiEEZZNS1_16scan_by_key_implILNS1_25lookback_scan_determinismE0ELb0ES3_N6thrust23THRUST_200600_302600_NS6detail15normal_iteratorINS9_10device_ptrIiEEEESE_SE_iNS9_4plusIiEE19head_flag_predicateiEE10hipError_tPvRmT2_T3_T4_T5_mT6_T7_P12ihipStream_tbENKUlT_T0_E_clISt17integral_constantIbLb0EESY_EEDaST_SU_EUlST_E_NS1_11comp_targetILNS1_3genE5ELNS1_11target_archE942ELNS1_3gpuE9ELNS1_3repE0EEENS1_30default_config_static_selectorELNS0_4arch9wavefront6targetE1EEEvT1_ ; -- Begin function _ZN7rocprim17ROCPRIM_400000_NS6detail17trampoline_kernelINS0_14default_configENS1_27scan_by_key_config_selectorIiiEEZZNS1_16scan_by_key_implILNS1_25lookback_scan_determinismE0ELb0ES3_N6thrust23THRUST_200600_302600_NS6detail15normal_iteratorINS9_10device_ptrIiEEEESE_SE_iNS9_4plusIiEE19head_flag_predicateiEE10hipError_tPvRmT2_T3_T4_T5_mT6_T7_P12ihipStream_tbENKUlT_T0_E_clISt17integral_constantIbLb0EESY_EEDaST_SU_EUlST_E_NS1_11comp_targetILNS1_3genE5ELNS1_11target_archE942ELNS1_3gpuE9ELNS1_3repE0EEENS1_30default_config_static_selectorELNS0_4arch9wavefront6targetE1EEEvT1_
	.globl	_ZN7rocprim17ROCPRIM_400000_NS6detail17trampoline_kernelINS0_14default_configENS1_27scan_by_key_config_selectorIiiEEZZNS1_16scan_by_key_implILNS1_25lookback_scan_determinismE0ELb0ES3_N6thrust23THRUST_200600_302600_NS6detail15normal_iteratorINS9_10device_ptrIiEEEESE_SE_iNS9_4plusIiEE19head_flag_predicateiEE10hipError_tPvRmT2_T3_T4_T5_mT6_T7_P12ihipStream_tbENKUlT_T0_E_clISt17integral_constantIbLb0EESY_EEDaST_SU_EUlST_E_NS1_11comp_targetILNS1_3genE5ELNS1_11target_archE942ELNS1_3gpuE9ELNS1_3repE0EEENS1_30default_config_static_selectorELNS0_4arch9wavefront6targetE1EEEvT1_
	.p2align	8
	.type	_ZN7rocprim17ROCPRIM_400000_NS6detail17trampoline_kernelINS0_14default_configENS1_27scan_by_key_config_selectorIiiEEZZNS1_16scan_by_key_implILNS1_25lookback_scan_determinismE0ELb0ES3_N6thrust23THRUST_200600_302600_NS6detail15normal_iteratorINS9_10device_ptrIiEEEESE_SE_iNS9_4plusIiEE19head_flag_predicateiEE10hipError_tPvRmT2_T3_T4_T5_mT6_T7_P12ihipStream_tbENKUlT_T0_E_clISt17integral_constantIbLb0EESY_EEDaST_SU_EUlST_E_NS1_11comp_targetILNS1_3genE5ELNS1_11target_archE942ELNS1_3gpuE9ELNS1_3repE0EEENS1_30default_config_static_selectorELNS0_4arch9wavefront6targetE1EEEvT1_,@function
_ZN7rocprim17ROCPRIM_400000_NS6detail17trampoline_kernelINS0_14default_configENS1_27scan_by_key_config_selectorIiiEEZZNS1_16scan_by_key_implILNS1_25lookback_scan_determinismE0ELb0ES3_N6thrust23THRUST_200600_302600_NS6detail15normal_iteratorINS9_10device_ptrIiEEEESE_SE_iNS9_4plusIiEE19head_flag_predicateiEE10hipError_tPvRmT2_T3_T4_T5_mT6_T7_P12ihipStream_tbENKUlT_T0_E_clISt17integral_constantIbLb0EESY_EEDaST_SU_EUlST_E_NS1_11comp_targetILNS1_3genE5ELNS1_11target_archE942ELNS1_3gpuE9ELNS1_3repE0EEENS1_30default_config_static_selectorELNS0_4arch9wavefront6targetE1EEEvT1_: ; @_ZN7rocprim17ROCPRIM_400000_NS6detail17trampoline_kernelINS0_14default_configENS1_27scan_by_key_config_selectorIiiEEZZNS1_16scan_by_key_implILNS1_25lookback_scan_determinismE0ELb0ES3_N6thrust23THRUST_200600_302600_NS6detail15normal_iteratorINS9_10device_ptrIiEEEESE_SE_iNS9_4plusIiEE19head_flag_predicateiEE10hipError_tPvRmT2_T3_T4_T5_mT6_T7_P12ihipStream_tbENKUlT_T0_E_clISt17integral_constantIbLb0EESY_EEDaST_SU_EUlST_E_NS1_11comp_targetILNS1_3genE5ELNS1_11target_archE942ELNS1_3gpuE9ELNS1_3repE0EEENS1_30default_config_static_selectorELNS0_4arch9wavefront6targetE1EEEvT1_
; %bb.0:
	s_load_dwordx8 s[52:59], s[0:1], 0x0
	s_load_dwordx4 s[60:63], s[0:1], 0x28
	s_load_dwordx2 s[70:71], s[0:1], 0x38
	s_load_dword s3, s[0:1], 0x40
	s_load_dwordx4 s[64:67], s[0:1], 0x48
	s_waitcnt lgkmcnt(0)
	s_lshl_b64 s[68:69], s[54:55], 2
	s_add_u32 s4, s52, s68
	s_addc_u32 s5, s53, s69
	s_add_u32 s6, s56, s68
	s_mul_i32 s0, s71, s3
	s_mul_hi_u32 s1, s70, s3
	s_addc_u32 s7, s57, s69
	s_add_i32 s8, s1, s0
	s_mul_i32 s0, s2, 0x1700
	s_mov_b32 s1, 0
	s_lshl_b64 s[56:57], s[0:1], 2
	s_add_u32 s52, s4, s56
	s_addc_u32 s53, s5, s57
	s_add_u32 s50, s6, s56
	s_mul_i32 s3, s70, s3
	s_addc_u32 s51, s7, s57
	s_add_u32 s0, s3, s2
	s_addc_u32 s1, s8, 0
	s_add_u32 s6, s64, -1
	s_addc_u32 s7, s65, -1
	v_mov_b64_e32 v[2:3], s[6:7]
	v_cmp_ge_u64_e64 s[0:1], s[0:1], v[2:3]
	s_mov_b64 s[4:5], -1
	s_and_b64 vcc, exec, s[0:1]
	s_mul_i32 s33, s6, 0xffffe900
	s_barrier
	s_cbranch_vccz .LBB751_69
; %bb.1:
	v_mov_b64_e32 v[2:3], s[52:53]
	flat_load_dword v1, v[2:3]
	s_add_i32 s3, s33, s62
	v_cmp_gt_u32_e32 vcc, s3, v0
	s_waitcnt vmcnt(0) lgkmcnt(0)
	v_mov_b32_e32 v4, v1
	s_and_saveexec_b64 s[4:5], vcc
	s_cbranch_execz .LBB751_3
; %bb.2:
	v_lshlrev_b32_e32 v2, 2, v0
	v_mov_b32_e32 v3, 0
	v_lshl_add_u64 v[2:3], s[52:53], 0, v[2:3]
	flat_load_dword v4, v[2:3]
.LBB751_3:
	s_or_b64 exec, exec, s[4:5]
	v_or_b32_e32 v2, 0x100, v0
	v_cmp_gt_u32_e64 s[48:49], s3, v2
	v_mov_b32_e32 v5, v1
	s_and_saveexec_b64 s[4:5], s[48:49]
	s_cbranch_execz .LBB751_5
; %bb.4:
	v_lshlrev_b32_e32 v2, 2, v0
	v_mov_b32_e32 v3, 0
	v_lshl_add_u64 v[2:3], s[52:53], 0, v[2:3]
	flat_load_dword v5, v[2:3] offset:1024
.LBB751_5:
	s_or_b64 exec, exec, s[4:5]
	v_or_b32_e32 v2, 0x200, v0
	v_cmp_gt_u32_e64 s[4:5], s3, v2
	v_mov_b32_e32 v6, v1
	s_and_saveexec_b64 s[6:7], s[4:5]
	s_cbranch_execz .LBB751_7
; %bb.6:
	v_lshlrev_b32_e32 v2, 2, v0
	v_mov_b32_e32 v3, 0
	v_lshl_add_u64 v[2:3], s[52:53], 0, v[2:3]
	flat_load_dword v6, v[2:3] offset:2048
.LBB751_7:
	;; [unrolled: 12-line block ×3, first 2 shown]
	s_or_b64 exec, exec, s[8:9]
	v_or_b32_e32 v2, 0x400, v0
	v_cmp_gt_u32_e64 s[8:9], s3, v2
	v_lshlrev_b32_e32 v2, 2, v2
	v_mov_b32_e32 v3, v1
	s_and_saveexec_b64 s[10:11], s[8:9]
	s_cbranch_execz .LBB751_11
; %bb.10:
	v_mov_b32_e32 v3, 0
	v_lshl_add_u64 v[8:9], s[52:53], 0, v[2:3]
	flat_load_dword v3, v[8:9]
.LBB751_11:
	s_or_b64 exec, exec, s[10:11]
	v_or_b32_e32 v8, 0x500, v0
	v_cmp_gt_u32_e64 s[10:11], s3, v8
	v_lshlrev_b32_e32 v10, 2, v8
	v_mov_b32_e32 v8, v1
	s_and_saveexec_b64 s[12:13], s[10:11]
	s_cbranch_execz .LBB751_13
; %bb.12:
	v_mov_b32_e32 v11, 0
	v_lshl_add_u64 v[8:9], s[52:53], 0, v[10:11]
	flat_load_dword v8, v[8:9]
.LBB751_13:
	;; [unrolled: 12-line block ×18, first 2 shown]
	s_or_b64 exec, exec, s[46:47]
	v_or_b32_e32 v41, 0x1600, v0
	v_cmp_gt_u32_e64 s[46:47], s3, v41
	v_lshlrev_b32_e32 v44, 2, v41
	s_and_saveexec_b64 s[54:55], s[46:47]
	s_cbranch_execz .LBB751_47
; %bb.46:
	v_mov_b32_e32 v45, 0
	v_lshl_add_u64 v[46:47], s[52:53], 0, v[44:45]
	flat_load_dword v1, v[46:47]
.LBB751_47:
	s_or_b64 exec, exec, s[54:55]
	v_lshlrev_b32_e32 v46, 2, v0
	s_movk_i32 s54, 0x58
	v_mad_u32_u24 v72, v0, s54, v46
	s_movk_i32 s54, 0xffa8
	s_waitcnt vmcnt(0) lgkmcnt(0)
	ds_write2st64_b32 v46, v4, v5 offset1:4
	ds_write2st64_b32 v46, v6, v7 offset0:8 offset1:12
	ds_write2st64_b32 v46, v3, v8 offset0:16 offset1:20
	;; [unrolled: 1-line block ×10, first 2 shown]
	ds_write_b32 v46, v1 offset:22528
	s_waitcnt lgkmcnt(0)
	s_barrier
	ds_read2_b32 v[68:69], v72 offset1:1
	ds_read2_b32 v[66:67], v72 offset0:2 offset1:3
	ds_read2_b32 v[64:65], v72 offset0:4 offset1:5
	;; [unrolled: 1-line block ×6, first 2 shown]
	ds_read_b32 v1, v72 offset:88
	ds_read2_b32 v[60:61], v72 offset0:8 offset1:9
	ds_read2_b32 v[58:59], v72 offset0:10 offset1:11
	;; [unrolled: 1-line block ×4, first 2 shown]
	v_mad_i32_i24 v3, v0, s54, v72
	s_waitcnt lgkmcnt(4)
	ds_write_b32 v3, v1 offset:23552
	s_waitcnt lgkmcnt(0)
	s_barrier
	s_barrier
	s_waitcnt lgkmcnt(0)
                                        ; implicit-def: $vgpr48
	s_and_saveexec_b64 s[54:55], vcc
	s_cbranch_execz .LBB751_108
; %bb.48:
	v_mov_b32_e32 v47, 0
	v_lshl_add_u64 v[48:49], s[50:51], 0, v[46:47]
	flat_load_dword v48, v[48:49]
	s_or_b64 exec, exec, s[54:55]
                                        ; implicit-def: $vgpr49
	s_and_saveexec_b64 s[54:55], s[48:49]
	s_cbranch_execnz .LBB751_109
.LBB751_49:
	s_or_b64 exec, exec, s[54:55]
                                        ; implicit-def: $vgpr50
	s_and_saveexec_b64 s[48:49], s[4:5]
	s_cbranch_execz .LBB751_110
.LBB751_50:
	v_mov_b32_e32 v47, 0
	v_lshl_add_u64 v[50:51], s[50:51], 0, v[46:47]
	flat_load_dword v50, v[50:51] offset:2048
	s_or_b64 exec, exec, s[48:49]
                                        ; implicit-def: $vgpr47
	s_and_saveexec_b64 s[4:5], s[6:7]
	s_cbranch_execnz .LBB751_111
.LBB751_51:
	s_or_b64 exec, exec, s[4:5]
                                        ; implicit-def: $vgpr3
	s_and_saveexec_b64 s[4:5], s[8:9]
	s_cbranch_execz .LBB751_112
.LBB751_52:
	v_mov_b32_e32 v3, 0
	v_lshl_add_u64 v[2:3], s[50:51], 0, v[2:3]
	flat_load_dword v3, v[2:3]
	s_or_b64 exec, exec, s[4:5]
                                        ; implicit-def: $vgpr2
	s_and_saveexec_b64 s[4:5], s[10:11]
	s_cbranch_execnz .LBB751_113
.LBB751_53:
	s_or_b64 exec, exec, s[4:5]
                                        ; implicit-def: $vgpr10
	s_and_saveexec_b64 s[4:5], s[12:13]
	s_cbranch_execz .LBB751_114
.LBB751_54:
	v_mov_b32_e32 v13, 0
	v_lshl_add_u64 v[10:11], s[50:51], 0, v[12:13]
	flat_load_dword v10, v[10:11]
	s_or_b64 exec, exec, s[4:5]
                                        ; implicit-def: $vgpr11
	s_and_saveexec_b64 s[4:5], s[14:15]
	s_cbranch_execnz .LBB751_115
.LBB751_55:
	s_or_b64 exec, exec, s[4:5]
                                        ; implicit-def: $vgpr12
	s_and_saveexec_b64 s[4:5], s[16:17]
	s_cbranch_execz .LBB751_116
.LBB751_56:
	v_mov_b32_e32 v17, 0
	v_lshl_add_u64 v[12:13], s[50:51], 0, v[16:17]
	flat_load_dword v12, v[12:13]
	s_or_b64 exec, exec, s[4:5]
                                        ; implicit-def: $vgpr13
	s_and_saveexec_b64 s[4:5], s[18:19]
	s_cbranch_execnz .LBB751_117
.LBB751_57:
	s_or_b64 exec, exec, s[4:5]
                                        ; implicit-def: $vgpr14
	s_and_saveexec_b64 s[4:5], s[20:21]
	s_cbranch_execz .LBB751_118
.LBB751_58:
	v_mov_b32_e32 v21, 0
	v_lshl_add_u64 v[14:15], s[50:51], 0, v[20:21]
	flat_load_dword v14, v[14:15]
	s_or_b64 exec, exec, s[4:5]
                                        ; implicit-def: $vgpr15
	s_and_saveexec_b64 s[4:5], s[22:23]
	s_cbranch_execnz .LBB751_119
.LBB751_59:
	s_or_b64 exec, exec, s[4:5]
                                        ; implicit-def: $vgpr16
	s_and_saveexec_b64 s[4:5], s[24:25]
	s_cbranch_execz .LBB751_120
.LBB751_60:
	v_mov_b32_e32 v25, 0
	v_lshl_add_u64 v[16:17], s[50:51], 0, v[24:25]
	flat_load_dword v16, v[16:17]
	s_or_b64 exec, exec, s[4:5]
                                        ; implicit-def: $vgpr17
	s_and_saveexec_b64 s[4:5], s[26:27]
	s_cbranch_execnz .LBB751_121
.LBB751_61:
	s_or_b64 exec, exec, s[4:5]
                                        ; implicit-def: $vgpr18
	s_and_saveexec_b64 s[4:5], s[28:29]
	s_cbranch_execz .LBB751_122
.LBB751_62:
	v_mov_b32_e32 v29, 0
	v_lshl_add_u64 v[18:19], s[50:51], 0, v[28:29]
	flat_load_dword v18, v[18:19]
	s_or_b64 exec, exec, s[4:5]
                                        ; implicit-def: $vgpr19
	s_and_saveexec_b64 s[4:5], s[30:31]
	s_cbranch_execnz .LBB751_123
.LBB751_63:
	s_or_b64 exec, exec, s[4:5]
                                        ; implicit-def: $vgpr20
	s_and_saveexec_b64 s[4:5], s[34:35]
	s_cbranch_execz .LBB751_124
.LBB751_64:
	v_mov_b32_e32 v33, 0
	v_lshl_add_u64 v[20:21], s[50:51], 0, v[32:33]
	flat_load_dword v20, v[20:21]
	s_or_b64 exec, exec, s[4:5]
                                        ; implicit-def: $vgpr21
	s_and_saveexec_b64 s[4:5], s[36:37]
	s_cbranch_execnz .LBB751_125
.LBB751_65:
	s_or_b64 exec, exec, s[4:5]
                                        ; implicit-def: $vgpr22
	s_and_saveexec_b64 s[4:5], s[38:39]
	s_cbranch_execz .LBB751_126
.LBB751_66:
	v_mov_b32_e32 v37, 0
	v_lshl_add_u64 v[22:23], s[50:51], 0, v[36:37]
	flat_load_dword v22, v[22:23]
	s_or_b64 exec, exec, s[4:5]
                                        ; implicit-def: $vgpr23
	s_and_saveexec_b64 s[4:5], s[40:41]
	s_cbranch_execnz .LBB751_127
.LBB751_67:
	s_or_b64 exec, exec, s[4:5]
                                        ; implicit-def: $vgpr24
	s_and_saveexec_b64 s[4:5], s[42:43]
	s_cbranch_execz .LBB751_128
.LBB751_68:
	v_mov_b32_e32 v41, 0
	v_lshl_add_u64 v[24:25], s[50:51], 0, v[40:41]
	flat_load_dword v24, v[24:25]
	s_or_b64 exec, exec, s[4:5]
                                        ; implicit-def: $vgpr25
	s_and_saveexec_b64 s[4:5], s[44:45]
	s_cbranch_execz .LBB751_130
	s_branch .LBB751_129
.LBB751_69:
	s_mov_b64 s[8:9], 0
                                        ; implicit-def: $vgpr52_vgpr53
                                        ; implicit-def: $vgpr50_vgpr51
                                        ; implicit-def: $vgpr48_vgpr49
                                        ; implicit-def: $vgpr46_vgpr47
                                        ; implicit-def: $vgpr44_vgpr45
                                        ; implicit-def: $vgpr42_vgpr43
                                        ; implicit-def: $vgpr40_vgpr41
                                        ; implicit-def: $vgpr38_vgpr39
                                        ; implicit-def: $vgpr36_vgpr37
                                        ; implicit-def: $vgpr34_vgpr35
                                        ; implicit-def: $vgpr32_vgpr33
                                        ; implicit-def: $vgpr30_vgpr31
                                        ; implicit-def: $vgpr28_vgpr29
                                        ; implicit-def: $vgpr26_vgpr27
                                        ; implicit-def: $vgpr24_vgpr25
                                        ; implicit-def: $vgpr22_vgpr23
                                        ; implicit-def: $vgpr20_vgpr21
                                        ; implicit-def: $vgpr18_vgpr19
                                        ; implicit-def: $vgpr16_vgpr17
                                        ; implicit-def: $vgpr14_vgpr15
                                        ; implicit-def: $vgpr12_vgpr13
                                        ; implicit-def: $vgpr10_vgpr11
                                        ; implicit-def: $vgpr1
                                        ; implicit-def: $vgpr3
                                        ; implicit-def: $sgpr6_sgpr7
	s_and_b64 vcc, exec, s[4:5]
	v_lshlrev_b32_e32 v54, 2, v0
	s_cbranch_vccz .LBB751_71
.LBB751_70:
	v_mov_b32_e32 v55, 0
	v_lshl_add_u64 v[2:3], s[52:53], 0, v[54:55]
	v_add_co_u32_e32 v4, vcc, 0x1000, v2
	s_movk_i32 s3, 0x1000
	s_nop 0
	v_addc_co_u32_e32 v5, vcc, 0, v3, vcc
	flat_load_dword v1, v[2:3]
	flat_load_dword v8, v[2:3] offset:1024
	flat_load_dword v9, v[2:3] offset:2048
	s_waitcnt lgkmcnt(0)
	flat_load_dword v10, v[2:3] offset:3072
	flat_load_dword v11, v[4:5]
	flat_load_dword v12, v[4:5] offset:1024
	flat_load_dword v13, v[4:5] offset:2048
	;; [unrolled: 1-line block ×3, first 2 shown]
	v_add_co_u32_e32 v4, vcc, 0x2000, v2
	s_movk_i32 s10, 0x58
	s_nop 0
	v_addc_co_u32_e32 v5, vcc, 0, v3, vcc
	v_add_co_u32_e32 v6, vcc, 0x3000, v2
	s_movk_i32 s11, 0xffa8
	s_nop 0
	v_addc_co_u32_e32 v7, vcc, 0, v3, vcc
	flat_load_dword v15, v[4:5]
	flat_load_dword v16, v[4:5] offset:1024
	flat_load_dword v17, v[4:5] offset:2048
	;; [unrolled: 1-line block ×3, first 2 shown]
	flat_load_dword v19, v[6:7]
	flat_load_dword v20, v[6:7] offset:1024
	flat_load_dword v21, v[6:7] offset:2048
	;; [unrolled: 1-line block ×3, first 2 shown]
	v_add_co_u32_e32 v4, vcc, 0x4000, v2
	v_mad_u32_u24 v28, v0, s10, v54
	s_nop 0
	v_addc_co_u32_e32 v5, vcc, 0, v3, vcc
	v_add_co_u32_e32 v2, vcc, 0x5000, v2
	s_movk_i32 s4, 0x2000
	s_nop 0
	v_addc_co_u32_e32 v3, vcc, 0, v3, vcc
	flat_load_dword v6, v[4:5]
	flat_load_dword v7, v[4:5] offset:1024
	flat_load_dword v23, v[4:5] offset:2048
	;; [unrolled: 1-line block ×3, first 2 shown]
	flat_load_dword v25, v[2:3]
	flat_load_dword v26, v[2:3] offset:1024
	flat_load_dword v27, v[2:3] offset:2048
	v_lshl_add_u64 v[2:3], s[50:51], 0, v[54:55]
	v_mad_i32_i24 v29, v0, s11, v28
	s_movk_i32 s5, 0x3000
	s_movk_i32 s6, 0x4000
	;; [unrolled: 1-line block ×3, first 2 shown]
	s_or_b64 s[8:9], s[8:9], exec
	s_waitcnt vmcnt(0)
	ds_write2st64_b32 v54, v1, v8 offset1:4
	s_waitcnt lgkmcnt(0)
	ds_write2st64_b32 v54, v9, v10 offset0:8 offset1:12
	ds_write2st64_b32 v54, v11, v12 offset0:16 offset1:20
	;; [unrolled: 1-line block ×10, first 2 shown]
	ds_write_b32 v54, v27 offset:22528
	v_add_co_u32_e32 v10, vcc, s3, v2
	s_waitcnt lgkmcnt(0)
	s_nop 0
	v_addc_co_u32_e32 v11, vcc, 0, v3, vcc
	s_barrier
	ds_read_b32 v1, v28 offset:88
	ds_read2_b32 v[4:5], v28 offset1:1
	ds_read2_b32 v[6:7], v28 offset0:2 offset1:3
	ds_read2_b32 v[8:9], v28 offset0:4 offset1:5
	;; [unrolled: 1-line block ×10, first 2 shown]
	s_waitcnt lgkmcnt(11)
	ds_write_b32 v29, v1 offset:23552
	s_waitcnt lgkmcnt(0)
	s_barrier
	s_barrier
	flat_load_dword v14, v[2:3]
	flat_load_dword v16, v[2:3] offset:1024
	flat_load_dword v18, v[2:3] offset:2048
	;; [unrolled: 1-line block ×3, first 2 shown]
	flat_load_dword v24, v[10:11]
	flat_load_dword v32, v[10:11] offset:1024
	flat_load_dword v36, v[10:11] offset:2048
	;; [unrolled: 1-line block ×3, first 2 shown]
	v_add_co_u32_e32 v10, vcc, s4, v2
	s_nop 1
	v_addc_co_u32_e32 v11, vcc, 0, v3, vcc
	v_add_co_u32_e32 v12, vcc, s5, v2
	s_nop 1
	v_addc_co_u32_e32 v13, vcc, 0, v3, vcc
	flat_load_dword v44, v[10:11]
	flat_load_dword v48, v[10:11] offset:1024
	flat_load_dword v52, v[10:11] offset:2048
	;; [unrolled: 1-line block ×3, first 2 shown]
	flat_load_dword v55, v[12:13]
	flat_load_dword v56, v[12:13] offset:1024
	flat_load_dword v57, v[12:13] offset:2048
	;; [unrolled: 1-line block ×3, first 2 shown]
	v_add_co_u32_e32 v10, vcc, s6, v2
	s_nop 1
	v_addc_co_u32_e32 v11, vcc, 0, v3, vcc
	v_add_co_u32_e32 v2, vcc, s7, v2
                                        ; implicit-def: $sgpr6_sgpr7
	s_nop 1
	v_addc_co_u32_e32 v3, vcc, 0, v3, vcc
	flat_load_dword v12, v[10:11]
	flat_load_dword v59, v[10:11] offset:1024
	flat_load_dword v60, v[10:11] offset:2048
	;; [unrolled: 1-line block ×3, first 2 shown]
	flat_load_dword v62, v[2:3]
	flat_load_dword v63, v[2:3] offset:1024
	flat_load_dword v64, v[2:3] offset:2048
	v_cmp_ne_u32_e32 vcc, 0, v5
	s_waitcnt vmcnt(0) lgkmcnt(0)
	ds_write2st64_b32 v54, v14, v16 offset1:4
	ds_write2st64_b32 v54, v18, v20 offset0:8 offset1:12
	ds_write2st64_b32 v54, v24, v32 offset0:16 offset1:20
	;; [unrolled: 1-line block ×10, first 2 shown]
	ds_write_b32 v54, v64 offset:22528
	v_cndmask_b32_e64 v13, 0, 1, vcc
	v_cmp_ne_u32_e32 vcc, 0, v4
	s_waitcnt lgkmcnt(0)
	s_barrier
	v_cndmask_b32_e64 v11, 0, 1, vcc
	v_cmp_ne_u32_e32 vcc, 0, v7
	s_nop 1
	v_cndmask_b32_e64 v17, 0, 1, vcc
	v_cmp_ne_u32_e32 vcc, 0, v6
	s_nop 1
	;; [unrolled: 3-line block ×3, first 2 shown]
	v_cndmask_b32_e64 v21, 0, 1, vcc
	v_cmp_ne_u32_e32 vcc, 0, v8
	ds_read2_b32 v[4:5], v28 offset1:1
	ds_read2_b32 v[6:7], v28 offset0:2 offset1:3
	ds_read2_b32 v[8:9], v28 offset0:4 offset1:5
	;; [unrolled: 1-line block ×10, first 2 shown]
	ds_read_b32 v3, v28 offset:88
	v_cndmask_b32_e64 v19, 0, 1, vcc
	v_cmp_ne_u32_e32 vcc, 0, v23
	s_waitcnt lgkmcnt(8)
	v_mov_b32_e32 v24, v53
	v_mov_b32_e32 v10, v4
	v_cndmask_b32_e64 v25, 0, 1, vcc
	v_cmp_ne_u32_e32 vcc, 0, v22
	v_mov_b32_e32 v12, v5
	v_mov_b32_e32 v14, v6
	v_cndmask_b32_e64 v23, 0, 1, vcc
	v_cmp_ne_u32_e32 vcc, 0, v27
	;; [unrolled: 4-line block ×4, first 2 shown]
	s_waitcnt lgkmcnt(7)
	v_mov_b32_e32 v26, v56
	v_mov_b32_e32 v28, v57
	v_cndmask_b32_e64 v33, 0, 1, vcc
	v_cmp_ne_u32_e32 vcc, 0, v30
	s_waitcnt lgkmcnt(6)
	v_mov_b32_e32 v30, v58
	v_mov_b32_e32 v32, v59
	v_cndmask_b32_e64 v31, 0, 1, vcc
	v_cmp_ne_u32_e32 vcc, 0, v35
	s_waitcnt lgkmcnt(5)
	v_mov_b32_e32 v36, v61
	s_waitcnt lgkmcnt(4)
	v_mov_b32_e32 v40, v63
	v_cndmask_b32_e64 v37, 0, 1, vcc
	v_cmp_ne_u32_e32 vcc, 0, v34
	v_mov_b32_e32 v34, v60
	s_waitcnt lgkmcnt(3)
	v_mov_b32_e32 v44, v65
	v_cndmask_b32_e64 v35, 0, 1, vcc
	v_cmp_ne_u32_e32 vcc, 0, v39
	s_waitcnt lgkmcnt(2)
	v_mov_b32_e32 v48, v67
	s_waitcnt lgkmcnt(1)
	v_mov_b32_e32 v52, v69
	v_cndmask_b32_e64 v41, 0, 1, vcc
	v_cmp_ne_u32_e32 vcc, 0, v38
	v_mov_b32_e32 v38, v62
	s_nop 0
	v_cndmask_b32_e64 v39, 0, 1, vcc
	v_cmp_ne_u32_e32 vcc, 0, v43
	s_nop 1
	v_cndmask_b32_e64 v45, 0, 1, vcc
	v_cmp_ne_u32_e32 vcc, 0, v42
	v_mov_b32_e32 v42, v64
	s_nop 0
	v_cndmask_b32_e64 v43, 0, 1, vcc
	v_cmp_ne_u32_e32 vcc, 0, v47
	s_nop 1
	;; [unrolled: 7-line block ×3, first 2 shown]
	v_cndmask_b32_e64 v53, 0, 1, vcc
	v_cmp_ne_u32_e32 vcc, 0, v50
	v_mov_b32_e32 v50, v68
	s_nop 0
	v_cndmask_b32_e64 v51, 0, 1, vcc
.LBB751_71:
	v_mov_b64_e32 v[56:57], s[6:7]
	s_and_saveexec_b64 s[4:5], s[8:9]
	s_cbranch_execz .LBB751_73
; %bb.72:
	v_cmp_ne_u32_e32 vcc, 0, v1
	s_waitcnt lgkmcnt(0)
	v_mov_b32_e32 v56, v3
	v_cndmask_b32_e64 v57, 0, 1, vcc
.LBB751_73:
	s_or_b64 exec, exec, s[4:5]
	s_mov_b32 s46, 0
	s_cmp_lg_u32 s2, 0
	v_or_b32_e32 v55, v57, v53
	v_lshrrev_b32_e32 v1, 5, v0
	v_cmp_gt_u32_e32 vcc, 64, v0
	s_waitcnt lgkmcnt(0)
	s_barrier
	s_cbranch_scc0 .LBB751_177
; %bb.74:
	s_mov_b32 s47, 1
	v_cmp_gt_u64_e64 s[52:53], s[46:47], v[12:13]
	v_cmp_gt_u64_e64 s[4:5], s[46:47], v[14:15]
	v_cmp_gt_u64_e64 s[6:7], s[46:47], v[16:17]
	v_cndmask_b32_e64 v2, 0, v10, s[52:53]
	v_add_u32_e32 v2, v2, v12
	v_cndmask_b32_e64 v2, 0, v2, s[4:5]
	v_add_u32_e32 v2, v2, v14
	v_cndmask_b32_e64 v2, 0, v2, s[6:7]
	v_add_u32_e32 v2, v2, v16
	v_cmp_gt_u64_e64 s[8:9], s[46:47], v[18:19]
	v_cmp_gt_u64_e64 s[10:11], s[46:47], v[20:21]
	v_cmp_gt_u64_e64 s[12:13], s[46:47], v[22:23]
	v_cndmask_b32_e64 v2, 0, v2, s[8:9]
	v_add_u32_e32 v2, v2, v18
	v_cndmask_b32_e64 v2, 0, v2, s[10:11]
	v_add_u32_e32 v2, v2, v20
	v_cndmask_b32_e64 v2, 0, v2, s[12:13]
	v_add_u32_e32 v2, v2, v22
	;; [unrolled: 9-line block ×7, first 2 shown]
	v_cmp_gt_u64_e64 s[46:47], s[46:47], v[56:57]
	s_nop 1
	v_cndmask_b32_e64 v2, 0, v2, s[46:47]
	v_add_u32_e32 v62, v2, v56
	v_or3_b32 v2, v55, v51, v49
	v_or3_b32 v2, v2, v47, v45
	;; [unrolled: 1-line block ×10, first 2 shown]
	v_and_b32_e32 v2, 1, v2
	v_cmp_eq_u32_e64 s[48:49], 1, v2
	v_add_lshl_u32 v2, v1, v0, 3
	s_nop 0
	v_cndmask_b32_e64 v63, v11, 1, s[48:49]
	ds_write_b32 v2, v62
	ds_write_b8 v2, v63 offset:4
	s_waitcnt lgkmcnt(0)
	s_barrier
	s_and_saveexec_b64 s[50:51], vcc
	s_cbranch_execz .LBB751_86
; %bb.75:
	v_lshrrev_b32_e32 v2, 3, v0
	v_add_lshl_u32 v4, v2, v54, 3
	ds_read2_b32 v[6:7], v4 offset0:2 offset1:4
	ds_read_b64 v[2:3], v4
	ds_read_u8 v8, v4 offset:12
	ds_read_u8 v9, v4 offset:20
	ds_read_b32 v58, v4 offset:24
	ds_read_u8 v59, v4 offset:28
	v_mov_b32_e32 v60, 0
	s_waitcnt lgkmcnt(3)
	v_cmp_eq_u16_sdwa s[48:49], v8, v60 src0_sel:BYTE_0 src1_sel:DWORD
	v_and_b32_e32 v5, 1, v3
	s_nop 0
	v_cndmask_b32_e64 v61, 0, v2, s[48:49]
	v_add_u32_e32 v6, v61, v6
	s_waitcnt lgkmcnt(2)
	v_cmp_eq_u16_sdwa s[48:49], v9, v60 src0_sel:BYTE_0 src1_sel:DWORD
	s_nop 1
	v_cndmask_b32_e64 v6, 0, v6, s[48:49]
	v_add_u32_e32 v6, v6, v7
	s_waitcnt lgkmcnt(0)
	v_cmp_eq_u16_e64 s[48:49], 0, v59
	s_nop 1
	v_cndmask_b32_e64 v6, 0, v6, s[48:49]
	v_add_u32_e32 v7, v6, v58
	v_or_b32_e32 v6, v59, v9
	v_or_b32_e32 v6, v6, v8
	v_and_b32_e32 v6, 1, v6
	v_cmp_eq_u32_e64 s[48:49], 1, v6
	v_mbcnt_lo_u32_b32 v8, -1, 0
	v_and_b32_e32 v6, 0xffffff00, v3
	v_cndmask_b32_e64 v9, v5, 1, s[48:49]
	v_mbcnt_hi_u32_b32 v8, -1, v8
	v_and_b32_e32 v59, 15, v8
	v_or_b32_sdwa v58, v6, v9 dst_sel:DWORD dst_unused:UNUSED_PAD src0_sel:DWORD src1_sel:WORD_0
	v_mov_b32_dpp v60, v7 row_shr:1 row_mask:0xf bank_mask:0xf
	v_cmp_ne_u32_e64 s[48:49], 0, v59
	v_mov_b32_dpp v61, v58 row_shr:1 row_mask:0xf bank_mask:0xf
	s_and_saveexec_b64 s[54:55], s[48:49]
; %bb.76:
	v_and_b32_e32 v58, 1, v9
	v_and_b32_e32 v61, 1, v61
	v_cmp_eq_u32_e64 s[48:49], 1, v58
	s_nop 1
	v_cndmask_b32_e64 v61, v61, 1, s[48:49]
	v_cmp_eq_u16_e64 s[48:49], 0, v9
	v_or_b32_sdwa v58, v6, v61 dst_sel:DWORD dst_unused:UNUSED_PAD src0_sel:DWORD src1_sel:WORD_0
	s_nop 0
	v_cndmask_b32_e64 v9, 0, v60, s[48:49]
	v_add_u32_e32 v7, v9, v7
	v_mov_b32_e32 v9, v61
; %bb.77:
	s_or_b64 exec, exec, s[54:55]
	v_mov_b32_dpp v60, v7 row_shr:2 row_mask:0xf bank_mask:0xf
	v_mov_b32_dpp v61, v58 row_shr:2 row_mask:0xf bank_mask:0xf
	v_cmp_lt_u32_e64 s[48:49], 1, v59
	s_and_saveexec_b64 s[54:55], s[48:49]
; %bb.78:
	v_and_b32_e32 v58, 1, v9
	v_and_b32_e32 v61, 1, v61
	v_cmp_eq_u32_e64 s[48:49], 1, v58
	s_nop 1
	v_cndmask_b32_e64 v61, v61, 1, s[48:49]
	v_cmp_eq_u16_e64 s[48:49], 0, v9
	v_or_b32_sdwa v58, v6, v61 dst_sel:DWORD dst_unused:UNUSED_PAD src0_sel:DWORD src1_sel:WORD_0
	s_nop 0
	v_cndmask_b32_e64 v9, 0, v60, s[48:49]
	v_add_u32_e32 v7, v9, v7
	v_mov_b32_e32 v9, v61
; %bb.79:
	s_or_b64 exec, exec, s[54:55]
	v_mov_b32_dpp v60, v7 row_shr:4 row_mask:0xf bank_mask:0xf
	v_mov_b32_dpp v61, v58 row_shr:4 row_mask:0xf bank_mask:0xf
	v_cmp_lt_u32_e64 s[48:49], 3, v59
	;; [unrolled: 18-line block ×3, first 2 shown]
	s_and_saveexec_b64 s[54:55], s[48:49]
; %bb.82:
	v_and_b32_e32 v58, 1, v9
	v_and_b32_e32 v59, 1, v61
	v_cmp_eq_u32_e64 s[48:49], 1, v58
	s_nop 1
	v_cndmask_b32_e64 v59, v59, 1, s[48:49]
	v_cmp_eq_u16_e64 s[48:49], 0, v9
	v_or_b32_sdwa v58, v6, v59 dst_sel:DWORD dst_unused:UNUSED_PAD src0_sel:DWORD src1_sel:WORD_0
	s_nop 0
	v_cndmask_b32_e64 v9, 0, v60, s[48:49]
	v_add_u32_e32 v7, v9, v7
	v_mov_b32_e32 v9, v59
; %bb.83:
	s_or_b64 exec, exec, s[54:55]
	v_and_b32_e32 v61, 16, v8
	v_mov_b32_dpp v59, v7 row_bcast:15 row_mask:0xf bank_mask:0xf
	v_mov_b32_dpp v60, v58 row_bcast:15 row_mask:0xf bank_mask:0xf
	v_cmp_ne_u32_e64 s[48:49], 0, v61
	s_and_saveexec_b64 s[54:55], s[48:49]
; %bb.84:
	v_and_b32_e32 v58, 1, v9
	v_and_b32_e32 v60, 1, v60
	v_cmp_eq_u32_e64 s[48:49], 1, v58
	s_nop 1
	v_cndmask_b32_e64 v60, v60, 1, s[48:49]
	v_cmp_eq_u16_e64 s[48:49], 0, v9
	v_or_b32_sdwa v58, v6, v60 dst_sel:DWORD dst_unused:UNUSED_PAD src0_sel:DWORD src1_sel:WORD_0
	s_nop 0
	v_cndmask_b32_e64 v9, 0, v59, s[48:49]
	v_add_u32_e32 v7, v9, v7
	v_mov_b32_e32 v9, v60
; %bb.85:
	s_or_b64 exec, exec, s[54:55]
	v_mov_b32_dpp v58, v58 row_bcast:31 row_mask:0xf bank_mask:0xf
	v_and_b32_e32 v60, 1, v9
	v_and_b32_e32 v58, 1, v58
	v_cmp_eq_u32_e64 s[48:49], 1, v60
	v_mov_b32_e32 v60, 0
	v_cmp_eq_u16_sdwa s[54:55], v9, v60 src0_sel:BYTE_0 src1_sel:DWORD
	v_cndmask_b32_e64 v58, v58, 1, s[48:49]
	v_cmp_lt_u32_e64 s[48:49], 31, v8
	v_mov_b32_dpp v59, v7 row_bcast:31 row_mask:0xf bank_mask:0xf
	s_movk_i32 s3, 0xff
	v_cndmask_b32_e64 v9, v9, v58, s[48:49]
	s_and_b64 s[48:49], s[48:49], s[54:55]
	v_cndmask_b32_e64 v58, 0, v59, s[48:49]
	v_add_u32_e32 v7, v58, v7
	v_add_u32_e32 v58, -1, v8
	v_and_b32_e32 v59, 64, v8
	v_cmp_lt_i32_e64 s[48:49], v58, v59
	v_and_or_b32 v6, v9, s3, v6
	s_nop 0
	v_cndmask_b32_e64 v8, v58, v8, s[48:49]
	v_lshlrev_b32_e32 v8, 2, v8
	ds_bpermute_b32 v7, v8, v7
	ds_bpermute_b32 v6, v8, v6
	v_cmp_eq_u16_sdwa s[48:49], v3, v60 src0_sel:BYTE_0 src1_sel:DWORD
	; wave barrier
	s_waitcnt lgkmcnt(1)
	s_nop 0
	v_cndmask_b32_e64 v3, 0, v7, s[48:49]
	v_add_u32_e32 v2, v3, v2
	s_waitcnt lgkmcnt(0)
	v_and_b32_e32 v3, 1, v6
	v_cmp_eq_u32_e64 s[48:49], 1, v5
	s_nop 1
	v_cndmask_b32_e64 v3, v3, 1, s[48:49]
	v_cmp_eq_u32_e64 s[48:49], 0, v0
	s_nop 1
	v_cndmask_b32_e64 v5, v2, v62, s[48:49]
	v_cndmask_b32_e64 v6, v3, v63, s[48:49]
	ds_write_b32 v4, v5
	ds_write_b8 v4, v6 offset:4
	; wave barrier
	ds_read_u8 v7, v4 offset:12
	ds_read2_b32 v[2:3], v4 offset0:2 offset1:4
	ds_read_u8 v8, v4 offset:20
	ds_read_b32 v9, v4 offset:24
	ds_read_u8 v58, v4 offset:28
	s_waitcnt lgkmcnt(4)
	v_cmp_eq_u16_e64 s[48:49], 0, v7
	s_nop 1
	v_cndmask_b32_e64 v5, 0, v5, s[48:49]
	s_waitcnt lgkmcnt(3)
	v_add_u32_e32 v2, v5, v2
	v_and_b32_e32 v5, 1, v7
	v_cmp_eq_u32_e64 s[48:49], 1, v5
	s_nop 1
	v_cndmask_b32_e64 v5, v6, 1, s[48:49]
	s_waitcnt lgkmcnt(2)
	v_cmp_eq_u16_e64 s[48:49], 0, v8
	ds_write_b8 v4, v5 offset:12
	s_nop 0
	v_cndmask_b32_e64 v6, 0, v2, s[48:49]
	v_add_u32_e32 v3, v6, v3
	v_and_b32_e32 v6, 1, v8
	v_cmp_eq_u32_e64 s[48:49], 1, v6
	s_nop 1
	v_cndmask_b32_e64 v5, v5, 1, s[48:49]
	s_waitcnt lgkmcnt(1)
	v_cmp_eq_u16_e64 s[48:49], 0, v58
	ds_write2_b32 v4, v2, v3 offset0:2 offset1:4
	ds_write_b8 v4, v5 offset:20
	v_cndmask_b32_e64 v2, 0, v3, s[48:49]
	v_and_b32_e32 v3, 1, v58
	v_add_u32_e32 v2, v2, v9
	v_cmp_eq_u32_e64 s[48:49], 1, v3
	s_nop 1
	v_cndmask_b32_e64 v3, v5, 1, s[48:49]
	ds_write_b32 v4, v2 offset:24
	ds_write_b8 v4, v3 offset:28
.LBB751_86:
	s_or_b64 exec, exec, s[50:51]
	v_cmp_eq_u32_e64 s[48:49], 0, v0
	v_cmp_ne_u32_e64 s[50:51], 0, v0
	s_waitcnt lgkmcnt(0)
	s_barrier
	s_and_saveexec_b64 s[54:55], s[50:51]
	s_cbranch_execz .LBB751_88
; %bb.87:
	v_add_u32_e32 v2, -1, v0
	v_lshrrev_b32_e32 v3, 5, v2
	v_add_lshl_u32 v2, v3, v2, 3
	ds_read_b32 v62, v2
	ds_read_u8 v63, v2 offset:4
.LBB751_88:
	s_or_b64 exec, exec, s[54:55]
	s_and_saveexec_b64 s[64:65], vcc
	s_cbranch_execz .LBB751_107
; %bb.89:
	v_mov_b32_e32 v5, 0
	ds_read_b64 v[2:3], v5 offset:2096
	v_mbcnt_lo_u32_b32 v4, -1, 0
	v_mbcnt_hi_u32_b32 v73, -1, v4
	s_mov_b32 s73, 0
	v_cmp_eq_u32_e64 s[50:51], 0, v73
	s_waitcnt lgkmcnt(0)
	v_readfirstlane_b32 s3, v3
	s_and_saveexec_b64 s[54:55], s[50:51]
	s_cbranch_execz .LBB751_91
; %bb.90:
	s_add_i32 s72, s2, 64
	s_lshl_b64 s[74:75], s[72:73], 4
	s_add_u32 s74, s60, s74
	s_addc_u32 s75, s61, s75
	s_and_b32 s77, s3, 0xff000000
	s_mov_b32 s76, s73
	s_and_b32 s79, s3, 0xff0000
	s_mov_b32 s78, s73
	s_or_b64 s[76:77], s[78:79], s[76:77]
	s_and_b32 s79, s3, 0xff00
	s_or_b64 s[76:77], s[76:77], s[78:79]
	s_and_b32 s79, s3, 0xff
	s_or_b64 s[72:73], s[76:77], s[78:79]
	v_mov_b32_e32 v3, s73
	v_mov_b32_e32 v4, 1
	v_mov_b64_e32 v[6:7], s[74:75]
	;;#ASMSTART
	global_store_dwordx4 v[6:7], v[2:5] off sc1	
s_waitcnt vmcnt(0)
	;;#ASMEND
.LBB751_91:
	s_or_b64 exec, exec, s[54:55]
	v_xad_u32 v58, v73, -1, s2
	v_add_u32_e32 v4, 64, v58
	v_lshl_add_u64 v[60:61], v[4:5], 4, s[60:61]
	;;#ASMSTART
	global_load_dwordx4 v[6:9], v[60:61] off sc1	
s_waitcnt vmcnt(0)
	;;#ASMEND
	s_nop 0
	v_and_b32_e32 v3, 0xff0000, v6
	v_and_b32_e32 v4, 0xff000000, v6
	;; [unrolled: 1-line block ×3, first 2 shown]
	v_or_b32_sdwa v3, v6, v3 dst_sel:DWORD dst_unused:UNUSED_PAD src0_sel:WORD_0 src1_sel:DWORD
	v_or3_b32 v7, 0, 0, v7
	v_or3_b32 v6, v3, v4, 0
	v_cmp_eq_u16_sdwa s[72:73], v8, v5 src0_sel:BYTE_0 src1_sel:DWORD
	s_and_saveexec_b64 s[54:55], s[72:73]
	s_cbranch_execz .LBB751_95
; %bb.92:
	s_mov_b64 s[72:73], 0
	v_mov_b32_e32 v3, 0
.LBB751_93:                             ; =>This Inner Loop Header: Depth=1
	;;#ASMSTART
	global_load_dwordx4 v[6:9], v[60:61] off sc1	
s_waitcnt vmcnt(0)
	;;#ASMEND
	s_nop 0
	v_cmp_ne_u16_sdwa s[74:75], v8, v3 src0_sel:BYTE_0 src1_sel:DWORD
	s_or_b64 s[72:73], s[74:75], s[72:73]
	s_andn2_b64 exec, exec, s[72:73]
	s_cbranch_execnz .LBB751_93
; %bb.94:
	s_or_b64 exec, exec, s[72:73]
	v_and_b32_e32 v7, 0xff, v7
.LBB751_95:
	s_or_b64 exec, exec, s[54:55]
	v_mov_b32_e32 v3, 2
	v_cmp_eq_u16_sdwa s[54:55], v8, v3 src0_sel:BYTE_0 src1_sel:DWORD
	v_lshlrev_b64 v[4:5], v73, -1
	v_and_b32_e32 v64, 63, v73
	v_and_b32_e32 v9, s55, v5
	v_or_b32_e32 v9, 0x80000000, v9
	v_and_b32_e32 v59, s54, v4
	v_ffbl_b32_e32 v9, v9
	v_add_u32_e32 v9, 32, v9
	v_ffbl_b32_e32 v59, v59
	v_cmp_ne_u32_e32 vcc, 63, v64
	v_min_u32_e32 v9, v59, v9
	s_mov_b32 s72, 0
	v_addc_co_u32_e32 v59, vcc, 0, v73, vcc
	v_lshlrev_b32_e32 v65, 2, v59
	ds_bpermute_b32 v59, v65, v7
	ds_bpermute_b32 v60, v65, v6
	v_and_b32_e32 v61, 1, v7
	s_mov_b32 s73, 1
	v_cmp_eq_u32_e32 vcc, 1, v61
	s_waitcnt lgkmcnt(1)
	v_and_b32_e32 v59, 1, v59
	v_cmp_lt_u32_e64 s[54:55], v64, v9
	v_cndmask_b32_e64 v59, v59, 1, vcc
	v_cmp_gt_u64_e32 vcc, s[72:73], v[6:7]
	s_and_b64 vcc, s[54:55], vcc
	v_and_b32_e32 v61, 0xffff, v59
	v_cndmask_b32_e64 v68, v7, v59, s[54:55]
	s_waitcnt lgkmcnt(0)
	v_cndmask_b32_e32 v59, 0, v60, vcc
	v_cmp_gt_u32_e32 vcc, 62, v64
	v_cndmask_b32_e64 v7, v7, v61, s[54:55]
	v_add_u32_e32 v6, v59, v6
	v_cndmask_b32_e64 v60, 0, 1, vcc
	v_lshlrev_b32_e32 v60, 1, v60
	v_add_lshl_u32 v66, v60, v73, 2
	ds_bpermute_b32 v60, v66, v7
	ds_bpermute_b32 v61, v66, v6
	v_and_b32_e32 v59, 1, v68
	v_cmp_eq_u32_e32 vcc, 1, v59
	v_mov_b32_e32 v59, 0
	s_waitcnt lgkmcnt(1)
	v_and_b32_e32 v60, 1, v60
	v_add_u32_e32 v67, 2, v64
	v_cndmask_b32_e64 v60, v60, 1, vcc
	v_cmp_eq_u16_sdwa vcc, v68, v59 src0_sel:BYTE_0 src1_sel:DWORD
	v_and_b32_e32 v69, 0xffff, v60
	v_add_u32_e32 v77, 32, v64
	s_waitcnt lgkmcnt(0)
	v_cndmask_b32_e32 v61, 0, v61, vcc
	v_cmp_gt_u32_e32 vcc, v67, v9
	s_nop 1
	v_cndmask_b32_e32 v60, v60, v68, vcc
	v_cndmask_b32_e64 v61, v61, 0, vcc
	v_cndmask_b32_e32 v7, v69, v7, vcc
	v_cmp_gt_u32_e32 vcc, 60, v64
	v_add_u32_e32 v6, v61, v6
	v_and_b32_e32 v71, 1, v60
	v_cndmask_b32_e64 v68, 0, 1, vcc
	v_lshlrev_b32_e32 v68, 2, v68
	v_add_lshl_u32 v68, v68, v73, 2
	ds_bpermute_b32 v70, v68, v7
	ds_bpermute_b32 v61, v68, v6
	v_cmp_eq_u32_e32 vcc, 1, v71
	v_add_u32_e32 v69, 4, v64
	s_waitcnt lgkmcnt(1)
	v_and_b32_e32 v70, 1, v70
	v_cndmask_b32_e64 v70, v70, 1, vcc
	v_cmp_eq_u16_sdwa vcc, v60, v59 src0_sel:BYTE_0 src1_sel:DWORD
	v_and_b32_e32 v71, 0xffff, v70
	s_waitcnt lgkmcnt(0)
	v_cndmask_b32_e32 v61, 0, v61, vcc
	v_cmp_gt_u32_e32 vcc, v69, v9
	s_nop 1
	v_cndmask_b32_e32 v60, v70, v60, vcc
	v_cndmask_b32_e64 v61, v61, 0, vcc
	v_cndmask_b32_e32 v7, v71, v7, vcc
	v_cmp_gt_u32_e32 vcc, 56, v64
	v_add_u32_e32 v6, v61, v6
	v_and_b32_e32 v74, 1, v60
	v_cndmask_b32_e64 v70, 0, 1, vcc
	v_lshlrev_b32_e32 v70, 3, v70
	v_add_lshl_u32 v70, v70, v73, 2
	ds_bpermute_b32 v72, v70, v7
	ds_bpermute_b32 v61, v70, v6
	v_cmp_eq_u32_e32 vcc, 1, v74
	v_add_u32_e32 v71, 8, v64
	s_waitcnt lgkmcnt(1)
	v_and_b32_e32 v72, 1, v72
	v_cndmask_b32_e64 v72, v72, 1, vcc
	v_cmp_eq_u16_sdwa vcc, v60, v59 src0_sel:BYTE_0 src1_sel:DWORD
	v_and_b32_e32 v74, 0xffff, v72
	;; [unrolled: 22-line block ×3, first 2 shown]
	s_waitcnt lgkmcnt(0)
	v_cndmask_b32_e32 v61, 0, v61, vcc
	v_cmp_gt_u32_e32 vcc, v74, v9
	s_nop 1
	v_cndmask_b32_e32 v60, v75, v60, vcc
	v_cndmask_b32_e64 v61, v61, 0, vcc
	v_cndmask_b32_e32 v7, v76, v7, vcc
	v_cmp_gt_u32_e32 vcc, 32, v64
	v_add_u32_e32 v6, v61, v6
	s_nop 0
	v_cndmask_b32_e64 v75, 0, 1, vcc
	v_lshlrev_b32_e32 v75, 5, v75
	v_add_lshl_u32 v76, v75, v73, 2
	ds_bpermute_b32 v7, v76, v7
	ds_bpermute_b32 v61, v76, v6
	v_and_b32_e32 v73, 1, v60
	v_cmp_eq_u32_e32 vcc, 1, v73
	s_waitcnt lgkmcnt(1)
	v_and_b32_e32 v7, 1, v7
	v_cndmask_b32_e64 v7, v7, 1, vcc
	v_cmp_eq_u16_sdwa vcc, v60, v59 src0_sel:BYTE_0 src1_sel:DWORD
	s_waitcnt lgkmcnt(0)
	s_nop 0
	v_cndmask_b32_e32 v61, 0, v61, vcc
	v_cmp_gt_u32_e32 vcc, v77, v9
	s_nop 1
	v_cndmask_b32_e64 v9, v61, 0, vcc
	v_cndmask_b32_e32 v7, v7, v60, vcc
	v_add_u32_e32 v6, v9, v6
	s_branch .LBB751_97
.LBB751_96:                             ;   in Loop: Header=BB751_97 Depth=1
	s_or_b64 exec, exec, s[54:55]
	v_cmp_eq_u16_sdwa s[54:55], v8, v3 src0_sel:BYTE_0 src1_sel:DWORD
	ds_bpermute_b32 v61, v65, v7
	v_and_b32_e32 v78, 1, v7
	v_and_b32_e32 v9, s55, v5
	v_or_b32_e32 v9, 0x80000000, v9
	v_and_b32_e32 v60, s54, v4
	v_ffbl_b32_e32 v9, v9
	v_add_u32_e32 v9, 32, v9
	v_ffbl_b32_e32 v60, v60
	v_min_u32_e32 v9, v60, v9
	ds_bpermute_b32 v60, v65, v6
	s_waitcnt lgkmcnt(1)
	v_and_b32_e32 v61, 1, v61
	v_cmp_eq_u32_e32 vcc, 1, v78
	v_cmp_lt_u32_e64 s[54:55], v64, v9
	v_subrev_u32_e32 v58, 64, v58
	v_cndmask_b32_e64 v61, v61, 1, vcc
	v_cmp_gt_u64_e32 vcc, s[72:73], v[6:7]
	v_and_b32_e32 v78, 0xffff, v61
	v_cndmask_b32_e64 v61, v7, v61, s[54:55]
	v_cndmask_b32_e64 v7, v7, v78, s[54:55]
	s_and_b64 vcc, s[54:55], vcc
	ds_bpermute_b32 v78, v66, v7
	s_waitcnt lgkmcnt(1)
	v_cndmask_b32_e32 v60, 0, v60, vcc
	v_add_u32_e32 v6, v60, v6
	ds_bpermute_b32 v60, v66, v6
	v_and_b32_e32 v79, 1, v61
	s_waitcnt lgkmcnt(1)
	v_and_b32_e32 v78, 1, v78
	v_cmp_eq_u32_e32 vcc, 1, v79
	s_nop 1
	v_cndmask_b32_e64 v78, v78, 1, vcc
	v_cmp_eq_u16_sdwa vcc, v61, v59 src0_sel:BYTE_0 src1_sel:DWORD
	v_and_b32_e32 v79, 0xffff, v78
	s_waitcnt lgkmcnt(0)
	v_cndmask_b32_e32 v60, 0, v60, vcc
	v_cmp_gt_u32_e32 vcc, v67, v9
	s_nop 1
	v_cndmask_b32_e32 v7, v79, v7, vcc
	v_cndmask_b32_e32 v61, v78, v61, vcc
	ds_bpermute_b32 v78, v68, v7
	v_cndmask_b32_e64 v60, v60, 0, vcc
	v_add_u32_e32 v6, v60, v6
	ds_bpermute_b32 v60, v68, v6
	v_and_b32_e32 v79, 1, v61
	s_waitcnt lgkmcnt(1)
	v_and_b32_e32 v78, 1, v78
	v_cmp_eq_u32_e32 vcc, 1, v79
	s_nop 1
	v_cndmask_b32_e64 v78, v78, 1, vcc
	v_cmp_eq_u16_sdwa vcc, v61, v59 src0_sel:BYTE_0 src1_sel:DWORD
	v_and_b32_e32 v79, 0xffff, v78
	s_waitcnt lgkmcnt(0)
	v_cndmask_b32_e32 v60, 0, v60, vcc
	v_cmp_gt_u32_e32 vcc, v69, v9
	s_nop 1
	v_cndmask_b32_e32 v7, v79, v7, vcc
	v_cndmask_b32_e32 v61, v78, v61, vcc
	ds_bpermute_b32 v78, v70, v7
	v_cndmask_b32_e64 v60, v60, 0, vcc
	;; [unrolled: 18-line block ×3, first 2 shown]
	v_add_u32_e32 v6, v60, v6
	ds_bpermute_b32 v60, v72, v6
	v_and_b32_e32 v79, 1, v61
	s_waitcnt lgkmcnt(1)
	v_and_b32_e32 v78, 1, v78
	v_cmp_eq_u32_e32 vcc, 1, v79
	s_nop 1
	v_cndmask_b32_e64 v78, v78, 1, vcc
	v_cmp_eq_u16_sdwa vcc, v61, v59 src0_sel:BYTE_0 src1_sel:DWORD
	v_and_b32_e32 v79, 0xffff, v78
	s_waitcnt lgkmcnt(0)
	v_cndmask_b32_e32 v60, 0, v60, vcc
	v_cmp_gt_u32_e32 vcc, v74, v9
	s_nop 1
	v_cndmask_b32_e64 v60, v60, 0, vcc
	v_cndmask_b32_e32 v7, v79, v7, vcc
	ds_bpermute_b32 v7, v76, v7
	v_add_u32_e32 v6, v60, v6
	ds_bpermute_b32 v60, v76, v6
	v_cndmask_b32_e32 v61, v78, v61, vcc
	v_and_b32_e32 v78, 1, v61
	v_cmp_eq_u32_e32 vcc, 1, v78
	s_waitcnt lgkmcnt(1)
	s_nop 0
	v_cndmask_b32_e64 v7, v7, 1, vcc
	v_cmp_eq_u16_sdwa vcc, v61, v59 src0_sel:BYTE_0 src1_sel:DWORD
	s_waitcnt lgkmcnt(0)
	s_nop 0
	v_cndmask_b32_e32 v60, 0, v60, vcc
	v_cmp_gt_u32_e32 vcc, v77, v9
	s_nop 1
	v_cndmask_b32_e64 v9, v60, 0, vcc
	v_cndmask_b32_e32 v7, v7, v61, vcc
	v_add_u32_e32 v6, v9, v6
	v_cmp_eq_u16_sdwa vcc, v73, v59 src0_sel:BYTE_0 src1_sel:DWORD
	v_and_b32_e32 v9, 1, v73
	v_and_b32_e32 v7, 1, v7
	v_cndmask_b32_e32 v6, 0, v6, vcc
	v_cmp_eq_u32_e32 vcc, 1, v9
	v_add_u32_e32 v6, v6, v75
	s_nop 0
	v_cndmask_b32_e64 v7, v7, 1, vcc
.LBB751_97:                             ; =>This Loop Header: Depth=1
                                        ;     Child Loop BB751_100 Depth 2
	v_cmp_ne_u16_sdwa s[54:55], v8, v3 src0_sel:BYTE_0 src1_sel:DWORD
	v_mov_b32_e32 v73, v7
	v_mov_b32_e32 v75, v6
	v_cndmask_b32_e64 v7, 0, 1, s[54:55]
	;;#ASMSTART
	;;#ASMEND
	s_nop 0
	v_cmp_ne_u32_e32 vcc, 0, v7
	s_cmp_lg_u64 vcc, exec
	s_cbranch_scc1 .LBB751_102
; %bb.98:                               ;   in Loop: Header=BB751_97 Depth=1
	v_lshl_add_u64 v[60:61], v[58:59], 4, s[60:61]
	;;#ASMSTART
	global_load_dwordx4 v[6:9], v[60:61] off sc1	
s_waitcnt vmcnt(0)
	;;#ASMEND
	s_nop 0
	v_and_b32_e32 v9, 0xff0000, v6
	v_and_b32_e32 v78, 0xff000000, v6
	;; [unrolled: 1-line block ×3, first 2 shown]
	v_or_b32_sdwa v6, v6, v9 dst_sel:DWORD dst_unused:UNUSED_PAD src0_sel:WORD_0 src1_sel:DWORD
	v_or3_b32 v7, 0, 0, v7
	v_or3_b32 v6, v6, v78, 0
	v_cmp_eq_u16_sdwa s[74:75], v8, v59 src0_sel:BYTE_0 src1_sel:DWORD
	s_and_saveexec_b64 s[54:55], s[74:75]
	s_cbranch_execz .LBB751_96
; %bb.99:                               ;   in Loop: Header=BB751_97 Depth=1
	s_mov_b64 s[74:75], 0
.LBB751_100:                            ;   Parent Loop BB751_97 Depth=1
                                        ; =>  This Inner Loop Header: Depth=2
	;;#ASMSTART
	global_load_dwordx4 v[6:9], v[60:61] off sc1	
s_waitcnt vmcnt(0)
	;;#ASMEND
	s_nop 0
	v_cmp_ne_u16_sdwa s[76:77], v8, v59 src0_sel:BYTE_0 src1_sel:DWORD
	s_or_b64 s[74:75], s[76:77], s[74:75]
	s_andn2_b64 exec, exec, s[74:75]
	s_cbranch_execnz .LBB751_100
; %bb.101:                              ;   in Loop: Header=BB751_97 Depth=1
	s_or_b64 exec, exec, s[74:75]
	v_and_b32_e32 v7, 0xff, v7
	s_branch .LBB751_96
.LBB751_102:                            ;   in Loop: Header=BB751_97 Depth=1
                                        ; implicit-def: $vgpr7
                                        ; implicit-def: $vgpr6
                                        ; implicit-def: $vgpr8
	s_cbranch_execz .LBB751_97
; %bb.103:
	s_and_saveexec_b64 s[54:55], s[50:51]
	s_cbranch_execz .LBB751_105
; %bb.104:
	s_and_b32 s50, s3, 0xff
	s_cmp_eq_u32 s50, 0
	s_cselect_b64 vcc, -1, 0
	s_bitcmp1_b32 s3, 0
	s_mov_b32 s51, 0
	s_cselect_b64 s[72:73], -1, 0
	s_add_i32 s50, s2, 64
	s_lshl_b64 s[2:3], s[50:51], 4
	v_cndmask_b32_e32 v3, 0, v75, vcc
	s_add_u32 s2, s60, s2
	v_add_u32_e32 v2, v3, v2
	v_and_b32_e32 v3, 1, v73
	s_addc_u32 s3, s61, s3
	v_mov_b32_e32 v5, 0
	v_cndmask_b32_e64 v3, v3, 1, s[72:73]
	v_mov_b32_e32 v4, 2
	v_mov_b64_e32 v[6:7], s[2:3]
	;;#ASMSTART
	global_store_dwordx4 v[6:7], v[2:5] off sc1	
s_waitcnt vmcnt(0)
	;;#ASMEND
.LBB751_105:
	s_or_b64 exec, exec, s[54:55]
	s_and_b64 exec, exec, s[48:49]
	s_cbranch_execz .LBB751_107
; %bb.106:
	v_mov_b32_e32 v2, 0
	ds_write_b32 v2, v75
	ds_write_b8 v2, v73 offset:4
.LBB751_107:
	s_or_b64 exec, exec, s[64:65]
	s_mov_b32 s2, 0
	v_mov_b32_e32 v2, 0
	s_mov_b32 s3, 1
	s_waitcnt lgkmcnt(0)
	s_barrier
	ds_read_b32 v3, v2
	v_cmp_gt_u64_e32 vcc, s[2:3], v[10:11]
	v_and_b32_e32 v5, 1, v11
	v_and_b32_e32 v6, 1, v63
	v_cndmask_b32_e32 v4, 0, v62, vcc
	v_cmp_eq_u32_e32 vcc, 1, v5
	v_cndmask_b32_e64 v4, v4, 0, s[48:49]
	s_nop 0
	v_cndmask_b32_e64 v5, v6, 1, vcc
	v_cndmask_b32_e64 v5, v5, v11, s[48:49]
	v_cmp_eq_u16_sdwa vcc, v5, v2 src0_sel:BYTE_0 src1_sel:DWORD
	s_waitcnt lgkmcnt(0)
	s_nop 0
	v_cndmask_b32_e32 v2, 0, v3, vcc
	v_add3_u32 v80, v4, v10, v2
	v_cndmask_b32_e64 v2, 0, v80, s[52:53]
	v_add_u32_e32 v58, v2, v12
	v_cndmask_b32_e64 v2, 0, v58, s[4:5]
	v_add_u32_e32 v59, v2, v14
	;; [unrolled: 2-line block ×22, first 2 shown]
	s_branch .LBB751_197
.LBB751_108:
	s_or_b64 exec, exec, s[54:55]
                                        ; implicit-def: $vgpr49
	s_and_saveexec_b64 s[54:55], s[48:49]
	s_cbranch_execz .LBB751_49
.LBB751_109:
	v_mov_b32_e32 v47, 0
	v_lshl_add_u64 v[50:51], s[50:51], 0, v[46:47]
	flat_load_dword v49, v[50:51] offset:1024
	s_or_b64 exec, exec, s[54:55]
                                        ; implicit-def: $vgpr50
	s_and_saveexec_b64 s[48:49], s[4:5]
	s_cbranch_execnz .LBB751_50
.LBB751_110:
	s_or_b64 exec, exec, s[48:49]
                                        ; implicit-def: $vgpr47
	s_and_saveexec_b64 s[4:5], s[6:7]
	s_cbranch_execz .LBB751_51
.LBB751_111:
	v_mov_b32_e32 v47, 0
	v_lshl_add_u64 v[52:53], s[50:51], 0, v[46:47]
	flat_load_dword v47, v[52:53] offset:3072
	s_or_b64 exec, exec, s[4:5]
                                        ; implicit-def: $vgpr3
	s_and_saveexec_b64 s[4:5], s[8:9]
	s_cbranch_execnz .LBB751_52
.LBB751_112:
	s_or_b64 exec, exec, s[4:5]
                                        ; implicit-def: $vgpr2
	s_and_saveexec_b64 s[4:5], s[10:11]
	s_cbranch_execz .LBB751_53
.LBB751_113:
	v_mov_b32_e32 v11, 0
	v_lshl_add_u64 v[10:11], s[50:51], 0, v[10:11]
	flat_load_dword v2, v[10:11]
	s_or_b64 exec, exec, s[4:5]
                                        ; implicit-def: $vgpr10
	s_and_saveexec_b64 s[4:5], s[12:13]
	s_cbranch_execnz .LBB751_54
.LBB751_114:
	s_or_b64 exec, exec, s[4:5]
                                        ; implicit-def: $vgpr11
	s_and_saveexec_b64 s[4:5], s[14:15]
	s_cbranch_execz .LBB751_55
.LBB751_115:
	v_mov_b32_e32 v15, 0
	v_lshl_add_u64 v[12:13], s[50:51], 0, v[14:15]
	flat_load_dword v11, v[12:13]
	s_or_b64 exec, exec, s[4:5]
                                        ; implicit-def: $vgpr12
	s_and_saveexec_b64 s[4:5], s[16:17]
	s_cbranch_execnz .LBB751_56
.LBB751_116:
	s_or_b64 exec, exec, s[4:5]
                                        ; implicit-def: $vgpr13
	s_and_saveexec_b64 s[4:5], s[18:19]
	s_cbranch_execz .LBB751_57
.LBB751_117:
	v_mov_b32_e32 v19, 0
	v_lshl_add_u64 v[14:15], s[50:51], 0, v[18:19]
	flat_load_dword v13, v[14:15]
	s_or_b64 exec, exec, s[4:5]
                                        ; implicit-def: $vgpr14
	s_and_saveexec_b64 s[4:5], s[20:21]
	s_cbranch_execnz .LBB751_58
.LBB751_118:
	s_or_b64 exec, exec, s[4:5]
                                        ; implicit-def: $vgpr15
	s_and_saveexec_b64 s[4:5], s[22:23]
	s_cbranch_execz .LBB751_59
.LBB751_119:
	v_mov_b32_e32 v23, 0
	v_lshl_add_u64 v[16:17], s[50:51], 0, v[22:23]
	flat_load_dword v15, v[16:17]
	s_or_b64 exec, exec, s[4:5]
                                        ; implicit-def: $vgpr16
	s_and_saveexec_b64 s[4:5], s[24:25]
	s_cbranch_execnz .LBB751_60
.LBB751_120:
	s_or_b64 exec, exec, s[4:5]
                                        ; implicit-def: $vgpr17
	s_and_saveexec_b64 s[4:5], s[26:27]
	s_cbranch_execz .LBB751_61
.LBB751_121:
	v_mov_b32_e32 v27, 0
	v_lshl_add_u64 v[18:19], s[50:51], 0, v[26:27]
	flat_load_dword v17, v[18:19]
	s_or_b64 exec, exec, s[4:5]
                                        ; implicit-def: $vgpr18
	s_and_saveexec_b64 s[4:5], s[28:29]
	s_cbranch_execnz .LBB751_62
.LBB751_122:
	s_or_b64 exec, exec, s[4:5]
                                        ; implicit-def: $vgpr19
	s_and_saveexec_b64 s[4:5], s[30:31]
	s_cbranch_execz .LBB751_63
.LBB751_123:
	v_mov_b32_e32 v31, 0
	v_lshl_add_u64 v[20:21], s[50:51], 0, v[30:31]
	flat_load_dword v19, v[20:21]
	s_or_b64 exec, exec, s[4:5]
                                        ; implicit-def: $vgpr20
	s_and_saveexec_b64 s[4:5], s[34:35]
	s_cbranch_execnz .LBB751_64
.LBB751_124:
	s_or_b64 exec, exec, s[4:5]
                                        ; implicit-def: $vgpr21
	s_and_saveexec_b64 s[4:5], s[36:37]
	s_cbranch_execz .LBB751_65
.LBB751_125:
	v_mov_b32_e32 v35, 0
	v_lshl_add_u64 v[22:23], s[50:51], 0, v[34:35]
	flat_load_dword v21, v[22:23]
	s_or_b64 exec, exec, s[4:5]
                                        ; implicit-def: $vgpr22
	s_and_saveexec_b64 s[4:5], s[38:39]
	s_cbranch_execnz .LBB751_66
.LBB751_126:
	s_or_b64 exec, exec, s[4:5]
                                        ; implicit-def: $vgpr23
	s_and_saveexec_b64 s[4:5], s[40:41]
	s_cbranch_execz .LBB751_67
.LBB751_127:
	v_mov_b32_e32 v39, 0
	v_lshl_add_u64 v[24:25], s[50:51], 0, v[38:39]
	flat_load_dword v23, v[24:25]
	s_or_b64 exec, exec, s[4:5]
                                        ; implicit-def: $vgpr24
	s_and_saveexec_b64 s[4:5], s[42:43]
	s_cbranch_execnz .LBB751_68
.LBB751_128:
	s_or_b64 exec, exec, s[4:5]
                                        ; implicit-def: $vgpr25
	s_and_saveexec_b64 s[4:5], s[44:45]
	s_cbranch_execz .LBB751_130
.LBB751_129:
	v_mov_b32_e32 v43, 0
	v_lshl_add_u64 v[26:27], s[50:51], 0, v[42:43]
	flat_load_dword v25, v[26:27]
.LBB751_130:
	s_or_b64 exec, exec, s[4:5]
	v_mul_u32_u24_e32 v73, 23, v0
                                        ; implicit-def: $vgpr26
	s_and_saveexec_b64 s[4:5], s[46:47]
	s_cbranch_execz .LBB751_132
; %bb.131:
	v_mov_b32_e32 v45, 0
	v_lshl_add_u64 v[26:27], s[50:51], 0, v[44:45]
	flat_load_dword v26, v[26:27]
.LBB751_132:
	s_or_b64 exec, exec, s[4:5]
	s_waitcnt vmcnt(0) lgkmcnt(0)
	ds_write2st64_b32 v46, v48, v49 offset1:4
	ds_write2st64_b32 v46, v50, v47 offset0:8 offset1:12
	ds_write2st64_b32 v46, v3, v2 offset0:16 offset1:20
	;; [unrolled: 1-line block ×10, first 2 shown]
	ds_write_b32 v46, v26 offset:22528
	v_mov_b64_e32 v[10:11], 0
	v_cmp_gt_u32_e32 vcc, s3, v73
	s_mov_b64 s[8:9], 0
	s_mov_b64 s[4:5], 0
	v_mov_b64_e32 v[12:13], v[10:11]
	v_mov_b64_e32 v[14:15], v[10:11]
	v_mov_b64_e32 v[16:17], v[10:11]
	v_mov_b64_e32 v[18:19], v[10:11]
	v_mov_b64_e32 v[20:21], v[10:11]
	v_mov_b64_e32 v[22:23], v[10:11]
	v_mov_b64_e32 v[24:25], v[10:11]
	v_mov_b64_e32 v[26:27], v[10:11]
	v_mov_b64_e32 v[28:29], v[10:11]
	v_mov_b64_e32 v[30:31], v[10:11]
	v_mov_b64_e32 v[32:33], v[10:11]
	v_mov_b64_e32 v[34:35], v[10:11]
	v_mov_b64_e32 v[36:37], v[10:11]
	v_mov_b64_e32 v[38:39], v[10:11]
	v_mov_b64_e32 v[40:41], v[10:11]
	v_mov_b64_e32 v[42:43], v[10:11]
	v_mov_b64_e32 v[44:45], v[10:11]
	v_mov_b64_e32 v[46:47], v[10:11]
	v_mov_b64_e32 v[48:49], v[10:11]
	v_mov_b64_e32 v[50:51], v[10:11]
	v_mov_b64_e32 v[52:53], v[10:11]
	s_waitcnt lgkmcnt(0)
	s_barrier
	s_waitcnt lgkmcnt(0)
                                        ; implicit-def: $vgpr3
	s_and_saveexec_b64 s[6:7], vcc
	s_cbranch_execz .LBB751_176
; %bb.133:
	ds_read_b32 v10, v72
	v_add_u32_e32 v2, 1, v73
	v_cmp_ne_u32_e32 vcc, 0, v68
	v_mov_b64_e32 v[12:13], 0
	s_mov_b64 s[10:11], 0
	v_cndmask_b32_e64 v11, 0, 1, vcc
	v_cmp_gt_u32_e32 vcc, s3, v2
	s_mov_b64 s[12:13], 0
	v_mov_b64_e32 v[14:15], v[12:13]
	v_mov_b64_e32 v[16:17], v[12:13]
	;; [unrolled: 1-line block ×20, first 2 shown]
                                        ; implicit-def: $vgpr3
	s_and_saveexec_b64 s[8:9], vcc
	s_cbranch_execz .LBB751_175
; %bb.134:
	ds_read2_b32 v[70:71], v72 offset0:1 offset1:2
	v_add_u32_e32 v2, 2, v73
	v_cmp_ne_u32_e32 vcc, 0, v69
	v_mov_b64_e32 v[14:15], 0
	s_mov_b64 s[14:15], 0
	v_cndmask_b32_e64 v13, 0, 1, vcc
	v_cmp_gt_u32_e32 vcc, s3, v2
	s_waitcnt lgkmcnt(0)
	v_mov_b32_e32 v12, v70
	v_mov_b64_e32 v[16:17], v[14:15]
	v_mov_b64_e32 v[18:19], v[14:15]
	v_mov_b64_e32 v[20:21], v[14:15]
	v_mov_b64_e32 v[22:23], v[14:15]
	v_mov_b64_e32 v[24:25], v[14:15]
	v_mov_b64_e32 v[26:27], v[14:15]
	v_mov_b64_e32 v[28:29], v[14:15]
	v_mov_b64_e32 v[30:31], v[14:15]
	v_mov_b64_e32 v[32:33], v[14:15]
	v_mov_b64_e32 v[34:35], v[14:15]
	v_mov_b64_e32 v[36:37], v[14:15]
	v_mov_b64_e32 v[38:39], v[14:15]
	v_mov_b64_e32 v[40:41], v[14:15]
	v_mov_b64_e32 v[42:43], v[14:15]
	v_mov_b64_e32 v[44:45], v[14:15]
	v_mov_b64_e32 v[46:47], v[14:15]
	v_mov_b64_e32 v[48:49], v[14:15]
	v_mov_b64_e32 v[50:51], v[14:15]
	v_mov_b64_e32 v[52:53], v[14:15]
                                        ; implicit-def: $vgpr3
	s_and_saveexec_b64 s[10:11], vcc
	s_cbranch_execz .LBB751_174
; %bb.135:
	v_add_u32_e32 v2, 3, v73
	v_cmp_ne_u32_e32 vcc, 0, v66
	v_mov_b64_e32 v[16:17], 0
	v_mov_b32_e32 v14, v71
	v_cndmask_b32_e64 v15, 0, 1, vcc
	v_cmp_gt_u32_e32 vcc, s3, v2
	s_mov_b64 s[16:17], 0
	v_mov_b64_e32 v[18:19], v[16:17]
	v_mov_b64_e32 v[20:21], v[16:17]
	;; [unrolled: 1-line block ×18, first 2 shown]
                                        ; implicit-def: $vgpr3
	s_and_saveexec_b64 s[12:13], vcc
	s_cbranch_execz .LBB751_173
; %bb.136:
	ds_read2_b32 v[68:69], v72 offset0:3 offset1:4
	v_add_u32_e32 v2, 4, v73
	v_cmp_ne_u32_e32 vcc, 0, v67
	v_mov_b64_e32 v[18:19], 0
	s_mov_b64 s[18:19], 0
	v_cndmask_b32_e64 v17, 0, 1, vcc
	v_cmp_gt_u32_e32 vcc, s3, v2
	s_waitcnt lgkmcnt(0)
	v_mov_b32_e32 v16, v68
	v_mov_b64_e32 v[20:21], v[18:19]
	v_mov_b64_e32 v[22:23], v[18:19]
	;; [unrolled: 1-line block ×17, first 2 shown]
                                        ; implicit-def: $vgpr3
	s_and_saveexec_b64 s[14:15], vcc
	s_cbranch_execz .LBB751_172
; %bb.137:
	v_add_u32_e32 v2, 5, v73
	v_cmp_ne_u32_e32 vcc, 0, v64
	v_mov_b64_e32 v[20:21], 0
	v_mov_b32_e32 v18, v69
	v_cndmask_b32_e64 v19, 0, 1, vcc
	v_cmp_gt_u32_e32 vcc, s3, v2
	s_mov_b64 s[20:21], 0
	v_mov_b64_e32 v[22:23], v[20:21]
	v_mov_b64_e32 v[24:25], v[20:21]
	;; [unrolled: 1-line block ×16, first 2 shown]
                                        ; implicit-def: $vgpr3
	s_and_saveexec_b64 s[16:17], vcc
	s_cbranch_execz .LBB751_171
; %bb.138:
	ds_read2_b32 v[66:67], v72 offset0:5 offset1:6
	v_add_u32_e32 v2, 6, v73
	v_cmp_ne_u32_e32 vcc, 0, v65
	v_mov_b64_e32 v[22:23], 0
	s_mov_b64 s[22:23], 0
	v_cndmask_b32_e64 v21, 0, 1, vcc
	v_cmp_gt_u32_e32 vcc, s3, v2
	s_waitcnt lgkmcnt(0)
	v_mov_b32_e32 v20, v66
	v_mov_b64_e32 v[24:25], v[22:23]
	v_mov_b64_e32 v[26:27], v[22:23]
	;; [unrolled: 1-line block ×15, first 2 shown]
                                        ; implicit-def: $vgpr3
	s_and_saveexec_b64 s[18:19], vcc
	s_cbranch_execz .LBB751_170
; %bb.139:
	v_add_u32_e32 v2, 7, v73
	v_cmp_ne_u32_e32 vcc, 0, v62
	v_mov_b64_e32 v[24:25], 0
	v_mov_b32_e32 v22, v67
	v_cndmask_b32_e64 v23, 0, 1, vcc
	v_cmp_gt_u32_e32 vcc, s3, v2
	s_mov_b64 s[24:25], 0
	v_mov_b64_e32 v[26:27], v[24:25]
	v_mov_b64_e32 v[28:29], v[24:25]
	v_mov_b64_e32 v[30:31], v[24:25]
	v_mov_b64_e32 v[32:33], v[24:25]
	v_mov_b64_e32 v[34:35], v[24:25]
	v_mov_b64_e32 v[36:37], v[24:25]
	v_mov_b64_e32 v[38:39], v[24:25]
	v_mov_b64_e32 v[40:41], v[24:25]
	v_mov_b64_e32 v[42:43], v[24:25]
	v_mov_b64_e32 v[44:45], v[24:25]
	v_mov_b64_e32 v[46:47], v[24:25]
	v_mov_b64_e32 v[48:49], v[24:25]
	v_mov_b64_e32 v[50:51], v[24:25]
	v_mov_b64_e32 v[52:53], v[24:25]
                                        ; implicit-def: $vgpr3
	s_and_saveexec_b64 s[20:21], vcc
	s_cbranch_execz .LBB751_169
; %bb.140:
	ds_read2_b32 v[64:65], v72 offset0:7 offset1:8
	v_add_u32_e32 v2, 8, v73
	v_cmp_ne_u32_e32 vcc, 0, v63
	v_mov_b64_e32 v[26:27], 0
	s_mov_b64 s[26:27], 0
	v_cndmask_b32_e64 v25, 0, 1, vcc
	v_cmp_gt_u32_e32 vcc, s3, v2
	s_waitcnt lgkmcnt(0)
	v_mov_b32_e32 v24, v64
	v_mov_b64_e32 v[28:29], v[26:27]
	v_mov_b64_e32 v[30:31], v[26:27]
	;; [unrolled: 1-line block ×13, first 2 shown]
                                        ; implicit-def: $vgpr3
	s_and_saveexec_b64 s[22:23], vcc
	s_cbranch_execz .LBB751_168
; %bb.141:
	v_add_u32_e32 v2, 9, v73
	v_cmp_ne_u32_e32 vcc, 0, v60
	v_mov_b64_e32 v[28:29], 0
	v_mov_b32_e32 v26, v65
	v_cndmask_b32_e64 v27, 0, 1, vcc
	v_cmp_gt_u32_e32 vcc, s3, v2
	s_mov_b64 s[28:29], 0
	v_mov_b64_e32 v[30:31], v[28:29]
	v_mov_b64_e32 v[32:33], v[28:29]
	;; [unrolled: 1-line block ×12, first 2 shown]
                                        ; implicit-def: $vgpr3
	s_and_saveexec_b64 s[24:25], vcc
	s_cbranch_execz .LBB751_167
; %bb.142:
	ds_read2_b32 v[62:63], v72 offset0:9 offset1:10
	v_add_u32_e32 v2, 10, v73
	v_cmp_ne_u32_e32 vcc, 0, v61
	v_mov_b64_e32 v[30:31], 0
	s_mov_b64 s[30:31], 0
	v_cndmask_b32_e64 v29, 0, 1, vcc
	v_cmp_gt_u32_e32 vcc, s3, v2
	s_waitcnt lgkmcnt(0)
	v_mov_b32_e32 v28, v62
	v_mov_b64_e32 v[32:33], v[30:31]
	v_mov_b64_e32 v[34:35], v[30:31]
	;; [unrolled: 1-line block ×11, first 2 shown]
                                        ; implicit-def: $vgpr3
	s_and_saveexec_b64 s[26:27], vcc
	s_cbranch_execz .LBB751_166
; %bb.143:
	v_add_u32_e32 v2, 11, v73
	v_cmp_ne_u32_e32 vcc, 0, v58
	v_mov_b64_e32 v[32:33], 0
	v_mov_b32_e32 v30, v63
	v_cndmask_b32_e64 v31, 0, 1, vcc
	v_cmp_gt_u32_e32 vcc, s3, v2
	s_mov_b64 s[34:35], 0
	v_mov_b64_e32 v[34:35], v[32:33]
	v_mov_b64_e32 v[36:37], v[32:33]
	;; [unrolled: 1-line block ×10, first 2 shown]
                                        ; implicit-def: $vgpr3
	s_and_saveexec_b64 s[28:29], vcc
	s_cbranch_execz .LBB751_165
; %bb.144:
	ds_read2_b32 v[60:61], v72 offset0:11 offset1:12
	v_add_u32_e32 v2, 12, v73
	v_cmp_ne_u32_e32 vcc, 0, v59
	v_mov_b64_e32 v[34:35], 0
	s_mov_b64 s[36:37], 0
	v_cndmask_b32_e64 v33, 0, 1, vcc
	v_cmp_gt_u32_e32 vcc, s3, v2
	s_waitcnt lgkmcnt(0)
	v_mov_b32_e32 v32, v60
	v_mov_b64_e32 v[36:37], v[34:35]
	v_mov_b64_e32 v[38:39], v[34:35]
	;; [unrolled: 1-line block ×9, first 2 shown]
                                        ; implicit-def: $vgpr3
	s_and_saveexec_b64 s[30:31], vcc
	s_cbranch_execz .LBB751_164
; %bb.145:
	v_add_u32_e32 v2, 13, v73
	v_cmp_ne_u32_e32 vcc, 0, v56
	v_mov_b64_e32 v[36:37], 0
	v_mov_b32_e32 v34, v61
	v_cndmask_b32_e64 v35, 0, 1, vcc
	v_cmp_gt_u32_e32 vcc, s3, v2
	s_mov_b64 s[38:39], 0
	v_mov_b64_e32 v[38:39], v[36:37]
	v_mov_b64_e32 v[40:41], v[36:37]
	;; [unrolled: 1-line block ×8, first 2 shown]
                                        ; implicit-def: $vgpr3
	s_and_saveexec_b64 s[34:35], vcc
	s_cbranch_execz .LBB751_163
; %bb.146:
	ds_read2_b32 v[58:59], v72 offset0:13 offset1:14
	v_add_u32_e32 v2, 14, v73
	v_cmp_ne_u32_e32 vcc, 0, v57
	v_mov_b64_e32 v[38:39], 0
	s_mov_b64 s[40:41], 0
	v_cndmask_b32_e64 v37, 0, 1, vcc
	v_cmp_gt_u32_e32 vcc, s3, v2
	s_waitcnt lgkmcnt(0)
	v_mov_b32_e32 v36, v58
	v_mov_b64_e32 v[40:41], v[38:39]
	v_mov_b64_e32 v[42:43], v[38:39]
	;; [unrolled: 1-line block ×7, first 2 shown]
                                        ; implicit-def: $vgpr3
	s_and_saveexec_b64 s[36:37], vcc
	s_cbranch_execz .LBB751_162
; %bb.147:
	v_add_u32_e32 v2, 15, v73
	v_cmp_ne_u32_e32 vcc, 0, v54
	v_mov_b64_e32 v[40:41], 0
	v_mov_b32_e32 v38, v59
	v_cndmask_b32_e64 v39, 0, 1, vcc
	v_cmp_gt_u32_e32 vcc, s3, v2
	s_mov_b64 s[42:43], 0
	v_mov_b64_e32 v[42:43], v[40:41]
	v_mov_b64_e32 v[44:45], v[40:41]
	;; [unrolled: 1-line block ×6, first 2 shown]
                                        ; implicit-def: $vgpr3
	s_and_saveexec_b64 s[38:39], vcc
	s_cbranch_execz .LBB751_161
; %bb.148:
	ds_read2_b32 v[56:57], v72 offset0:15 offset1:16
	v_add_u32_e32 v2, 16, v73
	v_cmp_ne_u32_e32 vcc, 0, v55
	v_mov_b64_e32 v[42:43], 0
	s_mov_b64 s[44:45], 0
	v_cndmask_b32_e64 v41, 0, 1, vcc
	v_cmp_gt_u32_e32 vcc, s3, v2
	s_waitcnt lgkmcnt(0)
	v_mov_b32_e32 v40, v56
	v_mov_b64_e32 v[44:45], v[42:43]
	v_mov_b64_e32 v[46:47], v[42:43]
	;; [unrolled: 1-line block ×5, first 2 shown]
                                        ; implicit-def: $vgpr3
	s_and_saveexec_b64 s[40:41], vcc
	s_cbranch_execz .LBB751_160
; %bb.149:
	v_add_u32_e32 v2, 17, v73
	v_cmp_ne_u32_e32 vcc, 0, v8
	v_mov_b64_e32 v[44:45], 0
	v_mov_b32_e32 v42, v57
	v_cndmask_b32_e64 v43, 0, 1, vcc
	v_cmp_gt_u32_e32 vcc, s3, v2
	s_mov_b64 s[46:47], 0
	v_mov_b64_e32 v[46:47], v[44:45]
	v_mov_b64_e32 v[48:49], v[44:45]
	v_mov_b64_e32 v[50:51], v[44:45]
	v_mov_b64_e32 v[52:53], v[44:45]
                                        ; implicit-def: $vgpr3
	s_and_saveexec_b64 s[42:43], vcc
	s_cbranch_execz .LBB751_159
; %bb.150:
	ds_read2_b32 v[54:55], v72 offset0:17 offset1:18
	v_add_u32_e32 v2, 18, v73
	v_cmp_ne_u32_e32 vcc, 0, v9
	v_mov_b64_e32 v[46:47], 0
	s_mov_b64 s[48:49], 0
	v_cndmask_b32_e64 v45, 0, 1, vcc
	v_cmp_gt_u32_e32 vcc, s3, v2
	s_waitcnt lgkmcnt(0)
	v_mov_b32_e32 v44, v54
	v_mov_b64_e32 v[48:49], v[46:47]
	v_mov_b64_e32 v[50:51], v[46:47]
	v_mov_b64_e32 v[52:53], v[46:47]
                                        ; implicit-def: $vgpr3
	s_and_saveexec_b64 s[44:45], vcc
	s_cbranch_execz .LBB751_158
; %bb.151:
	v_add_u32_e32 v2, 19, v73
	v_cmp_ne_u32_e32 vcc, 0, v6
	v_mov_b64_e32 v[48:49], 0
	v_mov_b32_e32 v46, v55
	v_cndmask_b32_e64 v47, 0, 1, vcc
	v_cmp_gt_u32_e32 vcc, s3, v2
	s_mov_b64 s[54:55], 0
	v_mov_b64_e32 v[50:51], v[48:49]
	v_mov_b64_e32 v[52:53], v[48:49]
                                        ; implicit-def: $vgpr3
	s_and_saveexec_b64 s[46:47], vcc
	s_cbranch_execz .LBB751_157
; %bb.152:
	ds_read2_b32 v[8:9], v72 offset0:19 offset1:20
	v_add_u32_e32 v2, 20, v73
	v_cmp_ne_u32_e32 vcc, 0, v7
	v_mov_b64_e32 v[50:51], 0
	s_mov_b64 s[64:65], 0
	v_cndmask_b32_e64 v49, 0, 1, vcc
	v_cmp_gt_u32_e32 vcc, s3, v2
	s_waitcnt lgkmcnt(0)
	v_mov_b32_e32 v48, v8
	v_mov_b64_e32 v[52:53], v[50:51]
                                        ; implicit-def: $vgpr3
	s_and_saveexec_b64 s[48:49], vcc
	s_cbranch_execz .LBB751_156
; %bb.153:
	v_add_u32_e32 v2, 21, v73
	v_cmp_ne_u32_e32 vcc, 0, v4
	v_mov_b32_e32 v50, v9
	v_mov_b64_e32 v[52:53], 0
	v_cndmask_b32_e64 v51, 0, 1, vcc
	v_cmp_gt_u32_e32 vcc, s3, v2
                                        ; implicit-def: $vgpr3
	s_and_saveexec_b64 s[54:55], vcc
	s_xor_b64 s[54:55], exec, s[54:55]
	s_cbranch_execz .LBB751_155
; %bb.154:
	ds_read2_b32 v[2:3], v72 offset0:21 offset1:22
	v_add_u32_e32 v4, 22, v73
	v_cmp_ne_u32_e32 vcc, 0, v5
	s_waitcnt lgkmcnt(0)
	v_mov_b32_e32 v52, v2
	v_cndmask_b32_e64 v53, 0, 1, vcc
	v_cmp_gt_u32_e32 vcc, s3, v4
	s_and_b64 s[64:65], vcc, exec
.LBB751_155:
	s_or_b64 exec, exec, s[54:55]
	s_and_b64 s[54:55], s[64:65], exec
.LBB751_156:
	s_or_b64 exec, exec, s[48:49]
	s_and_b64 s[48:49], s[54:55], exec
.LBB751_157:
	s_or_b64 exec, exec, s[46:47]
	s_and_b64 s[46:47], s[48:49], exec
.LBB751_158:
	s_or_b64 exec, exec, s[44:45]
	s_and_b64 s[44:45], s[46:47], exec
.LBB751_159:
	s_or_b64 exec, exec, s[42:43]
	s_and_b64 s[42:43], s[44:45], exec
.LBB751_160:
	s_or_b64 exec, exec, s[40:41]
	s_and_b64 s[40:41], s[42:43], exec
.LBB751_161:
	s_or_b64 exec, exec, s[38:39]
	s_and_b64 s[38:39], s[40:41], exec
.LBB751_162:
	s_or_b64 exec, exec, s[36:37]
	s_and_b64 s[36:37], s[38:39], exec
.LBB751_163:
	s_or_b64 exec, exec, s[34:35]
	s_and_b64 s[34:35], s[36:37], exec
.LBB751_164:
	s_or_b64 exec, exec, s[30:31]
	s_and_b64 s[30:31], s[34:35], exec
.LBB751_165:
	s_or_b64 exec, exec, s[28:29]
	s_and_b64 s[28:29], s[30:31], exec
.LBB751_166:
	s_or_b64 exec, exec, s[26:27]
	s_and_b64 s[26:27], s[28:29], exec
.LBB751_167:
	s_or_b64 exec, exec, s[24:25]
	s_and_b64 s[24:25], s[26:27], exec
.LBB751_168:
	s_or_b64 exec, exec, s[22:23]
	s_and_b64 s[22:23], s[24:25], exec
.LBB751_169:
	s_or_b64 exec, exec, s[20:21]
	s_and_b64 s[20:21], s[22:23], exec
.LBB751_170:
	s_or_b64 exec, exec, s[18:19]
	s_and_b64 s[18:19], s[20:21], exec
.LBB751_171:
	s_or_b64 exec, exec, s[16:17]
	s_and_b64 s[16:17], s[18:19], exec
.LBB751_172:
	s_or_b64 exec, exec, s[14:15]
	s_and_b64 s[14:15], s[16:17], exec
.LBB751_173:
	s_or_b64 exec, exec, s[12:13]
	s_and_b64 s[12:13], s[14:15], exec
.LBB751_174:
	s_or_b64 exec, exec, s[10:11]
	s_and_b64 s[10:11], s[12:13], exec
.LBB751_175:
	s_or_b64 exec, exec, s[8:9]
	s_and_b64 s[8:9], s[10:11], exec
.LBB751_176:
	s_or_b64 exec, exec, s[6:7]
	s_mov_b64 s[6:7], 0
	s_and_b64 vcc, exec, s[4:5]
	v_lshlrev_b32_e32 v54, 2, v0
	s_cbranch_vccnz .LBB751_70
	s_branch .LBB751_71
.LBB751_177:
                                        ; implicit-def: $vgpr78
                                        ; implicit-def: $vgpr77
                                        ; implicit-def: $vgpr76
                                        ; implicit-def: $vgpr75
                                        ; implicit-def: $vgpr74
                                        ; implicit-def: $vgpr73
                                        ; implicit-def: $vgpr72
                                        ; implicit-def: $vgpr71
                                        ; implicit-def: $vgpr70
                                        ; implicit-def: $vgpr69
                                        ; implicit-def: $vgpr68
                                        ; implicit-def: $vgpr67
                                        ; implicit-def: $vgpr66
                                        ; implicit-def: $vgpr65
                                        ; implicit-def: $vgpr64
                                        ; implicit-def: $vgpr63
                                        ; implicit-def: $vgpr62
                                        ; implicit-def: $vgpr61
                                        ; implicit-def: $vgpr60
                                        ; implicit-def: $vgpr59
                                        ; implicit-def: $vgpr58
                                        ; implicit-def: $vgpr80
                                        ; implicit-def: $vgpr79
	s_cbranch_execz .LBB751_197
; %bb.178:
	s_cmp_lg_u64 s[70:71], 0
	s_cselect_b32 s5, s67, 0
	s_cselect_b32 s4, s66, 0
	s_cmp_lg_u64 s[4:5], 0
	s_cselect_b64 s[6:7], -1, 0
	v_cmp_eq_u32_e32 vcc, 0, v0
	s_mov_b32 s48, 0
	v_cmp_ne_u32_e64 s[2:3], 0, v0
	s_and_b64 s[8:9], vcc, s[6:7]
	s_and_saveexec_b64 s[6:7], s[8:9]
	s_cbranch_execz .LBB751_180
; %bb.179:
	v_mov_b32_e32 v2, 0
	global_load_dword v4, v2, s[4:5]
	global_load_ubyte v5, v2, s[4:5] offset:4
	s_mov_b32 s49, 1
	v_and_b32_e32 v3, 1, v11
	v_cmp_gt_u64_e64 s[4:5], s[48:49], v[10:11]
	s_waitcnt vmcnt(0)
	v_and_b32_e32 v5, 1, v5
	v_cndmask_b32_e64 v4, 0, v4, s[4:5]
	v_cmp_eq_u64_e64 s[4:5], 0, v[2:3]
	v_add_u32_e32 v10, v4, v10
	s_nop 0
	v_cndmask_b32_e64 v11, 1, v5, s[4:5]
.LBB751_180:
	s_or_b64 exec, exec, s[6:7]
	s_mov_b32 s49, 1
	v_cmp_gt_u64_e64 s[4:5], s[48:49], v[12:13]
	v_cmp_gt_u64_e64 s[6:7], s[48:49], v[14:15]
	v_cmp_gt_u64_e64 s[8:9], s[48:49], v[16:17]
	v_cndmask_b32_e64 v2, 0, v10, s[4:5]
	v_add_u32_e32 v58, v2, v12
	v_cndmask_b32_e64 v2, 0, v58, s[6:7]
	v_add_u32_e32 v59, v2, v14
	v_cndmask_b32_e64 v2, 0, v59, s[8:9]
	v_add_u32_e32 v60, v2, v16
	v_cmp_gt_u64_e64 s[10:11], s[48:49], v[18:19]
	v_cmp_gt_u64_e64 s[12:13], s[48:49], v[20:21]
	v_cmp_gt_u64_e64 s[14:15], s[48:49], v[22:23]
	v_cndmask_b32_e64 v2, 0, v60, s[10:11]
	v_add_u32_e32 v61, v2, v18
	v_cndmask_b32_e64 v2, 0, v61, s[12:13]
	v_add_u32_e32 v62, v2, v20
	v_cndmask_b32_e64 v2, 0, v62, s[14:15]
	v_add_u32_e32 v63, v2, v22
	;; [unrolled: 9-line block ×7, first 2 shown]
	v_cmp_gt_u64_e64 s[48:49], s[48:49], v[56:57]
	v_add_lshl_u32 v1, v1, v0, 3
	s_nop 0
	v_cndmask_b32_e64 v2, 0, v78, s[48:49]
	v_add_u32_e32 v79, v2, v56
	v_or3_b32 v2, v55, v51, v49
	v_or3_b32 v2, v2, v47, v45
	;; [unrolled: 1-line block ×10, first 2 shown]
	v_and_b32_e32 v2, 1, v2
	v_cmp_eq_u32_e64 s[50:51], 1, v2
	s_nop 1
	v_cndmask_b32_e64 v4, v11, 1, s[50:51]
	v_cmp_gt_u32_e64 s[50:51], 64, v0
	ds_write_b32 v1, v79
	ds_write_b8 v1, v4 offset:4
	s_waitcnt lgkmcnt(0)
	s_barrier
	s_and_saveexec_b64 s[52:53], s[50:51]
	s_cbranch_execz .LBB751_192
; %bb.181:
	v_lshrrev_b32_e32 v1, 3, v0
	v_add_lshl_u32 v1, v1, v54, 3
	ds_read2_b32 v[6:7], v1 offset0:2 offset1:4
	ds_read_b64 v[2:3], v1
	ds_read_u8 v8, v1 offset:12
	ds_read_u8 v9, v1 offset:20
	ds_read_b32 v13, v1 offset:24
	ds_read_u8 v15, v1 offset:28
	v_mov_b32_e32 v17, 0
	s_waitcnt lgkmcnt(3)
	v_cmp_eq_u16_sdwa s[50:51], v8, v17 src0_sel:BYTE_0 src1_sel:DWORD
	v_and_b32_e32 v5, 1, v3
	s_nop 0
	v_cndmask_b32_e64 v19, 0, v2, s[50:51]
	v_add_u32_e32 v6, v19, v6
	s_waitcnt lgkmcnt(2)
	v_cmp_eq_u16_sdwa s[50:51], v9, v17 src0_sel:BYTE_0 src1_sel:DWORD
	s_nop 1
	v_cndmask_b32_e64 v6, 0, v6, s[50:51]
	v_add_u32_e32 v6, v6, v7
	s_waitcnt lgkmcnt(0)
	v_cmp_eq_u16_e64 s[50:51], 0, v15
	s_nop 1
	v_cndmask_b32_e64 v6, 0, v6, s[50:51]
	v_add_u32_e32 v7, v6, v13
	v_or_b32_e32 v6, v15, v9
	v_or_b32_e32 v6, v6, v8
	v_and_b32_e32 v6, 1, v6
	v_cmp_eq_u32_e64 s[50:51], 1, v6
	v_mbcnt_lo_u32_b32 v8, -1, 0
	v_and_b32_e32 v6, 0xffffff00, v3
	v_cndmask_b32_e64 v9, v5, 1, s[50:51]
	v_mbcnt_hi_u32_b32 v8, -1, v8
	v_and_b32_e32 v15, 15, v8
	v_or_b32_sdwa v13, v6, v9 dst_sel:DWORD dst_unused:UNUSED_PAD src0_sel:DWORD src1_sel:WORD_0
	v_mov_b32_dpp v17, v7 row_shr:1 row_mask:0xf bank_mask:0xf
	v_cmp_ne_u32_e64 s[50:51], 0, v15
	v_mov_b32_dpp v19, v13 row_shr:1 row_mask:0xf bank_mask:0xf
	s_and_saveexec_b64 s[54:55], s[50:51]
; %bb.182:
	v_and_b32_e32 v13, 1, v9
	v_and_b32_e32 v19, 1, v19
	v_cmp_eq_u32_e64 s[50:51], 1, v13
	s_nop 1
	v_cndmask_b32_e64 v19, v19, 1, s[50:51]
	v_cmp_eq_u16_e64 s[50:51], 0, v9
	v_or_b32_sdwa v13, v6, v19 dst_sel:DWORD dst_unused:UNUSED_PAD src0_sel:DWORD src1_sel:WORD_0
	s_nop 0
	v_cndmask_b32_e64 v9, 0, v17, s[50:51]
	v_add_u32_e32 v7, v9, v7
	v_mov_b32_e32 v9, v19
; %bb.183:
	s_or_b64 exec, exec, s[54:55]
	v_mov_b32_dpp v17, v7 row_shr:2 row_mask:0xf bank_mask:0xf
	v_mov_b32_dpp v19, v13 row_shr:2 row_mask:0xf bank_mask:0xf
	v_cmp_lt_u32_e64 s[50:51], 1, v15
	s_and_saveexec_b64 s[54:55], s[50:51]
; %bb.184:
	v_and_b32_e32 v13, 1, v9
	v_and_b32_e32 v19, 1, v19
	v_cmp_eq_u32_e64 s[50:51], 1, v13
	s_nop 1
	v_cndmask_b32_e64 v19, v19, 1, s[50:51]
	v_cmp_eq_u16_e64 s[50:51], 0, v9
	v_or_b32_sdwa v13, v6, v19 dst_sel:DWORD dst_unused:UNUSED_PAD src0_sel:DWORD src1_sel:WORD_0
	s_nop 0
	v_cndmask_b32_e64 v9, 0, v17, s[50:51]
	v_add_u32_e32 v7, v9, v7
	v_mov_b32_e32 v9, v19
; %bb.185:
	s_or_b64 exec, exec, s[54:55]
	v_mov_b32_dpp v17, v7 row_shr:4 row_mask:0xf bank_mask:0xf
	v_mov_b32_dpp v19, v13 row_shr:4 row_mask:0xf bank_mask:0xf
	v_cmp_lt_u32_e64 s[50:51], 3, v15
	;; [unrolled: 18-line block ×3, first 2 shown]
	s_and_saveexec_b64 s[54:55], s[50:51]
; %bb.188:
	v_and_b32_e32 v13, 1, v9
	v_and_b32_e32 v15, 1, v19
	v_cmp_eq_u32_e64 s[50:51], 1, v13
	s_nop 1
	v_cndmask_b32_e64 v15, v15, 1, s[50:51]
	v_cmp_eq_u16_e64 s[50:51], 0, v9
	v_or_b32_sdwa v13, v6, v15 dst_sel:DWORD dst_unused:UNUSED_PAD src0_sel:DWORD src1_sel:WORD_0
	s_nop 0
	v_cndmask_b32_e64 v9, 0, v17, s[50:51]
	v_add_u32_e32 v7, v9, v7
	v_mov_b32_e32 v9, v15
; %bb.189:
	s_or_b64 exec, exec, s[54:55]
	v_and_b32_e32 v19, 16, v8
	v_mov_b32_dpp v15, v7 row_bcast:15 row_mask:0xf bank_mask:0xf
	v_mov_b32_dpp v17, v13 row_bcast:15 row_mask:0xf bank_mask:0xf
	v_cmp_ne_u32_e64 s[50:51], 0, v19
	s_and_saveexec_b64 s[54:55], s[50:51]
; %bb.190:
	v_and_b32_e32 v13, 1, v9
	v_and_b32_e32 v17, 1, v17
	v_cmp_eq_u32_e64 s[50:51], 1, v13
	s_nop 1
	v_cndmask_b32_e64 v17, v17, 1, s[50:51]
	v_cmp_eq_u16_e64 s[50:51], 0, v9
	v_or_b32_sdwa v13, v6, v17 dst_sel:DWORD dst_unused:UNUSED_PAD src0_sel:DWORD src1_sel:WORD_0
	s_nop 0
	v_cndmask_b32_e64 v9, 0, v15, s[50:51]
	v_add_u32_e32 v7, v9, v7
	v_mov_b32_e32 v9, v17
; %bb.191:
	s_or_b64 exec, exec, s[54:55]
	v_mov_b32_dpp v13, v13 row_bcast:31 row_mask:0xf bank_mask:0xf
	v_and_b32_e32 v17, 1, v9
	v_and_b32_e32 v13, 1, v13
	v_cmp_eq_u32_e64 s[50:51], 1, v17
	v_mov_b32_e32 v17, 0
	v_cmp_eq_u16_sdwa s[54:55], v9, v17 src0_sel:BYTE_0 src1_sel:DWORD
	v_cndmask_b32_e64 v13, v13, 1, s[50:51]
	v_cmp_lt_u32_e64 s[50:51], 31, v8
	v_mov_b32_dpp v15, v7 row_bcast:31 row_mask:0xf bank_mask:0xf
	s_movk_i32 s63, 0xff
	v_cndmask_b32_e64 v9, v9, v13, s[50:51]
	s_and_b64 s[50:51], s[50:51], s[54:55]
	v_cndmask_b32_e64 v13, 0, v15, s[50:51]
	v_add_u32_e32 v7, v13, v7
	v_add_u32_e32 v13, -1, v8
	v_and_b32_e32 v15, 64, v8
	v_cmp_lt_i32_e64 s[50:51], v13, v15
	v_and_or_b32 v6, v9, s63, v6
	s_nop 0
	v_cndmask_b32_e64 v8, v13, v8, s[50:51]
	v_lshlrev_b32_e32 v8, 2, v8
	ds_bpermute_b32 v7, v8, v7
	ds_bpermute_b32 v6, v8, v6
	v_cmp_eq_u16_sdwa s[50:51], v3, v17 src0_sel:BYTE_0 src1_sel:DWORD
	; wave barrier
	s_waitcnt lgkmcnt(1)
	s_nop 0
	v_cndmask_b32_e64 v3, 0, v7, s[50:51]
	v_add_u32_e32 v2, v3, v2
	s_waitcnt lgkmcnt(0)
	v_and_b32_e32 v3, 1, v6
	v_cmp_eq_u32_e64 s[50:51], 1, v5
	v_cndmask_b32_e32 v5, v2, v79, vcc
	s_nop 0
	v_cndmask_b32_e64 v3, v3, 1, s[50:51]
	v_cndmask_b32_e32 v4, v3, v4, vcc
	ds_write_b32 v1, v5
	ds_write_b8 v1, v4 offset:4
	; wave barrier
	ds_read_u8 v6, v1 offset:12
	ds_read2_b32 v[2:3], v1 offset0:2 offset1:4
	ds_read_u8 v7, v1 offset:20
	ds_read_b32 v8, v1 offset:24
	ds_read_u8 v9, v1 offset:28
	s_waitcnt lgkmcnt(4)
	v_cmp_eq_u16_e64 s[50:51], 0, v6
	s_nop 1
	v_cndmask_b32_e64 v5, 0, v5, s[50:51]
	s_waitcnt lgkmcnt(3)
	v_add_u32_e32 v2, v5, v2
	v_and_b32_e32 v5, 1, v6
	v_cmp_eq_u32_e64 s[50:51], 1, v5
	s_nop 1
	v_cndmask_b32_e64 v4, v4, 1, s[50:51]
	s_waitcnt lgkmcnt(2)
	v_cmp_eq_u16_e64 s[50:51], 0, v7
	ds_write_b8 v1, v4 offset:12
	s_nop 0
	v_cndmask_b32_e64 v5, 0, v2, s[50:51]
	v_add_u32_e32 v3, v5, v3
	v_and_b32_e32 v5, 1, v7
	v_cmp_eq_u32_e64 s[50:51], 1, v5
	s_nop 1
	v_cndmask_b32_e64 v4, v4, 1, s[50:51]
	s_waitcnt lgkmcnt(1)
	v_cmp_eq_u16_e64 s[50:51], 0, v9
	ds_write2_b32 v1, v2, v3 offset0:2 offset1:4
	ds_write_b8 v1, v4 offset:20
	v_cndmask_b32_e64 v2, 0, v3, s[50:51]
	v_and_b32_e32 v3, 1, v9
	v_add_u32_e32 v2, v2, v8
	v_cmp_eq_u32_e64 s[50:51], 1, v3
	s_nop 1
	v_cndmask_b32_e64 v3, v4, 1, s[50:51]
	ds_write_b32 v1, v2 offset:24
	ds_write_b8 v1, v3 offset:28
.LBB751_192:
	s_or_b64 exec, exec, s[52:53]
	v_mov_b32_e32 v1, v79
	s_waitcnt lgkmcnt(0)
	s_barrier
	s_and_saveexec_b64 s[50:51], s[2:3]
	s_cbranch_execz .LBB751_243
; %bb.193:
	v_add_u32_e32 v1, -1, v0
	v_lshrrev_b32_e32 v2, 5, v1
	v_add_lshl_u32 v1, v2, v1, 3
	ds_read_b32 v1, v1
	s_or_b64 exec, exec, s[50:51]
	s_and_saveexec_b64 s[50:51], s[2:3]
	s_cbranch_execnz .LBB751_244
.LBB751_194:
	s_or_b64 exec, exec, s[50:51]
	s_and_saveexec_b64 s[2:3], vcc
	s_cbranch_execz .LBB751_196
.LBB751_195:
	v_mov_b32_e32 v5, 0
	ds_read_b32 v2, v5 offset:2096
	ds_read_u8 v3, v5 offset:2100
	s_add_u32 s4, s60, 0x400
	s_addc_u32 s5, s61, 0
	v_mov_b32_e32 v4, 2
	v_mov_b64_e32 v[6:7], s[4:5]
	s_waitcnt lgkmcnt(0)
	;;#ASMSTART
	global_store_dwordx4 v[6:7], v[2:5] off sc1	
s_waitcnt vmcnt(0)
	;;#ASMEND
.LBB751_196:
	s_or_b64 exec, exec, s[2:3]
	v_mov_b32_e32 v80, v10
.LBB751_197:
	s_add_u32 s2, s58, s68
	s_addc_u32 s3, s59, s69
	s_add_u32 s2, s2, s56
	s_addc_u32 s3, s3, s57
	s_and_b64 vcc, exec, s[0:1]
	s_cbranch_vccz .LBB751_245
; %bb.198:
	s_movk_i32 s0, 0x5c
	v_mul_i32_i24_e32 v26, 0xffffffa8, v0
	s_waitcnt lgkmcnt(0)
	v_mul_u32_u24_e32 v1, 0x5c, v0
	v_mad_u32_u24 v2, v0, s0, v26
	s_barrier
	ds_write2_b32 v1, v80, v58 offset1:1
	ds_write2_b32 v1, v59, v60 offset0:2 offset1:3
	ds_write2_b32 v1, v61, v62 offset0:4 offset1:5
	ds_write2_b32 v1, v63, v64 offset0:6 offset1:7
	ds_write2_b32 v1, v65, v66 offset0:8 offset1:9
	ds_write2_b32 v1, v67, v68 offset0:10 offset1:11
	ds_write2_b32 v1, v69, v70 offset0:12 offset1:13
	ds_write2_b32 v1, v71, v72 offset0:14 offset1:15
	ds_write2_b32 v1, v73, v74 offset0:16 offset1:17
	ds_write2_b32 v1, v75, v76 offset0:18 offset1:19
	ds_write2_b32 v1, v77, v78 offset0:20 offset1:21
	ds_write_b32 v1, v79 offset:88
	s_waitcnt lgkmcnt(0)
	s_barrier
	ds_read2st64_b32 v[24:25], v2 offset0:4 offset1:8
	ds_read2st64_b32 v[22:23], v2 offset0:12 offset1:16
	;; [unrolled: 1-line block ×11, first 2 shown]
	s_add_i32 s33, s33, s62
	v_mov_b32_e32 v55, 0
	v_lshl_add_u64 v[4:5], s[2:3], 0, v[54:55]
	v_cmp_gt_u32_e32 vcc, s33, v0
	s_and_saveexec_b64 s[0:1], vcc
	s_cbranch_execz .LBB751_200
; %bb.199:
	v_add_u32_e32 v1, v1, v26
	ds_read_b32 v1, v1
	s_waitcnt lgkmcnt(0)
	flat_store_dword v[4:5], v1
.LBB751_200:
	s_or_b64 exec, exec, s[0:1]
	v_or_b32_e32 v1, 0x100, v0
	v_cmp_gt_u32_e32 vcc, s33, v1
	s_and_saveexec_b64 s[0:1], vcc
	s_cbranch_execz .LBB751_202
; %bb.201:
	s_waitcnt lgkmcnt(0)
	flat_store_dword v[4:5], v24 offset:1024
.LBB751_202:
	s_or_b64 exec, exec, s[0:1]
	v_or_b32_e32 v1, 0x200, v0
	v_cmp_gt_u32_e32 vcc, s33, v1
	s_and_saveexec_b64 s[0:1], vcc
	s_cbranch_execz .LBB751_204
; %bb.203:
	s_waitcnt lgkmcnt(0)
	flat_store_dword v[4:5], v25 offset:2048
.LBB751_204:
	;; [unrolled: 9-line block ×3, first 2 shown]
	s_or_b64 exec, exec, s[0:1]
	v_or_b32_e32 v1, 0x400, v0
	v_cmp_gt_u32_e32 vcc, s33, v1
	s_and_saveexec_b64 s[0:1], vcc
	s_cbranch_execz .LBB751_208
; %bb.207:
	s_waitcnt lgkmcnt(0)
	v_add_co_u32_e32 v24, vcc, 0x1000, v4
	s_nop 1
	v_addc_co_u32_e32 v25, vcc, 0, v5, vcc
	flat_store_dword v[24:25], v23
.LBB751_208:
	s_or_b64 exec, exec, s[0:1]
	v_or_b32_e32 v1, 0x500, v0
	v_cmp_gt_u32_e32 vcc, s33, v1
	s_and_saveexec_b64 s[0:1], vcc
	s_cbranch_execz .LBB751_210
; %bb.209:
	s_waitcnt lgkmcnt(0)
	v_add_co_u32_e32 v22, vcc, 0x1000, v4
	s_nop 1
	v_addc_co_u32_e32 v23, vcc, 0, v5, vcc
	flat_store_dword v[22:23], v20 offset:1024
.LBB751_210:
	s_or_b64 exec, exec, s[0:1]
	v_or_b32_e32 v1, 0x600, v0
	v_cmp_gt_u32_e32 vcc, s33, v1
	s_and_saveexec_b64 s[0:1], vcc
	s_cbranch_execz .LBB751_212
; %bb.211:
	s_waitcnt lgkmcnt(0)
	v_add_co_u32_e32 v22, vcc, 0x1000, v4
	s_nop 1
	v_addc_co_u32_e32 v23, vcc, 0, v5, vcc
	flat_store_dword v[22:23], v21 offset:2048
.LBB751_212:
	s_or_b64 exec, exec, s[0:1]
	v_or_b32_e32 v1, 0x700, v0
	v_cmp_gt_u32_e32 vcc, s33, v1
	s_and_saveexec_b64 s[0:1], vcc
	s_cbranch_execz .LBB751_214
; %bb.213:
	s_waitcnt lgkmcnt(0)
	v_add_co_u32_e32 v20, vcc, 0x1000, v4
	s_nop 1
	v_addc_co_u32_e32 v21, vcc, 0, v5, vcc
	flat_store_dword v[20:21], v18 offset:3072
.LBB751_214:
	s_or_b64 exec, exec, s[0:1]
	v_or_b32_e32 v1, 0x800, v0
	v_cmp_gt_u32_e32 vcc, s33, v1
	s_and_saveexec_b64 s[0:1], vcc
	s_cbranch_execz .LBB751_216
; %bb.215:
	s_waitcnt lgkmcnt(0)
	v_add_co_u32_e32 v20, vcc, 0x2000, v4
	s_nop 1
	v_addc_co_u32_e32 v21, vcc, 0, v5, vcc
	flat_store_dword v[20:21], v19
.LBB751_216:
	s_or_b64 exec, exec, s[0:1]
	v_or_b32_e32 v1, 0x900, v0
	v_cmp_gt_u32_e32 vcc, s33, v1
	s_and_saveexec_b64 s[0:1], vcc
	s_cbranch_execz .LBB751_218
; %bb.217:
	s_waitcnt lgkmcnt(0)
	v_add_co_u32_e32 v18, vcc, 0x2000, v4
	s_nop 1
	v_addc_co_u32_e32 v19, vcc, 0, v5, vcc
	flat_store_dword v[18:19], v16 offset:1024
.LBB751_218:
	s_or_b64 exec, exec, s[0:1]
	v_or_b32_e32 v1, 0xa00, v0
	v_cmp_gt_u32_e32 vcc, s33, v1
	s_and_saveexec_b64 s[0:1], vcc
	s_cbranch_execz .LBB751_220
; %bb.219:
	s_waitcnt lgkmcnt(0)
	v_add_co_u32_e32 v18, vcc, 0x2000, v4
	s_nop 1
	v_addc_co_u32_e32 v19, vcc, 0, v5, vcc
	flat_store_dword v[18:19], v17 offset:2048
.LBB751_220:
	s_or_b64 exec, exec, s[0:1]
	v_or_b32_e32 v1, 0xb00, v0
	v_cmp_gt_u32_e32 vcc, s33, v1
	s_and_saveexec_b64 s[0:1], vcc
	s_cbranch_execz .LBB751_222
; %bb.221:
	s_waitcnt lgkmcnt(0)
	v_add_co_u32_e32 v16, vcc, 0x2000, v4
	s_nop 1
	v_addc_co_u32_e32 v17, vcc, 0, v5, vcc
	flat_store_dword v[16:17], v14 offset:3072
.LBB751_222:
	s_or_b64 exec, exec, s[0:1]
	v_or_b32_e32 v1, 0xc00, v0
	v_cmp_gt_u32_e32 vcc, s33, v1
	s_and_saveexec_b64 s[0:1], vcc
	s_cbranch_execz .LBB751_224
; %bb.223:
	s_waitcnt lgkmcnt(0)
	v_add_co_u32_e32 v16, vcc, 0x3000, v4
	s_nop 1
	v_addc_co_u32_e32 v17, vcc, 0, v5, vcc
	flat_store_dword v[16:17], v15
.LBB751_224:
	s_or_b64 exec, exec, s[0:1]
	v_or_b32_e32 v1, 0xd00, v0
	v_cmp_gt_u32_e32 vcc, s33, v1
	s_and_saveexec_b64 s[0:1], vcc
	s_cbranch_execz .LBB751_226
; %bb.225:
	s_waitcnt lgkmcnt(0)
	v_add_co_u32_e32 v14, vcc, 0x3000, v4
	s_nop 1
	v_addc_co_u32_e32 v15, vcc, 0, v5, vcc
	flat_store_dword v[14:15], v12 offset:1024
.LBB751_226:
	s_or_b64 exec, exec, s[0:1]
	v_or_b32_e32 v1, 0xe00, v0
	v_cmp_gt_u32_e32 vcc, s33, v1
	s_and_saveexec_b64 s[0:1], vcc
	s_cbranch_execz .LBB751_228
; %bb.227:
	s_waitcnt lgkmcnt(0)
	v_add_co_u32_e32 v14, vcc, 0x3000, v4
	s_nop 1
	v_addc_co_u32_e32 v15, vcc, 0, v5, vcc
	flat_store_dword v[14:15], v13 offset:2048
.LBB751_228:
	s_or_b64 exec, exec, s[0:1]
	v_or_b32_e32 v1, 0xf00, v0
	v_cmp_gt_u32_e32 vcc, s33, v1
	s_and_saveexec_b64 s[0:1], vcc
	s_cbranch_execz .LBB751_230
; %bb.229:
	s_waitcnt lgkmcnt(0)
	v_add_co_u32_e32 v12, vcc, 0x3000, v4
	s_nop 1
	v_addc_co_u32_e32 v13, vcc, 0, v5, vcc
	flat_store_dword v[12:13], v10 offset:3072
.LBB751_230:
	s_or_b64 exec, exec, s[0:1]
	v_or_b32_e32 v1, 0x1000, v0
	v_cmp_gt_u32_e32 vcc, s33, v1
	s_and_saveexec_b64 s[0:1], vcc
	s_cbranch_execz .LBB751_232
; %bb.231:
	s_waitcnt lgkmcnt(0)
	v_add_co_u32_e32 v12, vcc, 0x4000, v4
	s_nop 1
	v_addc_co_u32_e32 v13, vcc, 0, v5, vcc
	flat_store_dword v[12:13], v11
.LBB751_232:
	s_or_b64 exec, exec, s[0:1]
	v_or_b32_e32 v1, 0x1100, v0
	v_cmp_gt_u32_e32 vcc, s33, v1
	s_and_saveexec_b64 s[0:1], vcc
	s_cbranch_execz .LBB751_234
; %bb.233:
	s_waitcnt lgkmcnt(0)
	v_add_co_u32_e32 v10, vcc, 0x4000, v4
	s_nop 1
	v_addc_co_u32_e32 v11, vcc, 0, v5, vcc
	flat_store_dword v[10:11], v8 offset:1024
.LBB751_234:
	s_or_b64 exec, exec, s[0:1]
	v_or_b32_e32 v1, 0x1200, v0
	v_cmp_gt_u32_e32 vcc, s33, v1
	s_and_saveexec_b64 s[0:1], vcc
	s_cbranch_execz .LBB751_236
; %bb.235:
	s_waitcnt lgkmcnt(0)
	v_add_co_u32_e32 v10, vcc, 0x4000, v4
	s_nop 1
	v_addc_co_u32_e32 v11, vcc, 0, v5, vcc
	flat_store_dword v[10:11], v9 offset:2048
.LBB751_236:
	s_or_b64 exec, exec, s[0:1]
	v_or_b32_e32 v1, 0x1300, v0
	v_cmp_gt_u32_e32 vcc, s33, v1
	s_and_saveexec_b64 s[0:1], vcc
	s_cbranch_execz .LBB751_238
; %bb.237:
	s_waitcnt lgkmcnt(0)
	v_add_co_u32_e32 v8, vcc, 0x4000, v4
	s_nop 1
	v_addc_co_u32_e32 v9, vcc, 0, v5, vcc
	flat_store_dword v[8:9], v6 offset:3072
.LBB751_238:
	s_or_b64 exec, exec, s[0:1]
	v_or_b32_e32 v1, 0x1400, v0
	v_cmp_gt_u32_e32 vcc, s33, v1
	s_and_saveexec_b64 s[0:1], vcc
	s_cbranch_execz .LBB751_240
; %bb.239:
	s_waitcnt lgkmcnt(0)
	v_add_co_u32_e32 v8, vcc, 0x5000, v4
	s_nop 1
	v_addc_co_u32_e32 v9, vcc, 0, v5, vcc
	flat_store_dword v[8:9], v7
.LBB751_240:
	s_or_b64 exec, exec, s[0:1]
	v_or_b32_e32 v1, 0x1500, v0
	v_cmp_gt_u32_e32 vcc, s33, v1
	s_and_saveexec_b64 s[0:1], vcc
	s_cbranch_execz .LBB751_242
; %bb.241:
	v_add_co_u32_e32 v4, vcc, 0x5000, v4
	s_nop 1
	v_addc_co_u32_e32 v5, vcc, 0, v5, vcc
	s_waitcnt lgkmcnt(0)
	flat_store_dword v[4:5], v2 offset:1024
.LBB751_242:
	s_or_b64 exec, exec, s[0:1]
	s_waitcnt lgkmcnt(0)
	v_or_b32_e32 v2, 0x1600, v0
	v_mov_b32_e32 v1, v55
	v_cmp_gt_u32_e64 s[0:1], s33, v2
	s_branch .LBB751_247
.LBB751_243:
	s_or_b64 exec, exec, s[50:51]
	s_and_saveexec_b64 s[50:51], s[2:3]
	s_cbranch_execz .LBB751_194
.LBB751_244:
	v_and_b32_e32 v3, 0xff, v11
	v_mov_b32_e32 v2, 0
	v_cmp_eq_u64_e64 s[2:3], 0, v[2:3]
	;;#ASMSTART
	;;#ASMEND
	s_waitcnt lgkmcnt(0)
	s_nop 0
	v_cndmask_b32_e64 v1, 0, v1, s[2:3]
	v_add_u32_e32 v10, v1, v10
	v_cndmask_b32_e64 v1, 0, v10, s[4:5]
	v_add_u32_e32 v58, v1, v12
	;; [unrolled: 2-line block ×23, first 2 shown]
	s_or_b64 exec, exec, s[50:51]
	s_and_saveexec_b64 s[2:3], vcc
	s_cbranch_execnz .LBB751_195
	s_branch .LBB751_196
.LBB751_245:
	s_mov_b64 s[0:1], 0
                                        ; implicit-def: $vgpr3
	s_cbranch_execz .LBB751_247
; %bb.246:
	s_waitcnt lgkmcnt(0)
	v_mul_u32_u24_e32 v1, 0x5c, v0
	s_barrier
	s_movk_i32 s4, 0x5c
	ds_write2_b32 v1, v80, v58 offset1:1
	ds_write2_b32 v1, v59, v60 offset0:2 offset1:3
	ds_write2_b32 v1, v61, v62 offset0:4 offset1:5
	;; [unrolled: 1-line block ×10, first 2 shown]
	ds_write_b32 v1, v79 offset:88
	v_mov_b32_e32 v1, 0
	v_mul_i32_i24_e32 v2, 0xffffffa8, v0
	v_mad_u32_u24 v2, v0, s4, v2
	v_mov_b32_e32 v55, v1
	s_waitcnt lgkmcnt(0)
	s_barrier
	ds_read2st64_b32 v[4:5], v2 offset1:4
	ds_read2st64_b32 v[6:7], v2 offset0:8 offset1:12
	ds_read2st64_b32 v[8:9], v2 offset0:16 offset1:20
	;; [unrolled: 1-line block ×10, first 2 shown]
	ds_read_b32 v3, v2 offset:22528
	v_lshl_add_u64 v[26:27], s[2:3], 0, v[54:55]
	s_movk_i32 s4, 0x1000
	s_waitcnt lgkmcnt(0)
	flat_store_dword v[26:27], v4
	flat_store_dword v[26:27], v5 offset:1024
	flat_store_dword v[26:27], v6 offset:2048
	;; [unrolled: 1-line block ×3, first 2 shown]
	v_add_co_u32_e32 v4, vcc, s4, v26
	s_movk_i32 s4, 0x2000
	s_nop 0
	v_addc_co_u32_e32 v5, vcc, 0, v27, vcc
	flat_store_dword v[4:5], v8
	flat_store_dword v[4:5], v9 offset:1024
	flat_store_dword v[4:5], v10 offset:2048
	;; [unrolled: 1-line block ×3, first 2 shown]
	v_add_co_u32_e32 v4, vcc, s4, v26
	s_movk_i32 s4, 0x3000
	s_nop 0
	v_addc_co_u32_e32 v5, vcc, 0, v27, vcc
	flat_store_dword v[4:5], v12
	flat_store_dword v[4:5], v13 offset:1024
	flat_store_dword v[4:5], v14 offset:2048
	;; [unrolled: 1-line block ×3, first 2 shown]
	v_add_co_u32_e32 v4, vcc, s4, v26
	s_or_b64 s[0:1], s[0:1], exec
	s_nop 0
	v_addc_co_u32_e32 v5, vcc, 0, v27, vcc
	flat_store_dword v[4:5], v16
	flat_store_dword v[4:5], v17 offset:1024
	flat_store_dword v[4:5], v18 offset:2048
	;; [unrolled: 1-line block ×3, first 2 shown]
	v_add_co_u32_e32 v4, vcc, 0x4000, v26
	s_nop 1
	v_addc_co_u32_e32 v5, vcc, 0, v27, vcc
	flat_store_dword v[4:5], v20
	flat_store_dword v[4:5], v21 offset:1024
	flat_store_dword v[4:5], v22 offset:2048
	;; [unrolled: 1-line block ×3, first 2 shown]
	v_add_co_u32_e32 v4, vcc, 0x5000, v26
	s_nop 1
	v_addc_co_u32_e32 v5, vcc, 0, v27, vcc
	flat_store_dword v[4:5], v24
	flat_store_dword v[4:5], v25 offset:1024
.LBB751_247:
	s_and_saveexec_b64 s[4:5], s[0:1]
	s_cbranch_execz .LBB751_249
; %bb.248:
	s_waitcnt lgkmcnt(0)
	v_lshl_add_u64 v[0:1], v[0:1], 2, s[2:3]
	v_add_co_u32_e32 v0, vcc, 0x5000, v0
	s_nop 1
	v_addc_co_u32_e32 v1, vcc, 0, v1, vcc
	flat_store_dword v[0:1], v3 offset:2048
	s_endpgm
.LBB751_249:
	s_endpgm
	.section	.rodata,"a",@progbits
	.p2align	6, 0x0
	.amdhsa_kernel _ZN7rocprim17ROCPRIM_400000_NS6detail17trampoline_kernelINS0_14default_configENS1_27scan_by_key_config_selectorIiiEEZZNS1_16scan_by_key_implILNS1_25lookback_scan_determinismE0ELb0ES3_N6thrust23THRUST_200600_302600_NS6detail15normal_iteratorINS9_10device_ptrIiEEEESE_SE_iNS9_4plusIiEE19head_flag_predicateiEE10hipError_tPvRmT2_T3_T4_T5_mT6_T7_P12ihipStream_tbENKUlT_T0_E_clISt17integral_constantIbLb0EESY_EEDaST_SU_EUlST_E_NS1_11comp_targetILNS1_3genE5ELNS1_11target_archE942ELNS1_3gpuE9ELNS1_3repE0EEENS1_30default_config_static_selectorELNS0_4arch9wavefront6targetE1EEEvT1_
		.amdhsa_group_segment_fixed_size 25600
		.amdhsa_private_segment_fixed_size 0
		.amdhsa_kernarg_size 112
		.amdhsa_user_sgpr_count 2
		.amdhsa_user_sgpr_dispatch_ptr 0
		.amdhsa_user_sgpr_queue_ptr 0
		.amdhsa_user_sgpr_kernarg_segment_ptr 1
		.amdhsa_user_sgpr_dispatch_id 0
		.amdhsa_user_sgpr_kernarg_preload_length 0
		.amdhsa_user_sgpr_kernarg_preload_offset 0
		.amdhsa_user_sgpr_private_segment_size 0
		.amdhsa_uses_dynamic_stack 0
		.amdhsa_enable_private_segment 0
		.amdhsa_system_sgpr_workgroup_id_x 1
		.amdhsa_system_sgpr_workgroup_id_y 0
		.amdhsa_system_sgpr_workgroup_id_z 0
		.amdhsa_system_sgpr_workgroup_info 0
		.amdhsa_system_vgpr_workitem_id 0
		.amdhsa_next_free_vgpr 81
		.amdhsa_next_free_sgpr 80
		.amdhsa_accum_offset 84
		.amdhsa_reserve_vcc 1
		.amdhsa_float_round_mode_32 0
		.amdhsa_float_round_mode_16_64 0
		.amdhsa_float_denorm_mode_32 3
		.amdhsa_float_denorm_mode_16_64 3
		.amdhsa_dx10_clamp 1
		.amdhsa_ieee_mode 1
		.amdhsa_fp16_overflow 0
		.amdhsa_tg_split 0
		.amdhsa_exception_fp_ieee_invalid_op 0
		.amdhsa_exception_fp_denorm_src 0
		.amdhsa_exception_fp_ieee_div_zero 0
		.amdhsa_exception_fp_ieee_overflow 0
		.amdhsa_exception_fp_ieee_underflow 0
		.amdhsa_exception_fp_ieee_inexact 0
		.amdhsa_exception_int_div_zero 0
	.end_amdhsa_kernel
	.section	.text._ZN7rocprim17ROCPRIM_400000_NS6detail17trampoline_kernelINS0_14default_configENS1_27scan_by_key_config_selectorIiiEEZZNS1_16scan_by_key_implILNS1_25lookback_scan_determinismE0ELb0ES3_N6thrust23THRUST_200600_302600_NS6detail15normal_iteratorINS9_10device_ptrIiEEEESE_SE_iNS9_4plusIiEE19head_flag_predicateiEE10hipError_tPvRmT2_T3_T4_T5_mT6_T7_P12ihipStream_tbENKUlT_T0_E_clISt17integral_constantIbLb0EESY_EEDaST_SU_EUlST_E_NS1_11comp_targetILNS1_3genE5ELNS1_11target_archE942ELNS1_3gpuE9ELNS1_3repE0EEENS1_30default_config_static_selectorELNS0_4arch9wavefront6targetE1EEEvT1_,"axG",@progbits,_ZN7rocprim17ROCPRIM_400000_NS6detail17trampoline_kernelINS0_14default_configENS1_27scan_by_key_config_selectorIiiEEZZNS1_16scan_by_key_implILNS1_25lookback_scan_determinismE0ELb0ES3_N6thrust23THRUST_200600_302600_NS6detail15normal_iteratorINS9_10device_ptrIiEEEESE_SE_iNS9_4plusIiEE19head_flag_predicateiEE10hipError_tPvRmT2_T3_T4_T5_mT6_T7_P12ihipStream_tbENKUlT_T0_E_clISt17integral_constantIbLb0EESY_EEDaST_SU_EUlST_E_NS1_11comp_targetILNS1_3genE5ELNS1_11target_archE942ELNS1_3gpuE9ELNS1_3repE0EEENS1_30default_config_static_selectorELNS0_4arch9wavefront6targetE1EEEvT1_,comdat
.Lfunc_end751:
	.size	_ZN7rocprim17ROCPRIM_400000_NS6detail17trampoline_kernelINS0_14default_configENS1_27scan_by_key_config_selectorIiiEEZZNS1_16scan_by_key_implILNS1_25lookback_scan_determinismE0ELb0ES3_N6thrust23THRUST_200600_302600_NS6detail15normal_iteratorINS9_10device_ptrIiEEEESE_SE_iNS9_4plusIiEE19head_flag_predicateiEE10hipError_tPvRmT2_T3_T4_T5_mT6_T7_P12ihipStream_tbENKUlT_T0_E_clISt17integral_constantIbLb0EESY_EEDaST_SU_EUlST_E_NS1_11comp_targetILNS1_3genE5ELNS1_11target_archE942ELNS1_3gpuE9ELNS1_3repE0EEENS1_30default_config_static_selectorELNS0_4arch9wavefront6targetE1EEEvT1_, .Lfunc_end751-_ZN7rocprim17ROCPRIM_400000_NS6detail17trampoline_kernelINS0_14default_configENS1_27scan_by_key_config_selectorIiiEEZZNS1_16scan_by_key_implILNS1_25lookback_scan_determinismE0ELb0ES3_N6thrust23THRUST_200600_302600_NS6detail15normal_iteratorINS9_10device_ptrIiEEEESE_SE_iNS9_4plusIiEE19head_flag_predicateiEE10hipError_tPvRmT2_T3_T4_T5_mT6_T7_P12ihipStream_tbENKUlT_T0_E_clISt17integral_constantIbLb0EESY_EEDaST_SU_EUlST_E_NS1_11comp_targetILNS1_3genE5ELNS1_11target_archE942ELNS1_3gpuE9ELNS1_3repE0EEENS1_30default_config_static_selectorELNS0_4arch9wavefront6targetE1EEEvT1_
                                        ; -- End function
	.section	.AMDGPU.csdata,"",@progbits
; Kernel info:
; codeLenInByte = 15116
; NumSgprs: 86
; NumVgprs: 81
; NumAgprs: 0
; TotalNumVgprs: 81
; ScratchSize: 0
; MemoryBound: 0
; FloatMode: 240
; IeeeMode: 1
; LDSByteSize: 25600 bytes/workgroup (compile time only)
; SGPRBlocks: 10
; VGPRBlocks: 10
; NumSGPRsForWavesPerEU: 86
; NumVGPRsForWavesPerEU: 81
; AccumOffset: 84
; Occupancy: 2
; WaveLimiterHint : 1
; COMPUTE_PGM_RSRC2:SCRATCH_EN: 0
; COMPUTE_PGM_RSRC2:USER_SGPR: 2
; COMPUTE_PGM_RSRC2:TRAP_HANDLER: 0
; COMPUTE_PGM_RSRC2:TGID_X_EN: 1
; COMPUTE_PGM_RSRC2:TGID_Y_EN: 0
; COMPUTE_PGM_RSRC2:TGID_Z_EN: 0
; COMPUTE_PGM_RSRC2:TIDIG_COMP_CNT: 0
; COMPUTE_PGM_RSRC3_GFX90A:ACCUM_OFFSET: 20
; COMPUTE_PGM_RSRC3_GFX90A:TG_SPLIT: 0
	.section	.text._ZN7rocprim17ROCPRIM_400000_NS6detail17trampoline_kernelINS0_14default_configENS1_27scan_by_key_config_selectorIiiEEZZNS1_16scan_by_key_implILNS1_25lookback_scan_determinismE0ELb0ES3_N6thrust23THRUST_200600_302600_NS6detail15normal_iteratorINS9_10device_ptrIiEEEESE_SE_iNS9_4plusIiEE19head_flag_predicateiEE10hipError_tPvRmT2_T3_T4_T5_mT6_T7_P12ihipStream_tbENKUlT_T0_E_clISt17integral_constantIbLb0EESY_EEDaST_SU_EUlST_E_NS1_11comp_targetILNS1_3genE4ELNS1_11target_archE910ELNS1_3gpuE8ELNS1_3repE0EEENS1_30default_config_static_selectorELNS0_4arch9wavefront6targetE1EEEvT1_,"axG",@progbits,_ZN7rocprim17ROCPRIM_400000_NS6detail17trampoline_kernelINS0_14default_configENS1_27scan_by_key_config_selectorIiiEEZZNS1_16scan_by_key_implILNS1_25lookback_scan_determinismE0ELb0ES3_N6thrust23THRUST_200600_302600_NS6detail15normal_iteratorINS9_10device_ptrIiEEEESE_SE_iNS9_4plusIiEE19head_flag_predicateiEE10hipError_tPvRmT2_T3_T4_T5_mT6_T7_P12ihipStream_tbENKUlT_T0_E_clISt17integral_constantIbLb0EESY_EEDaST_SU_EUlST_E_NS1_11comp_targetILNS1_3genE4ELNS1_11target_archE910ELNS1_3gpuE8ELNS1_3repE0EEENS1_30default_config_static_selectorELNS0_4arch9wavefront6targetE1EEEvT1_,comdat
	.protected	_ZN7rocprim17ROCPRIM_400000_NS6detail17trampoline_kernelINS0_14default_configENS1_27scan_by_key_config_selectorIiiEEZZNS1_16scan_by_key_implILNS1_25lookback_scan_determinismE0ELb0ES3_N6thrust23THRUST_200600_302600_NS6detail15normal_iteratorINS9_10device_ptrIiEEEESE_SE_iNS9_4plusIiEE19head_flag_predicateiEE10hipError_tPvRmT2_T3_T4_T5_mT6_T7_P12ihipStream_tbENKUlT_T0_E_clISt17integral_constantIbLb0EESY_EEDaST_SU_EUlST_E_NS1_11comp_targetILNS1_3genE4ELNS1_11target_archE910ELNS1_3gpuE8ELNS1_3repE0EEENS1_30default_config_static_selectorELNS0_4arch9wavefront6targetE1EEEvT1_ ; -- Begin function _ZN7rocprim17ROCPRIM_400000_NS6detail17trampoline_kernelINS0_14default_configENS1_27scan_by_key_config_selectorIiiEEZZNS1_16scan_by_key_implILNS1_25lookback_scan_determinismE0ELb0ES3_N6thrust23THRUST_200600_302600_NS6detail15normal_iteratorINS9_10device_ptrIiEEEESE_SE_iNS9_4plusIiEE19head_flag_predicateiEE10hipError_tPvRmT2_T3_T4_T5_mT6_T7_P12ihipStream_tbENKUlT_T0_E_clISt17integral_constantIbLb0EESY_EEDaST_SU_EUlST_E_NS1_11comp_targetILNS1_3genE4ELNS1_11target_archE910ELNS1_3gpuE8ELNS1_3repE0EEENS1_30default_config_static_selectorELNS0_4arch9wavefront6targetE1EEEvT1_
	.globl	_ZN7rocprim17ROCPRIM_400000_NS6detail17trampoline_kernelINS0_14default_configENS1_27scan_by_key_config_selectorIiiEEZZNS1_16scan_by_key_implILNS1_25lookback_scan_determinismE0ELb0ES3_N6thrust23THRUST_200600_302600_NS6detail15normal_iteratorINS9_10device_ptrIiEEEESE_SE_iNS9_4plusIiEE19head_flag_predicateiEE10hipError_tPvRmT2_T3_T4_T5_mT6_T7_P12ihipStream_tbENKUlT_T0_E_clISt17integral_constantIbLb0EESY_EEDaST_SU_EUlST_E_NS1_11comp_targetILNS1_3genE4ELNS1_11target_archE910ELNS1_3gpuE8ELNS1_3repE0EEENS1_30default_config_static_selectorELNS0_4arch9wavefront6targetE1EEEvT1_
	.p2align	8
	.type	_ZN7rocprim17ROCPRIM_400000_NS6detail17trampoline_kernelINS0_14default_configENS1_27scan_by_key_config_selectorIiiEEZZNS1_16scan_by_key_implILNS1_25lookback_scan_determinismE0ELb0ES3_N6thrust23THRUST_200600_302600_NS6detail15normal_iteratorINS9_10device_ptrIiEEEESE_SE_iNS9_4plusIiEE19head_flag_predicateiEE10hipError_tPvRmT2_T3_T4_T5_mT6_T7_P12ihipStream_tbENKUlT_T0_E_clISt17integral_constantIbLb0EESY_EEDaST_SU_EUlST_E_NS1_11comp_targetILNS1_3genE4ELNS1_11target_archE910ELNS1_3gpuE8ELNS1_3repE0EEENS1_30default_config_static_selectorELNS0_4arch9wavefront6targetE1EEEvT1_,@function
_ZN7rocprim17ROCPRIM_400000_NS6detail17trampoline_kernelINS0_14default_configENS1_27scan_by_key_config_selectorIiiEEZZNS1_16scan_by_key_implILNS1_25lookback_scan_determinismE0ELb0ES3_N6thrust23THRUST_200600_302600_NS6detail15normal_iteratorINS9_10device_ptrIiEEEESE_SE_iNS9_4plusIiEE19head_flag_predicateiEE10hipError_tPvRmT2_T3_T4_T5_mT6_T7_P12ihipStream_tbENKUlT_T0_E_clISt17integral_constantIbLb0EESY_EEDaST_SU_EUlST_E_NS1_11comp_targetILNS1_3genE4ELNS1_11target_archE910ELNS1_3gpuE8ELNS1_3repE0EEENS1_30default_config_static_selectorELNS0_4arch9wavefront6targetE1EEEvT1_: ; @_ZN7rocprim17ROCPRIM_400000_NS6detail17trampoline_kernelINS0_14default_configENS1_27scan_by_key_config_selectorIiiEEZZNS1_16scan_by_key_implILNS1_25lookback_scan_determinismE0ELb0ES3_N6thrust23THRUST_200600_302600_NS6detail15normal_iteratorINS9_10device_ptrIiEEEESE_SE_iNS9_4plusIiEE19head_flag_predicateiEE10hipError_tPvRmT2_T3_T4_T5_mT6_T7_P12ihipStream_tbENKUlT_T0_E_clISt17integral_constantIbLb0EESY_EEDaST_SU_EUlST_E_NS1_11comp_targetILNS1_3genE4ELNS1_11target_archE910ELNS1_3gpuE8ELNS1_3repE0EEENS1_30default_config_static_selectorELNS0_4arch9wavefront6targetE1EEEvT1_
; %bb.0:
	.section	.rodata,"a",@progbits
	.p2align	6, 0x0
	.amdhsa_kernel _ZN7rocprim17ROCPRIM_400000_NS6detail17trampoline_kernelINS0_14default_configENS1_27scan_by_key_config_selectorIiiEEZZNS1_16scan_by_key_implILNS1_25lookback_scan_determinismE0ELb0ES3_N6thrust23THRUST_200600_302600_NS6detail15normal_iteratorINS9_10device_ptrIiEEEESE_SE_iNS9_4plusIiEE19head_flag_predicateiEE10hipError_tPvRmT2_T3_T4_T5_mT6_T7_P12ihipStream_tbENKUlT_T0_E_clISt17integral_constantIbLb0EESY_EEDaST_SU_EUlST_E_NS1_11comp_targetILNS1_3genE4ELNS1_11target_archE910ELNS1_3gpuE8ELNS1_3repE0EEENS1_30default_config_static_selectorELNS0_4arch9wavefront6targetE1EEEvT1_
		.amdhsa_group_segment_fixed_size 0
		.amdhsa_private_segment_fixed_size 0
		.amdhsa_kernarg_size 112
		.amdhsa_user_sgpr_count 2
		.amdhsa_user_sgpr_dispatch_ptr 0
		.amdhsa_user_sgpr_queue_ptr 0
		.amdhsa_user_sgpr_kernarg_segment_ptr 1
		.amdhsa_user_sgpr_dispatch_id 0
		.amdhsa_user_sgpr_kernarg_preload_length 0
		.amdhsa_user_sgpr_kernarg_preload_offset 0
		.amdhsa_user_sgpr_private_segment_size 0
		.amdhsa_uses_dynamic_stack 0
		.amdhsa_enable_private_segment 0
		.amdhsa_system_sgpr_workgroup_id_x 1
		.amdhsa_system_sgpr_workgroup_id_y 0
		.amdhsa_system_sgpr_workgroup_id_z 0
		.amdhsa_system_sgpr_workgroup_info 0
		.amdhsa_system_vgpr_workitem_id 0
		.amdhsa_next_free_vgpr 1
		.amdhsa_next_free_sgpr 0
		.amdhsa_accum_offset 4
		.amdhsa_reserve_vcc 0
		.amdhsa_float_round_mode_32 0
		.amdhsa_float_round_mode_16_64 0
		.amdhsa_float_denorm_mode_32 3
		.amdhsa_float_denorm_mode_16_64 3
		.amdhsa_dx10_clamp 1
		.amdhsa_ieee_mode 1
		.amdhsa_fp16_overflow 0
		.amdhsa_tg_split 0
		.amdhsa_exception_fp_ieee_invalid_op 0
		.amdhsa_exception_fp_denorm_src 0
		.amdhsa_exception_fp_ieee_div_zero 0
		.amdhsa_exception_fp_ieee_overflow 0
		.amdhsa_exception_fp_ieee_underflow 0
		.amdhsa_exception_fp_ieee_inexact 0
		.amdhsa_exception_int_div_zero 0
	.end_amdhsa_kernel
	.section	.text._ZN7rocprim17ROCPRIM_400000_NS6detail17trampoline_kernelINS0_14default_configENS1_27scan_by_key_config_selectorIiiEEZZNS1_16scan_by_key_implILNS1_25lookback_scan_determinismE0ELb0ES3_N6thrust23THRUST_200600_302600_NS6detail15normal_iteratorINS9_10device_ptrIiEEEESE_SE_iNS9_4plusIiEE19head_flag_predicateiEE10hipError_tPvRmT2_T3_T4_T5_mT6_T7_P12ihipStream_tbENKUlT_T0_E_clISt17integral_constantIbLb0EESY_EEDaST_SU_EUlST_E_NS1_11comp_targetILNS1_3genE4ELNS1_11target_archE910ELNS1_3gpuE8ELNS1_3repE0EEENS1_30default_config_static_selectorELNS0_4arch9wavefront6targetE1EEEvT1_,"axG",@progbits,_ZN7rocprim17ROCPRIM_400000_NS6detail17trampoline_kernelINS0_14default_configENS1_27scan_by_key_config_selectorIiiEEZZNS1_16scan_by_key_implILNS1_25lookback_scan_determinismE0ELb0ES3_N6thrust23THRUST_200600_302600_NS6detail15normal_iteratorINS9_10device_ptrIiEEEESE_SE_iNS9_4plusIiEE19head_flag_predicateiEE10hipError_tPvRmT2_T3_T4_T5_mT6_T7_P12ihipStream_tbENKUlT_T0_E_clISt17integral_constantIbLb0EESY_EEDaST_SU_EUlST_E_NS1_11comp_targetILNS1_3genE4ELNS1_11target_archE910ELNS1_3gpuE8ELNS1_3repE0EEENS1_30default_config_static_selectorELNS0_4arch9wavefront6targetE1EEEvT1_,comdat
.Lfunc_end752:
	.size	_ZN7rocprim17ROCPRIM_400000_NS6detail17trampoline_kernelINS0_14default_configENS1_27scan_by_key_config_selectorIiiEEZZNS1_16scan_by_key_implILNS1_25lookback_scan_determinismE0ELb0ES3_N6thrust23THRUST_200600_302600_NS6detail15normal_iteratorINS9_10device_ptrIiEEEESE_SE_iNS9_4plusIiEE19head_flag_predicateiEE10hipError_tPvRmT2_T3_T4_T5_mT6_T7_P12ihipStream_tbENKUlT_T0_E_clISt17integral_constantIbLb0EESY_EEDaST_SU_EUlST_E_NS1_11comp_targetILNS1_3genE4ELNS1_11target_archE910ELNS1_3gpuE8ELNS1_3repE0EEENS1_30default_config_static_selectorELNS0_4arch9wavefront6targetE1EEEvT1_, .Lfunc_end752-_ZN7rocprim17ROCPRIM_400000_NS6detail17trampoline_kernelINS0_14default_configENS1_27scan_by_key_config_selectorIiiEEZZNS1_16scan_by_key_implILNS1_25lookback_scan_determinismE0ELb0ES3_N6thrust23THRUST_200600_302600_NS6detail15normal_iteratorINS9_10device_ptrIiEEEESE_SE_iNS9_4plusIiEE19head_flag_predicateiEE10hipError_tPvRmT2_T3_T4_T5_mT6_T7_P12ihipStream_tbENKUlT_T0_E_clISt17integral_constantIbLb0EESY_EEDaST_SU_EUlST_E_NS1_11comp_targetILNS1_3genE4ELNS1_11target_archE910ELNS1_3gpuE8ELNS1_3repE0EEENS1_30default_config_static_selectorELNS0_4arch9wavefront6targetE1EEEvT1_
                                        ; -- End function
	.section	.AMDGPU.csdata,"",@progbits
; Kernel info:
; codeLenInByte = 0
; NumSgprs: 6
; NumVgprs: 0
; NumAgprs: 0
; TotalNumVgprs: 0
; ScratchSize: 0
; MemoryBound: 0
; FloatMode: 240
; IeeeMode: 1
; LDSByteSize: 0 bytes/workgroup (compile time only)
; SGPRBlocks: 0
; VGPRBlocks: 0
; NumSGPRsForWavesPerEU: 6
; NumVGPRsForWavesPerEU: 1
; AccumOffset: 4
; Occupancy: 8
; WaveLimiterHint : 0
; COMPUTE_PGM_RSRC2:SCRATCH_EN: 0
; COMPUTE_PGM_RSRC2:USER_SGPR: 2
; COMPUTE_PGM_RSRC2:TRAP_HANDLER: 0
; COMPUTE_PGM_RSRC2:TGID_X_EN: 1
; COMPUTE_PGM_RSRC2:TGID_Y_EN: 0
; COMPUTE_PGM_RSRC2:TGID_Z_EN: 0
; COMPUTE_PGM_RSRC2:TIDIG_COMP_CNT: 0
; COMPUTE_PGM_RSRC3_GFX90A:ACCUM_OFFSET: 0
; COMPUTE_PGM_RSRC3_GFX90A:TG_SPLIT: 0
	.section	.text._ZN7rocprim17ROCPRIM_400000_NS6detail17trampoline_kernelINS0_14default_configENS1_27scan_by_key_config_selectorIiiEEZZNS1_16scan_by_key_implILNS1_25lookback_scan_determinismE0ELb0ES3_N6thrust23THRUST_200600_302600_NS6detail15normal_iteratorINS9_10device_ptrIiEEEESE_SE_iNS9_4plusIiEE19head_flag_predicateiEE10hipError_tPvRmT2_T3_T4_T5_mT6_T7_P12ihipStream_tbENKUlT_T0_E_clISt17integral_constantIbLb0EESY_EEDaST_SU_EUlST_E_NS1_11comp_targetILNS1_3genE3ELNS1_11target_archE908ELNS1_3gpuE7ELNS1_3repE0EEENS1_30default_config_static_selectorELNS0_4arch9wavefront6targetE1EEEvT1_,"axG",@progbits,_ZN7rocprim17ROCPRIM_400000_NS6detail17trampoline_kernelINS0_14default_configENS1_27scan_by_key_config_selectorIiiEEZZNS1_16scan_by_key_implILNS1_25lookback_scan_determinismE0ELb0ES3_N6thrust23THRUST_200600_302600_NS6detail15normal_iteratorINS9_10device_ptrIiEEEESE_SE_iNS9_4plusIiEE19head_flag_predicateiEE10hipError_tPvRmT2_T3_T4_T5_mT6_T7_P12ihipStream_tbENKUlT_T0_E_clISt17integral_constantIbLb0EESY_EEDaST_SU_EUlST_E_NS1_11comp_targetILNS1_3genE3ELNS1_11target_archE908ELNS1_3gpuE7ELNS1_3repE0EEENS1_30default_config_static_selectorELNS0_4arch9wavefront6targetE1EEEvT1_,comdat
	.protected	_ZN7rocprim17ROCPRIM_400000_NS6detail17trampoline_kernelINS0_14default_configENS1_27scan_by_key_config_selectorIiiEEZZNS1_16scan_by_key_implILNS1_25lookback_scan_determinismE0ELb0ES3_N6thrust23THRUST_200600_302600_NS6detail15normal_iteratorINS9_10device_ptrIiEEEESE_SE_iNS9_4plusIiEE19head_flag_predicateiEE10hipError_tPvRmT2_T3_T4_T5_mT6_T7_P12ihipStream_tbENKUlT_T0_E_clISt17integral_constantIbLb0EESY_EEDaST_SU_EUlST_E_NS1_11comp_targetILNS1_3genE3ELNS1_11target_archE908ELNS1_3gpuE7ELNS1_3repE0EEENS1_30default_config_static_selectorELNS0_4arch9wavefront6targetE1EEEvT1_ ; -- Begin function _ZN7rocprim17ROCPRIM_400000_NS6detail17trampoline_kernelINS0_14default_configENS1_27scan_by_key_config_selectorIiiEEZZNS1_16scan_by_key_implILNS1_25lookback_scan_determinismE0ELb0ES3_N6thrust23THRUST_200600_302600_NS6detail15normal_iteratorINS9_10device_ptrIiEEEESE_SE_iNS9_4plusIiEE19head_flag_predicateiEE10hipError_tPvRmT2_T3_T4_T5_mT6_T7_P12ihipStream_tbENKUlT_T0_E_clISt17integral_constantIbLb0EESY_EEDaST_SU_EUlST_E_NS1_11comp_targetILNS1_3genE3ELNS1_11target_archE908ELNS1_3gpuE7ELNS1_3repE0EEENS1_30default_config_static_selectorELNS0_4arch9wavefront6targetE1EEEvT1_
	.globl	_ZN7rocprim17ROCPRIM_400000_NS6detail17trampoline_kernelINS0_14default_configENS1_27scan_by_key_config_selectorIiiEEZZNS1_16scan_by_key_implILNS1_25lookback_scan_determinismE0ELb0ES3_N6thrust23THRUST_200600_302600_NS6detail15normal_iteratorINS9_10device_ptrIiEEEESE_SE_iNS9_4plusIiEE19head_flag_predicateiEE10hipError_tPvRmT2_T3_T4_T5_mT6_T7_P12ihipStream_tbENKUlT_T0_E_clISt17integral_constantIbLb0EESY_EEDaST_SU_EUlST_E_NS1_11comp_targetILNS1_3genE3ELNS1_11target_archE908ELNS1_3gpuE7ELNS1_3repE0EEENS1_30default_config_static_selectorELNS0_4arch9wavefront6targetE1EEEvT1_
	.p2align	8
	.type	_ZN7rocprim17ROCPRIM_400000_NS6detail17trampoline_kernelINS0_14default_configENS1_27scan_by_key_config_selectorIiiEEZZNS1_16scan_by_key_implILNS1_25lookback_scan_determinismE0ELb0ES3_N6thrust23THRUST_200600_302600_NS6detail15normal_iteratorINS9_10device_ptrIiEEEESE_SE_iNS9_4plusIiEE19head_flag_predicateiEE10hipError_tPvRmT2_T3_T4_T5_mT6_T7_P12ihipStream_tbENKUlT_T0_E_clISt17integral_constantIbLb0EESY_EEDaST_SU_EUlST_E_NS1_11comp_targetILNS1_3genE3ELNS1_11target_archE908ELNS1_3gpuE7ELNS1_3repE0EEENS1_30default_config_static_selectorELNS0_4arch9wavefront6targetE1EEEvT1_,@function
_ZN7rocprim17ROCPRIM_400000_NS6detail17trampoline_kernelINS0_14default_configENS1_27scan_by_key_config_selectorIiiEEZZNS1_16scan_by_key_implILNS1_25lookback_scan_determinismE0ELb0ES3_N6thrust23THRUST_200600_302600_NS6detail15normal_iteratorINS9_10device_ptrIiEEEESE_SE_iNS9_4plusIiEE19head_flag_predicateiEE10hipError_tPvRmT2_T3_T4_T5_mT6_T7_P12ihipStream_tbENKUlT_T0_E_clISt17integral_constantIbLb0EESY_EEDaST_SU_EUlST_E_NS1_11comp_targetILNS1_3genE3ELNS1_11target_archE908ELNS1_3gpuE7ELNS1_3repE0EEENS1_30default_config_static_selectorELNS0_4arch9wavefront6targetE1EEEvT1_: ; @_ZN7rocprim17ROCPRIM_400000_NS6detail17trampoline_kernelINS0_14default_configENS1_27scan_by_key_config_selectorIiiEEZZNS1_16scan_by_key_implILNS1_25lookback_scan_determinismE0ELb0ES3_N6thrust23THRUST_200600_302600_NS6detail15normal_iteratorINS9_10device_ptrIiEEEESE_SE_iNS9_4plusIiEE19head_flag_predicateiEE10hipError_tPvRmT2_T3_T4_T5_mT6_T7_P12ihipStream_tbENKUlT_T0_E_clISt17integral_constantIbLb0EESY_EEDaST_SU_EUlST_E_NS1_11comp_targetILNS1_3genE3ELNS1_11target_archE908ELNS1_3gpuE7ELNS1_3repE0EEENS1_30default_config_static_selectorELNS0_4arch9wavefront6targetE1EEEvT1_
; %bb.0:
	.section	.rodata,"a",@progbits
	.p2align	6, 0x0
	.amdhsa_kernel _ZN7rocprim17ROCPRIM_400000_NS6detail17trampoline_kernelINS0_14default_configENS1_27scan_by_key_config_selectorIiiEEZZNS1_16scan_by_key_implILNS1_25lookback_scan_determinismE0ELb0ES3_N6thrust23THRUST_200600_302600_NS6detail15normal_iteratorINS9_10device_ptrIiEEEESE_SE_iNS9_4plusIiEE19head_flag_predicateiEE10hipError_tPvRmT2_T3_T4_T5_mT6_T7_P12ihipStream_tbENKUlT_T0_E_clISt17integral_constantIbLb0EESY_EEDaST_SU_EUlST_E_NS1_11comp_targetILNS1_3genE3ELNS1_11target_archE908ELNS1_3gpuE7ELNS1_3repE0EEENS1_30default_config_static_selectorELNS0_4arch9wavefront6targetE1EEEvT1_
		.amdhsa_group_segment_fixed_size 0
		.amdhsa_private_segment_fixed_size 0
		.amdhsa_kernarg_size 112
		.amdhsa_user_sgpr_count 2
		.amdhsa_user_sgpr_dispatch_ptr 0
		.amdhsa_user_sgpr_queue_ptr 0
		.amdhsa_user_sgpr_kernarg_segment_ptr 1
		.amdhsa_user_sgpr_dispatch_id 0
		.amdhsa_user_sgpr_kernarg_preload_length 0
		.amdhsa_user_sgpr_kernarg_preload_offset 0
		.amdhsa_user_sgpr_private_segment_size 0
		.amdhsa_uses_dynamic_stack 0
		.amdhsa_enable_private_segment 0
		.amdhsa_system_sgpr_workgroup_id_x 1
		.amdhsa_system_sgpr_workgroup_id_y 0
		.amdhsa_system_sgpr_workgroup_id_z 0
		.amdhsa_system_sgpr_workgroup_info 0
		.amdhsa_system_vgpr_workitem_id 0
		.amdhsa_next_free_vgpr 1
		.amdhsa_next_free_sgpr 0
		.amdhsa_accum_offset 4
		.amdhsa_reserve_vcc 0
		.amdhsa_float_round_mode_32 0
		.amdhsa_float_round_mode_16_64 0
		.amdhsa_float_denorm_mode_32 3
		.amdhsa_float_denorm_mode_16_64 3
		.amdhsa_dx10_clamp 1
		.amdhsa_ieee_mode 1
		.amdhsa_fp16_overflow 0
		.amdhsa_tg_split 0
		.amdhsa_exception_fp_ieee_invalid_op 0
		.amdhsa_exception_fp_denorm_src 0
		.amdhsa_exception_fp_ieee_div_zero 0
		.amdhsa_exception_fp_ieee_overflow 0
		.amdhsa_exception_fp_ieee_underflow 0
		.amdhsa_exception_fp_ieee_inexact 0
		.amdhsa_exception_int_div_zero 0
	.end_amdhsa_kernel
	.section	.text._ZN7rocprim17ROCPRIM_400000_NS6detail17trampoline_kernelINS0_14default_configENS1_27scan_by_key_config_selectorIiiEEZZNS1_16scan_by_key_implILNS1_25lookback_scan_determinismE0ELb0ES3_N6thrust23THRUST_200600_302600_NS6detail15normal_iteratorINS9_10device_ptrIiEEEESE_SE_iNS9_4plusIiEE19head_flag_predicateiEE10hipError_tPvRmT2_T3_T4_T5_mT6_T7_P12ihipStream_tbENKUlT_T0_E_clISt17integral_constantIbLb0EESY_EEDaST_SU_EUlST_E_NS1_11comp_targetILNS1_3genE3ELNS1_11target_archE908ELNS1_3gpuE7ELNS1_3repE0EEENS1_30default_config_static_selectorELNS0_4arch9wavefront6targetE1EEEvT1_,"axG",@progbits,_ZN7rocprim17ROCPRIM_400000_NS6detail17trampoline_kernelINS0_14default_configENS1_27scan_by_key_config_selectorIiiEEZZNS1_16scan_by_key_implILNS1_25lookback_scan_determinismE0ELb0ES3_N6thrust23THRUST_200600_302600_NS6detail15normal_iteratorINS9_10device_ptrIiEEEESE_SE_iNS9_4plusIiEE19head_flag_predicateiEE10hipError_tPvRmT2_T3_T4_T5_mT6_T7_P12ihipStream_tbENKUlT_T0_E_clISt17integral_constantIbLb0EESY_EEDaST_SU_EUlST_E_NS1_11comp_targetILNS1_3genE3ELNS1_11target_archE908ELNS1_3gpuE7ELNS1_3repE0EEENS1_30default_config_static_selectorELNS0_4arch9wavefront6targetE1EEEvT1_,comdat
.Lfunc_end753:
	.size	_ZN7rocprim17ROCPRIM_400000_NS6detail17trampoline_kernelINS0_14default_configENS1_27scan_by_key_config_selectorIiiEEZZNS1_16scan_by_key_implILNS1_25lookback_scan_determinismE0ELb0ES3_N6thrust23THRUST_200600_302600_NS6detail15normal_iteratorINS9_10device_ptrIiEEEESE_SE_iNS9_4plusIiEE19head_flag_predicateiEE10hipError_tPvRmT2_T3_T4_T5_mT6_T7_P12ihipStream_tbENKUlT_T0_E_clISt17integral_constantIbLb0EESY_EEDaST_SU_EUlST_E_NS1_11comp_targetILNS1_3genE3ELNS1_11target_archE908ELNS1_3gpuE7ELNS1_3repE0EEENS1_30default_config_static_selectorELNS0_4arch9wavefront6targetE1EEEvT1_, .Lfunc_end753-_ZN7rocprim17ROCPRIM_400000_NS6detail17trampoline_kernelINS0_14default_configENS1_27scan_by_key_config_selectorIiiEEZZNS1_16scan_by_key_implILNS1_25lookback_scan_determinismE0ELb0ES3_N6thrust23THRUST_200600_302600_NS6detail15normal_iteratorINS9_10device_ptrIiEEEESE_SE_iNS9_4plusIiEE19head_flag_predicateiEE10hipError_tPvRmT2_T3_T4_T5_mT6_T7_P12ihipStream_tbENKUlT_T0_E_clISt17integral_constantIbLb0EESY_EEDaST_SU_EUlST_E_NS1_11comp_targetILNS1_3genE3ELNS1_11target_archE908ELNS1_3gpuE7ELNS1_3repE0EEENS1_30default_config_static_selectorELNS0_4arch9wavefront6targetE1EEEvT1_
                                        ; -- End function
	.section	.AMDGPU.csdata,"",@progbits
; Kernel info:
; codeLenInByte = 0
; NumSgprs: 6
; NumVgprs: 0
; NumAgprs: 0
; TotalNumVgprs: 0
; ScratchSize: 0
; MemoryBound: 0
; FloatMode: 240
; IeeeMode: 1
; LDSByteSize: 0 bytes/workgroup (compile time only)
; SGPRBlocks: 0
; VGPRBlocks: 0
; NumSGPRsForWavesPerEU: 6
; NumVGPRsForWavesPerEU: 1
; AccumOffset: 4
; Occupancy: 8
; WaveLimiterHint : 0
; COMPUTE_PGM_RSRC2:SCRATCH_EN: 0
; COMPUTE_PGM_RSRC2:USER_SGPR: 2
; COMPUTE_PGM_RSRC2:TRAP_HANDLER: 0
; COMPUTE_PGM_RSRC2:TGID_X_EN: 1
; COMPUTE_PGM_RSRC2:TGID_Y_EN: 0
; COMPUTE_PGM_RSRC2:TGID_Z_EN: 0
; COMPUTE_PGM_RSRC2:TIDIG_COMP_CNT: 0
; COMPUTE_PGM_RSRC3_GFX90A:ACCUM_OFFSET: 0
; COMPUTE_PGM_RSRC3_GFX90A:TG_SPLIT: 0
	.section	.text._ZN7rocprim17ROCPRIM_400000_NS6detail17trampoline_kernelINS0_14default_configENS1_27scan_by_key_config_selectorIiiEEZZNS1_16scan_by_key_implILNS1_25lookback_scan_determinismE0ELb0ES3_N6thrust23THRUST_200600_302600_NS6detail15normal_iteratorINS9_10device_ptrIiEEEESE_SE_iNS9_4plusIiEE19head_flag_predicateiEE10hipError_tPvRmT2_T3_T4_T5_mT6_T7_P12ihipStream_tbENKUlT_T0_E_clISt17integral_constantIbLb0EESY_EEDaST_SU_EUlST_E_NS1_11comp_targetILNS1_3genE2ELNS1_11target_archE906ELNS1_3gpuE6ELNS1_3repE0EEENS1_30default_config_static_selectorELNS0_4arch9wavefront6targetE1EEEvT1_,"axG",@progbits,_ZN7rocprim17ROCPRIM_400000_NS6detail17trampoline_kernelINS0_14default_configENS1_27scan_by_key_config_selectorIiiEEZZNS1_16scan_by_key_implILNS1_25lookback_scan_determinismE0ELb0ES3_N6thrust23THRUST_200600_302600_NS6detail15normal_iteratorINS9_10device_ptrIiEEEESE_SE_iNS9_4plusIiEE19head_flag_predicateiEE10hipError_tPvRmT2_T3_T4_T5_mT6_T7_P12ihipStream_tbENKUlT_T0_E_clISt17integral_constantIbLb0EESY_EEDaST_SU_EUlST_E_NS1_11comp_targetILNS1_3genE2ELNS1_11target_archE906ELNS1_3gpuE6ELNS1_3repE0EEENS1_30default_config_static_selectorELNS0_4arch9wavefront6targetE1EEEvT1_,comdat
	.protected	_ZN7rocprim17ROCPRIM_400000_NS6detail17trampoline_kernelINS0_14default_configENS1_27scan_by_key_config_selectorIiiEEZZNS1_16scan_by_key_implILNS1_25lookback_scan_determinismE0ELb0ES3_N6thrust23THRUST_200600_302600_NS6detail15normal_iteratorINS9_10device_ptrIiEEEESE_SE_iNS9_4plusIiEE19head_flag_predicateiEE10hipError_tPvRmT2_T3_T4_T5_mT6_T7_P12ihipStream_tbENKUlT_T0_E_clISt17integral_constantIbLb0EESY_EEDaST_SU_EUlST_E_NS1_11comp_targetILNS1_3genE2ELNS1_11target_archE906ELNS1_3gpuE6ELNS1_3repE0EEENS1_30default_config_static_selectorELNS0_4arch9wavefront6targetE1EEEvT1_ ; -- Begin function _ZN7rocprim17ROCPRIM_400000_NS6detail17trampoline_kernelINS0_14default_configENS1_27scan_by_key_config_selectorIiiEEZZNS1_16scan_by_key_implILNS1_25lookback_scan_determinismE0ELb0ES3_N6thrust23THRUST_200600_302600_NS6detail15normal_iteratorINS9_10device_ptrIiEEEESE_SE_iNS9_4plusIiEE19head_flag_predicateiEE10hipError_tPvRmT2_T3_T4_T5_mT6_T7_P12ihipStream_tbENKUlT_T0_E_clISt17integral_constantIbLb0EESY_EEDaST_SU_EUlST_E_NS1_11comp_targetILNS1_3genE2ELNS1_11target_archE906ELNS1_3gpuE6ELNS1_3repE0EEENS1_30default_config_static_selectorELNS0_4arch9wavefront6targetE1EEEvT1_
	.globl	_ZN7rocprim17ROCPRIM_400000_NS6detail17trampoline_kernelINS0_14default_configENS1_27scan_by_key_config_selectorIiiEEZZNS1_16scan_by_key_implILNS1_25lookback_scan_determinismE0ELb0ES3_N6thrust23THRUST_200600_302600_NS6detail15normal_iteratorINS9_10device_ptrIiEEEESE_SE_iNS9_4plusIiEE19head_flag_predicateiEE10hipError_tPvRmT2_T3_T4_T5_mT6_T7_P12ihipStream_tbENKUlT_T0_E_clISt17integral_constantIbLb0EESY_EEDaST_SU_EUlST_E_NS1_11comp_targetILNS1_3genE2ELNS1_11target_archE906ELNS1_3gpuE6ELNS1_3repE0EEENS1_30default_config_static_selectorELNS0_4arch9wavefront6targetE1EEEvT1_
	.p2align	8
	.type	_ZN7rocprim17ROCPRIM_400000_NS6detail17trampoline_kernelINS0_14default_configENS1_27scan_by_key_config_selectorIiiEEZZNS1_16scan_by_key_implILNS1_25lookback_scan_determinismE0ELb0ES3_N6thrust23THRUST_200600_302600_NS6detail15normal_iteratorINS9_10device_ptrIiEEEESE_SE_iNS9_4plusIiEE19head_flag_predicateiEE10hipError_tPvRmT2_T3_T4_T5_mT6_T7_P12ihipStream_tbENKUlT_T0_E_clISt17integral_constantIbLb0EESY_EEDaST_SU_EUlST_E_NS1_11comp_targetILNS1_3genE2ELNS1_11target_archE906ELNS1_3gpuE6ELNS1_3repE0EEENS1_30default_config_static_selectorELNS0_4arch9wavefront6targetE1EEEvT1_,@function
_ZN7rocprim17ROCPRIM_400000_NS6detail17trampoline_kernelINS0_14default_configENS1_27scan_by_key_config_selectorIiiEEZZNS1_16scan_by_key_implILNS1_25lookback_scan_determinismE0ELb0ES3_N6thrust23THRUST_200600_302600_NS6detail15normal_iteratorINS9_10device_ptrIiEEEESE_SE_iNS9_4plusIiEE19head_flag_predicateiEE10hipError_tPvRmT2_T3_T4_T5_mT6_T7_P12ihipStream_tbENKUlT_T0_E_clISt17integral_constantIbLb0EESY_EEDaST_SU_EUlST_E_NS1_11comp_targetILNS1_3genE2ELNS1_11target_archE906ELNS1_3gpuE6ELNS1_3repE0EEENS1_30default_config_static_selectorELNS0_4arch9wavefront6targetE1EEEvT1_: ; @_ZN7rocprim17ROCPRIM_400000_NS6detail17trampoline_kernelINS0_14default_configENS1_27scan_by_key_config_selectorIiiEEZZNS1_16scan_by_key_implILNS1_25lookback_scan_determinismE0ELb0ES3_N6thrust23THRUST_200600_302600_NS6detail15normal_iteratorINS9_10device_ptrIiEEEESE_SE_iNS9_4plusIiEE19head_flag_predicateiEE10hipError_tPvRmT2_T3_T4_T5_mT6_T7_P12ihipStream_tbENKUlT_T0_E_clISt17integral_constantIbLb0EESY_EEDaST_SU_EUlST_E_NS1_11comp_targetILNS1_3genE2ELNS1_11target_archE906ELNS1_3gpuE6ELNS1_3repE0EEENS1_30default_config_static_selectorELNS0_4arch9wavefront6targetE1EEEvT1_
; %bb.0:
	.section	.rodata,"a",@progbits
	.p2align	6, 0x0
	.amdhsa_kernel _ZN7rocprim17ROCPRIM_400000_NS6detail17trampoline_kernelINS0_14default_configENS1_27scan_by_key_config_selectorIiiEEZZNS1_16scan_by_key_implILNS1_25lookback_scan_determinismE0ELb0ES3_N6thrust23THRUST_200600_302600_NS6detail15normal_iteratorINS9_10device_ptrIiEEEESE_SE_iNS9_4plusIiEE19head_flag_predicateiEE10hipError_tPvRmT2_T3_T4_T5_mT6_T7_P12ihipStream_tbENKUlT_T0_E_clISt17integral_constantIbLb0EESY_EEDaST_SU_EUlST_E_NS1_11comp_targetILNS1_3genE2ELNS1_11target_archE906ELNS1_3gpuE6ELNS1_3repE0EEENS1_30default_config_static_selectorELNS0_4arch9wavefront6targetE1EEEvT1_
		.amdhsa_group_segment_fixed_size 0
		.amdhsa_private_segment_fixed_size 0
		.amdhsa_kernarg_size 112
		.amdhsa_user_sgpr_count 2
		.amdhsa_user_sgpr_dispatch_ptr 0
		.amdhsa_user_sgpr_queue_ptr 0
		.amdhsa_user_sgpr_kernarg_segment_ptr 1
		.amdhsa_user_sgpr_dispatch_id 0
		.amdhsa_user_sgpr_kernarg_preload_length 0
		.amdhsa_user_sgpr_kernarg_preload_offset 0
		.amdhsa_user_sgpr_private_segment_size 0
		.amdhsa_uses_dynamic_stack 0
		.amdhsa_enable_private_segment 0
		.amdhsa_system_sgpr_workgroup_id_x 1
		.amdhsa_system_sgpr_workgroup_id_y 0
		.amdhsa_system_sgpr_workgroup_id_z 0
		.amdhsa_system_sgpr_workgroup_info 0
		.amdhsa_system_vgpr_workitem_id 0
		.amdhsa_next_free_vgpr 1
		.amdhsa_next_free_sgpr 0
		.amdhsa_accum_offset 4
		.amdhsa_reserve_vcc 0
		.amdhsa_float_round_mode_32 0
		.amdhsa_float_round_mode_16_64 0
		.amdhsa_float_denorm_mode_32 3
		.amdhsa_float_denorm_mode_16_64 3
		.amdhsa_dx10_clamp 1
		.amdhsa_ieee_mode 1
		.amdhsa_fp16_overflow 0
		.amdhsa_tg_split 0
		.amdhsa_exception_fp_ieee_invalid_op 0
		.amdhsa_exception_fp_denorm_src 0
		.amdhsa_exception_fp_ieee_div_zero 0
		.amdhsa_exception_fp_ieee_overflow 0
		.amdhsa_exception_fp_ieee_underflow 0
		.amdhsa_exception_fp_ieee_inexact 0
		.amdhsa_exception_int_div_zero 0
	.end_amdhsa_kernel
	.section	.text._ZN7rocprim17ROCPRIM_400000_NS6detail17trampoline_kernelINS0_14default_configENS1_27scan_by_key_config_selectorIiiEEZZNS1_16scan_by_key_implILNS1_25lookback_scan_determinismE0ELb0ES3_N6thrust23THRUST_200600_302600_NS6detail15normal_iteratorINS9_10device_ptrIiEEEESE_SE_iNS9_4plusIiEE19head_flag_predicateiEE10hipError_tPvRmT2_T3_T4_T5_mT6_T7_P12ihipStream_tbENKUlT_T0_E_clISt17integral_constantIbLb0EESY_EEDaST_SU_EUlST_E_NS1_11comp_targetILNS1_3genE2ELNS1_11target_archE906ELNS1_3gpuE6ELNS1_3repE0EEENS1_30default_config_static_selectorELNS0_4arch9wavefront6targetE1EEEvT1_,"axG",@progbits,_ZN7rocprim17ROCPRIM_400000_NS6detail17trampoline_kernelINS0_14default_configENS1_27scan_by_key_config_selectorIiiEEZZNS1_16scan_by_key_implILNS1_25lookback_scan_determinismE0ELb0ES3_N6thrust23THRUST_200600_302600_NS6detail15normal_iteratorINS9_10device_ptrIiEEEESE_SE_iNS9_4plusIiEE19head_flag_predicateiEE10hipError_tPvRmT2_T3_T4_T5_mT6_T7_P12ihipStream_tbENKUlT_T0_E_clISt17integral_constantIbLb0EESY_EEDaST_SU_EUlST_E_NS1_11comp_targetILNS1_3genE2ELNS1_11target_archE906ELNS1_3gpuE6ELNS1_3repE0EEENS1_30default_config_static_selectorELNS0_4arch9wavefront6targetE1EEEvT1_,comdat
.Lfunc_end754:
	.size	_ZN7rocprim17ROCPRIM_400000_NS6detail17trampoline_kernelINS0_14default_configENS1_27scan_by_key_config_selectorIiiEEZZNS1_16scan_by_key_implILNS1_25lookback_scan_determinismE0ELb0ES3_N6thrust23THRUST_200600_302600_NS6detail15normal_iteratorINS9_10device_ptrIiEEEESE_SE_iNS9_4plusIiEE19head_flag_predicateiEE10hipError_tPvRmT2_T3_T4_T5_mT6_T7_P12ihipStream_tbENKUlT_T0_E_clISt17integral_constantIbLb0EESY_EEDaST_SU_EUlST_E_NS1_11comp_targetILNS1_3genE2ELNS1_11target_archE906ELNS1_3gpuE6ELNS1_3repE0EEENS1_30default_config_static_selectorELNS0_4arch9wavefront6targetE1EEEvT1_, .Lfunc_end754-_ZN7rocprim17ROCPRIM_400000_NS6detail17trampoline_kernelINS0_14default_configENS1_27scan_by_key_config_selectorIiiEEZZNS1_16scan_by_key_implILNS1_25lookback_scan_determinismE0ELb0ES3_N6thrust23THRUST_200600_302600_NS6detail15normal_iteratorINS9_10device_ptrIiEEEESE_SE_iNS9_4plusIiEE19head_flag_predicateiEE10hipError_tPvRmT2_T3_T4_T5_mT6_T7_P12ihipStream_tbENKUlT_T0_E_clISt17integral_constantIbLb0EESY_EEDaST_SU_EUlST_E_NS1_11comp_targetILNS1_3genE2ELNS1_11target_archE906ELNS1_3gpuE6ELNS1_3repE0EEENS1_30default_config_static_selectorELNS0_4arch9wavefront6targetE1EEEvT1_
                                        ; -- End function
	.section	.AMDGPU.csdata,"",@progbits
; Kernel info:
; codeLenInByte = 0
; NumSgprs: 6
; NumVgprs: 0
; NumAgprs: 0
; TotalNumVgprs: 0
; ScratchSize: 0
; MemoryBound: 0
; FloatMode: 240
; IeeeMode: 1
; LDSByteSize: 0 bytes/workgroup (compile time only)
; SGPRBlocks: 0
; VGPRBlocks: 0
; NumSGPRsForWavesPerEU: 6
; NumVGPRsForWavesPerEU: 1
; AccumOffset: 4
; Occupancy: 8
; WaveLimiterHint : 0
; COMPUTE_PGM_RSRC2:SCRATCH_EN: 0
; COMPUTE_PGM_RSRC2:USER_SGPR: 2
; COMPUTE_PGM_RSRC2:TRAP_HANDLER: 0
; COMPUTE_PGM_RSRC2:TGID_X_EN: 1
; COMPUTE_PGM_RSRC2:TGID_Y_EN: 0
; COMPUTE_PGM_RSRC2:TGID_Z_EN: 0
; COMPUTE_PGM_RSRC2:TIDIG_COMP_CNT: 0
; COMPUTE_PGM_RSRC3_GFX90A:ACCUM_OFFSET: 0
; COMPUTE_PGM_RSRC3_GFX90A:TG_SPLIT: 0
	.section	.text._ZN7rocprim17ROCPRIM_400000_NS6detail17trampoline_kernelINS0_14default_configENS1_27scan_by_key_config_selectorIiiEEZZNS1_16scan_by_key_implILNS1_25lookback_scan_determinismE0ELb0ES3_N6thrust23THRUST_200600_302600_NS6detail15normal_iteratorINS9_10device_ptrIiEEEESE_SE_iNS9_4plusIiEE19head_flag_predicateiEE10hipError_tPvRmT2_T3_T4_T5_mT6_T7_P12ihipStream_tbENKUlT_T0_E_clISt17integral_constantIbLb0EESY_EEDaST_SU_EUlST_E_NS1_11comp_targetILNS1_3genE10ELNS1_11target_archE1200ELNS1_3gpuE4ELNS1_3repE0EEENS1_30default_config_static_selectorELNS0_4arch9wavefront6targetE1EEEvT1_,"axG",@progbits,_ZN7rocprim17ROCPRIM_400000_NS6detail17trampoline_kernelINS0_14default_configENS1_27scan_by_key_config_selectorIiiEEZZNS1_16scan_by_key_implILNS1_25lookback_scan_determinismE0ELb0ES3_N6thrust23THRUST_200600_302600_NS6detail15normal_iteratorINS9_10device_ptrIiEEEESE_SE_iNS9_4plusIiEE19head_flag_predicateiEE10hipError_tPvRmT2_T3_T4_T5_mT6_T7_P12ihipStream_tbENKUlT_T0_E_clISt17integral_constantIbLb0EESY_EEDaST_SU_EUlST_E_NS1_11comp_targetILNS1_3genE10ELNS1_11target_archE1200ELNS1_3gpuE4ELNS1_3repE0EEENS1_30default_config_static_selectorELNS0_4arch9wavefront6targetE1EEEvT1_,comdat
	.protected	_ZN7rocprim17ROCPRIM_400000_NS6detail17trampoline_kernelINS0_14default_configENS1_27scan_by_key_config_selectorIiiEEZZNS1_16scan_by_key_implILNS1_25lookback_scan_determinismE0ELb0ES3_N6thrust23THRUST_200600_302600_NS6detail15normal_iteratorINS9_10device_ptrIiEEEESE_SE_iNS9_4plusIiEE19head_flag_predicateiEE10hipError_tPvRmT2_T3_T4_T5_mT6_T7_P12ihipStream_tbENKUlT_T0_E_clISt17integral_constantIbLb0EESY_EEDaST_SU_EUlST_E_NS1_11comp_targetILNS1_3genE10ELNS1_11target_archE1200ELNS1_3gpuE4ELNS1_3repE0EEENS1_30default_config_static_selectorELNS0_4arch9wavefront6targetE1EEEvT1_ ; -- Begin function _ZN7rocprim17ROCPRIM_400000_NS6detail17trampoline_kernelINS0_14default_configENS1_27scan_by_key_config_selectorIiiEEZZNS1_16scan_by_key_implILNS1_25lookback_scan_determinismE0ELb0ES3_N6thrust23THRUST_200600_302600_NS6detail15normal_iteratorINS9_10device_ptrIiEEEESE_SE_iNS9_4plusIiEE19head_flag_predicateiEE10hipError_tPvRmT2_T3_T4_T5_mT6_T7_P12ihipStream_tbENKUlT_T0_E_clISt17integral_constantIbLb0EESY_EEDaST_SU_EUlST_E_NS1_11comp_targetILNS1_3genE10ELNS1_11target_archE1200ELNS1_3gpuE4ELNS1_3repE0EEENS1_30default_config_static_selectorELNS0_4arch9wavefront6targetE1EEEvT1_
	.globl	_ZN7rocprim17ROCPRIM_400000_NS6detail17trampoline_kernelINS0_14default_configENS1_27scan_by_key_config_selectorIiiEEZZNS1_16scan_by_key_implILNS1_25lookback_scan_determinismE0ELb0ES3_N6thrust23THRUST_200600_302600_NS6detail15normal_iteratorINS9_10device_ptrIiEEEESE_SE_iNS9_4plusIiEE19head_flag_predicateiEE10hipError_tPvRmT2_T3_T4_T5_mT6_T7_P12ihipStream_tbENKUlT_T0_E_clISt17integral_constantIbLb0EESY_EEDaST_SU_EUlST_E_NS1_11comp_targetILNS1_3genE10ELNS1_11target_archE1200ELNS1_3gpuE4ELNS1_3repE0EEENS1_30default_config_static_selectorELNS0_4arch9wavefront6targetE1EEEvT1_
	.p2align	8
	.type	_ZN7rocprim17ROCPRIM_400000_NS6detail17trampoline_kernelINS0_14default_configENS1_27scan_by_key_config_selectorIiiEEZZNS1_16scan_by_key_implILNS1_25lookback_scan_determinismE0ELb0ES3_N6thrust23THRUST_200600_302600_NS6detail15normal_iteratorINS9_10device_ptrIiEEEESE_SE_iNS9_4plusIiEE19head_flag_predicateiEE10hipError_tPvRmT2_T3_T4_T5_mT6_T7_P12ihipStream_tbENKUlT_T0_E_clISt17integral_constantIbLb0EESY_EEDaST_SU_EUlST_E_NS1_11comp_targetILNS1_3genE10ELNS1_11target_archE1200ELNS1_3gpuE4ELNS1_3repE0EEENS1_30default_config_static_selectorELNS0_4arch9wavefront6targetE1EEEvT1_,@function
_ZN7rocprim17ROCPRIM_400000_NS6detail17trampoline_kernelINS0_14default_configENS1_27scan_by_key_config_selectorIiiEEZZNS1_16scan_by_key_implILNS1_25lookback_scan_determinismE0ELb0ES3_N6thrust23THRUST_200600_302600_NS6detail15normal_iteratorINS9_10device_ptrIiEEEESE_SE_iNS9_4plusIiEE19head_flag_predicateiEE10hipError_tPvRmT2_T3_T4_T5_mT6_T7_P12ihipStream_tbENKUlT_T0_E_clISt17integral_constantIbLb0EESY_EEDaST_SU_EUlST_E_NS1_11comp_targetILNS1_3genE10ELNS1_11target_archE1200ELNS1_3gpuE4ELNS1_3repE0EEENS1_30default_config_static_selectorELNS0_4arch9wavefront6targetE1EEEvT1_: ; @_ZN7rocprim17ROCPRIM_400000_NS6detail17trampoline_kernelINS0_14default_configENS1_27scan_by_key_config_selectorIiiEEZZNS1_16scan_by_key_implILNS1_25lookback_scan_determinismE0ELb0ES3_N6thrust23THRUST_200600_302600_NS6detail15normal_iteratorINS9_10device_ptrIiEEEESE_SE_iNS9_4plusIiEE19head_flag_predicateiEE10hipError_tPvRmT2_T3_T4_T5_mT6_T7_P12ihipStream_tbENKUlT_T0_E_clISt17integral_constantIbLb0EESY_EEDaST_SU_EUlST_E_NS1_11comp_targetILNS1_3genE10ELNS1_11target_archE1200ELNS1_3gpuE4ELNS1_3repE0EEENS1_30default_config_static_selectorELNS0_4arch9wavefront6targetE1EEEvT1_
; %bb.0:
	.section	.rodata,"a",@progbits
	.p2align	6, 0x0
	.amdhsa_kernel _ZN7rocprim17ROCPRIM_400000_NS6detail17trampoline_kernelINS0_14default_configENS1_27scan_by_key_config_selectorIiiEEZZNS1_16scan_by_key_implILNS1_25lookback_scan_determinismE0ELb0ES3_N6thrust23THRUST_200600_302600_NS6detail15normal_iteratorINS9_10device_ptrIiEEEESE_SE_iNS9_4plusIiEE19head_flag_predicateiEE10hipError_tPvRmT2_T3_T4_T5_mT6_T7_P12ihipStream_tbENKUlT_T0_E_clISt17integral_constantIbLb0EESY_EEDaST_SU_EUlST_E_NS1_11comp_targetILNS1_3genE10ELNS1_11target_archE1200ELNS1_3gpuE4ELNS1_3repE0EEENS1_30default_config_static_selectorELNS0_4arch9wavefront6targetE1EEEvT1_
		.amdhsa_group_segment_fixed_size 0
		.amdhsa_private_segment_fixed_size 0
		.amdhsa_kernarg_size 112
		.amdhsa_user_sgpr_count 2
		.amdhsa_user_sgpr_dispatch_ptr 0
		.amdhsa_user_sgpr_queue_ptr 0
		.amdhsa_user_sgpr_kernarg_segment_ptr 1
		.amdhsa_user_sgpr_dispatch_id 0
		.amdhsa_user_sgpr_kernarg_preload_length 0
		.amdhsa_user_sgpr_kernarg_preload_offset 0
		.amdhsa_user_sgpr_private_segment_size 0
		.amdhsa_uses_dynamic_stack 0
		.amdhsa_enable_private_segment 0
		.amdhsa_system_sgpr_workgroup_id_x 1
		.amdhsa_system_sgpr_workgroup_id_y 0
		.amdhsa_system_sgpr_workgroup_id_z 0
		.amdhsa_system_sgpr_workgroup_info 0
		.amdhsa_system_vgpr_workitem_id 0
		.amdhsa_next_free_vgpr 1
		.amdhsa_next_free_sgpr 0
		.amdhsa_accum_offset 4
		.amdhsa_reserve_vcc 0
		.amdhsa_float_round_mode_32 0
		.amdhsa_float_round_mode_16_64 0
		.amdhsa_float_denorm_mode_32 3
		.amdhsa_float_denorm_mode_16_64 3
		.amdhsa_dx10_clamp 1
		.amdhsa_ieee_mode 1
		.amdhsa_fp16_overflow 0
		.amdhsa_tg_split 0
		.amdhsa_exception_fp_ieee_invalid_op 0
		.amdhsa_exception_fp_denorm_src 0
		.amdhsa_exception_fp_ieee_div_zero 0
		.amdhsa_exception_fp_ieee_overflow 0
		.amdhsa_exception_fp_ieee_underflow 0
		.amdhsa_exception_fp_ieee_inexact 0
		.amdhsa_exception_int_div_zero 0
	.end_amdhsa_kernel
	.section	.text._ZN7rocprim17ROCPRIM_400000_NS6detail17trampoline_kernelINS0_14default_configENS1_27scan_by_key_config_selectorIiiEEZZNS1_16scan_by_key_implILNS1_25lookback_scan_determinismE0ELb0ES3_N6thrust23THRUST_200600_302600_NS6detail15normal_iteratorINS9_10device_ptrIiEEEESE_SE_iNS9_4plusIiEE19head_flag_predicateiEE10hipError_tPvRmT2_T3_T4_T5_mT6_T7_P12ihipStream_tbENKUlT_T0_E_clISt17integral_constantIbLb0EESY_EEDaST_SU_EUlST_E_NS1_11comp_targetILNS1_3genE10ELNS1_11target_archE1200ELNS1_3gpuE4ELNS1_3repE0EEENS1_30default_config_static_selectorELNS0_4arch9wavefront6targetE1EEEvT1_,"axG",@progbits,_ZN7rocprim17ROCPRIM_400000_NS6detail17trampoline_kernelINS0_14default_configENS1_27scan_by_key_config_selectorIiiEEZZNS1_16scan_by_key_implILNS1_25lookback_scan_determinismE0ELb0ES3_N6thrust23THRUST_200600_302600_NS6detail15normal_iteratorINS9_10device_ptrIiEEEESE_SE_iNS9_4plusIiEE19head_flag_predicateiEE10hipError_tPvRmT2_T3_T4_T5_mT6_T7_P12ihipStream_tbENKUlT_T0_E_clISt17integral_constantIbLb0EESY_EEDaST_SU_EUlST_E_NS1_11comp_targetILNS1_3genE10ELNS1_11target_archE1200ELNS1_3gpuE4ELNS1_3repE0EEENS1_30default_config_static_selectorELNS0_4arch9wavefront6targetE1EEEvT1_,comdat
.Lfunc_end755:
	.size	_ZN7rocprim17ROCPRIM_400000_NS6detail17trampoline_kernelINS0_14default_configENS1_27scan_by_key_config_selectorIiiEEZZNS1_16scan_by_key_implILNS1_25lookback_scan_determinismE0ELb0ES3_N6thrust23THRUST_200600_302600_NS6detail15normal_iteratorINS9_10device_ptrIiEEEESE_SE_iNS9_4plusIiEE19head_flag_predicateiEE10hipError_tPvRmT2_T3_T4_T5_mT6_T7_P12ihipStream_tbENKUlT_T0_E_clISt17integral_constantIbLb0EESY_EEDaST_SU_EUlST_E_NS1_11comp_targetILNS1_3genE10ELNS1_11target_archE1200ELNS1_3gpuE4ELNS1_3repE0EEENS1_30default_config_static_selectorELNS0_4arch9wavefront6targetE1EEEvT1_, .Lfunc_end755-_ZN7rocprim17ROCPRIM_400000_NS6detail17trampoline_kernelINS0_14default_configENS1_27scan_by_key_config_selectorIiiEEZZNS1_16scan_by_key_implILNS1_25lookback_scan_determinismE0ELb0ES3_N6thrust23THRUST_200600_302600_NS6detail15normal_iteratorINS9_10device_ptrIiEEEESE_SE_iNS9_4plusIiEE19head_flag_predicateiEE10hipError_tPvRmT2_T3_T4_T5_mT6_T7_P12ihipStream_tbENKUlT_T0_E_clISt17integral_constantIbLb0EESY_EEDaST_SU_EUlST_E_NS1_11comp_targetILNS1_3genE10ELNS1_11target_archE1200ELNS1_3gpuE4ELNS1_3repE0EEENS1_30default_config_static_selectorELNS0_4arch9wavefront6targetE1EEEvT1_
                                        ; -- End function
	.section	.AMDGPU.csdata,"",@progbits
; Kernel info:
; codeLenInByte = 0
; NumSgprs: 6
; NumVgprs: 0
; NumAgprs: 0
; TotalNumVgprs: 0
; ScratchSize: 0
; MemoryBound: 0
; FloatMode: 240
; IeeeMode: 1
; LDSByteSize: 0 bytes/workgroup (compile time only)
; SGPRBlocks: 0
; VGPRBlocks: 0
; NumSGPRsForWavesPerEU: 6
; NumVGPRsForWavesPerEU: 1
; AccumOffset: 4
; Occupancy: 8
; WaveLimiterHint : 0
; COMPUTE_PGM_RSRC2:SCRATCH_EN: 0
; COMPUTE_PGM_RSRC2:USER_SGPR: 2
; COMPUTE_PGM_RSRC2:TRAP_HANDLER: 0
; COMPUTE_PGM_RSRC2:TGID_X_EN: 1
; COMPUTE_PGM_RSRC2:TGID_Y_EN: 0
; COMPUTE_PGM_RSRC2:TGID_Z_EN: 0
; COMPUTE_PGM_RSRC2:TIDIG_COMP_CNT: 0
; COMPUTE_PGM_RSRC3_GFX90A:ACCUM_OFFSET: 0
; COMPUTE_PGM_RSRC3_GFX90A:TG_SPLIT: 0
	.section	.text._ZN7rocprim17ROCPRIM_400000_NS6detail17trampoline_kernelINS0_14default_configENS1_27scan_by_key_config_selectorIiiEEZZNS1_16scan_by_key_implILNS1_25lookback_scan_determinismE0ELb0ES3_N6thrust23THRUST_200600_302600_NS6detail15normal_iteratorINS9_10device_ptrIiEEEESE_SE_iNS9_4plusIiEE19head_flag_predicateiEE10hipError_tPvRmT2_T3_T4_T5_mT6_T7_P12ihipStream_tbENKUlT_T0_E_clISt17integral_constantIbLb0EESY_EEDaST_SU_EUlST_E_NS1_11comp_targetILNS1_3genE9ELNS1_11target_archE1100ELNS1_3gpuE3ELNS1_3repE0EEENS1_30default_config_static_selectorELNS0_4arch9wavefront6targetE1EEEvT1_,"axG",@progbits,_ZN7rocprim17ROCPRIM_400000_NS6detail17trampoline_kernelINS0_14default_configENS1_27scan_by_key_config_selectorIiiEEZZNS1_16scan_by_key_implILNS1_25lookback_scan_determinismE0ELb0ES3_N6thrust23THRUST_200600_302600_NS6detail15normal_iteratorINS9_10device_ptrIiEEEESE_SE_iNS9_4plusIiEE19head_flag_predicateiEE10hipError_tPvRmT2_T3_T4_T5_mT6_T7_P12ihipStream_tbENKUlT_T0_E_clISt17integral_constantIbLb0EESY_EEDaST_SU_EUlST_E_NS1_11comp_targetILNS1_3genE9ELNS1_11target_archE1100ELNS1_3gpuE3ELNS1_3repE0EEENS1_30default_config_static_selectorELNS0_4arch9wavefront6targetE1EEEvT1_,comdat
	.protected	_ZN7rocprim17ROCPRIM_400000_NS6detail17trampoline_kernelINS0_14default_configENS1_27scan_by_key_config_selectorIiiEEZZNS1_16scan_by_key_implILNS1_25lookback_scan_determinismE0ELb0ES3_N6thrust23THRUST_200600_302600_NS6detail15normal_iteratorINS9_10device_ptrIiEEEESE_SE_iNS9_4plusIiEE19head_flag_predicateiEE10hipError_tPvRmT2_T3_T4_T5_mT6_T7_P12ihipStream_tbENKUlT_T0_E_clISt17integral_constantIbLb0EESY_EEDaST_SU_EUlST_E_NS1_11comp_targetILNS1_3genE9ELNS1_11target_archE1100ELNS1_3gpuE3ELNS1_3repE0EEENS1_30default_config_static_selectorELNS0_4arch9wavefront6targetE1EEEvT1_ ; -- Begin function _ZN7rocprim17ROCPRIM_400000_NS6detail17trampoline_kernelINS0_14default_configENS1_27scan_by_key_config_selectorIiiEEZZNS1_16scan_by_key_implILNS1_25lookback_scan_determinismE0ELb0ES3_N6thrust23THRUST_200600_302600_NS6detail15normal_iteratorINS9_10device_ptrIiEEEESE_SE_iNS9_4plusIiEE19head_flag_predicateiEE10hipError_tPvRmT2_T3_T4_T5_mT6_T7_P12ihipStream_tbENKUlT_T0_E_clISt17integral_constantIbLb0EESY_EEDaST_SU_EUlST_E_NS1_11comp_targetILNS1_3genE9ELNS1_11target_archE1100ELNS1_3gpuE3ELNS1_3repE0EEENS1_30default_config_static_selectorELNS0_4arch9wavefront6targetE1EEEvT1_
	.globl	_ZN7rocprim17ROCPRIM_400000_NS6detail17trampoline_kernelINS0_14default_configENS1_27scan_by_key_config_selectorIiiEEZZNS1_16scan_by_key_implILNS1_25lookback_scan_determinismE0ELb0ES3_N6thrust23THRUST_200600_302600_NS6detail15normal_iteratorINS9_10device_ptrIiEEEESE_SE_iNS9_4plusIiEE19head_flag_predicateiEE10hipError_tPvRmT2_T3_T4_T5_mT6_T7_P12ihipStream_tbENKUlT_T0_E_clISt17integral_constantIbLb0EESY_EEDaST_SU_EUlST_E_NS1_11comp_targetILNS1_3genE9ELNS1_11target_archE1100ELNS1_3gpuE3ELNS1_3repE0EEENS1_30default_config_static_selectorELNS0_4arch9wavefront6targetE1EEEvT1_
	.p2align	8
	.type	_ZN7rocprim17ROCPRIM_400000_NS6detail17trampoline_kernelINS0_14default_configENS1_27scan_by_key_config_selectorIiiEEZZNS1_16scan_by_key_implILNS1_25lookback_scan_determinismE0ELb0ES3_N6thrust23THRUST_200600_302600_NS6detail15normal_iteratorINS9_10device_ptrIiEEEESE_SE_iNS9_4plusIiEE19head_flag_predicateiEE10hipError_tPvRmT2_T3_T4_T5_mT6_T7_P12ihipStream_tbENKUlT_T0_E_clISt17integral_constantIbLb0EESY_EEDaST_SU_EUlST_E_NS1_11comp_targetILNS1_3genE9ELNS1_11target_archE1100ELNS1_3gpuE3ELNS1_3repE0EEENS1_30default_config_static_selectorELNS0_4arch9wavefront6targetE1EEEvT1_,@function
_ZN7rocprim17ROCPRIM_400000_NS6detail17trampoline_kernelINS0_14default_configENS1_27scan_by_key_config_selectorIiiEEZZNS1_16scan_by_key_implILNS1_25lookback_scan_determinismE0ELb0ES3_N6thrust23THRUST_200600_302600_NS6detail15normal_iteratorINS9_10device_ptrIiEEEESE_SE_iNS9_4plusIiEE19head_flag_predicateiEE10hipError_tPvRmT2_T3_T4_T5_mT6_T7_P12ihipStream_tbENKUlT_T0_E_clISt17integral_constantIbLb0EESY_EEDaST_SU_EUlST_E_NS1_11comp_targetILNS1_3genE9ELNS1_11target_archE1100ELNS1_3gpuE3ELNS1_3repE0EEENS1_30default_config_static_selectorELNS0_4arch9wavefront6targetE1EEEvT1_: ; @_ZN7rocprim17ROCPRIM_400000_NS6detail17trampoline_kernelINS0_14default_configENS1_27scan_by_key_config_selectorIiiEEZZNS1_16scan_by_key_implILNS1_25lookback_scan_determinismE0ELb0ES3_N6thrust23THRUST_200600_302600_NS6detail15normal_iteratorINS9_10device_ptrIiEEEESE_SE_iNS9_4plusIiEE19head_flag_predicateiEE10hipError_tPvRmT2_T3_T4_T5_mT6_T7_P12ihipStream_tbENKUlT_T0_E_clISt17integral_constantIbLb0EESY_EEDaST_SU_EUlST_E_NS1_11comp_targetILNS1_3genE9ELNS1_11target_archE1100ELNS1_3gpuE3ELNS1_3repE0EEENS1_30default_config_static_selectorELNS0_4arch9wavefront6targetE1EEEvT1_
; %bb.0:
	.section	.rodata,"a",@progbits
	.p2align	6, 0x0
	.amdhsa_kernel _ZN7rocprim17ROCPRIM_400000_NS6detail17trampoline_kernelINS0_14default_configENS1_27scan_by_key_config_selectorIiiEEZZNS1_16scan_by_key_implILNS1_25lookback_scan_determinismE0ELb0ES3_N6thrust23THRUST_200600_302600_NS6detail15normal_iteratorINS9_10device_ptrIiEEEESE_SE_iNS9_4plusIiEE19head_flag_predicateiEE10hipError_tPvRmT2_T3_T4_T5_mT6_T7_P12ihipStream_tbENKUlT_T0_E_clISt17integral_constantIbLb0EESY_EEDaST_SU_EUlST_E_NS1_11comp_targetILNS1_3genE9ELNS1_11target_archE1100ELNS1_3gpuE3ELNS1_3repE0EEENS1_30default_config_static_selectorELNS0_4arch9wavefront6targetE1EEEvT1_
		.amdhsa_group_segment_fixed_size 0
		.amdhsa_private_segment_fixed_size 0
		.amdhsa_kernarg_size 112
		.amdhsa_user_sgpr_count 2
		.amdhsa_user_sgpr_dispatch_ptr 0
		.amdhsa_user_sgpr_queue_ptr 0
		.amdhsa_user_sgpr_kernarg_segment_ptr 1
		.amdhsa_user_sgpr_dispatch_id 0
		.amdhsa_user_sgpr_kernarg_preload_length 0
		.amdhsa_user_sgpr_kernarg_preload_offset 0
		.amdhsa_user_sgpr_private_segment_size 0
		.amdhsa_uses_dynamic_stack 0
		.amdhsa_enable_private_segment 0
		.amdhsa_system_sgpr_workgroup_id_x 1
		.amdhsa_system_sgpr_workgroup_id_y 0
		.amdhsa_system_sgpr_workgroup_id_z 0
		.amdhsa_system_sgpr_workgroup_info 0
		.amdhsa_system_vgpr_workitem_id 0
		.amdhsa_next_free_vgpr 1
		.amdhsa_next_free_sgpr 0
		.amdhsa_accum_offset 4
		.amdhsa_reserve_vcc 0
		.amdhsa_float_round_mode_32 0
		.amdhsa_float_round_mode_16_64 0
		.amdhsa_float_denorm_mode_32 3
		.amdhsa_float_denorm_mode_16_64 3
		.amdhsa_dx10_clamp 1
		.amdhsa_ieee_mode 1
		.amdhsa_fp16_overflow 0
		.amdhsa_tg_split 0
		.amdhsa_exception_fp_ieee_invalid_op 0
		.amdhsa_exception_fp_denorm_src 0
		.amdhsa_exception_fp_ieee_div_zero 0
		.amdhsa_exception_fp_ieee_overflow 0
		.amdhsa_exception_fp_ieee_underflow 0
		.amdhsa_exception_fp_ieee_inexact 0
		.amdhsa_exception_int_div_zero 0
	.end_amdhsa_kernel
	.section	.text._ZN7rocprim17ROCPRIM_400000_NS6detail17trampoline_kernelINS0_14default_configENS1_27scan_by_key_config_selectorIiiEEZZNS1_16scan_by_key_implILNS1_25lookback_scan_determinismE0ELb0ES3_N6thrust23THRUST_200600_302600_NS6detail15normal_iteratorINS9_10device_ptrIiEEEESE_SE_iNS9_4plusIiEE19head_flag_predicateiEE10hipError_tPvRmT2_T3_T4_T5_mT6_T7_P12ihipStream_tbENKUlT_T0_E_clISt17integral_constantIbLb0EESY_EEDaST_SU_EUlST_E_NS1_11comp_targetILNS1_3genE9ELNS1_11target_archE1100ELNS1_3gpuE3ELNS1_3repE0EEENS1_30default_config_static_selectorELNS0_4arch9wavefront6targetE1EEEvT1_,"axG",@progbits,_ZN7rocprim17ROCPRIM_400000_NS6detail17trampoline_kernelINS0_14default_configENS1_27scan_by_key_config_selectorIiiEEZZNS1_16scan_by_key_implILNS1_25lookback_scan_determinismE0ELb0ES3_N6thrust23THRUST_200600_302600_NS6detail15normal_iteratorINS9_10device_ptrIiEEEESE_SE_iNS9_4plusIiEE19head_flag_predicateiEE10hipError_tPvRmT2_T3_T4_T5_mT6_T7_P12ihipStream_tbENKUlT_T0_E_clISt17integral_constantIbLb0EESY_EEDaST_SU_EUlST_E_NS1_11comp_targetILNS1_3genE9ELNS1_11target_archE1100ELNS1_3gpuE3ELNS1_3repE0EEENS1_30default_config_static_selectorELNS0_4arch9wavefront6targetE1EEEvT1_,comdat
.Lfunc_end756:
	.size	_ZN7rocprim17ROCPRIM_400000_NS6detail17trampoline_kernelINS0_14default_configENS1_27scan_by_key_config_selectorIiiEEZZNS1_16scan_by_key_implILNS1_25lookback_scan_determinismE0ELb0ES3_N6thrust23THRUST_200600_302600_NS6detail15normal_iteratorINS9_10device_ptrIiEEEESE_SE_iNS9_4plusIiEE19head_flag_predicateiEE10hipError_tPvRmT2_T3_T4_T5_mT6_T7_P12ihipStream_tbENKUlT_T0_E_clISt17integral_constantIbLb0EESY_EEDaST_SU_EUlST_E_NS1_11comp_targetILNS1_3genE9ELNS1_11target_archE1100ELNS1_3gpuE3ELNS1_3repE0EEENS1_30default_config_static_selectorELNS0_4arch9wavefront6targetE1EEEvT1_, .Lfunc_end756-_ZN7rocprim17ROCPRIM_400000_NS6detail17trampoline_kernelINS0_14default_configENS1_27scan_by_key_config_selectorIiiEEZZNS1_16scan_by_key_implILNS1_25lookback_scan_determinismE0ELb0ES3_N6thrust23THRUST_200600_302600_NS6detail15normal_iteratorINS9_10device_ptrIiEEEESE_SE_iNS9_4plusIiEE19head_flag_predicateiEE10hipError_tPvRmT2_T3_T4_T5_mT6_T7_P12ihipStream_tbENKUlT_T0_E_clISt17integral_constantIbLb0EESY_EEDaST_SU_EUlST_E_NS1_11comp_targetILNS1_3genE9ELNS1_11target_archE1100ELNS1_3gpuE3ELNS1_3repE0EEENS1_30default_config_static_selectorELNS0_4arch9wavefront6targetE1EEEvT1_
                                        ; -- End function
	.section	.AMDGPU.csdata,"",@progbits
; Kernel info:
; codeLenInByte = 0
; NumSgprs: 6
; NumVgprs: 0
; NumAgprs: 0
; TotalNumVgprs: 0
; ScratchSize: 0
; MemoryBound: 0
; FloatMode: 240
; IeeeMode: 1
; LDSByteSize: 0 bytes/workgroup (compile time only)
; SGPRBlocks: 0
; VGPRBlocks: 0
; NumSGPRsForWavesPerEU: 6
; NumVGPRsForWavesPerEU: 1
; AccumOffset: 4
; Occupancy: 8
; WaveLimiterHint : 0
; COMPUTE_PGM_RSRC2:SCRATCH_EN: 0
; COMPUTE_PGM_RSRC2:USER_SGPR: 2
; COMPUTE_PGM_RSRC2:TRAP_HANDLER: 0
; COMPUTE_PGM_RSRC2:TGID_X_EN: 1
; COMPUTE_PGM_RSRC2:TGID_Y_EN: 0
; COMPUTE_PGM_RSRC2:TGID_Z_EN: 0
; COMPUTE_PGM_RSRC2:TIDIG_COMP_CNT: 0
; COMPUTE_PGM_RSRC3_GFX90A:ACCUM_OFFSET: 0
; COMPUTE_PGM_RSRC3_GFX90A:TG_SPLIT: 0
	.section	.text._ZN7rocprim17ROCPRIM_400000_NS6detail17trampoline_kernelINS0_14default_configENS1_27scan_by_key_config_selectorIiiEEZZNS1_16scan_by_key_implILNS1_25lookback_scan_determinismE0ELb0ES3_N6thrust23THRUST_200600_302600_NS6detail15normal_iteratorINS9_10device_ptrIiEEEESE_SE_iNS9_4plusIiEE19head_flag_predicateiEE10hipError_tPvRmT2_T3_T4_T5_mT6_T7_P12ihipStream_tbENKUlT_T0_E_clISt17integral_constantIbLb0EESY_EEDaST_SU_EUlST_E_NS1_11comp_targetILNS1_3genE8ELNS1_11target_archE1030ELNS1_3gpuE2ELNS1_3repE0EEENS1_30default_config_static_selectorELNS0_4arch9wavefront6targetE1EEEvT1_,"axG",@progbits,_ZN7rocprim17ROCPRIM_400000_NS6detail17trampoline_kernelINS0_14default_configENS1_27scan_by_key_config_selectorIiiEEZZNS1_16scan_by_key_implILNS1_25lookback_scan_determinismE0ELb0ES3_N6thrust23THRUST_200600_302600_NS6detail15normal_iteratorINS9_10device_ptrIiEEEESE_SE_iNS9_4plusIiEE19head_flag_predicateiEE10hipError_tPvRmT2_T3_T4_T5_mT6_T7_P12ihipStream_tbENKUlT_T0_E_clISt17integral_constantIbLb0EESY_EEDaST_SU_EUlST_E_NS1_11comp_targetILNS1_3genE8ELNS1_11target_archE1030ELNS1_3gpuE2ELNS1_3repE0EEENS1_30default_config_static_selectorELNS0_4arch9wavefront6targetE1EEEvT1_,comdat
	.protected	_ZN7rocprim17ROCPRIM_400000_NS6detail17trampoline_kernelINS0_14default_configENS1_27scan_by_key_config_selectorIiiEEZZNS1_16scan_by_key_implILNS1_25lookback_scan_determinismE0ELb0ES3_N6thrust23THRUST_200600_302600_NS6detail15normal_iteratorINS9_10device_ptrIiEEEESE_SE_iNS9_4plusIiEE19head_flag_predicateiEE10hipError_tPvRmT2_T3_T4_T5_mT6_T7_P12ihipStream_tbENKUlT_T0_E_clISt17integral_constantIbLb0EESY_EEDaST_SU_EUlST_E_NS1_11comp_targetILNS1_3genE8ELNS1_11target_archE1030ELNS1_3gpuE2ELNS1_3repE0EEENS1_30default_config_static_selectorELNS0_4arch9wavefront6targetE1EEEvT1_ ; -- Begin function _ZN7rocprim17ROCPRIM_400000_NS6detail17trampoline_kernelINS0_14default_configENS1_27scan_by_key_config_selectorIiiEEZZNS1_16scan_by_key_implILNS1_25lookback_scan_determinismE0ELb0ES3_N6thrust23THRUST_200600_302600_NS6detail15normal_iteratorINS9_10device_ptrIiEEEESE_SE_iNS9_4plusIiEE19head_flag_predicateiEE10hipError_tPvRmT2_T3_T4_T5_mT6_T7_P12ihipStream_tbENKUlT_T0_E_clISt17integral_constantIbLb0EESY_EEDaST_SU_EUlST_E_NS1_11comp_targetILNS1_3genE8ELNS1_11target_archE1030ELNS1_3gpuE2ELNS1_3repE0EEENS1_30default_config_static_selectorELNS0_4arch9wavefront6targetE1EEEvT1_
	.globl	_ZN7rocprim17ROCPRIM_400000_NS6detail17trampoline_kernelINS0_14default_configENS1_27scan_by_key_config_selectorIiiEEZZNS1_16scan_by_key_implILNS1_25lookback_scan_determinismE0ELb0ES3_N6thrust23THRUST_200600_302600_NS6detail15normal_iteratorINS9_10device_ptrIiEEEESE_SE_iNS9_4plusIiEE19head_flag_predicateiEE10hipError_tPvRmT2_T3_T4_T5_mT6_T7_P12ihipStream_tbENKUlT_T0_E_clISt17integral_constantIbLb0EESY_EEDaST_SU_EUlST_E_NS1_11comp_targetILNS1_3genE8ELNS1_11target_archE1030ELNS1_3gpuE2ELNS1_3repE0EEENS1_30default_config_static_selectorELNS0_4arch9wavefront6targetE1EEEvT1_
	.p2align	8
	.type	_ZN7rocprim17ROCPRIM_400000_NS6detail17trampoline_kernelINS0_14default_configENS1_27scan_by_key_config_selectorIiiEEZZNS1_16scan_by_key_implILNS1_25lookback_scan_determinismE0ELb0ES3_N6thrust23THRUST_200600_302600_NS6detail15normal_iteratorINS9_10device_ptrIiEEEESE_SE_iNS9_4plusIiEE19head_flag_predicateiEE10hipError_tPvRmT2_T3_T4_T5_mT6_T7_P12ihipStream_tbENKUlT_T0_E_clISt17integral_constantIbLb0EESY_EEDaST_SU_EUlST_E_NS1_11comp_targetILNS1_3genE8ELNS1_11target_archE1030ELNS1_3gpuE2ELNS1_3repE0EEENS1_30default_config_static_selectorELNS0_4arch9wavefront6targetE1EEEvT1_,@function
_ZN7rocprim17ROCPRIM_400000_NS6detail17trampoline_kernelINS0_14default_configENS1_27scan_by_key_config_selectorIiiEEZZNS1_16scan_by_key_implILNS1_25lookback_scan_determinismE0ELb0ES3_N6thrust23THRUST_200600_302600_NS6detail15normal_iteratorINS9_10device_ptrIiEEEESE_SE_iNS9_4plusIiEE19head_flag_predicateiEE10hipError_tPvRmT2_T3_T4_T5_mT6_T7_P12ihipStream_tbENKUlT_T0_E_clISt17integral_constantIbLb0EESY_EEDaST_SU_EUlST_E_NS1_11comp_targetILNS1_3genE8ELNS1_11target_archE1030ELNS1_3gpuE2ELNS1_3repE0EEENS1_30default_config_static_selectorELNS0_4arch9wavefront6targetE1EEEvT1_: ; @_ZN7rocprim17ROCPRIM_400000_NS6detail17trampoline_kernelINS0_14default_configENS1_27scan_by_key_config_selectorIiiEEZZNS1_16scan_by_key_implILNS1_25lookback_scan_determinismE0ELb0ES3_N6thrust23THRUST_200600_302600_NS6detail15normal_iteratorINS9_10device_ptrIiEEEESE_SE_iNS9_4plusIiEE19head_flag_predicateiEE10hipError_tPvRmT2_T3_T4_T5_mT6_T7_P12ihipStream_tbENKUlT_T0_E_clISt17integral_constantIbLb0EESY_EEDaST_SU_EUlST_E_NS1_11comp_targetILNS1_3genE8ELNS1_11target_archE1030ELNS1_3gpuE2ELNS1_3repE0EEENS1_30default_config_static_selectorELNS0_4arch9wavefront6targetE1EEEvT1_
; %bb.0:
	.section	.rodata,"a",@progbits
	.p2align	6, 0x0
	.amdhsa_kernel _ZN7rocprim17ROCPRIM_400000_NS6detail17trampoline_kernelINS0_14default_configENS1_27scan_by_key_config_selectorIiiEEZZNS1_16scan_by_key_implILNS1_25lookback_scan_determinismE0ELb0ES3_N6thrust23THRUST_200600_302600_NS6detail15normal_iteratorINS9_10device_ptrIiEEEESE_SE_iNS9_4plusIiEE19head_flag_predicateiEE10hipError_tPvRmT2_T3_T4_T5_mT6_T7_P12ihipStream_tbENKUlT_T0_E_clISt17integral_constantIbLb0EESY_EEDaST_SU_EUlST_E_NS1_11comp_targetILNS1_3genE8ELNS1_11target_archE1030ELNS1_3gpuE2ELNS1_3repE0EEENS1_30default_config_static_selectorELNS0_4arch9wavefront6targetE1EEEvT1_
		.amdhsa_group_segment_fixed_size 0
		.amdhsa_private_segment_fixed_size 0
		.amdhsa_kernarg_size 112
		.amdhsa_user_sgpr_count 2
		.amdhsa_user_sgpr_dispatch_ptr 0
		.amdhsa_user_sgpr_queue_ptr 0
		.amdhsa_user_sgpr_kernarg_segment_ptr 1
		.amdhsa_user_sgpr_dispatch_id 0
		.amdhsa_user_sgpr_kernarg_preload_length 0
		.amdhsa_user_sgpr_kernarg_preload_offset 0
		.amdhsa_user_sgpr_private_segment_size 0
		.amdhsa_uses_dynamic_stack 0
		.amdhsa_enable_private_segment 0
		.amdhsa_system_sgpr_workgroup_id_x 1
		.amdhsa_system_sgpr_workgroup_id_y 0
		.amdhsa_system_sgpr_workgroup_id_z 0
		.amdhsa_system_sgpr_workgroup_info 0
		.amdhsa_system_vgpr_workitem_id 0
		.amdhsa_next_free_vgpr 1
		.amdhsa_next_free_sgpr 0
		.amdhsa_accum_offset 4
		.amdhsa_reserve_vcc 0
		.amdhsa_float_round_mode_32 0
		.amdhsa_float_round_mode_16_64 0
		.amdhsa_float_denorm_mode_32 3
		.amdhsa_float_denorm_mode_16_64 3
		.amdhsa_dx10_clamp 1
		.amdhsa_ieee_mode 1
		.amdhsa_fp16_overflow 0
		.amdhsa_tg_split 0
		.amdhsa_exception_fp_ieee_invalid_op 0
		.amdhsa_exception_fp_denorm_src 0
		.amdhsa_exception_fp_ieee_div_zero 0
		.amdhsa_exception_fp_ieee_overflow 0
		.amdhsa_exception_fp_ieee_underflow 0
		.amdhsa_exception_fp_ieee_inexact 0
		.amdhsa_exception_int_div_zero 0
	.end_amdhsa_kernel
	.section	.text._ZN7rocprim17ROCPRIM_400000_NS6detail17trampoline_kernelINS0_14default_configENS1_27scan_by_key_config_selectorIiiEEZZNS1_16scan_by_key_implILNS1_25lookback_scan_determinismE0ELb0ES3_N6thrust23THRUST_200600_302600_NS6detail15normal_iteratorINS9_10device_ptrIiEEEESE_SE_iNS9_4plusIiEE19head_flag_predicateiEE10hipError_tPvRmT2_T3_T4_T5_mT6_T7_P12ihipStream_tbENKUlT_T0_E_clISt17integral_constantIbLb0EESY_EEDaST_SU_EUlST_E_NS1_11comp_targetILNS1_3genE8ELNS1_11target_archE1030ELNS1_3gpuE2ELNS1_3repE0EEENS1_30default_config_static_selectorELNS0_4arch9wavefront6targetE1EEEvT1_,"axG",@progbits,_ZN7rocprim17ROCPRIM_400000_NS6detail17trampoline_kernelINS0_14default_configENS1_27scan_by_key_config_selectorIiiEEZZNS1_16scan_by_key_implILNS1_25lookback_scan_determinismE0ELb0ES3_N6thrust23THRUST_200600_302600_NS6detail15normal_iteratorINS9_10device_ptrIiEEEESE_SE_iNS9_4plusIiEE19head_flag_predicateiEE10hipError_tPvRmT2_T3_T4_T5_mT6_T7_P12ihipStream_tbENKUlT_T0_E_clISt17integral_constantIbLb0EESY_EEDaST_SU_EUlST_E_NS1_11comp_targetILNS1_3genE8ELNS1_11target_archE1030ELNS1_3gpuE2ELNS1_3repE0EEENS1_30default_config_static_selectorELNS0_4arch9wavefront6targetE1EEEvT1_,comdat
.Lfunc_end757:
	.size	_ZN7rocprim17ROCPRIM_400000_NS6detail17trampoline_kernelINS0_14default_configENS1_27scan_by_key_config_selectorIiiEEZZNS1_16scan_by_key_implILNS1_25lookback_scan_determinismE0ELb0ES3_N6thrust23THRUST_200600_302600_NS6detail15normal_iteratorINS9_10device_ptrIiEEEESE_SE_iNS9_4plusIiEE19head_flag_predicateiEE10hipError_tPvRmT2_T3_T4_T5_mT6_T7_P12ihipStream_tbENKUlT_T0_E_clISt17integral_constantIbLb0EESY_EEDaST_SU_EUlST_E_NS1_11comp_targetILNS1_3genE8ELNS1_11target_archE1030ELNS1_3gpuE2ELNS1_3repE0EEENS1_30default_config_static_selectorELNS0_4arch9wavefront6targetE1EEEvT1_, .Lfunc_end757-_ZN7rocprim17ROCPRIM_400000_NS6detail17trampoline_kernelINS0_14default_configENS1_27scan_by_key_config_selectorIiiEEZZNS1_16scan_by_key_implILNS1_25lookback_scan_determinismE0ELb0ES3_N6thrust23THRUST_200600_302600_NS6detail15normal_iteratorINS9_10device_ptrIiEEEESE_SE_iNS9_4plusIiEE19head_flag_predicateiEE10hipError_tPvRmT2_T3_T4_T5_mT6_T7_P12ihipStream_tbENKUlT_T0_E_clISt17integral_constantIbLb0EESY_EEDaST_SU_EUlST_E_NS1_11comp_targetILNS1_3genE8ELNS1_11target_archE1030ELNS1_3gpuE2ELNS1_3repE0EEENS1_30default_config_static_selectorELNS0_4arch9wavefront6targetE1EEEvT1_
                                        ; -- End function
	.section	.AMDGPU.csdata,"",@progbits
; Kernel info:
; codeLenInByte = 0
; NumSgprs: 6
; NumVgprs: 0
; NumAgprs: 0
; TotalNumVgprs: 0
; ScratchSize: 0
; MemoryBound: 0
; FloatMode: 240
; IeeeMode: 1
; LDSByteSize: 0 bytes/workgroup (compile time only)
; SGPRBlocks: 0
; VGPRBlocks: 0
; NumSGPRsForWavesPerEU: 6
; NumVGPRsForWavesPerEU: 1
; AccumOffset: 4
; Occupancy: 8
; WaveLimiterHint : 0
; COMPUTE_PGM_RSRC2:SCRATCH_EN: 0
; COMPUTE_PGM_RSRC2:USER_SGPR: 2
; COMPUTE_PGM_RSRC2:TRAP_HANDLER: 0
; COMPUTE_PGM_RSRC2:TGID_X_EN: 1
; COMPUTE_PGM_RSRC2:TGID_Y_EN: 0
; COMPUTE_PGM_RSRC2:TGID_Z_EN: 0
; COMPUTE_PGM_RSRC2:TIDIG_COMP_CNT: 0
; COMPUTE_PGM_RSRC3_GFX90A:ACCUM_OFFSET: 0
; COMPUTE_PGM_RSRC3_GFX90A:TG_SPLIT: 0
	.section	.text._ZN7rocprim17ROCPRIM_400000_NS6detail17trampoline_kernelINS0_14default_configENS1_27scan_by_key_config_selectorIiiEEZZNS1_16scan_by_key_implILNS1_25lookback_scan_determinismE0ELb0ES3_N6thrust23THRUST_200600_302600_NS6detail15normal_iteratorINS9_10device_ptrIiEEEESE_SE_iNS9_4plusIiEE19head_flag_predicateiEE10hipError_tPvRmT2_T3_T4_T5_mT6_T7_P12ihipStream_tbENKUlT_T0_E_clISt17integral_constantIbLb1EESY_EEDaST_SU_EUlST_E_NS1_11comp_targetILNS1_3genE0ELNS1_11target_archE4294967295ELNS1_3gpuE0ELNS1_3repE0EEENS1_30default_config_static_selectorELNS0_4arch9wavefront6targetE1EEEvT1_,"axG",@progbits,_ZN7rocprim17ROCPRIM_400000_NS6detail17trampoline_kernelINS0_14default_configENS1_27scan_by_key_config_selectorIiiEEZZNS1_16scan_by_key_implILNS1_25lookback_scan_determinismE0ELb0ES3_N6thrust23THRUST_200600_302600_NS6detail15normal_iteratorINS9_10device_ptrIiEEEESE_SE_iNS9_4plusIiEE19head_flag_predicateiEE10hipError_tPvRmT2_T3_T4_T5_mT6_T7_P12ihipStream_tbENKUlT_T0_E_clISt17integral_constantIbLb1EESY_EEDaST_SU_EUlST_E_NS1_11comp_targetILNS1_3genE0ELNS1_11target_archE4294967295ELNS1_3gpuE0ELNS1_3repE0EEENS1_30default_config_static_selectorELNS0_4arch9wavefront6targetE1EEEvT1_,comdat
	.protected	_ZN7rocprim17ROCPRIM_400000_NS6detail17trampoline_kernelINS0_14default_configENS1_27scan_by_key_config_selectorIiiEEZZNS1_16scan_by_key_implILNS1_25lookback_scan_determinismE0ELb0ES3_N6thrust23THRUST_200600_302600_NS6detail15normal_iteratorINS9_10device_ptrIiEEEESE_SE_iNS9_4plusIiEE19head_flag_predicateiEE10hipError_tPvRmT2_T3_T4_T5_mT6_T7_P12ihipStream_tbENKUlT_T0_E_clISt17integral_constantIbLb1EESY_EEDaST_SU_EUlST_E_NS1_11comp_targetILNS1_3genE0ELNS1_11target_archE4294967295ELNS1_3gpuE0ELNS1_3repE0EEENS1_30default_config_static_selectorELNS0_4arch9wavefront6targetE1EEEvT1_ ; -- Begin function _ZN7rocprim17ROCPRIM_400000_NS6detail17trampoline_kernelINS0_14default_configENS1_27scan_by_key_config_selectorIiiEEZZNS1_16scan_by_key_implILNS1_25lookback_scan_determinismE0ELb0ES3_N6thrust23THRUST_200600_302600_NS6detail15normal_iteratorINS9_10device_ptrIiEEEESE_SE_iNS9_4plusIiEE19head_flag_predicateiEE10hipError_tPvRmT2_T3_T4_T5_mT6_T7_P12ihipStream_tbENKUlT_T0_E_clISt17integral_constantIbLb1EESY_EEDaST_SU_EUlST_E_NS1_11comp_targetILNS1_3genE0ELNS1_11target_archE4294967295ELNS1_3gpuE0ELNS1_3repE0EEENS1_30default_config_static_selectorELNS0_4arch9wavefront6targetE1EEEvT1_
	.globl	_ZN7rocprim17ROCPRIM_400000_NS6detail17trampoline_kernelINS0_14default_configENS1_27scan_by_key_config_selectorIiiEEZZNS1_16scan_by_key_implILNS1_25lookback_scan_determinismE0ELb0ES3_N6thrust23THRUST_200600_302600_NS6detail15normal_iteratorINS9_10device_ptrIiEEEESE_SE_iNS9_4plusIiEE19head_flag_predicateiEE10hipError_tPvRmT2_T3_T4_T5_mT6_T7_P12ihipStream_tbENKUlT_T0_E_clISt17integral_constantIbLb1EESY_EEDaST_SU_EUlST_E_NS1_11comp_targetILNS1_3genE0ELNS1_11target_archE4294967295ELNS1_3gpuE0ELNS1_3repE0EEENS1_30default_config_static_selectorELNS0_4arch9wavefront6targetE1EEEvT1_
	.p2align	8
	.type	_ZN7rocprim17ROCPRIM_400000_NS6detail17trampoline_kernelINS0_14default_configENS1_27scan_by_key_config_selectorIiiEEZZNS1_16scan_by_key_implILNS1_25lookback_scan_determinismE0ELb0ES3_N6thrust23THRUST_200600_302600_NS6detail15normal_iteratorINS9_10device_ptrIiEEEESE_SE_iNS9_4plusIiEE19head_flag_predicateiEE10hipError_tPvRmT2_T3_T4_T5_mT6_T7_P12ihipStream_tbENKUlT_T0_E_clISt17integral_constantIbLb1EESY_EEDaST_SU_EUlST_E_NS1_11comp_targetILNS1_3genE0ELNS1_11target_archE4294967295ELNS1_3gpuE0ELNS1_3repE0EEENS1_30default_config_static_selectorELNS0_4arch9wavefront6targetE1EEEvT1_,@function
_ZN7rocprim17ROCPRIM_400000_NS6detail17trampoline_kernelINS0_14default_configENS1_27scan_by_key_config_selectorIiiEEZZNS1_16scan_by_key_implILNS1_25lookback_scan_determinismE0ELb0ES3_N6thrust23THRUST_200600_302600_NS6detail15normal_iteratorINS9_10device_ptrIiEEEESE_SE_iNS9_4plusIiEE19head_flag_predicateiEE10hipError_tPvRmT2_T3_T4_T5_mT6_T7_P12ihipStream_tbENKUlT_T0_E_clISt17integral_constantIbLb1EESY_EEDaST_SU_EUlST_E_NS1_11comp_targetILNS1_3genE0ELNS1_11target_archE4294967295ELNS1_3gpuE0ELNS1_3repE0EEENS1_30default_config_static_selectorELNS0_4arch9wavefront6targetE1EEEvT1_: ; @_ZN7rocprim17ROCPRIM_400000_NS6detail17trampoline_kernelINS0_14default_configENS1_27scan_by_key_config_selectorIiiEEZZNS1_16scan_by_key_implILNS1_25lookback_scan_determinismE0ELb0ES3_N6thrust23THRUST_200600_302600_NS6detail15normal_iteratorINS9_10device_ptrIiEEEESE_SE_iNS9_4plusIiEE19head_flag_predicateiEE10hipError_tPvRmT2_T3_T4_T5_mT6_T7_P12ihipStream_tbENKUlT_T0_E_clISt17integral_constantIbLb1EESY_EEDaST_SU_EUlST_E_NS1_11comp_targetILNS1_3genE0ELNS1_11target_archE4294967295ELNS1_3gpuE0ELNS1_3repE0EEENS1_30default_config_static_selectorELNS0_4arch9wavefront6targetE1EEEvT1_
; %bb.0:
	.section	.rodata,"a",@progbits
	.p2align	6, 0x0
	.amdhsa_kernel _ZN7rocprim17ROCPRIM_400000_NS6detail17trampoline_kernelINS0_14default_configENS1_27scan_by_key_config_selectorIiiEEZZNS1_16scan_by_key_implILNS1_25lookback_scan_determinismE0ELb0ES3_N6thrust23THRUST_200600_302600_NS6detail15normal_iteratorINS9_10device_ptrIiEEEESE_SE_iNS9_4plusIiEE19head_flag_predicateiEE10hipError_tPvRmT2_T3_T4_T5_mT6_T7_P12ihipStream_tbENKUlT_T0_E_clISt17integral_constantIbLb1EESY_EEDaST_SU_EUlST_E_NS1_11comp_targetILNS1_3genE0ELNS1_11target_archE4294967295ELNS1_3gpuE0ELNS1_3repE0EEENS1_30default_config_static_selectorELNS0_4arch9wavefront6targetE1EEEvT1_
		.amdhsa_group_segment_fixed_size 0
		.amdhsa_private_segment_fixed_size 0
		.amdhsa_kernarg_size 112
		.amdhsa_user_sgpr_count 2
		.amdhsa_user_sgpr_dispatch_ptr 0
		.amdhsa_user_sgpr_queue_ptr 0
		.amdhsa_user_sgpr_kernarg_segment_ptr 1
		.amdhsa_user_sgpr_dispatch_id 0
		.amdhsa_user_sgpr_kernarg_preload_length 0
		.amdhsa_user_sgpr_kernarg_preload_offset 0
		.amdhsa_user_sgpr_private_segment_size 0
		.amdhsa_uses_dynamic_stack 0
		.amdhsa_enable_private_segment 0
		.amdhsa_system_sgpr_workgroup_id_x 1
		.amdhsa_system_sgpr_workgroup_id_y 0
		.amdhsa_system_sgpr_workgroup_id_z 0
		.amdhsa_system_sgpr_workgroup_info 0
		.amdhsa_system_vgpr_workitem_id 0
		.amdhsa_next_free_vgpr 1
		.amdhsa_next_free_sgpr 0
		.amdhsa_accum_offset 4
		.amdhsa_reserve_vcc 0
		.amdhsa_float_round_mode_32 0
		.amdhsa_float_round_mode_16_64 0
		.amdhsa_float_denorm_mode_32 3
		.amdhsa_float_denorm_mode_16_64 3
		.amdhsa_dx10_clamp 1
		.amdhsa_ieee_mode 1
		.amdhsa_fp16_overflow 0
		.amdhsa_tg_split 0
		.amdhsa_exception_fp_ieee_invalid_op 0
		.amdhsa_exception_fp_denorm_src 0
		.amdhsa_exception_fp_ieee_div_zero 0
		.amdhsa_exception_fp_ieee_overflow 0
		.amdhsa_exception_fp_ieee_underflow 0
		.amdhsa_exception_fp_ieee_inexact 0
		.amdhsa_exception_int_div_zero 0
	.end_amdhsa_kernel
	.section	.text._ZN7rocprim17ROCPRIM_400000_NS6detail17trampoline_kernelINS0_14default_configENS1_27scan_by_key_config_selectorIiiEEZZNS1_16scan_by_key_implILNS1_25lookback_scan_determinismE0ELb0ES3_N6thrust23THRUST_200600_302600_NS6detail15normal_iteratorINS9_10device_ptrIiEEEESE_SE_iNS9_4plusIiEE19head_flag_predicateiEE10hipError_tPvRmT2_T3_T4_T5_mT6_T7_P12ihipStream_tbENKUlT_T0_E_clISt17integral_constantIbLb1EESY_EEDaST_SU_EUlST_E_NS1_11comp_targetILNS1_3genE0ELNS1_11target_archE4294967295ELNS1_3gpuE0ELNS1_3repE0EEENS1_30default_config_static_selectorELNS0_4arch9wavefront6targetE1EEEvT1_,"axG",@progbits,_ZN7rocprim17ROCPRIM_400000_NS6detail17trampoline_kernelINS0_14default_configENS1_27scan_by_key_config_selectorIiiEEZZNS1_16scan_by_key_implILNS1_25lookback_scan_determinismE0ELb0ES3_N6thrust23THRUST_200600_302600_NS6detail15normal_iteratorINS9_10device_ptrIiEEEESE_SE_iNS9_4plusIiEE19head_flag_predicateiEE10hipError_tPvRmT2_T3_T4_T5_mT6_T7_P12ihipStream_tbENKUlT_T0_E_clISt17integral_constantIbLb1EESY_EEDaST_SU_EUlST_E_NS1_11comp_targetILNS1_3genE0ELNS1_11target_archE4294967295ELNS1_3gpuE0ELNS1_3repE0EEENS1_30default_config_static_selectorELNS0_4arch9wavefront6targetE1EEEvT1_,comdat
.Lfunc_end758:
	.size	_ZN7rocprim17ROCPRIM_400000_NS6detail17trampoline_kernelINS0_14default_configENS1_27scan_by_key_config_selectorIiiEEZZNS1_16scan_by_key_implILNS1_25lookback_scan_determinismE0ELb0ES3_N6thrust23THRUST_200600_302600_NS6detail15normal_iteratorINS9_10device_ptrIiEEEESE_SE_iNS9_4plusIiEE19head_flag_predicateiEE10hipError_tPvRmT2_T3_T4_T5_mT6_T7_P12ihipStream_tbENKUlT_T0_E_clISt17integral_constantIbLb1EESY_EEDaST_SU_EUlST_E_NS1_11comp_targetILNS1_3genE0ELNS1_11target_archE4294967295ELNS1_3gpuE0ELNS1_3repE0EEENS1_30default_config_static_selectorELNS0_4arch9wavefront6targetE1EEEvT1_, .Lfunc_end758-_ZN7rocprim17ROCPRIM_400000_NS6detail17trampoline_kernelINS0_14default_configENS1_27scan_by_key_config_selectorIiiEEZZNS1_16scan_by_key_implILNS1_25lookback_scan_determinismE0ELb0ES3_N6thrust23THRUST_200600_302600_NS6detail15normal_iteratorINS9_10device_ptrIiEEEESE_SE_iNS9_4plusIiEE19head_flag_predicateiEE10hipError_tPvRmT2_T3_T4_T5_mT6_T7_P12ihipStream_tbENKUlT_T0_E_clISt17integral_constantIbLb1EESY_EEDaST_SU_EUlST_E_NS1_11comp_targetILNS1_3genE0ELNS1_11target_archE4294967295ELNS1_3gpuE0ELNS1_3repE0EEENS1_30default_config_static_selectorELNS0_4arch9wavefront6targetE1EEEvT1_
                                        ; -- End function
	.section	.AMDGPU.csdata,"",@progbits
; Kernel info:
; codeLenInByte = 0
; NumSgprs: 6
; NumVgprs: 0
; NumAgprs: 0
; TotalNumVgprs: 0
; ScratchSize: 0
; MemoryBound: 0
; FloatMode: 240
; IeeeMode: 1
; LDSByteSize: 0 bytes/workgroup (compile time only)
; SGPRBlocks: 0
; VGPRBlocks: 0
; NumSGPRsForWavesPerEU: 6
; NumVGPRsForWavesPerEU: 1
; AccumOffset: 4
; Occupancy: 8
; WaveLimiterHint : 0
; COMPUTE_PGM_RSRC2:SCRATCH_EN: 0
; COMPUTE_PGM_RSRC2:USER_SGPR: 2
; COMPUTE_PGM_RSRC2:TRAP_HANDLER: 0
; COMPUTE_PGM_RSRC2:TGID_X_EN: 1
; COMPUTE_PGM_RSRC2:TGID_Y_EN: 0
; COMPUTE_PGM_RSRC2:TGID_Z_EN: 0
; COMPUTE_PGM_RSRC2:TIDIG_COMP_CNT: 0
; COMPUTE_PGM_RSRC3_GFX90A:ACCUM_OFFSET: 0
; COMPUTE_PGM_RSRC3_GFX90A:TG_SPLIT: 0
	.section	.text._ZN7rocprim17ROCPRIM_400000_NS6detail17trampoline_kernelINS0_14default_configENS1_27scan_by_key_config_selectorIiiEEZZNS1_16scan_by_key_implILNS1_25lookback_scan_determinismE0ELb0ES3_N6thrust23THRUST_200600_302600_NS6detail15normal_iteratorINS9_10device_ptrIiEEEESE_SE_iNS9_4plusIiEE19head_flag_predicateiEE10hipError_tPvRmT2_T3_T4_T5_mT6_T7_P12ihipStream_tbENKUlT_T0_E_clISt17integral_constantIbLb1EESY_EEDaST_SU_EUlST_E_NS1_11comp_targetILNS1_3genE10ELNS1_11target_archE1201ELNS1_3gpuE5ELNS1_3repE0EEENS1_30default_config_static_selectorELNS0_4arch9wavefront6targetE1EEEvT1_,"axG",@progbits,_ZN7rocprim17ROCPRIM_400000_NS6detail17trampoline_kernelINS0_14default_configENS1_27scan_by_key_config_selectorIiiEEZZNS1_16scan_by_key_implILNS1_25lookback_scan_determinismE0ELb0ES3_N6thrust23THRUST_200600_302600_NS6detail15normal_iteratorINS9_10device_ptrIiEEEESE_SE_iNS9_4plusIiEE19head_flag_predicateiEE10hipError_tPvRmT2_T3_T4_T5_mT6_T7_P12ihipStream_tbENKUlT_T0_E_clISt17integral_constantIbLb1EESY_EEDaST_SU_EUlST_E_NS1_11comp_targetILNS1_3genE10ELNS1_11target_archE1201ELNS1_3gpuE5ELNS1_3repE0EEENS1_30default_config_static_selectorELNS0_4arch9wavefront6targetE1EEEvT1_,comdat
	.protected	_ZN7rocprim17ROCPRIM_400000_NS6detail17trampoline_kernelINS0_14default_configENS1_27scan_by_key_config_selectorIiiEEZZNS1_16scan_by_key_implILNS1_25lookback_scan_determinismE0ELb0ES3_N6thrust23THRUST_200600_302600_NS6detail15normal_iteratorINS9_10device_ptrIiEEEESE_SE_iNS9_4plusIiEE19head_flag_predicateiEE10hipError_tPvRmT2_T3_T4_T5_mT6_T7_P12ihipStream_tbENKUlT_T0_E_clISt17integral_constantIbLb1EESY_EEDaST_SU_EUlST_E_NS1_11comp_targetILNS1_3genE10ELNS1_11target_archE1201ELNS1_3gpuE5ELNS1_3repE0EEENS1_30default_config_static_selectorELNS0_4arch9wavefront6targetE1EEEvT1_ ; -- Begin function _ZN7rocprim17ROCPRIM_400000_NS6detail17trampoline_kernelINS0_14default_configENS1_27scan_by_key_config_selectorIiiEEZZNS1_16scan_by_key_implILNS1_25lookback_scan_determinismE0ELb0ES3_N6thrust23THRUST_200600_302600_NS6detail15normal_iteratorINS9_10device_ptrIiEEEESE_SE_iNS9_4plusIiEE19head_flag_predicateiEE10hipError_tPvRmT2_T3_T4_T5_mT6_T7_P12ihipStream_tbENKUlT_T0_E_clISt17integral_constantIbLb1EESY_EEDaST_SU_EUlST_E_NS1_11comp_targetILNS1_3genE10ELNS1_11target_archE1201ELNS1_3gpuE5ELNS1_3repE0EEENS1_30default_config_static_selectorELNS0_4arch9wavefront6targetE1EEEvT1_
	.globl	_ZN7rocprim17ROCPRIM_400000_NS6detail17trampoline_kernelINS0_14default_configENS1_27scan_by_key_config_selectorIiiEEZZNS1_16scan_by_key_implILNS1_25lookback_scan_determinismE0ELb0ES3_N6thrust23THRUST_200600_302600_NS6detail15normal_iteratorINS9_10device_ptrIiEEEESE_SE_iNS9_4plusIiEE19head_flag_predicateiEE10hipError_tPvRmT2_T3_T4_T5_mT6_T7_P12ihipStream_tbENKUlT_T0_E_clISt17integral_constantIbLb1EESY_EEDaST_SU_EUlST_E_NS1_11comp_targetILNS1_3genE10ELNS1_11target_archE1201ELNS1_3gpuE5ELNS1_3repE0EEENS1_30default_config_static_selectorELNS0_4arch9wavefront6targetE1EEEvT1_
	.p2align	8
	.type	_ZN7rocprim17ROCPRIM_400000_NS6detail17trampoline_kernelINS0_14default_configENS1_27scan_by_key_config_selectorIiiEEZZNS1_16scan_by_key_implILNS1_25lookback_scan_determinismE0ELb0ES3_N6thrust23THRUST_200600_302600_NS6detail15normal_iteratorINS9_10device_ptrIiEEEESE_SE_iNS9_4plusIiEE19head_flag_predicateiEE10hipError_tPvRmT2_T3_T4_T5_mT6_T7_P12ihipStream_tbENKUlT_T0_E_clISt17integral_constantIbLb1EESY_EEDaST_SU_EUlST_E_NS1_11comp_targetILNS1_3genE10ELNS1_11target_archE1201ELNS1_3gpuE5ELNS1_3repE0EEENS1_30default_config_static_selectorELNS0_4arch9wavefront6targetE1EEEvT1_,@function
_ZN7rocprim17ROCPRIM_400000_NS6detail17trampoline_kernelINS0_14default_configENS1_27scan_by_key_config_selectorIiiEEZZNS1_16scan_by_key_implILNS1_25lookback_scan_determinismE0ELb0ES3_N6thrust23THRUST_200600_302600_NS6detail15normal_iteratorINS9_10device_ptrIiEEEESE_SE_iNS9_4plusIiEE19head_flag_predicateiEE10hipError_tPvRmT2_T3_T4_T5_mT6_T7_P12ihipStream_tbENKUlT_T0_E_clISt17integral_constantIbLb1EESY_EEDaST_SU_EUlST_E_NS1_11comp_targetILNS1_3genE10ELNS1_11target_archE1201ELNS1_3gpuE5ELNS1_3repE0EEENS1_30default_config_static_selectorELNS0_4arch9wavefront6targetE1EEEvT1_: ; @_ZN7rocprim17ROCPRIM_400000_NS6detail17trampoline_kernelINS0_14default_configENS1_27scan_by_key_config_selectorIiiEEZZNS1_16scan_by_key_implILNS1_25lookback_scan_determinismE0ELb0ES3_N6thrust23THRUST_200600_302600_NS6detail15normal_iteratorINS9_10device_ptrIiEEEESE_SE_iNS9_4plusIiEE19head_flag_predicateiEE10hipError_tPvRmT2_T3_T4_T5_mT6_T7_P12ihipStream_tbENKUlT_T0_E_clISt17integral_constantIbLb1EESY_EEDaST_SU_EUlST_E_NS1_11comp_targetILNS1_3genE10ELNS1_11target_archE1201ELNS1_3gpuE5ELNS1_3repE0EEENS1_30default_config_static_selectorELNS0_4arch9wavefront6targetE1EEEvT1_
; %bb.0:
	.section	.rodata,"a",@progbits
	.p2align	6, 0x0
	.amdhsa_kernel _ZN7rocprim17ROCPRIM_400000_NS6detail17trampoline_kernelINS0_14default_configENS1_27scan_by_key_config_selectorIiiEEZZNS1_16scan_by_key_implILNS1_25lookback_scan_determinismE0ELb0ES3_N6thrust23THRUST_200600_302600_NS6detail15normal_iteratorINS9_10device_ptrIiEEEESE_SE_iNS9_4plusIiEE19head_flag_predicateiEE10hipError_tPvRmT2_T3_T4_T5_mT6_T7_P12ihipStream_tbENKUlT_T0_E_clISt17integral_constantIbLb1EESY_EEDaST_SU_EUlST_E_NS1_11comp_targetILNS1_3genE10ELNS1_11target_archE1201ELNS1_3gpuE5ELNS1_3repE0EEENS1_30default_config_static_selectorELNS0_4arch9wavefront6targetE1EEEvT1_
		.amdhsa_group_segment_fixed_size 0
		.amdhsa_private_segment_fixed_size 0
		.amdhsa_kernarg_size 112
		.amdhsa_user_sgpr_count 2
		.amdhsa_user_sgpr_dispatch_ptr 0
		.amdhsa_user_sgpr_queue_ptr 0
		.amdhsa_user_sgpr_kernarg_segment_ptr 1
		.amdhsa_user_sgpr_dispatch_id 0
		.amdhsa_user_sgpr_kernarg_preload_length 0
		.amdhsa_user_sgpr_kernarg_preload_offset 0
		.amdhsa_user_sgpr_private_segment_size 0
		.amdhsa_uses_dynamic_stack 0
		.amdhsa_enable_private_segment 0
		.amdhsa_system_sgpr_workgroup_id_x 1
		.amdhsa_system_sgpr_workgroup_id_y 0
		.amdhsa_system_sgpr_workgroup_id_z 0
		.amdhsa_system_sgpr_workgroup_info 0
		.amdhsa_system_vgpr_workitem_id 0
		.amdhsa_next_free_vgpr 1
		.amdhsa_next_free_sgpr 0
		.amdhsa_accum_offset 4
		.amdhsa_reserve_vcc 0
		.amdhsa_float_round_mode_32 0
		.amdhsa_float_round_mode_16_64 0
		.amdhsa_float_denorm_mode_32 3
		.amdhsa_float_denorm_mode_16_64 3
		.amdhsa_dx10_clamp 1
		.amdhsa_ieee_mode 1
		.amdhsa_fp16_overflow 0
		.amdhsa_tg_split 0
		.amdhsa_exception_fp_ieee_invalid_op 0
		.amdhsa_exception_fp_denorm_src 0
		.amdhsa_exception_fp_ieee_div_zero 0
		.amdhsa_exception_fp_ieee_overflow 0
		.amdhsa_exception_fp_ieee_underflow 0
		.amdhsa_exception_fp_ieee_inexact 0
		.amdhsa_exception_int_div_zero 0
	.end_amdhsa_kernel
	.section	.text._ZN7rocprim17ROCPRIM_400000_NS6detail17trampoline_kernelINS0_14default_configENS1_27scan_by_key_config_selectorIiiEEZZNS1_16scan_by_key_implILNS1_25lookback_scan_determinismE0ELb0ES3_N6thrust23THRUST_200600_302600_NS6detail15normal_iteratorINS9_10device_ptrIiEEEESE_SE_iNS9_4plusIiEE19head_flag_predicateiEE10hipError_tPvRmT2_T3_T4_T5_mT6_T7_P12ihipStream_tbENKUlT_T0_E_clISt17integral_constantIbLb1EESY_EEDaST_SU_EUlST_E_NS1_11comp_targetILNS1_3genE10ELNS1_11target_archE1201ELNS1_3gpuE5ELNS1_3repE0EEENS1_30default_config_static_selectorELNS0_4arch9wavefront6targetE1EEEvT1_,"axG",@progbits,_ZN7rocprim17ROCPRIM_400000_NS6detail17trampoline_kernelINS0_14default_configENS1_27scan_by_key_config_selectorIiiEEZZNS1_16scan_by_key_implILNS1_25lookback_scan_determinismE0ELb0ES3_N6thrust23THRUST_200600_302600_NS6detail15normal_iteratorINS9_10device_ptrIiEEEESE_SE_iNS9_4plusIiEE19head_flag_predicateiEE10hipError_tPvRmT2_T3_T4_T5_mT6_T7_P12ihipStream_tbENKUlT_T0_E_clISt17integral_constantIbLb1EESY_EEDaST_SU_EUlST_E_NS1_11comp_targetILNS1_3genE10ELNS1_11target_archE1201ELNS1_3gpuE5ELNS1_3repE0EEENS1_30default_config_static_selectorELNS0_4arch9wavefront6targetE1EEEvT1_,comdat
.Lfunc_end759:
	.size	_ZN7rocprim17ROCPRIM_400000_NS6detail17trampoline_kernelINS0_14default_configENS1_27scan_by_key_config_selectorIiiEEZZNS1_16scan_by_key_implILNS1_25lookback_scan_determinismE0ELb0ES3_N6thrust23THRUST_200600_302600_NS6detail15normal_iteratorINS9_10device_ptrIiEEEESE_SE_iNS9_4plusIiEE19head_flag_predicateiEE10hipError_tPvRmT2_T3_T4_T5_mT6_T7_P12ihipStream_tbENKUlT_T0_E_clISt17integral_constantIbLb1EESY_EEDaST_SU_EUlST_E_NS1_11comp_targetILNS1_3genE10ELNS1_11target_archE1201ELNS1_3gpuE5ELNS1_3repE0EEENS1_30default_config_static_selectorELNS0_4arch9wavefront6targetE1EEEvT1_, .Lfunc_end759-_ZN7rocprim17ROCPRIM_400000_NS6detail17trampoline_kernelINS0_14default_configENS1_27scan_by_key_config_selectorIiiEEZZNS1_16scan_by_key_implILNS1_25lookback_scan_determinismE0ELb0ES3_N6thrust23THRUST_200600_302600_NS6detail15normal_iteratorINS9_10device_ptrIiEEEESE_SE_iNS9_4plusIiEE19head_flag_predicateiEE10hipError_tPvRmT2_T3_T4_T5_mT6_T7_P12ihipStream_tbENKUlT_T0_E_clISt17integral_constantIbLb1EESY_EEDaST_SU_EUlST_E_NS1_11comp_targetILNS1_3genE10ELNS1_11target_archE1201ELNS1_3gpuE5ELNS1_3repE0EEENS1_30default_config_static_selectorELNS0_4arch9wavefront6targetE1EEEvT1_
                                        ; -- End function
	.section	.AMDGPU.csdata,"",@progbits
; Kernel info:
; codeLenInByte = 0
; NumSgprs: 6
; NumVgprs: 0
; NumAgprs: 0
; TotalNumVgprs: 0
; ScratchSize: 0
; MemoryBound: 0
; FloatMode: 240
; IeeeMode: 1
; LDSByteSize: 0 bytes/workgroup (compile time only)
; SGPRBlocks: 0
; VGPRBlocks: 0
; NumSGPRsForWavesPerEU: 6
; NumVGPRsForWavesPerEU: 1
; AccumOffset: 4
; Occupancy: 8
; WaveLimiterHint : 0
; COMPUTE_PGM_RSRC2:SCRATCH_EN: 0
; COMPUTE_PGM_RSRC2:USER_SGPR: 2
; COMPUTE_PGM_RSRC2:TRAP_HANDLER: 0
; COMPUTE_PGM_RSRC2:TGID_X_EN: 1
; COMPUTE_PGM_RSRC2:TGID_Y_EN: 0
; COMPUTE_PGM_RSRC2:TGID_Z_EN: 0
; COMPUTE_PGM_RSRC2:TIDIG_COMP_CNT: 0
; COMPUTE_PGM_RSRC3_GFX90A:ACCUM_OFFSET: 0
; COMPUTE_PGM_RSRC3_GFX90A:TG_SPLIT: 0
	.section	.text._ZN7rocprim17ROCPRIM_400000_NS6detail17trampoline_kernelINS0_14default_configENS1_27scan_by_key_config_selectorIiiEEZZNS1_16scan_by_key_implILNS1_25lookback_scan_determinismE0ELb0ES3_N6thrust23THRUST_200600_302600_NS6detail15normal_iteratorINS9_10device_ptrIiEEEESE_SE_iNS9_4plusIiEE19head_flag_predicateiEE10hipError_tPvRmT2_T3_T4_T5_mT6_T7_P12ihipStream_tbENKUlT_T0_E_clISt17integral_constantIbLb1EESY_EEDaST_SU_EUlST_E_NS1_11comp_targetILNS1_3genE5ELNS1_11target_archE942ELNS1_3gpuE9ELNS1_3repE0EEENS1_30default_config_static_selectorELNS0_4arch9wavefront6targetE1EEEvT1_,"axG",@progbits,_ZN7rocprim17ROCPRIM_400000_NS6detail17trampoline_kernelINS0_14default_configENS1_27scan_by_key_config_selectorIiiEEZZNS1_16scan_by_key_implILNS1_25lookback_scan_determinismE0ELb0ES3_N6thrust23THRUST_200600_302600_NS6detail15normal_iteratorINS9_10device_ptrIiEEEESE_SE_iNS9_4plusIiEE19head_flag_predicateiEE10hipError_tPvRmT2_T3_T4_T5_mT6_T7_P12ihipStream_tbENKUlT_T0_E_clISt17integral_constantIbLb1EESY_EEDaST_SU_EUlST_E_NS1_11comp_targetILNS1_3genE5ELNS1_11target_archE942ELNS1_3gpuE9ELNS1_3repE0EEENS1_30default_config_static_selectorELNS0_4arch9wavefront6targetE1EEEvT1_,comdat
	.protected	_ZN7rocprim17ROCPRIM_400000_NS6detail17trampoline_kernelINS0_14default_configENS1_27scan_by_key_config_selectorIiiEEZZNS1_16scan_by_key_implILNS1_25lookback_scan_determinismE0ELb0ES3_N6thrust23THRUST_200600_302600_NS6detail15normal_iteratorINS9_10device_ptrIiEEEESE_SE_iNS9_4plusIiEE19head_flag_predicateiEE10hipError_tPvRmT2_T3_T4_T5_mT6_T7_P12ihipStream_tbENKUlT_T0_E_clISt17integral_constantIbLb1EESY_EEDaST_SU_EUlST_E_NS1_11comp_targetILNS1_3genE5ELNS1_11target_archE942ELNS1_3gpuE9ELNS1_3repE0EEENS1_30default_config_static_selectorELNS0_4arch9wavefront6targetE1EEEvT1_ ; -- Begin function _ZN7rocprim17ROCPRIM_400000_NS6detail17trampoline_kernelINS0_14default_configENS1_27scan_by_key_config_selectorIiiEEZZNS1_16scan_by_key_implILNS1_25lookback_scan_determinismE0ELb0ES3_N6thrust23THRUST_200600_302600_NS6detail15normal_iteratorINS9_10device_ptrIiEEEESE_SE_iNS9_4plusIiEE19head_flag_predicateiEE10hipError_tPvRmT2_T3_T4_T5_mT6_T7_P12ihipStream_tbENKUlT_T0_E_clISt17integral_constantIbLb1EESY_EEDaST_SU_EUlST_E_NS1_11comp_targetILNS1_3genE5ELNS1_11target_archE942ELNS1_3gpuE9ELNS1_3repE0EEENS1_30default_config_static_selectorELNS0_4arch9wavefront6targetE1EEEvT1_
	.globl	_ZN7rocprim17ROCPRIM_400000_NS6detail17trampoline_kernelINS0_14default_configENS1_27scan_by_key_config_selectorIiiEEZZNS1_16scan_by_key_implILNS1_25lookback_scan_determinismE0ELb0ES3_N6thrust23THRUST_200600_302600_NS6detail15normal_iteratorINS9_10device_ptrIiEEEESE_SE_iNS9_4plusIiEE19head_flag_predicateiEE10hipError_tPvRmT2_T3_T4_T5_mT6_T7_P12ihipStream_tbENKUlT_T0_E_clISt17integral_constantIbLb1EESY_EEDaST_SU_EUlST_E_NS1_11comp_targetILNS1_3genE5ELNS1_11target_archE942ELNS1_3gpuE9ELNS1_3repE0EEENS1_30default_config_static_selectorELNS0_4arch9wavefront6targetE1EEEvT1_
	.p2align	8
	.type	_ZN7rocprim17ROCPRIM_400000_NS6detail17trampoline_kernelINS0_14default_configENS1_27scan_by_key_config_selectorIiiEEZZNS1_16scan_by_key_implILNS1_25lookback_scan_determinismE0ELb0ES3_N6thrust23THRUST_200600_302600_NS6detail15normal_iteratorINS9_10device_ptrIiEEEESE_SE_iNS9_4plusIiEE19head_flag_predicateiEE10hipError_tPvRmT2_T3_T4_T5_mT6_T7_P12ihipStream_tbENKUlT_T0_E_clISt17integral_constantIbLb1EESY_EEDaST_SU_EUlST_E_NS1_11comp_targetILNS1_3genE5ELNS1_11target_archE942ELNS1_3gpuE9ELNS1_3repE0EEENS1_30default_config_static_selectorELNS0_4arch9wavefront6targetE1EEEvT1_,@function
_ZN7rocprim17ROCPRIM_400000_NS6detail17trampoline_kernelINS0_14default_configENS1_27scan_by_key_config_selectorIiiEEZZNS1_16scan_by_key_implILNS1_25lookback_scan_determinismE0ELb0ES3_N6thrust23THRUST_200600_302600_NS6detail15normal_iteratorINS9_10device_ptrIiEEEESE_SE_iNS9_4plusIiEE19head_flag_predicateiEE10hipError_tPvRmT2_T3_T4_T5_mT6_T7_P12ihipStream_tbENKUlT_T0_E_clISt17integral_constantIbLb1EESY_EEDaST_SU_EUlST_E_NS1_11comp_targetILNS1_3genE5ELNS1_11target_archE942ELNS1_3gpuE9ELNS1_3repE0EEENS1_30default_config_static_selectorELNS0_4arch9wavefront6targetE1EEEvT1_: ; @_ZN7rocprim17ROCPRIM_400000_NS6detail17trampoline_kernelINS0_14default_configENS1_27scan_by_key_config_selectorIiiEEZZNS1_16scan_by_key_implILNS1_25lookback_scan_determinismE0ELb0ES3_N6thrust23THRUST_200600_302600_NS6detail15normal_iteratorINS9_10device_ptrIiEEEESE_SE_iNS9_4plusIiEE19head_flag_predicateiEE10hipError_tPvRmT2_T3_T4_T5_mT6_T7_P12ihipStream_tbENKUlT_T0_E_clISt17integral_constantIbLb1EESY_EEDaST_SU_EUlST_E_NS1_11comp_targetILNS1_3genE5ELNS1_11target_archE942ELNS1_3gpuE9ELNS1_3repE0EEENS1_30default_config_static_selectorELNS0_4arch9wavefront6targetE1EEEvT1_
; %bb.0:
	s_load_dwordx4 s[64:67], s[0:1], 0x28
	s_load_dwordx2 s[72:73], s[0:1], 0x38
	v_cmp_ne_u32_e64 s[4:5], 0, v0
	v_cmp_eq_u32_e64 s[54:55], 0, v0
	s_and_saveexec_b64 s[2:3], s[54:55]
	s_cbranch_execz .LBB760_4
; %bb.1:
	s_mov_b64 s[8:9], exec
	v_mbcnt_lo_u32_b32 v1, s8, 0
	v_mbcnt_hi_u32_b32 v1, s9, v1
	v_cmp_eq_u32_e32 vcc, 0, v1
                                        ; implicit-def: $vgpr2
	s_and_saveexec_b64 s[6:7], vcc
	s_cbranch_execz .LBB760_3
; %bb.2:
	s_load_dwordx2 s[10:11], s[0:1], 0x68
	s_bcnt1_i32_b64 s8, s[8:9]
	v_mov_b32_e32 v2, 0
	v_mov_b32_e32 v3, s8
	s_waitcnt lgkmcnt(0)
	global_atomic_add v2, v2, v3, s[10:11] sc0
.LBB760_3:
	s_or_b64 exec, exec, s[6:7]
	s_waitcnt vmcnt(0)
	v_readfirstlane_b32 s6, v2
	v_mov_b32_e32 v2, 0
	s_nop 0
	v_add_u32_e32 v1, s6, v1
	ds_write_b32 v2, v1
.LBB760_4:
	s_or_b64 exec, exec, s[2:3]
	s_load_dwordx8 s[56:63], s[0:1], 0x0
	s_load_dword s2, s[0:1], 0x40
	s_load_dwordx4 s[68:71], s[0:1], 0x48
	v_mov_b32_e32 v3, 0
	s_waitcnt lgkmcnt(0)
	s_barrier
	ds_read_b32 v2, v3
	s_lshl_b64 s[58:59], s[58:59], 2
	s_add_u32 s6, s56, s58
	s_addc_u32 s7, s57, s59
	s_add_u32 s8, s60, s58
	s_mul_i32 s0, s73, s2
	s_mul_hi_u32 s1, s72, s2
	s_waitcnt lgkmcnt(0)
	v_readfirstlane_b32 s67, v2
	s_addc_u32 s9, s61, s59
	s_add_i32 s3, s1, s0
	s_mov_b32 s1, 0
	s_mul_i32 s0, s67, 0x1700
	s_lshl_b64 s[56:57], s[0:1], 2
	s_add_u32 s52, s6, s56
	s_addc_u32 s53, s7, s57
	s_add_u32 s0, s8, s56
	s_addc_u32 s1, s9, s57
	s_mul_i32 s2, s72, s2
	s_add_u32 s8, s68, -1
	v_lshl_add_u64 v[2:3], s[2:3], 0, v[2:3]
	s_addc_u32 s9, s69, -1
	v_cmp_le_u64_e64 s[2:3], s[8:9], v[2:3]
	s_mov_b64 s[6:7], -1
	s_and_b64 vcc, exec, s[2:3]
	s_mul_i32 s33, s8, 0xffffe900
	s_barrier
	s_barrier
	s_cbranch_vccz .LBB760_73
; %bb.5:
	v_mov_b64_e32 v[2:3], s[52:53]
	flat_load_dword v1, v[2:3]
	s_add_i32 s74, s33, s66
	v_cmp_gt_u32_e32 vcc, s74, v0
	s_waitcnt vmcnt(0) lgkmcnt(0)
	v_mov_b32_e32 v3, v1
	s_and_saveexec_b64 s[6:7], vcc
	s_cbranch_execz .LBB760_7
; %bb.6:
	v_lshlrev_b32_e32 v2, 2, v0
	v_mov_b32_e32 v3, 0
	v_lshl_add_u64 v[2:3], s[52:53], 0, v[2:3]
	flat_load_dword v3, v[2:3]
.LBB760_7:
	s_or_b64 exec, exec, s[6:7]
	v_or_b32_e32 v2, 0x100, v0
	v_cmp_gt_u32_e64 s[6:7], s74, v2
	v_mov_b32_e32 v4, v1
	s_and_saveexec_b64 s[8:9], s[6:7]
	s_cbranch_execz .LBB760_9
; %bb.8:
	v_lshlrev_b32_e32 v4, 2, v0
	v_mov_b32_e32 v5, 0
	v_lshl_add_u64 v[4:5], s[52:53], 0, v[4:5]
	flat_load_dword v4, v[4:5] offset:1024
.LBB760_9:
	s_or_b64 exec, exec, s[8:9]
	v_or_b32_e32 v2, 0x200, v0
	v_cmp_gt_u32_e64 s[8:9], s74, v2
	v_mov_b32_e32 v5, v1
	s_and_saveexec_b64 s[10:11], s[8:9]
	s_cbranch_execz .LBB760_11
; %bb.10:
	v_lshlrev_b32_e32 v6, 2, v0
	v_mov_b32_e32 v7, 0
	v_lshl_add_u64 v[6:7], s[52:53], 0, v[6:7]
	flat_load_dword v5, v[6:7] offset:2048
.LBB760_11:
	;; [unrolled: 12-line block ×3, first 2 shown]
	s_or_b64 exec, exec, s[12:13]
	v_or_b32_e32 v10, 0x400, v0
	v_cmp_gt_u32_e64 s[12:13], s74, v10
	v_mov_b32_e32 v7, v1
	s_and_saveexec_b64 s[14:15], s[12:13]
	s_cbranch_execz .LBB760_15
; %bb.14:
	v_lshlrev_b32_e32 v8, 2, v10
	v_mov_b32_e32 v9, 0
	v_lshl_add_u64 v[8:9], s[52:53], 0, v[8:9]
	flat_load_dword v7, v[8:9]
.LBB760_15:
	s_or_b64 exec, exec, s[14:15]
	v_or_b32_e32 v11, 0x500, v0
	v_cmp_gt_u32_e64 s[14:15], s74, v11
	v_mov_b32_e32 v8, v1
	s_and_saveexec_b64 s[16:17], s[14:15]
	s_cbranch_execz .LBB760_17
; %bb.16:
	v_lshlrev_b32_e32 v8, 2, v11
	v_mov_b32_e32 v9, 0
	v_lshl_add_u64 v[8:9], s[52:53], 0, v[8:9]
	flat_load_dword v8, v[8:9]
.LBB760_17:
	;; [unrolled: 12-line block ×18, first 2 shown]
	s_or_b64 exec, exec, s[50:51]
	v_or_b32_e32 v28, 0x1600, v0
	v_cmp_gt_u32_e64 s[50:51], s74, v28
	s_and_saveexec_b64 s[60:61], s[50:51]
	s_cbranch_execz .LBB760_51
; %bb.50:
	v_lshlrev_b32_e32 v44, 2, v28
	v_mov_b32_e32 v45, 0
	v_lshl_add_u64 v[44:45], s[52:53], 0, v[44:45]
	flat_load_dword v1, v[44:45]
.LBB760_51:
	s_or_b64 exec, exec, s[60:61]
	v_lshlrev_b32_e32 v2, 2, v0
	s_movk_i32 s60, 0x58
	v_mad_u32_u24 v72, v0, s60, v2
	s_movk_i32 s60, 0xffa8
	s_waitcnt vmcnt(0) lgkmcnt(0)
	ds_write2st64_b32 v2, v3, v4 offset1:4
	ds_write2st64_b32 v2, v5, v6 offset0:8 offset1:12
	ds_write2st64_b32 v2, v7, v8 offset0:16 offset1:20
	;; [unrolled: 1-line block ×10, first 2 shown]
	ds_write_b32 v2, v1 offset:22528
	s_waitcnt lgkmcnt(0)
	s_barrier
	ds_read2_b32 v[68:69], v72 offset1:1
	ds_read2_b32 v[66:67], v72 offset0:2 offset1:3
	ds_read2_b32 v[64:65], v72 offset0:4 offset1:5
	;; [unrolled: 1-line block ×6, first 2 shown]
	ds_read_b32 v1, v72 offset:88
	ds_read2_b32 v[60:61], v72 offset0:8 offset1:9
	ds_read2_b32 v[58:59], v72 offset0:10 offset1:11
	;; [unrolled: 1-line block ×4, first 2 shown]
	v_mad_i32_i24 v3, v0, s60, v72
	s_waitcnt lgkmcnt(4)
	ds_write_b32 v3, v1 offset:23552
	s_waitcnt lgkmcnt(0)
	s_barrier
	s_barrier
	s_waitcnt lgkmcnt(0)
                                        ; implicit-def: $vgpr29
	s_and_saveexec_b64 s[60:61], vcc
	s_cbranch_execz .LBB760_116
; %bb.52:
	v_mov_b32_e32 v3, 0
	v_lshl_add_u64 v[30:31], s[0:1], 0, v[2:3]
	flat_load_dword v29, v[30:31]
	s_or_b64 exec, exec, s[60:61]
                                        ; implicit-def: $vgpr30
	s_and_saveexec_b64 s[60:61], s[6:7]
	s_cbranch_execnz .LBB760_117
.LBB760_53:
	s_or_b64 exec, exec, s[60:61]
                                        ; implicit-def: $vgpr31
	s_and_saveexec_b64 s[6:7], s[8:9]
	s_cbranch_execz .LBB760_118
.LBB760_54:
	v_mov_b32_e32 v3, 0
	v_lshl_add_u64 v[32:33], s[0:1], 0, v[2:3]
	flat_load_dword v31, v[32:33] offset:2048
	s_or_b64 exec, exec, s[6:7]
                                        ; implicit-def: $vgpr3
	s_and_saveexec_b64 s[6:7], s[10:11]
	s_cbranch_execnz .LBB760_119
.LBB760_55:
	s_or_b64 exec, exec, s[6:7]
                                        ; implicit-def: $vgpr32
	s_and_saveexec_b64 s[6:7], s[12:13]
	s_cbranch_execz .LBB760_120
.LBB760_56:
	v_lshlrev_b32_e32 v32, 2, v10
	v_mov_b32_e32 v33, 0
	v_lshl_add_u64 v[32:33], s[0:1], 0, v[32:33]
	flat_load_dword v32, v[32:33]
	s_or_b64 exec, exec, s[6:7]
                                        ; implicit-def: $vgpr10
	s_and_saveexec_b64 s[6:7], s[14:15]
	s_cbranch_execnz .LBB760_121
.LBB760_57:
	s_or_b64 exec, exec, s[6:7]
                                        ; implicit-def: $vgpr11
	s_and_saveexec_b64 s[6:7], s[16:17]
	s_cbranch_execz .LBB760_122
.LBB760_58:
	v_lshlrev_b32_e32 v34, 2, v12
	v_mov_b32_e32 v35, 0
	v_lshl_add_u64 v[34:35], s[0:1], 0, v[34:35]
	flat_load_dword v11, v[34:35]
	s_or_b64 exec, exec, s[6:7]
                                        ; implicit-def: $vgpr12
	s_and_saveexec_b64 s[6:7], s[18:19]
	s_cbranch_execnz .LBB760_123
.LBB760_59:
	s_or_b64 exec, exec, s[6:7]
                                        ; implicit-def: $vgpr13
	s_and_saveexec_b64 s[6:7], s[20:21]
	s_cbranch_execz .LBB760_124
.LBB760_60:
	v_lshlrev_b32_e32 v34, 2, v14
	v_mov_b32_e32 v35, 0
	v_lshl_add_u64 v[34:35], s[0:1], 0, v[34:35]
	flat_load_dword v13, v[34:35]
	s_or_b64 exec, exec, s[6:7]
                                        ; implicit-def: $vgpr14
	s_and_saveexec_b64 s[6:7], s[22:23]
	s_cbranch_execnz .LBB760_125
.LBB760_61:
	s_or_b64 exec, exec, s[6:7]
                                        ; implicit-def: $vgpr15
	s_and_saveexec_b64 s[6:7], s[24:25]
	s_cbranch_execz .LBB760_126
.LBB760_62:
	v_lshlrev_b32_e32 v34, 2, v16
	v_mov_b32_e32 v35, 0
	v_lshl_add_u64 v[34:35], s[0:1], 0, v[34:35]
	flat_load_dword v15, v[34:35]
	s_or_b64 exec, exec, s[6:7]
                                        ; implicit-def: $vgpr16
	s_and_saveexec_b64 s[6:7], s[26:27]
	s_cbranch_execnz .LBB760_127
.LBB760_63:
	s_or_b64 exec, exec, s[6:7]
                                        ; implicit-def: $vgpr17
	s_and_saveexec_b64 s[6:7], s[28:29]
	s_cbranch_execz .LBB760_128
.LBB760_64:
	v_lshlrev_b32_e32 v34, 2, v18
	v_mov_b32_e32 v35, 0
	v_lshl_add_u64 v[34:35], s[0:1], 0, v[34:35]
	flat_load_dword v17, v[34:35]
	s_or_b64 exec, exec, s[6:7]
                                        ; implicit-def: $vgpr18
	s_and_saveexec_b64 s[6:7], s[30:31]
	s_cbranch_execnz .LBB760_129
.LBB760_65:
	s_or_b64 exec, exec, s[6:7]
                                        ; implicit-def: $vgpr19
	s_and_saveexec_b64 s[6:7], s[34:35]
	s_cbranch_execz .LBB760_130
.LBB760_66:
	v_lshlrev_b32_e32 v34, 2, v20
	v_mov_b32_e32 v35, 0
	v_lshl_add_u64 v[34:35], s[0:1], 0, v[34:35]
	flat_load_dword v19, v[34:35]
	s_or_b64 exec, exec, s[6:7]
                                        ; implicit-def: $vgpr20
	s_and_saveexec_b64 s[6:7], s[36:37]
	s_cbranch_execnz .LBB760_131
.LBB760_67:
	s_or_b64 exec, exec, s[6:7]
                                        ; implicit-def: $vgpr21
	s_and_saveexec_b64 s[6:7], s[38:39]
	s_cbranch_execz .LBB760_132
.LBB760_68:
	v_lshlrev_b32_e32 v34, 2, v22
	v_mov_b32_e32 v35, 0
	v_lshl_add_u64 v[34:35], s[0:1], 0, v[34:35]
	flat_load_dword v21, v[34:35]
	s_or_b64 exec, exec, s[6:7]
                                        ; implicit-def: $vgpr22
	s_and_saveexec_b64 s[6:7], s[40:41]
	s_cbranch_execnz .LBB760_133
.LBB760_69:
	s_or_b64 exec, exec, s[6:7]
                                        ; implicit-def: $vgpr23
	s_and_saveexec_b64 s[6:7], s[42:43]
	s_cbranch_execz .LBB760_134
.LBB760_70:
	v_lshlrev_b32_e32 v34, 2, v24
	v_mov_b32_e32 v35, 0
	v_lshl_add_u64 v[34:35], s[0:1], 0, v[34:35]
	flat_load_dword v23, v[34:35]
	s_or_b64 exec, exec, s[6:7]
                                        ; implicit-def: $vgpr24
	s_and_saveexec_b64 s[6:7], s[44:45]
	s_cbranch_execnz .LBB760_135
.LBB760_71:
	s_or_b64 exec, exec, s[6:7]
                                        ; implicit-def: $vgpr25
	s_and_saveexec_b64 s[6:7], s[46:47]
	s_cbranch_execz .LBB760_136
.LBB760_72:
	v_lshlrev_b32_e32 v34, 2, v26
	v_mov_b32_e32 v35, 0
	v_lshl_add_u64 v[34:35], s[0:1], 0, v[34:35]
	flat_load_dword v25, v[34:35]
	s_or_b64 exec, exec, s[6:7]
                                        ; implicit-def: $vgpr26
	s_and_saveexec_b64 s[6:7], s[48:49]
	s_cbranch_execz .LBB760_138
	s_branch .LBB760_137
.LBB760_73:
	s_mov_b64 s[10:11], 0
                                        ; implicit-def: $vgpr52_vgpr53
                                        ; implicit-def: $vgpr50_vgpr51
                                        ; implicit-def: $vgpr48_vgpr49
                                        ; implicit-def: $vgpr46_vgpr47
                                        ; implicit-def: $vgpr44_vgpr45
                                        ; implicit-def: $vgpr42_vgpr43
                                        ; implicit-def: $vgpr40_vgpr41
                                        ; implicit-def: $vgpr38_vgpr39
                                        ; implicit-def: $vgpr36_vgpr37
                                        ; implicit-def: $vgpr34_vgpr35
                                        ; implicit-def: $vgpr32_vgpr33
                                        ; implicit-def: $vgpr30_vgpr31
                                        ; implicit-def: $vgpr28_vgpr29
                                        ; implicit-def: $vgpr26_vgpr27
                                        ; implicit-def: $vgpr24_vgpr25
                                        ; implicit-def: $vgpr22_vgpr23
                                        ; implicit-def: $vgpr20_vgpr21
                                        ; implicit-def: $vgpr18_vgpr19
                                        ; implicit-def: $vgpr16_vgpr17
                                        ; implicit-def: $vgpr14_vgpr15
                                        ; implicit-def: $vgpr12_vgpr13
                                        ; implicit-def: $vgpr10_vgpr11
                                        ; implicit-def: $vgpr1
                                        ; implicit-def: $vgpr3
                                        ; implicit-def: $sgpr8_sgpr9
	s_and_b64 vcc, exec, s[6:7]
	v_lshlrev_b32_e32 v54, 2, v0
	s_cbranch_vccz .LBB760_75
.LBB760_74:
	v_mov_b32_e32 v55, 0
	v_lshl_add_u64 v[2:3], s[52:53], 0, v[54:55]
	v_add_co_u32_e32 v4, vcc, 0x1000, v2
	s_movk_i32 s6, 0x1000
	s_nop 0
	v_addc_co_u32_e32 v5, vcc, 0, v3, vcc
	flat_load_dword v1, v[2:3]
	flat_load_dword v8, v[2:3] offset:1024
	flat_load_dword v9, v[2:3] offset:2048
	s_waitcnt lgkmcnt(0)
	flat_load_dword v10, v[2:3] offset:3072
	flat_load_dword v11, v[4:5]
	flat_load_dword v12, v[4:5] offset:1024
	flat_load_dword v13, v[4:5] offset:2048
	;; [unrolled: 1-line block ×3, first 2 shown]
	v_add_co_u32_e32 v4, vcc, 0x2000, v2
	s_movk_i32 s13, 0x58
	s_nop 0
	v_addc_co_u32_e32 v5, vcc, 0, v3, vcc
	v_add_co_u32_e32 v6, vcc, 0x3000, v2
	s_movk_i32 s14, 0xffa8
	s_nop 0
	v_addc_co_u32_e32 v7, vcc, 0, v3, vcc
	flat_load_dword v15, v[4:5]
	flat_load_dword v16, v[4:5] offset:1024
	flat_load_dword v17, v[4:5] offset:2048
	;; [unrolled: 1-line block ×3, first 2 shown]
	flat_load_dword v19, v[6:7]
	flat_load_dword v20, v[6:7] offset:1024
	flat_load_dword v21, v[6:7] offset:2048
	;; [unrolled: 1-line block ×3, first 2 shown]
	v_add_co_u32_e32 v4, vcc, 0x4000, v2
	v_mad_u32_u24 v28, v0, s13, v54
	s_nop 0
	v_addc_co_u32_e32 v5, vcc, 0, v3, vcc
	v_add_co_u32_e32 v2, vcc, 0x5000, v2
	s_movk_i32 s7, 0x2000
	s_nop 0
	v_addc_co_u32_e32 v3, vcc, 0, v3, vcc
	flat_load_dword v6, v[4:5]
	flat_load_dword v7, v[4:5] offset:1024
	flat_load_dword v23, v[4:5] offset:2048
	flat_load_dword v24, v[4:5] offset:3072
	flat_load_dword v25, v[2:3]
	flat_load_dword v26, v[2:3] offset:1024
	flat_load_dword v27, v[2:3] offset:2048
	v_lshl_add_u64 v[2:3], s[0:1], 0, v[54:55]
	v_mad_i32_i24 v29, v0, s14, v28
	s_movk_i32 s8, 0x3000
	s_movk_i32 s9, 0x4000
	;; [unrolled: 1-line block ×3, first 2 shown]
	s_or_b64 s[10:11], s[10:11], exec
	s_waitcnt vmcnt(0)
	ds_write2st64_b32 v54, v1, v8 offset1:4
	s_waitcnt lgkmcnt(0)
	ds_write2st64_b32 v54, v9, v10 offset0:8 offset1:12
	ds_write2st64_b32 v54, v11, v12 offset0:16 offset1:20
	ds_write2st64_b32 v54, v13, v14 offset0:24 offset1:28
	ds_write2st64_b32 v54, v15, v16 offset0:32 offset1:36
	ds_write2st64_b32 v54, v17, v18 offset0:40 offset1:44
	ds_write2st64_b32 v54, v19, v20 offset0:48 offset1:52
	ds_write2st64_b32 v54, v21, v22 offset0:56 offset1:60
	ds_write2st64_b32 v54, v6, v7 offset0:64 offset1:68
	ds_write2st64_b32 v54, v23, v24 offset0:72 offset1:76
	ds_write2st64_b32 v54, v25, v26 offset0:80 offset1:84
	ds_write_b32 v54, v27 offset:22528
	v_add_co_u32_e32 v10, vcc, s6, v2
	s_waitcnt lgkmcnt(0)
	s_nop 0
	v_addc_co_u32_e32 v11, vcc, 0, v3, vcc
	s_barrier
	ds_read_b32 v1, v28 offset:88
	ds_read2_b32 v[4:5], v28 offset1:1
	ds_read2_b32 v[6:7], v28 offset0:2 offset1:3
	ds_read2_b32 v[8:9], v28 offset0:4 offset1:5
	;; [unrolled: 1-line block ×10, first 2 shown]
	s_waitcnt lgkmcnt(11)
	ds_write_b32 v29, v1 offset:23552
	s_waitcnt lgkmcnt(0)
	s_barrier
	s_barrier
	flat_load_dword v14, v[2:3]
	flat_load_dword v16, v[2:3] offset:1024
	flat_load_dword v18, v[2:3] offset:2048
	;; [unrolled: 1-line block ×3, first 2 shown]
	flat_load_dword v24, v[10:11]
	flat_load_dword v32, v[10:11] offset:1024
	flat_load_dword v36, v[10:11] offset:2048
	;; [unrolled: 1-line block ×3, first 2 shown]
	v_add_co_u32_e32 v10, vcc, s7, v2
	s_nop 1
	v_addc_co_u32_e32 v11, vcc, 0, v3, vcc
	v_add_co_u32_e32 v12, vcc, s8, v2
	s_nop 1
	v_addc_co_u32_e32 v13, vcc, 0, v3, vcc
	flat_load_dword v44, v[10:11]
	flat_load_dword v48, v[10:11] offset:1024
	flat_load_dword v52, v[10:11] offset:2048
	;; [unrolled: 1-line block ×3, first 2 shown]
	flat_load_dword v55, v[12:13]
	flat_load_dword v56, v[12:13] offset:1024
	flat_load_dword v57, v[12:13] offset:2048
	;; [unrolled: 1-line block ×3, first 2 shown]
	v_add_co_u32_e32 v10, vcc, s9, v2
                                        ; implicit-def: $sgpr8_sgpr9
	s_nop 1
	v_addc_co_u32_e32 v11, vcc, 0, v3, vcc
	v_add_co_u32_e32 v2, vcc, s12, v2
	s_nop 1
	v_addc_co_u32_e32 v3, vcc, 0, v3, vcc
	flat_load_dword v12, v[10:11]
	flat_load_dword v59, v[10:11] offset:1024
	flat_load_dword v60, v[10:11] offset:2048
	;; [unrolled: 1-line block ×3, first 2 shown]
	flat_load_dword v62, v[2:3]
	flat_load_dword v63, v[2:3] offset:1024
	flat_load_dword v64, v[2:3] offset:2048
	v_cmp_ne_u32_e32 vcc, 0, v5
	s_waitcnt vmcnt(0) lgkmcnt(0)
	ds_write2st64_b32 v54, v14, v16 offset1:4
	ds_write2st64_b32 v54, v18, v20 offset0:8 offset1:12
	ds_write2st64_b32 v54, v24, v32 offset0:16 offset1:20
	;; [unrolled: 1-line block ×10, first 2 shown]
	ds_write_b32 v54, v64 offset:22528
	v_cndmask_b32_e64 v13, 0, 1, vcc
	v_cmp_ne_u32_e32 vcc, 0, v4
	s_waitcnt lgkmcnt(0)
	s_barrier
	v_cndmask_b32_e64 v11, 0, 1, vcc
	v_cmp_ne_u32_e32 vcc, 0, v7
	s_nop 1
	v_cndmask_b32_e64 v17, 0, 1, vcc
	v_cmp_ne_u32_e32 vcc, 0, v6
	s_nop 1
	;; [unrolled: 3-line block ×3, first 2 shown]
	v_cndmask_b32_e64 v21, 0, 1, vcc
	v_cmp_ne_u32_e32 vcc, 0, v8
	ds_read2_b32 v[4:5], v28 offset1:1
	ds_read2_b32 v[6:7], v28 offset0:2 offset1:3
	ds_read2_b32 v[8:9], v28 offset0:4 offset1:5
	;; [unrolled: 1-line block ×10, first 2 shown]
	ds_read_b32 v3, v28 offset:88
	v_cndmask_b32_e64 v19, 0, 1, vcc
	v_cmp_ne_u32_e32 vcc, 0, v23
	s_waitcnt lgkmcnt(8)
	v_mov_b32_e32 v24, v53
	v_mov_b32_e32 v10, v4
	v_cndmask_b32_e64 v25, 0, 1, vcc
	v_cmp_ne_u32_e32 vcc, 0, v22
	v_mov_b32_e32 v12, v5
	v_mov_b32_e32 v14, v6
	v_cndmask_b32_e64 v23, 0, 1, vcc
	v_cmp_ne_u32_e32 vcc, 0, v27
	;; [unrolled: 4-line block ×4, first 2 shown]
	s_waitcnt lgkmcnt(7)
	v_mov_b32_e32 v26, v56
	v_mov_b32_e32 v28, v57
	v_cndmask_b32_e64 v33, 0, 1, vcc
	v_cmp_ne_u32_e32 vcc, 0, v30
	s_waitcnt lgkmcnt(6)
	v_mov_b32_e32 v30, v58
	v_mov_b32_e32 v32, v59
	v_cndmask_b32_e64 v31, 0, 1, vcc
	v_cmp_ne_u32_e32 vcc, 0, v35
	s_waitcnt lgkmcnt(5)
	v_mov_b32_e32 v36, v61
	s_waitcnt lgkmcnt(4)
	v_mov_b32_e32 v40, v63
	v_cndmask_b32_e64 v37, 0, 1, vcc
	v_cmp_ne_u32_e32 vcc, 0, v34
	v_mov_b32_e32 v34, v60
	s_waitcnt lgkmcnt(3)
	v_mov_b32_e32 v44, v65
	v_cndmask_b32_e64 v35, 0, 1, vcc
	v_cmp_ne_u32_e32 vcc, 0, v39
	s_waitcnt lgkmcnt(2)
	v_mov_b32_e32 v48, v67
	s_waitcnt lgkmcnt(1)
	v_mov_b32_e32 v52, v69
	v_cndmask_b32_e64 v41, 0, 1, vcc
	v_cmp_ne_u32_e32 vcc, 0, v38
	v_mov_b32_e32 v38, v62
	s_nop 0
	v_cndmask_b32_e64 v39, 0, 1, vcc
	v_cmp_ne_u32_e32 vcc, 0, v43
	s_nop 1
	v_cndmask_b32_e64 v45, 0, 1, vcc
	v_cmp_ne_u32_e32 vcc, 0, v42
	v_mov_b32_e32 v42, v64
	s_nop 0
	v_cndmask_b32_e64 v43, 0, 1, vcc
	v_cmp_ne_u32_e32 vcc, 0, v47
	s_nop 1
	v_cndmask_b32_e64 v49, 0, 1, vcc
	v_cmp_ne_u32_e32 vcc, 0, v46
	v_mov_b32_e32 v46, v66
	s_nop 0
	v_cndmask_b32_e64 v47, 0, 1, vcc
	v_cmp_ne_u32_e32 vcc, 0, v51
	s_nop 1
	v_cndmask_b32_e64 v53, 0, 1, vcc
	v_cmp_ne_u32_e32 vcc, 0, v50
	v_mov_b32_e32 v50, v68
	s_nop 0
	v_cndmask_b32_e64 v51, 0, 1, vcc
.LBB760_75:
	v_mov_b64_e32 v[56:57], s[8:9]
	s_and_saveexec_b64 s[0:1], s[10:11]
	s_cbranch_execz .LBB760_77
; %bb.76:
	v_cmp_ne_u32_e32 vcc, 0, v1
	s_waitcnt lgkmcnt(0)
	v_mov_b32_e32 v56, v3
	v_cndmask_b32_e64 v57, 0, 1, vcc
.LBB760_77:
	s_or_b64 exec, exec, s[0:1]
	s_mov_b32 s0, 0
	s_cmp_lg_u32 s67, 0
	v_or_b32_e32 v55, v57, v53
	v_lshrrev_b32_e32 v1, 5, v0
	v_cmp_gt_u32_e32 vcc, 64, v0
	s_waitcnt lgkmcnt(0)
	s_barrier
	s_cbranch_scc0 .LBB760_185
; %bb.78:
	s_mov_b32 s1, 1
	v_cmp_gt_u64_e64 s[6:7], s[0:1], v[12:13]
	v_cmp_gt_u64_e64 s[8:9], s[0:1], v[14:15]
	v_cmp_gt_u64_e64 s[10:11], s[0:1], v[16:17]
	v_cndmask_b32_e64 v2, 0, v10, s[6:7]
	v_add_u32_e32 v2, v2, v12
	v_cndmask_b32_e64 v2, 0, v2, s[8:9]
	v_add_u32_e32 v2, v2, v14
	v_cndmask_b32_e64 v2, 0, v2, s[10:11]
	v_add_u32_e32 v2, v2, v16
	v_cmp_gt_u64_e64 s[12:13], s[0:1], v[18:19]
	v_cmp_gt_u64_e64 s[14:15], s[0:1], v[20:21]
	v_cmp_gt_u64_e64 s[16:17], s[0:1], v[22:23]
	v_cndmask_b32_e64 v2, 0, v2, s[12:13]
	v_add_u32_e32 v2, v2, v18
	v_cndmask_b32_e64 v2, 0, v2, s[14:15]
	v_add_u32_e32 v2, v2, v20
	v_cndmask_b32_e64 v2, 0, v2, s[16:17]
	v_add_u32_e32 v2, v2, v22
	;; [unrolled: 9-line block ×7, first 2 shown]
	v_cmp_gt_u64_e64 s[50:51], s[0:1], v[56:57]
	s_nop 1
	v_cndmask_b32_e64 v2, 0, v2, s[50:51]
	v_add_u32_e32 v62, v2, v56
	v_or3_b32 v2, v55, v51, v49
	v_or3_b32 v2, v2, v47, v45
	v_or3_b32 v2, v2, v43, v41
	v_or3_b32 v2, v2, v39, v37
	v_or3_b32 v2, v2, v35, v33
	v_or3_b32 v2, v2, v31, v29
	v_or3_b32 v2, v2, v27, v25
	v_or3_b32 v2, v2, v23, v21
	v_or3_b32 v2, v2, v19, v17
	v_or3_b32 v2, v2, v15, v13
	v_and_b32_e32 v2, 1, v2
	v_cmp_eq_u32_e64 s[0:1], 1, v2
	v_add_lshl_u32 v2, v1, v0, 3
	s_nop 0
	v_cndmask_b32_e64 v63, v11, 1, s[0:1]
	ds_write_b32 v2, v62
	ds_write_b8 v2, v63 offset:4
	s_waitcnt lgkmcnt(0)
	s_barrier
	s_and_saveexec_b64 s[52:53], vcc
	s_cbranch_execz .LBB760_90
; %bb.79:
	v_lshrrev_b32_e32 v2, 3, v0
	v_add_lshl_u32 v4, v2, v54, 3
	ds_read2_b32 v[6:7], v4 offset0:2 offset1:4
	ds_read_b64 v[2:3], v4
	ds_read_u8 v8, v4 offset:12
	ds_read_u8 v9, v4 offset:20
	ds_read_b32 v58, v4 offset:24
	ds_read_u8 v59, v4 offset:28
	v_mov_b32_e32 v60, 0
	s_waitcnt lgkmcnt(3)
	v_cmp_eq_u16_sdwa s[0:1], v8, v60 src0_sel:BYTE_0 src1_sel:DWORD
	v_and_b32_e32 v5, 1, v3
	s_nop 0
	v_cndmask_b32_e64 v61, 0, v2, s[0:1]
	v_add_u32_e32 v6, v61, v6
	s_waitcnt lgkmcnt(2)
	v_cmp_eq_u16_sdwa s[0:1], v9, v60 src0_sel:BYTE_0 src1_sel:DWORD
	s_nop 1
	v_cndmask_b32_e64 v6, 0, v6, s[0:1]
	v_add_u32_e32 v6, v6, v7
	s_waitcnt lgkmcnt(0)
	v_cmp_eq_u16_e64 s[0:1], 0, v59
	s_nop 1
	v_cndmask_b32_e64 v6, 0, v6, s[0:1]
	v_add_u32_e32 v7, v6, v58
	v_or_b32_e32 v6, v59, v9
	v_or_b32_e32 v6, v6, v8
	v_and_b32_e32 v6, 1, v6
	v_cmp_eq_u32_e64 s[0:1], 1, v6
	v_mbcnt_lo_u32_b32 v8, -1, 0
	v_and_b32_e32 v6, 0xffffff00, v3
	v_cndmask_b32_e64 v9, v5, 1, s[0:1]
	v_mbcnt_hi_u32_b32 v8, -1, v8
	v_and_b32_e32 v59, 15, v8
	v_or_b32_sdwa v58, v6, v9 dst_sel:DWORD dst_unused:UNUSED_PAD src0_sel:DWORD src1_sel:WORD_0
	v_mov_b32_dpp v60, v7 row_shr:1 row_mask:0xf bank_mask:0xf
	v_cmp_ne_u32_e64 s[0:1], 0, v59
	v_mov_b32_dpp v61, v58 row_shr:1 row_mask:0xf bank_mask:0xf
	s_and_saveexec_b64 s[60:61], s[0:1]
; %bb.80:
	v_and_b32_e32 v58, 1, v9
	v_and_b32_e32 v61, 1, v61
	v_cmp_eq_u32_e64 s[0:1], 1, v58
	s_nop 1
	v_cndmask_b32_e64 v61, v61, 1, s[0:1]
	v_cmp_eq_u16_e64 s[0:1], 0, v9
	v_or_b32_sdwa v58, v6, v61 dst_sel:DWORD dst_unused:UNUSED_PAD src0_sel:DWORD src1_sel:WORD_0
	s_nop 0
	v_cndmask_b32_e64 v9, 0, v60, s[0:1]
	v_add_u32_e32 v7, v9, v7
	v_mov_b32_e32 v9, v61
; %bb.81:
	s_or_b64 exec, exec, s[60:61]
	v_mov_b32_dpp v60, v7 row_shr:2 row_mask:0xf bank_mask:0xf
	v_mov_b32_dpp v61, v58 row_shr:2 row_mask:0xf bank_mask:0xf
	v_cmp_lt_u32_e64 s[0:1], 1, v59
	s_and_saveexec_b64 s[60:61], s[0:1]
; %bb.82:
	v_and_b32_e32 v58, 1, v9
	v_and_b32_e32 v61, 1, v61
	v_cmp_eq_u32_e64 s[0:1], 1, v58
	s_nop 1
	v_cndmask_b32_e64 v61, v61, 1, s[0:1]
	v_cmp_eq_u16_e64 s[0:1], 0, v9
	v_or_b32_sdwa v58, v6, v61 dst_sel:DWORD dst_unused:UNUSED_PAD src0_sel:DWORD src1_sel:WORD_0
	s_nop 0
	v_cndmask_b32_e64 v9, 0, v60, s[0:1]
	v_add_u32_e32 v7, v9, v7
	v_mov_b32_e32 v9, v61
; %bb.83:
	s_or_b64 exec, exec, s[60:61]
	v_mov_b32_dpp v60, v7 row_shr:4 row_mask:0xf bank_mask:0xf
	v_mov_b32_dpp v61, v58 row_shr:4 row_mask:0xf bank_mask:0xf
	v_cmp_lt_u32_e64 s[0:1], 3, v59
	;; [unrolled: 18-line block ×3, first 2 shown]
	s_and_saveexec_b64 s[60:61], s[0:1]
; %bb.86:
	v_and_b32_e32 v58, 1, v9
	v_and_b32_e32 v59, 1, v61
	v_cmp_eq_u32_e64 s[0:1], 1, v58
	s_nop 1
	v_cndmask_b32_e64 v59, v59, 1, s[0:1]
	v_cmp_eq_u16_e64 s[0:1], 0, v9
	v_or_b32_sdwa v58, v6, v59 dst_sel:DWORD dst_unused:UNUSED_PAD src0_sel:DWORD src1_sel:WORD_0
	s_nop 0
	v_cndmask_b32_e64 v9, 0, v60, s[0:1]
	v_add_u32_e32 v7, v9, v7
	v_mov_b32_e32 v9, v59
; %bb.87:
	s_or_b64 exec, exec, s[60:61]
	v_and_b32_e32 v61, 16, v8
	v_mov_b32_dpp v59, v7 row_bcast:15 row_mask:0xf bank_mask:0xf
	v_mov_b32_dpp v60, v58 row_bcast:15 row_mask:0xf bank_mask:0xf
	v_cmp_ne_u32_e64 s[0:1], 0, v61
	s_and_saveexec_b64 s[60:61], s[0:1]
; %bb.88:
	v_and_b32_e32 v58, 1, v9
	v_and_b32_e32 v60, 1, v60
	v_cmp_eq_u32_e64 s[0:1], 1, v58
	s_nop 1
	v_cndmask_b32_e64 v60, v60, 1, s[0:1]
	v_cmp_eq_u16_e64 s[0:1], 0, v9
	v_or_b32_sdwa v58, v6, v60 dst_sel:DWORD dst_unused:UNUSED_PAD src0_sel:DWORD src1_sel:WORD_0
	s_nop 0
	v_cndmask_b32_e64 v9, 0, v59, s[0:1]
	v_add_u32_e32 v7, v9, v7
	v_mov_b32_e32 v9, v60
; %bb.89:
	s_or_b64 exec, exec, s[60:61]
	v_mov_b32_dpp v58, v58 row_bcast:31 row_mask:0xf bank_mask:0xf
	v_and_b32_e32 v60, 1, v9
	v_and_b32_e32 v58, 1, v58
	v_cmp_eq_u32_e64 s[0:1], 1, v60
	v_mov_b32_e32 v60, 0
	v_cmp_eq_u16_sdwa s[60:61], v9, v60 src0_sel:BYTE_0 src1_sel:DWORD
	v_cndmask_b32_e64 v58, v58, 1, s[0:1]
	v_cmp_lt_u32_e64 s[0:1], 31, v8
	v_mov_b32_dpp v59, v7 row_bcast:31 row_mask:0xf bank_mask:0xf
	s_movk_i32 s68, 0xff
	v_cndmask_b32_e64 v9, v9, v58, s[0:1]
	s_and_b64 s[0:1], s[0:1], s[60:61]
	v_cndmask_b32_e64 v58, 0, v59, s[0:1]
	v_add_u32_e32 v7, v58, v7
	v_add_u32_e32 v58, -1, v8
	v_and_b32_e32 v59, 64, v8
	v_cmp_lt_i32_e64 s[0:1], v58, v59
	v_and_or_b32 v6, v9, s68, v6
	s_nop 0
	v_cndmask_b32_e64 v8, v58, v8, s[0:1]
	v_lshlrev_b32_e32 v8, 2, v8
	ds_bpermute_b32 v7, v8, v7
	ds_bpermute_b32 v6, v8, v6
	v_cmp_eq_u16_sdwa s[0:1], v3, v60 src0_sel:BYTE_0 src1_sel:DWORD
	; wave barrier
	s_waitcnt lgkmcnt(1)
	s_nop 0
	v_cndmask_b32_e64 v3, 0, v7, s[0:1]
	v_add_u32_e32 v2, v3, v2
	s_waitcnt lgkmcnt(0)
	v_and_b32_e32 v3, 1, v6
	v_cmp_eq_u32_e64 s[0:1], 1, v5
	v_cndmask_b32_e64 v5, v2, v62, s[54:55]
	s_nop 0
	v_cndmask_b32_e64 v3, v3, 1, s[0:1]
	v_cndmask_b32_e64 v6, v3, v63, s[54:55]
	ds_write_b32 v4, v5
	ds_write_b8 v4, v6 offset:4
	; wave barrier
	ds_read_u8 v7, v4 offset:12
	ds_read2_b32 v[2:3], v4 offset0:2 offset1:4
	ds_read_u8 v8, v4 offset:20
	ds_read_b32 v9, v4 offset:24
	ds_read_u8 v58, v4 offset:28
	s_waitcnt lgkmcnt(4)
	v_cmp_eq_u16_e64 s[0:1], 0, v7
	s_nop 1
	v_cndmask_b32_e64 v5, 0, v5, s[0:1]
	s_waitcnt lgkmcnt(3)
	v_add_u32_e32 v2, v5, v2
	v_and_b32_e32 v5, 1, v7
	v_cmp_eq_u32_e64 s[0:1], 1, v5
	s_nop 1
	v_cndmask_b32_e64 v5, v6, 1, s[0:1]
	s_waitcnt lgkmcnt(2)
	v_cmp_eq_u16_e64 s[0:1], 0, v8
	ds_write_b8 v4, v5 offset:12
	s_nop 0
	v_cndmask_b32_e64 v6, 0, v2, s[0:1]
	v_add_u32_e32 v3, v6, v3
	v_and_b32_e32 v6, 1, v8
	v_cmp_eq_u32_e64 s[0:1], 1, v6
	s_nop 1
	v_cndmask_b32_e64 v5, v5, 1, s[0:1]
	s_waitcnt lgkmcnt(1)
	v_cmp_eq_u16_e64 s[0:1], 0, v58
	ds_write2_b32 v4, v2, v3 offset0:2 offset1:4
	ds_write_b8 v4, v5 offset:20
	v_cndmask_b32_e64 v2, 0, v3, s[0:1]
	v_and_b32_e32 v3, 1, v58
	v_add_u32_e32 v2, v2, v9
	v_cmp_eq_u32_e64 s[0:1], 1, v3
	s_nop 1
	v_cndmask_b32_e64 v3, v5, 1, s[0:1]
	ds_write_b32 v4, v2 offset:24
	ds_write_b8 v4, v3 offset:28
.LBB760_90:
	s_or_b64 exec, exec, s[52:53]
	s_waitcnt lgkmcnt(0)
	s_barrier
	s_and_saveexec_b64 s[0:1], s[4:5]
	s_cbranch_execz .LBB760_92
; %bb.91:
	v_add_u32_e32 v2, -1, v0
	v_lshrrev_b32_e32 v3, 5, v2
	v_add_lshl_u32 v2, v3, v2, 3
	ds_read_b32 v62, v2
	ds_read_u8 v63, v2 offset:4
.LBB760_92:
	s_or_b64 exec, exec, s[0:1]
	s_and_saveexec_b64 s[60:61], vcc
	s_cbranch_execz .LBB760_115
; %bb.93:
	v_mov_b32_e32 v5, 0
	ds_read_b64 v[2:3], v5 offset:2096
	v_mbcnt_lo_u32_b32 v4, -1, 0
	v_mbcnt_hi_u32_b32 v73, -1, v4
	s_mov_b32 s69, 0
	v_cmp_eq_u32_e64 s[52:53], 0, v73
	s_waitcnt lgkmcnt(0)
	v_readfirstlane_b32 s76, v3
	s_and_saveexec_b64 s[0:1], s[52:53]
	s_cbranch_execz .LBB760_95
; %bb.94:
	s_add_i32 s68, s67, 64
	s_lshl_b64 s[74:75], s[68:69], 4
	s_add_u32 s74, s64, s74
	s_addc_u32 s75, s65, s75
	s_and_b32 s79, s76, 0xff000000
	s_mov_b32 s78, s69
	s_and_b32 s81, s76, 0xff0000
	s_mov_b32 s80, s69
	s_or_b64 s[78:79], s[80:81], s[78:79]
	s_and_b32 s81, s76, 0xff00
	s_or_b64 s[78:79], s[78:79], s[80:81]
	s_and_b32 s81, s76, 0xff
	s_or_b64 s[68:69], s[78:79], s[80:81]
	v_mov_b32_e32 v3, s69
	v_mov_b32_e32 v4, 1
	v_mov_b64_e32 v[6:7], s[74:75]
	;;#ASMSTART
	global_store_dwordx4 v[6:7], v[2:5] off sc1	
s_waitcnt vmcnt(0)
	;;#ASMEND
.LBB760_95:
	s_or_b64 exec, exec, s[0:1]
	v_xad_u32 v58, v73, -1, s67
	v_add_u32_e32 v4, 64, v58
	v_lshl_add_u64 v[60:61], v[4:5], 4, s[64:65]
	;;#ASMSTART
	global_load_dwordx4 v[6:9], v[60:61] off sc1	
s_waitcnt vmcnt(0)
	;;#ASMEND
	s_nop 0
	v_and_b32_e32 v3, 0xff0000, v6
	v_and_b32_e32 v4, 0xff000000, v6
	;; [unrolled: 1-line block ×3, first 2 shown]
	v_or_b32_sdwa v3, v6, v3 dst_sel:DWORD dst_unused:UNUSED_PAD src0_sel:WORD_0 src1_sel:DWORD
	v_or3_b32 v7, 0, 0, v7
	v_or3_b32 v6, v3, v4, 0
	v_cmp_eq_u16_sdwa s[68:69], v8, v5 src0_sel:BYTE_0 src1_sel:DWORD
	s_and_saveexec_b64 s[0:1], s[68:69]
	s_cbranch_execz .LBB760_101
; %bb.96:
	s_mov_b32 s74, 1
	s_mov_b64 s[68:69], 0
	v_mov_b32_e32 v3, 0
.LBB760_97:                             ; =>This Loop Header: Depth=1
                                        ;     Child Loop BB760_98 Depth 2
	s_max_u32 s75, s74, 1
.LBB760_98:                             ;   Parent Loop BB760_97 Depth=1
                                        ; =>  This Inner Loop Header: Depth=2
	s_add_i32 s75, s75, -1
	s_cmp_eq_u32 s75, 0
	s_sleep 1
	s_cbranch_scc0 .LBB760_98
; %bb.99:                               ;   in Loop: Header=BB760_97 Depth=1
	s_cmp_lt_u32 s74, 32
	s_cselect_b64 s[78:79], -1, 0
	s_cmp_lg_u64 s[78:79], 0
	s_addc_u32 s74, s74, 0
	;;#ASMSTART
	global_load_dwordx4 v[6:9], v[60:61] off sc1	
s_waitcnt vmcnt(0)
	;;#ASMEND
	s_nop 0
	v_cmp_ne_u16_sdwa s[78:79], v8, v3 src0_sel:BYTE_0 src1_sel:DWORD
	s_or_b64 s[68:69], s[78:79], s[68:69]
	s_andn2_b64 exec, exec, s[68:69]
	s_cbranch_execnz .LBB760_97
; %bb.100:
	s_or_b64 exec, exec, s[68:69]
	v_and_b32_e32 v7, 0xff, v7
.LBB760_101:
	s_or_b64 exec, exec, s[0:1]
	v_mov_b32_e32 v3, 2
	v_cmp_eq_u16_sdwa s[0:1], v8, v3 src0_sel:BYTE_0 src1_sel:DWORD
	v_lshlrev_b64 v[4:5], v73, -1
	v_and_b32_e32 v64, 63, v73
	v_and_b32_e32 v9, s1, v5
	v_or_b32_e32 v9, 0x80000000, v9
	v_and_b32_e32 v59, s0, v4
	v_ffbl_b32_e32 v9, v9
	v_add_u32_e32 v9, 32, v9
	v_ffbl_b32_e32 v59, v59
	v_cmp_ne_u32_e32 vcc, 63, v64
	v_min_u32_e32 v9, v59, v9
	s_mov_b32 s68, 0
	v_addc_co_u32_e32 v59, vcc, 0, v73, vcc
	v_lshlrev_b32_e32 v65, 2, v59
	ds_bpermute_b32 v59, v65, v7
	ds_bpermute_b32 v60, v65, v6
	v_and_b32_e32 v61, 1, v7
	s_mov_b32 s69, 1
	v_cmp_eq_u32_e32 vcc, 1, v61
	s_waitcnt lgkmcnt(1)
	v_and_b32_e32 v59, 1, v59
	v_cmp_lt_u32_e64 s[0:1], v64, v9
	v_cndmask_b32_e64 v59, v59, 1, vcc
	v_cmp_gt_u64_e32 vcc, s[68:69], v[6:7]
	s_and_b64 vcc, s[0:1], vcc
	v_and_b32_e32 v61, 0xffff, v59
	v_cndmask_b32_e64 v68, v7, v59, s[0:1]
	s_waitcnt lgkmcnt(0)
	v_cndmask_b32_e32 v59, 0, v60, vcc
	v_cmp_gt_u32_e32 vcc, 62, v64
	v_cndmask_b32_e64 v7, v7, v61, s[0:1]
	v_add_u32_e32 v6, v59, v6
	v_cndmask_b32_e64 v60, 0, 1, vcc
	v_lshlrev_b32_e32 v60, 1, v60
	v_add_lshl_u32 v66, v60, v73, 2
	ds_bpermute_b32 v60, v66, v7
	ds_bpermute_b32 v61, v66, v6
	v_and_b32_e32 v59, 1, v68
	v_cmp_eq_u32_e32 vcc, 1, v59
	v_mov_b32_e32 v59, 0
	s_waitcnt lgkmcnt(1)
	v_and_b32_e32 v60, 1, v60
	v_add_u32_e32 v67, 2, v64
	v_cndmask_b32_e64 v60, v60, 1, vcc
	v_cmp_eq_u16_sdwa vcc, v68, v59 src0_sel:BYTE_0 src1_sel:DWORD
	v_and_b32_e32 v69, 0xffff, v60
	v_add_u32_e32 v77, 32, v64
	s_waitcnt lgkmcnt(0)
	v_cndmask_b32_e32 v61, 0, v61, vcc
	v_cmp_gt_u32_e32 vcc, v67, v9
	s_nop 1
	v_cndmask_b32_e32 v60, v60, v68, vcc
	v_cndmask_b32_e64 v61, v61, 0, vcc
	v_cndmask_b32_e32 v7, v69, v7, vcc
	v_cmp_gt_u32_e32 vcc, 60, v64
	v_add_u32_e32 v6, v61, v6
	v_and_b32_e32 v71, 1, v60
	v_cndmask_b32_e64 v68, 0, 1, vcc
	v_lshlrev_b32_e32 v68, 2, v68
	v_add_lshl_u32 v68, v68, v73, 2
	ds_bpermute_b32 v70, v68, v7
	ds_bpermute_b32 v61, v68, v6
	v_cmp_eq_u32_e32 vcc, 1, v71
	v_add_u32_e32 v69, 4, v64
	s_waitcnt lgkmcnt(1)
	v_and_b32_e32 v70, 1, v70
	v_cndmask_b32_e64 v70, v70, 1, vcc
	v_cmp_eq_u16_sdwa vcc, v60, v59 src0_sel:BYTE_0 src1_sel:DWORD
	v_and_b32_e32 v71, 0xffff, v70
	s_waitcnt lgkmcnt(0)
	v_cndmask_b32_e32 v61, 0, v61, vcc
	v_cmp_gt_u32_e32 vcc, v69, v9
	s_nop 1
	v_cndmask_b32_e32 v60, v70, v60, vcc
	v_cndmask_b32_e64 v61, v61, 0, vcc
	v_cndmask_b32_e32 v7, v71, v7, vcc
	v_cmp_gt_u32_e32 vcc, 56, v64
	v_add_u32_e32 v6, v61, v6
	v_and_b32_e32 v74, 1, v60
	v_cndmask_b32_e64 v70, 0, 1, vcc
	v_lshlrev_b32_e32 v70, 3, v70
	v_add_lshl_u32 v70, v70, v73, 2
	ds_bpermute_b32 v72, v70, v7
	ds_bpermute_b32 v61, v70, v6
	v_cmp_eq_u32_e32 vcc, 1, v74
	v_add_u32_e32 v71, 8, v64
	s_waitcnt lgkmcnt(1)
	v_and_b32_e32 v72, 1, v72
	v_cndmask_b32_e64 v72, v72, 1, vcc
	v_cmp_eq_u16_sdwa vcc, v60, v59 src0_sel:BYTE_0 src1_sel:DWORD
	v_and_b32_e32 v74, 0xffff, v72
	;; [unrolled: 22-line block ×3, first 2 shown]
	s_waitcnt lgkmcnt(0)
	v_cndmask_b32_e32 v61, 0, v61, vcc
	v_cmp_gt_u32_e32 vcc, v74, v9
	s_nop 1
	v_cndmask_b32_e32 v60, v75, v60, vcc
	v_cndmask_b32_e64 v61, v61, 0, vcc
	v_cndmask_b32_e32 v7, v76, v7, vcc
	v_cmp_gt_u32_e32 vcc, 32, v64
	v_add_u32_e32 v6, v61, v6
	s_nop 0
	v_cndmask_b32_e64 v75, 0, 1, vcc
	v_lshlrev_b32_e32 v75, 5, v75
	v_add_lshl_u32 v76, v75, v73, 2
	ds_bpermute_b32 v7, v76, v7
	ds_bpermute_b32 v61, v76, v6
	v_and_b32_e32 v73, 1, v60
	v_cmp_eq_u32_e32 vcc, 1, v73
	s_waitcnt lgkmcnt(1)
	v_and_b32_e32 v7, 1, v7
	v_cndmask_b32_e64 v7, v7, 1, vcc
	v_cmp_eq_u16_sdwa vcc, v60, v59 src0_sel:BYTE_0 src1_sel:DWORD
	s_waitcnt lgkmcnt(0)
	s_nop 0
	v_cndmask_b32_e32 v61, 0, v61, vcc
	v_cmp_gt_u32_e32 vcc, v77, v9
	s_nop 1
	v_cndmask_b32_e64 v9, v61, 0, vcc
	v_cndmask_b32_e32 v7, v7, v60, vcc
	v_add_u32_e32 v6, v9, v6
	s_branch .LBB760_103
.LBB760_102:                            ;   in Loop: Header=BB760_103 Depth=1
	s_or_b64 exec, exec, s[0:1]
	v_cmp_eq_u16_sdwa s[0:1], v8, v3 src0_sel:BYTE_0 src1_sel:DWORD
	ds_bpermute_b32 v61, v65, v7
	v_and_b32_e32 v78, 1, v7
	v_and_b32_e32 v9, s1, v5
	v_or_b32_e32 v9, 0x80000000, v9
	v_and_b32_e32 v60, s0, v4
	v_ffbl_b32_e32 v9, v9
	v_add_u32_e32 v9, 32, v9
	v_ffbl_b32_e32 v60, v60
	v_min_u32_e32 v9, v60, v9
	ds_bpermute_b32 v60, v65, v6
	s_waitcnt lgkmcnt(1)
	v_and_b32_e32 v61, 1, v61
	v_cmp_eq_u32_e32 vcc, 1, v78
	v_cmp_lt_u32_e64 s[0:1], v64, v9
	v_subrev_u32_e32 v58, 64, v58
	v_cndmask_b32_e64 v61, v61, 1, vcc
	v_cmp_gt_u64_e32 vcc, s[68:69], v[6:7]
	v_and_b32_e32 v78, 0xffff, v61
	v_cndmask_b32_e64 v61, v7, v61, s[0:1]
	v_cndmask_b32_e64 v7, v7, v78, s[0:1]
	s_and_b64 vcc, s[0:1], vcc
	ds_bpermute_b32 v78, v66, v7
	s_waitcnt lgkmcnt(1)
	v_cndmask_b32_e32 v60, 0, v60, vcc
	v_add_u32_e32 v6, v60, v6
	ds_bpermute_b32 v60, v66, v6
	v_and_b32_e32 v79, 1, v61
	s_waitcnt lgkmcnt(1)
	v_and_b32_e32 v78, 1, v78
	v_cmp_eq_u32_e32 vcc, 1, v79
	s_nop 1
	v_cndmask_b32_e64 v78, v78, 1, vcc
	v_cmp_eq_u16_sdwa vcc, v61, v59 src0_sel:BYTE_0 src1_sel:DWORD
	v_and_b32_e32 v79, 0xffff, v78
	s_waitcnt lgkmcnt(0)
	v_cndmask_b32_e32 v60, 0, v60, vcc
	v_cmp_gt_u32_e32 vcc, v67, v9
	s_nop 1
	v_cndmask_b32_e32 v7, v79, v7, vcc
	v_cndmask_b32_e32 v61, v78, v61, vcc
	ds_bpermute_b32 v78, v68, v7
	v_cndmask_b32_e64 v60, v60, 0, vcc
	v_add_u32_e32 v6, v60, v6
	ds_bpermute_b32 v60, v68, v6
	v_and_b32_e32 v79, 1, v61
	s_waitcnt lgkmcnt(1)
	v_and_b32_e32 v78, 1, v78
	v_cmp_eq_u32_e32 vcc, 1, v79
	s_nop 1
	v_cndmask_b32_e64 v78, v78, 1, vcc
	v_cmp_eq_u16_sdwa vcc, v61, v59 src0_sel:BYTE_0 src1_sel:DWORD
	v_and_b32_e32 v79, 0xffff, v78
	s_waitcnt lgkmcnt(0)
	v_cndmask_b32_e32 v60, 0, v60, vcc
	v_cmp_gt_u32_e32 vcc, v69, v9
	s_nop 1
	v_cndmask_b32_e32 v7, v79, v7, vcc
	v_cndmask_b32_e32 v61, v78, v61, vcc
	ds_bpermute_b32 v78, v70, v7
	v_cndmask_b32_e64 v60, v60, 0, vcc
	v_add_u32_e32 v6, v60, v6
	ds_bpermute_b32 v60, v70, v6
	v_and_b32_e32 v79, 1, v61
	s_waitcnt lgkmcnt(1)
	v_and_b32_e32 v78, 1, v78
	v_cmp_eq_u32_e32 vcc, 1, v79
	s_nop 1
	v_cndmask_b32_e64 v78, v78, 1, vcc
	v_cmp_eq_u16_sdwa vcc, v61, v59 src0_sel:BYTE_0 src1_sel:DWORD
	v_and_b32_e32 v79, 0xffff, v78
	s_waitcnt lgkmcnt(0)
	v_cndmask_b32_e32 v60, 0, v60, vcc
	v_cmp_gt_u32_e32 vcc, v71, v9
	s_nop 1
	v_cndmask_b32_e32 v7, v79, v7, vcc
	v_cndmask_b32_e32 v61, v78, v61, vcc
	ds_bpermute_b32 v78, v72, v7
	v_cndmask_b32_e64 v60, v60, 0, vcc
	v_add_u32_e32 v6, v60, v6
	ds_bpermute_b32 v60, v72, v6
	v_and_b32_e32 v79, 1, v61
	s_waitcnt lgkmcnt(1)
	v_and_b32_e32 v78, 1, v78
	v_cmp_eq_u32_e32 vcc, 1, v79
	s_nop 1
	v_cndmask_b32_e64 v78, v78, 1, vcc
	v_cmp_eq_u16_sdwa vcc, v61, v59 src0_sel:BYTE_0 src1_sel:DWORD
	v_and_b32_e32 v79, 0xffff, v78
	s_waitcnt lgkmcnt(0)
	v_cndmask_b32_e32 v60, 0, v60, vcc
	v_cmp_gt_u32_e32 vcc, v74, v9
	s_nop 1
	v_cndmask_b32_e64 v60, v60, 0, vcc
	v_cndmask_b32_e32 v7, v79, v7, vcc
	ds_bpermute_b32 v7, v76, v7
	v_add_u32_e32 v6, v60, v6
	ds_bpermute_b32 v60, v76, v6
	v_cndmask_b32_e32 v61, v78, v61, vcc
	v_and_b32_e32 v78, 1, v61
	v_cmp_eq_u32_e32 vcc, 1, v78
	s_waitcnt lgkmcnt(1)
	s_nop 0
	v_cndmask_b32_e64 v7, v7, 1, vcc
	v_cmp_eq_u16_sdwa vcc, v61, v59 src0_sel:BYTE_0 src1_sel:DWORD
	s_waitcnt lgkmcnt(0)
	s_nop 0
	v_cndmask_b32_e32 v60, 0, v60, vcc
	v_cmp_gt_u32_e32 vcc, v77, v9
	s_nop 1
	v_cndmask_b32_e64 v9, v60, 0, vcc
	v_cndmask_b32_e32 v7, v7, v61, vcc
	v_add_u32_e32 v6, v9, v6
	v_cmp_eq_u16_sdwa vcc, v73, v59 src0_sel:BYTE_0 src1_sel:DWORD
	v_and_b32_e32 v9, 1, v73
	v_and_b32_e32 v7, 1, v7
	v_cndmask_b32_e32 v6, 0, v6, vcc
	v_cmp_eq_u32_e32 vcc, 1, v9
	v_add_u32_e32 v6, v6, v75
	s_nop 0
	v_cndmask_b32_e64 v7, v7, 1, vcc
.LBB760_103:                            ; =>This Loop Header: Depth=1
                                        ;     Child Loop BB760_106 Depth 2
                                        ;       Child Loop BB760_107 Depth 3
	v_cmp_ne_u16_sdwa s[0:1], v8, v3 src0_sel:BYTE_0 src1_sel:DWORD
	v_mov_b32_e32 v73, v7
	v_mov_b32_e32 v75, v6
	v_cndmask_b32_e64 v7, 0, 1, s[0:1]
	;;#ASMSTART
	;;#ASMEND
	s_nop 0
	v_cmp_ne_u32_e32 vcc, 0, v7
	s_cmp_lg_u64 vcc, exec
	s_cbranch_scc1 .LBB760_110
; %bb.104:                              ;   in Loop: Header=BB760_103 Depth=1
	v_lshl_add_u64 v[60:61], v[58:59], 4, s[64:65]
	;;#ASMSTART
	global_load_dwordx4 v[6:9], v[60:61] off sc1	
s_waitcnt vmcnt(0)
	;;#ASMEND
	s_nop 0
	v_and_b32_e32 v9, 0xff0000, v6
	v_and_b32_e32 v78, 0xff000000, v6
	;; [unrolled: 1-line block ×3, first 2 shown]
	v_or_b32_sdwa v6, v6, v9 dst_sel:DWORD dst_unused:UNUSED_PAD src0_sel:WORD_0 src1_sel:DWORD
	v_or3_b32 v7, 0, 0, v7
	v_or3_b32 v6, v6, v78, 0
	v_cmp_eq_u16_sdwa s[74:75], v8, v59 src0_sel:BYTE_0 src1_sel:DWORD
	s_and_saveexec_b64 s[0:1], s[74:75]
	s_cbranch_execz .LBB760_102
; %bb.105:                              ;   in Loop: Header=BB760_103 Depth=1
	s_mov_b32 s77, 1
	s_mov_b64 s[74:75], 0
.LBB760_106:                            ;   Parent Loop BB760_103 Depth=1
                                        ; =>  This Loop Header: Depth=2
                                        ;       Child Loop BB760_107 Depth 3
	s_max_u32 s78, s77, 1
.LBB760_107:                            ;   Parent Loop BB760_103 Depth=1
                                        ;     Parent Loop BB760_106 Depth=2
                                        ; =>    This Inner Loop Header: Depth=3
	s_add_i32 s78, s78, -1
	s_cmp_eq_u32 s78, 0
	s_sleep 1
	s_cbranch_scc0 .LBB760_107
; %bb.108:                              ;   in Loop: Header=BB760_106 Depth=2
	s_cmp_lt_u32 s77, 32
	s_cselect_b64 s[78:79], -1, 0
	s_cmp_lg_u64 s[78:79], 0
	s_addc_u32 s77, s77, 0
	;;#ASMSTART
	global_load_dwordx4 v[6:9], v[60:61] off sc1	
s_waitcnt vmcnt(0)
	;;#ASMEND
	s_nop 0
	v_cmp_ne_u16_sdwa s[78:79], v8, v59 src0_sel:BYTE_0 src1_sel:DWORD
	s_or_b64 s[74:75], s[78:79], s[74:75]
	s_andn2_b64 exec, exec, s[74:75]
	s_cbranch_execnz .LBB760_106
; %bb.109:                              ;   in Loop: Header=BB760_103 Depth=1
	s_or_b64 exec, exec, s[74:75]
	v_and_b32_e32 v7, 0xff, v7
	s_branch .LBB760_102
.LBB760_110:                            ;   in Loop: Header=BB760_103 Depth=1
                                        ; implicit-def: $vgpr7
                                        ; implicit-def: $vgpr6
                                        ; implicit-def: $vgpr8
	s_cbranch_execz .LBB760_103
; %bb.111:
	s_and_saveexec_b64 s[0:1], s[52:53]
	s_cbranch_execz .LBB760_113
; %bb.112:
	s_and_b32 s52, s76, 0xff
	s_cmp_eq_u32 s52, 0
	s_cselect_b64 vcc, -1, 0
	s_bitcmp1_b32 s76, 0
	s_mov_b32 s53, 0
	s_cselect_b64 s[68:69], -1, 0
	s_add_i32 s52, s67, 64
	s_lshl_b64 s[52:53], s[52:53], 4
	v_cndmask_b32_e32 v3, 0, v75, vcc
	s_add_u32 s52, s64, s52
	v_add_u32_e32 v2, v3, v2
	v_and_b32_e32 v3, 1, v73
	s_addc_u32 s53, s65, s53
	v_mov_b32_e32 v5, 0
	v_cndmask_b32_e64 v3, v3, 1, s[68:69]
	v_mov_b32_e32 v4, 2
	v_mov_b64_e32 v[6:7], s[52:53]
	;;#ASMSTART
	global_store_dwordx4 v[6:7], v[2:5] off sc1	
s_waitcnt vmcnt(0)
	;;#ASMEND
.LBB760_113:
	s_or_b64 exec, exec, s[0:1]
	s_and_b64 exec, exec, s[54:55]
	s_cbranch_execz .LBB760_115
; %bb.114:
	v_mov_b32_e32 v2, 0
	ds_write_b32 v2, v75
	ds_write_b8 v2, v73 offset:4
.LBB760_115:
	s_or_b64 exec, exec, s[60:61]
	s_mov_b32 s0, 0
	v_mov_b32_e32 v2, 0
	s_mov_b32 s1, 1
	s_waitcnt lgkmcnt(0)
	s_barrier
	ds_read_b32 v3, v2
	v_cmp_gt_u64_e32 vcc, s[0:1], v[10:11]
	v_and_b32_e32 v5, 1, v11
	v_and_b32_e32 v6, 1, v63
	v_cndmask_b32_e32 v4, 0, v62, vcc
	v_cmp_eq_u32_e32 vcc, 1, v5
	v_cndmask_b32_e64 v4, v4, 0, s[54:55]
	s_nop 0
	v_cndmask_b32_e64 v5, v6, 1, vcc
	v_cndmask_b32_e64 v5, v5, v11, s[54:55]
	v_cmp_eq_u16_sdwa vcc, v5, v2 src0_sel:BYTE_0 src1_sel:DWORD
	s_waitcnt lgkmcnt(0)
	s_nop 0
	v_cndmask_b32_e32 v2, 0, v3, vcc
	v_add3_u32 v80, v4, v10, v2
	v_cndmask_b32_e64 v2, 0, v80, s[6:7]
	v_add_u32_e32 v58, v2, v12
	v_cndmask_b32_e64 v2, 0, v58, s[8:9]
	v_add_u32_e32 v59, v2, v14
	;; [unrolled: 2-line block ×22, first 2 shown]
	s_branch .LBB760_205
.LBB760_116:
	s_or_b64 exec, exec, s[60:61]
                                        ; implicit-def: $vgpr30
	s_and_saveexec_b64 s[60:61], s[6:7]
	s_cbranch_execz .LBB760_53
.LBB760_117:
	v_mov_b32_e32 v3, 0
	v_lshl_add_u64 v[30:31], s[0:1], 0, v[2:3]
	flat_load_dword v30, v[30:31] offset:1024
	s_or_b64 exec, exec, s[60:61]
                                        ; implicit-def: $vgpr31
	s_and_saveexec_b64 s[6:7], s[8:9]
	s_cbranch_execnz .LBB760_54
.LBB760_118:
	s_or_b64 exec, exec, s[6:7]
                                        ; implicit-def: $vgpr3
	s_and_saveexec_b64 s[6:7], s[10:11]
	s_cbranch_execz .LBB760_55
.LBB760_119:
	v_mov_b32_e32 v3, 0
	v_lshl_add_u64 v[32:33], s[0:1], 0, v[2:3]
	flat_load_dword v3, v[32:33] offset:3072
	s_or_b64 exec, exec, s[6:7]
                                        ; implicit-def: $vgpr32
	s_and_saveexec_b64 s[6:7], s[12:13]
	s_cbranch_execnz .LBB760_56
.LBB760_120:
	s_or_b64 exec, exec, s[6:7]
                                        ; implicit-def: $vgpr10
	s_and_saveexec_b64 s[6:7], s[14:15]
	s_cbranch_execz .LBB760_57
.LBB760_121:
	v_lshlrev_b32_e32 v10, 2, v11
	v_mov_b32_e32 v11, 0
	v_lshl_add_u64 v[10:11], s[0:1], 0, v[10:11]
	flat_load_dword v10, v[10:11]
	s_or_b64 exec, exec, s[6:7]
                                        ; implicit-def: $vgpr11
	s_and_saveexec_b64 s[6:7], s[16:17]
	s_cbranch_execnz .LBB760_58
.LBB760_122:
	s_or_b64 exec, exec, s[6:7]
                                        ; implicit-def: $vgpr12
	s_and_saveexec_b64 s[6:7], s[18:19]
	s_cbranch_execz .LBB760_59
.LBB760_123:
	v_lshlrev_b32_e32 v12, 2, v13
	v_mov_b32_e32 v13, 0
	v_lshl_add_u64 v[12:13], s[0:1], 0, v[12:13]
	flat_load_dword v12, v[12:13]
	s_or_b64 exec, exec, s[6:7]
                                        ; implicit-def: $vgpr13
	s_and_saveexec_b64 s[6:7], s[20:21]
	s_cbranch_execnz .LBB760_60
.LBB760_124:
	s_or_b64 exec, exec, s[6:7]
                                        ; implicit-def: $vgpr14
	s_and_saveexec_b64 s[6:7], s[22:23]
	s_cbranch_execz .LBB760_61
.LBB760_125:
	v_lshlrev_b32_e32 v14, 2, v15
	v_mov_b32_e32 v15, 0
	v_lshl_add_u64 v[14:15], s[0:1], 0, v[14:15]
	flat_load_dword v14, v[14:15]
	s_or_b64 exec, exec, s[6:7]
                                        ; implicit-def: $vgpr15
	s_and_saveexec_b64 s[6:7], s[24:25]
	s_cbranch_execnz .LBB760_62
.LBB760_126:
	s_or_b64 exec, exec, s[6:7]
                                        ; implicit-def: $vgpr16
	s_and_saveexec_b64 s[6:7], s[26:27]
	s_cbranch_execz .LBB760_63
.LBB760_127:
	v_lshlrev_b32_e32 v16, 2, v17
	v_mov_b32_e32 v17, 0
	v_lshl_add_u64 v[16:17], s[0:1], 0, v[16:17]
	flat_load_dword v16, v[16:17]
	s_or_b64 exec, exec, s[6:7]
                                        ; implicit-def: $vgpr17
	s_and_saveexec_b64 s[6:7], s[28:29]
	s_cbranch_execnz .LBB760_64
.LBB760_128:
	s_or_b64 exec, exec, s[6:7]
                                        ; implicit-def: $vgpr18
	s_and_saveexec_b64 s[6:7], s[30:31]
	s_cbranch_execz .LBB760_65
.LBB760_129:
	v_lshlrev_b32_e32 v18, 2, v19
	v_mov_b32_e32 v19, 0
	v_lshl_add_u64 v[18:19], s[0:1], 0, v[18:19]
	flat_load_dword v18, v[18:19]
	s_or_b64 exec, exec, s[6:7]
                                        ; implicit-def: $vgpr19
	s_and_saveexec_b64 s[6:7], s[34:35]
	s_cbranch_execnz .LBB760_66
.LBB760_130:
	s_or_b64 exec, exec, s[6:7]
                                        ; implicit-def: $vgpr20
	s_and_saveexec_b64 s[6:7], s[36:37]
	s_cbranch_execz .LBB760_67
.LBB760_131:
	v_lshlrev_b32_e32 v20, 2, v21
	v_mov_b32_e32 v21, 0
	v_lshl_add_u64 v[20:21], s[0:1], 0, v[20:21]
	flat_load_dword v20, v[20:21]
	s_or_b64 exec, exec, s[6:7]
                                        ; implicit-def: $vgpr21
	s_and_saveexec_b64 s[6:7], s[38:39]
	s_cbranch_execnz .LBB760_68
.LBB760_132:
	s_or_b64 exec, exec, s[6:7]
                                        ; implicit-def: $vgpr22
	s_and_saveexec_b64 s[6:7], s[40:41]
	s_cbranch_execz .LBB760_69
.LBB760_133:
	v_lshlrev_b32_e32 v22, 2, v23
	v_mov_b32_e32 v23, 0
	v_lshl_add_u64 v[22:23], s[0:1], 0, v[22:23]
	flat_load_dword v22, v[22:23]
	s_or_b64 exec, exec, s[6:7]
                                        ; implicit-def: $vgpr23
	s_and_saveexec_b64 s[6:7], s[42:43]
	s_cbranch_execnz .LBB760_70
.LBB760_134:
	s_or_b64 exec, exec, s[6:7]
                                        ; implicit-def: $vgpr24
	s_and_saveexec_b64 s[6:7], s[44:45]
	s_cbranch_execz .LBB760_71
.LBB760_135:
	v_lshlrev_b32_e32 v24, 2, v25
	v_mov_b32_e32 v25, 0
	v_lshl_add_u64 v[24:25], s[0:1], 0, v[24:25]
	flat_load_dword v24, v[24:25]
	s_or_b64 exec, exec, s[6:7]
                                        ; implicit-def: $vgpr25
	s_and_saveexec_b64 s[6:7], s[46:47]
	s_cbranch_execnz .LBB760_72
.LBB760_136:
	s_or_b64 exec, exec, s[6:7]
                                        ; implicit-def: $vgpr26
	s_and_saveexec_b64 s[6:7], s[48:49]
	s_cbranch_execz .LBB760_138
.LBB760_137:
	v_lshlrev_b32_e32 v26, 2, v27
	v_mov_b32_e32 v27, 0
	v_lshl_add_u64 v[26:27], s[0:1], 0, v[26:27]
	flat_load_dword v26, v[26:27]
.LBB760_138:
	s_or_b64 exec, exec, s[6:7]
	v_mul_u32_u24_e32 v73, 23, v0
                                        ; implicit-def: $vgpr27
	s_and_saveexec_b64 s[6:7], s[50:51]
	s_cbranch_execz .LBB760_140
; %bb.139:
	v_lshlrev_b32_e32 v34, 2, v28
	v_mov_b32_e32 v35, 0
	v_lshl_add_u64 v[34:35], s[0:1], 0, v[34:35]
	flat_load_dword v27, v[34:35]
.LBB760_140:
	s_or_b64 exec, exec, s[6:7]
	s_waitcnt vmcnt(0) lgkmcnt(0)
	ds_write2st64_b32 v2, v29, v30 offset1:4
	ds_write2st64_b32 v2, v31, v3 offset0:8 offset1:12
	ds_write2st64_b32 v2, v32, v10 offset0:16 offset1:20
	;; [unrolled: 1-line block ×10, first 2 shown]
	ds_write_b32 v2, v27 offset:22528
	v_mov_b64_e32 v[10:11], 0
	v_cmp_gt_u32_e32 vcc, s74, v73
	s_mov_b64 s[10:11], 0
	s_mov_b64 s[6:7], 0
	v_mov_b64_e32 v[12:13], v[10:11]
	v_mov_b64_e32 v[14:15], v[10:11]
	;; [unrolled: 1-line block ×21, first 2 shown]
	s_waitcnt lgkmcnt(0)
	s_barrier
	s_waitcnt lgkmcnt(0)
                                        ; implicit-def: $vgpr3
	s_and_saveexec_b64 s[8:9], vcc
	s_cbranch_execz .LBB760_184
; %bb.141:
	ds_read_b32 v10, v72
	v_add_u32_e32 v2, 1, v73
	v_cmp_ne_u32_e32 vcc, 0, v68
	v_mov_b64_e32 v[12:13], 0
	s_mov_b64 s[12:13], 0
	v_cndmask_b32_e64 v11, 0, 1, vcc
	v_cmp_gt_u32_e32 vcc, s74, v2
	s_mov_b64 s[14:15], 0
	v_mov_b64_e32 v[14:15], v[12:13]
	v_mov_b64_e32 v[16:17], v[12:13]
	;; [unrolled: 1-line block ×20, first 2 shown]
                                        ; implicit-def: $vgpr3
	s_and_saveexec_b64 s[10:11], vcc
	s_cbranch_execz .LBB760_183
; %bb.142:
	ds_read2_b32 v[70:71], v72 offset0:1 offset1:2
	v_add_u32_e32 v2, 2, v73
	v_cmp_ne_u32_e32 vcc, 0, v69
	v_mov_b64_e32 v[14:15], 0
	s_mov_b64 s[16:17], 0
	v_cndmask_b32_e64 v13, 0, 1, vcc
	v_cmp_gt_u32_e32 vcc, s74, v2
	s_waitcnt lgkmcnt(0)
	v_mov_b32_e32 v12, v70
	v_mov_b64_e32 v[16:17], v[14:15]
	v_mov_b64_e32 v[18:19], v[14:15]
	;; [unrolled: 1-line block ×19, first 2 shown]
                                        ; implicit-def: $vgpr3
	s_and_saveexec_b64 s[12:13], vcc
	s_cbranch_execz .LBB760_182
; %bb.143:
	v_add_u32_e32 v2, 3, v73
	v_cmp_ne_u32_e32 vcc, 0, v66
	v_mov_b64_e32 v[16:17], 0
	v_mov_b32_e32 v14, v71
	v_cndmask_b32_e64 v15, 0, 1, vcc
	v_cmp_gt_u32_e32 vcc, s74, v2
	s_mov_b64 s[18:19], 0
	v_mov_b64_e32 v[18:19], v[16:17]
	v_mov_b64_e32 v[20:21], v[16:17]
	v_mov_b64_e32 v[22:23], v[16:17]
	v_mov_b64_e32 v[24:25], v[16:17]
	v_mov_b64_e32 v[26:27], v[16:17]
	v_mov_b64_e32 v[28:29], v[16:17]
	v_mov_b64_e32 v[30:31], v[16:17]
	v_mov_b64_e32 v[32:33], v[16:17]
	v_mov_b64_e32 v[34:35], v[16:17]
	v_mov_b64_e32 v[36:37], v[16:17]
	v_mov_b64_e32 v[38:39], v[16:17]
	v_mov_b64_e32 v[40:41], v[16:17]
	v_mov_b64_e32 v[42:43], v[16:17]
	v_mov_b64_e32 v[44:45], v[16:17]
	v_mov_b64_e32 v[46:47], v[16:17]
	v_mov_b64_e32 v[48:49], v[16:17]
	v_mov_b64_e32 v[50:51], v[16:17]
	v_mov_b64_e32 v[52:53], v[16:17]
                                        ; implicit-def: $vgpr3
	s_and_saveexec_b64 s[14:15], vcc
	s_cbranch_execz .LBB760_181
; %bb.144:
	ds_read2_b32 v[68:69], v72 offset0:3 offset1:4
	v_add_u32_e32 v2, 4, v73
	v_cmp_ne_u32_e32 vcc, 0, v67
	v_mov_b64_e32 v[18:19], 0
	s_mov_b64 s[20:21], 0
	v_cndmask_b32_e64 v17, 0, 1, vcc
	v_cmp_gt_u32_e32 vcc, s74, v2
	s_waitcnt lgkmcnt(0)
	v_mov_b32_e32 v16, v68
	v_mov_b64_e32 v[20:21], v[18:19]
	v_mov_b64_e32 v[22:23], v[18:19]
	;; [unrolled: 1-line block ×17, first 2 shown]
                                        ; implicit-def: $vgpr3
	s_and_saveexec_b64 s[16:17], vcc
	s_cbranch_execz .LBB760_180
; %bb.145:
	v_add_u32_e32 v2, 5, v73
	v_cmp_ne_u32_e32 vcc, 0, v64
	v_mov_b64_e32 v[20:21], 0
	v_mov_b32_e32 v18, v69
	v_cndmask_b32_e64 v19, 0, 1, vcc
	v_cmp_gt_u32_e32 vcc, s74, v2
	s_mov_b64 s[22:23], 0
	v_mov_b64_e32 v[22:23], v[20:21]
	v_mov_b64_e32 v[24:25], v[20:21]
	;; [unrolled: 1-line block ×16, first 2 shown]
                                        ; implicit-def: $vgpr3
	s_and_saveexec_b64 s[18:19], vcc
	s_cbranch_execz .LBB760_179
; %bb.146:
	ds_read2_b32 v[66:67], v72 offset0:5 offset1:6
	v_add_u32_e32 v2, 6, v73
	v_cmp_ne_u32_e32 vcc, 0, v65
	v_mov_b64_e32 v[22:23], 0
	s_mov_b64 s[24:25], 0
	v_cndmask_b32_e64 v21, 0, 1, vcc
	v_cmp_gt_u32_e32 vcc, s74, v2
	s_waitcnt lgkmcnt(0)
	v_mov_b32_e32 v20, v66
	v_mov_b64_e32 v[24:25], v[22:23]
	v_mov_b64_e32 v[26:27], v[22:23]
	;; [unrolled: 1-line block ×15, first 2 shown]
                                        ; implicit-def: $vgpr3
	s_and_saveexec_b64 s[20:21], vcc
	s_cbranch_execz .LBB760_178
; %bb.147:
	v_add_u32_e32 v2, 7, v73
	v_cmp_ne_u32_e32 vcc, 0, v62
	v_mov_b64_e32 v[24:25], 0
	v_mov_b32_e32 v22, v67
	v_cndmask_b32_e64 v23, 0, 1, vcc
	v_cmp_gt_u32_e32 vcc, s74, v2
	s_mov_b64 s[26:27], 0
	v_mov_b64_e32 v[26:27], v[24:25]
	v_mov_b64_e32 v[28:29], v[24:25]
	;; [unrolled: 1-line block ×14, first 2 shown]
                                        ; implicit-def: $vgpr3
	s_and_saveexec_b64 s[22:23], vcc
	s_cbranch_execz .LBB760_177
; %bb.148:
	ds_read2_b32 v[64:65], v72 offset0:7 offset1:8
	v_add_u32_e32 v2, 8, v73
	v_cmp_ne_u32_e32 vcc, 0, v63
	v_mov_b64_e32 v[26:27], 0
	s_mov_b64 s[28:29], 0
	v_cndmask_b32_e64 v25, 0, 1, vcc
	v_cmp_gt_u32_e32 vcc, s74, v2
	s_waitcnt lgkmcnt(0)
	v_mov_b32_e32 v24, v64
	v_mov_b64_e32 v[28:29], v[26:27]
	v_mov_b64_e32 v[30:31], v[26:27]
	;; [unrolled: 1-line block ×13, first 2 shown]
                                        ; implicit-def: $vgpr3
	s_and_saveexec_b64 s[24:25], vcc
	s_cbranch_execz .LBB760_176
; %bb.149:
	v_add_u32_e32 v2, 9, v73
	v_cmp_ne_u32_e32 vcc, 0, v60
	v_mov_b64_e32 v[28:29], 0
	v_mov_b32_e32 v26, v65
	v_cndmask_b32_e64 v27, 0, 1, vcc
	v_cmp_gt_u32_e32 vcc, s74, v2
	s_mov_b64 s[30:31], 0
	v_mov_b64_e32 v[30:31], v[28:29]
	v_mov_b64_e32 v[32:33], v[28:29]
	;; [unrolled: 1-line block ×12, first 2 shown]
                                        ; implicit-def: $vgpr3
	s_and_saveexec_b64 s[26:27], vcc
	s_cbranch_execz .LBB760_175
; %bb.150:
	ds_read2_b32 v[62:63], v72 offset0:9 offset1:10
	v_add_u32_e32 v2, 10, v73
	v_cmp_ne_u32_e32 vcc, 0, v61
	v_mov_b64_e32 v[30:31], 0
	s_mov_b64 s[34:35], 0
	v_cndmask_b32_e64 v29, 0, 1, vcc
	v_cmp_gt_u32_e32 vcc, s74, v2
	s_waitcnt lgkmcnt(0)
	v_mov_b32_e32 v28, v62
	v_mov_b64_e32 v[32:33], v[30:31]
	v_mov_b64_e32 v[34:35], v[30:31]
	;; [unrolled: 1-line block ×11, first 2 shown]
                                        ; implicit-def: $vgpr3
	s_and_saveexec_b64 s[28:29], vcc
	s_cbranch_execz .LBB760_174
; %bb.151:
	v_add_u32_e32 v2, 11, v73
	v_cmp_ne_u32_e32 vcc, 0, v58
	v_mov_b64_e32 v[32:33], 0
	v_mov_b32_e32 v30, v63
	v_cndmask_b32_e64 v31, 0, 1, vcc
	v_cmp_gt_u32_e32 vcc, s74, v2
	s_mov_b64 s[36:37], 0
	v_mov_b64_e32 v[34:35], v[32:33]
	v_mov_b64_e32 v[36:37], v[32:33]
	;; [unrolled: 1-line block ×10, first 2 shown]
                                        ; implicit-def: $vgpr3
	s_and_saveexec_b64 s[30:31], vcc
	s_cbranch_execz .LBB760_173
; %bb.152:
	ds_read2_b32 v[60:61], v72 offset0:11 offset1:12
	v_add_u32_e32 v2, 12, v73
	v_cmp_ne_u32_e32 vcc, 0, v59
	v_mov_b64_e32 v[34:35], 0
	s_mov_b64 s[38:39], 0
	v_cndmask_b32_e64 v33, 0, 1, vcc
	v_cmp_gt_u32_e32 vcc, s74, v2
	s_waitcnt lgkmcnt(0)
	v_mov_b32_e32 v32, v60
	v_mov_b64_e32 v[36:37], v[34:35]
	v_mov_b64_e32 v[38:39], v[34:35]
	;; [unrolled: 1-line block ×9, first 2 shown]
                                        ; implicit-def: $vgpr3
	s_and_saveexec_b64 s[34:35], vcc
	s_cbranch_execz .LBB760_172
; %bb.153:
	v_add_u32_e32 v2, 13, v73
	v_cmp_ne_u32_e32 vcc, 0, v56
	v_mov_b64_e32 v[36:37], 0
	v_mov_b32_e32 v34, v61
	v_cndmask_b32_e64 v35, 0, 1, vcc
	v_cmp_gt_u32_e32 vcc, s74, v2
	s_mov_b64 s[40:41], 0
	v_mov_b64_e32 v[38:39], v[36:37]
	v_mov_b64_e32 v[40:41], v[36:37]
	;; [unrolled: 1-line block ×8, first 2 shown]
                                        ; implicit-def: $vgpr3
	s_and_saveexec_b64 s[36:37], vcc
	s_cbranch_execz .LBB760_171
; %bb.154:
	ds_read2_b32 v[58:59], v72 offset0:13 offset1:14
	v_add_u32_e32 v2, 14, v73
	v_cmp_ne_u32_e32 vcc, 0, v57
	v_mov_b64_e32 v[38:39], 0
	s_mov_b64 s[42:43], 0
	v_cndmask_b32_e64 v37, 0, 1, vcc
	v_cmp_gt_u32_e32 vcc, s74, v2
	s_waitcnt lgkmcnt(0)
	v_mov_b32_e32 v36, v58
	v_mov_b64_e32 v[40:41], v[38:39]
	v_mov_b64_e32 v[42:43], v[38:39]
	;; [unrolled: 1-line block ×7, first 2 shown]
                                        ; implicit-def: $vgpr3
	s_and_saveexec_b64 s[38:39], vcc
	s_cbranch_execz .LBB760_170
; %bb.155:
	v_add_u32_e32 v2, 15, v73
	v_cmp_ne_u32_e32 vcc, 0, v54
	v_mov_b64_e32 v[40:41], 0
	v_mov_b32_e32 v38, v59
	v_cndmask_b32_e64 v39, 0, 1, vcc
	v_cmp_gt_u32_e32 vcc, s74, v2
	s_mov_b64 s[44:45], 0
	v_mov_b64_e32 v[42:43], v[40:41]
	v_mov_b64_e32 v[44:45], v[40:41]
	;; [unrolled: 1-line block ×6, first 2 shown]
                                        ; implicit-def: $vgpr3
	s_and_saveexec_b64 s[40:41], vcc
	s_cbranch_execz .LBB760_169
; %bb.156:
	ds_read2_b32 v[56:57], v72 offset0:15 offset1:16
	v_add_u32_e32 v2, 16, v73
	v_cmp_ne_u32_e32 vcc, 0, v55
	v_mov_b64_e32 v[42:43], 0
	s_mov_b64 s[46:47], 0
	v_cndmask_b32_e64 v41, 0, 1, vcc
	v_cmp_gt_u32_e32 vcc, s74, v2
	s_waitcnt lgkmcnt(0)
	v_mov_b32_e32 v40, v56
	v_mov_b64_e32 v[44:45], v[42:43]
	v_mov_b64_e32 v[46:47], v[42:43]
	;; [unrolled: 1-line block ×5, first 2 shown]
                                        ; implicit-def: $vgpr3
	s_and_saveexec_b64 s[42:43], vcc
	s_cbranch_execz .LBB760_168
; %bb.157:
	v_add_u32_e32 v2, 17, v73
	v_cmp_ne_u32_e32 vcc, 0, v8
	v_mov_b64_e32 v[44:45], 0
	v_mov_b32_e32 v42, v57
	v_cndmask_b32_e64 v43, 0, 1, vcc
	v_cmp_gt_u32_e32 vcc, s74, v2
	s_mov_b64 s[48:49], 0
	v_mov_b64_e32 v[46:47], v[44:45]
	v_mov_b64_e32 v[48:49], v[44:45]
	;; [unrolled: 1-line block ×4, first 2 shown]
                                        ; implicit-def: $vgpr3
	s_and_saveexec_b64 s[44:45], vcc
	s_cbranch_execz .LBB760_167
; %bb.158:
	ds_read2_b32 v[54:55], v72 offset0:17 offset1:18
	v_add_u32_e32 v2, 18, v73
	v_cmp_ne_u32_e32 vcc, 0, v9
	v_mov_b64_e32 v[46:47], 0
	s_mov_b64 s[50:51], 0
	v_cndmask_b32_e64 v45, 0, 1, vcc
	v_cmp_gt_u32_e32 vcc, s74, v2
	s_waitcnt lgkmcnt(0)
	v_mov_b32_e32 v44, v54
	v_mov_b64_e32 v[48:49], v[46:47]
	v_mov_b64_e32 v[50:51], v[46:47]
	;; [unrolled: 1-line block ×3, first 2 shown]
                                        ; implicit-def: $vgpr3
	s_and_saveexec_b64 s[46:47], vcc
	s_cbranch_execz .LBB760_166
; %bb.159:
	v_add_u32_e32 v2, 19, v73
	v_cmp_ne_u32_e32 vcc, 0, v6
	v_mov_b64_e32 v[48:49], 0
	v_mov_b32_e32 v46, v55
	v_cndmask_b32_e64 v47, 0, 1, vcc
	v_cmp_gt_u32_e32 vcc, s74, v2
	s_mov_b64 s[60:61], 0
	v_mov_b64_e32 v[50:51], v[48:49]
	v_mov_b64_e32 v[52:53], v[48:49]
                                        ; implicit-def: $vgpr3
	s_and_saveexec_b64 s[48:49], vcc
	s_cbranch_execz .LBB760_165
; %bb.160:
	ds_read2_b32 v[8:9], v72 offset0:19 offset1:20
	v_add_u32_e32 v2, 20, v73
	v_cmp_ne_u32_e32 vcc, 0, v7
	v_mov_b64_e32 v[50:51], 0
	s_mov_b64 s[68:69], 0
	v_cndmask_b32_e64 v49, 0, 1, vcc
	v_cmp_gt_u32_e32 vcc, s74, v2
	s_waitcnt lgkmcnt(0)
	v_mov_b32_e32 v48, v8
	v_mov_b64_e32 v[52:53], v[50:51]
                                        ; implicit-def: $vgpr3
	s_and_saveexec_b64 s[50:51], vcc
	s_cbranch_execz .LBB760_164
; %bb.161:
	v_add_u32_e32 v2, 21, v73
	v_cmp_ne_u32_e32 vcc, 0, v4
	v_mov_b32_e32 v50, v9
	v_mov_b64_e32 v[52:53], 0
	v_cndmask_b32_e64 v51, 0, 1, vcc
	v_cmp_gt_u32_e32 vcc, s74, v2
                                        ; implicit-def: $vgpr3
	s_and_saveexec_b64 s[60:61], vcc
	s_xor_b64 s[60:61], exec, s[60:61]
	s_cbranch_execz .LBB760_163
; %bb.162:
	ds_read2_b32 v[2:3], v72 offset0:21 offset1:22
	v_add_u32_e32 v4, 22, v73
	v_cmp_ne_u32_e32 vcc, 0, v5
	s_waitcnt lgkmcnt(0)
	v_mov_b32_e32 v52, v2
	v_cndmask_b32_e64 v53, 0, 1, vcc
	v_cmp_gt_u32_e32 vcc, s74, v4
	s_and_b64 s[68:69], vcc, exec
.LBB760_163:
	s_or_b64 exec, exec, s[60:61]
	s_and_b64 s[60:61], s[68:69], exec
.LBB760_164:
	s_or_b64 exec, exec, s[50:51]
	s_and_b64 s[50:51], s[60:61], exec
.LBB760_165:
	s_or_b64 exec, exec, s[48:49]
	s_and_b64 s[48:49], s[50:51], exec
.LBB760_166:
	s_or_b64 exec, exec, s[46:47]
	s_and_b64 s[46:47], s[48:49], exec
.LBB760_167:
	s_or_b64 exec, exec, s[44:45]
	s_and_b64 s[44:45], s[46:47], exec
.LBB760_168:
	s_or_b64 exec, exec, s[42:43]
	s_and_b64 s[42:43], s[44:45], exec
.LBB760_169:
	s_or_b64 exec, exec, s[40:41]
	s_and_b64 s[40:41], s[42:43], exec
.LBB760_170:
	s_or_b64 exec, exec, s[38:39]
	s_and_b64 s[38:39], s[40:41], exec
.LBB760_171:
	s_or_b64 exec, exec, s[36:37]
	s_and_b64 s[36:37], s[38:39], exec
.LBB760_172:
	s_or_b64 exec, exec, s[34:35]
	s_and_b64 s[34:35], s[36:37], exec
.LBB760_173:
	s_or_b64 exec, exec, s[30:31]
	s_and_b64 s[30:31], s[34:35], exec
.LBB760_174:
	s_or_b64 exec, exec, s[28:29]
	s_and_b64 s[28:29], s[30:31], exec
.LBB760_175:
	s_or_b64 exec, exec, s[26:27]
	s_and_b64 s[26:27], s[28:29], exec
.LBB760_176:
	s_or_b64 exec, exec, s[24:25]
	s_and_b64 s[24:25], s[26:27], exec
.LBB760_177:
	s_or_b64 exec, exec, s[22:23]
	s_and_b64 s[22:23], s[24:25], exec
.LBB760_178:
	s_or_b64 exec, exec, s[20:21]
	s_and_b64 s[20:21], s[22:23], exec
.LBB760_179:
	s_or_b64 exec, exec, s[18:19]
	s_and_b64 s[18:19], s[20:21], exec
.LBB760_180:
	s_or_b64 exec, exec, s[16:17]
	s_and_b64 s[16:17], s[18:19], exec
.LBB760_181:
	s_or_b64 exec, exec, s[14:15]
	s_and_b64 s[14:15], s[16:17], exec
.LBB760_182:
	s_or_b64 exec, exec, s[12:13]
	s_and_b64 s[12:13], s[14:15], exec
.LBB760_183:
	s_or_b64 exec, exec, s[10:11]
	s_and_b64 s[10:11], s[12:13], exec
.LBB760_184:
	s_or_b64 exec, exec, s[8:9]
	s_mov_b64 s[8:9], 0
	s_and_b64 vcc, exec, s[6:7]
	v_lshlrev_b32_e32 v54, 2, v0
	s_cbranch_vccnz .LBB760_74
	s_branch .LBB760_75
.LBB760_185:
                                        ; implicit-def: $vgpr78
                                        ; implicit-def: $vgpr77
                                        ; implicit-def: $vgpr76
                                        ; implicit-def: $vgpr75
                                        ; implicit-def: $vgpr74
                                        ; implicit-def: $vgpr73
                                        ; implicit-def: $vgpr72
                                        ; implicit-def: $vgpr71
                                        ; implicit-def: $vgpr70
                                        ; implicit-def: $vgpr69
                                        ; implicit-def: $vgpr68
                                        ; implicit-def: $vgpr67
                                        ; implicit-def: $vgpr66
                                        ; implicit-def: $vgpr65
                                        ; implicit-def: $vgpr64
                                        ; implicit-def: $vgpr63
                                        ; implicit-def: $vgpr62
                                        ; implicit-def: $vgpr61
                                        ; implicit-def: $vgpr60
                                        ; implicit-def: $vgpr59
                                        ; implicit-def: $vgpr58
                                        ; implicit-def: $vgpr80
                                        ; implicit-def: $vgpr79
	s_cbranch_execz .LBB760_205
; %bb.186:
	s_cmp_lg_u64 s[72:73], 0
	s_cselect_b32 s9, s71, 0
	s_cselect_b32 s8, s70, 0
	s_cmp_lg_u64 s[8:9], 0
	s_cselect_b64 s[6:7], -1, 0
	s_mov_b32 s0, 0
	s_and_b64 s[10:11], s[54:55], s[6:7]
	s_and_saveexec_b64 s[6:7], s[10:11]
	s_cbranch_execz .LBB760_188
; %bb.187:
	v_mov_b32_e32 v2, 0
	global_load_dword v4, v2, s[8:9]
	global_load_ubyte v5, v2, s[8:9] offset:4
	s_mov_b32 s1, 1
	v_and_b32_e32 v3, 1, v11
	v_cmp_gt_u64_e32 vcc, s[0:1], v[10:11]
	s_waitcnt vmcnt(0)
	v_and_b32_e32 v5, 1, v5
	v_cndmask_b32_e32 v4, 0, v4, vcc
	v_cmp_eq_u64_e32 vcc, 0, v[2:3]
	v_add_u32_e32 v10, v4, v10
	s_nop 0
	v_cndmask_b32_e32 v11, 1, v5, vcc
.LBB760_188:
	s_or_b64 exec, exec, s[6:7]
	s_mov_b32 s1, 1
	v_cmp_gt_u64_e32 vcc, s[0:1], v[12:13]
	v_cmp_gt_u64_e64 s[6:7], s[0:1], v[14:15]
	v_cmp_gt_u64_e64 s[8:9], s[0:1], v[16:17]
	v_cndmask_b32_e32 v2, 0, v10, vcc
	v_add_u32_e32 v58, v2, v12
	v_cndmask_b32_e64 v2, 0, v58, s[6:7]
	v_add_u32_e32 v59, v2, v14
	v_cndmask_b32_e64 v2, 0, v59, s[8:9]
	v_add_u32_e32 v60, v2, v16
	v_cmp_gt_u64_e64 s[10:11], s[0:1], v[18:19]
	v_cmp_gt_u64_e64 s[12:13], s[0:1], v[20:21]
	v_cmp_gt_u64_e64 s[14:15], s[0:1], v[22:23]
	v_cndmask_b32_e64 v2, 0, v60, s[10:11]
	v_add_u32_e32 v61, v2, v18
	v_cndmask_b32_e64 v2, 0, v61, s[12:13]
	v_add_u32_e32 v62, v2, v20
	v_cndmask_b32_e64 v2, 0, v62, s[14:15]
	v_add_u32_e32 v63, v2, v22
	v_cmp_gt_u64_e64 s[16:17], s[0:1], v[24:25]
	v_cmp_gt_u64_e64 s[18:19], s[0:1], v[26:27]
	v_cmp_gt_u64_e64 s[20:21], s[0:1], v[28:29]
	v_cndmask_b32_e64 v2, 0, v63, s[16:17]
	;; [unrolled: 9-line block ×6, first 2 shown]
	v_add_u32_e32 v76, v2, v48
	v_cndmask_b32_e64 v2, 0, v76, s[44:45]
	v_add_u32_e32 v77, v2, v50
	v_cndmask_b32_e64 v2, 0, v77, s[46:47]
	v_add_u32_e32 v78, v2, v52
	v_cmp_gt_u64_e64 s[48:49], s[0:1], v[56:57]
	v_add_lshl_u32 v1, v1, v0, 3
	s_nop 0
	v_cndmask_b32_e64 v2, 0, v78, s[48:49]
	v_add_u32_e32 v79, v2, v56
	v_or3_b32 v2, v55, v51, v49
	v_or3_b32 v2, v2, v47, v45
	v_or3_b32 v2, v2, v43, v41
	v_or3_b32 v2, v2, v39, v37
	v_or3_b32 v2, v2, v35, v33
	v_or3_b32 v2, v2, v31, v29
	v_or3_b32 v2, v2, v27, v25
	v_or3_b32 v2, v2, v23, v21
	v_or3_b32 v2, v2, v19, v17
	v_or3_b32 v2, v2, v15, v13
	v_and_b32_e32 v2, 1, v2
	v_cmp_eq_u32_e64 s[0:1], 1, v2
	s_nop 1
	v_cndmask_b32_e64 v4, v11, 1, s[0:1]
	v_cmp_gt_u32_e64 s[0:1], 64, v0
	ds_write_b32 v1, v79
	ds_write_b8 v1, v4 offset:4
	s_waitcnt lgkmcnt(0)
	s_barrier
	s_and_saveexec_b64 s[50:51], s[0:1]
	s_cbranch_execz .LBB760_200
; %bb.189:
	v_lshrrev_b32_e32 v1, 3, v0
	v_add_lshl_u32 v1, v1, v54, 3
	ds_read2_b32 v[6:7], v1 offset0:2 offset1:4
	ds_read_b64 v[2:3], v1
	ds_read_u8 v8, v1 offset:12
	ds_read_u8 v9, v1 offset:20
	ds_read_b32 v13, v1 offset:24
	ds_read_u8 v15, v1 offset:28
	v_mov_b32_e32 v17, 0
	s_waitcnt lgkmcnt(3)
	v_cmp_eq_u16_sdwa s[0:1], v8, v17 src0_sel:BYTE_0 src1_sel:DWORD
	v_and_b32_e32 v5, 1, v3
	s_nop 0
	v_cndmask_b32_e64 v19, 0, v2, s[0:1]
	v_add_u32_e32 v6, v19, v6
	s_waitcnt lgkmcnt(2)
	v_cmp_eq_u16_sdwa s[0:1], v9, v17 src0_sel:BYTE_0 src1_sel:DWORD
	s_nop 1
	v_cndmask_b32_e64 v6, 0, v6, s[0:1]
	v_add_u32_e32 v6, v6, v7
	s_waitcnt lgkmcnt(0)
	v_cmp_eq_u16_e64 s[0:1], 0, v15
	s_nop 1
	v_cndmask_b32_e64 v6, 0, v6, s[0:1]
	v_add_u32_e32 v7, v6, v13
	v_or_b32_e32 v6, v15, v9
	v_or_b32_e32 v6, v6, v8
	v_and_b32_e32 v6, 1, v6
	v_cmp_eq_u32_e64 s[0:1], 1, v6
	v_mbcnt_lo_u32_b32 v8, -1, 0
	v_and_b32_e32 v6, 0xffffff00, v3
	v_cndmask_b32_e64 v9, v5, 1, s[0:1]
	v_mbcnt_hi_u32_b32 v8, -1, v8
	v_and_b32_e32 v15, 15, v8
	v_or_b32_sdwa v13, v6, v9 dst_sel:DWORD dst_unused:UNUSED_PAD src0_sel:DWORD src1_sel:WORD_0
	v_mov_b32_dpp v17, v7 row_shr:1 row_mask:0xf bank_mask:0xf
	v_cmp_ne_u32_e64 s[0:1], 0, v15
	v_mov_b32_dpp v19, v13 row_shr:1 row_mask:0xf bank_mask:0xf
	s_and_saveexec_b64 s[52:53], s[0:1]
; %bb.190:
	v_and_b32_e32 v13, 1, v9
	v_and_b32_e32 v19, 1, v19
	v_cmp_eq_u32_e64 s[0:1], 1, v13
	s_nop 1
	v_cndmask_b32_e64 v19, v19, 1, s[0:1]
	v_cmp_eq_u16_e64 s[0:1], 0, v9
	v_or_b32_sdwa v13, v6, v19 dst_sel:DWORD dst_unused:UNUSED_PAD src0_sel:DWORD src1_sel:WORD_0
	s_nop 0
	v_cndmask_b32_e64 v9, 0, v17, s[0:1]
	v_add_u32_e32 v7, v9, v7
	v_mov_b32_e32 v9, v19
; %bb.191:
	s_or_b64 exec, exec, s[52:53]
	v_mov_b32_dpp v17, v7 row_shr:2 row_mask:0xf bank_mask:0xf
	v_mov_b32_dpp v19, v13 row_shr:2 row_mask:0xf bank_mask:0xf
	v_cmp_lt_u32_e64 s[0:1], 1, v15
	s_and_saveexec_b64 s[52:53], s[0:1]
; %bb.192:
	v_and_b32_e32 v13, 1, v9
	v_and_b32_e32 v19, 1, v19
	v_cmp_eq_u32_e64 s[0:1], 1, v13
	s_nop 1
	v_cndmask_b32_e64 v19, v19, 1, s[0:1]
	v_cmp_eq_u16_e64 s[0:1], 0, v9
	v_or_b32_sdwa v13, v6, v19 dst_sel:DWORD dst_unused:UNUSED_PAD src0_sel:DWORD src1_sel:WORD_0
	s_nop 0
	v_cndmask_b32_e64 v9, 0, v17, s[0:1]
	v_add_u32_e32 v7, v9, v7
	v_mov_b32_e32 v9, v19
; %bb.193:
	s_or_b64 exec, exec, s[52:53]
	v_mov_b32_dpp v17, v7 row_shr:4 row_mask:0xf bank_mask:0xf
	v_mov_b32_dpp v19, v13 row_shr:4 row_mask:0xf bank_mask:0xf
	v_cmp_lt_u32_e64 s[0:1], 3, v15
	;; [unrolled: 18-line block ×3, first 2 shown]
	s_and_saveexec_b64 s[52:53], s[0:1]
; %bb.196:
	v_and_b32_e32 v13, 1, v9
	v_and_b32_e32 v15, 1, v19
	v_cmp_eq_u32_e64 s[0:1], 1, v13
	s_nop 1
	v_cndmask_b32_e64 v15, v15, 1, s[0:1]
	v_cmp_eq_u16_e64 s[0:1], 0, v9
	v_or_b32_sdwa v13, v6, v15 dst_sel:DWORD dst_unused:UNUSED_PAD src0_sel:DWORD src1_sel:WORD_0
	s_nop 0
	v_cndmask_b32_e64 v9, 0, v17, s[0:1]
	v_add_u32_e32 v7, v9, v7
	v_mov_b32_e32 v9, v15
; %bb.197:
	s_or_b64 exec, exec, s[52:53]
	v_and_b32_e32 v19, 16, v8
	v_mov_b32_dpp v15, v7 row_bcast:15 row_mask:0xf bank_mask:0xf
	v_mov_b32_dpp v17, v13 row_bcast:15 row_mask:0xf bank_mask:0xf
	v_cmp_ne_u32_e64 s[0:1], 0, v19
	s_and_saveexec_b64 s[52:53], s[0:1]
; %bb.198:
	v_and_b32_e32 v13, 1, v9
	v_and_b32_e32 v17, 1, v17
	v_cmp_eq_u32_e64 s[0:1], 1, v13
	s_nop 1
	v_cndmask_b32_e64 v17, v17, 1, s[0:1]
	v_cmp_eq_u16_e64 s[0:1], 0, v9
	v_or_b32_sdwa v13, v6, v17 dst_sel:DWORD dst_unused:UNUSED_PAD src0_sel:DWORD src1_sel:WORD_0
	s_nop 0
	v_cndmask_b32_e64 v9, 0, v15, s[0:1]
	v_add_u32_e32 v7, v9, v7
	v_mov_b32_e32 v9, v17
; %bb.199:
	s_or_b64 exec, exec, s[52:53]
	v_mov_b32_dpp v13, v13 row_bcast:31 row_mask:0xf bank_mask:0xf
	v_and_b32_e32 v17, 1, v9
	v_and_b32_e32 v13, 1, v13
	v_cmp_eq_u32_e64 s[0:1], 1, v17
	v_mov_b32_e32 v17, 0
	v_cmp_eq_u16_sdwa s[52:53], v9, v17 src0_sel:BYTE_0 src1_sel:DWORD
	v_cndmask_b32_e64 v13, v13, 1, s[0:1]
	v_cmp_lt_u32_e64 s[0:1], 31, v8
	v_mov_b32_dpp v15, v7 row_bcast:31 row_mask:0xf bank_mask:0xf
	s_movk_i32 s60, 0xff
	v_cndmask_b32_e64 v9, v9, v13, s[0:1]
	s_and_b64 s[0:1], s[0:1], s[52:53]
	v_cndmask_b32_e64 v13, 0, v15, s[0:1]
	v_add_u32_e32 v7, v13, v7
	v_add_u32_e32 v13, -1, v8
	v_and_b32_e32 v15, 64, v8
	v_cmp_lt_i32_e64 s[0:1], v13, v15
	v_and_or_b32 v6, v9, s60, v6
	s_nop 0
	v_cndmask_b32_e64 v8, v13, v8, s[0:1]
	v_lshlrev_b32_e32 v8, 2, v8
	ds_bpermute_b32 v7, v8, v7
	ds_bpermute_b32 v6, v8, v6
	v_cmp_eq_u16_sdwa s[0:1], v3, v17 src0_sel:BYTE_0 src1_sel:DWORD
	; wave barrier
	s_waitcnt lgkmcnt(1)
	s_nop 0
	v_cndmask_b32_e64 v3, 0, v7, s[0:1]
	v_add_u32_e32 v2, v3, v2
	s_waitcnt lgkmcnt(0)
	v_and_b32_e32 v3, 1, v6
	v_cmp_eq_u32_e64 s[0:1], 1, v5
	v_cndmask_b32_e64 v5, v2, v79, s[54:55]
	s_nop 0
	v_cndmask_b32_e64 v3, v3, 1, s[0:1]
	v_cndmask_b32_e64 v4, v3, v4, s[54:55]
	ds_write_b32 v1, v5
	ds_write_b8 v1, v4 offset:4
	; wave barrier
	ds_read_u8 v6, v1 offset:12
	ds_read2_b32 v[2:3], v1 offset0:2 offset1:4
	ds_read_u8 v7, v1 offset:20
	ds_read_b32 v8, v1 offset:24
	ds_read_u8 v9, v1 offset:28
	s_waitcnt lgkmcnt(4)
	v_cmp_eq_u16_e64 s[0:1], 0, v6
	s_nop 1
	v_cndmask_b32_e64 v5, 0, v5, s[0:1]
	s_waitcnt lgkmcnt(3)
	v_add_u32_e32 v2, v5, v2
	v_and_b32_e32 v5, 1, v6
	v_cmp_eq_u32_e64 s[0:1], 1, v5
	s_nop 1
	v_cndmask_b32_e64 v4, v4, 1, s[0:1]
	s_waitcnt lgkmcnt(2)
	v_cmp_eq_u16_e64 s[0:1], 0, v7
	ds_write_b8 v1, v4 offset:12
	s_nop 0
	v_cndmask_b32_e64 v5, 0, v2, s[0:1]
	v_add_u32_e32 v3, v5, v3
	v_and_b32_e32 v5, 1, v7
	v_cmp_eq_u32_e64 s[0:1], 1, v5
	s_nop 1
	v_cndmask_b32_e64 v4, v4, 1, s[0:1]
	s_waitcnt lgkmcnt(1)
	v_cmp_eq_u16_e64 s[0:1], 0, v9
	ds_write2_b32 v1, v2, v3 offset0:2 offset1:4
	ds_write_b8 v1, v4 offset:20
	v_cndmask_b32_e64 v2, 0, v3, s[0:1]
	v_and_b32_e32 v3, 1, v9
	v_add_u32_e32 v2, v2, v8
	v_cmp_eq_u32_e64 s[0:1], 1, v3
	s_nop 1
	v_cndmask_b32_e64 v3, v4, 1, s[0:1]
	ds_write_b32 v1, v2 offset:24
	ds_write_b8 v1, v3 offset:28
.LBB760_200:
	s_or_b64 exec, exec, s[50:51]
	v_mov_b32_e32 v1, v79
	s_waitcnt lgkmcnt(0)
	s_barrier
	s_and_saveexec_b64 s[0:1], s[4:5]
	s_cbranch_execz .LBB760_251
; %bb.201:
	v_add_u32_e32 v1, -1, v0
	v_lshrrev_b32_e32 v2, 5, v1
	v_add_lshl_u32 v1, v2, v1, 3
	ds_read_b32 v1, v1
	s_or_b64 exec, exec, s[0:1]
	s_and_saveexec_b64 s[50:51], s[4:5]
	s_cbranch_execnz .LBB760_252
.LBB760_202:
	s_or_b64 exec, exec, s[50:51]
	s_and_saveexec_b64 s[0:1], s[54:55]
	s_cbranch_execz .LBB760_204
.LBB760_203:
	v_mov_b32_e32 v5, 0
	ds_read_b32 v2, v5 offset:2096
	ds_read_u8 v3, v5 offset:2100
	s_add_u32 s4, s64, 0x400
	s_addc_u32 s5, s65, 0
	v_mov_b32_e32 v4, 2
	v_mov_b64_e32 v[6:7], s[4:5]
	s_waitcnt lgkmcnt(0)
	;;#ASMSTART
	global_store_dwordx4 v[6:7], v[2:5] off sc1	
s_waitcnt vmcnt(0)
	;;#ASMEND
.LBB760_204:
	s_or_b64 exec, exec, s[0:1]
	v_mov_b32_e32 v80, v10
.LBB760_205:
	s_add_u32 s0, s62, s58
	s_addc_u32 s1, s63, s59
	s_add_u32 s0, s0, s56
	s_addc_u32 s1, s1, s57
	s_and_b64 vcc, exec, s[2:3]
	s_cbranch_vccz .LBB760_253
; %bb.206:
	s_movk_i32 s2, 0x5c
	v_mul_i32_i24_e32 v26, 0xffffffa8, v0
	s_waitcnt lgkmcnt(0)
	v_mul_u32_u24_e32 v1, 0x5c, v0
	v_mad_u32_u24 v2, v0, s2, v26
	s_barrier
	ds_write2_b32 v1, v80, v58 offset1:1
	ds_write2_b32 v1, v59, v60 offset0:2 offset1:3
	ds_write2_b32 v1, v61, v62 offset0:4 offset1:5
	;; [unrolled: 1-line block ×10, first 2 shown]
	ds_write_b32 v1, v79 offset:88
	s_waitcnt lgkmcnt(0)
	s_barrier
	ds_read2st64_b32 v[24:25], v2 offset0:4 offset1:8
	ds_read2st64_b32 v[22:23], v2 offset0:12 offset1:16
	;; [unrolled: 1-line block ×11, first 2 shown]
	s_add_i32 s33, s33, s66
	v_mov_b32_e32 v55, 0
	v_lshl_add_u64 v[4:5], s[0:1], 0, v[54:55]
	v_cmp_gt_u32_e32 vcc, s33, v0
	s_and_saveexec_b64 s[2:3], vcc
	s_cbranch_execz .LBB760_208
; %bb.207:
	v_add_u32_e32 v1, v1, v26
	ds_read_b32 v1, v1
	s_waitcnt lgkmcnt(0)
	flat_store_dword v[4:5], v1
.LBB760_208:
	s_or_b64 exec, exec, s[2:3]
	v_or_b32_e32 v1, 0x100, v0
	v_cmp_gt_u32_e32 vcc, s33, v1
	s_and_saveexec_b64 s[2:3], vcc
	s_cbranch_execz .LBB760_210
; %bb.209:
	s_waitcnt lgkmcnt(0)
	flat_store_dword v[4:5], v24 offset:1024
.LBB760_210:
	s_or_b64 exec, exec, s[2:3]
	v_or_b32_e32 v1, 0x200, v0
	v_cmp_gt_u32_e32 vcc, s33, v1
	s_and_saveexec_b64 s[2:3], vcc
	s_cbranch_execz .LBB760_212
; %bb.211:
	s_waitcnt lgkmcnt(0)
	flat_store_dword v[4:5], v25 offset:2048
.LBB760_212:
	;; [unrolled: 9-line block ×3, first 2 shown]
	s_or_b64 exec, exec, s[2:3]
	v_or_b32_e32 v1, 0x400, v0
	v_cmp_gt_u32_e32 vcc, s33, v1
	s_and_saveexec_b64 s[2:3], vcc
	s_cbranch_execz .LBB760_216
; %bb.215:
	s_waitcnt lgkmcnt(0)
	v_add_co_u32_e32 v24, vcc, 0x1000, v4
	s_nop 1
	v_addc_co_u32_e32 v25, vcc, 0, v5, vcc
	flat_store_dword v[24:25], v23
.LBB760_216:
	s_or_b64 exec, exec, s[2:3]
	v_or_b32_e32 v1, 0x500, v0
	v_cmp_gt_u32_e32 vcc, s33, v1
	s_and_saveexec_b64 s[2:3], vcc
	s_cbranch_execz .LBB760_218
; %bb.217:
	s_waitcnt lgkmcnt(0)
	v_add_co_u32_e32 v22, vcc, 0x1000, v4
	s_nop 1
	v_addc_co_u32_e32 v23, vcc, 0, v5, vcc
	flat_store_dword v[22:23], v20 offset:1024
.LBB760_218:
	s_or_b64 exec, exec, s[2:3]
	v_or_b32_e32 v1, 0x600, v0
	v_cmp_gt_u32_e32 vcc, s33, v1
	s_and_saveexec_b64 s[2:3], vcc
	s_cbranch_execz .LBB760_220
; %bb.219:
	s_waitcnt lgkmcnt(0)
	v_add_co_u32_e32 v22, vcc, 0x1000, v4
	s_nop 1
	v_addc_co_u32_e32 v23, vcc, 0, v5, vcc
	flat_store_dword v[22:23], v21 offset:2048
.LBB760_220:
	s_or_b64 exec, exec, s[2:3]
	v_or_b32_e32 v1, 0x700, v0
	v_cmp_gt_u32_e32 vcc, s33, v1
	s_and_saveexec_b64 s[2:3], vcc
	s_cbranch_execz .LBB760_222
; %bb.221:
	s_waitcnt lgkmcnt(0)
	v_add_co_u32_e32 v20, vcc, 0x1000, v4
	s_nop 1
	v_addc_co_u32_e32 v21, vcc, 0, v5, vcc
	flat_store_dword v[20:21], v18 offset:3072
.LBB760_222:
	s_or_b64 exec, exec, s[2:3]
	v_or_b32_e32 v1, 0x800, v0
	v_cmp_gt_u32_e32 vcc, s33, v1
	s_and_saveexec_b64 s[2:3], vcc
	s_cbranch_execz .LBB760_224
; %bb.223:
	s_waitcnt lgkmcnt(0)
	v_add_co_u32_e32 v20, vcc, 0x2000, v4
	s_nop 1
	v_addc_co_u32_e32 v21, vcc, 0, v5, vcc
	flat_store_dword v[20:21], v19
.LBB760_224:
	s_or_b64 exec, exec, s[2:3]
	v_or_b32_e32 v1, 0x900, v0
	v_cmp_gt_u32_e32 vcc, s33, v1
	s_and_saveexec_b64 s[2:3], vcc
	s_cbranch_execz .LBB760_226
; %bb.225:
	s_waitcnt lgkmcnt(0)
	v_add_co_u32_e32 v18, vcc, 0x2000, v4
	s_nop 1
	v_addc_co_u32_e32 v19, vcc, 0, v5, vcc
	flat_store_dword v[18:19], v16 offset:1024
.LBB760_226:
	s_or_b64 exec, exec, s[2:3]
	v_or_b32_e32 v1, 0xa00, v0
	v_cmp_gt_u32_e32 vcc, s33, v1
	s_and_saveexec_b64 s[2:3], vcc
	s_cbranch_execz .LBB760_228
; %bb.227:
	s_waitcnt lgkmcnt(0)
	v_add_co_u32_e32 v18, vcc, 0x2000, v4
	s_nop 1
	v_addc_co_u32_e32 v19, vcc, 0, v5, vcc
	flat_store_dword v[18:19], v17 offset:2048
.LBB760_228:
	s_or_b64 exec, exec, s[2:3]
	v_or_b32_e32 v1, 0xb00, v0
	v_cmp_gt_u32_e32 vcc, s33, v1
	s_and_saveexec_b64 s[2:3], vcc
	s_cbranch_execz .LBB760_230
; %bb.229:
	s_waitcnt lgkmcnt(0)
	v_add_co_u32_e32 v16, vcc, 0x2000, v4
	s_nop 1
	v_addc_co_u32_e32 v17, vcc, 0, v5, vcc
	flat_store_dword v[16:17], v14 offset:3072
.LBB760_230:
	;; [unrolled: 48-line block ×4, first 2 shown]
	s_or_b64 exec, exec, s[2:3]
	v_or_b32_e32 v1, 0x1400, v0
	v_cmp_gt_u32_e32 vcc, s33, v1
	s_and_saveexec_b64 s[2:3], vcc
	s_cbranch_execz .LBB760_248
; %bb.247:
	s_waitcnt lgkmcnt(0)
	v_add_co_u32_e32 v8, vcc, 0x5000, v4
	s_nop 1
	v_addc_co_u32_e32 v9, vcc, 0, v5, vcc
	flat_store_dword v[8:9], v7
.LBB760_248:
	s_or_b64 exec, exec, s[2:3]
	v_or_b32_e32 v1, 0x1500, v0
	v_cmp_gt_u32_e32 vcc, s33, v1
	s_and_saveexec_b64 s[2:3], vcc
	s_cbranch_execz .LBB760_250
; %bb.249:
	v_add_co_u32_e32 v4, vcc, 0x5000, v4
	s_nop 1
	v_addc_co_u32_e32 v5, vcc, 0, v5, vcc
	s_waitcnt lgkmcnt(0)
	flat_store_dword v[4:5], v2 offset:1024
.LBB760_250:
	s_or_b64 exec, exec, s[2:3]
	s_waitcnt lgkmcnt(0)
	v_or_b32_e32 v2, 0x1600, v0
	v_mov_b32_e32 v1, v55
	v_cmp_gt_u32_e64 s[2:3], s33, v2
	s_branch .LBB760_255
.LBB760_251:
	s_or_b64 exec, exec, s[0:1]
	s_and_saveexec_b64 s[50:51], s[4:5]
	s_cbranch_execz .LBB760_202
.LBB760_252:
	v_and_b32_e32 v3, 0xff, v11
	v_mov_b32_e32 v2, 0
	v_cmp_eq_u64_e64 s[0:1], 0, v[2:3]
	;;#ASMSTART
	;;#ASMEND
	s_waitcnt lgkmcnt(0)
	s_nop 0
	v_cndmask_b32_e64 v1, 0, v1, s[0:1]
	v_add_u32_e32 v10, v1, v10
	v_cndmask_b32_e32 v1, 0, v10, vcc
	v_add_u32_e32 v58, v1, v12
	v_cndmask_b32_e64 v1, 0, v58, s[6:7]
	v_add_u32_e32 v59, v1, v14
	v_cndmask_b32_e64 v1, 0, v59, s[8:9]
	;; [unrolled: 2-line block ×21, first 2 shown]
	v_add_u32_e32 v79, v1, v56
	s_or_b64 exec, exec, s[50:51]
	s_and_saveexec_b64 s[0:1], s[54:55]
	s_cbranch_execnz .LBB760_203
	s_branch .LBB760_204
.LBB760_253:
	s_mov_b64 s[2:3], 0
                                        ; implicit-def: $vgpr3
	s_cbranch_execz .LBB760_255
; %bb.254:
	s_waitcnt lgkmcnt(0)
	v_mul_u32_u24_e32 v1, 0x5c, v0
	s_barrier
	s_movk_i32 s4, 0x5c
	ds_write2_b32 v1, v80, v58 offset1:1
	ds_write2_b32 v1, v59, v60 offset0:2 offset1:3
	ds_write2_b32 v1, v61, v62 offset0:4 offset1:5
	;; [unrolled: 1-line block ×10, first 2 shown]
	ds_write_b32 v1, v79 offset:88
	v_mov_b32_e32 v1, 0
	v_mul_i32_i24_e32 v2, 0xffffffa8, v0
	v_mad_u32_u24 v2, v0, s4, v2
	v_mov_b32_e32 v55, v1
	s_waitcnt lgkmcnt(0)
	s_barrier
	ds_read2st64_b32 v[4:5], v2 offset1:4
	ds_read2st64_b32 v[6:7], v2 offset0:8 offset1:12
	ds_read2st64_b32 v[8:9], v2 offset0:16 offset1:20
	;; [unrolled: 1-line block ×10, first 2 shown]
	ds_read_b32 v3, v2 offset:22528
	v_lshl_add_u64 v[26:27], s[0:1], 0, v[54:55]
	s_movk_i32 s4, 0x1000
	s_waitcnt lgkmcnt(0)
	flat_store_dword v[26:27], v4
	flat_store_dword v[26:27], v5 offset:1024
	flat_store_dword v[26:27], v6 offset:2048
	;; [unrolled: 1-line block ×3, first 2 shown]
	v_add_co_u32_e32 v4, vcc, s4, v26
	s_movk_i32 s4, 0x2000
	s_nop 0
	v_addc_co_u32_e32 v5, vcc, 0, v27, vcc
	flat_store_dword v[4:5], v8
	flat_store_dword v[4:5], v9 offset:1024
	flat_store_dword v[4:5], v10 offset:2048
	flat_store_dword v[4:5], v11 offset:3072
	v_add_co_u32_e32 v4, vcc, s4, v26
	s_movk_i32 s4, 0x3000
	s_nop 0
	v_addc_co_u32_e32 v5, vcc, 0, v27, vcc
	flat_store_dword v[4:5], v12
	flat_store_dword v[4:5], v13 offset:1024
	flat_store_dword v[4:5], v14 offset:2048
	;; [unrolled: 1-line block ×3, first 2 shown]
	v_add_co_u32_e32 v4, vcc, s4, v26
	s_or_b64 s[2:3], s[2:3], exec
	s_nop 0
	v_addc_co_u32_e32 v5, vcc, 0, v27, vcc
	flat_store_dword v[4:5], v16
	flat_store_dword v[4:5], v17 offset:1024
	flat_store_dword v[4:5], v18 offset:2048
	;; [unrolled: 1-line block ×3, first 2 shown]
	v_add_co_u32_e32 v4, vcc, 0x4000, v26
	s_nop 1
	v_addc_co_u32_e32 v5, vcc, 0, v27, vcc
	flat_store_dword v[4:5], v20
	flat_store_dword v[4:5], v21 offset:1024
	flat_store_dword v[4:5], v22 offset:2048
	;; [unrolled: 1-line block ×3, first 2 shown]
	v_add_co_u32_e32 v4, vcc, 0x5000, v26
	s_nop 1
	v_addc_co_u32_e32 v5, vcc, 0, v27, vcc
	flat_store_dword v[4:5], v24
	flat_store_dword v[4:5], v25 offset:1024
.LBB760_255:
	s_and_saveexec_b64 s[4:5], s[2:3]
	s_cbranch_execz .LBB760_257
; %bb.256:
	s_waitcnt lgkmcnt(0)
	v_lshl_add_u64 v[0:1], v[0:1], 2, s[0:1]
	v_add_co_u32_e32 v0, vcc, 0x5000, v0
	s_nop 1
	v_addc_co_u32_e32 v1, vcc, 0, v1, vcc
	flat_store_dword v[0:1], v3 offset:2048
	s_endpgm
.LBB760_257:
	s_endpgm
	.section	.rodata,"a",@progbits
	.p2align	6, 0x0
	.amdhsa_kernel _ZN7rocprim17ROCPRIM_400000_NS6detail17trampoline_kernelINS0_14default_configENS1_27scan_by_key_config_selectorIiiEEZZNS1_16scan_by_key_implILNS1_25lookback_scan_determinismE0ELb0ES3_N6thrust23THRUST_200600_302600_NS6detail15normal_iteratorINS9_10device_ptrIiEEEESE_SE_iNS9_4plusIiEE19head_flag_predicateiEE10hipError_tPvRmT2_T3_T4_T5_mT6_T7_P12ihipStream_tbENKUlT_T0_E_clISt17integral_constantIbLb1EESY_EEDaST_SU_EUlST_E_NS1_11comp_targetILNS1_3genE5ELNS1_11target_archE942ELNS1_3gpuE9ELNS1_3repE0EEENS1_30default_config_static_selectorELNS0_4arch9wavefront6targetE1EEEvT1_
		.amdhsa_group_segment_fixed_size 25600
		.amdhsa_private_segment_fixed_size 0
		.amdhsa_kernarg_size 112
		.amdhsa_user_sgpr_count 2
		.amdhsa_user_sgpr_dispatch_ptr 0
		.amdhsa_user_sgpr_queue_ptr 0
		.amdhsa_user_sgpr_kernarg_segment_ptr 1
		.amdhsa_user_sgpr_dispatch_id 0
		.amdhsa_user_sgpr_kernarg_preload_length 0
		.amdhsa_user_sgpr_kernarg_preload_offset 0
		.amdhsa_user_sgpr_private_segment_size 0
		.amdhsa_uses_dynamic_stack 0
		.amdhsa_enable_private_segment 0
		.amdhsa_system_sgpr_workgroup_id_x 1
		.amdhsa_system_sgpr_workgroup_id_y 0
		.amdhsa_system_sgpr_workgroup_id_z 0
		.amdhsa_system_sgpr_workgroup_info 0
		.amdhsa_system_vgpr_workitem_id 0
		.amdhsa_next_free_vgpr 81
		.amdhsa_next_free_sgpr 82
		.amdhsa_accum_offset 84
		.amdhsa_reserve_vcc 1
		.amdhsa_float_round_mode_32 0
		.amdhsa_float_round_mode_16_64 0
		.amdhsa_float_denorm_mode_32 3
		.amdhsa_float_denorm_mode_16_64 3
		.amdhsa_dx10_clamp 1
		.amdhsa_ieee_mode 1
		.amdhsa_fp16_overflow 0
		.amdhsa_tg_split 0
		.amdhsa_exception_fp_ieee_invalid_op 0
		.amdhsa_exception_fp_denorm_src 0
		.amdhsa_exception_fp_ieee_div_zero 0
		.amdhsa_exception_fp_ieee_overflow 0
		.amdhsa_exception_fp_ieee_underflow 0
		.amdhsa_exception_fp_ieee_inexact 0
		.amdhsa_exception_int_div_zero 0
	.end_amdhsa_kernel
	.section	.text._ZN7rocprim17ROCPRIM_400000_NS6detail17trampoline_kernelINS0_14default_configENS1_27scan_by_key_config_selectorIiiEEZZNS1_16scan_by_key_implILNS1_25lookback_scan_determinismE0ELb0ES3_N6thrust23THRUST_200600_302600_NS6detail15normal_iteratorINS9_10device_ptrIiEEEESE_SE_iNS9_4plusIiEE19head_flag_predicateiEE10hipError_tPvRmT2_T3_T4_T5_mT6_T7_P12ihipStream_tbENKUlT_T0_E_clISt17integral_constantIbLb1EESY_EEDaST_SU_EUlST_E_NS1_11comp_targetILNS1_3genE5ELNS1_11target_archE942ELNS1_3gpuE9ELNS1_3repE0EEENS1_30default_config_static_selectorELNS0_4arch9wavefront6targetE1EEEvT1_,"axG",@progbits,_ZN7rocprim17ROCPRIM_400000_NS6detail17trampoline_kernelINS0_14default_configENS1_27scan_by_key_config_selectorIiiEEZZNS1_16scan_by_key_implILNS1_25lookback_scan_determinismE0ELb0ES3_N6thrust23THRUST_200600_302600_NS6detail15normal_iteratorINS9_10device_ptrIiEEEESE_SE_iNS9_4plusIiEE19head_flag_predicateiEE10hipError_tPvRmT2_T3_T4_T5_mT6_T7_P12ihipStream_tbENKUlT_T0_E_clISt17integral_constantIbLb1EESY_EEDaST_SU_EUlST_E_NS1_11comp_targetILNS1_3genE5ELNS1_11target_archE942ELNS1_3gpuE9ELNS1_3repE0EEENS1_30default_config_static_selectorELNS0_4arch9wavefront6targetE1EEEvT1_,comdat
.Lfunc_end760:
	.size	_ZN7rocprim17ROCPRIM_400000_NS6detail17trampoline_kernelINS0_14default_configENS1_27scan_by_key_config_selectorIiiEEZZNS1_16scan_by_key_implILNS1_25lookback_scan_determinismE0ELb0ES3_N6thrust23THRUST_200600_302600_NS6detail15normal_iteratorINS9_10device_ptrIiEEEESE_SE_iNS9_4plusIiEE19head_flag_predicateiEE10hipError_tPvRmT2_T3_T4_T5_mT6_T7_P12ihipStream_tbENKUlT_T0_E_clISt17integral_constantIbLb1EESY_EEDaST_SU_EUlST_E_NS1_11comp_targetILNS1_3genE5ELNS1_11target_archE942ELNS1_3gpuE9ELNS1_3repE0EEENS1_30default_config_static_selectorELNS0_4arch9wavefront6targetE1EEEvT1_, .Lfunc_end760-_ZN7rocprim17ROCPRIM_400000_NS6detail17trampoline_kernelINS0_14default_configENS1_27scan_by_key_config_selectorIiiEEZZNS1_16scan_by_key_implILNS1_25lookback_scan_determinismE0ELb0ES3_N6thrust23THRUST_200600_302600_NS6detail15normal_iteratorINS9_10device_ptrIiEEEESE_SE_iNS9_4plusIiEE19head_flag_predicateiEE10hipError_tPvRmT2_T3_T4_T5_mT6_T7_P12ihipStream_tbENKUlT_T0_E_clISt17integral_constantIbLb1EESY_EEDaST_SU_EUlST_E_NS1_11comp_targetILNS1_3genE5ELNS1_11target_archE942ELNS1_3gpuE9ELNS1_3repE0EEENS1_30default_config_static_selectorELNS0_4arch9wavefront6targetE1EEEvT1_
                                        ; -- End function
	.section	.AMDGPU.csdata,"",@progbits
; Kernel info:
; codeLenInByte = 15360
; NumSgprs: 88
; NumVgprs: 81
; NumAgprs: 0
; TotalNumVgprs: 81
; ScratchSize: 0
; MemoryBound: 0
; FloatMode: 240
; IeeeMode: 1
; LDSByteSize: 25600 bytes/workgroup (compile time only)
; SGPRBlocks: 10
; VGPRBlocks: 10
; NumSGPRsForWavesPerEU: 88
; NumVGPRsForWavesPerEU: 81
; AccumOffset: 84
; Occupancy: 2
; WaveLimiterHint : 1
; COMPUTE_PGM_RSRC2:SCRATCH_EN: 0
; COMPUTE_PGM_RSRC2:USER_SGPR: 2
; COMPUTE_PGM_RSRC2:TRAP_HANDLER: 0
; COMPUTE_PGM_RSRC2:TGID_X_EN: 1
; COMPUTE_PGM_RSRC2:TGID_Y_EN: 0
; COMPUTE_PGM_RSRC2:TGID_Z_EN: 0
; COMPUTE_PGM_RSRC2:TIDIG_COMP_CNT: 0
; COMPUTE_PGM_RSRC3_GFX90A:ACCUM_OFFSET: 20
; COMPUTE_PGM_RSRC3_GFX90A:TG_SPLIT: 0
	.section	.text._ZN7rocprim17ROCPRIM_400000_NS6detail17trampoline_kernelINS0_14default_configENS1_27scan_by_key_config_selectorIiiEEZZNS1_16scan_by_key_implILNS1_25lookback_scan_determinismE0ELb0ES3_N6thrust23THRUST_200600_302600_NS6detail15normal_iteratorINS9_10device_ptrIiEEEESE_SE_iNS9_4plusIiEE19head_flag_predicateiEE10hipError_tPvRmT2_T3_T4_T5_mT6_T7_P12ihipStream_tbENKUlT_T0_E_clISt17integral_constantIbLb1EESY_EEDaST_SU_EUlST_E_NS1_11comp_targetILNS1_3genE4ELNS1_11target_archE910ELNS1_3gpuE8ELNS1_3repE0EEENS1_30default_config_static_selectorELNS0_4arch9wavefront6targetE1EEEvT1_,"axG",@progbits,_ZN7rocprim17ROCPRIM_400000_NS6detail17trampoline_kernelINS0_14default_configENS1_27scan_by_key_config_selectorIiiEEZZNS1_16scan_by_key_implILNS1_25lookback_scan_determinismE0ELb0ES3_N6thrust23THRUST_200600_302600_NS6detail15normal_iteratorINS9_10device_ptrIiEEEESE_SE_iNS9_4plusIiEE19head_flag_predicateiEE10hipError_tPvRmT2_T3_T4_T5_mT6_T7_P12ihipStream_tbENKUlT_T0_E_clISt17integral_constantIbLb1EESY_EEDaST_SU_EUlST_E_NS1_11comp_targetILNS1_3genE4ELNS1_11target_archE910ELNS1_3gpuE8ELNS1_3repE0EEENS1_30default_config_static_selectorELNS0_4arch9wavefront6targetE1EEEvT1_,comdat
	.protected	_ZN7rocprim17ROCPRIM_400000_NS6detail17trampoline_kernelINS0_14default_configENS1_27scan_by_key_config_selectorIiiEEZZNS1_16scan_by_key_implILNS1_25lookback_scan_determinismE0ELb0ES3_N6thrust23THRUST_200600_302600_NS6detail15normal_iteratorINS9_10device_ptrIiEEEESE_SE_iNS9_4plusIiEE19head_flag_predicateiEE10hipError_tPvRmT2_T3_T4_T5_mT6_T7_P12ihipStream_tbENKUlT_T0_E_clISt17integral_constantIbLb1EESY_EEDaST_SU_EUlST_E_NS1_11comp_targetILNS1_3genE4ELNS1_11target_archE910ELNS1_3gpuE8ELNS1_3repE0EEENS1_30default_config_static_selectorELNS0_4arch9wavefront6targetE1EEEvT1_ ; -- Begin function _ZN7rocprim17ROCPRIM_400000_NS6detail17trampoline_kernelINS0_14default_configENS1_27scan_by_key_config_selectorIiiEEZZNS1_16scan_by_key_implILNS1_25lookback_scan_determinismE0ELb0ES3_N6thrust23THRUST_200600_302600_NS6detail15normal_iteratorINS9_10device_ptrIiEEEESE_SE_iNS9_4plusIiEE19head_flag_predicateiEE10hipError_tPvRmT2_T3_T4_T5_mT6_T7_P12ihipStream_tbENKUlT_T0_E_clISt17integral_constantIbLb1EESY_EEDaST_SU_EUlST_E_NS1_11comp_targetILNS1_3genE4ELNS1_11target_archE910ELNS1_3gpuE8ELNS1_3repE0EEENS1_30default_config_static_selectorELNS0_4arch9wavefront6targetE1EEEvT1_
	.globl	_ZN7rocprim17ROCPRIM_400000_NS6detail17trampoline_kernelINS0_14default_configENS1_27scan_by_key_config_selectorIiiEEZZNS1_16scan_by_key_implILNS1_25lookback_scan_determinismE0ELb0ES3_N6thrust23THRUST_200600_302600_NS6detail15normal_iteratorINS9_10device_ptrIiEEEESE_SE_iNS9_4plusIiEE19head_flag_predicateiEE10hipError_tPvRmT2_T3_T4_T5_mT6_T7_P12ihipStream_tbENKUlT_T0_E_clISt17integral_constantIbLb1EESY_EEDaST_SU_EUlST_E_NS1_11comp_targetILNS1_3genE4ELNS1_11target_archE910ELNS1_3gpuE8ELNS1_3repE0EEENS1_30default_config_static_selectorELNS0_4arch9wavefront6targetE1EEEvT1_
	.p2align	8
	.type	_ZN7rocprim17ROCPRIM_400000_NS6detail17trampoline_kernelINS0_14default_configENS1_27scan_by_key_config_selectorIiiEEZZNS1_16scan_by_key_implILNS1_25lookback_scan_determinismE0ELb0ES3_N6thrust23THRUST_200600_302600_NS6detail15normal_iteratorINS9_10device_ptrIiEEEESE_SE_iNS9_4plusIiEE19head_flag_predicateiEE10hipError_tPvRmT2_T3_T4_T5_mT6_T7_P12ihipStream_tbENKUlT_T0_E_clISt17integral_constantIbLb1EESY_EEDaST_SU_EUlST_E_NS1_11comp_targetILNS1_3genE4ELNS1_11target_archE910ELNS1_3gpuE8ELNS1_3repE0EEENS1_30default_config_static_selectorELNS0_4arch9wavefront6targetE1EEEvT1_,@function
_ZN7rocprim17ROCPRIM_400000_NS6detail17trampoline_kernelINS0_14default_configENS1_27scan_by_key_config_selectorIiiEEZZNS1_16scan_by_key_implILNS1_25lookback_scan_determinismE0ELb0ES3_N6thrust23THRUST_200600_302600_NS6detail15normal_iteratorINS9_10device_ptrIiEEEESE_SE_iNS9_4plusIiEE19head_flag_predicateiEE10hipError_tPvRmT2_T3_T4_T5_mT6_T7_P12ihipStream_tbENKUlT_T0_E_clISt17integral_constantIbLb1EESY_EEDaST_SU_EUlST_E_NS1_11comp_targetILNS1_3genE4ELNS1_11target_archE910ELNS1_3gpuE8ELNS1_3repE0EEENS1_30default_config_static_selectorELNS0_4arch9wavefront6targetE1EEEvT1_: ; @_ZN7rocprim17ROCPRIM_400000_NS6detail17trampoline_kernelINS0_14default_configENS1_27scan_by_key_config_selectorIiiEEZZNS1_16scan_by_key_implILNS1_25lookback_scan_determinismE0ELb0ES3_N6thrust23THRUST_200600_302600_NS6detail15normal_iteratorINS9_10device_ptrIiEEEESE_SE_iNS9_4plusIiEE19head_flag_predicateiEE10hipError_tPvRmT2_T3_T4_T5_mT6_T7_P12ihipStream_tbENKUlT_T0_E_clISt17integral_constantIbLb1EESY_EEDaST_SU_EUlST_E_NS1_11comp_targetILNS1_3genE4ELNS1_11target_archE910ELNS1_3gpuE8ELNS1_3repE0EEENS1_30default_config_static_selectorELNS0_4arch9wavefront6targetE1EEEvT1_
; %bb.0:
	.section	.rodata,"a",@progbits
	.p2align	6, 0x0
	.amdhsa_kernel _ZN7rocprim17ROCPRIM_400000_NS6detail17trampoline_kernelINS0_14default_configENS1_27scan_by_key_config_selectorIiiEEZZNS1_16scan_by_key_implILNS1_25lookback_scan_determinismE0ELb0ES3_N6thrust23THRUST_200600_302600_NS6detail15normal_iteratorINS9_10device_ptrIiEEEESE_SE_iNS9_4plusIiEE19head_flag_predicateiEE10hipError_tPvRmT2_T3_T4_T5_mT6_T7_P12ihipStream_tbENKUlT_T0_E_clISt17integral_constantIbLb1EESY_EEDaST_SU_EUlST_E_NS1_11comp_targetILNS1_3genE4ELNS1_11target_archE910ELNS1_3gpuE8ELNS1_3repE0EEENS1_30default_config_static_selectorELNS0_4arch9wavefront6targetE1EEEvT1_
		.amdhsa_group_segment_fixed_size 0
		.amdhsa_private_segment_fixed_size 0
		.amdhsa_kernarg_size 112
		.amdhsa_user_sgpr_count 2
		.amdhsa_user_sgpr_dispatch_ptr 0
		.amdhsa_user_sgpr_queue_ptr 0
		.amdhsa_user_sgpr_kernarg_segment_ptr 1
		.amdhsa_user_sgpr_dispatch_id 0
		.amdhsa_user_sgpr_kernarg_preload_length 0
		.amdhsa_user_sgpr_kernarg_preload_offset 0
		.amdhsa_user_sgpr_private_segment_size 0
		.amdhsa_uses_dynamic_stack 0
		.amdhsa_enable_private_segment 0
		.amdhsa_system_sgpr_workgroup_id_x 1
		.amdhsa_system_sgpr_workgroup_id_y 0
		.amdhsa_system_sgpr_workgroup_id_z 0
		.amdhsa_system_sgpr_workgroup_info 0
		.amdhsa_system_vgpr_workitem_id 0
		.amdhsa_next_free_vgpr 1
		.amdhsa_next_free_sgpr 0
		.amdhsa_accum_offset 4
		.amdhsa_reserve_vcc 0
		.amdhsa_float_round_mode_32 0
		.amdhsa_float_round_mode_16_64 0
		.amdhsa_float_denorm_mode_32 3
		.amdhsa_float_denorm_mode_16_64 3
		.amdhsa_dx10_clamp 1
		.amdhsa_ieee_mode 1
		.amdhsa_fp16_overflow 0
		.amdhsa_tg_split 0
		.amdhsa_exception_fp_ieee_invalid_op 0
		.amdhsa_exception_fp_denorm_src 0
		.amdhsa_exception_fp_ieee_div_zero 0
		.amdhsa_exception_fp_ieee_overflow 0
		.amdhsa_exception_fp_ieee_underflow 0
		.amdhsa_exception_fp_ieee_inexact 0
		.amdhsa_exception_int_div_zero 0
	.end_amdhsa_kernel
	.section	.text._ZN7rocprim17ROCPRIM_400000_NS6detail17trampoline_kernelINS0_14default_configENS1_27scan_by_key_config_selectorIiiEEZZNS1_16scan_by_key_implILNS1_25lookback_scan_determinismE0ELb0ES3_N6thrust23THRUST_200600_302600_NS6detail15normal_iteratorINS9_10device_ptrIiEEEESE_SE_iNS9_4plusIiEE19head_flag_predicateiEE10hipError_tPvRmT2_T3_T4_T5_mT6_T7_P12ihipStream_tbENKUlT_T0_E_clISt17integral_constantIbLb1EESY_EEDaST_SU_EUlST_E_NS1_11comp_targetILNS1_3genE4ELNS1_11target_archE910ELNS1_3gpuE8ELNS1_3repE0EEENS1_30default_config_static_selectorELNS0_4arch9wavefront6targetE1EEEvT1_,"axG",@progbits,_ZN7rocprim17ROCPRIM_400000_NS6detail17trampoline_kernelINS0_14default_configENS1_27scan_by_key_config_selectorIiiEEZZNS1_16scan_by_key_implILNS1_25lookback_scan_determinismE0ELb0ES3_N6thrust23THRUST_200600_302600_NS6detail15normal_iteratorINS9_10device_ptrIiEEEESE_SE_iNS9_4plusIiEE19head_flag_predicateiEE10hipError_tPvRmT2_T3_T4_T5_mT6_T7_P12ihipStream_tbENKUlT_T0_E_clISt17integral_constantIbLb1EESY_EEDaST_SU_EUlST_E_NS1_11comp_targetILNS1_3genE4ELNS1_11target_archE910ELNS1_3gpuE8ELNS1_3repE0EEENS1_30default_config_static_selectorELNS0_4arch9wavefront6targetE1EEEvT1_,comdat
.Lfunc_end761:
	.size	_ZN7rocprim17ROCPRIM_400000_NS6detail17trampoline_kernelINS0_14default_configENS1_27scan_by_key_config_selectorIiiEEZZNS1_16scan_by_key_implILNS1_25lookback_scan_determinismE0ELb0ES3_N6thrust23THRUST_200600_302600_NS6detail15normal_iteratorINS9_10device_ptrIiEEEESE_SE_iNS9_4plusIiEE19head_flag_predicateiEE10hipError_tPvRmT2_T3_T4_T5_mT6_T7_P12ihipStream_tbENKUlT_T0_E_clISt17integral_constantIbLb1EESY_EEDaST_SU_EUlST_E_NS1_11comp_targetILNS1_3genE4ELNS1_11target_archE910ELNS1_3gpuE8ELNS1_3repE0EEENS1_30default_config_static_selectorELNS0_4arch9wavefront6targetE1EEEvT1_, .Lfunc_end761-_ZN7rocprim17ROCPRIM_400000_NS6detail17trampoline_kernelINS0_14default_configENS1_27scan_by_key_config_selectorIiiEEZZNS1_16scan_by_key_implILNS1_25lookback_scan_determinismE0ELb0ES3_N6thrust23THRUST_200600_302600_NS6detail15normal_iteratorINS9_10device_ptrIiEEEESE_SE_iNS9_4plusIiEE19head_flag_predicateiEE10hipError_tPvRmT2_T3_T4_T5_mT6_T7_P12ihipStream_tbENKUlT_T0_E_clISt17integral_constantIbLb1EESY_EEDaST_SU_EUlST_E_NS1_11comp_targetILNS1_3genE4ELNS1_11target_archE910ELNS1_3gpuE8ELNS1_3repE0EEENS1_30default_config_static_selectorELNS0_4arch9wavefront6targetE1EEEvT1_
                                        ; -- End function
	.section	.AMDGPU.csdata,"",@progbits
; Kernel info:
; codeLenInByte = 0
; NumSgprs: 6
; NumVgprs: 0
; NumAgprs: 0
; TotalNumVgprs: 0
; ScratchSize: 0
; MemoryBound: 0
; FloatMode: 240
; IeeeMode: 1
; LDSByteSize: 0 bytes/workgroup (compile time only)
; SGPRBlocks: 0
; VGPRBlocks: 0
; NumSGPRsForWavesPerEU: 6
; NumVGPRsForWavesPerEU: 1
; AccumOffset: 4
; Occupancy: 8
; WaveLimiterHint : 0
; COMPUTE_PGM_RSRC2:SCRATCH_EN: 0
; COMPUTE_PGM_RSRC2:USER_SGPR: 2
; COMPUTE_PGM_RSRC2:TRAP_HANDLER: 0
; COMPUTE_PGM_RSRC2:TGID_X_EN: 1
; COMPUTE_PGM_RSRC2:TGID_Y_EN: 0
; COMPUTE_PGM_RSRC2:TGID_Z_EN: 0
; COMPUTE_PGM_RSRC2:TIDIG_COMP_CNT: 0
; COMPUTE_PGM_RSRC3_GFX90A:ACCUM_OFFSET: 0
; COMPUTE_PGM_RSRC3_GFX90A:TG_SPLIT: 0
	.section	.text._ZN7rocprim17ROCPRIM_400000_NS6detail17trampoline_kernelINS0_14default_configENS1_27scan_by_key_config_selectorIiiEEZZNS1_16scan_by_key_implILNS1_25lookback_scan_determinismE0ELb0ES3_N6thrust23THRUST_200600_302600_NS6detail15normal_iteratorINS9_10device_ptrIiEEEESE_SE_iNS9_4plusIiEE19head_flag_predicateiEE10hipError_tPvRmT2_T3_T4_T5_mT6_T7_P12ihipStream_tbENKUlT_T0_E_clISt17integral_constantIbLb1EESY_EEDaST_SU_EUlST_E_NS1_11comp_targetILNS1_3genE3ELNS1_11target_archE908ELNS1_3gpuE7ELNS1_3repE0EEENS1_30default_config_static_selectorELNS0_4arch9wavefront6targetE1EEEvT1_,"axG",@progbits,_ZN7rocprim17ROCPRIM_400000_NS6detail17trampoline_kernelINS0_14default_configENS1_27scan_by_key_config_selectorIiiEEZZNS1_16scan_by_key_implILNS1_25lookback_scan_determinismE0ELb0ES3_N6thrust23THRUST_200600_302600_NS6detail15normal_iteratorINS9_10device_ptrIiEEEESE_SE_iNS9_4plusIiEE19head_flag_predicateiEE10hipError_tPvRmT2_T3_T4_T5_mT6_T7_P12ihipStream_tbENKUlT_T0_E_clISt17integral_constantIbLb1EESY_EEDaST_SU_EUlST_E_NS1_11comp_targetILNS1_3genE3ELNS1_11target_archE908ELNS1_3gpuE7ELNS1_3repE0EEENS1_30default_config_static_selectorELNS0_4arch9wavefront6targetE1EEEvT1_,comdat
	.protected	_ZN7rocprim17ROCPRIM_400000_NS6detail17trampoline_kernelINS0_14default_configENS1_27scan_by_key_config_selectorIiiEEZZNS1_16scan_by_key_implILNS1_25lookback_scan_determinismE0ELb0ES3_N6thrust23THRUST_200600_302600_NS6detail15normal_iteratorINS9_10device_ptrIiEEEESE_SE_iNS9_4plusIiEE19head_flag_predicateiEE10hipError_tPvRmT2_T3_T4_T5_mT6_T7_P12ihipStream_tbENKUlT_T0_E_clISt17integral_constantIbLb1EESY_EEDaST_SU_EUlST_E_NS1_11comp_targetILNS1_3genE3ELNS1_11target_archE908ELNS1_3gpuE7ELNS1_3repE0EEENS1_30default_config_static_selectorELNS0_4arch9wavefront6targetE1EEEvT1_ ; -- Begin function _ZN7rocprim17ROCPRIM_400000_NS6detail17trampoline_kernelINS0_14default_configENS1_27scan_by_key_config_selectorIiiEEZZNS1_16scan_by_key_implILNS1_25lookback_scan_determinismE0ELb0ES3_N6thrust23THRUST_200600_302600_NS6detail15normal_iteratorINS9_10device_ptrIiEEEESE_SE_iNS9_4plusIiEE19head_flag_predicateiEE10hipError_tPvRmT2_T3_T4_T5_mT6_T7_P12ihipStream_tbENKUlT_T0_E_clISt17integral_constantIbLb1EESY_EEDaST_SU_EUlST_E_NS1_11comp_targetILNS1_3genE3ELNS1_11target_archE908ELNS1_3gpuE7ELNS1_3repE0EEENS1_30default_config_static_selectorELNS0_4arch9wavefront6targetE1EEEvT1_
	.globl	_ZN7rocprim17ROCPRIM_400000_NS6detail17trampoline_kernelINS0_14default_configENS1_27scan_by_key_config_selectorIiiEEZZNS1_16scan_by_key_implILNS1_25lookback_scan_determinismE0ELb0ES3_N6thrust23THRUST_200600_302600_NS6detail15normal_iteratorINS9_10device_ptrIiEEEESE_SE_iNS9_4plusIiEE19head_flag_predicateiEE10hipError_tPvRmT2_T3_T4_T5_mT6_T7_P12ihipStream_tbENKUlT_T0_E_clISt17integral_constantIbLb1EESY_EEDaST_SU_EUlST_E_NS1_11comp_targetILNS1_3genE3ELNS1_11target_archE908ELNS1_3gpuE7ELNS1_3repE0EEENS1_30default_config_static_selectorELNS0_4arch9wavefront6targetE1EEEvT1_
	.p2align	8
	.type	_ZN7rocprim17ROCPRIM_400000_NS6detail17trampoline_kernelINS0_14default_configENS1_27scan_by_key_config_selectorIiiEEZZNS1_16scan_by_key_implILNS1_25lookback_scan_determinismE0ELb0ES3_N6thrust23THRUST_200600_302600_NS6detail15normal_iteratorINS9_10device_ptrIiEEEESE_SE_iNS9_4plusIiEE19head_flag_predicateiEE10hipError_tPvRmT2_T3_T4_T5_mT6_T7_P12ihipStream_tbENKUlT_T0_E_clISt17integral_constantIbLb1EESY_EEDaST_SU_EUlST_E_NS1_11comp_targetILNS1_3genE3ELNS1_11target_archE908ELNS1_3gpuE7ELNS1_3repE0EEENS1_30default_config_static_selectorELNS0_4arch9wavefront6targetE1EEEvT1_,@function
_ZN7rocprim17ROCPRIM_400000_NS6detail17trampoline_kernelINS0_14default_configENS1_27scan_by_key_config_selectorIiiEEZZNS1_16scan_by_key_implILNS1_25lookback_scan_determinismE0ELb0ES3_N6thrust23THRUST_200600_302600_NS6detail15normal_iteratorINS9_10device_ptrIiEEEESE_SE_iNS9_4plusIiEE19head_flag_predicateiEE10hipError_tPvRmT2_T3_T4_T5_mT6_T7_P12ihipStream_tbENKUlT_T0_E_clISt17integral_constantIbLb1EESY_EEDaST_SU_EUlST_E_NS1_11comp_targetILNS1_3genE3ELNS1_11target_archE908ELNS1_3gpuE7ELNS1_3repE0EEENS1_30default_config_static_selectorELNS0_4arch9wavefront6targetE1EEEvT1_: ; @_ZN7rocprim17ROCPRIM_400000_NS6detail17trampoline_kernelINS0_14default_configENS1_27scan_by_key_config_selectorIiiEEZZNS1_16scan_by_key_implILNS1_25lookback_scan_determinismE0ELb0ES3_N6thrust23THRUST_200600_302600_NS6detail15normal_iteratorINS9_10device_ptrIiEEEESE_SE_iNS9_4plusIiEE19head_flag_predicateiEE10hipError_tPvRmT2_T3_T4_T5_mT6_T7_P12ihipStream_tbENKUlT_T0_E_clISt17integral_constantIbLb1EESY_EEDaST_SU_EUlST_E_NS1_11comp_targetILNS1_3genE3ELNS1_11target_archE908ELNS1_3gpuE7ELNS1_3repE0EEENS1_30default_config_static_selectorELNS0_4arch9wavefront6targetE1EEEvT1_
; %bb.0:
	.section	.rodata,"a",@progbits
	.p2align	6, 0x0
	.amdhsa_kernel _ZN7rocprim17ROCPRIM_400000_NS6detail17trampoline_kernelINS0_14default_configENS1_27scan_by_key_config_selectorIiiEEZZNS1_16scan_by_key_implILNS1_25lookback_scan_determinismE0ELb0ES3_N6thrust23THRUST_200600_302600_NS6detail15normal_iteratorINS9_10device_ptrIiEEEESE_SE_iNS9_4plusIiEE19head_flag_predicateiEE10hipError_tPvRmT2_T3_T4_T5_mT6_T7_P12ihipStream_tbENKUlT_T0_E_clISt17integral_constantIbLb1EESY_EEDaST_SU_EUlST_E_NS1_11comp_targetILNS1_3genE3ELNS1_11target_archE908ELNS1_3gpuE7ELNS1_3repE0EEENS1_30default_config_static_selectorELNS0_4arch9wavefront6targetE1EEEvT1_
		.amdhsa_group_segment_fixed_size 0
		.amdhsa_private_segment_fixed_size 0
		.amdhsa_kernarg_size 112
		.amdhsa_user_sgpr_count 2
		.amdhsa_user_sgpr_dispatch_ptr 0
		.amdhsa_user_sgpr_queue_ptr 0
		.amdhsa_user_sgpr_kernarg_segment_ptr 1
		.amdhsa_user_sgpr_dispatch_id 0
		.amdhsa_user_sgpr_kernarg_preload_length 0
		.amdhsa_user_sgpr_kernarg_preload_offset 0
		.amdhsa_user_sgpr_private_segment_size 0
		.amdhsa_uses_dynamic_stack 0
		.amdhsa_enable_private_segment 0
		.amdhsa_system_sgpr_workgroup_id_x 1
		.amdhsa_system_sgpr_workgroup_id_y 0
		.amdhsa_system_sgpr_workgroup_id_z 0
		.amdhsa_system_sgpr_workgroup_info 0
		.amdhsa_system_vgpr_workitem_id 0
		.amdhsa_next_free_vgpr 1
		.amdhsa_next_free_sgpr 0
		.amdhsa_accum_offset 4
		.amdhsa_reserve_vcc 0
		.amdhsa_float_round_mode_32 0
		.amdhsa_float_round_mode_16_64 0
		.amdhsa_float_denorm_mode_32 3
		.amdhsa_float_denorm_mode_16_64 3
		.amdhsa_dx10_clamp 1
		.amdhsa_ieee_mode 1
		.amdhsa_fp16_overflow 0
		.amdhsa_tg_split 0
		.amdhsa_exception_fp_ieee_invalid_op 0
		.amdhsa_exception_fp_denorm_src 0
		.amdhsa_exception_fp_ieee_div_zero 0
		.amdhsa_exception_fp_ieee_overflow 0
		.amdhsa_exception_fp_ieee_underflow 0
		.amdhsa_exception_fp_ieee_inexact 0
		.amdhsa_exception_int_div_zero 0
	.end_amdhsa_kernel
	.section	.text._ZN7rocprim17ROCPRIM_400000_NS6detail17trampoline_kernelINS0_14default_configENS1_27scan_by_key_config_selectorIiiEEZZNS1_16scan_by_key_implILNS1_25lookback_scan_determinismE0ELb0ES3_N6thrust23THRUST_200600_302600_NS6detail15normal_iteratorINS9_10device_ptrIiEEEESE_SE_iNS9_4plusIiEE19head_flag_predicateiEE10hipError_tPvRmT2_T3_T4_T5_mT6_T7_P12ihipStream_tbENKUlT_T0_E_clISt17integral_constantIbLb1EESY_EEDaST_SU_EUlST_E_NS1_11comp_targetILNS1_3genE3ELNS1_11target_archE908ELNS1_3gpuE7ELNS1_3repE0EEENS1_30default_config_static_selectorELNS0_4arch9wavefront6targetE1EEEvT1_,"axG",@progbits,_ZN7rocprim17ROCPRIM_400000_NS6detail17trampoline_kernelINS0_14default_configENS1_27scan_by_key_config_selectorIiiEEZZNS1_16scan_by_key_implILNS1_25lookback_scan_determinismE0ELb0ES3_N6thrust23THRUST_200600_302600_NS6detail15normal_iteratorINS9_10device_ptrIiEEEESE_SE_iNS9_4plusIiEE19head_flag_predicateiEE10hipError_tPvRmT2_T3_T4_T5_mT6_T7_P12ihipStream_tbENKUlT_T0_E_clISt17integral_constantIbLb1EESY_EEDaST_SU_EUlST_E_NS1_11comp_targetILNS1_3genE3ELNS1_11target_archE908ELNS1_3gpuE7ELNS1_3repE0EEENS1_30default_config_static_selectorELNS0_4arch9wavefront6targetE1EEEvT1_,comdat
.Lfunc_end762:
	.size	_ZN7rocprim17ROCPRIM_400000_NS6detail17trampoline_kernelINS0_14default_configENS1_27scan_by_key_config_selectorIiiEEZZNS1_16scan_by_key_implILNS1_25lookback_scan_determinismE0ELb0ES3_N6thrust23THRUST_200600_302600_NS6detail15normal_iteratorINS9_10device_ptrIiEEEESE_SE_iNS9_4plusIiEE19head_flag_predicateiEE10hipError_tPvRmT2_T3_T4_T5_mT6_T7_P12ihipStream_tbENKUlT_T0_E_clISt17integral_constantIbLb1EESY_EEDaST_SU_EUlST_E_NS1_11comp_targetILNS1_3genE3ELNS1_11target_archE908ELNS1_3gpuE7ELNS1_3repE0EEENS1_30default_config_static_selectorELNS0_4arch9wavefront6targetE1EEEvT1_, .Lfunc_end762-_ZN7rocprim17ROCPRIM_400000_NS6detail17trampoline_kernelINS0_14default_configENS1_27scan_by_key_config_selectorIiiEEZZNS1_16scan_by_key_implILNS1_25lookback_scan_determinismE0ELb0ES3_N6thrust23THRUST_200600_302600_NS6detail15normal_iteratorINS9_10device_ptrIiEEEESE_SE_iNS9_4plusIiEE19head_flag_predicateiEE10hipError_tPvRmT2_T3_T4_T5_mT6_T7_P12ihipStream_tbENKUlT_T0_E_clISt17integral_constantIbLb1EESY_EEDaST_SU_EUlST_E_NS1_11comp_targetILNS1_3genE3ELNS1_11target_archE908ELNS1_3gpuE7ELNS1_3repE0EEENS1_30default_config_static_selectorELNS0_4arch9wavefront6targetE1EEEvT1_
                                        ; -- End function
	.section	.AMDGPU.csdata,"",@progbits
; Kernel info:
; codeLenInByte = 0
; NumSgprs: 6
; NumVgprs: 0
; NumAgprs: 0
; TotalNumVgprs: 0
; ScratchSize: 0
; MemoryBound: 0
; FloatMode: 240
; IeeeMode: 1
; LDSByteSize: 0 bytes/workgroup (compile time only)
; SGPRBlocks: 0
; VGPRBlocks: 0
; NumSGPRsForWavesPerEU: 6
; NumVGPRsForWavesPerEU: 1
; AccumOffset: 4
; Occupancy: 8
; WaveLimiterHint : 0
; COMPUTE_PGM_RSRC2:SCRATCH_EN: 0
; COMPUTE_PGM_RSRC2:USER_SGPR: 2
; COMPUTE_PGM_RSRC2:TRAP_HANDLER: 0
; COMPUTE_PGM_RSRC2:TGID_X_EN: 1
; COMPUTE_PGM_RSRC2:TGID_Y_EN: 0
; COMPUTE_PGM_RSRC2:TGID_Z_EN: 0
; COMPUTE_PGM_RSRC2:TIDIG_COMP_CNT: 0
; COMPUTE_PGM_RSRC3_GFX90A:ACCUM_OFFSET: 0
; COMPUTE_PGM_RSRC3_GFX90A:TG_SPLIT: 0
	.section	.text._ZN7rocprim17ROCPRIM_400000_NS6detail17trampoline_kernelINS0_14default_configENS1_27scan_by_key_config_selectorIiiEEZZNS1_16scan_by_key_implILNS1_25lookback_scan_determinismE0ELb0ES3_N6thrust23THRUST_200600_302600_NS6detail15normal_iteratorINS9_10device_ptrIiEEEESE_SE_iNS9_4plusIiEE19head_flag_predicateiEE10hipError_tPvRmT2_T3_T4_T5_mT6_T7_P12ihipStream_tbENKUlT_T0_E_clISt17integral_constantIbLb1EESY_EEDaST_SU_EUlST_E_NS1_11comp_targetILNS1_3genE2ELNS1_11target_archE906ELNS1_3gpuE6ELNS1_3repE0EEENS1_30default_config_static_selectorELNS0_4arch9wavefront6targetE1EEEvT1_,"axG",@progbits,_ZN7rocprim17ROCPRIM_400000_NS6detail17trampoline_kernelINS0_14default_configENS1_27scan_by_key_config_selectorIiiEEZZNS1_16scan_by_key_implILNS1_25lookback_scan_determinismE0ELb0ES3_N6thrust23THRUST_200600_302600_NS6detail15normal_iteratorINS9_10device_ptrIiEEEESE_SE_iNS9_4plusIiEE19head_flag_predicateiEE10hipError_tPvRmT2_T3_T4_T5_mT6_T7_P12ihipStream_tbENKUlT_T0_E_clISt17integral_constantIbLb1EESY_EEDaST_SU_EUlST_E_NS1_11comp_targetILNS1_3genE2ELNS1_11target_archE906ELNS1_3gpuE6ELNS1_3repE0EEENS1_30default_config_static_selectorELNS0_4arch9wavefront6targetE1EEEvT1_,comdat
	.protected	_ZN7rocprim17ROCPRIM_400000_NS6detail17trampoline_kernelINS0_14default_configENS1_27scan_by_key_config_selectorIiiEEZZNS1_16scan_by_key_implILNS1_25lookback_scan_determinismE0ELb0ES3_N6thrust23THRUST_200600_302600_NS6detail15normal_iteratorINS9_10device_ptrIiEEEESE_SE_iNS9_4plusIiEE19head_flag_predicateiEE10hipError_tPvRmT2_T3_T4_T5_mT6_T7_P12ihipStream_tbENKUlT_T0_E_clISt17integral_constantIbLb1EESY_EEDaST_SU_EUlST_E_NS1_11comp_targetILNS1_3genE2ELNS1_11target_archE906ELNS1_3gpuE6ELNS1_3repE0EEENS1_30default_config_static_selectorELNS0_4arch9wavefront6targetE1EEEvT1_ ; -- Begin function _ZN7rocprim17ROCPRIM_400000_NS6detail17trampoline_kernelINS0_14default_configENS1_27scan_by_key_config_selectorIiiEEZZNS1_16scan_by_key_implILNS1_25lookback_scan_determinismE0ELb0ES3_N6thrust23THRUST_200600_302600_NS6detail15normal_iteratorINS9_10device_ptrIiEEEESE_SE_iNS9_4plusIiEE19head_flag_predicateiEE10hipError_tPvRmT2_T3_T4_T5_mT6_T7_P12ihipStream_tbENKUlT_T0_E_clISt17integral_constantIbLb1EESY_EEDaST_SU_EUlST_E_NS1_11comp_targetILNS1_3genE2ELNS1_11target_archE906ELNS1_3gpuE6ELNS1_3repE0EEENS1_30default_config_static_selectorELNS0_4arch9wavefront6targetE1EEEvT1_
	.globl	_ZN7rocprim17ROCPRIM_400000_NS6detail17trampoline_kernelINS0_14default_configENS1_27scan_by_key_config_selectorIiiEEZZNS1_16scan_by_key_implILNS1_25lookback_scan_determinismE0ELb0ES3_N6thrust23THRUST_200600_302600_NS6detail15normal_iteratorINS9_10device_ptrIiEEEESE_SE_iNS9_4plusIiEE19head_flag_predicateiEE10hipError_tPvRmT2_T3_T4_T5_mT6_T7_P12ihipStream_tbENKUlT_T0_E_clISt17integral_constantIbLb1EESY_EEDaST_SU_EUlST_E_NS1_11comp_targetILNS1_3genE2ELNS1_11target_archE906ELNS1_3gpuE6ELNS1_3repE0EEENS1_30default_config_static_selectorELNS0_4arch9wavefront6targetE1EEEvT1_
	.p2align	8
	.type	_ZN7rocprim17ROCPRIM_400000_NS6detail17trampoline_kernelINS0_14default_configENS1_27scan_by_key_config_selectorIiiEEZZNS1_16scan_by_key_implILNS1_25lookback_scan_determinismE0ELb0ES3_N6thrust23THRUST_200600_302600_NS6detail15normal_iteratorINS9_10device_ptrIiEEEESE_SE_iNS9_4plusIiEE19head_flag_predicateiEE10hipError_tPvRmT2_T3_T4_T5_mT6_T7_P12ihipStream_tbENKUlT_T0_E_clISt17integral_constantIbLb1EESY_EEDaST_SU_EUlST_E_NS1_11comp_targetILNS1_3genE2ELNS1_11target_archE906ELNS1_3gpuE6ELNS1_3repE0EEENS1_30default_config_static_selectorELNS0_4arch9wavefront6targetE1EEEvT1_,@function
_ZN7rocprim17ROCPRIM_400000_NS6detail17trampoline_kernelINS0_14default_configENS1_27scan_by_key_config_selectorIiiEEZZNS1_16scan_by_key_implILNS1_25lookback_scan_determinismE0ELb0ES3_N6thrust23THRUST_200600_302600_NS6detail15normal_iteratorINS9_10device_ptrIiEEEESE_SE_iNS9_4plusIiEE19head_flag_predicateiEE10hipError_tPvRmT2_T3_T4_T5_mT6_T7_P12ihipStream_tbENKUlT_T0_E_clISt17integral_constantIbLb1EESY_EEDaST_SU_EUlST_E_NS1_11comp_targetILNS1_3genE2ELNS1_11target_archE906ELNS1_3gpuE6ELNS1_3repE0EEENS1_30default_config_static_selectorELNS0_4arch9wavefront6targetE1EEEvT1_: ; @_ZN7rocprim17ROCPRIM_400000_NS6detail17trampoline_kernelINS0_14default_configENS1_27scan_by_key_config_selectorIiiEEZZNS1_16scan_by_key_implILNS1_25lookback_scan_determinismE0ELb0ES3_N6thrust23THRUST_200600_302600_NS6detail15normal_iteratorINS9_10device_ptrIiEEEESE_SE_iNS9_4plusIiEE19head_flag_predicateiEE10hipError_tPvRmT2_T3_T4_T5_mT6_T7_P12ihipStream_tbENKUlT_T0_E_clISt17integral_constantIbLb1EESY_EEDaST_SU_EUlST_E_NS1_11comp_targetILNS1_3genE2ELNS1_11target_archE906ELNS1_3gpuE6ELNS1_3repE0EEENS1_30default_config_static_selectorELNS0_4arch9wavefront6targetE1EEEvT1_
; %bb.0:
	.section	.rodata,"a",@progbits
	.p2align	6, 0x0
	.amdhsa_kernel _ZN7rocprim17ROCPRIM_400000_NS6detail17trampoline_kernelINS0_14default_configENS1_27scan_by_key_config_selectorIiiEEZZNS1_16scan_by_key_implILNS1_25lookback_scan_determinismE0ELb0ES3_N6thrust23THRUST_200600_302600_NS6detail15normal_iteratorINS9_10device_ptrIiEEEESE_SE_iNS9_4plusIiEE19head_flag_predicateiEE10hipError_tPvRmT2_T3_T4_T5_mT6_T7_P12ihipStream_tbENKUlT_T0_E_clISt17integral_constantIbLb1EESY_EEDaST_SU_EUlST_E_NS1_11comp_targetILNS1_3genE2ELNS1_11target_archE906ELNS1_3gpuE6ELNS1_3repE0EEENS1_30default_config_static_selectorELNS0_4arch9wavefront6targetE1EEEvT1_
		.amdhsa_group_segment_fixed_size 0
		.amdhsa_private_segment_fixed_size 0
		.amdhsa_kernarg_size 112
		.amdhsa_user_sgpr_count 2
		.amdhsa_user_sgpr_dispatch_ptr 0
		.amdhsa_user_sgpr_queue_ptr 0
		.amdhsa_user_sgpr_kernarg_segment_ptr 1
		.amdhsa_user_sgpr_dispatch_id 0
		.amdhsa_user_sgpr_kernarg_preload_length 0
		.amdhsa_user_sgpr_kernarg_preload_offset 0
		.amdhsa_user_sgpr_private_segment_size 0
		.amdhsa_uses_dynamic_stack 0
		.amdhsa_enable_private_segment 0
		.amdhsa_system_sgpr_workgroup_id_x 1
		.amdhsa_system_sgpr_workgroup_id_y 0
		.amdhsa_system_sgpr_workgroup_id_z 0
		.amdhsa_system_sgpr_workgroup_info 0
		.amdhsa_system_vgpr_workitem_id 0
		.amdhsa_next_free_vgpr 1
		.amdhsa_next_free_sgpr 0
		.amdhsa_accum_offset 4
		.amdhsa_reserve_vcc 0
		.amdhsa_float_round_mode_32 0
		.amdhsa_float_round_mode_16_64 0
		.amdhsa_float_denorm_mode_32 3
		.amdhsa_float_denorm_mode_16_64 3
		.amdhsa_dx10_clamp 1
		.amdhsa_ieee_mode 1
		.amdhsa_fp16_overflow 0
		.amdhsa_tg_split 0
		.amdhsa_exception_fp_ieee_invalid_op 0
		.amdhsa_exception_fp_denorm_src 0
		.amdhsa_exception_fp_ieee_div_zero 0
		.amdhsa_exception_fp_ieee_overflow 0
		.amdhsa_exception_fp_ieee_underflow 0
		.amdhsa_exception_fp_ieee_inexact 0
		.amdhsa_exception_int_div_zero 0
	.end_amdhsa_kernel
	.section	.text._ZN7rocprim17ROCPRIM_400000_NS6detail17trampoline_kernelINS0_14default_configENS1_27scan_by_key_config_selectorIiiEEZZNS1_16scan_by_key_implILNS1_25lookback_scan_determinismE0ELb0ES3_N6thrust23THRUST_200600_302600_NS6detail15normal_iteratorINS9_10device_ptrIiEEEESE_SE_iNS9_4plusIiEE19head_flag_predicateiEE10hipError_tPvRmT2_T3_T4_T5_mT6_T7_P12ihipStream_tbENKUlT_T0_E_clISt17integral_constantIbLb1EESY_EEDaST_SU_EUlST_E_NS1_11comp_targetILNS1_3genE2ELNS1_11target_archE906ELNS1_3gpuE6ELNS1_3repE0EEENS1_30default_config_static_selectorELNS0_4arch9wavefront6targetE1EEEvT1_,"axG",@progbits,_ZN7rocprim17ROCPRIM_400000_NS6detail17trampoline_kernelINS0_14default_configENS1_27scan_by_key_config_selectorIiiEEZZNS1_16scan_by_key_implILNS1_25lookback_scan_determinismE0ELb0ES3_N6thrust23THRUST_200600_302600_NS6detail15normal_iteratorINS9_10device_ptrIiEEEESE_SE_iNS9_4plusIiEE19head_flag_predicateiEE10hipError_tPvRmT2_T3_T4_T5_mT6_T7_P12ihipStream_tbENKUlT_T0_E_clISt17integral_constantIbLb1EESY_EEDaST_SU_EUlST_E_NS1_11comp_targetILNS1_3genE2ELNS1_11target_archE906ELNS1_3gpuE6ELNS1_3repE0EEENS1_30default_config_static_selectorELNS0_4arch9wavefront6targetE1EEEvT1_,comdat
.Lfunc_end763:
	.size	_ZN7rocprim17ROCPRIM_400000_NS6detail17trampoline_kernelINS0_14default_configENS1_27scan_by_key_config_selectorIiiEEZZNS1_16scan_by_key_implILNS1_25lookback_scan_determinismE0ELb0ES3_N6thrust23THRUST_200600_302600_NS6detail15normal_iteratorINS9_10device_ptrIiEEEESE_SE_iNS9_4plusIiEE19head_flag_predicateiEE10hipError_tPvRmT2_T3_T4_T5_mT6_T7_P12ihipStream_tbENKUlT_T0_E_clISt17integral_constantIbLb1EESY_EEDaST_SU_EUlST_E_NS1_11comp_targetILNS1_3genE2ELNS1_11target_archE906ELNS1_3gpuE6ELNS1_3repE0EEENS1_30default_config_static_selectorELNS0_4arch9wavefront6targetE1EEEvT1_, .Lfunc_end763-_ZN7rocprim17ROCPRIM_400000_NS6detail17trampoline_kernelINS0_14default_configENS1_27scan_by_key_config_selectorIiiEEZZNS1_16scan_by_key_implILNS1_25lookback_scan_determinismE0ELb0ES3_N6thrust23THRUST_200600_302600_NS6detail15normal_iteratorINS9_10device_ptrIiEEEESE_SE_iNS9_4plusIiEE19head_flag_predicateiEE10hipError_tPvRmT2_T3_T4_T5_mT6_T7_P12ihipStream_tbENKUlT_T0_E_clISt17integral_constantIbLb1EESY_EEDaST_SU_EUlST_E_NS1_11comp_targetILNS1_3genE2ELNS1_11target_archE906ELNS1_3gpuE6ELNS1_3repE0EEENS1_30default_config_static_selectorELNS0_4arch9wavefront6targetE1EEEvT1_
                                        ; -- End function
	.section	.AMDGPU.csdata,"",@progbits
; Kernel info:
; codeLenInByte = 0
; NumSgprs: 6
; NumVgprs: 0
; NumAgprs: 0
; TotalNumVgprs: 0
; ScratchSize: 0
; MemoryBound: 0
; FloatMode: 240
; IeeeMode: 1
; LDSByteSize: 0 bytes/workgroup (compile time only)
; SGPRBlocks: 0
; VGPRBlocks: 0
; NumSGPRsForWavesPerEU: 6
; NumVGPRsForWavesPerEU: 1
; AccumOffset: 4
; Occupancy: 8
; WaveLimiterHint : 0
; COMPUTE_PGM_RSRC2:SCRATCH_EN: 0
; COMPUTE_PGM_RSRC2:USER_SGPR: 2
; COMPUTE_PGM_RSRC2:TRAP_HANDLER: 0
; COMPUTE_PGM_RSRC2:TGID_X_EN: 1
; COMPUTE_PGM_RSRC2:TGID_Y_EN: 0
; COMPUTE_PGM_RSRC2:TGID_Z_EN: 0
; COMPUTE_PGM_RSRC2:TIDIG_COMP_CNT: 0
; COMPUTE_PGM_RSRC3_GFX90A:ACCUM_OFFSET: 0
; COMPUTE_PGM_RSRC3_GFX90A:TG_SPLIT: 0
	.section	.text._ZN7rocprim17ROCPRIM_400000_NS6detail17trampoline_kernelINS0_14default_configENS1_27scan_by_key_config_selectorIiiEEZZNS1_16scan_by_key_implILNS1_25lookback_scan_determinismE0ELb0ES3_N6thrust23THRUST_200600_302600_NS6detail15normal_iteratorINS9_10device_ptrIiEEEESE_SE_iNS9_4plusIiEE19head_flag_predicateiEE10hipError_tPvRmT2_T3_T4_T5_mT6_T7_P12ihipStream_tbENKUlT_T0_E_clISt17integral_constantIbLb1EESY_EEDaST_SU_EUlST_E_NS1_11comp_targetILNS1_3genE10ELNS1_11target_archE1200ELNS1_3gpuE4ELNS1_3repE0EEENS1_30default_config_static_selectorELNS0_4arch9wavefront6targetE1EEEvT1_,"axG",@progbits,_ZN7rocprim17ROCPRIM_400000_NS6detail17trampoline_kernelINS0_14default_configENS1_27scan_by_key_config_selectorIiiEEZZNS1_16scan_by_key_implILNS1_25lookback_scan_determinismE0ELb0ES3_N6thrust23THRUST_200600_302600_NS6detail15normal_iteratorINS9_10device_ptrIiEEEESE_SE_iNS9_4plusIiEE19head_flag_predicateiEE10hipError_tPvRmT2_T3_T4_T5_mT6_T7_P12ihipStream_tbENKUlT_T0_E_clISt17integral_constantIbLb1EESY_EEDaST_SU_EUlST_E_NS1_11comp_targetILNS1_3genE10ELNS1_11target_archE1200ELNS1_3gpuE4ELNS1_3repE0EEENS1_30default_config_static_selectorELNS0_4arch9wavefront6targetE1EEEvT1_,comdat
	.protected	_ZN7rocprim17ROCPRIM_400000_NS6detail17trampoline_kernelINS0_14default_configENS1_27scan_by_key_config_selectorIiiEEZZNS1_16scan_by_key_implILNS1_25lookback_scan_determinismE0ELb0ES3_N6thrust23THRUST_200600_302600_NS6detail15normal_iteratorINS9_10device_ptrIiEEEESE_SE_iNS9_4plusIiEE19head_flag_predicateiEE10hipError_tPvRmT2_T3_T4_T5_mT6_T7_P12ihipStream_tbENKUlT_T0_E_clISt17integral_constantIbLb1EESY_EEDaST_SU_EUlST_E_NS1_11comp_targetILNS1_3genE10ELNS1_11target_archE1200ELNS1_3gpuE4ELNS1_3repE0EEENS1_30default_config_static_selectorELNS0_4arch9wavefront6targetE1EEEvT1_ ; -- Begin function _ZN7rocprim17ROCPRIM_400000_NS6detail17trampoline_kernelINS0_14default_configENS1_27scan_by_key_config_selectorIiiEEZZNS1_16scan_by_key_implILNS1_25lookback_scan_determinismE0ELb0ES3_N6thrust23THRUST_200600_302600_NS6detail15normal_iteratorINS9_10device_ptrIiEEEESE_SE_iNS9_4plusIiEE19head_flag_predicateiEE10hipError_tPvRmT2_T3_T4_T5_mT6_T7_P12ihipStream_tbENKUlT_T0_E_clISt17integral_constantIbLb1EESY_EEDaST_SU_EUlST_E_NS1_11comp_targetILNS1_3genE10ELNS1_11target_archE1200ELNS1_3gpuE4ELNS1_3repE0EEENS1_30default_config_static_selectorELNS0_4arch9wavefront6targetE1EEEvT1_
	.globl	_ZN7rocprim17ROCPRIM_400000_NS6detail17trampoline_kernelINS0_14default_configENS1_27scan_by_key_config_selectorIiiEEZZNS1_16scan_by_key_implILNS1_25lookback_scan_determinismE0ELb0ES3_N6thrust23THRUST_200600_302600_NS6detail15normal_iteratorINS9_10device_ptrIiEEEESE_SE_iNS9_4plusIiEE19head_flag_predicateiEE10hipError_tPvRmT2_T3_T4_T5_mT6_T7_P12ihipStream_tbENKUlT_T0_E_clISt17integral_constantIbLb1EESY_EEDaST_SU_EUlST_E_NS1_11comp_targetILNS1_3genE10ELNS1_11target_archE1200ELNS1_3gpuE4ELNS1_3repE0EEENS1_30default_config_static_selectorELNS0_4arch9wavefront6targetE1EEEvT1_
	.p2align	8
	.type	_ZN7rocprim17ROCPRIM_400000_NS6detail17trampoline_kernelINS0_14default_configENS1_27scan_by_key_config_selectorIiiEEZZNS1_16scan_by_key_implILNS1_25lookback_scan_determinismE0ELb0ES3_N6thrust23THRUST_200600_302600_NS6detail15normal_iteratorINS9_10device_ptrIiEEEESE_SE_iNS9_4plusIiEE19head_flag_predicateiEE10hipError_tPvRmT2_T3_T4_T5_mT6_T7_P12ihipStream_tbENKUlT_T0_E_clISt17integral_constantIbLb1EESY_EEDaST_SU_EUlST_E_NS1_11comp_targetILNS1_3genE10ELNS1_11target_archE1200ELNS1_3gpuE4ELNS1_3repE0EEENS1_30default_config_static_selectorELNS0_4arch9wavefront6targetE1EEEvT1_,@function
_ZN7rocprim17ROCPRIM_400000_NS6detail17trampoline_kernelINS0_14default_configENS1_27scan_by_key_config_selectorIiiEEZZNS1_16scan_by_key_implILNS1_25lookback_scan_determinismE0ELb0ES3_N6thrust23THRUST_200600_302600_NS6detail15normal_iteratorINS9_10device_ptrIiEEEESE_SE_iNS9_4plusIiEE19head_flag_predicateiEE10hipError_tPvRmT2_T3_T4_T5_mT6_T7_P12ihipStream_tbENKUlT_T0_E_clISt17integral_constantIbLb1EESY_EEDaST_SU_EUlST_E_NS1_11comp_targetILNS1_3genE10ELNS1_11target_archE1200ELNS1_3gpuE4ELNS1_3repE0EEENS1_30default_config_static_selectorELNS0_4arch9wavefront6targetE1EEEvT1_: ; @_ZN7rocprim17ROCPRIM_400000_NS6detail17trampoline_kernelINS0_14default_configENS1_27scan_by_key_config_selectorIiiEEZZNS1_16scan_by_key_implILNS1_25lookback_scan_determinismE0ELb0ES3_N6thrust23THRUST_200600_302600_NS6detail15normal_iteratorINS9_10device_ptrIiEEEESE_SE_iNS9_4plusIiEE19head_flag_predicateiEE10hipError_tPvRmT2_T3_T4_T5_mT6_T7_P12ihipStream_tbENKUlT_T0_E_clISt17integral_constantIbLb1EESY_EEDaST_SU_EUlST_E_NS1_11comp_targetILNS1_3genE10ELNS1_11target_archE1200ELNS1_3gpuE4ELNS1_3repE0EEENS1_30default_config_static_selectorELNS0_4arch9wavefront6targetE1EEEvT1_
; %bb.0:
	.section	.rodata,"a",@progbits
	.p2align	6, 0x0
	.amdhsa_kernel _ZN7rocprim17ROCPRIM_400000_NS6detail17trampoline_kernelINS0_14default_configENS1_27scan_by_key_config_selectorIiiEEZZNS1_16scan_by_key_implILNS1_25lookback_scan_determinismE0ELb0ES3_N6thrust23THRUST_200600_302600_NS6detail15normal_iteratorINS9_10device_ptrIiEEEESE_SE_iNS9_4plusIiEE19head_flag_predicateiEE10hipError_tPvRmT2_T3_T4_T5_mT6_T7_P12ihipStream_tbENKUlT_T0_E_clISt17integral_constantIbLb1EESY_EEDaST_SU_EUlST_E_NS1_11comp_targetILNS1_3genE10ELNS1_11target_archE1200ELNS1_3gpuE4ELNS1_3repE0EEENS1_30default_config_static_selectorELNS0_4arch9wavefront6targetE1EEEvT1_
		.amdhsa_group_segment_fixed_size 0
		.amdhsa_private_segment_fixed_size 0
		.amdhsa_kernarg_size 112
		.amdhsa_user_sgpr_count 2
		.amdhsa_user_sgpr_dispatch_ptr 0
		.amdhsa_user_sgpr_queue_ptr 0
		.amdhsa_user_sgpr_kernarg_segment_ptr 1
		.amdhsa_user_sgpr_dispatch_id 0
		.amdhsa_user_sgpr_kernarg_preload_length 0
		.amdhsa_user_sgpr_kernarg_preload_offset 0
		.amdhsa_user_sgpr_private_segment_size 0
		.amdhsa_uses_dynamic_stack 0
		.amdhsa_enable_private_segment 0
		.amdhsa_system_sgpr_workgroup_id_x 1
		.amdhsa_system_sgpr_workgroup_id_y 0
		.amdhsa_system_sgpr_workgroup_id_z 0
		.amdhsa_system_sgpr_workgroup_info 0
		.amdhsa_system_vgpr_workitem_id 0
		.amdhsa_next_free_vgpr 1
		.amdhsa_next_free_sgpr 0
		.amdhsa_accum_offset 4
		.amdhsa_reserve_vcc 0
		.amdhsa_float_round_mode_32 0
		.amdhsa_float_round_mode_16_64 0
		.amdhsa_float_denorm_mode_32 3
		.amdhsa_float_denorm_mode_16_64 3
		.amdhsa_dx10_clamp 1
		.amdhsa_ieee_mode 1
		.amdhsa_fp16_overflow 0
		.amdhsa_tg_split 0
		.amdhsa_exception_fp_ieee_invalid_op 0
		.amdhsa_exception_fp_denorm_src 0
		.amdhsa_exception_fp_ieee_div_zero 0
		.amdhsa_exception_fp_ieee_overflow 0
		.amdhsa_exception_fp_ieee_underflow 0
		.amdhsa_exception_fp_ieee_inexact 0
		.amdhsa_exception_int_div_zero 0
	.end_amdhsa_kernel
	.section	.text._ZN7rocprim17ROCPRIM_400000_NS6detail17trampoline_kernelINS0_14default_configENS1_27scan_by_key_config_selectorIiiEEZZNS1_16scan_by_key_implILNS1_25lookback_scan_determinismE0ELb0ES3_N6thrust23THRUST_200600_302600_NS6detail15normal_iteratorINS9_10device_ptrIiEEEESE_SE_iNS9_4plusIiEE19head_flag_predicateiEE10hipError_tPvRmT2_T3_T4_T5_mT6_T7_P12ihipStream_tbENKUlT_T0_E_clISt17integral_constantIbLb1EESY_EEDaST_SU_EUlST_E_NS1_11comp_targetILNS1_3genE10ELNS1_11target_archE1200ELNS1_3gpuE4ELNS1_3repE0EEENS1_30default_config_static_selectorELNS0_4arch9wavefront6targetE1EEEvT1_,"axG",@progbits,_ZN7rocprim17ROCPRIM_400000_NS6detail17trampoline_kernelINS0_14default_configENS1_27scan_by_key_config_selectorIiiEEZZNS1_16scan_by_key_implILNS1_25lookback_scan_determinismE0ELb0ES3_N6thrust23THRUST_200600_302600_NS6detail15normal_iteratorINS9_10device_ptrIiEEEESE_SE_iNS9_4plusIiEE19head_flag_predicateiEE10hipError_tPvRmT2_T3_T4_T5_mT6_T7_P12ihipStream_tbENKUlT_T0_E_clISt17integral_constantIbLb1EESY_EEDaST_SU_EUlST_E_NS1_11comp_targetILNS1_3genE10ELNS1_11target_archE1200ELNS1_3gpuE4ELNS1_3repE0EEENS1_30default_config_static_selectorELNS0_4arch9wavefront6targetE1EEEvT1_,comdat
.Lfunc_end764:
	.size	_ZN7rocprim17ROCPRIM_400000_NS6detail17trampoline_kernelINS0_14default_configENS1_27scan_by_key_config_selectorIiiEEZZNS1_16scan_by_key_implILNS1_25lookback_scan_determinismE0ELb0ES3_N6thrust23THRUST_200600_302600_NS6detail15normal_iteratorINS9_10device_ptrIiEEEESE_SE_iNS9_4plusIiEE19head_flag_predicateiEE10hipError_tPvRmT2_T3_T4_T5_mT6_T7_P12ihipStream_tbENKUlT_T0_E_clISt17integral_constantIbLb1EESY_EEDaST_SU_EUlST_E_NS1_11comp_targetILNS1_3genE10ELNS1_11target_archE1200ELNS1_3gpuE4ELNS1_3repE0EEENS1_30default_config_static_selectorELNS0_4arch9wavefront6targetE1EEEvT1_, .Lfunc_end764-_ZN7rocprim17ROCPRIM_400000_NS6detail17trampoline_kernelINS0_14default_configENS1_27scan_by_key_config_selectorIiiEEZZNS1_16scan_by_key_implILNS1_25lookback_scan_determinismE0ELb0ES3_N6thrust23THRUST_200600_302600_NS6detail15normal_iteratorINS9_10device_ptrIiEEEESE_SE_iNS9_4plusIiEE19head_flag_predicateiEE10hipError_tPvRmT2_T3_T4_T5_mT6_T7_P12ihipStream_tbENKUlT_T0_E_clISt17integral_constantIbLb1EESY_EEDaST_SU_EUlST_E_NS1_11comp_targetILNS1_3genE10ELNS1_11target_archE1200ELNS1_3gpuE4ELNS1_3repE0EEENS1_30default_config_static_selectorELNS0_4arch9wavefront6targetE1EEEvT1_
                                        ; -- End function
	.section	.AMDGPU.csdata,"",@progbits
; Kernel info:
; codeLenInByte = 0
; NumSgprs: 6
; NumVgprs: 0
; NumAgprs: 0
; TotalNumVgprs: 0
; ScratchSize: 0
; MemoryBound: 0
; FloatMode: 240
; IeeeMode: 1
; LDSByteSize: 0 bytes/workgroup (compile time only)
; SGPRBlocks: 0
; VGPRBlocks: 0
; NumSGPRsForWavesPerEU: 6
; NumVGPRsForWavesPerEU: 1
; AccumOffset: 4
; Occupancy: 8
; WaveLimiterHint : 0
; COMPUTE_PGM_RSRC2:SCRATCH_EN: 0
; COMPUTE_PGM_RSRC2:USER_SGPR: 2
; COMPUTE_PGM_RSRC2:TRAP_HANDLER: 0
; COMPUTE_PGM_RSRC2:TGID_X_EN: 1
; COMPUTE_PGM_RSRC2:TGID_Y_EN: 0
; COMPUTE_PGM_RSRC2:TGID_Z_EN: 0
; COMPUTE_PGM_RSRC2:TIDIG_COMP_CNT: 0
; COMPUTE_PGM_RSRC3_GFX90A:ACCUM_OFFSET: 0
; COMPUTE_PGM_RSRC3_GFX90A:TG_SPLIT: 0
	.section	.text._ZN7rocprim17ROCPRIM_400000_NS6detail17trampoline_kernelINS0_14default_configENS1_27scan_by_key_config_selectorIiiEEZZNS1_16scan_by_key_implILNS1_25lookback_scan_determinismE0ELb0ES3_N6thrust23THRUST_200600_302600_NS6detail15normal_iteratorINS9_10device_ptrIiEEEESE_SE_iNS9_4plusIiEE19head_flag_predicateiEE10hipError_tPvRmT2_T3_T4_T5_mT6_T7_P12ihipStream_tbENKUlT_T0_E_clISt17integral_constantIbLb1EESY_EEDaST_SU_EUlST_E_NS1_11comp_targetILNS1_3genE9ELNS1_11target_archE1100ELNS1_3gpuE3ELNS1_3repE0EEENS1_30default_config_static_selectorELNS0_4arch9wavefront6targetE1EEEvT1_,"axG",@progbits,_ZN7rocprim17ROCPRIM_400000_NS6detail17trampoline_kernelINS0_14default_configENS1_27scan_by_key_config_selectorIiiEEZZNS1_16scan_by_key_implILNS1_25lookback_scan_determinismE0ELb0ES3_N6thrust23THRUST_200600_302600_NS6detail15normal_iteratorINS9_10device_ptrIiEEEESE_SE_iNS9_4plusIiEE19head_flag_predicateiEE10hipError_tPvRmT2_T3_T4_T5_mT6_T7_P12ihipStream_tbENKUlT_T0_E_clISt17integral_constantIbLb1EESY_EEDaST_SU_EUlST_E_NS1_11comp_targetILNS1_3genE9ELNS1_11target_archE1100ELNS1_3gpuE3ELNS1_3repE0EEENS1_30default_config_static_selectorELNS0_4arch9wavefront6targetE1EEEvT1_,comdat
	.protected	_ZN7rocprim17ROCPRIM_400000_NS6detail17trampoline_kernelINS0_14default_configENS1_27scan_by_key_config_selectorIiiEEZZNS1_16scan_by_key_implILNS1_25lookback_scan_determinismE0ELb0ES3_N6thrust23THRUST_200600_302600_NS6detail15normal_iteratorINS9_10device_ptrIiEEEESE_SE_iNS9_4plusIiEE19head_flag_predicateiEE10hipError_tPvRmT2_T3_T4_T5_mT6_T7_P12ihipStream_tbENKUlT_T0_E_clISt17integral_constantIbLb1EESY_EEDaST_SU_EUlST_E_NS1_11comp_targetILNS1_3genE9ELNS1_11target_archE1100ELNS1_3gpuE3ELNS1_3repE0EEENS1_30default_config_static_selectorELNS0_4arch9wavefront6targetE1EEEvT1_ ; -- Begin function _ZN7rocprim17ROCPRIM_400000_NS6detail17trampoline_kernelINS0_14default_configENS1_27scan_by_key_config_selectorIiiEEZZNS1_16scan_by_key_implILNS1_25lookback_scan_determinismE0ELb0ES3_N6thrust23THRUST_200600_302600_NS6detail15normal_iteratorINS9_10device_ptrIiEEEESE_SE_iNS9_4plusIiEE19head_flag_predicateiEE10hipError_tPvRmT2_T3_T4_T5_mT6_T7_P12ihipStream_tbENKUlT_T0_E_clISt17integral_constantIbLb1EESY_EEDaST_SU_EUlST_E_NS1_11comp_targetILNS1_3genE9ELNS1_11target_archE1100ELNS1_3gpuE3ELNS1_3repE0EEENS1_30default_config_static_selectorELNS0_4arch9wavefront6targetE1EEEvT1_
	.globl	_ZN7rocprim17ROCPRIM_400000_NS6detail17trampoline_kernelINS0_14default_configENS1_27scan_by_key_config_selectorIiiEEZZNS1_16scan_by_key_implILNS1_25lookback_scan_determinismE0ELb0ES3_N6thrust23THRUST_200600_302600_NS6detail15normal_iteratorINS9_10device_ptrIiEEEESE_SE_iNS9_4plusIiEE19head_flag_predicateiEE10hipError_tPvRmT2_T3_T4_T5_mT6_T7_P12ihipStream_tbENKUlT_T0_E_clISt17integral_constantIbLb1EESY_EEDaST_SU_EUlST_E_NS1_11comp_targetILNS1_3genE9ELNS1_11target_archE1100ELNS1_3gpuE3ELNS1_3repE0EEENS1_30default_config_static_selectorELNS0_4arch9wavefront6targetE1EEEvT1_
	.p2align	8
	.type	_ZN7rocprim17ROCPRIM_400000_NS6detail17trampoline_kernelINS0_14default_configENS1_27scan_by_key_config_selectorIiiEEZZNS1_16scan_by_key_implILNS1_25lookback_scan_determinismE0ELb0ES3_N6thrust23THRUST_200600_302600_NS6detail15normal_iteratorINS9_10device_ptrIiEEEESE_SE_iNS9_4plusIiEE19head_flag_predicateiEE10hipError_tPvRmT2_T3_T4_T5_mT6_T7_P12ihipStream_tbENKUlT_T0_E_clISt17integral_constantIbLb1EESY_EEDaST_SU_EUlST_E_NS1_11comp_targetILNS1_3genE9ELNS1_11target_archE1100ELNS1_3gpuE3ELNS1_3repE0EEENS1_30default_config_static_selectorELNS0_4arch9wavefront6targetE1EEEvT1_,@function
_ZN7rocprim17ROCPRIM_400000_NS6detail17trampoline_kernelINS0_14default_configENS1_27scan_by_key_config_selectorIiiEEZZNS1_16scan_by_key_implILNS1_25lookback_scan_determinismE0ELb0ES3_N6thrust23THRUST_200600_302600_NS6detail15normal_iteratorINS9_10device_ptrIiEEEESE_SE_iNS9_4plusIiEE19head_flag_predicateiEE10hipError_tPvRmT2_T3_T4_T5_mT6_T7_P12ihipStream_tbENKUlT_T0_E_clISt17integral_constantIbLb1EESY_EEDaST_SU_EUlST_E_NS1_11comp_targetILNS1_3genE9ELNS1_11target_archE1100ELNS1_3gpuE3ELNS1_3repE0EEENS1_30default_config_static_selectorELNS0_4arch9wavefront6targetE1EEEvT1_: ; @_ZN7rocprim17ROCPRIM_400000_NS6detail17trampoline_kernelINS0_14default_configENS1_27scan_by_key_config_selectorIiiEEZZNS1_16scan_by_key_implILNS1_25lookback_scan_determinismE0ELb0ES3_N6thrust23THRUST_200600_302600_NS6detail15normal_iteratorINS9_10device_ptrIiEEEESE_SE_iNS9_4plusIiEE19head_flag_predicateiEE10hipError_tPvRmT2_T3_T4_T5_mT6_T7_P12ihipStream_tbENKUlT_T0_E_clISt17integral_constantIbLb1EESY_EEDaST_SU_EUlST_E_NS1_11comp_targetILNS1_3genE9ELNS1_11target_archE1100ELNS1_3gpuE3ELNS1_3repE0EEENS1_30default_config_static_selectorELNS0_4arch9wavefront6targetE1EEEvT1_
; %bb.0:
	.section	.rodata,"a",@progbits
	.p2align	6, 0x0
	.amdhsa_kernel _ZN7rocprim17ROCPRIM_400000_NS6detail17trampoline_kernelINS0_14default_configENS1_27scan_by_key_config_selectorIiiEEZZNS1_16scan_by_key_implILNS1_25lookback_scan_determinismE0ELb0ES3_N6thrust23THRUST_200600_302600_NS6detail15normal_iteratorINS9_10device_ptrIiEEEESE_SE_iNS9_4plusIiEE19head_flag_predicateiEE10hipError_tPvRmT2_T3_T4_T5_mT6_T7_P12ihipStream_tbENKUlT_T0_E_clISt17integral_constantIbLb1EESY_EEDaST_SU_EUlST_E_NS1_11comp_targetILNS1_3genE9ELNS1_11target_archE1100ELNS1_3gpuE3ELNS1_3repE0EEENS1_30default_config_static_selectorELNS0_4arch9wavefront6targetE1EEEvT1_
		.amdhsa_group_segment_fixed_size 0
		.amdhsa_private_segment_fixed_size 0
		.amdhsa_kernarg_size 112
		.amdhsa_user_sgpr_count 2
		.amdhsa_user_sgpr_dispatch_ptr 0
		.amdhsa_user_sgpr_queue_ptr 0
		.amdhsa_user_sgpr_kernarg_segment_ptr 1
		.amdhsa_user_sgpr_dispatch_id 0
		.amdhsa_user_sgpr_kernarg_preload_length 0
		.amdhsa_user_sgpr_kernarg_preload_offset 0
		.amdhsa_user_sgpr_private_segment_size 0
		.amdhsa_uses_dynamic_stack 0
		.amdhsa_enable_private_segment 0
		.amdhsa_system_sgpr_workgroup_id_x 1
		.amdhsa_system_sgpr_workgroup_id_y 0
		.amdhsa_system_sgpr_workgroup_id_z 0
		.amdhsa_system_sgpr_workgroup_info 0
		.amdhsa_system_vgpr_workitem_id 0
		.amdhsa_next_free_vgpr 1
		.amdhsa_next_free_sgpr 0
		.amdhsa_accum_offset 4
		.amdhsa_reserve_vcc 0
		.amdhsa_float_round_mode_32 0
		.amdhsa_float_round_mode_16_64 0
		.amdhsa_float_denorm_mode_32 3
		.amdhsa_float_denorm_mode_16_64 3
		.amdhsa_dx10_clamp 1
		.amdhsa_ieee_mode 1
		.amdhsa_fp16_overflow 0
		.amdhsa_tg_split 0
		.amdhsa_exception_fp_ieee_invalid_op 0
		.amdhsa_exception_fp_denorm_src 0
		.amdhsa_exception_fp_ieee_div_zero 0
		.amdhsa_exception_fp_ieee_overflow 0
		.amdhsa_exception_fp_ieee_underflow 0
		.amdhsa_exception_fp_ieee_inexact 0
		.amdhsa_exception_int_div_zero 0
	.end_amdhsa_kernel
	.section	.text._ZN7rocprim17ROCPRIM_400000_NS6detail17trampoline_kernelINS0_14default_configENS1_27scan_by_key_config_selectorIiiEEZZNS1_16scan_by_key_implILNS1_25lookback_scan_determinismE0ELb0ES3_N6thrust23THRUST_200600_302600_NS6detail15normal_iteratorINS9_10device_ptrIiEEEESE_SE_iNS9_4plusIiEE19head_flag_predicateiEE10hipError_tPvRmT2_T3_T4_T5_mT6_T7_P12ihipStream_tbENKUlT_T0_E_clISt17integral_constantIbLb1EESY_EEDaST_SU_EUlST_E_NS1_11comp_targetILNS1_3genE9ELNS1_11target_archE1100ELNS1_3gpuE3ELNS1_3repE0EEENS1_30default_config_static_selectorELNS0_4arch9wavefront6targetE1EEEvT1_,"axG",@progbits,_ZN7rocprim17ROCPRIM_400000_NS6detail17trampoline_kernelINS0_14default_configENS1_27scan_by_key_config_selectorIiiEEZZNS1_16scan_by_key_implILNS1_25lookback_scan_determinismE0ELb0ES3_N6thrust23THRUST_200600_302600_NS6detail15normal_iteratorINS9_10device_ptrIiEEEESE_SE_iNS9_4plusIiEE19head_flag_predicateiEE10hipError_tPvRmT2_T3_T4_T5_mT6_T7_P12ihipStream_tbENKUlT_T0_E_clISt17integral_constantIbLb1EESY_EEDaST_SU_EUlST_E_NS1_11comp_targetILNS1_3genE9ELNS1_11target_archE1100ELNS1_3gpuE3ELNS1_3repE0EEENS1_30default_config_static_selectorELNS0_4arch9wavefront6targetE1EEEvT1_,comdat
.Lfunc_end765:
	.size	_ZN7rocprim17ROCPRIM_400000_NS6detail17trampoline_kernelINS0_14default_configENS1_27scan_by_key_config_selectorIiiEEZZNS1_16scan_by_key_implILNS1_25lookback_scan_determinismE0ELb0ES3_N6thrust23THRUST_200600_302600_NS6detail15normal_iteratorINS9_10device_ptrIiEEEESE_SE_iNS9_4plusIiEE19head_flag_predicateiEE10hipError_tPvRmT2_T3_T4_T5_mT6_T7_P12ihipStream_tbENKUlT_T0_E_clISt17integral_constantIbLb1EESY_EEDaST_SU_EUlST_E_NS1_11comp_targetILNS1_3genE9ELNS1_11target_archE1100ELNS1_3gpuE3ELNS1_3repE0EEENS1_30default_config_static_selectorELNS0_4arch9wavefront6targetE1EEEvT1_, .Lfunc_end765-_ZN7rocprim17ROCPRIM_400000_NS6detail17trampoline_kernelINS0_14default_configENS1_27scan_by_key_config_selectorIiiEEZZNS1_16scan_by_key_implILNS1_25lookback_scan_determinismE0ELb0ES3_N6thrust23THRUST_200600_302600_NS6detail15normal_iteratorINS9_10device_ptrIiEEEESE_SE_iNS9_4plusIiEE19head_flag_predicateiEE10hipError_tPvRmT2_T3_T4_T5_mT6_T7_P12ihipStream_tbENKUlT_T0_E_clISt17integral_constantIbLb1EESY_EEDaST_SU_EUlST_E_NS1_11comp_targetILNS1_3genE9ELNS1_11target_archE1100ELNS1_3gpuE3ELNS1_3repE0EEENS1_30default_config_static_selectorELNS0_4arch9wavefront6targetE1EEEvT1_
                                        ; -- End function
	.section	.AMDGPU.csdata,"",@progbits
; Kernel info:
; codeLenInByte = 0
; NumSgprs: 6
; NumVgprs: 0
; NumAgprs: 0
; TotalNumVgprs: 0
; ScratchSize: 0
; MemoryBound: 0
; FloatMode: 240
; IeeeMode: 1
; LDSByteSize: 0 bytes/workgroup (compile time only)
; SGPRBlocks: 0
; VGPRBlocks: 0
; NumSGPRsForWavesPerEU: 6
; NumVGPRsForWavesPerEU: 1
; AccumOffset: 4
; Occupancy: 8
; WaveLimiterHint : 0
; COMPUTE_PGM_RSRC2:SCRATCH_EN: 0
; COMPUTE_PGM_RSRC2:USER_SGPR: 2
; COMPUTE_PGM_RSRC2:TRAP_HANDLER: 0
; COMPUTE_PGM_RSRC2:TGID_X_EN: 1
; COMPUTE_PGM_RSRC2:TGID_Y_EN: 0
; COMPUTE_PGM_RSRC2:TGID_Z_EN: 0
; COMPUTE_PGM_RSRC2:TIDIG_COMP_CNT: 0
; COMPUTE_PGM_RSRC3_GFX90A:ACCUM_OFFSET: 0
; COMPUTE_PGM_RSRC3_GFX90A:TG_SPLIT: 0
	.section	.text._ZN7rocprim17ROCPRIM_400000_NS6detail17trampoline_kernelINS0_14default_configENS1_27scan_by_key_config_selectorIiiEEZZNS1_16scan_by_key_implILNS1_25lookback_scan_determinismE0ELb0ES3_N6thrust23THRUST_200600_302600_NS6detail15normal_iteratorINS9_10device_ptrIiEEEESE_SE_iNS9_4plusIiEE19head_flag_predicateiEE10hipError_tPvRmT2_T3_T4_T5_mT6_T7_P12ihipStream_tbENKUlT_T0_E_clISt17integral_constantIbLb1EESY_EEDaST_SU_EUlST_E_NS1_11comp_targetILNS1_3genE8ELNS1_11target_archE1030ELNS1_3gpuE2ELNS1_3repE0EEENS1_30default_config_static_selectorELNS0_4arch9wavefront6targetE1EEEvT1_,"axG",@progbits,_ZN7rocprim17ROCPRIM_400000_NS6detail17trampoline_kernelINS0_14default_configENS1_27scan_by_key_config_selectorIiiEEZZNS1_16scan_by_key_implILNS1_25lookback_scan_determinismE0ELb0ES3_N6thrust23THRUST_200600_302600_NS6detail15normal_iteratorINS9_10device_ptrIiEEEESE_SE_iNS9_4plusIiEE19head_flag_predicateiEE10hipError_tPvRmT2_T3_T4_T5_mT6_T7_P12ihipStream_tbENKUlT_T0_E_clISt17integral_constantIbLb1EESY_EEDaST_SU_EUlST_E_NS1_11comp_targetILNS1_3genE8ELNS1_11target_archE1030ELNS1_3gpuE2ELNS1_3repE0EEENS1_30default_config_static_selectorELNS0_4arch9wavefront6targetE1EEEvT1_,comdat
	.protected	_ZN7rocprim17ROCPRIM_400000_NS6detail17trampoline_kernelINS0_14default_configENS1_27scan_by_key_config_selectorIiiEEZZNS1_16scan_by_key_implILNS1_25lookback_scan_determinismE0ELb0ES3_N6thrust23THRUST_200600_302600_NS6detail15normal_iteratorINS9_10device_ptrIiEEEESE_SE_iNS9_4plusIiEE19head_flag_predicateiEE10hipError_tPvRmT2_T3_T4_T5_mT6_T7_P12ihipStream_tbENKUlT_T0_E_clISt17integral_constantIbLb1EESY_EEDaST_SU_EUlST_E_NS1_11comp_targetILNS1_3genE8ELNS1_11target_archE1030ELNS1_3gpuE2ELNS1_3repE0EEENS1_30default_config_static_selectorELNS0_4arch9wavefront6targetE1EEEvT1_ ; -- Begin function _ZN7rocprim17ROCPRIM_400000_NS6detail17trampoline_kernelINS0_14default_configENS1_27scan_by_key_config_selectorIiiEEZZNS1_16scan_by_key_implILNS1_25lookback_scan_determinismE0ELb0ES3_N6thrust23THRUST_200600_302600_NS6detail15normal_iteratorINS9_10device_ptrIiEEEESE_SE_iNS9_4plusIiEE19head_flag_predicateiEE10hipError_tPvRmT2_T3_T4_T5_mT6_T7_P12ihipStream_tbENKUlT_T0_E_clISt17integral_constantIbLb1EESY_EEDaST_SU_EUlST_E_NS1_11comp_targetILNS1_3genE8ELNS1_11target_archE1030ELNS1_3gpuE2ELNS1_3repE0EEENS1_30default_config_static_selectorELNS0_4arch9wavefront6targetE1EEEvT1_
	.globl	_ZN7rocprim17ROCPRIM_400000_NS6detail17trampoline_kernelINS0_14default_configENS1_27scan_by_key_config_selectorIiiEEZZNS1_16scan_by_key_implILNS1_25lookback_scan_determinismE0ELb0ES3_N6thrust23THRUST_200600_302600_NS6detail15normal_iteratorINS9_10device_ptrIiEEEESE_SE_iNS9_4plusIiEE19head_flag_predicateiEE10hipError_tPvRmT2_T3_T4_T5_mT6_T7_P12ihipStream_tbENKUlT_T0_E_clISt17integral_constantIbLb1EESY_EEDaST_SU_EUlST_E_NS1_11comp_targetILNS1_3genE8ELNS1_11target_archE1030ELNS1_3gpuE2ELNS1_3repE0EEENS1_30default_config_static_selectorELNS0_4arch9wavefront6targetE1EEEvT1_
	.p2align	8
	.type	_ZN7rocprim17ROCPRIM_400000_NS6detail17trampoline_kernelINS0_14default_configENS1_27scan_by_key_config_selectorIiiEEZZNS1_16scan_by_key_implILNS1_25lookback_scan_determinismE0ELb0ES3_N6thrust23THRUST_200600_302600_NS6detail15normal_iteratorINS9_10device_ptrIiEEEESE_SE_iNS9_4plusIiEE19head_flag_predicateiEE10hipError_tPvRmT2_T3_T4_T5_mT6_T7_P12ihipStream_tbENKUlT_T0_E_clISt17integral_constantIbLb1EESY_EEDaST_SU_EUlST_E_NS1_11comp_targetILNS1_3genE8ELNS1_11target_archE1030ELNS1_3gpuE2ELNS1_3repE0EEENS1_30default_config_static_selectorELNS0_4arch9wavefront6targetE1EEEvT1_,@function
_ZN7rocprim17ROCPRIM_400000_NS6detail17trampoline_kernelINS0_14default_configENS1_27scan_by_key_config_selectorIiiEEZZNS1_16scan_by_key_implILNS1_25lookback_scan_determinismE0ELb0ES3_N6thrust23THRUST_200600_302600_NS6detail15normal_iteratorINS9_10device_ptrIiEEEESE_SE_iNS9_4plusIiEE19head_flag_predicateiEE10hipError_tPvRmT2_T3_T4_T5_mT6_T7_P12ihipStream_tbENKUlT_T0_E_clISt17integral_constantIbLb1EESY_EEDaST_SU_EUlST_E_NS1_11comp_targetILNS1_3genE8ELNS1_11target_archE1030ELNS1_3gpuE2ELNS1_3repE0EEENS1_30default_config_static_selectorELNS0_4arch9wavefront6targetE1EEEvT1_: ; @_ZN7rocprim17ROCPRIM_400000_NS6detail17trampoline_kernelINS0_14default_configENS1_27scan_by_key_config_selectorIiiEEZZNS1_16scan_by_key_implILNS1_25lookback_scan_determinismE0ELb0ES3_N6thrust23THRUST_200600_302600_NS6detail15normal_iteratorINS9_10device_ptrIiEEEESE_SE_iNS9_4plusIiEE19head_flag_predicateiEE10hipError_tPvRmT2_T3_T4_T5_mT6_T7_P12ihipStream_tbENKUlT_T0_E_clISt17integral_constantIbLb1EESY_EEDaST_SU_EUlST_E_NS1_11comp_targetILNS1_3genE8ELNS1_11target_archE1030ELNS1_3gpuE2ELNS1_3repE0EEENS1_30default_config_static_selectorELNS0_4arch9wavefront6targetE1EEEvT1_
; %bb.0:
	.section	.rodata,"a",@progbits
	.p2align	6, 0x0
	.amdhsa_kernel _ZN7rocprim17ROCPRIM_400000_NS6detail17trampoline_kernelINS0_14default_configENS1_27scan_by_key_config_selectorIiiEEZZNS1_16scan_by_key_implILNS1_25lookback_scan_determinismE0ELb0ES3_N6thrust23THRUST_200600_302600_NS6detail15normal_iteratorINS9_10device_ptrIiEEEESE_SE_iNS9_4plusIiEE19head_flag_predicateiEE10hipError_tPvRmT2_T3_T4_T5_mT6_T7_P12ihipStream_tbENKUlT_T0_E_clISt17integral_constantIbLb1EESY_EEDaST_SU_EUlST_E_NS1_11comp_targetILNS1_3genE8ELNS1_11target_archE1030ELNS1_3gpuE2ELNS1_3repE0EEENS1_30default_config_static_selectorELNS0_4arch9wavefront6targetE1EEEvT1_
		.amdhsa_group_segment_fixed_size 0
		.amdhsa_private_segment_fixed_size 0
		.amdhsa_kernarg_size 112
		.amdhsa_user_sgpr_count 2
		.amdhsa_user_sgpr_dispatch_ptr 0
		.amdhsa_user_sgpr_queue_ptr 0
		.amdhsa_user_sgpr_kernarg_segment_ptr 1
		.amdhsa_user_sgpr_dispatch_id 0
		.amdhsa_user_sgpr_kernarg_preload_length 0
		.amdhsa_user_sgpr_kernarg_preload_offset 0
		.amdhsa_user_sgpr_private_segment_size 0
		.amdhsa_uses_dynamic_stack 0
		.amdhsa_enable_private_segment 0
		.amdhsa_system_sgpr_workgroup_id_x 1
		.amdhsa_system_sgpr_workgroup_id_y 0
		.amdhsa_system_sgpr_workgroup_id_z 0
		.amdhsa_system_sgpr_workgroup_info 0
		.amdhsa_system_vgpr_workitem_id 0
		.amdhsa_next_free_vgpr 1
		.amdhsa_next_free_sgpr 0
		.amdhsa_accum_offset 4
		.amdhsa_reserve_vcc 0
		.amdhsa_float_round_mode_32 0
		.amdhsa_float_round_mode_16_64 0
		.amdhsa_float_denorm_mode_32 3
		.amdhsa_float_denorm_mode_16_64 3
		.amdhsa_dx10_clamp 1
		.amdhsa_ieee_mode 1
		.amdhsa_fp16_overflow 0
		.amdhsa_tg_split 0
		.amdhsa_exception_fp_ieee_invalid_op 0
		.amdhsa_exception_fp_denorm_src 0
		.amdhsa_exception_fp_ieee_div_zero 0
		.amdhsa_exception_fp_ieee_overflow 0
		.amdhsa_exception_fp_ieee_underflow 0
		.amdhsa_exception_fp_ieee_inexact 0
		.amdhsa_exception_int_div_zero 0
	.end_amdhsa_kernel
	.section	.text._ZN7rocprim17ROCPRIM_400000_NS6detail17trampoline_kernelINS0_14default_configENS1_27scan_by_key_config_selectorIiiEEZZNS1_16scan_by_key_implILNS1_25lookback_scan_determinismE0ELb0ES3_N6thrust23THRUST_200600_302600_NS6detail15normal_iteratorINS9_10device_ptrIiEEEESE_SE_iNS9_4plusIiEE19head_flag_predicateiEE10hipError_tPvRmT2_T3_T4_T5_mT6_T7_P12ihipStream_tbENKUlT_T0_E_clISt17integral_constantIbLb1EESY_EEDaST_SU_EUlST_E_NS1_11comp_targetILNS1_3genE8ELNS1_11target_archE1030ELNS1_3gpuE2ELNS1_3repE0EEENS1_30default_config_static_selectorELNS0_4arch9wavefront6targetE1EEEvT1_,"axG",@progbits,_ZN7rocprim17ROCPRIM_400000_NS6detail17trampoline_kernelINS0_14default_configENS1_27scan_by_key_config_selectorIiiEEZZNS1_16scan_by_key_implILNS1_25lookback_scan_determinismE0ELb0ES3_N6thrust23THRUST_200600_302600_NS6detail15normal_iteratorINS9_10device_ptrIiEEEESE_SE_iNS9_4plusIiEE19head_flag_predicateiEE10hipError_tPvRmT2_T3_T4_T5_mT6_T7_P12ihipStream_tbENKUlT_T0_E_clISt17integral_constantIbLb1EESY_EEDaST_SU_EUlST_E_NS1_11comp_targetILNS1_3genE8ELNS1_11target_archE1030ELNS1_3gpuE2ELNS1_3repE0EEENS1_30default_config_static_selectorELNS0_4arch9wavefront6targetE1EEEvT1_,comdat
.Lfunc_end766:
	.size	_ZN7rocprim17ROCPRIM_400000_NS6detail17trampoline_kernelINS0_14default_configENS1_27scan_by_key_config_selectorIiiEEZZNS1_16scan_by_key_implILNS1_25lookback_scan_determinismE0ELb0ES3_N6thrust23THRUST_200600_302600_NS6detail15normal_iteratorINS9_10device_ptrIiEEEESE_SE_iNS9_4plusIiEE19head_flag_predicateiEE10hipError_tPvRmT2_T3_T4_T5_mT6_T7_P12ihipStream_tbENKUlT_T0_E_clISt17integral_constantIbLb1EESY_EEDaST_SU_EUlST_E_NS1_11comp_targetILNS1_3genE8ELNS1_11target_archE1030ELNS1_3gpuE2ELNS1_3repE0EEENS1_30default_config_static_selectorELNS0_4arch9wavefront6targetE1EEEvT1_, .Lfunc_end766-_ZN7rocprim17ROCPRIM_400000_NS6detail17trampoline_kernelINS0_14default_configENS1_27scan_by_key_config_selectorIiiEEZZNS1_16scan_by_key_implILNS1_25lookback_scan_determinismE0ELb0ES3_N6thrust23THRUST_200600_302600_NS6detail15normal_iteratorINS9_10device_ptrIiEEEESE_SE_iNS9_4plusIiEE19head_flag_predicateiEE10hipError_tPvRmT2_T3_T4_T5_mT6_T7_P12ihipStream_tbENKUlT_T0_E_clISt17integral_constantIbLb1EESY_EEDaST_SU_EUlST_E_NS1_11comp_targetILNS1_3genE8ELNS1_11target_archE1030ELNS1_3gpuE2ELNS1_3repE0EEENS1_30default_config_static_selectorELNS0_4arch9wavefront6targetE1EEEvT1_
                                        ; -- End function
	.section	.AMDGPU.csdata,"",@progbits
; Kernel info:
; codeLenInByte = 0
; NumSgprs: 6
; NumVgprs: 0
; NumAgprs: 0
; TotalNumVgprs: 0
; ScratchSize: 0
; MemoryBound: 0
; FloatMode: 240
; IeeeMode: 1
; LDSByteSize: 0 bytes/workgroup (compile time only)
; SGPRBlocks: 0
; VGPRBlocks: 0
; NumSGPRsForWavesPerEU: 6
; NumVGPRsForWavesPerEU: 1
; AccumOffset: 4
; Occupancy: 8
; WaveLimiterHint : 0
; COMPUTE_PGM_RSRC2:SCRATCH_EN: 0
; COMPUTE_PGM_RSRC2:USER_SGPR: 2
; COMPUTE_PGM_RSRC2:TRAP_HANDLER: 0
; COMPUTE_PGM_RSRC2:TGID_X_EN: 1
; COMPUTE_PGM_RSRC2:TGID_Y_EN: 0
; COMPUTE_PGM_RSRC2:TGID_Z_EN: 0
; COMPUTE_PGM_RSRC2:TIDIG_COMP_CNT: 0
; COMPUTE_PGM_RSRC3_GFX90A:ACCUM_OFFSET: 0
; COMPUTE_PGM_RSRC3_GFX90A:TG_SPLIT: 0
	.section	.text._ZN7rocprim17ROCPRIM_400000_NS6detail17trampoline_kernelINS0_14default_configENS1_27scan_by_key_config_selectorIiiEEZZNS1_16scan_by_key_implILNS1_25lookback_scan_determinismE0ELb0ES3_N6thrust23THRUST_200600_302600_NS6detail15normal_iteratorINS9_10device_ptrIiEEEESE_SE_iNS9_4plusIiEE19head_flag_predicateiEE10hipError_tPvRmT2_T3_T4_T5_mT6_T7_P12ihipStream_tbENKUlT_T0_E_clISt17integral_constantIbLb1EESX_IbLb0EEEEDaST_SU_EUlST_E_NS1_11comp_targetILNS1_3genE0ELNS1_11target_archE4294967295ELNS1_3gpuE0ELNS1_3repE0EEENS1_30default_config_static_selectorELNS0_4arch9wavefront6targetE1EEEvT1_,"axG",@progbits,_ZN7rocprim17ROCPRIM_400000_NS6detail17trampoline_kernelINS0_14default_configENS1_27scan_by_key_config_selectorIiiEEZZNS1_16scan_by_key_implILNS1_25lookback_scan_determinismE0ELb0ES3_N6thrust23THRUST_200600_302600_NS6detail15normal_iteratorINS9_10device_ptrIiEEEESE_SE_iNS9_4plusIiEE19head_flag_predicateiEE10hipError_tPvRmT2_T3_T4_T5_mT6_T7_P12ihipStream_tbENKUlT_T0_E_clISt17integral_constantIbLb1EESX_IbLb0EEEEDaST_SU_EUlST_E_NS1_11comp_targetILNS1_3genE0ELNS1_11target_archE4294967295ELNS1_3gpuE0ELNS1_3repE0EEENS1_30default_config_static_selectorELNS0_4arch9wavefront6targetE1EEEvT1_,comdat
	.protected	_ZN7rocprim17ROCPRIM_400000_NS6detail17trampoline_kernelINS0_14default_configENS1_27scan_by_key_config_selectorIiiEEZZNS1_16scan_by_key_implILNS1_25lookback_scan_determinismE0ELb0ES3_N6thrust23THRUST_200600_302600_NS6detail15normal_iteratorINS9_10device_ptrIiEEEESE_SE_iNS9_4plusIiEE19head_flag_predicateiEE10hipError_tPvRmT2_T3_T4_T5_mT6_T7_P12ihipStream_tbENKUlT_T0_E_clISt17integral_constantIbLb1EESX_IbLb0EEEEDaST_SU_EUlST_E_NS1_11comp_targetILNS1_3genE0ELNS1_11target_archE4294967295ELNS1_3gpuE0ELNS1_3repE0EEENS1_30default_config_static_selectorELNS0_4arch9wavefront6targetE1EEEvT1_ ; -- Begin function _ZN7rocprim17ROCPRIM_400000_NS6detail17trampoline_kernelINS0_14default_configENS1_27scan_by_key_config_selectorIiiEEZZNS1_16scan_by_key_implILNS1_25lookback_scan_determinismE0ELb0ES3_N6thrust23THRUST_200600_302600_NS6detail15normal_iteratorINS9_10device_ptrIiEEEESE_SE_iNS9_4plusIiEE19head_flag_predicateiEE10hipError_tPvRmT2_T3_T4_T5_mT6_T7_P12ihipStream_tbENKUlT_T0_E_clISt17integral_constantIbLb1EESX_IbLb0EEEEDaST_SU_EUlST_E_NS1_11comp_targetILNS1_3genE0ELNS1_11target_archE4294967295ELNS1_3gpuE0ELNS1_3repE0EEENS1_30default_config_static_selectorELNS0_4arch9wavefront6targetE1EEEvT1_
	.globl	_ZN7rocprim17ROCPRIM_400000_NS6detail17trampoline_kernelINS0_14default_configENS1_27scan_by_key_config_selectorIiiEEZZNS1_16scan_by_key_implILNS1_25lookback_scan_determinismE0ELb0ES3_N6thrust23THRUST_200600_302600_NS6detail15normal_iteratorINS9_10device_ptrIiEEEESE_SE_iNS9_4plusIiEE19head_flag_predicateiEE10hipError_tPvRmT2_T3_T4_T5_mT6_T7_P12ihipStream_tbENKUlT_T0_E_clISt17integral_constantIbLb1EESX_IbLb0EEEEDaST_SU_EUlST_E_NS1_11comp_targetILNS1_3genE0ELNS1_11target_archE4294967295ELNS1_3gpuE0ELNS1_3repE0EEENS1_30default_config_static_selectorELNS0_4arch9wavefront6targetE1EEEvT1_
	.p2align	8
	.type	_ZN7rocprim17ROCPRIM_400000_NS6detail17trampoline_kernelINS0_14default_configENS1_27scan_by_key_config_selectorIiiEEZZNS1_16scan_by_key_implILNS1_25lookback_scan_determinismE0ELb0ES3_N6thrust23THRUST_200600_302600_NS6detail15normal_iteratorINS9_10device_ptrIiEEEESE_SE_iNS9_4plusIiEE19head_flag_predicateiEE10hipError_tPvRmT2_T3_T4_T5_mT6_T7_P12ihipStream_tbENKUlT_T0_E_clISt17integral_constantIbLb1EESX_IbLb0EEEEDaST_SU_EUlST_E_NS1_11comp_targetILNS1_3genE0ELNS1_11target_archE4294967295ELNS1_3gpuE0ELNS1_3repE0EEENS1_30default_config_static_selectorELNS0_4arch9wavefront6targetE1EEEvT1_,@function
_ZN7rocprim17ROCPRIM_400000_NS6detail17trampoline_kernelINS0_14default_configENS1_27scan_by_key_config_selectorIiiEEZZNS1_16scan_by_key_implILNS1_25lookback_scan_determinismE0ELb0ES3_N6thrust23THRUST_200600_302600_NS6detail15normal_iteratorINS9_10device_ptrIiEEEESE_SE_iNS9_4plusIiEE19head_flag_predicateiEE10hipError_tPvRmT2_T3_T4_T5_mT6_T7_P12ihipStream_tbENKUlT_T0_E_clISt17integral_constantIbLb1EESX_IbLb0EEEEDaST_SU_EUlST_E_NS1_11comp_targetILNS1_3genE0ELNS1_11target_archE4294967295ELNS1_3gpuE0ELNS1_3repE0EEENS1_30default_config_static_selectorELNS0_4arch9wavefront6targetE1EEEvT1_: ; @_ZN7rocprim17ROCPRIM_400000_NS6detail17trampoline_kernelINS0_14default_configENS1_27scan_by_key_config_selectorIiiEEZZNS1_16scan_by_key_implILNS1_25lookback_scan_determinismE0ELb0ES3_N6thrust23THRUST_200600_302600_NS6detail15normal_iteratorINS9_10device_ptrIiEEEESE_SE_iNS9_4plusIiEE19head_flag_predicateiEE10hipError_tPvRmT2_T3_T4_T5_mT6_T7_P12ihipStream_tbENKUlT_T0_E_clISt17integral_constantIbLb1EESX_IbLb0EEEEDaST_SU_EUlST_E_NS1_11comp_targetILNS1_3genE0ELNS1_11target_archE4294967295ELNS1_3gpuE0ELNS1_3repE0EEENS1_30default_config_static_selectorELNS0_4arch9wavefront6targetE1EEEvT1_
; %bb.0:
	.section	.rodata,"a",@progbits
	.p2align	6, 0x0
	.amdhsa_kernel _ZN7rocprim17ROCPRIM_400000_NS6detail17trampoline_kernelINS0_14default_configENS1_27scan_by_key_config_selectorIiiEEZZNS1_16scan_by_key_implILNS1_25lookback_scan_determinismE0ELb0ES3_N6thrust23THRUST_200600_302600_NS6detail15normal_iteratorINS9_10device_ptrIiEEEESE_SE_iNS9_4plusIiEE19head_flag_predicateiEE10hipError_tPvRmT2_T3_T4_T5_mT6_T7_P12ihipStream_tbENKUlT_T0_E_clISt17integral_constantIbLb1EESX_IbLb0EEEEDaST_SU_EUlST_E_NS1_11comp_targetILNS1_3genE0ELNS1_11target_archE4294967295ELNS1_3gpuE0ELNS1_3repE0EEENS1_30default_config_static_selectorELNS0_4arch9wavefront6targetE1EEEvT1_
		.amdhsa_group_segment_fixed_size 0
		.amdhsa_private_segment_fixed_size 0
		.amdhsa_kernarg_size 112
		.amdhsa_user_sgpr_count 2
		.amdhsa_user_sgpr_dispatch_ptr 0
		.amdhsa_user_sgpr_queue_ptr 0
		.amdhsa_user_sgpr_kernarg_segment_ptr 1
		.amdhsa_user_sgpr_dispatch_id 0
		.amdhsa_user_sgpr_kernarg_preload_length 0
		.amdhsa_user_sgpr_kernarg_preload_offset 0
		.amdhsa_user_sgpr_private_segment_size 0
		.amdhsa_uses_dynamic_stack 0
		.amdhsa_enable_private_segment 0
		.amdhsa_system_sgpr_workgroup_id_x 1
		.amdhsa_system_sgpr_workgroup_id_y 0
		.amdhsa_system_sgpr_workgroup_id_z 0
		.amdhsa_system_sgpr_workgroup_info 0
		.amdhsa_system_vgpr_workitem_id 0
		.amdhsa_next_free_vgpr 1
		.amdhsa_next_free_sgpr 0
		.amdhsa_accum_offset 4
		.amdhsa_reserve_vcc 0
		.amdhsa_float_round_mode_32 0
		.amdhsa_float_round_mode_16_64 0
		.amdhsa_float_denorm_mode_32 3
		.amdhsa_float_denorm_mode_16_64 3
		.amdhsa_dx10_clamp 1
		.amdhsa_ieee_mode 1
		.amdhsa_fp16_overflow 0
		.amdhsa_tg_split 0
		.amdhsa_exception_fp_ieee_invalid_op 0
		.amdhsa_exception_fp_denorm_src 0
		.amdhsa_exception_fp_ieee_div_zero 0
		.amdhsa_exception_fp_ieee_overflow 0
		.amdhsa_exception_fp_ieee_underflow 0
		.amdhsa_exception_fp_ieee_inexact 0
		.amdhsa_exception_int_div_zero 0
	.end_amdhsa_kernel
	.section	.text._ZN7rocprim17ROCPRIM_400000_NS6detail17trampoline_kernelINS0_14default_configENS1_27scan_by_key_config_selectorIiiEEZZNS1_16scan_by_key_implILNS1_25lookback_scan_determinismE0ELb0ES3_N6thrust23THRUST_200600_302600_NS6detail15normal_iteratorINS9_10device_ptrIiEEEESE_SE_iNS9_4plusIiEE19head_flag_predicateiEE10hipError_tPvRmT2_T3_T4_T5_mT6_T7_P12ihipStream_tbENKUlT_T0_E_clISt17integral_constantIbLb1EESX_IbLb0EEEEDaST_SU_EUlST_E_NS1_11comp_targetILNS1_3genE0ELNS1_11target_archE4294967295ELNS1_3gpuE0ELNS1_3repE0EEENS1_30default_config_static_selectorELNS0_4arch9wavefront6targetE1EEEvT1_,"axG",@progbits,_ZN7rocprim17ROCPRIM_400000_NS6detail17trampoline_kernelINS0_14default_configENS1_27scan_by_key_config_selectorIiiEEZZNS1_16scan_by_key_implILNS1_25lookback_scan_determinismE0ELb0ES3_N6thrust23THRUST_200600_302600_NS6detail15normal_iteratorINS9_10device_ptrIiEEEESE_SE_iNS9_4plusIiEE19head_flag_predicateiEE10hipError_tPvRmT2_T3_T4_T5_mT6_T7_P12ihipStream_tbENKUlT_T0_E_clISt17integral_constantIbLb1EESX_IbLb0EEEEDaST_SU_EUlST_E_NS1_11comp_targetILNS1_3genE0ELNS1_11target_archE4294967295ELNS1_3gpuE0ELNS1_3repE0EEENS1_30default_config_static_selectorELNS0_4arch9wavefront6targetE1EEEvT1_,comdat
.Lfunc_end767:
	.size	_ZN7rocprim17ROCPRIM_400000_NS6detail17trampoline_kernelINS0_14default_configENS1_27scan_by_key_config_selectorIiiEEZZNS1_16scan_by_key_implILNS1_25lookback_scan_determinismE0ELb0ES3_N6thrust23THRUST_200600_302600_NS6detail15normal_iteratorINS9_10device_ptrIiEEEESE_SE_iNS9_4plusIiEE19head_flag_predicateiEE10hipError_tPvRmT2_T3_T4_T5_mT6_T7_P12ihipStream_tbENKUlT_T0_E_clISt17integral_constantIbLb1EESX_IbLb0EEEEDaST_SU_EUlST_E_NS1_11comp_targetILNS1_3genE0ELNS1_11target_archE4294967295ELNS1_3gpuE0ELNS1_3repE0EEENS1_30default_config_static_selectorELNS0_4arch9wavefront6targetE1EEEvT1_, .Lfunc_end767-_ZN7rocprim17ROCPRIM_400000_NS6detail17trampoline_kernelINS0_14default_configENS1_27scan_by_key_config_selectorIiiEEZZNS1_16scan_by_key_implILNS1_25lookback_scan_determinismE0ELb0ES3_N6thrust23THRUST_200600_302600_NS6detail15normal_iteratorINS9_10device_ptrIiEEEESE_SE_iNS9_4plusIiEE19head_flag_predicateiEE10hipError_tPvRmT2_T3_T4_T5_mT6_T7_P12ihipStream_tbENKUlT_T0_E_clISt17integral_constantIbLb1EESX_IbLb0EEEEDaST_SU_EUlST_E_NS1_11comp_targetILNS1_3genE0ELNS1_11target_archE4294967295ELNS1_3gpuE0ELNS1_3repE0EEENS1_30default_config_static_selectorELNS0_4arch9wavefront6targetE1EEEvT1_
                                        ; -- End function
	.section	.AMDGPU.csdata,"",@progbits
; Kernel info:
; codeLenInByte = 0
; NumSgprs: 6
; NumVgprs: 0
; NumAgprs: 0
; TotalNumVgprs: 0
; ScratchSize: 0
; MemoryBound: 0
; FloatMode: 240
; IeeeMode: 1
; LDSByteSize: 0 bytes/workgroup (compile time only)
; SGPRBlocks: 0
; VGPRBlocks: 0
; NumSGPRsForWavesPerEU: 6
; NumVGPRsForWavesPerEU: 1
; AccumOffset: 4
; Occupancy: 8
; WaveLimiterHint : 0
; COMPUTE_PGM_RSRC2:SCRATCH_EN: 0
; COMPUTE_PGM_RSRC2:USER_SGPR: 2
; COMPUTE_PGM_RSRC2:TRAP_HANDLER: 0
; COMPUTE_PGM_RSRC2:TGID_X_EN: 1
; COMPUTE_PGM_RSRC2:TGID_Y_EN: 0
; COMPUTE_PGM_RSRC2:TGID_Z_EN: 0
; COMPUTE_PGM_RSRC2:TIDIG_COMP_CNT: 0
; COMPUTE_PGM_RSRC3_GFX90A:ACCUM_OFFSET: 0
; COMPUTE_PGM_RSRC3_GFX90A:TG_SPLIT: 0
	.section	.text._ZN7rocprim17ROCPRIM_400000_NS6detail17trampoline_kernelINS0_14default_configENS1_27scan_by_key_config_selectorIiiEEZZNS1_16scan_by_key_implILNS1_25lookback_scan_determinismE0ELb0ES3_N6thrust23THRUST_200600_302600_NS6detail15normal_iteratorINS9_10device_ptrIiEEEESE_SE_iNS9_4plusIiEE19head_flag_predicateiEE10hipError_tPvRmT2_T3_T4_T5_mT6_T7_P12ihipStream_tbENKUlT_T0_E_clISt17integral_constantIbLb1EESX_IbLb0EEEEDaST_SU_EUlST_E_NS1_11comp_targetILNS1_3genE10ELNS1_11target_archE1201ELNS1_3gpuE5ELNS1_3repE0EEENS1_30default_config_static_selectorELNS0_4arch9wavefront6targetE1EEEvT1_,"axG",@progbits,_ZN7rocprim17ROCPRIM_400000_NS6detail17trampoline_kernelINS0_14default_configENS1_27scan_by_key_config_selectorIiiEEZZNS1_16scan_by_key_implILNS1_25lookback_scan_determinismE0ELb0ES3_N6thrust23THRUST_200600_302600_NS6detail15normal_iteratorINS9_10device_ptrIiEEEESE_SE_iNS9_4plusIiEE19head_flag_predicateiEE10hipError_tPvRmT2_T3_T4_T5_mT6_T7_P12ihipStream_tbENKUlT_T0_E_clISt17integral_constantIbLb1EESX_IbLb0EEEEDaST_SU_EUlST_E_NS1_11comp_targetILNS1_3genE10ELNS1_11target_archE1201ELNS1_3gpuE5ELNS1_3repE0EEENS1_30default_config_static_selectorELNS0_4arch9wavefront6targetE1EEEvT1_,comdat
	.protected	_ZN7rocprim17ROCPRIM_400000_NS6detail17trampoline_kernelINS0_14default_configENS1_27scan_by_key_config_selectorIiiEEZZNS1_16scan_by_key_implILNS1_25lookback_scan_determinismE0ELb0ES3_N6thrust23THRUST_200600_302600_NS6detail15normal_iteratorINS9_10device_ptrIiEEEESE_SE_iNS9_4plusIiEE19head_flag_predicateiEE10hipError_tPvRmT2_T3_T4_T5_mT6_T7_P12ihipStream_tbENKUlT_T0_E_clISt17integral_constantIbLb1EESX_IbLb0EEEEDaST_SU_EUlST_E_NS1_11comp_targetILNS1_3genE10ELNS1_11target_archE1201ELNS1_3gpuE5ELNS1_3repE0EEENS1_30default_config_static_selectorELNS0_4arch9wavefront6targetE1EEEvT1_ ; -- Begin function _ZN7rocprim17ROCPRIM_400000_NS6detail17trampoline_kernelINS0_14default_configENS1_27scan_by_key_config_selectorIiiEEZZNS1_16scan_by_key_implILNS1_25lookback_scan_determinismE0ELb0ES3_N6thrust23THRUST_200600_302600_NS6detail15normal_iteratorINS9_10device_ptrIiEEEESE_SE_iNS9_4plusIiEE19head_flag_predicateiEE10hipError_tPvRmT2_T3_T4_T5_mT6_T7_P12ihipStream_tbENKUlT_T0_E_clISt17integral_constantIbLb1EESX_IbLb0EEEEDaST_SU_EUlST_E_NS1_11comp_targetILNS1_3genE10ELNS1_11target_archE1201ELNS1_3gpuE5ELNS1_3repE0EEENS1_30default_config_static_selectorELNS0_4arch9wavefront6targetE1EEEvT1_
	.globl	_ZN7rocprim17ROCPRIM_400000_NS6detail17trampoline_kernelINS0_14default_configENS1_27scan_by_key_config_selectorIiiEEZZNS1_16scan_by_key_implILNS1_25lookback_scan_determinismE0ELb0ES3_N6thrust23THRUST_200600_302600_NS6detail15normal_iteratorINS9_10device_ptrIiEEEESE_SE_iNS9_4plusIiEE19head_flag_predicateiEE10hipError_tPvRmT2_T3_T4_T5_mT6_T7_P12ihipStream_tbENKUlT_T0_E_clISt17integral_constantIbLb1EESX_IbLb0EEEEDaST_SU_EUlST_E_NS1_11comp_targetILNS1_3genE10ELNS1_11target_archE1201ELNS1_3gpuE5ELNS1_3repE0EEENS1_30default_config_static_selectorELNS0_4arch9wavefront6targetE1EEEvT1_
	.p2align	8
	.type	_ZN7rocprim17ROCPRIM_400000_NS6detail17trampoline_kernelINS0_14default_configENS1_27scan_by_key_config_selectorIiiEEZZNS1_16scan_by_key_implILNS1_25lookback_scan_determinismE0ELb0ES3_N6thrust23THRUST_200600_302600_NS6detail15normal_iteratorINS9_10device_ptrIiEEEESE_SE_iNS9_4plusIiEE19head_flag_predicateiEE10hipError_tPvRmT2_T3_T4_T5_mT6_T7_P12ihipStream_tbENKUlT_T0_E_clISt17integral_constantIbLb1EESX_IbLb0EEEEDaST_SU_EUlST_E_NS1_11comp_targetILNS1_3genE10ELNS1_11target_archE1201ELNS1_3gpuE5ELNS1_3repE0EEENS1_30default_config_static_selectorELNS0_4arch9wavefront6targetE1EEEvT1_,@function
_ZN7rocprim17ROCPRIM_400000_NS6detail17trampoline_kernelINS0_14default_configENS1_27scan_by_key_config_selectorIiiEEZZNS1_16scan_by_key_implILNS1_25lookback_scan_determinismE0ELb0ES3_N6thrust23THRUST_200600_302600_NS6detail15normal_iteratorINS9_10device_ptrIiEEEESE_SE_iNS9_4plusIiEE19head_flag_predicateiEE10hipError_tPvRmT2_T3_T4_T5_mT6_T7_P12ihipStream_tbENKUlT_T0_E_clISt17integral_constantIbLb1EESX_IbLb0EEEEDaST_SU_EUlST_E_NS1_11comp_targetILNS1_3genE10ELNS1_11target_archE1201ELNS1_3gpuE5ELNS1_3repE0EEENS1_30default_config_static_selectorELNS0_4arch9wavefront6targetE1EEEvT1_: ; @_ZN7rocprim17ROCPRIM_400000_NS6detail17trampoline_kernelINS0_14default_configENS1_27scan_by_key_config_selectorIiiEEZZNS1_16scan_by_key_implILNS1_25lookback_scan_determinismE0ELb0ES3_N6thrust23THRUST_200600_302600_NS6detail15normal_iteratorINS9_10device_ptrIiEEEESE_SE_iNS9_4plusIiEE19head_flag_predicateiEE10hipError_tPvRmT2_T3_T4_T5_mT6_T7_P12ihipStream_tbENKUlT_T0_E_clISt17integral_constantIbLb1EESX_IbLb0EEEEDaST_SU_EUlST_E_NS1_11comp_targetILNS1_3genE10ELNS1_11target_archE1201ELNS1_3gpuE5ELNS1_3repE0EEENS1_30default_config_static_selectorELNS0_4arch9wavefront6targetE1EEEvT1_
; %bb.0:
	.section	.rodata,"a",@progbits
	.p2align	6, 0x0
	.amdhsa_kernel _ZN7rocprim17ROCPRIM_400000_NS6detail17trampoline_kernelINS0_14default_configENS1_27scan_by_key_config_selectorIiiEEZZNS1_16scan_by_key_implILNS1_25lookback_scan_determinismE0ELb0ES3_N6thrust23THRUST_200600_302600_NS6detail15normal_iteratorINS9_10device_ptrIiEEEESE_SE_iNS9_4plusIiEE19head_flag_predicateiEE10hipError_tPvRmT2_T3_T4_T5_mT6_T7_P12ihipStream_tbENKUlT_T0_E_clISt17integral_constantIbLb1EESX_IbLb0EEEEDaST_SU_EUlST_E_NS1_11comp_targetILNS1_3genE10ELNS1_11target_archE1201ELNS1_3gpuE5ELNS1_3repE0EEENS1_30default_config_static_selectorELNS0_4arch9wavefront6targetE1EEEvT1_
		.amdhsa_group_segment_fixed_size 0
		.amdhsa_private_segment_fixed_size 0
		.amdhsa_kernarg_size 112
		.amdhsa_user_sgpr_count 2
		.amdhsa_user_sgpr_dispatch_ptr 0
		.amdhsa_user_sgpr_queue_ptr 0
		.amdhsa_user_sgpr_kernarg_segment_ptr 1
		.amdhsa_user_sgpr_dispatch_id 0
		.amdhsa_user_sgpr_kernarg_preload_length 0
		.amdhsa_user_sgpr_kernarg_preload_offset 0
		.amdhsa_user_sgpr_private_segment_size 0
		.amdhsa_uses_dynamic_stack 0
		.amdhsa_enable_private_segment 0
		.amdhsa_system_sgpr_workgroup_id_x 1
		.amdhsa_system_sgpr_workgroup_id_y 0
		.amdhsa_system_sgpr_workgroup_id_z 0
		.amdhsa_system_sgpr_workgroup_info 0
		.amdhsa_system_vgpr_workitem_id 0
		.amdhsa_next_free_vgpr 1
		.amdhsa_next_free_sgpr 0
		.amdhsa_accum_offset 4
		.amdhsa_reserve_vcc 0
		.amdhsa_float_round_mode_32 0
		.amdhsa_float_round_mode_16_64 0
		.amdhsa_float_denorm_mode_32 3
		.amdhsa_float_denorm_mode_16_64 3
		.amdhsa_dx10_clamp 1
		.amdhsa_ieee_mode 1
		.amdhsa_fp16_overflow 0
		.amdhsa_tg_split 0
		.amdhsa_exception_fp_ieee_invalid_op 0
		.amdhsa_exception_fp_denorm_src 0
		.amdhsa_exception_fp_ieee_div_zero 0
		.amdhsa_exception_fp_ieee_overflow 0
		.amdhsa_exception_fp_ieee_underflow 0
		.amdhsa_exception_fp_ieee_inexact 0
		.amdhsa_exception_int_div_zero 0
	.end_amdhsa_kernel
	.section	.text._ZN7rocprim17ROCPRIM_400000_NS6detail17trampoline_kernelINS0_14default_configENS1_27scan_by_key_config_selectorIiiEEZZNS1_16scan_by_key_implILNS1_25lookback_scan_determinismE0ELb0ES3_N6thrust23THRUST_200600_302600_NS6detail15normal_iteratorINS9_10device_ptrIiEEEESE_SE_iNS9_4plusIiEE19head_flag_predicateiEE10hipError_tPvRmT2_T3_T4_T5_mT6_T7_P12ihipStream_tbENKUlT_T0_E_clISt17integral_constantIbLb1EESX_IbLb0EEEEDaST_SU_EUlST_E_NS1_11comp_targetILNS1_3genE10ELNS1_11target_archE1201ELNS1_3gpuE5ELNS1_3repE0EEENS1_30default_config_static_selectorELNS0_4arch9wavefront6targetE1EEEvT1_,"axG",@progbits,_ZN7rocprim17ROCPRIM_400000_NS6detail17trampoline_kernelINS0_14default_configENS1_27scan_by_key_config_selectorIiiEEZZNS1_16scan_by_key_implILNS1_25lookback_scan_determinismE0ELb0ES3_N6thrust23THRUST_200600_302600_NS6detail15normal_iteratorINS9_10device_ptrIiEEEESE_SE_iNS9_4plusIiEE19head_flag_predicateiEE10hipError_tPvRmT2_T3_T4_T5_mT6_T7_P12ihipStream_tbENKUlT_T0_E_clISt17integral_constantIbLb1EESX_IbLb0EEEEDaST_SU_EUlST_E_NS1_11comp_targetILNS1_3genE10ELNS1_11target_archE1201ELNS1_3gpuE5ELNS1_3repE0EEENS1_30default_config_static_selectorELNS0_4arch9wavefront6targetE1EEEvT1_,comdat
.Lfunc_end768:
	.size	_ZN7rocprim17ROCPRIM_400000_NS6detail17trampoline_kernelINS0_14default_configENS1_27scan_by_key_config_selectorIiiEEZZNS1_16scan_by_key_implILNS1_25lookback_scan_determinismE0ELb0ES3_N6thrust23THRUST_200600_302600_NS6detail15normal_iteratorINS9_10device_ptrIiEEEESE_SE_iNS9_4plusIiEE19head_flag_predicateiEE10hipError_tPvRmT2_T3_T4_T5_mT6_T7_P12ihipStream_tbENKUlT_T0_E_clISt17integral_constantIbLb1EESX_IbLb0EEEEDaST_SU_EUlST_E_NS1_11comp_targetILNS1_3genE10ELNS1_11target_archE1201ELNS1_3gpuE5ELNS1_3repE0EEENS1_30default_config_static_selectorELNS0_4arch9wavefront6targetE1EEEvT1_, .Lfunc_end768-_ZN7rocprim17ROCPRIM_400000_NS6detail17trampoline_kernelINS0_14default_configENS1_27scan_by_key_config_selectorIiiEEZZNS1_16scan_by_key_implILNS1_25lookback_scan_determinismE0ELb0ES3_N6thrust23THRUST_200600_302600_NS6detail15normal_iteratorINS9_10device_ptrIiEEEESE_SE_iNS9_4plusIiEE19head_flag_predicateiEE10hipError_tPvRmT2_T3_T4_T5_mT6_T7_P12ihipStream_tbENKUlT_T0_E_clISt17integral_constantIbLb1EESX_IbLb0EEEEDaST_SU_EUlST_E_NS1_11comp_targetILNS1_3genE10ELNS1_11target_archE1201ELNS1_3gpuE5ELNS1_3repE0EEENS1_30default_config_static_selectorELNS0_4arch9wavefront6targetE1EEEvT1_
                                        ; -- End function
	.section	.AMDGPU.csdata,"",@progbits
; Kernel info:
; codeLenInByte = 0
; NumSgprs: 6
; NumVgprs: 0
; NumAgprs: 0
; TotalNumVgprs: 0
; ScratchSize: 0
; MemoryBound: 0
; FloatMode: 240
; IeeeMode: 1
; LDSByteSize: 0 bytes/workgroup (compile time only)
; SGPRBlocks: 0
; VGPRBlocks: 0
; NumSGPRsForWavesPerEU: 6
; NumVGPRsForWavesPerEU: 1
; AccumOffset: 4
; Occupancy: 8
; WaveLimiterHint : 0
; COMPUTE_PGM_RSRC2:SCRATCH_EN: 0
; COMPUTE_PGM_RSRC2:USER_SGPR: 2
; COMPUTE_PGM_RSRC2:TRAP_HANDLER: 0
; COMPUTE_PGM_RSRC2:TGID_X_EN: 1
; COMPUTE_PGM_RSRC2:TGID_Y_EN: 0
; COMPUTE_PGM_RSRC2:TGID_Z_EN: 0
; COMPUTE_PGM_RSRC2:TIDIG_COMP_CNT: 0
; COMPUTE_PGM_RSRC3_GFX90A:ACCUM_OFFSET: 0
; COMPUTE_PGM_RSRC3_GFX90A:TG_SPLIT: 0
	.section	.text._ZN7rocprim17ROCPRIM_400000_NS6detail17trampoline_kernelINS0_14default_configENS1_27scan_by_key_config_selectorIiiEEZZNS1_16scan_by_key_implILNS1_25lookback_scan_determinismE0ELb0ES3_N6thrust23THRUST_200600_302600_NS6detail15normal_iteratorINS9_10device_ptrIiEEEESE_SE_iNS9_4plusIiEE19head_flag_predicateiEE10hipError_tPvRmT2_T3_T4_T5_mT6_T7_P12ihipStream_tbENKUlT_T0_E_clISt17integral_constantIbLb1EESX_IbLb0EEEEDaST_SU_EUlST_E_NS1_11comp_targetILNS1_3genE5ELNS1_11target_archE942ELNS1_3gpuE9ELNS1_3repE0EEENS1_30default_config_static_selectorELNS0_4arch9wavefront6targetE1EEEvT1_,"axG",@progbits,_ZN7rocprim17ROCPRIM_400000_NS6detail17trampoline_kernelINS0_14default_configENS1_27scan_by_key_config_selectorIiiEEZZNS1_16scan_by_key_implILNS1_25lookback_scan_determinismE0ELb0ES3_N6thrust23THRUST_200600_302600_NS6detail15normal_iteratorINS9_10device_ptrIiEEEESE_SE_iNS9_4plusIiEE19head_flag_predicateiEE10hipError_tPvRmT2_T3_T4_T5_mT6_T7_P12ihipStream_tbENKUlT_T0_E_clISt17integral_constantIbLb1EESX_IbLb0EEEEDaST_SU_EUlST_E_NS1_11comp_targetILNS1_3genE5ELNS1_11target_archE942ELNS1_3gpuE9ELNS1_3repE0EEENS1_30default_config_static_selectorELNS0_4arch9wavefront6targetE1EEEvT1_,comdat
	.protected	_ZN7rocprim17ROCPRIM_400000_NS6detail17trampoline_kernelINS0_14default_configENS1_27scan_by_key_config_selectorIiiEEZZNS1_16scan_by_key_implILNS1_25lookback_scan_determinismE0ELb0ES3_N6thrust23THRUST_200600_302600_NS6detail15normal_iteratorINS9_10device_ptrIiEEEESE_SE_iNS9_4plusIiEE19head_flag_predicateiEE10hipError_tPvRmT2_T3_T4_T5_mT6_T7_P12ihipStream_tbENKUlT_T0_E_clISt17integral_constantIbLb1EESX_IbLb0EEEEDaST_SU_EUlST_E_NS1_11comp_targetILNS1_3genE5ELNS1_11target_archE942ELNS1_3gpuE9ELNS1_3repE0EEENS1_30default_config_static_selectorELNS0_4arch9wavefront6targetE1EEEvT1_ ; -- Begin function _ZN7rocprim17ROCPRIM_400000_NS6detail17trampoline_kernelINS0_14default_configENS1_27scan_by_key_config_selectorIiiEEZZNS1_16scan_by_key_implILNS1_25lookback_scan_determinismE0ELb0ES3_N6thrust23THRUST_200600_302600_NS6detail15normal_iteratorINS9_10device_ptrIiEEEESE_SE_iNS9_4plusIiEE19head_flag_predicateiEE10hipError_tPvRmT2_T3_T4_T5_mT6_T7_P12ihipStream_tbENKUlT_T0_E_clISt17integral_constantIbLb1EESX_IbLb0EEEEDaST_SU_EUlST_E_NS1_11comp_targetILNS1_3genE5ELNS1_11target_archE942ELNS1_3gpuE9ELNS1_3repE0EEENS1_30default_config_static_selectorELNS0_4arch9wavefront6targetE1EEEvT1_
	.globl	_ZN7rocprim17ROCPRIM_400000_NS6detail17trampoline_kernelINS0_14default_configENS1_27scan_by_key_config_selectorIiiEEZZNS1_16scan_by_key_implILNS1_25lookback_scan_determinismE0ELb0ES3_N6thrust23THRUST_200600_302600_NS6detail15normal_iteratorINS9_10device_ptrIiEEEESE_SE_iNS9_4plusIiEE19head_flag_predicateiEE10hipError_tPvRmT2_T3_T4_T5_mT6_T7_P12ihipStream_tbENKUlT_T0_E_clISt17integral_constantIbLb1EESX_IbLb0EEEEDaST_SU_EUlST_E_NS1_11comp_targetILNS1_3genE5ELNS1_11target_archE942ELNS1_3gpuE9ELNS1_3repE0EEENS1_30default_config_static_selectorELNS0_4arch9wavefront6targetE1EEEvT1_
	.p2align	8
	.type	_ZN7rocprim17ROCPRIM_400000_NS6detail17trampoline_kernelINS0_14default_configENS1_27scan_by_key_config_selectorIiiEEZZNS1_16scan_by_key_implILNS1_25lookback_scan_determinismE0ELb0ES3_N6thrust23THRUST_200600_302600_NS6detail15normal_iteratorINS9_10device_ptrIiEEEESE_SE_iNS9_4plusIiEE19head_flag_predicateiEE10hipError_tPvRmT2_T3_T4_T5_mT6_T7_P12ihipStream_tbENKUlT_T0_E_clISt17integral_constantIbLb1EESX_IbLb0EEEEDaST_SU_EUlST_E_NS1_11comp_targetILNS1_3genE5ELNS1_11target_archE942ELNS1_3gpuE9ELNS1_3repE0EEENS1_30default_config_static_selectorELNS0_4arch9wavefront6targetE1EEEvT1_,@function
_ZN7rocprim17ROCPRIM_400000_NS6detail17trampoline_kernelINS0_14default_configENS1_27scan_by_key_config_selectorIiiEEZZNS1_16scan_by_key_implILNS1_25lookback_scan_determinismE0ELb0ES3_N6thrust23THRUST_200600_302600_NS6detail15normal_iteratorINS9_10device_ptrIiEEEESE_SE_iNS9_4plusIiEE19head_flag_predicateiEE10hipError_tPvRmT2_T3_T4_T5_mT6_T7_P12ihipStream_tbENKUlT_T0_E_clISt17integral_constantIbLb1EESX_IbLb0EEEEDaST_SU_EUlST_E_NS1_11comp_targetILNS1_3genE5ELNS1_11target_archE942ELNS1_3gpuE9ELNS1_3repE0EEENS1_30default_config_static_selectorELNS0_4arch9wavefront6targetE1EEEvT1_: ; @_ZN7rocprim17ROCPRIM_400000_NS6detail17trampoline_kernelINS0_14default_configENS1_27scan_by_key_config_selectorIiiEEZZNS1_16scan_by_key_implILNS1_25lookback_scan_determinismE0ELb0ES3_N6thrust23THRUST_200600_302600_NS6detail15normal_iteratorINS9_10device_ptrIiEEEESE_SE_iNS9_4plusIiEE19head_flag_predicateiEE10hipError_tPvRmT2_T3_T4_T5_mT6_T7_P12ihipStream_tbENKUlT_T0_E_clISt17integral_constantIbLb1EESX_IbLb0EEEEDaST_SU_EUlST_E_NS1_11comp_targetILNS1_3genE5ELNS1_11target_archE942ELNS1_3gpuE9ELNS1_3repE0EEENS1_30default_config_static_selectorELNS0_4arch9wavefront6targetE1EEEvT1_
; %bb.0:
	s_load_dwordx8 s[52:59], s[0:1], 0x0
	s_load_dwordx4 s[60:63], s[0:1], 0x28
	s_load_dwordx2 s[70:71], s[0:1], 0x38
	s_load_dword s3, s[0:1], 0x40
	s_load_dwordx4 s[64:67], s[0:1], 0x48
	s_waitcnt lgkmcnt(0)
	s_lshl_b64 s[68:69], s[54:55], 2
	s_add_u32 s4, s52, s68
	s_addc_u32 s5, s53, s69
	s_add_u32 s6, s56, s68
	s_mul_i32 s0, s71, s3
	s_mul_hi_u32 s1, s70, s3
	s_addc_u32 s7, s57, s69
	s_add_i32 s8, s1, s0
	s_mul_i32 s0, s2, 0x1700
	s_mov_b32 s1, 0
	s_lshl_b64 s[56:57], s[0:1], 2
	s_add_u32 s52, s4, s56
	s_addc_u32 s53, s5, s57
	s_add_u32 s50, s6, s56
	s_mul_i32 s3, s70, s3
	s_addc_u32 s51, s7, s57
	s_add_u32 s0, s3, s2
	s_addc_u32 s1, s8, 0
	s_add_u32 s6, s64, -1
	s_addc_u32 s7, s65, -1
	v_mov_b64_e32 v[2:3], s[6:7]
	v_cmp_ge_u64_e64 s[0:1], s[0:1], v[2:3]
	s_mov_b64 s[4:5], -1
	s_and_b64 vcc, exec, s[0:1]
	s_mul_i32 s33, s6, 0xffffe900
	s_barrier
	s_cbranch_vccz .LBB769_69
; %bb.1:
	v_mov_b64_e32 v[2:3], s[52:53]
	flat_load_dword v1, v[2:3]
	s_add_i32 s3, s33, s62
	v_cmp_gt_u32_e32 vcc, s3, v0
	s_waitcnt vmcnt(0) lgkmcnt(0)
	v_mov_b32_e32 v3, v1
	s_and_saveexec_b64 s[4:5], vcc
	s_cbranch_execz .LBB769_3
; %bb.2:
	v_lshlrev_b32_e32 v2, 2, v0
	v_mov_b32_e32 v3, 0
	v_lshl_add_u64 v[2:3], s[52:53], 0, v[2:3]
	flat_load_dword v3, v[2:3]
.LBB769_3:
	s_or_b64 exec, exec, s[4:5]
	v_or_b32_e32 v2, 0x100, v0
	v_cmp_gt_u32_e64 s[48:49], s3, v2
	v_mov_b32_e32 v4, v1
	s_and_saveexec_b64 s[4:5], s[48:49]
	s_cbranch_execz .LBB769_5
; %bb.4:
	v_lshlrev_b32_e32 v4, 2, v0
	v_mov_b32_e32 v5, 0
	v_lshl_add_u64 v[4:5], s[52:53], 0, v[4:5]
	flat_load_dword v4, v[4:5] offset:1024
.LBB769_5:
	s_or_b64 exec, exec, s[4:5]
	v_or_b32_e32 v2, 0x200, v0
	v_cmp_gt_u32_e64 s[4:5], s3, v2
	v_mov_b32_e32 v5, v1
	s_and_saveexec_b64 s[6:7], s[4:5]
	s_cbranch_execz .LBB769_7
; %bb.6:
	v_lshlrev_b32_e32 v6, 2, v0
	v_mov_b32_e32 v7, 0
	v_lshl_add_u64 v[6:7], s[52:53], 0, v[6:7]
	flat_load_dword v5, v[6:7] offset:2048
.LBB769_7:
	;; [unrolled: 12-line block ×3, first 2 shown]
	s_or_b64 exec, exec, s[8:9]
	v_or_b32_e32 v10, 0x400, v0
	v_cmp_gt_u32_e64 s[8:9], s3, v10
	v_mov_b32_e32 v7, v1
	s_and_saveexec_b64 s[10:11], s[8:9]
	s_cbranch_execz .LBB769_11
; %bb.10:
	v_lshlrev_b32_e32 v8, 2, v10
	v_mov_b32_e32 v9, 0
	v_lshl_add_u64 v[8:9], s[52:53], 0, v[8:9]
	flat_load_dword v7, v[8:9]
.LBB769_11:
	s_or_b64 exec, exec, s[10:11]
	v_or_b32_e32 v11, 0x500, v0
	v_cmp_gt_u32_e64 s[10:11], s3, v11
	v_mov_b32_e32 v8, v1
	s_and_saveexec_b64 s[12:13], s[10:11]
	s_cbranch_execz .LBB769_13
; %bb.12:
	v_lshlrev_b32_e32 v8, 2, v11
	v_mov_b32_e32 v9, 0
	v_lshl_add_u64 v[8:9], s[52:53], 0, v[8:9]
	flat_load_dword v8, v[8:9]
.LBB769_13:
	s_or_b64 exec, exec, s[12:13]
	v_or_b32_e32 v12, 0x600, v0
	v_cmp_gt_u32_e64 s[12:13], s3, v12
	v_mov_b32_e32 v9, v1
	s_and_saveexec_b64 s[14:15], s[12:13]
	s_cbranch_execz .LBB769_15
; %bb.14:
	v_lshlrev_b32_e32 v14, 2, v12
	v_mov_b32_e32 v15, 0
	v_lshl_add_u64 v[14:15], s[52:53], 0, v[14:15]
	flat_load_dword v9, v[14:15]
.LBB769_15:
	s_or_b64 exec, exec, s[14:15]
	v_or_b32_e32 v13, 0x700, v0
	v_cmp_gt_u32_e64 s[14:15], s3, v13
	v_mov_b32_e32 v29, v1
	s_and_saveexec_b64 s[16:17], s[14:15]
	s_cbranch_execz .LBB769_17
; %bb.16:
	v_lshlrev_b32_e32 v14, 2, v13
	v_mov_b32_e32 v15, 0
	v_lshl_add_u64 v[14:15], s[52:53], 0, v[14:15]
	flat_load_dword v29, v[14:15]
.LBB769_17:
	s_or_b64 exec, exec, s[16:17]
	v_or_b32_e32 v14, 0x800, v0
	v_cmp_gt_u32_e64 s[16:17], s3, v14
	v_mov_b32_e32 v30, v1
	s_and_saveexec_b64 s[18:19], s[16:17]
	s_cbranch_execz .LBB769_19
; %bb.18:
	v_lshlrev_b32_e32 v16, 2, v14
	v_mov_b32_e32 v17, 0
	v_lshl_add_u64 v[16:17], s[52:53], 0, v[16:17]
	flat_load_dword v30, v[16:17]
.LBB769_19:
	s_or_b64 exec, exec, s[18:19]
	v_or_b32_e32 v15, 0x900, v0
	v_cmp_gt_u32_e64 s[18:19], s3, v15
	v_mov_b32_e32 v31, v1
	s_and_saveexec_b64 s[20:21], s[18:19]
	s_cbranch_execz .LBB769_21
; %bb.20:
	v_lshlrev_b32_e32 v16, 2, v15
	v_mov_b32_e32 v17, 0
	v_lshl_add_u64 v[16:17], s[52:53], 0, v[16:17]
	flat_load_dword v31, v[16:17]
.LBB769_21:
	s_or_b64 exec, exec, s[20:21]
	v_or_b32_e32 v16, 0xa00, v0
	v_cmp_gt_u32_e64 s[20:21], s3, v16
	v_mov_b32_e32 v32, v1
	s_and_saveexec_b64 s[22:23], s[20:21]
	s_cbranch_execz .LBB769_23
; %bb.22:
	v_lshlrev_b32_e32 v18, 2, v16
	v_mov_b32_e32 v19, 0
	v_lshl_add_u64 v[18:19], s[52:53], 0, v[18:19]
	flat_load_dword v32, v[18:19]
.LBB769_23:
	s_or_b64 exec, exec, s[22:23]
	v_or_b32_e32 v17, 0xb00, v0
	v_cmp_gt_u32_e64 s[22:23], s3, v17
	v_mov_b32_e32 v33, v1
	s_and_saveexec_b64 s[24:25], s[22:23]
	s_cbranch_execz .LBB769_25
; %bb.24:
	v_lshlrev_b32_e32 v18, 2, v17
	v_mov_b32_e32 v19, 0
	v_lshl_add_u64 v[18:19], s[52:53], 0, v[18:19]
	flat_load_dword v33, v[18:19]
.LBB769_25:
	s_or_b64 exec, exec, s[24:25]
	v_or_b32_e32 v18, 0xc00, v0
	v_cmp_gt_u32_e64 s[24:25], s3, v18
	v_mov_b32_e32 v34, v1
	s_and_saveexec_b64 s[26:27], s[24:25]
	s_cbranch_execz .LBB769_27
; %bb.26:
	v_lshlrev_b32_e32 v20, 2, v18
	v_mov_b32_e32 v21, 0
	v_lshl_add_u64 v[20:21], s[52:53], 0, v[20:21]
	flat_load_dword v34, v[20:21]
.LBB769_27:
	s_or_b64 exec, exec, s[26:27]
	v_or_b32_e32 v19, 0xd00, v0
	v_cmp_gt_u32_e64 s[26:27], s3, v19
	v_mov_b32_e32 v35, v1
	s_and_saveexec_b64 s[28:29], s[26:27]
	s_cbranch_execz .LBB769_29
; %bb.28:
	v_lshlrev_b32_e32 v20, 2, v19
	v_mov_b32_e32 v21, 0
	v_lshl_add_u64 v[20:21], s[52:53], 0, v[20:21]
	flat_load_dword v35, v[20:21]
.LBB769_29:
	s_or_b64 exec, exec, s[28:29]
	v_or_b32_e32 v20, 0xe00, v0
	v_cmp_gt_u32_e64 s[28:29], s3, v20
	v_mov_b32_e32 v36, v1
	s_and_saveexec_b64 s[30:31], s[28:29]
	s_cbranch_execz .LBB769_31
; %bb.30:
	v_lshlrev_b32_e32 v22, 2, v20
	v_mov_b32_e32 v23, 0
	v_lshl_add_u64 v[22:23], s[52:53], 0, v[22:23]
	flat_load_dword v36, v[22:23]
.LBB769_31:
	s_or_b64 exec, exec, s[30:31]
	v_or_b32_e32 v21, 0xf00, v0
	v_cmp_gt_u32_e64 s[30:31], s3, v21
	v_mov_b32_e32 v37, v1
	s_and_saveexec_b64 s[34:35], s[30:31]
	s_cbranch_execz .LBB769_33
; %bb.32:
	v_lshlrev_b32_e32 v22, 2, v21
	v_mov_b32_e32 v23, 0
	v_lshl_add_u64 v[22:23], s[52:53], 0, v[22:23]
	flat_load_dword v37, v[22:23]
.LBB769_33:
	s_or_b64 exec, exec, s[34:35]
	v_or_b32_e32 v22, 0x1000, v0
	v_cmp_gt_u32_e64 s[34:35], s3, v22
	v_mov_b32_e32 v38, v1
	s_and_saveexec_b64 s[36:37], s[34:35]
	s_cbranch_execz .LBB769_35
; %bb.34:
	v_lshlrev_b32_e32 v24, 2, v22
	v_mov_b32_e32 v25, 0
	v_lshl_add_u64 v[24:25], s[52:53], 0, v[24:25]
	flat_load_dword v38, v[24:25]
.LBB769_35:
	s_or_b64 exec, exec, s[36:37]
	v_or_b32_e32 v23, 0x1100, v0
	v_cmp_gt_u32_e64 s[36:37], s3, v23
	v_mov_b32_e32 v39, v1
	s_and_saveexec_b64 s[38:39], s[36:37]
	s_cbranch_execz .LBB769_37
; %bb.36:
	v_lshlrev_b32_e32 v24, 2, v23
	v_mov_b32_e32 v25, 0
	v_lshl_add_u64 v[24:25], s[52:53], 0, v[24:25]
	flat_load_dword v39, v[24:25]
.LBB769_37:
	s_or_b64 exec, exec, s[38:39]
	v_or_b32_e32 v24, 0x1200, v0
	v_cmp_gt_u32_e64 s[38:39], s3, v24
	v_mov_b32_e32 v40, v1
	s_and_saveexec_b64 s[40:41], s[38:39]
	s_cbranch_execz .LBB769_39
; %bb.38:
	v_lshlrev_b32_e32 v26, 2, v24
	v_mov_b32_e32 v27, 0
	v_lshl_add_u64 v[26:27], s[52:53], 0, v[26:27]
	flat_load_dword v40, v[26:27]
.LBB769_39:
	s_or_b64 exec, exec, s[40:41]
	v_or_b32_e32 v25, 0x1300, v0
	v_cmp_gt_u32_e64 s[40:41], s3, v25
	v_mov_b32_e32 v41, v1
	s_and_saveexec_b64 s[42:43], s[40:41]
	s_cbranch_execz .LBB769_41
; %bb.40:
	v_lshlrev_b32_e32 v26, 2, v25
	v_mov_b32_e32 v27, 0
	v_lshl_add_u64 v[26:27], s[52:53], 0, v[26:27]
	flat_load_dword v41, v[26:27]
.LBB769_41:
	s_or_b64 exec, exec, s[42:43]
	v_or_b32_e32 v26, 0x1400, v0
	v_cmp_gt_u32_e64 s[42:43], s3, v26
	v_mov_b32_e32 v42, v1
	s_and_saveexec_b64 s[44:45], s[42:43]
	s_cbranch_execz .LBB769_43
; %bb.42:
	v_lshlrev_b32_e32 v42, 2, v26
	v_mov_b32_e32 v43, 0
	v_lshl_add_u64 v[42:43], s[52:53], 0, v[42:43]
	flat_load_dword v42, v[42:43]
.LBB769_43:
	s_or_b64 exec, exec, s[44:45]
	v_or_b32_e32 v27, 0x1500, v0
	v_cmp_gt_u32_e64 s[44:45], s3, v27
	v_mov_b32_e32 v43, v1
	s_and_saveexec_b64 s[46:47], s[44:45]
	s_cbranch_execz .LBB769_45
; %bb.44:
	v_lshlrev_b32_e32 v44, 2, v27
	v_mov_b32_e32 v45, 0
	v_lshl_add_u64 v[44:45], s[52:53], 0, v[44:45]
	flat_load_dword v43, v[44:45]
.LBB769_45:
	s_or_b64 exec, exec, s[46:47]
	v_or_b32_e32 v28, 0x1600, v0
	v_cmp_gt_u32_e64 s[46:47], s3, v28
	s_and_saveexec_b64 s[54:55], s[46:47]
	s_cbranch_execz .LBB769_47
; %bb.46:
	v_lshlrev_b32_e32 v44, 2, v28
	v_mov_b32_e32 v45, 0
	v_lshl_add_u64 v[44:45], s[52:53], 0, v[44:45]
	flat_load_dword v1, v[44:45]
.LBB769_47:
	s_or_b64 exec, exec, s[54:55]
	v_lshlrev_b32_e32 v2, 2, v0
	s_movk_i32 s54, 0x58
	v_mad_u32_u24 v72, v0, s54, v2
	s_movk_i32 s54, 0xffa8
	s_waitcnt vmcnt(0) lgkmcnt(0)
	ds_write2st64_b32 v2, v3, v4 offset1:4
	ds_write2st64_b32 v2, v5, v6 offset0:8 offset1:12
	ds_write2st64_b32 v2, v7, v8 offset0:16 offset1:20
	;; [unrolled: 1-line block ×10, first 2 shown]
	ds_write_b32 v2, v1 offset:22528
	s_waitcnt lgkmcnt(0)
	s_barrier
	ds_read2_b32 v[68:69], v72 offset1:1
	ds_read2_b32 v[66:67], v72 offset0:2 offset1:3
	ds_read2_b32 v[64:65], v72 offset0:4 offset1:5
	;; [unrolled: 1-line block ×6, first 2 shown]
	ds_read_b32 v1, v72 offset:88
	ds_read2_b32 v[60:61], v72 offset0:8 offset1:9
	ds_read2_b32 v[58:59], v72 offset0:10 offset1:11
	;; [unrolled: 1-line block ×4, first 2 shown]
	v_mad_i32_i24 v3, v0, s54, v72
	s_waitcnt lgkmcnt(4)
	ds_write_b32 v3, v1 offset:23552
	s_waitcnt lgkmcnt(0)
	s_barrier
	s_barrier
	s_waitcnt lgkmcnt(0)
                                        ; implicit-def: $vgpr29
	s_and_saveexec_b64 s[54:55], vcc
	s_cbranch_execz .LBB769_112
; %bb.48:
	v_mov_b32_e32 v3, 0
	v_lshl_add_u64 v[30:31], s[50:51], 0, v[2:3]
	flat_load_dword v29, v[30:31]
	s_or_b64 exec, exec, s[54:55]
                                        ; implicit-def: $vgpr30
	s_and_saveexec_b64 s[54:55], s[48:49]
	s_cbranch_execnz .LBB769_113
.LBB769_49:
	s_or_b64 exec, exec, s[54:55]
                                        ; implicit-def: $vgpr31
	s_and_saveexec_b64 s[48:49], s[4:5]
	s_cbranch_execz .LBB769_114
.LBB769_50:
	v_mov_b32_e32 v3, 0
	v_lshl_add_u64 v[32:33], s[50:51], 0, v[2:3]
	flat_load_dword v31, v[32:33] offset:2048
	s_or_b64 exec, exec, s[48:49]
                                        ; implicit-def: $vgpr3
	s_and_saveexec_b64 s[4:5], s[6:7]
	s_cbranch_execnz .LBB769_115
.LBB769_51:
	s_or_b64 exec, exec, s[4:5]
                                        ; implicit-def: $vgpr32
	s_and_saveexec_b64 s[4:5], s[8:9]
	s_cbranch_execz .LBB769_116
.LBB769_52:
	v_lshlrev_b32_e32 v32, 2, v10
	v_mov_b32_e32 v33, 0
	v_lshl_add_u64 v[32:33], s[50:51], 0, v[32:33]
	flat_load_dword v32, v[32:33]
	s_or_b64 exec, exec, s[4:5]
                                        ; implicit-def: $vgpr10
	s_and_saveexec_b64 s[4:5], s[10:11]
	s_cbranch_execnz .LBB769_117
.LBB769_53:
	s_or_b64 exec, exec, s[4:5]
                                        ; implicit-def: $vgpr11
	s_and_saveexec_b64 s[4:5], s[12:13]
	s_cbranch_execz .LBB769_118
.LBB769_54:
	v_lshlrev_b32_e32 v34, 2, v12
	v_mov_b32_e32 v35, 0
	v_lshl_add_u64 v[34:35], s[50:51], 0, v[34:35]
	flat_load_dword v11, v[34:35]
	s_or_b64 exec, exec, s[4:5]
                                        ; implicit-def: $vgpr12
	s_and_saveexec_b64 s[4:5], s[14:15]
	s_cbranch_execnz .LBB769_119
.LBB769_55:
	s_or_b64 exec, exec, s[4:5]
                                        ; implicit-def: $vgpr13
	s_and_saveexec_b64 s[4:5], s[16:17]
	s_cbranch_execz .LBB769_120
.LBB769_56:
	v_lshlrev_b32_e32 v34, 2, v14
	v_mov_b32_e32 v35, 0
	v_lshl_add_u64 v[34:35], s[50:51], 0, v[34:35]
	flat_load_dword v13, v[34:35]
	s_or_b64 exec, exec, s[4:5]
                                        ; implicit-def: $vgpr14
	s_and_saveexec_b64 s[4:5], s[18:19]
	s_cbranch_execnz .LBB769_121
.LBB769_57:
	s_or_b64 exec, exec, s[4:5]
                                        ; implicit-def: $vgpr15
	s_and_saveexec_b64 s[4:5], s[20:21]
	s_cbranch_execz .LBB769_122
.LBB769_58:
	v_lshlrev_b32_e32 v34, 2, v16
	v_mov_b32_e32 v35, 0
	v_lshl_add_u64 v[34:35], s[50:51], 0, v[34:35]
	flat_load_dword v15, v[34:35]
	s_or_b64 exec, exec, s[4:5]
                                        ; implicit-def: $vgpr16
	s_and_saveexec_b64 s[4:5], s[22:23]
	s_cbranch_execnz .LBB769_123
.LBB769_59:
	s_or_b64 exec, exec, s[4:5]
                                        ; implicit-def: $vgpr17
	s_and_saveexec_b64 s[4:5], s[24:25]
	s_cbranch_execz .LBB769_124
.LBB769_60:
	v_lshlrev_b32_e32 v34, 2, v18
	v_mov_b32_e32 v35, 0
	v_lshl_add_u64 v[34:35], s[50:51], 0, v[34:35]
	flat_load_dword v17, v[34:35]
	s_or_b64 exec, exec, s[4:5]
                                        ; implicit-def: $vgpr18
	s_and_saveexec_b64 s[4:5], s[26:27]
	s_cbranch_execnz .LBB769_125
.LBB769_61:
	s_or_b64 exec, exec, s[4:5]
                                        ; implicit-def: $vgpr19
	s_and_saveexec_b64 s[4:5], s[28:29]
	s_cbranch_execz .LBB769_126
.LBB769_62:
	v_lshlrev_b32_e32 v34, 2, v20
	v_mov_b32_e32 v35, 0
	v_lshl_add_u64 v[34:35], s[50:51], 0, v[34:35]
	flat_load_dword v19, v[34:35]
	s_or_b64 exec, exec, s[4:5]
                                        ; implicit-def: $vgpr20
	s_and_saveexec_b64 s[4:5], s[30:31]
	s_cbranch_execnz .LBB769_127
.LBB769_63:
	s_or_b64 exec, exec, s[4:5]
                                        ; implicit-def: $vgpr21
	s_and_saveexec_b64 s[4:5], s[34:35]
	s_cbranch_execz .LBB769_128
.LBB769_64:
	v_lshlrev_b32_e32 v34, 2, v22
	v_mov_b32_e32 v35, 0
	v_lshl_add_u64 v[34:35], s[50:51], 0, v[34:35]
	flat_load_dword v21, v[34:35]
	s_or_b64 exec, exec, s[4:5]
                                        ; implicit-def: $vgpr22
	s_and_saveexec_b64 s[4:5], s[36:37]
	s_cbranch_execnz .LBB769_129
.LBB769_65:
	s_or_b64 exec, exec, s[4:5]
                                        ; implicit-def: $vgpr23
	s_and_saveexec_b64 s[4:5], s[38:39]
	s_cbranch_execz .LBB769_130
.LBB769_66:
	v_lshlrev_b32_e32 v34, 2, v24
	v_mov_b32_e32 v35, 0
	v_lshl_add_u64 v[34:35], s[50:51], 0, v[34:35]
	flat_load_dword v23, v[34:35]
	s_or_b64 exec, exec, s[4:5]
                                        ; implicit-def: $vgpr24
	s_and_saveexec_b64 s[4:5], s[40:41]
	s_cbranch_execnz .LBB769_131
.LBB769_67:
	s_or_b64 exec, exec, s[4:5]
                                        ; implicit-def: $vgpr25
	s_and_saveexec_b64 s[4:5], s[42:43]
	s_cbranch_execz .LBB769_132
.LBB769_68:
	v_lshlrev_b32_e32 v34, 2, v26
	v_mov_b32_e32 v35, 0
	v_lshl_add_u64 v[34:35], s[50:51], 0, v[34:35]
	flat_load_dword v25, v[34:35]
	s_or_b64 exec, exec, s[4:5]
                                        ; implicit-def: $vgpr26
	s_and_saveexec_b64 s[4:5], s[44:45]
	s_cbranch_execz .LBB769_134
	s_branch .LBB769_133
.LBB769_69:
	s_mov_b64 s[8:9], 0
                                        ; implicit-def: $vgpr52_vgpr53
                                        ; implicit-def: $vgpr50_vgpr51
                                        ; implicit-def: $vgpr48_vgpr49
                                        ; implicit-def: $vgpr46_vgpr47
                                        ; implicit-def: $vgpr44_vgpr45
                                        ; implicit-def: $vgpr42_vgpr43
                                        ; implicit-def: $vgpr40_vgpr41
                                        ; implicit-def: $vgpr38_vgpr39
                                        ; implicit-def: $vgpr36_vgpr37
                                        ; implicit-def: $vgpr34_vgpr35
                                        ; implicit-def: $vgpr32_vgpr33
                                        ; implicit-def: $vgpr30_vgpr31
                                        ; implicit-def: $vgpr28_vgpr29
                                        ; implicit-def: $vgpr26_vgpr27
                                        ; implicit-def: $vgpr24_vgpr25
                                        ; implicit-def: $vgpr22_vgpr23
                                        ; implicit-def: $vgpr20_vgpr21
                                        ; implicit-def: $vgpr18_vgpr19
                                        ; implicit-def: $vgpr16_vgpr17
                                        ; implicit-def: $vgpr14_vgpr15
                                        ; implicit-def: $vgpr12_vgpr13
                                        ; implicit-def: $vgpr10_vgpr11
                                        ; implicit-def: $vgpr1
                                        ; implicit-def: $vgpr3
                                        ; implicit-def: $sgpr6_sgpr7
	s_and_b64 vcc, exec, s[4:5]
	v_lshlrev_b32_e32 v54, 2, v0
	s_cbranch_vccz .LBB769_71
.LBB769_70:
	v_mov_b32_e32 v55, 0
	v_lshl_add_u64 v[2:3], s[52:53], 0, v[54:55]
	v_add_co_u32_e32 v4, vcc, 0x1000, v2
	s_movk_i32 s3, 0x1000
	s_nop 0
	v_addc_co_u32_e32 v5, vcc, 0, v3, vcc
	flat_load_dword v1, v[2:3]
	flat_load_dword v8, v[2:3] offset:1024
	flat_load_dword v9, v[2:3] offset:2048
	s_waitcnt lgkmcnt(0)
	flat_load_dword v10, v[2:3] offset:3072
	flat_load_dword v11, v[4:5]
	flat_load_dword v12, v[4:5] offset:1024
	flat_load_dword v13, v[4:5] offset:2048
	;; [unrolled: 1-line block ×3, first 2 shown]
	v_add_co_u32_e32 v4, vcc, 0x2000, v2
	s_movk_i32 s10, 0x58
	s_nop 0
	v_addc_co_u32_e32 v5, vcc, 0, v3, vcc
	v_add_co_u32_e32 v6, vcc, 0x3000, v2
	s_movk_i32 s11, 0xffa8
	s_nop 0
	v_addc_co_u32_e32 v7, vcc, 0, v3, vcc
	flat_load_dword v15, v[4:5]
	flat_load_dword v16, v[4:5] offset:1024
	flat_load_dword v17, v[4:5] offset:2048
	;; [unrolled: 1-line block ×3, first 2 shown]
	flat_load_dword v19, v[6:7]
	flat_load_dword v20, v[6:7] offset:1024
	flat_load_dword v21, v[6:7] offset:2048
	;; [unrolled: 1-line block ×3, first 2 shown]
	v_add_co_u32_e32 v4, vcc, 0x4000, v2
	v_mad_u32_u24 v28, v0, s10, v54
	s_nop 0
	v_addc_co_u32_e32 v5, vcc, 0, v3, vcc
	v_add_co_u32_e32 v2, vcc, 0x5000, v2
	s_movk_i32 s4, 0x2000
	s_nop 0
	v_addc_co_u32_e32 v3, vcc, 0, v3, vcc
	flat_load_dword v6, v[4:5]
	flat_load_dword v7, v[4:5] offset:1024
	flat_load_dword v23, v[4:5] offset:2048
	;; [unrolled: 1-line block ×3, first 2 shown]
	flat_load_dword v25, v[2:3]
	flat_load_dword v26, v[2:3] offset:1024
	flat_load_dword v27, v[2:3] offset:2048
	v_lshl_add_u64 v[2:3], s[50:51], 0, v[54:55]
	v_mad_i32_i24 v29, v0, s11, v28
	s_movk_i32 s5, 0x3000
	s_movk_i32 s6, 0x4000
	;; [unrolled: 1-line block ×3, first 2 shown]
	s_or_b64 s[8:9], s[8:9], exec
	s_waitcnt vmcnt(0)
	ds_write2st64_b32 v54, v1, v8 offset1:4
	s_waitcnt lgkmcnt(0)
	ds_write2st64_b32 v54, v9, v10 offset0:8 offset1:12
	ds_write2st64_b32 v54, v11, v12 offset0:16 offset1:20
	;; [unrolled: 1-line block ×10, first 2 shown]
	ds_write_b32 v54, v27 offset:22528
	v_add_co_u32_e32 v10, vcc, s3, v2
	s_waitcnt lgkmcnt(0)
	s_nop 0
	v_addc_co_u32_e32 v11, vcc, 0, v3, vcc
	s_barrier
	ds_read_b32 v1, v28 offset:88
	ds_read2_b32 v[4:5], v28 offset1:1
	ds_read2_b32 v[6:7], v28 offset0:2 offset1:3
	ds_read2_b32 v[8:9], v28 offset0:4 offset1:5
	;; [unrolled: 1-line block ×10, first 2 shown]
	s_waitcnt lgkmcnt(11)
	ds_write_b32 v29, v1 offset:23552
	s_waitcnt lgkmcnt(0)
	s_barrier
	s_barrier
	flat_load_dword v14, v[2:3]
	flat_load_dword v16, v[2:3] offset:1024
	flat_load_dword v18, v[2:3] offset:2048
	;; [unrolled: 1-line block ×3, first 2 shown]
	flat_load_dword v24, v[10:11]
	flat_load_dword v32, v[10:11] offset:1024
	flat_load_dword v36, v[10:11] offset:2048
	flat_load_dword v40, v[10:11] offset:3072
	v_add_co_u32_e32 v10, vcc, s4, v2
	s_nop 1
	v_addc_co_u32_e32 v11, vcc, 0, v3, vcc
	v_add_co_u32_e32 v12, vcc, s5, v2
	s_nop 1
	v_addc_co_u32_e32 v13, vcc, 0, v3, vcc
	flat_load_dword v44, v[10:11]
	flat_load_dword v48, v[10:11] offset:1024
	flat_load_dword v52, v[10:11] offset:2048
	flat_load_dword v53, v[10:11] offset:3072
	flat_load_dword v55, v[12:13]
	flat_load_dword v56, v[12:13] offset:1024
	flat_load_dword v57, v[12:13] offset:2048
	;; [unrolled: 1-line block ×3, first 2 shown]
	v_add_co_u32_e32 v10, vcc, s6, v2
	s_nop 1
	v_addc_co_u32_e32 v11, vcc, 0, v3, vcc
	v_add_co_u32_e32 v2, vcc, s7, v2
                                        ; implicit-def: $sgpr6_sgpr7
	s_nop 1
	v_addc_co_u32_e32 v3, vcc, 0, v3, vcc
	flat_load_dword v12, v[10:11]
	flat_load_dword v59, v[10:11] offset:1024
	flat_load_dword v60, v[10:11] offset:2048
	;; [unrolled: 1-line block ×3, first 2 shown]
	flat_load_dword v62, v[2:3]
	flat_load_dword v63, v[2:3] offset:1024
	flat_load_dword v64, v[2:3] offset:2048
	v_cmp_ne_u32_e32 vcc, 0, v5
	s_waitcnt vmcnt(0) lgkmcnt(0)
	ds_write2st64_b32 v54, v14, v16 offset1:4
	ds_write2st64_b32 v54, v18, v20 offset0:8 offset1:12
	ds_write2st64_b32 v54, v24, v32 offset0:16 offset1:20
	;; [unrolled: 1-line block ×10, first 2 shown]
	ds_write_b32 v54, v64 offset:22528
	v_cndmask_b32_e64 v13, 0, 1, vcc
	v_cmp_ne_u32_e32 vcc, 0, v4
	s_waitcnt lgkmcnt(0)
	s_barrier
	v_cndmask_b32_e64 v11, 0, 1, vcc
	v_cmp_ne_u32_e32 vcc, 0, v7
	s_nop 1
	v_cndmask_b32_e64 v17, 0, 1, vcc
	v_cmp_ne_u32_e32 vcc, 0, v6
	s_nop 1
	;; [unrolled: 3-line block ×3, first 2 shown]
	v_cndmask_b32_e64 v21, 0, 1, vcc
	v_cmp_ne_u32_e32 vcc, 0, v8
	ds_read2_b32 v[4:5], v28 offset1:1
	ds_read2_b32 v[6:7], v28 offset0:2 offset1:3
	ds_read2_b32 v[8:9], v28 offset0:4 offset1:5
	;; [unrolled: 1-line block ×10, first 2 shown]
	ds_read_b32 v3, v28 offset:88
	v_cndmask_b32_e64 v19, 0, 1, vcc
	v_cmp_ne_u32_e32 vcc, 0, v23
	s_waitcnt lgkmcnt(8)
	v_mov_b32_e32 v24, v53
	v_mov_b32_e32 v10, v4
	v_cndmask_b32_e64 v25, 0, 1, vcc
	v_cmp_ne_u32_e32 vcc, 0, v22
	v_mov_b32_e32 v12, v5
	v_mov_b32_e32 v14, v6
	v_cndmask_b32_e64 v23, 0, 1, vcc
	v_cmp_ne_u32_e32 vcc, 0, v27
	;; [unrolled: 4-line block ×4, first 2 shown]
	s_waitcnt lgkmcnt(7)
	v_mov_b32_e32 v26, v56
	v_mov_b32_e32 v28, v57
	v_cndmask_b32_e64 v33, 0, 1, vcc
	v_cmp_ne_u32_e32 vcc, 0, v30
	s_waitcnt lgkmcnt(6)
	v_mov_b32_e32 v30, v58
	v_mov_b32_e32 v32, v59
	v_cndmask_b32_e64 v31, 0, 1, vcc
	v_cmp_ne_u32_e32 vcc, 0, v35
	s_waitcnt lgkmcnt(5)
	v_mov_b32_e32 v36, v61
	s_waitcnt lgkmcnt(4)
	v_mov_b32_e32 v40, v63
	v_cndmask_b32_e64 v37, 0, 1, vcc
	v_cmp_ne_u32_e32 vcc, 0, v34
	v_mov_b32_e32 v34, v60
	s_waitcnt lgkmcnt(3)
	v_mov_b32_e32 v44, v65
	v_cndmask_b32_e64 v35, 0, 1, vcc
	v_cmp_ne_u32_e32 vcc, 0, v39
	s_waitcnt lgkmcnt(2)
	v_mov_b32_e32 v48, v67
	s_waitcnt lgkmcnt(1)
	v_mov_b32_e32 v52, v69
	v_cndmask_b32_e64 v41, 0, 1, vcc
	v_cmp_ne_u32_e32 vcc, 0, v38
	v_mov_b32_e32 v38, v62
	s_nop 0
	v_cndmask_b32_e64 v39, 0, 1, vcc
	v_cmp_ne_u32_e32 vcc, 0, v43
	s_nop 1
	v_cndmask_b32_e64 v45, 0, 1, vcc
	v_cmp_ne_u32_e32 vcc, 0, v42
	v_mov_b32_e32 v42, v64
	s_nop 0
	v_cndmask_b32_e64 v43, 0, 1, vcc
	v_cmp_ne_u32_e32 vcc, 0, v47
	s_nop 1
	;; [unrolled: 7-line block ×3, first 2 shown]
	v_cndmask_b32_e64 v53, 0, 1, vcc
	v_cmp_ne_u32_e32 vcc, 0, v50
	v_mov_b32_e32 v50, v68
	s_nop 0
	v_cndmask_b32_e64 v51, 0, 1, vcc
.LBB769_71:
	v_mov_b64_e32 v[56:57], s[6:7]
	s_and_saveexec_b64 s[4:5], s[8:9]
	s_cbranch_execz .LBB769_73
; %bb.72:
	v_cmp_ne_u32_e32 vcc, 0, v1
	s_waitcnt lgkmcnt(0)
	v_mov_b32_e32 v56, v3
	v_cndmask_b32_e64 v57, 0, 1, vcc
.LBB769_73:
	s_or_b64 exec, exec, s[4:5]
	s_mov_b32 s46, 0
	s_cmp_lg_u32 s2, 0
	v_or_b32_e32 v55, v57, v53
	v_lshrrev_b32_e32 v1, 5, v0
	v_cmp_gt_u32_e32 vcc, 64, v0
	s_waitcnt lgkmcnt(0)
	s_barrier
	s_cbranch_scc0 .LBB769_181
; %bb.74:
	s_mov_b32 s47, 1
	v_cmp_gt_u64_e64 s[52:53], s[46:47], v[12:13]
	v_cmp_gt_u64_e64 s[4:5], s[46:47], v[14:15]
	v_cmp_gt_u64_e64 s[6:7], s[46:47], v[16:17]
	v_cndmask_b32_e64 v2, 0, v10, s[52:53]
	v_add_u32_e32 v2, v2, v12
	v_cndmask_b32_e64 v2, 0, v2, s[4:5]
	v_add_u32_e32 v2, v2, v14
	v_cndmask_b32_e64 v2, 0, v2, s[6:7]
	v_add_u32_e32 v2, v2, v16
	v_cmp_gt_u64_e64 s[8:9], s[46:47], v[18:19]
	v_cmp_gt_u64_e64 s[10:11], s[46:47], v[20:21]
	v_cmp_gt_u64_e64 s[12:13], s[46:47], v[22:23]
	v_cndmask_b32_e64 v2, 0, v2, s[8:9]
	v_add_u32_e32 v2, v2, v18
	v_cndmask_b32_e64 v2, 0, v2, s[10:11]
	v_add_u32_e32 v2, v2, v20
	v_cndmask_b32_e64 v2, 0, v2, s[12:13]
	v_add_u32_e32 v2, v2, v22
	;; [unrolled: 9-line block ×7, first 2 shown]
	v_cmp_gt_u64_e64 s[46:47], s[46:47], v[56:57]
	s_nop 1
	v_cndmask_b32_e64 v2, 0, v2, s[46:47]
	v_add_u32_e32 v62, v2, v56
	v_or3_b32 v2, v55, v51, v49
	v_or3_b32 v2, v2, v47, v45
	;; [unrolled: 1-line block ×10, first 2 shown]
	v_and_b32_e32 v2, 1, v2
	v_cmp_eq_u32_e64 s[48:49], 1, v2
	v_add_lshl_u32 v2, v1, v0, 3
	s_nop 0
	v_cndmask_b32_e64 v63, v11, 1, s[48:49]
	ds_write_b32 v2, v62
	ds_write_b8 v2, v63 offset:4
	s_waitcnt lgkmcnt(0)
	s_barrier
	s_and_saveexec_b64 s[50:51], vcc
	s_cbranch_execz .LBB769_86
; %bb.75:
	v_lshrrev_b32_e32 v2, 3, v0
	v_add_lshl_u32 v4, v2, v54, 3
	ds_read2_b32 v[6:7], v4 offset0:2 offset1:4
	ds_read_b64 v[2:3], v4
	ds_read_u8 v8, v4 offset:12
	ds_read_u8 v9, v4 offset:20
	ds_read_b32 v58, v4 offset:24
	ds_read_u8 v59, v4 offset:28
	v_mov_b32_e32 v60, 0
	s_waitcnt lgkmcnt(3)
	v_cmp_eq_u16_sdwa s[48:49], v8, v60 src0_sel:BYTE_0 src1_sel:DWORD
	v_and_b32_e32 v5, 1, v3
	s_nop 0
	v_cndmask_b32_e64 v61, 0, v2, s[48:49]
	v_add_u32_e32 v6, v61, v6
	s_waitcnt lgkmcnt(2)
	v_cmp_eq_u16_sdwa s[48:49], v9, v60 src0_sel:BYTE_0 src1_sel:DWORD
	s_nop 1
	v_cndmask_b32_e64 v6, 0, v6, s[48:49]
	v_add_u32_e32 v6, v6, v7
	s_waitcnt lgkmcnt(0)
	v_cmp_eq_u16_e64 s[48:49], 0, v59
	s_nop 1
	v_cndmask_b32_e64 v6, 0, v6, s[48:49]
	v_add_u32_e32 v7, v6, v58
	v_or_b32_e32 v6, v59, v9
	v_or_b32_e32 v6, v6, v8
	v_and_b32_e32 v6, 1, v6
	v_cmp_eq_u32_e64 s[48:49], 1, v6
	v_mbcnt_lo_u32_b32 v8, -1, 0
	v_and_b32_e32 v6, 0xffffff00, v3
	v_cndmask_b32_e64 v9, v5, 1, s[48:49]
	v_mbcnt_hi_u32_b32 v8, -1, v8
	v_and_b32_e32 v59, 15, v8
	v_or_b32_sdwa v58, v6, v9 dst_sel:DWORD dst_unused:UNUSED_PAD src0_sel:DWORD src1_sel:WORD_0
	v_mov_b32_dpp v60, v7 row_shr:1 row_mask:0xf bank_mask:0xf
	v_cmp_ne_u32_e64 s[48:49], 0, v59
	v_mov_b32_dpp v61, v58 row_shr:1 row_mask:0xf bank_mask:0xf
	s_and_saveexec_b64 s[54:55], s[48:49]
; %bb.76:
	v_and_b32_e32 v58, 1, v9
	v_and_b32_e32 v61, 1, v61
	v_cmp_eq_u32_e64 s[48:49], 1, v58
	s_nop 1
	v_cndmask_b32_e64 v61, v61, 1, s[48:49]
	v_cmp_eq_u16_e64 s[48:49], 0, v9
	v_or_b32_sdwa v58, v6, v61 dst_sel:DWORD dst_unused:UNUSED_PAD src0_sel:DWORD src1_sel:WORD_0
	s_nop 0
	v_cndmask_b32_e64 v9, 0, v60, s[48:49]
	v_add_u32_e32 v7, v9, v7
	v_mov_b32_e32 v9, v61
; %bb.77:
	s_or_b64 exec, exec, s[54:55]
	v_mov_b32_dpp v60, v7 row_shr:2 row_mask:0xf bank_mask:0xf
	v_mov_b32_dpp v61, v58 row_shr:2 row_mask:0xf bank_mask:0xf
	v_cmp_lt_u32_e64 s[48:49], 1, v59
	s_and_saveexec_b64 s[54:55], s[48:49]
; %bb.78:
	v_and_b32_e32 v58, 1, v9
	v_and_b32_e32 v61, 1, v61
	v_cmp_eq_u32_e64 s[48:49], 1, v58
	s_nop 1
	v_cndmask_b32_e64 v61, v61, 1, s[48:49]
	v_cmp_eq_u16_e64 s[48:49], 0, v9
	v_or_b32_sdwa v58, v6, v61 dst_sel:DWORD dst_unused:UNUSED_PAD src0_sel:DWORD src1_sel:WORD_0
	s_nop 0
	v_cndmask_b32_e64 v9, 0, v60, s[48:49]
	v_add_u32_e32 v7, v9, v7
	v_mov_b32_e32 v9, v61
; %bb.79:
	s_or_b64 exec, exec, s[54:55]
	v_mov_b32_dpp v60, v7 row_shr:4 row_mask:0xf bank_mask:0xf
	v_mov_b32_dpp v61, v58 row_shr:4 row_mask:0xf bank_mask:0xf
	v_cmp_lt_u32_e64 s[48:49], 3, v59
	s_and_saveexec_b64 s[54:55], s[48:49]
; %bb.80:
	v_and_b32_e32 v58, 1, v9
	v_and_b32_e32 v61, 1, v61
	v_cmp_eq_u32_e64 s[48:49], 1, v58
	s_nop 1
	v_cndmask_b32_e64 v61, v61, 1, s[48:49]
	v_cmp_eq_u16_e64 s[48:49], 0, v9
	v_or_b32_sdwa v58, v6, v61 dst_sel:DWORD dst_unused:UNUSED_PAD src0_sel:DWORD src1_sel:WORD_0
	s_nop 0
	v_cndmask_b32_e64 v9, 0, v60, s[48:49]
	v_add_u32_e32 v7, v9, v7
	v_mov_b32_e32 v9, v61
; %bb.81:
	s_or_b64 exec, exec, s[54:55]
	v_mov_b32_dpp v60, v7 row_shr:8 row_mask:0xf bank_mask:0xf
	v_mov_b32_dpp v61, v58 row_shr:8 row_mask:0xf bank_mask:0xf
	v_cmp_lt_u32_e64 s[48:49], 7, v59
	s_and_saveexec_b64 s[54:55], s[48:49]
; %bb.82:
	v_and_b32_e32 v58, 1, v9
	v_and_b32_e32 v59, 1, v61
	v_cmp_eq_u32_e64 s[48:49], 1, v58
	s_nop 1
	v_cndmask_b32_e64 v59, v59, 1, s[48:49]
	v_cmp_eq_u16_e64 s[48:49], 0, v9
	v_or_b32_sdwa v58, v6, v59 dst_sel:DWORD dst_unused:UNUSED_PAD src0_sel:DWORD src1_sel:WORD_0
	s_nop 0
	v_cndmask_b32_e64 v9, 0, v60, s[48:49]
	v_add_u32_e32 v7, v9, v7
	v_mov_b32_e32 v9, v59
; %bb.83:
	s_or_b64 exec, exec, s[54:55]
	v_and_b32_e32 v61, 16, v8
	v_mov_b32_dpp v59, v7 row_bcast:15 row_mask:0xf bank_mask:0xf
	v_mov_b32_dpp v60, v58 row_bcast:15 row_mask:0xf bank_mask:0xf
	v_cmp_ne_u32_e64 s[48:49], 0, v61
	s_and_saveexec_b64 s[54:55], s[48:49]
; %bb.84:
	v_and_b32_e32 v58, 1, v9
	v_and_b32_e32 v60, 1, v60
	v_cmp_eq_u32_e64 s[48:49], 1, v58
	s_nop 1
	v_cndmask_b32_e64 v60, v60, 1, s[48:49]
	v_cmp_eq_u16_e64 s[48:49], 0, v9
	v_or_b32_sdwa v58, v6, v60 dst_sel:DWORD dst_unused:UNUSED_PAD src0_sel:DWORD src1_sel:WORD_0
	s_nop 0
	v_cndmask_b32_e64 v9, 0, v59, s[48:49]
	v_add_u32_e32 v7, v9, v7
	v_mov_b32_e32 v9, v60
; %bb.85:
	s_or_b64 exec, exec, s[54:55]
	v_mov_b32_dpp v58, v58 row_bcast:31 row_mask:0xf bank_mask:0xf
	v_and_b32_e32 v60, 1, v9
	v_and_b32_e32 v58, 1, v58
	v_cmp_eq_u32_e64 s[48:49], 1, v60
	v_mov_b32_e32 v60, 0
	v_cmp_eq_u16_sdwa s[54:55], v9, v60 src0_sel:BYTE_0 src1_sel:DWORD
	v_cndmask_b32_e64 v58, v58, 1, s[48:49]
	v_cmp_lt_u32_e64 s[48:49], 31, v8
	v_mov_b32_dpp v59, v7 row_bcast:31 row_mask:0xf bank_mask:0xf
	s_movk_i32 s3, 0xff
	v_cndmask_b32_e64 v9, v9, v58, s[48:49]
	s_and_b64 s[48:49], s[48:49], s[54:55]
	v_cndmask_b32_e64 v58, 0, v59, s[48:49]
	v_add_u32_e32 v7, v58, v7
	v_add_u32_e32 v58, -1, v8
	v_and_b32_e32 v59, 64, v8
	v_cmp_lt_i32_e64 s[48:49], v58, v59
	v_and_or_b32 v6, v9, s3, v6
	s_nop 0
	v_cndmask_b32_e64 v8, v58, v8, s[48:49]
	v_lshlrev_b32_e32 v8, 2, v8
	ds_bpermute_b32 v7, v8, v7
	ds_bpermute_b32 v6, v8, v6
	v_cmp_eq_u16_sdwa s[48:49], v3, v60 src0_sel:BYTE_0 src1_sel:DWORD
	; wave barrier
	s_waitcnt lgkmcnt(1)
	s_nop 0
	v_cndmask_b32_e64 v3, 0, v7, s[48:49]
	v_add_u32_e32 v2, v3, v2
	s_waitcnt lgkmcnt(0)
	v_and_b32_e32 v3, 1, v6
	v_cmp_eq_u32_e64 s[48:49], 1, v5
	s_nop 1
	v_cndmask_b32_e64 v3, v3, 1, s[48:49]
	v_cmp_eq_u32_e64 s[48:49], 0, v0
	s_nop 1
	v_cndmask_b32_e64 v5, v2, v62, s[48:49]
	v_cndmask_b32_e64 v6, v3, v63, s[48:49]
	ds_write_b32 v4, v5
	ds_write_b8 v4, v6 offset:4
	; wave barrier
	ds_read_u8 v7, v4 offset:12
	ds_read2_b32 v[2:3], v4 offset0:2 offset1:4
	ds_read_u8 v8, v4 offset:20
	ds_read_b32 v9, v4 offset:24
	ds_read_u8 v58, v4 offset:28
	s_waitcnt lgkmcnt(4)
	v_cmp_eq_u16_e64 s[48:49], 0, v7
	s_nop 1
	v_cndmask_b32_e64 v5, 0, v5, s[48:49]
	s_waitcnt lgkmcnt(3)
	v_add_u32_e32 v2, v5, v2
	v_and_b32_e32 v5, 1, v7
	v_cmp_eq_u32_e64 s[48:49], 1, v5
	s_nop 1
	v_cndmask_b32_e64 v5, v6, 1, s[48:49]
	s_waitcnt lgkmcnt(2)
	v_cmp_eq_u16_e64 s[48:49], 0, v8
	ds_write_b8 v4, v5 offset:12
	s_nop 0
	v_cndmask_b32_e64 v6, 0, v2, s[48:49]
	v_add_u32_e32 v3, v6, v3
	v_and_b32_e32 v6, 1, v8
	v_cmp_eq_u32_e64 s[48:49], 1, v6
	s_nop 1
	v_cndmask_b32_e64 v5, v5, 1, s[48:49]
	s_waitcnt lgkmcnt(1)
	v_cmp_eq_u16_e64 s[48:49], 0, v58
	ds_write2_b32 v4, v2, v3 offset0:2 offset1:4
	ds_write_b8 v4, v5 offset:20
	v_cndmask_b32_e64 v2, 0, v3, s[48:49]
	v_and_b32_e32 v3, 1, v58
	v_add_u32_e32 v2, v2, v9
	v_cmp_eq_u32_e64 s[48:49], 1, v3
	s_nop 1
	v_cndmask_b32_e64 v3, v5, 1, s[48:49]
	ds_write_b32 v4, v2 offset:24
	ds_write_b8 v4, v3 offset:28
.LBB769_86:
	s_or_b64 exec, exec, s[50:51]
	v_cmp_eq_u32_e64 s[48:49], 0, v0
	v_cmp_ne_u32_e64 s[50:51], 0, v0
	s_waitcnt lgkmcnt(0)
	s_barrier
	s_and_saveexec_b64 s[54:55], s[50:51]
	s_cbranch_execz .LBB769_88
; %bb.87:
	v_add_u32_e32 v2, -1, v0
	v_lshrrev_b32_e32 v3, 5, v2
	v_add_lshl_u32 v2, v3, v2, 3
	ds_read_b32 v62, v2
	ds_read_u8 v63, v2 offset:4
.LBB769_88:
	s_or_b64 exec, exec, s[54:55]
	s_and_saveexec_b64 s[64:65], vcc
	s_cbranch_execz .LBB769_111
; %bb.89:
	v_mov_b32_e32 v5, 0
	ds_read_b64 v[2:3], v5 offset:2096
	v_mbcnt_lo_u32_b32 v4, -1, 0
	v_mbcnt_hi_u32_b32 v73, -1, v4
	s_mov_b32 s73, 0
	v_cmp_eq_u32_e64 s[50:51], 0, v73
	s_waitcnt lgkmcnt(0)
	v_readfirstlane_b32 s3, v3
	s_and_saveexec_b64 s[54:55], s[50:51]
	s_cbranch_execz .LBB769_91
; %bb.90:
	s_add_i32 s72, s2, 64
	s_lshl_b64 s[74:75], s[72:73], 4
	s_add_u32 s74, s60, s74
	s_addc_u32 s75, s61, s75
	s_and_b32 s77, s3, 0xff000000
	s_mov_b32 s76, s73
	s_and_b32 s79, s3, 0xff0000
	s_mov_b32 s78, s73
	s_or_b64 s[76:77], s[78:79], s[76:77]
	s_and_b32 s79, s3, 0xff00
	s_or_b64 s[76:77], s[76:77], s[78:79]
	s_and_b32 s79, s3, 0xff
	s_or_b64 s[72:73], s[76:77], s[78:79]
	v_mov_b32_e32 v3, s73
	v_mov_b32_e32 v4, 1
	v_mov_b64_e32 v[6:7], s[74:75]
	;;#ASMSTART
	global_store_dwordx4 v[6:7], v[2:5] off sc1	
s_waitcnt vmcnt(0)
	;;#ASMEND
.LBB769_91:
	s_or_b64 exec, exec, s[54:55]
	v_xad_u32 v58, v73, -1, s2
	v_add_u32_e32 v4, 64, v58
	v_lshl_add_u64 v[60:61], v[4:5], 4, s[60:61]
	;;#ASMSTART
	global_load_dwordx4 v[6:9], v[60:61] off sc1	
s_waitcnt vmcnt(0)
	;;#ASMEND
	s_nop 0
	v_and_b32_e32 v3, 0xff0000, v6
	v_and_b32_e32 v4, 0xff000000, v6
	;; [unrolled: 1-line block ×3, first 2 shown]
	v_or_b32_sdwa v3, v6, v3 dst_sel:DWORD dst_unused:UNUSED_PAD src0_sel:WORD_0 src1_sel:DWORD
	v_or3_b32 v7, 0, 0, v7
	v_or3_b32 v6, v3, v4, 0
	v_cmp_eq_u16_sdwa s[72:73], v8, v5 src0_sel:BYTE_0 src1_sel:DWORD
	s_and_saveexec_b64 s[54:55], s[72:73]
	s_cbranch_execz .LBB769_97
; %bb.92:
	s_mov_b32 s63, 1
	s_mov_b64 s[72:73], 0
	v_mov_b32_e32 v3, 0
.LBB769_93:                             ; =>This Loop Header: Depth=1
                                        ;     Child Loop BB769_94 Depth 2
	s_max_u32 s74, s63, 1
.LBB769_94:                             ;   Parent Loop BB769_93 Depth=1
                                        ; =>  This Inner Loop Header: Depth=2
	s_add_i32 s74, s74, -1
	s_cmp_eq_u32 s74, 0
	s_sleep 1
	s_cbranch_scc0 .LBB769_94
; %bb.95:                               ;   in Loop: Header=BB769_93 Depth=1
	s_cmp_lt_u32 s63, 32
	s_cselect_b64 s[74:75], -1, 0
	s_cmp_lg_u64 s[74:75], 0
	s_addc_u32 s63, s63, 0
	;;#ASMSTART
	global_load_dwordx4 v[6:9], v[60:61] off sc1	
s_waitcnt vmcnt(0)
	;;#ASMEND
	s_nop 0
	v_cmp_ne_u16_sdwa s[74:75], v8, v3 src0_sel:BYTE_0 src1_sel:DWORD
	s_or_b64 s[72:73], s[74:75], s[72:73]
	s_andn2_b64 exec, exec, s[72:73]
	s_cbranch_execnz .LBB769_93
; %bb.96:
	s_or_b64 exec, exec, s[72:73]
	v_and_b32_e32 v7, 0xff, v7
.LBB769_97:
	s_or_b64 exec, exec, s[54:55]
	v_mov_b32_e32 v3, 2
	v_cmp_eq_u16_sdwa s[54:55], v8, v3 src0_sel:BYTE_0 src1_sel:DWORD
	v_lshlrev_b64 v[4:5], v73, -1
	v_and_b32_e32 v64, 63, v73
	v_and_b32_e32 v9, s55, v5
	v_or_b32_e32 v9, 0x80000000, v9
	v_and_b32_e32 v59, s54, v4
	v_ffbl_b32_e32 v9, v9
	v_add_u32_e32 v9, 32, v9
	v_ffbl_b32_e32 v59, v59
	v_cmp_ne_u32_e32 vcc, 63, v64
	v_min_u32_e32 v9, v59, v9
	s_mov_b32 s72, 0
	v_addc_co_u32_e32 v59, vcc, 0, v73, vcc
	v_lshlrev_b32_e32 v65, 2, v59
	ds_bpermute_b32 v59, v65, v7
	ds_bpermute_b32 v60, v65, v6
	v_and_b32_e32 v61, 1, v7
	s_mov_b32 s73, 1
	v_cmp_eq_u32_e32 vcc, 1, v61
	s_waitcnt lgkmcnt(1)
	v_and_b32_e32 v59, 1, v59
	v_cmp_lt_u32_e64 s[54:55], v64, v9
	v_cndmask_b32_e64 v59, v59, 1, vcc
	v_cmp_gt_u64_e32 vcc, s[72:73], v[6:7]
	s_and_b64 vcc, s[54:55], vcc
	v_and_b32_e32 v61, 0xffff, v59
	v_cndmask_b32_e64 v68, v7, v59, s[54:55]
	s_waitcnt lgkmcnt(0)
	v_cndmask_b32_e32 v59, 0, v60, vcc
	v_cmp_gt_u32_e32 vcc, 62, v64
	v_cndmask_b32_e64 v7, v7, v61, s[54:55]
	v_add_u32_e32 v6, v59, v6
	v_cndmask_b32_e64 v60, 0, 1, vcc
	v_lshlrev_b32_e32 v60, 1, v60
	v_add_lshl_u32 v66, v60, v73, 2
	ds_bpermute_b32 v60, v66, v7
	ds_bpermute_b32 v61, v66, v6
	v_and_b32_e32 v59, 1, v68
	v_cmp_eq_u32_e32 vcc, 1, v59
	v_mov_b32_e32 v59, 0
	s_waitcnt lgkmcnt(1)
	v_and_b32_e32 v60, 1, v60
	v_add_u32_e32 v67, 2, v64
	v_cndmask_b32_e64 v60, v60, 1, vcc
	v_cmp_eq_u16_sdwa vcc, v68, v59 src0_sel:BYTE_0 src1_sel:DWORD
	v_and_b32_e32 v69, 0xffff, v60
	v_add_u32_e32 v77, 32, v64
	s_waitcnt lgkmcnt(0)
	v_cndmask_b32_e32 v61, 0, v61, vcc
	v_cmp_gt_u32_e32 vcc, v67, v9
	s_nop 1
	v_cndmask_b32_e32 v60, v60, v68, vcc
	v_cndmask_b32_e64 v61, v61, 0, vcc
	v_cndmask_b32_e32 v7, v69, v7, vcc
	v_cmp_gt_u32_e32 vcc, 60, v64
	v_add_u32_e32 v6, v61, v6
	v_and_b32_e32 v71, 1, v60
	v_cndmask_b32_e64 v68, 0, 1, vcc
	v_lshlrev_b32_e32 v68, 2, v68
	v_add_lshl_u32 v68, v68, v73, 2
	ds_bpermute_b32 v70, v68, v7
	ds_bpermute_b32 v61, v68, v6
	v_cmp_eq_u32_e32 vcc, 1, v71
	v_add_u32_e32 v69, 4, v64
	s_waitcnt lgkmcnt(1)
	v_and_b32_e32 v70, 1, v70
	v_cndmask_b32_e64 v70, v70, 1, vcc
	v_cmp_eq_u16_sdwa vcc, v60, v59 src0_sel:BYTE_0 src1_sel:DWORD
	v_and_b32_e32 v71, 0xffff, v70
	s_waitcnt lgkmcnt(0)
	v_cndmask_b32_e32 v61, 0, v61, vcc
	v_cmp_gt_u32_e32 vcc, v69, v9
	s_nop 1
	v_cndmask_b32_e32 v60, v70, v60, vcc
	v_cndmask_b32_e64 v61, v61, 0, vcc
	v_cndmask_b32_e32 v7, v71, v7, vcc
	v_cmp_gt_u32_e32 vcc, 56, v64
	v_add_u32_e32 v6, v61, v6
	v_and_b32_e32 v74, 1, v60
	v_cndmask_b32_e64 v70, 0, 1, vcc
	v_lshlrev_b32_e32 v70, 3, v70
	v_add_lshl_u32 v70, v70, v73, 2
	ds_bpermute_b32 v72, v70, v7
	ds_bpermute_b32 v61, v70, v6
	v_cmp_eq_u32_e32 vcc, 1, v74
	v_add_u32_e32 v71, 8, v64
	s_waitcnt lgkmcnt(1)
	v_and_b32_e32 v72, 1, v72
	v_cndmask_b32_e64 v72, v72, 1, vcc
	v_cmp_eq_u16_sdwa vcc, v60, v59 src0_sel:BYTE_0 src1_sel:DWORD
	v_and_b32_e32 v74, 0xffff, v72
	;; [unrolled: 22-line block ×3, first 2 shown]
	s_waitcnt lgkmcnt(0)
	v_cndmask_b32_e32 v61, 0, v61, vcc
	v_cmp_gt_u32_e32 vcc, v74, v9
	s_nop 1
	v_cndmask_b32_e32 v60, v75, v60, vcc
	v_cndmask_b32_e64 v61, v61, 0, vcc
	v_cndmask_b32_e32 v7, v76, v7, vcc
	v_cmp_gt_u32_e32 vcc, 32, v64
	v_add_u32_e32 v6, v61, v6
	s_nop 0
	v_cndmask_b32_e64 v75, 0, 1, vcc
	v_lshlrev_b32_e32 v75, 5, v75
	v_add_lshl_u32 v76, v75, v73, 2
	ds_bpermute_b32 v7, v76, v7
	ds_bpermute_b32 v61, v76, v6
	v_and_b32_e32 v73, 1, v60
	v_cmp_eq_u32_e32 vcc, 1, v73
	s_waitcnt lgkmcnt(1)
	v_and_b32_e32 v7, 1, v7
	v_cndmask_b32_e64 v7, v7, 1, vcc
	v_cmp_eq_u16_sdwa vcc, v60, v59 src0_sel:BYTE_0 src1_sel:DWORD
	s_waitcnt lgkmcnt(0)
	s_nop 0
	v_cndmask_b32_e32 v61, 0, v61, vcc
	v_cmp_gt_u32_e32 vcc, v77, v9
	s_nop 1
	v_cndmask_b32_e64 v9, v61, 0, vcc
	v_cndmask_b32_e32 v7, v7, v60, vcc
	v_add_u32_e32 v6, v9, v6
	s_branch .LBB769_99
.LBB769_98:                             ;   in Loop: Header=BB769_99 Depth=1
	s_or_b64 exec, exec, s[54:55]
	v_cmp_eq_u16_sdwa s[54:55], v8, v3 src0_sel:BYTE_0 src1_sel:DWORD
	ds_bpermute_b32 v61, v65, v7
	v_and_b32_e32 v78, 1, v7
	v_and_b32_e32 v9, s55, v5
	v_or_b32_e32 v9, 0x80000000, v9
	v_and_b32_e32 v60, s54, v4
	v_ffbl_b32_e32 v9, v9
	v_add_u32_e32 v9, 32, v9
	v_ffbl_b32_e32 v60, v60
	v_min_u32_e32 v9, v60, v9
	ds_bpermute_b32 v60, v65, v6
	s_waitcnt lgkmcnt(1)
	v_and_b32_e32 v61, 1, v61
	v_cmp_eq_u32_e32 vcc, 1, v78
	v_cmp_lt_u32_e64 s[54:55], v64, v9
	v_subrev_u32_e32 v58, 64, v58
	v_cndmask_b32_e64 v61, v61, 1, vcc
	v_cmp_gt_u64_e32 vcc, s[72:73], v[6:7]
	v_and_b32_e32 v78, 0xffff, v61
	v_cndmask_b32_e64 v61, v7, v61, s[54:55]
	v_cndmask_b32_e64 v7, v7, v78, s[54:55]
	s_and_b64 vcc, s[54:55], vcc
	ds_bpermute_b32 v78, v66, v7
	s_waitcnt lgkmcnt(1)
	v_cndmask_b32_e32 v60, 0, v60, vcc
	v_add_u32_e32 v6, v60, v6
	ds_bpermute_b32 v60, v66, v6
	v_and_b32_e32 v79, 1, v61
	s_waitcnt lgkmcnt(1)
	v_and_b32_e32 v78, 1, v78
	v_cmp_eq_u32_e32 vcc, 1, v79
	s_nop 1
	v_cndmask_b32_e64 v78, v78, 1, vcc
	v_cmp_eq_u16_sdwa vcc, v61, v59 src0_sel:BYTE_0 src1_sel:DWORD
	v_and_b32_e32 v79, 0xffff, v78
	s_waitcnt lgkmcnt(0)
	v_cndmask_b32_e32 v60, 0, v60, vcc
	v_cmp_gt_u32_e32 vcc, v67, v9
	s_nop 1
	v_cndmask_b32_e32 v7, v79, v7, vcc
	v_cndmask_b32_e32 v61, v78, v61, vcc
	ds_bpermute_b32 v78, v68, v7
	v_cndmask_b32_e64 v60, v60, 0, vcc
	v_add_u32_e32 v6, v60, v6
	ds_bpermute_b32 v60, v68, v6
	v_and_b32_e32 v79, 1, v61
	s_waitcnt lgkmcnt(1)
	v_and_b32_e32 v78, 1, v78
	v_cmp_eq_u32_e32 vcc, 1, v79
	s_nop 1
	v_cndmask_b32_e64 v78, v78, 1, vcc
	v_cmp_eq_u16_sdwa vcc, v61, v59 src0_sel:BYTE_0 src1_sel:DWORD
	v_and_b32_e32 v79, 0xffff, v78
	s_waitcnt lgkmcnt(0)
	v_cndmask_b32_e32 v60, 0, v60, vcc
	v_cmp_gt_u32_e32 vcc, v69, v9
	s_nop 1
	v_cndmask_b32_e32 v7, v79, v7, vcc
	v_cndmask_b32_e32 v61, v78, v61, vcc
	ds_bpermute_b32 v78, v70, v7
	v_cndmask_b32_e64 v60, v60, 0, vcc
	;; [unrolled: 18-line block ×3, first 2 shown]
	v_add_u32_e32 v6, v60, v6
	ds_bpermute_b32 v60, v72, v6
	v_and_b32_e32 v79, 1, v61
	s_waitcnt lgkmcnt(1)
	v_and_b32_e32 v78, 1, v78
	v_cmp_eq_u32_e32 vcc, 1, v79
	s_nop 1
	v_cndmask_b32_e64 v78, v78, 1, vcc
	v_cmp_eq_u16_sdwa vcc, v61, v59 src0_sel:BYTE_0 src1_sel:DWORD
	v_and_b32_e32 v79, 0xffff, v78
	s_waitcnt lgkmcnt(0)
	v_cndmask_b32_e32 v60, 0, v60, vcc
	v_cmp_gt_u32_e32 vcc, v74, v9
	s_nop 1
	v_cndmask_b32_e64 v60, v60, 0, vcc
	v_cndmask_b32_e32 v7, v79, v7, vcc
	ds_bpermute_b32 v7, v76, v7
	v_add_u32_e32 v6, v60, v6
	ds_bpermute_b32 v60, v76, v6
	v_cndmask_b32_e32 v61, v78, v61, vcc
	v_and_b32_e32 v78, 1, v61
	v_cmp_eq_u32_e32 vcc, 1, v78
	s_waitcnt lgkmcnt(1)
	s_nop 0
	v_cndmask_b32_e64 v7, v7, 1, vcc
	v_cmp_eq_u16_sdwa vcc, v61, v59 src0_sel:BYTE_0 src1_sel:DWORD
	s_waitcnt lgkmcnt(0)
	s_nop 0
	v_cndmask_b32_e32 v60, 0, v60, vcc
	v_cmp_gt_u32_e32 vcc, v77, v9
	s_nop 1
	v_cndmask_b32_e64 v9, v60, 0, vcc
	v_cndmask_b32_e32 v7, v7, v61, vcc
	v_add_u32_e32 v6, v9, v6
	v_cmp_eq_u16_sdwa vcc, v73, v59 src0_sel:BYTE_0 src1_sel:DWORD
	v_and_b32_e32 v9, 1, v73
	v_and_b32_e32 v7, 1, v7
	v_cndmask_b32_e32 v6, 0, v6, vcc
	v_cmp_eq_u32_e32 vcc, 1, v9
	v_add_u32_e32 v6, v6, v75
	s_nop 0
	v_cndmask_b32_e64 v7, v7, 1, vcc
.LBB769_99:                             ; =>This Loop Header: Depth=1
                                        ;     Child Loop BB769_102 Depth 2
                                        ;       Child Loop BB769_103 Depth 3
	v_cmp_ne_u16_sdwa s[54:55], v8, v3 src0_sel:BYTE_0 src1_sel:DWORD
	v_mov_b32_e32 v73, v7
	v_mov_b32_e32 v75, v6
	v_cndmask_b32_e64 v7, 0, 1, s[54:55]
	;;#ASMSTART
	;;#ASMEND
	s_nop 0
	v_cmp_ne_u32_e32 vcc, 0, v7
	s_cmp_lg_u64 vcc, exec
	s_cbranch_scc1 .LBB769_106
; %bb.100:                              ;   in Loop: Header=BB769_99 Depth=1
	v_lshl_add_u64 v[60:61], v[58:59], 4, s[60:61]
	;;#ASMSTART
	global_load_dwordx4 v[6:9], v[60:61] off sc1	
s_waitcnt vmcnt(0)
	;;#ASMEND
	s_nop 0
	v_and_b32_e32 v9, 0xff0000, v6
	v_and_b32_e32 v78, 0xff000000, v6
	;; [unrolled: 1-line block ×3, first 2 shown]
	v_or_b32_sdwa v6, v6, v9 dst_sel:DWORD dst_unused:UNUSED_PAD src0_sel:WORD_0 src1_sel:DWORD
	v_or3_b32 v7, 0, 0, v7
	v_or3_b32 v6, v6, v78, 0
	v_cmp_eq_u16_sdwa s[74:75], v8, v59 src0_sel:BYTE_0 src1_sel:DWORD
	s_and_saveexec_b64 s[54:55], s[74:75]
	s_cbranch_execz .LBB769_98
; %bb.101:                              ;   in Loop: Header=BB769_99 Depth=1
	s_mov_b32 s63, 1
	s_mov_b64 s[74:75], 0
.LBB769_102:                            ;   Parent Loop BB769_99 Depth=1
                                        ; =>  This Loop Header: Depth=2
                                        ;       Child Loop BB769_103 Depth 3
	s_max_u32 s76, s63, 1
.LBB769_103:                            ;   Parent Loop BB769_99 Depth=1
                                        ;     Parent Loop BB769_102 Depth=2
                                        ; =>    This Inner Loop Header: Depth=3
	s_add_i32 s76, s76, -1
	s_cmp_eq_u32 s76, 0
	s_sleep 1
	s_cbranch_scc0 .LBB769_103
; %bb.104:                              ;   in Loop: Header=BB769_102 Depth=2
	s_cmp_lt_u32 s63, 32
	s_cselect_b64 s[76:77], -1, 0
	s_cmp_lg_u64 s[76:77], 0
	s_addc_u32 s63, s63, 0
	;;#ASMSTART
	global_load_dwordx4 v[6:9], v[60:61] off sc1	
s_waitcnt vmcnt(0)
	;;#ASMEND
	s_nop 0
	v_cmp_ne_u16_sdwa s[76:77], v8, v59 src0_sel:BYTE_0 src1_sel:DWORD
	s_or_b64 s[74:75], s[76:77], s[74:75]
	s_andn2_b64 exec, exec, s[74:75]
	s_cbranch_execnz .LBB769_102
; %bb.105:                              ;   in Loop: Header=BB769_99 Depth=1
	s_or_b64 exec, exec, s[74:75]
	v_and_b32_e32 v7, 0xff, v7
	s_branch .LBB769_98
.LBB769_106:                            ;   in Loop: Header=BB769_99 Depth=1
                                        ; implicit-def: $vgpr7
                                        ; implicit-def: $vgpr6
                                        ; implicit-def: $vgpr8
	s_cbranch_execz .LBB769_99
; %bb.107:
	s_and_saveexec_b64 s[54:55], s[50:51]
	s_cbranch_execz .LBB769_109
; %bb.108:
	s_and_b32 s50, s3, 0xff
	s_cmp_eq_u32 s50, 0
	s_cselect_b64 vcc, -1, 0
	s_bitcmp1_b32 s3, 0
	s_mov_b32 s51, 0
	s_cselect_b64 s[72:73], -1, 0
	s_add_i32 s50, s2, 64
	s_lshl_b64 s[2:3], s[50:51], 4
	v_cndmask_b32_e32 v3, 0, v75, vcc
	s_add_u32 s2, s60, s2
	v_add_u32_e32 v2, v3, v2
	v_and_b32_e32 v3, 1, v73
	s_addc_u32 s3, s61, s3
	v_mov_b32_e32 v5, 0
	v_cndmask_b32_e64 v3, v3, 1, s[72:73]
	v_mov_b32_e32 v4, 2
	v_mov_b64_e32 v[6:7], s[2:3]
	;;#ASMSTART
	global_store_dwordx4 v[6:7], v[2:5] off sc1	
s_waitcnt vmcnt(0)
	;;#ASMEND
.LBB769_109:
	s_or_b64 exec, exec, s[54:55]
	s_and_b64 exec, exec, s[48:49]
	s_cbranch_execz .LBB769_111
; %bb.110:
	v_mov_b32_e32 v2, 0
	ds_write_b32 v2, v75
	ds_write_b8 v2, v73 offset:4
.LBB769_111:
	s_or_b64 exec, exec, s[64:65]
	s_mov_b32 s2, 0
	v_mov_b32_e32 v2, 0
	s_mov_b32 s3, 1
	s_waitcnt lgkmcnt(0)
	s_barrier
	ds_read_b32 v3, v2
	v_cmp_gt_u64_e32 vcc, s[2:3], v[10:11]
	v_and_b32_e32 v5, 1, v11
	v_and_b32_e32 v6, 1, v63
	v_cndmask_b32_e32 v4, 0, v62, vcc
	v_cmp_eq_u32_e32 vcc, 1, v5
	v_cndmask_b32_e64 v4, v4, 0, s[48:49]
	s_nop 0
	v_cndmask_b32_e64 v5, v6, 1, vcc
	v_cndmask_b32_e64 v5, v5, v11, s[48:49]
	v_cmp_eq_u16_sdwa vcc, v5, v2 src0_sel:BYTE_0 src1_sel:DWORD
	s_waitcnt lgkmcnt(0)
	s_nop 0
	v_cndmask_b32_e32 v2, 0, v3, vcc
	v_add3_u32 v80, v4, v10, v2
	v_cndmask_b32_e64 v2, 0, v80, s[52:53]
	v_add_u32_e32 v58, v2, v12
	v_cndmask_b32_e64 v2, 0, v58, s[4:5]
	v_add_u32_e32 v59, v2, v14
	;; [unrolled: 2-line block ×22, first 2 shown]
	s_branch .LBB769_201
.LBB769_112:
	s_or_b64 exec, exec, s[54:55]
                                        ; implicit-def: $vgpr30
	s_and_saveexec_b64 s[54:55], s[48:49]
	s_cbranch_execz .LBB769_49
.LBB769_113:
	v_mov_b32_e32 v3, 0
	v_lshl_add_u64 v[30:31], s[50:51], 0, v[2:3]
	flat_load_dword v30, v[30:31] offset:1024
	s_or_b64 exec, exec, s[54:55]
                                        ; implicit-def: $vgpr31
	s_and_saveexec_b64 s[48:49], s[4:5]
	s_cbranch_execnz .LBB769_50
.LBB769_114:
	s_or_b64 exec, exec, s[48:49]
                                        ; implicit-def: $vgpr3
	s_and_saveexec_b64 s[4:5], s[6:7]
	s_cbranch_execz .LBB769_51
.LBB769_115:
	v_mov_b32_e32 v3, 0
	v_lshl_add_u64 v[32:33], s[50:51], 0, v[2:3]
	flat_load_dword v3, v[32:33] offset:3072
	s_or_b64 exec, exec, s[4:5]
                                        ; implicit-def: $vgpr32
	s_and_saveexec_b64 s[4:5], s[8:9]
	s_cbranch_execnz .LBB769_52
.LBB769_116:
	s_or_b64 exec, exec, s[4:5]
                                        ; implicit-def: $vgpr10
	s_and_saveexec_b64 s[4:5], s[10:11]
	s_cbranch_execz .LBB769_53
.LBB769_117:
	v_lshlrev_b32_e32 v10, 2, v11
	v_mov_b32_e32 v11, 0
	v_lshl_add_u64 v[10:11], s[50:51], 0, v[10:11]
	flat_load_dword v10, v[10:11]
	s_or_b64 exec, exec, s[4:5]
                                        ; implicit-def: $vgpr11
	s_and_saveexec_b64 s[4:5], s[12:13]
	s_cbranch_execnz .LBB769_54
.LBB769_118:
	s_or_b64 exec, exec, s[4:5]
                                        ; implicit-def: $vgpr12
	s_and_saveexec_b64 s[4:5], s[14:15]
	s_cbranch_execz .LBB769_55
.LBB769_119:
	v_lshlrev_b32_e32 v12, 2, v13
	v_mov_b32_e32 v13, 0
	v_lshl_add_u64 v[12:13], s[50:51], 0, v[12:13]
	flat_load_dword v12, v[12:13]
	s_or_b64 exec, exec, s[4:5]
                                        ; implicit-def: $vgpr13
	s_and_saveexec_b64 s[4:5], s[16:17]
	s_cbranch_execnz .LBB769_56
.LBB769_120:
	s_or_b64 exec, exec, s[4:5]
                                        ; implicit-def: $vgpr14
	s_and_saveexec_b64 s[4:5], s[18:19]
	s_cbranch_execz .LBB769_57
.LBB769_121:
	v_lshlrev_b32_e32 v14, 2, v15
	v_mov_b32_e32 v15, 0
	v_lshl_add_u64 v[14:15], s[50:51], 0, v[14:15]
	flat_load_dword v14, v[14:15]
	s_or_b64 exec, exec, s[4:5]
                                        ; implicit-def: $vgpr15
	s_and_saveexec_b64 s[4:5], s[20:21]
	s_cbranch_execnz .LBB769_58
.LBB769_122:
	s_or_b64 exec, exec, s[4:5]
                                        ; implicit-def: $vgpr16
	s_and_saveexec_b64 s[4:5], s[22:23]
	s_cbranch_execz .LBB769_59
.LBB769_123:
	v_lshlrev_b32_e32 v16, 2, v17
	v_mov_b32_e32 v17, 0
	v_lshl_add_u64 v[16:17], s[50:51], 0, v[16:17]
	flat_load_dword v16, v[16:17]
	s_or_b64 exec, exec, s[4:5]
                                        ; implicit-def: $vgpr17
	s_and_saveexec_b64 s[4:5], s[24:25]
	s_cbranch_execnz .LBB769_60
.LBB769_124:
	s_or_b64 exec, exec, s[4:5]
                                        ; implicit-def: $vgpr18
	s_and_saveexec_b64 s[4:5], s[26:27]
	s_cbranch_execz .LBB769_61
.LBB769_125:
	v_lshlrev_b32_e32 v18, 2, v19
	v_mov_b32_e32 v19, 0
	v_lshl_add_u64 v[18:19], s[50:51], 0, v[18:19]
	flat_load_dword v18, v[18:19]
	s_or_b64 exec, exec, s[4:5]
                                        ; implicit-def: $vgpr19
	s_and_saveexec_b64 s[4:5], s[28:29]
	s_cbranch_execnz .LBB769_62
.LBB769_126:
	s_or_b64 exec, exec, s[4:5]
                                        ; implicit-def: $vgpr20
	s_and_saveexec_b64 s[4:5], s[30:31]
	s_cbranch_execz .LBB769_63
.LBB769_127:
	v_lshlrev_b32_e32 v20, 2, v21
	v_mov_b32_e32 v21, 0
	v_lshl_add_u64 v[20:21], s[50:51], 0, v[20:21]
	flat_load_dword v20, v[20:21]
	s_or_b64 exec, exec, s[4:5]
                                        ; implicit-def: $vgpr21
	s_and_saveexec_b64 s[4:5], s[34:35]
	s_cbranch_execnz .LBB769_64
.LBB769_128:
	s_or_b64 exec, exec, s[4:5]
                                        ; implicit-def: $vgpr22
	s_and_saveexec_b64 s[4:5], s[36:37]
	s_cbranch_execz .LBB769_65
.LBB769_129:
	v_lshlrev_b32_e32 v22, 2, v23
	v_mov_b32_e32 v23, 0
	v_lshl_add_u64 v[22:23], s[50:51], 0, v[22:23]
	flat_load_dword v22, v[22:23]
	s_or_b64 exec, exec, s[4:5]
                                        ; implicit-def: $vgpr23
	s_and_saveexec_b64 s[4:5], s[38:39]
	s_cbranch_execnz .LBB769_66
.LBB769_130:
	s_or_b64 exec, exec, s[4:5]
                                        ; implicit-def: $vgpr24
	s_and_saveexec_b64 s[4:5], s[40:41]
	s_cbranch_execz .LBB769_67
.LBB769_131:
	v_lshlrev_b32_e32 v24, 2, v25
	v_mov_b32_e32 v25, 0
	v_lshl_add_u64 v[24:25], s[50:51], 0, v[24:25]
	flat_load_dword v24, v[24:25]
	s_or_b64 exec, exec, s[4:5]
                                        ; implicit-def: $vgpr25
	s_and_saveexec_b64 s[4:5], s[42:43]
	s_cbranch_execnz .LBB769_68
.LBB769_132:
	s_or_b64 exec, exec, s[4:5]
                                        ; implicit-def: $vgpr26
	s_and_saveexec_b64 s[4:5], s[44:45]
	s_cbranch_execz .LBB769_134
.LBB769_133:
	v_lshlrev_b32_e32 v26, 2, v27
	v_mov_b32_e32 v27, 0
	v_lshl_add_u64 v[26:27], s[50:51], 0, v[26:27]
	flat_load_dword v26, v[26:27]
.LBB769_134:
	s_or_b64 exec, exec, s[4:5]
	v_mul_u32_u24_e32 v73, 23, v0
                                        ; implicit-def: $vgpr27
	s_and_saveexec_b64 s[4:5], s[46:47]
	s_cbranch_execz .LBB769_136
; %bb.135:
	v_lshlrev_b32_e32 v34, 2, v28
	v_mov_b32_e32 v35, 0
	v_lshl_add_u64 v[34:35], s[50:51], 0, v[34:35]
	flat_load_dword v27, v[34:35]
.LBB769_136:
	s_or_b64 exec, exec, s[4:5]
	s_waitcnt vmcnt(0) lgkmcnt(0)
	ds_write2st64_b32 v2, v29, v30 offset1:4
	ds_write2st64_b32 v2, v31, v3 offset0:8 offset1:12
	ds_write2st64_b32 v2, v32, v10 offset0:16 offset1:20
	;; [unrolled: 1-line block ×10, first 2 shown]
	ds_write_b32 v2, v27 offset:22528
	v_mov_b64_e32 v[10:11], 0
	v_cmp_gt_u32_e32 vcc, s3, v73
	s_mov_b64 s[8:9], 0
	s_mov_b64 s[4:5], 0
	v_mov_b64_e32 v[12:13], v[10:11]
	v_mov_b64_e32 v[14:15], v[10:11]
	;; [unrolled: 1-line block ×21, first 2 shown]
	s_waitcnt lgkmcnt(0)
	s_barrier
	s_waitcnt lgkmcnt(0)
                                        ; implicit-def: $vgpr3
	s_and_saveexec_b64 s[6:7], vcc
	s_cbranch_execz .LBB769_180
; %bb.137:
	ds_read_b32 v10, v72
	v_add_u32_e32 v2, 1, v73
	v_cmp_ne_u32_e32 vcc, 0, v68
	v_mov_b64_e32 v[12:13], 0
	s_mov_b64 s[10:11], 0
	v_cndmask_b32_e64 v11, 0, 1, vcc
	v_cmp_gt_u32_e32 vcc, s3, v2
	s_mov_b64 s[12:13], 0
	v_mov_b64_e32 v[14:15], v[12:13]
	v_mov_b64_e32 v[16:17], v[12:13]
	;; [unrolled: 1-line block ×20, first 2 shown]
                                        ; implicit-def: $vgpr3
	s_and_saveexec_b64 s[8:9], vcc
	s_cbranch_execz .LBB769_179
; %bb.138:
	ds_read2_b32 v[70:71], v72 offset0:1 offset1:2
	v_add_u32_e32 v2, 2, v73
	v_cmp_ne_u32_e32 vcc, 0, v69
	v_mov_b64_e32 v[14:15], 0
	s_mov_b64 s[14:15], 0
	v_cndmask_b32_e64 v13, 0, 1, vcc
	v_cmp_gt_u32_e32 vcc, s3, v2
	s_waitcnt lgkmcnt(0)
	v_mov_b32_e32 v12, v70
	v_mov_b64_e32 v[16:17], v[14:15]
	v_mov_b64_e32 v[18:19], v[14:15]
	;; [unrolled: 1-line block ×19, first 2 shown]
                                        ; implicit-def: $vgpr3
	s_and_saveexec_b64 s[10:11], vcc
	s_cbranch_execz .LBB769_178
; %bb.139:
	v_add_u32_e32 v2, 3, v73
	v_cmp_ne_u32_e32 vcc, 0, v66
	v_mov_b64_e32 v[16:17], 0
	v_mov_b32_e32 v14, v71
	v_cndmask_b32_e64 v15, 0, 1, vcc
	v_cmp_gt_u32_e32 vcc, s3, v2
	s_mov_b64 s[16:17], 0
	v_mov_b64_e32 v[18:19], v[16:17]
	v_mov_b64_e32 v[20:21], v[16:17]
	;; [unrolled: 1-line block ×18, first 2 shown]
                                        ; implicit-def: $vgpr3
	s_and_saveexec_b64 s[12:13], vcc
	s_cbranch_execz .LBB769_177
; %bb.140:
	ds_read2_b32 v[68:69], v72 offset0:3 offset1:4
	v_add_u32_e32 v2, 4, v73
	v_cmp_ne_u32_e32 vcc, 0, v67
	v_mov_b64_e32 v[18:19], 0
	s_mov_b64 s[18:19], 0
	v_cndmask_b32_e64 v17, 0, 1, vcc
	v_cmp_gt_u32_e32 vcc, s3, v2
	s_waitcnt lgkmcnt(0)
	v_mov_b32_e32 v16, v68
	v_mov_b64_e32 v[20:21], v[18:19]
	v_mov_b64_e32 v[22:23], v[18:19]
	;; [unrolled: 1-line block ×17, first 2 shown]
                                        ; implicit-def: $vgpr3
	s_and_saveexec_b64 s[14:15], vcc
	s_cbranch_execz .LBB769_176
; %bb.141:
	v_add_u32_e32 v2, 5, v73
	v_cmp_ne_u32_e32 vcc, 0, v64
	v_mov_b64_e32 v[20:21], 0
	v_mov_b32_e32 v18, v69
	v_cndmask_b32_e64 v19, 0, 1, vcc
	v_cmp_gt_u32_e32 vcc, s3, v2
	s_mov_b64 s[20:21], 0
	v_mov_b64_e32 v[22:23], v[20:21]
	v_mov_b64_e32 v[24:25], v[20:21]
	;; [unrolled: 1-line block ×16, first 2 shown]
                                        ; implicit-def: $vgpr3
	s_and_saveexec_b64 s[16:17], vcc
	s_cbranch_execz .LBB769_175
; %bb.142:
	ds_read2_b32 v[66:67], v72 offset0:5 offset1:6
	v_add_u32_e32 v2, 6, v73
	v_cmp_ne_u32_e32 vcc, 0, v65
	v_mov_b64_e32 v[22:23], 0
	s_mov_b64 s[22:23], 0
	v_cndmask_b32_e64 v21, 0, 1, vcc
	v_cmp_gt_u32_e32 vcc, s3, v2
	s_waitcnt lgkmcnt(0)
	v_mov_b32_e32 v20, v66
	v_mov_b64_e32 v[24:25], v[22:23]
	v_mov_b64_e32 v[26:27], v[22:23]
	;; [unrolled: 1-line block ×15, first 2 shown]
                                        ; implicit-def: $vgpr3
	s_and_saveexec_b64 s[18:19], vcc
	s_cbranch_execz .LBB769_174
; %bb.143:
	v_add_u32_e32 v2, 7, v73
	v_cmp_ne_u32_e32 vcc, 0, v62
	v_mov_b64_e32 v[24:25], 0
	v_mov_b32_e32 v22, v67
	v_cndmask_b32_e64 v23, 0, 1, vcc
	v_cmp_gt_u32_e32 vcc, s3, v2
	s_mov_b64 s[24:25], 0
	v_mov_b64_e32 v[26:27], v[24:25]
	v_mov_b64_e32 v[28:29], v[24:25]
	;; [unrolled: 1-line block ×14, first 2 shown]
                                        ; implicit-def: $vgpr3
	s_and_saveexec_b64 s[20:21], vcc
	s_cbranch_execz .LBB769_173
; %bb.144:
	ds_read2_b32 v[64:65], v72 offset0:7 offset1:8
	v_add_u32_e32 v2, 8, v73
	v_cmp_ne_u32_e32 vcc, 0, v63
	v_mov_b64_e32 v[26:27], 0
	s_mov_b64 s[26:27], 0
	v_cndmask_b32_e64 v25, 0, 1, vcc
	v_cmp_gt_u32_e32 vcc, s3, v2
	s_waitcnt lgkmcnt(0)
	v_mov_b32_e32 v24, v64
	v_mov_b64_e32 v[28:29], v[26:27]
	v_mov_b64_e32 v[30:31], v[26:27]
	v_mov_b64_e32 v[32:33], v[26:27]
	v_mov_b64_e32 v[34:35], v[26:27]
	v_mov_b64_e32 v[36:37], v[26:27]
	v_mov_b64_e32 v[38:39], v[26:27]
	v_mov_b64_e32 v[40:41], v[26:27]
	v_mov_b64_e32 v[42:43], v[26:27]
	v_mov_b64_e32 v[44:45], v[26:27]
	v_mov_b64_e32 v[46:47], v[26:27]
	v_mov_b64_e32 v[48:49], v[26:27]
	v_mov_b64_e32 v[50:51], v[26:27]
	v_mov_b64_e32 v[52:53], v[26:27]
                                        ; implicit-def: $vgpr3
	s_and_saveexec_b64 s[22:23], vcc
	s_cbranch_execz .LBB769_172
; %bb.145:
	v_add_u32_e32 v2, 9, v73
	v_cmp_ne_u32_e32 vcc, 0, v60
	v_mov_b64_e32 v[28:29], 0
	v_mov_b32_e32 v26, v65
	v_cndmask_b32_e64 v27, 0, 1, vcc
	v_cmp_gt_u32_e32 vcc, s3, v2
	s_mov_b64 s[28:29], 0
	v_mov_b64_e32 v[30:31], v[28:29]
	v_mov_b64_e32 v[32:33], v[28:29]
	;; [unrolled: 1-line block ×12, first 2 shown]
                                        ; implicit-def: $vgpr3
	s_and_saveexec_b64 s[24:25], vcc
	s_cbranch_execz .LBB769_171
; %bb.146:
	ds_read2_b32 v[62:63], v72 offset0:9 offset1:10
	v_add_u32_e32 v2, 10, v73
	v_cmp_ne_u32_e32 vcc, 0, v61
	v_mov_b64_e32 v[30:31], 0
	s_mov_b64 s[30:31], 0
	v_cndmask_b32_e64 v29, 0, 1, vcc
	v_cmp_gt_u32_e32 vcc, s3, v2
	s_waitcnt lgkmcnt(0)
	v_mov_b32_e32 v28, v62
	v_mov_b64_e32 v[32:33], v[30:31]
	v_mov_b64_e32 v[34:35], v[30:31]
	;; [unrolled: 1-line block ×11, first 2 shown]
                                        ; implicit-def: $vgpr3
	s_and_saveexec_b64 s[26:27], vcc
	s_cbranch_execz .LBB769_170
; %bb.147:
	v_add_u32_e32 v2, 11, v73
	v_cmp_ne_u32_e32 vcc, 0, v58
	v_mov_b64_e32 v[32:33], 0
	v_mov_b32_e32 v30, v63
	v_cndmask_b32_e64 v31, 0, 1, vcc
	v_cmp_gt_u32_e32 vcc, s3, v2
	s_mov_b64 s[34:35], 0
	v_mov_b64_e32 v[34:35], v[32:33]
	v_mov_b64_e32 v[36:37], v[32:33]
	;; [unrolled: 1-line block ×10, first 2 shown]
                                        ; implicit-def: $vgpr3
	s_and_saveexec_b64 s[28:29], vcc
	s_cbranch_execz .LBB769_169
; %bb.148:
	ds_read2_b32 v[60:61], v72 offset0:11 offset1:12
	v_add_u32_e32 v2, 12, v73
	v_cmp_ne_u32_e32 vcc, 0, v59
	v_mov_b64_e32 v[34:35], 0
	s_mov_b64 s[36:37], 0
	v_cndmask_b32_e64 v33, 0, 1, vcc
	v_cmp_gt_u32_e32 vcc, s3, v2
	s_waitcnt lgkmcnt(0)
	v_mov_b32_e32 v32, v60
	v_mov_b64_e32 v[36:37], v[34:35]
	v_mov_b64_e32 v[38:39], v[34:35]
	;; [unrolled: 1-line block ×9, first 2 shown]
                                        ; implicit-def: $vgpr3
	s_and_saveexec_b64 s[30:31], vcc
	s_cbranch_execz .LBB769_168
; %bb.149:
	v_add_u32_e32 v2, 13, v73
	v_cmp_ne_u32_e32 vcc, 0, v56
	v_mov_b64_e32 v[36:37], 0
	v_mov_b32_e32 v34, v61
	v_cndmask_b32_e64 v35, 0, 1, vcc
	v_cmp_gt_u32_e32 vcc, s3, v2
	s_mov_b64 s[38:39], 0
	v_mov_b64_e32 v[38:39], v[36:37]
	v_mov_b64_e32 v[40:41], v[36:37]
	;; [unrolled: 1-line block ×8, first 2 shown]
                                        ; implicit-def: $vgpr3
	s_and_saveexec_b64 s[34:35], vcc
	s_cbranch_execz .LBB769_167
; %bb.150:
	ds_read2_b32 v[58:59], v72 offset0:13 offset1:14
	v_add_u32_e32 v2, 14, v73
	v_cmp_ne_u32_e32 vcc, 0, v57
	v_mov_b64_e32 v[38:39], 0
	s_mov_b64 s[40:41], 0
	v_cndmask_b32_e64 v37, 0, 1, vcc
	v_cmp_gt_u32_e32 vcc, s3, v2
	s_waitcnt lgkmcnt(0)
	v_mov_b32_e32 v36, v58
	v_mov_b64_e32 v[40:41], v[38:39]
	v_mov_b64_e32 v[42:43], v[38:39]
	;; [unrolled: 1-line block ×7, first 2 shown]
                                        ; implicit-def: $vgpr3
	s_and_saveexec_b64 s[36:37], vcc
	s_cbranch_execz .LBB769_166
; %bb.151:
	v_add_u32_e32 v2, 15, v73
	v_cmp_ne_u32_e32 vcc, 0, v54
	v_mov_b64_e32 v[40:41], 0
	v_mov_b32_e32 v38, v59
	v_cndmask_b32_e64 v39, 0, 1, vcc
	v_cmp_gt_u32_e32 vcc, s3, v2
	s_mov_b64 s[42:43], 0
	v_mov_b64_e32 v[42:43], v[40:41]
	v_mov_b64_e32 v[44:45], v[40:41]
	;; [unrolled: 1-line block ×6, first 2 shown]
                                        ; implicit-def: $vgpr3
	s_and_saveexec_b64 s[38:39], vcc
	s_cbranch_execz .LBB769_165
; %bb.152:
	ds_read2_b32 v[56:57], v72 offset0:15 offset1:16
	v_add_u32_e32 v2, 16, v73
	v_cmp_ne_u32_e32 vcc, 0, v55
	v_mov_b64_e32 v[42:43], 0
	s_mov_b64 s[44:45], 0
	v_cndmask_b32_e64 v41, 0, 1, vcc
	v_cmp_gt_u32_e32 vcc, s3, v2
	s_waitcnt lgkmcnt(0)
	v_mov_b32_e32 v40, v56
	v_mov_b64_e32 v[44:45], v[42:43]
	v_mov_b64_e32 v[46:47], v[42:43]
	;; [unrolled: 1-line block ×5, first 2 shown]
                                        ; implicit-def: $vgpr3
	s_and_saveexec_b64 s[40:41], vcc
	s_cbranch_execz .LBB769_164
; %bb.153:
	v_add_u32_e32 v2, 17, v73
	v_cmp_ne_u32_e32 vcc, 0, v8
	v_mov_b64_e32 v[44:45], 0
	v_mov_b32_e32 v42, v57
	v_cndmask_b32_e64 v43, 0, 1, vcc
	v_cmp_gt_u32_e32 vcc, s3, v2
	s_mov_b64 s[46:47], 0
	v_mov_b64_e32 v[46:47], v[44:45]
	v_mov_b64_e32 v[48:49], v[44:45]
	;; [unrolled: 1-line block ×4, first 2 shown]
                                        ; implicit-def: $vgpr3
	s_and_saveexec_b64 s[42:43], vcc
	s_cbranch_execz .LBB769_163
; %bb.154:
	ds_read2_b32 v[54:55], v72 offset0:17 offset1:18
	v_add_u32_e32 v2, 18, v73
	v_cmp_ne_u32_e32 vcc, 0, v9
	v_mov_b64_e32 v[46:47], 0
	s_mov_b64 s[48:49], 0
	v_cndmask_b32_e64 v45, 0, 1, vcc
	v_cmp_gt_u32_e32 vcc, s3, v2
	s_waitcnt lgkmcnt(0)
	v_mov_b32_e32 v44, v54
	v_mov_b64_e32 v[48:49], v[46:47]
	v_mov_b64_e32 v[50:51], v[46:47]
	;; [unrolled: 1-line block ×3, first 2 shown]
                                        ; implicit-def: $vgpr3
	s_and_saveexec_b64 s[44:45], vcc
	s_cbranch_execz .LBB769_162
; %bb.155:
	v_add_u32_e32 v2, 19, v73
	v_cmp_ne_u32_e32 vcc, 0, v6
	v_mov_b64_e32 v[48:49], 0
	v_mov_b32_e32 v46, v55
	v_cndmask_b32_e64 v47, 0, 1, vcc
	v_cmp_gt_u32_e32 vcc, s3, v2
	s_mov_b64 s[54:55], 0
	v_mov_b64_e32 v[50:51], v[48:49]
	v_mov_b64_e32 v[52:53], v[48:49]
                                        ; implicit-def: $vgpr3
	s_and_saveexec_b64 s[46:47], vcc
	s_cbranch_execz .LBB769_161
; %bb.156:
	ds_read2_b32 v[8:9], v72 offset0:19 offset1:20
	v_add_u32_e32 v2, 20, v73
	v_cmp_ne_u32_e32 vcc, 0, v7
	v_mov_b64_e32 v[50:51], 0
	s_mov_b64 s[64:65], 0
	v_cndmask_b32_e64 v49, 0, 1, vcc
	v_cmp_gt_u32_e32 vcc, s3, v2
	s_waitcnt lgkmcnt(0)
	v_mov_b32_e32 v48, v8
	v_mov_b64_e32 v[52:53], v[50:51]
                                        ; implicit-def: $vgpr3
	s_and_saveexec_b64 s[48:49], vcc
	s_cbranch_execz .LBB769_160
; %bb.157:
	v_add_u32_e32 v2, 21, v73
	v_cmp_ne_u32_e32 vcc, 0, v4
	v_mov_b32_e32 v50, v9
	v_mov_b64_e32 v[52:53], 0
	v_cndmask_b32_e64 v51, 0, 1, vcc
	v_cmp_gt_u32_e32 vcc, s3, v2
                                        ; implicit-def: $vgpr3
	s_and_saveexec_b64 s[54:55], vcc
	s_xor_b64 s[54:55], exec, s[54:55]
	s_cbranch_execz .LBB769_159
; %bb.158:
	ds_read2_b32 v[2:3], v72 offset0:21 offset1:22
	v_add_u32_e32 v4, 22, v73
	v_cmp_ne_u32_e32 vcc, 0, v5
	s_waitcnt lgkmcnt(0)
	v_mov_b32_e32 v52, v2
	v_cndmask_b32_e64 v53, 0, 1, vcc
	v_cmp_gt_u32_e32 vcc, s3, v4
	s_and_b64 s[64:65], vcc, exec
.LBB769_159:
	s_or_b64 exec, exec, s[54:55]
	s_and_b64 s[54:55], s[64:65], exec
.LBB769_160:
	s_or_b64 exec, exec, s[48:49]
	s_and_b64 s[48:49], s[54:55], exec
.LBB769_161:
	s_or_b64 exec, exec, s[46:47]
	s_and_b64 s[46:47], s[48:49], exec
.LBB769_162:
	s_or_b64 exec, exec, s[44:45]
	s_and_b64 s[44:45], s[46:47], exec
.LBB769_163:
	s_or_b64 exec, exec, s[42:43]
	s_and_b64 s[42:43], s[44:45], exec
.LBB769_164:
	s_or_b64 exec, exec, s[40:41]
	s_and_b64 s[40:41], s[42:43], exec
.LBB769_165:
	s_or_b64 exec, exec, s[38:39]
	s_and_b64 s[38:39], s[40:41], exec
.LBB769_166:
	s_or_b64 exec, exec, s[36:37]
	s_and_b64 s[36:37], s[38:39], exec
.LBB769_167:
	s_or_b64 exec, exec, s[34:35]
	s_and_b64 s[34:35], s[36:37], exec
.LBB769_168:
	s_or_b64 exec, exec, s[30:31]
	s_and_b64 s[30:31], s[34:35], exec
.LBB769_169:
	s_or_b64 exec, exec, s[28:29]
	s_and_b64 s[28:29], s[30:31], exec
.LBB769_170:
	s_or_b64 exec, exec, s[26:27]
	s_and_b64 s[26:27], s[28:29], exec
.LBB769_171:
	s_or_b64 exec, exec, s[24:25]
	s_and_b64 s[24:25], s[26:27], exec
.LBB769_172:
	s_or_b64 exec, exec, s[22:23]
	s_and_b64 s[22:23], s[24:25], exec
.LBB769_173:
	s_or_b64 exec, exec, s[20:21]
	s_and_b64 s[20:21], s[22:23], exec
.LBB769_174:
	s_or_b64 exec, exec, s[18:19]
	s_and_b64 s[18:19], s[20:21], exec
.LBB769_175:
	s_or_b64 exec, exec, s[16:17]
	s_and_b64 s[16:17], s[18:19], exec
.LBB769_176:
	s_or_b64 exec, exec, s[14:15]
	s_and_b64 s[14:15], s[16:17], exec
.LBB769_177:
	s_or_b64 exec, exec, s[12:13]
	s_and_b64 s[12:13], s[14:15], exec
.LBB769_178:
	s_or_b64 exec, exec, s[10:11]
	s_and_b64 s[10:11], s[12:13], exec
.LBB769_179:
	s_or_b64 exec, exec, s[8:9]
	s_and_b64 s[8:9], s[10:11], exec
.LBB769_180:
	s_or_b64 exec, exec, s[6:7]
	s_mov_b64 s[6:7], 0
	s_and_b64 vcc, exec, s[4:5]
	v_lshlrev_b32_e32 v54, 2, v0
	s_cbranch_vccnz .LBB769_70
	s_branch .LBB769_71
.LBB769_181:
                                        ; implicit-def: $vgpr78
                                        ; implicit-def: $vgpr77
                                        ; implicit-def: $vgpr76
                                        ; implicit-def: $vgpr75
                                        ; implicit-def: $vgpr74
                                        ; implicit-def: $vgpr73
                                        ; implicit-def: $vgpr72
                                        ; implicit-def: $vgpr71
                                        ; implicit-def: $vgpr70
                                        ; implicit-def: $vgpr69
                                        ; implicit-def: $vgpr68
                                        ; implicit-def: $vgpr67
                                        ; implicit-def: $vgpr66
                                        ; implicit-def: $vgpr65
                                        ; implicit-def: $vgpr64
                                        ; implicit-def: $vgpr63
                                        ; implicit-def: $vgpr62
                                        ; implicit-def: $vgpr61
                                        ; implicit-def: $vgpr60
                                        ; implicit-def: $vgpr59
                                        ; implicit-def: $vgpr58
                                        ; implicit-def: $vgpr80
                                        ; implicit-def: $vgpr79
	s_cbranch_execz .LBB769_201
; %bb.182:
	s_cmp_lg_u64 s[70:71], 0
	s_cselect_b32 s5, s67, 0
	s_cselect_b32 s4, s66, 0
	s_cmp_lg_u64 s[4:5], 0
	s_cselect_b64 s[6:7], -1, 0
	v_cmp_eq_u32_e32 vcc, 0, v0
	s_mov_b32 s48, 0
	v_cmp_ne_u32_e64 s[2:3], 0, v0
	s_and_b64 s[8:9], vcc, s[6:7]
	s_and_saveexec_b64 s[6:7], s[8:9]
	s_cbranch_execz .LBB769_184
; %bb.183:
	v_mov_b32_e32 v2, 0
	global_load_dword v4, v2, s[4:5]
	global_load_ubyte v5, v2, s[4:5] offset:4
	s_mov_b32 s49, 1
	v_and_b32_e32 v3, 1, v11
	v_cmp_gt_u64_e64 s[4:5], s[48:49], v[10:11]
	s_waitcnt vmcnt(0)
	v_and_b32_e32 v5, 1, v5
	v_cndmask_b32_e64 v4, 0, v4, s[4:5]
	v_cmp_eq_u64_e64 s[4:5], 0, v[2:3]
	v_add_u32_e32 v10, v4, v10
	s_nop 0
	v_cndmask_b32_e64 v11, 1, v5, s[4:5]
.LBB769_184:
	s_or_b64 exec, exec, s[6:7]
	s_mov_b32 s49, 1
	v_cmp_gt_u64_e64 s[4:5], s[48:49], v[12:13]
	v_cmp_gt_u64_e64 s[6:7], s[48:49], v[14:15]
	v_cmp_gt_u64_e64 s[8:9], s[48:49], v[16:17]
	v_cndmask_b32_e64 v2, 0, v10, s[4:5]
	v_add_u32_e32 v58, v2, v12
	v_cndmask_b32_e64 v2, 0, v58, s[6:7]
	v_add_u32_e32 v59, v2, v14
	v_cndmask_b32_e64 v2, 0, v59, s[8:9]
	v_add_u32_e32 v60, v2, v16
	v_cmp_gt_u64_e64 s[10:11], s[48:49], v[18:19]
	v_cmp_gt_u64_e64 s[12:13], s[48:49], v[20:21]
	v_cmp_gt_u64_e64 s[14:15], s[48:49], v[22:23]
	v_cndmask_b32_e64 v2, 0, v60, s[10:11]
	v_add_u32_e32 v61, v2, v18
	v_cndmask_b32_e64 v2, 0, v61, s[12:13]
	v_add_u32_e32 v62, v2, v20
	v_cndmask_b32_e64 v2, 0, v62, s[14:15]
	v_add_u32_e32 v63, v2, v22
	;; [unrolled: 9-line block ×7, first 2 shown]
	v_cmp_gt_u64_e64 s[48:49], s[48:49], v[56:57]
	v_add_lshl_u32 v1, v1, v0, 3
	s_nop 0
	v_cndmask_b32_e64 v2, 0, v78, s[48:49]
	v_add_u32_e32 v79, v2, v56
	v_or3_b32 v2, v55, v51, v49
	v_or3_b32 v2, v2, v47, v45
	;; [unrolled: 1-line block ×10, first 2 shown]
	v_and_b32_e32 v2, 1, v2
	v_cmp_eq_u32_e64 s[50:51], 1, v2
	s_nop 1
	v_cndmask_b32_e64 v4, v11, 1, s[50:51]
	v_cmp_gt_u32_e64 s[50:51], 64, v0
	ds_write_b32 v1, v79
	ds_write_b8 v1, v4 offset:4
	s_waitcnt lgkmcnt(0)
	s_barrier
	s_and_saveexec_b64 s[52:53], s[50:51]
	s_cbranch_execz .LBB769_196
; %bb.185:
	v_lshrrev_b32_e32 v1, 3, v0
	v_add_lshl_u32 v1, v1, v54, 3
	ds_read2_b32 v[6:7], v1 offset0:2 offset1:4
	ds_read_b64 v[2:3], v1
	ds_read_u8 v8, v1 offset:12
	ds_read_u8 v9, v1 offset:20
	ds_read_b32 v13, v1 offset:24
	ds_read_u8 v15, v1 offset:28
	v_mov_b32_e32 v17, 0
	s_waitcnt lgkmcnt(3)
	v_cmp_eq_u16_sdwa s[50:51], v8, v17 src0_sel:BYTE_0 src1_sel:DWORD
	v_and_b32_e32 v5, 1, v3
	s_nop 0
	v_cndmask_b32_e64 v19, 0, v2, s[50:51]
	v_add_u32_e32 v6, v19, v6
	s_waitcnt lgkmcnt(2)
	v_cmp_eq_u16_sdwa s[50:51], v9, v17 src0_sel:BYTE_0 src1_sel:DWORD
	s_nop 1
	v_cndmask_b32_e64 v6, 0, v6, s[50:51]
	v_add_u32_e32 v6, v6, v7
	s_waitcnt lgkmcnt(0)
	v_cmp_eq_u16_e64 s[50:51], 0, v15
	s_nop 1
	v_cndmask_b32_e64 v6, 0, v6, s[50:51]
	v_add_u32_e32 v7, v6, v13
	v_or_b32_e32 v6, v15, v9
	v_or_b32_e32 v6, v6, v8
	v_and_b32_e32 v6, 1, v6
	v_cmp_eq_u32_e64 s[50:51], 1, v6
	v_mbcnt_lo_u32_b32 v8, -1, 0
	v_and_b32_e32 v6, 0xffffff00, v3
	v_cndmask_b32_e64 v9, v5, 1, s[50:51]
	v_mbcnt_hi_u32_b32 v8, -1, v8
	v_and_b32_e32 v15, 15, v8
	v_or_b32_sdwa v13, v6, v9 dst_sel:DWORD dst_unused:UNUSED_PAD src0_sel:DWORD src1_sel:WORD_0
	v_mov_b32_dpp v17, v7 row_shr:1 row_mask:0xf bank_mask:0xf
	v_cmp_ne_u32_e64 s[50:51], 0, v15
	v_mov_b32_dpp v19, v13 row_shr:1 row_mask:0xf bank_mask:0xf
	s_and_saveexec_b64 s[54:55], s[50:51]
; %bb.186:
	v_and_b32_e32 v13, 1, v9
	v_and_b32_e32 v19, 1, v19
	v_cmp_eq_u32_e64 s[50:51], 1, v13
	s_nop 1
	v_cndmask_b32_e64 v19, v19, 1, s[50:51]
	v_cmp_eq_u16_e64 s[50:51], 0, v9
	v_or_b32_sdwa v13, v6, v19 dst_sel:DWORD dst_unused:UNUSED_PAD src0_sel:DWORD src1_sel:WORD_0
	s_nop 0
	v_cndmask_b32_e64 v9, 0, v17, s[50:51]
	v_add_u32_e32 v7, v9, v7
	v_mov_b32_e32 v9, v19
; %bb.187:
	s_or_b64 exec, exec, s[54:55]
	v_mov_b32_dpp v17, v7 row_shr:2 row_mask:0xf bank_mask:0xf
	v_mov_b32_dpp v19, v13 row_shr:2 row_mask:0xf bank_mask:0xf
	v_cmp_lt_u32_e64 s[50:51], 1, v15
	s_and_saveexec_b64 s[54:55], s[50:51]
; %bb.188:
	v_and_b32_e32 v13, 1, v9
	v_and_b32_e32 v19, 1, v19
	v_cmp_eq_u32_e64 s[50:51], 1, v13
	s_nop 1
	v_cndmask_b32_e64 v19, v19, 1, s[50:51]
	v_cmp_eq_u16_e64 s[50:51], 0, v9
	v_or_b32_sdwa v13, v6, v19 dst_sel:DWORD dst_unused:UNUSED_PAD src0_sel:DWORD src1_sel:WORD_0
	s_nop 0
	v_cndmask_b32_e64 v9, 0, v17, s[50:51]
	v_add_u32_e32 v7, v9, v7
	v_mov_b32_e32 v9, v19
; %bb.189:
	s_or_b64 exec, exec, s[54:55]
	v_mov_b32_dpp v17, v7 row_shr:4 row_mask:0xf bank_mask:0xf
	v_mov_b32_dpp v19, v13 row_shr:4 row_mask:0xf bank_mask:0xf
	v_cmp_lt_u32_e64 s[50:51], 3, v15
	;; [unrolled: 18-line block ×3, first 2 shown]
	s_and_saveexec_b64 s[54:55], s[50:51]
; %bb.192:
	v_and_b32_e32 v13, 1, v9
	v_and_b32_e32 v15, 1, v19
	v_cmp_eq_u32_e64 s[50:51], 1, v13
	s_nop 1
	v_cndmask_b32_e64 v15, v15, 1, s[50:51]
	v_cmp_eq_u16_e64 s[50:51], 0, v9
	v_or_b32_sdwa v13, v6, v15 dst_sel:DWORD dst_unused:UNUSED_PAD src0_sel:DWORD src1_sel:WORD_0
	s_nop 0
	v_cndmask_b32_e64 v9, 0, v17, s[50:51]
	v_add_u32_e32 v7, v9, v7
	v_mov_b32_e32 v9, v15
; %bb.193:
	s_or_b64 exec, exec, s[54:55]
	v_and_b32_e32 v19, 16, v8
	v_mov_b32_dpp v15, v7 row_bcast:15 row_mask:0xf bank_mask:0xf
	v_mov_b32_dpp v17, v13 row_bcast:15 row_mask:0xf bank_mask:0xf
	v_cmp_ne_u32_e64 s[50:51], 0, v19
	s_and_saveexec_b64 s[54:55], s[50:51]
; %bb.194:
	v_and_b32_e32 v13, 1, v9
	v_and_b32_e32 v17, 1, v17
	v_cmp_eq_u32_e64 s[50:51], 1, v13
	s_nop 1
	v_cndmask_b32_e64 v17, v17, 1, s[50:51]
	v_cmp_eq_u16_e64 s[50:51], 0, v9
	v_or_b32_sdwa v13, v6, v17 dst_sel:DWORD dst_unused:UNUSED_PAD src0_sel:DWORD src1_sel:WORD_0
	s_nop 0
	v_cndmask_b32_e64 v9, 0, v15, s[50:51]
	v_add_u32_e32 v7, v9, v7
	v_mov_b32_e32 v9, v17
; %bb.195:
	s_or_b64 exec, exec, s[54:55]
	v_mov_b32_dpp v13, v13 row_bcast:31 row_mask:0xf bank_mask:0xf
	v_and_b32_e32 v17, 1, v9
	v_and_b32_e32 v13, 1, v13
	v_cmp_eq_u32_e64 s[50:51], 1, v17
	v_mov_b32_e32 v17, 0
	v_cmp_eq_u16_sdwa s[54:55], v9, v17 src0_sel:BYTE_0 src1_sel:DWORD
	v_cndmask_b32_e64 v13, v13, 1, s[50:51]
	v_cmp_lt_u32_e64 s[50:51], 31, v8
	v_mov_b32_dpp v15, v7 row_bcast:31 row_mask:0xf bank_mask:0xf
	s_movk_i32 s63, 0xff
	v_cndmask_b32_e64 v9, v9, v13, s[50:51]
	s_and_b64 s[50:51], s[50:51], s[54:55]
	v_cndmask_b32_e64 v13, 0, v15, s[50:51]
	v_add_u32_e32 v7, v13, v7
	v_add_u32_e32 v13, -1, v8
	v_and_b32_e32 v15, 64, v8
	v_cmp_lt_i32_e64 s[50:51], v13, v15
	v_and_or_b32 v6, v9, s63, v6
	s_nop 0
	v_cndmask_b32_e64 v8, v13, v8, s[50:51]
	v_lshlrev_b32_e32 v8, 2, v8
	ds_bpermute_b32 v7, v8, v7
	ds_bpermute_b32 v6, v8, v6
	v_cmp_eq_u16_sdwa s[50:51], v3, v17 src0_sel:BYTE_0 src1_sel:DWORD
	; wave barrier
	s_waitcnt lgkmcnt(1)
	s_nop 0
	v_cndmask_b32_e64 v3, 0, v7, s[50:51]
	v_add_u32_e32 v2, v3, v2
	s_waitcnt lgkmcnt(0)
	v_and_b32_e32 v3, 1, v6
	v_cmp_eq_u32_e64 s[50:51], 1, v5
	v_cndmask_b32_e32 v5, v2, v79, vcc
	s_nop 0
	v_cndmask_b32_e64 v3, v3, 1, s[50:51]
	v_cndmask_b32_e32 v4, v3, v4, vcc
	ds_write_b32 v1, v5
	ds_write_b8 v1, v4 offset:4
	; wave barrier
	ds_read_u8 v6, v1 offset:12
	ds_read2_b32 v[2:3], v1 offset0:2 offset1:4
	ds_read_u8 v7, v1 offset:20
	ds_read_b32 v8, v1 offset:24
	ds_read_u8 v9, v1 offset:28
	s_waitcnt lgkmcnt(4)
	v_cmp_eq_u16_e64 s[50:51], 0, v6
	s_nop 1
	v_cndmask_b32_e64 v5, 0, v5, s[50:51]
	s_waitcnt lgkmcnt(3)
	v_add_u32_e32 v2, v5, v2
	v_and_b32_e32 v5, 1, v6
	v_cmp_eq_u32_e64 s[50:51], 1, v5
	s_nop 1
	v_cndmask_b32_e64 v4, v4, 1, s[50:51]
	s_waitcnt lgkmcnt(2)
	v_cmp_eq_u16_e64 s[50:51], 0, v7
	ds_write_b8 v1, v4 offset:12
	s_nop 0
	v_cndmask_b32_e64 v5, 0, v2, s[50:51]
	v_add_u32_e32 v3, v5, v3
	v_and_b32_e32 v5, 1, v7
	v_cmp_eq_u32_e64 s[50:51], 1, v5
	s_nop 1
	v_cndmask_b32_e64 v4, v4, 1, s[50:51]
	s_waitcnt lgkmcnt(1)
	v_cmp_eq_u16_e64 s[50:51], 0, v9
	ds_write2_b32 v1, v2, v3 offset0:2 offset1:4
	ds_write_b8 v1, v4 offset:20
	v_cndmask_b32_e64 v2, 0, v3, s[50:51]
	v_and_b32_e32 v3, 1, v9
	v_add_u32_e32 v2, v2, v8
	v_cmp_eq_u32_e64 s[50:51], 1, v3
	s_nop 1
	v_cndmask_b32_e64 v3, v4, 1, s[50:51]
	ds_write_b32 v1, v2 offset:24
	ds_write_b8 v1, v3 offset:28
.LBB769_196:
	s_or_b64 exec, exec, s[52:53]
	v_mov_b32_e32 v1, v79
	s_waitcnt lgkmcnt(0)
	s_barrier
	s_and_saveexec_b64 s[50:51], s[2:3]
	s_cbranch_execz .LBB769_247
; %bb.197:
	v_add_u32_e32 v1, -1, v0
	v_lshrrev_b32_e32 v2, 5, v1
	v_add_lshl_u32 v1, v2, v1, 3
	ds_read_b32 v1, v1
	s_or_b64 exec, exec, s[50:51]
	s_and_saveexec_b64 s[50:51], s[2:3]
	s_cbranch_execnz .LBB769_248
.LBB769_198:
	s_or_b64 exec, exec, s[50:51]
	s_and_saveexec_b64 s[2:3], vcc
	s_cbranch_execz .LBB769_200
.LBB769_199:
	v_mov_b32_e32 v5, 0
	ds_read_b32 v2, v5 offset:2096
	ds_read_u8 v3, v5 offset:2100
	s_add_u32 s4, s60, 0x400
	s_addc_u32 s5, s61, 0
	v_mov_b32_e32 v4, 2
	v_mov_b64_e32 v[6:7], s[4:5]
	s_waitcnt lgkmcnt(0)
	;;#ASMSTART
	global_store_dwordx4 v[6:7], v[2:5] off sc1	
s_waitcnt vmcnt(0)
	;;#ASMEND
.LBB769_200:
	s_or_b64 exec, exec, s[2:3]
	v_mov_b32_e32 v80, v10
.LBB769_201:
	s_add_u32 s2, s58, s68
	s_addc_u32 s3, s59, s69
	s_add_u32 s2, s2, s56
	s_addc_u32 s3, s3, s57
	s_and_b64 vcc, exec, s[0:1]
	s_cbranch_vccz .LBB769_249
; %bb.202:
	s_movk_i32 s0, 0x5c
	v_mul_i32_i24_e32 v26, 0xffffffa8, v0
	s_waitcnt lgkmcnt(0)
	v_mul_u32_u24_e32 v1, 0x5c, v0
	v_mad_u32_u24 v2, v0, s0, v26
	s_barrier
	ds_write2_b32 v1, v80, v58 offset1:1
	ds_write2_b32 v1, v59, v60 offset0:2 offset1:3
	ds_write2_b32 v1, v61, v62 offset0:4 offset1:5
	;; [unrolled: 1-line block ×10, first 2 shown]
	ds_write_b32 v1, v79 offset:88
	s_waitcnt lgkmcnt(0)
	s_barrier
	ds_read2st64_b32 v[24:25], v2 offset0:4 offset1:8
	ds_read2st64_b32 v[22:23], v2 offset0:12 offset1:16
	;; [unrolled: 1-line block ×11, first 2 shown]
	s_add_i32 s33, s33, s62
	v_mov_b32_e32 v55, 0
	v_lshl_add_u64 v[4:5], s[2:3], 0, v[54:55]
	v_cmp_gt_u32_e32 vcc, s33, v0
	s_and_saveexec_b64 s[0:1], vcc
	s_cbranch_execz .LBB769_204
; %bb.203:
	v_add_u32_e32 v1, v1, v26
	ds_read_b32 v1, v1
	s_waitcnt lgkmcnt(0)
	flat_store_dword v[4:5], v1
.LBB769_204:
	s_or_b64 exec, exec, s[0:1]
	v_or_b32_e32 v1, 0x100, v0
	v_cmp_gt_u32_e32 vcc, s33, v1
	s_and_saveexec_b64 s[0:1], vcc
	s_cbranch_execz .LBB769_206
; %bb.205:
	s_waitcnt lgkmcnt(0)
	flat_store_dword v[4:5], v24 offset:1024
.LBB769_206:
	s_or_b64 exec, exec, s[0:1]
	v_or_b32_e32 v1, 0x200, v0
	v_cmp_gt_u32_e32 vcc, s33, v1
	s_and_saveexec_b64 s[0:1], vcc
	s_cbranch_execz .LBB769_208
; %bb.207:
	s_waitcnt lgkmcnt(0)
	flat_store_dword v[4:5], v25 offset:2048
.LBB769_208:
	;; [unrolled: 9-line block ×3, first 2 shown]
	s_or_b64 exec, exec, s[0:1]
	v_or_b32_e32 v1, 0x400, v0
	v_cmp_gt_u32_e32 vcc, s33, v1
	s_and_saveexec_b64 s[0:1], vcc
	s_cbranch_execz .LBB769_212
; %bb.211:
	s_waitcnt lgkmcnt(0)
	v_add_co_u32_e32 v24, vcc, 0x1000, v4
	s_nop 1
	v_addc_co_u32_e32 v25, vcc, 0, v5, vcc
	flat_store_dword v[24:25], v23
.LBB769_212:
	s_or_b64 exec, exec, s[0:1]
	v_or_b32_e32 v1, 0x500, v0
	v_cmp_gt_u32_e32 vcc, s33, v1
	s_and_saveexec_b64 s[0:1], vcc
	s_cbranch_execz .LBB769_214
; %bb.213:
	s_waitcnt lgkmcnt(0)
	v_add_co_u32_e32 v22, vcc, 0x1000, v4
	s_nop 1
	v_addc_co_u32_e32 v23, vcc, 0, v5, vcc
	flat_store_dword v[22:23], v20 offset:1024
.LBB769_214:
	s_or_b64 exec, exec, s[0:1]
	v_or_b32_e32 v1, 0x600, v0
	v_cmp_gt_u32_e32 vcc, s33, v1
	s_and_saveexec_b64 s[0:1], vcc
	s_cbranch_execz .LBB769_216
; %bb.215:
	s_waitcnt lgkmcnt(0)
	v_add_co_u32_e32 v22, vcc, 0x1000, v4
	s_nop 1
	v_addc_co_u32_e32 v23, vcc, 0, v5, vcc
	flat_store_dword v[22:23], v21 offset:2048
.LBB769_216:
	s_or_b64 exec, exec, s[0:1]
	v_or_b32_e32 v1, 0x700, v0
	v_cmp_gt_u32_e32 vcc, s33, v1
	s_and_saveexec_b64 s[0:1], vcc
	s_cbranch_execz .LBB769_218
; %bb.217:
	s_waitcnt lgkmcnt(0)
	v_add_co_u32_e32 v20, vcc, 0x1000, v4
	s_nop 1
	v_addc_co_u32_e32 v21, vcc, 0, v5, vcc
	flat_store_dword v[20:21], v18 offset:3072
.LBB769_218:
	s_or_b64 exec, exec, s[0:1]
	v_or_b32_e32 v1, 0x800, v0
	v_cmp_gt_u32_e32 vcc, s33, v1
	s_and_saveexec_b64 s[0:1], vcc
	s_cbranch_execz .LBB769_220
; %bb.219:
	s_waitcnt lgkmcnt(0)
	v_add_co_u32_e32 v20, vcc, 0x2000, v4
	s_nop 1
	v_addc_co_u32_e32 v21, vcc, 0, v5, vcc
	flat_store_dword v[20:21], v19
.LBB769_220:
	s_or_b64 exec, exec, s[0:1]
	v_or_b32_e32 v1, 0x900, v0
	v_cmp_gt_u32_e32 vcc, s33, v1
	s_and_saveexec_b64 s[0:1], vcc
	s_cbranch_execz .LBB769_222
; %bb.221:
	s_waitcnt lgkmcnt(0)
	v_add_co_u32_e32 v18, vcc, 0x2000, v4
	s_nop 1
	v_addc_co_u32_e32 v19, vcc, 0, v5, vcc
	flat_store_dword v[18:19], v16 offset:1024
.LBB769_222:
	s_or_b64 exec, exec, s[0:1]
	v_or_b32_e32 v1, 0xa00, v0
	v_cmp_gt_u32_e32 vcc, s33, v1
	s_and_saveexec_b64 s[0:1], vcc
	s_cbranch_execz .LBB769_224
; %bb.223:
	s_waitcnt lgkmcnt(0)
	v_add_co_u32_e32 v18, vcc, 0x2000, v4
	s_nop 1
	v_addc_co_u32_e32 v19, vcc, 0, v5, vcc
	flat_store_dword v[18:19], v17 offset:2048
.LBB769_224:
	s_or_b64 exec, exec, s[0:1]
	v_or_b32_e32 v1, 0xb00, v0
	v_cmp_gt_u32_e32 vcc, s33, v1
	s_and_saveexec_b64 s[0:1], vcc
	s_cbranch_execz .LBB769_226
; %bb.225:
	s_waitcnt lgkmcnt(0)
	v_add_co_u32_e32 v16, vcc, 0x2000, v4
	s_nop 1
	v_addc_co_u32_e32 v17, vcc, 0, v5, vcc
	flat_store_dword v[16:17], v14 offset:3072
.LBB769_226:
	;; [unrolled: 48-line block ×4, first 2 shown]
	s_or_b64 exec, exec, s[0:1]
	v_or_b32_e32 v1, 0x1400, v0
	v_cmp_gt_u32_e32 vcc, s33, v1
	s_and_saveexec_b64 s[0:1], vcc
	s_cbranch_execz .LBB769_244
; %bb.243:
	s_waitcnt lgkmcnt(0)
	v_add_co_u32_e32 v8, vcc, 0x5000, v4
	s_nop 1
	v_addc_co_u32_e32 v9, vcc, 0, v5, vcc
	flat_store_dword v[8:9], v7
.LBB769_244:
	s_or_b64 exec, exec, s[0:1]
	v_or_b32_e32 v1, 0x1500, v0
	v_cmp_gt_u32_e32 vcc, s33, v1
	s_and_saveexec_b64 s[0:1], vcc
	s_cbranch_execz .LBB769_246
; %bb.245:
	v_add_co_u32_e32 v4, vcc, 0x5000, v4
	s_nop 1
	v_addc_co_u32_e32 v5, vcc, 0, v5, vcc
	s_waitcnt lgkmcnt(0)
	flat_store_dword v[4:5], v2 offset:1024
.LBB769_246:
	s_or_b64 exec, exec, s[0:1]
	s_waitcnt lgkmcnt(0)
	v_or_b32_e32 v2, 0x1600, v0
	v_mov_b32_e32 v1, v55
	v_cmp_gt_u32_e64 s[0:1], s33, v2
	s_branch .LBB769_251
.LBB769_247:
	s_or_b64 exec, exec, s[50:51]
	s_and_saveexec_b64 s[50:51], s[2:3]
	s_cbranch_execz .LBB769_198
.LBB769_248:
	v_and_b32_e32 v3, 0xff, v11
	v_mov_b32_e32 v2, 0
	v_cmp_eq_u64_e64 s[2:3], 0, v[2:3]
	;;#ASMSTART
	;;#ASMEND
	s_waitcnt lgkmcnt(0)
	s_nop 0
	v_cndmask_b32_e64 v1, 0, v1, s[2:3]
	v_add_u32_e32 v10, v1, v10
	v_cndmask_b32_e64 v1, 0, v10, s[4:5]
	v_add_u32_e32 v58, v1, v12
	;; [unrolled: 2-line block ×23, first 2 shown]
	s_or_b64 exec, exec, s[50:51]
	s_and_saveexec_b64 s[2:3], vcc
	s_cbranch_execnz .LBB769_199
	s_branch .LBB769_200
.LBB769_249:
	s_mov_b64 s[0:1], 0
                                        ; implicit-def: $vgpr3
	s_cbranch_execz .LBB769_251
; %bb.250:
	s_waitcnt lgkmcnt(0)
	v_mul_u32_u24_e32 v1, 0x5c, v0
	s_barrier
	s_movk_i32 s4, 0x5c
	ds_write2_b32 v1, v80, v58 offset1:1
	ds_write2_b32 v1, v59, v60 offset0:2 offset1:3
	ds_write2_b32 v1, v61, v62 offset0:4 offset1:5
	;; [unrolled: 1-line block ×10, first 2 shown]
	ds_write_b32 v1, v79 offset:88
	v_mov_b32_e32 v1, 0
	v_mul_i32_i24_e32 v2, 0xffffffa8, v0
	v_mad_u32_u24 v2, v0, s4, v2
	v_mov_b32_e32 v55, v1
	s_waitcnt lgkmcnt(0)
	s_barrier
	ds_read2st64_b32 v[4:5], v2 offset1:4
	ds_read2st64_b32 v[6:7], v2 offset0:8 offset1:12
	ds_read2st64_b32 v[8:9], v2 offset0:16 offset1:20
	;; [unrolled: 1-line block ×10, first 2 shown]
	ds_read_b32 v3, v2 offset:22528
	v_lshl_add_u64 v[26:27], s[2:3], 0, v[54:55]
	s_movk_i32 s4, 0x1000
	s_waitcnt lgkmcnt(0)
	flat_store_dword v[26:27], v4
	flat_store_dword v[26:27], v5 offset:1024
	flat_store_dword v[26:27], v6 offset:2048
	;; [unrolled: 1-line block ×3, first 2 shown]
	v_add_co_u32_e32 v4, vcc, s4, v26
	s_movk_i32 s4, 0x2000
	s_nop 0
	v_addc_co_u32_e32 v5, vcc, 0, v27, vcc
	flat_store_dword v[4:5], v8
	flat_store_dword v[4:5], v9 offset:1024
	flat_store_dword v[4:5], v10 offset:2048
	;; [unrolled: 1-line block ×3, first 2 shown]
	v_add_co_u32_e32 v4, vcc, s4, v26
	s_movk_i32 s4, 0x3000
	s_nop 0
	v_addc_co_u32_e32 v5, vcc, 0, v27, vcc
	flat_store_dword v[4:5], v12
	flat_store_dword v[4:5], v13 offset:1024
	flat_store_dword v[4:5], v14 offset:2048
	;; [unrolled: 1-line block ×3, first 2 shown]
	v_add_co_u32_e32 v4, vcc, s4, v26
	s_or_b64 s[0:1], s[0:1], exec
	s_nop 0
	v_addc_co_u32_e32 v5, vcc, 0, v27, vcc
	flat_store_dword v[4:5], v16
	flat_store_dword v[4:5], v17 offset:1024
	flat_store_dword v[4:5], v18 offset:2048
	;; [unrolled: 1-line block ×3, first 2 shown]
	v_add_co_u32_e32 v4, vcc, 0x4000, v26
	s_nop 1
	v_addc_co_u32_e32 v5, vcc, 0, v27, vcc
	flat_store_dword v[4:5], v20
	flat_store_dword v[4:5], v21 offset:1024
	flat_store_dword v[4:5], v22 offset:2048
	;; [unrolled: 1-line block ×3, first 2 shown]
	v_add_co_u32_e32 v4, vcc, 0x5000, v26
	s_nop 1
	v_addc_co_u32_e32 v5, vcc, 0, v27, vcc
	flat_store_dword v[4:5], v24
	flat_store_dword v[4:5], v25 offset:1024
.LBB769_251:
	s_and_saveexec_b64 s[4:5], s[0:1]
	s_cbranch_execz .LBB769_253
; %bb.252:
	s_waitcnt lgkmcnt(0)
	v_lshl_add_u64 v[0:1], v[0:1], 2, s[2:3]
	v_add_co_u32_e32 v0, vcc, 0x5000, v0
	s_nop 1
	v_addc_co_u32_e32 v1, vcc, 0, v1, vcc
	flat_store_dword v[0:1], v3 offset:2048
	s_endpgm
.LBB769_253:
	s_endpgm
	.section	.rodata,"a",@progbits
	.p2align	6, 0x0
	.amdhsa_kernel _ZN7rocprim17ROCPRIM_400000_NS6detail17trampoline_kernelINS0_14default_configENS1_27scan_by_key_config_selectorIiiEEZZNS1_16scan_by_key_implILNS1_25lookback_scan_determinismE0ELb0ES3_N6thrust23THRUST_200600_302600_NS6detail15normal_iteratorINS9_10device_ptrIiEEEESE_SE_iNS9_4plusIiEE19head_flag_predicateiEE10hipError_tPvRmT2_T3_T4_T5_mT6_T7_P12ihipStream_tbENKUlT_T0_E_clISt17integral_constantIbLb1EESX_IbLb0EEEEDaST_SU_EUlST_E_NS1_11comp_targetILNS1_3genE5ELNS1_11target_archE942ELNS1_3gpuE9ELNS1_3repE0EEENS1_30default_config_static_selectorELNS0_4arch9wavefront6targetE1EEEvT1_
		.amdhsa_group_segment_fixed_size 25600
		.amdhsa_private_segment_fixed_size 0
		.amdhsa_kernarg_size 112
		.amdhsa_user_sgpr_count 2
		.amdhsa_user_sgpr_dispatch_ptr 0
		.amdhsa_user_sgpr_queue_ptr 0
		.amdhsa_user_sgpr_kernarg_segment_ptr 1
		.amdhsa_user_sgpr_dispatch_id 0
		.amdhsa_user_sgpr_kernarg_preload_length 0
		.amdhsa_user_sgpr_kernarg_preload_offset 0
		.amdhsa_user_sgpr_private_segment_size 0
		.amdhsa_uses_dynamic_stack 0
		.amdhsa_enable_private_segment 0
		.amdhsa_system_sgpr_workgroup_id_x 1
		.amdhsa_system_sgpr_workgroup_id_y 0
		.amdhsa_system_sgpr_workgroup_id_z 0
		.amdhsa_system_sgpr_workgroup_info 0
		.amdhsa_system_vgpr_workitem_id 0
		.amdhsa_next_free_vgpr 81
		.amdhsa_next_free_sgpr 80
		.amdhsa_accum_offset 84
		.amdhsa_reserve_vcc 1
		.amdhsa_float_round_mode_32 0
		.amdhsa_float_round_mode_16_64 0
		.amdhsa_float_denorm_mode_32 3
		.amdhsa_float_denorm_mode_16_64 3
		.amdhsa_dx10_clamp 1
		.amdhsa_ieee_mode 1
		.amdhsa_fp16_overflow 0
		.amdhsa_tg_split 0
		.amdhsa_exception_fp_ieee_invalid_op 0
		.amdhsa_exception_fp_denorm_src 0
		.amdhsa_exception_fp_ieee_div_zero 0
		.amdhsa_exception_fp_ieee_overflow 0
		.amdhsa_exception_fp_ieee_underflow 0
		.amdhsa_exception_fp_ieee_inexact 0
		.amdhsa_exception_int_div_zero 0
	.end_amdhsa_kernel
	.section	.text._ZN7rocprim17ROCPRIM_400000_NS6detail17trampoline_kernelINS0_14default_configENS1_27scan_by_key_config_selectorIiiEEZZNS1_16scan_by_key_implILNS1_25lookback_scan_determinismE0ELb0ES3_N6thrust23THRUST_200600_302600_NS6detail15normal_iteratorINS9_10device_ptrIiEEEESE_SE_iNS9_4plusIiEE19head_flag_predicateiEE10hipError_tPvRmT2_T3_T4_T5_mT6_T7_P12ihipStream_tbENKUlT_T0_E_clISt17integral_constantIbLb1EESX_IbLb0EEEEDaST_SU_EUlST_E_NS1_11comp_targetILNS1_3genE5ELNS1_11target_archE942ELNS1_3gpuE9ELNS1_3repE0EEENS1_30default_config_static_selectorELNS0_4arch9wavefront6targetE1EEEvT1_,"axG",@progbits,_ZN7rocprim17ROCPRIM_400000_NS6detail17trampoline_kernelINS0_14default_configENS1_27scan_by_key_config_selectorIiiEEZZNS1_16scan_by_key_implILNS1_25lookback_scan_determinismE0ELb0ES3_N6thrust23THRUST_200600_302600_NS6detail15normal_iteratorINS9_10device_ptrIiEEEESE_SE_iNS9_4plusIiEE19head_flag_predicateiEE10hipError_tPvRmT2_T3_T4_T5_mT6_T7_P12ihipStream_tbENKUlT_T0_E_clISt17integral_constantIbLb1EESX_IbLb0EEEEDaST_SU_EUlST_E_NS1_11comp_targetILNS1_3genE5ELNS1_11target_archE942ELNS1_3gpuE9ELNS1_3repE0EEENS1_30default_config_static_selectorELNS0_4arch9wavefront6targetE1EEEvT1_,comdat
.Lfunc_end769:
	.size	_ZN7rocprim17ROCPRIM_400000_NS6detail17trampoline_kernelINS0_14default_configENS1_27scan_by_key_config_selectorIiiEEZZNS1_16scan_by_key_implILNS1_25lookback_scan_determinismE0ELb0ES3_N6thrust23THRUST_200600_302600_NS6detail15normal_iteratorINS9_10device_ptrIiEEEESE_SE_iNS9_4plusIiEE19head_flag_predicateiEE10hipError_tPvRmT2_T3_T4_T5_mT6_T7_P12ihipStream_tbENKUlT_T0_E_clISt17integral_constantIbLb1EESX_IbLb0EEEEDaST_SU_EUlST_E_NS1_11comp_targetILNS1_3genE5ELNS1_11target_archE942ELNS1_3gpuE9ELNS1_3repE0EEENS1_30default_config_static_selectorELNS0_4arch9wavefront6targetE1EEEvT1_, .Lfunc_end769-_ZN7rocprim17ROCPRIM_400000_NS6detail17trampoline_kernelINS0_14default_configENS1_27scan_by_key_config_selectorIiiEEZZNS1_16scan_by_key_implILNS1_25lookback_scan_determinismE0ELb0ES3_N6thrust23THRUST_200600_302600_NS6detail15normal_iteratorINS9_10device_ptrIiEEEESE_SE_iNS9_4plusIiEE19head_flag_predicateiEE10hipError_tPvRmT2_T3_T4_T5_mT6_T7_P12ihipStream_tbENKUlT_T0_E_clISt17integral_constantIbLb1EESX_IbLb0EEEEDaST_SU_EUlST_E_NS1_11comp_targetILNS1_3genE5ELNS1_11target_archE942ELNS1_3gpuE9ELNS1_3repE0EEENS1_30default_config_static_selectorELNS0_4arch9wavefront6targetE1EEEvT1_
                                        ; -- End function
	.section	.AMDGPU.csdata,"",@progbits
; Kernel info:
; codeLenInByte = 15272
; NumSgprs: 86
; NumVgprs: 81
; NumAgprs: 0
; TotalNumVgprs: 81
; ScratchSize: 0
; MemoryBound: 0
; FloatMode: 240
; IeeeMode: 1
; LDSByteSize: 25600 bytes/workgroup (compile time only)
; SGPRBlocks: 10
; VGPRBlocks: 10
; NumSGPRsForWavesPerEU: 86
; NumVGPRsForWavesPerEU: 81
; AccumOffset: 84
; Occupancy: 2
; WaveLimiterHint : 1
; COMPUTE_PGM_RSRC2:SCRATCH_EN: 0
; COMPUTE_PGM_RSRC2:USER_SGPR: 2
; COMPUTE_PGM_RSRC2:TRAP_HANDLER: 0
; COMPUTE_PGM_RSRC2:TGID_X_EN: 1
; COMPUTE_PGM_RSRC2:TGID_Y_EN: 0
; COMPUTE_PGM_RSRC2:TGID_Z_EN: 0
; COMPUTE_PGM_RSRC2:TIDIG_COMP_CNT: 0
; COMPUTE_PGM_RSRC3_GFX90A:ACCUM_OFFSET: 20
; COMPUTE_PGM_RSRC3_GFX90A:TG_SPLIT: 0
	.section	.text._ZN7rocprim17ROCPRIM_400000_NS6detail17trampoline_kernelINS0_14default_configENS1_27scan_by_key_config_selectorIiiEEZZNS1_16scan_by_key_implILNS1_25lookback_scan_determinismE0ELb0ES3_N6thrust23THRUST_200600_302600_NS6detail15normal_iteratorINS9_10device_ptrIiEEEESE_SE_iNS9_4plusIiEE19head_flag_predicateiEE10hipError_tPvRmT2_T3_T4_T5_mT6_T7_P12ihipStream_tbENKUlT_T0_E_clISt17integral_constantIbLb1EESX_IbLb0EEEEDaST_SU_EUlST_E_NS1_11comp_targetILNS1_3genE4ELNS1_11target_archE910ELNS1_3gpuE8ELNS1_3repE0EEENS1_30default_config_static_selectorELNS0_4arch9wavefront6targetE1EEEvT1_,"axG",@progbits,_ZN7rocprim17ROCPRIM_400000_NS6detail17trampoline_kernelINS0_14default_configENS1_27scan_by_key_config_selectorIiiEEZZNS1_16scan_by_key_implILNS1_25lookback_scan_determinismE0ELb0ES3_N6thrust23THRUST_200600_302600_NS6detail15normal_iteratorINS9_10device_ptrIiEEEESE_SE_iNS9_4plusIiEE19head_flag_predicateiEE10hipError_tPvRmT2_T3_T4_T5_mT6_T7_P12ihipStream_tbENKUlT_T0_E_clISt17integral_constantIbLb1EESX_IbLb0EEEEDaST_SU_EUlST_E_NS1_11comp_targetILNS1_3genE4ELNS1_11target_archE910ELNS1_3gpuE8ELNS1_3repE0EEENS1_30default_config_static_selectorELNS0_4arch9wavefront6targetE1EEEvT1_,comdat
	.protected	_ZN7rocprim17ROCPRIM_400000_NS6detail17trampoline_kernelINS0_14default_configENS1_27scan_by_key_config_selectorIiiEEZZNS1_16scan_by_key_implILNS1_25lookback_scan_determinismE0ELb0ES3_N6thrust23THRUST_200600_302600_NS6detail15normal_iteratorINS9_10device_ptrIiEEEESE_SE_iNS9_4plusIiEE19head_flag_predicateiEE10hipError_tPvRmT2_T3_T4_T5_mT6_T7_P12ihipStream_tbENKUlT_T0_E_clISt17integral_constantIbLb1EESX_IbLb0EEEEDaST_SU_EUlST_E_NS1_11comp_targetILNS1_3genE4ELNS1_11target_archE910ELNS1_3gpuE8ELNS1_3repE0EEENS1_30default_config_static_selectorELNS0_4arch9wavefront6targetE1EEEvT1_ ; -- Begin function _ZN7rocprim17ROCPRIM_400000_NS6detail17trampoline_kernelINS0_14default_configENS1_27scan_by_key_config_selectorIiiEEZZNS1_16scan_by_key_implILNS1_25lookback_scan_determinismE0ELb0ES3_N6thrust23THRUST_200600_302600_NS6detail15normal_iteratorINS9_10device_ptrIiEEEESE_SE_iNS9_4plusIiEE19head_flag_predicateiEE10hipError_tPvRmT2_T3_T4_T5_mT6_T7_P12ihipStream_tbENKUlT_T0_E_clISt17integral_constantIbLb1EESX_IbLb0EEEEDaST_SU_EUlST_E_NS1_11comp_targetILNS1_3genE4ELNS1_11target_archE910ELNS1_3gpuE8ELNS1_3repE0EEENS1_30default_config_static_selectorELNS0_4arch9wavefront6targetE1EEEvT1_
	.globl	_ZN7rocprim17ROCPRIM_400000_NS6detail17trampoline_kernelINS0_14default_configENS1_27scan_by_key_config_selectorIiiEEZZNS1_16scan_by_key_implILNS1_25lookback_scan_determinismE0ELb0ES3_N6thrust23THRUST_200600_302600_NS6detail15normal_iteratorINS9_10device_ptrIiEEEESE_SE_iNS9_4plusIiEE19head_flag_predicateiEE10hipError_tPvRmT2_T3_T4_T5_mT6_T7_P12ihipStream_tbENKUlT_T0_E_clISt17integral_constantIbLb1EESX_IbLb0EEEEDaST_SU_EUlST_E_NS1_11comp_targetILNS1_3genE4ELNS1_11target_archE910ELNS1_3gpuE8ELNS1_3repE0EEENS1_30default_config_static_selectorELNS0_4arch9wavefront6targetE1EEEvT1_
	.p2align	8
	.type	_ZN7rocprim17ROCPRIM_400000_NS6detail17trampoline_kernelINS0_14default_configENS1_27scan_by_key_config_selectorIiiEEZZNS1_16scan_by_key_implILNS1_25lookback_scan_determinismE0ELb0ES3_N6thrust23THRUST_200600_302600_NS6detail15normal_iteratorINS9_10device_ptrIiEEEESE_SE_iNS9_4plusIiEE19head_flag_predicateiEE10hipError_tPvRmT2_T3_T4_T5_mT6_T7_P12ihipStream_tbENKUlT_T0_E_clISt17integral_constantIbLb1EESX_IbLb0EEEEDaST_SU_EUlST_E_NS1_11comp_targetILNS1_3genE4ELNS1_11target_archE910ELNS1_3gpuE8ELNS1_3repE0EEENS1_30default_config_static_selectorELNS0_4arch9wavefront6targetE1EEEvT1_,@function
_ZN7rocprim17ROCPRIM_400000_NS6detail17trampoline_kernelINS0_14default_configENS1_27scan_by_key_config_selectorIiiEEZZNS1_16scan_by_key_implILNS1_25lookback_scan_determinismE0ELb0ES3_N6thrust23THRUST_200600_302600_NS6detail15normal_iteratorINS9_10device_ptrIiEEEESE_SE_iNS9_4plusIiEE19head_flag_predicateiEE10hipError_tPvRmT2_T3_T4_T5_mT6_T7_P12ihipStream_tbENKUlT_T0_E_clISt17integral_constantIbLb1EESX_IbLb0EEEEDaST_SU_EUlST_E_NS1_11comp_targetILNS1_3genE4ELNS1_11target_archE910ELNS1_3gpuE8ELNS1_3repE0EEENS1_30default_config_static_selectorELNS0_4arch9wavefront6targetE1EEEvT1_: ; @_ZN7rocprim17ROCPRIM_400000_NS6detail17trampoline_kernelINS0_14default_configENS1_27scan_by_key_config_selectorIiiEEZZNS1_16scan_by_key_implILNS1_25lookback_scan_determinismE0ELb0ES3_N6thrust23THRUST_200600_302600_NS6detail15normal_iteratorINS9_10device_ptrIiEEEESE_SE_iNS9_4plusIiEE19head_flag_predicateiEE10hipError_tPvRmT2_T3_T4_T5_mT6_T7_P12ihipStream_tbENKUlT_T0_E_clISt17integral_constantIbLb1EESX_IbLb0EEEEDaST_SU_EUlST_E_NS1_11comp_targetILNS1_3genE4ELNS1_11target_archE910ELNS1_3gpuE8ELNS1_3repE0EEENS1_30default_config_static_selectorELNS0_4arch9wavefront6targetE1EEEvT1_
; %bb.0:
	.section	.rodata,"a",@progbits
	.p2align	6, 0x0
	.amdhsa_kernel _ZN7rocprim17ROCPRIM_400000_NS6detail17trampoline_kernelINS0_14default_configENS1_27scan_by_key_config_selectorIiiEEZZNS1_16scan_by_key_implILNS1_25lookback_scan_determinismE0ELb0ES3_N6thrust23THRUST_200600_302600_NS6detail15normal_iteratorINS9_10device_ptrIiEEEESE_SE_iNS9_4plusIiEE19head_flag_predicateiEE10hipError_tPvRmT2_T3_T4_T5_mT6_T7_P12ihipStream_tbENKUlT_T0_E_clISt17integral_constantIbLb1EESX_IbLb0EEEEDaST_SU_EUlST_E_NS1_11comp_targetILNS1_3genE4ELNS1_11target_archE910ELNS1_3gpuE8ELNS1_3repE0EEENS1_30default_config_static_selectorELNS0_4arch9wavefront6targetE1EEEvT1_
		.amdhsa_group_segment_fixed_size 0
		.amdhsa_private_segment_fixed_size 0
		.amdhsa_kernarg_size 112
		.amdhsa_user_sgpr_count 2
		.amdhsa_user_sgpr_dispatch_ptr 0
		.amdhsa_user_sgpr_queue_ptr 0
		.amdhsa_user_sgpr_kernarg_segment_ptr 1
		.amdhsa_user_sgpr_dispatch_id 0
		.amdhsa_user_sgpr_kernarg_preload_length 0
		.amdhsa_user_sgpr_kernarg_preload_offset 0
		.amdhsa_user_sgpr_private_segment_size 0
		.amdhsa_uses_dynamic_stack 0
		.amdhsa_enable_private_segment 0
		.amdhsa_system_sgpr_workgroup_id_x 1
		.amdhsa_system_sgpr_workgroup_id_y 0
		.amdhsa_system_sgpr_workgroup_id_z 0
		.amdhsa_system_sgpr_workgroup_info 0
		.amdhsa_system_vgpr_workitem_id 0
		.amdhsa_next_free_vgpr 1
		.amdhsa_next_free_sgpr 0
		.amdhsa_accum_offset 4
		.amdhsa_reserve_vcc 0
		.amdhsa_float_round_mode_32 0
		.amdhsa_float_round_mode_16_64 0
		.amdhsa_float_denorm_mode_32 3
		.amdhsa_float_denorm_mode_16_64 3
		.amdhsa_dx10_clamp 1
		.amdhsa_ieee_mode 1
		.amdhsa_fp16_overflow 0
		.amdhsa_tg_split 0
		.amdhsa_exception_fp_ieee_invalid_op 0
		.amdhsa_exception_fp_denorm_src 0
		.amdhsa_exception_fp_ieee_div_zero 0
		.amdhsa_exception_fp_ieee_overflow 0
		.amdhsa_exception_fp_ieee_underflow 0
		.amdhsa_exception_fp_ieee_inexact 0
		.amdhsa_exception_int_div_zero 0
	.end_amdhsa_kernel
	.section	.text._ZN7rocprim17ROCPRIM_400000_NS6detail17trampoline_kernelINS0_14default_configENS1_27scan_by_key_config_selectorIiiEEZZNS1_16scan_by_key_implILNS1_25lookback_scan_determinismE0ELb0ES3_N6thrust23THRUST_200600_302600_NS6detail15normal_iteratorINS9_10device_ptrIiEEEESE_SE_iNS9_4plusIiEE19head_flag_predicateiEE10hipError_tPvRmT2_T3_T4_T5_mT6_T7_P12ihipStream_tbENKUlT_T0_E_clISt17integral_constantIbLb1EESX_IbLb0EEEEDaST_SU_EUlST_E_NS1_11comp_targetILNS1_3genE4ELNS1_11target_archE910ELNS1_3gpuE8ELNS1_3repE0EEENS1_30default_config_static_selectorELNS0_4arch9wavefront6targetE1EEEvT1_,"axG",@progbits,_ZN7rocprim17ROCPRIM_400000_NS6detail17trampoline_kernelINS0_14default_configENS1_27scan_by_key_config_selectorIiiEEZZNS1_16scan_by_key_implILNS1_25lookback_scan_determinismE0ELb0ES3_N6thrust23THRUST_200600_302600_NS6detail15normal_iteratorINS9_10device_ptrIiEEEESE_SE_iNS9_4plusIiEE19head_flag_predicateiEE10hipError_tPvRmT2_T3_T4_T5_mT6_T7_P12ihipStream_tbENKUlT_T0_E_clISt17integral_constantIbLb1EESX_IbLb0EEEEDaST_SU_EUlST_E_NS1_11comp_targetILNS1_3genE4ELNS1_11target_archE910ELNS1_3gpuE8ELNS1_3repE0EEENS1_30default_config_static_selectorELNS0_4arch9wavefront6targetE1EEEvT1_,comdat
.Lfunc_end770:
	.size	_ZN7rocprim17ROCPRIM_400000_NS6detail17trampoline_kernelINS0_14default_configENS1_27scan_by_key_config_selectorIiiEEZZNS1_16scan_by_key_implILNS1_25lookback_scan_determinismE0ELb0ES3_N6thrust23THRUST_200600_302600_NS6detail15normal_iteratorINS9_10device_ptrIiEEEESE_SE_iNS9_4plusIiEE19head_flag_predicateiEE10hipError_tPvRmT2_T3_T4_T5_mT6_T7_P12ihipStream_tbENKUlT_T0_E_clISt17integral_constantIbLb1EESX_IbLb0EEEEDaST_SU_EUlST_E_NS1_11comp_targetILNS1_3genE4ELNS1_11target_archE910ELNS1_3gpuE8ELNS1_3repE0EEENS1_30default_config_static_selectorELNS0_4arch9wavefront6targetE1EEEvT1_, .Lfunc_end770-_ZN7rocprim17ROCPRIM_400000_NS6detail17trampoline_kernelINS0_14default_configENS1_27scan_by_key_config_selectorIiiEEZZNS1_16scan_by_key_implILNS1_25lookback_scan_determinismE0ELb0ES3_N6thrust23THRUST_200600_302600_NS6detail15normal_iteratorINS9_10device_ptrIiEEEESE_SE_iNS9_4plusIiEE19head_flag_predicateiEE10hipError_tPvRmT2_T3_T4_T5_mT6_T7_P12ihipStream_tbENKUlT_T0_E_clISt17integral_constantIbLb1EESX_IbLb0EEEEDaST_SU_EUlST_E_NS1_11comp_targetILNS1_3genE4ELNS1_11target_archE910ELNS1_3gpuE8ELNS1_3repE0EEENS1_30default_config_static_selectorELNS0_4arch9wavefront6targetE1EEEvT1_
                                        ; -- End function
	.section	.AMDGPU.csdata,"",@progbits
; Kernel info:
; codeLenInByte = 0
; NumSgprs: 6
; NumVgprs: 0
; NumAgprs: 0
; TotalNumVgprs: 0
; ScratchSize: 0
; MemoryBound: 0
; FloatMode: 240
; IeeeMode: 1
; LDSByteSize: 0 bytes/workgroup (compile time only)
; SGPRBlocks: 0
; VGPRBlocks: 0
; NumSGPRsForWavesPerEU: 6
; NumVGPRsForWavesPerEU: 1
; AccumOffset: 4
; Occupancy: 8
; WaveLimiterHint : 0
; COMPUTE_PGM_RSRC2:SCRATCH_EN: 0
; COMPUTE_PGM_RSRC2:USER_SGPR: 2
; COMPUTE_PGM_RSRC2:TRAP_HANDLER: 0
; COMPUTE_PGM_RSRC2:TGID_X_EN: 1
; COMPUTE_PGM_RSRC2:TGID_Y_EN: 0
; COMPUTE_PGM_RSRC2:TGID_Z_EN: 0
; COMPUTE_PGM_RSRC2:TIDIG_COMP_CNT: 0
; COMPUTE_PGM_RSRC3_GFX90A:ACCUM_OFFSET: 0
; COMPUTE_PGM_RSRC3_GFX90A:TG_SPLIT: 0
	.section	.text._ZN7rocprim17ROCPRIM_400000_NS6detail17trampoline_kernelINS0_14default_configENS1_27scan_by_key_config_selectorIiiEEZZNS1_16scan_by_key_implILNS1_25lookback_scan_determinismE0ELb0ES3_N6thrust23THRUST_200600_302600_NS6detail15normal_iteratorINS9_10device_ptrIiEEEESE_SE_iNS9_4plusIiEE19head_flag_predicateiEE10hipError_tPvRmT2_T3_T4_T5_mT6_T7_P12ihipStream_tbENKUlT_T0_E_clISt17integral_constantIbLb1EESX_IbLb0EEEEDaST_SU_EUlST_E_NS1_11comp_targetILNS1_3genE3ELNS1_11target_archE908ELNS1_3gpuE7ELNS1_3repE0EEENS1_30default_config_static_selectorELNS0_4arch9wavefront6targetE1EEEvT1_,"axG",@progbits,_ZN7rocprim17ROCPRIM_400000_NS6detail17trampoline_kernelINS0_14default_configENS1_27scan_by_key_config_selectorIiiEEZZNS1_16scan_by_key_implILNS1_25lookback_scan_determinismE0ELb0ES3_N6thrust23THRUST_200600_302600_NS6detail15normal_iteratorINS9_10device_ptrIiEEEESE_SE_iNS9_4plusIiEE19head_flag_predicateiEE10hipError_tPvRmT2_T3_T4_T5_mT6_T7_P12ihipStream_tbENKUlT_T0_E_clISt17integral_constantIbLb1EESX_IbLb0EEEEDaST_SU_EUlST_E_NS1_11comp_targetILNS1_3genE3ELNS1_11target_archE908ELNS1_3gpuE7ELNS1_3repE0EEENS1_30default_config_static_selectorELNS0_4arch9wavefront6targetE1EEEvT1_,comdat
	.protected	_ZN7rocprim17ROCPRIM_400000_NS6detail17trampoline_kernelINS0_14default_configENS1_27scan_by_key_config_selectorIiiEEZZNS1_16scan_by_key_implILNS1_25lookback_scan_determinismE0ELb0ES3_N6thrust23THRUST_200600_302600_NS6detail15normal_iteratorINS9_10device_ptrIiEEEESE_SE_iNS9_4plusIiEE19head_flag_predicateiEE10hipError_tPvRmT2_T3_T4_T5_mT6_T7_P12ihipStream_tbENKUlT_T0_E_clISt17integral_constantIbLb1EESX_IbLb0EEEEDaST_SU_EUlST_E_NS1_11comp_targetILNS1_3genE3ELNS1_11target_archE908ELNS1_3gpuE7ELNS1_3repE0EEENS1_30default_config_static_selectorELNS0_4arch9wavefront6targetE1EEEvT1_ ; -- Begin function _ZN7rocprim17ROCPRIM_400000_NS6detail17trampoline_kernelINS0_14default_configENS1_27scan_by_key_config_selectorIiiEEZZNS1_16scan_by_key_implILNS1_25lookback_scan_determinismE0ELb0ES3_N6thrust23THRUST_200600_302600_NS6detail15normal_iteratorINS9_10device_ptrIiEEEESE_SE_iNS9_4plusIiEE19head_flag_predicateiEE10hipError_tPvRmT2_T3_T4_T5_mT6_T7_P12ihipStream_tbENKUlT_T0_E_clISt17integral_constantIbLb1EESX_IbLb0EEEEDaST_SU_EUlST_E_NS1_11comp_targetILNS1_3genE3ELNS1_11target_archE908ELNS1_3gpuE7ELNS1_3repE0EEENS1_30default_config_static_selectorELNS0_4arch9wavefront6targetE1EEEvT1_
	.globl	_ZN7rocprim17ROCPRIM_400000_NS6detail17trampoline_kernelINS0_14default_configENS1_27scan_by_key_config_selectorIiiEEZZNS1_16scan_by_key_implILNS1_25lookback_scan_determinismE0ELb0ES3_N6thrust23THRUST_200600_302600_NS6detail15normal_iteratorINS9_10device_ptrIiEEEESE_SE_iNS9_4plusIiEE19head_flag_predicateiEE10hipError_tPvRmT2_T3_T4_T5_mT6_T7_P12ihipStream_tbENKUlT_T0_E_clISt17integral_constantIbLb1EESX_IbLb0EEEEDaST_SU_EUlST_E_NS1_11comp_targetILNS1_3genE3ELNS1_11target_archE908ELNS1_3gpuE7ELNS1_3repE0EEENS1_30default_config_static_selectorELNS0_4arch9wavefront6targetE1EEEvT1_
	.p2align	8
	.type	_ZN7rocprim17ROCPRIM_400000_NS6detail17trampoline_kernelINS0_14default_configENS1_27scan_by_key_config_selectorIiiEEZZNS1_16scan_by_key_implILNS1_25lookback_scan_determinismE0ELb0ES3_N6thrust23THRUST_200600_302600_NS6detail15normal_iteratorINS9_10device_ptrIiEEEESE_SE_iNS9_4plusIiEE19head_flag_predicateiEE10hipError_tPvRmT2_T3_T4_T5_mT6_T7_P12ihipStream_tbENKUlT_T0_E_clISt17integral_constantIbLb1EESX_IbLb0EEEEDaST_SU_EUlST_E_NS1_11comp_targetILNS1_3genE3ELNS1_11target_archE908ELNS1_3gpuE7ELNS1_3repE0EEENS1_30default_config_static_selectorELNS0_4arch9wavefront6targetE1EEEvT1_,@function
_ZN7rocprim17ROCPRIM_400000_NS6detail17trampoline_kernelINS0_14default_configENS1_27scan_by_key_config_selectorIiiEEZZNS1_16scan_by_key_implILNS1_25lookback_scan_determinismE0ELb0ES3_N6thrust23THRUST_200600_302600_NS6detail15normal_iteratorINS9_10device_ptrIiEEEESE_SE_iNS9_4plusIiEE19head_flag_predicateiEE10hipError_tPvRmT2_T3_T4_T5_mT6_T7_P12ihipStream_tbENKUlT_T0_E_clISt17integral_constantIbLb1EESX_IbLb0EEEEDaST_SU_EUlST_E_NS1_11comp_targetILNS1_3genE3ELNS1_11target_archE908ELNS1_3gpuE7ELNS1_3repE0EEENS1_30default_config_static_selectorELNS0_4arch9wavefront6targetE1EEEvT1_: ; @_ZN7rocprim17ROCPRIM_400000_NS6detail17trampoline_kernelINS0_14default_configENS1_27scan_by_key_config_selectorIiiEEZZNS1_16scan_by_key_implILNS1_25lookback_scan_determinismE0ELb0ES3_N6thrust23THRUST_200600_302600_NS6detail15normal_iteratorINS9_10device_ptrIiEEEESE_SE_iNS9_4plusIiEE19head_flag_predicateiEE10hipError_tPvRmT2_T3_T4_T5_mT6_T7_P12ihipStream_tbENKUlT_T0_E_clISt17integral_constantIbLb1EESX_IbLb0EEEEDaST_SU_EUlST_E_NS1_11comp_targetILNS1_3genE3ELNS1_11target_archE908ELNS1_3gpuE7ELNS1_3repE0EEENS1_30default_config_static_selectorELNS0_4arch9wavefront6targetE1EEEvT1_
; %bb.0:
	.section	.rodata,"a",@progbits
	.p2align	6, 0x0
	.amdhsa_kernel _ZN7rocprim17ROCPRIM_400000_NS6detail17trampoline_kernelINS0_14default_configENS1_27scan_by_key_config_selectorIiiEEZZNS1_16scan_by_key_implILNS1_25lookback_scan_determinismE0ELb0ES3_N6thrust23THRUST_200600_302600_NS6detail15normal_iteratorINS9_10device_ptrIiEEEESE_SE_iNS9_4plusIiEE19head_flag_predicateiEE10hipError_tPvRmT2_T3_T4_T5_mT6_T7_P12ihipStream_tbENKUlT_T0_E_clISt17integral_constantIbLb1EESX_IbLb0EEEEDaST_SU_EUlST_E_NS1_11comp_targetILNS1_3genE3ELNS1_11target_archE908ELNS1_3gpuE7ELNS1_3repE0EEENS1_30default_config_static_selectorELNS0_4arch9wavefront6targetE1EEEvT1_
		.amdhsa_group_segment_fixed_size 0
		.amdhsa_private_segment_fixed_size 0
		.amdhsa_kernarg_size 112
		.amdhsa_user_sgpr_count 2
		.amdhsa_user_sgpr_dispatch_ptr 0
		.amdhsa_user_sgpr_queue_ptr 0
		.amdhsa_user_sgpr_kernarg_segment_ptr 1
		.amdhsa_user_sgpr_dispatch_id 0
		.amdhsa_user_sgpr_kernarg_preload_length 0
		.amdhsa_user_sgpr_kernarg_preload_offset 0
		.amdhsa_user_sgpr_private_segment_size 0
		.amdhsa_uses_dynamic_stack 0
		.amdhsa_enable_private_segment 0
		.amdhsa_system_sgpr_workgroup_id_x 1
		.amdhsa_system_sgpr_workgroup_id_y 0
		.amdhsa_system_sgpr_workgroup_id_z 0
		.amdhsa_system_sgpr_workgroup_info 0
		.amdhsa_system_vgpr_workitem_id 0
		.amdhsa_next_free_vgpr 1
		.amdhsa_next_free_sgpr 0
		.amdhsa_accum_offset 4
		.amdhsa_reserve_vcc 0
		.amdhsa_float_round_mode_32 0
		.amdhsa_float_round_mode_16_64 0
		.amdhsa_float_denorm_mode_32 3
		.amdhsa_float_denorm_mode_16_64 3
		.amdhsa_dx10_clamp 1
		.amdhsa_ieee_mode 1
		.amdhsa_fp16_overflow 0
		.amdhsa_tg_split 0
		.amdhsa_exception_fp_ieee_invalid_op 0
		.amdhsa_exception_fp_denorm_src 0
		.amdhsa_exception_fp_ieee_div_zero 0
		.amdhsa_exception_fp_ieee_overflow 0
		.amdhsa_exception_fp_ieee_underflow 0
		.amdhsa_exception_fp_ieee_inexact 0
		.amdhsa_exception_int_div_zero 0
	.end_amdhsa_kernel
	.section	.text._ZN7rocprim17ROCPRIM_400000_NS6detail17trampoline_kernelINS0_14default_configENS1_27scan_by_key_config_selectorIiiEEZZNS1_16scan_by_key_implILNS1_25lookback_scan_determinismE0ELb0ES3_N6thrust23THRUST_200600_302600_NS6detail15normal_iteratorINS9_10device_ptrIiEEEESE_SE_iNS9_4plusIiEE19head_flag_predicateiEE10hipError_tPvRmT2_T3_T4_T5_mT6_T7_P12ihipStream_tbENKUlT_T0_E_clISt17integral_constantIbLb1EESX_IbLb0EEEEDaST_SU_EUlST_E_NS1_11comp_targetILNS1_3genE3ELNS1_11target_archE908ELNS1_3gpuE7ELNS1_3repE0EEENS1_30default_config_static_selectorELNS0_4arch9wavefront6targetE1EEEvT1_,"axG",@progbits,_ZN7rocprim17ROCPRIM_400000_NS6detail17trampoline_kernelINS0_14default_configENS1_27scan_by_key_config_selectorIiiEEZZNS1_16scan_by_key_implILNS1_25lookback_scan_determinismE0ELb0ES3_N6thrust23THRUST_200600_302600_NS6detail15normal_iteratorINS9_10device_ptrIiEEEESE_SE_iNS9_4plusIiEE19head_flag_predicateiEE10hipError_tPvRmT2_T3_T4_T5_mT6_T7_P12ihipStream_tbENKUlT_T0_E_clISt17integral_constantIbLb1EESX_IbLb0EEEEDaST_SU_EUlST_E_NS1_11comp_targetILNS1_3genE3ELNS1_11target_archE908ELNS1_3gpuE7ELNS1_3repE0EEENS1_30default_config_static_selectorELNS0_4arch9wavefront6targetE1EEEvT1_,comdat
.Lfunc_end771:
	.size	_ZN7rocprim17ROCPRIM_400000_NS6detail17trampoline_kernelINS0_14default_configENS1_27scan_by_key_config_selectorIiiEEZZNS1_16scan_by_key_implILNS1_25lookback_scan_determinismE0ELb0ES3_N6thrust23THRUST_200600_302600_NS6detail15normal_iteratorINS9_10device_ptrIiEEEESE_SE_iNS9_4plusIiEE19head_flag_predicateiEE10hipError_tPvRmT2_T3_T4_T5_mT6_T7_P12ihipStream_tbENKUlT_T0_E_clISt17integral_constantIbLb1EESX_IbLb0EEEEDaST_SU_EUlST_E_NS1_11comp_targetILNS1_3genE3ELNS1_11target_archE908ELNS1_3gpuE7ELNS1_3repE0EEENS1_30default_config_static_selectorELNS0_4arch9wavefront6targetE1EEEvT1_, .Lfunc_end771-_ZN7rocprim17ROCPRIM_400000_NS6detail17trampoline_kernelINS0_14default_configENS1_27scan_by_key_config_selectorIiiEEZZNS1_16scan_by_key_implILNS1_25lookback_scan_determinismE0ELb0ES3_N6thrust23THRUST_200600_302600_NS6detail15normal_iteratorINS9_10device_ptrIiEEEESE_SE_iNS9_4plusIiEE19head_flag_predicateiEE10hipError_tPvRmT2_T3_T4_T5_mT6_T7_P12ihipStream_tbENKUlT_T0_E_clISt17integral_constantIbLb1EESX_IbLb0EEEEDaST_SU_EUlST_E_NS1_11comp_targetILNS1_3genE3ELNS1_11target_archE908ELNS1_3gpuE7ELNS1_3repE0EEENS1_30default_config_static_selectorELNS0_4arch9wavefront6targetE1EEEvT1_
                                        ; -- End function
	.section	.AMDGPU.csdata,"",@progbits
; Kernel info:
; codeLenInByte = 0
; NumSgprs: 6
; NumVgprs: 0
; NumAgprs: 0
; TotalNumVgprs: 0
; ScratchSize: 0
; MemoryBound: 0
; FloatMode: 240
; IeeeMode: 1
; LDSByteSize: 0 bytes/workgroup (compile time only)
; SGPRBlocks: 0
; VGPRBlocks: 0
; NumSGPRsForWavesPerEU: 6
; NumVGPRsForWavesPerEU: 1
; AccumOffset: 4
; Occupancy: 8
; WaveLimiterHint : 0
; COMPUTE_PGM_RSRC2:SCRATCH_EN: 0
; COMPUTE_PGM_RSRC2:USER_SGPR: 2
; COMPUTE_PGM_RSRC2:TRAP_HANDLER: 0
; COMPUTE_PGM_RSRC2:TGID_X_EN: 1
; COMPUTE_PGM_RSRC2:TGID_Y_EN: 0
; COMPUTE_PGM_RSRC2:TGID_Z_EN: 0
; COMPUTE_PGM_RSRC2:TIDIG_COMP_CNT: 0
; COMPUTE_PGM_RSRC3_GFX90A:ACCUM_OFFSET: 0
; COMPUTE_PGM_RSRC3_GFX90A:TG_SPLIT: 0
	.section	.text._ZN7rocprim17ROCPRIM_400000_NS6detail17trampoline_kernelINS0_14default_configENS1_27scan_by_key_config_selectorIiiEEZZNS1_16scan_by_key_implILNS1_25lookback_scan_determinismE0ELb0ES3_N6thrust23THRUST_200600_302600_NS6detail15normal_iteratorINS9_10device_ptrIiEEEESE_SE_iNS9_4plusIiEE19head_flag_predicateiEE10hipError_tPvRmT2_T3_T4_T5_mT6_T7_P12ihipStream_tbENKUlT_T0_E_clISt17integral_constantIbLb1EESX_IbLb0EEEEDaST_SU_EUlST_E_NS1_11comp_targetILNS1_3genE2ELNS1_11target_archE906ELNS1_3gpuE6ELNS1_3repE0EEENS1_30default_config_static_selectorELNS0_4arch9wavefront6targetE1EEEvT1_,"axG",@progbits,_ZN7rocprim17ROCPRIM_400000_NS6detail17trampoline_kernelINS0_14default_configENS1_27scan_by_key_config_selectorIiiEEZZNS1_16scan_by_key_implILNS1_25lookback_scan_determinismE0ELb0ES3_N6thrust23THRUST_200600_302600_NS6detail15normal_iteratorINS9_10device_ptrIiEEEESE_SE_iNS9_4plusIiEE19head_flag_predicateiEE10hipError_tPvRmT2_T3_T4_T5_mT6_T7_P12ihipStream_tbENKUlT_T0_E_clISt17integral_constantIbLb1EESX_IbLb0EEEEDaST_SU_EUlST_E_NS1_11comp_targetILNS1_3genE2ELNS1_11target_archE906ELNS1_3gpuE6ELNS1_3repE0EEENS1_30default_config_static_selectorELNS0_4arch9wavefront6targetE1EEEvT1_,comdat
	.protected	_ZN7rocprim17ROCPRIM_400000_NS6detail17trampoline_kernelINS0_14default_configENS1_27scan_by_key_config_selectorIiiEEZZNS1_16scan_by_key_implILNS1_25lookback_scan_determinismE0ELb0ES3_N6thrust23THRUST_200600_302600_NS6detail15normal_iteratorINS9_10device_ptrIiEEEESE_SE_iNS9_4plusIiEE19head_flag_predicateiEE10hipError_tPvRmT2_T3_T4_T5_mT6_T7_P12ihipStream_tbENKUlT_T0_E_clISt17integral_constantIbLb1EESX_IbLb0EEEEDaST_SU_EUlST_E_NS1_11comp_targetILNS1_3genE2ELNS1_11target_archE906ELNS1_3gpuE6ELNS1_3repE0EEENS1_30default_config_static_selectorELNS0_4arch9wavefront6targetE1EEEvT1_ ; -- Begin function _ZN7rocprim17ROCPRIM_400000_NS6detail17trampoline_kernelINS0_14default_configENS1_27scan_by_key_config_selectorIiiEEZZNS1_16scan_by_key_implILNS1_25lookback_scan_determinismE0ELb0ES3_N6thrust23THRUST_200600_302600_NS6detail15normal_iteratorINS9_10device_ptrIiEEEESE_SE_iNS9_4plusIiEE19head_flag_predicateiEE10hipError_tPvRmT2_T3_T4_T5_mT6_T7_P12ihipStream_tbENKUlT_T0_E_clISt17integral_constantIbLb1EESX_IbLb0EEEEDaST_SU_EUlST_E_NS1_11comp_targetILNS1_3genE2ELNS1_11target_archE906ELNS1_3gpuE6ELNS1_3repE0EEENS1_30default_config_static_selectorELNS0_4arch9wavefront6targetE1EEEvT1_
	.globl	_ZN7rocprim17ROCPRIM_400000_NS6detail17trampoline_kernelINS0_14default_configENS1_27scan_by_key_config_selectorIiiEEZZNS1_16scan_by_key_implILNS1_25lookback_scan_determinismE0ELb0ES3_N6thrust23THRUST_200600_302600_NS6detail15normal_iteratorINS9_10device_ptrIiEEEESE_SE_iNS9_4plusIiEE19head_flag_predicateiEE10hipError_tPvRmT2_T3_T4_T5_mT6_T7_P12ihipStream_tbENKUlT_T0_E_clISt17integral_constantIbLb1EESX_IbLb0EEEEDaST_SU_EUlST_E_NS1_11comp_targetILNS1_3genE2ELNS1_11target_archE906ELNS1_3gpuE6ELNS1_3repE0EEENS1_30default_config_static_selectorELNS0_4arch9wavefront6targetE1EEEvT1_
	.p2align	8
	.type	_ZN7rocprim17ROCPRIM_400000_NS6detail17trampoline_kernelINS0_14default_configENS1_27scan_by_key_config_selectorIiiEEZZNS1_16scan_by_key_implILNS1_25lookback_scan_determinismE0ELb0ES3_N6thrust23THRUST_200600_302600_NS6detail15normal_iteratorINS9_10device_ptrIiEEEESE_SE_iNS9_4plusIiEE19head_flag_predicateiEE10hipError_tPvRmT2_T3_T4_T5_mT6_T7_P12ihipStream_tbENKUlT_T0_E_clISt17integral_constantIbLb1EESX_IbLb0EEEEDaST_SU_EUlST_E_NS1_11comp_targetILNS1_3genE2ELNS1_11target_archE906ELNS1_3gpuE6ELNS1_3repE0EEENS1_30default_config_static_selectorELNS0_4arch9wavefront6targetE1EEEvT1_,@function
_ZN7rocprim17ROCPRIM_400000_NS6detail17trampoline_kernelINS0_14default_configENS1_27scan_by_key_config_selectorIiiEEZZNS1_16scan_by_key_implILNS1_25lookback_scan_determinismE0ELb0ES3_N6thrust23THRUST_200600_302600_NS6detail15normal_iteratorINS9_10device_ptrIiEEEESE_SE_iNS9_4plusIiEE19head_flag_predicateiEE10hipError_tPvRmT2_T3_T4_T5_mT6_T7_P12ihipStream_tbENKUlT_T0_E_clISt17integral_constantIbLb1EESX_IbLb0EEEEDaST_SU_EUlST_E_NS1_11comp_targetILNS1_3genE2ELNS1_11target_archE906ELNS1_3gpuE6ELNS1_3repE0EEENS1_30default_config_static_selectorELNS0_4arch9wavefront6targetE1EEEvT1_: ; @_ZN7rocprim17ROCPRIM_400000_NS6detail17trampoline_kernelINS0_14default_configENS1_27scan_by_key_config_selectorIiiEEZZNS1_16scan_by_key_implILNS1_25lookback_scan_determinismE0ELb0ES3_N6thrust23THRUST_200600_302600_NS6detail15normal_iteratorINS9_10device_ptrIiEEEESE_SE_iNS9_4plusIiEE19head_flag_predicateiEE10hipError_tPvRmT2_T3_T4_T5_mT6_T7_P12ihipStream_tbENKUlT_T0_E_clISt17integral_constantIbLb1EESX_IbLb0EEEEDaST_SU_EUlST_E_NS1_11comp_targetILNS1_3genE2ELNS1_11target_archE906ELNS1_3gpuE6ELNS1_3repE0EEENS1_30default_config_static_selectorELNS0_4arch9wavefront6targetE1EEEvT1_
; %bb.0:
	.section	.rodata,"a",@progbits
	.p2align	6, 0x0
	.amdhsa_kernel _ZN7rocprim17ROCPRIM_400000_NS6detail17trampoline_kernelINS0_14default_configENS1_27scan_by_key_config_selectorIiiEEZZNS1_16scan_by_key_implILNS1_25lookback_scan_determinismE0ELb0ES3_N6thrust23THRUST_200600_302600_NS6detail15normal_iteratorINS9_10device_ptrIiEEEESE_SE_iNS9_4plusIiEE19head_flag_predicateiEE10hipError_tPvRmT2_T3_T4_T5_mT6_T7_P12ihipStream_tbENKUlT_T0_E_clISt17integral_constantIbLb1EESX_IbLb0EEEEDaST_SU_EUlST_E_NS1_11comp_targetILNS1_3genE2ELNS1_11target_archE906ELNS1_3gpuE6ELNS1_3repE0EEENS1_30default_config_static_selectorELNS0_4arch9wavefront6targetE1EEEvT1_
		.amdhsa_group_segment_fixed_size 0
		.amdhsa_private_segment_fixed_size 0
		.amdhsa_kernarg_size 112
		.amdhsa_user_sgpr_count 2
		.amdhsa_user_sgpr_dispatch_ptr 0
		.amdhsa_user_sgpr_queue_ptr 0
		.amdhsa_user_sgpr_kernarg_segment_ptr 1
		.amdhsa_user_sgpr_dispatch_id 0
		.amdhsa_user_sgpr_kernarg_preload_length 0
		.amdhsa_user_sgpr_kernarg_preload_offset 0
		.amdhsa_user_sgpr_private_segment_size 0
		.amdhsa_uses_dynamic_stack 0
		.amdhsa_enable_private_segment 0
		.amdhsa_system_sgpr_workgroup_id_x 1
		.amdhsa_system_sgpr_workgroup_id_y 0
		.amdhsa_system_sgpr_workgroup_id_z 0
		.amdhsa_system_sgpr_workgroup_info 0
		.amdhsa_system_vgpr_workitem_id 0
		.amdhsa_next_free_vgpr 1
		.amdhsa_next_free_sgpr 0
		.amdhsa_accum_offset 4
		.amdhsa_reserve_vcc 0
		.amdhsa_float_round_mode_32 0
		.amdhsa_float_round_mode_16_64 0
		.amdhsa_float_denorm_mode_32 3
		.amdhsa_float_denorm_mode_16_64 3
		.amdhsa_dx10_clamp 1
		.amdhsa_ieee_mode 1
		.amdhsa_fp16_overflow 0
		.amdhsa_tg_split 0
		.amdhsa_exception_fp_ieee_invalid_op 0
		.amdhsa_exception_fp_denorm_src 0
		.amdhsa_exception_fp_ieee_div_zero 0
		.amdhsa_exception_fp_ieee_overflow 0
		.amdhsa_exception_fp_ieee_underflow 0
		.amdhsa_exception_fp_ieee_inexact 0
		.amdhsa_exception_int_div_zero 0
	.end_amdhsa_kernel
	.section	.text._ZN7rocprim17ROCPRIM_400000_NS6detail17trampoline_kernelINS0_14default_configENS1_27scan_by_key_config_selectorIiiEEZZNS1_16scan_by_key_implILNS1_25lookback_scan_determinismE0ELb0ES3_N6thrust23THRUST_200600_302600_NS6detail15normal_iteratorINS9_10device_ptrIiEEEESE_SE_iNS9_4plusIiEE19head_flag_predicateiEE10hipError_tPvRmT2_T3_T4_T5_mT6_T7_P12ihipStream_tbENKUlT_T0_E_clISt17integral_constantIbLb1EESX_IbLb0EEEEDaST_SU_EUlST_E_NS1_11comp_targetILNS1_3genE2ELNS1_11target_archE906ELNS1_3gpuE6ELNS1_3repE0EEENS1_30default_config_static_selectorELNS0_4arch9wavefront6targetE1EEEvT1_,"axG",@progbits,_ZN7rocprim17ROCPRIM_400000_NS6detail17trampoline_kernelINS0_14default_configENS1_27scan_by_key_config_selectorIiiEEZZNS1_16scan_by_key_implILNS1_25lookback_scan_determinismE0ELb0ES3_N6thrust23THRUST_200600_302600_NS6detail15normal_iteratorINS9_10device_ptrIiEEEESE_SE_iNS9_4plusIiEE19head_flag_predicateiEE10hipError_tPvRmT2_T3_T4_T5_mT6_T7_P12ihipStream_tbENKUlT_T0_E_clISt17integral_constantIbLb1EESX_IbLb0EEEEDaST_SU_EUlST_E_NS1_11comp_targetILNS1_3genE2ELNS1_11target_archE906ELNS1_3gpuE6ELNS1_3repE0EEENS1_30default_config_static_selectorELNS0_4arch9wavefront6targetE1EEEvT1_,comdat
.Lfunc_end772:
	.size	_ZN7rocprim17ROCPRIM_400000_NS6detail17trampoline_kernelINS0_14default_configENS1_27scan_by_key_config_selectorIiiEEZZNS1_16scan_by_key_implILNS1_25lookback_scan_determinismE0ELb0ES3_N6thrust23THRUST_200600_302600_NS6detail15normal_iteratorINS9_10device_ptrIiEEEESE_SE_iNS9_4plusIiEE19head_flag_predicateiEE10hipError_tPvRmT2_T3_T4_T5_mT6_T7_P12ihipStream_tbENKUlT_T0_E_clISt17integral_constantIbLb1EESX_IbLb0EEEEDaST_SU_EUlST_E_NS1_11comp_targetILNS1_3genE2ELNS1_11target_archE906ELNS1_3gpuE6ELNS1_3repE0EEENS1_30default_config_static_selectorELNS0_4arch9wavefront6targetE1EEEvT1_, .Lfunc_end772-_ZN7rocprim17ROCPRIM_400000_NS6detail17trampoline_kernelINS0_14default_configENS1_27scan_by_key_config_selectorIiiEEZZNS1_16scan_by_key_implILNS1_25lookback_scan_determinismE0ELb0ES3_N6thrust23THRUST_200600_302600_NS6detail15normal_iteratorINS9_10device_ptrIiEEEESE_SE_iNS9_4plusIiEE19head_flag_predicateiEE10hipError_tPvRmT2_T3_T4_T5_mT6_T7_P12ihipStream_tbENKUlT_T0_E_clISt17integral_constantIbLb1EESX_IbLb0EEEEDaST_SU_EUlST_E_NS1_11comp_targetILNS1_3genE2ELNS1_11target_archE906ELNS1_3gpuE6ELNS1_3repE0EEENS1_30default_config_static_selectorELNS0_4arch9wavefront6targetE1EEEvT1_
                                        ; -- End function
	.section	.AMDGPU.csdata,"",@progbits
; Kernel info:
; codeLenInByte = 0
; NumSgprs: 6
; NumVgprs: 0
; NumAgprs: 0
; TotalNumVgprs: 0
; ScratchSize: 0
; MemoryBound: 0
; FloatMode: 240
; IeeeMode: 1
; LDSByteSize: 0 bytes/workgroup (compile time only)
; SGPRBlocks: 0
; VGPRBlocks: 0
; NumSGPRsForWavesPerEU: 6
; NumVGPRsForWavesPerEU: 1
; AccumOffset: 4
; Occupancy: 8
; WaveLimiterHint : 0
; COMPUTE_PGM_RSRC2:SCRATCH_EN: 0
; COMPUTE_PGM_RSRC2:USER_SGPR: 2
; COMPUTE_PGM_RSRC2:TRAP_HANDLER: 0
; COMPUTE_PGM_RSRC2:TGID_X_EN: 1
; COMPUTE_PGM_RSRC2:TGID_Y_EN: 0
; COMPUTE_PGM_RSRC2:TGID_Z_EN: 0
; COMPUTE_PGM_RSRC2:TIDIG_COMP_CNT: 0
; COMPUTE_PGM_RSRC3_GFX90A:ACCUM_OFFSET: 0
; COMPUTE_PGM_RSRC3_GFX90A:TG_SPLIT: 0
	.section	.text._ZN7rocprim17ROCPRIM_400000_NS6detail17trampoline_kernelINS0_14default_configENS1_27scan_by_key_config_selectorIiiEEZZNS1_16scan_by_key_implILNS1_25lookback_scan_determinismE0ELb0ES3_N6thrust23THRUST_200600_302600_NS6detail15normal_iteratorINS9_10device_ptrIiEEEESE_SE_iNS9_4plusIiEE19head_flag_predicateiEE10hipError_tPvRmT2_T3_T4_T5_mT6_T7_P12ihipStream_tbENKUlT_T0_E_clISt17integral_constantIbLb1EESX_IbLb0EEEEDaST_SU_EUlST_E_NS1_11comp_targetILNS1_3genE10ELNS1_11target_archE1200ELNS1_3gpuE4ELNS1_3repE0EEENS1_30default_config_static_selectorELNS0_4arch9wavefront6targetE1EEEvT1_,"axG",@progbits,_ZN7rocprim17ROCPRIM_400000_NS6detail17trampoline_kernelINS0_14default_configENS1_27scan_by_key_config_selectorIiiEEZZNS1_16scan_by_key_implILNS1_25lookback_scan_determinismE0ELb0ES3_N6thrust23THRUST_200600_302600_NS6detail15normal_iteratorINS9_10device_ptrIiEEEESE_SE_iNS9_4plusIiEE19head_flag_predicateiEE10hipError_tPvRmT2_T3_T4_T5_mT6_T7_P12ihipStream_tbENKUlT_T0_E_clISt17integral_constantIbLb1EESX_IbLb0EEEEDaST_SU_EUlST_E_NS1_11comp_targetILNS1_3genE10ELNS1_11target_archE1200ELNS1_3gpuE4ELNS1_3repE0EEENS1_30default_config_static_selectorELNS0_4arch9wavefront6targetE1EEEvT1_,comdat
	.protected	_ZN7rocprim17ROCPRIM_400000_NS6detail17trampoline_kernelINS0_14default_configENS1_27scan_by_key_config_selectorIiiEEZZNS1_16scan_by_key_implILNS1_25lookback_scan_determinismE0ELb0ES3_N6thrust23THRUST_200600_302600_NS6detail15normal_iteratorINS9_10device_ptrIiEEEESE_SE_iNS9_4plusIiEE19head_flag_predicateiEE10hipError_tPvRmT2_T3_T4_T5_mT6_T7_P12ihipStream_tbENKUlT_T0_E_clISt17integral_constantIbLb1EESX_IbLb0EEEEDaST_SU_EUlST_E_NS1_11comp_targetILNS1_3genE10ELNS1_11target_archE1200ELNS1_3gpuE4ELNS1_3repE0EEENS1_30default_config_static_selectorELNS0_4arch9wavefront6targetE1EEEvT1_ ; -- Begin function _ZN7rocprim17ROCPRIM_400000_NS6detail17trampoline_kernelINS0_14default_configENS1_27scan_by_key_config_selectorIiiEEZZNS1_16scan_by_key_implILNS1_25lookback_scan_determinismE0ELb0ES3_N6thrust23THRUST_200600_302600_NS6detail15normal_iteratorINS9_10device_ptrIiEEEESE_SE_iNS9_4plusIiEE19head_flag_predicateiEE10hipError_tPvRmT2_T3_T4_T5_mT6_T7_P12ihipStream_tbENKUlT_T0_E_clISt17integral_constantIbLb1EESX_IbLb0EEEEDaST_SU_EUlST_E_NS1_11comp_targetILNS1_3genE10ELNS1_11target_archE1200ELNS1_3gpuE4ELNS1_3repE0EEENS1_30default_config_static_selectorELNS0_4arch9wavefront6targetE1EEEvT1_
	.globl	_ZN7rocprim17ROCPRIM_400000_NS6detail17trampoline_kernelINS0_14default_configENS1_27scan_by_key_config_selectorIiiEEZZNS1_16scan_by_key_implILNS1_25lookback_scan_determinismE0ELb0ES3_N6thrust23THRUST_200600_302600_NS6detail15normal_iteratorINS9_10device_ptrIiEEEESE_SE_iNS9_4plusIiEE19head_flag_predicateiEE10hipError_tPvRmT2_T3_T4_T5_mT6_T7_P12ihipStream_tbENKUlT_T0_E_clISt17integral_constantIbLb1EESX_IbLb0EEEEDaST_SU_EUlST_E_NS1_11comp_targetILNS1_3genE10ELNS1_11target_archE1200ELNS1_3gpuE4ELNS1_3repE0EEENS1_30default_config_static_selectorELNS0_4arch9wavefront6targetE1EEEvT1_
	.p2align	8
	.type	_ZN7rocprim17ROCPRIM_400000_NS6detail17trampoline_kernelINS0_14default_configENS1_27scan_by_key_config_selectorIiiEEZZNS1_16scan_by_key_implILNS1_25lookback_scan_determinismE0ELb0ES3_N6thrust23THRUST_200600_302600_NS6detail15normal_iteratorINS9_10device_ptrIiEEEESE_SE_iNS9_4plusIiEE19head_flag_predicateiEE10hipError_tPvRmT2_T3_T4_T5_mT6_T7_P12ihipStream_tbENKUlT_T0_E_clISt17integral_constantIbLb1EESX_IbLb0EEEEDaST_SU_EUlST_E_NS1_11comp_targetILNS1_3genE10ELNS1_11target_archE1200ELNS1_3gpuE4ELNS1_3repE0EEENS1_30default_config_static_selectorELNS0_4arch9wavefront6targetE1EEEvT1_,@function
_ZN7rocprim17ROCPRIM_400000_NS6detail17trampoline_kernelINS0_14default_configENS1_27scan_by_key_config_selectorIiiEEZZNS1_16scan_by_key_implILNS1_25lookback_scan_determinismE0ELb0ES3_N6thrust23THRUST_200600_302600_NS6detail15normal_iteratorINS9_10device_ptrIiEEEESE_SE_iNS9_4plusIiEE19head_flag_predicateiEE10hipError_tPvRmT2_T3_T4_T5_mT6_T7_P12ihipStream_tbENKUlT_T0_E_clISt17integral_constantIbLb1EESX_IbLb0EEEEDaST_SU_EUlST_E_NS1_11comp_targetILNS1_3genE10ELNS1_11target_archE1200ELNS1_3gpuE4ELNS1_3repE0EEENS1_30default_config_static_selectorELNS0_4arch9wavefront6targetE1EEEvT1_: ; @_ZN7rocprim17ROCPRIM_400000_NS6detail17trampoline_kernelINS0_14default_configENS1_27scan_by_key_config_selectorIiiEEZZNS1_16scan_by_key_implILNS1_25lookback_scan_determinismE0ELb0ES3_N6thrust23THRUST_200600_302600_NS6detail15normal_iteratorINS9_10device_ptrIiEEEESE_SE_iNS9_4plusIiEE19head_flag_predicateiEE10hipError_tPvRmT2_T3_T4_T5_mT6_T7_P12ihipStream_tbENKUlT_T0_E_clISt17integral_constantIbLb1EESX_IbLb0EEEEDaST_SU_EUlST_E_NS1_11comp_targetILNS1_3genE10ELNS1_11target_archE1200ELNS1_3gpuE4ELNS1_3repE0EEENS1_30default_config_static_selectorELNS0_4arch9wavefront6targetE1EEEvT1_
; %bb.0:
	.section	.rodata,"a",@progbits
	.p2align	6, 0x0
	.amdhsa_kernel _ZN7rocprim17ROCPRIM_400000_NS6detail17trampoline_kernelINS0_14default_configENS1_27scan_by_key_config_selectorIiiEEZZNS1_16scan_by_key_implILNS1_25lookback_scan_determinismE0ELb0ES3_N6thrust23THRUST_200600_302600_NS6detail15normal_iteratorINS9_10device_ptrIiEEEESE_SE_iNS9_4plusIiEE19head_flag_predicateiEE10hipError_tPvRmT2_T3_T4_T5_mT6_T7_P12ihipStream_tbENKUlT_T0_E_clISt17integral_constantIbLb1EESX_IbLb0EEEEDaST_SU_EUlST_E_NS1_11comp_targetILNS1_3genE10ELNS1_11target_archE1200ELNS1_3gpuE4ELNS1_3repE0EEENS1_30default_config_static_selectorELNS0_4arch9wavefront6targetE1EEEvT1_
		.amdhsa_group_segment_fixed_size 0
		.amdhsa_private_segment_fixed_size 0
		.amdhsa_kernarg_size 112
		.amdhsa_user_sgpr_count 2
		.amdhsa_user_sgpr_dispatch_ptr 0
		.amdhsa_user_sgpr_queue_ptr 0
		.amdhsa_user_sgpr_kernarg_segment_ptr 1
		.amdhsa_user_sgpr_dispatch_id 0
		.amdhsa_user_sgpr_kernarg_preload_length 0
		.amdhsa_user_sgpr_kernarg_preload_offset 0
		.amdhsa_user_sgpr_private_segment_size 0
		.amdhsa_uses_dynamic_stack 0
		.amdhsa_enable_private_segment 0
		.amdhsa_system_sgpr_workgroup_id_x 1
		.amdhsa_system_sgpr_workgroup_id_y 0
		.amdhsa_system_sgpr_workgroup_id_z 0
		.amdhsa_system_sgpr_workgroup_info 0
		.amdhsa_system_vgpr_workitem_id 0
		.amdhsa_next_free_vgpr 1
		.amdhsa_next_free_sgpr 0
		.amdhsa_accum_offset 4
		.amdhsa_reserve_vcc 0
		.amdhsa_float_round_mode_32 0
		.amdhsa_float_round_mode_16_64 0
		.amdhsa_float_denorm_mode_32 3
		.amdhsa_float_denorm_mode_16_64 3
		.amdhsa_dx10_clamp 1
		.amdhsa_ieee_mode 1
		.amdhsa_fp16_overflow 0
		.amdhsa_tg_split 0
		.amdhsa_exception_fp_ieee_invalid_op 0
		.amdhsa_exception_fp_denorm_src 0
		.amdhsa_exception_fp_ieee_div_zero 0
		.amdhsa_exception_fp_ieee_overflow 0
		.amdhsa_exception_fp_ieee_underflow 0
		.amdhsa_exception_fp_ieee_inexact 0
		.amdhsa_exception_int_div_zero 0
	.end_amdhsa_kernel
	.section	.text._ZN7rocprim17ROCPRIM_400000_NS6detail17trampoline_kernelINS0_14default_configENS1_27scan_by_key_config_selectorIiiEEZZNS1_16scan_by_key_implILNS1_25lookback_scan_determinismE0ELb0ES3_N6thrust23THRUST_200600_302600_NS6detail15normal_iteratorINS9_10device_ptrIiEEEESE_SE_iNS9_4plusIiEE19head_flag_predicateiEE10hipError_tPvRmT2_T3_T4_T5_mT6_T7_P12ihipStream_tbENKUlT_T0_E_clISt17integral_constantIbLb1EESX_IbLb0EEEEDaST_SU_EUlST_E_NS1_11comp_targetILNS1_3genE10ELNS1_11target_archE1200ELNS1_3gpuE4ELNS1_3repE0EEENS1_30default_config_static_selectorELNS0_4arch9wavefront6targetE1EEEvT1_,"axG",@progbits,_ZN7rocprim17ROCPRIM_400000_NS6detail17trampoline_kernelINS0_14default_configENS1_27scan_by_key_config_selectorIiiEEZZNS1_16scan_by_key_implILNS1_25lookback_scan_determinismE0ELb0ES3_N6thrust23THRUST_200600_302600_NS6detail15normal_iteratorINS9_10device_ptrIiEEEESE_SE_iNS9_4plusIiEE19head_flag_predicateiEE10hipError_tPvRmT2_T3_T4_T5_mT6_T7_P12ihipStream_tbENKUlT_T0_E_clISt17integral_constantIbLb1EESX_IbLb0EEEEDaST_SU_EUlST_E_NS1_11comp_targetILNS1_3genE10ELNS1_11target_archE1200ELNS1_3gpuE4ELNS1_3repE0EEENS1_30default_config_static_selectorELNS0_4arch9wavefront6targetE1EEEvT1_,comdat
.Lfunc_end773:
	.size	_ZN7rocprim17ROCPRIM_400000_NS6detail17trampoline_kernelINS0_14default_configENS1_27scan_by_key_config_selectorIiiEEZZNS1_16scan_by_key_implILNS1_25lookback_scan_determinismE0ELb0ES3_N6thrust23THRUST_200600_302600_NS6detail15normal_iteratorINS9_10device_ptrIiEEEESE_SE_iNS9_4plusIiEE19head_flag_predicateiEE10hipError_tPvRmT2_T3_T4_T5_mT6_T7_P12ihipStream_tbENKUlT_T0_E_clISt17integral_constantIbLb1EESX_IbLb0EEEEDaST_SU_EUlST_E_NS1_11comp_targetILNS1_3genE10ELNS1_11target_archE1200ELNS1_3gpuE4ELNS1_3repE0EEENS1_30default_config_static_selectorELNS0_4arch9wavefront6targetE1EEEvT1_, .Lfunc_end773-_ZN7rocprim17ROCPRIM_400000_NS6detail17trampoline_kernelINS0_14default_configENS1_27scan_by_key_config_selectorIiiEEZZNS1_16scan_by_key_implILNS1_25lookback_scan_determinismE0ELb0ES3_N6thrust23THRUST_200600_302600_NS6detail15normal_iteratorINS9_10device_ptrIiEEEESE_SE_iNS9_4plusIiEE19head_flag_predicateiEE10hipError_tPvRmT2_T3_T4_T5_mT6_T7_P12ihipStream_tbENKUlT_T0_E_clISt17integral_constantIbLb1EESX_IbLb0EEEEDaST_SU_EUlST_E_NS1_11comp_targetILNS1_3genE10ELNS1_11target_archE1200ELNS1_3gpuE4ELNS1_3repE0EEENS1_30default_config_static_selectorELNS0_4arch9wavefront6targetE1EEEvT1_
                                        ; -- End function
	.section	.AMDGPU.csdata,"",@progbits
; Kernel info:
; codeLenInByte = 0
; NumSgprs: 6
; NumVgprs: 0
; NumAgprs: 0
; TotalNumVgprs: 0
; ScratchSize: 0
; MemoryBound: 0
; FloatMode: 240
; IeeeMode: 1
; LDSByteSize: 0 bytes/workgroup (compile time only)
; SGPRBlocks: 0
; VGPRBlocks: 0
; NumSGPRsForWavesPerEU: 6
; NumVGPRsForWavesPerEU: 1
; AccumOffset: 4
; Occupancy: 8
; WaveLimiterHint : 0
; COMPUTE_PGM_RSRC2:SCRATCH_EN: 0
; COMPUTE_PGM_RSRC2:USER_SGPR: 2
; COMPUTE_PGM_RSRC2:TRAP_HANDLER: 0
; COMPUTE_PGM_RSRC2:TGID_X_EN: 1
; COMPUTE_PGM_RSRC2:TGID_Y_EN: 0
; COMPUTE_PGM_RSRC2:TGID_Z_EN: 0
; COMPUTE_PGM_RSRC2:TIDIG_COMP_CNT: 0
; COMPUTE_PGM_RSRC3_GFX90A:ACCUM_OFFSET: 0
; COMPUTE_PGM_RSRC3_GFX90A:TG_SPLIT: 0
	.section	.text._ZN7rocprim17ROCPRIM_400000_NS6detail17trampoline_kernelINS0_14default_configENS1_27scan_by_key_config_selectorIiiEEZZNS1_16scan_by_key_implILNS1_25lookback_scan_determinismE0ELb0ES3_N6thrust23THRUST_200600_302600_NS6detail15normal_iteratorINS9_10device_ptrIiEEEESE_SE_iNS9_4plusIiEE19head_flag_predicateiEE10hipError_tPvRmT2_T3_T4_T5_mT6_T7_P12ihipStream_tbENKUlT_T0_E_clISt17integral_constantIbLb1EESX_IbLb0EEEEDaST_SU_EUlST_E_NS1_11comp_targetILNS1_3genE9ELNS1_11target_archE1100ELNS1_3gpuE3ELNS1_3repE0EEENS1_30default_config_static_selectorELNS0_4arch9wavefront6targetE1EEEvT1_,"axG",@progbits,_ZN7rocprim17ROCPRIM_400000_NS6detail17trampoline_kernelINS0_14default_configENS1_27scan_by_key_config_selectorIiiEEZZNS1_16scan_by_key_implILNS1_25lookback_scan_determinismE0ELb0ES3_N6thrust23THRUST_200600_302600_NS6detail15normal_iteratorINS9_10device_ptrIiEEEESE_SE_iNS9_4plusIiEE19head_flag_predicateiEE10hipError_tPvRmT2_T3_T4_T5_mT6_T7_P12ihipStream_tbENKUlT_T0_E_clISt17integral_constantIbLb1EESX_IbLb0EEEEDaST_SU_EUlST_E_NS1_11comp_targetILNS1_3genE9ELNS1_11target_archE1100ELNS1_3gpuE3ELNS1_3repE0EEENS1_30default_config_static_selectorELNS0_4arch9wavefront6targetE1EEEvT1_,comdat
	.protected	_ZN7rocprim17ROCPRIM_400000_NS6detail17trampoline_kernelINS0_14default_configENS1_27scan_by_key_config_selectorIiiEEZZNS1_16scan_by_key_implILNS1_25lookback_scan_determinismE0ELb0ES3_N6thrust23THRUST_200600_302600_NS6detail15normal_iteratorINS9_10device_ptrIiEEEESE_SE_iNS9_4plusIiEE19head_flag_predicateiEE10hipError_tPvRmT2_T3_T4_T5_mT6_T7_P12ihipStream_tbENKUlT_T0_E_clISt17integral_constantIbLb1EESX_IbLb0EEEEDaST_SU_EUlST_E_NS1_11comp_targetILNS1_3genE9ELNS1_11target_archE1100ELNS1_3gpuE3ELNS1_3repE0EEENS1_30default_config_static_selectorELNS0_4arch9wavefront6targetE1EEEvT1_ ; -- Begin function _ZN7rocprim17ROCPRIM_400000_NS6detail17trampoline_kernelINS0_14default_configENS1_27scan_by_key_config_selectorIiiEEZZNS1_16scan_by_key_implILNS1_25lookback_scan_determinismE0ELb0ES3_N6thrust23THRUST_200600_302600_NS6detail15normal_iteratorINS9_10device_ptrIiEEEESE_SE_iNS9_4plusIiEE19head_flag_predicateiEE10hipError_tPvRmT2_T3_T4_T5_mT6_T7_P12ihipStream_tbENKUlT_T0_E_clISt17integral_constantIbLb1EESX_IbLb0EEEEDaST_SU_EUlST_E_NS1_11comp_targetILNS1_3genE9ELNS1_11target_archE1100ELNS1_3gpuE3ELNS1_3repE0EEENS1_30default_config_static_selectorELNS0_4arch9wavefront6targetE1EEEvT1_
	.globl	_ZN7rocprim17ROCPRIM_400000_NS6detail17trampoline_kernelINS0_14default_configENS1_27scan_by_key_config_selectorIiiEEZZNS1_16scan_by_key_implILNS1_25lookback_scan_determinismE0ELb0ES3_N6thrust23THRUST_200600_302600_NS6detail15normal_iteratorINS9_10device_ptrIiEEEESE_SE_iNS9_4plusIiEE19head_flag_predicateiEE10hipError_tPvRmT2_T3_T4_T5_mT6_T7_P12ihipStream_tbENKUlT_T0_E_clISt17integral_constantIbLb1EESX_IbLb0EEEEDaST_SU_EUlST_E_NS1_11comp_targetILNS1_3genE9ELNS1_11target_archE1100ELNS1_3gpuE3ELNS1_3repE0EEENS1_30default_config_static_selectorELNS0_4arch9wavefront6targetE1EEEvT1_
	.p2align	8
	.type	_ZN7rocprim17ROCPRIM_400000_NS6detail17trampoline_kernelINS0_14default_configENS1_27scan_by_key_config_selectorIiiEEZZNS1_16scan_by_key_implILNS1_25lookback_scan_determinismE0ELb0ES3_N6thrust23THRUST_200600_302600_NS6detail15normal_iteratorINS9_10device_ptrIiEEEESE_SE_iNS9_4plusIiEE19head_flag_predicateiEE10hipError_tPvRmT2_T3_T4_T5_mT6_T7_P12ihipStream_tbENKUlT_T0_E_clISt17integral_constantIbLb1EESX_IbLb0EEEEDaST_SU_EUlST_E_NS1_11comp_targetILNS1_3genE9ELNS1_11target_archE1100ELNS1_3gpuE3ELNS1_3repE0EEENS1_30default_config_static_selectorELNS0_4arch9wavefront6targetE1EEEvT1_,@function
_ZN7rocprim17ROCPRIM_400000_NS6detail17trampoline_kernelINS0_14default_configENS1_27scan_by_key_config_selectorIiiEEZZNS1_16scan_by_key_implILNS1_25lookback_scan_determinismE0ELb0ES3_N6thrust23THRUST_200600_302600_NS6detail15normal_iteratorINS9_10device_ptrIiEEEESE_SE_iNS9_4plusIiEE19head_flag_predicateiEE10hipError_tPvRmT2_T3_T4_T5_mT6_T7_P12ihipStream_tbENKUlT_T0_E_clISt17integral_constantIbLb1EESX_IbLb0EEEEDaST_SU_EUlST_E_NS1_11comp_targetILNS1_3genE9ELNS1_11target_archE1100ELNS1_3gpuE3ELNS1_3repE0EEENS1_30default_config_static_selectorELNS0_4arch9wavefront6targetE1EEEvT1_: ; @_ZN7rocprim17ROCPRIM_400000_NS6detail17trampoline_kernelINS0_14default_configENS1_27scan_by_key_config_selectorIiiEEZZNS1_16scan_by_key_implILNS1_25lookback_scan_determinismE0ELb0ES3_N6thrust23THRUST_200600_302600_NS6detail15normal_iteratorINS9_10device_ptrIiEEEESE_SE_iNS9_4plusIiEE19head_flag_predicateiEE10hipError_tPvRmT2_T3_T4_T5_mT6_T7_P12ihipStream_tbENKUlT_T0_E_clISt17integral_constantIbLb1EESX_IbLb0EEEEDaST_SU_EUlST_E_NS1_11comp_targetILNS1_3genE9ELNS1_11target_archE1100ELNS1_3gpuE3ELNS1_3repE0EEENS1_30default_config_static_selectorELNS0_4arch9wavefront6targetE1EEEvT1_
; %bb.0:
	.section	.rodata,"a",@progbits
	.p2align	6, 0x0
	.amdhsa_kernel _ZN7rocprim17ROCPRIM_400000_NS6detail17trampoline_kernelINS0_14default_configENS1_27scan_by_key_config_selectorIiiEEZZNS1_16scan_by_key_implILNS1_25lookback_scan_determinismE0ELb0ES3_N6thrust23THRUST_200600_302600_NS6detail15normal_iteratorINS9_10device_ptrIiEEEESE_SE_iNS9_4plusIiEE19head_flag_predicateiEE10hipError_tPvRmT2_T3_T4_T5_mT6_T7_P12ihipStream_tbENKUlT_T0_E_clISt17integral_constantIbLb1EESX_IbLb0EEEEDaST_SU_EUlST_E_NS1_11comp_targetILNS1_3genE9ELNS1_11target_archE1100ELNS1_3gpuE3ELNS1_3repE0EEENS1_30default_config_static_selectorELNS0_4arch9wavefront6targetE1EEEvT1_
		.amdhsa_group_segment_fixed_size 0
		.amdhsa_private_segment_fixed_size 0
		.amdhsa_kernarg_size 112
		.amdhsa_user_sgpr_count 2
		.amdhsa_user_sgpr_dispatch_ptr 0
		.amdhsa_user_sgpr_queue_ptr 0
		.amdhsa_user_sgpr_kernarg_segment_ptr 1
		.amdhsa_user_sgpr_dispatch_id 0
		.amdhsa_user_sgpr_kernarg_preload_length 0
		.amdhsa_user_sgpr_kernarg_preload_offset 0
		.amdhsa_user_sgpr_private_segment_size 0
		.amdhsa_uses_dynamic_stack 0
		.amdhsa_enable_private_segment 0
		.amdhsa_system_sgpr_workgroup_id_x 1
		.amdhsa_system_sgpr_workgroup_id_y 0
		.amdhsa_system_sgpr_workgroup_id_z 0
		.amdhsa_system_sgpr_workgroup_info 0
		.amdhsa_system_vgpr_workitem_id 0
		.amdhsa_next_free_vgpr 1
		.amdhsa_next_free_sgpr 0
		.amdhsa_accum_offset 4
		.amdhsa_reserve_vcc 0
		.amdhsa_float_round_mode_32 0
		.amdhsa_float_round_mode_16_64 0
		.amdhsa_float_denorm_mode_32 3
		.amdhsa_float_denorm_mode_16_64 3
		.amdhsa_dx10_clamp 1
		.amdhsa_ieee_mode 1
		.amdhsa_fp16_overflow 0
		.amdhsa_tg_split 0
		.amdhsa_exception_fp_ieee_invalid_op 0
		.amdhsa_exception_fp_denorm_src 0
		.amdhsa_exception_fp_ieee_div_zero 0
		.amdhsa_exception_fp_ieee_overflow 0
		.amdhsa_exception_fp_ieee_underflow 0
		.amdhsa_exception_fp_ieee_inexact 0
		.amdhsa_exception_int_div_zero 0
	.end_amdhsa_kernel
	.section	.text._ZN7rocprim17ROCPRIM_400000_NS6detail17trampoline_kernelINS0_14default_configENS1_27scan_by_key_config_selectorIiiEEZZNS1_16scan_by_key_implILNS1_25lookback_scan_determinismE0ELb0ES3_N6thrust23THRUST_200600_302600_NS6detail15normal_iteratorINS9_10device_ptrIiEEEESE_SE_iNS9_4plusIiEE19head_flag_predicateiEE10hipError_tPvRmT2_T3_T4_T5_mT6_T7_P12ihipStream_tbENKUlT_T0_E_clISt17integral_constantIbLb1EESX_IbLb0EEEEDaST_SU_EUlST_E_NS1_11comp_targetILNS1_3genE9ELNS1_11target_archE1100ELNS1_3gpuE3ELNS1_3repE0EEENS1_30default_config_static_selectorELNS0_4arch9wavefront6targetE1EEEvT1_,"axG",@progbits,_ZN7rocprim17ROCPRIM_400000_NS6detail17trampoline_kernelINS0_14default_configENS1_27scan_by_key_config_selectorIiiEEZZNS1_16scan_by_key_implILNS1_25lookback_scan_determinismE0ELb0ES3_N6thrust23THRUST_200600_302600_NS6detail15normal_iteratorINS9_10device_ptrIiEEEESE_SE_iNS9_4plusIiEE19head_flag_predicateiEE10hipError_tPvRmT2_T3_T4_T5_mT6_T7_P12ihipStream_tbENKUlT_T0_E_clISt17integral_constantIbLb1EESX_IbLb0EEEEDaST_SU_EUlST_E_NS1_11comp_targetILNS1_3genE9ELNS1_11target_archE1100ELNS1_3gpuE3ELNS1_3repE0EEENS1_30default_config_static_selectorELNS0_4arch9wavefront6targetE1EEEvT1_,comdat
.Lfunc_end774:
	.size	_ZN7rocprim17ROCPRIM_400000_NS6detail17trampoline_kernelINS0_14default_configENS1_27scan_by_key_config_selectorIiiEEZZNS1_16scan_by_key_implILNS1_25lookback_scan_determinismE0ELb0ES3_N6thrust23THRUST_200600_302600_NS6detail15normal_iteratorINS9_10device_ptrIiEEEESE_SE_iNS9_4plusIiEE19head_flag_predicateiEE10hipError_tPvRmT2_T3_T4_T5_mT6_T7_P12ihipStream_tbENKUlT_T0_E_clISt17integral_constantIbLb1EESX_IbLb0EEEEDaST_SU_EUlST_E_NS1_11comp_targetILNS1_3genE9ELNS1_11target_archE1100ELNS1_3gpuE3ELNS1_3repE0EEENS1_30default_config_static_selectorELNS0_4arch9wavefront6targetE1EEEvT1_, .Lfunc_end774-_ZN7rocprim17ROCPRIM_400000_NS6detail17trampoline_kernelINS0_14default_configENS1_27scan_by_key_config_selectorIiiEEZZNS1_16scan_by_key_implILNS1_25lookback_scan_determinismE0ELb0ES3_N6thrust23THRUST_200600_302600_NS6detail15normal_iteratorINS9_10device_ptrIiEEEESE_SE_iNS9_4plusIiEE19head_flag_predicateiEE10hipError_tPvRmT2_T3_T4_T5_mT6_T7_P12ihipStream_tbENKUlT_T0_E_clISt17integral_constantIbLb1EESX_IbLb0EEEEDaST_SU_EUlST_E_NS1_11comp_targetILNS1_3genE9ELNS1_11target_archE1100ELNS1_3gpuE3ELNS1_3repE0EEENS1_30default_config_static_selectorELNS0_4arch9wavefront6targetE1EEEvT1_
                                        ; -- End function
	.section	.AMDGPU.csdata,"",@progbits
; Kernel info:
; codeLenInByte = 0
; NumSgprs: 6
; NumVgprs: 0
; NumAgprs: 0
; TotalNumVgprs: 0
; ScratchSize: 0
; MemoryBound: 0
; FloatMode: 240
; IeeeMode: 1
; LDSByteSize: 0 bytes/workgroup (compile time only)
; SGPRBlocks: 0
; VGPRBlocks: 0
; NumSGPRsForWavesPerEU: 6
; NumVGPRsForWavesPerEU: 1
; AccumOffset: 4
; Occupancy: 8
; WaveLimiterHint : 0
; COMPUTE_PGM_RSRC2:SCRATCH_EN: 0
; COMPUTE_PGM_RSRC2:USER_SGPR: 2
; COMPUTE_PGM_RSRC2:TRAP_HANDLER: 0
; COMPUTE_PGM_RSRC2:TGID_X_EN: 1
; COMPUTE_PGM_RSRC2:TGID_Y_EN: 0
; COMPUTE_PGM_RSRC2:TGID_Z_EN: 0
; COMPUTE_PGM_RSRC2:TIDIG_COMP_CNT: 0
; COMPUTE_PGM_RSRC3_GFX90A:ACCUM_OFFSET: 0
; COMPUTE_PGM_RSRC3_GFX90A:TG_SPLIT: 0
	.section	.text._ZN7rocprim17ROCPRIM_400000_NS6detail17trampoline_kernelINS0_14default_configENS1_27scan_by_key_config_selectorIiiEEZZNS1_16scan_by_key_implILNS1_25lookback_scan_determinismE0ELb0ES3_N6thrust23THRUST_200600_302600_NS6detail15normal_iteratorINS9_10device_ptrIiEEEESE_SE_iNS9_4plusIiEE19head_flag_predicateiEE10hipError_tPvRmT2_T3_T4_T5_mT6_T7_P12ihipStream_tbENKUlT_T0_E_clISt17integral_constantIbLb1EESX_IbLb0EEEEDaST_SU_EUlST_E_NS1_11comp_targetILNS1_3genE8ELNS1_11target_archE1030ELNS1_3gpuE2ELNS1_3repE0EEENS1_30default_config_static_selectorELNS0_4arch9wavefront6targetE1EEEvT1_,"axG",@progbits,_ZN7rocprim17ROCPRIM_400000_NS6detail17trampoline_kernelINS0_14default_configENS1_27scan_by_key_config_selectorIiiEEZZNS1_16scan_by_key_implILNS1_25lookback_scan_determinismE0ELb0ES3_N6thrust23THRUST_200600_302600_NS6detail15normal_iteratorINS9_10device_ptrIiEEEESE_SE_iNS9_4plusIiEE19head_flag_predicateiEE10hipError_tPvRmT2_T3_T4_T5_mT6_T7_P12ihipStream_tbENKUlT_T0_E_clISt17integral_constantIbLb1EESX_IbLb0EEEEDaST_SU_EUlST_E_NS1_11comp_targetILNS1_3genE8ELNS1_11target_archE1030ELNS1_3gpuE2ELNS1_3repE0EEENS1_30default_config_static_selectorELNS0_4arch9wavefront6targetE1EEEvT1_,comdat
	.protected	_ZN7rocprim17ROCPRIM_400000_NS6detail17trampoline_kernelINS0_14default_configENS1_27scan_by_key_config_selectorIiiEEZZNS1_16scan_by_key_implILNS1_25lookback_scan_determinismE0ELb0ES3_N6thrust23THRUST_200600_302600_NS6detail15normal_iteratorINS9_10device_ptrIiEEEESE_SE_iNS9_4plusIiEE19head_flag_predicateiEE10hipError_tPvRmT2_T3_T4_T5_mT6_T7_P12ihipStream_tbENKUlT_T0_E_clISt17integral_constantIbLb1EESX_IbLb0EEEEDaST_SU_EUlST_E_NS1_11comp_targetILNS1_3genE8ELNS1_11target_archE1030ELNS1_3gpuE2ELNS1_3repE0EEENS1_30default_config_static_selectorELNS0_4arch9wavefront6targetE1EEEvT1_ ; -- Begin function _ZN7rocprim17ROCPRIM_400000_NS6detail17trampoline_kernelINS0_14default_configENS1_27scan_by_key_config_selectorIiiEEZZNS1_16scan_by_key_implILNS1_25lookback_scan_determinismE0ELb0ES3_N6thrust23THRUST_200600_302600_NS6detail15normal_iteratorINS9_10device_ptrIiEEEESE_SE_iNS9_4plusIiEE19head_flag_predicateiEE10hipError_tPvRmT2_T3_T4_T5_mT6_T7_P12ihipStream_tbENKUlT_T0_E_clISt17integral_constantIbLb1EESX_IbLb0EEEEDaST_SU_EUlST_E_NS1_11comp_targetILNS1_3genE8ELNS1_11target_archE1030ELNS1_3gpuE2ELNS1_3repE0EEENS1_30default_config_static_selectorELNS0_4arch9wavefront6targetE1EEEvT1_
	.globl	_ZN7rocprim17ROCPRIM_400000_NS6detail17trampoline_kernelINS0_14default_configENS1_27scan_by_key_config_selectorIiiEEZZNS1_16scan_by_key_implILNS1_25lookback_scan_determinismE0ELb0ES3_N6thrust23THRUST_200600_302600_NS6detail15normal_iteratorINS9_10device_ptrIiEEEESE_SE_iNS9_4plusIiEE19head_flag_predicateiEE10hipError_tPvRmT2_T3_T4_T5_mT6_T7_P12ihipStream_tbENKUlT_T0_E_clISt17integral_constantIbLb1EESX_IbLb0EEEEDaST_SU_EUlST_E_NS1_11comp_targetILNS1_3genE8ELNS1_11target_archE1030ELNS1_3gpuE2ELNS1_3repE0EEENS1_30default_config_static_selectorELNS0_4arch9wavefront6targetE1EEEvT1_
	.p2align	8
	.type	_ZN7rocprim17ROCPRIM_400000_NS6detail17trampoline_kernelINS0_14default_configENS1_27scan_by_key_config_selectorIiiEEZZNS1_16scan_by_key_implILNS1_25lookback_scan_determinismE0ELb0ES3_N6thrust23THRUST_200600_302600_NS6detail15normal_iteratorINS9_10device_ptrIiEEEESE_SE_iNS9_4plusIiEE19head_flag_predicateiEE10hipError_tPvRmT2_T3_T4_T5_mT6_T7_P12ihipStream_tbENKUlT_T0_E_clISt17integral_constantIbLb1EESX_IbLb0EEEEDaST_SU_EUlST_E_NS1_11comp_targetILNS1_3genE8ELNS1_11target_archE1030ELNS1_3gpuE2ELNS1_3repE0EEENS1_30default_config_static_selectorELNS0_4arch9wavefront6targetE1EEEvT1_,@function
_ZN7rocprim17ROCPRIM_400000_NS6detail17trampoline_kernelINS0_14default_configENS1_27scan_by_key_config_selectorIiiEEZZNS1_16scan_by_key_implILNS1_25lookback_scan_determinismE0ELb0ES3_N6thrust23THRUST_200600_302600_NS6detail15normal_iteratorINS9_10device_ptrIiEEEESE_SE_iNS9_4plusIiEE19head_flag_predicateiEE10hipError_tPvRmT2_T3_T4_T5_mT6_T7_P12ihipStream_tbENKUlT_T0_E_clISt17integral_constantIbLb1EESX_IbLb0EEEEDaST_SU_EUlST_E_NS1_11comp_targetILNS1_3genE8ELNS1_11target_archE1030ELNS1_3gpuE2ELNS1_3repE0EEENS1_30default_config_static_selectorELNS0_4arch9wavefront6targetE1EEEvT1_: ; @_ZN7rocprim17ROCPRIM_400000_NS6detail17trampoline_kernelINS0_14default_configENS1_27scan_by_key_config_selectorIiiEEZZNS1_16scan_by_key_implILNS1_25lookback_scan_determinismE0ELb0ES3_N6thrust23THRUST_200600_302600_NS6detail15normal_iteratorINS9_10device_ptrIiEEEESE_SE_iNS9_4plusIiEE19head_flag_predicateiEE10hipError_tPvRmT2_T3_T4_T5_mT6_T7_P12ihipStream_tbENKUlT_T0_E_clISt17integral_constantIbLb1EESX_IbLb0EEEEDaST_SU_EUlST_E_NS1_11comp_targetILNS1_3genE8ELNS1_11target_archE1030ELNS1_3gpuE2ELNS1_3repE0EEENS1_30default_config_static_selectorELNS0_4arch9wavefront6targetE1EEEvT1_
; %bb.0:
	.section	.rodata,"a",@progbits
	.p2align	6, 0x0
	.amdhsa_kernel _ZN7rocprim17ROCPRIM_400000_NS6detail17trampoline_kernelINS0_14default_configENS1_27scan_by_key_config_selectorIiiEEZZNS1_16scan_by_key_implILNS1_25lookback_scan_determinismE0ELb0ES3_N6thrust23THRUST_200600_302600_NS6detail15normal_iteratorINS9_10device_ptrIiEEEESE_SE_iNS9_4plusIiEE19head_flag_predicateiEE10hipError_tPvRmT2_T3_T4_T5_mT6_T7_P12ihipStream_tbENKUlT_T0_E_clISt17integral_constantIbLb1EESX_IbLb0EEEEDaST_SU_EUlST_E_NS1_11comp_targetILNS1_3genE8ELNS1_11target_archE1030ELNS1_3gpuE2ELNS1_3repE0EEENS1_30default_config_static_selectorELNS0_4arch9wavefront6targetE1EEEvT1_
		.amdhsa_group_segment_fixed_size 0
		.amdhsa_private_segment_fixed_size 0
		.amdhsa_kernarg_size 112
		.amdhsa_user_sgpr_count 2
		.amdhsa_user_sgpr_dispatch_ptr 0
		.amdhsa_user_sgpr_queue_ptr 0
		.amdhsa_user_sgpr_kernarg_segment_ptr 1
		.amdhsa_user_sgpr_dispatch_id 0
		.amdhsa_user_sgpr_kernarg_preload_length 0
		.amdhsa_user_sgpr_kernarg_preload_offset 0
		.amdhsa_user_sgpr_private_segment_size 0
		.amdhsa_uses_dynamic_stack 0
		.amdhsa_enable_private_segment 0
		.amdhsa_system_sgpr_workgroup_id_x 1
		.amdhsa_system_sgpr_workgroup_id_y 0
		.amdhsa_system_sgpr_workgroup_id_z 0
		.amdhsa_system_sgpr_workgroup_info 0
		.amdhsa_system_vgpr_workitem_id 0
		.amdhsa_next_free_vgpr 1
		.amdhsa_next_free_sgpr 0
		.amdhsa_accum_offset 4
		.amdhsa_reserve_vcc 0
		.amdhsa_float_round_mode_32 0
		.amdhsa_float_round_mode_16_64 0
		.amdhsa_float_denorm_mode_32 3
		.amdhsa_float_denorm_mode_16_64 3
		.amdhsa_dx10_clamp 1
		.amdhsa_ieee_mode 1
		.amdhsa_fp16_overflow 0
		.amdhsa_tg_split 0
		.amdhsa_exception_fp_ieee_invalid_op 0
		.amdhsa_exception_fp_denorm_src 0
		.amdhsa_exception_fp_ieee_div_zero 0
		.amdhsa_exception_fp_ieee_overflow 0
		.amdhsa_exception_fp_ieee_underflow 0
		.amdhsa_exception_fp_ieee_inexact 0
		.amdhsa_exception_int_div_zero 0
	.end_amdhsa_kernel
	.section	.text._ZN7rocprim17ROCPRIM_400000_NS6detail17trampoline_kernelINS0_14default_configENS1_27scan_by_key_config_selectorIiiEEZZNS1_16scan_by_key_implILNS1_25lookback_scan_determinismE0ELb0ES3_N6thrust23THRUST_200600_302600_NS6detail15normal_iteratorINS9_10device_ptrIiEEEESE_SE_iNS9_4plusIiEE19head_flag_predicateiEE10hipError_tPvRmT2_T3_T4_T5_mT6_T7_P12ihipStream_tbENKUlT_T0_E_clISt17integral_constantIbLb1EESX_IbLb0EEEEDaST_SU_EUlST_E_NS1_11comp_targetILNS1_3genE8ELNS1_11target_archE1030ELNS1_3gpuE2ELNS1_3repE0EEENS1_30default_config_static_selectorELNS0_4arch9wavefront6targetE1EEEvT1_,"axG",@progbits,_ZN7rocprim17ROCPRIM_400000_NS6detail17trampoline_kernelINS0_14default_configENS1_27scan_by_key_config_selectorIiiEEZZNS1_16scan_by_key_implILNS1_25lookback_scan_determinismE0ELb0ES3_N6thrust23THRUST_200600_302600_NS6detail15normal_iteratorINS9_10device_ptrIiEEEESE_SE_iNS9_4plusIiEE19head_flag_predicateiEE10hipError_tPvRmT2_T3_T4_T5_mT6_T7_P12ihipStream_tbENKUlT_T0_E_clISt17integral_constantIbLb1EESX_IbLb0EEEEDaST_SU_EUlST_E_NS1_11comp_targetILNS1_3genE8ELNS1_11target_archE1030ELNS1_3gpuE2ELNS1_3repE0EEENS1_30default_config_static_selectorELNS0_4arch9wavefront6targetE1EEEvT1_,comdat
.Lfunc_end775:
	.size	_ZN7rocprim17ROCPRIM_400000_NS6detail17trampoline_kernelINS0_14default_configENS1_27scan_by_key_config_selectorIiiEEZZNS1_16scan_by_key_implILNS1_25lookback_scan_determinismE0ELb0ES3_N6thrust23THRUST_200600_302600_NS6detail15normal_iteratorINS9_10device_ptrIiEEEESE_SE_iNS9_4plusIiEE19head_flag_predicateiEE10hipError_tPvRmT2_T3_T4_T5_mT6_T7_P12ihipStream_tbENKUlT_T0_E_clISt17integral_constantIbLb1EESX_IbLb0EEEEDaST_SU_EUlST_E_NS1_11comp_targetILNS1_3genE8ELNS1_11target_archE1030ELNS1_3gpuE2ELNS1_3repE0EEENS1_30default_config_static_selectorELNS0_4arch9wavefront6targetE1EEEvT1_, .Lfunc_end775-_ZN7rocprim17ROCPRIM_400000_NS6detail17trampoline_kernelINS0_14default_configENS1_27scan_by_key_config_selectorIiiEEZZNS1_16scan_by_key_implILNS1_25lookback_scan_determinismE0ELb0ES3_N6thrust23THRUST_200600_302600_NS6detail15normal_iteratorINS9_10device_ptrIiEEEESE_SE_iNS9_4plusIiEE19head_flag_predicateiEE10hipError_tPvRmT2_T3_T4_T5_mT6_T7_P12ihipStream_tbENKUlT_T0_E_clISt17integral_constantIbLb1EESX_IbLb0EEEEDaST_SU_EUlST_E_NS1_11comp_targetILNS1_3genE8ELNS1_11target_archE1030ELNS1_3gpuE2ELNS1_3repE0EEENS1_30default_config_static_selectorELNS0_4arch9wavefront6targetE1EEEvT1_
                                        ; -- End function
	.section	.AMDGPU.csdata,"",@progbits
; Kernel info:
; codeLenInByte = 0
; NumSgprs: 6
; NumVgprs: 0
; NumAgprs: 0
; TotalNumVgprs: 0
; ScratchSize: 0
; MemoryBound: 0
; FloatMode: 240
; IeeeMode: 1
; LDSByteSize: 0 bytes/workgroup (compile time only)
; SGPRBlocks: 0
; VGPRBlocks: 0
; NumSGPRsForWavesPerEU: 6
; NumVGPRsForWavesPerEU: 1
; AccumOffset: 4
; Occupancy: 8
; WaveLimiterHint : 0
; COMPUTE_PGM_RSRC2:SCRATCH_EN: 0
; COMPUTE_PGM_RSRC2:USER_SGPR: 2
; COMPUTE_PGM_RSRC2:TRAP_HANDLER: 0
; COMPUTE_PGM_RSRC2:TGID_X_EN: 1
; COMPUTE_PGM_RSRC2:TGID_Y_EN: 0
; COMPUTE_PGM_RSRC2:TGID_Z_EN: 0
; COMPUTE_PGM_RSRC2:TIDIG_COMP_CNT: 0
; COMPUTE_PGM_RSRC3_GFX90A:ACCUM_OFFSET: 0
; COMPUTE_PGM_RSRC3_GFX90A:TG_SPLIT: 0
	.section	.text._ZN7rocprim17ROCPRIM_400000_NS6detail17trampoline_kernelINS0_14default_configENS1_27scan_by_key_config_selectorIiiEEZZNS1_16scan_by_key_implILNS1_25lookback_scan_determinismE0ELb0ES3_N6thrust23THRUST_200600_302600_NS6detail15normal_iteratorINS9_10device_ptrIiEEEESE_SE_iNS9_4plusIiEE19head_flag_predicateiEE10hipError_tPvRmT2_T3_T4_T5_mT6_T7_P12ihipStream_tbENKUlT_T0_E_clISt17integral_constantIbLb0EESX_IbLb1EEEEDaST_SU_EUlST_E_NS1_11comp_targetILNS1_3genE0ELNS1_11target_archE4294967295ELNS1_3gpuE0ELNS1_3repE0EEENS1_30default_config_static_selectorELNS0_4arch9wavefront6targetE1EEEvT1_,"axG",@progbits,_ZN7rocprim17ROCPRIM_400000_NS6detail17trampoline_kernelINS0_14default_configENS1_27scan_by_key_config_selectorIiiEEZZNS1_16scan_by_key_implILNS1_25lookback_scan_determinismE0ELb0ES3_N6thrust23THRUST_200600_302600_NS6detail15normal_iteratorINS9_10device_ptrIiEEEESE_SE_iNS9_4plusIiEE19head_flag_predicateiEE10hipError_tPvRmT2_T3_T4_T5_mT6_T7_P12ihipStream_tbENKUlT_T0_E_clISt17integral_constantIbLb0EESX_IbLb1EEEEDaST_SU_EUlST_E_NS1_11comp_targetILNS1_3genE0ELNS1_11target_archE4294967295ELNS1_3gpuE0ELNS1_3repE0EEENS1_30default_config_static_selectorELNS0_4arch9wavefront6targetE1EEEvT1_,comdat
	.protected	_ZN7rocprim17ROCPRIM_400000_NS6detail17trampoline_kernelINS0_14default_configENS1_27scan_by_key_config_selectorIiiEEZZNS1_16scan_by_key_implILNS1_25lookback_scan_determinismE0ELb0ES3_N6thrust23THRUST_200600_302600_NS6detail15normal_iteratorINS9_10device_ptrIiEEEESE_SE_iNS9_4plusIiEE19head_flag_predicateiEE10hipError_tPvRmT2_T3_T4_T5_mT6_T7_P12ihipStream_tbENKUlT_T0_E_clISt17integral_constantIbLb0EESX_IbLb1EEEEDaST_SU_EUlST_E_NS1_11comp_targetILNS1_3genE0ELNS1_11target_archE4294967295ELNS1_3gpuE0ELNS1_3repE0EEENS1_30default_config_static_selectorELNS0_4arch9wavefront6targetE1EEEvT1_ ; -- Begin function _ZN7rocprim17ROCPRIM_400000_NS6detail17trampoline_kernelINS0_14default_configENS1_27scan_by_key_config_selectorIiiEEZZNS1_16scan_by_key_implILNS1_25lookback_scan_determinismE0ELb0ES3_N6thrust23THRUST_200600_302600_NS6detail15normal_iteratorINS9_10device_ptrIiEEEESE_SE_iNS9_4plusIiEE19head_flag_predicateiEE10hipError_tPvRmT2_T3_T4_T5_mT6_T7_P12ihipStream_tbENKUlT_T0_E_clISt17integral_constantIbLb0EESX_IbLb1EEEEDaST_SU_EUlST_E_NS1_11comp_targetILNS1_3genE0ELNS1_11target_archE4294967295ELNS1_3gpuE0ELNS1_3repE0EEENS1_30default_config_static_selectorELNS0_4arch9wavefront6targetE1EEEvT1_
	.globl	_ZN7rocprim17ROCPRIM_400000_NS6detail17trampoline_kernelINS0_14default_configENS1_27scan_by_key_config_selectorIiiEEZZNS1_16scan_by_key_implILNS1_25lookback_scan_determinismE0ELb0ES3_N6thrust23THRUST_200600_302600_NS6detail15normal_iteratorINS9_10device_ptrIiEEEESE_SE_iNS9_4plusIiEE19head_flag_predicateiEE10hipError_tPvRmT2_T3_T4_T5_mT6_T7_P12ihipStream_tbENKUlT_T0_E_clISt17integral_constantIbLb0EESX_IbLb1EEEEDaST_SU_EUlST_E_NS1_11comp_targetILNS1_3genE0ELNS1_11target_archE4294967295ELNS1_3gpuE0ELNS1_3repE0EEENS1_30default_config_static_selectorELNS0_4arch9wavefront6targetE1EEEvT1_
	.p2align	8
	.type	_ZN7rocprim17ROCPRIM_400000_NS6detail17trampoline_kernelINS0_14default_configENS1_27scan_by_key_config_selectorIiiEEZZNS1_16scan_by_key_implILNS1_25lookback_scan_determinismE0ELb0ES3_N6thrust23THRUST_200600_302600_NS6detail15normal_iteratorINS9_10device_ptrIiEEEESE_SE_iNS9_4plusIiEE19head_flag_predicateiEE10hipError_tPvRmT2_T3_T4_T5_mT6_T7_P12ihipStream_tbENKUlT_T0_E_clISt17integral_constantIbLb0EESX_IbLb1EEEEDaST_SU_EUlST_E_NS1_11comp_targetILNS1_3genE0ELNS1_11target_archE4294967295ELNS1_3gpuE0ELNS1_3repE0EEENS1_30default_config_static_selectorELNS0_4arch9wavefront6targetE1EEEvT1_,@function
_ZN7rocprim17ROCPRIM_400000_NS6detail17trampoline_kernelINS0_14default_configENS1_27scan_by_key_config_selectorIiiEEZZNS1_16scan_by_key_implILNS1_25lookback_scan_determinismE0ELb0ES3_N6thrust23THRUST_200600_302600_NS6detail15normal_iteratorINS9_10device_ptrIiEEEESE_SE_iNS9_4plusIiEE19head_flag_predicateiEE10hipError_tPvRmT2_T3_T4_T5_mT6_T7_P12ihipStream_tbENKUlT_T0_E_clISt17integral_constantIbLb0EESX_IbLb1EEEEDaST_SU_EUlST_E_NS1_11comp_targetILNS1_3genE0ELNS1_11target_archE4294967295ELNS1_3gpuE0ELNS1_3repE0EEENS1_30default_config_static_selectorELNS0_4arch9wavefront6targetE1EEEvT1_: ; @_ZN7rocprim17ROCPRIM_400000_NS6detail17trampoline_kernelINS0_14default_configENS1_27scan_by_key_config_selectorIiiEEZZNS1_16scan_by_key_implILNS1_25lookback_scan_determinismE0ELb0ES3_N6thrust23THRUST_200600_302600_NS6detail15normal_iteratorINS9_10device_ptrIiEEEESE_SE_iNS9_4plusIiEE19head_flag_predicateiEE10hipError_tPvRmT2_T3_T4_T5_mT6_T7_P12ihipStream_tbENKUlT_T0_E_clISt17integral_constantIbLb0EESX_IbLb1EEEEDaST_SU_EUlST_E_NS1_11comp_targetILNS1_3genE0ELNS1_11target_archE4294967295ELNS1_3gpuE0ELNS1_3repE0EEENS1_30default_config_static_selectorELNS0_4arch9wavefront6targetE1EEEvT1_
; %bb.0:
	.section	.rodata,"a",@progbits
	.p2align	6, 0x0
	.amdhsa_kernel _ZN7rocprim17ROCPRIM_400000_NS6detail17trampoline_kernelINS0_14default_configENS1_27scan_by_key_config_selectorIiiEEZZNS1_16scan_by_key_implILNS1_25lookback_scan_determinismE0ELb0ES3_N6thrust23THRUST_200600_302600_NS6detail15normal_iteratorINS9_10device_ptrIiEEEESE_SE_iNS9_4plusIiEE19head_flag_predicateiEE10hipError_tPvRmT2_T3_T4_T5_mT6_T7_P12ihipStream_tbENKUlT_T0_E_clISt17integral_constantIbLb0EESX_IbLb1EEEEDaST_SU_EUlST_E_NS1_11comp_targetILNS1_3genE0ELNS1_11target_archE4294967295ELNS1_3gpuE0ELNS1_3repE0EEENS1_30default_config_static_selectorELNS0_4arch9wavefront6targetE1EEEvT1_
		.amdhsa_group_segment_fixed_size 0
		.amdhsa_private_segment_fixed_size 0
		.amdhsa_kernarg_size 112
		.amdhsa_user_sgpr_count 2
		.amdhsa_user_sgpr_dispatch_ptr 0
		.amdhsa_user_sgpr_queue_ptr 0
		.amdhsa_user_sgpr_kernarg_segment_ptr 1
		.amdhsa_user_sgpr_dispatch_id 0
		.amdhsa_user_sgpr_kernarg_preload_length 0
		.amdhsa_user_sgpr_kernarg_preload_offset 0
		.amdhsa_user_sgpr_private_segment_size 0
		.amdhsa_uses_dynamic_stack 0
		.amdhsa_enable_private_segment 0
		.amdhsa_system_sgpr_workgroup_id_x 1
		.amdhsa_system_sgpr_workgroup_id_y 0
		.amdhsa_system_sgpr_workgroup_id_z 0
		.amdhsa_system_sgpr_workgroup_info 0
		.amdhsa_system_vgpr_workitem_id 0
		.amdhsa_next_free_vgpr 1
		.amdhsa_next_free_sgpr 0
		.amdhsa_accum_offset 4
		.amdhsa_reserve_vcc 0
		.amdhsa_float_round_mode_32 0
		.amdhsa_float_round_mode_16_64 0
		.amdhsa_float_denorm_mode_32 3
		.amdhsa_float_denorm_mode_16_64 3
		.amdhsa_dx10_clamp 1
		.amdhsa_ieee_mode 1
		.amdhsa_fp16_overflow 0
		.amdhsa_tg_split 0
		.amdhsa_exception_fp_ieee_invalid_op 0
		.amdhsa_exception_fp_denorm_src 0
		.amdhsa_exception_fp_ieee_div_zero 0
		.amdhsa_exception_fp_ieee_overflow 0
		.amdhsa_exception_fp_ieee_underflow 0
		.amdhsa_exception_fp_ieee_inexact 0
		.amdhsa_exception_int_div_zero 0
	.end_amdhsa_kernel
	.section	.text._ZN7rocprim17ROCPRIM_400000_NS6detail17trampoline_kernelINS0_14default_configENS1_27scan_by_key_config_selectorIiiEEZZNS1_16scan_by_key_implILNS1_25lookback_scan_determinismE0ELb0ES3_N6thrust23THRUST_200600_302600_NS6detail15normal_iteratorINS9_10device_ptrIiEEEESE_SE_iNS9_4plusIiEE19head_flag_predicateiEE10hipError_tPvRmT2_T3_T4_T5_mT6_T7_P12ihipStream_tbENKUlT_T0_E_clISt17integral_constantIbLb0EESX_IbLb1EEEEDaST_SU_EUlST_E_NS1_11comp_targetILNS1_3genE0ELNS1_11target_archE4294967295ELNS1_3gpuE0ELNS1_3repE0EEENS1_30default_config_static_selectorELNS0_4arch9wavefront6targetE1EEEvT1_,"axG",@progbits,_ZN7rocprim17ROCPRIM_400000_NS6detail17trampoline_kernelINS0_14default_configENS1_27scan_by_key_config_selectorIiiEEZZNS1_16scan_by_key_implILNS1_25lookback_scan_determinismE0ELb0ES3_N6thrust23THRUST_200600_302600_NS6detail15normal_iteratorINS9_10device_ptrIiEEEESE_SE_iNS9_4plusIiEE19head_flag_predicateiEE10hipError_tPvRmT2_T3_T4_T5_mT6_T7_P12ihipStream_tbENKUlT_T0_E_clISt17integral_constantIbLb0EESX_IbLb1EEEEDaST_SU_EUlST_E_NS1_11comp_targetILNS1_3genE0ELNS1_11target_archE4294967295ELNS1_3gpuE0ELNS1_3repE0EEENS1_30default_config_static_selectorELNS0_4arch9wavefront6targetE1EEEvT1_,comdat
.Lfunc_end776:
	.size	_ZN7rocprim17ROCPRIM_400000_NS6detail17trampoline_kernelINS0_14default_configENS1_27scan_by_key_config_selectorIiiEEZZNS1_16scan_by_key_implILNS1_25lookback_scan_determinismE0ELb0ES3_N6thrust23THRUST_200600_302600_NS6detail15normal_iteratorINS9_10device_ptrIiEEEESE_SE_iNS9_4plusIiEE19head_flag_predicateiEE10hipError_tPvRmT2_T3_T4_T5_mT6_T7_P12ihipStream_tbENKUlT_T0_E_clISt17integral_constantIbLb0EESX_IbLb1EEEEDaST_SU_EUlST_E_NS1_11comp_targetILNS1_3genE0ELNS1_11target_archE4294967295ELNS1_3gpuE0ELNS1_3repE0EEENS1_30default_config_static_selectorELNS0_4arch9wavefront6targetE1EEEvT1_, .Lfunc_end776-_ZN7rocprim17ROCPRIM_400000_NS6detail17trampoline_kernelINS0_14default_configENS1_27scan_by_key_config_selectorIiiEEZZNS1_16scan_by_key_implILNS1_25lookback_scan_determinismE0ELb0ES3_N6thrust23THRUST_200600_302600_NS6detail15normal_iteratorINS9_10device_ptrIiEEEESE_SE_iNS9_4plusIiEE19head_flag_predicateiEE10hipError_tPvRmT2_T3_T4_T5_mT6_T7_P12ihipStream_tbENKUlT_T0_E_clISt17integral_constantIbLb0EESX_IbLb1EEEEDaST_SU_EUlST_E_NS1_11comp_targetILNS1_3genE0ELNS1_11target_archE4294967295ELNS1_3gpuE0ELNS1_3repE0EEENS1_30default_config_static_selectorELNS0_4arch9wavefront6targetE1EEEvT1_
                                        ; -- End function
	.section	.AMDGPU.csdata,"",@progbits
; Kernel info:
; codeLenInByte = 0
; NumSgprs: 6
; NumVgprs: 0
; NumAgprs: 0
; TotalNumVgprs: 0
; ScratchSize: 0
; MemoryBound: 0
; FloatMode: 240
; IeeeMode: 1
; LDSByteSize: 0 bytes/workgroup (compile time only)
; SGPRBlocks: 0
; VGPRBlocks: 0
; NumSGPRsForWavesPerEU: 6
; NumVGPRsForWavesPerEU: 1
; AccumOffset: 4
; Occupancy: 8
; WaveLimiterHint : 0
; COMPUTE_PGM_RSRC2:SCRATCH_EN: 0
; COMPUTE_PGM_RSRC2:USER_SGPR: 2
; COMPUTE_PGM_RSRC2:TRAP_HANDLER: 0
; COMPUTE_PGM_RSRC2:TGID_X_EN: 1
; COMPUTE_PGM_RSRC2:TGID_Y_EN: 0
; COMPUTE_PGM_RSRC2:TGID_Z_EN: 0
; COMPUTE_PGM_RSRC2:TIDIG_COMP_CNT: 0
; COMPUTE_PGM_RSRC3_GFX90A:ACCUM_OFFSET: 0
; COMPUTE_PGM_RSRC3_GFX90A:TG_SPLIT: 0
	.section	.text._ZN7rocprim17ROCPRIM_400000_NS6detail17trampoline_kernelINS0_14default_configENS1_27scan_by_key_config_selectorIiiEEZZNS1_16scan_by_key_implILNS1_25lookback_scan_determinismE0ELb0ES3_N6thrust23THRUST_200600_302600_NS6detail15normal_iteratorINS9_10device_ptrIiEEEESE_SE_iNS9_4plusIiEE19head_flag_predicateiEE10hipError_tPvRmT2_T3_T4_T5_mT6_T7_P12ihipStream_tbENKUlT_T0_E_clISt17integral_constantIbLb0EESX_IbLb1EEEEDaST_SU_EUlST_E_NS1_11comp_targetILNS1_3genE10ELNS1_11target_archE1201ELNS1_3gpuE5ELNS1_3repE0EEENS1_30default_config_static_selectorELNS0_4arch9wavefront6targetE1EEEvT1_,"axG",@progbits,_ZN7rocprim17ROCPRIM_400000_NS6detail17trampoline_kernelINS0_14default_configENS1_27scan_by_key_config_selectorIiiEEZZNS1_16scan_by_key_implILNS1_25lookback_scan_determinismE0ELb0ES3_N6thrust23THRUST_200600_302600_NS6detail15normal_iteratorINS9_10device_ptrIiEEEESE_SE_iNS9_4plusIiEE19head_flag_predicateiEE10hipError_tPvRmT2_T3_T4_T5_mT6_T7_P12ihipStream_tbENKUlT_T0_E_clISt17integral_constantIbLb0EESX_IbLb1EEEEDaST_SU_EUlST_E_NS1_11comp_targetILNS1_3genE10ELNS1_11target_archE1201ELNS1_3gpuE5ELNS1_3repE0EEENS1_30default_config_static_selectorELNS0_4arch9wavefront6targetE1EEEvT1_,comdat
	.protected	_ZN7rocprim17ROCPRIM_400000_NS6detail17trampoline_kernelINS0_14default_configENS1_27scan_by_key_config_selectorIiiEEZZNS1_16scan_by_key_implILNS1_25lookback_scan_determinismE0ELb0ES3_N6thrust23THRUST_200600_302600_NS6detail15normal_iteratorINS9_10device_ptrIiEEEESE_SE_iNS9_4plusIiEE19head_flag_predicateiEE10hipError_tPvRmT2_T3_T4_T5_mT6_T7_P12ihipStream_tbENKUlT_T0_E_clISt17integral_constantIbLb0EESX_IbLb1EEEEDaST_SU_EUlST_E_NS1_11comp_targetILNS1_3genE10ELNS1_11target_archE1201ELNS1_3gpuE5ELNS1_3repE0EEENS1_30default_config_static_selectorELNS0_4arch9wavefront6targetE1EEEvT1_ ; -- Begin function _ZN7rocprim17ROCPRIM_400000_NS6detail17trampoline_kernelINS0_14default_configENS1_27scan_by_key_config_selectorIiiEEZZNS1_16scan_by_key_implILNS1_25lookback_scan_determinismE0ELb0ES3_N6thrust23THRUST_200600_302600_NS6detail15normal_iteratorINS9_10device_ptrIiEEEESE_SE_iNS9_4plusIiEE19head_flag_predicateiEE10hipError_tPvRmT2_T3_T4_T5_mT6_T7_P12ihipStream_tbENKUlT_T0_E_clISt17integral_constantIbLb0EESX_IbLb1EEEEDaST_SU_EUlST_E_NS1_11comp_targetILNS1_3genE10ELNS1_11target_archE1201ELNS1_3gpuE5ELNS1_3repE0EEENS1_30default_config_static_selectorELNS0_4arch9wavefront6targetE1EEEvT1_
	.globl	_ZN7rocprim17ROCPRIM_400000_NS6detail17trampoline_kernelINS0_14default_configENS1_27scan_by_key_config_selectorIiiEEZZNS1_16scan_by_key_implILNS1_25lookback_scan_determinismE0ELb0ES3_N6thrust23THRUST_200600_302600_NS6detail15normal_iteratorINS9_10device_ptrIiEEEESE_SE_iNS9_4plusIiEE19head_flag_predicateiEE10hipError_tPvRmT2_T3_T4_T5_mT6_T7_P12ihipStream_tbENKUlT_T0_E_clISt17integral_constantIbLb0EESX_IbLb1EEEEDaST_SU_EUlST_E_NS1_11comp_targetILNS1_3genE10ELNS1_11target_archE1201ELNS1_3gpuE5ELNS1_3repE0EEENS1_30default_config_static_selectorELNS0_4arch9wavefront6targetE1EEEvT1_
	.p2align	8
	.type	_ZN7rocprim17ROCPRIM_400000_NS6detail17trampoline_kernelINS0_14default_configENS1_27scan_by_key_config_selectorIiiEEZZNS1_16scan_by_key_implILNS1_25lookback_scan_determinismE0ELb0ES3_N6thrust23THRUST_200600_302600_NS6detail15normal_iteratorINS9_10device_ptrIiEEEESE_SE_iNS9_4plusIiEE19head_flag_predicateiEE10hipError_tPvRmT2_T3_T4_T5_mT6_T7_P12ihipStream_tbENKUlT_T0_E_clISt17integral_constantIbLb0EESX_IbLb1EEEEDaST_SU_EUlST_E_NS1_11comp_targetILNS1_3genE10ELNS1_11target_archE1201ELNS1_3gpuE5ELNS1_3repE0EEENS1_30default_config_static_selectorELNS0_4arch9wavefront6targetE1EEEvT1_,@function
_ZN7rocprim17ROCPRIM_400000_NS6detail17trampoline_kernelINS0_14default_configENS1_27scan_by_key_config_selectorIiiEEZZNS1_16scan_by_key_implILNS1_25lookback_scan_determinismE0ELb0ES3_N6thrust23THRUST_200600_302600_NS6detail15normal_iteratorINS9_10device_ptrIiEEEESE_SE_iNS9_4plusIiEE19head_flag_predicateiEE10hipError_tPvRmT2_T3_T4_T5_mT6_T7_P12ihipStream_tbENKUlT_T0_E_clISt17integral_constantIbLb0EESX_IbLb1EEEEDaST_SU_EUlST_E_NS1_11comp_targetILNS1_3genE10ELNS1_11target_archE1201ELNS1_3gpuE5ELNS1_3repE0EEENS1_30default_config_static_selectorELNS0_4arch9wavefront6targetE1EEEvT1_: ; @_ZN7rocprim17ROCPRIM_400000_NS6detail17trampoline_kernelINS0_14default_configENS1_27scan_by_key_config_selectorIiiEEZZNS1_16scan_by_key_implILNS1_25lookback_scan_determinismE0ELb0ES3_N6thrust23THRUST_200600_302600_NS6detail15normal_iteratorINS9_10device_ptrIiEEEESE_SE_iNS9_4plusIiEE19head_flag_predicateiEE10hipError_tPvRmT2_T3_T4_T5_mT6_T7_P12ihipStream_tbENKUlT_T0_E_clISt17integral_constantIbLb0EESX_IbLb1EEEEDaST_SU_EUlST_E_NS1_11comp_targetILNS1_3genE10ELNS1_11target_archE1201ELNS1_3gpuE5ELNS1_3repE0EEENS1_30default_config_static_selectorELNS0_4arch9wavefront6targetE1EEEvT1_
; %bb.0:
	.section	.rodata,"a",@progbits
	.p2align	6, 0x0
	.amdhsa_kernel _ZN7rocprim17ROCPRIM_400000_NS6detail17trampoline_kernelINS0_14default_configENS1_27scan_by_key_config_selectorIiiEEZZNS1_16scan_by_key_implILNS1_25lookback_scan_determinismE0ELb0ES3_N6thrust23THRUST_200600_302600_NS6detail15normal_iteratorINS9_10device_ptrIiEEEESE_SE_iNS9_4plusIiEE19head_flag_predicateiEE10hipError_tPvRmT2_T3_T4_T5_mT6_T7_P12ihipStream_tbENKUlT_T0_E_clISt17integral_constantIbLb0EESX_IbLb1EEEEDaST_SU_EUlST_E_NS1_11comp_targetILNS1_3genE10ELNS1_11target_archE1201ELNS1_3gpuE5ELNS1_3repE0EEENS1_30default_config_static_selectorELNS0_4arch9wavefront6targetE1EEEvT1_
		.amdhsa_group_segment_fixed_size 0
		.amdhsa_private_segment_fixed_size 0
		.amdhsa_kernarg_size 112
		.amdhsa_user_sgpr_count 2
		.amdhsa_user_sgpr_dispatch_ptr 0
		.amdhsa_user_sgpr_queue_ptr 0
		.amdhsa_user_sgpr_kernarg_segment_ptr 1
		.amdhsa_user_sgpr_dispatch_id 0
		.amdhsa_user_sgpr_kernarg_preload_length 0
		.amdhsa_user_sgpr_kernarg_preload_offset 0
		.amdhsa_user_sgpr_private_segment_size 0
		.amdhsa_uses_dynamic_stack 0
		.amdhsa_enable_private_segment 0
		.amdhsa_system_sgpr_workgroup_id_x 1
		.amdhsa_system_sgpr_workgroup_id_y 0
		.amdhsa_system_sgpr_workgroup_id_z 0
		.amdhsa_system_sgpr_workgroup_info 0
		.amdhsa_system_vgpr_workitem_id 0
		.amdhsa_next_free_vgpr 1
		.amdhsa_next_free_sgpr 0
		.amdhsa_accum_offset 4
		.amdhsa_reserve_vcc 0
		.amdhsa_float_round_mode_32 0
		.amdhsa_float_round_mode_16_64 0
		.amdhsa_float_denorm_mode_32 3
		.amdhsa_float_denorm_mode_16_64 3
		.amdhsa_dx10_clamp 1
		.amdhsa_ieee_mode 1
		.amdhsa_fp16_overflow 0
		.amdhsa_tg_split 0
		.amdhsa_exception_fp_ieee_invalid_op 0
		.amdhsa_exception_fp_denorm_src 0
		.amdhsa_exception_fp_ieee_div_zero 0
		.amdhsa_exception_fp_ieee_overflow 0
		.amdhsa_exception_fp_ieee_underflow 0
		.amdhsa_exception_fp_ieee_inexact 0
		.amdhsa_exception_int_div_zero 0
	.end_amdhsa_kernel
	.section	.text._ZN7rocprim17ROCPRIM_400000_NS6detail17trampoline_kernelINS0_14default_configENS1_27scan_by_key_config_selectorIiiEEZZNS1_16scan_by_key_implILNS1_25lookback_scan_determinismE0ELb0ES3_N6thrust23THRUST_200600_302600_NS6detail15normal_iteratorINS9_10device_ptrIiEEEESE_SE_iNS9_4plusIiEE19head_flag_predicateiEE10hipError_tPvRmT2_T3_T4_T5_mT6_T7_P12ihipStream_tbENKUlT_T0_E_clISt17integral_constantIbLb0EESX_IbLb1EEEEDaST_SU_EUlST_E_NS1_11comp_targetILNS1_3genE10ELNS1_11target_archE1201ELNS1_3gpuE5ELNS1_3repE0EEENS1_30default_config_static_selectorELNS0_4arch9wavefront6targetE1EEEvT1_,"axG",@progbits,_ZN7rocprim17ROCPRIM_400000_NS6detail17trampoline_kernelINS0_14default_configENS1_27scan_by_key_config_selectorIiiEEZZNS1_16scan_by_key_implILNS1_25lookback_scan_determinismE0ELb0ES3_N6thrust23THRUST_200600_302600_NS6detail15normal_iteratorINS9_10device_ptrIiEEEESE_SE_iNS9_4plusIiEE19head_flag_predicateiEE10hipError_tPvRmT2_T3_T4_T5_mT6_T7_P12ihipStream_tbENKUlT_T0_E_clISt17integral_constantIbLb0EESX_IbLb1EEEEDaST_SU_EUlST_E_NS1_11comp_targetILNS1_3genE10ELNS1_11target_archE1201ELNS1_3gpuE5ELNS1_3repE0EEENS1_30default_config_static_selectorELNS0_4arch9wavefront6targetE1EEEvT1_,comdat
.Lfunc_end777:
	.size	_ZN7rocprim17ROCPRIM_400000_NS6detail17trampoline_kernelINS0_14default_configENS1_27scan_by_key_config_selectorIiiEEZZNS1_16scan_by_key_implILNS1_25lookback_scan_determinismE0ELb0ES3_N6thrust23THRUST_200600_302600_NS6detail15normal_iteratorINS9_10device_ptrIiEEEESE_SE_iNS9_4plusIiEE19head_flag_predicateiEE10hipError_tPvRmT2_T3_T4_T5_mT6_T7_P12ihipStream_tbENKUlT_T0_E_clISt17integral_constantIbLb0EESX_IbLb1EEEEDaST_SU_EUlST_E_NS1_11comp_targetILNS1_3genE10ELNS1_11target_archE1201ELNS1_3gpuE5ELNS1_3repE0EEENS1_30default_config_static_selectorELNS0_4arch9wavefront6targetE1EEEvT1_, .Lfunc_end777-_ZN7rocprim17ROCPRIM_400000_NS6detail17trampoline_kernelINS0_14default_configENS1_27scan_by_key_config_selectorIiiEEZZNS1_16scan_by_key_implILNS1_25lookback_scan_determinismE0ELb0ES3_N6thrust23THRUST_200600_302600_NS6detail15normal_iteratorINS9_10device_ptrIiEEEESE_SE_iNS9_4plusIiEE19head_flag_predicateiEE10hipError_tPvRmT2_T3_T4_T5_mT6_T7_P12ihipStream_tbENKUlT_T0_E_clISt17integral_constantIbLb0EESX_IbLb1EEEEDaST_SU_EUlST_E_NS1_11comp_targetILNS1_3genE10ELNS1_11target_archE1201ELNS1_3gpuE5ELNS1_3repE0EEENS1_30default_config_static_selectorELNS0_4arch9wavefront6targetE1EEEvT1_
                                        ; -- End function
	.section	.AMDGPU.csdata,"",@progbits
; Kernel info:
; codeLenInByte = 0
; NumSgprs: 6
; NumVgprs: 0
; NumAgprs: 0
; TotalNumVgprs: 0
; ScratchSize: 0
; MemoryBound: 0
; FloatMode: 240
; IeeeMode: 1
; LDSByteSize: 0 bytes/workgroup (compile time only)
; SGPRBlocks: 0
; VGPRBlocks: 0
; NumSGPRsForWavesPerEU: 6
; NumVGPRsForWavesPerEU: 1
; AccumOffset: 4
; Occupancy: 8
; WaveLimiterHint : 0
; COMPUTE_PGM_RSRC2:SCRATCH_EN: 0
; COMPUTE_PGM_RSRC2:USER_SGPR: 2
; COMPUTE_PGM_RSRC2:TRAP_HANDLER: 0
; COMPUTE_PGM_RSRC2:TGID_X_EN: 1
; COMPUTE_PGM_RSRC2:TGID_Y_EN: 0
; COMPUTE_PGM_RSRC2:TGID_Z_EN: 0
; COMPUTE_PGM_RSRC2:TIDIG_COMP_CNT: 0
; COMPUTE_PGM_RSRC3_GFX90A:ACCUM_OFFSET: 0
; COMPUTE_PGM_RSRC3_GFX90A:TG_SPLIT: 0
	.section	.text._ZN7rocprim17ROCPRIM_400000_NS6detail17trampoline_kernelINS0_14default_configENS1_27scan_by_key_config_selectorIiiEEZZNS1_16scan_by_key_implILNS1_25lookback_scan_determinismE0ELb0ES3_N6thrust23THRUST_200600_302600_NS6detail15normal_iteratorINS9_10device_ptrIiEEEESE_SE_iNS9_4plusIiEE19head_flag_predicateiEE10hipError_tPvRmT2_T3_T4_T5_mT6_T7_P12ihipStream_tbENKUlT_T0_E_clISt17integral_constantIbLb0EESX_IbLb1EEEEDaST_SU_EUlST_E_NS1_11comp_targetILNS1_3genE5ELNS1_11target_archE942ELNS1_3gpuE9ELNS1_3repE0EEENS1_30default_config_static_selectorELNS0_4arch9wavefront6targetE1EEEvT1_,"axG",@progbits,_ZN7rocprim17ROCPRIM_400000_NS6detail17trampoline_kernelINS0_14default_configENS1_27scan_by_key_config_selectorIiiEEZZNS1_16scan_by_key_implILNS1_25lookback_scan_determinismE0ELb0ES3_N6thrust23THRUST_200600_302600_NS6detail15normal_iteratorINS9_10device_ptrIiEEEESE_SE_iNS9_4plusIiEE19head_flag_predicateiEE10hipError_tPvRmT2_T3_T4_T5_mT6_T7_P12ihipStream_tbENKUlT_T0_E_clISt17integral_constantIbLb0EESX_IbLb1EEEEDaST_SU_EUlST_E_NS1_11comp_targetILNS1_3genE5ELNS1_11target_archE942ELNS1_3gpuE9ELNS1_3repE0EEENS1_30default_config_static_selectorELNS0_4arch9wavefront6targetE1EEEvT1_,comdat
	.protected	_ZN7rocprim17ROCPRIM_400000_NS6detail17trampoline_kernelINS0_14default_configENS1_27scan_by_key_config_selectorIiiEEZZNS1_16scan_by_key_implILNS1_25lookback_scan_determinismE0ELb0ES3_N6thrust23THRUST_200600_302600_NS6detail15normal_iteratorINS9_10device_ptrIiEEEESE_SE_iNS9_4plusIiEE19head_flag_predicateiEE10hipError_tPvRmT2_T3_T4_T5_mT6_T7_P12ihipStream_tbENKUlT_T0_E_clISt17integral_constantIbLb0EESX_IbLb1EEEEDaST_SU_EUlST_E_NS1_11comp_targetILNS1_3genE5ELNS1_11target_archE942ELNS1_3gpuE9ELNS1_3repE0EEENS1_30default_config_static_selectorELNS0_4arch9wavefront6targetE1EEEvT1_ ; -- Begin function _ZN7rocprim17ROCPRIM_400000_NS6detail17trampoline_kernelINS0_14default_configENS1_27scan_by_key_config_selectorIiiEEZZNS1_16scan_by_key_implILNS1_25lookback_scan_determinismE0ELb0ES3_N6thrust23THRUST_200600_302600_NS6detail15normal_iteratorINS9_10device_ptrIiEEEESE_SE_iNS9_4plusIiEE19head_flag_predicateiEE10hipError_tPvRmT2_T3_T4_T5_mT6_T7_P12ihipStream_tbENKUlT_T0_E_clISt17integral_constantIbLb0EESX_IbLb1EEEEDaST_SU_EUlST_E_NS1_11comp_targetILNS1_3genE5ELNS1_11target_archE942ELNS1_3gpuE9ELNS1_3repE0EEENS1_30default_config_static_selectorELNS0_4arch9wavefront6targetE1EEEvT1_
	.globl	_ZN7rocprim17ROCPRIM_400000_NS6detail17trampoline_kernelINS0_14default_configENS1_27scan_by_key_config_selectorIiiEEZZNS1_16scan_by_key_implILNS1_25lookback_scan_determinismE0ELb0ES3_N6thrust23THRUST_200600_302600_NS6detail15normal_iteratorINS9_10device_ptrIiEEEESE_SE_iNS9_4plusIiEE19head_flag_predicateiEE10hipError_tPvRmT2_T3_T4_T5_mT6_T7_P12ihipStream_tbENKUlT_T0_E_clISt17integral_constantIbLb0EESX_IbLb1EEEEDaST_SU_EUlST_E_NS1_11comp_targetILNS1_3genE5ELNS1_11target_archE942ELNS1_3gpuE9ELNS1_3repE0EEENS1_30default_config_static_selectorELNS0_4arch9wavefront6targetE1EEEvT1_
	.p2align	8
	.type	_ZN7rocprim17ROCPRIM_400000_NS6detail17trampoline_kernelINS0_14default_configENS1_27scan_by_key_config_selectorIiiEEZZNS1_16scan_by_key_implILNS1_25lookback_scan_determinismE0ELb0ES3_N6thrust23THRUST_200600_302600_NS6detail15normal_iteratorINS9_10device_ptrIiEEEESE_SE_iNS9_4plusIiEE19head_flag_predicateiEE10hipError_tPvRmT2_T3_T4_T5_mT6_T7_P12ihipStream_tbENKUlT_T0_E_clISt17integral_constantIbLb0EESX_IbLb1EEEEDaST_SU_EUlST_E_NS1_11comp_targetILNS1_3genE5ELNS1_11target_archE942ELNS1_3gpuE9ELNS1_3repE0EEENS1_30default_config_static_selectorELNS0_4arch9wavefront6targetE1EEEvT1_,@function
_ZN7rocprim17ROCPRIM_400000_NS6detail17trampoline_kernelINS0_14default_configENS1_27scan_by_key_config_selectorIiiEEZZNS1_16scan_by_key_implILNS1_25lookback_scan_determinismE0ELb0ES3_N6thrust23THRUST_200600_302600_NS6detail15normal_iteratorINS9_10device_ptrIiEEEESE_SE_iNS9_4plusIiEE19head_flag_predicateiEE10hipError_tPvRmT2_T3_T4_T5_mT6_T7_P12ihipStream_tbENKUlT_T0_E_clISt17integral_constantIbLb0EESX_IbLb1EEEEDaST_SU_EUlST_E_NS1_11comp_targetILNS1_3genE5ELNS1_11target_archE942ELNS1_3gpuE9ELNS1_3repE0EEENS1_30default_config_static_selectorELNS0_4arch9wavefront6targetE1EEEvT1_: ; @_ZN7rocprim17ROCPRIM_400000_NS6detail17trampoline_kernelINS0_14default_configENS1_27scan_by_key_config_selectorIiiEEZZNS1_16scan_by_key_implILNS1_25lookback_scan_determinismE0ELb0ES3_N6thrust23THRUST_200600_302600_NS6detail15normal_iteratorINS9_10device_ptrIiEEEESE_SE_iNS9_4plusIiEE19head_flag_predicateiEE10hipError_tPvRmT2_T3_T4_T5_mT6_T7_P12ihipStream_tbENKUlT_T0_E_clISt17integral_constantIbLb0EESX_IbLb1EEEEDaST_SU_EUlST_E_NS1_11comp_targetILNS1_3genE5ELNS1_11target_archE942ELNS1_3gpuE9ELNS1_3repE0EEENS1_30default_config_static_selectorELNS0_4arch9wavefront6targetE1EEEvT1_
; %bb.0:
	s_load_dwordx4 s[64:67], s[0:1], 0x28
	s_load_dwordx2 s[72:73], s[0:1], 0x38
	v_cmp_ne_u32_e64 s[4:5], 0, v0
	v_cmp_eq_u32_e64 s[54:55], 0, v0
	s_and_saveexec_b64 s[2:3], s[54:55]
	s_cbranch_execz .LBB778_4
; %bb.1:
	s_mov_b64 s[8:9], exec
	v_mbcnt_lo_u32_b32 v1, s8, 0
	v_mbcnt_hi_u32_b32 v1, s9, v1
	v_cmp_eq_u32_e32 vcc, 0, v1
                                        ; implicit-def: $vgpr2
	s_and_saveexec_b64 s[6:7], vcc
	s_cbranch_execz .LBB778_3
; %bb.2:
	s_load_dwordx2 s[10:11], s[0:1], 0x68
	s_bcnt1_i32_b64 s8, s[8:9]
	v_mov_b32_e32 v2, 0
	v_mov_b32_e32 v3, s8
	s_waitcnt lgkmcnt(0)
	global_atomic_add v2, v2, v3, s[10:11] sc0
.LBB778_3:
	s_or_b64 exec, exec, s[6:7]
	s_waitcnt vmcnt(0)
	v_readfirstlane_b32 s6, v2
	v_mov_b32_e32 v2, 0
	s_nop 0
	v_add_u32_e32 v1, s6, v1
	ds_write_b32 v2, v1
.LBB778_4:
	s_or_b64 exec, exec, s[2:3]
	s_load_dwordx8 s[56:63], s[0:1], 0x0
	s_load_dword s2, s[0:1], 0x40
	s_load_dwordx4 s[68:71], s[0:1], 0x48
	v_mov_b32_e32 v3, 0
	s_waitcnt lgkmcnt(0)
	s_barrier
	ds_read_b32 v2, v3
	s_lshl_b64 s[58:59], s[58:59], 2
	s_add_u32 s6, s56, s58
	s_addc_u32 s7, s57, s59
	s_add_u32 s8, s60, s58
	s_mul_i32 s0, s73, s2
	s_mul_hi_u32 s1, s72, s2
	s_waitcnt lgkmcnt(0)
	v_readfirstlane_b32 s67, v2
	s_addc_u32 s9, s61, s59
	s_add_i32 s3, s1, s0
	s_mov_b32 s1, 0
	s_mul_i32 s0, s67, 0x1700
	s_lshl_b64 s[56:57], s[0:1], 2
	s_add_u32 s52, s6, s56
	s_addc_u32 s53, s7, s57
	s_add_u32 s0, s8, s56
	s_addc_u32 s1, s9, s57
	s_mul_i32 s2, s72, s2
	s_add_u32 s8, s68, -1
	v_lshl_add_u64 v[2:3], s[2:3], 0, v[2:3]
	s_addc_u32 s9, s69, -1
	v_cmp_le_u64_e64 s[2:3], s[8:9], v[2:3]
	s_mov_b64 s[6:7], -1
	s_and_b64 vcc, exec, s[2:3]
	s_mul_i32 s33, s8, 0xffffe900
	s_barrier
	s_barrier
	s_cbranch_vccz .LBB778_73
; %bb.5:
	v_mov_b64_e32 v[2:3], s[52:53]
	flat_load_dword v1, v[2:3]
	s_add_i32 s74, s33, s66
	v_cmp_gt_u32_e32 vcc, s74, v0
	s_waitcnt vmcnt(0) lgkmcnt(0)
	v_mov_b32_e32 v4, v1
	s_and_saveexec_b64 s[6:7], vcc
	s_cbranch_execz .LBB778_7
; %bb.6:
	v_lshlrev_b32_e32 v2, 2, v0
	v_mov_b32_e32 v3, 0
	v_lshl_add_u64 v[2:3], s[52:53], 0, v[2:3]
	flat_load_dword v4, v[2:3]
.LBB778_7:
	s_or_b64 exec, exec, s[6:7]
	v_or_b32_e32 v2, 0x100, v0
	v_cmp_gt_u32_e64 s[6:7], s74, v2
	v_mov_b32_e32 v5, v1
	s_and_saveexec_b64 s[8:9], s[6:7]
	s_cbranch_execz .LBB778_9
; %bb.8:
	v_lshlrev_b32_e32 v2, 2, v0
	v_mov_b32_e32 v3, 0
	v_lshl_add_u64 v[2:3], s[52:53], 0, v[2:3]
	flat_load_dword v5, v[2:3] offset:1024
.LBB778_9:
	s_or_b64 exec, exec, s[8:9]
	v_or_b32_e32 v2, 0x200, v0
	v_cmp_gt_u32_e64 s[8:9], s74, v2
	v_mov_b32_e32 v6, v1
	s_and_saveexec_b64 s[10:11], s[8:9]
	s_cbranch_execz .LBB778_11
; %bb.10:
	v_lshlrev_b32_e32 v2, 2, v0
	v_mov_b32_e32 v3, 0
	v_lshl_add_u64 v[2:3], s[52:53], 0, v[2:3]
	flat_load_dword v6, v[2:3] offset:2048
.LBB778_11:
	;; [unrolled: 12-line block ×3, first 2 shown]
	s_or_b64 exec, exec, s[12:13]
	v_or_b32_e32 v2, 0x400, v0
	v_cmp_gt_u32_e64 s[12:13], s74, v2
	v_lshlrev_b32_e32 v2, 2, v2
	v_mov_b32_e32 v3, v1
	s_and_saveexec_b64 s[14:15], s[12:13]
	s_cbranch_execz .LBB778_15
; %bb.14:
	v_mov_b32_e32 v3, 0
	v_lshl_add_u64 v[8:9], s[52:53], 0, v[2:3]
	flat_load_dword v3, v[8:9]
.LBB778_15:
	s_or_b64 exec, exec, s[14:15]
	v_or_b32_e32 v8, 0x500, v0
	v_cmp_gt_u32_e64 s[14:15], s74, v8
	v_lshlrev_b32_e32 v10, 2, v8
	v_mov_b32_e32 v8, v1
	s_and_saveexec_b64 s[16:17], s[14:15]
	s_cbranch_execz .LBB778_17
; %bb.16:
	v_mov_b32_e32 v11, 0
	v_lshl_add_u64 v[8:9], s[52:53], 0, v[10:11]
	flat_load_dword v8, v[8:9]
.LBB778_17:
	;; [unrolled: 12-line block ×18, first 2 shown]
	s_or_b64 exec, exec, s[50:51]
	v_or_b32_e32 v41, 0x1600, v0
	v_cmp_gt_u32_e64 s[50:51], s74, v41
	v_lshlrev_b32_e32 v44, 2, v41
	s_and_saveexec_b64 s[60:61], s[50:51]
	s_cbranch_execz .LBB778_51
; %bb.50:
	v_mov_b32_e32 v45, 0
	v_lshl_add_u64 v[46:47], s[52:53], 0, v[44:45]
	flat_load_dword v1, v[46:47]
.LBB778_51:
	s_or_b64 exec, exec, s[60:61]
	v_lshlrev_b32_e32 v46, 2, v0
	s_movk_i32 s60, 0x58
	v_mad_u32_u24 v72, v0, s60, v46
	s_movk_i32 s60, 0xffa8
	s_waitcnt vmcnt(0) lgkmcnt(0)
	ds_write2st64_b32 v46, v4, v5 offset1:4
	ds_write2st64_b32 v46, v6, v7 offset0:8 offset1:12
	ds_write2st64_b32 v46, v3, v8 offset0:16 offset1:20
	;; [unrolled: 1-line block ×10, first 2 shown]
	ds_write_b32 v46, v1 offset:22528
	s_waitcnt lgkmcnt(0)
	s_barrier
	ds_read2_b32 v[68:69], v72 offset1:1
	ds_read2_b32 v[66:67], v72 offset0:2 offset1:3
	ds_read2_b32 v[64:65], v72 offset0:4 offset1:5
	;; [unrolled: 1-line block ×6, first 2 shown]
	ds_read_b32 v1, v72 offset:88
	ds_read2_b32 v[60:61], v72 offset0:8 offset1:9
	ds_read2_b32 v[58:59], v72 offset0:10 offset1:11
	;; [unrolled: 1-line block ×4, first 2 shown]
	v_mad_i32_i24 v3, v0, s60, v72
	s_waitcnt lgkmcnt(4)
	ds_write_b32 v3, v1 offset:23552
	s_waitcnt lgkmcnt(0)
	s_barrier
	s_barrier
	s_waitcnt lgkmcnt(0)
                                        ; implicit-def: $vgpr48
	s_and_saveexec_b64 s[60:61], vcc
	s_cbranch_execz .LBB778_112
; %bb.52:
	v_mov_b32_e32 v47, 0
	v_lshl_add_u64 v[48:49], s[0:1], 0, v[46:47]
	flat_load_dword v48, v[48:49]
	s_or_b64 exec, exec, s[60:61]
                                        ; implicit-def: $vgpr49
	s_and_saveexec_b64 s[60:61], s[6:7]
	s_cbranch_execnz .LBB778_113
.LBB778_53:
	s_or_b64 exec, exec, s[60:61]
                                        ; implicit-def: $vgpr50
	s_and_saveexec_b64 s[6:7], s[8:9]
	s_cbranch_execz .LBB778_114
.LBB778_54:
	v_mov_b32_e32 v47, 0
	v_lshl_add_u64 v[50:51], s[0:1], 0, v[46:47]
	flat_load_dword v50, v[50:51] offset:2048
	s_or_b64 exec, exec, s[6:7]
                                        ; implicit-def: $vgpr47
	s_and_saveexec_b64 s[6:7], s[10:11]
	s_cbranch_execnz .LBB778_115
.LBB778_55:
	s_or_b64 exec, exec, s[6:7]
                                        ; implicit-def: $vgpr3
	s_and_saveexec_b64 s[6:7], s[12:13]
	s_cbranch_execz .LBB778_116
.LBB778_56:
	v_mov_b32_e32 v3, 0
	v_lshl_add_u64 v[2:3], s[0:1], 0, v[2:3]
	flat_load_dword v3, v[2:3]
	s_or_b64 exec, exec, s[6:7]
                                        ; implicit-def: $vgpr2
	s_and_saveexec_b64 s[6:7], s[14:15]
	s_cbranch_execnz .LBB778_117
.LBB778_57:
	s_or_b64 exec, exec, s[6:7]
                                        ; implicit-def: $vgpr10
	s_and_saveexec_b64 s[6:7], s[16:17]
	s_cbranch_execz .LBB778_118
.LBB778_58:
	v_mov_b32_e32 v13, 0
	v_lshl_add_u64 v[10:11], s[0:1], 0, v[12:13]
	flat_load_dword v10, v[10:11]
	s_or_b64 exec, exec, s[6:7]
                                        ; implicit-def: $vgpr11
	s_and_saveexec_b64 s[6:7], s[18:19]
	s_cbranch_execnz .LBB778_119
.LBB778_59:
	s_or_b64 exec, exec, s[6:7]
                                        ; implicit-def: $vgpr12
	s_and_saveexec_b64 s[6:7], s[20:21]
	s_cbranch_execz .LBB778_120
.LBB778_60:
	v_mov_b32_e32 v17, 0
	v_lshl_add_u64 v[12:13], s[0:1], 0, v[16:17]
	flat_load_dword v12, v[12:13]
	s_or_b64 exec, exec, s[6:7]
                                        ; implicit-def: $vgpr13
	s_and_saveexec_b64 s[6:7], s[22:23]
	s_cbranch_execnz .LBB778_121
.LBB778_61:
	s_or_b64 exec, exec, s[6:7]
                                        ; implicit-def: $vgpr14
	s_and_saveexec_b64 s[6:7], s[24:25]
	s_cbranch_execz .LBB778_122
.LBB778_62:
	v_mov_b32_e32 v21, 0
	v_lshl_add_u64 v[14:15], s[0:1], 0, v[20:21]
	flat_load_dword v14, v[14:15]
	s_or_b64 exec, exec, s[6:7]
                                        ; implicit-def: $vgpr15
	s_and_saveexec_b64 s[6:7], s[26:27]
	s_cbranch_execnz .LBB778_123
.LBB778_63:
	s_or_b64 exec, exec, s[6:7]
                                        ; implicit-def: $vgpr16
	s_and_saveexec_b64 s[6:7], s[28:29]
	s_cbranch_execz .LBB778_124
.LBB778_64:
	v_mov_b32_e32 v25, 0
	v_lshl_add_u64 v[16:17], s[0:1], 0, v[24:25]
	flat_load_dword v16, v[16:17]
	s_or_b64 exec, exec, s[6:7]
                                        ; implicit-def: $vgpr17
	s_and_saveexec_b64 s[6:7], s[30:31]
	s_cbranch_execnz .LBB778_125
.LBB778_65:
	s_or_b64 exec, exec, s[6:7]
                                        ; implicit-def: $vgpr18
	s_and_saveexec_b64 s[6:7], s[34:35]
	s_cbranch_execz .LBB778_126
.LBB778_66:
	v_mov_b32_e32 v29, 0
	v_lshl_add_u64 v[18:19], s[0:1], 0, v[28:29]
	flat_load_dword v18, v[18:19]
	s_or_b64 exec, exec, s[6:7]
                                        ; implicit-def: $vgpr19
	s_and_saveexec_b64 s[6:7], s[36:37]
	s_cbranch_execnz .LBB778_127
.LBB778_67:
	s_or_b64 exec, exec, s[6:7]
                                        ; implicit-def: $vgpr20
	s_and_saveexec_b64 s[6:7], s[38:39]
	s_cbranch_execz .LBB778_128
.LBB778_68:
	v_mov_b32_e32 v33, 0
	v_lshl_add_u64 v[20:21], s[0:1], 0, v[32:33]
	flat_load_dword v20, v[20:21]
	s_or_b64 exec, exec, s[6:7]
                                        ; implicit-def: $vgpr21
	s_and_saveexec_b64 s[6:7], s[40:41]
	s_cbranch_execnz .LBB778_129
.LBB778_69:
	s_or_b64 exec, exec, s[6:7]
                                        ; implicit-def: $vgpr22
	s_and_saveexec_b64 s[6:7], s[42:43]
	s_cbranch_execz .LBB778_130
.LBB778_70:
	v_mov_b32_e32 v37, 0
	v_lshl_add_u64 v[22:23], s[0:1], 0, v[36:37]
	flat_load_dword v22, v[22:23]
	s_or_b64 exec, exec, s[6:7]
                                        ; implicit-def: $vgpr23
	s_and_saveexec_b64 s[6:7], s[44:45]
	s_cbranch_execnz .LBB778_131
.LBB778_71:
	s_or_b64 exec, exec, s[6:7]
                                        ; implicit-def: $vgpr24
	s_and_saveexec_b64 s[6:7], s[46:47]
	s_cbranch_execz .LBB778_132
.LBB778_72:
	v_mov_b32_e32 v41, 0
	v_lshl_add_u64 v[24:25], s[0:1], 0, v[40:41]
	flat_load_dword v24, v[24:25]
	s_or_b64 exec, exec, s[6:7]
                                        ; implicit-def: $vgpr25
	s_and_saveexec_b64 s[6:7], s[48:49]
	s_cbranch_execz .LBB778_134
	s_branch .LBB778_133
.LBB778_73:
	s_mov_b64 s[10:11], 0
                                        ; implicit-def: $vgpr52_vgpr53
                                        ; implicit-def: $vgpr50_vgpr51
                                        ; implicit-def: $vgpr48_vgpr49
                                        ; implicit-def: $vgpr46_vgpr47
                                        ; implicit-def: $vgpr44_vgpr45
                                        ; implicit-def: $vgpr42_vgpr43
                                        ; implicit-def: $vgpr40_vgpr41
                                        ; implicit-def: $vgpr38_vgpr39
                                        ; implicit-def: $vgpr36_vgpr37
                                        ; implicit-def: $vgpr34_vgpr35
                                        ; implicit-def: $vgpr32_vgpr33
                                        ; implicit-def: $vgpr30_vgpr31
                                        ; implicit-def: $vgpr28_vgpr29
                                        ; implicit-def: $vgpr26_vgpr27
                                        ; implicit-def: $vgpr24_vgpr25
                                        ; implicit-def: $vgpr22_vgpr23
                                        ; implicit-def: $vgpr20_vgpr21
                                        ; implicit-def: $vgpr18_vgpr19
                                        ; implicit-def: $vgpr16_vgpr17
                                        ; implicit-def: $vgpr14_vgpr15
                                        ; implicit-def: $vgpr12_vgpr13
                                        ; implicit-def: $vgpr10_vgpr11
                                        ; implicit-def: $vgpr1
                                        ; implicit-def: $vgpr3
                                        ; implicit-def: $sgpr8_sgpr9
	s_and_b64 vcc, exec, s[6:7]
	v_lshlrev_b32_e32 v54, 2, v0
	s_cbranch_vccz .LBB778_75
.LBB778_74:
	v_mov_b32_e32 v55, 0
	v_lshl_add_u64 v[2:3], s[52:53], 0, v[54:55]
	v_add_co_u32_e32 v4, vcc, 0x1000, v2
	s_movk_i32 s6, 0x1000
	s_nop 0
	v_addc_co_u32_e32 v5, vcc, 0, v3, vcc
	flat_load_dword v1, v[2:3]
	flat_load_dword v8, v[2:3] offset:1024
	flat_load_dword v9, v[2:3] offset:2048
	s_waitcnt lgkmcnt(0)
	flat_load_dword v10, v[2:3] offset:3072
	flat_load_dword v11, v[4:5]
	flat_load_dword v12, v[4:5] offset:1024
	flat_load_dword v13, v[4:5] offset:2048
	;; [unrolled: 1-line block ×3, first 2 shown]
	v_add_co_u32_e32 v4, vcc, 0x2000, v2
	s_movk_i32 s13, 0x58
	s_nop 0
	v_addc_co_u32_e32 v5, vcc, 0, v3, vcc
	v_add_co_u32_e32 v6, vcc, 0x3000, v2
	s_movk_i32 s14, 0xffa8
	s_nop 0
	v_addc_co_u32_e32 v7, vcc, 0, v3, vcc
	flat_load_dword v15, v[4:5]
	flat_load_dword v16, v[4:5] offset:1024
	flat_load_dword v17, v[4:5] offset:2048
	flat_load_dword v18, v[4:5] offset:3072
	flat_load_dword v19, v[6:7]
	flat_load_dword v20, v[6:7] offset:1024
	flat_load_dword v21, v[6:7] offset:2048
	;; [unrolled: 1-line block ×3, first 2 shown]
	v_add_co_u32_e32 v4, vcc, 0x4000, v2
	v_mad_u32_u24 v28, v0, s13, v54
	s_nop 0
	v_addc_co_u32_e32 v5, vcc, 0, v3, vcc
	v_add_co_u32_e32 v2, vcc, 0x5000, v2
	s_movk_i32 s7, 0x2000
	s_nop 0
	v_addc_co_u32_e32 v3, vcc, 0, v3, vcc
	flat_load_dword v6, v[4:5]
	flat_load_dword v7, v[4:5] offset:1024
	flat_load_dword v23, v[4:5] offset:2048
	;; [unrolled: 1-line block ×3, first 2 shown]
	flat_load_dword v25, v[2:3]
	flat_load_dword v26, v[2:3] offset:1024
	flat_load_dword v27, v[2:3] offset:2048
	v_lshl_add_u64 v[2:3], s[0:1], 0, v[54:55]
	v_mad_i32_i24 v29, v0, s14, v28
	s_movk_i32 s8, 0x3000
	s_movk_i32 s9, 0x4000
	;; [unrolled: 1-line block ×3, first 2 shown]
	s_or_b64 s[10:11], s[10:11], exec
	s_waitcnt vmcnt(0)
	ds_write2st64_b32 v54, v1, v8 offset1:4
	s_waitcnt lgkmcnt(0)
	ds_write2st64_b32 v54, v9, v10 offset0:8 offset1:12
	ds_write2st64_b32 v54, v11, v12 offset0:16 offset1:20
	;; [unrolled: 1-line block ×10, first 2 shown]
	ds_write_b32 v54, v27 offset:22528
	v_add_co_u32_e32 v10, vcc, s6, v2
	s_waitcnt lgkmcnt(0)
	s_nop 0
	v_addc_co_u32_e32 v11, vcc, 0, v3, vcc
	s_barrier
	ds_read_b32 v1, v28 offset:88
	ds_read2_b32 v[4:5], v28 offset1:1
	ds_read2_b32 v[6:7], v28 offset0:2 offset1:3
	ds_read2_b32 v[8:9], v28 offset0:4 offset1:5
	;; [unrolled: 1-line block ×10, first 2 shown]
	s_waitcnt lgkmcnt(11)
	ds_write_b32 v29, v1 offset:23552
	s_waitcnt lgkmcnt(0)
	s_barrier
	s_barrier
	flat_load_dword v14, v[2:3]
	flat_load_dword v16, v[2:3] offset:1024
	flat_load_dword v18, v[2:3] offset:2048
	;; [unrolled: 1-line block ×3, first 2 shown]
	flat_load_dword v24, v[10:11]
	flat_load_dword v32, v[10:11] offset:1024
	flat_load_dword v36, v[10:11] offset:2048
	;; [unrolled: 1-line block ×3, first 2 shown]
	v_add_co_u32_e32 v10, vcc, s7, v2
	s_nop 1
	v_addc_co_u32_e32 v11, vcc, 0, v3, vcc
	v_add_co_u32_e32 v12, vcc, s8, v2
	s_nop 1
	v_addc_co_u32_e32 v13, vcc, 0, v3, vcc
	flat_load_dword v44, v[10:11]
	flat_load_dword v48, v[10:11] offset:1024
	flat_load_dword v52, v[10:11] offset:2048
	;; [unrolled: 1-line block ×3, first 2 shown]
	flat_load_dword v55, v[12:13]
	flat_load_dword v56, v[12:13] offset:1024
	flat_load_dword v57, v[12:13] offset:2048
	;; [unrolled: 1-line block ×3, first 2 shown]
	v_add_co_u32_e32 v10, vcc, s9, v2
                                        ; implicit-def: $sgpr8_sgpr9
	s_nop 1
	v_addc_co_u32_e32 v11, vcc, 0, v3, vcc
	v_add_co_u32_e32 v2, vcc, s12, v2
	s_nop 1
	v_addc_co_u32_e32 v3, vcc, 0, v3, vcc
	flat_load_dword v12, v[10:11]
	flat_load_dword v59, v[10:11] offset:1024
	flat_load_dword v60, v[10:11] offset:2048
	flat_load_dword v61, v[10:11] offset:3072
	flat_load_dword v62, v[2:3]
	flat_load_dword v63, v[2:3] offset:1024
	flat_load_dword v64, v[2:3] offset:2048
	v_cmp_ne_u32_e32 vcc, 0, v5
	s_waitcnt vmcnt(0) lgkmcnt(0)
	ds_write2st64_b32 v54, v14, v16 offset1:4
	ds_write2st64_b32 v54, v18, v20 offset0:8 offset1:12
	ds_write2st64_b32 v54, v24, v32 offset0:16 offset1:20
	;; [unrolled: 1-line block ×10, first 2 shown]
	ds_write_b32 v54, v64 offset:22528
	v_cndmask_b32_e64 v13, 0, 1, vcc
	v_cmp_ne_u32_e32 vcc, 0, v4
	s_waitcnt lgkmcnt(0)
	s_barrier
	v_cndmask_b32_e64 v11, 0, 1, vcc
	v_cmp_ne_u32_e32 vcc, 0, v7
	s_nop 1
	v_cndmask_b32_e64 v17, 0, 1, vcc
	v_cmp_ne_u32_e32 vcc, 0, v6
	s_nop 1
	v_cndmask_b32_e64 v15, 0, 1, vcc
	v_cmp_ne_u32_e32 vcc, 0, v9
	s_nop 1
	v_cndmask_b32_e64 v21, 0, 1, vcc
	v_cmp_ne_u32_e32 vcc, 0, v8
	ds_read2_b32 v[4:5], v28 offset1:1
	ds_read2_b32 v[6:7], v28 offset0:2 offset1:3
	ds_read2_b32 v[8:9], v28 offset0:4 offset1:5
	;; [unrolled: 1-line block ×10, first 2 shown]
	ds_read_b32 v3, v28 offset:88
	v_cndmask_b32_e64 v19, 0, 1, vcc
	v_cmp_ne_u32_e32 vcc, 0, v23
	s_waitcnt lgkmcnt(8)
	v_mov_b32_e32 v24, v53
	v_mov_b32_e32 v10, v4
	v_cndmask_b32_e64 v25, 0, 1, vcc
	v_cmp_ne_u32_e32 vcc, 0, v22
	v_mov_b32_e32 v12, v5
	v_mov_b32_e32 v14, v6
	v_cndmask_b32_e64 v23, 0, 1, vcc
	v_cmp_ne_u32_e32 vcc, 0, v27
	;; [unrolled: 4-line block ×4, first 2 shown]
	s_waitcnt lgkmcnt(7)
	v_mov_b32_e32 v26, v56
	v_mov_b32_e32 v28, v57
	v_cndmask_b32_e64 v33, 0, 1, vcc
	v_cmp_ne_u32_e32 vcc, 0, v30
	s_waitcnt lgkmcnt(6)
	v_mov_b32_e32 v30, v58
	v_mov_b32_e32 v32, v59
	v_cndmask_b32_e64 v31, 0, 1, vcc
	v_cmp_ne_u32_e32 vcc, 0, v35
	s_waitcnt lgkmcnt(5)
	v_mov_b32_e32 v36, v61
	s_waitcnt lgkmcnt(4)
	v_mov_b32_e32 v40, v63
	v_cndmask_b32_e64 v37, 0, 1, vcc
	v_cmp_ne_u32_e32 vcc, 0, v34
	v_mov_b32_e32 v34, v60
	s_waitcnt lgkmcnt(3)
	v_mov_b32_e32 v44, v65
	v_cndmask_b32_e64 v35, 0, 1, vcc
	v_cmp_ne_u32_e32 vcc, 0, v39
	s_waitcnt lgkmcnt(2)
	v_mov_b32_e32 v48, v67
	s_waitcnt lgkmcnt(1)
	v_mov_b32_e32 v52, v69
	v_cndmask_b32_e64 v41, 0, 1, vcc
	v_cmp_ne_u32_e32 vcc, 0, v38
	v_mov_b32_e32 v38, v62
	s_nop 0
	v_cndmask_b32_e64 v39, 0, 1, vcc
	v_cmp_ne_u32_e32 vcc, 0, v43
	s_nop 1
	v_cndmask_b32_e64 v45, 0, 1, vcc
	v_cmp_ne_u32_e32 vcc, 0, v42
	v_mov_b32_e32 v42, v64
	s_nop 0
	v_cndmask_b32_e64 v43, 0, 1, vcc
	v_cmp_ne_u32_e32 vcc, 0, v47
	s_nop 1
	;; [unrolled: 7-line block ×3, first 2 shown]
	v_cndmask_b32_e64 v53, 0, 1, vcc
	v_cmp_ne_u32_e32 vcc, 0, v50
	v_mov_b32_e32 v50, v68
	s_nop 0
	v_cndmask_b32_e64 v51, 0, 1, vcc
.LBB778_75:
	v_mov_b64_e32 v[56:57], s[8:9]
	s_and_saveexec_b64 s[0:1], s[10:11]
	s_cbranch_execz .LBB778_77
; %bb.76:
	v_cmp_ne_u32_e32 vcc, 0, v1
	s_waitcnt lgkmcnt(0)
	v_mov_b32_e32 v56, v3
	v_cndmask_b32_e64 v57, 0, 1, vcc
.LBB778_77:
	s_or_b64 exec, exec, s[0:1]
	s_mov_b32 s0, 0
	s_cmp_lg_u32 s67, 0
	v_or_b32_e32 v55, v57, v53
	v_lshrrev_b32_e32 v1, 5, v0
	v_cmp_gt_u32_e32 vcc, 64, v0
	s_waitcnt lgkmcnt(0)
	s_barrier
	s_cbranch_scc0 .LBB778_181
; %bb.78:
	s_mov_b32 s1, 1
	v_cmp_gt_u64_e64 s[6:7], s[0:1], v[12:13]
	v_cmp_gt_u64_e64 s[8:9], s[0:1], v[14:15]
	v_cmp_gt_u64_e64 s[10:11], s[0:1], v[16:17]
	v_cndmask_b32_e64 v2, 0, v10, s[6:7]
	v_add_u32_e32 v2, v2, v12
	v_cndmask_b32_e64 v2, 0, v2, s[8:9]
	v_add_u32_e32 v2, v2, v14
	v_cndmask_b32_e64 v2, 0, v2, s[10:11]
	v_add_u32_e32 v2, v2, v16
	v_cmp_gt_u64_e64 s[12:13], s[0:1], v[18:19]
	v_cmp_gt_u64_e64 s[14:15], s[0:1], v[20:21]
	v_cmp_gt_u64_e64 s[16:17], s[0:1], v[22:23]
	v_cndmask_b32_e64 v2, 0, v2, s[12:13]
	v_add_u32_e32 v2, v2, v18
	v_cndmask_b32_e64 v2, 0, v2, s[14:15]
	v_add_u32_e32 v2, v2, v20
	v_cndmask_b32_e64 v2, 0, v2, s[16:17]
	v_add_u32_e32 v2, v2, v22
	;; [unrolled: 9-line block ×7, first 2 shown]
	v_cmp_gt_u64_e64 s[50:51], s[0:1], v[56:57]
	s_nop 1
	v_cndmask_b32_e64 v2, 0, v2, s[50:51]
	v_add_u32_e32 v62, v2, v56
	v_or3_b32 v2, v55, v51, v49
	v_or3_b32 v2, v2, v47, v45
	;; [unrolled: 1-line block ×10, first 2 shown]
	v_and_b32_e32 v2, 1, v2
	v_cmp_eq_u32_e64 s[0:1], 1, v2
	v_add_lshl_u32 v2, v1, v0, 3
	s_nop 0
	v_cndmask_b32_e64 v63, v11, 1, s[0:1]
	ds_write_b32 v2, v62
	ds_write_b8 v2, v63 offset:4
	s_waitcnt lgkmcnt(0)
	s_barrier
	s_and_saveexec_b64 s[52:53], vcc
	s_cbranch_execz .LBB778_90
; %bb.79:
	v_lshrrev_b32_e32 v2, 3, v0
	v_add_lshl_u32 v4, v2, v54, 3
	ds_read2_b32 v[6:7], v4 offset0:2 offset1:4
	ds_read_b64 v[2:3], v4
	ds_read_u8 v8, v4 offset:12
	ds_read_u8 v9, v4 offset:20
	ds_read_b32 v58, v4 offset:24
	ds_read_u8 v59, v4 offset:28
	v_mov_b32_e32 v60, 0
	s_waitcnt lgkmcnt(3)
	v_cmp_eq_u16_sdwa s[0:1], v8, v60 src0_sel:BYTE_0 src1_sel:DWORD
	v_and_b32_e32 v5, 1, v3
	s_nop 0
	v_cndmask_b32_e64 v61, 0, v2, s[0:1]
	v_add_u32_e32 v6, v61, v6
	s_waitcnt lgkmcnt(2)
	v_cmp_eq_u16_sdwa s[0:1], v9, v60 src0_sel:BYTE_0 src1_sel:DWORD
	s_nop 1
	v_cndmask_b32_e64 v6, 0, v6, s[0:1]
	v_add_u32_e32 v6, v6, v7
	s_waitcnt lgkmcnt(0)
	v_cmp_eq_u16_e64 s[0:1], 0, v59
	s_nop 1
	v_cndmask_b32_e64 v6, 0, v6, s[0:1]
	v_add_u32_e32 v7, v6, v58
	v_or_b32_e32 v6, v59, v9
	v_or_b32_e32 v6, v6, v8
	v_and_b32_e32 v6, 1, v6
	v_cmp_eq_u32_e64 s[0:1], 1, v6
	v_mbcnt_lo_u32_b32 v8, -1, 0
	v_and_b32_e32 v6, 0xffffff00, v3
	v_cndmask_b32_e64 v9, v5, 1, s[0:1]
	v_mbcnt_hi_u32_b32 v8, -1, v8
	v_and_b32_e32 v59, 15, v8
	v_or_b32_sdwa v58, v6, v9 dst_sel:DWORD dst_unused:UNUSED_PAD src0_sel:DWORD src1_sel:WORD_0
	v_mov_b32_dpp v60, v7 row_shr:1 row_mask:0xf bank_mask:0xf
	v_cmp_ne_u32_e64 s[0:1], 0, v59
	v_mov_b32_dpp v61, v58 row_shr:1 row_mask:0xf bank_mask:0xf
	s_and_saveexec_b64 s[60:61], s[0:1]
; %bb.80:
	v_and_b32_e32 v58, 1, v9
	v_and_b32_e32 v61, 1, v61
	v_cmp_eq_u32_e64 s[0:1], 1, v58
	s_nop 1
	v_cndmask_b32_e64 v61, v61, 1, s[0:1]
	v_cmp_eq_u16_e64 s[0:1], 0, v9
	v_or_b32_sdwa v58, v6, v61 dst_sel:DWORD dst_unused:UNUSED_PAD src0_sel:DWORD src1_sel:WORD_0
	s_nop 0
	v_cndmask_b32_e64 v9, 0, v60, s[0:1]
	v_add_u32_e32 v7, v9, v7
	v_mov_b32_e32 v9, v61
; %bb.81:
	s_or_b64 exec, exec, s[60:61]
	v_mov_b32_dpp v60, v7 row_shr:2 row_mask:0xf bank_mask:0xf
	v_mov_b32_dpp v61, v58 row_shr:2 row_mask:0xf bank_mask:0xf
	v_cmp_lt_u32_e64 s[0:1], 1, v59
	s_and_saveexec_b64 s[60:61], s[0:1]
; %bb.82:
	v_and_b32_e32 v58, 1, v9
	v_and_b32_e32 v61, 1, v61
	v_cmp_eq_u32_e64 s[0:1], 1, v58
	s_nop 1
	v_cndmask_b32_e64 v61, v61, 1, s[0:1]
	v_cmp_eq_u16_e64 s[0:1], 0, v9
	v_or_b32_sdwa v58, v6, v61 dst_sel:DWORD dst_unused:UNUSED_PAD src0_sel:DWORD src1_sel:WORD_0
	s_nop 0
	v_cndmask_b32_e64 v9, 0, v60, s[0:1]
	v_add_u32_e32 v7, v9, v7
	v_mov_b32_e32 v9, v61
; %bb.83:
	s_or_b64 exec, exec, s[60:61]
	v_mov_b32_dpp v60, v7 row_shr:4 row_mask:0xf bank_mask:0xf
	v_mov_b32_dpp v61, v58 row_shr:4 row_mask:0xf bank_mask:0xf
	v_cmp_lt_u32_e64 s[0:1], 3, v59
	;; [unrolled: 18-line block ×3, first 2 shown]
	s_and_saveexec_b64 s[60:61], s[0:1]
; %bb.86:
	v_and_b32_e32 v58, 1, v9
	v_and_b32_e32 v59, 1, v61
	v_cmp_eq_u32_e64 s[0:1], 1, v58
	s_nop 1
	v_cndmask_b32_e64 v59, v59, 1, s[0:1]
	v_cmp_eq_u16_e64 s[0:1], 0, v9
	v_or_b32_sdwa v58, v6, v59 dst_sel:DWORD dst_unused:UNUSED_PAD src0_sel:DWORD src1_sel:WORD_0
	s_nop 0
	v_cndmask_b32_e64 v9, 0, v60, s[0:1]
	v_add_u32_e32 v7, v9, v7
	v_mov_b32_e32 v9, v59
; %bb.87:
	s_or_b64 exec, exec, s[60:61]
	v_and_b32_e32 v61, 16, v8
	v_mov_b32_dpp v59, v7 row_bcast:15 row_mask:0xf bank_mask:0xf
	v_mov_b32_dpp v60, v58 row_bcast:15 row_mask:0xf bank_mask:0xf
	v_cmp_ne_u32_e64 s[0:1], 0, v61
	s_and_saveexec_b64 s[60:61], s[0:1]
; %bb.88:
	v_and_b32_e32 v58, 1, v9
	v_and_b32_e32 v60, 1, v60
	v_cmp_eq_u32_e64 s[0:1], 1, v58
	s_nop 1
	v_cndmask_b32_e64 v60, v60, 1, s[0:1]
	v_cmp_eq_u16_e64 s[0:1], 0, v9
	v_or_b32_sdwa v58, v6, v60 dst_sel:DWORD dst_unused:UNUSED_PAD src0_sel:DWORD src1_sel:WORD_0
	s_nop 0
	v_cndmask_b32_e64 v9, 0, v59, s[0:1]
	v_add_u32_e32 v7, v9, v7
	v_mov_b32_e32 v9, v60
; %bb.89:
	s_or_b64 exec, exec, s[60:61]
	v_mov_b32_dpp v58, v58 row_bcast:31 row_mask:0xf bank_mask:0xf
	v_and_b32_e32 v60, 1, v9
	v_and_b32_e32 v58, 1, v58
	v_cmp_eq_u32_e64 s[0:1], 1, v60
	v_mov_b32_e32 v60, 0
	v_cmp_eq_u16_sdwa s[60:61], v9, v60 src0_sel:BYTE_0 src1_sel:DWORD
	v_cndmask_b32_e64 v58, v58, 1, s[0:1]
	v_cmp_lt_u32_e64 s[0:1], 31, v8
	v_mov_b32_dpp v59, v7 row_bcast:31 row_mask:0xf bank_mask:0xf
	s_movk_i32 s68, 0xff
	v_cndmask_b32_e64 v9, v9, v58, s[0:1]
	s_and_b64 s[0:1], s[0:1], s[60:61]
	v_cndmask_b32_e64 v58, 0, v59, s[0:1]
	v_add_u32_e32 v7, v58, v7
	v_add_u32_e32 v58, -1, v8
	v_and_b32_e32 v59, 64, v8
	v_cmp_lt_i32_e64 s[0:1], v58, v59
	v_and_or_b32 v6, v9, s68, v6
	s_nop 0
	v_cndmask_b32_e64 v8, v58, v8, s[0:1]
	v_lshlrev_b32_e32 v8, 2, v8
	ds_bpermute_b32 v7, v8, v7
	ds_bpermute_b32 v6, v8, v6
	v_cmp_eq_u16_sdwa s[0:1], v3, v60 src0_sel:BYTE_0 src1_sel:DWORD
	; wave barrier
	s_waitcnt lgkmcnt(1)
	s_nop 0
	v_cndmask_b32_e64 v3, 0, v7, s[0:1]
	v_add_u32_e32 v2, v3, v2
	s_waitcnt lgkmcnt(0)
	v_and_b32_e32 v3, 1, v6
	v_cmp_eq_u32_e64 s[0:1], 1, v5
	v_cndmask_b32_e64 v5, v2, v62, s[54:55]
	s_nop 0
	v_cndmask_b32_e64 v3, v3, 1, s[0:1]
	v_cndmask_b32_e64 v6, v3, v63, s[54:55]
	ds_write_b32 v4, v5
	ds_write_b8 v4, v6 offset:4
	; wave barrier
	ds_read_u8 v7, v4 offset:12
	ds_read2_b32 v[2:3], v4 offset0:2 offset1:4
	ds_read_u8 v8, v4 offset:20
	ds_read_b32 v9, v4 offset:24
	ds_read_u8 v58, v4 offset:28
	s_waitcnt lgkmcnt(4)
	v_cmp_eq_u16_e64 s[0:1], 0, v7
	s_nop 1
	v_cndmask_b32_e64 v5, 0, v5, s[0:1]
	s_waitcnt lgkmcnt(3)
	v_add_u32_e32 v2, v5, v2
	v_and_b32_e32 v5, 1, v7
	v_cmp_eq_u32_e64 s[0:1], 1, v5
	s_nop 1
	v_cndmask_b32_e64 v5, v6, 1, s[0:1]
	s_waitcnt lgkmcnt(2)
	v_cmp_eq_u16_e64 s[0:1], 0, v8
	ds_write_b8 v4, v5 offset:12
	s_nop 0
	v_cndmask_b32_e64 v6, 0, v2, s[0:1]
	v_add_u32_e32 v3, v6, v3
	v_and_b32_e32 v6, 1, v8
	v_cmp_eq_u32_e64 s[0:1], 1, v6
	s_nop 1
	v_cndmask_b32_e64 v5, v5, 1, s[0:1]
	s_waitcnt lgkmcnt(1)
	v_cmp_eq_u16_e64 s[0:1], 0, v58
	ds_write2_b32 v4, v2, v3 offset0:2 offset1:4
	ds_write_b8 v4, v5 offset:20
	v_cndmask_b32_e64 v2, 0, v3, s[0:1]
	v_and_b32_e32 v3, 1, v58
	v_add_u32_e32 v2, v2, v9
	v_cmp_eq_u32_e64 s[0:1], 1, v3
	s_nop 1
	v_cndmask_b32_e64 v3, v5, 1, s[0:1]
	ds_write_b32 v4, v2 offset:24
	ds_write_b8 v4, v3 offset:28
.LBB778_90:
	s_or_b64 exec, exec, s[52:53]
	s_waitcnt lgkmcnt(0)
	s_barrier
	s_and_saveexec_b64 s[0:1], s[4:5]
	s_cbranch_execz .LBB778_92
; %bb.91:
	v_add_u32_e32 v2, -1, v0
	v_lshrrev_b32_e32 v3, 5, v2
	v_add_lshl_u32 v2, v3, v2, 3
	ds_read_b32 v62, v2
	ds_read_u8 v63, v2 offset:4
.LBB778_92:
	s_or_b64 exec, exec, s[0:1]
	s_and_saveexec_b64 s[60:61], vcc
	s_cbranch_execz .LBB778_111
; %bb.93:
	v_mov_b32_e32 v5, 0
	ds_read_b64 v[2:3], v5 offset:2096
	v_mbcnt_lo_u32_b32 v4, -1, 0
	v_mbcnt_hi_u32_b32 v73, -1, v4
	s_mov_b32 s69, 0
	v_cmp_eq_u32_e64 s[52:53], 0, v73
	s_waitcnt lgkmcnt(0)
	v_readfirstlane_b32 s76, v3
	s_and_saveexec_b64 s[0:1], s[52:53]
	s_cbranch_execz .LBB778_95
; %bb.94:
	s_add_i32 s68, s67, 64
	s_lshl_b64 s[74:75], s[68:69], 4
	s_add_u32 s74, s64, s74
	s_addc_u32 s75, s65, s75
	s_and_b32 s79, s76, 0xff000000
	s_mov_b32 s78, s69
	s_and_b32 s81, s76, 0xff0000
	s_mov_b32 s80, s69
	s_or_b64 s[78:79], s[80:81], s[78:79]
	s_and_b32 s81, s76, 0xff00
	s_or_b64 s[78:79], s[78:79], s[80:81]
	s_and_b32 s81, s76, 0xff
	s_or_b64 s[68:69], s[78:79], s[80:81]
	v_mov_b32_e32 v3, s69
	v_mov_b32_e32 v4, 1
	v_mov_b64_e32 v[6:7], s[74:75]
	;;#ASMSTART
	global_store_dwordx4 v[6:7], v[2:5] off sc1	
s_waitcnt vmcnt(0)
	;;#ASMEND
.LBB778_95:
	s_or_b64 exec, exec, s[0:1]
	v_xad_u32 v58, v73, -1, s67
	v_add_u32_e32 v4, 64, v58
	v_lshl_add_u64 v[60:61], v[4:5], 4, s[64:65]
	;;#ASMSTART
	global_load_dwordx4 v[6:9], v[60:61] off sc1	
s_waitcnt vmcnt(0)
	;;#ASMEND
	s_nop 0
	v_and_b32_e32 v3, 0xff0000, v6
	v_and_b32_e32 v4, 0xff000000, v6
	;; [unrolled: 1-line block ×3, first 2 shown]
	v_or_b32_sdwa v3, v6, v3 dst_sel:DWORD dst_unused:UNUSED_PAD src0_sel:WORD_0 src1_sel:DWORD
	v_or3_b32 v7, 0, 0, v7
	v_or3_b32 v6, v3, v4, 0
	v_cmp_eq_u16_sdwa s[68:69], v8, v5 src0_sel:BYTE_0 src1_sel:DWORD
	s_and_saveexec_b64 s[0:1], s[68:69]
	s_cbranch_execz .LBB778_99
; %bb.96:
	s_mov_b64 s[68:69], 0
	v_mov_b32_e32 v3, 0
.LBB778_97:                             ; =>This Inner Loop Header: Depth=1
	;;#ASMSTART
	global_load_dwordx4 v[6:9], v[60:61] off sc1	
s_waitcnt vmcnt(0)
	;;#ASMEND
	s_nop 0
	v_cmp_ne_u16_sdwa s[74:75], v8, v3 src0_sel:BYTE_0 src1_sel:DWORD
	s_or_b64 s[68:69], s[74:75], s[68:69]
	s_andn2_b64 exec, exec, s[68:69]
	s_cbranch_execnz .LBB778_97
; %bb.98:
	s_or_b64 exec, exec, s[68:69]
	v_and_b32_e32 v7, 0xff, v7
.LBB778_99:
	s_or_b64 exec, exec, s[0:1]
	v_mov_b32_e32 v3, 2
	v_cmp_eq_u16_sdwa s[0:1], v8, v3 src0_sel:BYTE_0 src1_sel:DWORD
	v_lshlrev_b64 v[4:5], v73, -1
	v_and_b32_e32 v64, 63, v73
	v_and_b32_e32 v9, s1, v5
	v_or_b32_e32 v9, 0x80000000, v9
	v_and_b32_e32 v59, s0, v4
	v_ffbl_b32_e32 v9, v9
	v_add_u32_e32 v9, 32, v9
	v_ffbl_b32_e32 v59, v59
	v_cmp_ne_u32_e32 vcc, 63, v64
	v_min_u32_e32 v9, v59, v9
	s_mov_b32 s68, 0
	v_addc_co_u32_e32 v59, vcc, 0, v73, vcc
	v_lshlrev_b32_e32 v65, 2, v59
	ds_bpermute_b32 v59, v65, v7
	ds_bpermute_b32 v60, v65, v6
	v_and_b32_e32 v61, 1, v7
	s_mov_b32 s69, 1
	v_cmp_eq_u32_e32 vcc, 1, v61
	s_waitcnt lgkmcnt(1)
	v_and_b32_e32 v59, 1, v59
	v_cmp_lt_u32_e64 s[0:1], v64, v9
	v_cndmask_b32_e64 v59, v59, 1, vcc
	v_cmp_gt_u64_e32 vcc, s[68:69], v[6:7]
	s_and_b64 vcc, s[0:1], vcc
	v_and_b32_e32 v61, 0xffff, v59
	v_cndmask_b32_e64 v68, v7, v59, s[0:1]
	s_waitcnt lgkmcnt(0)
	v_cndmask_b32_e32 v59, 0, v60, vcc
	v_cmp_gt_u32_e32 vcc, 62, v64
	v_cndmask_b32_e64 v7, v7, v61, s[0:1]
	v_add_u32_e32 v6, v59, v6
	v_cndmask_b32_e64 v60, 0, 1, vcc
	v_lshlrev_b32_e32 v60, 1, v60
	v_add_lshl_u32 v66, v60, v73, 2
	ds_bpermute_b32 v60, v66, v7
	ds_bpermute_b32 v61, v66, v6
	v_and_b32_e32 v59, 1, v68
	v_cmp_eq_u32_e32 vcc, 1, v59
	v_mov_b32_e32 v59, 0
	s_waitcnt lgkmcnt(1)
	v_and_b32_e32 v60, 1, v60
	v_add_u32_e32 v67, 2, v64
	v_cndmask_b32_e64 v60, v60, 1, vcc
	v_cmp_eq_u16_sdwa vcc, v68, v59 src0_sel:BYTE_0 src1_sel:DWORD
	v_and_b32_e32 v69, 0xffff, v60
	v_add_u32_e32 v77, 32, v64
	s_waitcnt lgkmcnt(0)
	v_cndmask_b32_e32 v61, 0, v61, vcc
	v_cmp_gt_u32_e32 vcc, v67, v9
	s_nop 1
	v_cndmask_b32_e32 v60, v60, v68, vcc
	v_cndmask_b32_e64 v61, v61, 0, vcc
	v_cndmask_b32_e32 v7, v69, v7, vcc
	v_cmp_gt_u32_e32 vcc, 60, v64
	v_add_u32_e32 v6, v61, v6
	v_and_b32_e32 v71, 1, v60
	v_cndmask_b32_e64 v68, 0, 1, vcc
	v_lshlrev_b32_e32 v68, 2, v68
	v_add_lshl_u32 v68, v68, v73, 2
	ds_bpermute_b32 v70, v68, v7
	ds_bpermute_b32 v61, v68, v6
	v_cmp_eq_u32_e32 vcc, 1, v71
	v_add_u32_e32 v69, 4, v64
	s_waitcnt lgkmcnt(1)
	v_and_b32_e32 v70, 1, v70
	v_cndmask_b32_e64 v70, v70, 1, vcc
	v_cmp_eq_u16_sdwa vcc, v60, v59 src0_sel:BYTE_0 src1_sel:DWORD
	v_and_b32_e32 v71, 0xffff, v70
	s_waitcnt lgkmcnt(0)
	v_cndmask_b32_e32 v61, 0, v61, vcc
	v_cmp_gt_u32_e32 vcc, v69, v9
	s_nop 1
	v_cndmask_b32_e32 v60, v70, v60, vcc
	v_cndmask_b32_e64 v61, v61, 0, vcc
	v_cndmask_b32_e32 v7, v71, v7, vcc
	v_cmp_gt_u32_e32 vcc, 56, v64
	v_add_u32_e32 v6, v61, v6
	v_and_b32_e32 v74, 1, v60
	v_cndmask_b32_e64 v70, 0, 1, vcc
	v_lshlrev_b32_e32 v70, 3, v70
	v_add_lshl_u32 v70, v70, v73, 2
	ds_bpermute_b32 v72, v70, v7
	ds_bpermute_b32 v61, v70, v6
	v_cmp_eq_u32_e32 vcc, 1, v74
	v_add_u32_e32 v71, 8, v64
	s_waitcnt lgkmcnt(1)
	v_and_b32_e32 v72, 1, v72
	v_cndmask_b32_e64 v72, v72, 1, vcc
	v_cmp_eq_u16_sdwa vcc, v60, v59 src0_sel:BYTE_0 src1_sel:DWORD
	v_and_b32_e32 v74, 0xffff, v72
	;; [unrolled: 22-line block ×3, first 2 shown]
	s_waitcnt lgkmcnt(0)
	v_cndmask_b32_e32 v61, 0, v61, vcc
	v_cmp_gt_u32_e32 vcc, v74, v9
	s_nop 1
	v_cndmask_b32_e32 v60, v75, v60, vcc
	v_cndmask_b32_e64 v61, v61, 0, vcc
	v_cndmask_b32_e32 v7, v76, v7, vcc
	v_cmp_gt_u32_e32 vcc, 32, v64
	v_add_u32_e32 v6, v61, v6
	s_nop 0
	v_cndmask_b32_e64 v75, 0, 1, vcc
	v_lshlrev_b32_e32 v75, 5, v75
	v_add_lshl_u32 v76, v75, v73, 2
	ds_bpermute_b32 v7, v76, v7
	ds_bpermute_b32 v61, v76, v6
	v_and_b32_e32 v73, 1, v60
	v_cmp_eq_u32_e32 vcc, 1, v73
	s_waitcnt lgkmcnt(1)
	v_and_b32_e32 v7, 1, v7
	v_cndmask_b32_e64 v7, v7, 1, vcc
	v_cmp_eq_u16_sdwa vcc, v60, v59 src0_sel:BYTE_0 src1_sel:DWORD
	s_waitcnt lgkmcnt(0)
	s_nop 0
	v_cndmask_b32_e32 v61, 0, v61, vcc
	v_cmp_gt_u32_e32 vcc, v77, v9
	s_nop 1
	v_cndmask_b32_e64 v9, v61, 0, vcc
	v_cndmask_b32_e32 v7, v7, v60, vcc
	v_add_u32_e32 v6, v9, v6
	s_branch .LBB778_101
.LBB778_100:                            ;   in Loop: Header=BB778_101 Depth=1
	s_or_b64 exec, exec, s[0:1]
	v_cmp_eq_u16_sdwa s[0:1], v8, v3 src0_sel:BYTE_0 src1_sel:DWORD
	ds_bpermute_b32 v61, v65, v7
	v_and_b32_e32 v78, 1, v7
	v_and_b32_e32 v9, s1, v5
	v_or_b32_e32 v9, 0x80000000, v9
	v_and_b32_e32 v60, s0, v4
	v_ffbl_b32_e32 v9, v9
	v_add_u32_e32 v9, 32, v9
	v_ffbl_b32_e32 v60, v60
	v_min_u32_e32 v9, v60, v9
	ds_bpermute_b32 v60, v65, v6
	s_waitcnt lgkmcnt(1)
	v_and_b32_e32 v61, 1, v61
	v_cmp_eq_u32_e32 vcc, 1, v78
	v_cmp_lt_u32_e64 s[0:1], v64, v9
	v_subrev_u32_e32 v58, 64, v58
	v_cndmask_b32_e64 v61, v61, 1, vcc
	v_cmp_gt_u64_e32 vcc, s[68:69], v[6:7]
	v_and_b32_e32 v78, 0xffff, v61
	v_cndmask_b32_e64 v61, v7, v61, s[0:1]
	v_cndmask_b32_e64 v7, v7, v78, s[0:1]
	s_and_b64 vcc, s[0:1], vcc
	ds_bpermute_b32 v78, v66, v7
	s_waitcnt lgkmcnt(1)
	v_cndmask_b32_e32 v60, 0, v60, vcc
	v_add_u32_e32 v6, v60, v6
	ds_bpermute_b32 v60, v66, v6
	v_and_b32_e32 v79, 1, v61
	s_waitcnt lgkmcnt(1)
	v_and_b32_e32 v78, 1, v78
	v_cmp_eq_u32_e32 vcc, 1, v79
	s_nop 1
	v_cndmask_b32_e64 v78, v78, 1, vcc
	v_cmp_eq_u16_sdwa vcc, v61, v59 src0_sel:BYTE_0 src1_sel:DWORD
	v_and_b32_e32 v79, 0xffff, v78
	s_waitcnt lgkmcnt(0)
	v_cndmask_b32_e32 v60, 0, v60, vcc
	v_cmp_gt_u32_e32 vcc, v67, v9
	s_nop 1
	v_cndmask_b32_e32 v7, v79, v7, vcc
	v_cndmask_b32_e32 v61, v78, v61, vcc
	ds_bpermute_b32 v78, v68, v7
	v_cndmask_b32_e64 v60, v60, 0, vcc
	v_add_u32_e32 v6, v60, v6
	ds_bpermute_b32 v60, v68, v6
	v_and_b32_e32 v79, 1, v61
	s_waitcnt lgkmcnt(1)
	v_and_b32_e32 v78, 1, v78
	v_cmp_eq_u32_e32 vcc, 1, v79
	s_nop 1
	v_cndmask_b32_e64 v78, v78, 1, vcc
	v_cmp_eq_u16_sdwa vcc, v61, v59 src0_sel:BYTE_0 src1_sel:DWORD
	v_and_b32_e32 v79, 0xffff, v78
	s_waitcnt lgkmcnt(0)
	v_cndmask_b32_e32 v60, 0, v60, vcc
	v_cmp_gt_u32_e32 vcc, v69, v9
	s_nop 1
	v_cndmask_b32_e32 v7, v79, v7, vcc
	v_cndmask_b32_e32 v61, v78, v61, vcc
	ds_bpermute_b32 v78, v70, v7
	v_cndmask_b32_e64 v60, v60, 0, vcc
	;; [unrolled: 18-line block ×3, first 2 shown]
	v_add_u32_e32 v6, v60, v6
	ds_bpermute_b32 v60, v72, v6
	v_and_b32_e32 v79, 1, v61
	s_waitcnt lgkmcnt(1)
	v_and_b32_e32 v78, 1, v78
	v_cmp_eq_u32_e32 vcc, 1, v79
	s_nop 1
	v_cndmask_b32_e64 v78, v78, 1, vcc
	v_cmp_eq_u16_sdwa vcc, v61, v59 src0_sel:BYTE_0 src1_sel:DWORD
	v_and_b32_e32 v79, 0xffff, v78
	s_waitcnt lgkmcnt(0)
	v_cndmask_b32_e32 v60, 0, v60, vcc
	v_cmp_gt_u32_e32 vcc, v74, v9
	s_nop 1
	v_cndmask_b32_e64 v60, v60, 0, vcc
	v_cndmask_b32_e32 v7, v79, v7, vcc
	ds_bpermute_b32 v7, v76, v7
	v_add_u32_e32 v6, v60, v6
	ds_bpermute_b32 v60, v76, v6
	v_cndmask_b32_e32 v61, v78, v61, vcc
	v_and_b32_e32 v78, 1, v61
	v_cmp_eq_u32_e32 vcc, 1, v78
	s_waitcnt lgkmcnt(1)
	s_nop 0
	v_cndmask_b32_e64 v7, v7, 1, vcc
	v_cmp_eq_u16_sdwa vcc, v61, v59 src0_sel:BYTE_0 src1_sel:DWORD
	s_waitcnt lgkmcnt(0)
	s_nop 0
	v_cndmask_b32_e32 v60, 0, v60, vcc
	v_cmp_gt_u32_e32 vcc, v77, v9
	s_nop 1
	v_cndmask_b32_e64 v9, v60, 0, vcc
	v_cndmask_b32_e32 v7, v7, v61, vcc
	v_add_u32_e32 v6, v9, v6
	v_cmp_eq_u16_sdwa vcc, v73, v59 src0_sel:BYTE_0 src1_sel:DWORD
	v_and_b32_e32 v9, 1, v73
	v_and_b32_e32 v7, 1, v7
	v_cndmask_b32_e32 v6, 0, v6, vcc
	v_cmp_eq_u32_e32 vcc, 1, v9
	v_add_u32_e32 v6, v6, v75
	s_nop 0
	v_cndmask_b32_e64 v7, v7, 1, vcc
.LBB778_101:                            ; =>This Loop Header: Depth=1
                                        ;     Child Loop BB778_104 Depth 2
	v_cmp_ne_u16_sdwa s[0:1], v8, v3 src0_sel:BYTE_0 src1_sel:DWORD
	v_mov_b32_e32 v73, v7
	v_mov_b32_e32 v75, v6
	v_cndmask_b32_e64 v7, 0, 1, s[0:1]
	;;#ASMSTART
	;;#ASMEND
	s_nop 0
	v_cmp_ne_u32_e32 vcc, 0, v7
	s_cmp_lg_u64 vcc, exec
	s_cbranch_scc1 .LBB778_106
; %bb.102:                              ;   in Loop: Header=BB778_101 Depth=1
	v_lshl_add_u64 v[60:61], v[58:59], 4, s[64:65]
	;;#ASMSTART
	global_load_dwordx4 v[6:9], v[60:61] off sc1	
s_waitcnt vmcnt(0)
	;;#ASMEND
	s_nop 0
	v_and_b32_e32 v9, 0xff0000, v6
	v_and_b32_e32 v78, 0xff000000, v6
	;; [unrolled: 1-line block ×3, first 2 shown]
	v_or_b32_sdwa v6, v6, v9 dst_sel:DWORD dst_unused:UNUSED_PAD src0_sel:WORD_0 src1_sel:DWORD
	v_or3_b32 v7, 0, 0, v7
	v_or3_b32 v6, v6, v78, 0
	v_cmp_eq_u16_sdwa s[74:75], v8, v59 src0_sel:BYTE_0 src1_sel:DWORD
	s_and_saveexec_b64 s[0:1], s[74:75]
	s_cbranch_execz .LBB778_100
; %bb.103:                              ;   in Loop: Header=BB778_101 Depth=1
	s_mov_b64 s[74:75], 0
.LBB778_104:                            ;   Parent Loop BB778_101 Depth=1
                                        ; =>  This Inner Loop Header: Depth=2
	;;#ASMSTART
	global_load_dwordx4 v[6:9], v[60:61] off sc1	
s_waitcnt vmcnt(0)
	;;#ASMEND
	s_nop 0
	v_cmp_ne_u16_sdwa s[78:79], v8, v59 src0_sel:BYTE_0 src1_sel:DWORD
	s_or_b64 s[74:75], s[78:79], s[74:75]
	s_andn2_b64 exec, exec, s[74:75]
	s_cbranch_execnz .LBB778_104
; %bb.105:                              ;   in Loop: Header=BB778_101 Depth=1
	s_or_b64 exec, exec, s[74:75]
	v_and_b32_e32 v7, 0xff, v7
	s_branch .LBB778_100
.LBB778_106:                            ;   in Loop: Header=BB778_101 Depth=1
                                        ; implicit-def: $vgpr7
                                        ; implicit-def: $vgpr6
                                        ; implicit-def: $vgpr8
	s_cbranch_execz .LBB778_101
; %bb.107:
	s_and_saveexec_b64 s[0:1], s[52:53]
	s_cbranch_execz .LBB778_109
; %bb.108:
	s_and_b32 s52, s76, 0xff
	s_cmp_eq_u32 s52, 0
	s_cselect_b64 vcc, -1, 0
	s_bitcmp1_b32 s76, 0
	s_mov_b32 s53, 0
	s_cselect_b64 s[68:69], -1, 0
	s_add_i32 s52, s67, 64
	s_lshl_b64 s[52:53], s[52:53], 4
	v_cndmask_b32_e32 v3, 0, v75, vcc
	s_add_u32 s52, s64, s52
	v_add_u32_e32 v2, v3, v2
	v_and_b32_e32 v3, 1, v73
	s_addc_u32 s53, s65, s53
	v_mov_b32_e32 v5, 0
	v_cndmask_b32_e64 v3, v3, 1, s[68:69]
	v_mov_b32_e32 v4, 2
	v_mov_b64_e32 v[6:7], s[52:53]
	;;#ASMSTART
	global_store_dwordx4 v[6:7], v[2:5] off sc1	
s_waitcnt vmcnt(0)
	;;#ASMEND
.LBB778_109:
	s_or_b64 exec, exec, s[0:1]
	s_and_b64 exec, exec, s[54:55]
	s_cbranch_execz .LBB778_111
; %bb.110:
	v_mov_b32_e32 v2, 0
	ds_write_b32 v2, v75
	ds_write_b8 v2, v73 offset:4
.LBB778_111:
	s_or_b64 exec, exec, s[60:61]
	s_mov_b32 s0, 0
	v_mov_b32_e32 v2, 0
	s_mov_b32 s1, 1
	s_waitcnt lgkmcnt(0)
	s_barrier
	ds_read_b32 v3, v2
	v_cmp_gt_u64_e32 vcc, s[0:1], v[10:11]
	v_and_b32_e32 v5, 1, v11
	v_and_b32_e32 v6, 1, v63
	v_cndmask_b32_e32 v4, 0, v62, vcc
	v_cmp_eq_u32_e32 vcc, 1, v5
	v_cndmask_b32_e64 v4, v4, 0, s[54:55]
	s_nop 0
	v_cndmask_b32_e64 v5, v6, 1, vcc
	v_cndmask_b32_e64 v5, v5, v11, s[54:55]
	v_cmp_eq_u16_sdwa vcc, v5, v2 src0_sel:BYTE_0 src1_sel:DWORD
	s_waitcnt lgkmcnt(0)
	s_nop 0
	v_cndmask_b32_e32 v2, 0, v3, vcc
	v_add3_u32 v80, v4, v10, v2
	v_cndmask_b32_e64 v2, 0, v80, s[6:7]
	v_add_u32_e32 v58, v2, v12
	v_cndmask_b32_e64 v2, 0, v58, s[8:9]
	v_add_u32_e32 v59, v2, v14
	;; [unrolled: 2-line block ×22, first 2 shown]
	s_branch .LBB778_201
.LBB778_112:
	s_or_b64 exec, exec, s[60:61]
                                        ; implicit-def: $vgpr49
	s_and_saveexec_b64 s[60:61], s[6:7]
	s_cbranch_execz .LBB778_53
.LBB778_113:
	v_mov_b32_e32 v47, 0
	v_lshl_add_u64 v[50:51], s[0:1], 0, v[46:47]
	flat_load_dword v49, v[50:51] offset:1024
	s_or_b64 exec, exec, s[60:61]
                                        ; implicit-def: $vgpr50
	s_and_saveexec_b64 s[6:7], s[8:9]
	s_cbranch_execnz .LBB778_54
.LBB778_114:
	s_or_b64 exec, exec, s[6:7]
                                        ; implicit-def: $vgpr47
	s_and_saveexec_b64 s[6:7], s[10:11]
	s_cbranch_execz .LBB778_55
.LBB778_115:
	v_mov_b32_e32 v47, 0
	v_lshl_add_u64 v[52:53], s[0:1], 0, v[46:47]
	flat_load_dword v47, v[52:53] offset:3072
	s_or_b64 exec, exec, s[6:7]
                                        ; implicit-def: $vgpr3
	s_and_saveexec_b64 s[6:7], s[12:13]
	s_cbranch_execnz .LBB778_56
.LBB778_116:
	s_or_b64 exec, exec, s[6:7]
                                        ; implicit-def: $vgpr2
	s_and_saveexec_b64 s[6:7], s[14:15]
	s_cbranch_execz .LBB778_57
.LBB778_117:
	v_mov_b32_e32 v11, 0
	v_lshl_add_u64 v[10:11], s[0:1], 0, v[10:11]
	flat_load_dword v2, v[10:11]
	s_or_b64 exec, exec, s[6:7]
                                        ; implicit-def: $vgpr10
	s_and_saveexec_b64 s[6:7], s[16:17]
	s_cbranch_execnz .LBB778_58
.LBB778_118:
	s_or_b64 exec, exec, s[6:7]
                                        ; implicit-def: $vgpr11
	s_and_saveexec_b64 s[6:7], s[18:19]
	s_cbranch_execz .LBB778_59
.LBB778_119:
	v_mov_b32_e32 v15, 0
	v_lshl_add_u64 v[12:13], s[0:1], 0, v[14:15]
	flat_load_dword v11, v[12:13]
	s_or_b64 exec, exec, s[6:7]
                                        ; implicit-def: $vgpr12
	s_and_saveexec_b64 s[6:7], s[20:21]
	s_cbranch_execnz .LBB778_60
.LBB778_120:
	s_or_b64 exec, exec, s[6:7]
                                        ; implicit-def: $vgpr13
	s_and_saveexec_b64 s[6:7], s[22:23]
	s_cbranch_execz .LBB778_61
.LBB778_121:
	v_mov_b32_e32 v19, 0
	v_lshl_add_u64 v[14:15], s[0:1], 0, v[18:19]
	flat_load_dword v13, v[14:15]
	s_or_b64 exec, exec, s[6:7]
                                        ; implicit-def: $vgpr14
	s_and_saveexec_b64 s[6:7], s[24:25]
	s_cbranch_execnz .LBB778_62
.LBB778_122:
	s_or_b64 exec, exec, s[6:7]
                                        ; implicit-def: $vgpr15
	s_and_saveexec_b64 s[6:7], s[26:27]
	s_cbranch_execz .LBB778_63
.LBB778_123:
	v_mov_b32_e32 v23, 0
	v_lshl_add_u64 v[16:17], s[0:1], 0, v[22:23]
	flat_load_dword v15, v[16:17]
	s_or_b64 exec, exec, s[6:7]
                                        ; implicit-def: $vgpr16
	s_and_saveexec_b64 s[6:7], s[28:29]
	s_cbranch_execnz .LBB778_64
.LBB778_124:
	s_or_b64 exec, exec, s[6:7]
                                        ; implicit-def: $vgpr17
	s_and_saveexec_b64 s[6:7], s[30:31]
	s_cbranch_execz .LBB778_65
.LBB778_125:
	v_mov_b32_e32 v27, 0
	v_lshl_add_u64 v[18:19], s[0:1], 0, v[26:27]
	flat_load_dword v17, v[18:19]
	s_or_b64 exec, exec, s[6:7]
                                        ; implicit-def: $vgpr18
	s_and_saveexec_b64 s[6:7], s[34:35]
	s_cbranch_execnz .LBB778_66
.LBB778_126:
	s_or_b64 exec, exec, s[6:7]
                                        ; implicit-def: $vgpr19
	s_and_saveexec_b64 s[6:7], s[36:37]
	s_cbranch_execz .LBB778_67
.LBB778_127:
	v_mov_b32_e32 v31, 0
	v_lshl_add_u64 v[20:21], s[0:1], 0, v[30:31]
	flat_load_dword v19, v[20:21]
	s_or_b64 exec, exec, s[6:7]
                                        ; implicit-def: $vgpr20
	s_and_saveexec_b64 s[6:7], s[38:39]
	s_cbranch_execnz .LBB778_68
.LBB778_128:
	s_or_b64 exec, exec, s[6:7]
                                        ; implicit-def: $vgpr21
	s_and_saveexec_b64 s[6:7], s[40:41]
	s_cbranch_execz .LBB778_69
.LBB778_129:
	v_mov_b32_e32 v35, 0
	v_lshl_add_u64 v[22:23], s[0:1], 0, v[34:35]
	flat_load_dword v21, v[22:23]
	s_or_b64 exec, exec, s[6:7]
                                        ; implicit-def: $vgpr22
	s_and_saveexec_b64 s[6:7], s[42:43]
	s_cbranch_execnz .LBB778_70
.LBB778_130:
	s_or_b64 exec, exec, s[6:7]
                                        ; implicit-def: $vgpr23
	s_and_saveexec_b64 s[6:7], s[44:45]
	s_cbranch_execz .LBB778_71
.LBB778_131:
	v_mov_b32_e32 v39, 0
	v_lshl_add_u64 v[24:25], s[0:1], 0, v[38:39]
	flat_load_dword v23, v[24:25]
	s_or_b64 exec, exec, s[6:7]
                                        ; implicit-def: $vgpr24
	s_and_saveexec_b64 s[6:7], s[46:47]
	s_cbranch_execnz .LBB778_72
.LBB778_132:
	s_or_b64 exec, exec, s[6:7]
                                        ; implicit-def: $vgpr25
	s_and_saveexec_b64 s[6:7], s[48:49]
	s_cbranch_execz .LBB778_134
.LBB778_133:
	v_mov_b32_e32 v43, 0
	v_lshl_add_u64 v[26:27], s[0:1], 0, v[42:43]
	flat_load_dword v25, v[26:27]
.LBB778_134:
	s_or_b64 exec, exec, s[6:7]
	v_mul_u32_u24_e32 v73, 23, v0
                                        ; implicit-def: $vgpr26
	s_and_saveexec_b64 s[6:7], s[50:51]
	s_cbranch_execz .LBB778_136
; %bb.135:
	v_mov_b32_e32 v45, 0
	v_lshl_add_u64 v[26:27], s[0:1], 0, v[44:45]
	flat_load_dword v26, v[26:27]
.LBB778_136:
	s_or_b64 exec, exec, s[6:7]
	s_waitcnt vmcnt(0) lgkmcnt(0)
	ds_write2st64_b32 v46, v48, v49 offset1:4
	ds_write2st64_b32 v46, v50, v47 offset0:8 offset1:12
	ds_write2st64_b32 v46, v3, v2 offset0:16 offset1:20
	;; [unrolled: 1-line block ×10, first 2 shown]
	ds_write_b32 v46, v26 offset:22528
	v_mov_b64_e32 v[10:11], 0
	v_cmp_gt_u32_e32 vcc, s74, v73
	s_mov_b64 s[10:11], 0
	s_mov_b64 s[6:7], 0
	v_mov_b64_e32 v[12:13], v[10:11]
	v_mov_b64_e32 v[14:15], v[10:11]
	;; [unrolled: 1-line block ×21, first 2 shown]
	s_waitcnt lgkmcnt(0)
	s_barrier
	s_waitcnt lgkmcnt(0)
                                        ; implicit-def: $vgpr3
	s_and_saveexec_b64 s[8:9], vcc
	s_cbranch_execz .LBB778_180
; %bb.137:
	ds_read_b32 v10, v72
	v_add_u32_e32 v2, 1, v73
	v_cmp_ne_u32_e32 vcc, 0, v68
	v_mov_b64_e32 v[12:13], 0
	s_mov_b64 s[12:13], 0
	v_cndmask_b32_e64 v11, 0, 1, vcc
	v_cmp_gt_u32_e32 vcc, s74, v2
	s_mov_b64 s[14:15], 0
	v_mov_b64_e32 v[14:15], v[12:13]
	v_mov_b64_e32 v[16:17], v[12:13]
	;; [unrolled: 1-line block ×20, first 2 shown]
                                        ; implicit-def: $vgpr3
	s_and_saveexec_b64 s[10:11], vcc
	s_cbranch_execz .LBB778_179
; %bb.138:
	ds_read2_b32 v[70:71], v72 offset0:1 offset1:2
	v_add_u32_e32 v2, 2, v73
	v_cmp_ne_u32_e32 vcc, 0, v69
	v_mov_b64_e32 v[14:15], 0
	s_mov_b64 s[16:17], 0
	v_cndmask_b32_e64 v13, 0, 1, vcc
	v_cmp_gt_u32_e32 vcc, s74, v2
	s_waitcnt lgkmcnt(0)
	v_mov_b32_e32 v12, v70
	v_mov_b64_e32 v[16:17], v[14:15]
	v_mov_b64_e32 v[18:19], v[14:15]
	;; [unrolled: 1-line block ×19, first 2 shown]
                                        ; implicit-def: $vgpr3
	s_and_saveexec_b64 s[12:13], vcc
	s_cbranch_execz .LBB778_178
; %bb.139:
	v_add_u32_e32 v2, 3, v73
	v_cmp_ne_u32_e32 vcc, 0, v66
	v_mov_b64_e32 v[16:17], 0
	v_mov_b32_e32 v14, v71
	v_cndmask_b32_e64 v15, 0, 1, vcc
	v_cmp_gt_u32_e32 vcc, s74, v2
	s_mov_b64 s[18:19], 0
	v_mov_b64_e32 v[18:19], v[16:17]
	v_mov_b64_e32 v[20:21], v[16:17]
	;; [unrolled: 1-line block ×18, first 2 shown]
                                        ; implicit-def: $vgpr3
	s_and_saveexec_b64 s[14:15], vcc
	s_cbranch_execz .LBB778_177
; %bb.140:
	ds_read2_b32 v[68:69], v72 offset0:3 offset1:4
	v_add_u32_e32 v2, 4, v73
	v_cmp_ne_u32_e32 vcc, 0, v67
	v_mov_b64_e32 v[18:19], 0
	s_mov_b64 s[20:21], 0
	v_cndmask_b32_e64 v17, 0, 1, vcc
	v_cmp_gt_u32_e32 vcc, s74, v2
	s_waitcnt lgkmcnt(0)
	v_mov_b32_e32 v16, v68
	v_mov_b64_e32 v[20:21], v[18:19]
	v_mov_b64_e32 v[22:23], v[18:19]
	;; [unrolled: 1-line block ×17, first 2 shown]
                                        ; implicit-def: $vgpr3
	s_and_saveexec_b64 s[16:17], vcc
	s_cbranch_execz .LBB778_176
; %bb.141:
	v_add_u32_e32 v2, 5, v73
	v_cmp_ne_u32_e32 vcc, 0, v64
	v_mov_b64_e32 v[20:21], 0
	v_mov_b32_e32 v18, v69
	v_cndmask_b32_e64 v19, 0, 1, vcc
	v_cmp_gt_u32_e32 vcc, s74, v2
	s_mov_b64 s[22:23], 0
	v_mov_b64_e32 v[22:23], v[20:21]
	v_mov_b64_e32 v[24:25], v[20:21]
	;; [unrolled: 1-line block ×16, first 2 shown]
                                        ; implicit-def: $vgpr3
	s_and_saveexec_b64 s[18:19], vcc
	s_cbranch_execz .LBB778_175
; %bb.142:
	ds_read2_b32 v[66:67], v72 offset0:5 offset1:6
	v_add_u32_e32 v2, 6, v73
	v_cmp_ne_u32_e32 vcc, 0, v65
	v_mov_b64_e32 v[22:23], 0
	s_mov_b64 s[24:25], 0
	v_cndmask_b32_e64 v21, 0, 1, vcc
	v_cmp_gt_u32_e32 vcc, s74, v2
	s_waitcnt lgkmcnt(0)
	v_mov_b32_e32 v20, v66
	v_mov_b64_e32 v[24:25], v[22:23]
	v_mov_b64_e32 v[26:27], v[22:23]
	;; [unrolled: 1-line block ×15, first 2 shown]
                                        ; implicit-def: $vgpr3
	s_and_saveexec_b64 s[20:21], vcc
	s_cbranch_execz .LBB778_174
; %bb.143:
	v_add_u32_e32 v2, 7, v73
	v_cmp_ne_u32_e32 vcc, 0, v62
	v_mov_b64_e32 v[24:25], 0
	v_mov_b32_e32 v22, v67
	v_cndmask_b32_e64 v23, 0, 1, vcc
	v_cmp_gt_u32_e32 vcc, s74, v2
	s_mov_b64 s[26:27], 0
	v_mov_b64_e32 v[26:27], v[24:25]
	v_mov_b64_e32 v[28:29], v[24:25]
	v_mov_b64_e32 v[30:31], v[24:25]
	v_mov_b64_e32 v[32:33], v[24:25]
	v_mov_b64_e32 v[34:35], v[24:25]
	v_mov_b64_e32 v[36:37], v[24:25]
	v_mov_b64_e32 v[38:39], v[24:25]
	v_mov_b64_e32 v[40:41], v[24:25]
	v_mov_b64_e32 v[42:43], v[24:25]
	v_mov_b64_e32 v[44:45], v[24:25]
	v_mov_b64_e32 v[46:47], v[24:25]
	v_mov_b64_e32 v[48:49], v[24:25]
	v_mov_b64_e32 v[50:51], v[24:25]
	v_mov_b64_e32 v[52:53], v[24:25]
                                        ; implicit-def: $vgpr3
	s_and_saveexec_b64 s[22:23], vcc
	s_cbranch_execz .LBB778_173
; %bb.144:
	ds_read2_b32 v[64:65], v72 offset0:7 offset1:8
	v_add_u32_e32 v2, 8, v73
	v_cmp_ne_u32_e32 vcc, 0, v63
	v_mov_b64_e32 v[26:27], 0
	s_mov_b64 s[28:29], 0
	v_cndmask_b32_e64 v25, 0, 1, vcc
	v_cmp_gt_u32_e32 vcc, s74, v2
	s_waitcnt lgkmcnt(0)
	v_mov_b32_e32 v24, v64
	v_mov_b64_e32 v[28:29], v[26:27]
	v_mov_b64_e32 v[30:31], v[26:27]
	;; [unrolled: 1-line block ×13, first 2 shown]
                                        ; implicit-def: $vgpr3
	s_and_saveexec_b64 s[24:25], vcc
	s_cbranch_execz .LBB778_172
; %bb.145:
	v_add_u32_e32 v2, 9, v73
	v_cmp_ne_u32_e32 vcc, 0, v60
	v_mov_b64_e32 v[28:29], 0
	v_mov_b32_e32 v26, v65
	v_cndmask_b32_e64 v27, 0, 1, vcc
	v_cmp_gt_u32_e32 vcc, s74, v2
	s_mov_b64 s[30:31], 0
	v_mov_b64_e32 v[30:31], v[28:29]
	v_mov_b64_e32 v[32:33], v[28:29]
	;; [unrolled: 1-line block ×12, first 2 shown]
                                        ; implicit-def: $vgpr3
	s_and_saveexec_b64 s[26:27], vcc
	s_cbranch_execz .LBB778_171
; %bb.146:
	ds_read2_b32 v[62:63], v72 offset0:9 offset1:10
	v_add_u32_e32 v2, 10, v73
	v_cmp_ne_u32_e32 vcc, 0, v61
	v_mov_b64_e32 v[30:31], 0
	s_mov_b64 s[34:35], 0
	v_cndmask_b32_e64 v29, 0, 1, vcc
	v_cmp_gt_u32_e32 vcc, s74, v2
	s_waitcnt lgkmcnt(0)
	v_mov_b32_e32 v28, v62
	v_mov_b64_e32 v[32:33], v[30:31]
	v_mov_b64_e32 v[34:35], v[30:31]
	;; [unrolled: 1-line block ×11, first 2 shown]
                                        ; implicit-def: $vgpr3
	s_and_saveexec_b64 s[28:29], vcc
	s_cbranch_execz .LBB778_170
; %bb.147:
	v_add_u32_e32 v2, 11, v73
	v_cmp_ne_u32_e32 vcc, 0, v58
	v_mov_b64_e32 v[32:33], 0
	v_mov_b32_e32 v30, v63
	v_cndmask_b32_e64 v31, 0, 1, vcc
	v_cmp_gt_u32_e32 vcc, s74, v2
	s_mov_b64 s[36:37], 0
	v_mov_b64_e32 v[34:35], v[32:33]
	v_mov_b64_e32 v[36:37], v[32:33]
	;; [unrolled: 1-line block ×10, first 2 shown]
                                        ; implicit-def: $vgpr3
	s_and_saveexec_b64 s[30:31], vcc
	s_cbranch_execz .LBB778_169
; %bb.148:
	ds_read2_b32 v[60:61], v72 offset0:11 offset1:12
	v_add_u32_e32 v2, 12, v73
	v_cmp_ne_u32_e32 vcc, 0, v59
	v_mov_b64_e32 v[34:35], 0
	s_mov_b64 s[38:39], 0
	v_cndmask_b32_e64 v33, 0, 1, vcc
	v_cmp_gt_u32_e32 vcc, s74, v2
	s_waitcnt lgkmcnt(0)
	v_mov_b32_e32 v32, v60
	v_mov_b64_e32 v[36:37], v[34:35]
	v_mov_b64_e32 v[38:39], v[34:35]
	;; [unrolled: 1-line block ×9, first 2 shown]
                                        ; implicit-def: $vgpr3
	s_and_saveexec_b64 s[34:35], vcc
	s_cbranch_execz .LBB778_168
; %bb.149:
	v_add_u32_e32 v2, 13, v73
	v_cmp_ne_u32_e32 vcc, 0, v56
	v_mov_b64_e32 v[36:37], 0
	v_mov_b32_e32 v34, v61
	v_cndmask_b32_e64 v35, 0, 1, vcc
	v_cmp_gt_u32_e32 vcc, s74, v2
	s_mov_b64 s[40:41], 0
	v_mov_b64_e32 v[38:39], v[36:37]
	v_mov_b64_e32 v[40:41], v[36:37]
	;; [unrolled: 1-line block ×8, first 2 shown]
                                        ; implicit-def: $vgpr3
	s_and_saveexec_b64 s[36:37], vcc
	s_cbranch_execz .LBB778_167
; %bb.150:
	ds_read2_b32 v[58:59], v72 offset0:13 offset1:14
	v_add_u32_e32 v2, 14, v73
	v_cmp_ne_u32_e32 vcc, 0, v57
	v_mov_b64_e32 v[38:39], 0
	s_mov_b64 s[42:43], 0
	v_cndmask_b32_e64 v37, 0, 1, vcc
	v_cmp_gt_u32_e32 vcc, s74, v2
	s_waitcnt lgkmcnt(0)
	v_mov_b32_e32 v36, v58
	v_mov_b64_e32 v[40:41], v[38:39]
	v_mov_b64_e32 v[42:43], v[38:39]
	;; [unrolled: 1-line block ×7, first 2 shown]
                                        ; implicit-def: $vgpr3
	s_and_saveexec_b64 s[38:39], vcc
	s_cbranch_execz .LBB778_166
; %bb.151:
	v_add_u32_e32 v2, 15, v73
	v_cmp_ne_u32_e32 vcc, 0, v54
	v_mov_b64_e32 v[40:41], 0
	v_mov_b32_e32 v38, v59
	v_cndmask_b32_e64 v39, 0, 1, vcc
	v_cmp_gt_u32_e32 vcc, s74, v2
	s_mov_b64 s[44:45], 0
	v_mov_b64_e32 v[42:43], v[40:41]
	v_mov_b64_e32 v[44:45], v[40:41]
	;; [unrolled: 1-line block ×6, first 2 shown]
                                        ; implicit-def: $vgpr3
	s_and_saveexec_b64 s[40:41], vcc
	s_cbranch_execz .LBB778_165
; %bb.152:
	ds_read2_b32 v[56:57], v72 offset0:15 offset1:16
	v_add_u32_e32 v2, 16, v73
	v_cmp_ne_u32_e32 vcc, 0, v55
	v_mov_b64_e32 v[42:43], 0
	s_mov_b64 s[46:47], 0
	v_cndmask_b32_e64 v41, 0, 1, vcc
	v_cmp_gt_u32_e32 vcc, s74, v2
	s_waitcnt lgkmcnt(0)
	v_mov_b32_e32 v40, v56
	v_mov_b64_e32 v[44:45], v[42:43]
	v_mov_b64_e32 v[46:47], v[42:43]
	;; [unrolled: 1-line block ×5, first 2 shown]
                                        ; implicit-def: $vgpr3
	s_and_saveexec_b64 s[42:43], vcc
	s_cbranch_execz .LBB778_164
; %bb.153:
	v_add_u32_e32 v2, 17, v73
	v_cmp_ne_u32_e32 vcc, 0, v8
	v_mov_b64_e32 v[44:45], 0
	v_mov_b32_e32 v42, v57
	v_cndmask_b32_e64 v43, 0, 1, vcc
	v_cmp_gt_u32_e32 vcc, s74, v2
	s_mov_b64 s[48:49], 0
	v_mov_b64_e32 v[46:47], v[44:45]
	v_mov_b64_e32 v[48:49], v[44:45]
	;; [unrolled: 1-line block ×4, first 2 shown]
                                        ; implicit-def: $vgpr3
	s_and_saveexec_b64 s[44:45], vcc
	s_cbranch_execz .LBB778_163
; %bb.154:
	ds_read2_b32 v[54:55], v72 offset0:17 offset1:18
	v_add_u32_e32 v2, 18, v73
	v_cmp_ne_u32_e32 vcc, 0, v9
	v_mov_b64_e32 v[46:47], 0
	s_mov_b64 s[50:51], 0
	v_cndmask_b32_e64 v45, 0, 1, vcc
	v_cmp_gt_u32_e32 vcc, s74, v2
	s_waitcnt lgkmcnt(0)
	v_mov_b32_e32 v44, v54
	v_mov_b64_e32 v[48:49], v[46:47]
	v_mov_b64_e32 v[50:51], v[46:47]
	;; [unrolled: 1-line block ×3, first 2 shown]
                                        ; implicit-def: $vgpr3
	s_and_saveexec_b64 s[46:47], vcc
	s_cbranch_execz .LBB778_162
; %bb.155:
	v_add_u32_e32 v2, 19, v73
	v_cmp_ne_u32_e32 vcc, 0, v6
	v_mov_b64_e32 v[48:49], 0
	v_mov_b32_e32 v46, v55
	v_cndmask_b32_e64 v47, 0, 1, vcc
	v_cmp_gt_u32_e32 vcc, s74, v2
	s_mov_b64 s[60:61], 0
	v_mov_b64_e32 v[50:51], v[48:49]
	v_mov_b64_e32 v[52:53], v[48:49]
                                        ; implicit-def: $vgpr3
	s_and_saveexec_b64 s[48:49], vcc
	s_cbranch_execz .LBB778_161
; %bb.156:
	ds_read2_b32 v[8:9], v72 offset0:19 offset1:20
	v_add_u32_e32 v2, 20, v73
	v_cmp_ne_u32_e32 vcc, 0, v7
	v_mov_b64_e32 v[50:51], 0
	s_mov_b64 s[68:69], 0
	v_cndmask_b32_e64 v49, 0, 1, vcc
	v_cmp_gt_u32_e32 vcc, s74, v2
	s_waitcnt lgkmcnt(0)
	v_mov_b32_e32 v48, v8
	v_mov_b64_e32 v[52:53], v[50:51]
                                        ; implicit-def: $vgpr3
	s_and_saveexec_b64 s[50:51], vcc
	s_cbranch_execz .LBB778_160
; %bb.157:
	v_add_u32_e32 v2, 21, v73
	v_cmp_ne_u32_e32 vcc, 0, v4
	v_mov_b32_e32 v50, v9
	v_mov_b64_e32 v[52:53], 0
	v_cndmask_b32_e64 v51, 0, 1, vcc
	v_cmp_gt_u32_e32 vcc, s74, v2
                                        ; implicit-def: $vgpr3
	s_and_saveexec_b64 s[60:61], vcc
	s_xor_b64 s[60:61], exec, s[60:61]
	s_cbranch_execz .LBB778_159
; %bb.158:
	ds_read2_b32 v[2:3], v72 offset0:21 offset1:22
	v_add_u32_e32 v4, 22, v73
	v_cmp_ne_u32_e32 vcc, 0, v5
	s_waitcnt lgkmcnt(0)
	v_mov_b32_e32 v52, v2
	v_cndmask_b32_e64 v53, 0, 1, vcc
	v_cmp_gt_u32_e32 vcc, s74, v4
	s_and_b64 s[68:69], vcc, exec
.LBB778_159:
	s_or_b64 exec, exec, s[60:61]
	s_and_b64 s[60:61], s[68:69], exec
.LBB778_160:
	s_or_b64 exec, exec, s[50:51]
	s_and_b64 s[50:51], s[60:61], exec
.LBB778_161:
	s_or_b64 exec, exec, s[48:49]
	s_and_b64 s[48:49], s[50:51], exec
.LBB778_162:
	s_or_b64 exec, exec, s[46:47]
	s_and_b64 s[46:47], s[48:49], exec
.LBB778_163:
	s_or_b64 exec, exec, s[44:45]
	s_and_b64 s[44:45], s[46:47], exec
.LBB778_164:
	s_or_b64 exec, exec, s[42:43]
	s_and_b64 s[42:43], s[44:45], exec
.LBB778_165:
	s_or_b64 exec, exec, s[40:41]
	s_and_b64 s[40:41], s[42:43], exec
.LBB778_166:
	s_or_b64 exec, exec, s[38:39]
	s_and_b64 s[38:39], s[40:41], exec
.LBB778_167:
	s_or_b64 exec, exec, s[36:37]
	s_and_b64 s[36:37], s[38:39], exec
.LBB778_168:
	s_or_b64 exec, exec, s[34:35]
	s_and_b64 s[34:35], s[36:37], exec
.LBB778_169:
	s_or_b64 exec, exec, s[30:31]
	s_and_b64 s[30:31], s[34:35], exec
.LBB778_170:
	s_or_b64 exec, exec, s[28:29]
	s_and_b64 s[28:29], s[30:31], exec
.LBB778_171:
	s_or_b64 exec, exec, s[26:27]
	s_and_b64 s[26:27], s[28:29], exec
.LBB778_172:
	s_or_b64 exec, exec, s[24:25]
	s_and_b64 s[24:25], s[26:27], exec
.LBB778_173:
	s_or_b64 exec, exec, s[22:23]
	s_and_b64 s[22:23], s[24:25], exec
.LBB778_174:
	s_or_b64 exec, exec, s[20:21]
	s_and_b64 s[20:21], s[22:23], exec
.LBB778_175:
	s_or_b64 exec, exec, s[18:19]
	s_and_b64 s[18:19], s[20:21], exec
.LBB778_176:
	s_or_b64 exec, exec, s[16:17]
	s_and_b64 s[16:17], s[18:19], exec
.LBB778_177:
	s_or_b64 exec, exec, s[14:15]
	s_and_b64 s[14:15], s[16:17], exec
.LBB778_178:
	s_or_b64 exec, exec, s[12:13]
	s_and_b64 s[12:13], s[14:15], exec
.LBB778_179:
	s_or_b64 exec, exec, s[10:11]
	s_and_b64 s[10:11], s[12:13], exec
.LBB778_180:
	s_or_b64 exec, exec, s[8:9]
	s_mov_b64 s[8:9], 0
	s_and_b64 vcc, exec, s[6:7]
	v_lshlrev_b32_e32 v54, 2, v0
	s_cbranch_vccnz .LBB778_74
	s_branch .LBB778_75
.LBB778_181:
                                        ; implicit-def: $vgpr78
                                        ; implicit-def: $vgpr77
                                        ; implicit-def: $vgpr76
                                        ; implicit-def: $vgpr75
                                        ; implicit-def: $vgpr74
                                        ; implicit-def: $vgpr73
                                        ; implicit-def: $vgpr72
                                        ; implicit-def: $vgpr71
                                        ; implicit-def: $vgpr70
                                        ; implicit-def: $vgpr69
                                        ; implicit-def: $vgpr68
                                        ; implicit-def: $vgpr67
                                        ; implicit-def: $vgpr66
                                        ; implicit-def: $vgpr65
                                        ; implicit-def: $vgpr64
                                        ; implicit-def: $vgpr63
                                        ; implicit-def: $vgpr62
                                        ; implicit-def: $vgpr61
                                        ; implicit-def: $vgpr60
                                        ; implicit-def: $vgpr59
                                        ; implicit-def: $vgpr58
                                        ; implicit-def: $vgpr80
                                        ; implicit-def: $vgpr79
	s_cbranch_execz .LBB778_201
; %bb.182:
	s_cmp_lg_u64 s[72:73], 0
	s_cselect_b32 s9, s71, 0
	s_cselect_b32 s8, s70, 0
	s_cmp_lg_u64 s[8:9], 0
	s_cselect_b64 s[6:7], -1, 0
	s_mov_b32 s0, 0
	s_and_b64 s[10:11], s[54:55], s[6:7]
	s_and_saveexec_b64 s[6:7], s[10:11]
	s_cbranch_execz .LBB778_184
; %bb.183:
	v_mov_b32_e32 v2, 0
	global_load_dword v4, v2, s[8:9]
	global_load_ubyte v5, v2, s[8:9] offset:4
	s_mov_b32 s1, 1
	v_and_b32_e32 v3, 1, v11
	v_cmp_gt_u64_e32 vcc, s[0:1], v[10:11]
	s_waitcnt vmcnt(0)
	v_and_b32_e32 v5, 1, v5
	v_cndmask_b32_e32 v4, 0, v4, vcc
	v_cmp_eq_u64_e32 vcc, 0, v[2:3]
	v_add_u32_e32 v10, v4, v10
	s_nop 0
	v_cndmask_b32_e32 v11, 1, v5, vcc
.LBB778_184:
	s_or_b64 exec, exec, s[6:7]
	s_mov_b32 s1, 1
	v_cmp_gt_u64_e32 vcc, s[0:1], v[12:13]
	v_cmp_gt_u64_e64 s[6:7], s[0:1], v[14:15]
	v_cmp_gt_u64_e64 s[8:9], s[0:1], v[16:17]
	v_cndmask_b32_e32 v2, 0, v10, vcc
	v_add_u32_e32 v58, v2, v12
	v_cndmask_b32_e64 v2, 0, v58, s[6:7]
	v_add_u32_e32 v59, v2, v14
	v_cndmask_b32_e64 v2, 0, v59, s[8:9]
	v_add_u32_e32 v60, v2, v16
	v_cmp_gt_u64_e64 s[10:11], s[0:1], v[18:19]
	v_cmp_gt_u64_e64 s[12:13], s[0:1], v[20:21]
	v_cmp_gt_u64_e64 s[14:15], s[0:1], v[22:23]
	v_cndmask_b32_e64 v2, 0, v60, s[10:11]
	v_add_u32_e32 v61, v2, v18
	v_cndmask_b32_e64 v2, 0, v61, s[12:13]
	v_add_u32_e32 v62, v2, v20
	v_cndmask_b32_e64 v2, 0, v62, s[14:15]
	v_add_u32_e32 v63, v2, v22
	v_cmp_gt_u64_e64 s[16:17], s[0:1], v[24:25]
	v_cmp_gt_u64_e64 s[18:19], s[0:1], v[26:27]
	v_cmp_gt_u64_e64 s[20:21], s[0:1], v[28:29]
	v_cndmask_b32_e64 v2, 0, v63, s[16:17]
	;; [unrolled: 9-line block ×6, first 2 shown]
	v_add_u32_e32 v76, v2, v48
	v_cndmask_b32_e64 v2, 0, v76, s[44:45]
	v_add_u32_e32 v77, v2, v50
	v_cndmask_b32_e64 v2, 0, v77, s[46:47]
	v_add_u32_e32 v78, v2, v52
	v_cmp_gt_u64_e64 s[48:49], s[0:1], v[56:57]
	v_add_lshl_u32 v1, v1, v0, 3
	s_nop 0
	v_cndmask_b32_e64 v2, 0, v78, s[48:49]
	v_add_u32_e32 v79, v2, v56
	v_or3_b32 v2, v55, v51, v49
	v_or3_b32 v2, v2, v47, v45
	;; [unrolled: 1-line block ×10, first 2 shown]
	v_and_b32_e32 v2, 1, v2
	v_cmp_eq_u32_e64 s[0:1], 1, v2
	s_nop 1
	v_cndmask_b32_e64 v4, v11, 1, s[0:1]
	v_cmp_gt_u32_e64 s[0:1], 64, v0
	ds_write_b32 v1, v79
	ds_write_b8 v1, v4 offset:4
	s_waitcnt lgkmcnt(0)
	s_barrier
	s_and_saveexec_b64 s[50:51], s[0:1]
	s_cbranch_execz .LBB778_196
; %bb.185:
	v_lshrrev_b32_e32 v1, 3, v0
	v_add_lshl_u32 v1, v1, v54, 3
	ds_read2_b32 v[6:7], v1 offset0:2 offset1:4
	ds_read_b64 v[2:3], v1
	ds_read_u8 v8, v1 offset:12
	ds_read_u8 v9, v1 offset:20
	ds_read_b32 v13, v1 offset:24
	ds_read_u8 v15, v1 offset:28
	v_mov_b32_e32 v17, 0
	s_waitcnt lgkmcnt(3)
	v_cmp_eq_u16_sdwa s[0:1], v8, v17 src0_sel:BYTE_0 src1_sel:DWORD
	v_and_b32_e32 v5, 1, v3
	s_nop 0
	v_cndmask_b32_e64 v19, 0, v2, s[0:1]
	v_add_u32_e32 v6, v19, v6
	s_waitcnt lgkmcnt(2)
	v_cmp_eq_u16_sdwa s[0:1], v9, v17 src0_sel:BYTE_0 src1_sel:DWORD
	s_nop 1
	v_cndmask_b32_e64 v6, 0, v6, s[0:1]
	v_add_u32_e32 v6, v6, v7
	s_waitcnt lgkmcnt(0)
	v_cmp_eq_u16_e64 s[0:1], 0, v15
	s_nop 1
	v_cndmask_b32_e64 v6, 0, v6, s[0:1]
	v_add_u32_e32 v7, v6, v13
	v_or_b32_e32 v6, v15, v9
	v_or_b32_e32 v6, v6, v8
	v_and_b32_e32 v6, 1, v6
	v_cmp_eq_u32_e64 s[0:1], 1, v6
	v_mbcnt_lo_u32_b32 v8, -1, 0
	v_and_b32_e32 v6, 0xffffff00, v3
	v_cndmask_b32_e64 v9, v5, 1, s[0:1]
	v_mbcnt_hi_u32_b32 v8, -1, v8
	v_and_b32_e32 v15, 15, v8
	v_or_b32_sdwa v13, v6, v9 dst_sel:DWORD dst_unused:UNUSED_PAD src0_sel:DWORD src1_sel:WORD_0
	v_mov_b32_dpp v17, v7 row_shr:1 row_mask:0xf bank_mask:0xf
	v_cmp_ne_u32_e64 s[0:1], 0, v15
	v_mov_b32_dpp v19, v13 row_shr:1 row_mask:0xf bank_mask:0xf
	s_and_saveexec_b64 s[52:53], s[0:1]
; %bb.186:
	v_and_b32_e32 v13, 1, v9
	v_and_b32_e32 v19, 1, v19
	v_cmp_eq_u32_e64 s[0:1], 1, v13
	s_nop 1
	v_cndmask_b32_e64 v19, v19, 1, s[0:1]
	v_cmp_eq_u16_e64 s[0:1], 0, v9
	v_or_b32_sdwa v13, v6, v19 dst_sel:DWORD dst_unused:UNUSED_PAD src0_sel:DWORD src1_sel:WORD_0
	s_nop 0
	v_cndmask_b32_e64 v9, 0, v17, s[0:1]
	v_add_u32_e32 v7, v9, v7
	v_mov_b32_e32 v9, v19
; %bb.187:
	s_or_b64 exec, exec, s[52:53]
	v_mov_b32_dpp v17, v7 row_shr:2 row_mask:0xf bank_mask:0xf
	v_mov_b32_dpp v19, v13 row_shr:2 row_mask:0xf bank_mask:0xf
	v_cmp_lt_u32_e64 s[0:1], 1, v15
	s_and_saveexec_b64 s[52:53], s[0:1]
; %bb.188:
	v_and_b32_e32 v13, 1, v9
	v_and_b32_e32 v19, 1, v19
	v_cmp_eq_u32_e64 s[0:1], 1, v13
	s_nop 1
	v_cndmask_b32_e64 v19, v19, 1, s[0:1]
	v_cmp_eq_u16_e64 s[0:1], 0, v9
	v_or_b32_sdwa v13, v6, v19 dst_sel:DWORD dst_unused:UNUSED_PAD src0_sel:DWORD src1_sel:WORD_0
	s_nop 0
	v_cndmask_b32_e64 v9, 0, v17, s[0:1]
	v_add_u32_e32 v7, v9, v7
	v_mov_b32_e32 v9, v19
; %bb.189:
	s_or_b64 exec, exec, s[52:53]
	v_mov_b32_dpp v17, v7 row_shr:4 row_mask:0xf bank_mask:0xf
	v_mov_b32_dpp v19, v13 row_shr:4 row_mask:0xf bank_mask:0xf
	v_cmp_lt_u32_e64 s[0:1], 3, v15
	;; [unrolled: 18-line block ×3, first 2 shown]
	s_and_saveexec_b64 s[52:53], s[0:1]
; %bb.192:
	v_and_b32_e32 v13, 1, v9
	v_and_b32_e32 v15, 1, v19
	v_cmp_eq_u32_e64 s[0:1], 1, v13
	s_nop 1
	v_cndmask_b32_e64 v15, v15, 1, s[0:1]
	v_cmp_eq_u16_e64 s[0:1], 0, v9
	v_or_b32_sdwa v13, v6, v15 dst_sel:DWORD dst_unused:UNUSED_PAD src0_sel:DWORD src1_sel:WORD_0
	s_nop 0
	v_cndmask_b32_e64 v9, 0, v17, s[0:1]
	v_add_u32_e32 v7, v9, v7
	v_mov_b32_e32 v9, v15
; %bb.193:
	s_or_b64 exec, exec, s[52:53]
	v_and_b32_e32 v19, 16, v8
	v_mov_b32_dpp v15, v7 row_bcast:15 row_mask:0xf bank_mask:0xf
	v_mov_b32_dpp v17, v13 row_bcast:15 row_mask:0xf bank_mask:0xf
	v_cmp_ne_u32_e64 s[0:1], 0, v19
	s_and_saveexec_b64 s[52:53], s[0:1]
; %bb.194:
	v_and_b32_e32 v13, 1, v9
	v_and_b32_e32 v17, 1, v17
	v_cmp_eq_u32_e64 s[0:1], 1, v13
	s_nop 1
	v_cndmask_b32_e64 v17, v17, 1, s[0:1]
	v_cmp_eq_u16_e64 s[0:1], 0, v9
	v_or_b32_sdwa v13, v6, v17 dst_sel:DWORD dst_unused:UNUSED_PAD src0_sel:DWORD src1_sel:WORD_0
	s_nop 0
	v_cndmask_b32_e64 v9, 0, v15, s[0:1]
	v_add_u32_e32 v7, v9, v7
	v_mov_b32_e32 v9, v17
; %bb.195:
	s_or_b64 exec, exec, s[52:53]
	v_mov_b32_dpp v13, v13 row_bcast:31 row_mask:0xf bank_mask:0xf
	v_and_b32_e32 v17, 1, v9
	v_and_b32_e32 v13, 1, v13
	v_cmp_eq_u32_e64 s[0:1], 1, v17
	v_mov_b32_e32 v17, 0
	v_cmp_eq_u16_sdwa s[52:53], v9, v17 src0_sel:BYTE_0 src1_sel:DWORD
	v_cndmask_b32_e64 v13, v13, 1, s[0:1]
	v_cmp_lt_u32_e64 s[0:1], 31, v8
	v_mov_b32_dpp v15, v7 row_bcast:31 row_mask:0xf bank_mask:0xf
	s_movk_i32 s60, 0xff
	v_cndmask_b32_e64 v9, v9, v13, s[0:1]
	s_and_b64 s[0:1], s[0:1], s[52:53]
	v_cndmask_b32_e64 v13, 0, v15, s[0:1]
	v_add_u32_e32 v7, v13, v7
	v_add_u32_e32 v13, -1, v8
	v_and_b32_e32 v15, 64, v8
	v_cmp_lt_i32_e64 s[0:1], v13, v15
	v_and_or_b32 v6, v9, s60, v6
	s_nop 0
	v_cndmask_b32_e64 v8, v13, v8, s[0:1]
	v_lshlrev_b32_e32 v8, 2, v8
	ds_bpermute_b32 v7, v8, v7
	ds_bpermute_b32 v6, v8, v6
	v_cmp_eq_u16_sdwa s[0:1], v3, v17 src0_sel:BYTE_0 src1_sel:DWORD
	; wave barrier
	s_waitcnt lgkmcnt(1)
	s_nop 0
	v_cndmask_b32_e64 v3, 0, v7, s[0:1]
	v_add_u32_e32 v2, v3, v2
	s_waitcnt lgkmcnt(0)
	v_and_b32_e32 v3, 1, v6
	v_cmp_eq_u32_e64 s[0:1], 1, v5
	v_cndmask_b32_e64 v5, v2, v79, s[54:55]
	s_nop 0
	v_cndmask_b32_e64 v3, v3, 1, s[0:1]
	v_cndmask_b32_e64 v4, v3, v4, s[54:55]
	ds_write_b32 v1, v5
	ds_write_b8 v1, v4 offset:4
	; wave barrier
	ds_read_u8 v6, v1 offset:12
	ds_read2_b32 v[2:3], v1 offset0:2 offset1:4
	ds_read_u8 v7, v1 offset:20
	ds_read_b32 v8, v1 offset:24
	ds_read_u8 v9, v1 offset:28
	s_waitcnt lgkmcnt(4)
	v_cmp_eq_u16_e64 s[0:1], 0, v6
	s_nop 1
	v_cndmask_b32_e64 v5, 0, v5, s[0:1]
	s_waitcnt lgkmcnt(3)
	v_add_u32_e32 v2, v5, v2
	v_and_b32_e32 v5, 1, v6
	v_cmp_eq_u32_e64 s[0:1], 1, v5
	s_nop 1
	v_cndmask_b32_e64 v4, v4, 1, s[0:1]
	s_waitcnt lgkmcnt(2)
	v_cmp_eq_u16_e64 s[0:1], 0, v7
	ds_write_b8 v1, v4 offset:12
	s_nop 0
	v_cndmask_b32_e64 v5, 0, v2, s[0:1]
	v_add_u32_e32 v3, v5, v3
	v_and_b32_e32 v5, 1, v7
	v_cmp_eq_u32_e64 s[0:1], 1, v5
	s_nop 1
	v_cndmask_b32_e64 v4, v4, 1, s[0:1]
	s_waitcnt lgkmcnt(1)
	v_cmp_eq_u16_e64 s[0:1], 0, v9
	ds_write2_b32 v1, v2, v3 offset0:2 offset1:4
	ds_write_b8 v1, v4 offset:20
	v_cndmask_b32_e64 v2, 0, v3, s[0:1]
	v_and_b32_e32 v3, 1, v9
	v_add_u32_e32 v2, v2, v8
	v_cmp_eq_u32_e64 s[0:1], 1, v3
	s_nop 1
	v_cndmask_b32_e64 v3, v4, 1, s[0:1]
	ds_write_b32 v1, v2 offset:24
	ds_write_b8 v1, v3 offset:28
.LBB778_196:
	s_or_b64 exec, exec, s[50:51]
	v_mov_b32_e32 v1, v79
	s_waitcnt lgkmcnt(0)
	s_barrier
	s_and_saveexec_b64 s[0:1], s[4:5]
	s_cbranch_execz .LBB778_247
; %bb.197:
	v_add_u32_e32 v1, -1, v0
	v_lshrrev_b32_e32 v2, 5, v1
	v_add_lshl_u32 v1, v2, v1, 3
	ds_read_b32 v1, v1
	s_or_b64 exec, exec, s[0:1]
	s_and_saveexec_b64 s[50:51], s[4:5]
	s_cbranch_execnz .LBB778_248
.LBB778_198:
	s_or_b64 exec, exec, s[50:51]
	s_and_saveexec_b64 s[0:1], s[54:55]
	s_cbranch_execz .LBB778_200
.LBB778_199:
	v_mov_b32_e32 v5, 0
	ds_read_b32 v2, v5 offset:2096
	ds_read_u8 v3, v5 offset:2100
	s_add_u32 s4, s64, 0x400
	s_addc_u32 s5, s65, 0
	v_mov_b32_e32 v4, 2
	v_mov_b64_e32 v[6:7], s[4:5]
	s_waitcnt lgkmcnt(0)
	;;#ASMSTART
	global_store_dwordx4 v[6:7], v[2:5] off sc1	
s_waitcnt vmcnt(0)
	;;#ASMEND
.LBB778_200:
	s_or_b64 exec, exec, s[0:1]
	v_mov_b32_e32 v80, v10
.LBB778_201:
	s_add_u32 s0, s62, s58
	s_addc_u32 s1, s63, s59
	s_add_u32 s0, s0, s56
	s_addc_u32 s1, s1, s57
	s_and_b64 vcc, exec, s[2:3]
	s_cbranch_vccz .LBB778_249
; %bb.202:
	s_movk_i32 s2, 0x5c
	v_mul_i32_i24_e32 v26, 0xffffffa8, v0
	s_waitcnt lgkmcnt(0)
	v_mul_u32_u24_e32 v1, 0x5c, v0
	v_mad_u32_u24 v2, v0, s2, v26
	s_barrier
	ds_write2_b32 v1, v80, v58 offset1:1
	ds_write2_b32 v1, v59, v60 offset0:2 offset1:3
	ds_write2_b32 v1, v61, v62 offset0:4 offset1:5
	;; [unrolled: 1-line block ×10, first 2 shown]
	ds_write_b32 v1, v79 offset:88
	s_waitcnt lgkmcnt(0)
	s_barrier
	ds_read2st64_b32 v[24:25], v2 offset0:4 offset1:8
	ds_read2st64_b32 v[22:23], v2 offset0:12 offset1:16
	;; [unrolled: 1-line block ×11, first 2 shown]
	s_add_i32 s33, s33, s66
	v_mov_b32_e32 v55, 0
	v_lshl_add_u64 v[4:5], s[0:1], 0, v[54:55]
	v_cmp_gt_u32_e32 vcc, s33, v0
	s_and_saveexec_b64 s[2:3], vcc
	s_cbranch_execz .LBB778_204
; %bb.203:
	v_add_u32_e32 v1, v1, v26
	ds_read_b32 v1, v1
	s_waitcnt lgkmcnt(0)
	flat_store_dword v[4:5], v1
.LBB778_204:
	s_or_b64 exec, exec, s[2:3]
	v_or_b32_e32 v1, 0x100, v0
	v_cmp_gt_u32_e32 vcc, s33, v1
	s_and_saveexec_b64 s[2:3], vcc
	s_cbranch_execz .LBB778_206
; %bb.205:
	s_waitcnt lgkmcnt(0)
	flat_store_dword v[4:5], v24 offset:1024
.LBB778_206:
	s_or_b64 exec, exec, s[2:3]
	v_or_b32_e32 v1, 0x200, v0
	v_cmp_gt_u32_e32 vcc, s33, v1
	s_and_saveexec_b64 s[2:3], vcc
	s_cbranch_execz .LBB778_208
; %bb.207:
	s_waitcnt lgkmcnt(0)
	flat_store_dword v[4:5], v25 offset:2048
.LBB778_208:
	;; [unrolled: 9-line block ×3, first 2 shown]
	s_or_b64 exec, exec, s[2:3]
	v_or_b32_e32 v1, 0x400, v0
	v_cmp_gt_u32_e32 vcc, s33, v1
	s_and_saveexec_b64 s[2:3], vcc
	s_cbranch_execz .LBB778_212
; %bb.211:
	s_waitcnt lgkmcnt(0)
	v_add_co_u32_e32 v24, vcc, 0x1000, v4
	s_nop 1
	v_addc_co_u32_e32 v25, vcc, 0, v5, vcc
	flat_store_dword v[24:25], v23
.LBB778_212:
	s_or_b64 exec, exec, s[2:3]
	v_or_b32_e32 v1, 0x500, v0
	v_cmp_gt_u32_e32 vcc, s33, v1
	s_and_saveexec_b64 s[2:3], vcc
	s_cbranch_execz .LBB778_214
; %bb.213:
	s_waitcnt lgkmcnt(0)
	v_add_co_u32_e32 v22, vcc, 0x1000, v4
	s_nop 1
	v_addc_co_u32_e32 v23, vcc, 0, v5, vcc
	flat_store_dword v[22:23], v20 offset:1024
.LBB778_214:
	s_or_b64 exec, exec, s[2:3]
	v_or_b32_e32 v1, 0x600, v0
	v_cmp_gt_u32_e32 vcc, s33, v1
	s_and_saveexec_b64 s[2:3], vcc
	s_cbranch_execz .LBB778_216
; %bb.215:
	s_waitcnt lgkmcnt(0)
	v_add_co_u32_e32 v22, vcc, 0x1000, v4
	s_nop 1
	v_addc_co_u32_e32 v23, vcc, 0, v5, vcc
	flat_store_dword v[22:23], v21 offset:2048
.LBB778_216:
	s_or_b64 exec, exec, s[2:3]
	v_or_b32_e32 v1, 0x700, v0
	v_cmp_gt_u32_e32 vcc, s33, v1
	s_and_saveexec_b64 s[2:3], vcc
	s_cbranch_execz .LBB778_218
; %bb.217:
	s_waitcnt lgkmcnt(0)
	v_add_co_u32_e32 v20, vcc, 0x1000, v4
	s_nop 1
	v_addc_co_u32_e32 v21, vcc, 0, v5, vcc
	flat_store_dword v[20:21], v18 offset:3072
.LBB778_218:
	s_or_b64 exec, exec, s[2:3]
	v_or_b32_e32 v1, 0x800, v0
	v_cmp_gt_u32_e32 vcc, s33, v1
	s_and_saveexec_b64 s[2:3], vcc
	s_cbranch_execz .LBB778_220
; %bb.219:
	s_waitcnt lgkmcnt(0)
	v_add_co_u32_e32 v20, vcc, 0x2000, v4
	s_nop 1
	v_addc_co_u32_e32 v21, vcc, 0, v5, vcc
	flat_store_dword v[20:21], v19
.LBB778_220:
	s_or_b64 exec, exec, s[2:3]
	v_or_b32_e32 v1, 0x900, v0
	v_cmp_gt_u32_e32 vcc, s33, v1
	s_and_saveexec_b64 s[2:3], vcc
	s_cbranch_execz .LBB778_222
; %bb.221:
	s_waitcnt lgkmcnt(0)
	v_add_co_u32_e32 v18, vcc, 0x2000, v4
	s_nop 1
	v_addc_co_u32_e32 v19, vcc, 0, v5, vcc
	flat_store_dword v[18:19], v16 offset:1024
.LBB778_222:
	s_or_b64 exec, exec, s[2:3]
	v_or_b32_e32 v1, 0xa00, v0
	v_cmp_gt_u32_e32 vcc, s33, v1
	s_and_saveexec_b64 s[2:3], vcc
	s_cbranch_execz .LBB778_224
; %bb.223:
	s_waitcnt lgkmcnt(0)
	v_add_co_u32_e32 v18, vcc, 0x2000, v4
	s_nop 1
	v_addc_co_u32_e32 v19, vcc, 0, v5, vcc
	flat_store_dword v[18:19], v17 offset:2048
.LBB778_224:
	s_or_b64 exec, exec, s[2:3]
	v_or_b32_e32 v1, 0xb00, v0
	v_cmp_gt_u32_e32 vcc, s33, v1
	s_and_saveexec_b64 s[2:3], vcc
	s_cbranch_execz .LBB778_226
; %bb.225:
	s_waitcnt lgkmcnt(0)
	v_add_co_u32_e32 v16, vcc, 0x2000, v4
	s_nop 1
	v_addc_co_u32_e32 v17, vcc, 0, v5, vcc
	flat_store_dword v[16:17], v14 offset:3072
.LBB778_226:
	;; [unrolled: 48-line block ×4, first 2 shown]
	s_or_b64 exec, exec, s[2:3]
	v_or_b32_e32 v1, 0x1400, v0
	v_cmp_gt_u32_e32 vcc, s33, v1
	s_and_saveexec_b64 s[2:3], vcc
	s_cbranch_execz .LBB778_244
; %bb.243:
	s_waitcnt lgkmcnt(0)
	v_add_co_u32_e32 v8, vcc, 0x5000, v4
	s_nop 1
	v_addc_co_u32_e32 v9, vcc, 0, v5, vcc
	flat_store_dword v[8:9], v7
.LBB778_244:
	s_or_b64 exec, exec, s[2:3]
	v_or_b32_e32 v1, 0x1500, v0
	v_cmp_gt_u32_e32 vcc, s33, v1
	s_and_saveexec_b64 s[2:3], vcc
	s_cbranch_execz .LBB778_246
; %bb.245:
	v_add_co_u32_e32 v4, vcc, 0x5000, v4
	s_nop 1
	v_addc_co_u32_e32 v5, vcc, 0, v5, vcc
	s_waitcnt lgkmcnt(0)
	flat_store_dword v[4:5], v2 offset:1024
.LBB778_246:
	s_or_b64 exec, exec, s[2:3]
	s_waitcnt lgkmcnt(0)
	v_or_b32_e32 v2, 0x1600, v0
	v_mov_b32_e32 v1, v55
	v_cmp_gt_u32_e64 s[2:3], s33, v2
	s_branch .LBB778_251
.LBB778_247:
	s_or_b64 exec, exec, s[0:1]
	s_and_saveexec_b64 s[50:51], s[4:5]
	s_cbranch_execz .LBB778_198
.LBB778_248:
	v_and_b32_e32 v3, 0xff, v11
	v_mov_b32_e32 v2, 0
	v_cmp_eq_u64_e64 s[0:1], 0, v[2:3]
	;;#ASMSTART
	;;#ASMEND
	s_waitcnt lgkmcnt(0)
	s_nop 0
	v_cndmask_b32_e64 v1, 0, v1, s[0:1]
	v_add_u32_e32 v10, v1, v10
	v_cndmask_b32_e32 v1, 0, v10, vcc
	v_add_u32_e32 v58, v1, v12
	v_cndmask_b32_e64 v1, 0, v58, s[6:7]
	v_add_u32_e32 v59, v1, v14
	v_cndmask_b32_e64 v1, 0, v59, s[8:9]
	;; [unrolled: 2-line block ×21, first 2 shown]
	v_add_u32_e32 v79, v1, v56
	s_or_b64 exec, exec, s[50:51]
	s_and_saveexec_b64 s[0:1], s[54:55]
	s_cbranch_execnz .LBB778_199
	s_branch .LBB778_200
.LBB778_249:
	s_mov_b64 s[2:3], 0
                                        ; implicit-def: $vgpr3
	s_cbranch_execz .LBB778_251
; %bb.250:
	s_waitcnt lgkmcnt(0)
	v_mul_u32_u24_e32 v1, 0x5c, v0
	s_barrier
	s_movk_i32 s4, 0x5c
	ds_write2_b32 v1, v80, v58 offset1:1
	ds_write2_b32 v1, v59, v60 offset0:2 offset1:3
	ds_write2_b32 v1, v61, v62 offset0:4 offset1:5
	;; [unrolled: 1-line block ×10, first 2 shown]
	ds_write_b32 v1, v79 offset:88
	v_mov_b32_e32 v1, 0
	v_mul_i32_i24_e32 v2, 0xffffffa8, v0
	v_mad_u32_u24 v2, v0, s4, v2
	v_mov_b32_e32 v55, v1
	s_waitcnt lgkmcnt(0)
	s_barrier
	ds_read2st64_b32 v[4:5], v2 offset1:4
	ds_read2st64_b32 v[6:7], v2 offset0:8 offset1:12
	ds_read2st64_b32 v[8:9], v2 offset0:16 offset1:20
	;; [unrolled: 1-line block ×10, first 2 shown]
	ds_read_b32 v3, v2 offset:22528
	v_lshl_add_u64 v[26:27], s[0:1], 0, v[54:55]
	s_movk_i32 s4, 0x1000
	s_waitcnt lgkmcnt(0)
	flat_store_dword v[26:27], v4
	flat_store_dword v[26:27], v5 offset:1024
	flat_store_dword v[26:27], v6 offset:2048
	;; [unrolled: 1-line block ×3, first 2 shown]
	v_add_co_u32_e32 v4, vcc, s4, v26
	s_movk_i32 s4, 0x2000
	s_nop 0
	v_addc_co_u32_e32 v5, vcc, 0, v27, vcc
	flat_store_dword v[4:5], v8
	flat_store_dword v[4:5], v9 offset:1024
	flat_store_dword v[4:5], v10 offset:2048
	;; [unrolled: 1-line block ×3, first 2 shown]
	v_add_co_u32_e32 v4, vcc, s4, v26
	s_movk_i32 s4, 0x3000
	s_nop 0
	v_addc_co_u32_e32 v5, vcc, 0, v27, vcc
	flat_store_dword v[4:5], v12
	flat_store_dword v[4:5], v13 offset:1024
	flat_store_dword v[4:5], v14 offset:2048
	flat_store_dword v[4:5], v15 offset:3072
	v_add_co_u32_e32 v4, vcc, s4, v26
	s_or_b64 s[2:3], s[2:3], exec
	s_nop 0
	v_addc_co_u32_e32 v5, vcc, 0, v27, vcc
	flat_store_dword v[4:5], v16
	flat_store_dword v[4:5], v17 offset:1024
	flat_store_dword v[4:5], v18 offset:2048
	;; [unrolled: 1-line block ×3, first 2 shown]
	v_add_co_u32_e32 v4, vcc, 0x4000, v26
	s_nop 1
	v_addc_co_u32_e32 v5, vcc, 0, v27, vcc
	flat_store_dword v[4:5], v20
	flat_store_dword v[4:5], v21 offset:1024
	flat_store_dword v[4:5], v22 offset:2048
	;; [unrolled: 1-line block ×3, first 2 shown]
	v_add_co_u32_e32 v4, vcc, 0x5000, v26
	s_nop 1
	v_addc_co_u32_e32 v5, vcc, 0, v27, vcc
	flat_store_dword v[4:5], v24
	flat_store_dword v[4:5], v25 offset:1024
.LBB778_251:
	s_and_saveexec_b64 s[4:5], s[2:3]
	s_cbranch_execz .LBB778_253
; %bb.252:
	s_waitcnt lgkmcnt(0)
	v_lshl_add_u64 v[0:1], v[0:1], 2, s[0:1]
	v_add_co_u32_e32 v0, vcc, 0x5000, v0
	s_nop 1
	v_addc_co_u32_e32 v1, vcc, 0, v1, vcc
	flat_store_dword v[0:1], v3 offset:2048
	s_endpgm
.LBB778_253:
	s_endpgm
	.section	.rodata,"a",@progbits
	.p2align	6, 0x0
	.amdhsa_kernel _ZN7rocprim17ROCPRIM_400000_NS6detail17trampoline_kernelINS0_14default_configENS1_27scan_by_key_config_selectorIiiEEZZNS1_16scan_by_key_implILNS1_25lookback_scan_determinismE0ELb0ES3_N6thrust23THRUST_200600_302600_NS6detail15normal_iteratorINS9_10device_ptrIiEEEESE_SE_iNS9_4plusIiEE19head_flag_predicateiEE10hipError_tPvRmT2_T3_T4_T5_mT6_T7_P12ihipStream_tbENKUlT_T0_E_clISt17integral_constantIbLb0EESX_IbLb1EEEEDaST_SU_EUlST_E_NS1_11comp_targetILNS1_3genE5ELNS1_11target_archE942ELNS1_3gpuE9ELNS1_3repE0EEENS1_30default_config_static_selectorELNS0_4arch9wavefront6targetE1EEEvT1_
		.amdhsa_group_segment_fixed_size 25600
		.amdhsa_private_segment_fixed_size 0
		.amdhsa_kernarg_size 112
		.amdhsa_user_sgpr_count 2
		.amdhsa_user_sgpr_dispatch_ptr 0
		.amdhsa_user_sgpr_queue_ptr 0
		.amdhsa_user_sgpr_kernarg_segment_ptr 1
		.amdhsa_user_sgpr_dispatch_id 0
		.amdhsa_user_sgpr_kernarg_preload_length 0
		.amdhsa_user_sgpr_kernarg_preload_offset 0
		.amdhsa_user_sgpr_private_segment_size 0
		.amdhsa_uses_dynamic_stack 0
		.amdhsa_enable_private_segment 0
		.amdhsa_system_sgpr_workgroup_id_x 1
		.amdhsa_system_sgpr_workgroup_id_y 0
		.amdhsa_system_sgpr_workgroup_id_z 0
		.amdhsa_system_sgpr_workgroup_info 0
		.amdhsa_system_vgpr_workitem_id 0
		.amdhsa_next_free_vgpr 81
		.amdhsa_next_free_sgpr 82
		.amdhsa_accum_offset 84
		.amdhsa_reserve_vcc 1
		.amdhsa_float_round_mode_32 0
		.amdhsa_float_round_mode_16_64 0
		.amdhsa_float_denorm_mode_32 3
		.amdhsa_float_denorm_mode_16_64 3
		.amdhsa_dx10_clamp 1
		.amdhsa_ieee_mode 1
		.amdhsa_fp16_overflow 0
		.amdhsa_tg_split 0
		.amdhsa_exception_fp_ieee_invalid_op 0
		.amdhsa_exception_fp_denorm_src 0
		.amdhsa_exception_fp_ieee_div_zero 0
		.amdhsa_exception_fp_ieee_overflow 0
		.amdhsa_exception_fp_ieee_underflow 0
		.amdhsa_exception_fp_ieee_inexact 0
		.amdhsa_exception_int_div_zero 0
	.end_amdhsa_kernel
	.section	.text._ZN7rocprim17ROCPRIM_400000_NS6detail17trampoline_kernelINS0_14default_configENS1_27scan_by_key_config_selectorIiiEEZZNS1_16scan_by_key_implILNS1_25lookback_scan_determinismE0ELb0ES3_N6thrust23THRUST_200600_302600_NS6detail15normal_iteratorINS9_10device_ptrIiEEEESE_SE_iNS9_4plusIiEE19head_flag_predicateiEE10hipError_tPvRmT2_T3_T4_T5_mT6_T7_P12ihipStream_tbENKUlT_T0_E_clISt17integral_constantIbLb0EESX_IbLb1EEEEDaST_SU_EUlST_E_NS1_11comp_targetILNS1_3genE5ELNS1_11target_archE942ELNS1_3gpuE9ELNS1_3repE0EEENS1_30default_config_static_selectorELNS0_4arch9wavefront6targetE1EEEvT1_,"axG",@progbits,_ZN7rocprim17ROCPRIM_400000_NS6detail17trampoline_kernelINS0_14default_configENS1_27scan_by_key_config_selectorIiiEEZZNS1_16scan_by_key_implILNS1_25lookback_scan_determinismE0ELb0ES3_N6thrust23THRUST_200600_302600_NS6detail15normal_iteratorINS9_10device_ptrIiEEEESE_SE_iNS9_4plusIiEE19head_flag_predicateiEE10hipError_tPvRmT2_T3_T4_T5_mT6_T7_P12ihipStream_tbENKUlT_T0_E_clISt17integral_constantIbLb0EESX_IbLb1EEEEDaST_SU_EUlST_E_NS1_11comp_targetILNS1_3genE5ELNS1_11target_archE942ELNS1_3gpuE9ELNS1_3repE0EEENS1_30default_config_static_selectorELNS0_4arch9wavefront6targetE1EEEvT1_,comdat
.Lfunc_end778:
	.size	_ZN7rocprim17ROCPRIM_400000_NS6detail17trampoline_kernelINS0_14default_configENS1_27scan_by_key_config_selectorIiiEEZZNS1_16scan_by_key_implILNS1_25lookback_scan_determinismE0ELb0ES3_N6thrust23THRUST_200600_302600_NS6detail15normal_iteratorINS9_10device_ptrIiEEEESE_SE_iNS9_4plusIiEE19head_flag_predicateiEE10hipError_tPvRmT2_T3_T4_T5_mT6_T7_P12ihipStream_tbENKUlT_T0_E_clISt17integral_constantIbLb0EESX_IbLb1EEEEDaST_SU_EUlST_E_NS1_11comp_targetILNS1_3genE5ELNS1_11target_archE942ELNS1_3gpuE9ELNS1_3repE0EEENS1_30default_config_static_selectorELNS0_4arch9wavefront6targetE1EEEvT1_, .Lfunc_end778-_ZN7rocprim17ROCPRIM_400000_NS6detail17trampoline_kernelINS0_14default_configENS1_27scan_by_key_config_selectorIiiEEZZNS1_16scan_by_key_implILNS1_25lookback_scan_determinismE0ELb0ES3_N6thrust23THRUST_200600_302600_NS6detail15normal_iteratorINS9_10device_ptrIiEEEESE_SE_iNS9_4plusIiEE19head_flag_predicateiEE10hipError_tPvRmT2_T3_T4_T5_mT6_T7_P12ihipStream_tbENKUlT_T0_E_clISt17integral_constantIbLb0EESX_IbLb1EEEEDaST_SU_EUlST_E_NS1_11comp_targetILNS1_3genE5ELNS1_11target_archE942ELNS1_3gpuE9ELNS1_3repE0EEENS1_30default_config_static_selectorELNS0_4arch9wavefront6targetE1EEEvT1_
                                        ; -- End function
	.section	.AMDGPU.csdata,"",@progbits
; Kernel info:
; codeLenInByte = 15204
; NumSgprs: 88
; NumVgprs: 81
; NumAgprs: 0
; TotalNumVgprs: 81
; ScratchSize: 0
; MemoryBound: 0
; FloatMode: 240
; IeeeMode: 1
; LDSByteSize: 25600 bytes/workgroup (compile time only)
; SGPRBlocks: 10
; VGPRBlocks: 10
; NumSGPRsForWavesPerEU: 88
; NumVGPRsForWavesPerEU: 81
; AccumOffset: 84
; Occupancy: 2
; WaveLimiterHint : 1
; COMPUTE_PGM_RSRC2:SCRATCH_EN: 0
; COMPUTE_PGM_RSRC2:USER_SGPR: 2
; COMPUTE_PGM_RSRC2:TRAP_HANDLER: 0
; COMPUTE_PGM_RSRC2:TGID_X_EN: 1
; COMPUTE_PGM_RSRC2:TGID_Y_EN: 0
; COMPUTE_PGM_RSRC2:TGID_Z_EN: 0
; COMPUTE_PGM_RSRC2:TIDIG_COMP_CNT: 0
; COMPUTE_PGM_RSRC3_GFX90A:ACCUM_OFFSET: 20
; COMPUTE_PGM_RSRC3_GFX90A:TG_SPLIT: 0
	.section	.text._ZN7rocprim17ROCPRIM_400000_NS6detail17trampoline_kernelINS0_14default_configENS1_27scan_by_key_config_selectorIiiEEZZNS1_16scan_by_key_implILNS1_25lookback_scan_determinismE0ELb0ES3_N6thrust23THRUST_200600_302600_NS6detail15normal_iteratorINS9_10device_ptrIiEEEESE_SE_iNS9_4plusIiEE19head_flag_predicateiEE10hipError_tPvRmT2_T3_T4_T5_mT6_T7_P12ihipStream_tbENKUlT_T0_E_clISt17integral_constantIbLb0EESX_IbLb1EEEEDaST_SU_EUlST_E_NS1_11comp_targetILNS1_3genE4ELNS1_11target_archE910ELNS1_3gpuE8ELNS1_3repE0EEENS1_30default_config_static_selectorELNS0_4arch9wavefront6targetE1EEEvT1_,"axG",@progbits,_ZN7rocprim17ROCPRIM_400000_NS6detail17trampoline_kernelINS0_14default_configENS1_27scan_by_key_config_selectorIiiEEZZNS1_16scan_by_key_implILNS1_25lookback_scan_determinismE0ELb0ES3_N6thrust23THRUST_200600_302600_NS6detail15normal_iteratorINS9_10device_ptrIiEEEESE_SE_iNS9_4plusIiEE19head_flag_predicateiEE10hipError_tPvRmT2_T3_T4_T5_mT6_T7_P12ihipStream_tbENKUlT_T0_E_clISt17integral_constantIbLb0EESX_IbLb1EEEEDaST_SU_EUlST_E_NS1_11comp_targetILNS1_3genE4ELNS1_11target_archE910ELNS1_3gpuE8ELNS1_3repE0EEENS1_30default_config_static_selectorELNS0_4arch9wavefront6targetE1EEEvT1_,comdat
	.protected	_ZN7rocprim17ROCPRIM_400000_NS6detail17trampoline_kernelINS0_14default_configENS1_27scan_by_key_config_selectorIiiEEZZNS1_16scan_by_key_implILNS1_25lookback_scan_determinismE0ELb0ES3_N6thrust23THRUST_200600_302600_NS6detail15normal_iteratorINS9_10device_ptrIiEEEESE_SE_iNS9_4plusIiEE19head_flag_predicateiEE10hipError_tPvRmT2_T3_T4_T5_mT6_T7_P12ihipStream_tbENKUlT_T0_E_clISt17integral_constantIbLb0EESX_IbLb1EEEEDaST_SU_EUlST_E_NS1_11comp_targetILNS1_3genE4ELNS1_11target_archE910ELNS1_3gpuE8ELNS1_3repE0EEENS1_30default_config_static_selectorELNS0_4arch9wavefront6targetE1EEEvT1_ ; -- Begin function _ZN7rocprim17ROCPRIM_400000_NS6detail17trampoline_kernelINS0_14default_configENS1_27scan_by_key_config_selectorIiiEEZZNS1_16scan_by_key_implILNS1_25lookback_scan_determinismE0ELb0ES3_N6thrust23THRUST_200600_302600_NS6detail15normal_iteratorINS9_10device_ptrIiEEEESE_SE_iNS9_4plusIiEE19head_flag_predicateiEE10hipError_tPvRmT2_T3_T4_T5_mT6_T7_P12ihipStream_tbENKUlT_T0_E_clISt17integral_constantIbLb0EESX_IbLb1EEEEDaST_SU_EUlST_E_NS1_11comp_targetILNS1_3genE4ELNS1_11target_archE910ELNS1_3gpuE8ELNS1_3repE0EEENS1_30default_config_static_selectorELNS0_4arch9wavefront6targetE1EEEvT1_
	.globl	_ZN7rocprim17ROCPRIM_400000_NS6detail17trampoline_kernelINS0_14default_configENS1_27scan_by_key_config_selectorIiiEEZZNS1_16scan_by_key_implILNS1_25lookback_scan_determinismE0ELb0ES3_N6thrust23THRUST_200600_302600_NS6detail15normal_iteratorINS9_10device_ptrIiEEEESE_SE_iNS9_4plusIiEE19head_flag_predicateiEE10hipError_tPvRmT2_T3_T4_T5_mT6_T7_P12ihipStream_tbENKUlT_T0_E_clISt17integral_constantIbLb0EESX_IbLb1EEEEDaST_SU_EUlST_E_NS1_11comp_targetILNS1_3genE4ELNS1_11target_archE910ELNS1_3gpuE8ELNS1_3repE0EEENS1_30default_config_static_selectorELNS0_4arch9wavefront6targetE1EEEvT1_
	.p2align	8
	.type	_ZN7rocprim17ROCPRIM_400000_NS6detail17trampoline_kernelINS0_14default_configENS1_27scan_by_key_config_selectorIiiEEZZNS1_16scan_by_key_implILNS1_25lookback_scan_determinismE0ELb0ES3_N6thrust23THRUST_200600_302600_NS6detail15normal_iteratorINS9_10device_ptrIiEEEESE_SE_iNS9_4plusIiEE19head_flag_predicateiEE10hipError_tPvRmT2_T3_T4_T5_mT6_T7_P12ihipStream_tbENKUlT_T0_E_clISt17integral_constantIbLb0EESX_IbLb1EEEEDaST_SU_EUlST_E_NS1_11comp_targetILNS1_3genE4ELNS1_11target_archE910ELNS1_3gpuE8ELNS1_3repE0EEENS1_30default_config_static_selectorELNS0_4arch9wavefront6targetE1EEEvT1_,@function
_ZN7rocprim17ROCPRIM_400000_NS6detail17trampoline_kernelINS0_14default_configENS1_27scan_by_key_config_selectorIiiEEZZNS1_16scan_by_key_implILNS1_25lookback_scan_determinismE0ELb0ES3_N6thrust23THRUST_200600_302600_NS6detail15normal_iteratorINS9_10device_ptrIiEEEESE_SE_iNS9_4plusIiEE19head_flag_predicateiEE10hipError_tPvRmT2_T3_T4_T5_mT6_T7_P12ihipStream_tbENKUlT_T0_E_clISt17integral_constantIbLb0EESX_IbLb1EEEEDaST_SU_EUlST_E_NS1_11comp_targetILNS1_3genE4ELNS1_11target_archE910ELNS1_3gpuE8ELNS1_3repE0EEENS1_30default_config_static_selectorELNS0_4arch9wavefront6targetE1EEEvT1_: ; @_ZN7rocprim17ROCPRIM_400000_NS6detail17trampoline_kernelINS0_14default_configENS1_27scan_by_key_config_selectorIiiEEZZNS1_16scan_by_key_implILNS1_25lookback_scan_determinismE0ELb0ES3_N6thrust23THRUST_200600_302600_NS6detail15normal_iteratorINS9_10device_ptrIiEEEESE_SE_iNS9_4plusIiEE19head_flag_predicateiEE10hipError_tPvRmT2_T3_T4_T5_mT6_T7_P12ihipStream_tbENKUlT_T0_E_clISt17integral_constantIbLb0EESX_IbLb1EEEEDaST_SU_EUlST_E_NS1_11comp_targetILNS1_3genE4ELNS1_11target_archE910ELNS1_3gpuE8ELNS1_3repE0EEENS1_30default_config_static_selectorELNS0_4arch9wavefront6targetE1EEEvT1_
; %bb.0:
	.section	.rodata,"a",@progbits
	.p2align	6, 0x0
	.amdhsa_kernel _ZN7rocprim17ROCPRIM_400000_NS6detail17trampoline_kernelINS0_14default_configENS1_27scan_by_key_config_selectorIiiEEZZNS1_16scan_by_key_implILNS1_25lookback_scan_determinismE0ELb0ES3_N6thrust23THRUST_200600_302600_NS6detail15normal_iteratorINS9_10device_ptrIiEEEESE_SE_iNS9_4plusIiEE19head_flag_predicateiEE10hipError_tPvRmT2_T3_T4_T5_mT6_T7_P12ihipStream_tbENKUlT_T0_E_clISt17integral_constantIbLb0EESX_IbLb1EEEEDaST_SU_EUlST_E_NS1_11comp_targetILNS1_3genE4ELNS1_11target_archE910ELNS1_3gpuE8ELNS1_3repE0EEENS1_30default_config_static_selectorELNS0_4arch9wavefront6targetE1EEEvT1_
		.amdhsa_group_segment_fixed_size 0
		.amdhsa_private_segment_fixed_size 0
		.amdhsa_kernarg_size 112
		.amdhsa_user_sgpr_count 2
		.amdhsa_user_sgpr_dispatch_ptr 0
		.amdhsa_user_sgpr_queue_ptr 0
		.amdhsa_user_sgpr_kernarg_segment_ptr 1
		.amdhsa_user_sgpr_dispatch_id 0
		.amdhsa_user_sgpr_kernarg_preload_length 0
		.amdhsa_user_sgpr_kernarg_preload_offset 0
		.amdhsa_user_sgpr_private_segment_size 0
		.amdhsa_uses_dynamic_stack 0
		.amdhsa_enable_private_segment 0
		.amdhsa_system_sgpr_workgroup_id_x 1
		.amdhsa_system_sgpr_workgroup_id_y 0
		.amdhsa_system_sgpr_workgroup_id_z 0
		.amdhsa_system_sgpr_workgroup_info 0
		.amdhsa_system_vgpr_workitem_id 0
		.amdhsa_next_free_vgpr 1
		.amdhsa_next_free_sgpr 0
		.amdhsa_accum_offset 4
		.amdhsa_reserve_vcc 0
		.amdhsa_float_round_mode_32 0
		.amdhsa_float_round_mode_16_64 0
		.amdhsa_float_denorm_mode_32 3
		.amdhsa_float_denorm_mode_16_64 3
		.amdhsa_dx10_clamp 1
		.amdhsa_ieee_mode 1
		.amdhsa_fp16_overflow 0
		.amdhsa_tg_split 0
		.amdhsa_exception_fp_ieee_invalid_op 0
		.amdhsa_exception_fp_denorm_src 0
		.amdhsa_exception_fp_ieee_div_zero 0
		.amdhsa_exception_fp_ieee_overflow 0
		.amdhsa_exception_fp_ieee_underflow 0
		.amdhsa_exception_fp_ieee_inexact 0
		.amdhsa_exception_int_div_zero 0
	.end_amdhsa_kernel
	.section	.text._ZN7rocprim17ROCPRIM_400000_NS6detail17trampoline_kernelINS0_14default_configENS1_27scan_by_key_config_selectorIiiEEZZNS1_16scan_by_key_implILNS1_25lookback_scan_determinismE0ELb0ES3_N6thrust23THRUST_200600_302600_NS6detail15normal_iteratorINS9_10device_ptrIiEEEESE_SE_iNS9_4plusIiEE19head_flag_predicateiEE10hipError_tPvRmT2_T3_T4_T5_mT6_T7_P12ihipStream_tbENKUlT_T0_E_clISt17integral_constantIbLb0EESX_IbLb1EEEEDaST_SU_EUlST_E_NS1_11comp_targetILNS1_3genE4ELNS1_11target_archE910ELNS1_3gpuE8ELNS1_3repE0EEENS1_30default_config_static_selectorELNS0_4arch9wavefront6targetE1EEEvT1_,"axG",@progbits,_ZN7rocprim17ROCPRIM_400000_NS6detail17trampoline_kernelINS0_14default_configENS1_27scan_by_key_config_selectorIiiEEZZNS1_16scan_by_key_implILNS1_25lookback_scan_determinismE0ELb0ES3_N6thrust23THRUST_200600_302600_NS6detail15normal_iteratorINS9_10device_ptrIiEEEESE_SE_iNS9_4plusIiEE19head_flag_predicateiEE10hipError_tPvRmT2_T3_T4_T5_mT6_T7_P12ihipStream_tbENKUlT_T0_E_clISt17integral_constantIbLb0EESX_IbLb1EEEEDaST_SU_EUlST_E_NS1_11comp_targetILNS1_3genE4ELNS1_11target_archE910ELNS1_3gpuE8ELNS1_3repE0EEENS1_30default_config_static_selectorELNS0_4arch9wavefront6targetE1EEEvT1_,comdat
.Lfunc_end779:
	.size	_ZN7rocprim17ROCPRIM_400000_NS6detail17trampoline_kernelINS0_14default_configENS1_27scan_by_key_config_selectorIiiEEZZNS1_16scan_by_key_implILNS1_25lookback_scan_determinismE0ELb0ES3_N6thrust23THRUST_200600_302600_NS6detail15normal_iteratorINS9_10device_ptrIiEEEESE_SE_iNS9_4plusIiEE19head_flag_predicateiEE10hipError_tPvRmT2_T3_T4_T5_mT6_T7_P12ihipStream_tbENKUlT_T0_E_clISt17integral_constantIbLb0EESX_IbLb1EEEEDaST_SU_EUlST_E_NS1_11comp_targetILNS1_3genE4ELNS1_11target_archE910ELNS1_3gpuE8ELNS1_3repE0EEENS1_30default_config_static_selectorELNS0_4arch9wavefront6targetE1EEEvT1_, .Lfunc_end779-_ZN7rocprim17ROCPRIM_400000_NS6detail17trampoline_kernelINS0_14default_configENS1_27scan_by_key_config_selectorIiiEEZZNS1_16scan_by_key_implILNS1_25lookback_scan_determinismE0ELb0ES3_N6thrust23THRUST_200600_302600_NS6detail15normal_iteratorINS9_10device_ptrIiEEEESE_SE_iNS9_4plusIiEE19head_flag_predicateiEE10hipError_tPvRmT2_T3_T4_T5_mT6_T7_P12ihipStream_tbENKUlT_T0_E_clISt17integral_constantIbLb0EESX_IbLb1EEEEDaST_SU_EUlST_E_NS1_11comp_targetILNS1_3genE4ELNS1_11target_archE910ELNS1_3gpuE8ELNS1_3repE0EEENS1_30default_config_static_selectorELNS0_4arch9wavefront6targetE1EEEvT1_
                                        ; -- End function
	.section	.AMDGPU.csdata,"",@progbits
; Kernel info:
; codeLenInByte = 0
; NumSgprs: 6
; NumVgprs: 0
; NumAgprs: 0
; TotalNumVgprs: 0
; ScratchSize: 0
; MemoryBound: 0
; FloatMode: 240
; IeeeMode: 1
; LDSByteSize: 0 bytes/workgroup (compile time only)
; SGPRBlocks: 0
; VGPRBlocks: 0
; NumSGPRsForWavesPerEU: 6
; NumVGPRsForWavesPerEU: 1
; AccumOffset: 4
; Occupancy: 8
; WaveLimiterHint : 0
; COMPUTE_PGM_RSRC2:SCRATCH_EN: 0
; COMPUTE_PGM_RSRC2:USER_SGPR: 2
; COMPUTE_PGM_RSRC2:TRAP_HANDLER: 0
; COMPUTE_PGM_RSRC2:TGID_X_EN: 1
; COMPUTE_PGM_RSRC2:TGID_Y_EN: 0
; COMPUTE_PGM_RSRC2:TGID_Z_EN: 0
; COMPUTE_PGM_RSRC2:TIDIG_COMP_CNT: 0
; COMPUTE_PGM_RSRC3_GFX90A:ACCUM_OFFSET: 0
; COMPUTE_PGM_RSRC3_GFX90A:TG_SPLIT: 0
	.section	.text._ZN7rocprim17ROCPRIM_400000_NS6detail17trampoline_kernelINS0_14default_configENS1_27scan_by_key_config_selectorIiiEEZZNS1_16scan_by_key_implILNS1_25lookback_scan_determinismE0ELb0ES3_N6thrust23THRUST_200600_302600_NS6detail15normal_iteratorINS9_10device_ptrIiEEEESE_SE_iNS9_4plusIiEE19head_flag_predicateiEE10hipError_tPvRmT2_T3_T4_T5_mT6_T7_P12ihipStream_tbENKUlT_T0_E_clISt17integral_constantIbLb0EESX_IbLb1EEEEDaST_SU_EUlST_E_NS1_11comp_targetILNS1_3genE3ELNS1_11target_archE908ELNS1_3gpuE7ELNS1_3repE0EEENS1_30default_config_static_selectorELNS0_4arch9wavefront6targetE1EEEvT1_,"axG",@progbits,_ZN7rocprim17ROCPRIM_400000_NS6detail17trampoline_kernelINS0_14default_configENS1_27scan_by_key_config_selectorIiiEEZZNS1_16scan_by_key_implILNS1_25lookback_scan_determinismE0ELb0ES3_N6thrust23THRUST_200600_302600_NS6detail15normal_iteratorINS9_10device_ptrIiEEEESE_SE_iNS9_4plusIiEE19head_flag_predicateiEE10hipError_tPvRmT2_T3_T4_T5_mT6_T7_P12ihipStream_tbENKUlT_T0_E_clISt17integral_constantIbLb0EESX_IbLb1EEEEDaST_SU_EUlST_E_NS1_11comp_targetILNS1_3genE3ELNS1_11target_archE908ELNS1_3gpuE7ELNS1_3repE0EEENS1_30default_config_static_selectorELNS0_4arch9wavefront6targetE1EEEvT1_,comdat
	.protected	_ZN7rocprim17ROCPRIM_400000_NS6detail17trampoline_kernelINS0_14default_configENS1_27scan_by_key_config_selectorIiiEEZZNS1_16scan_by_key_implILNS1_25lookback_scan_determinismE0ELb0ES3_N6thrust23THRUST_200600_302600_NS6detail15normal_iteratorINS9_10device_ptrIiEEEESE_SE_iNS9_4plusIiEE19head_flag_predicateiEE10hipError_tPvRmT2_T3_T4_T5_mT6_T7_P12ihipStream_tbENKUlT_T0_E_clISt17integral_constantIbLb0EESX_IbLb1EEEEDaST_SU_EUlST_E_NS1_11comp_targetILNS1_3genE3ELNS1_11target_archE908ELNS1_3gpuE7ELNS1_3repE0EEENS1_30default_config_static_selectorELNS0_4arch9wavefront6targetE1EEEvT1_ ; -- Begin function _ZN7rocprim17ROCPRIM_400000_NS6detail17trampoline_kernelINS0_14default_configENS1_27scan_by_key_config_selectorIiiEEZZNS1_16scan_by_key_implILNS1_25lookback_scan_determinismE0ELb0ES3_N6thrust23THRUST_200600_302600_NS6detail15normal_iteratorINS9_10device_ptrIiEEEESE_SE_iNS9_4plusIiEE19head_flag_predicateiEE10hipError_tPvRmT2_T3_T4_T5_mT6_T7_P12ihipStream_tbENKUlT_T0_E_clISt17integral_constantIbLb0EESX_IbLb1EEEEDaST_SU_EUlST_E_NS1_11comp_targetILNS1_3genE3ELNS1_11target_archE908ELNS1_3gpuE7ELNS1_3repE0EEENS1_30default_config_static_selectorELNS0_4arch9wavefront6targetE1EEEvT1_
	.globl	_ZN7rocprim17ROCPRIM_400000_NS6detail17trampoline_kernelINS0_14default_configENS1_27scan_by_key_config_selectorIiiEEZZNS1_16scan_by_key_implILNS1_25lookback_scan_determinismE0ELb0ES3_N6thrust23THRUST_200600_302600_NS6detail15normal_iteratorINS9_10device_ptrIiEEEESE_SE_iNS9_4plusIiEE19head_flag_predicateiEE10hipError_tPvRmT2_T3_T4_T5_mT6_T7_P12ihipStream_tbENKUlT_T0_E_clISt17integral_constantIbLb0EESX_IbLb1EEEEDaST_SU_EUlST_E_NS1_11comp_targetILNS1_3genE3ELNS1_11target_archE908ELNS1_3gpuE7ELNS1_3repE0EEENS1_30default_config_static_selectorELNS0_4arch9wavefront6targetE1EEEvT1_
	.p2align	8
	.type	_ZN7rocprim17ROCPRIM_400000_NS6detail17trampoline_kernelINS0_14default_configENS1_27scan_by_key_config_selectorIiiEEZZNS1_16scan_by_key_implILNS1_25lookback_scan_determinismE0ELb0ES3_N6thrust23THRUST_200600_302600_NS6detail15normal_iteratorINS9_10device_ptrIiEEEESE_SE_iNS9_4plusIiEE19head_flag_predicateiEE10hipError_tPvRmT2_T3_T4_T5_mT6_T7_P12ihipStream_tbENKUlT_T0_E_clISt17integral_constantIbLb0EESX_IbLb1EEEEDaST_SU_EUlST_E_NS1_11comp_targetILNS1_3genE3ELNS1_11target_archE908ELNS1_3gpuE7ELNS1_3repE0EEENS1_30default_config_static_selectorELNS0_4arch9wavefront6targetE1EEEvT1_,@function
_ZN7rocprim17ROCPRIM_400000_NS6detail17trampoline_kernelINS0_14default_configENS1_27scan_by_key_config_selectorIiiEEZZNS1_16scan_by_key_implILNS1_25lookback_scan_determinismE0ELb0ES3_N6thrust23THRUST_200600_302600_NS6detail15normal_iteratorINS9_10device_ptrIiEEEESE_SE_iNS9_4plusIiEE19head_flag_predicateiEE10hipError_tPvRmT2_T3_T4_T5_mT6_T7_P12ihipStream_tbENKUlT_T0_E_clISt17integral_constantIbLb0EESX_IbLb1EEEEDaST_SU_EUlST_E_NS1_11comp_targetILNS1_3genE3ELNS1_11target_archE908ELNS1_3gpuE7ELNS1_3repE0EEENS1_30default_config_static_selectorELNS0_4arch9wavefront6targetE1EEEvT1_: ; @_ZN7rocprim17ROCPRIM_400000_NS6detail17trampoline_kernelINS0_14default_configENS1_27scan_by_key_config_selectorIiiEEZZNS1_16scan_by_key_implILNS1_25lookback_scan_determinismE0ELb0ES3_N6thrust23THRUST_200600_302600_NS6detail15normal_iteratorINS9_10device_ptrIiEEEESE_SE_iNS9_4plusIiEE19head_flag_predicateiEE10hipError_tPvRmT2_T3_T4_T5_mT6_T7_P12ihipStream_tbENKUlT_T0_E_clISt17integral_constantIbLb0EESX_IbLb1EEEEDaST_SU_EUlST_E_NS1_11comp_targetILNS1_3genE3ELNS1_11target_archE908ELNS1_3gpuE7ELNS1_3repE0EEENS1_30default_config_static_selectorELNS0_4arch9wavefront6targetE1EEEvT1_
; %bb.0:
	.section	.rodata,"a",@progbits
	.p2align	6, 0x0
	.amdhsa_kernel _ZN7rocprim17ROCPRIM_400000_NS6detail17trampoline_kernelINS0_14default_configENS1_27scan_by_key_config_selectorIiiEEZZNS1_16scan_by_key_implILNS1_25lookback_scan_determinismE0ELb0ES3_N6thrust23THRUST_200600_302600_NS6detail15normal_iteratorINS9_10device_ptrIiEEEESE_SE_iNS9_4plusIiEE19head_flag_predicateiEE10hipError_tPvRmT2_T3_T4_T5_mT6_T7_P12ihipStream_tbENKUlT_T0_E_clISt17integral_constantIbLb0EESX_IbLb1EEEEDaST_SU_EUlST_E_NS1_11comp_targetILNS1_3genE3ELNS1_11target_archE908ELNS1_3gpuE7ELNS1_3repE0EEENS1_30default_config_static_selectorELNS0_4arch9wavefront6targetE1EEEvT1_
		.amdhsa_group_segment_fixed_size 0
		.amdhsa_private_segment_fixed_size 0
		.amdhsa_kernarg_size 112
		.amdhsa_user_sgpr_count 2
		.amdhsa_user_sgpr_dispatch_ptr 0
		.amdhsa_user_sgpr_queue_ptr 0
		.amdhsa_user_sgpr_kernarg_segment_ptr 1
		.amdhsa_user_sgpr_dispatch_id 0
		.amdhsa_user_sgpr_kernarg_preload_length 0
		.amdhsa_user_sgpr_kernarg_preload_offset 0
		.amdhsa_user_sgpr_private_segment_size 0
		.amdhsa_uses_dynamic_stack 0
		.amdhsa_enable_private_segment 0
		.amdhsa_system_sgpr_workgroup_id_x 1
		.amdhsa_system_sgpr_workgroup_id_y 0
		.amdhsa_system_sgpr_workgroup_id_z 0
		.amdhsa_system_sgpr_workgroup_info 0
		.amdhsa_system_vgpr_workitem_id 0
		.amdhsa_next_free_vgpr 1
		.amdhsa_next_free_sgpr 0
		.amdhsa_accum_offset 4
		.amdhsa_reserve_vcc 0
		.amdhsa_float_round_mode_32 0
		.amdhsa_float_round_mode_16_64 0
		.amdhsa_float_denorm_mode_32 3
		.amdhsa_float_denorm_mode_16_64 3
		.amdhsa_dx10_clamp 1
		.amdhsa_ieee_mode 1
		.amdhsa_fp16_overflow 0
		.amdhsa_tg_split 0
		.amdhsa_exception_fp_ieee_invalid_op 0
		.amdhsa_exception_fp_denorm_src 0
		.amdhsa_exception_fp_ieee_div_zero 0
		.amdhsa_exception_fp_ieee_overflow 0
		.amdhsa_exception_fp_ieee_underflow 0
		.amdhsa_exception_fp_ieee_inexact 0
		.amdhsa_exception_int_div_zero 0
	.end_amdhsa_kernel
	.section	.text._ZN7rocprim17ROCPRIM_400000_NS6detail17trampoline_kernelINS0_14default_configENS1_27scan_by_key_config_selectorIiiEEZZNS1_16scan_by_key_implILNS1_25lookback_scan_determinismE0ELb0ES3_N6thrust23THRUST_200600_302600_NS6detail15normal_iteratorINS9_10device_ptrIiEEEESE_SE_iNS9_4plusIiEE19head_flag_predicateiEE10hipError_tPvRmT2_T3_T4_T5_mT6_T7_P12ihipStream_tbENKUlT_T0_E_clISt17integral_constantIbLb0EESX_IbLb1EEEEDaST_SU_EUlST_E_NS1_11comp_targetILNS1_3genE3ELNS1_11target_archE908ELNS1_3gpuE7ELNS1_3repE0EEENS1_30default_config_static_selectorELNS0_4arch9wavefront6targetE1EEEvT1_,"axG",@progbits,_ZN7rocprim17ROCPRIM_400000_NS6detail17trampoline_kernelINS0_14default_configENS1_27scan_by_key_config_selectorIiiEEZZNS1_16scan_by_key_implILNS1_25lookback_scan_determinismE0ELb0ES3_N6thrust23THRUST_200600_302600_NS6detail15normal_iteratorINS9_10device_ptrIiEEEESE_SE_iNS9_4plusIiEE19head_flag_predicateiEE10hipError_tPvRmT2_T3_T4_T5_mT6_T7_P12ihipStream_tbENKUlT_T0_E_clISt17integral_constantIbLb0EESX_IbLb1EEEEDaST_SU_EUlST_E_NS1_11comp_targetILNS1_3genE3ELNS1_11target_archE908ELNS1_3gpuE7ELNS1_3repE0EEENS1_30default_config_static_selectorELNS0_4arch9wavefront6targetE1EEEvT1_,comdat
.Lfunc_end780:
	.size	_ZN7rocprim17ROCPRIM_400000_NS6detail17trampoline_kernelINS0_14default_configENS1_27scan_by_key_config_selectorIiiEEZZNS1_16scan_by_key_implILNS1_25lookback_scan_determinismE0ELb0ES3_N6thrust23THRUST_200600_302600_NS6detail15normal_iteratorINS9_10device_ptrIiEEEESE_SE_iNS9_4plusIiEE19head_flag_predicateiEE10hipError_tPvRmT2_T3_T4_T5_mT6_T7_P12ihipStream_tbENKUlT_T0_E_clISt17integral_constantIbLb0EESX_IbLb1EEEEDaST_SU_EUlST_E_NS1_11comp_targetILNS1_3genE3ELNS1_11target_archE908ELNS1_3gpuE7ELNS1_3repE0EEENS1_30default_config_static_selectorELNS0_4arch9wavefront6targetE1EEEvT1_, .Lfunc_end780-_ZN7rocprim17ROCPRIM_400000_NS6detail17trampoline_kernelINS0_14default_configENS1_27scan_by_key_config_selectorIiiEEZZNS1_16scan_by_key_implILNS1_25lookback_scan_determinismE0ELb0ES3_N6thrust23THRUST_200600_302600_NS6detail15normal_iteratorINS9_10device_ptrIiEEEESE_SE_iNS9_4plusIiEE19head_flag_predicateiEE10hipError_tPvRmT2_T3_T4_T5_mT6_T7_P12ihipStream_tbENKUlT_T0_E_clISt17integral_constantIbLb0EESX_IbLb1EEEEDaST_SU_EUlST_E_NS1_11comp_targetILNS1_3genE3ELNS1_11target_archE908ELNS1_3gpuE7ELNS1_3repE0EEENS1_30default_config_static_selectorELNS0_4arch9wavefront6targetE1EEEvT1_
                                        ; -- End function
	.section	.AMDGPU.csdata,"",@progbits
; Kernel info:
; codeLenInByte = 0
; NumSgprs: 6
; NumVgprs: 0
; NumAgprs: 0
; TotalNumVgprs: 0
; ScratchSize: 0
; MemoryBound: 0
; FloatMode: 240
; IeeeMode: 1
; LDSByteSize: 0 bytes/workgroup (compile time only)
; SGPRBlocks: 0
; VGPRBlocks: 0
; NumSGPRsForWavesPerEU: 6
; NumVGPRsForWavesPerEU: 1
; AccumOffset: 4
; Occupancy: 8
; WaveLimiterHint : 0
; COMPUTE_PGM_RSRC2:SCRATCH_EN: 0
; COMPUTE_PGM_RSRC2:USER_SGPR: 2
; COMPUTE_PGM_RSRC2:TRAP_HANDLER: 0
; COMPUTE_PGM_RSRC2:TGID_X_EN: 1
; COMPUTE_PGM_RSRC2:TGID_Y_EN: 0
; COMPUTE_PGM_RSRC2:TGID_Z_EN: 0
; COMPUTE_PGM_RSRC2:TIDIG_COMP_CNT: 0
; COMPUTE_PGM_RSRC3_GFX90A:ACCUM_OFFSET: 0
; COMPUTE_PGM_RSRC3_GFX90A:TG_SPLIT: 0
	.section	.text._ZN7rocprim17ROCPRIM_400000_NS6detail17trampoline_kernelINS0_14default_configENS1_27scan_by_key_config_selectorIiiEEZZNS1_16scan_by_key_implILNS1_25lookback_scan_determinismE0ELb0ES3_N6thrust23THRUST_200600_302600_NS6detail15normal_iteratorINS9_10device_ptrIiEEEESE_SE_iNS9_4plusIiEE19head_flag_predicateiEE10hipError_tPvRmT2_T3_T4_T5_mT6_T7_P12ihipStream_tbENKUlT_T0_E_clISt17integral_constantIbLb0EESX_IbLb1EEEEDaST_SU_EUlST_E_NS1_11comp_targetILNS1_3genE2ELNS1_11target_archE906ELNS1_3gpuE6ELNS1_3repE0EEENS1_30default_config_static_selectorELNS0_4arch9wavefront6targetE1EEEvT1_,"axG",@progbits,_ZN7rocprim17ROCPRIM_400000_NS6detail17trampoline_kernelINS0_14default_configENS1_27scan_by_key_config_selectorIiiEEZZNS1_16scan_by_key_implILNS1_25lookback_scan_determinismE0ELb0ES3_N6thrust23THRUST_200600_302600_NS6detail15normal_iteratorINS9_10device_ptrIiEEEESE_SE_iNS9_4plusIiEE19head_flag_predicateiEE10hipError_tPvRmT2_T3_T4_T5_mT6_T7_P12ihipStream_tbENKUlT_T0_E_clISt17integral_constantIbLb0EESX_IbLb1EEEEDaST_SU_EUlST_E_NS1_11comp_targetILNS1_3genE2ELNS1_11target_archE906ELNS1_3gpuE6ELNS1_3repE0EEENS1_30default_config_static_selectorELNS0_4arch9wavefront6targetE1EEEvT1_,comdat
	.protected	_ZN7rocprim17ROCPRIM_400000_NS6detail17trampoline_kernelINS0_14default_configENS1_27scan_by_key_config_selectorIiiEEZZNS1_16scan_by_key_implILNS1_25lookback_scan_determinismE0ELb0ES3_N6thrust23THRUST_200600_302600_NS6detail15normal_iteratorINS9_10device_ptrIiEEEESE_SE_iNS9_4plusIiEE19head_flag_predicateiEE10hipError_tPvRmT2_T3_T4_T5_mT6_T7_P12ihipStream_tbENKUlT_T0_E_clISt17integral_constantIbLb0EESX_IbLb1EEEEDaST_SU_EUlST_E_NS1_11comp_targetILNS1_3genE2ELNS1_11target_archE906ELNS1_3gpuE6ELNS1_3repE0EEENS1_30default_config_static_selectorELNS0_4arch9wavefront6targetE1EEEvT1_ ; -- Begin function _ZN7rocprim17ROCPRIM_400000_NS6detail17trampoline_kernelINS0_14default_configENS1_27scan_by_key_config_selectorIiiEEZZNS1_16scan_by_key_implILNS1_25lookback_scan_determinismE0ELb0ES3_N6thrust23THRUST_200600_302600_NS6detail15normal_iteratorINS9_10device_ptrIiEEEESE_SE_iNS9_4plusIiEE19head_flag_predicateiEE10hipError_tPvRmT2_T3_T4_T5_mT6_T7_P12ihipStream_tbENKUlT_T0_E_clISt17integral_constantIbLb0EESX_IbLb1EEEEDaST_SU_EUlST_E_NS1_11comp_targetILNS1_3genE2ELNS1_11target_archE906ELNS1_3gpuE6ELNS1_3repE0EEENS1_30default_config_static_selectorELNS0_4arch9wavefront6targetE1EEEvT1_
	.globl	_ZN7rocprim17ROCPRIM_400000_NS6detail17trampoline_kernelINS0_14default_configENS1_27scan_by_key_config_selectorIiiEEZZNS1_16scan_by_key_implILNS1_25lookback_scan_determinismE0ELb0ES3_N6thrust23THRUST_200600_302600_NS6detail15normal_iteratorINS9_10device_ptrIiEEEESE_SE_iNS9_4plusIiEE19head_flag_predicateiEE10hipError_tPvRmT2_T3_T4_T5_mT6_T7_P12ihipStream_tbENKUlT_T0_E_clISt17integral_constantIbLb0EESX_IbLb1EEEEDaST_SU_EUlST_E_NS1_11comp_targetILNS1_3genE2ELNS1_11target_archE906ELNS1_3gpuE6ELNS1_3repE0EEENS1_30default_config_static_selectorELNS0_4arch9wavefront6targetE1EEEvT1_
	.p2align	8
	.type	_ZN7rocprim17ROCPRIM_400000_NS6detail17trampoline_kernelINS0_14default_configENS1_27scan_by_key_config_selectorIiiEEZZNS1_16scan_by_key_implILNS1_25lookback_scan_determinismE0ELb0ES3_N6thrust23THRUST_200600_302600_NS6detail15normal_iteratorINS9_10device_ptrIiEEEESE_SE_iNS9_4plusIiEE19head_flag_predicateiEE10hipError_tPvRmT2_T3_T4_T5_mT6_T7_P12ihipStream_tbENKUlT_T0_E_clISt17integral_constantIbLb0EESX_IbLb1EEEEDaST_SU_EUlST_E_NS1_11comp_targetILNS1_3genE2ELNS1_11target_archE906ELNS1_3gpuE6ELNS1_3repE0EEENS1_30default_config_static_selectorELNS0_4arch9wavefront6targetE1EEEvT1_,@function
_ZN7rocprim17ROCPRIM_400000_NS6detail17trampoline_kernelINS0_14default_configENS1_27scan_by_key_config_selectorIiiEEZZNS1_16scan_by_key_implILNS1_25lookback_scan_determinismE0ELb0ES3_N6thrust23THRUST_200600_302600_NS6detail15normal_iteratorINS9_10device_ptrIiEEEESE_SE_iNS9_4plusIiEE19head_flag_predicateiEE10hipError_tPvRmT2_T3_T4_T5_mT6_T7_P12ihipStream_tbENKUlT_T0_E_clISt17integral_constantIbLb0EESX_IbLb1EEEEDaST_SU_EUlST_E_NS1_11comp_targetILNS1_3genE2ELNS1_11target_archE906ELNS1_3gpuE6ELNS1_3repE0EEENS1_30default_config_static_selectorELNS0_4arch9wavefront6targetE1EEEvT1_: ; @_ZN7rocprim17ROCPRIM_400000_NS6detail17trampoline_kernelINS0_14default_configENS1_27scan_by_key_config_selectorIiiEEZZNS1_16scan_by_key_implILNS1_25lookback_scan_determinismE0ELb0ES3_N6thrust23THRUST_200600_302600_NS6detail15normal_iteratorINS9_10device_ptrIiEEEESE_SE_iNS9_4plusIiEE19head_flag_predicateiEE10hipError_tPvRmT2_T3_T4_T5_mT6_T7_P12ihipStream_tbENKUlT_T0_E_clISt17integral_constantIbLb0EESX_IbLb1EEEEDaST_SU_EUlST_E_NS1_11comp_targetILNS1_3genE2ELNS1_11target_archE906ELNS1_3gpuE6ELNS1_3repE0EEENS1_30default_config_static_selectorELNS0_4arch9wavefront6targetE1EEEvT1_
; %bb.0:
	.section	.rodata,"a",@progbits
	.p2align	6, 0x0
	.amdhsa_kernel _ZN7rocprim17ROCPRIM_400000_NS6detail17trampoline_kernelINS0_14default_configENS1_27scan_by_key_config_selectorIiiEEZZNS1_16scan_by_key_implILNS1_25lookback_scan_determinismE0ELb0ES3_N6thrust23THRUST_200600_302600_NS6detail15normal_iteratorINS9_10device_ptrIiEEEESE_SE_iNS9_4plusIiEE19head_flag_predicateiEE10hipError_tPvRmT2_T3_T4_T5_mT6_T7_P12ihipStream_tbENKUlT_T0_E_clISt17integral_constantIbLb0EESX_IbLb1EEEEDaST_SU_EUlST_E_NS1_11comp_targetILNS1_3genE2ELNS1_11target_archE906ELNS1_3gpuE6ELNS1_3repE0EEENS1_30default_config_static_selectorELNS0_4arch9wavefront6targetE1EEEvT1_
		.amdhsa_group_segment_fixed_size 0
		.amdhsa_private_segment_fixed_size 0
		.amdhsa_kernarg_size 112
		.amdhsa_user_sgpr_count 2
		.amdhsa_user_sgpr_dispatch_ptr 0
		.amdhsa_user_sgpr_queue_ptr 0
		.amdhsa_user_sgpr_kernarg_segment_ptr 1
		.amdhsa_user_sgpr_dispatch_id 0
		.amdhsa_user_sgpr_kernarg_preload_length 0
		.amdhsa_user_sgpr_kernarg_preload_offset 0
		.amdhsa_user_sgpr_private_segment_size 0
		.amdhsa_uses_dynamic_stack 0
		.amdhsa_enable_private_segment 0
		.amdhsa_system_sgpr_workgroup_id_x 1
		.amdhsa_system_sgpr_workgroup_id_y 0
		.amdhsa_system_sgpr_workgroup_id_z 0
		.amdhsa_system_sgpr_workgroup_info 0
		.amdhsa_system_vgpr_workitem_id 0
		.amdhsa_next_free_vgpr 1
		.amdhsa_next_free_sgpr 0
		.amdhsa_accum_offset 4
		.amdhsa_reserve_vcc 0
		.amdhsa_float_round_mode_32 0
		.amdhsa_float_round_mode_16_64 0
		.amdhsa_float_denorm_mode_32 3
		.amdhsa_float_denorm_mode_16_64 3
		.amdhsa_dx10_clamp 1
		.amdhsa_ieee_mode 1
		.amdhsa_fp16_overflow 0
		.amdhsa_tg_split 0
		.amdhsa_exception_fp_ieee_invalid_op 0
		.amdhsa_exception_fp_denorm_src 0
		.amdhsa_exception_fp_ieee_div_zero 0
		.amdhsa_exception_fp_ieee_overflow 0
		.amdhsa_exception_fp_ieee_underflow 0
		.amdhsa_exception_fp_ieee_inexact 0
		.amdhsa_exception_int_div_zero 0
	.end_amdhsa_kernel
	.section	.text._ZN7rocprim17ROCPRIM_400000_NS6detail17trampoline_kernelINS0_14default_configENS1_27scan_by_key_config_selectorIiiEEZZNS1_16scan_by_key_implILNS1_25lookback_scan_determinismE0ELb0ES3_N6thrust23THRUST_200600_302600_NS6detail15normal_iteratorINS9_10device_ptrIiEEEESE_SE_iNS9_4plusIiEE19head_flag_predicateiEE10hipError_tPvRmT2_T3_T4_T5_mT6_T7_P12ihipStream_tbENKUlT_T0_E_clISt17integral_constantIbLb0EESX_IbLb1EEEEDaST_SU_EUlST_E_NS1_11comp_targetILNS1_3genE2ELNS1_11target_archE906ELNS1_3gpuE6ELNS1_3repE0EEENS1_30default_config_static_selectorELNS0_4arch9wavefront6targetE1EEEvT1_,"axG",@progbits,_ZN7rocprim17ROCPRIM_400000_NS6detail17trampoline_kernelINS0_14default_configENS1_27scan_by_key_config_selectorIiiEEZZNS1_16scan_by_key_implILNS1_25lookback_scan_determinismE0ELb0ES3_N6thrust23THRUST_200600_302600_NS6detail15normal_iteratorINS9_10device_ptrIiEEEESE_SE_iNS9_4plusIiEE19head_flag_predicateiEE10hipError_tPvRmT2_T3_T4_T5_mT6_T7_P12ihipStream_tbENKUlT_T0_E_clISt17integral_constantIbLb0EESX_IbLb1EEEEDaST_SU_EUlST_E_NS1_11comp_targetILNS1_3genE2ELNS1_11target_archE906ELNS1_3gpuE6ELNS1_3repE0EEENS1_30default_config_static_selectorELNS0_4arch9wavefront6targetE1EEEvT1_,comdat
.Lfunc_end781:
	.size	_ZN7rocprim17ROCPRIM_400000_NS6detail17trampoline_kernelINS0_14default_configENS1_27scan_by_key_config_selectorIiiEEZZNS1_16scan_by_key_implILNS1_25lookback_scan_determinismE0ELb0ES3_N6thrust23THRUST_200600_302600_NS6detail15normal_iteratorINS9_10device_ptrIiEEEESE_SE_iNS9_4plusIiEE19head_flag_predicateiEE10hipError_tPvRmT2_T3_T4_T5_mT6_T7_P12ihipStream_tbENKUlT_T0_E_clISt17integral_constantIbLb0EESX_IbLb1EEEEDaST_SU_EUlST_E_NS1_11comp_targetILNS1_3genE2ELNS1_11target_archE906ELNS1_3gpuE6ELNS1_3repE0EEENS1_30default_config_static_selectorELNS0_4arch9wavefront6targetE1EEEvT1_, .Lfunc_end781-_ZN7rocprim17ROCPRIM_400000_NS6detail17trampoline_kernelINS0_14default_configENS1_27scan_by_key_config_selectorIiiEEZZNS1_16scan_by_key_implILNS1_25lookback_scan_determinismE0ELb0ES3_N6thrust23THRUST_200600_302600_NS6detail15normal_iteratorINS9_10device_ptrIiEEEESE_SE_iNS9_4plusIiEE19head_flag_predicateiEE10hipError_tPvRmT2_T3_T4_T5_mT6_T7_P12ihipStream_tbENKUlT_T0_E_clISt17integral_constantIbLb0EESX_IbLb1EEEEDaST_SU_EUlST_E_NS1_11comp_targetILNS1_3genE2ELNS1_11target_archE906ELNS1_3gpuE6ELNS1_3repE0EEENS1_30default_config_static_selectorELNS0_4arch9wavefront6targetE1EEEvT1_
                                        ; -- End function
	.section	.AMDGPU.csdata,"",@progbits
; Kernel info:
; codeLenInByte = 0
; NumSgprs: 6
; NumVgprs: 0
; NumAgprs: 0
; TotalNumVgprs: 0
; ScratchSize: 0
; MemoryBound: 0
; FloatMode: 240
; IeeeMode: 1
; LDSByteSize: 0 bytes/workgroup (compile time only)
; SGPRBlocks: 0
; VGPRBlocks: 0
; NumSGPRsForWavesPerEU: 6
; NumVGPRsForWavesPerEU: 1
; AccumOffset: 4
; Occupancy: 8
; WaveLimiterHint : 0
; COMPUTE_PGM_RSRC2:SCRATCH_EN: 0
; COMPUTE_PGM_RSRC2:USER_SGPR: 2
; COMPUTE_PGM_RSRC2:TRAP_HANDLER: 0
; COMPUTE_PGM_RSRC2:TGID_X_EN: 1
; COMPUTE_PGM_RSRC2:TGID_Y_EN: 0
; COMPUTE_PGM_RSRC2:TGID_Z_EN: 0
; COMPUTE_PGM_RSRC2:TIDIG_COMP_CNT: 0
; COMPUTE_PGM_RSRC3_GFX90A:ACCUM_OFFSET: 0
; COMPUTE_PGM_RSRC3_GFX90A:TG_SPLIT: 0
	.section	.text._ZN7rocprim17ROCPRIM_400000_NS6detail17trampoline_kernelINS0_14default_configENS1_27scan_by_key_config_selectorIiiEEZZNS1_16scan_by_key_implILNS1_25lookback_scan_determinismE0ELb0ES3_N6thrust23THRUST_200600_302600_NS6detail15normal_iteratorINS9_10device_ptrIiEEEESE_SE_iNS9_4plusIiEE19head_flag_predicateiEE10hipError_tPvRmT2_T3_T4_T5_mT6_T7_P12ihipStream_tbENKUlT_T0_E_clISt17integral_constantIbLb0EESX_IbLb1EEEEDaST_SU_EUlST_E_NS1_11comp_targetILNS1_3genE10ELNS1_11target_archE1200ELNS1_3gpuE4ELNS1_3repE0EEENS1_30default_config_static_selectorELNS0_4arch9wavefront6targetE1EEEvT1_,"axG",@progbits,_ZN7rocprim17ROCPRIM_400000_NS6detail17trampoline_kernelINS0_14default_configENS1_27scan_by_key_config_selectorIiiEEZZNS1_16scan_by_key_implILNS1_25lookback_scan_determinismE0ELb0ES3_N6thrust23THRUST_200600_302600_NS6detail15normal_iteratorINS9_10device_ptrIiEEEESE_SE_iNS9_4plusIiEE19head_flag_predicateiEE10hipError_tPvRmT2_T3_T4_T5_mT6_T7_P12ihipStream_tbENKUlT_T0_E_clISt17integral_constantIbLb0EESX_IbLb1EEEEDaST_SU_EUlST_E_NS1_11comp_targetILNS1_3genE10ELNS1_11target_archE1200ELNS1_3gpuE4ELNS1_3repE0EEENS1_30default_config_static_selectorELNS0_4arch9wavefront6targetE1EEEvT1_,comdat
	.protected	_ZN7rocprim17ROCPRIM_400000_NS6detail17trampoline_kernelINS0_14default_configENS1_27scan_by_key_config_selectorIiiEEZZNS1_16scan_by_key_implILNS1_25lookback_scan_determinismE0ELb0ES3_N6thrust23THRUST_200600_302600_NS6detail15normal_iteratorINS9_10device_ptrIiEEEESE_SE_iNS9_4plusIiEE19head_flag_predicateiEE10hipError_tPvRmT2_T3_T4_T5_mT6_T7_P12ihipStream_tbENKUlT_T0_E_clISt17integral_constantIbLb0EESX_IbLb1EEEEDaST_SU_EUlST_E_NS1_11comp_targetILNS1_3genE10ELNS1_11target_archE1200ELNS1_3gpuE4ELNS1_3repE0EEENS1_30default_config_static_selectorELNS0_4arch9wavefront6targetE1EEEvT1_ ; -- Begin function _ZN7rocprim17ROCPRIM_400000_NS6detail17trampoline_kernelINS0_14default_configENS1_27scan_by_key_config_selectorIiiEEZZNS1_16scan_by_key_implILNS1_25lookback_scan_determinismE0ELb0ES3_N6thrust23THRUST_200600_302600_NS6detail15normal_iteratorINS9_10device_ptrIiEEEESE_SE_iNS9_4plusIiEE19head_flag_predicateiEE10hipError_tPvRmT2_T3_T4_T5_mT6_T7_P12ihipStream_tbENKUlT_T0_E_clISt17integral_constantIbLb0EESX_IbLb1EEEEDaST_SU_EUlST_E_NS1_11comp_targetILNS1_3genE10ELNS1_11target_archE1200ELNS1_3gpuE4ELNS1_3repE0EEENS1_30default_config_static_selectorELNS0_4arch9wavefront6targetE1EEEvT1_
	.globl	_ZN7rocprim17ROCPRIM_400000_NS6detail17trampoline_kernelINS0_14default_configENS1_27scan_by_key_config_selectorIiiEEZZNS1_16scan_by_key_implILNS1_25lookback_scan_determinismE0ELb0ES3_N6thrust23THRUST_200600_302600_NS6detail15normal_iteratorINS9_10device_ptrIiEEEESE_SE_iNS9_4plusIiEE19head_flag_predicateiEE10hipError_tPvRmT2_T3_T4_T5_mT6_T7_P12ihipStream_tbENKUlT_T0_E_clISt17integral_constantIbLb0EESX_IbLb1EEEEDaST_SU_EUlST_E_NS1_11comp_targetILNS1_3genE10ELNS1_11target_archE1200ELNS1_3gpuE4ELNS1_3repE0EEENS1_30default_config_static_selectorELNS0_4arch9wavefront6targetE1EEEvT1_
	.p2align	8
	.type	_ZN7rocprim17ROCPRIM_400000_NS6detail17trampoline_kernelINS0_14default_configENS1_27scan_by_key_config_selectorIiiEEZZNS1_16scan_by_key_implILNS1_25lookback_scan_determinismE0ELb0ES3_N6thrust23THRUST_200600_302600_NS6detail15normal_iteratorINS9_10device_ptrIiEEEESE_SE_iNS9_4plusIiEE19head_flag_predicateiEE10hipError_tPvRmT2_T3_T4_T5_mT6_T7_P12ihipStream_tbENKUlT_T0_E_clISt17integral_constantIbLb0EESX_IbLb1EEEEDaST_SU_EUlST_E_NS1_11comp_targetILNS1_3genE10ELNS1_11target_archE1200ELNS1_3gpuE4ELNS1_3repE0EEENS1_30default_config_static_selectorELNS0_4arch9wavefront6targetE1EEEvT1_,@function
_ZN7rocprim17ROCPRIM_400000_NS6detail17trampoline_kernelINS0_14default_configENS1_27scan_by_key_config_selectorIiiEEZZNS1_16scan_by_key_implILNS1_25lookback_scan_determinismE0ELb0ES3_N6thrust23THRUST_200600_302600_NS6detail15normal_iteratorINS9_10device_ptrIiEEEESE_SE_iNS9_4plusIiEE19head_flag_predicateiEE10hipError_tPvRmT2_T3_T4_T5_mT6_T7_P12ihipStream_tbENKUlT_T0_E_clISt17integral_constantIbLb0EESX_IbLb1EEEEDaST_SU_EUlST_E_NS1_11comp_targetILNS1_3genE10ELNS1_11target_archE1200ELNS1_3gpuE4ELNS1_3repE0EEENS1_30default_config_static_selectorELNS0_4arch9wavefront6targetE1EEEvT1_: ; @_ZN7rocprim17ROCPRIM_400000_NS6detail17trampoline_kernelINS0_14default_configENS1_27scan_by_key_config_selectorIiiEEZZNS1_16scan_by_key_implILNS1_25lookback_scan_determinismE0ELb0ES3_N6thrust23THRUST_200600_302600_NS6detail15normal_iteratorINS9_10device_ptrIiEEEESE_SE_iNS9_4plusIiEE19head_flag_predicateiEE10hipError_tPvRmT2_T3_T4_T5_mT6_T7_P12ihipStream_tbENKUlT_T0_E_clISt17integral_constantIbLb0EESX_IbLb1EEEEDaST_SU_EUlST_E_NS1_11comp_targetILNS1_3genE10ELNS1_11target_archE1200ELNS1_3gpuE4ELNS1_3repE0EEENS1_30default_config_static_selectorELNS0_4arch9wavefront6targetE1EEEvT1_
; %bb.0:
	.section	.rodata,"a",@progbits
	.p2align	6, 0x0
	.amdhsa_kernel _ZN7rocprim17ROCPRIM_400000_NS6detail17trampoline_kernelINS0_14default_configENS1_27scan_by_key_config_selectorIiiEEZZNS1_16scan_by_key_implILNS1_25lookback_scan_determinismE0ELb0ES3_N6thrust23THRUST_200600_302600_NS6detail15normal_iteratorINS9_10device_ptrIiEEEESE_SE_iNS9_4plusIiEE19head_flag_predicateiEE10hipError_tPvRmT2_T3_T4_T5_mT6_T7_P12ihipStream_tbENKUlT_T0_E_clISt17integral_constantIbLb0EESX_IbLb1EEEEDaST_SU_EUlST_E_NS1_11comp_targetILNS1_3genE10ELNS1_11target_archE1200ELNS1_3gpuE4ELNS1_3repE0EEENS1_30default_config_static_selectorELNS0_4arch9wavefront6targetE1EEEvT1_
		.amdhsa_group_segment_fixed_size 0
		.amdhsa_private_segment_fixed_size 0
		.amdhsa_kernarg_size 112
		.amdhsa_user_sgpr_count 2
		.amdhsa_user_sgpr_dispatch_ptr 0
		.amdhsa_user_sgpr_queue_ptr 0
		.amdhsa_user_sgpr_kernarg_segment_ptr 1
		.amdhsa_user_sgpr_dispatch_id 0
		.amdhsa_user_sgpr_kernarg_preload_length 0
		.amdhsa_user_sgpr_kernarg_preload_offset 0
		.amdhsa_user_sgpr_private_segment_size 0
		.amdhsa_uses_dynamic_stack 0
		.amdhsa_enable_private_segment 0
		.amdhsa_system_sgpr_workgroup_id_x 1
		.amdhsa_system_sgpr_workgroup_id_y 0
		.amdhsa_system_sgpr_workgroup_id_z 0
		.amdhsa_system_sgpr_workgroup_info 0
		.amdhsa_system_vgpr_workitem_id 0
		.amdhsa_next_free_vgpr 1
		.amdhsa_next_free_sgpr 0
		.amdhsa_accum_offset 4
		.amdhsa_reserve_vcc 0
		.amdhsa_float_round_mode_32 0
		.amdhsa_float_round_mode_16_64 0
		.amdhsa_float_denorm_mode_32 3
		.amdhsa_float_denorm_mode_16_64 3
		.amdhsa_dx10_clamp 1
		.amdhsa_ieee_mode 1
		.amdhsa_fp16_overflow 0
		.amdhsa_tg_split 0
		.amdhsa_exception_fp_ieee_invalid_op 0
		.amdhsa_exception_fp_denorm_src 0
		.amdhsa_exception_fp_ieee_div_zero 0
		.amdhsa_exception_fp_ieee_overflow 0
		.amdhsa_exception_fp_ieee_underflow 0
		.amdhsa_exception_fp_ieee_inexact 0
		.amdhsa_exception_int_div_zero 0
	.end_amdhsa_kernel
	.section	.text._ZN7rocprim17ROCPRIM_400000_NS6detail17trampoline_kernelINS0_14default_configENS1_27scan_by_key_config_selectorIiiEEZZNS1_16scan_by_key_implILNS1_25lookback_scan_determinismE0ELb0ES3_N6thrust23THRUST_200600_302600_NS6detail15normal_iteratorINS9_10device_ptrIiEEEESE_SE_iNS9_4plusIiEE19head_flag_predicateiEE10hipError_tPvRmT2_T3_T4_T5_mT6_T7_P12ihipStream_tbENKUlT_T0_E_clISt17integral_constantIbLb0EESX_IbLb1EEEEDaST_SU_EUlST_E_NS1_11comp_targetILNS1_3genE10ELNS1_11target_archE1200ELNS1_3gpuE4ELNS1_3repE0EEENS1_30default_config_static_selectorELNS0_4arch9wavefront6targetE1EEEvT1_,"axG",@progbits,_ZN7rocprim17ROCPRIM_400000_NS6detail17trampoline_kernelINS0_14default_configENS1_27scan_by_key_config_selectorIiiEEZZNS1_16scan_by_key_implILNS1_25lookback_scan_determinismE0ELb0ES3_N6thrust23THRUST_200600_302600_NS6detail15normal_iteratorINS9_10device_ptrIiEEEESE_SE_iNS9_4plusIiEE19head_flag_predicateiEE10hipError_tPvRmT2_T3_T4_T5_mT6_T7_P12ihipStream_tbENKUlT_T0_E_clISt17integral_constantIbLb0EESX_IbLb1EEEEDaST_SU_EUlST_E_NS1_11comp_targetILNS1_3genE10ELNS1_11target_archE1200ELNS1_3gpuE4ELNS1_3repE0EEENS1_30default_config_static_selectorELNS0_4arch9wavefront6targetE1EEEvT1_,comdat
.Lfunc_end782:
	.size	_ZN7rocprim17ROCPRIM_400000_NS6detail17trampoline_kernelINS0_14default_configENS1_27scan_by_key_config_selectorIiiEEZZNS1_16scan_by_key_implILNS1_25lookback_scan_determinismE0ELb0ES3_N6thrust23THRUST_200600_302600_NS6detail15normal_iteratorINS9_10device_ptrIiEEEESE_SE_iNS9_4plusIiEE19head_flag_predicateiEE10hipError_tPvRmT2_T3_T4_T5_mT6_T7_P12ihipStream_tbENKUlT_T0_E_clISt17integral_constantIbLb0EESX_IbLb1EEEEDaST_SU_EUlST_E_NS1_11comp_targetILNS1_3genE10ELNS1_11target_archE1200ELNS1_3gpuE4ELNS1_3repE0EEENS1_30default_config_static_selectorELNS0_4arch9wavefront6targetE1EEEvT1_, .Lfunc_end782-_ZN7rocprim17ROCPRIM_400000_NS6detail17trampoline_kernelINS0_14default_configENS1_27scan_by_key_config_selectorIiiEEZZNS1_16scan_by_key_implILNS1_25lookback_scan_determinismE0ELb0ES3_N6thrust23THRUST_200600_302600_NS6detail15normal_iteratorINS9_10device_ptrIiEEEESE_SE_iNS9_4plusIiEE19head_flag_predicateiEE10hipError_tPvRmT2_T3_T4_T5_mT6_T7_P12ihipStream_tbENKUlT_T0_E_clISt17integral_constantIbLb0EESX_IbLb1EEEEDaST_SU_EUlST_E_NS1_11comp_targetILNS1_3genE10ELNS1_11target_archE1200ELNS1_3gpuE4ELNS1_3repE0EEENS1_30default_config_static_selectorELNS0_4arch9wavefront6targetE1EEEvT1_
                                        ; -- End function
	.section	.AMDGPU.csdata,"",@progbits
; Kernel info:
; codeLenInByte = 0
; NumSgprs: 6
; NumVgprs: 0
; NumAgprs: 0
; TotalNumVgprs: 0
; ScratchSize: 0
; MemoryBound: 0
; FloatMode: 240
; IeeeMode: 1
; LDSByteSize: 0 bytes/workgroup (compile time only)
; SGPRBlocks: 0
; VGPRBlocks: 0
; NumSGPRsForWavesPerEU: 6
; NumVGPRsForWavesPerEU: 1
; AccumOffset: 4
; Occupancy: 8
; WaveLimiterHint : 0
; COMPUTE_PGM_RSRC2:SCRATCH_EN: 0
; COMPUTE_PGM_RSRC2:USER_SGPR: 2
; COMPUTE_PGM_RSRC2:TRAP_HANDLER: 0
; COMPUTE_PGM_RSRC2:TGID_X_EN: 1
; COMPUTE_PGM_RSRC2:TGID_Y_EN: 0
; COMPUTE_PGM_RSRC2:TGID_Z_EN: 0
; COMPUTE_PGM_RSRC2:TIDIG_COMP_CNT: 0
; COMPUTE_PGM_RSRC3_GFX90A:ACCUM_OFFSET: 0
; COMPUTE_PGM_RSRC3_GFX90A:TG_SPLIT: 0
	.section	.text._ZN7rocprim17ROCPRIM_400000_NS6detail17trampoline_kernelINS0_14default_configENS1_27scan_by_key_config_selectorIiiEEZZNS1_16scan_by_key_implILNS1_25lookback_scan_determinismE0ELb0ES3_N6thrust23THRUST_200600_302600_NS6detail15normal_iteratorINS9_10device_ptrIiEEEESE_SE_iNS9_4plusIiEE19head_flag_predicateiEE10hipError_tPvRmT2_T3_T4_T5_mT6_T7_P12ihipStream_tbENKUlT_T0_E_clISt17integral_constantIbLb0EESX_IbLb1EEEEDaST_SU_EUlST_E_NS1_11comp_targetILNS1_3genE9ELNS1_11target_archE1100ELNS1_3gpuE3ELNS1_3repE0EEENS1_30default_config_static_selectorELNS0_4arch9wavefront6targetE1EEEvT1_,"axG",@progbits,_ZN7rocprim17ROCPRIM_400000_NS6detail17trampoline_kernelINS0_14default_configENS1_27scan_by_key_config_selectorIiiEEZZNS1_16scan_by_key_implILNS1_25lookback_scan_determinismE0ELb0ES3_N6thrust23THRUST_200600_302600_NS6detail15normal_iteratorINS9_10device_ptrIiEEEESE_SE_iNS9_4plusIiEE19head_flag_predicateiEE10hipError_tPvRmT2_T3_T4_T5_mT6_T7_P12ihipStream_tbENKUlT_T0_E_clISt17integral_constantIbLb0EESX_IbLb1EEEEDaST_SU_EUlST_E_NS1_11comp_targetILNS1_3genE9ELNS1_11target_archE1100ELNS1_3gpuE3ELNS1_3repE0EEENS1_30default_config_static_selectorELNS0_4arch9wavefront6targetE1EEEvT1_,comdat
	.protected	_ZN7rocprim17ROCPRIM_400000_NS6detail17trampoline_kernelINS0_14default_configENS1_27scan_by_key_config_selectorIiiEEZZNS1_16scan_by_key_implILNS1_25lookback_scan_determinismE0ELb0ES3_N6thrust23THRUST_200600_302600_NS6detail15normal_iteratorINS9_10device_ptrIiEEEESE_SE_iNS9_4plusIiEE19head_flag_predicateiEE10hipError_tPvRmT2_T3_T4_T5_mT6_T7_P12ihipStream_tbENKUlT_T0_E_clISt17integral_constantIbLb0EESX_IbLb1EEEEDaST_SU_EUlST_E_NS1_11comp_targetILNS1_3genE9ELNS1_11target_archE1100ELNS1_3gpuE3ELNS1_3repE0EEENS1_30default_config_static_selectorELNS0_4arch9wavefront6targetE1EEEvT1_ ; -- Begin function _ZN7rocprim17ROCPRIM_400000_NS6detail17trampoline_kernelINS0_14default_configENS1_27scan_by_key_config_selectorIiiEEZZNS1_16scan_by_key_implILNS1_25lookback_scan_determinismE0ELb0ES3_N6thrust23THRUST_200600_302600_NS6detail15normal_iteratorINS9_10device_ptrIiEEEESE_SE_iNS9_4plusIiEE19head_flag_predicateiEE10hipError_tPvRmT2_T3_T4_T5_mT6_T7_P12ihipStream_tbENKUlT_T0_E_clISt17integral_constantIbLb0EESX_IbLb1EEEEDaST_SU_EUlST_E_NS1_11comp_targetILNS1_3genE9ELNS1_11target_archE1100ELNS1_3gpuE3ELNS1_3repE0EEENS1_30default_config_static_selectorELNS0_4arch9wavefront6targetE1EEEvT1_
	.globl	_ZN7rocprim17ROCPRIM_400000_NS6detail17trampoline_kernelINS0_14default_configENS1_27scan_by_key_config_selectorIiiEEZZNS1_16scan_by_key_implILNS1_25lookback_scan_determinismE0ELb0ES3_N6thrust23THRUST_200600_302600_NS6detail15normal_iteratorINS9_10device_ptrIiEEEESE_SE_iNS9_4plusIiEE19head_flag_predicateiEE10hipError_tPvRmT2_T3_T4_T5_mT6_T7_P12ihipStream_tbENKUlT_T0_E_clISt17integral_constantIbLb0EESX_IbLb1EEEEDaST_SU_EUlST_E_NS1_11comp_targetILNS1_3genE9ELNS1_11target_archE1100ELNS1_3gpuE3ELNS1_3repE0EEENS1_30default_config_static_selectorELNS0_4arch9wavefront6targetE1EEEvT1_
	.p2align	8
	.type	_ZN7rocprim17ROCPRIM_400000_NS6detail17trampoline_kernelINS0_14default_configENS1_27scan_by_key_config_selectorIiiEEZZNS1_16scan_by_key_implILNS1_25lookback_scan_determinismE0ELb0ES3_N6thrust23THRUST_200600_302600_NS6detail15normal_iteratorINS9_10device_ptrIiEEEESE_SE_iNS9_4plusIiEE19head_flag_predicateiEE10hipError_tPvRmT2_T3_T4_T5_mT6_T7_P12ihipStream_tbENKUlT_T0_E_clISt17integral_constantIbLb0EESX_IbLb1EEEEDaST_SU_EUlST_E_NS1_11comp_targetILNS1_3genE9ELNS1_11target_archE1100ELNS1_3gpuE3ELNS1_3repE0EEENS1_30default_config_static_selectorELNS0_4arch9wavefront6targetE1EEEvT1_,@function
_ZN7rocprim17ROCPRIM_400000_NS6detail17trampoline_kernelINS0_14default_configENS1_27scan_by_key_config_selectorIiiEEZZNS1_16scan_by_key_implILNS1_25lookback_scan_determinismE0ELb0ES3_N6thrust23THRUST_200600_302600_NS6detail15normal_iteratorINS9_10device_ptrIiEEEESE_SE_iNS9_4plusIiEE19head_flag_predicateiEE10hipError_tPvRmT2_T3_T4_T5_mT6_T7_P12ihipStream_tbENKUlT_T0_E_clISt17integral_constantIbLb0EESX_IbLb1EEEEDaST_SU_EUlST_E_NS1_11comp_targetILNS1_3genE9ELNS1_11target_archE1100ELNS1_3gpuE3ELNS1_3repE0EEENS1_30default_config_static_selectorELNS0_4arch9wavefront6targetE1EEEvT1_: ; @_ZN7rocprim17ROCPRIM_400000_NS6detail17trampoline_kernelINS0_14default_configENS1_27scan_by_key_config_selectorIiiEEZZNS1_16scan_by_key_implILNS1_25lookback_scan_determinismE0ELb0ES3_N6thrust23THRUST_200600_302600_NS6detail15normal_iteratorINS9_10device_ptrIiEEEESE_SE_iNS9_4plusIiEE19head_flag_predicateiEE10hipError_tPvRmT2_T3_T4_T5_mT6_T7_P12ihipStream_tbENKUlT_T0_E_clISt17integral_constantIbLb0EESX_IbLb1EEEEDaST_SU_EUlST_E_NS1_11comp_targetILNS1_3genE9ELNS1_11target_archE1100ELNS1_3gpuE3ELNS1_3repE0EEENS1_30default_config_static_selectorELNS0_4arch9wavefront6targetE1EEEvT1_
; %bb.0:
	.section	.rodata,"a",@progbits
	.p2align	6, 0x0
	.amdhsa_kernel _ZN7rocprim17ROCPRIM_400000_NS6detail17trampoline_kernelINS0_14default_configENS1_27scan_by_key_config_selectorIiiEEZZNS1_16scan_by_key_implILNS1_25lookback_scan_determinismE0ELb0ES3_N6thrust23THRUST_200600_302600_NS6detail15normal_iteratorINS9_10device_ptrIiEEEESE_SE_iNS9_4plusIiEE19head_flag_predicateiEE10hipError_tPvRmT2_T3_T4_T5_mT6_T7_P12ihipStream_tbENKUlT_T0_E_clISt17integral_constantIbLb0EESX_IbLb1EEEEDaST_SU_EUlST_E_NS1_11comp_targetILNS1_3genE9ELNS1_11target_archE1100ELNS1_3gpuE3ELNS1_3repE0EEENS1_30default_config_static_selectorELNS0_4arch9wavefront6targetE1EEEvT1_
		.amdhsa_group_segment_fixed_size 0
		.amdhsa_private_segment_fixed_size 0
		.amdhsa_kernarg_size 112
		.amdhsa_user_sgpr_count 2
		.amdhsa_user_sgpr_dispatch_ptr 0
		.amdhsa_user_sgpr_queue_ptr 0
		.amdhsa_user_sgpr_kernarg_segment_ptr 1
		.amdhsa_user_sgpr_dispatch_id 0
		.amdhsa_user_sgpr_kernarg_preload_length 0
		.amdhsa_user_sgpr_kernarg_preload_offset 0
		.amdhsa_user_sgpr_private_segment_size 0
		.amdhsa_uses_dynamic_stack 0
		.amdhsa_enable_private_segment 0
		.amdhsa_system_sgpr_workgroup_id_x 1
		.amdhsa_system_sgpr_workgroup_id_y 0
		.amdhsa_system_sgpr_workgroup_id_z 0
		.amdhsa_system_sgpr_workgroup_info 0
		.amdhsa_system_vgpr_workitem_id 0
		.amdhsa_next_free_vgpr 1
		.amdhsa_next_free_sgpr 0
		.amdhsa_accum_offset 4
		.amdhsa_reserve_vcc 0
		.amdhsa_float_round_mode_32 0
		.amdhsa_float_round_mode_16_64 0
		.amdhsa_float_denorm_mode_32 3
		.amdhsa_float_denorm_mode_16_64 3
		.amdhsa_dx10_clamp 1
		.amdhsa_ieee_mode 1
		.amdhsa_fp16_overflow 0
		.amdhsa_tg_split 0
		.amdhsa_exception_fp_ieee_invalid_op 0
		.amdhsa_exception_fp_denorm_src 0
		.amdhsa_exception_fp_ieee_div_zero 0
		.amdhsa_exception_fp_ieee_overflow 0
		.amdhsa_exception_fp_ieee_underflow 0
		.amdhsa_exception_fp_ieee_inexact 0
		.amdhsa_exception_int_div_zero 0
	.end_amdhsa_kernel
	.section	.text._ZN7rocprim17ROCPRIM_400000_NS6detail17trampoline_kernelINS0_14default_configENS1_27scan_by_key_config_selectorIiiEEZZNS1_16scan_by_key_implILNS1_25lookback_scan_determinismE0ELb0ES3_N6thrust23THRUST_200600_302600_NS6detail15normal_iteratorINS9_10device_ptrIiEEEESE_SE_iNS9_4plusIiEE19head_flag_predicateiEE10hipError_tPvRmT2_T3_T4_T5_mT6_T7_P12ihipStream_tbENKUlT_T0_E_clISt17integral_constantIbLb0EESX_IbLb1EEEEDaST_SU_EUlST_E_NS1_11comp_targetILNS1_3genE9ELNS1_11target_archE1100ELNS1_3gpuE3ELNS1_3repE0EEENS1_30default_config_static_selectorELNS0_4arch9wavefront6targetE1EEEvT1_,"axG",@progbits,_ZN7rocprim17ROCPRIM_400000_NS6detail17trampoline_kernelINS0_14default_configENS1_27scan_by_key_config_selectorIiiEEZZNS1_16scan_by_key_implILNS1_25lookback_scan_determinismE0ELb0ES3_N6thrust23THRUST_200600_302600_NS6detail15normal_iteratorINS9_10device_ptrIiEEEESE_SE_iNS9_4plusIiEE19head_flag_predicateiEE10hipError_tPvRmT2_T3_T4_T5_mT6_T7_P12ihipStream_tbENKUlT_T0_E_clISt17integral_constantIbLb0EESX_IbLb1EEEEDaST_SU_EUlST_E_NS1_11comp_targetILNS1_3genE9ELNS1_11target_archE1100ELNS1_3gpuE3ELNS1_3repE0EEENS1_30default_config_static_selectorELNS0_4arch9wavefront6targetE1EEEvT1_,comdat
.Lfunc_end783:
	.size	_ZN7rocprim17ROCPRIM_400000_NS6detail17trampoline_kernelINS0_14default_configENS1_27scan_by_key_config_selectorIiiEEZZNS1_16scan_by_key_implILNS1_25lookback_scan_determinismE0ELb0ES3_N6thrust23THRUST_200600_302600_NS6detail15normal_iteratorINS9_10device_ptrIiEEEESE_SE_iNS9_4plusIiEE19head_flag_predicateiEE10hipError_tPvRmT2_T3_T4_T5_mT6_T7_P12ihipStream_tbENKUlT_T0_E_clISt17integral_constantIbLb0EESX_IbLb1EEEEDaST_SU_EUlST_E_NS1_11comp_targetILNS1_3genE9ELNS1_11target_archE1100ELNS1_3gpuE3ELNS1_3repE0EEENS1_30default_config_static_selectorELNS0_4arch9wavefront6targetE1EEEvT1_, .Lfunc_end783-_ZN7rocprim17ROCPRIM_400000_NS6detail17trampoline_kernelINS0_14default_configENS1_27scan_by_key_config_selectorIiiEEZZNS1_16scan_by_key_implILNS1_25lookback_scan_determinismE0ELb0ES3_N6thrust23THRUST_200600_302600_NS6detail15normal_iteratorINS9_10device_ptrIiEEEESE_SE_iNS9_4plusIiEE19head_flag_predicateiEE10hipError_tPvRmT2_T3_T4_T5_mT6_T7_P12ihipStream_tbENKUlT_T0_E_clISt17integral_constantIbLb0EESX_IbLb1EEEEDaST_SU_EUlST_E_NS1_11comp_targetILNS1_3genE9ELNS1_11target_archE1100ELNS1_3gpuE3ELNS1_3repE0EEENS1_30default_config_static_selectorELNS0_4arch9wavefront6targetE1EEEvT1_
                                        ; -- End function
	.section	.AMDGPU.csdata,"",@progbits
; Kernel info:
; codeLenInByte = 0
; NumSgprs: 6
; NumVgprs: 0
; NumAgprs: 0
; TotalNumVgprs: 0
; ScratchSize: 0
; MemoryBound: 0
; FloatMode: 240
; IeeeMode: 1
; LDSByteSize: 0 bytes/workgroup (compile time only)
; SGPRBlocks: 0
; VGPRBlocks: 0
; NumSGPRsForWavesPerEU: 6
; NumVGPRsForWavesPerEU: 1
; AccumOffset: 4
; Occupancy: 8
; WaveLimiterHint : 0
; COMPUTE_PGM_RSRC2:SCRATCH_EN: 0
; COMPUTE_PGM_RSRC2:USER_SGPR: 2
; COMPUTE_PGM_RSRC2:TRAP_HANDLER: 0
; COMPUTE_PGM_RSRC2:TGID_X_EN: 1
; COMPUTE_PGM_RSRC2:TGID_Y_EN: 0
; COMPUTE_PGM_RSRC2:TGID_Z_EN: 0
; COMPUTE_PGM_RSRC2:TIDIG_COMP_CNT: 0
; COMPUTE_PGM_RSRC3_GFX90A:ACCUM_OFFSET: 0
; COMPUTE_PGM_RSRC3_GFX90A:TG_SPLIT: 0
	.section	.text._ZN7rocprim17ROCPRIM_400000_NS6detail17trampoline_kernelINS0_14default_configENS1_27scan_by_key_config_selectorIiiEEZZNS1_16scan_by_key_implILNS1_25lookback_scan_determinismE0ELb0ES3_N6thrust23THRUST_200600_302600_NS6detail15normal_iteratorINS9_10device_ptrIiEEEESE_SE_iNS9_4plusIiEE19head_flag_predicateiEE10hipError_tPvRmT2_T3_T4_T5_mT6_T7_P12ihipStream_tbENKUlT_T0_E_clISt17integral_constantIbLb0EESX_IbLb1EEEEDaST_SU_EUlST_E_NS1_11comp_targetILNS1_3genE8ELNS1_11target_archE1030ELNS1_3gpuE2ELNS1_3repE0EEENS1_30default_config_static_selectorELNS0_4arch9wavefront6targetE1EEEvT1_,"axG",@progbits,_ZN7rocprim17ROCPRIM_400000_NS6detail17trampoline_kernelINS0_14default_configENS1_27scan_by_key_config_selectorIiiEEZZNS1_16scan_by_key_implILNS1_25lookback_scan_determinismE0ELb0ES3_N6thrust23THRUST_200600_302600_NS6detail15normal_iteratorINS9_10device_ptrIiEEEESE_SE_iNS9_4plusIiEE19head_flag_predicateiEE10hipError_tPvRmT2_T3_T4_T5_mT6_T7_P12ihipStream_tbENKUlT_T0_E_clISt17integral_constantIbLb0EESX_IbLb1EEEEDaST_SU_EUlST_E_NS1_11comp_targetILNS1_3genE8ELNS1_11target_archE1030ELNS1_3gpuE2ELNS1_3repE0EEENS1_30default_config_static_selectorELNS0_4arch9wavefront6targetE1EEEvT1_,comdat
	.protected	_ZN7rocprim17ROCPRIM_400000_NS6detail17trampoline_kernelINS0_14default_configENS1_27scan_by_key_config_selectorIiiEEZZNS1_16scan_by_key_implILNS1_25lookback_scan_determinismE0ELb0ES3_N6thrust23THRUST_200600_302600_NS6detail15normal_iteratorINS9_10device_ptrIiEEEESE_SE_iNS9_4plusIiEE19head_flag_predicateiEE10hipError_tPvRmT2_T3_T4_T5_mT6_T7_P12ihipStream_tbENKUlT_T0_E_clISt17integral_constantIbLb0EESX_IbLb1EEEEDaST_SU_EUlST_E_NS1_11comp_targetILNS1_3genE8ELNS1_11target_archE1030ELNS1_3gpuE2ELNS1_3repE0EEENS1_30default_config_static_selectorELNS0_4arch9wavefront6targetE1EEEvT1_ ; -- Begin function _ZN7rocprim17ROCPRIM_400000_NS6detail17trampoline_kernelINS0_14default_configENS1_27scan_by_key_config_selectorIiiEEZZNS1_16scan_by_key_implILNS1_25lookback_scan_determinismE0ELb0ES3_N6thrust23THRUST_200600_302600_NS6detail15normal_iteratorINS9_10device_ptrIiEEEESE_SE_iNS9_4plusIiEE19head_flag_predicateiEE10hipError_tPvRmT2_T3_T4_T5_mT6_T7_P12ihipStream_tbENKUlT_T0_E_clISt17integral_constantIbLb0EESX_IbLb1EEEEDaST_SU_EUlST_E_NS1_11comp_targetILNS1_3genE8ELNS1_11target_archE1030ELNS1_3gpuE2ELNS1_3repE0EEENS1_30default_config_static_selectorELNS0_4arch9wavefront6targetE1EEEvT1_
	.globl	_ZN7rocprim17ROCPRIM_400000_NS6detail17trampoline_kernelINS0_14default_configENS1_27scan_by_key_config_selectorIiiEEZZNS1_16scan_by_key_implILNS1_25lookback_scan_determinismE0ELb0ES3_N6thrust23THRUST_200600_302600_NS6detail15normal_iteratorINS9_10device_ptrIiEEEESE_SE_iNS9_4plusIiEE19head_flag_predicateiEE10hipError_tPvRmT2_T3_T4_T5_mT6_T7_P12ihipStream_tbENKUlT_T0_E_clISt17integral_constantIbLb0EESX_IbLb1EEEEDaST_SU_EUlST_E_NS1_11comp_targetILNS1_3genE8ELNS1_11target_archE1030ELNS1_3gpuE2ELNS1_3repE0EEENS1_30default_config_static_selectorELNS0_4arch9wavefront6targetE1EEEvT1_
	.p2align	8
	.type	_ZN7rocprim17ROCPRIM_400000_NS6detail17trampoline_kernelINS0_14default_configENS1_27scan_by_key_config_selectorIiiEEZZNS1_16scan_by_key_implILNS1_25lookback_scan_determinismE0ELb0ES3_N6thrust23THRUST_200600_302600_NS6detail15normal_iteratorINS9_10device_ptrIiEEEESE_SE_iNS9_4plusIiEE19head_flag_predicateiEE10hipError_tPvRmT2_T3_T4_T5_mT6_T7_P12ihipStream_tbENKUlT_T0_E_clISt17integral_constantIbLb0EESX_IbLb1EEEEDaST_SU_EUlST_E_NS1_11comp_targetILNS1_3genE8ELNS1_11target_archE1030ELNS1_3gpuE2ELNS1_3repE0EEENS1_30default_config_static_selectorELNS0_4arch9wavefront6targetE1EEEvT1_,@function
_ZN7rocprim17ROCPRIM_400000_NS6detail17trampoline_kernelINS0_14default_configENS1_27scan_by_key_config_selectorIiiEEZZNS1_16scan_by_key_implILNS1_25lookback_scan_determinismE0ELb0ES3_N6thrust23THRUST_200600_302600_NS6detail15normal_iteratorINS9_10device_ptrIiEEEESE_SE_iNS9_4plusIiEE19head_flag_predicateiEE10hipError_tPvRmT2_T3_T4_T5_mT6_T7_P12ihipStream_tbENKUlT_T0_E_clISt17integral_constantIbLb0EESX_IbLb1EEEEDaST_SU_EUlST_E_NS1_11comp_targetILNS1_3genE8ELNS1_11target_archE1030ELNS1_3gpuE2ELNS1_3repE0EEENS1_30default_config_static_selectorELNS0_4arch9wavefront6targetE1EEEvT1_: ; @_ZN7rocprim17ROCPRIM_400000_NS6detail17trampoline_kernelINS0_14default_configENS1_27scan_by_key_config_selectorIiiEEZZNS1_16scan_by_key_implILNS1_25lookback_scan_determinismE0ELb0ES3_N6thrust23THRUST_200600_302600_NS6detail15normal_iteratorINS9_10device_ptrIiEEEESE_SE_iNS9_4plusIiEE19head_flag_predicateiEE10hipError_tPvRmT2_T3_T4_T5_mT6_T7_P12ihipStream_tbENKUlT_T0_E_clISt17integral_constantIbLb0EESX_IbLb1EEEEDaST_SU_EUlST_E_NS1_11comp_targetILNS1_3genE8ELNS1_11target_archE1030ELNS1_3gpuE2ELNS1_3repE0EEENS1_30default_config_static_selectorELNS0_4arch9wavefront6targetE1EEEvT1_
; %bb.0:
	.section	.rodata,"a",@progbits
	.p2align	6, 0x0
	.amdhsa_kernel _ZN7rocprim17ROCPRIM_400000_NS6detail17trampoline_kernelINS0_14default_configENS1_27scan_by_key_config_selectorIiiEEZZNS1_16scan_by_key_implILNS1_25lookback_scan_determinismE0ELb0ES3_N6thrust23THRUST_200600_302600_NS6detail15normal_iteratorINS9_10device_ptrIiEEEESE_SE_iNS9_4plusIiEE19head_flag_predicateiEE10hipError_tPvRmT2_T3_T4_T5_mT6_T7_P12ihipStream_tbENKUlT_T0_E_clISt17integral_constantIbLb0EESX_IbLb1EEEEDaST_SU_EUlST_E_NS1_11comp_targetILNS1_3genE8ELNS1_11target_archE1030ELNS1_3gpuE2ELNS1_3repE0EEENS1_30default_config_static_selectorELNS0_4arch9wavefront6targetE1EEEvT1_
		.amdhsa_group_segment_fixed_size 0
		.amdhsa_private_segment_fixed_size 0
		.amdhsa_kernarg_size 112
		.amdhsa_user_sgpr_count 2
		.amdhsa_user_sgpr_dispatch_ptr 0
		.amdhsa_user_sgpr_queue_ptr 0
		.amdhsa_user_sgpr_kernarg_segment_ptr 1
		.amdhsa_user_sgpr_dispatch_id 0
		.amdhsa_user_sgpr_kernarg_preload_length 0
		.amdhsa_user_sgpr_kernarg_preload_offset 0
		.amdhsa_user_sgpr_private_segment_size 0
		.amdhsa_uses_dynamic_stack 0
		.amdhsa_enable_private_segment 0
		.amdhsa_system_sgpr_workgroup_id_x 1
		.amdhsa_system_sgpr_workgroup_id_y 0
		.amdhsa_system_sgpr_workgroup_id_z 0
		.amdhsa_system_sgpr_workgroup_info 0
		.amdhsa_system_vgpr_workitem_id 0
		.amdhsa_next_free_vgpr 1
		.amdhsa_next_free_sgpr 0
		.amdhsa_accum_offset 4
		.amdhsa_reserve_vcc 0
		.amdhsa_float_round_mode_32 0
		.amdhsa_float_round_mode_16_64 0
		.amdhsa_float_denorm_mode_32 3
		.amdhsa_float_denorm_mode_16_64 3
		.amdhsa_dx10_clamp 1
		.amdhsa_ieee_mode 1
		.amdhsa_fp16_overflow 0
		.amdhsa_tg_split 0
		.amdhsa_exception_fp_ieee_invalid_op 0
		.amdhsa_exception_fp_denorm_src 0
		.amdhsa_exception_fp_ieee_div_zero 0
		.amdhsa_exception_fp_ieee_overflow 0
		.amdhsa_exception_fp_ieee_underflow 0
		.amdhsa_exception_fp_ieee_inexact 0
		.amdhsa_exception_int_div_zero 0
	.end_amdhsa_kernel
	.section	.text._ZN7rocprim17ROCPRIM_400000_NS6detail17trampoline_kernelINS0_14default_configENS1_27scan_by_key_config_selectorIiiEEZZNS1_16scan_by_key_implILNS1_25lookback_scan_determinismE0ELb0ES3_N6thrust23THRUST_200600_302600_NS6detail15normal_iteratorINS9_10device_ptrIiEEEESE_SE_iNS9_4plusIiEE19head_flag_predicateiEE10hipError_tPvRmT2_T3_T4_T5_mT6_T7_P12ihipStream_tbENKUlT_T0_E_clISt17integral_constantIbLb0EESX_IbLb1EEEEDaST_SU_EUlST_E_NS1_11comp_targetILNS1_3genE8ELNS1_11target_archE1030ELNS1_3gpuE2ELNS1_3repE0EEENS1_30default_config_static_selectorELNS0_4arch9wavefront6targetE1EEEvT1_,"axG",@progbits,_ZN7rocprim17ROCPRIM_400000_NS6detail17trampoline_kernelINS0_14default_configENS1_27scan_by_key_config_selectorIiiEEZZNS1_16scan_by_key_implILNS1_25lookback_scan_determinismE0ELb0ES3_N6thrust23THRUST_200600_302600_NS6detail15normal_iteratorINS9_10device_ptrIiEEEESE_SE_iNS9_4plusIiEE19head_flag_predicateiEE10hipError_tPvRmT2_T3_T4_T5_mT6_T7_P12ihipStream_tbENKUlT_T0_E_clISt17integral_constantIbLb0EESX_IbLb1EEEEDaST_SU_EUlST_E_NS1_11comp_targetILNS1_3genE8ELNS1_11target_archE1030ELNS1_3gpuE2ELNS1_3repE0EEENS1_30default_config_static_selectorELNS0_4arch9wavefront6targetE1EEEvT1_,comdat
.Lfunc_end784:
	.size	_ZN7rocprim17ROCPRIM_400000_NS6detail17trampoline_kernelINS0_14default_configENS1_27scan_by_key_config_selectorIiiEEZZNS1_16scan_by_key_implILNS1_25lookback_scan_determinismE0ELb0ES3_N6thrust23THRUST_200600_302600_NS6detail15normal_iteratorINS9_10device_ptrIiEEEESE_SE_iNS9_4plusIiEE19head_flag_predicateiEE10hipError_tPvRmT2_T3_T4_T5_mT6_T7_P12ihipStream_tbENKUlT_T0_E_clISt17integral_constantIbLb0EESX_IbLb1EEEEDaST_SU_EUlST_E_NS1_11comp_targetILNS1_3genE8ELNS1_11target_archE1030ELNS1_3gpuE2ELNS1_3repE0EEENS1_30default_config_static_selectorELNS0_4arch9wavefront6targetE1EEEvT1_, .Lfunc_end784-_ZN7rocprim17ROCPRIM_400000_NS6detail17trampoline_kernelINS0_14default_configENS1_27scan_by_key_config_selectorIiiEEZZNS1_16scan_by_key_implILNS1_25lookback_scan_determinismE0ELb0ES3_N6thrust23THRUST_200600_302600_NS6detail15normal_iteratorINS9_10device_ptrIiEEEESE_SE_iNS9_4plusIiEE19head_flag_predicateiEE10hipError_tPvRmT2_T3_T4_T5_mT6_T7_P12ihipStream_tbENKUlT_T0_E_clISt17integral_constantIbLb0EESX_IbLb1EEEEDaST_SU_EUlST_E_NS1_11comp_targetILNS1_3genE8ELNS1_11target_archE1030ELNS1_3gpuE2ELNS1_3repE0EEENS1_30default_config_static_selectorELNS0_4arch9wavefront6targetE1EEEvT1_
                                        ; -- End function
	.section	.AMDGPU.csdata,"",@progbits
; Kernel info:
; codeLenInByte = 0
; NumSgprs: 6
; NumVgprs: 0
; NumAgprs: 0
; TotalNumVgprs: 0
; ScratchSize: 0
; MemoryBound: 0
; FloatMode: 240
; IeeeMode: 1
; LDSByteSize: 0 bytes/workgroup (compile time only)
; SGPRBlocks: 0
; VGPRBlocks: 0
; NumSGPRsForWavesPerEU: 6
; NumVGPRsForWavesPerEU: 1
; AccumOffset: 4
; Occupancy: 8
; WaveLimiterHint : 0
; COMPUTE_PGM_RSRC2:SCRATCH_EN: 0
; COMPUTE_PGM_RSRC2:USER_SGPR: 2
; COMPUTE_PGM_RSRC2:TRAP_HANDLER: 0
; COMPUTE_PGM_RSRC2:TGID_X_EN: 1
; COMPUTE_PGM_RSRC2:TGID_Y_EN: 0
; COMPUTE_PGM_RSRC2:TGID_Z_EN: 0
; COMPUTE_PGM_RSRC2:TIDIG_COMP_CNT: 0
; COMPUTE_PGM_RSRC3_GFX90A:ACCUM_OFFSET: 0
; COMPUTE_PGM_RSRC3_GFX90A:TG_SPLIT: 0
	.section	.text._ZN7rocprim17ROCPRIM_400000_NS6detail17trampoline_kernelINS0_14default_configENS1_27scan_by_key_config_selectorIiiEEZZNS1_16scan_by_key_implILNS1_25lookback_scan_determinismE0ELb1ES3_N6thrust23THRUST_200600_302600_NS6detail15normal_iteratorINS9_10device_ptrIiEEEESE_SE_iNS9_4plusIiEE19head_flag_predicateiEE10hipError_tPvRmT2_T3_T4_T5_mT6_T7_P12ihipStream_tbENKUlT_T0_E_clISt17integral_constantIbLb0EESY_EEDaST_SU_EUlST_E_NS1_11comp_targetILNS1_3genE0ELNS1_11target_archE4294967295ELNS1_3gpuE0ELNS1_3repE0EEENS1_30default_config_static_selectorELNS0_4arch9wavefront6targetE1EEEvT1_,"axG",@progbits,_ZN7rocprim17ROCPRIM_400000_NS6detail17trampoline_kernelINS0_14default_configENS1_27scan_by_key_config_selectorIiiEEZZNS1_16scan_by_key_implILNS1_25lookback_scan_determinismE0ELb1ES3_N6thrust23THRUST_200600_302600_NS6detail15normal_iteratorINS9_10device_ptrIiEEEESE_SE_iNS9_4plusIiEE19head_flag_predicateiEE10hipError_tPvRmT2_T3_T4_T5_mT6_T7_P12ihipStream_tbENKUlT_T0_E_clISt17integral_constantIbLb0EESY_EEDaST_SU_EUlST_E_NS1_11comp_targetILNS1_3genE0ELNS1_11target_archE4294967295ELNS1_3gpuE0ELNS1_3repE0EEENS1_30default_config_static_selectorELNS0_4arch9wavefront6targetE1EEEvT1_,comdat
	.protected	_ZN7rocprim17ROCPRIM_400000_NS6detail17trampoline_kernelINS0_14default_configENS1_27scan_by_key_config_selectorIiiEEZZNS1_16scan_by_key_implILNS1_25lookback_scan_determinismE0ELb1ES3_N6thrust23THRUST_200600_302600_NS6detail15normal_iteratorINS9_10device_ptrIiEEEESE_SE_iNS9_4plusIiEE19head_flag_predicateiEE10hipError_tPvRmT2_T3_T4_T5_mT6_T7_P12ihipStream_tbENKUlT_T0_E_clISt17integral_constantIbLb0EESY_EEDaST_SU_EUlST_E_NS1_11comp_targetILNS1_3genE0ELNS1_11target_archE4294967295ELNS1_3gpuE0ELNS1_3repE0EEENS1_30default_config_static_selectorELNS0_4arch9wavefront6targetE1EEEvT1_ ; -- Begin function _ZN7rocprim17ROCPRIM_400000_NS6detail17trampoline_kernelINS0_14default_configENS1_27scan_by_key_config_selectorIiiEEZZNS1_16scan_by_key_implILNS1_25lookback_scan_determinismE0ELb1ES3_N6thrust23THRUST_200600_302600_NS6detail15normal_iteratorINS9_10device_ptrIiEEEESE_SE_iNS9_4plusIiEE19head_flag_predicateiEE10hipError_tPvRmT2_T3_T4_T5_mT6_T7_P12ihipStream_tbENKUlT_T0_E_clISt17integral_constantIbLb0EESY_EEDaST_SU_EUlST_E_NS1_11comp_targetILNS1_3genE0ELNS1_11target_archE4294967295ELNS1_3gpuE0ELNS1_3repE0EEENS1_30default_config_static_selectorELNS0_4arch9wavefront6targetE1EEEvT1_
	.globl	_ZN7rocprim17ROCPRIM_400000_NS6detail17trampoline_kernelINS0_14default_configENS1_27scan_by_key_config_selectorIiiEEZZNS1_16scan_by_key_implILNS1_25lookback_scan_determinismE0ELb1ES3_N6thrust23THRUST_200600_302600_NS6detail15normal_iteratorINS9_10device_ptrIiEEEESE_SE_iNS9_4plusIiEE19head_flag_predicateiEE10hipError_tPvRmT2_T3_T4_T5_mT6_T7_P12ihipStream_tbENKUlT_T0_E_clISt17integral_constantIbLb0EESY_EEDaST_SU_EUlST_E_NS1_11comp_targetILNS1_3genE0ELNS1_11target_archE4294967295ELNS1_3gpuE0ELNS1_3repE0EEENS1_30default_config_static_selectorELNS0_4arch9wavefront6targetE1EEEvT1_
	.p2align	8
	.type	_ZN7rocprim17ROCPRIM_400000_NS6detail17trampoline_kernelINS0_14default_configENS1_27scan_by_key_config_selectorIiiEEZZNS1_16scan_by_key_implILNS1_25lookback_scan_determinismE0ELb1ES3_N6thrust23THRUST_200600_302600_NS6detail15normal_iteratorINS9_10device_ptrIiEEEESE_SE_iNS9_4plusIiEE19head_flag_predicateiEE10hipError_tPvRmT2_T3_T4_T5_mT6_T7_P12ihipStream_tbENKUlT_T0_E_clISt17integral_constantIbLb0EESY_EEDaST_SU_EUlST_E_NS1_11comp_targetILNS1_3genE0ELNS1_11target_archE4294967295ELNS1_3gpuE0ELNS1_3repE0EEENS1_30default_config_static_selectorELNS0_4arch9wavefront6targetE1EEEvT1_,@function
_ZN7rocprim17ROCPRIM_400000_NS6detail17trampoline_kernelINS0_14default_configENS1_27scan_by_key_config_selectorIiiEEZZNS1_16scan_by_key_implILNS1_25lookback_scan_determinismE0ELb1ES3_N6thrust23THRUST_200600_302600_NS6detail15normal_iteratorINS9_10device_ptrIiEEEESE_SE_iNS9_4plusIiEE19head_flag_predicateiEE10hipError_tPvRmT2_T3_T4_T5_mT6_T7_P12ihipStream_tbENKUlT_T0_E_clISt17integral_constantIbLb0EESY_EEDaST_SU_EUlST_E_NS1_11comp_targetILNS1_3genE0ELNS1_11target_archE4294967295ELNS1_3gpuE0ELNS1_3repE0EEENS1_30default_config_static_selectorELNS0_4arch9wavefront6targetE1EEEvT1_: ; @_ZN7rocprim17ROCPRIM_400000_NS6detail17trampoline_kernelINS0_14default_configENS1_27scan_by_key_config_selectorIiiEEZZNS1_16scan_by_key_implILNS1_25lookback_scan_determinismE0ELb1ES3_N6thrust23THRUST_200600_302600_NS6detail15normal_iteratorINS9_10device_ptrIiEEEESE_SE_iNS9_4plusIiEE19head_flag_predicateiEE10hipError_tPvRmT2_T3_T4_T5_mT6_T7_P12ihipStream_tbENKUlT_T0_E_clISt17integral_constantIbLb0EESY_EEDaST_SU_EUlST_E_NS1_11comp_targetILNS1_3genE0ELNS1_11target_archE4294967295ELNS1_3gpuE0ELNS1_3repE0EEENS1_30default_config_static_selectorELNS0_4arch9wavefront6targetE1EEEvT1_
; %bb.0:
	.section	.rodata,"a",@progbits
	.p2align	6, 0x0
	.amdhsa_kernel _ZN7rocprim17ROCPRIM_400000_NS6detail17trampoline_kernelINS0_14default_configENS1_27scan_by_key_config_selectorIiiEEZZNS1_16scan_by_key_implILNS1_25lookback_scan_determinismE0ELb1ES3_N6thrust23THRUST_200600_302600_NS6detail15normal_iteratorINS9_10device_ptrIiEEEESE_SE_iNS9_4plusIiEE19head_flag_predicateiEE10hipError_tPvRmT2_T3_T4_T5_mT6_T7_P12ihipStream_tbENKUlT_T0_E_clISt17integral_constantIbLb0EESY_EEDaST_SU_EUlST_E_NS1_11comp_targetILNS1_3genE0ELNS1_11target_archE4294967295ELNS1_3gpuE0ELNS1_3repE0EEENS1_30default_config_static_selectorELNS0_4arch9wavefront6targetE1EEEvT1_
		.amdhsa_group_segment_fixed_size 0
		.amdhsa_private_segment_fixed_size 0
		.amdhsa_kernarg_size 112
		.amdhsa_user_sgpr_count 2
		.amdhsa_user_sgpr_dispatch_ptr 0
		.amdhsa_user_sgpr_queue_ptr 0
		.amdhsa_user_sgpr_kernarg_segment_ptr 1
		.amdhsa_user_sgpr_dispatch_id 0
		.amdhsa_user_sgpr_kernarg_preload_length 0
		.amdhsa_user_sgpr_kernarg_preload_offset 0
		.amdhsa_user_sgpr_private_segment_size 0
		.amdhsa_uses_dynamic_stack 0
		.amdhsa_enable_private_segment 0
		.amdhsa_system_sgpr_workgroup_id_x 1
		.amdhsa_system_sgpr_workgroup_id_y 0
		.amdhsa_system_sgpr_workgroup_id_z 0
		.amdhsa_system_sgpr_workgroup_info 0
		.amdhsa_system_vgpr_workitem_id 0
		.amdhsa_next_free_vgpr 1
		.amdhsa_next_free_sgpr 0
		.amdhsa_accum_offset 4
		.amdhsa_reserve_vcc 0
		.amdhsa_float_round_mode_32 0
		.amdhsa_float_round_mode_16_64 0
		.amdhsa_float_denorm_mode_32 3
		.amdhsa_float_denorm_mode_16_64 3
		.amdhsa_dx10_clamp 1
		.amdhsa_ieee_mode 1
		.amdhsa_fp16_overflow 0
		.amdhsa_tg_split 0
		.amdhsa_exception_fp_ieee_invalid_op 0
		.amdhsa_exception_fp_denorm_src 0
		.amdhsa_exception_fp_ieee_div_zero 0
		.amdhsa_exception_fp_ieee_overflow 0
		.amdhsa_exception_fp_ieee_underflow 0
		.amdhsa_exception_fp_ieee_inexact 0
		.amdhsa_exception_int_div_zero 0
	.end_amdhsa_kernel
	.section	.text._ZN7rocprim17ROCPRIM_400000_NS6detail17trampoline_kernelINS0_14default_configENS1_27scan_by_key_config_selectorIiiEEZZNS1_16scan_by_key_implILNS1_25lookback_scan_determinismE0ELb1ES3_N6thrust23THRUST_200600_302600_NS6detail15normal_iteratorINS9_10device_ptrIiEEEESE_SE_iNS9_4plusIiEE19head_flag_predicateiEE10hipError_tPvRmT2_T3_T4_T5_mT6_T7_P12ihipStream_tbENKUlT_T0_E_clISt17integral_constantIbLb0EESY_EEDaST_SU_EUlST_E_NS1_11comp_targetILNS1_3genE0ELNS1_11target_archE4294967295ELNS1_3gpuE0ELNS1_3repE0EEENS1_30default_config_static_selectorELNS0_4arch9wavefront6targetE1EEEvT1_,"axG",@progbits,_ZN7rocprim17ROCPRIM_400000_NS6detail17trampoline_kernelINS0_14default_configENS1_27scan_by_key_config_selectorIiiEEZZNS1_16scan_by_key_implILNS1_25lookback_scan_determinismE0ELb1ES3_N6thrust23THRUST_200600_302600_NS6detail15normal_iteratorINS9_10device_ptrIiEEEESE_SE_iNS9_4plusIiEE19head_flag_predicateiEE10hipError_tPvRmT2_T3_T4_T5_mT6_T7_P12ihipStream_tbENKUlT_T0_E_clISt17integral_constantIbLb0EESY_EEDaST_SU_EUlST_E_NS1_11comp_targetILNS1_3genE0ELNS1_11target_archE4294967295ELNS1_3gpuE0ELNS1_3repE0EEENS1_30default_config_static_selectorELNS0_4arch9wavefront6targetE1EEEvT1_,comdat
.Lfunc_end785:
	.size	_ZN7rocprim17ROCPRIM_400000_NS6detail17trampoline_kernelINS0_14default_configENS1_27scan_by_key_config_selectorIiiEEZZNS1_16scan_by_key_implILNS1_25lookback_scan_determinismE0ELb1ES3_N6thrust23THRUST_200600_302600_NS6detail15normal_iteratorINS9_10device_ptrIiEEEESE_SE_iNS9_4plusIiEE19head_flag_predicateiEE10hipError_tPvRmT2_T3_T4_T5_mT6_T7_P12ihipStream_tbENKUlT_T0_E_clISt17integral_constantIbLb0EESY_EEDaST_SU_EUlST_E_NS1_11comp_targetILNS1_3genE0ELNS1_11target_archE4294967295ELNS1_3gpuE0ELNS1_3repE0EEENS1_30default_config_static_selectorELNS0_4arch9wavefront6targetE1EEEvT1_, .Lfunc_end785-_ZN7rocprim17ROCPRIM_400000_NS6detail17trampoline_kernelINS0_14default_configENS1_27scan_by_key_config_selectorIiiEEZZNS1_16scan_by_key_implILNS1_25lookback_scan_determinismE0ELb1ES3_N6thrust23THRUST_200600_302600_NS6detail15normal_iteratorINS9_10device_ptrIiEEEESE_SE_iNS9_4plusIiEE19head_flag_predicateiEE10hipError_tPvRmT2_T3_T4_T5_mT6_T7_P12ihipStream_tbENKUlT_T0_E_clISt17integral_constantIbLb0EESY_EEDaST_SU_EUlST_E_NS1_11comp_targetILNS1_3genE0ELNS1_11target_archE4294967295ELNS1_3gpuE0ELNS1_3repE0EEENS1_30default_config_static_selectorELNS0_4arch9wavefront6targetE1EEEvT1_
                                        ; -- End function
	.section	.AMDGPU.csdata,"",@progbits
; Kernel info:
; codeLenInByte = 0
; NumSgprs: 6
; NumVgprs: 0
; NumAgprs: 0
; TotalNumVgprs: 0
; ScratchSize: 0
; MemoryBound: 0
; FloatMode: 240
; IeeeMode: 1
; LDSByteSize: 0 bytes/workgroup (compile time only)
; SGPRBlocks: 0
; VGPRBlocks: 0
; NumSGPRsForWavesPerEU: 6
; NumVGPRsForWavesPerEU: 1
; AccumOffset: 4
; Occupancy: 8
; WaveLimiterHint : 0
; COMPUTE_PGM_RSRC2:SCRATCH_EN: 0
; COMPUTE_PGM_RSRC2:USER_SGPR: 2
; COMPUTE_PGM_RSRC2:TRAP_HANDLER: 0
; COMPUTE_PGM_RSRC2:TGID_X_EN: 1
; COMPUTE_PGM_RSRC2:TGID_Y_EN: 0
; COMPUTE_PGM_RSRC2:TGID_Z_EN: 0
; COMPUTE_PGM_RSRC2:TIDIG_COMP_CNT: 0
; COMPUTE_PGM_RSRC3_GFX90A:ACCUM_OFFSET: 0
; COMPUTE_PGM_RSRC3_GFX90A:TG_SPLIT: 0
	.section	.text._ZN7rocprim17ROCPRIM_400000_NS6detail17trampoline_kernelINS0_14default_configENS1_27scan_by_key_config_selectorIiiEEZZNS1_16scan_by_key_implILNS1_25lookback_scan_determinismE0ELb1ES3_N6thrust23THRUST_200600_302600_NS6detail15normal_iteratorINS9_10device_ptrIiEEEESE_SE_iNS9_4plusIiEE19head_flag_predicateiEE10hipError_tPvRmT2_T3_T4_T5_mT6_T7_P12ihipStream_tbENKUlT_T0_E_clISt17integral_constantIbLb0EESY_EEDaST_SU_EUlST_E_NS1_11comp_targetILNS1_3genE10ELNS1_11target_archE1201ELNS1_3gpuE5ELNS1_3repE0EEENS1_30default_config_static_selectorELNS0_4arch9wavefront6targetE1EEEvT1_,"axG",@progbits,_ZN7rocprim17ROCPRIM_400000_NS6detail17trampoline_kernelINS0_14default_configENS1_27scan_by_key_config_selectorIiiEEZZNS1_16scan_by_key_implILNS1_25lookback_scan_determinismE0ELb1ES3_N6thrust23THRUST_200600_302600_NS6detail15normal_iteratorINS9_10device_ptrIiEEEESE_SE_iNS9_4plusIiEE19head_flag_predicateiEE10hipError_tPvRmT2_T3_T4_T5_mT6_T7_P12ihipStream_tbENKUlT_T0_E_clISt17integral_constantIbLb0EESY_EEDaST_SU_EUlST_E_NS1_11comp_targetILNS1_3genE10ELNS1_11target_archE1201ELNS1_3gpuE5ELNS1_3repE0EEENS1_30default_config_static_selectorELNS0_4arch9wavefront6targetE1EEEvT1_,comdat
	.protected	_ZN7rocprim17ROCPRIM_400000_NS6detail17trampoline_kernelINS0_14default_configENS1_27scan_by_key_config_selectorIiiEEZZNS1_16scan_by_key_implILNS1_25lookback_scan_determinismE0ELb1ES3_N6thrust23THRUST_200600_302600_NS6detail15normal_iteratorINS9_10device_ptrIiEEEESE_SE_iNS9_4plusIiEE19head_flag_predicateiEE10hipError_tPvRmT2_T3_T4_T5_mT6_T7_P12ihipStream_tbENKUlT_T0_E_clISt17integral_constantIbLb0EESY_EEDaST_SU_EUlST_E_NS1_11comp_targetILNS1_3genE10ELNS1_11target_archE1201ELNS1_3gpuE5ELNS1_3repE0EEENS1_30default_config_static_selectorELNS0_4arch9wavefront6targetE1EEEvT1_ ; -- Begin function _ZN7rocprim17ROCPRIM_400000_NS6detail17trampoline_kernelINS0_14default_configENS1_27scan_by_key_config_selectorIiiEEZZNS1_16scan_by_key_implILNS1_25lookback_scan_determinismE0ELb1ES3_N6thrust23THRUST_200600_302600_NS6detail15normal_iteratorINS9_10device_ptrIiEEEESE_SE_iNS9_4plusIiEE19head_flag_predicateiEE10hipError_tPvRmT2_T3_T4_T5_mT6_T7_P12ihipStream_tbENKUlT_T0_E_clISt17integral_constantIbLb0EESY_EEDaST_SU_EUlST_E_NS1_11comp_targetILNS1_3genE10ELNS1_11target_archE1201ELNS1_3gpuE5ELNS1_3repE0EEENS1_30default_config_static_selectorELNS0_4arch9wavefront6targetE1EEEvT1_
	.globl	_ZN7rocprim17ROCPRIM_400000_NS6detail17trampoline_kernelINS0_14default_configENS1_27scan_by_key_config_selectorIiiEEZZNS1_16scan_by_key_implILNS1_25lookback_scan_determinismE0ELb1ES3_N6thrust23THRUST_200600_302600_NS6detail15normal_iteratorINS9_10device_ptrIiEEEESE_SE_iNS9_4plusIiEE19head_flag_predicateiEE10hipError_tPvRmT2_T3_T4_T5_mT6_T7_P12ihipStream_tbENKUlT_T0_E_clISt17integral_constantIbLb0EESY_EEDaST_SU_EUlST_E_NS1_11comp_targetILNS1_3genE10ELNS1_11target_archE1201ELNS1_3gpuE5ELNS1_3repE0EEENS1_30default_config_static_selectorELNS0_4arch9wavefront6targetE1EEEvT1_
	.p2align	8
	.type	_ZN7rocprim17ROCPRIM_400000_NS6detail17trampoline_kernelINS0_14default_configENS1_27scan_by_key_config_selectorIiiEEZZNS1_16scan_by_key_implILNS1_25lookback_scan_determinismE0ELb1ES3_N6thrust23THRUST_200600_302600_NS6detail15normal_iteratorINS9_10device_ptrIiEEEESE_SE_iNS9_4plusIiEE19head_flag_predicateiEE10hipError_tPvRmT2_T3_T4_T5_mT6_T7_P12ihipStream_tbENKUlT_T0_E_clISt17integral_constantIbLb0EESY_EEDaST_SU_EUlST_E_NS1_11comp_targetILNS1_3genE10ELNS1_11target_archE1201ELNS1_3gpuE5ELNS1_3repE0EEENS1_30default_config_static_selectorELNS0_4arch9wavefront6targetE1EEEvT1_,@function
_ZN7rocprim17ROCPRIM_400000_NS6detail17trampoline_kernelINS0_14default_configENS1_27scan_by_key_config_selectorIiiEEZZNS1_16scan_by_key_implILNS1_25lookback_scan_determinismE0ELb1ES3_N6thrust23THRUST_200600_302600_NS6detail15normal_iteratorINS9_10device_ptrIiEEEESE_SE_iNS9_4plusIiEE19head_flag_predicateiEE10hipError_tPvRmT2_T3_T4_T5_mT6_T7_P12ihipStream_tbENKUlT_T0_E_clISt17integral_constantIbLb0EESY_EEDaST_SU_EUlST_E_NS1_11comp_targetILNS1_3genE10ELNS1_11target_archE1201ELNS1_3gpuE5ELNS1_3repE0EEENS1_30default_config_static_selectorELNS0_4arch9wavefront6targetE1EEEvT1_: ; @_ZN7rocprim17ROCPRIM_400000_NS6detail17trampoline_kernelINS0_14default_configENS1_27scan_by_key_config_selectorIiiEEZZNS1_16scan_by_key_implILNS1_25lookback_scan_determinismE0ELb1ES3_N6thrust23THRUST_200600_302600_NS6detail15normal_iteratorINS9_10device_ptrIiEEEESE_SE_iNS9_4plusIiEE19head_flag_predicateiEE10hipError_tPvRmT2_T3_T4_T5_mT6_T7_P12ihipStream_tbENKUlT_T0_E_clISt17integral_constantIbLb0EESY_EEDaST_SU_EUlST_E_NS1_11comp_targetILNS1_3genE10ELNS1_11target_archE1201ELNS1_3gpuE5ELNS1_3repE0EEENS1_30default_config_static_selectorELNS0_4arch9wavefront6targetE1EEEvT1_
; %bb.0:
	.section	.rodata,"a",@progbits
	.p2align	6, 0x0
	.amdhsa_kernel _ZN7rocprim17ROCPRIM_400000_NS6detail17trampoline_kernelINS0_14default_configENS1_27scan_by_key_config_selectorIiiEEZZNS1_16scan_by_key_implILNS1_25lookback_scan_determinismE0ELb1ES3_N6thrust23THRUST_200600_302600_NS6detail15normal_iteratorINS9_10device_ptrIiEEEESE_SE_iNS9_4plusIiEE19head_flag_predicateiEE10hipError_tPvRmT2_T3_T4_T5_mT6_T7_P12ihipStream_tbENKUlT_T0_E_clISt17integral_constantIbLb0EESY_EEDaST_SU_EUlST_E_NS1_11comp_targetILNS1_3genE10ELNS1_11target_archE1201ELNS1_3gpuE5ELNS1_3repE0EEENS1_30default_config_static_selectorELNS0_4arch9wavefront6targetE1EEEvT1_
		.amdhsa_group_segment_fixed_size 0
		.amdhsa_private_segment_fixed_size 0
		.amdhsa_kernarg_size 112
		.amdhsa_user_sgpr_count 2
		.amdhsa_user_sgpr_dispatch_ptr 0
		.amdhsa_user_sgpr_queue_ptr 0
		.amdhsa_user_sgpr_kernarg_segment_ptr 1
		.amdhsa_user_sgpr_dispatch_id 0
		.amdhsa_user_sgpr_kernarg_preload_length 0
		.amdhsa_user_sgpr_kernarg_preload_offset 0
		.amdhsa_user_sgpr_private_segment_size 0
		.amdhsa_uses_dynamic_stack 0
		.amdhsa_enable_private_segment 0
		.amdhsa_system_sgpr_workgroup_id_x 1
		.amdhsa_system_sgpr_workgroup_id_y 0
		.amdhsa_system_sgpr_workgroup_id_z 0
		.amdhsa_system_sgpr_workgroup_info 0
		.amdhsa_system_vgpr_workitem_id 0
		.amdhsa_next_free_vgpr 1
		.amdhsa_next_free_sgpr 0
		.amdhsa_accum_offset 4
		.amdhsa_reserve_vcc 0
		.amdhsa_float_round_mode_32 0
		.amdhsa_float_round_mode_16_64 0
		.amdhsa_float_denorm_mode_32 3
		.amdhsa_float_denorm_mode_16_64 3
		.amdhsa_dx10_clamp 1
		.amdhsa_ieee_mode 1
		.amdhsa_fp16_overflow 0
		.amdhsa_tg_split 0
		.amdhsa_exception_fp_ieee_invalid_op 0
		.amdhsa_exception_fp_denorm_src 0
		.amdhsa_exception_fp_ieee_div_zero 0
		.amdhsa_exception_fp_ieee_overflow 0
		.amdhsa_exception_fp_ieee_underflow 0
		.amdhsa_exception_fp_ieee_inexact 0
		.amdhsa_exception_int_div_zero 0
	.end_amdhsa_kernel
	.section	.text._ZN7rocprim17ROCPRIM_400000_NS6detail17trampoline_kernelINS0_14default_configENS1_27scan_by_key_config_selectorIiiEEZZNS1_16scan_by_key_implILNS1_25lookback_scan_determinismE0ELb1ES3_N6thrust23THRUST_200600_302600_NS6detail15normal_iteratorINS9_10device_ptrIiEEEESE_SE_iNS9_4plusIiEE19head_flag_predicateiEE10hipError_tPvRmT2_T3_T4_T5_mT6_T7_P12ihipStream_tbENKUlT_T0_E_clISt17integral_constantIbLb0EESY_EEDaST_SU_EUlST_E_NS1_11comp_targetILNS1_3genE10ELNS1_11target_archE1201ELNS1_3gpuE5ELNS1_3repE0EEENS1_30default_config_static_selectorELNS0_4arch9wavefront6targetE1EEEvT1_,"axG",@progbits,_ZN7rocprim17ROCPRIM_400000_NS6detail17trampoline_kernelINS0_14default_configENS1_27scan_by_key_config_selectorIiiEEZZNS1_16scan_by_key_implILNS1_25lookback_scan_determinismE0ELb1ES3_N6thrust23THRUST_200600_302600_NS6detail15normal_iteratorINS9_10device_ptrIiEEEESE_SE_iNS9_4plusIiEE19head_flag_predicateiEE10hipError_tPvRmT2_T3_T4_T5_mT6_T7_P12ihipStream_tbENKUlT_T0_E_clISt17integral_constantIbLb0EESY_EEDaST_SU_EUlST_E_NS1_11comp_targetILNS1_3genE10ELNS1_11target_archE1201ELNS1_3gpuE5ELNS1_3repE0EEENS1_30default_config_static_selectorELNS0_4arch9wavefront6targetE1EEEvT1_,comdat
.Lfunc_end786:
	.size	_ZN7rocprim17ROCPRIM_400000_NS6detail17trampoline_kernelINS0_14default_configENS1_27scan_by_key_config_selectorIiiEEZZNS1_16scan_by_key_implILNS1_25lookback_scan_determinismE0ELb1ES3_N6thrust23THRUST_200600_302600_NS6detail15normal_iteratorINS9_10device_ptrIiEEEESE_SE_iNS9_4plusIiEE19head_flag_predicateiEE10hipError_tPvRmT2_T3_T4_T5_mT6_T7_P12ihipStream_tbENKUlT_T0_E_clISt17integral_constantIbLb0EESY_EEDaST_SU_EUlST_E_NS1_11comp_targetILNS1_3genE10ELNS1_11target_archE1201ELNS1_3gpuE5ELNS1_3repE0EEENS1_30default_config_static_selectorELNS0_4arch9wavefront6targetE1EEEvT1_, .Lfunc_end786-_ZN7rocprim17ROCPRIM_400000_NS6detail17trampoline_kernelINS0_14default_configENS1_27scan_by_key_config_selectorIiiEEZZNS1_16scan_by_key_implILNS1_25lookback_scan_determinismE0ELb1ES3_N6thrust23THRUST_200600_302600_NS6detail15normal_iteratorINS9_10device_ptrIiEEEESE_SE_iNS9_4plusIiEE19head_flag_predicateiEE10hipError_tPvRmT2_T3_T4_T5_mT6_T7_P12ihipStream_tbENKUlT_T0_E_clISt17integral_constantIbLb0EESY_EEDaST_SU_EUlST_E_NS1_11comp_targetILNS1_3genE10ELNS1_11target_archE1201ELNS1_3gpuE5ELNS1_3repE0EEENS1_30default_config_static_selectorELNS0_4arch9wavefront6targetE1EEEvT1_
                                        ; -- End function
	.section	.AMDGPU.csdata,"",@progbits
; Kernel info:
; codeLenInByte = 0
; NumSgprs: 6
; NumVgprs: 0
; NumAgprs: 0
; TotalNumVgprs: 0
; ScratchSize: 0
; MemoryBound: 0
; FloatMode: 240
; IeeeMode: 1
; LDSByteSize: 0 bytes/workgroup (compile time only)
; SGPRBlocks: 0
; VGPRBlocks: 0
; NumSGPRsForWavesPerEU: 6
; NumVGPRsForWavesPerEU: 1
; AccumOffset: 4
; Occupancy: 8
; WaveLimiterHint : 0
; COMPUTE_PGM_RSRC2:SCRATCH_EN: 0
; COMPUTE_PGM_RSRC2:USER_SGPR: 2
; COMPUTE_PGM_RSRC2:TRAP_HANDLER: 0
; COMPUTE_PGM_RSRC2:TGID_X_EN: 1
; COMPUTE_PGM_RSRC2:TGID_Y_EN: 0
; COMPUTE_PGM_RSRC2:TGID_Z_EN: 0
; COMPUTE_PGM_RSRC2:TIDIG_COMP_CNT: 0
; COMPUTE_PGM_RSRC3_GFX90A:ACCUM_OFFSET: 0
; COMPUTE_PGM_RSRC3_GFX90A:TG_SPLIT: 0
	.section	.text._ZN7rocprim17ROCPRIM_400000_NS6detail17trampoline_kernelINS0_14default_configENS1_27scan_by_key_config_selectorIiiEEZZNS1_16scan_by_key_implILNS1_25lookback_scan_determinismE0ELb1ES3_N6thrust23THRUST_200600_302600_NS6detail15normal_iteratorINS9_10device_ptrIiEEEESE_SE_iNS9_4plusIiEE19head_flag_predicateiEE10hipError_tPvRmT2_T3_T4_T5_mT6_T7_P12ihipStream_tbENKUlT_T0_E_clISt17integral_constantIbLb0EESY_EEDaST_SU_EUlST_E_NS1_11comp_targetILNS1_3genE5ELNS1_11target_archE942ELNS1_3gpuE9ELNS1_3repE0EEENS1_30default_config_static_selectorELNS0_4arch9wavefront6targetE1EEEvT1_,"axG",@progbits,_ZN7rocprim17ROCPRIM_400000_NS6detail17trampoline_kernelINS0_14default_configENS1_27scan_by_key_config_selectorIiiEEZZNS1_16scan_by_key_implILNS1_25lookback_scan_determinismE0ELb1ES3_N6thrust23THRUST_200600_302600_NS6detail15normal_iteratorINS9_10device_ptrIiEEEESE_SE_iNS9_4plusIiEE19head_flag_predicateiEE10hipError_tPvRmT2_T3_T4_T5_mT6_T7_P12ihipStream_tbENKUlT_T0_E_clISt17integral_constantIbLb0EESY_EEDaST_SU_EUlST_E_NS1_11comp_targetILNS1_3genE5ELNS1_11target_archE942ELNS1_3gpuE9ELNS1_3repE0EEENS1_30default_config_static_selectorELNS0_4arch9wavefront6targetE1EEEvT1_,comdat
	.protected	_ZN7rocprim17ROCPRIM_400000_NS6detail17trampoline_kernelINS0_14default_configENS1_27scan_by_key_config_selectorIiiEEZZNS1_16scan_by_key_implILNS1_25lookback_scan_determinismE0ELb1ES3_N6thrust23THRUST_200600_302600_NS6detail15normal_iteratorINS9_10device_ptrIiEEEESE_SE_iNS9_4plusIiEE19head_flag_predicateiEE10hipError_tPvRmT2_T3_T4_T5_mT6_T7_P12ihipStream_tbENKUlT_T0_E_clISt17integral_constantIbLb0EESY_EEDaST_SU_EUlST_E_NS1_11comp_targetILNS1_3genE5ELNS1_11target_archE942ELNS1_3gpuE9ELNS1_3repE0EEENS1_30default_config_static_selectorELNS0_4arch9wavefront6targetE1EEEvT1_ ; -- Begin function _ZN7rocprim17ROCPRIM_400000_NS6detail17trampoline_kernelINS0_14default_configENS1_27scan_by_key_config_selectorIiiEEZZNS1_16scan_by_key_implILNS1_25lookback_scan_determinismE0ELb1ES3_N6thrust23THRUST_200600_302600_NS6detail15normal_iteratorINS9_10device_ptrIiEEEESE_SE_iNS9_4plusIiEE19head_flag_predicateiEE10hipError_tPvRmT2_T3_T4_T5_mT6_T7_P12ihipStream_tbENKUlT_T0_E_clISt17integral_constantIbLb0EESY_EEDaST_SU_EUlST_E_NS1_11comp_targetILNS1_3genE5ELNS1_11target_archE942ELNS1_3gpuE9ELNS1_3repE0EEENS1_30default_config_static_selectorELNS0_4arch9wavefront6targetE1EEEvT1_
	.globl	_ZN7rocprim17ROCPRIM_400000_NS6detail17trampoline_kernelINS0_14default_configENS1_27scan_by_key_config_selectorIiiEEZZNS1_16scan_by_key_implILNS1_25lookback_scan_determinismE0ELb1ES3_N6thrust23THRUST_200600_302600_NS6detail15normal_iteratorINS9_10device_ptrIiEEEESE_SE_iNS9_4plusIiEE19head_flag_predicateiEE10hipError_tPvRmT2_T3_T4_T5_mT6_T7_P12ihipStream_tbENKUlT_T0_E_clISt17integral_constantIbLb0EESY_EEDaST_SU_EUlST_E_NS1_11comp_targetILNS1_3genE5ELNS1_11target_archE942ELNS1_3gpuE9ELNS1_3repE0EEENS1_30default_config_static_selectorELNS0_4arch9wavefront6targetE1EEEvT1_
	.p2align	8
	.type	_ZN7rocprim17ROCPRIM_400000_NS6detail17trampoline_kernelINS0_14default_configENS1_27scan_by_key_config_selectorIiiEEZZNS1_16scan_by_key_implILNS1_25lookback_scan_determinismE0ELb1ES3_N6thrust23THRUST_200600_302600_NS6detail15normal_iteratorINS9_10device_ptrIiEEEESE_SE_iNS9_4plusIiEE19head_flag_predicateiEE10hipError_tPvRmT2_T3_T4_T5_mT6_T7_P12ihipStream_tbENKUlT_T0_E_clISt17integral_constantIbLb0EESY_EEDaST_SU_EUlST_E_NS1_11comp_targetILNS1_3genE5ELNS1_11target_archE942ELNS1_3gpuE9ELNS1_3repE0EEENS1_30default_config_static_selectorELNS0_4arch9wavefront6targetE1EEEvT1_,@function
_ZN7rocprim17ROCPRIM_400000_NS6detail17trampoline_kernelINS0_14default_configENS1_27scan_by_key_config_selectorIiiEEZZNS1_16scan_by_key_implILNS1_25lookback_scan_determinismE0ELb1ES3_N6thrust23THRUST_200600_302600_NS6detail15normal_iteratorINS9_10device_ptrIiEEEESE_SE_iNS9_4plusIiEE19head_flag_predicateiEE10hipError_tPvRmT2_T3_T4_T5_mT6_T7_P12ihipStream_tbENKUlT_T0_E_clISt17integral_constantIbLb0EESY_EEDaST_SU_EUlST_E_NS1_11comp_targetILNS1_3genE5ELNS1_11target_archE942ELNS1_3gpuE9ELNS1_3repE0EEENS1_30default_config_static_selectorELNS0_4arch9wavefront6targetE1EEEvT1_: ; @_ZN7rocprim17ROCPRIM_400000_NS6detail17trampoline_kernelINS0_14default_configENS1_27scan_by_key_config_selectorIiiEEZZNS1_16scan_by_key_implILNS1_25lookback_scan_determinismE0ELb1ES3_N6thrust23THRUST_200600_302600_NS6detail15normal_iteratorINS9_10device_ptrIiEEEESE_SE_iNS9_4plusIiEE19head_flag_predicateiEE10hipError_tPvRmT2_T3_T4_T5_mT6_T7_P12ihipStream_tbENKUlT_T0_E_clISt17integral_constantIbLb0EESY_EEDaST_SU_EUlST_E_NS1_11comp_targetILNS1_3genE5ELNS1_11target_archE942ELNS1_3gpuE9ELNS1_3repE0EEENS1_30default_config_static_selectorELNS0_4arch9wavefront6targetE1EEEvT1_
; %bb.0:
	s_load_dwordx8 s[48:55], s[0:1], 0x0
	s_load_dword s76, s[0:1], 0x20
	s_load_dwordx4 s[56:59], s[0:1], 0x28
	s_load_dwordx2 s[68:69], s[0:1], 0x38
	s_load_dword s3, s[0:1], 0x40
	s_load_dwordx4 s[60:63], s[0:1], 0x48
	s_waitcnt lgkmcnt(0)
	s_lshl_b64 s[64:65], s[50:51], 2
	s_add_u32 s4, s48, s64
	s_addc_u32 s5, s49, s65
	s_add_u32 s6, s52, s64
	s_mul_i32 s0, s69, s3
	s_mul_hi_u32 s1, s68, s3
	s_addc_u32 s7, s53, s65
	s_add_i32 s8, s1, s0
	s_mul_i32 s0, s2, 0x1700
	s_mov_b32 s1, 0
	s_lshl_b64 s[66:67], s[0:1], 2
	s_add_u32 s70, s4, s66
	s_addc_u32 s71, s5, s67
	s_add_u32 s52, s6, s66
	s_mul_i32 s3, s68, s3
	s_addc_u32 s53, s7, s67
	s_add_u32 s0, s3, s2
	s_addc_u32 s1, s8, 0
	s_add_u32 s6, s60, -1
	s_addc_u32 s7, s61, -1
	v_mov_b64_e32 v[2:3], s[6:7]
	v_cmp_ge_u64_e64 s[0:1], s[0:1], v[2:3]
	s_mov_b64 s[4:5], -1
	s_and_b64 vcc, exec, s[0:1]
	s_mul_i32 s33, s6, 0xffffe900
	s_barrier
	s_cbranch_vccz .LBB787_71
; %bb.1:
	v_mov_b64_e32 v[2:3], s[70:71]
	flat_load_dword v1, v[2:3]
	s_add_i32 s3, s33, s58
	v_cmp_gt_u32_e32 vcc, s3, v0
	s_waitcnt vmcnt(0) lgkmcnt(0)
	v_mov_b32_e32 v4, v1
	s_and_saveexec_b64 s[4:5], vcc
	s_cbranch_execz .LBB787_3
; %bb.2:
	v_lshlrev_b32_e32 v2, 2, v0
	v_mov_b32_e32 v3, 0
	v_lshl_add_u64 v[2:3], s[70:71], 0, v[2:3]
	flat_load_dword v4, v[2:3]
.LBB787_3:
	s_or_b64 exec, exec, s[4:5]
	v_or_b32_e32 v2, 0x100, v0
	v_cmp_gt_u32_e64 s[48:49], s3, v2
	v_mov_b32_e32 v5, v1
	s_and_saveexec_b64 s[4:5], s[48:49]
	s_cbranch_execz .LBB787_5
; %bb.4:
	v_lshlrev_b32_e32 v2, 2, v0
	v_mov_b32_e32 v3, 0
	v_lshl_add_u64 v[2:3], s[70:71], 0, v[2:3]
	flat_load_dword v5, v[2:3] offset:1024
.LBB787_5:
	s_or_b64 exec, exec, s[4:5]
	v_or_b32_e32 v2, 0x200, v0
	v_cmp_gt_u32_e64 s[4:5], s3, v2
	v_mov_b32_e32 v6, v1
	s_and_saveexec_b64 s[6:7], s[4:5]
	s_cbranch_execz .LBB787_7
; %bb.6:
	v_lshlrev_b32_e32 v2, 2, v0
	v_mov_b32_e32 v3, 0
	v_lshl_add_u64 v[2:3], s[70:71], 0, v[2:3]
	flat_load_dword v6, v[2:3] offset:2048
.LBB787_7:
	;; [unrolled: 12-line block ×3, first 2 shown]
	s_or_b64 exec, exec, s[8:9]
	v_or_b32_e32 v2, 0x400, v0
	v_cmp_gt_u32_e64 s[8:9], s3, v2
	v_lshlrev_b32_e32 v2, 2, v2
	v_mov_b32_e32 v3, v1
	s_and_saveexec_b64 s[10:11], s[8:9]
	s_cbranch_execz .LBB787_11
; %bb.10:
	v_mov_b32_e32 v3, 0
	v_lshl_add_u64 v[8:9], s[70:71], 0, v[2:3]
	flat_load_dword v3, v[8:9]
.LBB787_11:
	s_or_b64 exec, exec, s[10:11]
	v_or_b32_e32 v8, 0x500, v0
	v_cmp_gt_u32_e64 s[10:11], s3, v8
	v_lshlrev_b32_e32 v10, 2, v8
	v_mov_b32_e32 v8, v1
	s_and_saveexec_b64 s[12:13], s[10:11]
	s_cbranch_execz .LBB787_13
; %bb.12:
	v_mov_b32_e32 v11, 0
	v_lshl_add_u64 v[8:9], s[70:71], 0, v[10:11]
	flat_load_dword v8, v[8:9]
.LBB787_13:
	;; [unrolled: 12-line block ×18, first 2 shown]
	s_or_b64 exec, exec, s[46:47]
	v_or_b32_e32 v41, 0x1600, v0
	v_cmp_gt_u32_e64 s[46:47], s3, v41
	v_lshlrev_b32_e32 v44, 2, v41
	s_and_saveexec_b64 s[50:51], s[46:47]
	s_cbranch_execz .LBB787_47
; %bb.46:
	v_mov_b32_e32 v45, 0
	v_lshl_add_u64 v[46:47], s[70:71], 0, v[44:45]
	flat_load_dword v1, v[46:47]
.LBB787_47:
	s_or_b64 exec, exec, s[50:51]
	v_lshlrev_b32_e32 v46, 2, v0
	s_waitcnt vmcnt(0) lgkmcnt(0)
	ds_write2st64_b32 v46, v4, v5 offset1:4
	ds_write2st64_b32 v46, v6, v7 offset0:8 offset1:12
	ds_write2st64_b32 v46, v3, v8 offset0:16 offset1:20
	;; [unrolled: 1-line block ×10, first 2 shown]
	ds_write_b32 v46, v1 offset:22528
	v_mov_b64_e32 v[4:5], s[70:71]
	s_waitcnt lgkmcnt(0)
	s_barrier
	flat_load_dword v1, v[4:5]
	s_movk_i32 s50, 0x58
	v_mad_u32_u24 v70, v0, s50, v46
	s_movk_i32 s50, 0xffa8
	v_mad_i32_i24 v3, v0, s50, v70
	s_movk_i32 s50, 0xff
	v_cmp_ne_u32_e64 s[50:51], s50, v0
	ds_read2_b32 v[68:69], v70 offset1:1
	ds_read2_b32 v[66:67], v70 offset0:2 offset1:3
	ds_read2_b32 v[64:65], v70 offset0:4 offset1:5
	;; [unrolled: 1-line block ×10, first 2 shown]
	ds_read_b32 v71, v70 offset:88
	s_waitcnt lgkmcnt(0)
	ds_write_b32 v3, v68 offset:24576
	s_waitcnt lgkmcnt(0)
	s_barrier
	s_and_saveexec_b64 s[60:61], s[50:51]
	s_cbranch_execz .LBB787_49
; %bb.48:
	s_waitcnt vmcnt(0)
	ds_read_b32 v1, v46 offset:24580
.LBB787_49:
	s_or_b64 exec, exec, s[60:61]
	v_mov_b32_e32 v47, 0
	s_waitcnt lgkmcnt(0)
	s_barrier
	s_waitcnt lgkmcnt(0)
                                        ; implicit-def: $vgpr48
	s_and_saveexec_b64 s[50:51], vcc
	s_cbranch_execz .LBB787_72
; %bb.50:
	v_lshl_add_u64 v[48:49], s[52:53], 0, v[46:47]
	flat_load_dword v48, v[48:49]
	s_or_b64 exec, exec, s[50:51]
                                        ; implicit-def: $vgpr49
	s_and_saveexec_b64 s[50:51], s[48:49]
	s_cbranch_execnz .LBB787_73
.LBB787_51:
	s_or_b64 exec, exec, s[50:51]
                                        ; implicit-def: $vgpr50
	s_and_saveexec_b64 s[48:49], s[4:5]
	s_cbranch_execz .LBB787_74
.LBB787_52:
	v_mov_b32_e32 v47, 0
	v_lshl_add_u64 v[50:51], s[52:53], 0, v[46:47]
	flat_load_dword v50, v[50:51] offset:2048
	s_or_b64 exec, exec, s[48:49]
                                        ; implicit-def: $vgpr47
	s_and_saveexec_b64 s[4:5], s[6:7]
	s_cbranch_execnz .LBB787_75
.LBB787_53:
	s_or_b64 exec, exec, s[4:5]
                                        ; implicit-def: $vgpr3
	s_and_saveexec_b64 s[4:5], s[8:9]
	s_cbranch_execz .LBB787_76
.LBB787_54:
	v_mov_b32_e32 v3, 0
	v_lshl_add_u64 v[2:3], s[52:53], 0, v[2:3]
	flat_load_dword v3, v[2:3]
	s_or_b64 exec, exec, s[4:5]
                                        ; implicit-def: $vgpr2
	s_and_saveexec_b64 s[4:5], s[10:11]
	s_cbranch_execnz .LBB787_77
.LBB787_55:
	s_or_b64 exec, exec, s[4:5]
                                        ; implicit-def: $vgpr10
	s_and_saveexec_b64 s[4:5], s[12:13]
	s_cbranch_execz .LBB787_78
.LBB787_56:
	v_mov_b32_e32 v13, 0
	v_lshl_add_u64 v[10:11], s[52:53], 0, v[12:13]
	flat_load_dword v10, v[10:11]
	s_or_b64 exec, exec, s[4:5]
                                        ; implicit-def: $vgpr11
	s_and_saveexec_b64 s[4:5], s[14:15]
	s_cbranch_execnz .LBB787_79
.LBB787_57:
	s_or_b64 exec, exec, s[4:5]
                                        ; implicit-def: $vgpr12
	s_and_saveexec_b64 s[4:5], s[16:17]
	s_cbranch_execz .LBB787_80
.LBB787_58:
	v_mov_b32_e32 v17, 0
	v_lshl_add_u64 v[12:13], s[52:53], 0, v[16:17]
	flat_load_dword v12, v[12:13]
	s_or_b64 exec, exec, s[4:5]
                                        ; implicit-def: $vgpr13
	s_and_saveexec_b64 s[4:5], s[18:19]
	s_cbranch_execnz .LBB787_81
.LBB787_59:
	s_or_b64 exec, exec, s[4:5]
                                        ; implicit-def: $vgpr14
	s_and_saveexec_b64 s[4:5], s[20:21]
	s_cbranch_execz .LBB787_82
.LBB787_60:
	v_mov_b32_e32 v21, 0
	v_lshl_add_u64 v[14:15], s[52:53], 0, v[20:21]
	flat_load_dword v14, v[14:15]
	s_or_b64 exec, exec, s[4:5]
                                        ; implicit-def: $vgpr15
	s_and_saveexec_b64 s[4:5], s[22:23]
	s_cbranch_execnz .LBB787_83
.LBB787_61:
	s_or_b64 exec, exec, s[4:5]
                                        ; implicit-def: $vgpr16
	s_and_saveexec_b64 s[4:5], s[24:25]
	s_cbranch_execz .LBB787_84
.LBB787_62:
	v_mov_b32_e32 v25, 0
	v_lshl_add_u64 v[16:17], s[52:53], 0, v[24:25]
	flat_load_dword v16, v[16:17]
	s_or_b64 exec, exec, s[4:5]
                                        ; implicit-def: $vgpr17
	s_and_saveexec_b64 s[4:5], s[26:27]
	s_cbranch_execnz .LBB787_85
.LBB787_63:
	s_or_b64 exec, exec, s[4:5]
                                        ; implicit-def: $vgpr18
	s_and_saveexec_b64 s[4:5], s[28:29]
	s_cbranch_execz .LBB787_86
.LBB787_64:
	v_mov_b32_e32 v29, 0
	v_lshl_add_u64 v[18:19], s[52:53], 0, v[28:29]
	flat_load_dword v18, v[18:19]
	s_or_b64 exec, exec, s[4:5]
                                        ; implicit-def: $vgpr19
	s_and_saveexec_b64 s[4:5], s[30:31]
	s_cbranch_execnz .LBB787_87
.LBB787_65:
	s_or_b64 exec, exec, s[4:5]
                                        ; implicit-def: $vgpr20
	s_and_saveexec_b64 s[4:5], s[34:35]
	s_cbranch_execz .LBB787_88
.LBB787_66:
	v_mov_b32_e32 v33, 0
	v_lshl_add_u64 v[20:21], s[52:53], 0, v[32:33]
	flat_load_dword v20, v[20:21]
	s_or_b64 exec, exec, s[4:5]
                                        ; implicit-def: $vgpr21
	s_and_saveexec_b64 s[4:5], s[36:37]
	s_cbranch_execnz .LBB787_89
.LBB787_67:
	s_or_b64 exec, exec, s[4:5]
                                        ; implicit-def: $vgpr22
	s_and_saveexec_b64 s[4:5], s[38:39]
	s_cbranch_execz .LBB787_90
.LBB787_68:
	v_mov_b32_e32 v37, 0
	v_lshl_add_u64 v[22:23], s[52:53], 0, v[36:37]
	flat_load_dword v22, v[22:23]
	s_or_b64 exec, exec, s[4:5]
                                        ; implicit-def: $vgpr23
	s_and_saveexec_b64 s[4:5], s[40:41]
	s_cbranch_execnz .LBB787_91
.LBB787_69:
	s_or_b64 exec, exec, s[4:5]
                                        ; implicit-def: $vgpr24
	s_and_saveexec_b64 s[4:5], s[42:43]
	s_cbranch_execz .LBB787_92
.LBB787_70:
	v_mov_b32_e32 v41, 0
	v_lshl_add_u64 v[24:25], s[52:53], 0, v[40:41]
	flat_load_dword v24, v[24:25]
	s_or_b64 exec, exec, s[4:5]
                                        ; implicit-def: $vgpr25
	s_and_saveexec_b64 s[4:5], s[44:45]
	s_cbranch_execz .LBB787_94
	s_branch .LBB787_93
.LBB787_71:
	s_mov_b64 s[10:11], 0
                                        ; implicit-def: $sgpr8_sgpr9
                                        ; implicit-def: $vgpr2
                                        ; implicit-def: $vgpr10_vgpr11
                                        ; implicit-def: $vgpr12_vgpr13
                                        ; implicit-def: $vgpr14_vgpr15
                                        ; implicit-def: $vgpr16_vgpr17
                                        ; implicit-def: $vgpr18_vgpr19
                                        ; implicit-def: $vgpr20_vgpr21
                                        ; implicit-def: $vgpr22_vgpr23
                                        ; implicit-def: $vgpr24_vgpr25
                                        ; implicit-def: $vgpr26_vgpr27
                                        ; implicit-def: $vgpr28_vgpr29
                                        ; implicit-def: $vgpr30_vgpr31
                                        ; implicit-def: $vgpr32_vgpr33
                                        ; implicit-def: $vgpr34_vgpr35
                                        ; implicit-def: $vgpr36_vgpr37
                                        ; implicit-def: $vgpr38_vgpr39
                                        ; implicit-def: $vgpr40_vgpr41
                                        ; implicit-def: $vgpr42_vgpr43
                                        ; implicit-def: $vgpr44_vgpr45
                                        ; implicit-def: $vgpr46_vgpr47
                                        ; implicit-def: $vgpr48_vgpr49
                                        ; implicit-def: $vgpr50_vgpr51
                                        ; implicit-def: $vgpr52_vgpr53
                                        ; implicit-def: $sgpr6_sgpr7
	s_and_b64 vcc, exec, s[4:5]
	v_lshlrev_b32_e32 v54, 2, v0
	s_cbranch_vccz .LBB787_148
	s_branch .LBB787_143
.LBB787_72:
	s_or_b64 exec, exec, s[50:51]
                                        ; implicit-def: $vgpr49
	s_and_saveexec_b64 s[50:51], s[48:49]
	s_cbranch_execz .LBB787_51
.LBB787_73:
	v_mov_b32_e32 v47, 0
	v_lshl_add_u64 v[50:51], s[52:53], 0, v[46:47]
	flat_load_dword v49, v[50:51] offset:1024
	s_or_b64 exec, exec, s[50:51]
                                        ; implicit-def: $vgpr50
	s_and_saveexec_b64 s[48:49], s[4:5]
	s_cbranch_execnz .LBB787_52
.LBB787_74:
	s_or_b64 exec, exec, s[48:49]
                                        ; implicit-def: $vgpr47
	s_and_saveexec_b64 s[4:5], s[6:7]
	s_cbranch_execz .LBB787_53
.LBB787_75:
	v_mov_b32_e32 v47, 0
	v_lshl_add_u64 v[52:53], s[52:53], 0, v[46:47]
	flat_load_dword v47, v[52:53] offset:3072
	s_or_b64 exec, exec, s[4:5]
                                        ; implicit-def: $vgpr3
	s_and_saveexec_b64 s[4:5], s[8:9]
	s_cbranch_execnz .LBB787_54
.LBB787_76:
	s_or_b64 exec, exec, s[4:5]
                                        ; implicit-def: $vgpr2
	s_and_saveexec_b64 s[4:5], s[10:11]
	s_cbranch_execz .LBB787_55
.LBB787_77:
	v_mov_b32_e32 v11, 0
	v_lshl_add_u64 v[10:11], s[52:53], 0, v[10:11]
	flat_load_dword v2, v[10:11]
	s_or_b64 exec, exec, s[4:5]
                                        ; implicit-def: $vgpr10
	s_and_saveexec_b64 s[4:5], s[12:13]
	s_cbranch_execnz .LBB787_56
.LBB787_78:
	s_or_b64 exec, exec, s[4:5]
                                        ; implicit-def: $vgpr11
	s_and_saveexec_b64 s[4:5], s[14:15]
	s_cbranch_execz .LBB787_57
.LBB787_79:
	v_mov_b32_e32 v15, 0
	v_lshl_add_u64 v[12:13], s[52:53], 0, v[14:15]
	flat_load_dword v11, v[12:13]
	s_or_b64 exec, exec, s[4:5]
                                        ; implicit-def: $vgpr12
	s_and_saveexec_b64 s[4:5], s[16:17]
	s_cbranch_execnz .LBB787_58
.LBB787_80:
	s_or_b64 exec, exec, s[4:5]
                                        ; implicit-def: $vgpr13
	s_and_saveexec_b64 s[4:5], s[18:19]
	s_cbranch_execz .LBB787_59
.LBB787_81:
	v_mov_b32_e32 v19, 0
	v_lshl_add_u64 v[14:15], s[52:53], 0, v[18:19]
	flat_load_dword v13, v[14:15]
	s_or_b64 exec, exec, s[4:5]
                                        ; implicit-def: $vgpr14
	s_and_saveexec_b64 s[4:5], s[20:21]
	s_cbranch_execnz .LBB787_60
.LBB787_82:
	s_or_b64 exec, exec, s[4:5]
                                        ; implicit-def: $vgpr15
	s_and_saveexec_b64 s[4:5], s[22:23]
	s_cbranch_execz .LBB787_61
.LBB787_83:
	v_mov_b32_e32 v23, 0
	v_lshl_add_u64 v[16:17], s[52:53], 0, v[22:23]
	flat_load_dword v15, v[16:17]
	s_or_b64 exec, exec, s[4:5]
                                        ; implicit-def: $vgpr16
	s_and_saveexec_b64 s[4:5], s[24:25]
	s_cbranch_execnz .LBB787_62
.LBB787_84:
	s_or_b64 exec, exec, s[4:5]
                                        ; implicit-def: $vgpr17
	s_and_saveexec_b64 s[4:5], s[26:27]
	s_cbranch_execz .LBB787_63
.LBB787_85:
	v_mov_b32_e32 v27, 0
	v_lshl_add_u64 v[18:19], s[52:53], 0, v[26:27]
	flat_load_dword v17, v[18:19]
	s_or_b64 exec, exec, s[4:5]
                                        ; implicit-def: $vgpr18
	s_and_saveexec_b64 s[4:5], s[28:29]
	s_cbranch_execnz .LBB787_64
.LBB787_86:
	s_or_b64 exec, exec, s[4:5]
                                        ; implicit-def: $vgpr19
	s_and_saveexec_b64 s[4:5], s[30:31]
	s_cbranch_execz .LBB787_65
.LBB787_87:
	v_mov_b32_e32 v31, 0
	v_lshl_add_u64 v[20:21], s[52:53], 0, v[30:31]
	flat_load_dword v19, v[20:21]
	s_or_b64 exec, exec, s[4:5]
                                        ; implicit-def: $vgpr20
	s_and_saveexec_b64 s[4:5], s[34:35]
	s_cbranch_execnz .LBB787_66
.LBB787_88:
	s_or_b64 exec, exec, s[4:5]
                                        ; implicit-def: $vgpr21
	s_and_saveexec_b64 s[4:5], s[36:37]
	s_cbranch_execz .LBB787_67
.LBB787_89:
	v_mov_b32_e32 v35, 0
	v_lshl_add_u64 v[22:23], s[52:53], 0, v[34:35]
	flat_load_dword v21, v[22:23]
	s_or_b64 exec, exec, s[4:5]
                                        ; implicit-def: $vgpr22
	s_and_saveexec_b64 s[4:5], s[38:39]
	s_cbranch_execnz .LBB787_68
.LBB787_90:
	s_or_b64 exec, exec, s[4:5]
                                        ; implicit-def: $vgpr23
	s_and_saveexec_b64 s[4:5], s[40:41]
	s_cbranch_execz .LBB787_69
.LBB787_91:
	v_mov_b32_e32 v39, 0
	v_lshl_add_u64 v[24:25], s[52:53], 0, v[38:39]
	flat_load_dword v23, v[24:25]
	s_or_b64 exec, exec, s[4:5]
                                        ; implicit-def: $vgpr24
	s_and_saveexec_b64 s[4:5], s[42:43]
	s_cbranch_execnz .LBB787_70
.LBB787_92:
	s_or_b64 exec, exec, s[4:5]
                                        ; implicit-def: $vgpr25
	s_and_saveexec_b64 s[4:5], s[44:45]
	s_cbranch_execz .LBB787_94
.LBB787_93:
	v_mov_b32_e32 v43, 0
	v_lshl_add_u64 v[26:27], s[52:53], 0, v[42:43]
	flat_load_dword v25, v[26:27]
.LBB787_94:
	s_or_b64 exec, exec, s[4:5]
	v_mul_u32_u24_e32 v68, 23, v0
                                        ; implicit-def: $vgpr26
	s_and_saveexec_b64 s[4:5], s[46:47]
	s_cbranch_execz .LBB787_96
; %bb.95:
	v_mov_b32_e32 v45, 0
	v_lshl_add_u64 v[26:27], s[52:53], 0, v[44:45]
	flat_load_dword v26, v[26:27]
.LBB787_96:
	s_or_b64 exec, exec, s[4:5]
	s_waitcnt vmcnt(0) lgkmcnt(0)
	ds_write2st64_b32 v46, v48, v49 offset1:4
	ds_write2st64_b32 v46, v50, v47 offset0:8 offset1:12
	ds_write2st64_b32 v46, v3, v2 offset0:16 offset1:20
	;; [unrolled: 1-line block ×10, first 2 shown]
	ds_write_b32 v46, v26 offset:22528
	v_mov_b64_e32 v[10:11], 0
	v_cmp_gt_u32_e32 vcc, s3, v68
	s_mov_b64 s[10:11], 0
	s_mov_b64 s[4:5], 0
	v_mov_b64_e32 v[12:13], v[10:11]
	v_mov_b64_e32 v[14:15], v[10:11]
	;; [unrolled: 1-line block ×21, first 2 shown]
	s_waitcnt lgkmcnt(0)
	s_barrier
	s_waitcnt lgkmcnt(0)
                                        ; implicit-def: $sgpr8_sgpr9
                                        ; implicit-def: $vgpr2
	s_and_saveexec_b64 s[6:7], vcc
	s_cbranch_execz .LBB787_142
; %bb.97:
	ds_read_b32 v2, v70
	v_mov_b32_e32 v10, s76
	v_cmp_eq_u32_e32 vcc, 0, v69
	v_add_u32_e32 v3, 1, v68
	v_mov_b64_e32 v[12:13], 0
	s_waitcnt lgkmcnt(0)
	v_cndmask_b32_e32 v10, v10, v2, vcc
	v_cmp_ne_u32_e32 vcc, 0, v69
	s_mov_b64 s[12:13], 0
	v_mov_b64_e32 v[14:15], v[12:13]
	v_cndmask_b32_e64 v11, 0, 1, vcc
	v_cmp_gt_u32_e32 vcc, s3, v3
	v_mov_b64_e32 v[16:17], v[12:13]
	v_mov_b64_e32 v[18:19], v[12:13]
	;; [unrolled: 1-line block ×19, first 2 shown]
                                        ; implicit-def: $sgpr14_sgpr15
                                        ; implicit-def: $vgpr2
	s_and_saveexec_b64 s[8:9], vcc
	s_cbranch_execz .LBB787_141
; %bb.98:
	ds_read2_b32 v[2:3], v70 offset0:1 offset1:2
	v_mov_b32_e32 v12, s76
	v_cmp_eq_u32_e32 vcc, 0, v66
	v_add_u32_e32 v14, 2, v68
	s_mov_b64 s[14:15], 0
	s_waitcnt lgkmcnt(0)
	v_cndmask_b32_e32 v12, v12, v2, vcc
	v_cmp_ne_u32_e32 vcc, 0, v66
                                        ; implicit-def: $sgpr16_sgpr17
                                        ; implicit-def: $vgpr2
	s_nop 1
	v_cndmask_b32_e64 v13, 0, 1, vcc
	v_cmp_gt_u32_e32 vcc, s3, v14
	v_mov_b64_e32 v[14:15], 0
	v_mov_b64_e32 v[16:17], v[14:15]
	;; [unrolled: 1-line block ×20, first 2 shown]
	s_and_saveexec_b64 s[10:11], vcc
	s_cbranch_execz .LBB787_140
; %bb.99:
	v_mov_b32_e32 v14, s76
	v_cmp_eq_u32_e32 vcc, 0, v67
	v_add_u32_e32 v2, 3, v68
	v_mov_b64_e32 v[16:17], 0
	v_cndmask_b32_e32 v14, v14, v3, vcc
	v_cmp_ne_u32_e32 vcc, 0, v67
	s_mov_b64 s[16:17], 0
	v_mov_b64_e32 v[18:19], v[16:17]
	v_cndmask_b32_e64 v15, 0, 1, vcc
	v_cmp_gt_u32_e32 vcc, s3, v2
	v_mov_b64_e32 v[20:21], v[16:17]
	v_mov_b64_e32 v[22:23], v[16:17]
	;; [unrolled: 1-line block ×17, first 2 shown]
                                        ; implicit-def: $sgpr18_sgpr19
                                        ; implicit-def: $vgpr2
	s_and_saveexec_b64 s[12:13], vcc
	s_cbranch_execz .LBB787_139
; %bb.100:
	ds_read2_b32 v[2:3], v70 offset0:3 offset1:4
	v_mov_b32_e32 v16, s76
	v_cmp_eq_u32_e32 vcc, 0, v64
	v_add_u32_e32 v18, 4, v68
	s_mov_b64 s[18:19], 0
	s_waitcnt lgkmcnt(0)
	v_cndmask_b32_e32 v16, v16, v2, vcc
	v_cmp_ne_u32_e32 vcc, 0, v64
                                        ; implicit-def: $sgpr20_sgpr21
                                        ; implicit-def: $vgpr2
	s_nop 1
	v_cndmask_b32_e64 v17, 0, 1, vcc
	v_cmp_gt_u32_e32 vcc, s3, v18
	v_mov_b64_e32 v[18:19], 0
	v_mov_b64_e32 v[20:21], v[18:19]
	;; [unrolled: 1-line block ×18, first 2 shown]
	s_and_saveexec_b64 s[14:15], vcc
	s_cbranch_execz .LBB787_138
; %bb.101:
	v_mov_b32_e32 v18, s76
	v_cmp_eq_u32_e32 vcc, 0, v65
	v_add_u32_e32 v2, 5, v68
	v_mov_b64_e32 v[20:21], 0
	v_cndmask_b32_e32 v18, v18, v3, vcc
	v_cmp_ne_u32_e32 vcc, 0, v65
	s_mov_b64 s[20:21], 0
	v_mov_b64_e32 v[22:23], v[20:21]
	v_cndmask_b32_e64 v19, 0, 1, vcc
	v_cmp_gt_u32_e32 vcc, s3, v2
	v_mov_b64_e32 v[24:25], v[20:21]
	v_mov_b64_e32 v[26:27], v[20:21]
	;; [unrolled: 1-line block ×15, first 2 shown]
                                        ; implicit-def: $sgpr22_sgpr23
                                        ; implicit-def: $vgpr2
	s_and_saveexec_b64 s[16:17], vcc
	s_cbranch_execz .LBB787_137
; %bb.102:
	ds_read2_b32 v[2:3], v70 offset0:5 offset1:6
	v_mov_b32_e32 v20, s76
	v_cmp_eq_u32_e32 vcc, 0, v62
	v_add_u32_e32 v22, 6, v68
	s_mov_b64 s[22:23], 0
	s_waitcnt lgkmcnt(0)
	v_cndmask_b32_e32 v20, v20, v2, vcc
	v_cmp_ne_u32_e32 vcc, 0, v62
                                        ; implicit-def: $sgpr24_sgpr25
                                        ; implicit-def: $vgpr2
	s_nop 1
	v_cndmask_b32_e64 v21, 0, 1, vcc
	v_cmp_gt_u32_e32 vcc, s3, v22
	v_mov_b64_e32 v[22:23], 0
	v_mov_b64_e32 v[24:25], v[22:23]
	;; [unrolled: 1-line block ×16, first 2 shown]
	s_and_saveexec_b64 s[18:19], vcc
	s_cbranch_execz .LBB787_136
; %bb.103:
	v_mov_b32_e32 v22, s76
	v_cmp_eq_u32_e32 vcc, 0, v63
	v_add_u32_e32 v2, 7, v68
	v_mov_b64_e32 v[24:25], 0
	v_cndmask_b32_e32 v22, v22, v3, vcc
	v_cmp_ne_u32_e32 vcc, 0, v63
	s_mov_b64 s[24:25], 0
	v_mov_b64_e32 v[26:27], v[24:25]
	v_cndmask_b32_e64 v23, 0, 1, vcc
	v_cmp_gt_u32_e32 vcc, s3, v2
	v_mov_b64_e32 v[28:29], v[24:25]
	v_mov_b64_e32 v[30:31], v[24:25]
	;; [unrolled: 1-line block ×13, first 2 shown]
                                        ; implicit-def: $sgpr26_sgpr27
                                        ; implicit-def: $vgpr2
	s_and_saveexec_b64 s[20:21], vcc
	s_cbranch_execz .LBB787_135
; %bb.104:
	ds_read2_b32 v[2:3], v70 offset0:7 offset1:8
	v_mov_b32_e32 v24, s76
	v_cmp_eq_u32_e32 vcc, 0, v60
	v_add_u32_e32 v26, 8, v68
	s_mov_b64 s[26:27], 0
	s_waitcnt lgkmcnt(0)
	v_cndmask_b32_e32 v24, v24, v2, vcc
	v_cmp_ne_u32_e32 vcc, 0, v60
                                        ; implicit-def: $sgpr28_sgpr29
                                        ; implicit-def: $vgpr2
	s_nop 1
	v_cndmask_b32_e64 v25, 0, 1, vcc
	v_cmp_gt_u32_e32 vcc, s3, v26
	v_mov_b64_e32 v[26:27], 0
	v_mov_b64_e32 v[28:29], v[26:27]
	;; [unrolled: 1-line block ×14, first 2 shown]
	s_and_saveexec_b64 s[22:23], vcc
	s_cbranch_execz .LBB787_134
; %bb.105:
	v_mov_b32_e32 v26, s76
	v_cmp_eq_u32_e32 vcc, 0, v61
	v_add_u32_e32 v2, 9, v68
	v_mov_b64_e32 v[28:29], 0
	v_cndmask_b32_e32 v26, v26, v3, vcc
	v_cmp_ne_u32_e32 vcc, 0, v61
	s_mov_b64 s[28:29], 0
	v_mov_b64_e32 v[30:31], v[28:29]
	v_cndmask_b32_e64 v27, 0, 1, vcc
	v_cmp_gt_u32_e32 vcc, s3, v2
	v_mov_b64_e32 v[32:33], v[28:29]
	v_mov_b64_e32 v[34:35], v[28:29]
	;; [unrolled: 1-line block ×11, first 2 shown]
                                        ; implicit-def: $sgpr30_sgpr31
                                        ; implicit-def: $vgpr2
	s_and_saveexec_b64 s[24:25], vcc
	s_cbranch_execz .LBB787_133
; %bb.106:
	ds_read2_b32 v[2:3], v70 offset0:9 offset1:10
	v_mov_b32_e32 v28, s76
	v_cmp_eq_u32_e32 vcc, 0, v58
	v_add_u32_e32 v30, 10, v68
	s_mov_b64 s[30:31], 0
	s_waitcnt lgkmcnt(0)
	v_cndmask_b32_e32 v28, v28, v2, vcc
	v_cmp_ne_u32_e32 vcc, 0, v58
                                        ; implicit-def: $sgpr34_sgpr35
                                        ; implicit-def: $vgpr2
	s_nop 1
	v_cndmask_b32_e64 v29, 0, 1, vcc
	v_cmp_gt_u32_e32 vcc, s3, v30
	v_mov_b64_e32 v[30:31], 0
	v_mov_b64_e32 v[32:33], v[30:31]
	;; [unrolled: 1-line block ×12, first 2 shown]
	s_and_saveexec_b64 s[26:27], vcc
	s_cbranch_execz .LBB787_132
; %bb.107:
	v_mov_b32_e32 v30, s76
	v_cmp_eq_u32_e32 vcc, 0, v59
	v_add_u32_e32 v2, 11, v68
	v_mov_b64_e32 v[32:33], 0
	v_cndmask_b32_e32 v30, v30, v3, vcc
	v_cmp_ne_u32_e32 vcc, 0, v59
	s_mov_b64 s[34:35], 0
	v_mov_b64_e32 v[34:35], v[32:33]
	v_cndmask_b32_e64 v31, 0, 1, vcc
	v_cmp_gt_u32_e32 vcc, s3, v2
	v_mov_b64_e32 v[36:37], v[32:33]
	v_mov_b64_e32 v[38:39], v[32:33]
	;; [unrolled: 1-line block ×9, first 2 shown]
                                        ; implicit-def: $sgpr36_sgpr37
                                        ; implicit-def: $vgpr2
	s_and_saveexec_b64 s[28:29], vcc
	s_cbranch_execz .LBB787_131
; %bb.108:
	ds_read2_b32 v[2:3], v70 offset0:11 offset1:12
	v_mov_b32_e32 v32, s76
	v_cmp_eq_u32_e32 vcc, 0, v56
	v_add_u32_e32 v34, 12, v68
	s_mov_b64 s[36:37], 0
	s_waitcnt lgkmcnt(0)
	v_cndmask_b32_e32 v32, v32, v2, vcc
	v_cmp_ne_u32_e32 vcc, 0, v56
                                        ; implicit-def: $sgpr38_sgpr39
                                        ; implicit-def: $vgpr2
	s_nop 1
	v_cndmask_b32_e64 v33, 0, 1, vcc
	v_cmp_gt_u32_e32 vcc, s3, v34
	v_mov_b64_e32 v[34:35], 0
	v_mov_b64_e32 v[36:37], v[34:35]
	;; [unrolled: 1-line block ×10, first 2 shown]
	s_and_saveexec_b64 s[30:31], vcc
	s_cbranch_execz .LBB787_130
; %bb.109:
	v_mov_b32_e32 v34, s76
	v_cmp_eq_u32_e32 vcc, 0, v57
	v_add_u32_e32 v2, 13, v68
	v_mov_b64_e32 v[36:37], 0
	v_cndmask_b32_e32 v34, v34, v3, vcc
	v_cmp_ne_u32_e32 vcc, 0, v57
	s_mov_b64 s[38:39], 0
	v_mov_b64_e32 v[38:39], v[36:37]
	v_cndmask_b32_e64 v35, 0, 1, vcc
	v_cmp_gt_u32_e32 vcc, s3, v2
	v_mov_b64_e32 v[40:41], v[36:37]
	v_mov_b64_e32 v[42:43], v[36:37]
	;; [unrolled: 1-line block ×7, first 2 shown]
                                        ; implicit-def: $sgpr40_sgpr41
                                        ; implicit-def: $vgpr2
	s_and_saveexec_b64 s[34:35], vcc
	s_cbranch_execz .LBB787_129
; %bb.110:
	ds_read2_b32 v[2:3], v70 offset0:13 offset1:14
	v_mov_b32_e32 v36, s76
	v_cmp_eq_u32_e32 vcc, 0, v54
	v_add_u32_e32 v38, 14, v68
	s_mov_b64 s[40:41], 0
	s_waitcnt lgkmcnt(0)
	v_cndmask_b32_e32 v36, v36, v2, vcc
	v_cmp_ne_u32_e32 vcc, 0, v54
                                        ; implicit-def: $sgpr42_sgpr43
                                        ; implicit-def: $vgpr2
	s_nop 1
	v_cndmask_b32_e64 v37, 0, 1, vcc
	v_cmp_gt_u32_e32 vcc, s3, v38
	v_mov_b64_e32 v[38:39], 0
	v_mov_b64_e32 v[40:41], v[38:39]
	;; [unrolled: 1-line block ×8, first 2 shown]
	s_and_saveexec_b64 s[36:37], vcc
	s_cbranch_execz .LBB787_128
; %bb.111:
	v_mov_b32_e32 v38, s76
	v_cmp_eq_u32_e32 vcc, 0, v55
	v_add_u32_e32 v2, 15, v68
	v_mov_b64_e32 v[40:41], 0
	v_cndmask_b32_e32 v38, v38, v3, vcc
	v_cmp_ne_u32_e32 vcc, 0, v55
	s_mov_b64 s[42:43], 0
	v_mov_b64_e32 v[42:43], v[40:41]
	v_cndmask_b32_e64 v39, 0, 1, vcc
	v_cmp_gt_u32_e32 vcc, s3, v2
	v_mov_b64_e32 v[44:45], v[40:41]
	v_mov_b64_e32 v[46:47], v[40:41]
	;; [unrolled: 1-line block ×5, first 2 shown]
                                        ; implicit-def: $sgpr44_sgpr45
                                        ; implicit-def: $vgpr2
	s_and_saveexec_b64 s[38:39], vcc
	s_cbranch_execz .LBB787_127
; %bb.112:
	ds_read2_b32 v[2:3], v70 offset0:15 offset1:16
	v_mov_b32_e32 v40, s76
	v_cmp_eq_u32_e32 vcc, 0, v8
	v_add_u32_e32 v42, 16, v68
	s_mov_b64 s[44:45], 0
	s_waitcnt lgkmcnt(0)
	v_cndmask_b32_e32 v40, v40, v2, vcc
	v_cmp_ne_u32_e32 vcc, 0, v8
                                        ; implicit-def: $sgpr46_sgpr47
                                        ; implicit-def: $vgpr2
	s_nop 1
	v_cndmask_b32_e64 v41, 0, 1, vcc
	v_cmp_gt_u32_e32 vcc, s3, v42
	v_mov_b64_e32 v[42:43], 0
	v_mov_b64_e32 v[44:45], v[42:43]
	;; [unrolled: 1-line block ×6, first 2 shown]
	s_and_saveexec_b64 s[40:41], vcc
	s_cbranch_execz .LBB787_126
; %bb.113:
	v_mov_b32_e32 v8, s76
	v_cmp_eq_u32_e32 vcc, 0, v9
	v_add_u32_e32 v2, 17, v68
	v_mov_b64_e32 v[44:45], 0
	v_cndmask_b32_e32 v42, v8, v3, vcc
	v_cmp_ne_u32_e32 vcc, 0, v9
	s_mov_b64 s[46:47], 0
	v_mov_b64_e32 v[46:47], v[44:45]
	v_cndmask_b32_e64 v43, 0, 1, vcc
	v_cmp_gt_u32_e32 vcc, s3, v2
	v_mov_b64_e32 v[48:49], v[44:45]
	v_mov_b64_e32 v[50:51], v[44:45]
	;; [unrolled: 1-line block ×3, first 2 shown]
                                        ; implicit-def: $sgpr48_sgpr49
                                        ; implicit-def: $vgpr2
	s_and_saveexec_b64 s[42:43], vcc
	s_cbranch_execz .LBB787_125
; %bb.114:
	ds_read2_b32 v[2:3], v70 offset0:17 offset1:18
	v_mov_b32_e32 v9, s76
	v_cmp_eq_u32_e32 vcc, 0, v6
	v_add_u32_e32 v8, 18, v68
	v_mov_b64_e32 v[46:47], 0
	s_waitcnt lgkmcnt(0)
	v_cndmask_b32_e32 v44, v9, v2, vcc
	v_cmp_ne_u32_e32 vcc, 0, v6
	s_mov_b64 s[48:49], 0
	v_mov_b64_e32 v[48:49], v[46:47]
	v_cndmask_b32_e64 v45, 0, 1, vcc
	v_cmp_gt_u32_e32 vcc, s3, v8
	v_mov_b64_e32 v[50:51], v[46:47]
	v_mov_b64_e32 v[52:53], v[46:47]
                                        ; implicit-def: $sgpr50_sgpr51
                                        ; implicit-def: $vgpr2
	s_and_saveexec_b64 s[44:45], vcc
	s_cbranch_execz .LBB787_124
; %bb.115:
	v_mov_b32_e32 v6, s76
	v_cmp_eq_u32_e32 vcc, 0, v7
	v_add_u32_e32 v2, 19, v68
	v_mov_b64_e32 v[48:49], 0
	v_cndmask_b32_e32 v46, v6, v3, vcc
	v_cmp_ne_u32_e32 vcc, 0, v7
	s_mov_b64 s[50:51], 0
	v_mov_b64_e32 v[50:51], v[48:49]
	v_cndmask_b32_e64 v47, 0, 1, vcc
	v_cmp_gt_u32_e32 vcc, s3, v2
	v_mov_b64_e32 v[52:53], v[48:49]
                                        ; implicit-def: $sgpr60_sgpr61
                                        ; implicit-def: $vgpr2
	s_and_saveexec_b64 s[46:47], vcc
	s_cbranch_execz .LBB787_123
; %bb.116:
	ds_read2_b32 v[2:3], v70 offset0:19 offset1:20
	v_mov_b32_e32 v7, s76
	v_cmp_eq_u32_e32 vcc, 0, v4
	v_add_u32_e32 v6, 20, v68
	v_mov_b64_e32 v[50:51], 0
	s_waitcnt lgkmcnt(0)
	v_cndmask_b32_e32 v48, v7, v2, vcc
	v_cmp_ne_u32_e32 vcc, 0, v4
	s_mov_b64 s[60:61], 0
	v_mov_b64_e32 v[52:53], v[50:51]
	v_cndmask_b32_e64 v49, 0, 1, vcc
	v_cmp_gt_u32_e32 vcc, s3, v6
                                        ; implicit-def: $sgpr72_sgpr73
                                        ; implicit-def: $vgpr2
	s_and_saveexec_b64 s[48:49], vcc
	s_cbranch_execz .LBB787_122
; %bb.117:
	v_mov_b32_e32 v4, s76
	v_cmp_eq_u32_e32 vcc, 0, v5
	v_add_u32_e32 v2, 21, v68
	v_mov_b64_e32 v[52:53], 0
	v_cndmask_b32_e32 v50, v4, v3, vcc
	v_cmp_ne_u32_e32 vcc, 0, v5
                                        ; implicit-def: $sgpr72_sgpr73
	s_nop 1
	v_cndmask_b32_e64 v51, 0, 1, vcc
	v_cmp_gt_u32_e32 vcc, s3, v2
                                        ; implicit-def: $vgpr2
	s_and_saveexec_b64 s[50:51], vcc
	s_cbranch_execz .LBB787_121
; %bb.118:
	ds_read2_b32 v[2:3], v70 offset0:21 offset1:22
	v_mov_b32_e32 v5, s76
	v_cmp_eq_u32_e32 vcc, 0, v71
	v_add_u32_e32 v4, 22, v68
                                        ; implicit-def: $sgpr72_sgpr73
	s_waitcnt lgkmcnt(0)
	v_cndmask_b32_e32 v52, v5, v2, vcc
	v_cmp_ne_u32_e32 vcc, 0, v71
                                        ; implicit-def: $vgpr2
	s_nop 1
	v_cndmask_b32_e64 v53, 0, 1, vcc
	v_cmp_gt_u32_e32 vcc, s3, v4
	s_and_saveexec_b64 s[74:75], vcc
	s_xor_b64 s[74:75], exec, s[74:75]
; %bb.119:
	v_mov_b32_e32 v2, s76
	v_cmp_ne_u32_e32 vcc, 0, v1
	s_mov_b64 s[60:61], exec
	s_and_b64 s[72:73], vcc, exec
	v_cndmask_b32_e32 v2, v3, v2, vcc
; %bb.120:
	s_or_b64 exec, exec, s[74:75]
	s_and_b64 s[72:73], s[72:73], exec
	s_and_b64 s[60:61], s[60:61], exec
.LBB787_121:
	s_or_b64 exec, exec, s[50:51]
	s_and_b64 s[72:73], s[72:73], exec
	s_and_b64 s[50:51], s[60:61], exec
.LBB787_122:
	s_or_b64 exec, exec, s[48:49]
	s_and_b64 s[60:61], s[72:73], exec
	s_and_b64 s[48:49], s[50:51], exec
.LBB787_123:
	s_or_b64 exec, exec, s[46:47]
	s_and_b64 s[50:51], s[60:61], exec
	s_and_b64 s[46:47], s[48:49], exec
.LBB787_124:
	s_or_b64 exec, exec, s[44:45]
	s_and_b64 s[48:49], s[50:51], exec
	s_and_b64 s[44:45], s[46:47], exec
.LBB787_125:
	s_or_b64 exec, exec, s[42:43]
	s_and_b64 s[46:47], s[48:49], exec
	s_and_b64 s[42:43], s[44:45], exec
.LBB787_126:
	s_or_b64 exec, exec, s[40:41]
	s_and_b64 s[44:45], s[46:47], exec
	s_and_b64 s[40:41], s[42:43], exec
.LBB787_127:
	s_or_b64 exec, exec, s[38:39]
	s_and_b64 s[42:43], s[44:45], exec
	s_and_b64 s[38:39], s[40:41], exec
.LBB787_128:
	s_or_b64 exec, exec, s[36:37]
	s_and_b64 s[40:41], s[42:43], exec
	s_and_b64 s[36:37], s[38:39], exec
.LBB787_129:
	s_or_b64 exec, exec, s[34:35]
	s_and_b64 s[38:39], s[40:41], exec
	s_and_b64 s[34:35], s[36:37], exec
.LBB787_130:
	s_or_b64 exec, exec, s[30:31]
	s_and_b64 s[36:37], s[38:39], exec
	s_and_b64 s[30:31], s[34:35], exec
.LBB787_131:
	s_or_b64 exec, exec, s[28:29]
	s_and_b64 s[34:35], s[36:37], exec
	s_and_b64 s[28:29], s[30:31], exec
.LBB787_132:
	s_or_b64 exec, exec, s[26:27]
	s_and_b64 s[30:31], s[34:35], exec
	s_and_b64 s[26:27], s[28:29], exec
.LBB787_133:
	s_or_b64 exec, exec, s[24:25]
	s_and_b64 s[28:29], s[30:31], exec
	s_and_b64 s[24:25], s[26:27], exec
.LBB787_134:
	s_or_b64 exec, exec, s[22:23]
	s_and_b64 s[26:27], s[28:29], exec
	s_and_b64 s[22:23], s[24:25], exec
.LBB787_135:
	s_or_b64 exec, exec, s[20:21]
	s_and_b64 s[24:25], s[26:27], exec
	s_and_b64 s[20:21], s[22:23], exec
.LBB787_136:
	s_or_b64 exec, exec, s[18:19]
	s_and_b64 s[22:23], s[24:25], exec
	s_and_b64 s[18:19], s[20:21], exec
.LBB787_137:
	s_or_b64 exec, exec, s[16:17]
	s_and_b64 s[20:21], s[22:23], exec
	s_and_b64 s[16:17], s[18:19], exec
.LBB787_138:
	s_or_b64 exec, exec, s[14:15]
	s_and_b64 s[18:19], s[20:21], exec
	s_and_b64 s[14:15], s[16:17], exec
.LBB787_139:
	s_or_b64 exec, exec, s[12:13]
	s_and_b64 s[16:17], s[18:19], exec
	s_and_b64 s[12:13], s[14:15], exec
.LBB787_140:
	s_or_b64 exec, exec, s[10:11]
	s_and_b64 s[14:15], s[16:17], exec
	s_and_b64 s[10:11], s[12:13], exec
.LBB787_141:
	s_or_b64 exec, exec, s[8:9]
	s_and_b64 s[8:9], s[14:15], exec
	s_and_b64 s[10:11], s[10:11], exec
.LBB787_142:
	s_or_b64 exec, exec, s[6:7]
	s_mov_b64 s[6:7], 0
	s_and_b64 vcc, exec, s[4:5]
	v_lshlrev_b32_e32 v54, 2, v0
	s_cbranch_vccz .LBB787_148
.LBB787_143:
	v_mov_b32_e32 v55, 0
	v_lshl_add_u64 v[2:3], s[70:71], 0, v[54:55]
	v_add_co_u32_e32 v4, vcc, 0x1000, v2
	s_movk_i32 s6, 0x58
	s_nop 0
	v_addc_co_u32_e32 v5, vcc, 0, v3, vcc
	flat_load_dword v1, v[2:3]
	flat_load_dword v8, v[2:3] offset:1024
	flat_load_dword v9, v[2:3] offset:2048
	;; [unrolled: 1-line block ×3, first 2 shown]
	flat_load_dword v11, v[4:5]
	flat_load_dword v12, v[4:5] offset:1024
	flat_load_dword v13, v[4:5] offset:2048
	;; [unrolled: 1-line block ×3, first 2 shown]
	v_add_co_u32_e32 v4, vcc, 0x2000, v2
	s_movk_i32 s10, 0x1000
	s_nop 0
	v_addc_co_u32_e32 v5, vcc, 0, v3, vcc
	v_add_co_u32_e32 v6, vcc, 0x3000, v2
	s_mov_b32 s4, 0
	s_nop 0
	v_addc_co_u32_e32 v7, vcc, 0, v3, vcc
	flat_load_dword v15, v[4:5]
	flat_load_dword v16, v[4:5] offset:1024
	flat_load_dword v17, v[4:5] offset:2048
	;; [unrolled: 1-line block ×3, first 2 shown]
	flat_load_dword v19, v[6:7]
	flat_load_dword v20, v[6:7] offset:1024
	flat_load_dword v21, v[6:7] offset:2048
	;; [unrolled: 1-line block ×3, first 2 shown]
	v_add_co_u32_e32 v4, vcc, 0x4000, v2
	s_movk_i32 s9, 0x2000
	s_nop 0
	v_addc_co_u32_e32 v5, vcc, 0, v3, vcc
	v_add_co_u32_e32 v2, vcc, 0x5000, v2
	s_movk_i32 s8, 0x3000
	s_nop 0
	v_addc_co_u32_e32 v3, vcc, 0, v3, vcc
	flat_load_dword v6, v[4:5]
	flat_load_dword v7, v[4:5] offset:1024
	flat_load_dword v23, v[4:5] offset:2048
	;; [unrolled: 1-line block ×3, first 2 shown]
	flat_load_dword v25, v[2:3]
	flat_load_dword v26, v[2:3] offset:1024
	flat_load_dword v27, v[2:3] offset:2048
	v_mov_b32_e32 v2, s70
	v_mov_b32_e32 v3, s71
	v_add_co_u32_e32 v2, vcc, 0x5000, v2
	s_movk_i32 s5, 0x4000
	s_nop 0
	v_addc_co_u32_e32 v3, vcc, 0, v3, vcc
	s_movk_i32 s3, 0x5000
	s_waitcnt vmcnt(0) lgkmcnt(0)
	ds_write2st64_b32 v54, v1, v8 offset1:4
	ds_write2st64_b32 v54, v9, v10 offset0:8 offset1:12
	ds_write2st64_b32 v54, v11, v12 offset0:16 offset1:20
	ds_write2st64_b32 v54, v13, v14 offset0:24 offset1:28
	ds_write2st64_b32 v54, v15, v16 offset0:32 offset1:36
	ds_write2st64_b32 v54, v17, v18 offset0:40 offset1:44
	ds_write2st64_b32 v54, v19, v20 offset0:48 offset1:52
	ds_write2st64_b32 v54, v21, v22 offset0:56 offset1:60
	ds_write2st64_b32 v54, v6, v7 offset0:64 offset1:68
	ds_write2st64_b32 v54, v23, v24 offset0:72 offset1:76
	ds_write2st64_b32 v54, v25, v26 offset0:80 offset1:84
	ds_write_b32 v54, v27 offset:22528
	s_waitcnt lgkmcnt(0)
	s_barrier
	flat_load_dword v1, v[2:3] offset:3072
	v_mad_u32_u24 v12, v0, s6, v54
	s_movk_i32 s6, 0xffa8
	v_mad_i32_i24 v13, v0, s6, v12
	s_movk_i32 s6, 0xff
	v_cmp_ne_u32_e32 vcc, s6, v0
	ds_read2_b32 v[10:11], v12 offset1:1
	ds_read2_b32 v[14:15], v12 offset0:2 offset1:3
	ds_read2_b32 v[18:19], v12 offset0:4 offset1:5
	;; [unrolled: 1-line block ×10, first 2 shown]
	ds_read_b32 v53, v12 offset:88
	s_waitcnt lgkmcnt(0)
	ds_write_b32 v13, v10 offset:24576
	s_waitcnt lgkmcnt(0)
	s_barrier
	s_and_saveexec_b64 s[6:7], vcc
	s_cbranch_execz .LBB787_145
; %bb.144:
	s_waitcnt vmcnt(0)
	ds_read_b32 v1, v54 offset:24580
.LBB787_145:
	s_or_b64 exec, exec, s[6:7]
	v_lshl_add_u64 v[16:17], s[52:53], 0, v[54:55]
	v_add_co_u32_e32 v20, vcc, s10, v16
	s_waitcnt lgkmcnt(0)
	s_nop 0
	v_addc_co_u32_e32 v21, vcc, 0, v17, vcc
	s_barrier
	flat_load_dword v10, v[16:17]
	flat_load_dword v13, v[16:17] offset:1024
	flat_load_dword v28, v[16:17] offset:2048
	;; [unrolled: 1-line block ×3, first 2 shown]
	flat_load_dword v32, v[20:21]
	flat_load_dword v33, v[20:21] offset:1024
	flat_load_dword v36, v[20:21] offset:2048
	;; [unrolled: 1-line block ×3, first 2 shown]
	v_add_co_u32_e32 v20, vcc, s9, v16
	s_nop 1
	v_addc_co_u32_e32 v21, vcc, 0, v17, vcc
	v_add_co_u32_e32 v24, vcc, s8, v16
	s_nop 1
	v_addc_co_u32_e32 v25, vcc, 0, v17, vcc
	flat_load_dword v38, v[20:21]
	flat_load_dword v39, v[20:21] offset:1024
	flat_load_dword v40, v[20:21] offset:2048
	;; [unrolled: 1-line block ×3, first 2 shown]
	flat_load_dword v42, v[24:25]
	flat_load_dword v43, v[24:25] offset:1024
	flat_load_dword v44, v[24:25] offset:2048
	;; [unrolled: 1-line block ×3, first 2 shown]
	v_add_co_u32_e32 v20, vcc, s5, v16
	s_mov_b32 s5, 1
	s_nop 0
	v_addc_co_u32_e32 v21, vcc, 0, v17, vcc
	v_add_co_u32_e32 v16, vcc, s3, v16
	s_nop 1
	v_addc_co_u32_e32 v17, vcc, 0, v17, vcc
	flat_load_dword v24, v[20:21]
	flat_load_dword v25, v[20:21] offset:1024
	flat_load_dword v46, v[20:21] offset:2048
	;; [unrolled: 1-line block ×3, first 2 shown]
	flat_load_dword v48, v[16:17]
	flat_load_dword v49, v[16:17] offset:1024
	flat_load_dword v50, v[16:17] offset:2048
	v_cmp_eq_u32_e32 vcc, 0, v11
	s_waitcnt vmcnt(0) lgkmcnt(0)
	ds_write2st64_b32 v54, v10, v13 offset1:4
	ds_write2st64_b32 v54, v28, v29 offset0:8 offset1:12
	ds_write2st64_b32 v54, v32, v33 offset0:16 offset1:20
	;; [unrolled: 1-line block ×10, first 2 shown]
	ds_write_b32 v54, v50 offset:22528
	s_waitcnt lgkmcnt(0)
	s_barrier
	ds_read2_b32 v[16:17], v12 offset0:1 offset1:2
	ds_read2_b32 v[20:21], v12 offset0:3 offset1:4
	;; [unrolled: 1-line block ×11, first 2 shown]
	v_mov_b64_e32 v[10:11], s[4:5]
	v_mov_b32_e32 v13, s76
	s_and_saveexec_b64 s[4:5], vcc
	s_cbranch_execz .LBB787_147
; %bb.146:
	ds_read_b32 v13, v12
	v_mov_b64_e32 v[10:11], 0
.LBB787_147:
	s_or_b64 exec, exec, s[4:5]
	v_mov_b32_e32 v55, s76
	v_cmp_eq_u32_e32 vcc, 0, v14
	s_waitcnt lgkmcnt(0)
	v_or_b32_e32 v10, v10, v13
	v_cmp_ne_u32_e64 s[8:9], 0, v1
	v_cndmask_b32_e32 v12, v55, v16, vcc
	v_cmp_ne_u32_e32 vcc, 0, v14
	s_mov_b64 s[10:11], -1
                                        ; implicit-def: $sgpr6_sgpr7
	s_nop 0
	v_cndmask_b32_e64 v13, 0, 1, vcc
	v_cmp_eq_u32_e32 vcc, 0, v15
	s_nop 1
	v_cndmask_b32_e32 v14, v55, v17, vcc
	v_cmp_ne_u32_e32 vcc, 0, v15
	s_nop 1
	v_cndmask_b32_e64 v15, 0, 1, vcc
	v_cmp_eq_u32_e32 vcc, 0, v18
	s_nop 1
	v_cndmask_b32_e32 v16, v55, v20, vcc
	v_cmp_ne_u32_e32 vcc, 0, v18
	;; [unrolled: 6-line block ×18, first 2 shown]
	v_cndmask_b32_e64 v2, v57, v55, s[8:9]
	s_nop 0
	v_cndmask_b32_e64 v49, 0, 1, vcc
	v_cmp_eq_u32_e32 vcc, 0, v3
	s_nop 1
	v_cndmask_b32_e32 v50, v55, v51, vcc
	v_cmp_ne_u32_e32 vcc, 0, v3
	s_nop 1
	v_cndmask_b32_e64 v51, 0, 1, vcc
	v_cmp_eq_u32_e32 vcc, 0, v53
	s_nop 1
	v_cndmask_b32_e32 v52, v55, v56, vcc
	v_cmp_ne_u32_e32 vcc, 0, v53
	s_nop 1
	v_cndmask_b32_e64 v53, 0, 1, vcc
.LBB787_148:
	v_mov_b64_e32 v[56:57], s[6:7]
	s_and_saveexec_b64 s[4:5], s[10:11]
; %bb.149:
	v_cndmask_b32_e64 v3, 0, 1, s[8:9]
	v_mov_b64_e32 v[56:57], v[2:3]
; %bb.150:
	s_or_b64 exec, exec, s[4:5]
	s_mov_b32 s46, 0
	s_cmp_lg_u32 s2, 0
	v_or_b32_e32 v55, v57, v53
	v_lshrrev_b32_e32 v1, 5, v0
	v_cmp_gt_u32_e32 vcc, 64, v0
	s_barrier
	s_cbranch_scc0 .LBB787_185
; %bb.151:
	s_mov_b32 s47, 1
	v_cmp_gt_u64_e64 s[50:51], s[46:47], v[12:13]
	v_cmp_gt_u64_e64 s[4:5], s[46:47], v[14:15]
	v_cmp_gt_u64_e64 s[6:7], s[46:47], v[16:17]
	v_cndmask_b32_e64 v2, 0, v10, s[50:51]
	v_add_u32_e32 v2, v2, v12
	v_cndmask_b32_e64 v2, 0, v2, s[4:5]
	v_add_u32_e32 v2, v2, v14
	v_cndmask_b32_e64 v2, 0, v2, s[6:7]
	v_add_u32_e32 v2, v2, v16
	v_cmp_gt_u64_e64 s[8:9], s[46:47], v[18:19]
	v_cmp_gt_u64_e64 s[10:11], s[46:47], v[20:21]
	v_cmp_gt_u64_e64 s[12:13], s[46:47], v[22:23]
	v_cndmask_b32_e64 v2, 0, v2, s[8:9]
	v_add_u32_e32 v2, v2, v18
	v_cndmask_b32_e64 v2, 0, v2, s[10:11]
	v_add_u32_e32 v2, v2, v20
	v_cndmask_b32_e64 v2, 0, v2, s[12:13]
	v_add_u32_e32 v2, v2, v22
	;; [unrolled: 9-line block ×7, first 2 shown]
	v_cmp_gt_u64_e64 s[46:47], s[46:47], v[56:57]
	s_nop 1
	v_cndmask_b32_e64 v2, 0, v2, s[46:47]
	v_add_u32_e32 v62, v2, v56
	v_or3_b32 v2, v55, v51, v49
	v_or3_b32 v2, v2, v47, v45
	;; [unrolled: 1-line block ×10, first 2 shown]
	v_and_b32_e32 v2, 1, v2
	v_cmp_eq_u32_e64 s[46:47], 1, v2
	v_add_lshl_u32 v2, v1, v0, 3
	s_nop 0
	v_cndmask_b32_e64 v63, v11, 1, s[46:47]
	ds_write_b32 v2, v62
	ds_write_b8 v2, v63 offset:4
	s_waitcnt lgkmcnt(0)
	s_barrier
	s_and_saveexec_b64 s[48:49], vcc
	s_cbranch_execz .LBB787_163
; %bb.152:
	v_lshrrev_b32_e32 v2, 3, v0
	v_add_lshl_u32 v4, v2, v54, 3
	ds_read2_b32 v[6:7], v4 offset0:2 offset1:4
	ds_read_b64 v[2:3], v4
	ds_read_u8 v8, v4 offset:12
	ds_read_u8 v9, v4 offset:20
	ds_read_b32 v58, v4 offset:24
	ds_read_u8 v59, v4 offset:28
	v_mov_b32_e32 v60, 0
	s_waitcnt lgkmcnt(3)
	v_cmp_eq_u16_sdwa s[46:47], v8, v60 src0_sel:BYTE_0 src1_sel:DWORD
	v_and_b32_e32 v5, 1, v3
	s_nop 0
	v_cndmask_b32_e64 v61, 0, v2, s[46:47]
	v_add_u32_e32 v6, v61, v6
	s_waitcnt lgkmcnt(2)
	v_cmp_eq_u16_sdwa s[46:47], v9, v60 src0_sel:BYTE_0 src1_sel:DWORD
	s_nop 1
	v_cndmask_b32_e64 v6, 0, v6, s[46:47]
	v_add_u32_e32 v6, v6, v7
	s_waitcnt lgkmcnt(0)
	v_cmp_eq_u16_e64 s[46:47], 0, v59
	s_nop 1
	v_cndmask_b32_e64 v6, 0, v6, s[46:47]
	v_add_u32_e32 v7, v6, v58
	v_or_b32_e32 v6, v59, v9
	v_or_b32_e32 v6, v6, v8
	v_and_b32_e32 v6, 1, v6
	v_cmp_eq_u32_e64 s[46:47], 1, v6
	v_mbcnt_lo_u32_b32 v8, -1, 0
	v_and_b32_e32 v6, 0xffffff00, v3
	v_cndmask_b32_e64 v9, v5, 1, s[46:47]
	v_mbcnt_hi_u32_b32 v8, -1, v8
	v_and_b32_e32 v59, 15, v8
	v_or_b32_sdwa v58, v6, v9 dst_sel:DWORD dst_unused:UNUSED_PAD src0_sel:DWORD src1_sel:WORD_0
	v_mov_b32_dpp v60, v7 row_shr:1 row_mask:0xf bank_mask:0xf
	v_cmp_ne_u32_e64 s[46:47], 0, v59
	v_mov_b32_dpp v61, v58 row_shr:1 row_mask:0xf bank_mask:0xf
	s_and_saveexec_b64 s[52:53], s[46:47]
; %bb.153:
	v_and_b32_e32 v58, 1, v9
	v_and_b32_e32 v61, 1, v61
	v_cmp_eq_u32_e64 s[46:47], 1, v58
	s_nop 1
	v_cndmask_b32_e64 v61, v61, 1, s[46:47]
	v_cmp_eq_u16_e64 s[46:47], 0, v9
	v_or_b32_sdwa v58, v6, v61 dst_sel:DWORD dst_unused:UNUSED_PAD src0_sel:DWORD src1_sel:WORD_0
	s_nop 0
	v_cndmask_b32_e64 v9, 0, v60, s[46:47]
	v_add_u32_e32 v7, v9, v7
	v_mov_b32_e32 v9, v61
; %bb.154:
	s_or_b64 exec, exec, s[52:53]
	v_mov_b32_dpp v60, v7 row_shr:2 row_mask:0xf bank_mask:0xf
	v_mov_b32_dpp v61, v58 row_shr:2 row_mask:0xf bank_mask:0xf
	v_cmp_lt_u32_e64 s[46:47], 1, v59
	s_and_saveexec_b64 s[52:53], s[46:47]
; %bb.155:
	v_and_b32_e32 v58, 1, v9
	v_and_b32_e32 v61, 1, v61
	v_cmp_eq_u32_e64 s[46:47], 1, v58
	s_nop 1
	v_cndmask_b32_e64 v61, v61, 1, s[46:47]
	v_cmp_eq_u16_e64 s[46:47], 0, v9
	v_or_b32_sdwa v58, v6, v61 dst_sel:DWORD dst_unused:UNUSED_PAD src0_sel:DWORD src1_sel:WORD_0
	s_nop 0
	v_cndmask_b32_e64 v9, 0, v60, s[46:47]
	v_add_u32_e32 v7, v9, v7
	v_mov_b32_e32 v9, v61
; %bb.156:
	s_or_b64 exec, exec, s[52:53]
	v_mov_b32_dpp v60, v7 row_shr:4 row_mask:0xf bank_mask:0xf
	v_mov_b32_dpp v61, v58 row_shr:4 row_mask:0xf bank_mask:0xf
	v_cmp_lt_u32_e64 s[46:47], 3, v59
	;; [unrolled: 18-line block ×3, first 2 shown]
	s_and_saveexec_b64 s[52:53], s[46:47]
; %bb.159:
	v_and_b32_e32 v58, 1, v9
	v_and_b32_e32 v59, 1, v61
	v_cmp_eq_u32_e64 s[46:47], 1, v58
	s_nop 1
	v_cndmask_b32_e64 v59, v59, 1, s[46:47]
	v_cmp_eq_u16_e64 s[46:47], 0, v9
	v_or_b32_sdwa v58, v6, v59 dst_sel:DWORD dst_unused:UNUSED_PAD src0_sel:DWORD src1_sel:WORD_0
	s_nop 0
	v_cndmask_b32_e64 v9, 0, v60, s[46:47]
	v_add_u32_e32 v7, v9, v7
	v_mov_b32_e32 v9, v59
; %bb.160:
	s_or_b64 exec, exec, s[52:53]
	v_and_b32_e32 v61, 16, v8
	v_mov_b32_dpp v59, v7 row_bcast:15 row_mask:0xf bank_mask:0xf
	v_mov_b32_dpp v60, v58 row_bcast:15 row_mask:0xf bank_mask:0xf
	v_cmp_ne_u32_e64 s[46:47], 0, v61
	s_and_saveexec_b64 s[52:53], s[46:47]
; %bb.161:
	v_and_b32_e32 v58, 1, v9
	v_and_b32_e32 v60, 1, v60
	v_cmp_eq_u32_e64 s[46:47], 1, v58
	s_nop 1
	v_cndmask_b32_e64 v60, v60, 1, s[46:47]
	v_cmp_eq_u16_e64 s[46:47], 0, v9
	v_or_b32_sdwa v58, v6, v60 dst_sel:DWORD dst_unused:UNUSED_PAD src0_sel:DWORD src1_sel:WORD_0
	s_nop 0
	v_cndmask_b32_e64 v9, 0, v59, s[46:47]
	v_add_u32_e32 v7, v9, v7
	v_mov_b32_e32 v9, v60
; %bb.162:
	s_or_b64 exec, exec, s[52:53]
	v_mov_b32_dpp v58, v58 row_bcast:31 row_mask:0xf bank_mask:0xf
	v_and_b32_e32 v60, 1, v9
	v_and_b32_e32 v58, 1, v58
	v_cmp_eq_u32_e64 s[46:47], 1, v60
	v_mov_b32_e32 v60, 0
	v_cmp_eq_u16_sdwa s[52:53], v9, v60 src0_sel:BYTE_0 src1_sel:DWORD
	v_cndmask_b32_e64 v58, v58, 1, s[46:47]
	v_cmp_lt_u32_e64 s[46:47], 31, v8
	v_mov_b32_dpp v59, v7 row_bcast:31 row_mask:0xf bank_mask:0xf
	s_movk_i32 s3, 0xff
	v_cndmask_b32_e64 v9, v9, v58, s[46:47]
	s_and_b64 s[46:47], s[46:47], s[52:53]
	v_cndmask_b32_e64 v58, 0, v59, s[46:47]
	v_add_u32_e32 v7, v58, v7
	v_add_u32_e32 v58, -1, v8
	v_and_b32_e32 v59, 64, v8
	v_cmp_lt_i32_e64 s[46:47], v58, v59
	v_and_or_b32 v6, v9, s3, v6
	s_nop 0
	v_cndmask_b32_e64 v8, v58, v8, s[46:47]
	v_lshlrev_b32_e32 v8, 2, v8
	ds_bpermute_b32 v7, v8, v7
	ds_bpermute_b32 v6, v8, v6
	v_cmp_eq_u16_sdwa s[46:47], v3, v60 src0_sel:BYTE_0 src1_sel:DWORD
	; wave barrier
	s_waitcnt lgkmcnt(1)
	s_nop 0
	v_cndmask_b32_e64 v3, 0, v7, s[46:47]
	v_add_u32_e32 v2, v3, v2
	s_waitcnt lgkmcnt(0)
	v_and_b32_e32 v3, 1, v6
	v_cmp_eq_u32_e64 s[46:47], 1, v5
	s_nop 1
	v_cndmask_b32_e64 v3, v3, 1, s[46:47]
	v_cmp_eq_u32_e64 s[46:47], 0, v0
	s_nop 1
	v_cndmask_b32_e64 v5, v2, v62, s[46:47]
	v_cndmask_b32_e64 v6, v3, v63, s[46:47]
	ds_write_b32 v4, v5
	ds_write_b8 v4, v6 offset:4
	; wave barrier
	ds_read_u8 v7, v4 offset:12
	ds_read2_b32 v[2:3], v4 offset0:2 offset1:4
	ds_read_u8 v8, v4 offset:20
	ds_read_b32 v9, v4 offset:24
	ds_read_u8 v58, v4 offset:28
	s_waitcnt lgkmcnt(4)
	v_cmp_eq_u16_e64 s[46:47], 0, v7
	s_nop 1
	v_cndmask_b32_e64 v5, 0, v5, s[46:47]
	s_waitcnt lgkmcnt(3)
	v_add_u32_e32 v2, v5, v2
	v_and_b32_e32 v5, 1, v7
	v_cmp_eq_u32_e64 s[46:47], 1, v5
	s_nop 1
	v_cndmask_b32_e64 v5, v6, 1, s[46:47]
	s_waitcnt lgkmcnt(2)
	v_cmp_eq_u16_e64 s[46:47], 0, v8
	ds_write_b8 v4, v5 offset:12
	s_nop 0
	v_cndmask_b32_e64 v6, 0, v2, s[46:47]
	v_add_u32_e32 v3, v6, v3
	v_and_b32_e32 v6, 1, v8
	v_cmp_eq_u32_e64 s[46:47], 1, v6
	s_nop 1
	v_cndmask_b32_e64 v5, v5, 1, s[46:47]
	s_waitcnt lgkmcnt(1)
	v_cmp_eq_u16_e64 s[46:47], 0, v58
	ds_write2_b32 v4, v2, v3 offset0:2 offset1:4
	ds_write_b8 v4, v5 offset:20
	v_cndmask_b32_e64 v2, 0, v3, s[46:47]
	v_and_b32_e32 v3, 1, v58
	v_add_u32_e32 v2, v2, v9
	v_cmp_eq_u32_e64 s[46:47], 1, v3
	s_nop 1
	v_cndmask_b32_e64 v3, v5, 1, s[46:47]
	ds_write_b32 v4, v2 offset:24
	ds_write_b8 v4, v3 offset:28
.LBB787_163:
	s_or_b64 exec, exec, s[48:49]
	v_cmp_eq_u32_e64 s[46:47], 0, v0
	v_cmp_ne_u32_e64 s[48:49], 0, v0
	s_waitcnt lgkmcnt(0)
	s_barrier
	s_and_saveexec_b64 s[52:53], s[48:49]
	s_cbranch_execz .LBB787_165
; %bb.164:
	v_add_u32_e32 v2, -1, v0
	v_lshrrev_b32_e32 v3, 5, v2
	v_add_lshl_u32 v2, v3, v2, 3
	ds_read_b32 v62, v2
	ds_read_u8 v63, v2 offset:4
.LBB787_165:
	s_or_b64 exec, exec, s[52:53]
	s_and_saveexec_b64 s[60:61], vcc
	s_cbranch_execz .LBB787_184
; %bb.166:
	v_mov_b32_e32 v5, 0
	ds_read_b64 v[2:3], v5 offset:2096
	v_mbcnt_lo_u32_b32 v4, -1, 0
	v_mbcnt_hi_u32_b32 v73, -1, v4
	s_mov_b32 s71, 0
	v_cmp_eq_u32_e64 s[48:49], 0, v73
	s_waitcnt lgkmcnt(0)
	v_readfirstlane_b32 s3, v3
	s_and_saveexec_b64 s[52:53], s[48:49]
	s_cbranch_execz .LBB787_168
; %bb.167:
	s_add_i32 s70, s2, 64
	s_lshl_b64 s[72:73], s[70:71], 4
	s_add_u32 s72, s56, s72
	s_addc_u32 s73, s57, s73
	s_and_b32 s75, s3, 0xff000000
	s_mov_b32 s74, s71
	s_and_b32 s79, s3, 0xff0000
	s_mov_b32 s78, s71
	s_or_b64 s[74:75], s[78:79], s[74:75]
	s_and_b32 s79, s3, 0xff00
	s_or_b64 s[74:75], s[74:75], s[78:79]
	s_and_b32 s79, s3, 0xff
	s_or_b64 s[70:71], s[74:75], s[78:79]
	v_mov_b32_e32 v3, s71
	v_mov_b32_e32 v4, 1
	v_mov_b64_e32 v[6:7], s[72:73]
	;;#ASMSTART
	global_store_dwordx4 v[6:7], v[2:5] off sc1	
s_waitcnt vmcnt(0)
	;;#ASMEND
.LBB787_168:
	s_or_b64 exec, exec, s[52:53]
	v_xad_u32 v58, v73, -1, s2
	v_add_u32_e32 v4, 64, v58
	v_lshl_add_u64 v[60:61], v[4:5], 4, s[56:57]
	;;#ASMSTART
	global_load_dwordx4 v[6:9], v[60:61] off sc1	
s_waitcnt vmcnt(0)
	;;#ASMEND
	s_nop 0
	v_and_b32_e32 v3, 0xff0000, v6
	v_and_b32_e32 v4, 0xff000000, v6
	;; [unrolled: 1-line block ×3, first 2 shown]
	v_or_b32_sdwa v3, v6, v3 dst_sel:DWORD dst_unused:UNUSED_PAD src0_sel:WORD_0 src1_sel:DWORD
	v_or3_b32 v7, 0, 0, v7
	v_or3_b32 v6, v3, v4, 0
	v_cmp_eq_u16_sdwa s[70:71], v8, v5 src0_sel:BYTE_0 src1_sel:DWORD
	s_and_saveexec_b64 s[52:53], s[70:71]
	s_cbranch_execz .LBB787_172
; %bb.169:
	s_mov_b64 s[70:71], 0
	v_mov_b32_e32 v3, 0
.LBB787_170:                            ; =>This Inner Loop Header: Depth=1
	;;#ASMSTART
	global_load_dwordx4 v[6:9], v[60:61] off sc1	
s_waitcnt vmcnt(0)
	;;#ASMEND
	s_nop 0
	v_cmp_ne_u16_sdwa s[72:73], v8, v3 src0_sel:BYTE_0 src1_sel:DWORD
	s_or_b64 s[70:71], s[72:73], s[70:71]
	s_andn2_b64 exec, exec, s[70:71]
	s_cbranch_execnz .LBB787_170
; %bb.171:
	s_or_b64 exec, exec, s[70:71]
	v_and_b32_e32 v7, 0xff, v7
.LBB787_172:
	s_or_b64 exec, exec, s[52:53]
	v_mov_b32_e32 v3, 2
	v_cmp_eq_u16_sdwa s[52:53], v8, v3 src0_sel:BYTE_0 src1_sel:DWORD
	v_lshlrev_b64 v[4:5], v73, -1
	v_and_b32_e32 v64, 63, v73
	v_and_b32_e32 v9, s53, v5
	v_or_b32_e32 v9, 0x80000000, v9
	v_and_b32_e32 v59, s52, v4
	v_ffbl_b32_e32 v9, v9
	v_add_u32_e32 v9, 32, v9
	v_ffbl_b32_e32 v59, v59
	v_cmp_ne_u32_e32 vcc, 63, v64
	v_min_u32_e32 v9, v59, v9
	s_mov_b32 s70, 0
	v_addc_co_u32_e32 v59, vcc, 0, v73, vcc
	v_lshlrev_b32_e32 v65, 2, v59
	ds_bpermute_b32 v59, v65, v7
	ds_bpermute_b32 v60, v65, v6
	v_and_b32_e32 v61, 1, v7
	s_mov_b32 s71, 1
	v_cmp_eq_u32_e32 vcc, 1, v61
	s_waitcnt lgkmcnt(1)
	v_and_b32_e32 v59, 1, v59
	v_cmp_lt_u32_e64 s[52:53], v64, v9
	v_cndmask_b32_e64 v59, v59, 1, vcc
	v_cmp_gt_u64_e32 vcc, s[70:71], v[6:7]
	s_and_b64 vcc, s[52:53], vcc
	v_and_b32_e32 v61, 0xffff, v59
	v_cndmask_b32_e64 v68, v7, v59, s[52:53]
	s_waitcnt lgkmcnt(0)
	v_cndmask_b32_e32 v59, 0, v60, vcc
	v_cmp_gt_u32_e32 vcc, 62, v64
	v_cndmask_b32_e64 v7, v7, v61, s[52:53]
	v_add_u32_e32 v6, v59, v6
	v_cndmask_b32_e64 v60, 0, 1, vcc
	v_lshlrev_b32_e32 v60, 1, v60
	v_add_lshl_u32 v66, v60, v73, 2
	ds_bpermute_b32 v60, v66, v7
	ds_bpermute_b32 v61, v66, v6
	v_and_b32_e32 v59, 1, v68
	v_cmp_eq_u32_e32 vcc, 1, v59
	v_mov_b32_e32 v59, 0
	s_waitcnt lgkmcnt(1)
	v_and_b32_e32 v60, 1, v60
	v_add_u32_e32 v67, 2, v64
	v_cndmask_b32_e64 v60, v60, 1, vcc
	v_cmp_eq_u16_sdwa vcc, v68, v59 src0_sel:BYTE_0 src1_sel:DWORD
	v_and_b32_e32 v69, 0xffff, v60
	v_add_u32_e32 v77, 32, v64
	s_waitcnt lgkmcnt(0)
	v_cndmask_b32_e32 v61, 0, v61, vcc
	v_cmp_gt_u32_e32 vcc, v67, v9
	s_nop 1
	v_cndmask_b32_e32 v60, v60, v68, vcc
	v_cndmask_b32_e64 v61, v61, 0, vcc
	v_cndmask_b32_e32 v7, v69, v7, vcc
	v_cmp_gt_u32_e32 vcc, 60, v64
	v_add_u32_e32 v6, v61, v6
	v_and_b32_e32 v71, 1, v60
	v_cndmask_b32_e64 v68, 0, 1, vcc
	v_lshlrev_b32_e32 v68, 2, v68
	v_add_lshl_u32 v68, v68, v73, 2
	ds_bpermute_b32 v70, v68, v7
	ds_bpermute_b32 v61, v68, v6
	v_cmp_eq_u32_e32 vcc, 1, v71
	v_add_u32_e32 v69, 4, v64
	s_waitcnt lgkmcnt(1)
	v_and_b32_e32 v70, 1, v70
	v_cndmask_b32_e64 v70, v70, 1, vcc
	v_cmp_eq_u16_sdwa vcc, v60, v59 src0_sel:BYTE_0 src1_sel:DWORD
	v_and_b32_e32 v71, 0xffff, v70
	s_waitcnt lgkmcnt(0)
	v_cndmask_b32_e32 v61, 0, v61, vcc
	v_cmp_gt_u32_e32 vcc, v69, v9
	s_nop 1
	v_cndmask_b32_e32 v60, v70, v60, vcc
	v_cndmask_b32_e64 v61, v61, 0, vcc
	v_cndmask_b32_e32 v7, v71, v7, vcc
	v_cmp_gt_u32_e32 vcc, 56, v64
	v_add_u32_e32 v6, v61, v6
	v_and_b32_e32 v74, 1, v60
	v_cndmask_b32_e64 v70, 0, 1, vcc
	v_lshlrev_b32_e32 v70, 3, v70
	v_add_lshl_u32 v70, v70, v73, 2
	ds_bpermute_b32 v72, v70, v7
	ds_bpermute_b32 v61, v70, v6
	v_cmp_eq_u32_e32 vcc, 1, v74
	v_add_u32_e32 v71, 8, v64
	s_waitcnt lgkmcnt(1)
	v_and_b32_e32 v72, 1, v72
	v_cndmask_b32_e64 v72, v72, 1, vcc
	v_cmp_eq_u16_sdwa vcc, v60, v59 src0_sel:BYTE_0 src1_sel:DWORD
	v_and_b32_e32 v74, 0xffff, v72
	;; [unrolled: 22-line block ×3, first 2 shown]
	s_waitcnt lgkmcnt(0)
	v_cndmask_b32_e32 v61, 0, v61, vcc
	v_cmp_gt_u32_e32 vcc, v74, v9
	s_nop 1
	v_cndmask_b32_e32 v60, v75, v60, vcc
	v_cndmask_b32_e64 v61, v61, 0, vcc
	v_cndmask_b32_e32 v7, v76, v7, vcc
	v_cmp_gt_u32_e32 vcc, 32, v64
	v_add_u32_e32 v6, v61, v6
	s_nop 0
	v_cndmask_b32_e64 v75, 0, 1, vcc
	v_lshlrev_b32_e32 v75, 5, v75
	v_add_lshl_u32 v76, v75, v73, 2
	ds_bpermute_b32 v7, v76, v7
	ds_bpermute_b32 v61, v76, v6
	v_and_b32_e32 v73, 1, v60
	v_cmp_eq_u32_e32 vcc, 1, v73
	s_waitcnt lgkmcnt(1)
	v_and_b32_e32 v7, 1, v7
	v_cndmask_b32_e64 v7, v7, 1, vcc
	v_cmp_eq_u16_sdwa vcc, v60, v59 src0_sel:BYTE_0 src1_sel:DWORD
	s_waitcnt lgkmcnt(0)
	s_nop 0
	v_cndmask_b32_e32 v61, 0, v61, vcc
	v_cmp_gt_u32_e32 vcc, v77, v9
	s_nop 1
	v_cndmask_b32_e64 v9, v61, 0, vcc
	v_cndmask_b32_e32 v7, v7, v60, vcc
	v_add_u32_e32 v6, v9, v6
	s_branch .LBB787_174
.LBB787_173:                            ;   in Loop: Header=BB787_174 Depth=1
	s_or_b64 exec, exec, s[52:53]
	v_cmp_eq_u16_sdwa s[52:53], v8, v3 src0_sel:BYTE_0 src1_sel:DWORD
	ds_bpermute_b32 v61, v65, v7
	v_and_b32_e32 v78, 1, v7
	v_and_b32_e32 v9, s53, v5
	v_or_b32_e32 v9, 0x80000000, v9
	v_and_b32_e32 v60, s52, v4
	v_ffbl_b32_e32 v9, v9
	v_add_u32_e32 v9, 32, v9
	v_ffbl_b32_e32 v60, v60
	v_min_u32_e32 v9, v60, v9
	ds_bpermute_b32 v60, v65, v6
	s_waitcnt lgkmcnt(1)
	v_and_b32_e32 v61, 1, v61
	v_cmp_eq_u32_e32 vcc, 1, v78
	v_cmp_lt_u32_e64 s[52:53], v64, v9
	v_subrev_u32_e32 v58, 64, v58
	v_cndmask_b32_e64 v61, v61, 1, vcc
	v_cmp_gt_u64_e32 vcc, s[70:71], v[6:7]
	v_and_b32_e32 v78, 0xffff, v61
	v_cndmask_b32_e64 v61, v7, v61, s[52:53]
	v_cndmask_b32_e64 v7, v7, v78, s[52:53]
	s_and_b64 vcc, s[52:53], vcc
	ds_bpermute_b32 v78, v66, v7
	s_waitcnt lgkmcnt(1)
	v_cndmask_b32_e32 v60, 0, v60, vcc
	v_add_u32_e32 v6, v60, v6
	ds_bpermute_b32 v60, v66, v6
	v_and_b32_e32 v79, 1, v61
	s_waitcnt lgkmcnt(1)
	v_and_b32_e32 v78, 1, v78
	v_cmp_eq_u32_e32 vcc, 1, v79
	s_nop 1
	v_cndmask_b32_e64 v78, v78, 1, vcc
	v_cmp_eq_u16_sdwa vcc, v61, v59 src0_sel:BYTE_0 src1_sel:DWORD
	v_and_b32_e32 v79, 0xffff, v78
	s_waitcnt lgkmcnt(0)
	v_cndmask_b32_e32 v60, 0, v60, vcc
	v_cmp_gt_u32_e32 vcc, v67, v9
	s_nop 1
	v_cndmask_b32_e32 v7, v79, v7, vcc
	v_cndmask_b32_e32 v61, v78, v61, vcc
	ds_bpermute_b32 v78, v68, v7
	v_cndmask_b32_e64 v60, v60, 0, vcc
	v_add_u32_e32 v6, v60, v6
	ds_bpermute_b32 v60, v68, v6
	v_and_b32_e32 v79, 1, v61
	s_waitcnt lgkmcnt(1)
	v_and_b32_e32 v78, 1, v78
	v_cmp_eq_u32_e32 vcc, 1, v79
	s_nop 1
	v_cndmask_b32_e64 v78, v78, 1, vcc
	v_cmp_eq_u16_sdwa vcc, v61, v59 src0_sel:BYTE_0 src1_sel:DWORD
	v_and_b32_e32 v79, 0xffff, v78
	s_waitcnt lgkmcnt(0)
	v_cndmask_b32_e32 v60, 0, v60, vcc
	v_cmp_gt_u32_e32 vcc, v69, v9
	s_nop 1
	v_cndmask_b32_e32 v7, v79, v7, vcc
	v_cndmask_b32_e32 v61, v78, v61, vcc
	ds_bpermute_b32 v78, v70, v7
	v_cndmask_b32_e64 v60, v60, 0, vcc
	;; [unrolled: 18-line block ×3, first 2 shown]
	v_add_u32_e32 v6, v60, v6
	ds_bpermute_b32 v60, v72, v6
	v_and_b32_e32 v79, 1, v61
	s_waitcnt lgkmcnt(1)
	v_and_b32_e32 v78, 1, v78
	v_cmp_eq_u32_e32 vcc, 1, v79
	s_nop 1
	v_cndmask_b32_e64 v78, v78, 1, vcc
	v_cmp_eq_u16_sdwa vcc, v61, v59 src0_sel:BYTE_0 src1_sel:DWORD
	v_and_b32_e32 v79, 0xffff, v78
	s_waitcnt lgkmcnt(0)
	v_cndmask_b32_e32 v60, 0, v60, vcc
	v_cmp_gt_u32_e32 vcc, v74, v9
	s_nop 1
	v_cndmask_b32_e64 v60, v60, 0, vcc
	v_cndmask_b32_e32 v7, v79, v7, vcc
	ds_bpermute_b32 v7, v76, v7
	v_add_u32_e32 v6, v60, v6
	ds_bpermute_b32 v60, v76, v6
	v_cndmask_b32_e32 v61, v78, v61, vcc
	v_and_b32_e32 v78, 1, v61
	v_cmp_eq_u32_e32 vcc, 1, v78
	s_waitcnt lgkmcnt(1)
	s_nop 0
	v_cndmask_b32_e64 v7, v7, 1, vcc
	v_cmp_eq_u16_sdwa vcc, v61, v59 src0_sel:BYTE_0 src1_sel:DWORD
	s_waitcnt lgkmcnt(0)
	s_nop 0
	v_cndmask_b32_e32 v60, 0, v60, vcc
	v_cmp_gt_u32_e32 vcc, v77, v9
	s_nop 1
	v_cndmask_b32_e64 v9, v60, 0, vcc
	v_cndmask_b32_e32 v7, v7, v61, vcc
	v_add_u32_e32 v6, v9, v6
	v_cmp_eq_u16_sdwa vcc, v73, v59 src0_sel:BYTE_0 src1_sel:DWORD
	v_and_b32_e32 v9, 1, v73
	v_and_b32_e32 v7, 1, v7
	v_cndmask_b32_e32 v6, 0, v6, vcc
	v_cmp_eq_u32_e32 vcc, 1, v9
	v_add_u32_e32 v6, v6, v75
	s_nop 0
	v_cndmask_b32_e64 v7, v7, 1, vcc
.LBB787_174:                            ; =>This Loop Header: Depth=1
                                        ;     Child Loop BB787_177 Depth 2
	v_cmp_ne_u16_sdwa s[52:53], v8, v3 src0_sel:BYTE_0 src1_sel:DWORD
	v_mov_b32_e32 v73, v7
	v_mov_b32_e32 v75, v6
	v_cndmask_b32_e64 v7, 0, 1, s[52:53]
	;;#ASMSTART
	;;#ASMEND
	s_nop 0
	v_cmp_ne_u32_e32 vcc, 0, v7
	s_cmp_lg_u64 vcc, exec
	s_cbranch_scc1 .LBB787_179
; %bb.175:                              ;   in Loop: Header=BB787_174 Depth=1
	v_lshl_add_u64 v[60:61], v[58:59], 4, s[56:57]
	;;#ASMSTART
	global_load_dwordx4 v[6:9], v[60:61] off sc1	
s_waitcnt vmcnt(0)
	;;#ASMEND
	s_nop 0
	v_and_b32_e32 v9, 0xff0000, v6
	v_and_b32_e32 v78, 0xff000000, v6
	;; [unrolled: 1-line block ×3, first 2 shown]
	v_or_b32_sdwa v6, v6, v9 dst_sel:DWORD dst_unused:UNUSED_PAD src0_sel:WORD_0 src1_sel:DWORD
	v_or3_b32 v7, 0, 0, v7
	v_or3_b32 v6, v6, v78, 0
	v_cmp_eq_u16_sdwa s[72:73], v8, v59 src0_sel:BYTE_0 src1_sel:DWORD
	s_and_saveexec_b64 s[52:53], s[72:73]
	s_cbranch_execz .LBB787_173
; %bb.176:                              ;   in Loop: Header=BB787_174 Depth=1
	s_mov_b64 s[72:73], 0
.LBB787_177:                            ;   Parent Loop BB787_174 Depth=1
                                        ; =>  This Inner Loop Header: Depth=2
	;;#ASMSTART
	global_load_dwordx4 v[6:9], v[60:61] off sc1	
s_waitcnt vmcnt(0)
	;;#ASMEND
	s_nop 0
	v_cmp_ne_u16_sdwa s[74:75], v8, v59 src0_sel:BYTE_0 src1_sel:DWORD
	s_or_b64 s[72:73], s[74:75], s[72:73]
	s_andn2_b64 exec, exec, s[72:73]
	s_cbranch_execnz .LBB787_177
; %bb.178:                              ;   in Loop: Header=BB787_174 Depth=1
	s_or_b64 exec, exec, s[72:73]
	v_and_b32_e32 v7, 0xff, v7
	s_branch .LBB787_173
.LBB787_179:                            ;   in Loop: Header=BB787_174 Depth=1
                                        ; implicit-def: $vgpr7
                                        ; implicit-def: $vgpr6
                                        ; implicit-def: $vgpr8
	s_cbranch_execz .LBB787_174
; %bb.180:
	s_and_saveexec_b64 s[52:53], s[48:49]
	s_cbranch_execz .LBB787_182
; %bb.181:
	s_and_b32 s48, s3, 0xff
	s_cmp_eq_u32 s48, 0
	s_cselect_b64 vcc, -1, 0
	s_bitcmp1_b32 s3, 0
	s_mov_b32 s49, 0
	s_cselect_b64 s[70:71], -1, 0
	s_add_i32 s48, s2, 64
	s_lshl_b64 s[2:3], s[48:49], 4
	v_cndmask_b32_e32 v3, 0, v75, vcc
	s_add_u32 s2, s56, s2
	v_add_u32_e32 v2, v3, v2
	v_and_b32_e32 v3, 1, v73
	s_addc_u32 s3, s57, s3
	v_mov_b32_e32 v5, 0
	v_cndmask_b32_e64 v3, v3, 1, s[70:71]
	v_mov_b32_e32 v4, 2
	v_mov_b64_e32 v[6:7], s[2:3]
	;;#ASMSTART
	global_store_dwordx4 v[6:7], v[2:5] off sc1	
s_waitcnt vmcnt(0)
	;;#ASMEND
.LBB787_182:
	s_or_b64 exec, exec, s[52:53]
	s_and_b64 exec, exec, s[46:47]
	s_cbranch_execz .LBB787_184
; %bb.183:
	v_mov_b32_e32 v2, 0
	ds_write_b32 v2, v75
	ds_write_b8 v2, v73 offset:4
.LBB787_184:
	s_or_b64 exec, exec, s[60:61]
	v_mov_b32_e32 v2, 0
	s_waitcnt lgkmcnt(0)
	s_barrier
	ds_read_b32 v3, v2
	v_cmp_eq_u16_sdwa vcc, v63, v2 src0_sel:BYTE_0 src1_sel:DWORD
	s_waitcnt lgkmcnt(0)
	s_nop 0
	v_cndmask_b32_e32 v4, 0, v3, vcc
	v_add_u32_e32 v4, v4, v62
	v_cndmask_b32_e64 v58, v4, v3, s[46:47]
	v_and_b32_e32 v3, 0xff, v11
	v_cmp_eq_u64_e32 vcc, 0, v[2:3]
	s_nop 1
	v_cndmask_b32_e32 v2, 0, v58, vcc
	v_add_u32_e32 v59, v2, v10
	v_cndmask_b32_e64 v2, 0, v59, s[50:51]
	v_add_u32_e32 v60, v2, v12
	v_cndmask_b32_e64 v2, 0, v60, s[4:5]
	;; [unrolled: 2-line block ×21, first 2 shown]
	v_add_u32_e32 v80, v2, v52
	s_branch .LBB787_205
.LBB787_185:
                                        ; implicit-def: $vgpr79
                                        ; implicit-def: $vgpr78
                                        ; implicit-def: $vgpr77
                                        ; implicit-def: $vgpr76
                                        ; implicit-def: $vgpr75
                                        ; implicit-def: $vgpr74
                                        ; implicit-def: $vgpr73
                                        ; implicit-def: $vgpr72
                                        ; implicit-def: $vgpr71
                                        ; implicit-def: $vgpr70
                                        ; implicit-def: $vgpr69
                                        ; implicit-def: $vgpr68
                                        ; implicit-def: $vgpr67
                                        ; implicit-def: $vgpr66
                                        ; implicit-def: $vgpr65
                                        ; implicit-def: $vgpr64
                                        ; implicit-def: $vgpr63
                                        ; implicit-def: $vgpr62
                                        ; implicit-def: $vgpr61
                                        ; implicit-def: $vgpr60
                                        ; implicit-def: $vgpr59
                                        ; implicit-def: $vgpr58
                                        ; implicit-def: $vgpr80
	s_cbranch_execz .LBB787_205
; %bb.186:
	s_cmp_lg_u64 s[68:69], 0
	s_cselect_b32 s3, s63, 0
	s_cselect_b32 s2, s62, 0
	s_mov_b32 s44, 0
	s_cmp_eq_u64 s[2:3], 0
	v_mov_b32_e32 v4, s76
	s_cbranch_scc1 .LBB787_188
; %bb.187:
	v_mov_b32_e32 v2, 0
	global_load_dword v4, v2, s[2:3]
.LBB787_188:
	s_mov_b32 s45, 1
	v_cmp_gt_u64_e32 vcc, s[44:45], v[12:13]
	v_cmp_gt_u64_e64 s[2:3], s[44:45], v[14:15]
	v_cmp_gt_u64_e64 s[4:5], s[44:45], v[16:17]
	v_cndmask_b32_e32 v2, 0, v10, vcc
	v_add_u32_e32 v2, v2, v12
	v_cndmask_b32_e64 v2, 0, v2, s[2:3]
	v_add_u32_e32 v2, v2, v14
	v_cndmask_b32_e64 v2, 0, v2, s[4:5]
	v_add_u32_e32 v2, v2, v16
	v_cmp_gt_u64_e64 s[6:7], s[44:45], v[18:19]
	v_cmp_gt_u64_e64 s[8:9], s[44:45], v[20:21]
	v_cmp_gt_u64_e64 s[10:11], s[44:45], v[22:23]
	v_cndmask_b32_e64 v2, 0, v2, s[6:7]
	v_add_u32_e32 v2, v2, v18
	v_cndmask_b32_e64 v2, 0, v2, s[8:9]
	v_add_u32_e32 v2, v2, v20
	v_cndmask_b32_e64 v2, 0, v2, s[10:11]
	v_add_u32_e32 v2, v2, v22
	v_cmp_gt_u64_e64 s[12:13], s[44:45], v[24:25]
	v_cmp_gt_u64_e64 s[14:15], s[44:45], v[26:27]
	v_cmp_gt_u64_e64 s[16:17], s[44:45], v[28:29]
	v_cndmask_b32_e64 v2, 0, v2, s[12:13]
	;; [unrolled: 9-line block ×6, first 2 shown]
	v_add_u32_e32 v2, v2, v48
	v_cndmask_b32_e64 v2, 0, v2, s[40:41]
	v_add_u32_e32 v2, v2, v50
	v_cndmask_b32_e64 v2, 0, v2, s[42:43]
	v_add_u32_e32 v2, v2, v52
	v_cmp_gt_u64_e64 s[44:45], s[44:45], v[56:57]
	v_add_lshl_u32 v1, v1, v0, 3
	s_nop 0
	v_cndmask_b32_e64 v2, 0, v2, s[44:45]
	v_add_u32_e32 v5, v2, v56
	v_or3_b32 v2, v55, v51, v49
	v_or3_b32 v2, v2, v47, v45
	;; [unrolled: 1-line block ×10, first 2 shown]
	v_and_b32_e32 v2, 1, v2
	v_cmp_eq_u32_e64 s[44:45], 1, v2
	s_nop 1
	v_cndmask_b32_e64 v6, v11, 1, s[44:45]
	v_cmp_gt_u32_e64 s[44:45], 64, v0
	ds_write_b32 v1, v5
	ds_write_b8 v1, v6 offset:4
	s_waitcnt lgkmcnt(0)
	s_barrier
	s_and_saveexec_b64 s[46:47], s[44:45]
	s_cbranch_execz .LBB787_200
; %bb.189:
	v_lshrrev_b32_e32 v1, 3, v0
	v_add_lshl_u32 v1, v1, v54, 3
	ds_read2_b32 v[8:9], v1 offset0:2 offset1:4
	ds_read_b64 v[2:3], v1
	ds_read_u8 v13, v1 offset:12
	ds_read_u8 v15, v1 offset:20
	ds_read_b32 v17, v1 offset:24
	ds_read_u8 v19, v1 offset:28
	v_mov_b32_e32 v21, 0
	s_waitcnt lgkmcnt(3)
	v_cmp_eq_u16_sdwa s[44:45], v13, v21 src0_sel:BYTE_0 src1_sel:DWORD
	v_and_b32_e32 v7, 1, v3
	s_nop 0
	v_cndmask_b32_e64 v23, 0, v2, s[44:45]
	v_add_u32_e32 v8, v23, v8
	s_waitcnt lgkmcnt(2)
	v_cmp_eq_u16_sdwa s[44:45], v15, v21 src0_sel:BYTE_0 src1_sel:DWORD
	s_nop 1
	v_cndmask_b32_e64 v8, 0, v8, s[44:45]
	v_add_u32_e32 v8, v8, v9
	s_waitcnt lgkmcnt(0)
	v_cmp_eq_u16_e64 s[44:45], 0, v19
	s_nop 1
	v_cndmask_b32_e64 v8, 0, v8, s[44:45]
	v_add_u32_e32 v9, v8, v17
	v_or_b32_e32 v8, v19, v15
	v_or_b32_e32 v8, v8, v13
	v_and_b32_e32 v8, 1, v8
	v_cmp_eq_u32_e64 s[44:45], 1, v8
	v_mbcnt_lo_u32_b32 v13, -1, 0
	v_and_b32_e32 v8, 0xffffff00, v3
	v_cndmask_b32_e64 v15, v7, 1, s[44:45]
	v_mbcnt_hi_u32_b32 v13, -1, v13
	v_and_b32_e32 v19, 15, v13
	v_or_b32_sdwa v17, v8, v15 dst_sel:DWORD dst_unused:UNUSED_PAD src0_sel:DWORD src1_sel:WORD_0
	v_mov_b32_dpp v21, v9 row_shr:1 row_mask:0xf bank_mask:0xf
	v_cmp_ne_u32_e64 s[44:45], 0, v19
	v_mov_b32_dpp v23, v17 row_shr:1 row_mask:0xf bank_mask:0xf
	s_and_saveexec_b64 s[48:49], s[44:45]
; %bb.190:
	v_and_b32_e32 v17, 1, v15
	v_and_b32_e32 v23, 1, v23
	v_cmp_eq_u32_e64 s[44:45], 1, v17
	s_nop 1
	v_cndmask_b32_e64 v23, v23, 1, s[44:45]
	v_cmp_eq_u16_e64 s[44:45], 0, v15
	v_or_b32_sdwa v17, v8, v23 dst_sel:DWORD dst_unused:UNUSED_PAD src0_sel:DWORD src1_sel:WORD_0
	s_nop 0
	v_cndmask_b32_e64 v15, 0, v21, s[44:45]
	v_add_u32_e32 v9, v15, v9
	v_mov_b32_e32 v15, v23
; %bb.191:
	s_or_b64 exec, exec, s[48:49]
	v_mov_b32_dpp v21, v9 row_shr:2 row_mask:0xf bank_mask:0xf
	v_mov_b32_dpp v23, v17 row_shr:2 row_mask:0xf bank_mask:0xf
	v_cmp_lt_u32_e64 s[44:45], 1, v19
	s_and_saveexec_b64 s[48:49], s[44:45]
; %bb.192:
	v_and_b32_e32 v17, 1, v15
	v_and_b32_e32 v23, 1, v23
	v_cmp_eq_u32_e64 s[44:45], 1, v17
	s_nop 1
	v_cndmask_b32_e64 v23, v23, 1, s[44:45]
	v_cmp_eq_u16_e64 s[44:45], 0, v15
	v_or_b32_sdwa v17, v8, v23 dst_sel:DWORD dst_unused:UNUSED_PAD src0_sel:DWORD src1_sel:WORD_0
	s_nop 0
	v_cndmask_b32_e64 v15, 0, v21, s[44:45]
	v_add_u32_e32 v9, v15, v9
	v_mov_b32_e32 v15, v23
; %bb.193:
	s_or_b64 exec, exec, s[48:49]
	v_mov_b32_dpp v21, v9 row_shr:4 row_mask:0xf bank_mask:0xf
	v_mov_b32_dpp v23, v17 row_shr:4 row_mask:0xf bank_mask:0xf
	v_cmp_lt_u32_e64 s[44:45], 3, v19
	;; [unrolled: 18-line block ×3, first 2 shown]
	s_and_saveexec_b64 s[48:49], s[44:45]
; %bb.196:
	v_and_b32_e32 v17, 1, v15
	v_and_b32_e32 v19, 1, v23
	v_cmp_eq_u32_e64 s[44:45], 1, v17
	s_nop 1
	v_cndmask_b32_e64 v19, v19, 1, s[44:45]
	v_cmp_eq_u16_e64 s[44:45], 0, v15
	v_or_b32_sdwa v17, v8, v19 dst_sel:DWORD dst_unused:UNUSED_PAD src0_sel:DWORD src1_sel:WORD_0
	s_nop 0
	v_cndmask_b32_e64 v15, 0, v21, s[44:45]
	v_add_u32_e32 v9, v15, v9
	v_mov_b32_e32 v15, v19
; %bb.197:
	s_or_b64 exec, exec, s[48:49]
	v_and_b32_e32 v23, 16, v13
	v_mov_b32_dpp v19, v9 row_bcast:15 row_mask:0xf bank_mask:0xf
	v_mov_b32_dpp v21, v17 row_bcast:15 row_mask:0xf bank_mask:0xf
	v_cmp_ne_u32_e64 s[44:45], 0, v23
	s_and_saveexec_b64 s[48:49], s[44:45]
; %bb.198:
	v_and_b32_e32 v17, 1, v15
	v_and_b32_e32 v21, 1, v21
	v_cmp_eq_u32_e64 s[44:45], 1, v17
	s_nop 1
	v_cndmask_b32_e64 v21, v21, 1, s[44:45]
	v_cmp_eq_u16_e64 s[44:45], 0, v15
	v_or_b32_sdwa v17, v8, v21 dst_sel:DWORD dst_unused:UNUSED_PAD src0_sel:DWORD src1_sel:WORD_0
	s_nop 0
	v_cndmask_b32_e64 v15, 0, v19, s[44:45]
	v_add_u32_e32 v9, v15, v9
	v_mov_b32_e32 v15, v21
; %bb.199:
	s_or_b64 exec, exec, s[48:49]
	v_mov_b32_dpp v17, v17 row_bcast:31 row_mask:0xf bank_mask:0xf
	v_and_b32_e32 v21, 1, v15
	v_and_b32_e32 v17, 1, v17
	v_cmp_eq_u32_e64 s[44:45], 1, v21
	v_mov_b32_e32 v21, 0
	v_cmp_eq_u16_sdwa s[48:49], v15, v21 src0_sel:BYTE_0 src1_sel:DWORD
	v_cndmask_b32_e64 v17, v17, 1, s[44:45]
	v_cmp_lt_u32_e64 s[44:45], 31, v13
	v_mov_b32_dpp v19, v9 row_bcast:31 row_mask:0xf bank_mask:0xf
	s_movk_i32 s50, 0xff
	v_cndmask_b32_e64 v15, v15, v17, s[44:45]
	s_and_b64 s[44:45], s[44:45], s[48:49]
	v_cndmask_b32_e64 v17, 0, v19, s[44:45]
	v_add_u32_e32 v9, v17, v9
	v_add_u32_e32 v17, -1, v13
	v_and_b32_e32 v19, 64, v13
	v_cmp_lt_i32_e64 s[44:45], v17, v19
	v_and_or_b32 v8, v15, s50, v8
	s_nop 0
	v_cndmask_b32_e64 v13, v17, v13, s[44:45]
	v_lshlrev_b32_e32 v13, 2, v13
	ds_bpermute_b32 v9, v13, v9
	ds_bpermute_b32 v8, v13, v8
	v_cmp_eq_u16_sdwa s[44:45], v3, v21 src0_sel:BYTE_0 src1_sel:DWORD
	; wave barrier
	s_waitcnt lgkmcnt(1)
	s_nop 0
	v_cndmask_b32_e64 v3, 0, v9, s[44:45]
	v_add_u32_e32 v2, v3, v2
	s_waitcnt lgkmcnt(0)
	v_and_b32_e32 v3, 1, v8
	v_cmp_eq_u32_e64 s[44:45], 1, v7
	s_nop 1
	v_cndmask_b32_e64 v3, v3, 1, s[44:45]
	v_cmp_eq_u32_e64 s[44:45], 0, v0
	s_nop 1
	v_cndmask_b32_e64 v5, v2, v5, s[44:45]
	v_cndmask_b32_e64 v6, v3, v6, s[44:45]
	ds_write_b32 v1, v5
	ds_write_b8 v1, v6 offset:4
	; wave barrier
	ds_read_u8 v7, v1 offset:12
	ds_read2_b32 v[2:3], v1 offset0:2 offset1:4
	ds_read_u8 v8, v1 offset:20
	ds_read_b32 v9, v1 offset:24
	ds_read_u8 v13, v1 offset:28
	s_waitcnt lgkmcnt(4)
	v_cmp_eq_u16_e64 s[44:45], 0, v7
	s_nop 1
	v_cndmask_b32_e64 v5, 0, v5, s[44:45]
	s_waitcnt lgkmcnt(3)
	v_add_u32_e32 v2, v5, v2
	v_and_b32_e32 v5, 1, v7
	v_cmp_eq_u32_e64 s[44:45], 1, v5
	s_nop 1
	v_cndmask_b32_e64 v5, v6, 1, s[44:45]
	s_waitcnt lgkmcnt(2)
	v_cmp_eq_u16_e64 s[44:45], 0, v8
	ds_write_b8 v1, v5 offset:12
	s_nop 0
	v_cndmask_b32_e64 v6, 0, v2, s[44:45]
	v_add_u32_e32 v3, v6, v3
	v_and_b32_e32 v6, 1, v8
	v_cmp_eq_u32_e64 s[44:45], 1, v6
	s_nop 1
	v_cndmask_b32_e64 v5, v5, 1, s[44:45]
	s_waitcnt lgkmcnt(1)
	v_cmp_eq_u16_e64 s[44:45], 0, v13
	ds_write2_b32 v1, v2, v3 offset0:2 offset1:4
	ds_write_b8 v1, v5 offset:20
	v_cndmask_b32_e64 v2, 0, v3, s[44:45]
	v_and_b32_e32 v3, 1, v13
	v_add_u32_e32 v2, v2, v9
	v_cmp_eq_u32_e64 s[44:45], 1, v3
	s_nop 1
	v_cndmask_b32_e64 v3, v5, 1, s[44:45]
	ds_write_b32 v1, v2 offset:24
	ds_write_b8 v1, v3 offset:28
.LBB787_200:
	s_or_b64 exec, exec, s[46:47]
	v_cmp_eq_u32_e64 s[44:45], 0, v0
	v_cmp_ne_u32_e64 s[46:47], 0, v0
	s_waitcnt vmcnt(0)
	v_mov_b32_e32 v58, v4
	s_waitcnt lgkmcnt(0)
	s_barrier
	s_and_saveexec_b64 s[48:49], s[46:47]
	s_cbranch_execz .LBB787_202
; %bb.201:
	v_add_u32_e32 v1, -1, v0
	v_lshrrev_b32_e32 v2, 5, v1
	v_add_lshl_u32 v1, v2, v1, 3
	ds_read_u8 v2, v1 offset:4
	ds_read_b32 v1, v1
	s_waitcnt lgkmcnt(1)
	v_cmp_eq_u16_e64 s[46:47], 0, v2
	s_nop 1
	v_cndmask_b32_e64 v2, 0, v4, s[46:47]
	s_waitcnt lgkmcnt(0)
	v_add_u32_e32 v58, v2, v1
.LBB787_202:
	s_or_b64 exec, exec, s[48:49]
	v_and_b32_e32 v3, 0xff, v11
	v_mov_b32_e32 v2, 0
	v_cmp_eq_u64_e64 s[46:47], 0, v[2:3]
	s_nop 1
	v_cndmask_b32_e64 v1, 0, v58, s[46:47]
	v_add_u32_e32 v59, v1, v10
	v_cndmask_b32_e32 v1, 0, v59, vcc
	v_add_u32_e32 v60, v1, v12
	v_cndmask_b32_e64 v1, 0, v60, s[2:3]
	v_add_u32_e32 v61, v1, v14
	v_cndmask_b32_e64 v1, 0, v61, s[4:5]
	;; [unrolled: 2-line block ×20, first 2 shown]
	s_and_saveexec_b64 s[2:3], s[44:45]
	s_cbranch_execz .LBB787_204
; %bb.203:
	ds_read_u8 v3, v2 offset:2100
	ds_read_b32 v5, v2 offset:2096
	s_add_u32 s4, s56, 0x400
	s_addc_u32 s5, s57, 0
	v_mov_b32_e32 v6, 2
	s_waitcnt lgkmcnt(1)
	v_cmp_eq_u16_e32 vcc, 0, v3
	v_mov_b32_e32 v7, v2
	s_nop 0
	v_cndmask_b32_e32 v4, 0, v4, vcc
	s_waitcnt lgkmcnt(0)
	v_add_u32_e32 v4, v4, v5
	v_and_b32_e32 v5, 0xffff, v3
	v_mov_b64_e32 v[2:3], s[4:5]
	;;#ASMSTART
	global_store_dwordx4 v[2:3], v[4:7] off sc1	
s_waitcnt vmcnt(0)
	;;#ASMEND
.LBB787_204:
	s_or_b64 exec, exec, s[2:3]
	v_add_u32_e32 v80, v1, v52
.LBB787_205:
	s_add_u32 s2, s54, s64
	s_addc_u32 s3, s55, s65
	s_add_u32 s2, s2, s66
	s_addc_u32 s3, s3, s67
	s_and_b64 vcc, exec, s[0:1]
	s_cbranch_vccz .LBB787_251
; %bb.206:
	s_movk_i32 s0, 0x5c
	v_mul_i32_i24_e32 v26, 0xffffffa8, v0
	v_mul_u32_u24_e32 v1, 0x5c, v0
	v_mad_u32_u24 v2, v0, s0, v26
	s_barrier
	ds_write2_b32 v1, v58, v59 offset1:1
	ds_write2_b32 v1, v60, v61 offset0:2 offset1:3
	ds_write2_b32 v1, v62, v63 offset0:4 offset1:5
	ds_write2_b32 v1, v64, v65 offset0:6 offset1:7
	ds_write2_b32 v1, v66, v67 offset0:8 offset1:9
	ds_write2_b32 v1, v68, v69 offset0:10 offset1:11
	ds_write2_b32 v1, v70, v71 offset0:12 offset1:13
	ds_write2_b32 v1, v72, v73 offset0:14 offset1:15
	ds_write2_b32 v1, v74, v75 offset0:16 offset1:17
	ds_write2_b32 v1, v76, v77 offset0:18 offset1:19
	ds_write2_b32 v1, v78, v79 offset0:20 offset1:21
	ds_write_b32 v1, v80 offset:88
	s_waitcnt lgkmcnt(0)
	s_barrier
	ds_read2st64_b32 v[24:25], v2 offset0:4 offset1:8
	ds_read2st64_b32 v[22:23], v2 offset0:12 offset1:16
	;; [unrolled: 1-line block ×11, first 2 shown]
	s_add_i32 s33, s33, s58
	v_mov_b32_e32 v55, 0
	v_lshl_add_u64 v[4:5], s[2:3], 0, v[54:55]
	v_cmp_gt_u32_e32 vcc, s33, v0
	s_and_saveexec_b64 s[0:1], vcc
	s_cbranch_execz .LBB787_208
; %bb.207:
	v_add_u32_e32 v1, v1, v26
	ds_read_b32 v1, v1
	s_waitcnt lgkmcnt(0)
	flat_store_dword v[4:5], v1
.LBB787_208:
	s_or_b64 exec, exec, s[0:1]
	v_or_b32_e32 v1, 0x100, v0
	v_cmp_gt_u32_e32 vcc, s33, v1
	s_and_saveexec_b64 s[0:1], vcc
	s_cbranch_execz .LBB787_210
; %bb.209:
	s_waitcnt lgkmcnt(0)
	flat_store_dword v[4:5], v24 offset:1024
.LBB787_210:
	s_or_b64 exec, exec, s[0:1]
	v_or_b32_e32 v1, 0x200, v0
	v_cmp_gt_u32_e32 vcc, s33, v1
	s_and_saveexec_b64 s[0:1], vcc
	s_cbranch_execz .LBB787_212
; %bb.211:
	s_waitcnt lgkmcnt(0)
	flat_store_dword v[4:5], v25 offset:2048
.LBB787_212:
	;; [unrolled: 9-line block ×3, first 2 shown]
	s_or_b64 exec, exec, s[0:1]
	v_or_b32_e32 v1, 0x400, v0
	v_cmp_gt_u32_e32 vcc, s33, v1
	s_and_saveexec_b64 s[0:1], vcc
	s_cbranch_execz .LBB787_216
; %bb.215:
	s_waitcnt lgkmcnt(0)
	v_add_co_u32_e32 v24, vcc, 0x1000, v4
	s_nop 1
	v_addc_co_u32_e32 v25, vcc, 0, v5, vcc
	flat_store_dword v[24:25], v23
.LBB787_216:
	s_or_b64 exec, exec, s[0:1]
	v_or_b32_e32 v1, 0x500, v0
	v_cmp_gt_u32_e32 vcc, s33, v1
	s_and_saveexec_b64 s[0:1], vcc
	s_cbranch_execz .LBB787_218
; %bb.217:
	s_waitcnt lgkmcnt(0)
	v_add_co_u32_e32 v22, vcc, 0x1000, v4
	s_nop 1
	v_addc_co_u32_e32 v23, vcc, 0, v5, vcc
	flat_store_dword v[22:23], v20 offset:1024
.LBB787_218:
	s_or_b64 exec, exec, s[0:1]
	v_or_b32_e32 v1, 0x600, v0
	v_cmp_gt_u32_e32 vcc, s33, v1
	s_and_saveexec_b64 s[0:1], vcc
	s_cbranch_execz .LBB787_220
; %bb.219:
	s_waitcnt lgkmcnt(0)
	v_add_co_u32_e32 v22, vcc, 0x1000, v4
	s_nop 1
	v_addc_co_u32_e32 v23, vcc, 0, v5, vcc
	flat_store_dword v[22:23], v21 offset:2048
.LBB787_220:
	s_or_b64 exec, exec, s[0:1]
	v_or_b32_e32 v1, 0x700, v0
	v_cmp_gt_u32_e32 vcc, s33, v1
	s_and_saveexec_b64 s[0:1], vcc
	s_cbranch_execz .LBB787_222
; %bb.221:
	s_waitcnt lgkmcnt(0)
	v_add_co_u32_e32 v20, vcc, 0x1000, v4
	s_nop 1
	v_addc_co_u32_e32 v21, vcc, 0, v5, vcc
	flat_store_dword v[20:21], v18 offset:3072
.LBB787_222:
	s_or_b64 exec, exec, s[0:1]
	v_or_b32_e32 v1, 0x800, v0
	v_cmp_gt_u32_e32 vcc, s33, v1
	s_and_saveexec_b64 s[0:1], vcc
	s_cbranch_execz .LBB787_224
; %bb.223:
	s_waitcnt lgkmcnt(0)
	v_add_co_u32_e32 v20, vcc, 0x2000, v4
	s_nop 1
	v_addc_co_u32_e32 v21, vcc, 0, v5, vcc
	flat_store_dword v[20:21], v19
.LBB787_224:
	s_or_b64 exec, exec, s[0:1]
	v_or_b32_e32 v1, 0x900, v0
	v_cmp_gt_u32_e32 vcc, s33, v1
	s_and_saveexec_b64 s[0:1], vcc
	s_cbranch_execz .LBB787_226
; %bb.225:
	s_waitcnt lgkmcnt(0)
	v_add_co_u32_e32 v18, vcc, 0x2000, v4
	s_nop 1
	v_addc_co_u32_e32 v19, vcc, 0, v5, vcc
	flat_store_dword v[18:19], v16 offset:1024
.LBB787_226:
	s_or_b64 exec, exec, s[0:1]
	v_or_b32_e32 v1, 0xa00, v0
	v_cmp_gt_u32_e32 vcc, s33, v1
	s_and_saveexec_b64 s[0:1], vcc
	s_cbranch_execz .LBB787_228
; %bb.227:
	s_waitcnt lgkmcnt(0)
	v_add_co_u32_e32 v18, vcc, 0x2000, v4
	s_nop 1
	v_addc_co_u32_e32 v19, vcc, 0, v5, vcc
	flat_store_dword v[18:19], v17 offset:2048
.LBB787_228:
	s_or_b64 exec, exec, s[0:1]
	v_or_b32_e32 v1, 0xb00, v0
	v_cmp_gt_u32_e32 vcc, s33, v1
	s_and_saveexec_b64 s[0:1], vcc
	s_cbranch_execz .LBB787_230
; %bb.229:
	s_waitcnt lgkmcnt(0)
	v_add_co_u32_e32 v16, vcc, 0x2000, v4
	s_nop 1
	v_addc_co_u32_e32 v17, vcc, 0, v5, vcc
	flat_store_dword v[16:17], v14 offset:3072
.LBB787_230:
	;; [unrolled: 48-line block ×4, first 2 shown]
	s_or_b64 exec, exec, s[0:1]
	v_or_b32_e32 v1, 0x1400, v0
	v_cmp_gt_u32_e32 vcc, s33, v1
	s_and_saveexec_b64 s[0:1], vcc
	s_cbranch_execz .LBB787_248
; %bb.247:
	s_waitcnt lgkmcnt(0)
	v_add_co_u32_e32 v8, vcc, 0x5000, v4
	s_nop 1
	v_addc_co_u32_e32 v9, vcc, 0, v5, vcc
	flat_store_dword v[8:9], v7
.LBB787_248:
	s_or_b64 exec, exec, s[0:1]
	v_or_b32_e32 v1, 0x1500, v0
	v_cmp_gt_u32_e32 vcc, s33, v1
	s_and_saveexec_b64 s[0:1], vcc
	s_cbranch_execz .LBB787_250
; %bb.249:
	v_add_co_u32_e32 v4, vcc, 0x5000, v4
	s_nop 1
	v_addc_co_u32_e32 v5, vcc, 0, v5, vcc
	s_waitcnt lgkmcnt(0)
	flat_store_dword v[4:5], v2 offset:1024
.LBB787_250:
	s_or_b64 exec, exec, s[0:1]
	s_waitcnt lgkmcnt(0)
	v_or_b32_e32 v2, 0x1600, v0
	v_mov_b32_e32 v1, v55
	v_cmp_gt_u32_e64 s[0:1], s33, v2
	s_branch .LBB787_253
.LBB787_251:
	s_mov_b64 s[0:1], 0
                                        ; implicit-def: $vgpr3
	s_cbranch_execz .LBB787_253
; %bb.252:
	v_mul_u32_u24_e32 v1, 0x5c, v0
	s_barrier
	s_movk_i32 s4, 0x5c
	ds_write2_b32 v1, v58, v59 offset1:1
	ds_write2_b32 v1, v60, v61 offset0:2 offset1:3
	ds_write2_b32 v1, v62, v63 offset0:4 offset1:5
	;; [unrolled: 1-line block ×10, first 2 shown]
	ds_write_b32 v1, v80 offset:88
	v_mov_b32_e32 v1, 0
	v_mul_i32_i24_e32 v2, 0xffffffa8, v0
	v_mad_u32_u24 v2, v0, s4, v2
	v_mov_b32_e32 v55, v1
	s_waitcnt lgkmcnt(0)
	s_barrier
	ds_read2st64_b32 v[4:5], v2 offset1:4
	ds_read2st64_b32 v[6:7], v2 offset0:8 offset1:12
	ds_read2st64_b32 v[8:9], v2 offset0:16 offset1:20
	;; [unrolled: 1-line block ×10, first 2 shown]
	ds_read_b32 v3, v2 offset:22528
	v_lshl_add_u64 v[26:27], s[2:3], 0, v[54:55]
	s_movk_i32 s4, 0x1000
	s_waitcnt lgkmcnt(0)
	flat_store_dword v[26:27], v4
	flat_store_dword v[26:27], v5 offset:1024
	flat_store_dword v[26:27], v6 offset:2048
	;; [unrolled: 1-line block ×3, first 2 shown]
	v_add_co_u32_e32 v4, vcc, s4, v26
	s_movk_i32 s4, 0x2000
	s_nop 0
	v_addc_co_u32_e32 v5, vcc, 0, v27, vcc
	flat_store_dword v[4:5], v8
	flat_store_dword v[4:5], v9 offset:1024
	flat_store_dword v[4:5], v10 offset:2048
	;; [unrolled: 1-line block ×3, first 2 shown]
	v_add_co_u32_e32 v4, vcc, s4, v26
	s_movk_i32 s4, 0x3000
	s_nop 0
	v_addc_co_u32_e32 v5, vcc, 0, v27, vcc
	flat_store_dword v[4:5], v12
	flat_store_dword v[4:5], v13 offset:1024
	flat_store_dword v[4:5], v14 offset:2048
	;; [unrolled: 1-line block ×3, first 2 shown]
	v_add_co_u32_e32 v4, vcc, s4, v26
	s_or_b64 s[0:1], s[0:1], exec
	s_nop 0
	v_addc_co_u32_e32 v5, vcc, 0, v27, vcc
	flat_store_dword v[4:5], v16
	flat_store_dword v[4:5], v17 offset:1024
	flat_store_dword v[4:5], v18 offset:2048
	;; [unrolled: 1-line block ×3, first 2 shown]
	v_add_co_u32_e32 v4, vcc, 0x4000, v26
	s_nop 1
	v_addc_co_u32_e32 v5, vcc, 0, v27, vcc
	flat_store_dword v[4:5], v20
	flat_store_dword v[4:5], v21 offset:1024
	flat_store_dword v[4:5], v22 offset:2048
	;; [unrolled: 1-line block ×3, first 2 shown]
	v_add_co_u32_e32 v4, vcc, 0x5000, v26
	s_nop 1
	v_addc_co_u32_e32 v5, vcc, 0, v27, vcc
	flat_store_dword v[4:5], v24
	flat_store_dword v[4:5], v25 offset:1024
.LBB787_253:
	s_and_saveexec_b64 s[4:5], s[0:1]
	s_cbranch_execz .LBB787_255
; %bb.254:
	v_lshl_add_u64 v[0:1], v[0:1], 2, s[2:3]
	v_add_co_u32_e32 v0, vcc, 0x5000, v0
	s_nop 1
	v_addc_co_u32_e32 v1, vcc, 0, v1, vcc
	flat_store_dword v[0:1], v3 offset:2048
	s_endpgm
.LBB787_255:
	s_endpgm
	.section	.rodata,"a",@progbits
	.p2align	6, 0x0
	.amdhsa_kernel _ZN7rocprim17ROCPRIM_400000_NS6detail17trampoline_kernelINS0_14default_configENS1_27scan_by_key_config_selectorIiiEEZZNS1_16scan_by_key_implILNS1_25lookback_scan_determinismE0ELb1ES3_N6thrust23THRUST_200600_302600_NS6detail15normal_iteratorINS9_10device_ptrIiEEEESE_SE_iNS9_4plusIiEE19head_flag_predicateiEE10hipError_tPvRmT2_T3_T4_T5_mT6_T7_P12ihipStream_tbENKUlT_T0_E_clISt17integral_constantIbLb0EESY_EEDaST_SU_EUlST_E_NS1_11comp_targetILNS1_3genE5ELNS1_11target_archE942ELNS1_3gpuE9ELNS1_3repE0EEENS1_30default_config_static_selectorELNS0_4arch9wavefront6targetE1EEEvT1_
		.amdhsa_group_segment_fixed_size 25600
		.amdhsa_private_segment_fixed_size 0
		.amdhsa_kernarg_size 112
		.amdhsa_user_sgpr_count 2
		.amdhsa_user_sgpr_dispatch_ptr 0
		.amdhsa_user_sgpr_queue_ptr 0
		.amdhsa_user_sgpr_kernarg_segment_ptr 1
		.amdhsa_user_sgpr_dispatch_id 0
		.amdhsa_user_sgpr_kernarg_preload_length 0
		.amdhsa_user_sgpr_kernarg_preload_offset 0
		.amdhsa_user_sgpr_private_segment_size 0
		.amdhsa_uses_dynamic_stack 0
		.amdhsa_enable_private_segment 0
		.amdhsa_system_sgpr_workgroup_id_x 1
		.amdhsa_system_sgpr_workgroup_id_y 0
		.amdhsa_system_sgpr_workgroup_id_z 0
		.amdhsa_system_sgpr_workgroup_info 0
		.amdhsa_system_vgpr_workitem_id 0
		.amdhsa_next_free_vgpr 81
		.amdhsa_next_free_sgpr 80
		.amdhsa_accum_offset 84
		.amdhsa_reserve_vcc 1
		.amdhsa_float_round_mode_32 0
		.amdhsa_float_round_mode_16_64 0
		.amdhsa_float_denorm_mode_32 3
		.amdhsa_float_denorm_mode_16_64 3
		.amdhsa_dx10_clamp 1
		.amdhsa_ieee_mode 1
		.amdhsa_fp16_overflow 0
		.amdhsa_tg_split 0
		.amdhsa_exception_fp_ieee_invalid_op 0
		.amdhsa_exception_fp_denorm_src 0
		.amdhsa_exception_fp_ieee_div_zero 0
		.amdhsa_exception_fp_ieee_overflow 0
		.amdhsa_exception_fp_ieee_underflow 0
		.amdhsa_exception_fp_ieee_inexact 0
		.amdhsa_exception_int_div_zero 0
	.end_amdhsa_kernel
	.section	.text._ZN7rocprim17ROCPRIM_400000_NS6detail17trampoline_kernelINS0_14default_configENS1_27scan_by_key_config_selectorIiiEEZZNS1_16scan_by_key_implILNS1_25lookback_scan_determinismE0ELb1ES3_N6thrust23THRUST_200600_302600_NS6detail15normal_iteratorINS9_10device_ptrIiEEEESE_SE_iNS9_4plusIiEE19head_flag_predicateiEE10hipError_tPvRmT2_T3_T4_T5_mT6_T7_P12ihipStream_tbENKUlT_T0_E_clISt17integral_constantIbLb0EESY_EEDaST_SU_EUlST_E_NS1_11comp_targetILNS1_3genE5ELNS1_11target_archE942ELNS1_3gpuE9ELNS1_3repE0EEENS1_30default_config_static_selectorELNS0_4arch9wavefront6targetE1EEEvT1_,"axG",@progbits,_ZN7rocprim17ROCPRIM_400000_NS6detail17trampoline_kernelINS0_14default_configENS1_27scan_by_key_config_selectorIiiEEZZNS1_16scan_by_key_implILNS1_25lookback_scan_determinismE0ELb1ES3_N6thrust23THRUST_200600_302600_NS6detail15normal_iteratorINS9_10device_ptrIiEEEESE_SE_iNS9_4plusIiEE19head_flag_predicateiEE10hipError_tPvRmT2_T3_T4_T5_mT6_T7_P12ihipStream_tbENKUlT_T0_E_clISt17integral_constantIbLb0EESY_EEDaST_SU_EUlST_E_NS1_11comp_targetILNS1_3genE5ELNS1_11target_archE942ELNS1_3gpuE9ELNS1_3repE0EEENS1_30default_config_static_selectorELNS0_4arch9wavefront6targetE1EEEvT1_,comdat
.Lfunc_end787:
	.size	_ZN7rocprim17ROCPRIM_400000_NS6detail17trampoline_kernelINS0_14default_configENS1_27scan_by_key_config_selectorIiiEEZZNS1_16scan_by_key_implILNS1_25lookback_scan_determinismE0ELb1ES3_N6thrust23THRUST_200600_302600_NS6detail15normal_iteratorINS9_10device_ptrIiEEEESE_SE_iNS9_4plusIiEE19head_flag_predicateiEE10hipError_tPvRmT2_T3_T4_T5_mT6_T7_P12ihipStream_tbENKUlT_T0_E_clISt17integral_constantIbLb0EESY_EEDaST_SU_EUlST_E_NS1_11comp_targetILNS1_3genE5ELNS1_11target_archE942ELNS1_3gpuE9ELNS1_3repE0EEENS1_30default_config_static_selectorELNS0_4arch9wavefront6targetE1EEEvT1_, .Lfunc_end787-_ZN7rocprim17ROCPRIM_400000_NS6detail17trampoline_kernelINS0_14default_configENS1_27scan_by_key_config_selectorIiiEEZZNS1_16scan_by_key_implILNS1_25lookback_scan_determinismE0ELb1ES3_N6thrust23THRUST_200600_302600_NS6detail15normal_iteratorINS9_10device_ptrIiEEEESE_SE_iNS9_4plusIiEE19head_flag_predicateiEE10hipError_tPvRmT2_T3_T4_T5_mT6_T7_P12ihipStream_tbENKUlT_T0_E_clISt17integral_constantIbLb0EESY_EEDaST_SU_EUlST_E_NS1_11comp_targetILNS1_3genE5ELNS1_11target_archE942ELNS1_3gpuE9ELNS1_3repE0EEENS1_30default_config_static_selectorELNS0_4arch9wavefront6targetE1EEEvT1_
                                        ; -- End function
	.section	.AMDGPU.csdata,"",@progbits
; Kernel info:
; codeLenInByte = 15676
; NumSgprs: 86
; NumVgprs: 81
; NumAgprs: 0
; TotalNumVgprs: 81
; ScratchSize: 0
; MemoryBound: 0
; FloatMode: 240
; IeeeMode: 1
; LDSByteSize: 25600 bytes/workgroup (compile time only)
; SGPRBlocks: 10
; VGPRBlocks: 10
; NumSGPRsForWavesPerEU: 86
; NumVGPRsForWavesPerEU: 81
; AccumOffset: 84
; Occupancy: 2
; WaveLimiterHint : 1
; COMPUTE_PGM_RSRC2:SCRATCH_EN: 0
; COMPUTE_PGM_RSRC2:USER_SGPR: 2
; COMPUTE_PGM_RSRC2:TRAP_HANDLER: 0
; COMPUTE_PGM_RSRC2:TGID_X_EN: 1
; COMPUTE_PGM_RSRC2:TGID_Y_EN: 0
; COMPUTE_PGM_RSRC2:TGID_Z_EN: 0
; COMPUTE_PGM_RSRC2:TIDIG_COMP_CNT: 0
; COMPUTE_PGM_RSRC3_GFX90A:ACCUM_OFFSET: 20
; COMPUTE_PGM_RSRC3_GFX90A:TG_SPLIT: 0
	.section	.text._ZN7rocprim17ROCPRIM_400000_NS6detail17trampoline_kernelINS0_14default_configENS1_27scan_by_key_config_selectorIiiEEZZNS1_16scan_by_key_implILNS1_25lookback_scan_determinismE0ELb1ES3_N6thrust23THRUST_200600_302600_NS6detail15normal_iteratorINS9_10device_ptrIiEEEESE_SE_iNS9_4plusIiEE19head_flag_predicateiEE10hipError_tPvRmT2_T3_T4_T5_mT6_T7_P12ihipStream_tbENKUlT_T0_E_clISt17integral_constantIbLb0EESY_EEDaST_SU_EUlST_E_NS1_11comp_targetILNS1_3genE4ELNS1_11target_archE910ELNS1_3gpuE8ELNS1_3repE0EEENS1_30default_config_static_selectorELNS0_4arch9wavefront6targetE1EEEvT1_,"axG",@progbits,_ZN7rocprim17ROCPRIM_400000_NS6detail17trampoline_kernelINS0_14default_configENS1_27scan_by_key_config_selectorIiiEEZZNS1_16scan_by_key_implILNS1_25lookback_scan_determinismE0ELb1ES3_N6thrust23THRUST_200600_302600_NS6detail15normal_iteratorINS9_10device_ptrIiEEEESE_SE_iNS9_4plusIiEE19head_flag_predicateiEE10hipError_tPvRmT2_T3_T4_T5_mT6_T7_P12ihipStream_tbENKUlT_T0_E_clISt17integral_constantIbLb0EESY_EEDaST_SU_EUlST_E_NS1_11comp_targetILNS1_3genE4ELNS1_11target_archE910ELNS1_3gpuE8ELNS1_3repE0EEENS1_30default_config_static_selectorELNS0_4arch9wavefront6targetE1EEEvT1_,comdat
	.protected	_ZN7rocprim17ROCPRIM_400000_NS6detail17trampoline_kernelINS0_14default_configENS1_27scan_by_key_config_selectorIiiEEZZNS1_16scan_by_key_implILNS1_25lookback_scan_determinismE0ELb1ES3_N6thrust23THRUST_200600_302600_NS6detail15normal_iteratorINS9_10device_ptrIiEEEESE_SE_iNS9_4plusIiEE19head_flag_predicateiEE10hipError_tPvRmT2_T3_T4_T5_mT6_T7_P12ihipStream_tbENKUlT_T0_E_clISt17integral_constantIbLb0EESY_EEDaST_SU_EUlST_E_NS1_11comp_targetILNS1_3genE4ELNS1_11target_archE910ELNS1_3gpuE8ELNS1_3repE0EEENS1_30default_config_static_selectorELNS0_4arch9wavefront6targetE1EEEvT1_ ; -- Begin function _ZN7rocprim17ROCPRIM_400000_NS6detail17trampoline_kernelINS0_14default_configENS1_27scan_by_key_config_selectorIiiEEZZNS1_16scan_by_key_implILNS1_25lookback_scan_determinismE0ELb1ES3_N6thrust23THRUST_200600_302600_NS6detail15normal_iteratorINS9_10device_ptrIiEEEESE_SE_iNS9_4plusIiEE19head_flag_predicateiEE10hipError_tPvRmT2_T3_T4_T5_mT6_T7_P12ihipStream_tbENKUlT_T0_E_clISt17integral_constantIbLb0EESY_EEDaST_SU_EUlST_E_NS1_11comp_targetILNS1_3genE4ELNS1_11target_archE910ELNS1_3gpuE8ELNS1_3repE0EEENS1_30default_config_static_selectorELNS0_4arch9wavefront6targetE1EEEvT1_
	.globl	_ZN7rocprim17ROCPRIM_400000_NS6detail17trampoline_kernelINS0_14default_configENS1_27scan_by_key_config_selectorIiiEEZZNS1_16scan_by_key_implILNS1_25lookback_scan_determinismE0ELb1ES3_N6thrust23THRUST_200600_302600_NS6detail15normal_iteratorINS9_10device_ptrIiEEEESE_SE_iNS9_4plusIiEE19head_flag_predicateiEE10hipError_tPvRmT2_T3_T4_T5_mT6_T7_P12ihipStream_tbENKUlT_T0_E_clISt17integral_constantIbLb0EESY_EEDaST_SU_EUlST_E_NS1_11comp_targetILNS1_3genE4ELNS1_11target_archE910ELNS1_3gpuE8ELNS1_3repE0EEENS1_30default_config_static_selectorELNS0_4arch9wavefront6targetE1EEEvT1_
	.p2align	8
	.type	_ZN7rocprim17ROCPRIM_400000_NS6detail17trampoline_kernelINS0_14default_configENS1_27scan_by_key_config_selectorIiiEEZZNS1_16scan_by_key_implILNS1_25lookback_scan_determinismE0ELb1ES3_N6thrust23THRUST_200600_302600_NS6detail15normal_iteratorINS9_10device_ptrIiEEEESE_SE_iNS9_4plusIiEE19head_flag_predicateiEE10hipError_tPvRmT2_T3_T4_T5_mT6_T7_P12ihipStream_tbENKUlT_T0_E_clISt17integral_constantIbLb0EESY_EEDaST_SU_EUlST_E_NS1_11comp_targetILNS1_3genE4ELNS1_11target_archE910ELNS1_3gpuE8ELNS1_3repE0EEENS1_30default_config_static_selectorELNS0_4arch9wavefront6targetE1EEEvT1_,@function
_ZN7rocprim17ROCPRIM_400000_NS6detail17trampoline_kernelINS0_14default_configENS1_27scan_by_key_config_selectorIiiEEZZNS1_16scan_by_key_implILNS1_25lookback_scan_determinismE0ELb1ES3_N6thrust23THRUST_200600_302600_NS6detail15normal_iteratorINS9_10device_ptrIiEEEESE_SE_iNS9_4plusIiEE19head_flag_predicateiEE10hipError_tPvRmT2_T3_T4_T5_mT6_T7_P12ihipStream_tbENKUlT_T0_E_clISt17integral_constantIbLb0EESY_EEDaST_SU_EUlST_E_NS1_11comp_targetILNS1_3genE4ELNS1_11target_archE910ELNS1_3gpuE8ELNS1_3repE0EEENS1_30default_config_static_selectorELNS0_4arch9wavefront6targetE1EEEvT1_: ; @_ZN7rocprim17ROCPRIM_400000_NS6detail17trampoline_kernelINS0_14default_configENS1_27scan_by_key_config_selectorIiiEEZZNS1_16scan_by_key_implILNS1_25lookback_scan_determinismE0ELb1ES3_N6thrust23THRUST_200600_302600_NS6detail15normal_iteratorINS9_10device_ptrIiEEEESE_SE_iNS9_4plusIiEE19head_flag_predicateiEE10hipError_tPvRmT2_T3_T4_T5_mT6_T7_P12ihipStream_tbENKUlT_T0_E_clISt17integral_constantIbLb0EESY_EEDaST_SU_EUlST_E_NS1_11comp_targetILNS1_3genE4ELNS1_11target_archE910ELNS1_3gpuE8ELNS1_3repE0EEENS1_30default_config_static_selectorELNS0_4arch9wavefront6targetE1EEEvT1_
; %bb.0:
	.section	.rodata,"a",@progbits
	.p2align	6, 0x0
	.amdhsa_kernel _ZN7rocprim17ROCPRIM_400000_NS6detail17trampoline_kernelINS0_14default_configENS1_27scan_by_key_config_selectorIiiEEZZNS1_16scan_by_key_implILNS1_25lookback_scan_determinismE0ELb1ES3_N6thrust23THRUST_200600_302600_NS6detail15normal_iteratorINS9_10device_ptrIiEEEESE_SE_iNS9_4plusIiEE19head_flag_predicateiEE10hipError_tPvRmT2_T3_T4_T5_mT6_T7_P12ihipStream_tbENKUlT_T0_E_clISt17integral_constantIbLb0EESY_EEDaST_SU_EUlST_E_NS1_11comp_targetILNS1_3genE4ELNS1_11target_archE910ELNS1_3gpuE8ELNS1_3repE0EEENS1_30default_config_static_selectorELNS0_4arch9wavefront6targetE1EEEvT1_
		.amdhsa_group_segment_fixed_size 0
		.amdhsa_private_segment_fixed_size 0
		.amdhsa_kernarg_size 112
		.amdhsa_user_sgpr_count 2
		.amdhsa_user_sgpr_dispatch_ptr 0
		.amdhsa_user_sgpr_queue_ptr 0
		.amdhsa_user_sgpr_kernarg_segment_ptr 1
		.amdhsa_user_sgpr_dispatch_id 0
		.amdhsa_user_sgpr_kernarg_preload_length 0
		.amdhsa_user_sgpr_kernarg_preload_offset 0
		.amdhsa_user_sgpr_private_segment_size 0
		.amdhsa_uses_dynamic_stack 0
		.amdhsa_enable_private_segment 0
		.amdhsa_system_sgpr_workgroup_id_x 1
		.amdhsa_system_sgpr_workgroup_id_y 0
		.amdhsa_system_sgpr_workgroup_id_z 0
		.amdhsa_system_sgpr_workgroup_info 0
		.amdhsa_system_vgpr_workitem_id 0
		.amdhsa_next_free_vgpr 1
		.amdhsa_next_free_sgpr 0
		.amdhsa_accum_offset 4
		.amdhsa_reserve_vcc 0
		.amdhsa_float_round_mode_32 0
		.amdhsa_float_round_mode_16_64 0
		.amdhsa_float_denorm_mode_32 3
		.amdhsa_float_denorm_mode_16_64 3
		.amdhsa_dx10_clamp 1
		.amdhsa_ieee_mode 1
		.amdhsa_fp16_overflow 0
		.amdhsa_tg_split 0
		.amdhsa_exception_fp_ieee_invalid_op 0
		.amdhsa_exception_fp_denorm_src 0
		.amdhsa_exception_fp_ieee_div_zero 0
		.amdhsa_exception_fp_ieee_overflow 0
		.amdhsa_exception_fp_ieee_underflow 0
		.amdhsa_exception_fp_ieee_inexact 0
		.amdhsa_exception_int_div_zero 0
	.end_amdhsa_kernel
	.section	.text._ZN7rocprim17ROCPRIM_400000_NS6detail17trampoline_kernelINS0_14default_configENS1_27scan_by_key_config_selectorIiiEEZZNS1_16scan_by_key_implILNS1_25lookback_scan_determinismE0ELb1ES3_N6thrust23THRUST_200600_302600_NS6detail15normal_iteratorINS9_10device_ptrIiEEEESE_SE_iNS9_4plusIiEE19head_flag_predicateiEE10hipError_tPvRmT2_T3_T4_T5_mT6_T7_P12ihipStream_tbENKUlT_T0_E_clISt17integral_constantIbLb0EESY_EEDaST_SU_EUlST_E_NS1_11comp_targetILNS1_3genE4ELNS1_11target_archE910ELNS1_3gpuE8ELNS1_3repE0EEENS1_30default_config_static_selectorELNS0_4arch9wavefront6targetE1EEEvT1_,"axG",@progbits,_ZN7rocprim17ROCPRIM_400000_NS6detail17trampoline_kernelINS0_14default_configENS1_27scan_by_key_config_selectorIiiEEZZNS1_16scan_by_key_implILNS1_25lookback_scan_determinismE0ELb1ES3_N6thrust23THRUST_200600_302600_NS6detail15normal_iteratorINS9_10device_ptrIiEEEESE_SE_iNS9_4plusIiEE19head_flag_predicateiEE10hipError_tPvRmT2_T3_T4_T5_mT6_T7_P12ihipStream_tbENKUlT_T0_E_clISt17integral_constantIbLb0EESY_EEDaST_SU_EUlST_E_NS1_11comp_targetILNS1_3genE4ELNS1_11target_archE910ELNS1_3gpuE8ELNS1_3repE0EEENS1_30default_config_static_selectorELNS0_4arch9wavefront6targetE1EEEvT1_,comdat
.Lfunc_end788:
	.size	_ZN7rocprim17ROCPRIM_400000_NS6detail17trampoline_kernelINS0_14default_configENS1_27scan_by_key_config_selectorIiiEEZZNS1_16scan_by_key_implILNS1_25lookback_scan_determinismE0ELb1ES3_N6thrust23THRUST_200600_302600_NS6detail15normal_iteratorINS9_10device_ptrIiEEEESE_SE_iNS9_4plusIiEE19head_flag_predicateiEE10hipError_tPvRmT2_T3_T4_T5_mT6_T7_P12ihipStream_tbENKUlT_T0_E_clISt17integral_constantIbLb0EESY_EEDaST_SU_EUlST_E_NS1_11comp_targetILNS1_3genE4ELNS1_11target_archE910ELNS1_3gpuE8ELNS1_3repE0EEENS1_30default_config_static_selectorELNS0_4arch9wavefront6targetE1EEEvT1_, .Lfunc_end788-_ZN7rocprim17ROCPRIM_400000_NS6detail17trampoline_kernelINS0_14default_configENS1_27scan_by_key_config_selectorIiiEEZZNS1_16scan_by_key_implILNS1_25lookback_scan_determinismE0ELb1ES3_N6thrust23THRUST_200600_302600_NS6detail15normal_iteratorINS9_10device_ptrIiEEEESE_SE_iNS9_4plusIiEE19head_flag_predicateiEE10hipError_tPvRmT2_T3_T4_T5_mT6_T7_P12ihipStream_tbENKUlT_T0_E_clISt17integral_constantIbLb0EESY_EEDaST_SU_EUlST_E_NS1_11comp_targetILNS1_3genE4ELNS1_11target_archE910ELNS1_3gpuE8ELNS1_3repE0EEENS1_30default_config_static_selectorELNS0_4arch9wavefront6targetE1EEEvT1_
                                        ; -- End function
	.section	.AMDGPU.csdata,"",@progbits
; Kernel info:
; codeLenInByte = 0
; NumSgprs: 6
; NumVgprs: 0
; NumAgprs: 0
; TotalNumVgprs: 0
; ScratchSize: 0
; MemoryBound: 0
; FloatMode: 240
; IeeeMode: 1
; LDSByteSize: 0 bytes/workgroup (compile time only)
; SGPRBlocks: 0
; VGPRBlocks: 0
; NumSGPRsForWavesPerEU: 6
; NumVGPRsForWavesPerEU: 1
; AccumOffset: 4
; Occupancy: 8
; WaveLimiterHint : 0
; COMPUTE_PGM_RSRC2:SCRATCH_EN: 0
; COMPUTE_PGM_RSRC2:USER_SGPR: 2
; COMPUTE_PGM_RSRC2:TRAP_HANDLER: 0
; COMPUTE_PGM_RSRC2:TGID_X_EN: 1
; COMPUTE_PGM_RSRC2:TGID_Y_EN: 0
; COMPUTE_PGM_RSRC2:TGID_Z_EN: 0
; COMPUTE_PGM_RSRC2:TIDIG_COMP_CNT: 0
; COMPUTE_PGM_RSRC3_GFX90A:ACCUM_OFFSET: 0
; COMPUTE_PGM_RSRC3_GFX90A:TG_SPLIT: 0
	.section	.text._ZN7rocprim17ROCPRIM_400000_NS6detail17trampoline_kernelINS0_14default_configENS1_27scan_by_key_config_selectorIiiEEZZNS1_16scan_by_key_implILNS1_25lookback_scan_determinismE0ELb1ES3_N6thrust23THRUST_200600_302600_NS6detail15normal_iteratorINS9_10device_ptrIiEEEESE_SE_iNS9_4plusIiEE19head_flag_predicateiEE10hipError_tPvRmT2_T3_T4_T5_mT6_T7_P12ihipStream_tbENKUlT_T0_E_clISt17integral_constantIbLb0EESY_EEDaST_SU_EUlST_E_NS1_11comp_targetILNS1_3genE3ELNS1_11target_archE908ELNS1_3gpuE7ELNS1_3repE0EEENS1_30default_config_static_selectorELNS0_4arch9wavefront6targetE1EEEvT1_,"axG",@progbits,_ZN7rocprim17ROCPRIM_400000_NS6detail17trampoline_kernelINS0_14default_configENS1_27scan_by_key_config_selectorIiiEEZZNS1_16scan_by_key_implILNS1_25lookback_scan_determinismE0ELb1ES3_N6thrust23THRUST_200600_302600_NS6detail15normal_iteratorINS9_10device_ptrIiEEEESE_SE_iNS9_4plusIiEE19head_flag_predicateiEE10hipError_tPvRmT2_T3_T4_T5_mT6_T7_P12ihipStream_tbENKUlT_T0_E_clISt17integral_constantIbLb0EESY_EEDaST_SU_EUlST_E_NS1_11comp_targetILNS1_3genE3ELNS1_11target_archE908ELNS1_3gpuE7ELNS1_3repE0EEENS1_30default_config_static_selectorELNS0_4arch9wavefront6targetE1EEEvT1_,comdat
	.protected	_ZN7rocprim17ROCPRIM_400000_NS6detail17trampoline_kernelINS0_14default_configENS1_27scan_by_key_config_selectorIiiEEZZNS1_16scan_by_key_implILNS1_25lookback_scan_determinismE0ELb1ES3_N6thrust23THRUST_200600_302600_NS6detail15normal_iteratorINS9_10device_ptrIiEEEESE_SE_iNS9_4plusIiEE19head_flag_predicateiEE10hipError_tPvRmT2_T3_T4_T5_mT6_T7_P12ihipStream_tbENKUlT_T0_E_clISt17integral_constantIbLb0EESY_EEDaST_SU_EUlST_E_NS1_11comp_targetILNS1_3genE3ELNS1_11target_archE908ELNS1_3gpuE7ELNS1_3repE0EEENS1_30default_config_static_selectorELNS0_4arch9wavefront6targetE1EEEvT1_ ; -- Begin function _ZN7rocprim17ROCPRIM_400000_NS6detail17trampoline_kernelINS0_14default_configENS1_27scan_by_key_config_selectorIiiEEZZNS1_16scan_by_key_implILNS1_25lookback_scan_determinismE0ELb1ES3_N6thrust23THRUST_200600_302600_NS6detail15normal_iteratorINS9_10device_ptrIiEEEESE_SE_iNS9_4plusIiEE19head_flag_predicateiEE10hipError_tPvRmT2_T3_T4_T5_mT6_T7_P12ihipStream_tbENKUlT_T0_E_clISt17integral_constantIbLb0EESY_EEDaST_SU_EUlST_E_NS1_11comp_targetILNS1_3genE3ELNS1_11target_archE908ELNS1_3gpuE7ELNS1_3repE0EEENS1_30default_config_static_selectorELNS0_4arch9wavefront6targetE1EEEvT1_
	.globl	_ZN7rocprim17ROCPRIM_400000_NS6detail17trampoline_kernelINS0_14default_configENS1_27scan_by_key_config_selectorIiiEEZZNS1_16scan_by_key_implILNS1_25lookback_scan_determinismE0ELb1ES3_N6thrust23THRUST_200600_302600_NS6detail15normal_iteratorINS9_10device_ptrIiEEEESE_SE_iNS9_4plusIiEE19head_flag_predicateiEE10hipError_tPvRmT2_T3_T4_T5_mT6_T7_P12ihipStream_tbENKUlT_T0_E_clISt17integral_constantIbLb0EESY_EEDaST_SU_EUlST_E_NS1_11comp_targetILNS1_3genE3ELNS1_11target_archE908ELNS1_3gpuE7ELNS1_3repE0EEENS1_30default_config_static_selectorELNS0_4arch9wavefront6targetE1EEEvT1_
	.p2align	8
	.type	_ZN7rocprim17ROCPRIM_400000_NS6detail17trampoline_kernelINS0_14default_configENS1_27scan_by_key_config_selectorIiiEEZZNS1_16scan_by_key_implILNS1_25lookback_scan_determinismE0ELb1ES3_N6thrust23THRUST_200600_302600_NS6detail15normal_iteratorINS9_10device_ptrIiEEEESE_SE_iNS9_4plusIiEE19head_flag_predicateiEE10hipError_tPvRmT2_T3_T4_T5_mT6_T7_P12ihipStream_tbENKUlT_T0_E_clISt17integral_constantIbLb0EESY_EEDaST_SU_EUlST_E_NS1_11comp_targetILNS1_3genE3ELNS1_11target_archE908ELNS1_3gpuE7ELNS1_3repE0EEENS1_30default_config_static_selectorELNS0_4arch9wavefront6targetE1EEEvT1_,@function
_ZN7rocprim17ROCPRIM_400000_NS6detail17trampoline_kernelINS0_14default_configENS1_27scan_by_key_config_selectorIiiEEZZNS1_16scan_by_key_implILNS1_25lookback_scan_determinismE0ELb1ES3_N6thrust23THRUST_200600_302600_NS6detail15normal_iteratorINS9_10device_ptrIiEEEESE_SE_iNS9_4plusIiEE19head_flag_predicateiEE10hipError_tPvRmT2_T3_T4_T5_mT6_T7_P12ihipStream_tbENKUlT_T0_E_clISt17integral_constantIbLb0EESY_EEDaST_SU_EUlST_E_NS1_11comp_targetILNS1_3genE3ELNS1_11target_archE908ELNS1_3gpuE7ELNS1_3repE0EEENS1_30default_config_static_selectorELNS0_4arch9wavefront6targetE1EEEvT1_: ; @_ZN7rocprim17ROCPRIM_400000_NS6detail17trampoline_kernelINS0_14default_configENS1_27scan_by_key_config_selectorIiiEEZZNS1_16scan_by_key_implILNS1_25lookback_scan_determinismE0ELb1ES3_N6thrust23THRUST_200600_302600_NS6detail15normal_iteratorINS9_10device_ptrIiEEEESE_SE_iNS9_4plusIiEE19head_flag_predicateiEE10hipError_tPvRmT2_T3_T4_T5_mT6_T7_P12ihipStream_tbENKUlT_T0_E_clISt17integral_constantIbLb0EESY_EEDaST_SU_EUlST_E_NS1_11comp_targetILNS1_3genE3ELNS1_11target_archE908ELNS1_3gpuE7ELNS1_3repE0EEENS1_30default_config_static_selectorELNS0_4arch9wavefront6targetE1EEEvT1_
; %bb.0:
	.section	.rodata,"a",@progbits
	.p2align	6, 0x0
	.amdhsa_kernel _ZN7rocprim17ROCPRIM_400000_NS6detail17trampoline_kernelINS0_14default_configENS1_27scan_by_key_config_selectorIiiEEZZNS1_16scan_by_key_implILNS1_25lookback_scan_determinismE0ELb1ES3_N6thrust23THRUST_200600_302600_NS6detail15normal_iteratorINS9_10device_ptrIiEEEESE_SE_iNS9_4plusIiEE19head_flag_predicateiEE10hipError_tPvRmT2_T3_T4_T5_mT6_T7_P12ihipStream_tbENKUlT_T0_E_clISt17integral_constantIbLb0EESY_EEDaST_SU_EUlST_E_NS1_11comp_targetILNS1_3genE3ELNS1_11target_archE908ELNS1_3gpuE7ELNS1_3repE0EEENS1_30default_config_static_selectorELNS0_4arch9wavefront6targetE1EEEvT1_
		.amdhsa_group_segment_fixed_size 0
		.amdhsa_private_segment_fixed_size 0
		.amdhsa_kernarg_size 112
		.amdhsa_user_sgpr_count 2
		.amdhsa_user_sgpr_dispatch_ptr 0
		.amdhsa_user_sgpr_queue_ptr 0
		.amdhsa_user_sgpr_kernarg_segment_ptr 1
		.amdhsa_user_sgpr_dispatch_id 0
		.amdhsa_user_sgpr_kernarg_preload_length 0
		.amdhsa_user_sgpr_kernarg_preload_offset 0
		.amdhsa_user_sgpr_private_segment_size 0
		.amdhsa_uses_dynamic_stack 0
		.amdhsa_enable_private_segment 0
		.amdhsa_system_sgpr_workgroup_id_x 1
		.amdhsa_system_sgpr_workgroup_id_y 0
		.amdhsa_system_sgpr_workgroup_id_z 0
		.amdhsa_system_sgpr_workgroup_info 0
		.amdhsa_system_vgpr_workitem_id 0
		.amdhsa_next_free_vgpr 1
		.amdhsa_next_free_sgpr 0
		.amdhsa_accum_offset 4
		.amdhsa_reserve_vcc 0
		.amdhsa_float_round_mode_32 0
		.amdhsa_float_round_mode_16_64 0
		.amdhsa_float_denorm_mode_32 3
		.amdhsa_float_denorm_mode_16_64 3
		.amdhsa_dx10_clamp 1
		.amdhsa_ieee_mode 1
		.amdhsa_fp16_overflow 0
		.amdhsa_tg_split 0
		.amdhsa_exception_fp_ieee_invalid_op 0
		.amdhsa_exception_fp_denorm_src 0
		.amdhsa_exception_fp_ieee_div_zero 0
		.amdhsa_exception_fp_ieee_overflow 0
		.amdhsa_exception_fp_ieee_underflow 0
		.amdhsa_exception_fp_ieee_inexact 0
		.amdhsa_exception_int_div_zero 0
	.end_amdhsa_kernel
	.section	.text._ZN7rocprim17ROCPRIM_400000_NS6detail17trampoline_kernelINS0_14default_configENS1_27scan_by_key_config_selectorIiiEEZZNS1_16scan_by_key_implILNS1_25lookback_scan_determinismE0ELb1ES3_N6thrust23THRUST_200600_302600_NS6detail15normal_iteratorINS9_10device_ptrIiEEEESE_SE_iNS9_4plusIiEE19head_flag_predicateiEE10hipError_tPvRmT2_T3_T4_T5_mT6_T7_P12ihipStream_tbENKUlT_T0_E_clISt17integral_constantIbLb0EESY_EEDaST_SU_EUlST_E_NS1_11comp_targetILNS1_3genE3ELNS1_11target_archE908ELNS1_3gpuE7ELNS1_3repE0EEENS1_30default_config_static_selectorELNS0_4arch9wavefront6targetE1EEEvT1_,"axG",@progbits,_ZN7rocprim17ROCPRIM_400000_NS6detail17trampoline_kernelINS0_14default_configENS1_27scan_by_key_config_selectorIiiEEZZNS1_16scan_by_key_implILNS1_25lookback_scan_determinismE0ELb1ES3_N6thrust23THRUST_200600_302600_NS6detail15normal_iteratorINS9_10device_ptrIiEEEESE_SE_iNS9_4plusIiEE19head_flag_predicateiEE10hipError_tPvRmT2_T3_T4_T5_mT6_T7_P12ihipStream_tbENKUlT_T0_E_clISt17integral_constantIbLb0EESY_EEDaST_SU_EUlST_E_NS1_11comp_targetILNS1_3genE3ELNS1_11target_archE908ELNS1_3gpuE7ELNS1_3repE0EEENS1_30default_config_static_selectorELNS0_4arch9wavefront6targetE1EEEvT1_,comdat
.Lfunc_end789:
	.size	_ZN7rocprim17ROCPRIM_400000_NS6detail17trampoline_kernelINS0_14default_configENS1_27scan_by_key_config_selectorIiiEEZZNS1_16scan_by_key_implILNS1_25lookback_scan_determinismE0ELb1ES3_N6thrust23THRUST_200600_302600_NS6detail15normal_iteratorINS9_10device_ptrIiEEEESE_SE_iNS9_4plusIiEE19head_flag_predicateiEE10hipError_tPvRmT2_T3_T4_T5_mT6_T7_P12ihipStream_tbENKUlT_T0_E_clISt17integral_constantIbLb0EESY_EEDaST_SU_EUlST_E_NS1_11comp_targetILNS1_3genE3ELNS1_11target_archE908ELNS1_3gpuE7ELNS1_3repE0EEENS1_30default_config_static_selectorELNS0_4arch9wavefront6targetE1EEEvT1_, .Lfunc_end789-_ZN7rocprim17ROCPRIM_400000_NS6detail17trampoline_kernelINS0_14default_configENS1_27scan_by_key_config_selectorIiiEEZZNS1_16scan_by_key_implILNS1_25lookback_scan_determinismE0ELb1ES3_N6thrust23THRUST_200600_302600_NS6detail15normal_iteratorINS9_10device_ptrIiEEEESE_SE_iNS9_4plusIiEE19head_flag_predicateiEE10hipError_tPvRmT2_T3_T4_T5_mT6_T7_P12ihipStream_tbENKUlT_T0_E_clISt17integral_constantIbLb0EESY_EEDaST_SU_EUlST_E_NS1_11comp_targetILNS1_3genE3ELNS1_11target_archE908ELNS1_3gpuE7ELNS1_3repE0EEENS1_30default_config_static_selectorELNS0_4arch9wavefront6targetE1EEEvT1_
                                        ; -- End function
	.section	.AMDGPU.csdata,"",@progbits
; Kernel info:
; codeLenInByte = 0
; NumSgprs: 6
; NumVgprs: 0
; NumAgprs: 0
; TotalNumVgprs: 0
; ScratchSize: 0
; MemoryBound: 0
; FloatMode: 240
; IeeeMode: 1
; LDSByteSize: 0 bytes/workgroup (compile time only)
; SGPRBlocks: 0
; VGPRBlocks: 0
; NumSGPRsForWavesPerEU: 6
; NumVGPRsForWavesPerEU: 1
; AccumOffset: 4
; Occupancy: 8
; WaveLimiterHint : 0
; COMPUTE_PGM_RSRC2:SCRATCH_EN: 0
; COMPUTE_PGM_RSRC2:USER_SGPR: 2
; COMPUTE_PGM_RSRC2:TRAP_HANDLER: 0
; COMPUTE_PGM_RSRC2:TGID_X_EN: 1
; COMPUTE_PGM_RSRC2:TGID_Y_EN: 0
; COMPUTE_PGM_RSRC2:TGID_Z_EN: 0
; COMPUTE_PGM_RSRC2:TIDIG_COMP_CNT: 0
; COMPUTE_PGM_RSRC3_GFX90A:ACCUM_OFFSET: 0
; COMPUTE_PGM_RSRC3_GFX90A:TG_SPLIT: 0
	.section	.text._ZN7rocprim17ROCPRIM_400000_NS6detail17trampoline_kernelINS0_14default_configENS1_27scan_by_key_config_selectorIiiEEZZNS1_16scan_by_key_implILNS1_25lookback_scan_determinismE0ELb1ES3_N6thrust23THRUST_200600_302600_NS6detail15normal_iteratorINS9_10device_ptrIiEEEESE_SE_iNS9_4plusIiEE19head_flag_predicateiEE10hipError_tPvRmT2_T3_T4_T5_mT6_T7_P12ihipStream_tbENKUlT_T0_E_clISt17integral_constantIbLb0EESY_EEDaST_SU_EUlST_E_NS1_11comp_targetILNS1_3genE2ELNS1_11target_archE906ELNS1_3gpuE6ELNS1_3repE0EEENS1_30default_config_static_selectorELNS0_4arch9wavefront6targetE1EEEvT1_,"axG",@progbits,_ZN7rocprim17ROCPRIM_400000_NS6detail17trampoline_kernelINS0_14default_configENS1_27scan_by_key_config_selectorIiiEEZZNS1_16scan_by_key_implILNS1_25lookback_scan_determinismE0ELb1ES3_N6thrust23THRUST_200600_302600_NS6detail15normal_iteratorINS9_10device_ptrIiEEEESE_SE_iNS9_4plusIiEE19head_flag_predicateiEE10hipError_tPvRmT2_T3_T4_T5_mT6_T7_P12ihipStream_tbENKUlT_T0_E_clISt17integral_constantIbLb0EESY_EEDaST_SU_EUlST_E_NS1_11comp_targetILNS1_3genE2ELNS1_11target_archE906ELNS1_3gpuE6ELNS1_3repE0EEENS1_30default_config_static_selectorELNS0_4arch9wavefront6targetE1EEEvT1_,comdat
	.protected	_ZN7rocprim17ROCPRIM_400000_NS6detail17trampoline_kernelINS0_14default_configENS1_27scan_by_key_config_selectorIiiEEZZNS1_16scan_by_key_implILNS1_25lookback_scan_determinismE0ELb1ES3_N6thrust23THRUST_200600_302600_NS6detail15normal_iteratorINS9_10device_ptrIiEEEESE_SE_iNS9_4plusIiEE19head_flag_predicateiEE10hipError_tPvRmT2_T3_T4_T5_mT6_T7_P12ihipStream_tbENKUlT_T0_E_clISt17integral_constantIbLb0EESY_EEDaST_SU_EUlST_E_NS1_11comp_targetILNS1_3genE2ELNS1_11target_archE906ELNS1_3gpuE6ELNS1_3repE0EEENS1_30default_config_static_selectorELNS0_4arch9wavefront6targetE1EEEvT1_ ; -- Begin function _ZN7rocprim17ROCPRIM_400000_NS6detail17trampoline_kernelINS0_14default_configENS1_27scan_by_key_config_selectorIiiEEZZNS1_16scan_by_key_implILNS1_25lookback_scan_determinismE0ELb1ES3_N6thrust23THRUST_200600_302600_NS6detail15normal_iteratorINS9_10device_ptrIiEEEESE_SE_iNS9_4plusIiEE19head_flag_predicateiEE10hipError_tPvRmT2_T3_T4_T5_mT6_T7_P12ihipStream_tbENKUlT_T0_E_clISt17integral_constantIbLb0EESY_EEDaST_SU_EUlST_E_NS1_11comp_targetILNS1_3genE2ELNS1_11target_archE906ELNS1_3gpuE6ELNS1_3repE0EEENS1_30default_config_static_selectorELNS0_4arch9wavefront6targetE1EEEvT1_
	.globl	_ZN7rocprim17ROCPRIM_400000_NS6detail17trampoline_kernelINS0_14default_configENS1_27scan_by_key_config_selectorIiiEEZZNS1_16scan_by_key_implILNS1_25lookback_scan_determinismE0ELb1ES3_N6thrust23THRUST_200600_302600_NS6detail15normal_iteratorINS9_10device_ptrIiEEEESE_SE_iNS9_4plusIiEE19head_flag_predicateiEE10hipError_tPvRmT2_T3_T4_T5_mT6_T7_P12ihipStream_tbENKUlT_T0_E_clISt17integral_constantIbLb0EESY_EEDaST_SU_EUlST_E_NS1_11comp_targetILNS1_3genE2ELNS1_11target_archE906ELNS1_3gpuE6ELNS1_3repE0EEENS1_30default_config_static_selectorELNS0_4arch9wavefront6targetE1EEEvT1_
	.p2align	8
	.type	_ZN7rocprim17ROCPRIM_400000_NS6detail17trampoline_kernelINS0_14default_configENS1_27scan_by_key_config_selectorIiiEEZZNS1_16scan_by_key_implILNS1_25lookback_scan_determinismE0ELb1ES3_N6thrust23THRUST_200600_302600_NS6detail15normal_iteratorINS9_10device_ptrIiEEEESE_SE_iNS9_4plusIiEE19head_flag_predicateiEE10hipError_tPvRmT2_T3_T4_T5_mT6_T7_P12ihipStream_tbENKUlT_T0_E_clISt17integral_constantIbLb0EESY_EEDaST_SU_EUlST_E_NS1_11comp_targetILNS1_3genE2ELNS1_11target_archE906ELNS1_3gpuE6ELNS1_3repE0EEENS1_30default_config_static_selectorELNS0_4arch9wavefront6targetE1EEEvT1_,@function
_ZN7rocprim17ROCPRIM_400000_NS6detail17trampoline_kernelINS0_14default_configENS1_27scan_by_key_config_selectorIiiEEZZNS1_16scan_by_key_implILNS1_25lookback_scan_determinismE0ELb1ES3_N6thrust23THRUST_200600_302600_NS6detail15normal_iteratorINS9_10device_ptrIiEEEESE_SE_iNS9_4plusIiEE19head_flag_predicateiEE10hipError_tPvRmT2_T3_T4_T5_mT6_T7_P12ihipStream_tbENKUlT_T0_E_clISt17integral_constantIbLb0EESY_EEDaST_SU_EUlST_E_NS1_11comp_targetILNS1_3genE2ELNS1_11target_archE906ELNS1_3gpuE6ELNS1_3repE0EEENS1_30default_config_static_selectorELNS0_4arch9wavefront6targetE1EEEvT1_: ; @_ZN7rocprim17ROCPRIM_400000_NS6detail17trampoline_kernelINS0_14default_configENS1_27scan_by_key_config_selectorIiiEEZZNS1_16scan_by_key_implILNS1_25lookback_scan_determinismE0ELb1ES3_N6thrust23THRUST_200600_302600_NS6detail15normal_iteratorINS9_10device_ptrIiEEEESE_SE_iNS9_4plusIiEE19head_flag_predicateiEE10hipError_tPvRmT2_T3_T4_T5_mT6_T7_P12ihipStream_tbENKUlT_T0_E_clISt17integral_constantIbLb0EESY_EEDaST_SU_EUlST_E_NS1_11comp_targetILNS1_3genE2ELNS1_11target_archE906ELNS1_3gpuE6ELNS1_3repE0EEENS1_30default_config_static_selectorELNS0_4arch9wavefront6targetE1EEEvT1_
; %bb.0:
	.section	.rodata,"a",@progbits
	.p2align	6, 0x0
	.amdhsa_kernel _ZN7rocprim17ROCPRIM_400000_NS6detail17trampoline_kernelINS0_14default_configENS1_27scan_by_key_config_selectorIiiEEZZNS1_16scan_by_key_implILNS1_25lookback_scan_determinismE0ELb1ES3_N6thrust23THRUST_200600_302600_NS6detail15normal_iteratorINS9_10device_ptrIiEEEESE_SE_iNS9_4plusIiEE19head_flag_predicateiEE10hipError_tPvRmT2_T3_T4_T5_mT6_T7_P12ihipStream_tbENKUlT_T0_E_clISt17integral_constantIbLb0EESY_EEDaST_SU_EUlST_E_NS1_11comp_targetILNS1_3genE2ELNS1_11target_archE906ELNS1_3gpuE6ELNS1_3repE0EEENS1_30default_config_static_selectorELNS0_4arch9wavefront6targetE1EEEvT1_
		.amdhsa_group_segment_fixed_size 0
		.amdhsa_private_segment_fixed_size 0
		.amdhsa_kernarg_size 112
		.amdhsa_user_sgpr_count 2
		.amdhsa_user_sgpr_dispatch_ptr 0
		.amdhsa_user_sgpr_queue_ptr 0
		.amdhsa_user_sgpr_kernarg_segment_ptr 1
		.amdhsa_user_sgpr_dispatch_id 0
		.amdhsa_user_sgpr_kernarg_preload_length 0
		.amdhsa_user_sgpr_kernarg_preload_offset 0
		.amdhsa_user_sgpr_private_segment_size 0
		.amdhsa_uses_dynamic_stack 0
		.amdhsa_enable_private_segment 0
		.amdhsa_system_sgpr_workgroup_id_x 1
		.amdhsa_system_sgpr_workgroup_id_y 0
		.amdhsa_system_sgpr_workgroup_id_z 0
		.amdhsa_system_sgpr_workgroup_info 0
		.amdhsa_system_vgpr_workitem_id 0
		.amdhsa_next_free_vgpr 1
		.amdhsa_next_free_sgpr 0
		.amdhsa_accum_offset 4
		.amdhsa_reserve_vcc 0
		.amdhsa_float_round_mode_32 0
		.amdhsa_float_round_mode_16_64 0
		.amdhsa_float_denorm_mode_32 3
		.amdhsa_float_denorm_mode_16_64 3
		.amdhsa_dx10_clamp 1
		.amdhsa_ieee_mode 1
		.amdhsa_fp16_overflow 0
		.amdhsa_tg_split 0
		.amdhsa_exception_fp_ieee_invalid_op 0
		.amdhsa_exception_fp_denorm_src 0
		.amdhsa_exception_fp_ieee_div_zero 0
		.amdhsa_exception_fp_ieee_overflow 0
		.amdhsa_exception_fp_ieee_underflow 0
		.amdhsa_exception_fp_ieee_inexact 0
		.amdhsa_exception_int_div_zero 0
	.end_amdhsa_kernel
	.section	.text._ZN7rocprim17ROCPRIM_400000_NS6detail17trampoline_kernelINS0_14default_configENS1_27scan_by_key_config_selectorIiiEEZZNS1_16scan_by_key_implILNS1_25lookback_scan_determinismE0ELb1ES3_N6thrust23THRUST_200600_302600_NS6detail15normal_iteratorINS9_10device_ptrIiEEEESE_SE_iNS9_4plusIiEE19head_flag_predicateiEE10hipError_tPvRmT2_T3_T4_T5_mT6_T7_P12ihipStream_tbENKUlT_T0_E_clISt17integral_constantIbLb0EESY_EEDaST_SU_EUlST_E_NS1_11comp_targetILNS1_3genE2ELNS1_11target_archE906ELNS1_3gpuE6ELNS1_3repE0EEENS1_30default_config_static_selectorELNS0_4arch9wavefront6targetE1EEEvT1_,"axG",@progbits,_ZN7rocprim17ROCPRIM_400000_NS6detail17trampoline_kernelINS0_14default_configENS1_27scan_by_key_config_selectorIiiEEZZNS1_16scan_by_key_implILNS1_25lookback_scan_determinismE0ELb1ES3_N6thrust23THRUST_200600_302600_NS6detail15normal_iteratorINS9_10device_ptrIiEEEESE_SE_iNS9_4plusIiEE19head_flag_predicateiEE10hipError_tPvRmT2_T3_T4_T5_mT6_T7_P12ihipStream_tbENKUlT_T0_E_clISt17integral_constantIbLb0EESY_EEDaST_SU_EUlST_E_NS1_11comp_targetILNS1_3genE2ELNS1_11target_archE906ELNS1_3gpuE6ELNS1_3repE0EEENS1_30default_config_static_selectorELNS0_4arch9wavefront6targetE1EEEvT1_,comdat
.Lfunc_end790:
	.size	_ZN7rocprim17ROCPRIM_400000_NS6detail17trampoline_kernelINS0_14default_configENS1_27scan_by_key_config_selectorIiiEEZZNS1_16scan_by_key_implILNS1_25lookback_scan_determinismE0ELb1ES3_N6thrust23THRUST_200600_302600_NS6detail15normal_iteratorINS9_10device_ptrIiEEEESE_SE_iNS9_4plusIiEE19head_flag_predicateiEE10hipError_tPvRmT2_T3_T4_T5_mT6_T7_P12ihipStream_tbENKUlT_T0_E_clISt17integral_constantIbLb0EESY_EEDaST_SU_EUlST_E_NS1_11comp_targetILNS1_3genE2ELNS1_11target_archE906ELNS1_3gpuE6ELNS1_3repE0EEENS1_30default_config_static_selectorELNS0_4arch9wavefront6targetE1EEEvT1_, .Lfunc_end790-_ZN7rocprim17ROCPRIM_400000_NS6detail17trampoline_kernelINS0_14default_configENS1_27scan_by_key_config_selectorIiiEEZZNS1_16scan_by_key_implILNS1_25lookback_scan_determinismE0ELb1ES3_N6thrust23THRUST_200600_302600_NS6detail15normal_iteratorINS9_10device_ptrIiEEEESE_SE_iNS9_4plusIiEE19head_flag_predicateiEE10hipError_tPvRmT2_T3_T4_T5_mT6_T7_P12ihipStream_tbENKUlT_T0_E_clISt17integral_constantIbLb0EESY_EEDaST_SU_EUlST_E_NS1_11comp_targetILNS1_3genE2ELNS1_11target_archE906ELNS1_3gpuE6ELNS1_3repE0EEENS1_30default_config_static_selectorELNS0_4arch9wavefront6targetE1EEEvT1_
                                        ; -- End function
	.section	.AMDGPU.csdata,"",@progbits
; Kernel info:
; codeLenInByte = 0
; NumSgprs: 6
; NumVgprs: 0
; NumAgprs: 0
; TotalNumVgprs: 0
; ScratchSize: 0
; MemoryBound: 0
; FloatMode: 240
; IeeeMode: 1
; LDSByteSize: 0 bytes/workgroup (compile time only)
; SGPRBlocks: 0
; VGPRBlocks: 0
; NumSGPRsForWavesPerEU: 6
; NumVGPRsForWavesPerEU: 1
; AccumOffset: 4
; Occupancy: 8
; WaveLimiterHint : 0
; COMPUTE_PGM_RSRC2:SCRATCH_EN: 0
; COMPUTE_PGM_RSRC2:USER_SGPR: 2
; COMPUTE_PGM_RSRC2:TRAP_HANDLER: 0
; COMPUTE_PGM_RSRC2:TGID_X_EN: 1
; COMPUTE_PGM_RSRC2:TGID_Y_EN: 0
; COMPUTE_PGM_RSRC2:TGID_Z_EN: 0
; COMPUTE_PGM_RSRC2:TIDIG_COMP_CNT: 0
; COMPUTE_PGM_RSRC3_GFX90A:ACCUM_OFFSET: 0
; COMPUTE_PGM_RSRC3_GFX90A:TG_SPLIT: 0
	.section	.text._ZN7rocprim17ROCPRIM_400000_NS6detail17trampoline_kernelINS0_14default_configENS1_27scan_by_key_config_selectorIiiEEZZNS1_16scan_by_key_implILNS1_25lookback_scan_determinismE0ELb1ES3_N6thrust23THRUST_200600_302600_NS6detail15normal_iteratorINS9_10device_ptrIiEEEESE_SE_iNS9_4plusIiEE19head_flag_predicateiEE10hipError_tPvRmT2_T3_T4_T5_mT6_T7_P12ihipStream_tbENKUlT_T0_E_clISt17integral_constantIbLb0EESY_EEDaST_SU_EUlST_E_NS1_11comp_targetILNS1_3genE10ELNS1_11target_archE1200ELNS1_3gpuE4ELNS1_3repE0EEENS1_30default_config_static_selectorELNS0_4arch9wavefront6targetE1EEEvT1_,"axG",@progbits,_ZN7rocprim17ROCPRIM_400000_NS6detail17trampoline_kernelINS0_14default_configENS1_27scan_by_key_config_selectorIiiEEZZNS1_16scan_by_key_implILNS1_25lookback_scan_determinismE0ELb1ES3_N6thrust23THRUST_200600_302600_NS6detail15normal_iteratorINS9_10device_ptrIiEEEESE_SE_iNS9_4plusIiEE19head_flag_predicateiEE10hipError_tPvRmT2_T3_T4_T5_mT6_T7_P12ihipStream_tbENKUlT_T0_E_clISt17integral_constantIbLb0EESY_EEDaST_SU_EUlST_E_NS1_11comp_targetILNS1_3genE10ELNS1_11target_archE1200ELNS1_3gpuE4ELNS1_3repE0EEENS1_30default_config_static_selectorELNS0_4arch9wavefront6targetE1EEEvT1_,comdat
	.protected	_ZN7rocprim17ROCPRIM_400000_NS6detail17trampoline_kernelINS0_14default_configENS1_27scan_by_key_config_selectorIiiEEZZNS1_16scan_by_key_implILNS1_25lookback_scan_determinismE0ELb1ES3_N6thrust23THRUST_200600_302600_NS6detail15normal_iteratorINS9_10device_ptrIiEEEESE_SE_iNS9_4plusIiEE19head_flag_predicateiEE10hipError_tPvRmT2_T3_T4_T5_mT6_T7_P12ihipStream_tbENKUlT_T0_E_clISt17integral_constantIbLb0EESY_EEDaST_SU_EUlST_E_NS1_11comp_targetILNS1_3genE10ELNS1_11target_archE1200ELNS1_3gpuE4ELNS1_3repE0EEENS1_30default_config_static_selectorELNS0_4arch9wavefront6targetE1EEEvT1_ ; -- Begin function _ZN7rocprim17ROCPRIM_400000_NS6detail17trampoline_kernelINS0_14default_configENS1_27scan_by_key_config_selectorIiiEEZZNS1_16scan_by_key_implILNS1_25lookback_scan_determinismE0ELb1ES3_N6thrust23THRUST_200600_302600_NS6detail15normal_iteratorINS9_10device_ptrIiEEEESE_SE_iNS9_4plusIiEE19head_flag_predicateiEE10hipError_tPvRmT2_T3_T4_T5_mT6_T7_P12ihipStream_tbENKUlT_T0_E_clISt17integral_constantIbLb0EESY_EEDaST_SU_EUlST_E_NS1_11comp_targetILNS1_3genE10ELNS1_11target_archE1200ELNS1_3gpuE4ELNS1_3repE0EEENS1_30default_config_static_selectorELNS0_4arch9wavefront6targetE1EEEvT1_
	.globl	_ZN7rocprim17ROCPRIM_400000_NS6detail17trampoline_kernelINS0_14default_configENS1_27scan_by_key_config_selectorIiiEEZZNS1_16scan_by_key_implILNS1_25lookback_scan_determinismE0ELb1ES3_N6thrust23THRUST_200600_302600_NS6detail15normal_iteratorINS9_10device_ptrIiEEEESE_SE_iNS9_4plusIiEE19head_flag_predicateiEE10hipError_tPvRmT2_T3_T4_T5_mT6_T7_P12ihipStream_tbENKUlT_T0_E_clISt17integral_constantIbLb0EESY_EEDaST_SU_EUlST_E_NS1_11comp_targetILNS1_3genE10ELNS1_11target_archE1200ELNS1_3gpuE4ELNS1_3repE0EEENS1_30default_config_static_selectorELNS0_4arch9wavefront6targetE1EEEvT1_
	.p2align	8
	.type	_ZN7rocprim17ROCPRIM_400000_NS6detail17trampoline_kernelINS0_14default_configENS1_27scan_by_key_config_selectorIiiEEZZNS1_16scan_by_key_implILNS1_25lookback_scan_determinismE0ELb1ES3_N6thrust23THRUST_200600_302600_NS6detail15normal_iteratorINS9_10device_ptrIiEEEESE_SE_iNS9_4plusIiEE19head_flag_predicateiEE10hipError_tPvRmT2_T3_T4_T5_mT6_T7_P12ihipStream_tbENKUlT_T0_E_clISt17integral_constantIbLb0EESY_EEDaST_SU_EUlST_E_NS1_11comp_targetILNS1_3genE10ELNS1_11target_archE1200ELNS1_3gpuE4ELNS1_3repE0EEENS1_30default_config_static_selectorELNS0_4arch9wavefront6targetE1EEEvT1_,@function
_ZN7rocprim17ROCPRIM_400000_NS6detail17trampoline_kernelINS0_14default_configENS1_27scan_by_key_config_selectorIiiEEZZNS1_16scan_by_key_implILNS1_25lookback_scan_determinismE0ELb1ES3_N6thrust23THRUST_200600_302600_NS6detail15normal_iteratorINS9_10device_ptrIiEEEESE_SE_iNS9_4plusIiEE19head_flag_predicateiEE10hipError_tPvRmT2_T3_T4_T5_mT6_T7_P12ihipStream_tbENKUlT_T0_E_clISt17integral_constantIbLb0EESY_EEDaST_SU_EUlST_E_NS1_11comp_targetILNS1_3genE10ELNS1_11target_archE1200ELNS1_3gpuE4ELNS1_3repE0EEENS1_30default_config_static_selectorELNS0_4arch9wavefront6targetE1EEEvT1_: ; @_ZN7rocprim17ROCPRIM_400000_NS6detail17trampoline_kernelINS0_14default_configENS1_27scan_by_key_config_selectorIiiEEZZNS1_16scan_by_key_implILNS1_25lookback_scan_determinismE0ELb1ES3_N6thrust23THRUST_200600_302600_NS6detail15normal_iteratorINS9_10device_ptrIiEEEESE_SE_iNS9_4plusIiEE19head_flag_predicateiEE10hipError_tPvRmT2_T3_T4_T5_mT6_T7_P12ihipStream_tbENKUlT_T0_E_clISt17integral_constantIbLb0EESY_EEDaST_SU_EUlST_E_NS1_11comp_targetILNS1_3genE10ELNS1_11target_archE1200ELNS1_3gpuE4ELNS1_3repE0EEENS1_30default_config_static_selectorELNS0_4arch9wavefront6targetE1EEEvT1_
; %bb.0:
	.section	.rodata,"a",@progbits
	.p2align	6, 0x0
	.amdhsa_kernel _ZN7rocprim17ROCPRIM_400000_NS6detail17trampoline_kernelINS0_14default_configENS1_27scan_by_key_config_selectorIiiEEZZNS1_16scan_by_key_implILNS1_25lookback_scan_determinismE0ELb1ES3_N6thrust23THRUST_200600_302600_NS6detail15normal_iteratorINS9_10device_ptrIiEEEESE_SE_iNS9_4plusIiEE19head_flag_predicateiEE10hipError_tPvRmT2_T3_T4_T5_mT6_T7_P12ihipStream_tbENKUlT_T0_E_clISt17integral_constantIbLb0EESY_EEDaST_SU_EUlST_E_NS1_11comp_targetILNS1_3genE10ELNS1_11target_archE1200ELNS1_3gpuE4ELNS1_3repE0EEENS1_30default_config_static_selectorELNS0_4arch9wavefront6targetE1EEEvT1_
		.amdhsa_group_segment_fixed_size 0
		.amdhsa_private_segment_fixed_size 0
		.amdhsa_kernarg_size 112
		.amdhsa_user_sgpr_count 2
		.amdhsa_user_sgpr_dispatch_ptr 0
		.amdhsa_user_sgpr_queue_ptr 0
		.amdhsa_user_sgpr_kernarg_segment_ptr 1
		.amdhsa_user_sgpr_dispatch_id 0
		.amdhsa_user_sgpr_kernarg_preload_length 0
		.amdhsa_user_sgpr_kernarg_preload_offset 0
		.amdhsa_user_sgpr_private_segment_size 0
		.amdhsa_uses_dynamic_stack 0
		.amdhsa_enable_private_segment 0
		.amdhsa_system_sgpr_workgroup_id_x 1
		.amdhsa_system_sgpr_workgroup_id_y 0
		.amdhsa_system_sgpr_workgroup_id_z 0
		.amdhsa_system_sgpr_workgroup_info 0
		.amdhsa_system_vgpr_workitem_id 0
		.amdhsa_next_free_vgpr 1
		.amdhsa_next_free_sgpr 0
		.amdhsa_accum_offset 4
		.amdhsa_reserve_vcc 0
		.amdhsa_float_round_mode_32 0
		.amdhsa_float_round_mode_16_64 0
		.amdhsa_float_denorm_mode_32 3
		.amdhsa_float_denorm_mode_16_64 3
		.amdhsa_dx10_clamp 1
		.amdhsa_ieee_mode 1
		.amdhsa_fp16_overflow 0
		.amdhsa_tg_split 0
		.amdhsa_exception_fp_ieee_invalid_op 0
		.amdhsa_exception_fp_denorm_src 0
		.amdhsa_exception_fp_ieee_div_zero 0
		.amdhsa_exception_fp_ieee_overflow 0
		.amdhsa_exception_fp_ieee_underflow 0
		.amdhsa_exception_fp_ieee_inexact 0
		.amdhsa_exception_int_div_zero 0
	.end_amdhsa_kernel
	.section	.text._ZN7rocprim17ROCPRIM_400000_NS6detail17trampoline_kernelINS0_14default_configENS1_27scan_by_key_config_selectorIiiEEZZNS1_16scan_by_key_implILNS1_25lookback_scan_determinismE0ELb1ES3_N6thrust23THRUST_200600_302600_NS6detail15normal_iteratorINS9_10device_ptrIiEEEESE_SE_iNS9_4plusIiEE19head_flag_predicateiEE10hipError_tPvRmT2_T3_T4_T5_mT6_T7_P12ihipStream_tbENKUlT_T0_E_clISt17integral_constantIbLb0EESY_EEDaST_SU_EUlST_E_NS1_11comp_targetILNS1_3genE10ELNS1_11target_archE1200ELNS1_3gpuE4ELNS1_3repE0EEENS1_30default_config_static_selectorELNS0_4arch9wavefront6targetE1EEEvT1_,"axG",@progbits,_ZN7rocprim17ROCPRIM_400000_NS6detail17trampoline_kernelINS0_14default_configENS1_27scan_by_key_config_selectorIiiEEZZNS1_16scan_by_key_implILNS1_25lookback_scan_determinismE0ELb1ES3_N6thrust23THRUST_200600_302600_NS6detail15normal_iteratorINS9_10device_ptrIiEEEESE_SE_iNS9_4plusIiEE19head_flag_predicateiEE10hipError_tPvRmT2_T3_T4_T5_mT6_T7_P12ihipStream_tbENKUlT_T0_E_clISt17integral_constantIbLb0EESY_EEDaST_SU_EUlST_E_NS1_11comp_targetILNS1_3genE10ELNS1_11target_archE1200ELNS1_3gpuE4ELNS1_3repE0EEENS1_30default_config_static_selectorELNS0_4arch9wavefront6targetE1EEEvT1_,comdat
.Lfunc_end791:
	.size	_ZN7rocprim17ROCPRIM_400000_NS6detail17trampoline_kernelINS0_14default_configENS1_27scan_by_key_config_selectorIiiEEZZNS1_16scan_by_key_implILNS1_25lookback_scan_determinismE0ELb1ES3_N6thrust23THRUST_200600_302600_NS6detail15normal_iteratorINS9_10device_ptrIiEEEESE_SE_iNS9_4plusIiEE19head_flag_predicateiEE10hipError_tPvRmT2_T3_T4_T5_mT6_T7_P12ihipStream_tbENKUlT_T0_E_clISt17integral_constantIbLb0EESY_EEDaST_SU_EUlST_E_NS1_11comp_targetILNS1_3genE10ELNS1_11target_archE1200ELNS1_3gpuE4ELNS1_3repE0EEENS1_30default_config_static_selectorELNS0_4arch9wavefront6targetE1EEEvT1_, .Lfunc_end791-_ZN7rocprim17ROCPRIM_400000_NS6detail17trampoline_kernelINS0_14default_configENS1_27scan_by_key_config_selectorIiiEEZZNS1_16scan_by_key_implILNS1_25lookback_scan_determinismE0ELb1ES3_N6thrust23THRUST_200600_302600_NS6detail15normal_iteratorINS9_10device_ptrIiEEEESE_SE_iNS9_4plusIiEE19head_flag_predicateiEE10hipError_tPvRmT2_T3_T4_T5_mT6_T7_P12ihipStream_tbENKUlT_T0_E_clISt17integral_constantIbLb0EESY_EEDaST_SU_EUlST_E_NS1_11comp_targetILNS1_3genE10ELNS1_11target_archE1200ELNS1_3gpuE4ELNS1_3repE0EEENS1_30default_config_static_selectorELNS0_4arch9wavefront6targetE1EEEvT1_
                                        ; -- End function
	.section	.AMDGPU.csdata,"",@progbits
; Kernel info:
; codeLenInByte = 0
; NumSgprs: 6
; NumVgprs: 0
; NumAgprs: 0
; TotalNumVgprs: 0
; ScratchSize: 0
; MemoryBound: 0
; FloatMode: 240
; IeeeMode: 1
; LDSByteSize: 0 bytes/workgroup (compile time only)
; SGPRBlocks: 0
; VGPRBlocks: 0
; NumSGPRsForWavesPerEU: 6
; NumVGPRsForWavesPerEU: 1
; AccumOffset: 4
; Occupancy: 8
; WaveLimiterHint : 0
; COMPUTE_PGM_RSRC2:SCRATCH_EN: 0
; COMPUTE_PGM_RSRC2:USER_SGPR: 2
; COMPUTE_PGM_RSRC2:TRAP_HANDLER: 0
; COMPUTE_PGM_RSRC2:TGID_X_EN: 1
; COMPUTE_PGM_RSRC2:TGID_Y_EN: 0
; COMPUTE_PGM_RSRC2:TGID_Z_EN: 0
; COMPUTE_PGM_RSRC2:TIDIG_COMP_CNT: 0
; COMPUTE_PGM_RSRC3_GFX90A:ACCUM_OFFSET: 0
; COMPUTE_PGM_RSRC3_GFX90A:TG_SPLIT: 0
	.section	.text._ZN7rocprim17ROCPRIM_400000_NS6detail17trampoline_kernelINS0_14default_configENS1_27scan_by_key_config_selectorIiiEEZZNS1_16scan_by_key_implILNS1_25lookback_scan_determinismE0ELb1ES3_N6thrust23THRUST_200600_302600_NS6detail15normal_iteratorINS9_10device_ptrIiEEEESE_SE_iNS9_4plusIiEE19head_flag_predicateiEE10hipError_tPvRmT2_T3_T4_T5_mT6_T7_P12ihipStream_tbENKUlT_T0_E_clISt17integral_constantIbLb0EESY_EEDaST_SU_EUlST_E_NS1_11comp_targetILNS1_3genE9ELNS1_11target_archE1100ELNS1_3gpuE3ELNS1_3repE0EEENS1_30default_config_static_selectorELNS0_4arch9wavefront6targetE1EEEvT1_,"axG",@progbits,_ZN7rocprim17ROCPRIM_400000_NS6detail17trampoline_kernelINS0_14default_configENS1_27scan_by_key_config_selectorIiiEEZZNS1_16scan_by_key_implILNS1_25lookback_scan_determinismE0ELb1ES3_N6thrust23THRUST_200600_302600_NS6detail15normal_iteratorINS9_10device_ptrIiEEEESE_SE_iNS9_4plusIiEE19head_flag_predicateiEE10hipError_tPvRmT2_T3_T4_T5_mT6_T7_P12ihipStream_tbENKUlT_T0_E_clISt17integral_constantIbLb0EESY_EEDaST_SU_EUlST_E_NS1_11comp_targetILNS1_3genE9ELNS1_11target_archE1100ELNS1_3gpuE3ELNS1_3repE0EEENS1_30default_config_static_selectorELNS0_4arch9wavefront6targetE1EEEvT1_,comdat
	.protected	_ZN7rocprim17ROCPRIM_400000_NS6detail17trampoline_kernelINS0_14default_configENS1_27scan_by_key_config_selectorIiiEEZZNS1_16scan_by_key_implILNS1_25lookback_scan_determinismE0ELb1ES3_N6thrust23THRUST_200600_302600_NS6detail15normal_iteratorINS9_10device_ptrIiEEEESE_SE_iNS9_4plusIiEE19head_flag_predicateiEE10hipError_tPvRmT2_T3_T4_T5_mT6_T7_P12ihipStream_tbENKUlT_T0_E_clISt17integral_constantIbLb0EESY_EEDaST_SU_EUlST_E_NS1_11comp_targetILNS1_3genE9ELNS1_11target_archE1100ELNS1_3gpuE3ELNS1_3repE0EEENS1_30default_config_static_selectorELNS0_4arch9wavefront6targetE1EEEvT1_ ; -- Begin function _ZN7rocprim17ROCPRIM_400000_NS6detail17trampoline_kernelINS0_14default_configENS1_27scan_by_key_config_selectorIiiEEZZNS1_16scan_by_key_implILNS1_25lookback_scan_determinismE0ELb1ES3_N6thrust23THRUST_200600_302600_NS6detail15normal_iteratorINS9_10device_ptrIiEEEESE_SE_iNS9_4plusIiEE19head_flag_predicateiEE10hipError_tPvRmT2_T3_T4_T5_mT6_T7_P12ihipStream_tbENKUlT_T0_E_clISt17integral_constantIbLb0EESY_EEDaST_SU_EUlST_E_NS1_11comp_targetILNS1_3genE9ELNS1_11target_archE1100ELNS1_3gpuE3ELNS1_3repE0EEENS1_30default_config_static_selectorELNS0_4arch9wavefront6targetE1EEEvT1_
	.globl	_ZN7rocprim17ROCPRIM_400000_NS6detail17trampoline_kernelINS0_14default_configENS1_27scan_by_key_config_selectorIiiEEZZNS1_16scan_by_key_implILNS1_25lookback_scan_determinismE0ELb1ES3_N6thrust23THRUST_200600_302600_NS6detail15normal_iteratorINS9_10device_ptrIiEEEESE_SE_iNS9_4plusIiEE19head_flag_predicateiEE10hipError_tPvRmT2_T3_T4_T5_mT6_T7_P12ihipStream_tbENKUlT_T0_E_clISt17integral_constantIbLb0EESY_EEDaST_SU_EUlST_E_NS1_11comp_targetILNS1_3genE9ELNS1_11target_archE1100ELNS1_3gpuE3ELNS1_3repE0EEENS1_30default_config_static_selectorELNS0_4arch9wavefront6targetE1EEEvT1_
	.p2align	8
	.type	_ZN7rocprim17ROCPRIM_400000_NS6detail17trampoline_kernelINS0_14default_configENS1_27scan_by_key_config_selectorIiiEEZZNS1_16scan_by_key_implILNS1_25lookback_scan_determinismE0ELb1ES3_N6thrust23THRUST_200600_302600_NS6detail15normal_iteratorINS9_10device_ptrIiEEEESE_SE_iNS9_4plusIiEE19head_flag_predicateiEE10hipError_tPvRmT2_T3_T4_T5_mT6_T7_P12ihipStream_tbENKUlT_T0_E_clISt17integral_constantIbLb0EESY_EEDaST_SU_EUlST_E_NS1_11comp_targetILNS1_3genE9ELNS1_11target_archE1100ELNS1_3gpuE3ELNS1_3repE0EEENS1_30default_config_static_selectorELNS0_4arch9wavefront6targetE1EEEvT1_,@function
_ZN7rocprim17ROCPRIM_400000_NS6detail17trampoline_kernelINS0_14default_configENS1_27scan_by_key_config_selectorIiiEEZZNS1_16scan_by_key_implILNS1_25lookback_scan_determinismE0ELb1ES3_N6thrust23THRUST_200600_302600_NS6detail15normal_iteratorINS9_10device_ptrIiEEEESE_SE_iNS9_4plusIiEE19head_flag_predicateiEE10hipError_tPvRmT2_T3_T4_T5_mT6_T7_P12ihipStream_tbENKUlT_T0_E_clISt17integral_constantIbLb0EESY_EEDaST_SU_EUlST_E_NS1_11comp_targetILNS1_3genE9ELNS1_11target_archE1100ELNS1_3gpuE3ELNS1_3repE0EEENS1_30default_config_static_selectorELNS0_4arch9wavefront6targetE1EEEvT1_: ; @_ZN7rocprim17ROCPRIM_400000_NS6detail17trampoline_kernelINS0_14default_configENS1_27scan_by_key_config_selectorIiiEEZZNS1_16scan_by_key_implILNS1_25lookback_scan_determinismE0ELb1ES3_N6thrust23THRUST_200600_302600_NS6detail15normal_iteratorINS9_10device_ptrIiEEEESE_SE_iNS9_4plusIiEE19head_flag_predicateiEE10hipError_tPvRmT2_T3_T4_T5_mT6_T7_P12ihipStream_tbENKUlT_T0_E_clISt17integral_constantIbLb0EESY_EEDaST_SU_EUlST_E_NS1_11comp_targetILNS1_3genE9ELNS1_11target_archE1100ELNS1_3gpuE3ELNS1_3repE0EEENS1_30default_config_static_selectorELNS0_4arch9wavefront6targetE1EEEvT1_
; %bb.0:
	.section	.rodata,"a",@progbits
	.p2align	6, 0x0
	.amdhsa_kernel _ZN7rocprim17ROCPRIM_400000_NS6detail17trampoline_kernelINS0_14default_configENS1_27scan_by_key_config_selectorIiiEEZZNS1_16scan_by_key_implILNS1_25lookback_scan_determinismE0ELb1ES3_N6thrust23THRUST_200600_302600_NS6detail15normal_iteratorINS9_10device_ptrIiEEEESE_SE_iNS9_4plusIiEE19head_flag_predicateiEE10hipError_tPvRmT2_T3_T4_T5_mT6_T7_P12ihipStream_tbENKUlT_T0_E_clISt17integral_constantIbLb0EESY_EEDaST_SU_EUlST_E_NS1_11comp_targetILNS1_3genE9ELNS1_11target_archE1100ELNS1_3gpuE3ELNS1_3repE0EEENS1_30default_config_static_selectorELNS0_4arch9wavefront6targetE1EEEvT1_
		.amdhsa_group_segment_fixed_size 0
		.amdhsa_private_segment_fixed_size 0
		.amdhsa_kernarg_size 112
		.amdhsa_user_sgpr_count 2
		.amdhsa_user_sgpr_dispatch_ptr 0
		.amdhsa_user_sgpr_queue_ptr 0
		.amdhsa_user_sgpr_kernarg_segment_ptr 1
		.amdhsa_user_sgpr_dispatch_id 0
		.amdhsa_user_sgpr_kernarg_preload_length 0
		.amdhsa_user_sgpr_kernarg_preload_offset 0
		.amdhsa_user_sgpr_private_segment_size 0
		.amdhsa_uses_dynamic_stack 0
		.amdhsa_enable_private_segment 0
		.amdhsa_system_sgpr_workgroup_id_x 1
		.amdhsa_system_sgpr_workgroup_id_y 0
		.amdhsa_system_sgpr_workgroup_id_z 0
		.amdhsa_system_sgpr_workgroup_info 0
		.amdhsa_system_vgpr_workitem_id 0
		.amdhsa_next_free_vgpr 1
		.amdhsa_next_free_sgpr 0
		.amdhsa_accum_offset 4
		.amdhsa_reserve_vcc 0
		.amdhsa_float_round_mode_32 0
		.amdhsa_float_round_mode_16_64 0
		.amdhsa_float_denorm_mode_32 3
		.amdhsa_float_denorm_mode_16_64 3
		.amdhsa_dx10_clamp 1
		.amdhsa_ieee_mode 1
		.amdhsa_fp16_overflow 0
		.amdhsa_tg_split 0
		.amdhsa_exception_fp_ieee_invalid_op 0
		.amdhsa_exception_fp_denorm_src 0
		.amdhsa_exception_fp_ieee_div_zero 0
		.amdhsa_exception_fp_ieee_overflow 0
		.amdhsa_exception_fp_ieee_underflow 0
		.amdhsa_exception_fp_ieee_inexact 0
		.amdhsa_exception_int_div_zero 0
	.end_amdhsa_kernel
	.section	.text._ZN7rocprim17ROCPRIM_400000_NS6detail17trampoline_kernelINS0_14default_configENS1_27scan_by_key_config_selectorIiiEEZZNS1_16scan_by_key_implILNS1_25lookback_scan_determinismE0ELb1ES3_N6thrust23THRUST_200600_302600_NS6detail15normal_iteratorINS9_10device_ptrIiEEEESE_SE_iNS9_4plusIiEE19head_flag_predicateiEE10hipError_tPvRmT2_T3_T4_T5_mT6_T7_P12ihipStream_tbENKUlT_T0_E_clISt17integral_constantIbLb0EESY_EEDaST_SU_EUlST_E_NS1_11comp_targetILNS1_3genE9ELNS1_11target_archE1100ELNS1_3gpuE3ELNS1_3repE0EEENS1_30default_config_static_selectorELNS0_4arch9wavefront6targetE1EEEvT1_,"axG",@progbits,_ZN7rocprim17ROCPRIM_400000_NS6detail17trampoline_kernelINS0_14default_configENS1_27scan_by_key_config_selectorIiiEEZZNS1_16scan_by_key_implILNS1_25lookback_scan_determinismE0ELb1ES3_N6thrust23THRUST_200600_302600_NS6detail15normal_iteratorINS9_10device_ptrIiEEEESE_SE_iNS9_4plusIiEE19head_flag_predicateiEE10hipError_tPvRmT2_T3_T4_T5_mT6_T7_P12ihipStream_tbENKUlT_T0_E_clISt17integral_constantIbLb0EESY_EEDaST_SU_EUlST_E_NS1_11comp_targetILNS1_3genE9ELNS1_11target_archE1100ELNS1_3gpuE3ELNS1_3repE0EEENS1_30default_config_static_selectorELNS0_4arch9wavefront6targetE1EEEvT1_,comdat
.Lfunc_end792:
	.size	_ZN7rocprim17ROCPRIM_400000_NS6detail17trampoline_kernelINS0_14default_configENS1_27scan_by_key_config_selectorIiiEEZZNS1_16scan_by_key_implILNS1_25lookback_scan_determinismE0ELb1ES3_N6thrust23THRUST_200600_302600_NS6detail15normal_iteratorINS9_10device_ptrIiEEEESE_SE_iNS9_4plusIiEE19head_flag_predicateiEE10hipError_tPvRmT2_T3_T4_T5_mT6_T7_P12ihipStream_tbENKUlT_T0_E_clISt17integral_constantIbLb0EESY_EEDaST_SU_EUlST_E_NS1_11comp_targetILNS1_3genE9ELNS1_11target_archE1100ELNS1_3gpuE3ELNS1_3repE0EEENS1_30default_config_static_selectorELNS0_4arch9wavefront6targetE1EEEvT1_, .Lfunc_end792-_ZN7rocprim17ROCPRIM_400000_NS6detail17trampoline_kernelINS0_14default_configENS1_27scan_by_key_config_selectorIiiEEZZNS1_16scan_by_key_implILNS1_25lookback_scan_determinismE0ELb1ES3_N6thrust23THRUST_200600_302600_NS6detail15normal_iteratorINS9_10device_ptrIiEEEESE_SE_iNS9_4plusIiEE19head_flag_predicateiEE10hipError_tPvRmT2_T3_T4_T5_mT6_T7_P12ihipStream_tbENKUlT_T0_E_clISt17integral_constantIbLb0EESY_EEDaST_SU_EUlST_E_NS1_11comp_targetILNS1_3genE9ELNS1_11target_archE1100ELNS1_3gpuE3ELNS1_3repE0EEENS1_30default_config_static_selectorELNS0_4arch9wavefront6targetE1EEEvT1_
                                        ; -- End function
	.section	.AMDGPU.csdata,"",@progbits
; Kernel info:
; codeLenInByte = 0
; NumSgprs: 6
; NumVgprs: 0
; NumAgprs: 0
; TotalNumVgprs: 0
; ScratchSize: 0
; MemoryBound: 0
; FloatMode: 240
; IeeeMode: 1
; LDSByteSize: 0 bytes/workgroup (compile time only)
; SGPRBlocks: 0
; VGPRBlocks: 0
; NumSGPRsForWavesPerEU: 6
; NumVGPRsForWavesPerEU: 1
; AccumOffset: 4
; Occupancy: 8
; WaveLimiterHint : 0
; COMPUTE_PGM_RSRC2:SCRATCH_EN: 0
; COMPUTE_PGM_RSRC2:USER_SGPR: 2
; COMPUTE_PGM_RSRC2:TRAP_HANDLER: 0
; COMPUTE_PGM_RSRC2:TGID_X_EN: 1
; COMPUTE_PGM_RSRC2:TGID_Y_EN: 0
; COMPUTE_PGM_RSRC2:TGID_Z_EN: 0
; COMPUTE_PGM_RSRC2:TIDIG_COMP_CNT: 0
; COMPUTE_PGM_RSRC3_GFX90A:ACCUM_OFFSET: 0
; COMPUTE_PGM_RSRC3_GFX90A:TG_SPLIT: 0
	.section	.text._ZN7rocprim17ROCPRIM_400000_NS6detail17trampoline_kernelINS0_14default_configENS1_27scan_by_key_config_selectorIiiEEZZNS1_16scan_by_key_implILNS1_25lookback_scan_determinismE0ELb1ES3_N6thrust23THRUST_200600_302600_NS6detail15normal_iteratorINS9_10device_ptrIiEEEESE_SE_iNS9_4plusIiEE19head_flag_predicateiEE10hipError_tPvRmT2_T3_T4_T5_mT6_T7_P12ihipStream_tbENKUlT_T0_E_clISt17integral_constantIbLb0EESY_EEDaST_SU_EUlST_E_NS1_11comp_targetILNS1_3genE8ELNS1_11target_archE1030ELNS1_3gpuE2ELNS1_3repE0EEENS1_30default_config_static_selectorELNS0_4arch9wavefront6targetE1EEEvT1_,"axG",@progbits,_ZN7rocprim17ROCPRIM_400000_NS6detail17trampoline_kernelINS0_14default_configENS1_27scan_by_key_config_selectorIiiEEZZNS1_16scan_by_key_implILNS1_25lookback_scan_determinismE0ELb1ES3_N6thrust23THRUST_200600_302600_NS6detail15normal_iteratorINS9_10device_ptrIiEEEESE_SE_iNS9_4plusIiEE19head_flag_predicateiEE10hipError_tPvRmT2_T3_T4_T5_mT6_T7_P12ihipStream_tbENKUlT_T0_E_clISt17integral_constantIbLb0EESY_EEDaST_SU_EUlST_E_NS1_11comp_targetILNS1_3genE8ELNS1_11target_archE1030ELNS1_3gpuE2ELNS1_3repE0EEENS1_30default_config_static_selectorELNS0_4arch9wavefront6targetE1EEEvT1_,comdat
	.protected	_ZN7rocprim17ROCPRIM_400000_NS6detail17trampoline_kernelINS0_14default_configENS1_27scan_by_key_config_selectorIiiEEZZNS1_16scan_by_key_implILNS1_25lookback_scan_determinismE0ELb1ES3_N6thrust23THRUST_200600_302600_NS6detail15normal_iteratorINS9_10device_ptrIiEEEESE_SE_iNS9_4plusIiEE19head_flag_predicateiEE10hipError_tPvRmT2_T3_T4_T5_mT6_T7_P12ihipStream_tbENKUlT_T0_E_clISt17integral_constantIbLb0EESY_EEDaST_SU_EUlST_E_NS1_11comp_targetILNS1_3genE8ELNS1_11target_archE1030ELNS1_3gpuE2ELNS1_3repE0EEENS1_30default_config_static_selectorELNS0_4arch9wavefront6targetE1EEEvT1_ ; -- Begin function _ZN7rocprim17ROCPRIM_400000_NS6detail17trampoline_kernelINS0_14default_configENS1_27scan_by_key_config_selectorIiiEEZZNS1_16scan_by_key_implILNS1_25lookback_scan_determinismE0ELb1ES3_N6thrust23THRUST_200600_302600_NS6detail15normal_iteratorINS9_10device_ptrIiEEEESE_SE_iNS9_4plusIiEE19head_flag_predicateiEE10hipError_tPvRmT2_T3_T4_T5_mT6_T7_P12ihipStream_tbENKUlT_T0_E_clISt17integral_constantIbLb0EESY_EEDaST_SU_EUlST_E_NS1_11comp_targetILNS1_3genE8ELNS1_11target_archE1030ELNS1_3gpuE2ELNS1_3repE0EEENS1_30default_config_static_selectorELNS0_4arch9wavefront6targetE1EEEvT1_
	.globl	_ZN7rocprim17ROCPRIM_400000_NS6detail17trampoline_kernelINS0_14default_configENS1_27scan_by_key_config_selectorIiiEEZZNS1_16scan_by_key_implILNS1_25lookback_scan_determinismE0ELb1ES3_N6thrust23THRUST_200600_302600_NS6detail15normal_iteratorINS9_10device_ptrIiEEEESE_SE_iNS9_4plusIiEE19head_flag_predicateiEE10hipError_tPvRmT2_T3_T4_T5_mT6_T7_P12ihipStream_tbENKUlT_T0_E_clISt17integral_constantIbLb0EESY_EEDaST_SU_EUlST_E_NS1_11comp_targetILNS1_3genE8ELNS1_11target_archE1030ELNS1_3gpuE2ELNS1_3repE0EEENS1_30default_config_static_selectorELNS0_4arch9wavefront6targetE1EEEvT1_
	.p2align	8
	.type	_ZN7rocprim17ROCPRIM_400000_NS6detail17trampoline_kernelINS0_14default_configENS1_27scan_by_key_config_selectorIiiEEZZNS1_16scan_by_key_implILNS1_25lookback_scan_determinismE0ELb1ES3_N6thrust23THRUST_200600_302600_NS6detail15normal_iteratorINS9_10device_ptrIiEEEESE_SE_iNS9_4plusIiEE19head_flag_predicateiEE10hipError_tPvRmT2_T3_T4_T5_mT6_T7_P12ihipStream_tbENKUlT_T0_E_clISt17integral_constantIbLb0EESY_EEDaST_SU_EUlST_E_NS1_11comp_targetILNS1_3genE8ELNS1_11target_archE1030ELNS1_3gpuE2ELNS1_3repE0EEENS1_30default_config_static_selectorELNS0_4arch9wavefront6targetE1EEEvT1_,@function
_ZN7rocprim17ROCPRIM_400000_NS6detail17trampoline_kernelINS0_14default_configENS1_27scan_by_key_config_selectorIiiEEZZNS1_16scan_by_key_implILNS1_25lookback_scan_determinismE0ELb1ES3_N6thrust23THRUST_200600_302600_NS6detail15normal_iteratorINS9_10device_ptrIiEEEESE_SE_iNS9_4plusIiEE19head_flag_predicateiEE10hipError_tPvRmT2_T3_T4_T5_mT6_T7_P12ihipStream_tbENKUlT_T0_E_clISt17integral_constantIbLb0EESY_EEDaST_SU_EUlST_E_NS1_11comp_targetILNS1_3genE8ELNS1_11target_archE1030ELNS1_3gpuE2ELNS1_3repE0EEENS1_30default_config_static_selectorELNS0_4arch9wavefront6targetE1EEEvT1_: ; @_ZN7rocprim17ROCPRIM_400000_NS6detail17trampoline_kernelINS0_14default_configENS1_27scan_by_key_config_selectorIiiEEZZNS1_16scan_by_key_implILNS1_25lookback_scan_determinismE0ELb1ES3_N6thrust23THRUST_200600_302600_NS6detail15normal_iteratorINS9_10device_ptrIiEEEESE_SE_iNS9_4plusIiEE19head_flag_predicateiEE10hipError_tPvRmT2_T3_T4_T5_mT6_T7_P12ihipStream_tbENKUlT_T0_E_clISt17integral_constantIbLb0EESY_EEDaST_SU_EUlST_E_NS1_11comp_targetILNS1_3genE8ELNS1_11target_archE1030ELNS1_3gpuE2ELNS1_3repE0EEENS1_30default_config_static_selectorELNS0_4arch9wavefront6targetE1EEEvT1_
; %bb.0:
	.section	.rodata,"a",@progbits
	.p2align	6, 0x0
	.amdhsa_kernel _ZN7rocprim17ROCPRIM_400000_NS6detail17trampoline_kernelINS0_14default_configENS1_27scan_by_key_config_selectorIiiEEZZNS1_16scan_by_key_implILNS1_25lookback_scan_determinismE0ELb1ES3_N6thrust23THRUST_200600_302600_NS6detail15normal_iteratorINS9_10device_ptrIiEEEESE_SE_iNS9_4plusIiEE19head_flag_predicateiEE10hipError_tPvRmT2_T3_T4_T5_mT6_T7_P12ihipStream_tbENKUlT_T0_E_clISt17integral_constantIbLb0EESY_EEDaST_SU_EUlST_E_NS1_11comp_targetILNS1_3genE8ELNS1_11target_archE1030ELNS1_3gpuE2ELNS1_3repE0EEENS1_30default_config_static_selectorELNS0_4arch9wavefront6targetE1EEEvT1_
		.amdhsa_group_segment_fixed_size 0
		.amdhsa_private_segment_fixed_size 0
		.amdhsa_kernarg_size 112
		.amdhsa_user_sgpr_count 2
		.amdhsa_user_sgpr_dispatch_ptr 0
		.amdhsa_user_sgpr_queue_ptr 0
		.amdhsa_user_sgpr_kernarg_segment_ptr 1
		.amdhsa_user_sgpr_dispatch_id 0
		.amdhsa_user_sgpr_kernarg_preload_length 0
		.amdhsa_user_sgpr_kernarg_preload_offset 0
		.amdhsa_user_sgpr_private_segment_size 0
		.amdhsa_uses_dynamic_stack 0
		.amdhsa_enable_private_segment 0
		.amdhsa_system_sgpr_workgroup_id_x 1
		.amdhsa_system_sgpr_workgroup_id_y 0
		.amdhsa_system_sgpr_workgroup_id_z 0
		.amdhsa_system_sgpr_workgroup_info 0
		.amdhsa_system_vgpr_workitem_id 0
		.amdhsa_next_free_vgpr 1
		.amdhsa_next_free_sgpr 0
		.amdhsa_accum_offset 4
		.amdhsa_reserve_vcc 0
		.amdhsa_float_round_mode_32 0
		.amdhsa_float_round_mode_16_64 0
		.amdhsa_float_denorm_mode_32 3
		.amdhsa_float_denorm_mode_16_64 3
		.amdhsa_dx10_clamp 1
		.amdhsa_ieee_mode 1
		.amdhsa_fp16_overflow 0
		.amdhsa_tg_split 0
		.amdhsa_exception_fp_ieee_invalid_op 0
		.amdhsa_exception_fp_denorm_src 0
		.amdhsa_exception_fp_ieee_div_zero 0
		.amdhsa_exception_fp_ieee_overflow 0
		.amdhsa_exception_fp_ieee_underflow 0
		.amdhsa_exception_fp_ieee_inexact 0
		.amdhsa_exception_int_div_zero 0
	.end_amdhsa_kernel
	.section	.text._ZN7rocprim17ROCPRIM_400000_NS6detail17trampoline_kernelINS0_14default_configENS1_27scan_by_key_config_selectorIiiEEZZNS1_16scan_by_key_implILNS1_25lookback_scan_determinismE0ELb1ES3_N6thrust23THRUST_200600_302600_NS6detail15normal_iteratorINS9_10device_ptrIiEEEESE_SE_iNS9_4plusIiEE19head_flag_predicateiEE10hipError_tPvRmT2_T3_T4_T5_mT6_T7_P12ihipStream_tbENKUlT_T0_E_clISt17integral_constantIbLb0EESY_EEDaST_SU_EUlST_E_NS1_11comp_targetILNS1_3genE8ELNS1_11target_archE1030ELNS1_3gpuE2ELNS1_3repE0EEENS1_30default_config_static_selectorELNS0_4arch9wavefront6targetE1EEEvT1_,"axG",@progbits,_ZN7rocprim17ROCPRIM_400000_NS6detail17trampoline_kernelINS0_14default_configENS1_27scan_by_key_config_selectorIiiEEZZNS1_16scan_by_key_implILNS1_25lookback_scan_determinismE0ELb1ES3_N6thrust23THRUST_200600_302600_NS6detail15normal_iteratorINS9_10device_ptrIiEEEESE_SE_iNS9_4plusIiEE19head_flag_predicateiEE10hipError_tPvRmT2_T3_T4_T5_mT6_T7_P12ihipStream_tbENKUlT_T0_E_clISt17integral_constantIbLb0EESY_EEDaST_SU_EUlST_E_NS1_11comp_targetILNS1_3genE8ELNS1_11target_archE1030ELNS1_3gpuE2ELNS1_3repE0EEENS1_30default_config_static_selectorELNS0_4arch9wavefront6targetE1EEEvT1_,comdat
.Lfunc_end793:
	.size	_ZN7rocprim17ROCPRIM_400000_NS6detail17trampoline_kernelINS0_14default_configENS1_27scan_by_key_config_selectorIiiEEZZNS1_16scan_by_key_implILNS1_25lookback_scan_determinismE0ELb1ES3_N6thrust23THRUST_200600_302600_NS6detail15normal_iteratorINS9_10device_ptrIiEEEESE_SE_iNS9_4plusIiEE19head_flag_predicateiEE10hipError_tPvRmT2_T3_T4_T5_mT6_T7_P12ihipStream_tbENKUlT_T0_E_clISt17integral_constantIbLb0EESY_EEDaST_SU_EUlST_E_NS1_11comp_targetILNS1_3genE8ELNS1_11target_archE1030ELNS1_3gpuE2ELNS1_3repE0EEENS1_30default_config_static_selectorELNS0_4arch9wavefront6targetE1EEEvT1_, .Lfunc_end793-_ZN7rocprim17ROCPRIM_400000_NS6detail17trampoline_kernelINS0_14default_configENS1_27scan_by_key_config_selectorIiiEEZZNS1_16scan_by_key_implILNS1_25lookback_scan_determinismE0ELb1ES3_N6thrust23THRUST_200600_302600_NS6detail15normal_iteratorINS9_10device_ptrIiEEEESE_SE_iNS9_4plusIiEE19head_flag_predicateiEE10hipError_tPvRmT2_T3_T4_T5_mT6_T7_P12ihipStream_tbENKUlT_T0_E_clISt17integral_constantIbLb0EESY_EEDaST_SU_EUlST_E_NS1_11comp_targetILNS1_3genE8ELNS1_11target_archE1030ELNS1_3gpuE2ELNS1_3repE0EEENS1_30default_config_static_selectorELNS0_4arch9wavefront6targetE1EEEvT1_
                                        ; -- End function
	.section	.AMDGPU.csdata,"",@progbits
; Kernel info:
; codeLenInByte = 0
; NumSgprs: 6
; NumVgprs: 0
; NumAgprs: 0
; TotalNumVgprs: 0
; ScratchSize: 0
; MemoryBound: 0
; FloatMode: 240
; IeeeMode: 1
; LDSByteSize: 0 bytes/workgroup (compile time only)
; SGPRBlocks: 0
; VGPRBlocks: 0
; NumSGPRsForWavesPerEU: 6
; NumVGPRsForWavesPerEU: 1
; AccumOffset: 4
; Occupancy: 8
; WaveLimiterHint : 0
; COMPUTE_PGM_RSRC2:SCRATCH_EN: 0
; COMPUTE_PGM_RSRC2:USER_SGPR: 2
; COMPUTE_PGM_RSRC2:TRAP_HANDLER: 0
; COMPUTE_PGM_RSRC2:TGID_X_EN: 1
; COMPUTE_PGM_RSRC2:TGID_Y_EN: 0
; COMPUTE_PGM_RSRC2:TGID_Z_EN: 0
; COMPUTE_PGM_RSRC2:TIDIG_COMP_CNT: 0
; COMPUTE_PGM_RSRC3_GFX90A:ACCUM_OFFSET: 0
; COMPUTE_PGM_RSRC3_GFX90A:TG_SPLIT: 0
	.section	.text._ZN7rocprim17ROCPRIM_400000_NS6detail17trampoline_kernelINS0_14default_configENS1_27scan_by_key_config_selectorIiiEEZZNS1_16scan_by_key_implILNS1_25lookback_scan_determinismE0ELb1ES3_N6thrust23THRUST_200600_302600_NS6detail15normal_iteratorINS9_10device_ptrIiEEEESE_SE_iNS9_4plusIiEE19head_flag_predicateiEE10hipError_tPvRmT2_T3_T4_T5_mT6_T7_P12ihipStream_tbENKUlT_T0_E_clISt17integral_constantIbLb1EESY_EEDaST_SU_EUlST_E_NS1_11comp_targetILNS1_3genE0ELNS1_11target_archE4294967295ELNS1_3gpuE0ELNS1_3repE0EEENS1_30default_config_static_selectorELNS0_4arch9wavefront6targetE1EEEvT1_,"axG",@progbits,_ZN7rocprim17ROCPRIM_400000_NS6detail17trampoline_kernelINS0_14default_configENS1_27scan_by_key_config_selectorIiiEEZZNS1_16scan_by_key_implILNS1_25lookback_scan_determinismE0ELb1ES3_N6thrust23THRUST_200600_302600_NS6detail15normal_iteratorINS9_10device_ptrIiEEEESE_SE_iNS9_4plusIiEE19head_flag_predicateiEE10hipError_tPvRmT2_T3_T4_T5_mT6_T7_P12ihipStream_tbENKUlT_T0_E_clISt17integral_constantIbLb1EESY_EEDaST_SU_EUlST_E_NS1_11comp_targetILNS1_3genE0ELNS1_11target_archE4294967295ELNS1_3gpuE0ELNS1_3repE0EEENS1_30default_config_static_selectorELNS0_4arch9wavefront6targetE1EEEvT1_,comdat
	.protected	_ZN7rocprim17ROCPRIM_400000_NS6detail17trampoline_kernelINS0_14default_configENS1_27scan_by_key_config_selectorIiiEEZZNS1_16scan_by_key_implILNS1_25lookback_scan_determinismE0ELb1ES3_N6thrust23THRUST_200600_302600_NS6detail15normal_iteratorINS9_10device_ptrIiEEEESE_SE_iNS9_4plusIiEE19head_flag_predicateiEE10hipError_tPvRmT2_T3_T4_T5_mT6_T7_P12ihipStream_tbENKUlT_T0_E_clISt17integral_constantIbLb1EESY_EEDaST_SU_EUlST_E_NS1_11comp_targetILNS1_3genE0ELNS1_11target_archE4294967295ELNS1_3gpuE0ELNS1_3repE0EEENS1_30default_config_static_selectorELNS0_4arch9wavefront6targetE1EEEvT1_ ; -- Begin function _ZN7rocprim17ROCPRIM_400000_NS6detail17trampoline_kernelINS0_14default_configENS1_27scan_by_key_config_selectorIiiEEZZNS1_16scan_by_key_implILNS1_25lookback_scan_determinismE0ELb1ES3_N6thrust23THRUST_200600_302600_NS6detail15normal_iteratorINS9_10device_ptrIiEEEESE_SE_iNS9_4plusIiEE19head_flag_predicateiEE10hipError_tPvRmT2_T3_T4_T5_mT6_T7_P12ihipStream_tbENKUlT_T0_E_clISt17integral_constantIbLb1EESY_EEDaST_SU_EUlST_E_NS1_11comp_targetILNS1_3genE0ELNS1_11target_archE4294967295ELNS1_3gpuE0ELNS1_3repE0EEENS1_30default_config_static_selectorELNS0_4arch9wavefront6targetE1EEEvT1_
	.globl	_ZN7rocprim17ROCPRIM_400000_NS6detail17trampoline_kernelINS0_14default_configENS1_27scan_by_key_config_selectorIiiEEZZNS1_16scan_by_key_implILNS1_25lookback_scan_determinismE0ELb1ES3_N6thrust23THRUST_200600_302600_NS6detail15normal_iteratorINS9_10device_ptrIiEEEESE_SE_iNS9_4plusIiEE19head_flag_predicateiEE10hipError_tPvRmT2_T3_T4_T5_mT6_T7_P12ihipStream_tbENKUlT_T0_E_clISt17integral_constantIbLb1EESY_EEDaST_SU_EUlST_E_NS1_11comp_targetILNS1_3genE0ELNS1_11target_archE4294967295ELNS1_3gpuE0ELNS1_3repE0EEENS1_30default_config_static_selectorELNS0_4arch9wavefront6targetE1EEEvT1_
	.p2align	8
	.type	_ZN7rocprim17ROCPRIM_400000_NS6detail17trampoline_kernelINS0_14default_configENS1_27scan_by_key_config_selectorIiiEEZZNS1_16scan_by_key_implILNS1_25lookback_scan_determinismE0ELb1ES3_N6thrust23THRUST_200600_302600_NS6detail15normal_iteratorINS9_10device_ptrIiEEEESE_SE_iNS9_4plusIiEE19head_flag_predicateiEE10hipError_tPvRmT2_T3_T4_T5_mT6_T7_P12ihipStream_tbENKUlT_T0_E_clISt17integral_constantIbLb1EESY_EEDaST_SU_EUlST_E_NS1_11comp_targetILNS1_3genE0ELNS1_11target_archE4294967295ELNS1_3gpuE0ELNS1_3repE0EEENS1_30default_config_static_selectorELNS0_4arch9wavefront6targetE1EEEvT1_,@function
_ZN7rocprim17ROCPRIM_400000_NS6detail17trampoline_kernelINS0_14default_configENS1_27scan_by_key_config_selectorIiiEEZZNS1_16scan_by_key_implILNS1_25lookback_scan_determinismE0ELb1ES3_N6thrust23THRUST_200600_302600_NS6detail15normal_iteratorINS9_10device_ptrIiEEEESE_SE_iNS9_4plusIiEE19head_flag_predicateiEE10hipError_tPvRmT2_T3_T4_T5_mT6_T7_P12ihipStream_tbENKUlT_T0_E_clISt17integral_constantIbLb1EESY_EEDaST_SU_EUlST_E_NS1_11comp_targetILNS1_3genE0ELNS1_11target_archE4294967295ELNS1_3gpuE0ELNS1_3repE0EEENS1_30default_config_static_selectorELNS0_4arch9wavefront6targetE1EEEvT1_: ; @_ZN7rocprim17ROCPRIM_400000_NS6detail17trampoline_kernelINS0_14default_configENS1_27scan_by_key_config_selectorIiiEEZZNS1_16scan_by_key_implILNS1_25lookback_scan_determinismE0ELb1ES3_N6thrust23THRUST_200600_302600_NS6detail15normal_iteratorINS9_10device_ptrIiEEEESE_SE_iNS9_4plusIiEE19head_flag_predicateiEE10hipError_tPvRmT2_T3_T4_T5_mT6_T7_P12ihipStream_tbENKUlT_T0_E_clISt17integral_constantIbLb1EESY_EEDaST_SU_EUlST_E_NS1_11comp_targetILNS1_3genE0ELNS1_11target_archE4294967295ELNS1_3gpuE0ELNS1_3repE0EEENS1_30default_config_static_selectorELNS0_4arch9wavefront6targetE1EEEvT1_
; %bb.0:
	.section	.rodata,"a",@progbits
	.p2align	6, 0x0
	.amdhsa_kernel _ZN7rocprim17ROCPRIM_400000_NS6detail17trampoline_kernelINS0_14default_configENS1_27scan_by_key_config_selectorIiiEEZZNS1_16scan_by_key_implILNS1_25lookback_scan_determinismE0ELb1ES3_N6thrust23THRUST_200600_302600_NS6detail15normal_iteratorINS9_10device_ptrIiEEEESE_SE_iNS9_4plusIiEE19head_flag_predicateiEE10hipError_tPvRmT2_T3_T4_T5_mT6_T7_P12ihipStream_tbENKUlT_T0_E_clISt17integral_constantIbLb1EESY_EEDaST_SU_EUlST_E_NS1_11comp_targetILNS1_3genE0ELNS1_11target_archE4294967295ELNS1_3gpuE0ELNS1_3repE0EEENS1_30default_config_static_selectorELNS0_4arch9wavefront6targetE1EEEvT1_
		.amdhsa_group_segment_fixed_size 0
		.amdhsa_private_segment_fixed_size 0
		.amdhsa_kernarg_size 112
		.amdhsa_user_sgpr_count 2
		.amdhsa_user_sgpr_dispatch_ptr 0
		.amdhsa_user_sgpr_queue_ptr 0
		.amdhsa_user_sgpr_kernarg_segment_ptr 1
		.amdhsa_user_sgpr_dispatch_id 0
		.amdhsa_user_sgpr_kernarg_preload_length 0
		.amdhsa_user_sgpr_kernarg_preload_offset 0
		.amdhsa_user_sgpr_private_segment_size 0
		.amdhsa_uses_dynamic_stack 0
		.amdhsa_enable_private_segment 0
		.amdhsa_system_sgpr_workgroup_id_x 1
		.amdhsa_system_sgpr_workgroup_id_y 0
		.amdhsa_system_sgpr_workgroup_id_z 0
		.amdhsa_system_sgpr_workgroup_info 0
		.amdhsa_system_vgpr_workitem_id 0
		.amdhsa_next_free_vgpr 1
		.amdhsa_next_free_sgpr 0
		.amdhsa_accum_offset 4
		.amdhsa_reserve_vcc 0
		.amdhsa_float_round_mode_32 0
		.amdhsa_float_round_mode_16_64 0
		.amdhsa_float_denorm_mode_32 3
		.amdhsa_float_denorm_mode_16_64 3
		.amdhsa_dx10_clamp 1
		.amdhsa_ieee_mode 1
		.amdhsa_fp16_overflow 0
		.amdhsa_tg_split 0
		.amdhsa_exception_fp_ieee_invalid_op 0
		.amdhsa_exception_fp_denorm_src 0
		.amdhsa_exception_fp_ieee_div_zero 0
		.amdhsa_exception_fp_ieee_overflow 0
		.amdhsa_exception_fp_ieee_underflow 0
		.amdhsa_exception_fp_ieee_inexact 0
		.amdhsa_exception_int_div_zero 0
	.end_amdhsa_kernel
	.section	.text._ZN7rocprim17ROCPRIM_400000_NS6detail17trampoline_kernelINS0_14default_configENS1_27scan_by_key_config_selectorIiiEEZZNS1_16scan_by_key_implILNS1_25lookback_scan_determinismE0ELb1ES3_N6thrust23THRUST_200600_302600_NS6detail15normal_iteratorINS9_10device_ptrIiEEEESE_SE_iNS9_4plusIiEE19head_flag_predicateiEE10hipError_tPvRmT2_T3_T4_T5_mT6_T7_P12ihipStream_tbENKUlT_T0_E_clISt17integral_constantIbLb1EESY_EEDaST_SU_EUlST_E_NS1_11comp_targetILNS1_3genE0ELNS1_11target_archE4294967295ELNS1_3gpuE0ELNS1_3repE0EEENS1_30default_config_static_selectorELNS0_4arch9wavefront6targetE1EEEvT1_,"axG",@progbits,_ZN7rocprim17ROCPRIM_400000_NS6detail17trampoline_kernelINS0_14default_configENS1_27scan_by_key_config_selectorIiiEEZZNS1_16scan_by_key_implILNS1_25lookback_scan_determinismE0ELb1ES3_N6thrust23THRUST_200600_302600_NS6detail15normal_iteratorINS9_10device_ptrIiEEEESE_SE_iNS9_4plusIiEE19head_flag_predicateiEE10hipError_tPvRmT2_T3_T4_T5_mT6_T7_P12ihipStream_tbENKUlT_T0_E_clISt17integral_constantIbLb1EESY_EEDaST_SU_EUlST_E_NS1_11comp_targetILNS1_3genE0ELNS1_11target_archE4294967295ELNS1_3gpuE0ELNS1_3repE0EEENS1_30default_config_static_selectorELNS0_4arch9wavefront6targetE1EEEvT1_,comdat
.Lfunc_end794:
	.size	_ZN7rocprim17ROCPRIM_400000_NS6detail17trampoline_kernelINS0_14default_configENS1_27scan_by_key_config_selectorIiiEEZZNS1_16scan_by_key_implILNS1_25lookback_scan_determinismE0ELb1ES3_N6thrust23THRUST_200600_302600_NS6detail15normal_iteratorINS9_10device_ptrIiEEEESE_SE_iNS9_4plusIiEE19head_flag_predicateiEE10hipError_tPvRmT2_T3_T4_T5_mT6_T7_P12ihipStream_tbENKUlT_T0_E_clISt17integral_constantIbLb1EESY_EEDaST_SU_EUlST_E_NS1_11comp_targetILNS1_3genE0ELNS1_11target_archE4294967295ELNS1_3gpuE0ELNS1_3repE0EEENS1_30default_config_static_selectorELNS0_4arch9wavefront6targetE1EEEvT1_, .Lfunc_end794-_ZN7rocprim17ROCPRIM_400000_NS6detail17trampoline_kernelINS0_14default_configENS1_27scan_by_key_config_selectorIiiEEZZNS1_16scan_by_key_implILNS1_25lookback_scan_determinismE0ELb1ES3_N6thrust23THRUST_200600_302600_NS6detail15normal_iteratorINS9_10device_ptrIiEEEESE_SE_iNS9_4plusIiEE19head_flag_predicateiEE10hipError_tPvRmT2_T3_T4_T5_mT6_T7_P12ihipStream_tbENKUlT_T0_E_clISt17integral_constantIbLb1EESY_EEDaST_SU_EUlST_E_NS1_11comp_targetILNS1_3genE0ELNS1_11target_archE4294967295ELNS1_3gpuE0ELNS1_3repE0EEENS1_30default_config_static_selectorELNS0_4arch9wavefront6targetE1EEEvT1_
                                        ; -- End function
	.section	.AMDGPU.csdata,"",@progbits
; Kernel info:
; codeLenInByte = 0
; NumSgprs: 6
; NumVgprs: 0
; NumAgprs: 0
; TotalNumVgprs: 0
; ScratchSize: 0
; MemoryBound: 0
; FloatMode: 240
; IeeeMode: 1
; LDSByteSize: 0 bytes/workgroup (compile time only)
; SGPRBlocks: 0
; VGPRBlocks: 0
; NumSGPRsForWavesPerEU: 6
; NumVGPRsForWavesPerEU: 1
; AccumOffset: 4
; Occupancy: 8
; WaveLimiterHint : 0
; COMPUTE_PGM_RSRC2:SCRATCH_EN: 0
; COMPUTE_PGM_RSRC2:USER_SGPR: 2
; COMPUTE_PGM_RSRC2:TRAP_HANDLER: 0
; COMPUTE_PGM_RSRC2:TGID_X_EN: 1
; COMPUTE_PGM_RSRC2:TGID_Y_EN: 0
; COMPUTE_PGM_RSRC2:TGID_Z_EN: 0
; COMPUTE_PGM_RSRC2:TIDIG_COMP_CNT: 0
; COMPUTE_PGM_RSRC3_GFX90A:ACCUM_OFFSET: 0
; COMPUTE_PGM_RSRC3_GFX90A:TG_SPLIT: 0
	.section	.text._ZN7rocprim17ROCPRIM_400000_NS6detail17trampoline_kernelINS0_14default_configENS1_27scan_by_key_config_selectorIiiEEZZNS1_16scan_by_key_implILNS1_25lookback_scan_determinismE0ELb1ES3_N6thrust23THRUST_200600_302600_NS6detail15normal_iteratorINS9_10device_ptrIiEEEESE_SE_iNS9_4plusIiEE19head_flag_predicateiEE10hipError_tPvRmT2_T3_T4_T5_mT6_T7_P12ihipStream_tbENKUlT_T0_E_clISt17integral_constantIbLb1EESY_EEDaST_SU_EUlST_E_NS1_11comp_targetILNS1_3genE10ELNS1_11target_archE1201ELNS1_3gpuE5ELNS1_3repE0EEENS1_30default_config_static_selectorELNS0_4arch9wavefront6targetE1EEEvT1_,"axG",@progbits,_ZN7rocprim17ROCPRIM_400000_NS6detail17trampoline_kernelINS0_14default_configENS1_27scan_by_key_config_selectorIiiEEZZNS1_16scan_by_key_implILNS1_25lookback_scan_determinismE0ELb1ES3_N6thrust23THRUST_200600_302600_NS6detail15normal_iteratorINS9_10device_ptrIiEEEESE_SE_iNS9_4plusIiEE19head_flag_predicateiEE10hipError_tPvRmT2_T3_T4_T5_mT6_T7_P12ihipStream_tbENKUlT_T0_E_clISt17integral_constantIbLb1EESY_EEDaST_SU_EUlST_E_NS1_11comp_targetILNS1_3genE10ELNS1_11target_archE1201ELNS1_3gpuE5ELNS1_3repE0EEENS1_30default_config_static_selectorELNS0_4arch9wavefront6targetE1EEEvT1_,comdat
	.protected	_ZN7rocprim17ROCPRIM_400000_NS6detail17trampoline_kernelINS0_14default_configENS1_27scan_by_key_config_selectorIiiEEZZNS1_16scan_by_key_implILNS1_25lookback_scan_determinismE0ELb1ES3_N6thrust23THRUST_200600_302600_NS6detail15normal_iteratorINS9_10device_ptrIiEEEESE_SE_iNS9_4plusIiEE19head_flag_predicateiEE10hipError_tPvRmT2_T3_T4_T5_mT6_T7_P12ihipStream_tbENKUlT_T0_E_clISt17integral_constantIbLb1EESY_EEDaST_SU_EUlST_E_NS1_11comp_targetILNS1_3genE10ELNS1_11target_archE1201ELNS1_3gpuE5ELNS1_3repE0EEENS1_30default_config_static_selectorELNS0_4arch9wavefront6targetE1EEEvT1_ ; -- Begin function _ZN7rocprim17ROCPRIM_400000_NS6detail17trampoline_kernelINS0_14default_configENS1_27scan_by_key_config_selectorIiiEEZZNS1_16scan_by_key_implILNS1_25lookback_scan_determinismE0ELb1ES3_N6thrust23THRUST_200600_302600_NS6detail15normal_iteratorINS9_10device_ptrIiEEEESE_SE_iNS9_4plusIiEE19head_flag_predicateiEE10hipError_tPvRmT2_T3_T4_T5_mT6_T7_P12ihipStream_tbENKUlT_T0_E_clISt17integral_constantIbLb1EESY_EEDaST_SU_EUlST_E_NS1_11comp_targetILNS1_3genE10ELNS1_11target_archE1201ELNS1_3gpuE5ELNS1_3repE0EEENS1_30default_config_static_selectorELNS0_4arch9wavefront6targetE1EEEvT1_
	.globl	_ZN7rocprim17ROCPRIM_400000_NS6detail17trampoline_kernelINS0_14default_configENS1_27scan_by_key_config_selectorIiiEEZZNS1_16scan_by_key_implILNS1_25lookback_scan_determinismE0ELb1ES3_N6thrust23THRUST_200600_302600_NS6detail15normal_iteratorINS9_10device_ptrIiEEEESE_SE_iNS9_4plusIiEE19head_flag_predicateiEE10hipError_tPvRmT2_T3_T4_T5_mT6_T7_P12ihipStream_tbENKUlT_T0_E_clISt17integral_constantIbLb1EESY_EEDaST_SU_EUlST_E_NS1_11comp_targetILNS1_3genE10ELNS1_11target_archE1201ELNS1_3gpuE5ELNS1_3repE0EEENS1_30default_config_static_selectorELNS0_4arch9wavefront6targetE1EEEvT1_
	.p2align	8
	.type	_ZN7rocprim17ROCPRIM_400000_NS6detail17trampoline_kernelINS0_14default_configENS1_27scan_by_key_config_selectorIiiEEZZNS1_16scan_by_key_implILNS1_25lookback_scan_determinismE0ELb1ES3_N6thrust23THRUST_200600_302600_NS6detail15normal_iteratorINS9_10device_ptrIiEEEESE_SE_iNS9_4plusIiEE19head_flag_predicateiEE10hipError_tPvRmT2_T3_T4_T5_mT6_T7_P12ihipStream_tbENKUlT_T0_E_clISt17integral_constantIbLb1EESY_EEDaST_SU_EUlST_E_NS1_11comp_targetILNS1_3genE10ELNS1_11target_archE1201ELNS1_3gpuE5ELNS1_3repE0EEENS1_30default_config_static_selectorELNS0_4arch9wavefront6targetE1EEEvT1_,@function
_ZN7rocprim17ROCPRIM_400000_NS6detail17trampoline_kernelINS0_14default_configENS1_27scan_by_key_config_selectorIiiEEZZNS1_16scan_by_key_implILNS1_25lookback_scan_determinismE0ELb1ES3_N6thrust23THRUST_200600_302600_NS6detail15normal_iteratorINS9_10device_ptrIiEEEESE_SE_iNS9_4plusIiEE19head_flag_predicateiEE10hipError_tPvRmT2_T3_T4_T5_mT6_T7_P12ihipStream_tbENKUlT_T0_E_clISt17integral_constantIbLb1EESY_EEDaST_SU_EUlST_E_NS1_11comp_targetILNS1_3genE10ELNS1_11target_archE1201ELNS1_3gpuE5ELNS1_3repE0EEENS1_30default_config_static_selectorELNS0_4arch9wavefront6targetE1EEEvT1_: ; @_ZN7rocprim17ROCPRIM_400000_NS6detail17trampoline_kernelINS0_14default_configENS1_27scan_by_key_config_selectorIiiEEZZNS1_16scan_by_key_implILNS1_25lookback_scan_determinismE0ELb1ES3_N6thrust23THRUST_200600_302600_NS6detail15normal_iteratorINS9_10device_ptrIiEEEESE_SE_iNS9_4plusIiEE19head_flag_predicateiEE10hipError_tPvRmT2_T3_T4_T5_mT6_T7_P12ihipStream_tbENKUlT_T0_E_clISt17integral_constantIbLb1EESY_EEDaST_SU_EUlST_E_NS1_11comp_targetILNS1_3genE10ELNS1_11target_archE1201ELNS1_3gpuE5ELNS1_3repE0EEENS1_30default_config_static_selectorELNS0_4arch9wavefront6targetE1EEEvT1_
; %bb.0:
	.section	.rodata,"a",@progbits
	.p2align	6, 0x0
	.amdhsa_kernel _ZN7rocprim17ROCPRIM_400000_NS6detail17trampoline_kernelINS0_14default_configENS1_27scan_by_key_config_selectorIiiEEZZNS1_16scan_by_key_implILNS1_25lookback_scan_determinismE0ELb1ES3_N6thrust23THRUST_200600_302600_NS6detail15normal_iteratorINS9_10device_ptrIiEEEESE_SE_iNS9_4plusIiEE19head_flag_predicateiEE10hipError_tPvRmT2_T3_T4_T5_mT6_T7_P12ihipStream_tbENKUlT_T0_E_clISt17integral_constantIbLb1EESY_EEDaST_SU_EUlST_E_NS1_11comp_targetILNS1_3genE10ELNS1_11target_archE1201ELNS1_3gpuE5ELNS1_3repE0EEENS1_30default_config_static_selectorELNS0_4arch9wavefront6targetE1EEEvT1_
		.amdhsa_group_segment_fixed_size 0
		.amdhsa_private_segment_fixed_size 0
		.amdhsa_kernarg_size 112
		.amdhsa_user_sgpr_count 2
		.amdhsa_user_sgpr_dispatch_ptr 0
		.amdhsa_user_sgpr_queue_ptr 0
		.amdhsa_user_sgpr_kernarg_segment_ptr 1
		.amdhsa_user_sgpr_dispatch_id 0
		.amdhsa_user_sgpr_kernarg_preload_length 0
		.amdhsa_user_sgpr_kernarg_preload_offset 0
		.amdhsa_user_sgpr_private_segment_size 0
		.amdhsa_uses_dynamic_stack 0
		.amdhsa_enable_private_segment 0
		.amdhsa_system_sgpr_workgroup_id_x 1
		.amdhsa_system_sgpr_workgroup_id_y 0
		.amdhsa_system_sgpr_workgroup_id_z 0
		.amdhsa_system_sgpr_workgroup_info 0
		.amdhsa_system_vgpr_workitem_id 0
		.amdhsa_next_free_vgpr 1
		.amdhsa_next_free_sgpr 0
		.amdhsa_accum_offset 4
		.amdhsa_reserve_vcc 0
		.amdhsa_float_round_mode_32 0
		.amdhsa_float_round_mode_16_64 0
		.amdhsa_float_denorm_mode_32 3
		.amdhsa_float_denorm_mode_16_64 3
		.amdhsa_dx10_clamp 1
		.amdhsa_ieee_mode 1
		.amdhsa_fp16_overflow 0
		.amdhsa_tg_split 0
		.amdhsa_exception_fp_ieee_invalid_op 0
		.amdhsa_exception_fp_denorm_src 0
		.amdhsa_exception_fp_ieee_div_zero 0
		.amdhsa_exception_fp_ieee_overflow 0
		.amdhsa_exception_fp_ieee_underflow 0
		.amdhsa_exception_fp_ieee_inexact 0
		.amdhsa_exception_int_div_zero 0
	.end_amdhsa_kernel
	.section	.text._ZN7rocprim17ROCPRIM_400000_NS6detail17trampoline_kernelINS0_14default_configENS1_27scan_by_key_config_selectorIiiEEZZNS1_16scan_by_key_implILNS1_25lookback_scan_determinismE0ELb1ES3_N6thrust23THRUST_200600_302600_NS6detail15normal_iteratorINS9_10device_ptrIiEEEESE_SE_iNS9_4plusIiEE19head_flag_predicateiEE10hipError_tPvRmT2_T3_T4_T5_mT6_T7_P12ihipStream_tbENKUlT_T0_E_clISt17integral_constantIbLb1EESY_EEDaST_SU_EUlST_E_NS1_11comp_targetILNS1_3genE10ELNS1_11target_archE1201ELNS1_3gpuE5ELNS1_3repE0EEENS1_30default_config_static_selectorELNS0_4arch9wavefront6targetE1EEEvT1_,"axG",@progbits,_ZN7rocprim17ROCPRIM_400000_NS6detail17trampoline_kernelINS0_14default_configENS1_27scan_by_key_config_selectorIiiEEZZNS1_16scan_by_key_implILNS1_25lookback_scan_determinismE0ELb1ES3_N6thrust23THRUST_200600_302600_NS6detail15normal_iteratorINS9_10device_ptrIiEEEESE_SE_iNS9_4plusIiEE19head_flag_predicateiEE10hipError_tPvRmT2_T3_T4_T5_mT6_T7_P12ihipStream_tbENKUlT_T0_E_clISt17integral_constantIbLb1EESY_EEDaST_SU_EUlST_E_NS1_11comp_targetILNS1_3genE10ELNS1_11target_archE1201ELNS1_3gpuE5ELNS1_3repE0EEENS1_30default_config_static_selectorELNS0_4arch9wavefront6targetE1EEEvT1_,comdat
.Lfunc_end795:
	.size	_ZN7rocprim17ROCPRIM_400000_NS6detail17trampoline_kernelINS0_14default_configENS1_27scan_by_key_config_selectorIiiEEZZNS1_16scan_by_key_implILNS1_25lookback_scan_determinismE0ELb1ES3_N6thrust23THRUST_200600_302600_NS6detail15normal_iteratorINS9_10device_ptrIiEEEESE_SE_iNS9_4plusIiEE19head_flag_predicateiEE10hipError_tPvRmT2_T3_T4_T5_mT6_T7_P12ihipStream_tbENKUlT_T0_E_clISt17integral_constantIbLb1EESY_EEDaST_SU_EUlST_E_NS1_11comp_targetILNS1_3genE10ELNS1_11target_archE1201ELNS1_3gpuE5ELNS1_3repE0EEENS1_30default_config_static_selectorELNS0_4arch9wavefront6targetE1EEEvT1_, .Lfunc_end795-_ZN7rocprim17ROCPRIM_400000_NS6detail17trampoline_kernelINS0_14default_configENS1_27scan_by_key_config_selectorIiiEEZZNS1_16scan_by_key_implILNS1_25lookback_scan_determinismE0ELb1ES3_N6thrust23THRUST_200600_302600_NS6detail15normal_iteratorINS9_10device_ptrIiEEEESE_SE_iNS9_4plusIiEE19head_flag_predicateiEE10hipError_tPvRmT2_T3_T4_T5_mT6_T7_P12ihipStream_tbENKUlT_T0_E_clISt17integral_constantIbLb1EESY_EEDaST_SU_EUlST_E_NS1_11comp_targetILNS1_3genE10ELNS1_11target_archE1201ELNS1_3gpuE5ELNS1_3repE0EEENS1_30default_config_static_selectorELNS0_4arch9wavefront6targetE1EEEvT1_
                                        ; -- End function
	.section	.AMDGPU.csdata,"",@progbits
; Kernel info:
; codeLenInByte = 0
; NumSgprs: 6
; NumVgprs: 0
; NumAgprs: 0
; TotalNumVgprs: 0
; ScratchSize: 0
; MemoryBound: 0
; FloatMode: 240
; IeeeMode: 1
; LDSByteSize: 0 bytes/workgroup (compile time only)
; SGPRBlocks: 0
; VGPRBlocks: 0
; NumSGPRsForWavesPerEU: 6
; NumVGPRsForWavesPerEU: 1
; AccumOffset: 4
; Occupancy: 8
; WaveLimiterHint : 0
; COMPUTE_PGM_RSRC2:SCRATCH_EN: 0
; COMPUTE_PGM_RSRC2:USER_SGPR: 2
; COMPUTE_PGM_RSRC2:TRAP_HANDLER: 0
; COMPUTE_PGM_RSRC2:TGID_X_EN: 1
; COMPUTE_PGM_RSRC2:TGID_Y_EN: 0
; COMPUTE_PGM_RSRC2:TGID_Z_EN: 0
; COMPUTE_PGM_RSRC2:TIDIG_COMP_CNT: 0
; COMPUTE_PGM_RSRC3_GFX90A:ACCUM_OFFSET: 0
; COMPUTE_PGM_RSRC3_GFX90A:TG_SPLIT: 0
	.section	.text._ZN7rocprim17ROCPRIM_400000_NS6detail17trampoline_kernelINS0_14default_configENS1_27scan_by_key_config_selectorIiiEEZZNS1_16scan_by_key_implILNS1_25lookback_scan_determinismE0ELb1ES3_N6thrust23THRUST_200600_302600_NS6detail15normal_iteratorINS9_10device_ptrIiEEEESE_SE_iNS9_4plusIiEE19head_flag_predicateiEE10hipError_tPvRmT2_T3_T4_T5_mT6_T7_P12ihipStream_tbENKUlT_T0_E_clISt17integral_constantIbLb1EESY_EEDaST_SU_EUlST_E_NS1_11comp_targetILNS1_3genE5ELNS1_11target_archE942ELNS1_3gpuE9ELNS1_3repE0EEENS1_30default_config_static_selectorELNS0_4arch9wavefront6targetE1EEEvT1_,"axG",@progbits,_ZN7rocprim17ROCPRIM_400000_NS6detail17trampoline_kernelINS0_14default_configENS1_27scan_by_key_config_selectorIiiEEZZNS1_16scan_by_key_implILNS1_25lookback_scan_determinismE0ELb1ES3_N6thrust23THRUST_200600_302600_NS6detail15normal_iteratorINS9_10device_ptrIiEEEESE_SE_iNS9_4plusIiEE19head_flag_predicateiEE10hipError_tPvRmT2_T3_T4_T5_mT6_T7_P12ihipStream_tbENKUlT_T0_E_clISt17integral_constantIbLb1EESY_EEDaST_SU_EUlST_E_NS1_11comp_targetILNS1_3genE5ELNS1_11target_archE942ELNS1_3gpuE9ELNS1_3repE0EEENS1_30default_config_static_selectorELNS0_4arch9wavefront6targetE1EEEvT1_,comdat
	.protected	_ZN7rocprim17ROCPRIM_400000_NS6detail17trampoline_kernelINS0_14default_configENS1_27scan_by_key_config_selectorIiiEEZZNS1_16scan_by_key_implILNS1_25lookback_scan_determinismE0ELb1ES3_N6thrust23THRUST_200600_302600_NS6detail15normal_iteratorINS9_10device_ptrIiEEEESE_SE_iNS9_4plusIiEE19head_flag_predicateiEE10hipError_tPvRmT2_T3_T4_T5_mT6_T7_P12ihipStream_tbENKUlT_T0_E_clISt17integral_constantIbLb1EESY_EEDaST_SU_EUlST_E_NS1_11comp_targetILNS1_3genE5ELNS1_11target_archE942ELNS1_3gpuE9ELNS1_3repE0EEENS1_30default_config_static_selectorELNS0_4arch9wavefront6targetE1EEEvT1_ ; -- Begin function _ZN7rocprim17ROCPRIM_400000_NS6detail17trampoline_kernelINS0_14default_configENS1_27scan_by_key_config_selectorIiiEEZZNS1_16scan_by_key_implILNS1_25lookback_scan_determinismE0ELb1ES3_N6thrust23THRUST_200600_302600_NS6detail15normal_iteratorINS9_10device_ptrIiEEEESE_SE_iNS9_4plusIiEE19head_flag_predicateiEE10hipError_tPvRmT2_T3_T4_T5_mT6_T7_P12ihipStream_tbENKUlT_T0_E_clISt17integral_constantIbLb1EESY_EEDaST_SU_EUlST_E_NS1_11comp_targetILNS1_3genE5ELNS1_11target_archE942ELNS1_3gpuE9ELNS1_3repE0EEENS1_30default_config_static_selectorELNS0_4arch9wavefront6targetE1EEEvT1_
	.globl	_ZN7rocprim17ROCPRIM_400000_NS6detail17trampoline_kernelINS0_14default_configENS1_27scan_by_key_config_selectorIiiEEZZNS1_16scan_by_key_implILNS1_25lookback_scan_determinismE0ELb1ES3_N6thrust23THRUST_200600_302600_NS6detail15normal_iteratorINS9_10device_ptrIiEEEESE_SE_iNS9_4plusIiEE19head_flag_predicateiEE10hipError_tPvRmT2_T3_T4_T5_mT6_T7_P12ihipStream_tbENKUlT_T0_E_clISt17integral_constantIbLb1EESY_EEDaST_SU_EUlST_E_NS1_11comp_targetILNS1_3genE5ELNS1_11target_archE942ELNS1_3gpuE9ELNS1_3repE0EEENS1_30default_config_static_selectorELNS0_4arch9wavefront6targetE1EEEvT1_
	.p2align	8
	.type	_ZN7rocprim17ROCPRIM_400000_NS6detail17trampoline_kernelINS0_14default_configENS1_27scan_by_key_config_selectorIiiEEZZNS1_16scan_by_key_implILNS1_25lookback_scan_determinismE0ELb1ES3_N6thrust23THRUST_200600_302600_NS6detail15normal_iteratorINS9_10device_ptrIiEEEESE_SE_iNS9_4plusIiEE19head_flag_predicateiEE10hipError_tPvRmT2_T3_T4_T5_mT6_T7_P12ihipStream_tbENKUlT_T0_E_clISt17integral_constantIbLb1EESY_EEDaST_SU_EUlST_E_NS1_11comp_targetILNS1_3genE5ELNS1_11target_archE942ELNS1_3gpuE9ELNS1_3repE0EEENS1_30default_config_static_selectorELNS0_4arch9wavefront6targetE1EEEvT1_,@function
_ZN7rocprim17ROCPRIM_400000_NS6detail17trampoline_kernelINS0_14default_configENS1_27scan_by_key_config_selectorIiiEEZZNS1_16scan_by_key_implILNS1_25lookback_scan_determinismE0ELb1ES3_N6thrust23THRUST_200600_302600_NS6detail15normal_iteratorINS9_10device_ptrIiEEEESE_SE_iNS9_4plusIiEE19head_flag_predicateiEE10hipError_tPvRmT2_T3_T4_T5_mT6_T7_P12ihipStream_tbENKUlT_T0_E_clISt17integral_constantIbLb1EESY_EEDaST_SU_EUlST_E_NS1_11comp_targetILNS1_3genE5ELNS1_11target_archE942ELNS1_3gpuE9ELNS1_3repE0EEENS1_30default_config_static_selectorELNS0_4arch9wavefront6targetE1EEEvT1_: ; @_ZN7rocprim17ROCPRIM_400000_NS6detail17trampoline_kernelINS0_14default_configENS1_27scan_by_key_config_selectorIiiEEZZNS1_16scan_by_key_implILNS1_25lookback_scan_determinismE0ELb1ES3_N6thrust23THRUST_200600_302600_NS6detail15normal_iteratorINS9_10device_ptrIiEEEESE_SE_iNS9_4plusIiEE19head_flag_predicateiEE10hipError_tPvRmT2_T3_T4_T5_mT6_T7_P12ihipStream_tbENKUlT_T0_E_clISt17integral_constantIbLb1EESY_EEDaST_SU_EUlST_E_NS1_11comp_targetILNS1_3genE5ELNS1_11target_archE942ELNS1_3gpuE9ELNS1_3repE0EEENS1_30default_config_static_selectorELNS0_4arch9wavefront6targetE1EEEvT1_
; %bb.0:
	s_load_dword s74, s[0:1], 0x20
	s_load_dwordx4 s[64:67], s[0:1], 0x28
	s_load_dwordx2 s[72:73], s[0:1], 0x38
	v_cmp_ne_u32_e64 s[4:5], 0, v0
	v_cmp_eq_u32_e64 s[52:53], 0, v0
	s_and_saveexec_b64 s[2:3], s[52:53]
	s_cbranch_execz .LBB796_4
; %bb.1:
	s_mov_b64 s[8:9], exec
	v_mbcnt_lo_u32_b32 v1, s8, 0
	v_mbcnt_hi_u32_b32 v1, s9, v1
	v_cmp_eq_u32_e32 vcc, 0, v1
                                        ; implicit-def: $vgpr2
	s_and_saveexec_b64 s[6:7], vcc
	s_cbranch_execz .LBB796_3
; %bb.2:
	s_load_dwordx2 s[10:11], s[0:1], 0x68
	s_bcnt1_i32_b64 s8, s[8:9]
	v_mov_b32_e32 v2, 0
	v_mov_b32_e32 v3, s8
	s_waitcnt lgkmcnt(0)
	global_atomic_add v2, v2, v3, s[10:11] sc0
.LBB796_3:
	s_or_b64 exec, exec, s[6:7]
	s_waitcnt vmcnt(0)
	v_readfirstlane_b32 s6, v2
	v_mov_b32_e32 v2, 0
	s_nop 0
	v_add_u32_e32 v1, s6, v1
	ds_write_b32 v2, v1
.LBB796_4:
	s_or_b64 exec, exec, s[2:3]
	s_load_dwordx8 s[56:63], s[0:1], 0x0
	s_load_dword s2, s[0:1], 0x40
	s_load_dwordx4 s[68:71], s[0:1], 0x48
	v_mov_b32_e32 v7, 0
	s_waitcnt lgkmcnt(0)
	s_lshl_b64 s[54:55], s[58:59], 2
	s_barrier
	ds_read_b32 v6, v7
	s_add_u32 s0, s56, s54
	s_addc_u32 s1, s57, s55
	s_add_u32 s6, s60, s54
	s_mul_i32 s3, s73, s2
	s_mul_hi_u32 s8, s72, s2
	s_addc_u32 s7, s61, s55
	s_add_i32 s3, s8, s3
	s_movk_i32 s8, 0x1700
	s_waitcnt lgkmcnt(0)
	v_mul_lo_u32 v2, v6, s8
	v_mov_b32_e32 v3, v7
	v_lshlrev_b64 v[10:11], 2, v[2:3]
	s_mul_i32 s2, s72, s2
	v_lshl_add_u64 v[2:3], s[6:7], 0, v[10:11]
	s_add_u32 s6, s68, -1
	v_readfirstlane_b32 s67, v6
	v_lshl_add_u64 v[6:7], s[2:3], 0, v[6:7]
	s_addc_u32 s7, s69, -1
	v_cmp_le_u64_e64 s[2:3], s[6:7], v[6:7]
	v_lshl_add_u64 v[4:5], s[0:1], 0, v[10:11]
	s_mov_b64 s[0:1], -1
	s_and_b64 vcc, exec, s[2:3]
	s_mul_i32 s33, s6, 0xffffe900
	s_barrier
	s_barrier
	s_cbranch_vccz .LBB796_75
; %bb.5:
	flat_load_dword v1, v[4:5]
	s_add_i32 s60, s33, s66
	v_cmp_gt_u32_e32 vcc, s60, v0
	s_waitcnt vmcnt(0) lgkmcnt(0)
	v_mov_b32_e32 v6, v1
	s_and_saveexec_b64 s[0:1], vcc
	s_cbranch_execz .LBB796_7
; %bb.6:
	v_lshlrev_b32_e32 v6, 2, v0
	v_mov_b32_e32 v7, 0
	v_lshl_add_u64 v[6:7], v[4:5], 0, v[6:7]
	flat_load_dword v6, v[6:7]
.LBB796_7:
	s_or_b64 exec, exec, s[0:1]
	v_or_b32_e32 v7, 0x100, v0
	v_cmp_gt_u32_e64 s[6:7], s60, v7
	v_mov_b32_e32 v7, v1
	s_and_saveexec_b64 s[0:1], s[6:7]
	s_cbranch_execz .LBB796_9
; %bb.8:
	v_lshlrev_b32_e32 v8, 2, v0
	v_mov_b32_e32 v9, 0
	v_lshl_add_u64 v[8:9], v[4:5], 0, v[8:9]
	flat_load_dword v7, v[8:9] offset:1024
.LBB796_9:
	s_or_b64 exec, exec, s[0:1]
	v_or_b32_e32 v8, 0x200, v0
	v_cmp_gt_u32_e64 s[8:9], s60, v8
	v_mov_b32_e32 v8, v1
	s_and_saveexec_b64 s[0:1], s[8:9]
	s_cbranch_execz .LBB796_11
; %bb.10:
	v_lshlrev_b32_e32 v8, 2, v0
	v_mov_b32_e32 v9, 0
	v_lshl_add_u64 v[8:9], v[4:5], 0, v[8:9]
	flat_load_dword v8, v[8:9] offset:2048
.LBB796_11:
	;; [unrolled: 12-line block ×3, first 2 shown]
	s_or_b64 exec, exec, s[0:1]
	v_or_b32_e32 v14, 0x400, v0
	v_cmp_gt_u32_e64 s[12:13], s60, v14
	v_mov_b32_e32 v13, v1
	s_and_saveexec_b64 s[0:1], s[12:13]
	s_cbranch_execz .LBB796_15
; %bb.14:
	v_lshlrev_b32_e32 v12, 2, v14
	v_mov_b32_e32 v13, 0
	v_lshl_add_u64 v[12:13], v[4:5], 0, v[12:13]
	flat_load_dword v13, v[12:13]
.LBB796_15:
	s_or_b64 exec, exec, s[0:1]
	v_or_b32_e32 v15, 0x500, v0
	v_cmp_gt_u32_e64 s[14:15], s60, v15
	v_mov_b32_e32 v33, v1
	s_and_saveexec_b64 s[0:1], s[14:15]
	s_cbranch_execz .LBB796_17
; %bb.16:
	v_lshlrev_b32_e32 v16, 2, v15
	v_mov_b32_e32 v17, 0
	v_lshl_add_u64 v[16:17], v[4:5], 0, v[16:17]
	flat_load_dword v33, v[16:17]
.LBB796_17:
	;; [unrolled: 12-line block ×18, first 2 shown]
	s_or_b64 exec, exec, s[0:1]
	v_or_b32_e32 v32, 0x1600, v0
	v_cmp_gt_u32_e64 s[50:51], s60, v32
	s_and_saveexec_b64 s[0:1], s[50:51]
	s_cbranch_execz .LBB796_51
; %bb.50:
	v_lshlrev_b32_e32 v50, 2, v32
	v_mov_b32_e32 v51, 0
	v_lshl_add_u64 v[50:51], v[4:5], 0, v[50:51]
	flat_load_dword v1, v[50:51]
.LBB796_51:
	s_or_b64 exec, exec, s[0:1]
	v_lshlrev_b32_e32 v12, 2, v0
	s_waitcnt vmcnt(0) lgkmcnt(0)
	ds_write2st64_b32 v12, v6, v7 offset1:4
	ds_write2st64_b32 v12, v8, v9 offset0:8 offset1:12
	ds_write2st64_b32 v12, v13, v33 offset0:16 offset1:20
	;; [unrolled: 1-line block ×10, first 2 shown]
	ds_write_b32 v12, v1 offset:22528
	s_waitcnt lgkmcnt(0)
	s_barrier
	flat_load_dword v1, v[4:5]
	s_movk_i32 s0, 0x58
	v_mad_u32_u24 v74, v0, s0, v12
	s_movk_i32 s0, 0xffa8
	v_mad_i32_i24 v13, v0, s0, v74
	s_movk_i32 s0, 0xff
	v_cmp_ne_u32_e64 s[0:1], s0, v0
	ds_read2_b32 v[6:7], v74 offset1:1
	ds_read2_b32 v[72:73], v74 offset0:2 offset1:3
	ds_read2_b32 v[70:71], v74 offset0:4 offset1:5
	ds_read2_b32 v[68:69], v74 offset0:6 offset1:7
	ds_read2_b32 v[66:67], v74 offset0:8 offset1:9
	ds_read2_b32 v[64:65], v74 offset0:10 offset1:11
	ds_read2_b32 v[62:63], v74 offset0:12 offset1:13
	ds_read2_b32 v[60:61], v74 offset0:14 offset1:15
	ds_read2_b32 v[58:59], v74 offset0:16 offset1:17
	ds_read2_b32 v[56:57], v74 offset0:18 offset1:19
	ds_read2_b32 v[8:9], v74 offset0:20 offset1:21
	ds_read_b32 v75, v74 offset:88
	s_waitcnt lgkmcnt(0)
	ds_write_b32 v13, v6 offset:24576
	s_waitcnt lgkmcnt(0)
	s_barrier
	s_and_saveexec_b64 s[56:57], s[0:1]
	s_cbranch_execz .LBB796_53
; %bb.52:
	s_waitcnt vmcnt(0)
	ds_read_b32 v1, v12 offset:24580
.LBB796_53:
	s_or_b64 exec, exec, s[56:57]
	v_mov_b32_e32 v13, 0
	s_waitcnt lgkmcnt(0)
	s_barrier
	s_waitcnt lgkmcnt(0)
                                        ; implicit-def: $vgpr6
	s_and_saveexec_b64 s[0:1], vcc
	s_cbranch_execz .LBB796_76
; %bb.54:
	v_lshl_add_u64 v[34:35], v[2:3], 0, v[12:13]
	flat_load_dword v6, v[34:35]
	s_or_b64 exec, exec, s[0:1]
                                        ; implicit-def: $vgpr33
	s_and_saveexec_b64 s[0:1], s[6:7]
	s_cbranch_execnz .LBB796_77
.LBB796_55:
	s_or_b64 exec, exec, s[0:1]
                                        ; implicit-def: $vgpr34
	s_and_saveexec_b64 s[0:1], s[8:9]
	s_cbranch_execz .LBB796_78
.LBB796_56:
	v_mov_b32_e32 v13, 0
	v_lshl_add_u64 v[34:35], v[2:3], 0, v[12:13]
	flat_load_dword v34, v[34:35] offset:2048
	s_or_b64 exec, exec, s[0:1]
                                        ; implicit-def: $vgpr13
	s_and_saveexec_b64 s[0:1], s[10:11]
	s_cbranch_execnz .LBB796_79
.LBB796_57:
	s_or_b64 exec, exec, s[0:1]
                                        ; implicit-def: $vgpr35
	s_and_saveexec_b64 s[0:1], s[12:13]
	s_cbranch_execz .LBB796_80
.LBB796_58:
	v_lshlrev_b32_e32 v36, 2, v14
	v_mov_b32_e32 v37, 0
	v_lshl_add_u64 v[36:37], v[2:3], 0, v[36:37]
	flat_load_dword v35, v[36:37]
	s_or_b64 exec, exec, s[0:1]
                                        ; implicit-def: $vgpr14
	s_and_saveexec_b64 s[0:1], s[14:15]
	s_cbranch_execnz .LBB796_81
.LBB796_59:
	s_or_b64 exec, exec, s[0:1]
                                        ; implicit-def: $vgpr15
	s_and_saveexec_b64 s[0:1], s[16:17]
	s_cbranch_execz .LBB796_82
.LBB796_60:
	v_lshlrev_b32_e32 v36, 2, v16
	v_mov_b32_e32 v37, 0
	v_lshl_add_u64 v[36:37], v[2:3], 0, v[36:37]
	flat_load_dword v15, v[36:37]
	s_or_b64 exec, exec, s[0:1]
                                        ; implicit-def: $vgpr16
	s_and_saveexec_b64 s[0:1], s[18:19]
	s_cbranch_execnz .LBB796_83
.LBB796_61:
	s_or_b64 exec, exec, s[0:1]
                                        ; implicit-def: $vgpr17
	s_and_saveexec_b64 s[0:1], s[20:21]
	s_cbranch_execz .LBB796_84
.LBB796_62:
	v_lshlrev_b32_e32 v36, 2, v18
	v_mov_b32_e32 v37, 0
	v_lshl_add_u64 v[36:37], v[2:3], 0, v[36:37]
	flat_load_dword v17, v[36:37]
	s_or_b64 exec, exec, s[0:1]
                                        ; implicit-def: $vgpr18
	s_and_saveexec_b64 s[0:1], s[22:23]
	s_cbranch_execnz .LBB796_85
.LBB796_63:
	s_or_b64 exec, exec, s[0:1]
                                        ; implicit-def: $vgpr19
	s_and_saveexec_b64 s[0:1], s[24:25]
	s_cbranch_execz .LBB796_86
.LBB796_64:
	v_lshlrev_b32_e32 v36, 2, v20
	v_mov_b32_e32 v37, 0
	v_lshl_add_u64 v[36:37], v[2:3], 0, v[36:37]
	flat_load_dword v19, v[36:37]
	s_or_b64 exec, exec, s[0:1]
                                        ; implicit-def: $vgpr20
	s_and_saveexec_b64 s[0:1], s[26:27]
	s_cbranch_execnz .LBB796_87
.LBB796_65:
	s_or_b64 exec, exec, s[0:1]
                                        ; implicit-def: $vgpr21
	s_and_saveexec_b64 s[0:1], s[28:29]
	s_cbranch_execz .LBB796_88
.LBB796_66:
	v_lshlrev_b32_e32 v36, 2, v22
	v_mov_b32_e32 v37, 0
	v_lshl_add_u64 v[36:37], v[2:3], 0, v[36:37]
	flat_load_dword v21, v[36:37]
	s_or_b64 exec, exec, s[0:1]
                                        ; implicit-def: $vgpr22
	s_and_saveexec_b64 s[0:1], s[30:31]
	s_cbranch_execnz .LBB796_89
.LBB796_67:
	s_or_b64 exec, exec, s[0:1]
                                        ; implicit-def: $vgpr23
	s_and_saveexec_b64 s[0:1], s[34:35]
	s_cbranch_execz .LBB796_90
.LBB796_68:
	v_lshlrev_b32_e32 v36, 2, v24
	v_mov_b32_e32 v37, 0
	v_lshl_add_u64 v[36:37], v[2:3], 0, v[36:37]
	flat_load_dword v23, v[36:37]
	s_or_b64 exec, exec, s[0:1]
                                        ; implicit-def: $vgpr24
	s_and_saveexec_b64 s[0:1], s[36:37]
	s_cbranch_execnz .LBB796_91
.LBB796_69:
	s_or_b64 exec, exec, s[0:1]
                                        ; implicit-def: $vgpr25
	s_and_saveexec_b64 s[0:1], s[38:39]
	s_cbranch_execz .LBB796_92
.LBB796_70:
	v_lshlrev_b32_e32 v36, 2, v26
	v_mov_b32_e32 v37, 0
	v_lshl_add_u64 v[36:37], v[2:3], 0, v[36:37]
	flat_load_dword v25, v[36:37]
	s_or_b64 exec, exec, s[0:1]
                                        ; implicit-def: $vgpr26
	s_and_saveexec_b64 s[0:1], s[40:41]
	s_cbranch_execnz .LBB796_93
.LBB796_71:
	s_or_b64 exec, exec, s[0:1]
                                        ; implicit-def: $vgpr27
	s_and_saveexec_b64 s[0:1], s[42:43]
	s_cbranch_execz .LBB796_94
.LBB796_72:
	v_lshlrev_b32_e32 v36, 2, v28
	v_mov_b32_e32 v37, 0
	v_lshl_add_u64 v[36:37], v[2:3], 0, v[36:37]
	flat_load_dword v27, v[36:37]
	s_or_b64 exec, exec, s[0:1]
                                        ; implicit-def: $vgpr28
	s_and_saveexec_b64 s[0:1], s[44:45]
	s_cbranch_execnz .LBB796_95
.LBB796_73:
	s_or_b64 exec, exec, s[0:1]
                                        ; implicit-def: $vgpr29
	s_and_saveexec_b64 s[0:1], s[46:47]
	s_cbranch_execz .LBB796_96
.LBB796_74:
	v_lshlrev_b32_e32 v36, 2, v30
	v_mov_b32_e32 v37, 0
	v_lshl_add_u64 v[36:37], v[2:3], 0, v[36:37]
	flat_load_dword v29, v[36:37]
	s_or_b64 exec, exec, s[0:1]
                                        ; implicit-def: $vgpr30
	s_and_saveexec_b64 s[0:1], s[48:49]
	s_cbranch_execz .LBB796_98
	s_branch .LBB796_97
.LBB796_75:
	s_mov_b64 s[10:11], 0
                                        ; implicit-def: $sgpr8_sgpr9
                                        ; implicit-def: $vgpr6
                                        ; implicit-def: $vgpr12_vgpr13
                                        ; implicit-def: $vgpr14_vgpr15
                                        ; implicit-def: $vgpr16_vgpr17
                                        ; implicit-def: $vgpr18_vgpr19
                                        ; implicit-def: $vgpr20_vgpr21
                                        ; implicit-def: $vgpr22_vgpr23
                                        ; implicit-def: $vgpr24_vgpr25
                                        ; implicit-def: $vgpr26_vgpr27
                                        ; implicit-def: $vgpr28_vgpr29
                                        ; implicit-def: $vgpr30_vgpr31
                                        ; implicit-def: $vgpr32_vgpr33
                                        ; implicit-def: $vgpr34_vgpr35
                                        ; implicit-def: $vgpr36_vgpr37
                                        ; implicit-def: $vgpr38_vgpr39
                                        ; implicit-def: $vgpr40_vgpr41
                                        ; implicit-def: $vgpr42_vgpr43
                                        ; implicit-def: $vgpr44_vgpr45
                                        ; implicit-def: $vgpr46_vgpr47
                                        ; implicit-def: $vgpr48_vgpr49
                                        ; implicit-def: $vgpr50_vgpr51
                                        ; implicit-def: $vgpr52_vgpr53
                                        ; implicit-def: $vgpr54_vgpr55
                                        ; implicit-def: $sgpr6_sgpr7
	s_and_b64 vcc, exec, s[0:1]
	v_lshlrev_b32_e32 v56, 2, v0
	s_cbranch_vccz .LBB796_152
	s_branch .LBB796_147
.LBB796_76:
	s_or_b64 exec, exec, s[0:1]
                                        ; implicit-def: $vgpr33
	s_and_saveexec_b64 s[0:1], s[6:7]
	s_cbranch_execz .LBB796_55
.LBB796_77:
	v_mov_b32_e32 v13, 0
	v_lshl_add_u64 v[34:35], v[2:3], 0, v[12:13]
	flat_load_dword v33, v[34:35] offset:1024
	s_or_b64 exec, exec, s[0:1]
                                        ; implicit-def: $vgpr34
	s_and_saveexec_b64 s[0:1], s[8:9]
	s_cbranch_execnz .LBB796_56
.LBB796_78:
	s_or_b64 exec, exec, s[0:1]
                                        ; implicit-def: $vgpr13
	s_and_saveexec_b64 s[0:1], s[10:11]
	s_cbranch_execz .LBB796_57
.LBB796_79:
	v_mov_b32_e32 v13, 0
	v_lshl_add_u64 v[36:37], v[2:3], 0, v[12:13]
	flat_load_dword v13, v[36:37] offset:3072
	s_or_b64 exec, exec, s[0:1]
                                        ; implicit-def: $vgpr35
	s_and_saveexec_b64 s[0:1], s[12:13]
	s_cbranch_execnz .LBB796_58
.LBB796_80:
	s_or_b64 exec, exec, s[0:1]
                                        ; implicit-def: $vgpr14
	s_and_saveexec_b64 s[0:1], s[14:15]
	s_cbranch_execz .LBB796_59
.LBB796_81:
	v_lshlrev_b32_e32 v14, 2, v15
	v_mov_b32_e32 v15, 0
	v_lshl_add_u64 v[14:15], v[2:3], 0, v[14:15]
	flat_load_dword v14, v[14:15]
	s_or_b64 exec, exec, s[0:1]
                                        ; implicit-def: $vgpr15
	s_and_saveexec_b64 s[0:1], s[16:17]
	s_cbranch_execnz .LBB796_60
.LBB796_82:
	s_or_b64 exec, exec, s[0:1]
                                        ; implicit-def: $vgpr16
	s_and_saveexec_b64 s[0:1], s[18:19]
	s_cbranch_execz .LBB796_61
.LBB796_83:
	v_lshlrev_b32_e32 v16, 2, v17
	v_mov_b32_e32 v17, 0
	v_lshl_add_u64 v[16:17], v[2:3], 0, v[16:17]
	flat_load_dword v16, v[16:17]
	s_or_b64 exec, exec, s[0:1]
                                        ; implicit-def: $vgpr17
	s_and_saveexec_b64 s[0:1], s[20:21]
	s_cbranch_execnz .LBB796_62
.LBB796_84:
	s_or_b64 exec, exec, s[0:1]
                                        ; implicit-def: $vgpr18
	s_and_saveexec_b64 s[0:1], s[22:23]
	s_cbranch_execz .LBB796_63
.LBB796_85:
	v_lshlrev_b32_e32 v18, 2, v19
	v_mov_b32_e32 v19, 0
	v_lshl_add_u64 v[18:19], v[2:3], 0, v[18:19]
	flat_load_dword v18, v[18:19]
	s_or_b64 exec, exec, s[0:1]
                                        ; implicit-def: $vgpr19
	s_and_saveexec_b64 s[0:1], s[24:25]
	s_cbranch_execnz .LBB796_64
.LBB796_86:
	s_or_b64 exec, exec, s[0:1]
                                        ; implicit-def: $vgpr20
	s_and_saveexec_b64 s[0:1], s[26:27]
	s_cbranch_execz .LBB796_65
.LBB796_87:
	v_lshlrev_b32_e32 v20, 2, v21
	v_mov_b32_e32 v21, 0
	v_lshl_add_u64 v[20:21], v[2:3], 0, v[20:21]
	flat_load_dword v20, v[20:21]
	s_or_b64 exec, exec, s[0:1]
                                        ; implicit-def: $vgpr21
	s_and_saveexec_b64 s[0:1], s[28:29]
	s_cbranch_execnz .LBB796_66
.LBB796_88:
	s_or_b64 exec, exec, s[0:1]
                                        ; implicit-def: $vgpr22
	s_and_saveexec_b64 s[0:1], s[30:31]
	s_cbranch_execz .LBB796_67
.LBB796_89:
	v_lshlrev_b32_e32 v22, 2, v23
	v_mov_b32_e32 v23, 0
	v_lshl_add_u64 v[22:23], v[2:3], 0, v[22:23]
	flat_load_dword v22, v[22:23]
	s_or_b64 exec, exec, s[0:1]
                                        ; implicit-def: $vgpr23
	s_and_saveexec_b64 s[0:1], s[34:35]
	s_cbranch_execnz .LBB796_68
.LBB796_90:
	s_or_b64 exec, exec, s[0:1]
                                        ; implicit-def: $vgpr24
	s_and_saveexec_b64 s[0:1], s[36:37]
	s_cbranch_execz .LBB796_69
.LBB796_91:
	v_lshlrev_b32_e32 v24, 2, v25
	v_mov_b32_e32 v25, 0
	v_lshl_add_u64 v[24:25], v[2:3], 0, v[24:25]
	flat_load_dword v24, v[24:25]
	s_or_b64 exec, exec, s[0:1]
                                        ; implicit-def: $vgpr25
	s_and_saveexec_b64 s[0:1], s[38:39]
	s_cbranch_execnz .LBB796_70
.LBB796_92:
	s_or_b64 exec, exec, s[0:1]
                                        ; implicit-def: $vgpr26
	s_and_saveexec_b64 s[0:1], s[40:41]
	s_cbranch_execz .LBB796_71
.LBB796_93:
	v_lshlrev_b32_e32 v26, 2, v27
	v_mov_b32_e32 v27, 0
	v_lshl_add_u64 v[26:27], v[2:3], 0, v[26:27]
	flat_load_dword v26, v[26:27]
	s_or_b64 exec, exec, s[0:1]
                                        ; implicit-def: $vgpr27
	s_and_saveexec_b64 s[0:1], s[42:43]
	s_cbranch_execnz .LBB796_72
.LBB796_94:
	s_or_b64 exec, exec, s[0:1]
                                        ; implicit-def: $vgpr28
	s_and_saveexec_b64 s[0:1], s[44:45]
	s_cbranch_execz .LBB796_73
.LBB796_95:
	v_lshlrev_b32_e32 v28, 2, v29
	v_mov_b32_e32 v29, 0
	v_lshl_add_u64 v[28:29], v[2:3], 0, v[28:29]
	flat_load_dword v28, v[28:29]
	s_or_b64 exec, exec, s[0:1]
                                        ; implicit-def: $vgpr29
	s_and_saveexec_b64 s[0:1], s[46:47]
	s_cbranch_execnz .LBB796_74
.LBB796_96:
	s_or_b64 exec, exec, s[0:1]
                                        ; implicit-def: $vgpr30
	s_and_saveexec_b64 s[0:1], s[48:49]
	s_cbranch_execz .LBB796_98
.LBB796_97:
	v_lshlrev_b32_e32 v30, 2, v31
	v_mov_b32_e32 v31, 0
	v_lshl_add_u64 v[30:31], v[2:3], 0, v[30:31]
	flat_load_dword v30, v[30:31]
.LBB796_98:
	s_or_b64 exec, exec, s[0:1]
	v_mul_u32_u24_e32 v76, 23, v0
                                        ; implicit-def: $vgpr31
	s_and_saveexec_b64 s[0:1], s[50:51]
	s_cbranch_execz .LBB796_100
; %bb.99:
	v_lshlrev_b32_e32 v36, 2, v32
	v_mov_b32_e32 v37, 0
	v_lshl_add_u64 v[36:37], v[2:3], 0, v[36:37]
	flat_load_dword v31, v[36:37]
.LBB796_100:
	s_or_b64 exec, exec, s[0:1]
	s_waitcnt vmcnt(0) lgkmcnt(0)
	ds_write2st64_b32 v12, v6, v33 offset1:4
	ds_write2st64_b32 v12, v34, v13 offset0:8 offset1:12
	ds_write2st64_b32 v12, v35, v14 offset0:16 offset1:20
	;; [unrolled: 1-line block ×10, first 2 shown]
	ds_write_b32 v12, v31 offset:22528
	v_mov_b64_e32 v[12:13], 0
	v_cmp_gt_u32_e32 vcc, s60, v76
	s_mov_b64 s[10:11], 0
	s_mov_b64 s[0:1], 0
	v_mov_b64_e32 v[14:15], v[12:13]
	v_mov_b64_e32 v[16:17], v[12:13]
	;; [unrolled: 1-line block ×21, first 2 shown]
	s_waitcnt lgkmcnt(0)
	s_barrier
	s_waitcnt lgkmcnt(0)
                                        ; implicit-def: $sgpr8_sgpr9
                                        ; implicit-def: $vgpr6
	s_and_saveexec_b64 s[6:7], vcc
	s_cbranch_execz .LBB796_146
; %bb.101:
	ds_read_b32 v6, v74
	v_mov_b32_e32 v12, s74
	v_cmp_eq_u32_e32 vcc, 0, v7
	v_add_u32_e32 v14, 1, v76
	s_mov_b64 s[12:13], 0
	s_waitcnt lgkmcnt(0)
	v_cndmask_b32_e32 v12, v12, v6, vcc
	v_cmp_ne_u32_e32 vcc, 0, v7
                                        ; implicit-def: $sgpr14_sgpr15
                                        ; implicit-def: $vgpr6
	s_nop 1
	v_cndmask_b32_e64 v13, 0, 1, vcc
	v_cmp_gt_u32_e32 vcc, s60, v14
	v_mov_b64_e32 v[14:15], 0
	v_mov_b64_e32 v[16:17], v[14:15]
	;; [unrolled: 1-line block ×21, first 2 shown]
	s_and_saveexec_b64 s[8:9], vcc
	s_cbranch_execz .LBB796_145
; %bb.102:
	ds_read2_b32 v[6:7], v74 offset0:1 offset1:2
	v_mov_b32_e32 v14, s74
	v_cmp_eq_u32_e32 vcc, 0, v72
	v_add_u32_e32 v16, 2, v76
	s_mov_b64 s[14:15], 0
	s_waitcnt lgkmcnt(0)
	v_cndmask_b32_e32 v14, v14, v6, vcc
	v_cmp_ne_u32_e32 vcc, 0, v72
                                        ; implicit-def: $sgpr16_sgpr17
                                        ; implicit-def: $vgpr6
	s_nop 1
	v_cndmask_b32_e64 v15, 0, 1, vcc
	v_cmp_gt_u32_e32 vcc, s60, v16
	v_mov_b64_e32 v[16:17], 0
	v_mov_b64_e32 v[18:19], v[16:17]
	;; [unrolled: 1-line block ×20, first 2 shown]
	s_and_saveexec_b64 s[10:11], vcc
	s_cbranch_execz .LBB796_144
; %bb.103:
	v_mov_b32_e32 v16, s74
	v_cmp_eq_u32_e32 vcc, 0, v73
	v_add_u32_e32 v6, 3, v76
	v_mov_b64_e32 v[18:19], 0
	v_cndmask_b32_e32 v16, v16, v7, vcc
	v_cmp_ne_u32_e32 vcc, 0, v73
	s_mov_b64 s[16:17], 0
	v_mov_b64_e32 v[20:21], v[18:19]
	v_cndmask_b32_e64 v17, 0, 1, vcc
	v_cmp_gt_u32_e32 vcc, s60, v6
	v_mov_b64_e32 v[22:23], v[18:19]
	v_mov_b64_e32 v[24:25], v[18:19]
	;; [unrolled: 1-line block ×17, first 2 shown]
                                        ; implicit-def: $sgpr18_sgpr19
                                        ; implicit-def: $vgpr6
	s_and_saveexec_b64 s[12:13], vcc
	s_cbranch_execz .LBB796_143
; %bb.104:
	ds_read2_b32 v[6:7], v74 offset0:3 offset1:4
	v_mov_b32_e32 v18, s74
	v_cmp_eq_u32_e32 vcc, 0, v70
	v_add_u32_e32 v20, 4, v76
	s_mov_b64 s[18:19], 0
	s_waitcnt lgkmcnt(0)
	v_cndmask_b32_e32 v18, v18, v6, vcc
	v_cmp_ne_u32_e32 vcc, 0, v70
                                        ; implicit-def: $sgpr20_sgpr21
                                        ; implicit-def: $vgpr6
	s_nop 1
	v_cndmask_b32_e64 v19, 0, 1, vcc
	v_cmp_gt_u32_e32 vcc, s60, v20
	v_mov_b64_e32 v[20:21], 0
	v_mov_b64_e32 v[22:23], v[20:21]
	;; [unrolled: 1-line block ×18, first 2 shown]
	s_and_saveexec_b64 s[14:15], vcc
	s_cbranch_execz .LBB796_142
; %bb.105:
	v_mov_b32_e32 v20, s74
	v_cmp_eq_u32_e32 vcc, 0, v71
	v_add_u32_e32 v6, 5, v76
	v_mov_b64_e32 v[22:23], 0
	v_cndmask_b32_e32 v20, v20, v7, vcc
	v_cmp_ne_u32_e32 vcc, 0, v71
	s_mov_b64 s[20:21], 0
	v_mov_b64_e32 v[24:25], v[22:23]
	v_cndmask_b32_e64 v21, 0, 1, vcc
	v_cmp_gt_u32_e32 vcc, s60, v6
	v_mov_b64_e32 v[26:27], v[22:23]
	v_mov_b64_e32 v[28:29], v[22:23]
	v_mov_b64_e32 v[30:31], v[22:23]
	v_mov_b64_e32 v[32:33], v[22:23]
	v_mov_b64_e32 v[34:35], v[22:23]
	v_mov_b64_e32 v[36:37], v[22:23]
	v_mov_b64_e32 v[38:39], v[22:23]
	v_mov_b64_e32 v[40:41], v[22:23]
	v_mov_b64_e32 v[42:43], v[22:23]
	v_mov_b64_e32 v[44:45], v[22:23]
	v_mov_b64_e32 v[46:47], v[22:23]
	v_mov_b64_e32 v[48:49], v[22:23]
	v_mov_b64_e32 v[50:51], v[22:23]
	v_mov_b64_e32 v[52:53], v[22:23]
	v_mov_b64_e32 v[54:55], v[22:23]
                                        ; implicit-def: $sgpr22_sgpr23
                                        ; implicit-def: $vgpr6
	s_and_saveexec_b64 s[16:17], vcc
	s_cbranch_execz .LBB796_141
; %bb.106:
	ds_read2_b32 v[6:7], v74 offset0:5 offset1:6
	v_mov_b32_e32 v22, s74
	v_cmp_eq_u32_e32 vcc, 0, v68
	v_add_u32_e32 v24, 6, v76
	s_mov_b64 s[22:23], 0
	s_waitcnt lgkmcnt(0)
	v_cndmask_b32_e32 v22, v22, v6, vcc
	v_cmp_ne_u32_e32 vcc, 0, v68
                                        ; implicit-def: $sgpr24_sgpr25
                                        ; implicit-def: $vgpr6
	s_nop 1
	v_cndmask_b32_e64 v23, 0, 1, vcc
	v_cmp_gt_u32_e32 vcc, s60, v24
	v_mov_b64_e32 v[24:25], 0
	v_mov_b64_e32 v[26:27], v[24:25]
	;; [unrolled: 1-line block ×16, first 2 shown]
	s_and_saveexec_b64 s[18:19], vcc
	s_cbranch_execz .LBB796_140
; %bb.107:
	v_mov_b32_e32 v24, s74
	v_cmp_eq_u32_e32 vcc, 0, v69
	v_add_u32_e32 v6, 7, v76
	v_mov_b64_e32 v[26:27], 0
	v_cndmask_b32_e32 v24, v24, v7, vcc
	v_cmp_ne_u32_e32 vcc, 0, v69
	s_mov_b64 s[24:25], 0
	v_mov_b64_e32 v[28:29], v[26:27]
	v_cndmask_b32_e64 v25, 0, 1, vcc
	v_cmp_gt_u32_e32 vcc, s60, v6
	v_mov_b64_e32 v[30:31], v[26:27]
	v_mov_b64_e32 v[32:33], v[26:27]
	;; [unrolled: 1-line block ×13, first 2 shown]
                                        ; implicit-def: $sgpr26_sgpr27
                                        ; implicit-def: $vgpr6
	s_and_saveexec_b64 s[20:21], vcc
	s_cbranch_execz .LBB796_139
; %bb.108:
	ds_read2_b32 v[6:7], v74 offset0:7 offset1:8
	v_mov_b32_e32 v26, s74
	v_cmp_eq_u32_e32 vcc, 0, v66
	v_add_u32_e32 v28, 8, v76
	s_mov_b64 s[26:27], 0
	s_waitcnt lgkmcnt(0)
	v_cndmask_b32_e32 v26, v26, v6, vcc
	v_cmp_ne_u32_e32 vcc, 0, v66
                                        ; implicit-def: $sgpr28_sgpr29
                                        ; implicit-def: $vgpr6
	s_nop 1
	v_cndmask_b32_e64 v27, 0, 1, vcc
	v_cmp_gt_u32_e32 vcc, s60, v28
	v_mov_b64_e32 v[28:29], 0
	v_mov_b64_e32 v[30:31], v[28:29]
	;; [unrolled: 1-line block ×14, first 2 shown]
	s_and_saveexec_b64 s[22:23], vcc
	s_cbranch_execz .LBB796_138
; %bb.109:
	v_mov_b32_e32 v28, s74
	v_cmp_eq_u32_e32 vcc, 0, v67
	v_add_u32_e32 v6, 9, v76
	v_mov_b64_e32 v[30:31], 0
	v_cndmask_b32_e32 v28, v28, v7, vcc
	v_cmp_ne_u32_e32 vcc, 0, v67
	s_mov_b64 s[28:29], 0
	v_mov_b64_e32 v[32:33], v[30:31]
	v_cndmask_b32_e64 v29, 0, 1, vcc
	v_cmp_gt_u32_e32 vcc, s60, v6
	v_mov_b64_e32 v[34:35], v[30:31]
	v_mov_b64_e32 v[36:37], v[30:31]
	;; [unrolled: 1-line block ×11, first 2 shown]
                                        ; implicit-def: $sgpr30_sgpr31
                                        ; implicit-def: $vgpr6
	s_and_saveexec_b64 s[24:25], vcc
	s_cbranch_execz .LBB796_137
; %bb.110:
	ds_read2_b32 v[6:7], v74 offset0:9 offset1:10
	v_mov_b32_e32 v30, s74
	v_cmp_eq_u32_e32 vcc, 0, v64
	v_add_u32_e32 v32, 10, v76
	s_mov_b64 s[30:31], 0
	s_waitcnt lgkmcnt(0)
	v_cndmask_b32_e32 v30, v30, v6, vcc
	v_cmp_ne_u32_e32 vcc, 0, v64
                                        ; implicit-def: $sgpr34_sgpr35
                                        ; implicit-def: $vgpr6
	s_nop 1
	v_cndmask_b32_e64 v31, 0, 1, vcc
	v_cmp_gt_u32_e32 vcc, s60, v32
	v_mov_b64_e32 v[32:33], 0
	v_mov_b64_e32 v[34:35], v[32:33]
	;; [unrolled: 1-line block ×12, first 2 shown]
	s_and_saveexec_b64 s[26:27], vcc
	s_cbranch_execz .LBB796_136
; %bb.111:
	v_mov_b32_e32 v32, s74
	v_cmp_eq_u32_e32 vcc, 0, v65
	v_add_u32_e32 v6, 11, v76
	v_mov_b64_e32 v[34:35], 0
	v_cndmask_b32_e32 v32, v32, v7, vcc
	v_cmp_ne_u32_e32 vcc, 0, v65
	s_mov_b64 s[34:35], 0
	v_mov_b64_e32 v[36:37], v[34:35]
	v_cndmask_b32_e64 v33, 0, 1, vcc
	v_cmp_gt_u32_e32 vcc, s60, v6
	v_mov_b64_e32 v[38:39], v[34:35]
	v_mov_b64_e32 v[40:41], v[34:35]
	;; [unrolled: 1-line block ×9, first 2 shown]
                                        ; implicit-def: $sgpr36_sgpr37
                                        ; implicit-def: $vgpr6
	s_and_saveexec_b64 s[28:29], vcc
	s_cbranch_execz .LBB796_135
; %bb.112:
	ds_read2_b32 v[6:7], v74 offset0:11 offset1:12
	v_mov_b32_e32 v34, s74
	v_cmp_eq_u32_e32 vcc, 0, v62
	v_add_u32_e32 v36, 12, v76
	s_mov_b64 s[36:37], 0
	s_waitcnt lgkmcnt(0)
	v_cndmask_b32_e32 v34, v34, v6, vcc
	v_cmp_ne_u32_e32 vcc, 0, v62
                                        ; implicit-def: $sgpr38_sgpr39
                                        ; implicit-def: $vgpr6
	s_nop 1
	v_cndmask_b32_e64 v35, 0, 1, vcc
	v_cmp_gt_u32_e32 vcc, s60, v36
	v_mov_b64_e32 v[36:37], 0
	v_mov_b64_e32 v[38:39], v[36:37]
	;; [unrolled: 1-line block ×10, first 2 shown]
	s_and_saveexec_b64 s[30:31], vcc
	s_cbranch_execz .LBB796_134
; %bb.113:
	v_mov_b32_e32 v36, s74
	v_cmp_eq_u32_e32 vcc, 0, v63
	v_add_u32_e32 v6, 13, v76
	v_mov_b64_e32 v[38:39], 0
	v_cndmask_b32_e32 v36, v36, v7, vcc
	v_cmp_ne_u32_e32 vcc, 0, v63
	s_mov_b64 s[38:39], 0
	v_mov_b64_e32 v[40:41], v[38:39]
	v_cndmask_b32_e64 v37, 0, 1, vcc
	v_cmp_gt_u32_e32 vcc, s60, v6
	v_mov_b64_e32 v[42:43], v[38:39]
	v_mov_b64_e32 v[44:45], v[38:39]
	;; [unrolled: 1-line block ×7, first 2 shown]
                                        ; implicit-def: $sgpr40_sgpr41
                                        ; implicit-def: $vgpr6
	s_and_saveexec_b64 s[34:35], vcc
	s_cbranch_execz .LBB796_133
; %bb.114:
	ds_read2_b32 v[6:7], v74 offset0:13 offset1:14
	v_mov_b32_e32 v38, s74
	v_cmp_eq_u32_e32 vcc, 0, v60
	v_add_u32_e32 v40, 14, v76
	s_mov_b64 s[40:41], 0
	s_waitcnt lgkmcnt(0)
	v_cndmask_b32_e32 v38, v38, v6, vcc
	v_cmp_ne_u32_e32 vcc, 0, v60
                                        ; implicit-def: $sgpr42_sgpr43
                                        ; implicit-def: $vgpr6
	s_nop 1
	v_cndmask_b32_e64 v39, 0, 1, vcc
	v_cmp_gt_u32_e32 vcc, s60, v40
	v_mov_b64_e32 v[40:41], 0
	v_mov_b64_e32 v[42:43], v[40:41]
	;; [unrolled: 1-line block ×8, first 2 shown]
	s_and_saveexec_b64 s[36:37], vcc
	s_cbranch_execz .LBB796_132
; %bb.115:
	v_mov_b32_e32 v40, s74
	v_cmp_eq_u32_e32 vcc, 0, v61
	v_add_u32_e32 v6, 15, v76
	v_mov_b64_e32 v[42:43], 0
	v_cndmask_b32_e32 v40, v40, v7, vcc
	v_cmp_ne_u32_e32 vcc, 0, v61
	s_mov_b64 s[42:43], 0
	v_mov_b64_e32 v[44:45], v[42:43]
	v_cndmask_b32_e64 v41, 0, 1, vcc
	v_cmp_gt_u32_e32 vcc, s60, v6
	v_mov_b64_e32 v[46:47], v[42:43]
	v_mov_b64_e32 v[48:49], v[42:43]
	;; [unrolled: 1-line block ×5, first 2 shown]
                                        ; implicit-def: $sgpr44_sgpr45
                                        ; implicit-def: $vgpr6
	s_and_saveexec_b64 s[38:39], vcc
	s_cbranch_execz .LBB796_131
; %bb.116:
	ds_read2_b32 v[6:7], v74 offset0:15 offset1:16
	v_mov_b32_e32 v42, s74
	v_cmp_eq_u32_e32 vcc, 0, v58
	v_add_u32_e32 v44, 16, v76
	s_mov_b64 s[44:45], 0
	s_waitcnt lgkmcnt(0)
	v_cndmask_b32_e32 v42, v42, v6, vcc
	v_cmp_ne_u32_e32 vcc, 0, v58
                                        ; implicit-def: $sgpr46_sgpr47
                                        ; implicit-def: $vgpr6
	s_nop 1
	v_cndmask_b32_e64 v43, 0, 1, vcc
	v_cmp_gt_u32_e32 vcc, s60, v44
	v_mov_b64_e32 v[44:45], 0
	v_mov_b64_e32 v[46:47], v[44:45]
	;; [unrolled: 1-line block ×6, first 2 shown]
	s_and_saveexec_b64 s[40:41], vcc
	s_cbranch_execz .LBB796_130
; %bb.117:
	v_mov_b32_e32 v44, s74
	v_cmp_eq_u32_e32 vcc, 0, v59
	v_add_u32_e32 v6, 17, v76
	v_mov_b64_e32 v[46:47], 0
	v_cndmask_b32_e32 v44, v44, v7, vcc
	v_cmp_ne_u32_e32 vcc, 0, v59
	s_mov_b64 s[46:47], 0
	v_mov_b64_e32 v[48:49], v[46:47]
	v_cndmask_b32_e64 v45, 0, 1, vcc
	v_cmp_gt_u32_e32 vcc, s60, v6
	v_mov_b64_e32 v[50:51], v[46:47]
	v_mov_b64_e32 v[52:53], v[46:47]
	;; [unrolled: 1-line block ×3, first 2 shown]
                                        ; implicit-def: $sgpr48_sgpr49
                                        ; implicit-def: $vgpr6
	s_and_saveexec_b64 s[42:43], vcc
	s_cbranch_execz .LBB796_129
; %bb.118:
	ds_read2_b32 v[6:7], v74 offset0:17 offset1:18
	v_mov_b32_e32 v46, s74
	v_cmp_eq_u32_e32 vcc, 0, v56
	v_add_u32_e32 v48, 18, v76
	s_mov_b64 s[48:49], 0
	s_waitcnt lgkmcnt(0)
	v_cndmask_b32_e32 v46, v46, v6, vcc
	v_cmp_ne_u32_e32 vcc, 0, v56
                                        ; implicit-def: $sgpr50_sgpr51
                                        ; implicit-def: $vgpr6
	s_nop 1
	v_cndmask_b32_e64 v47, 0, 1, vcc
	v_cmp_gt_u32_e32 vcc, s60, v48
	v_mov_b64_e32 v[48:49], 0
	v_mov_b64_e32 v[50:51], v[48:49]
	;; [unrolled: 1-line block ×4, first 2 shown]
	s_and_saveexec_b64 s[44:45], vcc
	s_cbranch_execz .LBB796_128
; %bb.119:
	v_mov_b32_e32 v48, s74
	v_cmp_eq_u32_e32 vcc, 0, v57
	v_add_u32_e32 v6, 19, v76
	v_mov_b64_e32 v[50:51], 0
	v_cndmask_b32_e32 v48, v48, v7, vcc
	v_cmp_ne_u32_e32 vcc, 0, v57
	s_mov_b64 s[50:51], 0
	v_mov_b64_e32 v[52:53], v[50:51]
	v_cndmask_b32_e64 v49, 0, 1, vcc
	v_cmp_gt_u32_e32 vcc, s60, v6
	v_mov_b64_e32 v[54:55], v[50:51]
                                        ; implicit-def: $sgpr56_sgpr57
                                        ; implicit-def: $vgpr6
	s_and_saveexec_b64 s[46:47], vcc
	s_cbranch_execz .LBB796_127
; %bb.120:
	ds_read2_b32 v[6:7], v74 offset0:19 offset1:20
	v_mov_b32_e32 v50, s74
	v_cmp_eq_u32_e32 vcc, 0, v8
	v_add_u32_e32 v52, 20, v76
	s_mov_b64 s[56:57], 0
	s_waitcnt lgkmcnt(0)
	v_cndmask_b32_e32 v50, v50, v6, vcc
	v_cmp_ne_u32_e32 vcc, 0, v8
                                        ; implicit-def: $sgpr58_sgpr59
                                        ; implicit-def: $vgpr6
	s_nop 1
	v_cndmask_b32_e64 v51, 0, 1, vcc
	v_cmp_gt_u32_e32 vcc, s60, v52
	v_mov_b64_e32 v[52:53], 0
	v_mov_b64_e32 v[54:55], v[52:53]
	s_and_saveexec_b64 s[48:49], vcc
	s_cbranch_execz .LBB796_126
; %bb.121:
	v_mov_b32_e32 v8, s74
	v_cmp_eq_u32_e32 vcc, 0, v9
	v_add_u32_e32 v6, 21, v76
	v_mov_b64_e32 v[54:55], 0
	v_cndmask_b32_e32 v52, v8, v7, vcc
	v_cmp_ne_u32_e32 vcc, 0, v9
                                        ; implicit-def: $sgpr58_sgpr59
	s_nop 1
	v_cndmask_b32_e64 v53, 0, 1, vcc
	v_cmp_gt_u32_e32 vcc, s60, v6
                                        ; implicit-def: $vgpr6
	s_and_saveexec_b64 s[50:51], vcc
	s_cbranch_execz .LBB796_125
; %bb.122:
	ds_read2_b32 v[6:7], v74 offset0:21 offset1:22
	v_mov_b32_e32 v9, s74
	v_cmp_eq_u32_e32 vcc, 0, v75
	v_add_u32_e32 v8, 22, v76
                                        ; implicit-def: $sgpr58_sgpr59
	s_waitcnt lgkmcnt(0)
	v_cndmask_b32_e32 v54, v9, v6, vcc
	v_cmp_ne_u32_e32 vcc, 0, v75
                                        ; implicit-def: $vgpr6
	s_nop 1
	v_cndmask_b32_e64 v55, 0, 1, vcc
	v_cmp_gt_u32_e32 vcc, s60, v8
	s_and_saveexec_b64 s[60:61], vcc
	s_xor_b64 s[60:61], exec, s[60:61]
; %bb.123:
	v_mov_b32_e32 v6, s74
	v_cmp_ne_u32_e32 vcc, 0, v1
	s_mov_b64 s[56:57], exec
	s_and_b64 s[58:59], vcc, exec
	v_cndmask_b32_e32 v6, v7, v6, vcc
; %bb.124:
	s_or_b64 exec, exec, s[60:61]
	s_and_b64 s[58:59], s[58:59], exec
	s_and_b64 s[56:57], s[56:57], exec
.LBB796_125:
	s_or_b64 exec, exec, s[50:51]
	s_and_b64 s[58:59], s[58:59], exec
	s_and_b64 s[50:51], s[56:57], exec
.LBB796_126:
	s_or_b64 exec, exec, s[48:49]
	s_and_b64 s[56:57], s[58:59], exec
	s_and_b64 s[48:49], s[50:51], exec
.LBB796_127:
	s_or_b64 exec, exec, s[46:47]
	s_and_b64 s[50:51], s[56:57], exec
	s_and_b64 s[46:47], s[48:49], exec
.LBB796_128:
	s_or_b64 exec, exec, s[44:45]
	s_and_b64 s[48:49], s[50:51], exec
	s_and_b64 s[44:45], s[46:47], exec
.LBB796_129:
	s_or_b64 exec, exec, s[42:43]
	s_and_b64 s[46:47], s[48:49], exec
	s_and_b64 s[42:43], s[44:45], exec
.LBB796_130:
	s_or_b64 exec, exec, s[40:41]
	s_and_b64 s[44:45], s[46:47], exec
	s_and_b64 s[40:41], s[42:43], exec
.LBB796_131:
	s_or_b64 exec, exec, s[38:39]
	s_and_b64 s[42:43], s[44:45], exec
	s_and_b64 s[38:39], s[40:41], exec
.LBB796_132:
	s_or_b64 exec, exec, s[36:37]
	s_and_b64 s[40:41], s[42:43], exec
	s_and_b64 s[36:37], s[38:39], exec
.LBB796_133:
	s_or_b64 exec, exec, s[34:35]
	s_and_b64 s[38:39], s[40:41], exec
	s_and_b64 s[34:35], s[36:37], exec
.LBB796_134:
	s_or_b64 exec, exec, s[30:31]
	s_and_b64 s[36:37], s[38:39], exec
	s_and_b64 s[30:31], s[34:35], exec
.LBB796_135:
	s_or_b64 exec, exec, s[28:29]
	s_and_b64 s[34:35], s[36:37], exec
	s_and_b64 s[28:29], s[30:31], exec
.LBB796_136:
	s_or_b64 exec, exec, s[26:27]
	s_and_b64 s[30:31], s[34:35], exec
	s_and_b64 s[26:27], s[28:29], exec
.LBB796_137:
	s_or_b64 exec, exec, s[24:25]
	s_and_b64 s[28:29], s[30:31], exec
	s_and_b64 s[24:25], s[26:27], exec
.LBB796_138:
	s_or_b64 exec, exec, s[22:23]
	s_and_b64 s[26:27], s[28:29], exec
	s_and_b64 s[22:23], s[24:25], exec
.LBB796_139:
	s_or_b64 exec, exec, s[20:21]
	s_and_b64 s[24:25], s[26:27], exec
	s_and_b64 s[20:21], s[22:23], exec
.LBB796_140:
	s_or_b64 exec, exec, s[18:19]
	s_and_b64 s[22:23], s[24:25], exec
	s_and_b64 s[18:19], s[20:21], exec
.LBB796_141:
	s_or_b64 exec, exec, s[16:17]
	s_and_b64 s[20:21], s[22:23], exec
	s_and_b64 s[16:17], s[18:19], exec
.LBB796_142:
	s_or_b64 exec, exec, s[14:15]
	s_and_b64 s[18:19], s[20:21], exec
	s_and_b64 s[14:15], s[16:17], exec
.LBB796_143:
	s_or_b64 exec, exec, s[12:13]
	s_and_b64 s[16:17], s[18:19], exec
	s_and_b64 s[12:13], s[14:15], exec
.LBB796_144:
	s_or_b64 exec, exec, s[10:11]
	s_and_b64 s[14:15], s[16:17], exec
	s_and_b64 s[10:11], s[12:13], exec
.LBB796_145:
	s_or_b64 exec, exec, s[8:9]
	s_and_b64 s[8:9], s[14:15], exec
	s_and_b64 s[10:11], s[10:11], exec
.LBB796_146:
	s_or_b64 exec, exec, s[6:7]
	s_mov_b64 s[6:7], 0
	s_and_b64 vcc, exec, s[0:1]
	v_lshlrev_b32_e32 v56, 2, v0
	s_cbranch_vccz .LBB796_152
.LBB796_147:
	v_mov_b32_e32 v57, 0
	v_lshl_add_u64 v[6:7], v[4:5], 0, v[56:57]
	v_add_co_u32_e32 v8, vcc, 0x1000, v6
	s_movk_i32 s6, 0x58
	s_nop 0
	v_addc_co_u32_e32 v9, vcc, 0, v7, vcc
	flat_load_dword v1, v[6:7]
	flat_load_dword v14, v[6:7] offset:1024
	flat_load_dword v15, v[6:7] offset:2048
	;; [unrolled: 1-line block ×3, first 2 shown]
	flat_load_dword v17, v[8:9]
	flat_load_dword v18, v[8:9] offset:1024
	flat_load_dword v19, v[8:9] offset:2048
	;; [unrolled: 1-line block ×3, first 2 shown]
	v_add_co_u32_e32 v8, vcc, 0x2000, v6
	s_movk_i32 s11, 0x1000
	s_nop 0
	v_addc_co_u32_e32 v9, vcc, 0, v7, vcc
	v_add_co_u32_e32 v12, vcc, 0x3000, v6
	s_mov_b32 s0, 0
	s_nop 0
	v_addc_co_u32_e32 v13, vcc, 0, v7, vcc
	flat_load_dword v21, v[8:9]
	flat_load_dword v22, v[8:9] offset:1024
	flat_load_dword v23, v[8:9] offset:2048
	;; [unrolled: 1-line block ×3, first 2 shown]
	flat_load_dword v25, v[12:13]
	flat_load_dword v26, v[12:13] offset:1024
	flat_load_dword v27, v[12:13] offset:2048
	;; [unrolled: 1-line block ×3, first 2 shown]
	v_add_co_u32_e32 v8, vcc, 0x4000, v6
	s_movk_i32 s10, 0x2000
	s_nop 0
	v_addc_co_u32_e32 v9, vcc, 0, v7, vcc
	v_add_co_u32_e32 v6, vcc, 0x5000, v6
	s_movk_i32 s9, 0x3000
	s_nop 0
	v_addc_co_u32_e32 v7, vcc, 0, v7, vcc
	flat_load_dword v12, v[8:9]
	flat_load_dword v13, v[8:9] offset:1024
	flat_load_dword v29, v[8:9] offset:2048
	;; [unrolled: 1-line block ×3, first 2 shown]
	flat_load_dword v31, v[6:7]
	flat_load_dword v32, v[6:7] offset:1024
	flat_load_dword v33, v[6:7] offset:2048
	v_add_co_u32_e32 v4, vcc, 0x5000, v4
	s_movk_i32 s8, 0x4000
	s_nop 0
	v_addc_co_u32_e32 v5, vcc, 0, v5, vcc
	s_movk_i32 s1, 0x5000
	s_waitcnt vmcnt(0) lgkmcnt(0)
	ds_write2st64_b32 v56, v1, v14 offset1:4
	ds_write2st64_b32 v56, v15, v16 offset0:8 offset1:12
	ds_write2st64_b32 v56, v17, v18 offset0:16 offset1:20
	;; [unrolled: 1-line block ×10, first 2 shown]
	ds_write_b32 v56, v33 offset:22528
	s_waitcnt lgkmcnt(0)
	s_barrier
	flat_load_dword v1, v[4:5] offset:3072
	v_mad_u32_u24 v14, v0, s6, v56
	s_movk_i32 s6, 0xffa8
	v_mad_i32_i24 v15, v0, s6, v14
	s_movk_i32 s6, 0xff
	v_cmp_ne_u32_e32 vcc, s6, v0
	ds_read2_b32 v[12:13], v14 offset1:1
	ds_read2_b32 v[16:17], v14 offset0:2 offset1:3
	ds_read2_b32 v[20:21], v14 offset0:4 offset1:5
	;; [unrolled: 1-line block ×10, first 2 shown]
	ds_read_b32 v55, v14 offset:88
	s_waitcnt lgkmcnt(0)
	ds_write_b32 v15, v12 offset:24576
	s_waitcnt lgkmcnt(0)
	s_barrier
	s_and_saveexec_b64 s[6:7], vcc
	s_cbranch_execz .LBB796_149
; %bb.148:
	s_waitcnt vmcnt(0)
	ds_read_b32 v1, v56 offset:24580
.LBB796_149:
	s_or_b64 exec, exec, s[6:7]
	v_lshl_add_u64 v[2:3], v[2:3], 0, v[56:57]
	v_add_co_u32_e32 v18, vcc, s11, v2
	s_waitcnt lgkmcnt(0)
	s_nop 0
	v_addc_co_u32_e32 v19, vcc, 0, v3, vcc
	s_barrier
	flat_load_dword v12, v[2:3]
	flat_load_dword v15, v[2:3] offset:1024
	flat_load_dword v26, v[2:3] offset:2048
	;; [unrolled: 1-line block ×3, first 2 shown]
	flat_load_dword v30, v[18:19]
	flat_load_dword v31, v[18:19] offset:1024
	flat_load_dword v34, v[18:19] offset:2048
	;; [unrolled: 1-line block ×3, first 2 shown]
	v_add_co_u32_e32 v18, vcc, s10, v2
	s_nop 1
	v_addc_co_u32_e32 v19, vcc, 0, v3, vcc
	v_add_co_u32_e32 v22, vcc, s9, v2
	s_nop 1
	v_addc_co_u32_e32 v23, vcc, 0, v3, vcc
	flat_load_dword v38, v[18:19]
	flat_load_dword v39, v[18:19] offset:1024
	flat_load_dword v42, v[18:19] offset:2048
	;; [unrolled: 1-line block ×3, first 2 shown]
	flat_load_dword v44, v[22:23]
	flat_load_dword v45, v[22:23] offset:1024
	flat_load_dword v46, v[22:23] offset:2048
	;; [unrolled: 1-line block ×3, first 2 shown]
	v_add_co_u32_e32 v18, vcc, s8, v2
	s_nop 1
	v_addc_co_u32_e32 v19, vcc, 0, v3, vcc
	v_add_co_u32_e32 v2, vcc, s1, v2
	s_mov_b32 s1, 1
	s_nop 0
	v_addc_co_u32_e32 v3, vcc, 0, v3, vcc
	flat_load_dword v22, v[18:19]
	flat_load_dword v23, v[18:19] offset:1024
	flat_load_dword v48, v[18:19] offset:2048
	;; [unrolled: 1-line block ×3, first 2 shown]
	flat_load_dword v50, v[2:3]
	flat_load_dword v51, v[2:3] offset:1024
	flat_load_dword v52, v[2:3] offset:2048
	v_cmp_eq_u32_e32 vcc, 0, v13
	s_waitcnt vmcnt(0) lgkmcnt(0)
	ds_write2st64_b32 v56, v12, v15 offset1:4
	ds_write2st64_b32 v56, v26, v27 offset0:8 offset1:12
	ds_write2st64_b32 v56, v30, v31 offset0:16 offset1:20
	;; [unrolled: 1-line block ×10, first 2 shown]
	ds_write_b32 v56, v52 offset:22528
	s_waitcnt lgkmcnt(0)
	s_barrier
	ds_read2_b32 v[18:19], v14 offset0:1 offset1:2
	ds_read2_b32 v[22:23], v14 offset0:3 offset1:4
	;; [unrolled: 1-line block ×11, first 2 shown]
	v_mov_b64_e32 v[12:13], s[0:1]
	v_mov_b32_e32 v15, s74
	s_and_saveexec_b64 s[0:1], vcc
	s_cbranch_execz .LBB796_151
; %bb.150:
	ds_read_b32 v15, v14
	v_mov_b64_e32 v[12:13], 0
.LBB796_151:
	s_or_b64 exec, exec, s[0:1]
	v_mov_b32_e32 v57, s74
	v_cmp_eq_u32_e32 vcc, 0, v16
	s_waitcnt lgkmcnt(0)
	v_or_b32_e32 v12, v12, v15
	v_cmp_ne_u32_e64 s[8:9], 0, v1
	v_cndmask_b32_e32 v14, v57, v18, vcc
	v_cmp_ne_u32_e32 vcc, 0, v16
	s_mov_b64 s[10:11], -1
                                        ; implicit-def: $sgpr6_sgpr7
	s_nop 0
	v_cndmask_b32_e64 v15, 0, 1, vcc
	v_cmp_eq_u32_e32 vcc, 0, v17
	s_nop 1
	v_cndmask_b32_e32 v16, v57, v19, vcc
	v_cmp_ne_u32_e32 vcc, 0, v17
	s_nop 1
	v_cndmask_b32_e64 v17, 0, 1, vcc
	v_cmp_eq_u32_e32 vcc, 0, v20
	s_nop 1
	v_cndmask_b32_e32 v18, v57, v22, vcc
	v_cmp_ne_u32_e32 vcc, 0, v20
	;; [unrolled: 6-line block ×16, first 2 shown]
	v_cndmask_b32_e64 v6, v3, v57, s[8:9]
	s_nop 0
	v_cndmask_b32_e64 v47, 0, 1, vcc
	v_cmp_eq_u32_e32 vcc, 0, v7
	s_nop 1
	v_cndmask_b32_e32 v48, v57, v49, vcc
	v_cmp_ne_u32_e32 vcc, 0, v7
	s_nop 1
	v_cndmask_b32_e64 v49, 0, 1, vcc
	v_cmp_eq_u32_e32 vcc, 0, v4
	s_nop 1
	v_cndmask_b32_e32 v50, v57, v52, vcc
	v_cmp_ne_u32_e32 vcc, 0, v4
	;; [unrolled: 6-line block ×4, first 2 shown]
	s_nop 1
	v_cndmask_b32_e64 v55, 0, 1, vcc
.LBB796_152:
	v_mov_b64_e32 v[58:59], s[6:7]
	s_and_saveexec_b64 s[0:1], s[10:11]
; %bb.153:
	v_cndmask_b32_e64 v7, 0, 1, s[8:9]
	v_mov_b64_e32 v[58:59], v[6:7]
; %bb.154:
	s_or_b64 exec, exec, s[0:1]
	s_mov_b32 s0, 0
	s_cmp_lg_u32 s67, 0
	v_or_b32_e32 v57, v59, v55
	v_lshrrev_b32_e32 v1, 5, v0
	v_cmp_gt_u32_e32 vcc, 64, v0
	s_barrier
	s_cbranch_scc0 .LBB796_193
; %bb.155:
	s_mov_b32 s1, 1
	v_cmp_gt_u64_e64 s[6:7], s[0:1], v[14:15]
	v_cmp_gt_u64_e64 s[8:9], s[0:1], v[16:17]
	v_cmp_gt_u64_e64 s[10:11], s[0:1], v[18:19]
	v_cndmask_b32_e64 v2, 0, v12, s[6:7]
	v_add_u32_e32 v2, v2, v14
	v_cndmask_b32_e64 v2, 0, v2, s[8:9]
	v_add_u32_e32 v2, v2, v16
	v_cndmask_b32_e64 v2, 0, v2, s[10:11]
	v_add_u32_e32 v2, v2, v18
	v_cmp_gt_u64_e64 s[12:13], s[0:1], v[20:21]
	v_cmp_gt_u64_e64 s[14:15], s[0:1], v[22:23]
	v_cmp_gt_u64_e64 s[16:17], s[0:1], v[24:25]
	v_cndmask_b32_e64 v2, 0, v2, s[12:13]
	v_add_u32_e32 v2, v2, v20
	v_cndmask_b32_e64 v2, 0, v2, s[14:15]
	v_add_u32_e32 v2, v2, v22
	v_cndmask_b32_e64 v2, 0, v2, s[16:17]
	v_add_u32_e32 v2, v2, v24
	;; [unrolled: 9-line block ×7, first 2 shown]
	v_cmp_gt_u64_e64 s[0:1], s[0:1], v[58:59]
	s_nop 1
	v_cndmask_b32_e64 v2, 0, v2, s[0:1]
	v_add_u32_e32 v64, v2, v58
	v_or3_b32 v2, v57, v53, v51
	v_or3_b32 v2, v2, v49, v47
	;; [unrolled: 1-line block ×10, first 2 shown]
	v_and_b32_e32 v2, 1, v2
	v_cmp_eq_u32_e64 s[0:1], 1, v2
	v_add_lshl_u32 v2, v1, v0, 3
	s_nop 0
	v_cndmask_b32_e64 v65, v13, 1, s[0:1]
	ds_write_b32 v2, v64
	ds_write_b8 v2, v65 offset:4
	s_waitcnt lgkmcnt(0)
	s_barrier
	s_and_saveexec_b64 s[50:51], vcc
	s_cbranch_execz .LBB796_167
; %bb.156:
	v_lshrrev_b32_e32 v2, 3, v0
	v_add_lshl_u32 v4, v2, v56, 3
	ds_read2_b32 v[6:7], v4 offset0:2 offset1:4
	ds_read_b64 v[2:3], v4
	ds_read_u8 v8, v4 offset:12
	ds_read_u8 v9, v4 offset:20
	ds_read_b32 v60, v4 offset:24
	ds_read_u8 v61, v4 offset:28
	v_mov_b32_e32 v62, 0
	s_waitcnt lgkmcnt(3)
	v_cmp_eq_u16_sdwa s[0:1], v8, v62 src0_sel:BYTE_0 src1_sel:DWORD
	v_and_b32_e32 v5, 1, v3
	s_nop 0
	v_cndmask_b32_e64 v63, 0, v2, s[0:1]
	v_add_u32_e32 v6, v63, v6
	s_waitcnt lgkmcnt(2)
	v_cmp_eq_u16_sdwa s[0:1], v9, v62 src0_sel:BYTE_0 src1_sel:DWORD
	s_nop 1
	v_cndmask_b32_e64 v6, 0, v6, s[0:1]
	v_add_u32_e32 v6, v6, v7
	s_waitcnt lgkmcnt(0)
	v_cmp_eq_u16_e64 s[0:1], 0, v61
	s_nop 1
	v_cndmask_b32_e64 v6, 0, v6, s[0:1]
	v_add_u32_e32 v7, v6, v60
	v_or_b32_e32 v6, v61, v9
	v_or_b32_e32 v6, v6, v8
	v_and_b32_e32 v6, 1, v6
	v_cmp_eq_u32_e64 s[0:1], 1, v6
	v_mbcnt_lo_u32_b32 v8, -1, 0
	v_and_b32_e32 v6, 0xffffff00, v3
	v_cndmask_b32_e64 v9, v5, 1, s[0:1]
	v_mbcnt_hi_u32_b32 v8, -1, v8
	v_and_b32_e32 v61, 15, v8
	v_or_b32_sdwa v60, v6, v9 dst_sel:DWORD dst_unused:UNUSED_PAD src0_sel:DWORD src1_sel:WORD_0
	v_mov_b32_dpp v62, v7 row_shr:1 row_mask:0xf bank_mask:0xf
	v_cmp_ne_u32_e64 s[0:1], 0, v61
	v_mov_b32_dpp v63, v60 row_shr:1 row_mask:0xf bank_mask:0xf
	s_and_saveexec_b64 s[56:57], s[0:1]
; %bb.157:
	v_and_b32_e32 v60, 1, v9
	v_and_b32_e32 v63, 1, v63
	v_cmp_eq_u32_e64 s[0:1], 1, v60
	s_nop 1
	v_cndmask_b32_e64 v63, v63, 1, s[0:1]
	v_cmp_eq_u16_e64 s[0:1], 0, v9
	v_or_b32_sdwa v60, v6, v63 dst_sel:DWORD dst_unused:UNUSED_PAD src0_sel:DWORD src1_sel:WORD_0
	s_nop 0
	v_cndmask_b32_e64 v9, 0, v62, s[0:1]
	v_add_u32_e32 v7, v9, v7
	v_mov_b32_e32 v9, v63
; %bb.158:
	s_or_b64 exec, exec, s[56:57]
	v_mov_b32_dpp v62, v7 row_shr:2 row_mask:0xf bank_mask:0xf
	v_mov_b32_dpp v63, v60 row_shr:2 row_mask:0xf bank_mask:0xf
	v_cmp_lt_u32_e64 s[0:1], 1, v61
	s_and_saveexec_b64 s[56:57], s[0:1]
; %bb.159:
	v_and_b32_e32 v60, 1, v9
	v_and_b32_e32 v63, 1, v63
	v_cmp_eq_u32_e64 s[0:1], 1, v60
	s_nop 1
	v_cndmask_b32_e64 v63, v63, 1, s[0:1]
	v_cmp_eq_u16_e64 s[0:1], 0, v9
	v_or_b32_sdwa v60, v6, v63 dst_sel:DWORD dst_unused:UNUSED_PAD src0_sel:DWORD src1_sel:WORD_0
	s_nop 0
	v_cndmask_b32_e64 v9, 0, v62, s[0:1]
	v_add_u32_e32 v7, v9, v7
	v_mov_b32_e32 v9, v63
; %bb.160:
	s_or_b64 exec, exec, s[56:57]
	v_mov_b32_dpp v62, v7 row_shr:4 row_mask:0xf bank_mask:0xf
	v_mov_b32_dpp v63, v60 row_shr:4 row_mask:0xf bank_mask:0xf
	v_cmp_lt_u32_e64 s[0:1], 3, v61
	;; [unrolled: 18-line block ×3, first 2 shown]
	s_and_saveexec_b64 s[56:57], s[0:1]
; %bb.163:
	v_and_b32_e32 v60, 1, v9
	v_and_b32_e32 v61, 1, v63
	v_cmp_eq_u32_e64 s[0:1], 1, v60
	s_nop 1
	v_cndmask_b32_e64 v61, v61, 1, s[0:1]
	v_cmp_eq_u16_e64 s[0:1], 0, v9
	v_or_b32_sdwa v60, v6, v61 dst_sel:DWORD dst_unused:UNUSED_PAD src0_sel:DWORD src1_sel:WORD_0
	s_nop 0
	v_cndmask_b32_e64 v9, 0, v62, s[0:1]
	v_add_u32_e32 v7, v9, v7
	v_mov_b32_e32 v9, v61
; %bb.164:
	s_or_b64 exec, exec, s[56:57]
	v_and_b32_e32 v63, 16, v8
	v_mov_b32_dpp v61, v7 row_bcast:15 row_mask:0xf bank_mask:0xf
	v_mov_b32_dpp v62, v60 row_bcast:15 row_mask:0xf bank_mask:0xf
	v_cmp_ne_u32_e64 s[0:1], 0, v63
	s_and_saveexec_b64 s[56:57], s[0:1]
; %bb.165:
	v_and_b32_e32 v60, 1, v9
	v_and_b32_e32 v62, 1, v62
	v_cmp_eq_u32_e64 s[0:1], 1, v60
	s_nop 1
	v_cndmask_b32_e64 v62, v62, 1, s[0:1]
	v_cmp_eq_u16_e64 s[0:1], 0, v9
	v_or_b32_sdwa v60, v6, v62 dst_sel:DWORD dst_unused:UNUSED_PAD src0_sel:DWORD src1_sel:WORD_0
	s_nop 0
	v_cndmask_b32_e64 v9, 0, v61, s[0:1]
	v_add_u32_e32 v7, v9, v7
	v_mov_b32_e32 v9, v62
; %bb.166:
	s_or_b64 exec, exec, s[56:57]
	v_mov_b32_dpp v60, v60 row_bcast:31 row_mask:0xf bank_mask:0xf
	v_and_b32_e32 v62, 1, v9
	v_and_b32_e32 v60, 1, v60
	v_cmp_eq_u32_e64 s[0:1], 1, v62
	v_mov_b32_e32 v62, 0
	v_cmp_eq_u16_sdwa s[56:57], v9, v62 src0_sel:BYTE_0 src1_sel:DWORD
	v_cndmask_b32_e64 v60, v60, 1, s[0:1]
	v_cmp_lt_u32_e64 s[0:1], 31, v8
	v_mov_b32_dpp v61, v7 row_bcast:31 row_mask:0xf bank_mask:0xf
	s_movk_i32 s58, 0xff
	v_cndmask_b32_e64 v9, v9, v60, s[0:1]
	s_and_b64 s[0:1], s[0:1], s[56:57]
	v_cndmask_b32_e64 v60, 0, v61, s[0:1]
	v_add_u32_e32 v7, v60, v7
	v_add_u32_e32 v60, -1, v8
	v_and_b32_e32 v61, 64, v8
	v_cmp_lt_i32_e64 s[0:1], v60, v61
	v_and_or_b32 v6, v9, s58, v6
	s_nop 0
	v_cndmask_b32_e64 v8, v60, v8, s[0:1]
	v_lshlrev_b32_e32 v8, 2, v8
	ds_bpermute_b32 v7, v8, v7
	ds_bpermute_b32 v6, v8, v6
	v_cmp_eq_u16_sdwa s[0:1], v3, v62 src0_sel:BYTE_0 src1_sel:DWORD
	; wave barrier
	s_waitcnt lgkmcnt(1)
	s_nop 0
	v_cndmask_b32_e64 v3, 0, v7, s[0:1]
	v_add_u32_e32 v2, v3, v2
	s_waitcnt lgkmcnt(0)
	v_and_b32_e32 v3, 1, v6
	v_cmp_eq_u32_e64 s[0:1], 1, v5
	v_cndmask_b32_e64 v5, v2, v64, s[52:53]
	s_nop 0
	v_cndmask_b32_e64 v3, v3, 1, s[0:1]
	v_cndmask_b32_e64 v6, v3, v65, s[52:53]
	ds_write_b32 v4, v5
	ds_write_b8 v4, v6 offset:4
	; wave barrier
	ds_read_u8 v7, v4 offset:12
	ds_read2_b32 v[2:3], v4 offset0:2 offset1:4
	ds_read_u8 v8, v4 offset:20
	ds_read_b32 v9, v4 offset:24
	ds_read_u8 v60, v4 offset:28
	s_waitcnt lgkmcnt(4)
	v_cmp_eq_u16_e64 s[0:1], 0, v7
	s_nop 1
	v_cndmask_b32_e64 v5, 0, v5, s[0:1]
	s_waitcnt lgkmcnt(3)
	v_add_u32_e32 v2, v5, v2
	v_and_b32_e32 v5, 1, v7
	v_cmp_eq_u32_e64 s[0:1], 1, v5
	s_nop 1
	v_cndmask_b32_e64 v5, v6, 1, s[0:1]
	s_waitcnt lgkmcnt(2)
	v_cmp_eq_u16_e64 s[0:1], 0, v8
	ds_write_b8 v4, v5 offset:12
	s_nop 0
	v_cndmask_b32_e64 v6, 0, v2, s[0:1]
	v_add_u32_e32 v3, v6, v3
	v_and_b32_e32 v6, 1, v8
	v_cmp_eq_u32_e64 s[0:1], 1, v6
	s_nop 1
	v_cndmask_b32_e64 v5, v5, 1, s[0:1]
	s_waitcnt lgkmcnt(1)
	v_cmp_eq_u16_e64 s[0:1], 0, v60
	ds_write2_b32 v4, v2, v3 offset0:2 offset1:4
	ds_write_b8 v4, v5 offset:20
	v_cndmask_b32_e64 v2, 0, v3, s[0:1]
	v_and_b32_e32 v3, 1, v60
	v_add_u32_e32 v2, v2, v9
	v_cmp_eq_u32_e64 s[0:1], 1, v3
	s_nop 1
	v_cndmask_b32_e64 v3, v5, 1, s[0:1]
	ds_write_b32 v4, v2 offset:24
	ds_write_b8 v4, v3 offset:28
.LBB796_167:
	s_or_b64 exec, exec, s[50:51]
	s_waitcnt lgkmcnt(0)
	s_barrier
	s_and_saveexec_b64 s[0:1], s[4:5]
	s_cbranch_execz .LBB796_169
; %bb.168:
	v_add_u32_e32 v2, -1, v0
	v_lshrrev_b32_e32 v3, 5, v2
	v_add_lshl_u32 v2, v3, v2, 3
	ds_read_b32 v64, v2
	ds_read_u8 v65, v2 offset:4
.LBB796_169:
	s_or_b64 exec, exec, s[0:1]
	s_and_saveexec_b64 s[56:57], vcc
	s_cbranch_execz .LBB796_192
; %bb.170:
	v_mov_b32_e32 v5, 0
	ds_read_b64 v[2:3], v5 offset:2096
	v_mbcnt_lo_u32_b32 v4, -1, 0
	v_mbcnt_hi_u32_b32 v75, -1, v4
	s_mov_b32 s59, 0
	v_cmp_eq_u32_e64 s[50:51], 0, v75
	s_waitcnt lgkmcnt(0)
	v_readfirstlane_b32 s68, v3
	s_and_saveexec_b64 s[0:1], s[50:51]
	s_cbranch_execz .LBB796_172
; %bb.171:
	s_add_i32 s58, s67, 64
	s_lshl_b64 s[60:61], s[58:59], 4
	s_add_u32 s60, s64, s60
	s_addc_u32 s61, s65, s61
	s_and_b32 s77, s68, 0xff000000
	s_mov_b32 s76, s59
	s_and_b32 s79, s68, 0xff0000
	s_mov_b32 s78, s59
	s_or_b64 s[76:77], s[78:79], s[76:77]
	s_and_b32 s79, s68, 0xff00
	s_or_b64 s[76:77], s[76:77], s[78:79]
	s_and_b32 s79, s68, 0xff
	s_or_b64 s[58:59], s[76:77], s[78:79]
	v_mov_b32_e32 v3, s59
	v_mov_b32_e32 v4, 1
	v_mov_b64_e32 v[6:7], s[60:61]
	;;#ASMSTART
	global_store_dwordx4 v[6:7], v[2:5] off sc1	
s_waitcnt vmcnt(0)
	;;#ASMEND
.LBB796_172:
	s_or_b64 exec, exec, s[0:1]
	v_xad_u32 v60, v75, -1, s67
	v_add_u32_e32 v4, 64, v60
	v_lshl_add_u64 v[62:63], v[4:5], 4, s[64:65]
	;;#ASMSTART
	global_load_dwordx4 v[6:9], v[62:63] off sc1	
s_waitcnt vmcnt(0)
	;;#ASMEND
	s_nop 0
	v_and_b32_e32 v3, 0xff0000, v6
	v_and_b32_e32 v4, 0xff000000, v6
	v_and_b32_e32 v7, 0xff, v7
	v_or_b32_sdwa v3, v6, v3 dst_sel:DWORD dst_unused:UNUSED_PAD src0_sel:WORD_0 src1_sel:DWORD
	v_or3_b32 v7, 0, 0, v7
	v_or3_b32 v6, v3, v4, 0
	v_cmp_eq_u16_sdwa s[58:59], v8, v5 src0_sel:BYTE_0 src1_sel:DWORD
	s_and_saveexec_b64 s[0:1], s[58:59]
	s_cbranch_execz .LBB796_178
; %bb.173:
	s_mov_b32 s60, 1
	s_mov_b64 s[58:59], 0
	v_mov_b32_e32 v3, 0
.LBB796_174:                            ; =>This Loop Header: Depth=1
                                        ;     Child Loop BB796_175 Depth 2
	s_max_u32 s61, s60, 1
.LBB796_175:                            ;   Parent Loop BB796_174 Depth=1
                                        ; =>  This Inner Loop Header: Depth=2
	s_add_i32 s61, s61, -1
	s_cmp_eq_u32 s61, 0
	s_sleep 1
	s_cbranch_scc0 .LBB796_175
; %bb.176:                              ;   in Loop: Header=BB796_174 Depth=1
	s_cmp_lt_u32 s60, 32
	s_cselect_b64 s[76:77], -1, 0
	s_cmp_lg_u64 s[76:77], 0
	s_addc_u32 s60, s60, 0
	;;#ASMSTART
	global_load_dwordx4 v[6:9], v[62:63] off sc1	
s_waitcnt vmcnt(0)
	;;#ASMEND
	s_nop 0
	v_cmp_ne_u16_sdwa s[76:77], v8, v3 src0_sel:BYTE_0 src1_sel:DWORD
	s_or_b64 s[58:59], s[76:77], s[58:59]
	s_andn2_b64 exec, exec, s[58:59]
	s_cbranch_execnz .LBB796_174
; %bb.177:
	s_or_b64 exec, exec, s[58:59]
	v_and_b32_e32 v7, 0xff, v7
.LBB796_178:
	s_or_b64 exec, exec, s[0:1]
	v_mov_b32_e32 v3, 2
	v_cmp_eq_u16_sdwa s[0:1], v8, v3 src0_sel:BYTE_0 src1_sel:DWORD
	v_lshlrev_b64 v[4:5], v75, -1
	v_and_b32_e32 v66, 63, v75
	v_and_b32_e32 v9, s1, v5
	v_or_b32_e32 v9, 0x80000000, v9
	v_and_b32_e32 v61, s0, v4
	v_ffbl_b32_e32 v9, v9
	v_add_u32_e32 v9, 32, v9
	v_ffbl_b32_e32 v61, v61
	v_cmp_ne_u32_e32 vcc, 63, v66
	v_min_u32_e32 v9, v61, v9
	s_mov_b32 s58, 0
	v_addc_co_u32_e32 v61, vcc, 0, v75, vcc
	v_lshlrev_b32_e32 v67, 2, v61
	ds_bpermute_b32 v61, v67, v7
	ds_bpermute_b32 v62, v67, v6
	v_and_b32_e32 v63, 1, v7
	s_mov_b32 s59, 1
	v_cmp_eq_u32_e32 vcc, 1, v63
	s_waitcnt lgkmcnt(1)
	v_and_b32_e32 v61, 1, v61
	v_cmp_lt_u32_e64 s[0:1], v66, v9
	v_cndmask_b32_e64 v61, v61, 1, vcc
	v_cmp_gt_u64_e32 vcc, s[58:59], v[6:7]
	s_and_b64 vcc, s[0:1], vcc
	v_and_b32_e32 v63, 0xffff, v61
	v_cndmask_b32_e64 v70, v7, v61, s[0:1]
	s_waitcnt lgkmcnt(0)
	v_cndmask_b32_e32 v61, 0, v62, vcc
	v_cmp_gt_u32_e32 vcc, 62, v66
	v_cndmask_b32_e64 v7, v7, v63, s[0:1]
	v_add_u32_e32 v6, v61, v6
	v_cndmask_b32_e64 v62, 0, 1, vcc
	v_lshlrev_b32_e32 v62, 1, v62
	v_add_lshl_u32 v68, v62, v75, 2
	ds_bpermute_b32 v62, v68, v7
	ds_bpermute_b32 v63, v68, v6
	v_and_b32_e32 v61, 1, v70
	v_cmp_eq_u32_e32 vcc, 1, v61
	v_mov_b32_e32 v61, 0
	s_waitcnt lgkmcnt(1)
	v_and_b32_e32 v62, 1, v62
	v_add_u32_e32 v69, 2, v66
	v_cndmask_b32_e64 v62, v62, 1, vcc
	v_cmp_eq_u16_sdwa vcc, v70, v61 src0_sel:BYTE_0 src1_sel:DWORD
	v_and_b32_e32 v71, 0xffff, v62
	v_add_u32_e32 v79, 32, v66
	s_waitcnt lgkmcnt(0)
	v_cndmask_b32_e32 v63, 0, v63, vcc
	v_cmp_gt_u32_e32 vcc, v69, v9
	s_nop 1
	v_cndmask_b32_e32 v62, v62, v70, vcc
	v_cndmask_b32_e64 v63, v63, 0, vcc
	v_cndmask_b32_e32 v7, v71, v7, vcc
	v_cmp_gt_u32_e32 vcc, 60, v66
	v_add_u32_e32 v6, v63, v6
	v_and_b32_e32 v73, 1, v62
	v_cndmask_b32_e64 v70, 0, 1, vcc
	v_lshlrev_b32_e32 v70, 2, v70
	v_add_lshl_u32 v70, v70, v75, 2
	ds_bpermute_b32 v72, v70, v7
	ds_bpermute_b32 v63, v70, v6
	v_cmp_eq_u32_e32 vcc, 1, v73
	v_add_u32_e32 v71, 4, v66
	s_waitcnt lgkmcnt(1)
	v_and_b32_e32 v72, 1, v72
	v_cndmask_b32_e64 v72, v72, 1, vcc
	v_cmp_eq_u16_sdwa vcc, v62, v61 src0_sel:BYTE_0 src1_sel:DWORD
	v_and_b32_e32 v73, 0xffff, v72
	s_waitcnt lgkmcnt(0)
	v_cndmask_b32_e32 v63, 0, v63, vcc
	v_cmp_gt_u32_e32 vcc, v71, v9
	s_nop 1
	v_cndmask_b32_e32 v62, v72, v62, vcc
	v_cndmask_b32_e64 v63, v63, 0, vcc
	v_cndmask_b32_e32 v7, v73, v7, vcc
	v_cmp_gt_u32_e32 vcc, 56, v66
	v_add_u32_e32 v6, v63, v6
	v_and_b32_e32 v76, 1, v62
	v_cndmask_b32_e64 v72, 0, 1, vcc
	v_lshlrev_b32_e32 v72, 3, v72
	v_add_lshl_u32 v72, v72, v75, 2
	ds_bpermute_b32 v74, v72, v7
	ds_bpermute_b32 v63, v72, v6
	v_cmp_eq_u32_e32 vcc, 1, v76
	v_add_u32_e32 v73, 8, v66
	s_waitcnt lgkmcnt(1)
	v_and_b32_e32 v74, 1, v74
	v_cndmask_b32_e64 v74, v74, 1, vcc
	v_cmp_eq_u16_sdwa vcc, v62, v61 src0_sel:BYTE_0 src1_sel:DWORD
	v_and_b32_e32 v76, 0xffff, v74
	;; [unrolled: 22-line block ×3, first 2 shown]
	s_waitcnt lgkmcnt(0)
	v_cndmask_b32_e32 v63, 0, v63, vcc
	v_cmp_gt_u32_e32 vcc, v76, v9
	s_nop 1
	v_cndmask_b32_e32 v62, v77, v62, vcc
	v_cndmask_b32_e64 v63, v63, 0, vcc
	v_cndmask_b32_e32 v7, v78, v7, vcc
	v_cmp_gt_u32_e32 vcc, 32, v66
	v_add_u32_e32 v6, v63, v6
	s_nop 0
	v_cndmask_b32_e64 v77, 0, 1, vcc
	v_lshlrev_b32_e32 v77, 5, v77
	v_add_lshl_u32 v78, v77, v75, 2
	ds_bpermute_b32 v7, v78, v7
	ds_bpermute_b32 v63, v78, v6
	v_and_b32_e32 v75, 1, v62
	v_cmp_eq_u32_e32 vcc, 1, v75
	s_waitcnt lgkmcnt(1)
	v_and_b32_e32 v7, 1, v7
	v_cndmask_b32_e64 v7, v7, 1, vcc
	v_cmp_eq_u16_sdwa vcc, v62, v61 src0_sel:BYTE_0 src1_sel:DWORD
	s_waitcnt lgkmcnt(0)
	s_nop 0
	v_cndmask_b32_e32 v63, 0, v63, vcc
	v_cmp_gt_u32_e32 vcc, v79, v9
	s_nop 1
	v_cndmask_b32_e64 v9, v63, 0, vcc
	v_cndmask_b32_e32 v7, v7, v62, vcc
	v_add_u32_e32 v6, v9, v6
	s_branch .LBB796_180
.LBB796_179:                            ;   in Loop: Header=BB796_180 Depth=1
	s_or_b64 exec, exec, s[0:1]
	v_cmp_eq_u16_sdwa s[0:1], v8, v3 src0_sel:BYTE_0 src1_sel:DWORD
	ds_bpermute_b32 v63, v67, v7
	v_and_b32_e32 v80, 1, v7
	v_and_b32_e32 v9, s1, v5
	v_or_b32_e32 v9, 0x80000000, v9
	v_and_b32_e32 v62, s0, v4
	v_ffbl_b32_e32 v9, v9
	v_add_u32_e32 v9, 32, v9
	v_ffbl_b32_e32 v62, v62
	v_min_u32_e32 v9, v62, v9
	ds_bpermute_b32 v62, v67, v6
	s_waitcnt lgkmcnt(1)
	v_and_b32_e32 v63, 1, v63
	v_cmp_eq_u32_e32 vcc, 1, v80
	v_cmp_lt_u32_e64 s[0:1], v66, v9
	v_subrev_u32_e32 v60, 64, v60
	v_cndmask_b32_e64 v63, v63, 1, vcc
	v_cmp_gt_u64_e32 vcc, s[58:59], v[6:7]
	v_and_b32_e32 v80, 0xffff, v63
	v_cndmask_b32_e64 v63, v7, v63, s[0:1]
	v_cndmask_b32_e64 v7, v7, v80, s[0:1]
	s_and_b64 vcc, s[0:1], vcc
	ds_bpermute_b32 v80, v68, v7
	s_waitcnt lgkmcnt(1)
	v_cndmask_b32_e32 v62, 0, v62, vcc
	v_add_u32_e32 v6, v62, v6
	ds_bpermute_b32 v62, v68, v6
	v_and_b32_e32 v81, 1, v63
	s_waitcnt lgkmcnt(1)
	v_and_b32_e32 v80, 1, v80
	v_cmp_eq_u32_e32 vcc, 1, v81
	s_nop 1
	v_cndmask_b32_e64 v80, v80, 1, vcc
	v_cmp_eq_u16_sdwa vcc, v63, v61 src0_sel:BYTE_0 src1_sel:DWORD
	v_and_b32_e32 v81, 0xffff, v80
	s_waitcnt lgkmcnt(0)
	v_cndmask_b32_e32 v62, 0, v62, vcc
	v_cmp_gt_u32_e32 vcc, v69, v9
	s_nop 1
	v_cndmask_b32_e32 v7, v81, v7, vcc
	v_cndmask_b32_e32 v63, v80, v63, vcc
	ds_bpermute_b32 v80, v70, v7
	v_cndmask_b32_e64 v62, v62, 0, vcc
	v_add_u32_e32 v6, v62, v6
	ds_bpermute_b32 v62, v70, v6
	v_and_b32_e32 v81, 1, v63
	s_waitcnt lgkmcnt(1)
	v_and_b32_e32 v80, 1, v80
	v_cmp_eq_u32_e32 vcc, 1, v81
	s_nop 1
	v_cndmask_b32_e64 v80, v80, 1, vcc
	v_cmp_eq_u16_sdwa vcc, v63, v61 src0_sel:BYTE_0 src1_sel:DWORD
	v_and_b32_e32 v81, 0xffff, v80
	s_waitcnt lgkmcnt(0)
	v_cndmask_b32_e32 v62, 0, v62, vcc
	v_cmp_gt_u32_e32 vcc, v71, v9
	s_nop 1
	v_cndmask_b32_e32 v7, v81, v7, vcc
	v_cndmask_b32_e32 v63, v80, v63, vcc
	ds_bpermute_b32 v80, v72, v7
	v_cndmask_b32_e64 v62, v62, 0, vcc
	;; [unrolled: 18-line block ×3, first 2 shown]
	v_add_u32_e32 v6, v62, v6
	ds_bpermute_b32 v62, v74, v6
	v_and_b32_e32 v81, 1, v63
	s_waitcnt lgkmcnt(1)
	v_and_b32_e32 v80, 1, v80
	v_cmp_eq_u32_e32 vcc, 1, v81
	s_nop 1
	v_cndmask_b32_e64 v80, v80, 1, vcc
	v_cmp_eq_u16_sdwa vcc, v63, v61 src0_sel:BYTE_0 src1_sel:DWORD
	v_and_b32_e32 v81, 0xffff, v80
	s_waitcnt lgkmcnt(0)
	v_cndmask_b32_e32 v62, 0, v62, vcc
	v_cmp_gt_u32_e32 vcc, v76, v9
	s_nop 1
	v_cndmask_b32_e64 v62, v62, 0, vcc
	v_cndmask_b32_e32 v7, v81, v7, vcc
	ds_bpermute_b32 v7, v78, v7
	v_add_u32_e32 v6, v62, v6
	ds_bpermute_b32 v62, v78, v6
	v_cndmask_b32_e32 v63, v80, v63, vcc
	v_and_b32_e32 v80, 1, v63
	v_cmp_eq_u32_e32 vcc, 1, v80
	s_waitcnt lgkmcnt(1)
	s_nop 0
	v_cndmask_b32_e64 v7, v7, 1, vcc
	v_cmp_eq_u16_sdwa vcc, v63, v61 src0_sel:BYTE_0 src1_sel:DWORD
	s_waitcnt lgkmcnt(0)
	s_nop 0
	v_cndmask_b32_e32 v62, 0, v62, vcc
	v_cmp_gt_u32_e32 vcc, v79, v9
	s_nop 1
	v_cndmask_b32_e64 v9, v62, 0, vcc
	v_cndmask_b32_e32 v7, v7, v63, vcc
	v_add_u32_e32 v6, v9, v6
	v_cmp_eq_u16_sdwa vcc, v75, v61 src0_sel:BYTE_0 src1_sel:DWORD
	v_and_b32_e32 v9, 1, v75
	v_and_b32_e32 v7, 1, v7
	v_cndmask_b32_e32 v6, 0, v6, vcc
	v_cmp_eq_u32_e32 vcc, 1, v9
	v_add_u32_e32 v6, v6, v77
	s_nop 0
	v_cndmask_b32_e64 v7, v7, 1, vcc
.LBB796_180:                            ; =>This Loop Header: Depth=1
                                        ;     Child Loop BB796_183 Depth 2
                                        ;       Child Loop BB796_184 Depth 3
	v_cmp_ne_u16_sdwa s[0:1], v8, v3 src0_sel:BYTE_0 src1_sel:DWORD
	v_mov_b32_e32 v75, v7
	v_mov_b32_e32 v77, v6
	v_cndmask_b32_e64 v7, 0, 1, s[0:1]
	;;#ASMSTART
	;;#ASMEND
	s_nop 0
	v_cmp_ne_u32_e32 vcc, 0, v7
	s_cmp_lg_u64 vcc, exec
	s_cbranch_scc1 .LBB796_187
; %bb.181:                              ;   in Loop: Header=BB796_180 Depth=1
	v_lshl_add_u64 v[62:63], v[60:61], 4, s[64:65]
	;;#ASMSTART
	global_load_dwordx4 v[6:9], v[62:63] off sc1	
s_waitcnt vmcnt(0)
	;;#ASMEND
	s_nop 0
	v_and_b32_e32 v9, 0xff0000, v6
	v_and_b32_e32 v80, 0xff000000, v6
	;; [unrolled: 1-line block ×3, first 2 shown]
	v_or_b32_sdwa v6, v6, v9 dst_sel:DWORD dst_unused:UNUSED_PAD src0_sel:WORD_0 src1_sel:DWORD
	v_or3_b32 v7, 0, 0, v7
	v_or3_b32 v6, v6, v80, 0
	v_cmp_eq_u16_sdwa s[60:61], v8, v61 src0_sel:BYTE_0 src1_sel:DWORD
	s_and_saveexec_b64 s[0:1], s[60:61]
	s_cbranch_execz .LBB796_179
; %bb.182:                              ;   in Loop: Header=BB796_180 Depth=1
	s_mov_b32 s69, 1
	s_mov_b64 s[60:61], 0
.LBB796_183:                            ;   Parent Loop BB796_180 Depth=1
                                        ; =>  This Loop Header: Depth=2
                                        ;       Child Loop BB796_184 Depth 3
	s_max_u32 s75, s69, 1
.LBB796_184:                            ;   Parent Loop BB796_180 Depth=1
                                        ;     Parent Loop BB796_183 Depth=2
                                        ; =>    This Inner Loop Header: Depth=3
	s_add_i32 s75, s75, -1
	s_cmp_eq_u32 s75, 0
	s_sleep 1
	s_cbranch_scc0 .LBB796_184
; %bb.185:                              ;   in Loop: Header=BB796_183 Depth=2
	s_cmp_lt_u32 s69, 32
	s_cselect_b64 s[76:77], -1, 0
	s_cmp_lg_u64 s[76:77], 0
	s_addc_u32 s69, s69, 0
	;;#ASMSTART
	global_load_dwordx4 v[6:9], v[62:63] off sc1	
s_waitcnt vmcnt(0)
	;;#ASMEND
	s_nop 0
	v_cmp_ne_u16_sdwa s[76:77], v8, v61 src0_sel:BYTE_0 src1_sel:DWORD
	s_or_b64 s[60:61], s[76:77], s[60:61]
	s_andn2_b64 exec, exec, s[60:61]
	s_cbranch_execnz .LBB796_183
; %bb.186:                              ;   in Loop: Header=BB796_180 Depth=1
	s_or_b64 exec, exec, s[60:61]
	v_and_b32_e32 v7, 0xff, v7
	s_branch .LBB796_179
.LBB796_187:                            ;   in Loop: Header=BB796_180 Depth=1
                                        ; implicit-def: $vgpr7
                                        ; implicit-def: $vgpr6
                                        ; implicit-def: $vgpr8
	s_cbranch_execz .LBB796_180
; %bb.188:
	s_and_saveexec_b64 s[0:1], s[50:51]
	s_cbranch_execz .LBB796_190
; %bb.189:
	s_and_b32 s50, s68, 0xff
	s_cmp_eq_u32 s50, 0
	s_cselect_b64 vcc, -1, 0
	s_bitcmp1_b32 s68, 0
	s_mov_b32 s51, 0
	s_cselect_b64 s[58:59], -1, 0
	s_add_i32 s50, s67, 64
	s_lshl_b64 s[50:51], s[50:51], 4
	v_cndmask_b32_e32 v3, 0, v77, vcc
	s_add_u32 s50, s64, s50
	v_add_u32_e32 v2, v3, v2
	v_and_b32_e32 v3, 1, v75
	s_addc_u32 s51, s65, s51
	v_mov_b32_e32 v5, 0
	v_cndmask_b32_e64 v3, v3, 1, s[58:59]
	v_mov_b32_e32 v4, 2
	v_mov_b64_e32 v[6:7], s[50:51]
	;;#ASMSTART
	global_store_dwordx4 v[6:7], v[2:5] off sc1	
s_waitcnt vmcnt(0)
	;;#ASMEND
.LBB796_190:
	s_or_b64 exec, exec, s[0:1]
	s_and_b64 exec, exec, s[52:53]
	s_cbranch_execz .LBB796_192
; %bb.191:
	v_mov_b32_e32 v2, 0
	ds_write_b32 v2, v77
	ds_write_b8 v2, v75 offset:4
.LBB796_192:
	s_or_b64 exec, exec, s[56:57]
	v_mov_b32_e32 v2, 0
	s_waitcnt lgkmcnt(0)
	s_barrier
	ds_read_b32 v3, v2
	v_cmp_eq_u16_sdwa vcc, v65, v2 src0_sel:BYTE_0 src1_sel:DWORD
	s_waitcnt lgkmcnt(0)
	s_nop 0
	v_cndmask_b32_e32 v4, 0, v3, vcc
	v_add_u32_e32 v4, v4, v64
	v_cndmask_b32_e64 v60, v4, v3, s[52:53]
	v_and_b32_e32 v3, 0xff, v13
	v_cmp_eq_u64_e32 vcc, 0, v[2:3]
	s_nop 1
	v_cndmask_b32_e32 v2, 0, v60, vcc
	v_add_u32_e32 v61, v2, v12
	v_cndmask_b32_e64 v2, 0, v61, s[6:7]
	v_add_u32_e32 v62, v2, v14
	v_cndmask_b32_e64 v2, 0, v62, s[8:9]
	;; [unrolled: 2-line block ×21, first 2 shown]
	v_add_u32_e32 v82, v2, v54
	s_branch .LBB796_213
.LBB796_193:
                                        ; implicit-def: $vgpr81
                                        ; implicit-def: $vgpr80
                                        ; implicit-def: $vgpr79
                                        ; implicit-def: $vgpr78
                                        ; implicit-def: $vgpr77
                                        ; implicit-def: $vgpr76
                                        ; implicit-def: $vgpr75
                                        ; implicit-def: $vgpr74
                                        ; implicit-def: $vgpr73
                                        ; implicit-def: $vgpr72
                                        ; implicit-def: $vgpr71
                                        ; implicit-def: $vgpr70
                                        ; implicit-def: $vgpr69
                                        ; implicit-def: $vgpr68
                                        ; implicit-def: $vgpr67
                                        ; implicit-def: $vgpr66
                                        ; implicit-def: $vgpr65
                                        ; implicit-def: $vgpr64
                                        ; implicit-def: $vgpr63
                                        ; implicit-def: $vgpr62
                                        ; implicit-def: $vgpr61
                                        ; implicit-def: $vgpr60
                                        ; implicit-def: $vgpr82
	s_cbranch_execz .LBB796_213
; %bb.194:
	s_cmp_lg_u64 s[72:73], 0
	s_cselect_b32 s7, s71, 0
	s_cselect_b32 s6, s70, 0
	s_mov_b32 s0, 0
	s_cmp_eq_u64 s[6:7], 0
	v_mov_b32_e32 v4, s74
	s_cbranch_scc1 .LBB796_196
; %bb.195:
	v_mov_b32_e32 v2, 0
	global_load_dword v4, v2, s[6:7]
.LBB796_196:
	s_mov_b32 s1, 1
	v_cmp_gt_u64_e32 vcc, s[0:1], v[14:15]
	v_cmp_gt_u64_e64 s[6:7], s[0:1], v[16:17]
	v_cmp_gt_u64_e64 s[8:9], s[0:1], v[18:19]
	v_cndmask_b32_e32 v2, 0, v12, vcc
	v_add_u32_e32 v2, v2, v14
	v_cndmask_b32_e64 v2, 0, v2, s[6:7]
	v_add_u32_e32 v2, v2, v16
	v_cndmask_b32_e64 v2, 0, v2, s[8:9]
	v_add_u32_e32 v2, v2, v18
	v_cmp_gt_u64_e64 s[10:11], s[0:1], v[20:21]
	v_cmp_gt_u64_e64 s[12:13], s[0:1], v[22:23]
	v_cmp_gt_u64_e64 s[14:15], s[0:1], v[24:25]
	v_cndmask_b32_e64 v2, 0, v2, s[10:11]
	v_add_u32_e32 v2, v2, v20
	v_cndmask_b32_e64 v2, 0, v2, s[12:13]
	v_add_u32_e32 v2, v2, v22
	v_cndmask_b32_e64 v2, 0, v2, s[14:15]
	v_add_u32_e32 v2, v2, v24
	v_cmp_gt_u64_e64 s[16:17], s[0:1], v[26:27]
	v_cmp_gt_u64_e64 s[18:19], s[0:1], v[28:29]
	v_cmp_gt_u64_e64 s[20:21], s[0:1], v[30:31]
	v_cndmask_b32_e64 v2, 0, v2, s[16:17]
	;; [unrolled: 9-line block ×6, first 2 shown]
	v_add_u32_e32 v2, v2, v50
	v_cndmask_b32_e64 v2, 0, v2, s[44:45]
	v_add_u32_e32 v2, v2, v52
	v_cndmask_b32_e64 v2, 0, v2, s[46:47]
	v_add_u32_e32 v2, v2, v54
	v_cmp_gt_u64_e64 s[0:1], s[0:1], v[58:59]
	v_add_lshl_u32 v1, v1, v0, 3
	s_nop 0
	v_cndmask_b32_e64 v2, 0, v2, s[0:1]
	v_add_u32_e32 v5, v2, v58
	v_or3_b32 v2, v57, v53, v51
	v_or3_b32 v2, v2, v49, v47
	;; [unrolled: 1-line block ×10, first 2 shown]
	v_and_b32_e32 v2, 1, v2
	v_cmp_eq_u32_e64 s[0:1], 1, v2
	s_nop 1
	v_cndmask_b32_e64 v6, v13, 1, s[0:1]
	v_cmp_gt_u32_e64 s[0:1], 64, v0
	ds_write_b32 v1, v5
	ds_write_b8 v1, v6 offset:4
	s_waitcnt lgkmcnt(0)
	s_barrier
	s_and_saveexec_b64 s[48:49], s[0:1]
	s_cbranch_execz .LBB796_208
; %bb.197:
	v_lshrrev_b32_e32 v1, 3, v0
	v_add_lshl_u32 v1, v1, v56, 3
	ds_read2_b32 v[8:9], v1 offset0:2 offset1:4
	ds_read_b64 v[2:3], v1
	ds_read_u8 v15, v1 offset:12
	ds_read_u8 v17, v1 offset:20
	ds_read_b32 v19, v1 offset:24
	ds_read_u8 v21, v1 offset:28
	v_mov_b32_e32 v23, 0
	s_waitcnt lgkmcnt(3)
	v_cmp_eq_u16_sdwa s[0:1], v15, v23 src0_sel:BYTE_0 src1_sel:DWORD
	v_and_b32_e32 v7, 1, v3
	s_nop 0
	v_cndmask_b32_e64 v25, 0, v2, s[0:1]
	v_add_u32_e32 v8, v25, v8
	s_waitcnt lgkmcnt(2)
	v_cmp_eq_u16_sdwa s[0:1], v17, v23 src0_sel:BYTE_0 src1_sel:DWORD
	s_nop 1
	v_cndmask_b32_e64 v8, 0, v8, s[0:1]
	v_add_u32_e32 v8, v8, v9
	s_waitcnt lgkmcnt(0)
	v_cmp_eq_u16_e64 s[0:1], 0, v21
	s_nop 1
	v_cndmask_b32_e64 v8, 0, v8, s[0:1]
	v_add_u32_e32 v9, v8, v19
	v_or_b32_e32 v8, v21, v17
	v_or_b32_e32 v8, v8, v15
	v_and_b32_e32 v8, 1, v8
	v_cmp_eq_u32_e64 s[0:1], 1, v8
	v_mbcnt_lo_u32_b32 v15, -1, 0
	v_and_b32_e32 v8, 0xffffff00, v3
	v_cndmask_b32_e64 v17, v7, 1, s[0:1]
	v_mbcnt_hi_u32_b32 v15, -1, v15
	v_and_b32_e32 v21, 15, v15
	v_or_b32_sdwa v19, v8, v17 dst_sel:DWORD dst_unused:UNUSED_PAD src0_sel:DWORD src1_sel:WORD_0
	v_mov_b32_dpp v23, v9 row_shr:1 row_mask:0xf bank_mask:0xf
	v_cmp_ne_u32_e64 s[0:1], 0, v21
	v_mov_b32_dpp v25, v19 row_shr:1 row_mask:0xf bank_mask:0xf
	s_and_saveexec_b64 s[50:51], s[0:1]
; %bb.198:
	v_and_b32_e32 v19, 1, v17
	v_and_b32_e32 v25, 1, v25
	v_cmp_eq_u32_e64 s[0:1], 1, v19
	s_nop 1
	v_cndmask_b32_e64 v25, v25, 1, s[0:1]
	v_cmp_eq_u16_e64 s[0:1], 0, v17
	v_or_b32_sdwa v19, v8, v25 dst_sel:DWORD dst_unused:UNUSED_PAD src0_sel:DWORD src1_sel:WORD_0
	s_nop 0
	v_cndmask_b32_e64 v17, 0, v23, s[0:1]
	v_add_u32_e32 v9, v17, v9
	v_mov_b32_e32 v17, v25
; %bb.199:
	s_or_b64 exec, exec, s[50:51]
	v_mov_b32_dpp v23, v9 row_shr:2 row_mask:0xf bank_mask:0xf
	v_mov_b32_dpp v25, v19 row_shr:2 row_mask:0xf bank_mask:0xf
	v_cmp_lt_u32_e64 s[0:1], 1, v21
	s_and_saveexec_b64 s[50:51], s[0:1]
; %bb.200:
	v_and_b32_e32 v19, 1, v17
	v_and_b32_e32 v25, 1, v25
	v_cmp_eq_u32_e64 s[0:1], 1, v19
	s_nop 1
	v_cndmask_b32_e64 v25, v25, 1, s[0:1]
	v_cmp_eq_u16_e64 s[0:1], 0, v17
	v_or_b32_sdwa v19, v8, v25 dst_sel:DWORD dst_unused:UNUSED_PAD src0_sel:DWORD src1_sel:WORD_0
	s_nop 0
	v_cndmask_b32_e64 v17, 0, v23, s[0:1]
	v_add_u32_e32 v9, v17, v9
	v_mov_b32_e32 v17, v25
; %bb.201:
	s_or_b64 exec, exec, s[50:51]
	v_mov_b32_dpp v23, v9 row_shr:4 row_mask:0xf bank_mask:0xf
	v_mov_b32_dpp v25, v19 row_shr:4 row_mask:0xf bank_mask:0xf
	v_cmp_lt_u32_e64 s[0:1], 3, v21
	;; [unrolled: 18-line block ×3, first 2 shown]
	s_and_saveexec_b64 s[50:51], s[0:1]
; %bb.204:
	v_and_b32_e32 v19, 1, v17
	v_and_b32_e32 v21, 1, v25
	v_cmp_eq_u32_e64 s[0:1], 1, v19
	s_nop 1
	v_cndmask_b32_e64 v21, v21, 1, s[0:1]
	v_cmp_eq_u16_e64 s[0:1], 0, v17
	v_or_b32_sdwa v19, v8, v21 dst_sel:DWORD dst_unused:UNUSED_PAD src0_sel:DWORD src1_sel:WORD_0
	s_nop 0
	v_cndmask_b32_e64 v17, 0, v23, s[0:1]
	v_add_u32_e32 v9, v17, v9
	v_mov_b32_e32 v17, v21
; %bb.205:
	s_or_b64 exec, exec, s[50:51]
	v_and_b32_e32 v25, 16, v15
	v_mov_b32_dpp v21, v9 row_bcast:15 row_mask:0xf bank_mask:0xf
	v_mov_b32_dpp v23, v19 row_bcast:15 row_mask:0xf bank_mask:0xf
	v_cmp_ne_u32_e64 s[0:1], 0, v25
	s_and_saveexec_b64 s[50:51], s[0:1]
; %bb.206:
	v_and_b32_e32 v19, 1, v17
	v_and_b32_e32 v23, 1, v23
	v_cmp_eq_u32_e64 s[0:1], 1, v19
	s_nop 1
	v_cndmask_b32_e64 v23, v23, 1, s[0:1]
	v_cmp_eq_u16_e64 s[0:1], 0, v17
	v_or_b32_sdwa v19, v8, v23 dst_sel:DWORD dst_unused:UNUSED_PAD src0_sel:DWORD src1_sel:WORD_0
	s_nop 0
	v_cndmask_b32_e64 v17, 0, v21, s[0:1]
	v_add_u32_e32 v9, v17, v9
	v_mov_b32_e32 v17, v23
; %bb.207:
	s_or_b64 exec, exec, s[50:51]
	v_mov_b32_dpp v19, v19 row_bcast:31 row_mask:0xf bank_mask:0xf
	v_and_b32_e32 v23, 1, v17
	v_and_b32_e32 v19, 1, v19
	v_cmp_eq_u32_e64 s[0:1], 1, v23
	v_mov_b32_e32 v23, 0
	v_cmp_eq_u16_sdwa s[50:51], v17, v23 src0_sel:BYTE_0 src1_sel:DWORD
	v_cndmask_b32_e64 v19, v19, 1, s[0:1]
	v_cmp_lt_u32_e64 s[0:1], 31, v15
	v_mov_b32_dpp v21, v9 row_bcast:31 row_mask:0xf bank_mask:0xf
	s_movk_i32 s56, 0xff
	v_cndmask_b32_e64 v17, v17, v19, s[0:1]
	s_and_b64 s[0:1], s[0:1], s[50:51]
	v_cndmask_b32_e64 v19, 0, v21, s[0:1]
	v_add_u32_e32 v9, v19, v9
	v_add_u32_e32 v19, -1, v15
	v_and_b32_e32 v21, 64, v15
	v_cmp_lt_i32_e64 s[0:1], v19, v21
	v_and_or_b32 v8, v17, s56, v8
	s_nop 0
	v_cndmask_b32_e64 v15, v19, v15, s[0:1]
	v_lshlrev_b32_e32 v15, 2, v15
	ds_bpermute_b32 v9, v15, v9
	ds_bpermute_b32 v8, v15, v8
	v_cmp_eq_u16_sdwa s[0:1], v3, v23 src0_sel:BYTE_0 src1_sel:DWORD
	; wave barrier
	s_waitcnt lgkmcnt(1)
	s_nop 0
	v_cndmask_b32_e64 v3, 0, v9, s[0:1]
	v_add_u32_e32 v2, v3, v2
	s_waitcnt lgkmcnt(0)
	v_and_b32_e32 v3, 1, v8
	v_cmp_eq_u32_e64 s[0:1], 1, v7
	v_cndmask_b32_e64 v5, v2, v5, s[52:53]
	s_nop 0
	v_cndmask_b32_e64 v3, v3, 1, s[0:1]
	v_cndmask_b32_e64 v6, v3, v6, s[52:53]
	ds_write_b32 v1, v5
	ds_write_b8 v1, v6 offset:4
	; wave barrier
	ds_read_u8 v7, v1 offset:12
	ds_read2_b32 v[2:3], v1 offset0:2 offset1:4
	ds_read_u8 v8, v1 offset:20
	ds_read_b32 v9, v1 offset:24
	ds_read_u8 v15, v1 offset:28
	s_waitcnt lgkmcnt(4)
	v_cmp_eq_u16_e64 s[0:1], 0, v7
	s_nop 1
	v_cndmask_b32_e64 v5, 0, v5, s[0:1]
	s_waitcnt lgkmcnt(3)
	v_add_u32_e32 v2, v5, v2
	v_and_b32_e32 v5, 1, v7
	v_cmp_eq_u32_e64 s[0:1], 1, v5
	s_nop 1
	v_cndmask_b32_e64 v5, v6, 1, s[0:1]
	s_waitcnt lgkmcnt(2)
	v_cmp_eq_u16_e64 s[0:1], 0, v8
	ds_write_b8 v1, v5 offset:12
	s_nop 0
	v_cndmask_b32_e64 v6, 0, v2, s[0:1]
	v_add_u32_e32 v3, v6, v3
	v_and_b32_e32 v6, 1, v8
	v_cmp_eq_u32_e64 s[0:1], 1, v6
	s_nop 1
	v_cndmask_b32_e64 v5, v5, 1, s[0:1]
	s_waitcnt lgkmcnt(1)
	v_cmp_eq_u16_e64 s[0:1], 0, v15
	ds_write2_b32 v1, v2, v3 offset0:2 offset1:4
	ds_write_b8 v1, v5 offset:20
	v_cndmask_b32_e64 v2, 0, v3, s[0:1]
	v_and_b32_e32 v3, 1, v15
	v_add_u32_e32 v2, v2, v9
	v_cmp_eq_u32_e64 s[0:1], 1, v3
	s_nop 1
	v_cndmask_b32_e64 v3, v5, 1, s[0:1]
	ds_write_b32 v1, v2 offset:24
	ds_write_b8 v1, v3 offset:28
.LBB796_208:
	s_or_b64 exec, exec, s[48:49]
	s_waitcnt vmcnt(0)
	v_mov_b32_e32 v60, v4
	s_waitcnt lgkmcnt(0)
	s_barrier
	s_and_saveexec_b64 s[48:49], s[4:5]
	s_cbranch_execz .LBB796_210
; %bb.209:
	v_add_u32_e32 v1, -1, v0
	v_lshrrev_b32_e32 v2, 5, v1
	v_add_lshl_u32 v1, v2, v1, 3
	ds_read_u8 v2, v1 offset:4
	ds_read_b32 v1, v1
	s_waitcnt lgkmcnt(1)
	v_cmp_eq_u16_e64 s[0:1], 0, v2
	s_nop 1
	v_cndmask_b32_e64 v2, 0, v4, s[0:1]
	s_waitcnt lgkmcnt(0)
	v_add_u32_e32 v60, v2, v1
.LBB796_210:
	s_or_b64 exec, exec, s[48:49]
	v_and_b32_e32 v3, 0xff, v13
	v_mov_b32_e32 v2, 0
	v_cmp_eq_u64_e64 s[0:1], 0, v[2:3]
	s_nop 1
	v_cndmask_b32_e64 v1, 0, v60, s[0:1]
	v_add_u32_e32 v61, v1, v12
	v_cndmask_b32_e32 v1, 0, v61, vcc
	v_add_u32_e32 v62, v1, v14
	v_cndmask_b32_e64 v1, 0, v62, s[6:7]
	v_add_u32_e32 v63, v1, v16
	v_cndmask_b32_e64 v1, 0, v63, s[8:9]
	;; [unrolled: 2-line block ×20, first 2 shown]
	s_and_saveexec_b64 s[0:1], s[52:53]
	s_cbranch_execz .LBB796_212
; %bb.211:
	ds_read_u8 v3, v2 offset:2100
	ds_read_b32 v5, v2 offset:2096
	s_add_u32 s4, s64, 0x400
	s_addc_u32 s5, s65, 0
	v_mov_b32_e32 v6, 2
	s_waitcnt lgkmcnt(1)
	v_cmp_eq_u16_e32 vcc, 0, v3
	v_mov_b32_e32 v7, v2
	s_nop 0
	v_cndmask_b32_e32 v4, 0, v4, vcc
	s_waitcnt lgkmcnt(0)
	v_add_u32_e32 v4, v4, v5
	v_and_b32_e32 v5, 0xffff, v3
	v_mov_b64_e32 v[2:3], s[4:5]
	;;#ASMSTART
	global_store_dwordx4 v[2:3], v[4:7] off sc1	
s_waitcnt vmcnt(0)
	;;#ASMEND
.LBB796_212:
	s_or_b64 exec, exec, s[0:1]
	v_add_u32_e32 v82, v1, v54
.LBB796_213:
	s_add_u32 s0, s62, s54
	s_addc_u32 s1, s63, s55
	v_lshl_add_u64 v[2:3], s[0:1], 0, v[10:11]
	s_and_b64 vcc, exec, s[2:3]
	s_cbranch_vccz .LBB796_259
; %bb.214:
	s_movk_i32 s0, 0x5c
	v_mul_i32_i24_e32 v28, 0xffffffa8, v0
	v_mul_u32_u24_e32 v1, 0x5c, v0
	v_mad_u32_u24 v4, v0, s0, v28
	s_barrier
	ds_write2_b32 v1, v60, v61 offset1:1
	ds_write2_b32 v1, v62, v63 offset0:2 offset1:3
	ds_write2_b32 v1, v64, v65 offset0:4 offset1:5
	;; [unrolled: 1-line block ×10, first 2 shown]
	ds_write_b32 v1, v82 offset:88
	s_waitcnt lgkmcnt(0)
	s_barrier
	ds_read2st64_b32 v[26:27], v4 offset0:4 offset1:8
	ds_read2st64_b32 v[24:25], v4 offset0:12 offset1:16
	;; [unrolled: 1-line block ×11, first 2 shown]
	s_add_i32 s33, s33, s66
	v_mov_b32_e32 v57, 0
	v_lshl_add_u64 v[6:7], v[2:3], 0, v[56:57]
	v_cmp_gt_u32_e32 vcc, s33, v0
	s_and_saveexec_b64 s[0:1], vcc
	s_cbranch_execz .LBB796_216
; %bb.215:
	v_add_u32_e32 v1, v1, v28
	ds_read_b32 v1, v1
	s_waitcnt lgkmcnt(0)
	flat_store_dword v[6:7], v1
.LBB796_216:
	s_or_b64 exec, exec, s[0:1]
	v_or_b32_e32 v1, 0x100, v0
	v_cmp_gt_u32_e32 vcc, s33, v1
	s_and_saveexec_b64 s[0:1], vcc
	s_cbranch_execz .LBB796_218
; %bb.217:
	s_waitcnt lgkmcnt(0)
	flat_store_dword v[6:7], v26 offset:1024
.LBB796_218:
	s_or_b64 exec, exec, s[0:1]
	v_or_b32_e32 v1, 0x200, v0
	v_cmp_gt_u32_e32 vcc, s33, v1
	s_and_saveexec_b64 s[0:1], vcc
	s_cbranch_execz .LBB796_220
; %bb.219:
	s_waitcnt lgkmcnt(0)
	flat_store_dword v[6:7], v27 offset:2048
.LBB796_220:
	;; [unrolled: 9-line block ×3, first 2 shown]
	s_or_b64 exec, exec, s[0:1]
	v_or_b32_e32 v1, 0x400, v0
	v_cmp_gt_u32_e32 vcc, s33, v1
	s_and_saveexec_b64 s[0:1], vcc
	s_cbranch_execz .LBB796_224
; %bb.223:
	s_waitcnt lgkmcnt(0)
	v_add_co_u32_e32 v26, vcc, 0x1000, v6
	s_nop 1
	v_addc_co_u32_e32 v27, vcc, 0, v7, vcc
	flat_store_dword v[26:27], v25
.LBB796_224:
	s_or_b64 exec, exec, s[0:1]
	v_or_b32_e32 v1, 0x500, v0
	v_cmp_gt_u32_e32 vcc, s33, v1
	s_and_saveexec_b64 s[0:1], vcc
	s_cbranch_execz .LBB796_226
; %bb.225:
	s_waitcnt lgkmcnt(0)
	v_add_co_u32_e32 v24, vcc, 0x1000, v6
	s_nop 1
	v_addc_co_u32_e32 v25, vcc, 0, v7, vcc
	flat_store_dword v[24:25], v22 offset:1024
.LBB796_226:
	s_or_b64 exec, exec, s[0:1]
	v_or_b32_e32 v1, 0x600, v0
	v_cmp_gt_u32_e32 vcc, s33, v1
	s_and_saveexec_b64 s[0:1], vcc
	s_cbranch_execz .LBB796_228
; %bb.227:
	s_waitcnt lgkmcnt(0)
	v_add_co_u32_e32 v24, vcc, 0x1000, v6
	s_nop 1
	v_addc_co_u32_e32 v25, vcc, 0, v7, vcc
	flat_store_dword v[24:25], v23 offset:2048
.LBB796_228:
	s_or_b64 exec, exec, s[0:1]
	v_or_b32_e32 v1, 0x700, v0
	v_cmp_gt_u32_e32 vcc, s33, v1
	s_and_saveexec_b64 s[0:1], vcc
	s_cbranch_execz .LBB796_230
; %bb.229:
	s_waitcnt lgkmcnt(0)
	v_add_co_u32_e32 v22, vcc, 0x1000, v6
	s_nop 1
	v_addc_co_u32_e32 v23, vcc, 0, v7, vcc
	flat_store_dword v[22:23], v20 offset:3072
.LBB796_230:
	s_or_b64 exec, exec, s[0:1]
	v_or_b32_e32 v1, 0x800, v0
	v_cmp_gt_u32_e32 vcc, s33, v1
	s_and_saveexec_b64 s[0:1], vcc
	s_cbranch_execz .LBB796_232
; %bb.231:
	s_waitcnt lgkmcnt(0)
	v_add_co_u32_e32 v22, vcc, 0x2000, v6
	s_nop 1
	v_addc_co_u32_e32 v23, vcc, 0, v7, vcc
	flat_store_dword v[22:23], v21
.LBB796_232:
	s_or_b64 exec, exec, s[0:1]
	v_or_b32_e32 v1, 0x900, v0
	v_cmp_gt_u32_e32 vcc, s33, v1
	s_and_saveexec_b64 s[0:1], vcc
	s_cbranch_execz .LBB796_234
; %bb.233:
	s_waitcnt lgkmcnt(0)
	v_add_co_u32_e32 v20, vcc, 0x2000, v6
	s_nop 1
	v_addc_co_u32_e32 v21, vcc, 0, v7, vcc
	flat_store_dword v[20:21], v18 offset:1024
.LBB796_234:
	s_or_b64 exec, exec, s[0:1]
	v_or_b32_e32 v1, 0xa00, v0
	v_cmp_gt_u32_e32 vcc, s33, v1
	s_and_saveexec_b64 s[0:1], vcc
	s_cbranch_execz .LBB796_236
; %bb.235:
	s_waitcnt lgkmcnt(0)
	v_add_co_u32_e32 v20, vcc, 0x2000, v6
	s_nop 1
	v_addc_co_u32_e32 v21, vcc, 0, v7, vcc
	flat_store_dword v[20:21], v19 offset:2048
.LBB796_236:
	s_or_b64 exec, exec, s[0:1]
	v_or_b32_e32 v1, 0xb00, v0
	v_cmp_gt_u32_e32 vcc, s33, v1
	s_and_saveexec_b64 s[0:1], vcc
	s_cbranch_execz .LBB796_238
; %bb.237:
	s_waitcnt lgkmcnt(0)
	v_add_co_u32_e32 v18, vcc, 0x2000, v6
	s_nop 1
	v_addc_co_u32_e32 v19, vcc, 0, v7, vcc
	flat_store_dword v[18:19], v16 offset:3072
.LBB796_238:
	s_or_b64 exec, exec, s[0:1]
	v_or_b32_e32 v1, 0xc00, v0
	v_cmp_gt_u32_e32 vcc, s33, v1
	s_and_saveexec_b64 s[0:1], vcc
	s_cbranch_execz .LBB796_240
; %bb.239:
	s_waitcnt lgkmcnt(0)
	v_add_co_u32_e32 v18, vcc, 0x3000, v6
	s_nop 1
	v_addc_co_u32_e32 v19, vcc, 0, v7, vcc
	flat_store_dword v[18:19], v17
.LBB796_240:
	s_or_b64 exec, exec, s[0:1]
	v_or_b32_e32 v1, 0xd00, v0
	v_cmp_gt_u32_e32 vcc, s33, v1
	s_and_saveexec_b64 s[0:1], vcc
	s_cbranch_execz .LBB796_242
; %bb.241:
	s_waitcnt lgkmcnt(0)
	v_add_co_u32_e32 v16, vcc, 0x3000, v6
	s_nop 1
	v_addc_co_u32_e32 v17, vcc, 0, v7, vcc
	flat_store_dword v[16:17], v14 offset:1024
.LBB796_242:
	s_or_b64 exec, exec, s[0:1]
	v_or_b32_e32 v1, 0xe00, v0
	v_cmp_gt_u32_e32 vcc, s33, v1
	s_and_saveexec_b64 s[0:1], vcc
	s_cbranch_execz .LBB796_244
; %bb.243:
	s_waitcnt lgkmcnt(0)
	v_add_co_u32_e32 v16, vcc, 0x3000, v6
	s_nop 1
	v_addc_co_u32_e32 v17, vcc, 0, v7, vcc
	flat_store_dword v[16:17], v15 offset:2048
.LBB796_244:
	s_or_b64 exec, exec, s[0:1]
	v_or_b32_e32 v1, 0xf00, v0
	v_cmp_gt_u32_e32 vcc, s33, v1
	s_and_saveexec_b64 s[0:1], vcc
	s_cbranch_execz .LBB796_246
; %bb.245:
	s_waitcnt lgkmcnt(0)
	v_add_co_u32_e32 v14, vcc, 0x3000, v6
	s_nop 1
	v_addc_co_u32_e32 v15, vcc, 0, v7, vcc
	flat_store_dword v[14:15], v12 offset:3072
.LBB796_246:
	s_or_b64 exec, exec, s[0:1]
	v_or_b32_e32 v1, 0x1000, v0
	v_cmp_gt_u32_e32 vcc, s33, v1
	s_and_saveexec_b64 s[0:1], vcc
	s_cbranch_execz .LBB796_248
; %bb.247:
	s_waitcnt lgkmcnt(0)
	v_add_co_u32_e32 v14, vcc, 0x4000, v6
	s_nop 1
	v_addc_co_u32_e32 v15, vcc, 0, v7, vcc
	flat_store_dword v[14:15], v13
.LBB796_248:
	s_or_b64 exec, exec, s[0:1]
	v_or_b32_e32 v1, 0x1100, v0
	v_cmp_gt_u32_e32 vcc, s33, v1
	s_and_saveexec_b64 s[0:1], vcc
	s_cbranch_execz .LBB796_250
; %bb.249:
	s_waitcnt lgkmcnt(0)
	v_add_co_u32_e32 v12, vcc, 0x4000, v6
	s_nop 1
	v_addc_co_u32_e32 v13, vcc, 0, v7, vcc
	flat_store_dword v[12:13], v10 offset:1024
.LBB796_250:
	s_or_b64 exec, exec, s[0:1]
	v_or_b32_e32 v1, 0x1200, v0
	v_cmp_gt_u32_e32 vcc, s33, v1
	s_and_saveexec_b64 s[0:1], vcc
	s_cbranch_execz .LBB796_252
; %bb.251:
	s_waitcnt lgkmcnt(0)
	v_add_co_u32_e32 v12, vcc, 0x4000, v6
	s_nop 1
	v_addc_co_u32_e32 v13, vcc, 0, v7, vcc
	flat_store_dword v[12:13], v11 offset:2048
.LBB796_252:
	s_or_b64 exec, exec, s[0:1]
	v_or_b32_e32 v1, 0x1300, v0
	v_cmp_gt_u32_e32 vcc, s33, v1
	s_and_saveexec_b64 s[0:1], vcc
	s_cbranch_execz .LBB796_254
; %bb.253:
	s_waitcnt lgkmcnt(0)
	v_add_co_u32_e32 v10, vcc, 0x4000, v6
	s_nop 1
	v_addc_co_u32_e32 v11, vcc, 0, v7, vcc
	flat_store_dword v[10:11], v8 offset:3072
.LBB796_254:
	s_or_b64 exec, exec, s[0:1]
	v_or_b32_e32 v1, 0x1400, v0
	v_cmp_gt_u32_e32 vcc, s33, v1
	s_and_saveexec_b64 s[0:1], vcc
	s_cbranch_execz .LBB796_256
; %bb.255:
	s_waitcnt lgkmcnt(0)
	v_add_co_u32_e32 v10, vcc, 0x5000, v6
	s_nop 1
	v_addc_co_u32_e32 v11, vcc, 0, v7, vcc
	flat_store_dword v[10:11], v9
.LBB796_256:
	s_or_b64 exec, exec, s[0:1]
	v_or_b32_e32 v1, 0x1500, v0
	v_cmp_gt_u32_e32 vcc, s33, v1
	s_and_saveexec_b64 s[0:1], vcc
	s_cbranch_execz .LBB796_258
; %bb.257:
	v_add_co_u32_e32 v6, vcc, 0x5000, v6
	s_nop 1
	v_addc_co_u32_e32 v7, vcc, 0, v7, vcc
	s_waitcnt lgkmcnt(0)
	flat_store_dword v[6:7], v4 offset:1024
.LBB796_258:
	s_or_b64 exec, exec, s[0:1]
	s_waitcnt lgkmcnt(0)
	v_or_b32_e32 v4, 0x1600, v0
	v_mov_b32_e32 v1, v57
	v_cmp_gt_u32_e64 s[0:1], s33, v4
	s_branch .LBB796_261
.LBB796_259:
	s_mov_b64 s[0:1], 0
                                        ; implicit-def: $vgpr5
	s_cbranch_execz .LBB796_261
; %bb.260:
	v_mul_u32_u24_e32 v1, 0x5c, v0
	s_barrier
	s_movk_i32 s2, 0x5c
	ds_write2_b32 v1, v60, v61 offset1:1
	ds_write2_b32 v1, v62, v63 offset0:2 offset1:3
	ds_write2_b32 v1, v64, v65 offset0:4 offset1:5
	;; [unrolled: 1-line block ×10, first 2 shown]
	ds_write_b32 v1, v82 offset:88
	v_mov_b32_e32 v1, 0
	v_mul_i32_i24_e32 v4, 0xffffffa8, v0
	v_mad_u32_u24 v4, v0, s2, v4
	v_mov_b32_e32 v57, v1
	s_waitcnt lgkmcnt(0)
	s_barrier
	ds_read2st64_b32 v[6:7], v4 offset1:4
	ds_read2st64_b32 v[8:9], v4 offset0:8 offset1:12
	ds_read2st64_b32 v[10:11], v4 offset0:16 offset1:20
	;; [unrolled: 1-line block ×10, first 2 shown]
	ds_read_b32 v5, v4 offset:22528
	v_lshl_add_u64 v[28:29], v[2:3], 0, v[56:57]
	s_movk_i32 s2, 0x1000
	s_waitcnt lgkmcnt(0)
	flat_store_dword v[28:29], v6
	flat_store_dword v[28:29], v7 offset:1024
	flat_store_dword v[28:29], v8 offset:2048
	;; [unrolled: 1-line block ×3, first 2 shown]
	v_add_co_u32_e32 v6, vcc, s2, v28
	s_movk_i32 s2, 0x2000
	s_nop 0
	v_addc_co_u32_e32 v7, vcc, 0, v29, vcc
	flat_store_dword v[6:7], v10
	flat_store_dword v[6:7], v11 offset:1024
	flat_store_dword v[6:7], v12 offset:2048
	;; [unrolled: 1-line block ×3, first 2 shown]
	v_add_co_u32_e32 v6, vcc, s2, v28
	s_movk_i32 s2, 0x3000
	s_nop 0
	v_addc_co_u32_e32 v7, vcc, 0, v29, vcc
	flat_store_dword v[6:7], v14
	flat_store_dword v[6:7], v15 offset:1024
	flat_store_dword v[6:7], v16 offset:2048
	;; [unrolled: 1-line block ×3, first 2 shown]
	v_add_co_u32_e32 v6, vcc, s2, v28
	s_or_b64 s[0:1], s[0:1], exec
	s_nop 0
	v_addc_co_u32_e32 v7, vcc, 0, v29, vcc
	flat_store_dword v[6:7], v18
	flat_store_dword v[6:7], v19 offset:1024
	flat_store_dword v[6:7], v20 offset:2048
	;; [unrolled: 1-line block ×3, first 2 shown]
	v_add_co_u32_e32 v6, vcc, 0x4000, v28
	s_nop 1
	v_addc_co_u32_e32 v7, vcc, 0, v29, vcc
	flat_store_dword v[6:7], v22
	flat_store_dword v[6:7], v23 offset:1024
	flat_store_dword v[6:7], v24 offset:2048
	;; [unrolled: 1-line block ×3, first 2 shown]
	v_add_co_u32_e32 v6, vcc, 0x5000, v28
	s_nop 1
	v_addc_co_u32_e32 v7, vcc, 0, v29, vcc
	flat_store_dword v[6:7], v26
	flat_store_dword v[6:7], v27 offset:1024
.LBB796_261:
	s_and_saveexec_b64 s[2:3], s[0:1]
	s_cbranch_execz .LBB796_263
; %bb.262:
	v_lshl_add_u64 v[0:1], v[0:1], 2, v[2:3]
	v_add_co_u32_e32 v0, vcc, 0x5000, v0
	s_nop 1
	v_addc_co_u32_e32 v1, vcc, 0, v1, vcc
	flat_store_dword v[0:1], v5 offset:2048
	s_endpgm
.LBB796_263:
	s_endpgm
	.section	.rodata,"a",@progbits
	.p2align	6, 0x0
	.amdhsa_kernel _ZN7rocprim17ROCPRIM_400000_NS6detail17trampoline_kernelINS0_14default_configENS1_27scan_by_key_config_selectorIiiEEZZNS1_16scan_by_key_implILNS1_25lookback_scan_determinismE0ELb1ES3_N6thrust23THRUST_200600_302600_NS6detail15normal_iteratorINS9_10device_ptrIiEEEESE_SE_iNS9_4plusIiEE19head_flag_predicateiEE10hipError_tPvRmT2_T3_T4_T5_mT6_T7_P12ihipStream_tbENKUlT_T0_E_clISt17integral_constantIbLb1EESY_EEDaST_SU_EUlST_E_NS1_11comp_targetILNS1_3genE5ELNS1_11target_archE942ELNS1_3gpuE9ELNS1_3repE0EEENS1_30default_config_static_selectorELNS0_4arch9wavefront6targetE1EEEvT1_
		.amdhsa_group_segment_fixed_size 25600
		.amdhsa_private_segment_fixed_size 0
		.amdhsa_kernarg_size 112
		.amdhsa_user_sgpr_count 2
		.amdhsa_user_sgpr_dispatch_ptr 0
		.amdhsa_user_sgpr_queue_ptr 0
		.amdhsa_user_sgpr_kernarg_segment_ptr 1
		.amdhsa_user_sgpr_dispatch_id 0
		.amdhsa_user_sgpr_kernarg_preload_length 0
		.amdhsa_user_sgpr_kernarg_preload_offset 0
		.amdhsa_user_sgpr_private_segment_size 0
		.amdhsa_uses_dynamic_stack 0
		.amdhsa_enable_private_segment 0
		.amdhsa_system_sgpr_workgroup_id_x 1
		.amdhsa_system_sgpr_workgroup_id_y 0
		.amdhsa_system_sgpr_workgroup_id_z 0
		.amdhsa_system_sgpr_workgroup_info 0
		.amdhsa_system_vgpr_workitem_id 0
		.amdhsa_next_free_vgpr 83
		.amdhsa_next_free_sgpr 80
		.amdhsa_accum_offset 84
		.amdhsa_reserve_vcc 1
		.amdhsa_float_round_mode_32 0
		.amdhsa_float_round_mode_16_64 0
		.amdhsa_float_denorm_mode_32 3
		.amdhsa_float_denorm_mode_16_64 3
		.amdhsa_dx10_clamp 1
		.amdhsa_ieee_mode 1
		.amdhsa_fp16_overflow 0
		.amdhsa_tg_split 0
		.amdhsa_exception_fp_ieee_invalid_op 0
		.amdhsa_exception_fp_denorm_src 0
		.amdhsa_exception_fp_ieee_div_zero 0
		.amdhsa_exception_fp_ieee_overflow 0
		.amdhsa_exception_fp_ieee_underflow 0
		.amdhsa_exception_fp_ieee_inexact 0
		.amdhsa_exception_int_div_zero 0
	.end_amdhsa_kernel
	.section	.text._ZN7rocprim17ROCPRIM_400000_NS6detail17trampoline_kernelINS0_14default_configENS1_27scan_by_key_config_selectorIiiEEZZNS1_16scan_by_key_implILNS1_25lookback_scan_determinismE0ELb1ES3_N6thrust23THRUST_200600_302600_NS6detail15normal_iteratorINS9_10device_ptrIiEEEESE_SE_iNS9_4plusIiEE19head_flag_predicateiEE10hipError_tPvRmT2_T3_T4_T5_mT6_T7_P12ihipStream_tbENKUlT_T0_E_clISt17integral_constantIbLb1EESY_EEDaST_SU_EUlST_E_NS1_11comp_targetILNS1_3genE5ELNS1_11target_archE942ELNS1_3gpuE9ELNS1_3repE0EEENS1_30default_config_static_selectorELNS0_4arch9wavefront6targetE1EEEvT1_,"axG",@progbits,_ZN7rocprim17ROCPRIM_400000_NS6detail17trampoline_kernelINS0_14default_configENS1_27scan_by_key_config_selectorIiiEEZZNS1_16scan_by_key_implILNS1_25lookback_scan_determinismE0ELb1ES3_N6thrust23THRUST_200600_302600_NS6detail15normal_iteratorINS9_10device_ptrIiEEEESE_SE_iNS9_4plusIiEE19head_flag_predicateiEE10hipError_tPvRmT2_T3_T4_T5_mT6_T7_P12ihipStream_tbENKUlT_T0_E_clISt17integral_constantIbLb1EESY_EEDaST_SU_EUlST_E_NS1_11comp_targetILNS1_3genE5ELNS1_11target_archE942ELNS1_3gpuE9ELNS1_3repE0EEENS1_30default_config_static_selectorELNS0_4arch9wavefront6targetE1EEEvT1_,comdat
.Lfunc_end796:
	.size	_ZN7rocprim17ROCPRIM_400000_NS6detail17trampoline_kernelINS0_14default_configENS1_27scan_by_key_config_selectorIiiEEZZNS1_16scan_by_key_implILNS1_25lookback_scan_determinismE0ELb1ES3_N6thrust23THRUST_200600_302600_NS6detail15normal_iteratorINS9_10device_ptrIiEEEESE_SE_iNS9_4plusIiEE19head_flag_predicateiEE10hipError_tPvRmT2_T3_T4_T5_mT6_T7_P12ihipStream_tbENKUlT_T0_E_clISt17integral_constantIbLb1EESY_EEDaST_SU_EUlST_E_NS1_11comp_targetILNS1_3genE5ELNS1_11target_archE942ELNS1_3gpuE9ELNS1_3repE0EEENS1_30default_config_static_selectorELNS0_4arch9wavefront6targetE1EEEvT1_, .Lfunc_end796-_ZN7rocprim17ROCPRIM_400000_NS6detail17trampoline_kernelINS0_14default_configENS1_27scan_by_key_config_selectorIiiEEZZNS1_16scan_by_key_implILNS1_25lookback_scan_determinismE0ELb1ES3_N6thrust23THRUST_200600_302600_NS6detail15normal_iteratorINS9_10device_ptrIiEEEESE_SE_iNS9_4plusIiEE19head_flag_predicateiEE10hipError_tPvRmT2_T3_T4_T5_mT6_T7_P12ihipStream_tbENKUlT_T0_E_clISt17integral_constantIbLb1EESY_EEDaST_SU_EUlST_E_NS1_11comp_targetILNS1_3genE5ELNS1_11target_archE942ELNS1_3gpuE9ELNS1_3repE0EEENS1_30default_config_static_selectorELNS0_4arch9wavefront6targetE1EEEvT1_
                                        ; -- End function
	.section	.AMDGPU.csdata,"",@progbits
; Kernel info:
; codeLenInByte = 15928
; NumSgprs: 86
; NumVgprs: 83
; NumAgprs: 0
; TotalNumVgprs: 83
; ScratchSize: 0
; MemoryBound: 0
; FloatMode: 240
; IeeeMode: 1
; LDSByteSize: 25600 bytes/workgroup (compile time only)
; SGPRBlocks: 10
; VGPRBlocks: 10
; NumSGPRsForWavesPerEU: 86
; NumVGPRsForWavesPerEU: 83
; AccumOffset: 84
; Occupancy: 2
; WaveLimiterHint : 1
; COMPUTE_PGM_RSRC2:SCRATCH_EN: 0
; COMPUTE_PGM_RSRC2:USER_SGPR: 2
; COMPUTE_PGM_RSRC2:TRAP_HANDLER: 0
; COMPUTE_PGM_RSRC2:TGID_X_EN: 1
; COMPUTE_PGM_RSRC2:TGID_Y_EN: 0
; COMPUTE_PGM_RSRC2:TGID_Z_EN: 0
; COMPUTE_PGM_RSRC2:TIDIG_COMP_CNT: 0
; COMPUTE_PGM_RSRC3_GFX90A:ACCUM_OFFSET: 20
; COMPUTE_PGM_RSRC3_GFX90A:TG_SPLIT: 0
	.section	.text._ZN7rocprim17ROCPRIM_400000_NS6detail17trampoline_kernelINS0_14default_configENS1_27scan_by_key_config_selectorIiiEEZZNS1_16scan_by_key_implILNS1_25lookback_scan_determinismE0ELb1ES3_N6thrust23THRUST_200600_302600_NS6detail15normal_iteratorINS9_10device_ptrIiEEEESE_SE_iNS9_4plusIiEE19head_flag_predicateiEE10hipError_tPvRmT2_T3_T4_T5_mT6_T7_P12ihipStream_tbENKUlT_T0_E_clISt17integral_constantIbLb1EESY_EEDaST_SU_EUlST_E_NS1_11comp_targetILNS1_3genE4ELNS1_11target_archE910ELNS1_3gpuE8ELNS1_3repE0EEENS1_30default_config_static_selectorELNS0_4arch9wavefront6targetE1EEEvT1_,"axG",@progbits,_ZN7rocprim17ROCPRIM_400000_NS6detail17trampoline_kernelINS0_14default_configENS1_27scan_by_key_config_selectorIiiEEZZNS1_16scan_by_key_implILNS1_25lookback_scan_determinismE0ELb1ES3_N6thrust23THRUST_200600_302600_NS6detail15normal_iteratorINS9_10device_ptrIiEEEESE_SE_iNS9_4plusIiEE19head_flag_predicateiEE10hipError_tPvRmT2_T3_T4_T5_mT6_T7_P12ihipStream_tbENKUlT_T0_E_clISt17integral_constantIbLb1EESY_EEDaST_SU_EUlST_E_NS1_11comp_targetILNS1_3genE4ELNS1_11target_archE910ELNS1_3gpuE8ELNS1_3repE0EEENS1_30default_config_static_selectorELNS0_4arch9wavefront6targetE1EEEvT1_,comdat
	.protected	_ZN7rocprim17ROCPRIM_400000_NS6detail17trampoline_kernelINS0_14default_configENS1_27scan_by_key_config_selectorIiiEEZZNS1_16scan_by_key_implILNS1_25lookback_scan_determinismE0ELb1ES3_N6thrust23THRUST_200600_302600_NS6detail15normal_iteratorINS9_10device_ptrIiEEEESE_SE_iNS9_4plusIiEE19head_flag_predicateiEE10hipError_tPvRmT2_T3_T4_T5_mT6_T7_P12ihipStream_tbENKUlT_T0_E_clISt17integral_constantIbLb1EESY_EEDaST_SU_EUlST_E_NS1_11comp_targetILNS1_3genE4ELNS1_11target_archE910ELNS1_3gpuE8ELNS1_3repE0EEENS1_30default_config_static_selectorELNS0_4arch9wavefront6targetE1EEEvT1_ ; -- Begin function _ZN7rocprim17ROCPRIM_400000_NS6detail17trampoline_kernelINS0_14default_configENS1_27scan_by_key_config_selectorIiiEEZZNS1_16scan_by_key_implILNS1_25lookback_scan_determinismE0ELb1ES3_N6thrust23THRUST_200600_302600_NS6detail15normal_iteratorINS9_10device_ptrIiEEEESE_SE_iNS9_4plusIiEE19head_flag_predicateiEE10hipError_tPvRmT2_T3_T4_T5_mT6_T7_P12ihipStream_tbENKUlT_T0_E_clISt17integral_constantIbLb1EESY_EEDaST_SU_EUlST_E_NS1_11comp_targetILNS1_3genE4ELNS1_11target_archE910ELNS1_3gpuE8ELNS1_3repE0EEENS1_30default_config_static_selectorELNS0_4arch9wavefront6targetE1EEEvT1_
	.globl	_ZN7rocprim17ROCPRIM_400000_NS6detail17trampoline_kernelINS0_14default_configENS1_27scan_by_key_config_selectorIiiEEZZNS1_16scan_by_key_implILNS1_25lookback_scan_determinismE0ELb1ES3_N6thrust23THRUST_200600_302600_NS6detail15normal_iteratorINS9_10device_ptrIiEEEESE_SE_iNS9_4plusIiEE19head_flag_predicateiEE10hipError_tPvRmT2_T3_T4_T5_mT6_T7_P12ihipStream_tbENKUlT_T0_E_clISt17integral_constantIbLb1EESY_EEDaST_SU_EUlST_E_NS1_11comp_targetILNS1_3genE4ELNS1_11target_archE910ELNS1_3gpuE8ELNS1_3repE0EEENS1_30default_config_static_selectorELNS0_4arch9wavefront6targetE1EEEvT1_
	.p2align	8
	.type	_ZN7rocprim17ROCPRIM_400000_NS6detail17trampoline_kernelINS0_14default_configENS1_27scan_by_key_config_selectorIiiEEZZNS1_16scan_by_key_implILNS1_25lookback_scan_determinismE0ELb1ES3_N6thrust23THRUST_200600_302600_NS6detail15normal_iteratorINS9_10device_ptrIiEEEESE_SE_iNS9_4plusIiEE19head_flag_predicateiEE10hipError_tPvRmT2_T3_T4_T5_mT6_T7_P12ihipStream_tbENKUlT_T0_E_clISt17integral_constantIbLb1EESY_EEDaST_SU_EUlST_E_NS1_11comp_targetILNS1_3genE4ELNS1_11target_archE910ELNS1_3gpuE8ELNS1_3repE0EEENS1_30default_config_static_selectorELNS0_4arch9wavefront6targetE1EEEvT1_,@function
_ZN7rocprim17ROCPRIM_400000_NS6detail17trampoline_kernelINS0_14default_configENS1_27scan_by_key_config_selectorIiiEEZZNS1_16scan_by_key_implILNS1_25lookback_scan_determinismE0ELb1ES3_N6thrust23THRUST_200600_302600_NS6detail15normal_iteratorINS9_10device_ptrIiEEEESE_SE_iNS9_4plusIiEE19head_flag_predicateiEE10hipError_tPvRmT2_T3_T4_T5_mT6_T7_P12ihipStream_tbENKUlT_T0_E_clISt17integral_constantIbLb1EESY_EEDaST_SU_EUlST_E_NS1_11comp_targetILNS1_3genE4ELNS1_11target_archE910ELNS1_3gpuE8ELNS1_3repE0EEENS1_30default_config_static_selectorELNS0_4arch9wavefront6targetE1EEEvT1_: ; @_ZN7rocprim17ROCPRIM_400000_NS6detail17trampoline_kernelINS0_14default_configENS1_27scan_by_key_config_selectorIiiEEZZNS1_16scan_by_key_implILNS1_25lookback_scan_determinismE0ELb1ES3_N6thrust23THRUST_200600_302600_NS6detail15normal_iteratorINS9_10device_ptrIiEEEESE_SE_iNS9_4plusIiEE19head_flag_predicateiEE10hipError_tPvRmT2_T3_T4_T5_mT6_T7_P12ihipStream_tbENKUlT_T0_E_clISt17integral_constantIbLb1EESY_EEDaST_SU_EUlST_E_NS1_11comp_targetILNS1_3genE4ELNS1_11target_archE910ELNS1_3gpuE8ELNS1_3repE0EEENS1_30default_config_static_selectorELNS0_4arch9wavefront6targetE1EEEvT1_
; %bb.0:
	.section	.rodata,"a",@progbits
	.p2align	6, 0x0
	.amdhsa_kernel _ZN7rocprim17ROCPRIM_400000_NS6detail17trampoline_kernelINS0_14default_configENS1_27scan_by_key_config_selectorIiiEEZZNS1_16scan_by_key_implILNS1_25lookback_scan_determinismE0ELb1ES3_N6thrust23THRUST_200600_302600_NS6detail15normal_iteratorINS9_10device_ptrIiEEEESE_SE_iNS9_4plusIiEE19head_flag_predicateiEE10hipError_tPvRmT2_T3_T4_T5_mT6_T7_P12ihipStream_tbENKUlT_T0_E_clISt17integral_constantIbLb1EESY_EEDaST_SU_EUlST_E_NS1_11comp_targetILNS1_3genE4ELNS1_11target_archE910ELNS1_3gpuE8ELNS1_3repE0EEENS1_30default_config_static_selectorELNS0_4arch9wavefront6targetE1EEEvT1_
		.amdhsa_group_segment_fixed_size 0
		.amdhsa_private_segment_fixed_size 0
		.amdhsa_kernarg_size 112
		.amdhsa_user_sgpr_count 2
		.amdhsa_user_sgpr_dispatch_ptr 0
		.amdhsa_user_sgpr_queue_ptr 0
		.amdhsa_user_sgpr_kernarg_segment_ptr 1
		.amdhsa_user_sgpr_dispatch_id 0
		.amdhsa_user_sgpr_kernarg_preload_length 0
		.amdhsa_user_sgpr_kernarg_preload_offset 0
		.amdhsa_user_sgpr_private_segment_size 0
		.amdhsa_uses_dynamic_stack 0
		.amdhsa_enable_private_segment 0
		.amdhsa_system_sgpr_workgroup_id_x 1
		.amdhsa_system_sgpr_workgroup_id_y 0
		.amdhsa_system_sgpr_workgroup_id_z 0
		.amdhsa_system_sgpr_workgroup_info 0
		.amdhsa_system_vgpr_workitem_id 0
		.amdhsa_next_free_vgpr 1
		.amdhsa_next_free_sgpr 0
		.amdhsa_accum_offset 4
		.amdhsa_reserve_vcc 0
		.amdhsa_float_round_mode_32 0
		.amdhsa_float_round_mode_16_64 0
		.amdhsa_float_denorm_mode_32 3
		.amdhsa_float_denorm_mode_16_64 3
		.amdhsa_dx10_clamp 1
		.amdhsa_ieee_mode 1
		.amdhsa_fp16_overflow 0
		.amdhsa_tg_split 0
		.amdhsa_exception_fp_ieee_invalid_op 0
		.amdhsa_exception_fp_denorm_src 0
		.amdhsa_exception_fp_ieee_div_zero 0
		.amdhsa_exception_fp_ieee_overflow 0
		.amdhsa_exception_fp_ieee_underflow 0
		.amdhsa_exception_fp_ieee_inexact 0
		.amdhsa_exception_int_div_zero 0
	.end_amdhsa_kernel
	.section	.text._ZN7rocprim17ROCPRIM_400000_NS6detail17trampoline_kernelINS0_14default_configENS1_27scan_by_key_config_selectorIiiEEZZNS1_16scan_by_key_implILNS1_25lookback_scan_determinismE0ELb1ES3_N6thrust23THRUST_200600_302600_NS6detail15normal_iteratorINS9_10device_ptrIiEEEESE_SE_iNS9_4plusIiEE19head_flag_predicateiEE10hipError_tPvRmT2_T3_T4_T5_mT6_T7_P12ihipStream_tbENKUlT_T0_E_clISt17integral_constantIbLb1EESY_EEDaST_SU_EUlST_E_NS1_11comp_targetILNS1_3genE4ELNS1_11target_archE910ELNS1_3gpuE8ELNS1_3repE0EEENS1_30default_config_static_selectorELNS0_4arch9wavefront6targetE1EEEvT1_,"axG",@progbits,_ZN7rocprim17ROCPRIM_400000_NS6detail17trampoline_kernelINS0_14default_configENS1_27scan_by_key_config_selectorIiiEEZZNS1_16scan_by_key_implILNS1_25lookback_scan_determinismE0ELb1ES3_N6thrust23THRUST_200600_302600_NS6detail15normal_iteratorINS9_10device_ptrIiEEEESE_SE_iNS9_4plusIiEE19head_flag_predicateiEE10hipError_tPvRmT2_T3_T4_T5_mT6_T7_P12ihipStream_tbENKUlT_T0_E_clISt17integral_constantIbLb1EESY_EEDaST_SU_EUlST_E_NS1_11comp_targetILNS1_3genE4ELNS1_11target_archE910ELNS1_3gpuE8ELNS1_3repE0EEENS1_30default_config_static_selectorELNS0_4arch9wavefront6targetE1EEEvT1_,comdat
.Lfunc_end797:
	.size	_ZN7rocprim17ROCPRIM_400000_NS6detail17trampoline_kernelINS0_14default_configENS1_27scan_by_key_config_selectorIiiEEZZNS1_16scan_by_key_implILNS1_25lookback_scan_determinismE0ELb1ES3_N6thrust23THRUST_200600_302600_NS6detail15normal_iteratorINS9_10device_ptrIiEEEESE_SE_iNS9_4plusIiEE19head_flag_predicateiEE10hipError_tPvRmT2_T3_T4_T5_mT6_T7_P12ihipStream_tbENKUlT_T0_E_clISt17integral_constantIbLb1EESY_EEDaST_SU_EUlST_E_NS1_11comp_targetILNS1_3genE4ELNS1_11target_archE910ELNS1_3gpuE8ELNS1_3repE0EEENS1_30default_config_static_selectorELNS0_4arch9wavefront6targetE1EEEvT1_, .Lfunc_end797-_ZN7rocprim17ROCPRIM_400000_NS6detail17trampoline_kernelINS0_14default_configENS1_27scan_by_key_config_selectorIiiEEZZNS1_16scan_by_key_implILNS1_25lookback_scan_determinismE0ELb1ES3_N6thrust23THRUST_200600_302600_NS6detail15normal_iteratorINS9_10device_ptrIiEEEESE_SE_iNS9_4plusIiEE19head_flag_predicateiEE10hipError_tPvRmT2_T3_T4_T5_mT6_T7_P12ihipStream_tbENKUlT_T0_E_clISt17integral_constantIbLb1EESY_EEDaST_SU_EUlST_E_NS1_11comp_targetILNS1_3genE4ELNS1_11target_archE910ELNS1_3gpuE8ELNS1_3repE0EEENS1_30default_config_static_selectorELNS0_4arch9wavefront6targetE1EEEvT1_
                                        ; -- End function
	.section	.AMDGPU.csdata,"",@progbits
; Kernel info:
; codeLenInByte = 0
; NumSgprs: 6
; NumVgprs: 0
; NumAgprs: 0
; TotalNumVgprs: 0
; ScratchSize: 0
; MemoryBound: 0
; FloatMode: 240
; IeeeMode: 1
; LDSByteSize: 0 bytes/workgroup (compile time only)
; SGPRBlocks: 0
; VGPRBlocks: 0
; NumSGPRsForWavesPerEU: 6
; NumVGPRsForWavesPerEU: 1
; AccumOffset: 4
; Occupancy: 8
; WaveLimiterHint : 0
; COMPUTE_PGM_RSRC2:SCRATCH_EN: 0
; COMPUTE_PGM_RSRC2:USER_SGPR: 2
; COMPUTE_PGM_RSRC2:TRAP_HANDLER: 0
; COMPUTE_PGM_RSRC2:TGID_X_EN: 1
; COMPUTE_PGM_RSRC2:TGID_Y_EN: 0
; COMPUTE_PGM_RSRC2:TGID_Z_EN: 0
; COMPUTE_PGM_RSRC2:TIDIG_COMP_CNT: 0
; COMPUTE_PGM_RSRC3_GFX90A:ACCUM_OFFSET: 0
; COMPUTE_PGM_RSRC3_GFX90A:TG_SPLIT: 0
	.section	.text._ZN7rocprim17ROCPRIM_400000_NS6detail17trampoline_kernelINS0_14default_configENS1_27scan_by_key_config_selectorIiiEEZZNS1_16scan_by_key_implILNS1_25lookback_scan_determinismE0ELb1ES3_N6thrust23THRUST_200600_302600_NS6detail15normal_iteratorINS9_10device_ptrIiEEEESE_SE_iNS9_4plusIiEE19head_flag_predicateiEE10hipError_tPvRmT2_T3_T4_T5_mT6_T7_P12ihipStream_tbENKUlT_T0_E_clISt17integral_constantIbLb1EESY_EEDaST_SU_EUlST_E_NS1_11comp_targetILNS1_3genE3ELNS1_11target_archE908ELNS1_3gpuE7ELNS1_3repE0EEENS1_30default_config_static_selectorELNS0_4arch9wavefront6targetE1EEEvT1_,"axG",@progbits,_ZN7rocprim17ROCPRIM_400000_NS6detail17trampoline_kernelINS0_14default_configENS1_27scan_by_key_config_selectorIiiEEZZNS1_16scan_by_key_implILNS1_25lookback_scan_determinismE0ELb1ES3_N6thrust23THRUST_200600_302600_NS6detail15normal_iteratorINS9_10device_ptrIiEEEESE_SE_iNS9_4plusIiEE19head_flag_predicateiEE10hipError_tPvRmT2_T3_T4_T5_mT6_T7_P12ihipStream_tbENKUlT_T0_E_clISt17integral_constantIbLb1EESY_EEDaST_SU_EUlST_E_NS1_11comp_targetILNS1_3genE3ELNS1_11target_archE908ELNS1_3gpuE7ELNS1_3repE0EEENS1_30default_config_static_selectorELNS0_4arch9wavefront6targetE1EEEvT1_,comdat
	.protected	_ZN7rocprim17ROCPRIM_400000_NS6detail17trampoline_kernelINS0_14default_configENS1_27scan_by_key_config_selectorIiiEEZZNS1_16scan_by_key_implILNS1_25lookback_scan_determinismE0ELb1ES3_N6thrust23THRUST_200600_302600_NS6detail15normal_iteratorINS9_10device_ptrIiEEEESE_SE_iNS9_4plusIiEE19head_flag_predicateiEE10hipError_tPvRmT2_T3_T4_T5_mT6_T7_P12ihipStream_tbENKUlT_T0_E_clISt17integral_constantIbLb1EESY_EEDaST_SU_EUlST_E_NS1_11comp_targetILNS1_3genE3ELNS1_11target_archE908ELNS1_3gpuE7ELNS1_3repE0EEENS1_30default_config_static_selectorELNS0_4arch9wavefront6targetE1EEEvT1_ ; -- Begin function _ZN7rocprim17ROCPRIM_400000_NS6detail17trampoline_kernelINS0_14default_configENS1_27scan_by_key_config_selectorIiiEEZZNS1_16scan_by_key_implILNS1_25lookback_scan_determinismE0ELb1ES3_N6thrust23THRUST_200600_302600_NS6detail15normal_iteratorINS9_10device_ptrIiEEEESE_SE_iNS9_4plusIiEE19head_flag_predicateiEE10hipError_tPvRmT2_T3_T4_T5_mT6_T7_P12ihipStream_tbENKUlT_T0_E_clISt17integral_constantIbLb1EESY_EEDaST_SU_EUlST_E_NS1_11comp_targetILNS1_3genE3ELNS1_11target_archE908ELNS1_3gpuE7ELNS1_3repE0EEENS1_30default_config_static_selectorELNS0_4arch9wavefront6targetE1EEEvT1_
	.globl	_ZN7rocprim17ROCPRIM_400000_NS6detail17trampoline_kernelINS0_14default_configENS1_27scan_by_key_config_selectorIiiEEZZNS1_16scan_by_key_implILNS1_25lookback_scan_determinismE0ELb1ES3_N6thrust23THRUST_200600_302600_NS6detail15normal_iteratorINS9_10device_ptrIiEEEESE_SE_iNS9_4plusIiEE19head_flag_predicateiEE10hipError_tPvRmT2_T3_T4_T5_mT6_T7_P12ihipStream_tbENKUlT_T0_E_clISt17integral_constantIbLb1EESY_EEDaST_SU_EUlST_E_NS1_11comp_targetILNS1_3genE3ELNS1_11target_archE908ELNS1_3gpuE7ELNS1_3repE0EEENS1_30default_config_static_selectorELNS0_4arch9wavefront6targetE1EEEvT1_
	.p2align	8
	.type	_ZN7rocprim17ROCPRIM_400000_NS6detail17trampoline_kernelINS0_14default_configENS1_27scan_by_key_config_selectorIiiEEZZNS1_16scan_by_key_implILNS1_25lookback_scan_determinismE0ELb1ES3_N6thrust23THRUST_200600_302600_NS6detail15normal_iteratorINS9_10device_ptrIiEEEESE_SE_iNS9_4plusIiEE19head_flag_predicateiEE10hipError_tPvRmT2_T3_T4_T5_mT6_T7_P12ihipStream_tbENKUlT_T0_E_clISt17integral_constantIbLb1EESY_EEDaST_SU_EUlST_E_NS1_11comp_targetILNS1_3genE3ELNS1_11target_archE908ELNS1_3gpuE7ELNS1_3repE0EEENS1_30default_config_static_selectorELNS0_4arch9wavefront6targetE1EEEvT1_,@function
_ZN7rocprim17ROCPRIM_400000_NS6detail17trampoline_kernelINS0_14default_configENS1_27scan_by_key_config_selectorIiiEEZZNS1_16scan_by_key_implILNS1_25lookback_scan_determinismE0ELb1ES3_N6thrust23THRUST_200600_302600_NS6detail15normal_iteratorINS9_10device_ptrIiEEEESE_SE_iNS9_4plusIiEE19head_flag_predicateiEE10hipError_tPvRmT2_T3_T4_T5_mT6_T7_P12ihipStream_tbENKUlT_T0_E_clISt17integral_constantIbLb1EESY_EEDaST_SU_EUlST_E_NS1_11comp_targetILNS1_3genE3ELNS1_11target_archE908ELNS1_3gpuE7ELNS1_3repE0EEENS1_30default_config_static_selectorELNS0_4arch9wavefront6targetE1EEEvT1_: ; @_ZN7rocprim17ROCPRIM_400000_NS6detail17trampoline_kernelINS0_14default_configENS1_27scan_by_key_config_selectorIiiEEZZNS1_16scan_by_key_implILNS1_25lookback_scan_determinismE0ELb1ES3_N6thrust23THRUST_200600_302600_NS6detail15normal_iteratorINS9_10device_ptrIiEEEESE_SE_iNS9_4plusIiEE19head_flag_predicateiEE10hipError_tPvRmT2_T3_T4_T5_mT6_T7_P12ihipStream_tbENKUlT_T0_E_clISt17integral_constantIbLb1EESY_EEDaST_SU_EUlST_E_NS1_11comp_targetILNS1_3genE3ELNS1_11target_archE908ELNS1_3gpuE7ELNS1_3repE0EEENS1_30default_config_static_selectorELNS0_4arch9wavefront6targetE1EEEvT1_
; %bb.0:
	.section	.rodata,"a",@progbits
	.p2align	6, 0x0
	.amdhsa_kernel _ZN7rocprim17ROCPRIM_400000_NS6detail17trampoline_kernelINS0_14default_configENS1_27scan_by_key_config_selectorIiiEEZZNS1_16scan_by_key_implILNS1_25lookback_scan_determinismE0ELb1ES3_N6thrust23THRUST_200600_302600_NS6detail15normal_iteratorINS9_10device_ptrIiEEEESE_SE_iNS9_4plusIiEE19head_flag_predicateiEE10hipError_tPvRmT2_T3_T4_T5_mT6_T7_P12ihipStream_tbENKUlT_T0_E_clISt17integral_constantIbLb1EESY_EEDaST_SU_EUlST_E_NS1_11comp_targetILNS1_3genE3ELNS1_11target_archE908ELNS1_3gpuE7ELNS1_3repE0EEENS1_30default_config_static_selectorELNS0_4arch9wavefront6targetE1EEEvT1_
		.amdhsa_group_segment_fixed_size 0
		.amdhsa_private_segment_fixed_size 0
		.amdhsa_kernarg_size 112
		.amdhsa_user_sgpr_count 2
		.amdhsa_user_sgpr_dispatch_ptr 0
		.amdhsa_user_sgpr_queue_ptr 0
		.amdhsa_user_sgpr_kernarg_segment_ptr 1
		.amdhsa_user_sgpr_dispatch_id 0
		.amdhsa_user_sgpr_kernarg_preload_length 0
		.amdhsa_user_sgpr_kernarg_preload_offset 0
		.amdhsa_user_sgpr_private_segment_size 0
		.amdhsa_uses_dynamic_stack 0
		.amdhsa_enable_private_segment 0
		.amdhsa_system_sgpr_workgroup_id_x 1
		.amdhsa_system_sgpr_workgroup_id_y 0
		.amdhsa_system_sgpr_workgroup_id_z 0
		.amdhsa_system_sgpr_workgroup_info 0
		.amdhsa_system_vgpr_workitem_id 0
		.amdhsa_next_free_vgpr 1
		.amdhsa_next_free_sgpr 0
		.amdhsa_accum_offset 4
		.amdhsa_reserve_vcc 0
		.amdhsa_float_round_mode_32 0
		.amdhsa_float_round_mode_16_64 0
		.amdhsa_float_denorm_mode_32 3
		.amdhsa_float_denorm_mode_16_64 3
		.amdhsa_dx10_clamp 1
		.amdhsa_ieee_mode 1
		.amdhsa_fp16_overflow 0
		.amdhsa_tg_split 0
		.amdhsa_exception_fp_ieee_invalid_op 0
		.amdhsa_exception_fp_denorm_src 0
		.amdhsa_exception_fp_ieee_div_zero 0
		.amdhsa_exception_fp_ieee_overflow 0
		.amdhsa_exception_fp_ieee_underflow 0
		.amdhsa_exception_fp_ieee_inexact 0
		.amdhsa_exception_int_div_zero 0
	.end_amdhsa_kernel
	.section	.text._ZN7rocprim17ROCPRIM_400000_NS6detail17trampoline_kernelINS0_14default_configENS1_27scan_by_key_config_selectorIiiEEZZNS1_16scan_by_key_implILNS1_25lookback_scan_determinismE0ELb1ES3_N6thrust23THRUST_200600_302600_NS6detail15normal_iteratorINS9_10device_ptrIiEEEESE_SE_iNS9_4plusIiEE19head_flag_predicateiEE10hipError_tPvRmT2_T3_T4_T5_mT6_T7_P12ihipStream_tbENKUlT_T0_E_clISt17integral_constantIbLb1EESY_EEDaST_SU_EUlST_E_NS1_11comp_targetILNS1_3genE3ELNS1_11target_archE908ELNS1_3gpuE7ELNS1_3repE0EEENS1_30default_config_static_selectorELNS0_4arch9wavefront6targetE1EEEvT1_,"axG",@progbits,_ZN7rocprim17ROCPRIM_400000_NS6detail17trampoline_kernelINS0_14default_configENS1_27scan_by_key_config_selectorIiiEEZZNS1_16scan_by_key_implILNS1_25lookback_scan_determinismE0ELb1ES3_N6thrust23THRUST_200600_302600_NS6detail15normal_iteratorINS9_10device_ptrIiEEEESE_SE_iNS9_4plusIiEE19head_flag_predicateiEE10hipError_tPvRmT2_T3_T4_T5_mT6_T7_P12ihipStream_tbENKUlT_T0_E_clISt17integral_constantIbLb1EESY_EEDaST_SU_EUlST_E_NS1_11comp_targetILNS1_3genE3ELNS1_11target_archE908ELNS1_3gpuE7ELNS1_3repE0EEENS1_30default_config_static_selectorELNS0_4arch9wavefront6targetE1EEEvT1_,comdat
.Lfunc_end798:
	.size	_ZN7rocprim17ROCPRIM_400000_NS6detail17trampoline_kernelINS0_14default_configENS1_27scan_by_key_config_selectorIiiEEZZNS1_16scan_by_key_implILNS1_25lookback_scan_determinismE0ELb1ES3_N6thrust23THRUST_200600_302600_NS6detail15normal_iteratorINS9_10device_ptrIiEEEESE_SE_iNS9_4plusIiEE19head_flag_predicateiEE10hipError_tPvRmT2_T3_T4_T5_mT6_T7_P12ihipStream_tbENKUlT_T0_E_clISt17integral_constantIbLb1EESY_EEDaST_SU_EUlST_E_NS1_11comp_targetILNS1_3genE3ELNS1_11target_archE908ELNS1_3gpuE7ELNS1_3repE0EEENS1_30default_config_static_selectorELNS0_4arch9wavefront6targetE1EEEvT1_, .Lfunc_end798-_ZN7rocprim17ROCPRIM_400000_NS6detail17trampoline_kernelINS0_14default_configENS1_27scan_by_key_config_selectorIiiEEZZNS1_16scan_by_key_implILNS1_25lookback_scan_determinismE0ELb1ES3_N6thrust23THRUST_200600_302600_NS6detail15normal_iteratorINS9_10device_ptrIiEEEESE_SE_iNS9_4plusIiEE19head_flag_predicateiEE10hipError_tPvRmT2_T3_T4_T5_mT6_T7_P12ihipStream_tbENKUlT_T0_E_clISt17integral_constantIbLb1EESY_EEDaST_SU_EUlST_E_NS1_11comp_targetILNS1_3genE3ELNS1_11target_archE908ELNS1_3gpuE7ELNS1_3repE0EEENS1_30default_config_static_selectorELNS0_4arch9wavefront6targetE1EEEvT1_
                                        ; -- End function
	.section	.AMDGPU.csdata,"",@progbits
; Kernel info:
; codeLenInByte = 0
; NumSgprs: 6
; NumVgprs: 0
; NumAgprs: 0
; TotalNumVgprs: 0
; ScratchSize: 0
; MemoryBound: 0
; FloatMode: 240
; IeeeMode: 1
; LDSByteSize: 0 bytes/workgroup (compile time only)
; SGPRBlocks: 0
; VGPRBlocks: 0
; NumSGPRsForWavesPerEU: 6
; NumVGPRsForWavesPerEU: 1
; AccumOffset: 4
; Occupancy: 8
; WaveLimiterHint : 0
; COMPUTE_PGM_RSRC2:SCRATCH_EN: 0
; COMPUTE_PGM_RSRC2:USER_SGPR: 2
; COMPUTE_PGM_RSRC2:TRAP_HANDLER: 0
; COMPUTE_PGM_RSRC2:TGID_X_EN: 1
; COMPUTE_PGM_RSRC2:TGID_Y_EN: 0
; COMPUTE_PGM_RSRC2:TGID_Z_EN: 0
; COMPUTE_PGM_RSRC2:TIDIG_COMP_CNT: 0
; COMPUTE_PGM_RSRC3_GFX90A:ACCUM_OFFSET: 0
; COMPUTE_PGM_RSRC3_GFX90A:TG_SPLIT: 0
	.section	.text._ZN7rocprim17ROCPRIM_400000_NS6detail17trampoline_kernelINS0_14default_configENS1_27scan_by_key_config_selectorIiiEEZZNS1_16scan_by_key_implILNS1_25lookback_scan_determinismE0ELb1ES3_N6thrust23THRUST_200600_302600_NS6detail15normal_iteratorINS9_10device_ptrIiEEEESE_SE_iNS9_4plusIiEE19head_flag_predicateiEE10hipError_tPvRmT2_T3_T4_T5_mT6_T7_P12ihipStream_tbENKUlT_T0_E_clISt17integral_constantIbLb1EESY_EEDaST_SU_EUlST_E_NS1_11comp_targetILNS1_3genE2ELNS1_11target_archE906ELNS1_3gpuE6ELNS1_3repE0EEENS1_30default_config_static_selectorELNS0_4arch9wavefront6targetE1EEEvT1_,"axG",@progbits,_ZN7rocprim17ROCPRIM_400000_NS6detail17trampoline_kernelINS0_14default_configENS1_27scan_by_key_config_selectorIiiEEZZNS1_16scan_by_key_implILNS1_25lookback_scan_determinismE0ELb1ES3_N6thrust23THRUST_200600_302600_NS6detail15normal_iteratorINS9_10device_ptrIiEEEESE_SE_iNS9_4plusIiEE19head_flag_predicateiEE10hipError_tPvRmT2_T3_T4_T5_mT6_T7_P12ihipStream_tbENKUlT_T0_E_clISt17integral_constantIbLb1EESY_EEDaST_SU_EUlST_E_NS1_11comp_targetILNS1_3genE2ELNS1_11target_archE906ELNS1_3gpuE6ELNS1_3repE0EEENS1_30default_config_static_selectorELNS0_4arch9wavefront6targetE1EEEvT1_,comdat
	.protected	_ZN7rocprim17ROCPRIM_400000_NS6detail17trampoline_kernelINS0_14default_configENS1_27scan_by_key_config_selectorIiiEEZZNS1_16scan_by_key_implILNS1_25lookback_scan_determinismE0ELb1ES3_N6thrust23THRUST_200600_302600_NS6detail15normal_iteratorINS9_10device_ptrIiEEEESE_SE_iNS9_4plusIiEE19head_flag_predicateiEE10hipError_tPvRmT2_T3_T4_T5_mT6_T7_P12ihipStream_tbENKUlT_T0_E_clISt17integral_constantIbLb1EESY_EEDaST_SU_EUlST_E_NS1_11comp_targetILNS1_3genE2ELNS1_11target_archE906ELNS1_3gpuE6ELNS1_3repE0EEENS1_30default_config_static_selectorELNS0_4arch9wavefront6targetE1EEEvT1_ ; -- Begin function _ZN7rocprim17ROCPRIM_400000_NS6detail17trampoline_kernelINS0_14default_configENS1_27scan_by_key_config_selectorIiiEEZZNS1_16scan_by_key_implILNS1_25lookback_scan_determinismE0ELb1ES3_N6thrust23THRUST_200600_302600_NS6detail15normal_iteratorINS9_10device_ptrIiEEEESE_SE_iNS9_4plusIiEE19head_flag_predicateiEE10hipError_tPvRmT2_T3_T4_T5_mT6_T7_P12ihipStream_tbENKUlT_T0_E_clISt17integral_constantIbLb1EESY_EEDaST_SU_EUlST_E_NS1_11comp_targetILNS1_3genE2ELNS1_11target_archE906ELNS1_3gpuE6ELNS1_3repE0EEENS1_30default_config_static_selectorELNS0_4arch9wavefront6targetE1EEEvT1_
	.globl	_ZN7rocprim17ROCPRIM_400000_NS6detail17trampoline_kernelINS0_14default_configENS1_27scan_by_key_config_selectorIiiEEZZNS1_16scan_by_key_implILNS1_25lookback_scan_determinismE0ELb1ES3_N6thrust23THRUST_200600_302600_NS6detail15normal_iteratorINS9_10device_ptrIiEEEESE_SE_iNS9_4plusIiEE19head_flag_predicateiEE10hipError_tPvRmT2_T3_T4_T5_mT6_T7_P12ihipStream_tbENKUlT_T0_E_clISt17integral_constantIbLb1EESY_EEDaST_SU_EUlST_E_NS1_11comp_targetILNS1_3genE2ELNS1_11target_archE906ELNS1_3gpuE6ELNS1_3repE0EEENS1_30default_config_static_selectorELNS0_4arch9wavefront6targetE1EEEvT1_
	.p2align	8
	.type	_ZN7rocprim17ROCPRIM_400000_NS6detail17trampoline_kernelINS0_14default_configENS1_27scan_by_key_config_selectorIiiEEZZNS1_16scan_by_key_implILNS1_25lookback_scan_determinismE0ELb1ES3_N6thrust23THRUST_200600_302600_NS6detail15normal_iteratorINS9_10device_ptrIiEEEESE_SE_iNS9_4plusIiEE19head_flag_predicateiEE10hipError_tPvRmT2_T3_T4_T5_mT6_T7_P12ihipStream_tbENKUlT_T0_E_clISt17integral_constantIbLb1EESY_EEDaST_SU_EUlST_E_NS1_11comp_targetILNS1_3genE2ELNS1_11target_archE906ELNS1_3gpuE6ELNS1_3repE0EEENS1_30default_config_static_selectorELNS0_4arch9wavefront6targetE1EEEvT1_,@function
_ZN7rocprim17ROCPRIM_400000_NS6detail17trampoline_kernelINS0_14default_configENS1_27scan_by_key_config_selectorIiiEEZZNS1_16scan_by_key_implILNS1_25lookback_scan_determinismE0ELb1ES3_N6thrust23THRUST_200600_302600_NS6detail15normal_iteratorINS9_10device_ptrIiEEEESE_SE_iNS9_4plusIiEE19head_flag_predicateiEE10hipError_tPvRmT2_T3_T4_T5_mT6_T7_P12ihipStream_tbENKUlT_T0_E_clISt17integral_constantIbLb1EESY_EEDaST_SU_EUlST_E_NS1_11comp_targetILNS1_3genE2ELNS1_11target_archE906ELNS1_3gpuE6ELNS1_3repE0EEENS1_30default_config_static_selectorELNS0_4arch9wavefront6targetE1EEEvT1_: ; @_ZN7rocprim17ROCPRIM_400000_NS6detail17trampoline_kernelINS0_14default_configENS1_27scan_by_key_config_selectorIiiEEZZNS1_16scan_by_key_implILNS1_25lookback_scan_determinismE0ELb1ES3_N6thrust23THRUST_200600_302600_NS6detail15normal_iteratorINS9_10device_ptrIiEEEESE_SE_iNS9_4plusIiEE19head_flag_predicateiEE10hipError_tPvRmT2_T3_T4_T5_mT6_T7_P12ihipStream_tbENKUlT_T0_E_clISt17integral_constantIbLb1EESY_EEDaST_SU_EUlST_E_NS1_11comp_targetILNS1_3genE2ELNS1_11target_archE906ELNS1_3gpuE6ELNS1_3repE0EEENS1_30default_config_static_selectorELNS0_4arch9wavefront6targetE1EEEvT1_
; %bb.0:
	.section	.rodata,"a",@progbits
	.p2align	6, 0x0
	.amdhsa_kernel _ZN7rocprim17ROCPRIM_400000_NS6detail17trampoline_kernelINS0_14default_configENS1_27scan_by_key_config_selectorIiiEEZZNS1_16scan_by_key_implILNS1_25lookback_scan_determinismE0ELb1ES3_N6thrust23THRUST_200600_302600_NS6detail15normal_iteratorINS9_10device_ptrIiEEEESE_SE_iNS9_4plusIiEE19head_flag_predicateiEE10hipError_tPvRmT2_T3_T4_T5_mT6_T7_P12ihipStream_tbENKUlT_T0_E_clISt17integral_constantIbLb1EESY_EEDaST_SU_EUlST_E_NS1_11comp_targetILNS1_3genE2ELNS1_11target_archE906ELNS1_3gpuE6ELNS1_3repE0EEENS1_30default_config_static_selectorELNS0_4arch9wavefront6targetE1EEEvT1_
		.amdhsa_group_segment_fixed_size 0
		.amdhsa_private_segment_fixed_size 0
		.amdhsa_kernarg_size 112
		.amdhsa_user_sgpr_count 2
		.amdhsa_user_sgpr_dispatch_ptr 0
		.amdhsa_user_sgpr_queue_ptr 0
		.amdhsa_user_sgpr_kernarg_segment_ptr 1
		.amdhsa_user_sgpr_dispatch_id 0
		.amdhsa_user_sgpr_kernarg_preload_length 0
		.amdhsa_user_sgpr_kernarg_preload_offset 0
		.amdhsa_user_sgpr_private_segment_size 0
		.amdhsa_uses_dynamic_stack 0
		.amdhsa_enable_private_segment 0
		.amdhsa_system_sgpr_workgroup_id_x 1
		.amdhsa_system_sgpr_workgroup_id_y 0
		.amdhsa_system_sgpr_workgroup_id_z 0
		.amdhsa_system_sgpr_workgroup_info 0
		.amdhsa_system_vgpr_workitem_id 0
		.amdhsa_next_free_vgpr 1
		.amdhsa_next_free_sgpr 0
		.amdhsa_accum_offset 4
		.amdhsa_reserve_vcc 0
		.amdhsa_float_round_mode_32 0
		.amdhsa_float_round_mode_16_64 0
		.amdhsa_float_denorm_mode_32 3
		.amdhsa_float_denorm_mode_16_64 3
		.amdhsa_dx10_clamp 1
		.amdhsa_ieee_mode 1
		.amdhsa_fp16_overflow 0
		.amdhsa_tg_split 0
		.amdhsa_exception_fp_ieee_invalid_op 0
		.amdhsa_exception_fp_denorm_src 0
		.amdhsa_exception_fp_ieee_div_zero 0
		.amdhsa_exception_fp_ieee_overflow 0
		.amdhsa_exception_fp_ieee_underflow 0
		.amdhsa_exception_fp_ieee_inexact 0
		.amdhsa_exception_int_div_zero 0
	.end_amdhsa_kernel
	.section	.text._ZN7rocprim17ROCPRIM_400000_NS6detail17trampoline_kernelINS0_14default_configENS1_27scan_by_key_config_selectorIiiEEZZNS1_16scan_by_key_implILNS1_25lookback_scan_determinismE0ELb1ES3_N6thrust23THRUST_200600_302600_NS6detail15normal_iteratorINS9_10device_ptrIiEEEESE_SE_iNS9_4plusIiEE19head_flag_predicateiEE10hipError_tPvRmT2_T3_T4_T5_mT6_T7_P12ihipStream_tbENKUlT_T0_E_clISt17integral_constantIbLb1EESY_EEDaST_SU_EUlST_E_NS1_11comp_targetILNS1_3genE2ELNS1_11target_archE906ELNS1_3gpuE6ELNS1_3repE0EEENS1_30default_config_static_selectorELNS0_4arch9wavefront6targetE1EEEvT1_,"axG",@progbits,_ZN7rocprim17ROCPRIM_400000_NS6detail17trampoline_kernelINS0_14default_configENS1_27scan_by_key_config_selectorIiiEEZZNS1_16scan_by_key_implILNS1_25lookback_scan_determinismE0ELb1ES3_N6thrust23THRUST_200600_302600_NS6detail15normal_iteratorINS9_10device_ptrIiEEEESE_SE_iNS9_4plusIiEE19head_flag_predicateiEE10hipError_tPvRmT2_T3_T4_T5_mT6_T7_P12ihipStream_tbENKUlT_T0_E_clISt17integral_constantIbLb1EESY_EEDaST_SU_EUlST_E_NS1_11comp_targetILNS1_3genE2ELNS1_11target_archE906ELNS1_3gpuE6ELNS1_3repE0EEENS1_30default_config_static_selectorELNS0_4arch9wavefront6targetE1EEEvT1_,comdat
.Lfunc_end799:
	.size	_ZN7rocprim17ROCPRIM_400000_NS6detail17trampoline_kernelINS0_14default_configENS1_27scan_by_key_config_selectorIiiEEZZNS1_16scan_by_key_implILNS1_25lookback_scan_determinismE0ELb1ES3_N6thrust23THRUST_200600_302600_NS6detail15normal_iteratorINS9_10device_ptrIiEEEESE_SE_iNS9_4plusIiEE19head_flag_predicateiEE10hipError_tPvRmT2_T3_T4_T5_mT6_T7_P12ihipStream_tbENKUlT_T0_E_clISt17integral_constantIbLb1EESY_EEDaST_SU_EUlST_E_NS1_11comp_targetILNS1_3genE2ELNS1_11target_archE906ELNS1_3gpuE6ELNS1_3repE0EEENS1_30default_config_static_selectorELNS0_4arch9wavefront6targetE1EEEvT1_, .Lfunc_end799-_ZN7rocprim17ROCPRIM_400000_NS6detail17trampoline_kernelINS0_14default_configENS1_27scan_by_key_config_selectorIiiEEZZNS1_16scan_by_key_implILNS1_25lookback_scan_determinismE0ELb1ES3_N6thrust23THRUST_200600_302600_NS6detail15normal_iteratorINS9_10device_ptrIiEEEESE_SE_iNS9_4plusIiEE19head_flag_predicateiEE10hipError_tPvRmT2_T3_T4_T5_mT6_T7_P12ihipStream_tbENKUlT_T0_E_clISt17integral_constantIbLb1EESY_EEDaST_SU_EUlST_E_NS1_11comp_targetILNS1_3genE2ELNS1_11target_archE906ELNS1_3gpuE6ELNS1_3repE0EEENS1_30default_config_static_selectorELNS0_4arch9wavefront6targetE1EEEvT1_
                                        ; -- End function
	.section	.AMDGPU.csdata,"",@progbits
; Kernel info:
; codeLenInByte = 0
; NumSgprs: 6
; NumVgprs: 0
; NumAgprs: 0
; TotalNumVgprs: 0
; ScratchSize: 0
; MemoryBound: 0
; FloatMode: 240
; IeeeMode: 1
; LDSByteSize: 0 bytes/workgroup (compile time only)
; SGPRBlocks: 0
; VGPRBlocks: 0
; NumSGPRsForWavesPerEU: 6
; NumVGPRsForWavesPerEU: 1
; AccumOffset: 4
; Occupancy: 8
; WaveLimiterHint : 0
; COMPUTE_PGM_RSRC2:SCRATCH_EN: 0
; COMPUTE_PGM_RSRC2:USER_SGPR: 2
; COMPUTE_PGM_RSRC2:TRAP_HANDLER: 0
; COMPUTE_PGM_RSRC2:TGID_X_EN: 1
; COMPUTE_PGM_RSRC2:TGID_Y_EN: 0
; COMPUTE_PGM_RSRC2:TGID_Z_EN: 0
; COMPUTE_PGM_RSRC2:TIDIG_COMP_CNT: 0
; COMPUTE_PGM_RSRC3_GFX90A:ACCUM_OFFSET: 0
; COMPUTE_PGM_RSRC3_GFX90A:TG_SPLIT: 0
	.section	.text._ZN7rocprim17ROCPRIM_400000_NS6detail17trampoline_kernelINS0_14default_configENS1_27scan_by_key_config_selectorIiiEEZZNS1_16scan_by_key_implILNS1_25lookback_scan_determinismE0ELb1ES3_N6thrust23THRUST_200600_302600_NS6detail15normal_iteratorINS9_10device_ptrIiEEEESE_SE_iNS9_4plusIiEE19head_flag_predicateiEE10hipError_tPvRmT2_T3_T4_T5_mT6_T7_P12ihipStream_tbENKUlT_T0_E_clISt17integral_constantIbLb1EESY_EEDaST_SU_EUlST_E_NS1_11comp_targetILNS1_3genE10ELNS1_11target_archE1200ELNS1_3gpuE4ELNS1_3repE0EEENS1_30default_config_static_selectorELNS0_4arch9wavefront6targetE1EEEvT1_,"axG",@progbits,_ZN7rocprim17ROCPRIM_400000_NS6detail17trampoline_kernelINS0_14default_configENS1_27scan_by_key_config_selectorIiiEEZZNS1_16scan_by_key_implILNS1_25lookback_scan_determinismE0ELb1ES3_N6thrust23THRUST_200600_302600_NS6detail15normal_iteratorINS9_10device_ptrIiEEEESE_SE_iNS9_4plusIiEE19head_flag_predicateiEE10hipError_tPvRmT2_T3_T4_T5_mT6_T7_P12ihipStream_tbENKUlT_T0_E_clISt17integral_constantIbLb1EESY_EEDaST_SU_EUlST_E_NS1_11comp_targetILNS1_3genE10ELNS1_11target_archE1200ELNS1_3gpuE4ELNS1_3repE0EEENS1_30default_config_static_selectorELNS0_4arch9wavefront6targetE1EEEvT1_,comdat
	.protected	_ZN7rocprim17ROCPRIM_400000_NS6detail17trampoline_kernelINS0_14default_configENS1_27scan_by_key_config_selectorIiiEEZZNS1_16scan_by_key_implILNS1_25lookback_scan_determinismE0ELb1ES3_N6thrust23THRUST_200600_302600_NS6detail15normal_iteratorINS9_10device_ptrIiEEEESE_SE_iNS9_4plusIiEE19head_flag_predicateiEE10hipError_tPvRmT2_T3_T4_T5_mT6_T7_P12ihipStream_tbENKUlT_T0_E_clISt17integral_constantIbLb1EESY_EEDaST_SU_EUlST_E_NS1_11comp_targetILNS1_3genE10ELNS1_11target_archE1200ELNS1_3gpuE4ELNS1_3repE0EEENS1_30default_config_static_selectorELNS0_4arch9wavefront6targetE1EEEvT1_ ; -- Begin function _ZN7rocprim17ROCPRIM_400000_NS6detail17trampoline_kernelINS0_14default_configENS1_27scan_by_key_config_selectorIiiEEZZNS1_16scan_by_key_implILNS1_25lookback_scan_determinismE0ELb1ES3_N6thrust23THRUST_200600_302600_NS6detail15normal_iteratorINS9_10device_ptrIiEEEESE_SE_iNS9_4plusIiEE19head_flag_predicateiEE10hipError_tPvRmT2_T3_T4_T5_mT6_T7_P12ihipStream_tbENKUlT_T0_E_clISt17integral_constantIbLb1EESY_EEDaST_SU_EUlST_E_NS1_11comp_targetILNS1_3genE10ELNS1_11target_archE1200ELNS1_3gpuE4ELNS1_3repE0EEENS1_30default_config_static_selectorELNS0_4arch9wavefront6targetE1EEEvT1_
	.globl	_ZN7rocprim17ROCPRIM_400000_NS6detail17trampoline_kernelINS0_14default_configENS1_27scan_by_key_config_selectorIiiEEZZNS1_16scan_by_key_implILNS1_25lookback_scan_determinismE0ELb1ES3_N6thrust23THRUST_200600_302600_NS6detail15normal_iteratorINS9_10device_ptrIiEEEESE_SE_iNS9_4plusIiEE19head_flag_predicateiEE10hipError_tPvRmT2_T3_T4_T5_mT6_T7_P12ihipStream_tbENKUlT_T0_E_clISt17integral_constantIbLb1EESY_EEDaST_SU_EUlST_E_NS1_11comp_targetILNS1_3genE10ELNS1_11target_archE1200ELNS1_3gpuE4ELNS1_3repE0EEENS1_30default_config_static_selectorELNS0_4arch9wavefront6targetE1EEEvT1_
	.p2align	8
	.type	_ZN7rocprim17ROCPRIM_400000_NS6detail17trampoline_kernelINS0_14default_configENS1_27scan_by_key_config_selectorIiiEEZZNS1_16scan_by_key_implILNS1_25lookback_scan_determinismE0ELb1ES3_N6thrust23THRUST_200600_302600_NS6detail15normal_iteratorINS9_10device_ptrIiEEEESE_SE_iNS9_4plusIiEE19head_flag_predicateiEE10hipError_tPvRmT2_T3_T4_T5_mT6_T7_P12ihipStream_tbENKUlT_T0_E_clISt17integral_constantIbLb1EESY_EEDaST_SU_EUlST_E_NS1_11comp_targetILNS1_3genE10ELNS1_11target_archE1200ELNS1_3gpuE4ELNS1_3repE0EEENS1_30default_config_static_selectorELNS0_4arch9wavefront6targetE1EEEvT1_,@function
_ZN7rocprim17ROCPRIM_400000_NS6detail17trampoline_kernelINS0_14default_configENS1_27scan_by_key_config_selectorIiiEEZZNS1_16scan_by_key_implILNS1_25lookback_scan_determinismE0ELb1ES3_N6thrust23THRUST_200600_302600_NS6detail15normal_iteratorINS9_10device_ptrIiEEEESE_SE_iNS9_4plusIiEE19head_flag_predicateiEE10hipError_tPvRmT2_T3_T4_T5_mT6_T7_P12ihipStream_tbENKUlT_T0_E_clISt17integral_constantIbLb1EESY_EEDaST_SU_EUlST_E_NS1_11comp_targetILNS1_3genE10ELNS1_11target_archE1200ELNS1_3gpuE4ELNS1_3repE0EEENS1_30default_config_static_selectorELNS0_4arch9wavefront6targetE1EEEvT1_: ; @_ZN7rocprim17ROCPRIM_400000_NS6detail17trampoline_kernelINS0_14default_configENS1_27scan_by_key_config_selectorIiiEEZZNS1_16scan_by_key_implILNS1_25lookback_scan_determinismE0ELb1ES3_N6thrust23THRUST_200600_302600_NS6detail15normal_iteratorINS9_10device_ptrIiEEEESE_SE_iNS9_4plusIiEE19head_flag_predicateiEE10hipError_tPvRmT2_T3_T4_T5_mT6_T7_P12ihipStream_tbENKUlT_T0_E_clISt17integral_constantIbLb1EESY_EEDaST_SU_EUlST_E_NS1_11comp_targetILNS1_3genE10ELNS1_11target_archE1200ELNS1_3gpuE4ELNS1_3repE0EEENS1_30default_config_static_selectorELNS0_4arch9wavefront6targetE1EEEvT1_
; %bb.0:
	.section	.rodata,"a",@progbits
	.p2align	6, 0x0
	.amdhsa_kernel _ZN7rocprim17ROCPRIM_400000_NS6detail17trampoline_kernelINS0_14default_configENS1_27scan_by_key_config_selectorIiiEEZZNS1_16scan_by_key_implILNS1_25lookback_scan_determinismE0ELb1ES3_N6thrust23THRUST_200600_302600_NS6detail15normal_iteratorINS9_10device_ptrIiEEEESE_SE_iNS9_4plusIiEE19head_flag_predicateiEE10hipError_tPvRmT2_T3_T4_T5_mT6_T7_P12ihipStream_tbENKUlT_T0_E_clISt17integral_constantIbLb1EESY_EEDaST_SU_EUlST_E_NS1_11comp_targetILNS1_3genE10ELNS1_11target_archE1200ELNS1_3gpuE4ELNS1_3repE0EEENS1_30default_config_static_selectorELNS0_4arch9wavefront6targetE1EEEvT1_
		.amdhsa_group_segment_fixed_size 0
		.amdhsa_private_segment_fixed_size 0
		.amdhsa_kernarg_size 112
		.amdhsa_user_sgpr_count 2
		.amdhsa_user_sgpr_dispatch_ptr 0
		.amdhsa_user_sgpr_queue_ptr 0
		.amdhsa_user_sgpr_kernarg_segment_ptr 1
		.amdhsa_user_sgpr_dispatch_id 0
		.amdhsa_user_sgpr_kernarg_preload_length 0
		.amdhsa_user_sgpr_kernarg_preload_offset 0
		.amdhsa_user_sgpr_private_segment_size 0
		.amdhsa_uses_dynamic_stack 0
		.amdhsa_enable_private_segment 0
		.amdhsa_system_sgpr_workgroup_id_x 1
		.amdhsa_system_sgpr_workgroup_id_y 0
		.amdhsa_system_sgpr_workgroup_id_z 0
		.amdhsa_system_sgpr_workgroup_info 0
		.amdhsa_system_vgpr_workitem_id 0
		.amdhsa_next_free_vgpr 1
		.amdhsa_next_free_sgpr 0
		.amdhsa_accum_offset 4
		.amdhsa_reserve_vcc 0
		.amdhsa_float_round_mode_32 0
		.amdhsa_float_round_mode_16_64 0
		.amdhsa_float_denorm_mode_32 3
		.amdhsa_float_denorm_mode_16_64 3
		.amdhsa_dx10_clamp 1
		.amdhsa_ieee_mode 1
		.amdhsa_fp16_overflow 0
		.amdhsa_tg_split 0
		.amdhsa_exception_fp_ieee_invalid_op 0
		.amdhsa_exception_fp_denorm_src 0
		.amdhsa_exception_fp_ieee_div_zero 0
		.amdhsa_exception_fp_ieee_overflow 0
		.amdhsa_exception_fp_ieee_underflow 0
		.amdhsa_exception_fp_ieee_inexact 0
		.amdhsa_exception_int_div_zero 0
	.end_amdhsa_kernel
	.section	.text._ZN7rocprim17ROCPRIM_400000_NS6detail17trampoline_kernelINS0_14default_configENS1_27scan_by_key_config_selectorIiiEEZZNS1_16scan_by_key_implILNS1_25lookback_scan_determinismE0ELb1ES3_N6thrust23THRUST_200600_302600_NS6detail15normal_iteratorINS9_10device_ptrIiEEEESE_SE_iNS9_4plusIiEE19head_flag_predicateiEE10hipError_tPvRmT2_T3_T4_T5_mT6_T7_P12ihipStream_tbENKUlT_T0_E_clISt17integral_constantIbLb1EESY_EEDaST_SU_EUlST_E_NS1_11comp_targetILNS1_3genE10ELNS1_11target_archE1200ELNS1_3gpuE4ELNS1_3repE0EEENS1_30default_config_static_selectorELNS0_4arch9wavefront6targetE1EEEvT1_,"axG",@progbits,_ZN7rocprim17ROCPRIM_400000_NS6detail17trampoline_kernelINS0_14default_configENS1_27scan_by_key_config_selectorIiiEEZZNS1_16scan_by_key_implILNS1_25lookback_scan_determinismE0ELb1ES3_N6thrust23THRUST_200600_302600_NS6detail15normal_iteratorINS9_10device_ptrIiEEEESE_SE_iNS9_4plusIiEE19head_flag_predicateiEE10hipError_tPvRmT2_T3_T4_T5_mT6_T7_P12ihipStream_tbENKUlT_T0_E_clISt17integral_constantIbLb1EESY_EEDaST_SU_EUlST_E_NS1_11comp_targetILNS1_3genE10ELNS1_11target_archE1200ELNS1_3gpuE4ELNS1_3repE0EEENS1_30default_config_static_selectorELNS0_4arch9wavefront6targetE1EEEvT1_,comdat
.Lfunc_end800:
	.size	_ZN7rocprim17ROCPRIM_400000_NS6detail17trampoline_kernelINS0_14default_configENS1_27scan_by_key_config_selectorIiiEEZZNS1_16scan_by_key_implILNS1_25lookback_scan_determinismE0ELb1ES3_N6thrust23THRUST_200600_302600_NS6detail15normal_iteratorINS9_10device_ptrIiEEEESE_SE_iNS9_4plusIiEE19head_flag_predicateiEE10hipError_tPvRmT2_T3_T4_T5_mT6_T7_P12ihipStream_tbENKUlT_T0_E_clISt17integral_constantIbLb1EESY_EEDaST_SU_EUlST_E_NS1_11comp_targetILNS1_3genE10ELNS1_11target_archE1200ELNS1_3gpuE4ELNS1_3repE0EEENS1_30default_config_static_selectorELNS0_4arch9wavefront6targetE1EEEvT1_, .Lfunc_end800-_ZN7rocprim17ROCPRIM_400000_NS6detail17trampoline_kernelINS0_14default_configENS1_27scan_by_key_config_selectorIiiEEZZNS1_16scan_by_key_implILNS1_25lookback_scan_determinismE0ELb1ES3_N6thrust23THRUST_200600_302600_NS6detail15normal_iteratorINS9_10device_ptrIiEEEESE_SE_iNS9_4plusIiEE19head_flag_predicateiEE10hipError_tPvRmT2_T3_T4_T5_mT6_T7_P12ihipStream_tbENKUlT_T0_E_clISt17integral_constantIbLb1EESY_EEDaST_SU_EUlST_E_NS1_11comp_targetILNS1_3genE10ELNS1_11target_archE1200ELNS1_3gpuE4ELNS1_3repE0EEENS1_30default_config_static_selectorELNS0_4arch9wavefront6targetE1EEEvT1_
                                        ; -- End function
	.section	.AMDGPU.csdata,"",@progbits
; Kernel info:
; codeLenInByte = 0
; NumSgprs: 6
; NumVgprs: 0
; NumAgprs: 0
; TotalNumVgprs: 0
; ScratchSize: 0
; MemoryBound: 0
; FloatMode: 240
; IeeeMode: 1
; LDSByteSize: 0 bytes/workgroup (compile time only)
; SGPRBlocks: 0
; VGPRBlocks: 0
; NumSGPRsForWavesPerEU: 6
; NumVGPRsForWavesPerEU: 1
; AccumOffset: 4
; Occupancy: 8
; WaveLimiterHint : 0
; COMPUTE_PGM_RSRC2:SCRATCH_EN: 0
; COMPUTE_PGM_RSRC2:USER_SGPR: 2
; COMPUTE_PGM_RSRC2:TRAP_HANDLER: 0
; COMPUTE_PGM_RSRC2:TGID_X_EN: 1
; COMPUTE_PGM_RSRC2:TGID_Y_EN: 0
; COMPUTE_PGM_RSRC2:TGID_Z_EN: 0
; COMPUTE_PGM_RSRC2:TIDIG_COMP_CNT: 0
; COMPUTE_PGM_RSRC3_GFX90A:ACCUM_OFFSET: 0
; COMPUTE_PGM_RSRC3_GFX90A:TG_SPLIT: 0
	.section	.text._ZN7rocprim17ROCPRIM_400000_NS6detail17trampoline_kernelINS0_14default_configENS1_27scan_by_key_config_selectorIiiEEZZNS1_16scan_by_key_implILNS1_25lookback_scan_determinismE0ELb1ES3_N6thrust23THRUST_200600_302600_NS6detail15normal_iteratorINS9_10device_ptrIiEEEESE_SE_iNS9_4plusIiEE19head_flag_predicateiEE10hipError_tPvRmT2_T3_T4_T5_mT6_T7_P12ihipStream_tbENKUlT_T0_E_clISt17integral_constantIbLb1EESY_EEDaST_SU_EUlST_E_NS1_11comp_targetILNS1_3genE9ELNS1_11target_archE1100ELNS1_3gpuE3ELNS1_3repE0EEENS1_30default_config_static_selectorELNS0_4arch9wavefront6targetE1EEEvT1_,"axG",@progbits,_ZN7rocprim17ROCPRIM_400000_NS6detail17trampoline_kernelINS0_14default_configENS1_27scan_by_key_config_selectorIiiEEZZNS1_16scan_by_key_implILNS1_25lookback_scan_determinismE0ELb1ES3_N6thrust23THRUST_200600_302600_NS6detail15normal_iteratorINS9_10device_ptrIiEEEESE_SE_iNS9_4plusIiEE19head_flag_predicateiEE10hipError_tPvRmT2_T3_T4_T5_mT6_T7_P12ihipStream_tbENKUlT_T0_E_clISt17integral_constantIbLb1EESY_EEDaST_SU_EUlST_E_NS1_11comp_targetILNS1_3genE9ELNS1_11target_archE1100ELNS1_3gpuE3ELNS1_3repE0EEENS1_30default_config_static_selectorELNS0_4arch9wavefront6targetE1EEEvT1_,comdat
	.protected	_ZN7rocprim17ROCPRIM_400000_NS6detail17trampoline_kernelINS0_14default_configENS1_27scan_by_key_config_selectorIiiEEZZNS1_16scan_by_key_implILNS1_25lookback_scan_determinismE0ELb1ES3_N6thrust23THRUST_200600_302600_NS6detail15normal_iteratorINS9_10device_ptrIiEEEESE_SE_iNS9_4plusIiEE19head_flag_predicateiEE10hipError_tPvRmT2_T3_T4_T5_mT6_T7_P12ihipStream_tbENKUlT_T0_E_clISt17integral_constantIbLb1EESY_EEDaST_SU_EUlST_E_NS1_11comp_targetILNS1_3genE9ELNS1_11target_archE1100ELNS1_3gpuE3ELNS1_3repE0EEENS1_30default_config_static_selectorELNS0_4arch9wavefront6targetE1EEEvT1_ ; -- Begin function _ZN7rocprim17ROCPRIM_400000_NS6detail17trampoline_kernelINS0_14default_configENS1_27scan_by_key_config_selectorIiiEEZZNS1_16scan_by_key_implILNS1_25lookback_scan_determinismE0ELb1ES3_N6thrust23THRUST_200600_302600_NS6detail15normal_iteratorINS9_10device_ptrIiEEEESE_SE_iNS9_4plusIiEE19head_flag_predicateiEE10hipError_tPvRmT2_T3_T4_T5_mT6_T7_P12ihipStream_tbENKUlT_T0_E_clISt17integral_constantIbLb1EESY_EEDaST_SU_EUlST_E_NS1_11comp_targetILNS1_3genE9ELNS1_11target_archE1100ELNS1_3gpuE3ELNS1_3repE0EEENS1_30default_config_static_selectorELNS0_4arch9wavefront6targetE1EEEvT1_
	.globl	_ZN7rocprim17ROCPRIM_400000_NS6detail17trampoline_kernelINS0_14default_configENS1_27scan_by_key_config_selectorIiiEEZZNS1_16scan_by_key_implILNS1_25lookback_scan_determinismE0ELb1ES3_N6thrust23THRUST_200600_302600_NS6detail15normal_iteratorINS9_10device_ptrIiEEEESE_SE_iNS9_4plusIiEE19head_flag_predicateiEE10hipError_tPvRmT2_T3_T4_T5_mT6_T7_P12ihipStream_tbENKUlT_T0_E_clISt17integral_constantIbLb1EESY_EEDaST_SU_EUlST_E_NS1_11comp_targetILNS1_3genE9ELNS1_11target_archE1100ELNS1_3gpuE3ELNS1_3repE0EEENS1_30default_config_static_selectorELNS0_4arch9wavefront6targetE1EEEvT1_
	.p2align	8
	.type	_ZN7rocprim17ROCPRIM_400000_NS6detail17trampoline_kernelINS0_14default_configENS1_27scan_by_key_config_selectorIiiEEZZNS1_16scan_by_key_implILNS1_25lookback_scan_determinismE0ELb1ES3_N6thrust23THRUST_200600_302600_NS6detail15normal_iteratorINS9_10device_ptrIiEEEESE_SE_iNS9_4plusIiEE19head_flag_predicateiEE10hipError_tPvRmT2_T3_T4_T5_mT6_T7_P12ihipStream_tbENKUlT_T0_E_clISt17integral_constantIbLb1EESY_EEDaST_SU_EUlST_E_NS1_11comp_targetILNS1_3genE9ELNS1_11target_archE1100ELNS1_3gpuE3ELNS1_3repE0EEENS1_30default_config_static_selectorELNS0_4arch9wavefront6targetE1EEEvT1_,@function
_ZN7rocprim17ROCPRIM_400000_NS6detail17trampoline_kernelINS0_14default_configENS1_27scan_by_key_config_selectorIiiEEZZNS1_16scan_by_key_implILNS1_25lookback_scan_determinismE0ELb1ES3_N6thrust23THRUST_200600_302600_NS6detail15normal_iteratorINS9_10device_ptrIiEEEESE_SE_iNS9_4plusIiEE19head_flag_predicateiEE10hipError_tPvRmT2_T3_T4_T5_mT6_T7_P12ihipStream_tbENKUlT_T0_E_clISt17integral_constantIbLb1EESY_EEDaST_SU_EUlST_E_NS1_11comp_targetILNS1_3genE9ELNS1_11target_archE1100ELNS1_3gpuE3ELNS1_3repE0EEENS1_30default_config_static_selectorELNS0_4arch9wavefront6targetE1EEEvT1_: ; @_ZN7rocprim17ROCPRIM_400000_NS6detail17trampoline_kernelINS0_14default_configENS1_27scan_by_key_config_selectorIiiEEZZNS1_16scan_by_key_implILNS1_25lookback_scan_determinismE0ELb1ES3_N6thrust23THRUST_200600_302600_NS6detail15normal_iteratorINS9_10device_ptrIiEEEESE_SE_iNS9_4plusIiEE19head_flag_predicateiEE10hipError_tPvRmT2_T3_T4_T5_mT6_T7_P12ihipStream_tbENKUlT_T0_E_clISt17integral_constantIbLb1EESY_EEDaST_SU_EUlST_E_NS1_11comp_targetILNS1_3genE9ELNS1_11target_archE1100ELNS1_3gpuE3ELNS1_3repE0EEENS1_30default_config_static_selectorELNS0_4arch9wavefront6targetE1EEEvT1_
; %bb.0:
	.section	.rodata,"a",@progbits
	.p2align	6, 0x0
	.amdhsa_kernel _ZN7rocprim17ROCPRIM_400000_NS6detail17trampoline_kernelINS0_14default_configENS1_27scan_by_key_config_selectorIiiEEZZNS1_16scan_by_key_implILNS1_25lookback_scan_determinismE0ELb1ES3_N6thrust23THRUST_200600_302600_NS6detail15normal_iteratorINS9_10device_ptrIiEEEESE_SE_iNS9_4plusIiEE19head_flag_predicateiEE10hipError_tPvRmT2_T3_T4_T5_mT6_T7_P12ihipStream_tbENKUlT_T0_E_clISt17integral_constantIbLb1EESY_EEDaST_SU_EUlST_E_NS1_11comp_targetILNS1_3genE9ELNS1_11target_archE1100ELNS1_3gpuE3ELNS1_3repE0EEENS1_30default_config_static_selectorELNS0_4arch9wavefront6targetE1EEEvT1_
		.amdhsa_group_segment_fixed_size 0
		.amdhsa_private_segment_fixed_size 0
		.amdhsa_kernarg_size 112
		.amdhsa_user_sgpr_count 2
		.amdhsa_user_sgpr_dispatch_ptr 0
		.amdhsa_user_sgpr_queue_ptr 0
		.amdhsa_user_sgpr_kernarg_segment_ptr 1
		.amdhsa_user_sgpr_dispatch_id 0
		.amdhsa_user_sgpr_kernarg_preload_length 0
		.amdhsa_user_sgpr_kernarg_preload_offset 0
		.amdhsa_user_sgpr_private_segment_size 0
		.amdhsa_uses_dynamic_stack 0
		.amdhsa_enable_private_segment 0
		.amdhsa_system_sgpr_workgroup_id_x 1
		.amdhsa_system_sgpr_workgroup_id_y 0
		.amdhsa_system_sgpr_workgroup_id_z 0
		.amdhsa_system_sgpr_workgroup_info 0
		.amdhsa_system_vgpr_workitem_id 0
		.amdhsa_next_free_vgpr 1
		.amdhsa_next_free_sgpr 0
		.amdhsa_accum_offset 4
		.amdhsa_reserve_vcc 0
		.amdhsa_float_round_mode_32 0
		.amdhsa_float_round_mode_16_64 0
		.amdhsa_float_denorm_mode_32 3
		.amdhsa_float_denorm_mode_16_64 3
		.amdhsa_dx10_clamp 1
		.amdhsa_ieee_mode 1
		.amdhsa_fp16_overflow 0
		.amdhsa_tg_split 0
		.amdhsa_exception_fp_ieee_invalid_op 0
		.amdhsa_exception_fp_denorm_src 0
		.amdhsa_exception_fp_ieee_div_zero 0
		.amdhsa_exception_fp_ieee_overflow 0
		.amdhsa_exception_fp_ieee_underflow 0
		.amdhsa_exception_fp_ieee_inexact 0
		.amdhsa_exception_int_div_zero 0
	.end_amdhsa_kernel
	.section	.text._ZN7rocprim17ROCPRIM_400000_NS6detail17trampoline_kernelINS0_14default_configENS1_27scan_by_key_config_selectorIiiEEZZNS1_16scan_by_key_implILNS1_25lookback_scan_determinismE0ELb1ES3_N6thrust23THRUST_200600_302600_NS6detail15normal_iteratorINS9_10device_ptrIiEEEESE_SE_iNS9_4plusIiEE19head_flag_predicateiEE10hipError_tPvRmT2_T3_T4_T5_mT6_T7_P12ihipStream_tbENKUlT_T0_E_clISt17integral_constantIbLb1EESY_EEDaST_SU_EUlST_E_NS1_11comp_targetILNS1_3genE9ELNS1_11target_archE1100ELNS1_3gpuE3ELNS1_3repE0EEENS1_30default_config_static_selectorELNS0_4arch9wavefront6targetE1EEEvT1_,"axG",@progbits,_ZN7rocprim17ROCPRIM_400000_NS6detail17trampoline_kernelINS0_14default_configENS1_27scan_by_key_config_selectorIiiEEZZNS1_16scan_by_key_implILNS1_25lookback_scan_determinismE0ELb1ES3_N6thrust23THRUST_200600_302600_NS6detail15normal_iteratorINS9_10device_ptrIiEEEESE_SE_iNS9_4plusIiEE19head_flag_predicateiEE10hipError_tPvRmT2_T3_T4_T5_mT6_T7_P12ihipStream_tbENKUlT_T0_E_clISt17integral_constantIbLb1EESY_EEDaST_SU_EUlST_E_NS1_11comp_targetILNS1_3genE9ELNS1_11target_archE1100ELNS1_3gpuE3ELNS1_3repE0EEENS1_30default_config_static_selectorELNS0_4arch9wavefront6targetE1EEEvT1_,comdat
.Lfunc_end801:
	.size	_ZN7rocprim17ROCPRIM_400000_NS6detail17trampoline_kernelINS0_14default_configENS1_27scan_by_key_config_selectorIiiEEZZNS1_16scan_by_key_implILNS1_25lookback_scan_determinismE0ELb1ES3_N6thrust23THRUST_200600_302600_NS6detail15normal_iteratorINS9_10device_ptrIiEEEESE_SE_iNS9_4plusIiEE19head_flag_predicateiEE10hipError_tPvRmT2_T3_T4_T5_mT6_T7_P12ihipStream_tbENKUlT_T0_E_clISt17integral_constantIbLb1EESY_EEDaST_SU_EUlST_E_NS1_11comp_targetILNS1_3genE9ELNS1_11target_archE1100ELNS1_3gpuE3ELNS1_3repE0EEENS1_30default_config_static_selectorELNS0_4arch9wavefront6targetE1EEEvT1_, .Lfunc_end801-_ZN7rocprim17ROCPRIM_400000_NS6detail17trampoline_kernelINS0_14default_configENS1_27scan_by_key_config_selectorIiiEEZZNS1_16scan_by_key_implILNS1_25lookback_scan_determinismE0ELb1ES3_N6thrust23THRUST_200600_302600_NS6detail15normal_iteratorINS9_10device_ptrIiEEEESE_SE_iNS9_4plusIiEE19head_flag_predicateiEE10hipError_tPvRmT2_T3_T4_T5_mT6_T7_P12ihipStream_tbENKUlT_T0_E_clISt17integral_constantIbLb1EESY_EEDaST_SU_EUlST_E_NS1_11comp_targetILNS1_3genE9ELNS1_11target_archE1100ELNS1_3gpuE3ELNS1_3repE0EEENS1_30default_config_static_selectorELNS0_4arch9wavefront6targetE1EEEvT1_
                                        ; -- End function
	.section	.AMDGPU.csdata,"",@progbits
; Kernel info:
; codeLenInByte = 0
; NumSgprs: 6
; NumVgprs: 0
; NumAgprs: 0
; TotalNumVgprs: 0
; ScratchSize: 0
; MemoryBound: 0
; FloatMode: 240
; IeeeMode: 1
; LDSByteSize: 0 bytes/workgroup (compile time only)
; SGPRBlocks: 0
; VGPRBlocks: 0
; NumSGPRsForWavesPerEU: 6
; NumVGPRsForWavesPerEU: 1
; AccumOffset: 4
; Occupancy: 8
; WaveLimiterHint : 0
; COMPUTE_PGM_RSRC2:SCRATCH_EN: 0
; COMPUTE_PGM_RSRC2:USER_SGPR: 2
; COMPUTE_PGM_RSRC2:TRAP_HANDLER: 0
; COMPUTE_PGM_RSRC2:TGID_X_EN: 1
; COMPUTE_PGM_RSRC2:TGID_Y_EN: 0
; COMPUTE_PGM_RSRC2:TGID_Z_EN: 0
; COMPUTE_PGM_RSRC2:TIDIG_COMP_CNT: 0
; COMPUTE_PGM_RSRC3_GFX90A:ACCUM_OFFSET: 0
; COMPUTE_PGM_RSRC3_GFX90A:TG_SPLIT: 0
	.section	.text._ZN7rocprim17ROCPRIM_400000_NS6detail17trampoline_kernelINS0_14default_configENS1_27scan_by_key_config_selectorIiiEEZZNS1_16scan_by_key_implILNS1_25lookback_scan_determinismE0ELb1ES3_N6thrust23THRUST_200600_302600_NS6detail15normal_iteratorINS9_10device_ptrIiEEEESE_SE_iNS9_4plusIiEE19head_flag_predicateiEE10hipError_tPvRmT2_T3_T4_T5_mT6_T7_P12ihipStream_tbENKUlT_T0_E_clISt17integral_constantIbLb1EESY_EEDaST_SU_EUlST_E_NS1_11comp_targetILNS1_3genE8ELNS1_11target_archE1030ELNS1_3gpuE2ELNS1_3repE0EEENS1_30default_config_static_selectorELNS0_4arch9wavefront6targetE1EEEvT1_,"axG",@progbits,_ZN7rocprim17ROCPRIM_400000_NS6detail17trampoline_kernelINS0_14default_configENS1_27scan_by_key_config_selectorIiiEEZZNS1_16scan_by_key_implILNS1_25lookback_scan_determinismE0ELb1ES3_N6thrust23THRUST_200600_302600_NS6detail15normal_iteratorINS9_10device_ptrIiEEEESE_SE_iNS9_4plusIiEE19head_flag_predicateiEE10hipError_tPvRmT2_T3_T4_T5_mT6_T7_P12ihipStream_tbENKUlT_T0_E_clISt17integral_constantIbLb1EESY_EEDaST_SU_EUlST_E_NS1_11comp_targetILNS1_3genE8ELNS1_11target_archE1030ELNS1_3gpuE2ELNS1_3repE0EEENS1_30default_config_static_selectorELNS0_4arch9wavefront6targetE1EEEvT1_,comdat
	.protected	_ZN7rocprim17ROCPRIM_400000_NS6detail17trampoline_kernelINS0_14default_configENS1_27scan_by_key_config_selectorIiiEEZZNS1_16scan_by_key_implILNS1_25lookback_scan_determinismE0ELb1ES3_N6thrust23THRUST_200600_302600_NS6detail15normal_iteratorINS9_10device_ptrIiEEEESE_SE_iNS9_4plusIiEE19head_flag_predicateiEE10hipError_tPvRmT2_T3_T4_T5_mT6_T7_P12ihipStream_tbENKUlT_T0_E_clISt17integral_constantIbLb1EESY_EEDaST_SU_EUlST_E_NS1_11comp_targetILNS1_3genE8ELNS1_11target_archE1030ELNS1_3gpuE2ELNS1_3repE0EEENS1_30default_config_static_selectorELNS0_4arch9wavefront6targetE1EEEvT1_ ; -- Begin function _ZN7rocprim17ROCPRIM_400000_NS6detail17trampoline_kernelINS0_14default_configENS1_27scan_by_key_config_selectorIiiEEZZNS1_16scan_by_key_implILNS1_25lookback_scan_determinismE0ELb1ES3_N6thrust23THRUST_200600_302600_NS6detail15normal_iteratorINS9_10device_ptrIiEEEESE_SE_iNS9_4plusIiEE19head_flag_predicateiEE10hipError_tPvRmT2_T3_T4_T5_mT6_T7_P12ihipStream_tbENKUlT_T0_E_clISt17integral_constantIbLb1EESY_EEDaST_SU_EUlST_E_NS1_11comp_targetILNS1_3genE8ELNS1_11target_archE1030ELNS1_3gpuE2ELNS1_3repE0EEENS1_30default_config_static_selectorELNS0_4arch9wavefront6targetE1EEEvT1_
	.globl	_ZN7rocprim17ROCPRIM_400000_NS6detail17trampoline_kernelINS0_14default_configENS1_27scan_by_key_config_selectorIiiEEZZNS1_16scan_by_key_implILNS1_25lookback_scan_determinismE0ELb1ES3_N6thrust23THRUST_200600_302600_NS6detail15normal_iteratorINS9_10device_ptrIiEEEESE_SE_iNS9_4plusIiEE19head_flag_predicateiEE10hipError_tPvRmT2_T3_T4_T5_mT6_T7_P12ihipStream_tbENKUlT_T0_E_clISt17integral_constantIbLb1EESY_EEDaST_SU_EUlST_E_NS1_11comp_targetILNS1_3genE8ELNS1_11target_archE1030ELNS1_3gpuE2ELNS1_3repE0EEENS1_30default_config_static_selectorELNS0_4arch9wavefront6targetE1EEEvT1_
	.p2align	8
	.type	_ZN7rocprim17ROCPRIM_400000_NS6detail17trampoline_kernelINS0_14default_configENS1_27scan_by_key_config_selectorIiiEEZZNS1_16scan_by_key_implILNS1_25lookback_scan_determinismE0ELb1ES3_N6thrust23THRUST_200600_302600_NS6detail15normal_iteratorINS9_10device_ptrIiEEEESE_SE_iNS9_4plusIiEE19head_flag_predicateiEE10hipError_tPvRmT2_T3_T4_T5_mT6_T7_P12ihipStream_tbENKUlT_T0_E_clISt17integral_constantIbLb1EESY_EEDaST_SU_EUlST_E_NS1_11comp_targetILNS1_3genE8ELNS1_11target_archE1030ELNS1_3gpuE2ELNS1_3repE0EEENS1_30default_config_static_selectorELNS0_4arch9wavefront6targetE1EEEvT1_,@function
_ZN7rocprim17ROCPRIM_400000_NS6detail17trampoline_kernelINS0_14default_configENS1_27scan_by_key_config_selectorIiiEEZZNS1_16scan_by_key_implILNS1_25lookback_scan_determinismE0ELb1ES3_N6thrust23THRUST_200600_302600_NS6detail15normal_iteratorINS9_10device_ptrIiEEEESE_SE_iNS9_4plusIiEE19head_flag_predicateiEE10hipError_tPvRmT2_T3_T4_T5_mT6_T7_P12ihipStream_tbENKUlT_T0_E_clISt17integral_constantIbLb1EESY_EEDaST_SU_EUlST_E_NS1_11comp_targetILNS1_3genE8ELNS1_11target_archE1030ELNS1_3gpuE2ELNS1_3repE0EEENS1_30default_config_static_selectorELNS0_4arch9wavefront6targetE1EEEvT1_: ; @_ZN7rocprim17ROCPRIM_400000_NS6detail17trampoline_kernelINS0_14default_configENS1_27scan_by_key_config_selectorIiiEEZZNS1_16scan_by_key_implILNS1_25lookback_scan_determinismE0ELb1ES3_N6thrust23THRUST_200600_302600_NS6detail15normal_iteratorINS9_10device_ptrIiEEEESE_SE_iNS9_4plusIiEE19head_flag_predicateiEE10hipError_tPvRmT2_T3_T4_T5_mT6_T7_P12ihipStream_tbENKUlT_T0_E_clISt17integral_constantIbLb1EESY_EEDaST_SU_EUlST_E_NS1_11comp_targetILNS1_3genE8ELNS1_11target_archE1030ELNS1_3gpuE2ELNS1_3repE0EEENS1_30default_config_static_selectorELNS0_4arch9wavefront6targetE1EEEvT1_
; %bb.0:
	.section	.rodata,"a",@progbits
	.p2align	6, 0x0
	.amdhsa_kernel _ZN7rocprim17ROCPRIM_400000_NS6detail17trampoline_kernelINS0_14default_configENS1_27scan_by_key_config_selectorIiiEEZZNS1_16scan_by_key_implILNS1_25lookback_scan_determinismE0ELb1ES3_N6thrust23THRUST_200600_302600_NS6detail15normal_iteratorINS9_10device_ptrIiEEEESE_SE_iNS9_4plusIiEE19head_flag_predicateiEE10hipError_tPvRmT2_T3_T4_T5_mT6_T7_P12ihipStream_tbENKUlT_T0_E_clISt17integral_constantIbLb1EESY_EEDaST_SU_EUlST_E_NS1_11comp_targetILNS1_3genE8ELNS1_11target_archE1030ELNS1_3gpuE2ELNS1_3repE0EEENS1_30default_config_static_selectorELNS0_4arch9wavefront6targetE1EEEvT1_
		.amdhsa_group_segment_fixed_size 0
		.amdhsa_private_segment_fixed_size 0
		.amdhsa_kernarg_size 112
		.amdhsa_user_sgpr_count 2
		.amdhsa_user_sgpr_dispatch_ptr 0
		.amdhsa_user_sgpr_queue_ptr 0
		.amdhsa_user_sgpr_kernarg_segment_ptr 1
		.amdhsa_user_sgpr_dispatch_id 0
		.amdhsa_user_sgpr_kernarg_preload_length 0
		.amdhsa_user_sgpr_kernarg_preload_offset 0
		.amdhsa_user_sgpr_private_segment_size 0
		.amdhsa_uses_dynamic_stack 0
		.amdhsa_enable_private_segment 0
		.amdhsa_system_sgpr_workgroup_id_x 1
		.amdhsa_system_sgpr_workgroup_id_y 0
		.amdhsa_system_sgpr_workgroup_id_z 0
		.amdhsa_system_sgpr_workgroup_info 0
		.amdhsa_system_vgpr_workitem_id 0
		.amdhsa_next_free_vgpr 1
		.amdhsa_next_free_sgpr 0
		.amdhsa_accum_offset 4
		.amdhsa_reserve_vcc 0
		.amdhsa_float_round_mode_32 0
		.amdhsa_float_round_mode_16_64 0
		.amdhsa_float_denorm_mode_32 3
		.amdhsa_float_denorm_mode_16_64 3
		.amdhsa_dx10_clamp 1
		.amdhsa_ieee_mode 1
		.amdhsa_fp16_overflow 0
		.amdhsa_tg_split 0
		.amdhsa_exception_fp_ieee_invalid_op 0
		.amdhsa_exception_fp_denorm_src 0
		.amdhsa_exception_fp_ieee_div_zero 0
		.amdhsa_exception_fp_ieee_overflow 0
		.amdhsa_exception_fp_ieee_underflow 0
		.amdhsa_exception_fp_ieee_inexact 0
		.amdhsa_exception_int_div_zero 0
	.end_amdhsa_kernel
	.section	.text._ZN7rocprim17ROCPRIM_400000_NS6detail17trampoline_kernelINS0_14default_configENS1_27scan_by_key_config_selectorIiiEEZZNS1_16scan_by_key_implILNS1_25lookback_scan_determinismE0ELb1ES3_N6thrust23THRUST_200600_302600_NS6detail15normal_iteratorINS9_10device_ptrIiEEEESE_SE_iNS9_4plusIiEE19head_flag_predicateiEE10hipError_tPvRmT2_T3_T4_T5_mT6_T7_P12ihipStream_tbENKUlT_T0_E_clISt17integral_constantIbLb1EESY_EEDaST_SU_EUlST_E_NS1_11comp_targetILNS1_3genE8ELNS1_11target_archE1030ELNS1_3gpuE2ELNS1_3repE0EEENS1_30default_config_static_selectorELNS0_4arch9wavefront6targetE1EEEvT1_,"axG",@progbits,_ZN7rocprim17ROCPRIM_400000_NS6detail17trampoline_kernelINS0_14default_configENS1_27scan_by_key_config_selectorIiiEEZZNS1_16scan_by_key_implILNS1_25lookback_scan_determinismE0ELb1ES3_N6thrust23THRUST_200600_302600_NS6detail15normal_iteratorINS9_10device_ptrIiEEEESE_SE_iNS9_4plusIiEE19head_flag_predicateiEE10hipError_tPvRmT2_T3_T4_T5_mT6_T7_P12ihipStream_tbENKUlT_T0_E_clISt17integral_constantIbLb1EESY_EEDaST_SU_EUlST_E_NS1_11comp_targetILNS1_3genE8ELNS1_11target_archE1030ELNS1_3gpuE2ELNS1_3repE0EEENS1_30default_config_static_selectorELNS0_4arch9wavefront6targetE1EEEvT1_,comdat
.Lfunc_end802:
	.size	_ZN7rocprim17ROCPRIM_400000_NS6detail17trampoline_kernelINS0_14default_configENS1_27scan_by_key_config_selectorIiiEEZZNS1_16scan_by_key_implILNS1_25lookback_scan_determinismE0ELb1ES3_N6thrust23THRUST_200600_302600_NS6detail15normal_iteratorINS9_10device_ptrIiEEEESE_SE_iNS9_4plusIiEE19head_flag_predicateiEE10hipError_tPvRmT2_T3_T4_T5_mT6_T7_P12ihipStream_tbENKUlT_T0_E_clISt17integral_constantIbLb1EESY_EEDaST_SU_EUlST_E_NS1_11comp_targetILNS1_3genE8ELNS1_11target_archE1030ELNS1_3gpuE2ELNS1_3repE0EEENS1_30default_config_static_selectorELNS0_4arch9wavefront6targetE1EEEvT1_, .Lfunc_end802-_ZN7rocprim17ROCPRIM_400000_NS6detail17trampoline_kernelINS0_14default_configENS1_27scan_by_key_config_selectorIiiEEZZNS1_16scan_by_key_implILNS1_25lookback_scan_determinismE0ELb1ES3_N6thrust23THRUST_200600_302600_NS6detail15normal_iteratorINS9_10device_ptrIiEEEESE_SE_iNS9_4plusIiEE19head_flag_predicateiEE10hipError_tPvRmT2_T3_T4_T5_mT6_T7_P12ihipStream_tbENKUlT_T0_E_clISt17integral_constantIbLb1EESY_EEDaST_SU_EUlST_E_NS1_11comp_targetILNS1_3genE8ELNS1_11target_archE1030ELNS1_3gpuE2ELNS1_3repE0EEENS1_30default_config_static_selectorELNS0_4arch9wavefront6targetE1EEEvT1_
                                        ; -- End function
	.section	.AMDGPU.csdata,"",@progbits
; Kernel info:
; codeLenInByte = 0
; NumSgprs: 6
; NumVgprs: 0
; NumAgprs: 0
; TotalNumVgprs: 0
; ScratchSize: 0
; MemoryBound: 0
; FloatMode: 240
; IeeeMode: 1
; LDSByteSize: 0 bytes/workgroup (compile time only)
; SGPRBlocks: 0
; VGPRBlocks: 0
; NumSGPRsForWavesPerEU: 6
; NumVGPRsForWavesPerEU: 1
; AccumOffset: 4
; Occupancy: 8
; WaveLimiterHint : 0
; COMPUTE_PGM_RSRC2:SCRATCH_EN: 0
; COMPUTE_PGM_RSRC2:USER_SGPR: 2
; COMPUTE_PGM_RSRC2:TRAP_HANDLER: 0
; COMPUTE_PGM_RSRC2:TGID_X_EN: 1
; COMPUTE_PGM_RSRC2:TGID_Y_EN: 0
; COMPUTE_PGM_RSRC2:TGID_Z_EN: 0
; COMPUTE_PGM_RSRC2:TIDIG_COMP_CNT: 0
; COMPUTE_PGM_RSRC3_GFX90A:ACCUM_OFFSET: 0
; COMPUTE_PGM_RSRC3_GFX90A:TG_SPLIT: 0
	.section	.text._ZN7rocprim17ROCPRIM_400000_NS6detail17trampoline_kernelINS0_14default_configENS1_27scan_by_key_config_selectorIiiEEZZNS1_16scan_by_key_implILNS1_25lookback_scan_determinismE0ELb1ES3_N6thrust23THRUST_200600_302600_NS6detail15normal_iteratorINS9_10device_ptrIiEEEESE_SE_iNS9_4plusIiEE19head_flag_predicateiEE10hipError_tPvRmT2_T3_T4_T5_mT6_T7_P12ihipStream_tbENKUlT_T0_E_clISt17integral_constantIbLb1EESX_IbLb0EEEEDaST_SU_EUlST_E_NS1_11comp_targetILNS1_3genE0ELNS1_11target_archE4294967295ELNS1_3gpuE0ELNS1_3repE0EEENS1_30default_config_static_selectorELNS0_4arch9wavefront6targetE1EEEvT1_,"axG",@progbits,_ZN7rocprim17ROCPRIM_400000_NS6detail17trampoline_kernelINS0_14default_configENS1_27scan_by_key_config_selectorIiiEEZZNS1_16scan_by_key_implILNS1_25lookback_scan_determinismE0ELb1ES3_N6thrust23THRUST_200600_302600_NS6detail15normal_iteratorINS9_10device_ptrIiEEEESE_SE_iNS9_4plusIiEE19head_flag_predicateiEE10hipError_tPvRmT2_T3_T4_T5_mT6_T7_P12ihipStream_tbENKUlT_T0_E_clISt17integral_constantIbLb1EESX_IbLb0EEEEDaST_SU_EUlST_E_NS1_11comp_targetILNS1_3genE0ELNS1_11target_archE4294967295ELNS1_3gpuE0ELNS1_3repE0EEENS1_30default_config_static_selectorELNS0_4arch9wavefront6targetE1EEEvT1_,comdat
	.protected	_ZN7rocprim17ROCPRIM_400000_NS6detail17trampoline_kernelINS0_14default_configENS1_27scan_by_key_config_selectorIiiEEZZNS1_16scan_by_key_implILNS1_25lookback_scan_determinismE0ELb1ES3_N6thrust23THRUST_200600_302600_NS6detail15normal_iteratorINS9_10device_ptrIiEEEESE_SE_iNS9_4plusIiEE19head_flag_predicateiEE10hipError_tPvRmT2_T3_T4_T5_mT6_T7_P12ihipStream_tbENKUlT_T0_E_clISt17integral_constantIbLb1EESX_IbLb0EEEEDaST_SU_EUlST_E_NS1_11comp_targetILNS1_3genE0ELNS1_11target_archE4294967295ELNS1_3gpuE0ELNS1_3repE0EEENS1_30default_config_static_selectorELNS0_4arch9wavefront6targetE1EEEvT1_ ; -- Begin function _ZN7rocprim17ROCPRIM_400000_NS6detail17trampoline_kernelINS0_14default_configENS1_27scan_by_key_config_selectorIiiEEZZNS1_16scan_by_key_implILNS1_25lookback_scan_determinismE0ELb1ES3_N6thrust23THRUST_200600_302600_NS6detail15normal_iteratorINS9_10device_ptrIiEEEESE_SE_iNS9_4plusIiEE19head_flag_predicateiEE10hipError_tPvRmT2_T3_T4_T5_mT6_T7_P12ihipStream_tbENKUlT_T0_E_clISt17integral_constantIbLb1EESX_IbLb0EEEEDaST_SU_EUlST_E_NS1_11comp_targetILNS1_3genE0ELNS1_11target_archE4294967295ELNS1_3gpuE0ELNS1_3repE0EEENS1_30default_config_static_selectorELNS0_4arch9wavefront6targetE1EEEvT1_
	.globl	_ZN7rocprim17ROCPRIM_400000_NS6detail17trampoline_kernelINS0_14default_configENS1_27scan_by_key_config_selectorIiiEEZZNS1_16scan_by_key_implILNS1_25lookback_scan_determinismE0ELb1ES3_N6thrust23THRUST_200600_302600_NS6detail15normal_iteratorINS9_10device_ptrIiEEEESE_SE_iNS9_4plusIiEE19head_flag_predicateiEE10hipError_tPvRmT2_T3_T4_T5_mT6_T7_P12ihipStream_tbENKUlT_T0_E_clISt17integral_constantIbLb1EESX_IbLb0EEEEDaST_SU_EUlST_E_NS1_11comp_targetILNS1_3genE0ELNS1_11target_archE4294967295ELNS1_3gpuE0ELNS1_3repE0EEENS1_30default_config_static_selectorELNS0_4arch9wavefront6targetE1EEEvT1_
	.p2align	8
	.type	_ZN7rocprim17ROCPRIM_400000_NS6detail17trampoline_kernelINS0_14default_configENS1_27scan_by_key_config_selectorIiiEEZZNS1_16scan_by_key_implILNS1_25lookback_scan_determinismE0ELb1ES3_N6thrust23THRUST_200600_302600_NS6detail15normal_iteratorINS9_10device_ptrIiEEEESE_SE_iNS9_4plusIiEE19head_flag_predicateiEE10hipError_tPvRmT2_T3_T4_T5_mT6_T7_P12ihipStream_tbENKUlT_T0_E_clISt17integral_constantIbLb1EESX_IbLb0EEEEDaST_SU_EUlST_E_NS1_11comp_targetILNS1_3genE0ELNS1_11target_archE4294967295ELNS1_3gpuE0ELNS1_3repE0EEENS1_30default_config_static_selectorELNS0_4arch9wavefront6targetE1EEEvT1_,@function
_ZN7rocprim17ROCPRIM_400000_NS6detail17trampoline_kernelINS0_14default_configENS1_27scan_by_key_config_selectorIiiEEZZNS1_16scan_by_key_implILNS1_25lookback_scan_determinismE0ELb1ES3_N6thrust23THRUST_200600_302600_NS6detail15normal_iteratorINS9_10device_ptrIiEEEESE_SE_iNS9_4plusIiEE19head_flag_predicateiEE10hipError_tPvRmT2_T3_T4_T5_mT6_T7_P12ihipStream_tbENKUlT_T0_E_clISt17integral_constantIbLb1EESX_IbLb0EEEEDaST_SU_EUlST_E_NS1_11comp_targetILNS1_3genE0ELNS1_11target_archE4294967295ELNS1_3gpuE0ELNS1_3repE0EEENS1_30default_config_static_selectorELNS0_4arch9wavefront6targetE1EEEvT1_: ; @_ZN7rocprim17ROCPRIM_400000_NS6detail17trampoline_kernelINS0_14default_configENS1_27scan_by_key_config_selectorIiiEEZZNS1_16scan_by_key_implILNS1_25lookback_scan_determinismE0ELb1ES3_N6thrust23THRUST_200600_302600_NS6detail15normal_iteratorINS9_10device_ptrIiEEEESE_SE_iNS9_4plusIiEE19head_flag_predicateiEE10hipError_tPvRmT2_T3_T4_T5_mT6_T7_P12ihipStream_tbENKUlT_T0_E_clISt17integral_constantIbLb1EESX_IbLb0EEEEDaST_SU_EUlST_E_NS1_11comp_targetILNS1_3genE0ELNS1_11target_archE4294967295ELNS1_3gpuE0ELNS1_3repE0EEENS1_30default_config_static_selectorELNS0_4arch9wavefront6targetE1EEEvT1_
; %bb.0:
	.section	.rodata,"a",@progbits
	.p2align	6, 0x0
	.amdhsa_kernel _ZN7rocprim17ROCPRIM_400000_NS6detail17trampoline_kernelINS0_14default_configENS1_27scan_by_key_config_selectorIiiEEZZNS1_16scan_by_key_implILNS1_25lookback_scan_determinismE0ELb1ES3_N6thrust23THRUST_200600_302600_NS6detail15normal_iteratorINS9_10device_ptrIiEEEESE_SE_iNS9_4plusIiEE19head_flag_predicateiEE10hipError_tPvRmT2_T3_T4_T5_mT6_T7_P12ihipStream_tbENKUlT_T0_E_clISt17integral_constantIbLb1EESX_IbLb0EEEEDaST_SU_EUlST_E_NS1_11comp_targetILNS1_3genE0ELNS1_11target_archE4294967295ELNS1_3gpuE0ELNS1_3repE0EEENS1_30default_config_static_selectorELNS0_4arch9wavefront6targetE1EEEvT1_
		.amdhsa_group_segment_fixed_size 0
		.amdhsa_private_segment_fixed_size 0
		.amdhsa_kernarg_size 112
		.amdhsa_user_sgpr_count 2
		.amdhsa_user_sgpr_dispatch_ptr 0
		.amdhsa_user_sgpr_queue_ptr 0
		.amdhsa_user_sgpr_kernarg_segment_ptr 1
		.amdhsa_user_sgpr_dispatch_id 0
		.amdhsa_user_sgpr_kernarg_preload_length 0
		.amdhsa_user_sgpr_kernarg_preload_offset 0
		.amdhsa_user_sgpr_private_segment_size 0
		.amdhsa_uses_dynamic_stack 0
		.amdhsa_enable_private_segment 0
		.amdhsa_system_sgpr_workgroup_id_x 1
		.amdhsa_system_sgpr_workgroup_id_y 0
		.amdhsa_system_sgpr_workgroup_id_z 0
		.amdhsa_system_sgpr_workgroup_info 0
		.amdhsa_system_vgpr_workitem_id 0
		.amdhsa_next_free_vgpr 1
		.amdhsa_next_free_sgpr 0
		.amdhsa_accum_offset 4
		.amdhsa_reserve_vcc 0
		.amdhsa_float_round_mode_32 0
		.amdhsa_float_round_mode_16_64 0
		.amdhsa_float_denorm_mode_32 3
		.amdhsa_float_denorm_mode_16_64 3
		.amdhsa_dx10_clamp 1
		.amdhsa_ieee_mode 1
		.amdhsa_fp16_overflow 0
		.amdhsa_tg_split 0
		.amdhsa_exception_fp_ieee_invalid_op 0
		.amdhsa_exception_fp_denorm_src 0
		.amdhsa_exception_fp_ieee_div_zero 0
		.amdhsa_exception_fp_ieee_overflow 0
		.amdhsa_exception_fp_ieee_underflow 0
		.amdhsa_exception_fp_ieee_inexact 0
		.amdhsa_exception_int_div_zero 0
	.end_amdhsa_kernel
	.section	.text._ZN7rocprim17ROCPRIM_400000_NS6detail17trampoline_kernelINS0_14default_configENS1_27scan_by_key_config_selectorIiiEEZZNS1_16scan_by_key_implILNS1_25lookback_scan_determinismE0ELb1ES3_N6thrust23THRUST_200600_302600_NS6detail15normal_iteratorINS9_10device_ptrIiEEEESE_SE_iNS9_4plusIiEE19head_flag_predicateiEE10hipError_tPvRmT2_T3_T4_T5_mT6_T7_P12ihipStream_tbENKUlT_T0_E_clISt17integral_constantIbLb1EESX_IbLb0EEEEDaST_SU_EUlST_E_NS1_11comp_targetILNS1_3genE0ELNS1_11target_archE4294967295ELNS1_3gpuE0ELNS1_3repE0EEENS1_30default_config_static_selectorELNS0_4arch9wavefront6targetE1EEEvT1_,"axG",@progbits,_ZN7rocprim17ROCPRIM_400000_NS6detail17trampoline_kernelINS0_14default_configENS1_27scan_by_key_config_selectorIiiEEZZNS1_16scan_by_key_implILNS1_25lookback_scan_determinismE0ELb1ES3_N6thrust23THRUST_200600_302600_NS6detail15normal_iteratorINS9_10device_ptrIiEEEESE_SE_iNS9_4plusIiEE19head_flag_predicateiEE10hipError_tPvRmT2_T3_T4_T5_mT6_T7_P12ihipStream_tbENKUlT_T0_E_clISt17integral_constantIbLb1EESX_IbLb0EEEEDaST_SU_EUlST_E_NS1_11comp_targetILNS1_3genE0ELNS1_11target_archE4294967295ELNS1_3gpuE0ELNS1_3repE0EEENS1_30default_config_static_selectorELNS0_4arch9wavefront6targetE1EEEvT1_,comdat
.Lfunc_end803:
	.size	_ZN7rocprim17ROCPRIM_400000_NS6detail17trampoline_kernelINS0_14default_configENS1_27scan_by_key_config_selectorIiiEEZZNS1_16scan_by_key_implILNS1_25lookback_scan_determinismE0ELb1ES3_N6thrust23THRUST_200600_302600_NS6detail15normal_iteratorINS9_10device_ptrIiEEEESE_SE_iNS9_4plusIiEE19head_flag_predicateiEE10hipError_tPvRmT2_T3_T4_T5_mT6_T7_P12ihipStream_tbENKUlT_T0_E_clISt17integral_constantIbLb1EESX_IbLb0EEEEDaST_SU_EUlST_E_NS1_11comp_targetILNS1_3genE0ELNS1_11target_archE4294967295ELNS1_3gpuE0ELNS1_3repE0EEENS1_30default_config_static_selectorELNS0_4arch9wavefront6targetE1EEEvT1_, .Lfunc_end803-_ZN7rocprim17ROCPRIM_400000_NS6detail17trampoline_kernelINS0_14default_configENS1_27scan_by_key_config_selectorIiiEEZZNS1_16scan_by_key_implILNS1_25lookback_scan_determinismE0ELb1ES3_N6thrust23THRUST_200600_302600_NS6detail15normal_iteratorINS9_10device_ptrIiEEEESE_SE_iNS9_4plusIiEE19head_flag_predicateiEE10hipError_tPvRmT2_T3_T4_T5_mT6_T7_P12ihipStream_tbENKUlT_T0_E_clISt17integral_constantIbLb1EESX_IbLb0EEEEDaST_SU_EUlST_E_NS1_11comp_targetILNS1_3genE0ELNS1_11target_archE4294967295ELNS1_3gpuE0ELNS1_3repE0EEENS1_30default_config_static_selectorELNS0_4arch9wavefront6targetE1EEEvT1_
                                        ; -- End function
	.section	.AMDGPU.csdata,"",@progbits
; Kernel info:
; codeLenInByte = 0
; NumSgprs: 6
; NumVgprs: 0
; NumAgprs: 0
; TotalNumVgprs: 0
; ScratchSize: 0
; MemoryBound: 0
; FloatMode: 240
; IeeeMode: 1
; LDSByteSize: 0 bytes/workgroup (compile time only)
; SGPRBlocks: 0
; VGPRBlocks: 0
; NumSGPRsForWavesPerEU: 6
; NumVGPRsForWavesPerEU: 1
; AccumOffset: 4
; Occupancy: 8
; WaveLimiterHint : 0
; COMPUTE_PGM_RSRC2:SCRATCH_EN: 0
; COMPUTE_PGM_RSRC2:USER_SGPR: 2
; COMPUTE_PGM_RSRC2:TRAP_HANDLER: 0
; COMPUTE_PGM_RSRC2:TGID_X_EN: 1
; COMPUTE_PGM_RSRC2:TGID_Y_EN: 0
; COMPUTE_PGM_RSRC2:TGID_Z_EN: 0
; COMPUTE_PGM_RSRC2:TIDIG_COMP_CNT: 0
; COMPUTE_PGM_RSRC3_GFX90A:ACCUM_OFFSET: 0
; COMPUTE_PGM_RSRC3_GFX90A:TG_SPLIT: 0
	.section	.text._ZN7rocprim17ROCPRIM_400000_NS6detail17trampoline_kernelINS0_14default_configENS1_27scan_by_key_config_selectorIiiEEZZNS1_16scan_by_key_implILNS1_25lookback_scan_determinismE0ELb1ES3_N6thrust23THRUST_200600_302600_NS6detail15normal_iteratorINS9_10device_ptrIiEEEESE_SE_iNS9_4plusIiEE19head_flag_predicateiEE10hipError_tPvRmT2_T3_T4_T5_mT6_T7_P12ihipStream_tbENKUlT_T0_E_clISt17integral_constantIbLb1EESX_IbLb0EEEEDaST_SU_EUlST_E_NS1_11comp_targetILNS1_3genE10ELNS1_11target_archE1201ELNS1_3gpuE5ELNS1_3repE0EEENS1_30default_config_static_selectorELNS0_4arch9wavefront6targetE1EEEvT1_,"axG",@progbits,_ZN7rocprim17ROCPRIM_400000_NS6detail17trampoline_kernelINS0_14default_configENS1_27scan_by_key_config_selectorIiiEEZZNS1_16scan_by_key_implILNS1_25lookback_scan_determinismE0ELb1ES3_N6thrust23THRUST_200600_302600_NS6detail15normal_iteratorINS9_10device_ptrIiEEEESE_SE_iNS9_4plusIiEE19head_flag_predicateiEE10hipError_tPvRmT2_T3_T4_T5_mT6_T7_P12ihipStream_tbENKUlT_T0_E_clISt17integral_constantIbLb1EESX_IbLb0EEEEDaST_SU_EUlST_E_NS1_11comp_targetILNS1_3genE10ELNS1_11target_archE1201ELNS1_3gpuE5ELNS1_3repE0EEENS1_30default_config_static_selectorELNS0_4arch9wavefront6targetE1EEEvT1_,comdat
	.protected	_ZN7rocprim17ROCPRIM_400000_NS6detail17trampoline_kernelINS0_14default_configENS1_27scan_by_key_config_selectorIiiEEZZNS1_16scan_by_key_implILNS1_25lookback_scan_determinismE0ELb1ES3_N6thrust23THRUST_200600_302600_NS6detail15normal_iteratorINS9_10device_ptrIiEEEESE_SE_iNS9_4plusIiEE19head_flag_predicateiEE10hipError_tPvRmT2_T3_T4_T5_mT6_T7_P12ihipStream_tbENKUlT_T0_E_clISt17integral_constantIbLb1EESX_IbLb0EEEEDaST_SU_EUlST_E_NS1_11comp_targetILNS1_3genE10ELNS1_11target_archE1201ELNS1_3gpuE5ELNS1_3repE0EEENS1_30default_config_static_selectorELNS0_4arch9wavefront6targetE1EEEvT1_ ; -- Begin function _ZN7rocprim17ROCPRIM_400000_NS6detail17trampoline_kernelINS0_14default_configENS1_27scan_by_key_config_selectorIiiEEZZNS1_16scan_by_key_implILNS1_25lookback_scan_determinismE0ELb1ES3_N6thrust23THRUST_200600_302600_NS6detail15normal_iteratorINS9_10device_ptrIiEEEESE_SE_iNS9_4plusIiEE19head_flag_predicateiEE10hipError_tPvRmT2_T3_T4_T5_mT6_T7_P12ihipStream_tbENKUlT_T0_E_clISt17integral_constantIbLb1EESX_IbLb0EEEEDaST_SU_EUlST_E_NS1_11comp_targetILNS1_3genE10ELNS1_11target_archE1201ELNS1_3gpuE5ELNS1_3repE0EEENS1_30default_config_static_selectorELNS0_4arch9wavefront6targetE1EEEvT1_
	.globl	_ZN7rocprim17ROCPRIM_400000_NS6detail17trampoline_kernelINS0_14default_configENS1_27scan_by_key_config_selectorIiiEEZZNS1_16scan_by_key_implILNS1_25lookback_scan_determinismE0ELb1ES3_N6thrust23THRUST_200600_302600_NS6detail15normal_iteratorINS9_10device_ptrIiEEEESE_SE_iNS9_4plusIiEE19head_flag_predicateiEE10hipError_tPvRmT2_T3_T4_T5_mT6_T7_P12ihipStream_tbENKUlT_T0_E_clISt17integral_constantIbLb1EESX_IbLb0EEEEDaST_SU_EUlST_E_NS1_11comp_targetILNS1_3genE10ELNS1_11target_archE1201ELNS1_3gpuE5ELNS1_3repE0EEENS1_30default_config_static_selectorELNS0_4arch9wavefront6targetE1EEEvT1_
	.p2align	8
	.type	_ZN7rocprim17ROCPRIM_400000_NS6detail17trampoline_kernelINS0_14default_configENS1_27scan_by_key_config_selectorIiiEEZZNS1_16scan_by_key_implILNS1_25lookback_scan_determinismE0ELb1ES3_N6thrust23THRUST_200600_302600_NS6detail15normal_iteratorINS9_10device_ptrIiEEEESE_SE_iNS9_4plusIiEE19head_flag_predicateiEE10hipError_tPvRmT2_T3_T4_T5_mT6_T7_P12ihipStream_tbENKUlT_T0_E_clISt17integral_constantIbLb1EESX_IbLb0EEEEDaST_SU_EUlST_E_NS1_11comp_targetILNS1_3genE10ELNS1_11target_archE1201ELNS1_3gpuE5ELNS1_3repE0EEENS1_30default_config_static_selectorELNS0_4arch9wavefront6targetE1EEEvT1_,@function
_ZN7rocprim17ROCPRIM_400000_NS6detail17trampoline_kernelINS0_14default_configENS1_27scan_by_key_config_selectorIiiEEZZNS1_16scan_by_key_implILNS1_25lookback_scan_determinismE0ELb1ES3_N6thrust23THRUST_200600_302600_NS6detail15normal_iteratorINS9_10device_ptrIiEEEESE_SE_iNS9_4plusIiEE19head_flag_predicateiEE10hipError_tPvRmT2_T3_T4_T5_mT6_T7_P12ihipStream_tbENKUlT_T0_E_clISt17integral_constantIbLb1EESX_IbLb0EEEEDaST_SU_EUlST_E_NS1_11comp_targetILNS1_3genE10ELNS1_11target_archE1201ELNS1_3gpuE5ELNS1_3repE0EEENS1_30default_config_static_selectorELNS0_4arch9wavefront6targetE1EEEvT1_: ; @_ZN7rocprim17ROCPRIM_400000_NS6detail17trampoline_kernelINS0_14default_configENS1_27scan_by_key_config_selectorIiiEEZZNS1_16scan_by_key_implILNS1_25lookback_scan_determinismE0ELb1ES3_N6thrust23THRUST_200600_302600_NS6detail15normal_iteratorINS9_10device_ptrIiEEEESE_SE_iNS9_4plusIiEE19head_flag_predicateiEE10hipError_tPvRmT2_T3_T4_T5_mT6_T7_P12ihipStream_tbENKUlT_T0_E_clISt17integral_constantIbLb1EESX_IbLb0EEEEDaST_SU_EUlST_E_NS1_11comp_targetILNS1_3genE10ELNS1_11target_archE1201ELNS1_3gpuE5ELNS1_3repE0EEENS1_30default_config_static_selectorELNS0_4arch9wavefront6targetE1EEEvT1_
; %bb.0:
	.section	.rodata,"a",@progbits
	.p2align	6, 0x0
	.amdhsa_kernel _ZN7rocprim17ROCPRIM_400000_NS6detail17trampoline_kernelINS0_14default_configENS1_27scan_by_key_config_selectorIiiEEZZNS1_16scan_by_key_implILNS1_25lookback_scan_determinismE0ELb1ES3_N6thrust23THRUST_200600_302600_NS6detail15normal_iteratorINS9_10device_ptrIiEEEESE_SE_iNS9_4plusIiEE19head_flag_predicateiEE10hipError_tPvRmT2_T3_T4_T5_mT6_T7_P12ihipStream_tbENKUlT_T0_E_clISt17integral_constantIbLb1EESX_IbLb0EEEEDaST_SU_EUlST_E_NS1_11comp_targetILNS1_3genE10ELNS1_11target_archE1201ELNS1_3gpuE5ELNS1_3repE0EEENS1_30default_config_static_selectorELNS0_4arch9wavefront6targetE1EEEvT1_
		.amdhsa_group_segment_fixed_size 0
		.amdhsa_private_segment_fixed_size 0
		.amdhsa_kernarg_size 112
		.amdhsa_user_sgpr_count 2
		.amdhsa_user_sgpr_dispatch_ptr 0
		.amdhsa_user_sgpr_queue_ptr 0
		.amdhsa_user_sgpr_kernarg_segment_ptr 1
		.amdhsa_user_sgpr_dispatch_id 0
		.amdhsa_user_sgpr_kernarg_preload_length 0
		.amdhsa_user_sgpr_kernarg_preload_offset 0
		.amdhsa_user_sgpr_private_segment_size 0
		.amdhsa_uses_dynamic_stack 0
		.amdhsa_enable_private_segment 0
		.amdhsa_system_sgpr_workgroup_id_x 1
		.amdhsa_system_sgpr_workgroup_id_y 0
		.amdhsa_system_sgpr_workgroup_id_z 0
		.amdhsa_system_sgpr_workgroup_info 0
		.amdhsa_system_vgpr_workitem_id 0
		.amdhsa_next_free_vgpr 1
		.amdhsa_next_free_sgpr 0
		.amdhsa_accum_offset 4
		.amdhsa_reserve_vcc 0
		.amdhsa_float_round_mode_32 0
		.amdhsa_float_round_mode_16_64 0
		.amdhsa_float_denorm_mode_32 3
		.amdhsa_float_denorm_mode_16_64 3
		.amdhsa_dx10_clamp 1
		.amdhsa_ieee_mode 1
		.amdhsa_fp16_overflow 0
		.amdhsa_tg_split 0
		.amdhsa_exception_fp_ieee_invalid_op 0
		.amdhsa_exception_fp_denorm_src 0
		.amdhsa_exception_fp_ieee_div_zero 0
		.amdhsa_exception_fp_ieee_overflow 0
		.amdhsa_exception_fp_ieee_underflow 0
		.amdhsa_exception_fp_ieee_inexact 0
		.amdhsa_exception_int_div_zero 0
	.end_amdhsa_kernel
	.section	.text._ZN7rocprim17ROCPRIM_400000_NS6detail17trampoline_kernelINS0_14default_configENS1_27scan_by_key_config_selectorIiiEEZZNS1_16scan_by_key_implILNS1_25lookback_scan_determinismE0ELb1ES3_N6thrust23THRUST_200600_302600_NS6detail15normal_iteratorINS9_10device_ptrIiEEEESE_SE_iNS9_4plusIiEE19head_flag_predicateiEE10hipError_tPvRmT2_T3_T4_T5_mT6_T7_P12ihipStream_tbENKUlT_T0_E_clISt17integral_constantIbLb1EESX_IbLb0EEEEDaST_SU_EUlST_E_NS1_11comp_targetILNS1_3genE10ELNS1_11target_archE1201ELNS1_3gpuE5ELNS1_3repE0EEENS1_30default_config_static_selectorELNS0_4arch9wavefront6targetE1EEEvT1_,"axG",@progbits,_ZN7rocprim17ROCPRIM_400000_NS6detail17trampoline_kernelINS0_14default_configENS1_27scan_by_key_config_selectorIiiEEZZNS1_16scan_by_key_implILNS1_25lookback_scan_determinismE0ELb1ES3_N6thrust23THRUST_200600_302600_NS6detail15normal_iteratorINS9_10device_ptrIiEEEESE_SE_iNS9_4plusIiEE19head_flag_predicateiEE10hipError_tPvRmT2_T3_T4_T5_mT6_T7_P12ihipStream_tbENKUlT_T0_E_clISt17integral_constantIbLb1EESX_IbLb0EEEEDaST_SU_EUlST_E_NS1_11comp_targetILNS1_3genE10ELNS1_11target_archE1201ELNS1_3gpuE5ELNS1_3repE0EEENS1_30default_config_static_selectorELNS0_4arch9wavefront6targetE1EEEvT1_,comdat
.Lfunc_end804:
	.size	_ZN7rocprim17ROCPRIM_400000_NS6detail17trampoline_kernelINS0_14default_configENS1_27scan_by_key_config_selectorIiiEEZZNS1_16scan_by_key_implILNS1_25lookback_scan_determinismE0ELb1ES3_N6thrust23THRUST_200600_302600_NS6detail15normal_iteratorINS9_10device_ptrIiEEEESE_SE_iNS9_4plusIiEE19head_flag_predicateiEE10hipError_tPvRmT2_T3_T4_T5_mT6_T7_P12ihipStream_tbENKUlT_T0_E_clISt17integral_constantIbLb1EESX_IbLb0EEEEDaST_SU_EUlST_E_NS1_11comp_targetILNS1_3genE10ELNS1_11target_archE1201ELNS1_3gpuE5ELNS1_3repE0EEENS1_30default_config_static_selectorELNS0_4arch9wavefront6targetE1EEEvT1_, .Lfunc_end804-_ZN7rocprim17ROCPRIM_400000_NS6detail17trampoline_kernelINS0_14default_configENS1_27scan_by_key_config_selectorIiiEEZZNS1_16scan_by_key_implILNS1_25lookback_scan_determinismE0ELb1ES3_N6thrust23THRUST_200600_302600_NS6detail15normal_iteratorINS9_10device_ptrIiEEEESE_SE_iNS9_4plusIiEE19head_flag_predicateiEE10hipError_tPvRmT2_T3_T4_T5_mT6_T7_P12ihipStream_tbENKUlT_T0_E_clISt17integral_constantIbLb1EESX_IbLb0EEEEDaST_SU_EUlST_E_NS1_11comp_targetILNS1_3genE10ELNS1_11target_archE1201ELNS1_3gpuE5ELNS1_3repE0EEENS1_30default_config_static_selectorELNS0_4arch9wavefront6targetE1EEEvT1_
                                        ; -- End function
	.section	.AMDGPU.csdata,"",@progbits
; Kernel info:
; codeLenInByte = 0
; NumSgprs: 6
; NumVgprs: 0
; NumAgprs: 0
; TotalNumVgprs: 0
; ScratchSize: 0
; MemoryBound: 0
; FloatMode: 240
; IeeeMode: 1
; LDSByteSize: 0 bytes/workgroup (compile time only)
; SGPRBlocks: 0
; VGPRBlocks: 0
; NumSGPRsForWavesPerEU: 6
; NumVGPRsForWavesPerEU: 1
; AccumOffset: 4
; Occupancy: 8
; WaveLimiterHint : 0
; COMPUTE_PGM_RSRC2:SCRATCH_EN: 0
; COMPUTE_PGM_RSRC2:USER_SGPR: 2
; COMPUTE_PGM_RSRC2:TRAP_HANDLER: 0
; COMPUTE_PGM_RSRC2:TGID_X_EN: 1
; COMPUTE_PGM_RSRC2:TGID_Y_EN: 0
; COMPUTE_PGM_RSRC2:TGID_Z_EN: 0
; COMPUTE_PGM_RSRC2:TIDIG_COMP_CNT: 0
; COMPUTE_PGM_RSRC3_GFX90A:ACCUM_OFFSET: 0
; COMPUTE_PGM_RSRC3_GFX90A:TG_SPLIT: 0
	.section	.text._ZN7rocprim17ROCPRIM_400000_NS6detail17trampoline_kernelINS0_14default_configENS1_27scan_by_key_config_selectorIiiEEZZNS1_16scan_by_key_implILNS1_25lookback_scan_determinismE0ELb1ES3_N6thrust23THRUST_200600_302600_NS6detail15normal_iteratorINS9_10device_ptrIiEEEESE_SE_iNS9_4plusIiEE19head_flag_predicateiEE10hipError_tPvRmT2_T3_T4_T5_mT6_T7_P12ihipStream_tbENKUlT_T0_E_clISt17integral_constantIbLb1EESX_IbLb0EEEEDaST_SU_EUlST_E_NS1_11comp_targetILNS1_3genE5ELNS1_11target_archE942ELNS1_3gpuE9ELNS1_3repE0EEENS1_30default_config_static_selectorELNS0_4arch9wavefront6targetE1EEEvT1_,"axG",@progbits,_ZN7rocprim17ROCPRIM_400000_NS6detail17trampoline_kernelINS0_14default_configENS1_27scan_by_key_config_selectorIiiEEZZNS1_16scan_by_key_implILNS1_25lookback_scan_determinismE0ELb1ES3_N6thrust23THRUST_200600_302600_NS6detail15normal_iteratorINS9_10device_ptrIiEEEESE_SE_iNS9_4plusIiEE19head_flag_predicateiEE10hipError_tPvRmT2_T3_T4_T5_mT6_T7_P12ihipStream_tbENKUlT_T0_E_clISt17integral_constantIbLb1EESX_IbLb0EEEEDaST_SU_EUlST_E_NS1_11comp_targetILNS1_3genE5ELNS1_11target_archE942ELNS1_3gpuE9ELNS1_3repE0EEENS1_30default_config_static_selectorELNS0_4arch9wavefront6targetE1EEEvT1_,comdat
	.protected	_ZN7rocprim17ROCPRIM_400000_NS6detail17trampoline_kernelINS0_14default_configENS1_27scan_by_key_config_selectorIiiEEZZNS1_16scan_by_key_implILNS1_25lookback_scan_determinismE0ELb1ES3_N6thrust23THRUST_200600_302600_NS6detail15normal_iteratorINS9_10device_ptrIiEEEESE_SE_iNS9_4plusIiEE19head_flag_predicateiEE10hipError_tPvRmT2_T3_T4_T5_mT6_T7_P12ihipStream_tbENKUlT_T0_E_clISt17integral_constantIbLb1EESX_IbLb0EEEEDaST_SU_EUlST_E_NS1_11comp_targetILNS1_3genE5ELNS1_11target_archE942ELNS1_3gpuE9ELNS1_3repE0EEENS1_30default_config_static_selectorELNS0_4arch9wavefront6targetE1EEEvT1_ ; -- Begin function _ZN7rocprim17ROCPRIM_400000_NS6detail17trampoline_kernelINS0_14default_configENS1_27scan_by_key_config_selectorIiiEEZZNS1_16scan_by_key_implILNS1_25lookback_scan_determinismE0ELb1ES3_N6thrust23THRUST_200600_302600_NS6detail15normal_iteratorINS9_10device_ptrIiEEEESE_SE_iNS9_4plusIiEE19head_flag_predicateiEE10hipError_tPvRmT2_T3_T4_T5_mT6_T7_P12ihipStream_tbENKUlT_T0_E_clISt17integral_constantIbLb1EESX_IbLb0EEEEDaST_SU_EUlST_E_NS1_11comp_targetILNS1_3genE5ELNS1_11target_archE942ELNS1_3gpuE9ELNS1_3repE0EEENS1_30default_config_static_selectorELNS0_4arch9wavefront6targetE1EEEvT1_
	.globl	_ZN7rocprim17ROCPRIM_400000_NS6detail17trampoline_kernelINS0_14default_configENS1_27scan_by_key_config_selectorIiiEEZZNS1_16scan_by_key_implILNS1_25lookback_scan_determinismE0ELb1ES3_N6thrust23THRUST_200600_302600_NS6detail15normal_iteratorINS9_10device_ptrIiEEEESE_SE_iNS9_4plusIiEE19head_flag_predicateiEE10hipError_tPvRmT2_T3_T4_T5_mT6_T7_P12ihipStream_tbENKUlT_T0_E_clISt17integral_constantIbLb1EESX_IbLb0EEEEDaST_SU_EUlST_E_NS1_11comp_targetILNS1_3genE5ELNS1_11target_archE942ELNS1_3gpuE9ELNS1_3repE0EEENS1_30default_config_static_selectorELNS0_4arch9wavefront6targetE1EEEvT1_
	.p2align	8
	.type	_ZN7rocprim17ROCPRIM_400000_NS6detail17trampoline_kernelINS0_14default_configENS1_27scan_by_key_config_selectorIiiEEZZNS1_16scan_by_key_implILNS1_25lookback_scan_determinismE0ELb1ES3_N6thrust23THRUST_200600_302600_NS6detail15normal_iteratorINS9_10device_ptrIiEEEESE_SE_iNS9_4plusIiEE19head_flag_predicateiEE10hipError_tPvRmT2_T3_T4_T5_mT6_T7_P12ihipStream_tbENKUlT_T0_E_clISt17integral_constantIbLb1EESX_IbLb0EEEEDaST_SU_EUlST_E_NS1_11comp_targetILNS1_3genE5ELNS1_11target_archE942ELNS1_3gpuE9ELNS1_3repE0EEENS1_30default_config_static_selectorELNS0_4arch9wavefront6targetE1EEEvT1_,@function
_ZN7rocprim17ROCPRIM_400000_NS6detail17trampoline_kernelINS0_14default_configENS1_27scan_by_key_config_selectorIiiEEZZNS1_16scan_by_key_implILNS1_25lookback_scan_determinismE0ELb1ES3_N6thrust23THRUST_200600_302600_NS6detail15normal_iteratorINS9_10device_ptrIiEEEESE_SE_iNS9_4plusIiEE19head_flag_predicateiEE10hipError_tPvRmT2_T3_T4_T5_mT6_T7_P12ihipStream_tbENKUlT_T0_E_clISt17integral_constantIbLb1EESX_IbLb0EEEEDaST_SU_EUlST_E_NS1_11comp_targetILNS1_3genE5ELNS1_11target_archE942ELNS1_3gpuE9ELNS1_3repE0EEENS1_30default_config_static_selectorELNS0_4arch9wavefront6targetE1EEEvT1_: ; @_ZN7rocprim17ROCPRIM_400000_NS6detail17trampoline_kernelINS0_14default_configENS1_27scan_by_key_config_selectorIiiEEZZNS1_16scan_by_key_implILNS1_25lookback_scan_determinismE0ELb1ES3_N6thrust23THRUST_200600_302600_NS6detail15normal_iteratorINS9_10device_ptrIiEEEESE_SE_iNS9_4plusIiEE19head_flag_predicateiEE10hipError_tPvRmT2_T3_T4_T5_mT6_T7_P12ihipStream_tbENKUlT_T0_E_clISt17integral_constantIbLb1EESX_IbLb0EEEEDaST_SU_EUlST_E_NS1_11comp_targetILNS1_3genE5ELNS1_11target_archE942ELNS1_3gpuE9ELNS1_3repE0EEENS1_30default_config_static_selectorELNS0_4arch9wavefront6targetE1EEEvT1_
; %bb.0:
	s_load_dwordx8 s[48:55], s[0:1], 0x0
	s_load_dword s76, s[0:1], 0x20
	s_load_dwordx4 s[56:59], s[0:1], 0x28
	s_load_dwordx2 s[68:69], s[0:1], 0x38
	s_load_dword s3, s[0:1], 0x40
	s_load_dwordx4 s[60:63], s[0:1], 0x48
	s_waitcnt lgkmcnt(0)
	s_lshl_b64 s[64:65], s[50:51], 2
	s_add_u32 s4, s48, s64
	s_addc_u32 s5, s49, s65
	s_add_u32 s6, s52, s64
	s_mul_i32 s0, s69, s3
	s_mul_hi_u32 s1, s68, s3
	s_addc_u32 s7, s53, s65
	s_add_i32 s8, s1, s0
	s_mul_i32 s0, s2, 0x1700
	s_mov_b32 s1, 0
	s_lshl_b64 s[66:67], s[0:1], 2
	s_add_u32 s70, s4, s66
	s_addc_u32 s71, s5, s67
	s_add_u32 s52, s6, s66
	s_mul_i32 s3, s68, s3
	s_addc_u32 s53, s7, s67
	s_add_u32 s0, s3, s2
	s_addc_u32 s1, s8, 0
	s_add_u32 s6, s60, -1
	s_addc_u32 s7, s61, -1
	v_mov_b64_e32 v[2:3], s[6:7]
	v_cmp_ge_u64_e64 s[0:1], s[0:1], v[2:3]
	s_mov_b64 s[4:5], -1
	s_and_b64 vcc, exec, s[0:1]
	s_mul_i32 s33, s6, 0xffffe900
	s_barrier
	s_cbranch_vccz .LBB805_71
; %bb.1:
	v_mov_b64_e32 v[2:3], s[70:71]
	flat_load_dword v1, v[2:3]
	s_add_i32 s3, s33, s58
	v_cmp_gt_u32_e32 vcc, s3, v0
	s_waitcnt vmcnt(0) lgkmcnt(0)
	v_mov_b32_e32 v2, v1
	s_and_saveexec_b64 s[4:5], vcc
	s_cbranch_execz .LBB805_3
; %bb.2:
	v_lshlrev_b32_e32 v2, 2, v0
	v_mov_b32_e32 v3, 0
	v_lshl_add_u64 v[2:3], s[70:71], 0, v[2:3]
	flat_load_dword v2, v[2:3]
.LBB805_3:
	s_or_b64 exec, exec, s[4:5]
	v_or_b32_e32 v3, 0x100, v0
	v_cmp_gt_u32_e64 s[48:49], s3, v3
	v_mov_b32_e32 v3, v1
	s_and_saveexec_b64 s[4:5], s[48:49]
	s_cbranch_execz .LBB805_5
; %bb.4:
	v_lshlrev_b32_e32 v4, 2, v0
	v_mov_b32_e32 v5, 0
	v_lshl_add_u64 v[4:5], s[70:71], 0, v[4:5]
	flat_load_dword v3, v[4:5] offset:1024
.LBB805_5:
	s_or_b64 exec, exec, s[4:5]
	v_or_b32_e32 v4, 0x200, v0
	v_cmp_gt_u32_e64 s[4:5], s3, v4
	v_mov_b32_e32 v4, v1
	s_and_saveexec_b64 s[6:7], s[4:5]
	s_cbranch_execz .LBB805_7
; %bb.6:
	v_lshlrev_b32_e32 v4, 2, v0
	v_mov_b32_e32 v5, 0
	v_lshl_add_u64 v[4:5], s[70:71], 0, v[4:5]
	flat_load_dword v4, v[4:5] offset:2048
.LBB805_7:
	;; [unrolled: 12-line block ×3, first 2 shown]
	s_or_b64 exec, exec, s[8:9]
	v_or_b32_e32 v12, 0x400, v0
	v_cmp_gt_u32_e64 s[8:9], s3, v12
	v_mov_b32_e32 v6, v1
	s_and_saveexec_b64 s[10:11], s[8:9]
	s_cbranch_execz .LBB805_11
; %bb.10:
	v_lshlrev_b32_e32 v6, 2, v12
	v_mov_b32_e32 v7, 0
	v_lshl_add_u64 v[6:7], s[70:71], 0, v[6:7]
	flat_load_dword v6, v[6:7]
.LBB805_11:
	s_or_b64 exec, exec, s[10:11]
	v_or_b32_e32 v13, 0x500, v0
	v_cmp_gt_u32_e64 s[10:11], s3, v13
	v_mov_b32_e32 v7, v1
	s_and_saveexec_b64 s[12:13], s[10:11]
	s_cbranch_execz .LBB805_13
; %bb.12:
	v_lshlrev_b32_e32 v8, 2, v13
	v_mov_b32_e32 v9, 0
	v_lshl_add_u64 v[8:9], s[70:71], 0, v[8:9]
	flat_load_dword v7, v[8:9]
.LBB805_13:
	;; [unrolled: 12-line block ×18, first 2 shown]
	s_or_b64 exec, exec, s[46:47]
	v_or_b32_e32 v30, 0x1600, v0
	v_cmp_gt_u32_e64 s[46:47], s3, v30
	s_and_saveexec_b64 s[50:51], s[46:47]
	s_cbranch_execz .LBB805_47
; %bb.46:
	v_lshlrev_b32_e32 v44, 2, v30
	v_mov_b32_e32 v45, 0
	v_lshl_add_u64 v[44:45], s[70:71], 0, v[44:45]
	flat_load_dword v1, v[44:45]
.LBB805_47:
	s_or_b64 exec, exec, s[50:51]
	v_lshlrev_b32_e32 v10, 2, v0
	s_waitcnt vmcnt(0) lgkmcnt(0)
	ds_write2st64_b32 v10, v2, v3 offset1:4
	ds_write2st64_b32 v10, v4, v5 offset0:8 offset1:12
	ds_write2st64_b32 v10, v6, v7 offset0:16 offset1:20
	;; [unrolled: 1-line block ×10, first 2 shown]
	ds_write_b32 v10, v1 offset:22528
	v_mov_b64_e32 v[2:3], s[70:71]
	s_waitcnt lgkmcnt(0)
	s_barrier
	flat_load_dword v1, v[2:3]
	s_movk_i32 s50, 0x58
	v_mad_u32_u24 v68, v0, s50, v10
	s_movk_i32 s50, 0xffa8
	v_mad_i32_i24 v11, v0, s50, v68
	s_movk_i32 s50, 0xff
	v_cmp_ne_u32_e64 s[50:51], s50, v0
	ds_read2_b32 v[2:3], v68 offset1:1
	ds_read2_b32 v[66:67], v68 offset0:2 offset1:3
	ds_read2_b32 v[64:65], v68 offset0:4 offset1:5
	;; [unrolled: 1-line block ×10, first 2 shown]
	ds_read_b32 v69, v68 offset:88
	s_waitcnt lgkmcnt(0)
	ds_write_b32 v11, v2 offset:24576
	s_waitcnt lgkmcnt(0)
	s_barrier
	s_and_saveexec_b64 s[60:61], s[50:51]
	s_cbranch_execz .LBB805_49
; %bb.48:
	s_waitcnt vmcnt(0)
	ds_read_b32 v1, v10 offset:24580
.LBB805_49:
	s_or_b64 exec, exec, s[60:61]
	v_mov_b32_e32 v11, 0
	s_waitcnt lgkmcnt(0)
	s_barrier
	s_waitcnt lgkmcnt(0)
                                        ; implicit-def: $vgpr2
	s_and_saveexec_b64 s[50:51], vcc
	s_cbranch_execz .LBB805_72
; %bb.50:
	v_lshl_add_u64 v[32:33], s[52:53], 0, v[10:11]
	flat_load_dword v2, v[32:33]
	s_or_b64 exec, exec, s[50:51]
                                        ; implicit-def: $vgpr31
	s_and_saveexec_b64 s[50:51], s[48:49]
	s_cbranch_execnz .LBB805_73
.LBB805_51:
	s_or_b64 exec, exec, s[50:51]
                                        ; implicit-def: $vgpr32
	s_and_saveexec_b64 s[48:49], s[4:5]
	s_cbranch_execz .LBB805_74
.LBB805_52:
	v_mov_b32_e32 v11, 0
	v_lshl_add_u64 v[32:33], s[52:53], 0, v[10:11]
	flat_load_dword v32, v[32:33] offset:2048
	s_or_b64 exec, exec, s[48:49]
                                        ; implicit-def: $vgpr11
	s_and_saveexec_b64 s[4:5], s[6:7]
	s_cbranch_execnz .LBB805_75
.LBB805_53:
	s_or_b64 exec, exec, s[4:5]
                                        ; implicit-def: $vgpr33
	s_and_saveexec_b64 s[4:5], s[8:9]
	s_cbranch_execz .LBB805_76
.LBB805_54:
	v_lshlrev_b32_e32 v34, 2, v12
	v_mov_b32_e32 v35, 0
	v_lshl_add_u64 v[34:35], s[52:53], 0, v[34:35]
	flat_load_dword v33, v[34:35]
	s_or_b64 exec, exec, s[4:5]
                                        ; implicit-def: $vgpr12
	s_and_saveexec_b64 s[4:5], s[10:11]
	s_cbranch_execnz .LBB805_77
.LBB805_55:
	s_or_b64 exec, exec, s[4:5]
                                        ; implicit-def: $vgpr13
	s_and_saveexec_b64 s[4:5], s[12:13]
	s_cbranch_execz .LBB805_78
.LBB805_56:
	v_lshlrev_b32_e32 v34, 2, v14
	v_mov_b32_e32 v35, 0
	v_lshl_add_u64 v[34:35], s[52:53], 0, v[34:35]
	flat_load_dword v13, v[34:35]
	s_or_b64 exec, exec, s[4:5]
                                        ; implicit-def: $vgpr14
	s_and_saveexec_b64 s[4:5], s[14:15]
	s_cbranch_execnz .LBB805_79
.LBB805_57:
	s_or_b64 exec, exec, s[4:5]
                                        ; implicit-def: $vgpr15
	s_and_saveexec_b64 s[4:5], s[16:17]
	s_cbranch_execz .LBB805_80
.LBB805_58:
	v_lshlrev_b32_e32 v34, 2, v16
	v_mov_b32_e32 v35, 0
	v_lshl_add_u64 v[34:35], s[52:53], 0, v[34:35]
	flat_load_dword v15, v[34:35]
	s_or_b64 exec, exec, s[4:5]
                                        ; implicit-def: $vgpr16
	s_and_saveexec_b64 s[4:5], s[18:19]
	s_cbranch_execnz .LBB805_81
.LBB805_59:
	s_or_b64 exec, exec, s[4:5]
                                        ; implicit-def: $vgpr17
	s_and_saveexec_b64 s[4:5], s[20:21]
	s_cbranch_execz .LBB805_82
.LBB805_60:
	v_lshlrev_b32_e32 v34, 2, v18
	v_mov_b32_e32 v35, 0
	v_lshl_add_u64 v[34:35], s[52:53], 0, v[34:35]
	flat_load_dword v17, v[34:35]
	s_or_b64 exec, exec, s[4:5]
                                        ; implicit-def: $vgpr18
	s_and_saveexec_b64 s[4:5], s[22:23]
	s_cbranch_execnz .LBB805_83
.LBB805_61:
	s_or_b64 exec, exec, s[4:5]
                                        ; implicit-def: $vgpr19
	s_and_saveexec_b64 s[4:5], s[24:25]
	s_cbranch_execz .LBB805_84
.LBB805_62:
	v_lshlrev_b32_e32 v34, 2, v20
	v_mov_b32_e32 v35, 0
	v_lshl_add_u64 v[34:35], s[52:53], 0, v[34:35]
	flat_load_dword v19, v[34:35]
	s_or_b64 exec, exec, s[4:5]
                                        ; implicit-def: $vgpr20
	s_and_saveexec_b64 s[4:5], s[26:27]
	s_cbranch_execnz .LBB805_85
.LBB805_63:
	s_or_b64 exec, exec, s[4:5]
                                        ; implicit-def: $vgpr21
	s_and_saveexec_b64 s[4:5], s[28:29]
	s_cbranch_execz .LBB805_86
.LBB805_64:
	v_lshlrev_b32_e32 v34, 2, v22
	v_mov_b32_e32 v35, 0
	v_lshl_add_u64 v[34:35], s[52:53], 0, v[34:35]
	flat_load_dword v21, v[34:35]
	s_or_b64 exec, exec, s[4:5]
                                        ; implicit-def: $vgpr22
	s_and_saveexec_b64 s[4:5], s[30:31]
	s_cbranch_execnz .LBB805_87
.LBB805_65:
	s_or_b64 exec, exec, s[4:5]
                                        ; implicit-def: $vgpr23
	s_and_saveexec_b64 s[4:5], s[34:35]
	s_cbranch_execz .LBB805_88
.LBB805_66:
	v_lshlrev_b32_e32 v34, 2, v24
	v_mov_b32_e32 v35, 0
	v_lshl_add_u64 v[34:35], s[52:53], 0, v[34:35]
	flat_load_dword v23, v[34:35]
	s_or_b64 exec, exec, s[4:5]
                                        ; implicit-def: $vgpr24
	s_and_saveexec_b64 s[4:5], s[36:37]
	s_cbranch_execnz .LBB805_89
.LBB805_67:
	s_or_b64 exec, exec, s[4:5]
                                        ; implicit-def: $vgpr25
	s_and_saveexec_b64 s[4:5], s[38:39]
	s_cbranch_execz .LBB805_90
.LBB805_68:
	v_lshlrev_b32_e32 v34, 2, v26
	v_mov_b32_e32 v35, 0
	v_lshl_add_u64 v[34:35], s[52:53], 0, v[34:35]
	flat_load_dword v25, v[34:35]
	s_or_b64 exec, exec, s[4:5]
                                        ; implicit-def: $vgpr26
	s_and_saveexec_b64 s[4:5], s[40:41]
	s_cbranch_execnz .LBB805_91
.LBB805_69:
	s_or_b64 exec, exec, s[4:5]
                                        ; implicit-def: $vgpr27
	s_and_saveexec_b64 s[4:5], s[42:43]
	s_cbranch_execz .LBB805_92
.LBB805_70:
	v_lshlrev_b32_e32 v34, 2, v28
	v_mov_b32_e32 v35, 0
	v_lshl_add_u64 v[34:35], s[52:53], 0, v[34:35]
	flat_load_dword v27, v[34:35]
	s_or_b64 exec, exec, s[4:5]
                                        ; implicit-def: $vgpr28
	s_and_saveexec_b64 s[4:5], s[44:45]
	s_cbranch_execz .LBB805_94
	s_branch .LBB805_93
.LBB805_71:
	s_mov_b64 s[10:11], 0
                                        ; implicit-def: $sgpr8_sgpr9
                                        ; implicit-def: $vgpr2
                                        ; implicit-def: $vgpr10_vgpr11
                                        ; implicit-def: $vgpr12_vgpr13
                                        ; implicit-def: $vgpr14_vgpr15
                                        ; implicit-def: $vgpr16_vgpr17
                                        ; implicit-def: $vgpr18_vgpr19
                                        ; implicit-def: $vgpr20_vgpr21
                                        ; implicit-def: $vgpr22_vgpr23
                                        ; implicit-def: $vgpr24_vgpr25
                                        ; implicit-def: $vgpr26_vgpr27
                                        ; implicit-def: $vgpr28_vgpr29
                                        ; implicit-def: $vgpr30_vgpr31
                                        ; implicit-def: $vgpr32_vgpr33
                                        ; implicit-def: $vgpr34_vgpr35
                                        ; implicit-def: $vgpr36_vgpr37
                                        ; implicit-def: $vgpr38_vgpr39
                                        ; implicit-def: $vgpr40_vgpr41
                                        ; implicit-def: $vgpr42_vgpr43
                                        ; implicit-def: $vgpr44_vgpr45
                                        ; implicit-def: $vgpr46_vgpr47
                                        ; implicit-def: $vgpr48_vgpr49
                                        ; implicit-def: $vgpr50_vgpr51
                                        ; implicit-def: $vgpr52_vgpr53
                                        ; implicit-def: $sgpr6_sgpr7
	s_and_b64 vcc, exec, s[4:5]
	v_lshlrev_b32_e32 v54, 2, v0
	s_cbranch_vccz .LBB805_148
	s_branch .LBB805_143
.LBB805_72:
	s_or_b64 exec, exec, s[50:51]
                                        ; implicit-def: $vgpr31
	s_and_saveexec_b64 s[50:51], s[48:49]
	s_cbranch_execz .LBB805_51
.LBB805_73:
	v_mov_b32_e32 v11, 0
	v_lshl_add_u64 v[32:33], s[52:53], 0, v[10:11]
	flat_load_dword v31, v[32:33] offset:1024
	s_or_b64 exec, exec, s[50:51]
                                        ; implicit-def: $vgpr32
	s_and_saveexec_b64 s[48:49], s[4:5]
	s_cbranch_execnz .LBB805_52
.LBB805_74:
	s_or_b64 exec, exec, s[48:49]
                                        ; implicit-def: $vgpr11
	s_and_saveexec_b64 s[4:5], s[6:7]
	s_cbranch_execz .LBB805_53
.LBB805_75:
	v_mov_b32_e32 v11, 0
	v_lshl_add_u64 v[34:35], s[52:53], 0, v[10:11]
	flat_load_dword v11, v[34:35] offset:3072
	s_or_b64 exec, exec, s[4:5]
                                        ; implicit-def: $vgpr33
	s_and_saveexec_b64 s[4:5], s[8:9]
	s_cbranch_execnz .LBB805_54
.LBB805_76:
	s_or_b64 exec, exec, s[4:5]
                                        ; implicit-def: $vgpr12
	s_and_saveexec_b64 s[4:5], s[10:11]
	s_cbranch_execz .LBB805_55
.LBB805_77:
	v_lshlrev_b32_e32 v12, 2, v13
	v_mov_b32_e32 v13, 0
	v_lshl_add_u64 v[12:13], s[52:53], 0, v[12:13]
	flat_load_dword v12, v[12:13]
	s_or_b64 exec, exec, s[4:5]
                                        ; implicit-def: $vgpr13
	s_and_saveexec_b64 s[4:5], s[12:13]
	s_cbranch_execnz .LBB805_56
.LBB805_78:
	s_or_b64 exec, exec, s[4:5]
                                        ; implicit-def: $vgpr14
	s_and_saveexec_b64 s[4:5], s[14:15]
	s_cbranch_execz .LBB805_57
.LBB805_79:
	v_lshlrev_b32_e32 v14, 2, v15
	v_mov_b32_e32 v15, 0
	v_lshl_add_u64 v[14:15], s[52:53], 0, v[14:15]
	flat_load_dword v14, v[14:15]
	s_or_b64 exec, exec, s[4:5]
                                        ; implicit-def: $vgpr15
	s_and_saveexec_b64 s[4:5], s[16:17]
	s_cbranch_execnz .LBB805_58
.LBB805_80:
	s_or_b64 exec, exec, s[4:5]
                                        ; implicit-def: $vgpr16
	s_and_saveexec_b64 s[4:5], s[18:19]
	s_cbranch_execz .LBB805_59
.LBB805_81:
	v_lshlrev_b32_e32 v16, 2, v17
	v_mov_b32_e32 v17, 0
	v_lshl_add_u64 v[16:17], s[52:53], 0, v[16:17]
	flat_load_dword v16, v[16:17]
	s_or_b64 exec, exec, s[4:5]
                                        ; implicit-def: $vgpr17
	s_and_saveexec_b64 s[4:5], s[20:21]
	s_cbranch_execnz .LBB805_60
.LBB805_82:
	s_or_b64 exec, exec, s[4:5]
                                        ; implicit-def: $vgpr18
	s_and_saveexec_b64 s[4:5], s[22:23]
	s_cbranch_execz .LBB805_61
.LBB805_83:
	v_lshlrev_b32_e32 v18, 2, v19
	v_mov_b32_e32 v19, 0
	v_lshl_add_u64 v[18:19], s[52:53], 0, v[18:19]
	flat_load_dword v18, v[18:19]
	s_or_b64 exec, exec, s[4:5]
                                        ; implicit-def: $vgpr19
	s_and_saveexec_b64 s[4:5], s[24:25]
	s_cbranch_execnz .LBB805_62
.LBB805_84:
	s_or_b64 exec, exec, s[4:5]
                                        ; implicit-def: $vgpr20
	s_and_saveexec_b64 s[4:5], s[26:27]
	s_cbranch_execz .LBB805_63
.LBB805_85:
	v_lshlrev_b32_e32 v20, 2, v21
	v_mov_b32_e32 v21, 0
	v_lshl_add_u64 v[20:21], s[52:53], 0, v[20:21]
	flat_load_dword v20, v[20:21]
	s_or_b64 exec, exec, s[4:5]
                                        ; implicit-def: $vgpr21
	s_and_saveexec_b64 s[4:5], s[28:29]
	s_cbranch_execnz .LBB805_64
.LBB805_86:
	s_or_b64 exec, exec, s[4:5]
                                        ; implicit-def: $vgpr22
	s_and_saveexec_b64 s[4:5], s[30:31]
	s_cbranch_execz .LBB805_65
.LBB805_87:
	v_lshlrev_b32_e32 v22, 2, v23
	v_mov_b32_e32 v23, 0
	v_lshl_add_u64 v[22:23], s[52:53], 0, v[22:23]
	flat_load_dword v22, v[22:23]
	s_or_b64 exec, exec, s[4:5]
                                        ; implicit-def: $vgpr23
	s_and_saveexec_b64 s[4:5], s[34:35]
	s_cbranch_execnz .LBB805_66
.LBB805_88:
	s_or_b64 exec, exec, s[4:5]
                                        ; implicit-def: $vgpr24
	s_and_saveexec_b64 s[4:5], s[36:37]
	s_cbranch_execz .LBB805_67
.LBB805_89:
	v_lshlrev_b32_e32 v24, 2, v25
	v_mov_b32_e32 v25, 0
	v_lshl_add_u64 v[24:25], s[52:53], 0, v[24:25]
	flat_load_dword v24, v[24:25]
	s_or_b64 exec, exec, s[4:5]
                                        ; implicit-def: $vgpr25
	s_and_saveexec_b64 s[4:5], s[38:39]
	s_cbranch_execnz .LBB805_68
.LBB805_90:
	s_or_b64 exec, exec, s[4:5]
                                        ; implicit-def: $vgpr26
	s_and_saveexec_b64 s[4:5], s[40:41]
	s_cbranch_execz .LBB805_69
.LBB805_91:
	v_lshlrev_b32_e32 v26, 2, v27
	v_mov_b32_e32 v27, 0
	v_lshl_add_u64 v[26:27], s[52:53], 0, v[26:27]
	flat_load_dword v26, v[26:27]
	s_or_b64 exec, exec, s[4:5]
                                        ; implicit-def: $vgpr27
	s_and_saveexec_b64 s[4:5], s[42:43]
	s_cbranch_execnz .LBB805_70
.LBB805_92:
	s_or_b64 exec, exec, s[4:5]
                                        ; implicit-def: $vgpr28
	s_and_saveexec_b64 s[4:5], s[44:45]
	s_cbranch_execz .LBB805_94
.LBB805_93:
	v_lshlrev_b32_e32 v28, 2, v29
	v_mov_b32_e32 v29, 0
	v_lshl_add_u64 v[28:29], s[52:53], 0, v[28:29]
	flat_load_dword v28, v[28:29]
.LBB805_94:
	s_or_b64 exec, exec, s[4:5]
	v_mul_u32_u24_e32 v70, 23, v0
                                        ; implicit-def: $vgpr29
	s_and_saveexec_b64 s[4:5], s[46:47]
	s_cbranch_execz .LBB805_96
; %bb.95:
	v_lshlrev_b32_e32 v34, 2, v30
	v_mov_b32_e32 v35, 0
	v_lshl_add_u64 v[34:35], s[52:53], 0, v[34:35]
	flat_load_dword v29, v[34:35]
.LBB805_96:
	s_or_b64 exec, exec, s[4:5]
	s_waitcnt vmcnt(0) lgkmcnt(0)
	ds_write2st64_b32 v10, v2, v31 offset1:4
	ds_write2st64_b32 v10, v32, v11 offset0:8 offset1:12
	ds_write2st64_b32 v10, v33, v12 offset0:16 offset1:20
	;; [unrolled: 1-line block ×10, first 2 shown]
	ds_write_b32 v10, v29 offset:22528
	v_mov_b64_e32 v[10:11], 0
	v_cmp_gt_u32_e32 vcc, s3, v70
	s_mov_b64 s[10:11], 0
	s_mov_b64 s[4:5], 0
	v_mov_b64_e32 v[12:13], v[10:11]
	v_mov_b64_e32 v[14:15], v[10:11]
	;; [unrolled: 1-line block ×21, first 2 shown]
	s_waitcnt lgkmcnt(0)
	s_barrier
	s_waitcnt lgkmcnt(0)
                                        ; implicit-def: $sgpr8_sgpr9
                                        ; implicit-def: $vgpr2
	s_and_saveexec_b64 s[6:7], vcc
	s_cbranch_execz .LBB805_142
; %bb.97:
	ds_read_b32 v2, v68
	v_mov_b32_e32 v10, s76
	v_cmp_eq_u32_e32 vcc, 0, v3
	v_add_u32_e32 v12, 1, v70
	s_mov_b64 s[12:13], 0
	s_waitcnt lgkmcnt(0)
	v_cndmask_b32_e32 v10, v10, v2, vcc
	v_cmp_ne_u32_e32 vcc, 0, v3
                                        ; implicit-def: $sgpr14_sgpr15
                                        ; implicit-def: $vgpr2
	s_nop 1
	v_cndmask_b32_e64 v11, 0, 1, vcc
	v_cmp_gt_u32_e32 vcc, s3, v12
	v_mov_b64_e32 v[12:13], 0
	v_mov_b64_e32 v[14:15], v[12:13]
	;; [unrolled: 1-line block ×21, first 2 shown]
	s_and_saveexec_b64 s[8:9], vcc
	s_cbranch_execz .LBB805_141
; %bb.98:
	ds_read2_b32 v[2:3], v68 offset0:1 offset1:2
	v_mov_b32_e32 v12, s76
	v_cmp_eq_u32_e32 vcc, 0, v66
	v_add_u32_e32 v14, 2, v70
	s_mov_b64 s[14:15], 0
	s_waitcnt lgkmcnt(0)
	v_cndmask_b32_e32 v12, v12, v2, vcc
	v_cmp_ne_u32_e32 vcc, 0, v66
                                        ; implicit-def: $sgpr16_sgpr17
                                        ; implicit-def: $vgpr2
	s_nop 1
	v_cndmask_b32_e64 v13, 0, 1, vcc
	v_cmp_gt_u32_e32 vcc, s3, v14
	v_mov_b64_e32 v[14:15], 0
	v_mov_b64_e32 v[16:17], v[14:15]
	;; [unrolled: 1-line block ×20, first 2 shown]
	s_and_saveexec_b64 s[10:11], vcc
	s_cbranch_execz .LBB805_140
; %bb.99:
	v_mov_b32_e32 v14, s76
	v_cmp_eq_u32_e32 vcc, 0, v67
	v_add_u32_e32 v2, 3, v70
	v_mov_b64_e32 v[16:17], 0
	v_cndmask_b32_e32 v14, v14, v3, vcc
	v_cmp_ne_u32_e32 vcc, 0, v67
	s_mov_b64 s[16:17], 0
	v_mov_b64_e32 v[18:19], v[16:17]
	v_cndmask_b32_e64 v15, 0, 1, vcc
	v_cmp_gt_u32_e32 vcc, s3, v2
	v_mov_b64_e32 v[20:21], v[16:17]
	v_mov_b64_e32 v[22:23], v[16:17]
	;; [unrolled: 1-line block ×17, first 2 shown]
                                        ; implicit-def: $sgpr18_sgpr19
                                        ; implicit-def: $vgpr2
	s_and_saveexec_b64 s[12:13], vcc
	s_cbranch_execz .LBB805_139
; %bb.100:
	ds_read2_b32 v[2:3], v68 offset0:3 offset1:4
	v_mov_b32_e32 v16, s76
	v_cmp_eq_u32_e32 vcc, 0, v64
	v_add_u32_e32 v18, 4, v70
	s_mov_b64 s[18:19], 0
	s_waitcnt lgkmcnt(0)
	v_cndmask_b32_e32 v16, v16, v2, vcc
	v_cmp_ne_u32_e32 vcc, 0, v64
                                        ; implicit-def: $sgpr20_sgpr21
                                        ; implicit-def: $vgpr2
	s_nop 1
	v_cndmask_b32_e64 v17, 0, 1, vcc
	v_cmp_gt_u32_e32 vcc, s3, v18
	v_mov_b64_e32 v[18:19], 0
	v_mov_b64_e32 v[20:21], v[18:19]
	;; [unrolled: 1-line block ×18, first 2 shown]
	s_and_saveexec_b64 s[14:15], vcc
	s_cbranch_execz .LBB805_138
; %bb.101:
	v_mov_b32_e32 v18, s76
	v_cmp_eq_u32_e32 vcc, 0, v65
	v_add_u32_e32 v2, 5, v70
	v_mov_b64_e32 v[20:21], 0
	v_cndmask_b32_e32 v18, v18, v3, vcc
	v_cmp_ne_u32_e32 vcc, 0, v65
	s_mov_b64 s[20:21], 0
	v_mov_b64_e32 v[22:23], v[20:21]
	v_cndmask_b32_e64 v19, 0, 1, vcc
	v_cmp_gt_u32_e32 vcc, s3, v2
	v_mov_b64_e32 v[24:25], v[20:21]
	v_mov_b64_e32 v[26:27], v[20:21]
	;; [unrolled: 1-line block ×15, first 2 shown]
                                        ; implicit-def: $sgpr22_sgpr23
                                        ; implicit-def: $vgpr2
	s_and_saveexec_b64 s[16:17], vcc
	s_cbranch_execz .LBB805_137
; %bb.102:
	ds_read2_b32 v[2:3], v68 offset0:5 offset1:6
	v_mov_b32_e32 v20, s76
	v_cmp_eq_u32_e32 vcc, 0, v62
	v_add_u32_e32 v22, 6, v70
	s_mov_b64 s[22:23], 0
	s_waitcnt lgkmcnt(0)
	v_cndmask_b32_e32 v20, v20, v2, vcc
	v_cmp_ne_u32_e32 vcc, 0, v62
                                        ; implicit-def: $sgpr24_sgpr25
                                        ; implicit-def: $vgpr2
	s_nop 1
	v_cndmask_b32_e64 v21, 0, 1, vcc
	v_cmp_gt_u32_e32 vcc, s3, v22
	v_mov_b64_e32 v[22:23], 0
	v_mov_b64_e32 v[24:25], v[22:23]
	;; [unrolled: 1-line block ×16, first 2 shown]
	s_and_saveexec_b64 s[18:19], vcc
	s_cbranch_execz .LBB805_136
; %bb.103:
	v_mov_b32_e32 v22, s76
	v_cmp_eq_u32_e32 vcc, 0, v63
	v_add_u32_e32 v2, 7, v70
	v_mov_b64_e32 v[24:25], 0
	v_cndmask_b32_e32 v22, v22, v3, vcc
	v_cmp_ne_u32_e32 vcc, 0, v63
	s_mov_b64 s[24:25], 0
	v_mov_b64_e32 v[26:27], v[24:25]
	v_cndmask_b32_e64 v23, 0, 1, vcc
	v_cmp_gt_u32_e32 vcc, s3, v2
	v_mov_b64_e32 v[28:29], v[24:25]
	v_mov_b64_e32 v[30:31], v[24:25]
	;; [unrolled: 1-line block ×13, first 2 shown]
                                        ; implicit-def: $sgpr26_sgpr27
                                        ; implicit-def: $vgpr2
	s_and_saveexec_b64 s[20:21], vcc
	s_cbranch_execz .LBB805_135
; %bb.104:
	ds_read2_b32 v[2:3], v68 offset0:7 offset1:8
	v_mov_b32_e32 v24, s76
	v_cmp_eq_u32_e32 vcc, 0, v60
	v_add_u32_e32 v26, 8, v70
	s_mov_b64 s[26:27], 0
	s_waitcnt lgkmcnt(0)
	v_cndmask_b32_e32 v24, v24, v2, vcc
	v_cmp_ne_u32_e32 vcc, 0, v60
                                        ; implicit-def: $sgpr28_sgpr29
                                        ; implicit-def: $vgpr2
	s_nop 1
	v_cndmask_b32_e64 v25, 0, 1, vcc
	v_cmp_gt_u32_e32 vcc, s3, v26
	v_mov_b64_e32 v[26:27], 0
	v_mov_b64_e32 v[28:29], v[26:27]
	;; [unrolled: 1-line block ×14, first 2 shown]
	s_and_saveexec_b64 s[22:23], vcc
	s_cbranch_execz .LBB805_134
; %bb.105:
	v_mov_b32_e32 v26, s76
	v_cmp_eq_u32_e32 vcc, 0, v61
	v_add_u32_e32 v2, 9, v70
	v_mov_b64_e32 v[28:29], 0
	v_cndmask_b32_e32 v26, v26, v3, vcc
	v_cmp_ne_u32_e32 vcc, 0, v61
	s_mov_b64 s[28:29], 0
	v_mov_b64_e32 v[30:31], v[28:29]
	v_cndmask_b32_e64 v27, 0, 1, vcc
	v_cmp_gt_u32_e32 vcc, s3, v2
	v_mov_b64_e32 v[32:33], v[28:29]
	v_mov_b64_e32 v[34:35], v[28:29]
	;; [unrolled: 1-line block ×11, first 2 shown]
                                        ; implicit-def: $sgpr30_sgpr31
                                        ; implicit-def: $vgpr2
	s_and_saveexec_b64 s[24:25], vcc
	s_cbranch_execz .LBB805_133
; %bb.106:
	ds_read2_b32 v[2:3], v68 offset0:9 offset1:10
	v_mov_b32_e32 v28, s76
	v_cmp_eq_u32_e32 vcc, 0, v58
	v_add_u32_e32 v30, 10, v70
	s_mov_b64 s[30:31], 0
	s_waitcnt lgkmcnt(0)
	v_cndmask_b32_e32 v28, v28, v2, vcc
	v_cmp_ne_u32_e32 vcc, 0, v58
                                        ; implicit-def: $sgpr34_sgpr35
                                        ; implicit-def: $vgpr2
	s_nop 1
	v_cndmask_b32_e64 v29, 0, 1, vcc
	v_cmp_gt_u32_e32 vcc, s3, v30
	v_mov_b64_e32 v[30:31], 0
	v_mov_b64_e32 v[32:33], v[30:31]
	;; [unrolled: 1-line block ×12, first 2 shown]
	s_and_saveexec_b64 s[26:27], vcc
	s_cbranch_execz .LBB805_132
; %bb.107:
	v_mov_b32_e32 v30, s76
	v_cmp_eq_u32_e32 vcc, 0, v59
	v_add_u32_e32 v2, 11, v70
	v_mov_b64_e32 v[32:33], 0
	v_cndmask_b32_e32 v30, v30, v3, vcc
	v_cmp_ne_u32_e32 vcc, 0, v59
	s_mov_b64 s[34:35], 0
	v_mov_b64_e32 v[34:35], v[32:33]
	v_cndmask_b32_e64 v31, 0, 1, vcc
	v_cmp_gt_u32_e32 vcc, s3, v2
	v_mov_b64_e32 v[36:37], v[32:33]
	v_mov_b64_e32 v[38:39], v[32:33]
	;; [unrolled: 1-line block ×9, first 2 shown]
                                        ; implicit-def: $sgpr36_sgpr37
                                        ; implicit-def: $vgpr2
	s_and_saveexec_b64 s[28:29], vcc
	s_cbranch_execz .LBB805_131
; %bb.108:
	ds_read2_b32 v[2:3], v68 offset0:11 offset1:12
	v_mov_b32_e32 v32, s76
	v_cmp_eq_u32_e32 vcc, 0, v56
	v_add_u32_e32 v34, 12, v70
	s_mov_b64 s[36:37], 0
	s_waitcnt lgkmcnt(0)
	v_cndmask_b32_e32 v32, v32, v2, vcc
	v_cmp_ne_u32_e32 vcc, 0, v56
                                        ; implicit-def: $sgpr38_sgpr39
                                        ; implicit-def: $vgpr2
	s_nop 1
	v_cndmask_b32_e64 v33, 0, 1, vcc
	v_cmp_gt_u32_e32 vcc, s3, v34
	v_mov_b64_e32 v[34:35], 0
	v_mov_b64_e32 v[36:37], v[34:35]
	;; [unrolled: 1-line block ×10, first 2 shown]
	s_and_saveexec_b64 s[30:31], vcc
	s_cbranch_execz .LBB805_130
; %bb.109:
	v_mov_b32_e32 v34, s76
	v_cmp_eq_u32_e32 vcc, 0, v57
	v_add_u32_e32 v2, 13, v70
	v_mov_b64_e32 v[36:37], 0
	v_cndmask_b32_e32 v34, v34, v3, vcc
	v_cmp_ne_u32_e32 vcc, 0, v57
	s_mov_b64 s[38:39], 0
	v_mov_b64_e32 v[38:39], v[36:37]
	v_cndmask_b32_e64 v35, 0, 1, vcc
	v_cmp_gt_u32_e32 vcc, s3, v2
	v_mov_b64_e32 v[40:41], v[36:37]
	v_mov_b64_e32 v[42:43], v[36:37]
	;; [unrolled: 1-line block ×7, first 2 shown]
                                        ; implicit-def: $sgpr40_sgpr41
                                        ; implicit-def: $vgpr2
	s_and_saveexec_b64 s[34:35], vcc
	s_cbranch_execz .LBB805_129
; %bb.110:
	ds_read2_b32 v[2:3], v68 offset0:13 offset1:14
	v_mov_b32_e32 v36, s76
	v_cmp_eq_u32_e32 vcc, 0, v54
	v_add_u32_e32 v38, 14, v70
	s_mov_b64 s[40:41], 0
	s_waitcnt lgkmcnt(0)
	v_cndmask_b32_e32 v36, v36, v2, vcc
	v_cmp_ne_u32_e32 vcc, 0, v54
                                        ; implicit-def: $sgpr42_sgpr43
                                        ; implicit-def: $vgpr2
	s_nop 1
	v_cndmask_b32_e64 v37, 0, 1, vcc
	v_cmp_gt_u32_e32 vcc, s3, v38
	v_mov_b64_e32 v[38:39], 0
	v_mov_b64_e32 v[40:41], v[38:39]
	v_mov_b64_e32 v[42:43], v[38:39]
	v_mov_b64_e32 v[44:45], v[38:39]
	v_mov_b64_e32 v[46:47], v[38:39]
	v_mov_b64_e32 v[48:49], v[38:39]
	v_mov_b64_e32 v[50:51], v[38:39]
	v_mov_b64_e32 v[52:53], v[38:39]
	s_and_saveexec_b64 s[36:37], vcc
	s_cbranch_execz .LBB805_128
; %bb.111:
	v_mov_b32_e32 v38, s76
	v_cmp_eq_u32_e32 vcc, 0, v55
	v_add_u32_e32 v2, 15, v70
	v_mov_b64_e32 v[40:41], 0
	v_cndmask_b32_e32 v38, v38, v3, vcc
	v_cmp_ne_u32_e32 vcc, 0, v55
	s_mov_b64 s[42:43], 0
	v_mov_b64_e32 v[42:43], v[40:41]
	v_cndmask_b32_e64 v39, 0, 1, vcc
	v_cmp_gt_u32_e32 vcc, s3, v2
	v_mov_b64_e32 v[44:45], v[40:41]
	v_mov_b64_e32 v[46:47], v[40:41]
	;; [unrolled: 1-line block ×5, first 2 shown]
                                        ; implicit-def: $sgpr44_sgpr45
                                        ; implicit-def: $vgpr2
	s_and_saveexec_b64 s[38:39], vcc
	s_cbranch_execz .LBB805_127
; %bb.112:
	ds_read2_b32 v[2:3], v68 offset0:15 offset1:16
	v_mov_b32_e32 v40, s76
	v_cmp_eq_u32_e32 vcc, 0, v8
	v_add_u32_e32 v42, 16, v70
	s_mov_b64 s[44:45], 0
	s_waitcnt lgkmcnt(0)
	v_cndmask_b32_e32 v40, v40, v2, vcc
	v_cmp_ne_u32_e32 vcc, 0, v8
                                        ; implicit-def: $sgpr46_sgpr47
                                        ; implicit-def: $vgpr2
	s_nop 1
	v_cndmask_b32_e64 v41, 0, 1, vcc
	v_cmp_gt_u32_e32 vcc, s3, v42
	v_mov_b64_e32 v[42:43], 0
	v_mov_b64_e32 v[44:45], v[42:43]
	;; [unrolled: 1-line block ×6, first 2 shown]
	s_and_saveexec_b64 s[40:41], vcc
	s_cbranch_execz .LBB805_126
; %bb.113:
	v_mov_b32_e32 v8, s76
	v_cmp_eq_u32_e32 vcc, 0, v9
	v_add_u32_e32 v2, 17, v70
	v_mov_b64_e32 v[44:45], 0
	v_cndmask_b32_e32 v42, v8, v3, vcc
	v_cmp_ne_u32_e32 vcc, 0, v9
	s_mov_b64 s[46:47], 0
	v_mov_b64_e32 v[46:47], v[44:45]
	v_cndmask_b32_e64 v43, 0, 1, vcc
	v_cmp_gt_u32_e32 vcc, s3, v2
	v_mov_b64_e32 v[48:49], v[44:45]
	v_mov_b64_e32 v[50:51], v[44:45]
	;; [unrolled: 1-line block ×3, first 2 shown]
                                        ; implicit-def: $sgpr48_sgpr49
                                        ; implicit-def: $vgpr2
	s_and_saveexec_b64 s[42:43], vcc
	s_cbranch_execz .LBB805_125
; %bb.114:
	ds_read2_b32 v[2:3], v68 offset0:17 offset1:18
	v_mov_b32_e32 v9, s76
	v_cmp_eq_u32_e32 vcc, 0, v6
	v_add_u32_e32 v8, 18, v70
	v_mov_b64_e32 v[46:47], 0
	s_waitcnt lgkmcnt(0)
	v_cndmask_b32_e32 v44, v9, v2, vcc
	v_cmp_ne_u32_e32 vcc, 0, v6
	s_mov_b64 s[48:49], 0
	v_mov_b64_e32 v[48:49], v[46:47]
	v_cndmask_b32_e64 v45, 0, 1, vcc
	v_cmp_gt_u32_e32 vcc, s3, v8
	v_mov_b64_e32 v[50:51], v[46:47]
	v_mov_b64_e32 v[52:53], v[46:47]
                                        ; implicit-def: $sgpr50_sgpr51
                                        ; implicit-def: $vgpr2
	s_and_saveexec_b64 s[44:45], vcc
	s_cbranch_execz .LBB805_124
; %bb.115:
	v_mov_b32_e32 v6, s76
	v_cmp_eq_u32_e32 vcc, 0, v7
	v_add_u32_e32 v2, 19, v70
	v_mov_b64_e32 v[48:49], 0
	v_cndmask_b32_e32 v46, v6, v3, vcc
	v_cmp_ne_u32_e32 vcc, 0, v7
	s_mov_b64 s[50:51], 0
	v_mov_b64_e32 v[50:51], v[48:49]
	v_cndmask_b32_e64 v47, 0, 1, vcc
	v_cmp_gt_u32_e32 vcc, s3, v2
	v_mov_b64_e32 v[52:53], v[48:49]
                                        ; implicit-def: $sgpr60_sgpr61
                                        ; implicit-def: $vgpr2
	s_and_saveexec_b64 s[46:47], vcc
	s_cbranch_execz .LBB805_123
; %bb.116:
	ds_read2_b32 v[2:3], v68 offset0:19 offset1:20
	v_mov_b32_e32 v7, s76
	v_cmp_eq_u32_e32 vcc, 0, v4
	v_add_u32_e32 v6, 20, v70
	v_mov_b64_e32 v[50:51], 0
	s_waitcnt lgkmcnt(0)
	v_cndmask_b32_e32 v48, v7, v2, vcc
	v_cmp_ne_u32_e32 vcc, 0, v4
	s_mov_b64 s[60:61], 0
	v_mov_b64_e32 v[52:53], v[50:51]
	v_cndmask_b32_e64 v49, 0, 1, vcc
	v_cmp_gt_u32_e32 vcc, s3, v6
                                        ; implicit-def: $sgpr72_sgpr73
                                        ; implicit-def: $vgpr2
	s_and_saveexec_b64 s[48:49], vcc
	s_cbranch_execz .LBB805_122
; %bb.117:
	v_mov_b32_e32 v4, s76
	v_cmp_eq_u32_e32 vcc, 0, v5
	v_add_u32_e32 v2, 21, v70
	v_mov_b64_e32 v[52:53], 0
	v_cndmask_b32_e32 v50, v4, v3, vcc
	v_cmp_ne_u32_e32 vcc, 0, v5
                                        ; implicit-def: $sgpr72_sgpr73
	s_nop 1
	v_cndmask_b32_e64 v51, 0, 1, vcc
	v_cmp_gt_u32_e32 vcc, s3, v2
                                        ; implicit-def: $vgpr2
	s_and_saveexec_b64 s[50:51], vcc
	s_cbranch_execz .LBB805_121
; %bb.118:
	ds_read2_b32 v[2:3], v68 offset0:21 offset1:22
	v_mov_b32_e32 v5, s76
	v_cmp_eq_u32_e32 vcc, 0, v69
	v_add_u32_e32 v4, 22, v70
                                        ; implicit-def: $sgpr72_sgpr73
	s_waitcnt lgkmcnt(0)
	v_cndmask_b32_e32 v52, v5, v2, vcc
	v_cmp_ne_u32_e32 vcc, 0, v69
                                        ; implicit-def: $vgpr2
	s_nop 1
	v_cndmask_b32_e64 v53, 0, 1, vcc
	v_cmp_gt_u32_e32 vcc, s3, v4
	s_and_saveexec_b64 s[74:75], vcc
	s_xor_b64 s[74:75], exec, s[74:75]
; %bb.119:
	v_mov_b32_e32 v2, s76
	v_cmp_ne_u32_e32 vcc, 0, v1
	s_mov_b64 s[60:61], exec
	s_and_b64 s[72:73], vcc, exec
	v_cndmask_b32_e32 v2, v3, v2, vcc
; %bb.120:
	s_or_b64 exec, exec, s[74:75]
	s_and_b64 s[72:73], s[72:73], exec
	s_and_b64 s[60:61], s[60:61], exec
.LBB805_121:
	s_or_b64 exec, exec, s[50:51]
	s_and_b64 s[72:73], s[72:73], exec
	s_and_b64 s[50:51], s[60:61], exec
.LBB805_122:
	s_or_b64 exec, exec, s[48:49]
	s_and_b64 s[60:61], s[72:73], exec
	s_and_b64 s[48:49], s[50:51], exec
.LBB805_123:
	s_or_b64 exec, exec, s[46:47]
	s_and_b64 s[50:51], s[60:61], exec
	s_and_b64 s[46:47], s[48:49], exec
.LBB805_124:
	s_or_b64 exec, exec, s[44:45]
	s_and_b64 s[48:49], s[50:51], exec
	s_and_b64 s[44:45], s[46:47], exec
.LBB805_125:
	s_or_b64 exec, exec, s[42:43]
	s_and_b64 s[46:47], s[48:49], exec
	s_and_b64 s[42:43], s[44:45], exec
.LBB805_126:
	s_or_b64 exec, exec, s[40:41]
	s_and_b64 s[44:45], s[46:47], exec
	s_and_b64 s[40:41], s[42:43], exec
.LBB805_127:
	s_or_b64 exec, exec, s[38:39]
	s_and_b64 s[42:43], s[44:45], exec
	s_and_b64 s[38:39], s[40:41], exec
.LBB805_128:
	s_or_b64 exec, exec, s[36:37]
	s_and_b64 s[40:41], s[42:43], exec
	s_and_b64 s[36:37], s[38:39], exec
.LBB805_129:
	s_or_b64 exec, exec, s[34:35]
	s_and_b64 s[38:39], s[40:41], exec
	s_and_b64 s[34:35], s[36:37], exec
.LBB805_130:
	s_or_b64 exec, exec, s[30:31]
	s_and_b64 s[36:37], s[38:39], exec
	s_and_b64 s[30:31], s[34:35], exec
.LBB805_131:
	s_or_b64 exec, exec, s[28:29]
	s_and_b64 s[34:35], s[36:37], exec
	s_and_b64 s[28:29], s[30:31], exec
.LBB805_132:
	s_or_b64 exec, exec, s[26:27]
	s_and_b64 s[30:31], s[34:35], exec
	s_and_b64 s[26:27], s[28:29], exec
.LBB805_133:
	s_or_b64 exec, exec, s[24:25]
	s_and_b64 s[28:29], s[30:31], exec
	s_and_b64 s[24:25], s[26:27], exec
.LBB805_134:
	s_or_b64 exec, exec, s[22:23]
	s_and_b64 s[26:27], s[28:29], exec
	s_and_b64 s[22:23], s[24:25], exec
.LBB805_135:
	s_or_b64 exec, exec, s[20:21]
	s_and_b64 s[24:25], s[26:27], exec
	s_and_b64 s[20:21], s[22:23], exec
.LBB805_136:
	s_or_b64 exec, exec, s[18:19]
	s_and_b64 s[22:23], s[24:25], exec
	s_and_b64 s[18:19], s[20:21], exec
.LBB805_137:
	s_or_b64 exec, exec, s[16:17]
	s_and_b64 s[20:21], s[22:23], exec
	s_and_b64 s[16:17], s[18:19], exec
.LBB805_138:
	s_or_b64 exec, exec, s[14:15]
	s_and_b64 s[18:19], s[20:21], exec
	s_and_b64 s[14:15], s[16:17], exec
.LBB805_139:
	s_or_b64 exec, exec, s[12:13]
	s_and_b64 s[16:17], s[18:19], exec
	s_and_b64 s[12:13], s[14:15], exec
.LBB805_140:
	s_or_b64 exec, exec, s[10:11]
	s_and_b64 s[14:15], s[16:17], exec
	s_and_b64 s[10:11], s[12:13], exec
.LBB805_141:
	s_or_b64 exec, exec, s[8:9]
	s_and_b64 s[8:9], s[14:15], exec
	s_and_b64 s[10:11], s[10:11], exec
.LBB805_142:
	s_or_b64 exec, exec, s[6:7]
	s_mov_b64 s[6:7], 0
	s_and_b64 vcc, exec, s[4:5]
	v_lshlrev_b32_e32 v54, 2, v0
	s_cbranch_vccz .LBB805_148
.LBB805_143:
	v_mov_b32_e32 v55, 0
	v_lshl_add_u64 v[2:3], s[70:71], 0, v[54:55]
	v_add_co_u32_e32 v4, vcc, 0x1000, v2
	s_movk_i32 s6, 0x58
	s_nop 0
	v_addc_co_u32_e32 v5, vcc, 0, v3, vcc
	flat_load_dword v1, v[2:3]
	flat_load_dword v8, v[2:3] offset:1024
	flat_load_dword v9, v[2:3] offset:2048
	;; [unrolled: 1-line block ×3, first 2 shown]
	flat_load_dword v11, v[4:5]
	flat_load_dword v12, v[4:5] offset:1024
	flat_load_dword v13, v[4:5] offset:2048
	;; [unrolled: 1-line block ×3, first 2 shown]
	v_add_co_u32_e32 v4, vcc, 0x2000, v2
	s_movk_i32 s10, 0x1000
	s_nop 0
	v_addc_co_u32_e32 v5, vcc, 0, v3, vcc
	v_add_co_u32_e32 v6, vcc, 0x3000, v2
	s_mov_b32 s4, 0
	s_nop 0
	v_addc_co_u32_e32 v7, vcc, 0, v3, vcc
	flat_load_dword v15, v[4:5]
	flat_load_dword v16, v[4:5] offset:1024
	flat_load_dword v17, v[4:5] offset:2048
	flat_load_dword v18, v[4:5] offset:3072
	flat_load_dword v19, v[6:7]
	flat_load_dword v20, v[6:7] offset:1024
	flat_load_dword v21, v[6:7] offset:2048
	;; [unrolled: 1-line block ×3, first 2 shown]
	v_add_co_u32_e32 v4, vcc, 0x4000, v2
	s_movk_i32 s9, 0x2000
	s_nop 0
	v_addc_co_u32_e32 v5, vcc, 0, v3, vcc
	v_add_co_u32_e32 v2, vcc, 0x5000, v2
	s_movk_i32 s8, 0x3000
	s_nop 0
	v_addc_co_u32_e32 v3, vcc, 0, v3, vcc
	flat_load_dword v6, v[4:5]
	flat_load_dword v7, v[4:5] offset:1024
	flat_load_dword v23, v[4:5] offset:2048
	;; [unrolled: 1-line block ×3, first 2 shown]
	flat_load_dword v25, v[2:3]
	flat_load_dword v26, v[2:3] offset:1024
	flat_load_dword v27, v[2:3] offset:2048
	v_mov_b32_e32 v2, s70
	v_mov_b32_e32 v3, s71
	v_add_co_u32_e32 v2, vcc, 0x5000, v2
	s_movk_i32 s5, 0x4000
	s_nop 0
	v_addc_co_u32_e32 v3, vcc, 0, v3, vcc
	s_movk_i32 s3, 0x5000
	s_waitcnt vmcnt(0) lgkmcnt(0)
	ds_write2st64_b32 v54, v1, v8 offset1:4
	ds_write2st64_b32 v54, v9, v10 offset0:8 offset1:12
	ds_write2st64_b32 v54, v11, v12 offset0:16 offset1:20
	;; [unrolled: 1-line block ×10, first 2 shown]
	ds_write_b32 v54, v27 offset:22528
	s_waitcnt lgkmcnt(0)
	s_barrier
	flat_load_dword v1, v[2:3] offset:3072
	v_mad_u32_u24 v12, v0, s6, v54
	s_movk_i32 s6, 0xffa8
	v_mad_i32_i24 v13, v0, s6, v12
	s_movk_i32 s6, 0xff
	v_cmp_ne_u32_e32 vcc, s6, v0
	ds_read2_b32 v[10:11], v12 offset1:1
	ds_read2_b32 v[14:15], v12 offset0:2 offset1:3
	ds_read2_b32 v[18:19], v12 offset0:4 offset1:5
	;; [unrolled: 1-line block ×10, first 2 shown]
	ds_read_b32 v53, v12 offset:88
	s_waitcnt lgkmcnt(0)
	ds_write_b32 v13, v10 offset:24576
	s_waitcnt lgkmcnt(0)
	s_barrier
	s_and_saveexec_b64 s[6:7], vcc
	s_cbranch_execz .LBB805_145
; %bb.144:
	s_waitcnt vmcnt(0)
	ds_read_b32 v1, v54 offset:24580
.LBB805_145:
	s_or_b64 exec, exec, s[6:7]
	v_lshl_add_u64 v[16:17], s[52:53], 0, v[54:55]
	v_add_co_u32_e32 v20, vcc, s10, v16
	s_waitcnt lgkmcnt(0)
	s_nop 0
	v_addc_co_u32_e32 v21, vcc, 0, v17, vcc
	s_barrier
	flat_load_dword v10, v[16:17]
	flat_load_dword v13, v[16:17] offset:1024
	flat_load_dword v28, v[16:17] offset:2048
	;; [unrolled: 1-line block ×3, first 2 shown]
	flat_load_dword v32, v[20:21]
	flat_load_dword v33, v[20:21] offset:1024
	flat_load_dword v36, v[20:21] offset:2048
	;; [unrolled: 1-line block ×3, first 2 shown]
	v_add_co_u32_e32 v20, vcc, s9, v16
	s_nop 1
	v_addc_co_u32_e32 v21, vcc, 0, v17, vcc
	v_add_co_u32_e32 v24, vcc, s8, v16
	s_nop 1
	v_addc_co_u32_e32 v25, vcc, 0, v17, vcc
	flat_load_dword v38, v[20:21]
	flat_load_dword v39, v[20:21] offset:1024
	flat_load_dword v40, v[20:21] offset:2048
	;; [unrolled: 1-line block ×3, first 2 shown]
	flat_load_dword v42, v[24:25]
	flat_load_dword v43, v[24:25] offset:1024
	flat_load_dword v44, v[24:25] offset:2048
	;; [unrolled: 1-line block ×3, first 2 shown]
	v_add_co_u32_e32 v20, vcc, s5, v16
	s_mov_b32 s5, 1
	s_nop 0
	v_addc_co_u32_e32 v21, vcc, 0, v17, vcc
	v_add_co_u32_e32 v16, vcc, s3, v16
	s_nop 1
	v_addc_co_u32_e32 v17, vcc, 0, v17, vcc
	flat_load_dword v24, v[20:21]
	flat_load_dword v25, v[20:21] offset:1024
	flat_load_dword v46, v[20:21] offset:2048
	;; [unrolled: 1-line block ×3, first 2 shown]
	flat_load_dword v48, v[16:17]
	flat_load_dword v49, v[16:17] offset:1024
	flat_load_dword v50, v[16:17] offset:2048
	v_cmp_eq_u32_e32 vcc, 0, v11
	s_waitcnt vmcnt(0) lgkmcnt(0)
	ds_write2st64_b32 v54, v10, v13 offset1:4
	ds_write2st64_b32 v54, v28, v29 offset0:8 offset1:12
	ds_write2st64_b32 v54, v32, v33 offset0:16 offset1:20
	;; [unrolled: 1-line block ×10, first 2 shown]
	ds_write_b32 v54, v50 offset:22528
	s_waitcnt lgkmcnt(0)
	s_barrier
	ds_read2_b32 v[16:17], v12 offset0:1 offset1:2
	ds_read2_b32 v[20:21], v12 offset0:3 offset1:4
	ds_read2_b32 v[24:25], v12 offset0:5 offset1:6
	ds_read2_b32 v[28:29], v12 offset0:7 offset1:8
	ds_read2_b32 v[32:33], v12 offset0:9 offset1:10
	ds_read2_b32 v[36:37], v12 offset0:11 offset1:12
	ds_read2_b32 v[38:39], v12 offset0:13 offset1:14
	ds_read2_b32 v[42:43], v12 offset0:15 offset1:16
	ds_read2_b32 v[46:47], v12 offset0:17 offset1:18
	ds_read2_b32 v[50:51], v12 offset0:19 offset1:20
	ds_read2_b32 v[56:57], v12 offset0:21 offset1:22
	v_mov_b64_e32 v[10:11], s[4:5]
	v_mov_b32_e32 v13, s76
	s_and_saveexec_b64 s[4:5], vcc
	s_cbranch_execz .LBB805_147
; %bb.146:
	ds_read_b32 v13, v12
	v_mov_b64_e32 v[10:11], 0
.LBB805_147:
	s_or_b64 exec, exec, s[4:5]
	v_mov_b32_e32 v55, s76
	v_cmp_eq_u32_e32 vcc, 0, v14
	s_waitcnt lgkmcnt(0)
	v_or_b32_e32 v10, v10, v13
	v_cmp_ne_u32_e64 s[8:9], 0, v1
	v_cndmask_b32_e32 v12, v55, v16, vcc
	v_cmp_ne_u32_e32 vcc, 0, v14
	s_mov_b64 s[10:11], -1
                                        ; implicit-def: $sgpr6_sgpr7
	s_nop 0
	v_cndmask_b32_e64 v13, 0, 1, vcc
	v_cmp_eq_u32_e32 vcc, 0, v15
	s_nop 1
	v_cndmask_b32_e32 v14, v55, v17, vcc
	v_cmp_ne_u32_e32 vcc, 0, v15
	s_nop 1
	v_cndmask_b32_e64 v15, 0, 1, vcc
	v_cmp_eq_u32_e32 vcc, 0, v18
	s_nop 1
	v_cndmask_b32_e32 v16, v55, v20, vcc
	v_cmp_ne_u32_e32 vcc, 0, v18
	;; [unrolled: 6-line block ×18, first 2 shown]
	v_cndmask_b32_e64 v2, v57, v55, s[8:9]
	s_nop 0
	v_cndmask_b32_e64 v49, 0, 1, vcc
	v_cmp_eq_u32_e32 vcc, 0, v3
	s_nop 1
	v_cndmask_b32_e32 v50, v55, v51, vcc
	v_cmp_ne_u32_e32 vcc, 0, v3
	s_nop 1
	v_cndmask_b32_e64 v51, 0, 1, vcc
	v_cmp_eq_u32_e32 vcc, 0, v53
	s_nop 1
	v_cndmask_b32_e32 v52, v55, v56, vcc
	v_cmp_ne_u32_e32 vcc, 0, v53
	s_nop 1
	v_cndmask_b32_e64 v53, 0, 1, vcc
.LBB805_148:
	v_mov_b64_e32 v[56:57], s[6:7]
	s_and_saveexec_b64 s[4:5], s[10:11]
; %bb.149:
	v_cndmask_b32_e64 v3, 0, 1, s[8:9]
	v_mov_b64_e32 v[56:57], v[2:3]
; %bb.150:
	s_or_b64 exec, exec, s[4:5]
	s_mov_b32 s46, 0
	s_cmp_lg_u32 s2, 0
	v_or_b32_e32 v55, v57, v53
	v_lshrrev_b32_e32 v1, 5, v0
	v_cmp_gt_u32_e32 vcc, 64, v0
	s_barrier
	s_cbranch_scc0 .LBB805_189
; %bb.151:
	s_mov_b32 s47, 1
	v_cmp_gt_u64_e64 s[50:51], s[46:47], v[12:13]
	v_cmp_gt_u64_e64 s[4:5], s[46:47], v[14:15]
	v_cmp_gt_u64_e64 s[6:7], s[46:47], v[16:17]
	v_cndmask_b32_e64 v2, 0, v10, s[50:51]
	v_add_u32_e32 v2, v2, v12
	v_cndmask_b32_e64 v2, 0, v2, s[4:5]
	v_add_u32_e32 v2, v2, v14
	v_cndmask_b32_e64 v2, 0, v2, s[6:7]
	v_add_u32_e32 v2, v2, v16
	v_cmp_gt_u64_e64 s[8:9], s[46:47], v[18:19]
	v_cmp_gt_u64_e64 s[10:11], s[46:47], v[20:21]
	v_cmp_gt_u64_e64 s[12:13], s[46:47], v[22:23]
	v_cndmask_b32_e64 v2, 0, v2, s[8:9]
	v_add_u32_e32 v2, v2, v18
	v_cndmask_b32_e64 v2, 0, v2, s[10:11]
	v_add_u32_e32 v2, v2, v20
	v_cndmask_b32_e64 v2, 0, v2, s[12:13]
	v_add_u32_e32 v2, v2, v22
	;; [unrolled: 9-line block ×7, first 2 shown]
	v_cmp_gt_u64_e64 s[46:47], s[46:47], v[56:57]
	s_nop 1
	v_cndmask_b32_e64 v2, 0, v2, s[46:47]
	v_add_u32_e32 v62, v2, v56
	v_or3_b32 v2, v55, v51, v49
	v_or3_b32 v2, v2, v47, v45
	;; [unrolled: 1-line block ×10, first 2 shown]
	v_and_b32_e32 v2, 1, v2
	v_cmp_eq_u32_e64 s[46:47], 1, v2
	v_add_lshl_u32 v2, v1, v0, 3
	s_nop 0
	v_cndmask_b32_e64 v63, v11, 1, s[46:47]
	ds_write_b32 v2, v62
	ds_write_b8 v2, v63 offset:4
	s_waitcnt lgkmcnt(0)
	s_barrier
	s_and_saveexec_b64 s[48:49], vcc
	s_cbranch_execz .LBB805_163
; %bb.152:
	v_lshrrev_b32_e32 v2, 3, v0
	v_add_lshl_u32 v4, v2, v54, 3
	ds_read2_b32 v[6:7], v4 offset0:2 offset1:4
	ds_read_b64 v[2:3], v4
	ds_read_u8 v8, v4 offset:12
	ds_read_u8 v9, v4 offset:20
	ds_read_b32 v58, v4 offset:24
	ds_read_u8 v59, v4 offset:28
	v_mov_b32_e32 v60, 0
	s_waitcnt lgkmcnt(3)
	v_cmp_eq_u16_sdwa s[46:47], v8, v60 src0_sel:BYTE_0 src1_sel:DWORD
	v_and_b32_e32 v5, 1, v3
	s_nop 0
	v_cndmask_b32_e64 v61, 0, v2, s[46:47]
	v_add_u32_e32 v6, v61, v6
	s_waitcnt lgkmcnt(2)
	v_cmp_eq_u16_sdwa s[46:47], v9, v60 src0_sel:BYTE_0 src1_sel:DWORD
	s_nop 1
	v_cndmask_b32_e64 v6, 0, v6, s[46:47]
	v_add_u32_e32 v6, v6, v7
	s_waitcnt lgkmcnt(0)
	v_cmp_eq_u16_e64 s[46:47], 0, v59
	s_nop 1
	v_cndmask_b32_e64 v6, 0, v6, s[46:47]
	v_add_u32_e32 v7, v6, v58
	v_or_b32_e32 v6, v59, v9
	v_or_b32_e32 v6, v6, v8
	v_and_b32_e32 v6, 1, v6
	v_cmp_eq_u32_e64 s[46:47], 1, v6
	v_mbcnt_lo_u32_b32 v8, -1, 0
	v_and_b32_e32 v6, 0xffffff00, v3
	v_cndmask_b32_e64 v9, v5, 1, s[46:47]
	v_mbcnt_hi_u32_b32 v8, -1, v8
	v_and_b32_e32 v59, 15, v8
	v_or_b32_sdwa v58, v6, v9 dst_sel:DWORD dst_unused:UNUSED_PAD src0_sel:DWORD src1_sel:WORD_0
	v_mov_b32_dpp v60, v7 row_shr:1 row_mask:0xf bank_mask:0xf
	v_cmp_ne_u32_e64 s[46:47], 0, v59
	v_mov_b32_dpp v61, v58 row_shr:1 row_mask:0xf bank_mask:0xf
	s_and_saveexec_b64 s[52:53], s[46:47]
; %bb.153:
	v_and_b32_e32 v58, 1, v9
	v_and_b32_e32 v61, 1, v61
	v_cmp_eq_u32_e64 s[46:47], 1, v58
	s_nop 1
	v_cndmask_b32_e64 v61, v61, 1, s[46:47]
	v_cmp_eq_u16_e64 s[46:47], 0, v9
	v_or_b32_sdwa v58, v6, v61 dst_sel:DWORD dst_unused:UNUSED_PAD src0_sel:DWORD src1_sel:WORD_0
	s_nop 0
	v_cndmask_b32_e64 v9, 0, v60, s[46:47]
	v_add_u32_e32 v7, v9, v7
	v_mov_b32_e32 v9, v61
; %bb.154:
	s_or_b64 exec, exec, s[52:53]
	v_mov_b32_dpp v60, v7 row_shr:2 row_mask:0xf bank_mask:0xf
	v_mov_b32_dpp v61, v58 row_shr:2 row_mask:0xf bank_mask:0xf
	v_cmp_lt_u32_e64 s[46:47], 1, v59
	s_and_saveexec_b64 s[52:53], s[46:47]
; %bb.155:
	v_and_b32_e32 v58, 1, v9
	v_and_b32_e32 v61, 1, v61
	v_cmp_eq_u32_e64 s[46:47], 1, v58
	s_nop 1
	v_cndmask_b32_e64 v61, v61, 1, s[46:47]
	v_cmp_eq_u16_e64 s[46:47], 0, v9
	v_or_b32_sdwa v58, v6, v61 dst_sel:DWORD dst_unused:UNUSED_PAD src0_sel:DWORD src1_sel:WORD_0
	s_nop 0
	v_cndmask_b32_e64 v9, 0, v60, s[46:47]
	v_add_u32_e32 v7, v9, v7
	v_mov_b32_e32 v9, v61
; %bb.156:
	s_or_b64 exec, exec, s[52:53]
	v_mov_b32_dpp v60, v7 row_shr:4 row_mask:0xf bank_mask:0xf
	v_mov_b32_dpp v61, v58 row_shr:4 row_mask:0xf bank_mask:0xf
	v_cmp_lt_u32_e64 s[46:47], 3, v59
	;; [unrolled: 18-line block ×3, first 2 shown]
	s_and_saveexec_b64 s[52:53], s[46:47]
; %bb.159:
	v_and_b32_e32 v58, 1, v9
	v_and_b32_e32 v59, 1, v61
	v_cmp_eq_u32_e64 s[46:47], 1, v58
	s_nop 1
	v_cndmask_b32_e64 v59, v59, 1, s[46:47]
	v_cmp_eq_u16_e64 s[46:47], 0, v9
	v_or_b32_sdwa v58, v6, v59 dst_sel:DWORD dst_unused:UNUSED_PAD src0_sel:DWORD src1_sel:WORD_0
	s_nop 0
	v_cndmask_b32_e64 v9, 0, v60, s[46:47]
	v_add_u32_e32 v7, v9, v7
	v_mov_b32_e32 v9, v59
; %bb.160:
	s_or_b64 exec, exec, s[52:53]
	v_and_b32_e32 v61, 16, v8
	v_mov_b32_dpp v59, v7 row_bcast:15 row_mask:0xf bank_mask:0xf
	v_mov_b32_dpp v60, v58 row_bcast:15 row_mask:0xf bank_mask:0xf
	v_cmp_ne_u32_e64 s[46:47], 0, v61
	s_and_saveexec_b64 s[52:53], s[46:47]
; %bb.161:
	v_and_b32_e32 v58, 1, v9
	v_and_b32_e32 v60, 1, v60
	v_cmp_eq_u32_e64 s[46:47], 1, v58
	s_nop 1
	v_cndmask_b32_e64 v60, v60, 1, s[46:47]
	v_cmp_eq_u16_e64 s[46:47], 0, v9
	v_or_b32_sdwa v58, v6, v60 dst_sel:DWORD dst_unused:UNUSED_PAD src0_sel:DWORD src1_sel:WORD_0
	s_nop 0
	v_cndmask_b32_e64 v9, 0, v59, s[46:47]
	v_add_u32_e32 v7, v9, v7
	v_mov_b32_e32 v9, v60
; %bb.162:
	s_or_b64 exec, exec, s[52:53]
	v_mov_b32_dpp v58, v58 row_bcast:31 row_mask:0xf bank_mask:0xf
	v_and_b32_e32 v60, 1, v9
	v_and_b32_e32 v58, 1, v58
	v_cmp_eq_u32_e64 s[46:47], 1, v60
	v_mov_b32_e32 v60, 0
	v_cmp_eq_u16_sdwa s[52:53], v9, v60 src0_sel:BYTE_0 src1_sel:DWORD
	v_cndmask_b32_e64 v58, v58, 1, s[46:47]
	v_cmp_lt_u32_e64 s[46:47], 31, v8
	v_mov_b32_dpp v59, v7 row_bcast:31 row_mask:0xf bank_mask:0xf
	s_movk_i32 s3, 0xff
	v_cndmask_b32_e64 v9, v9, v58, s[46:47]
	s_and_b64 s[46:47], s[46:47], s[52:53]
	v_cndmask_b32_e64 v58, 0, v59, s[46:47]
	v_add_u32_e32 v7, v58, v7
	v_add_u32_e32 v58, -1, v8
	v_and_b32_e32 v59, 64, v8
	v_cmp_lt_i32_e64 s[46:47], v58, v59
	v_and_or_b32 v6, v9, s3, v6
	s_nop 0
	v_cndmask_b32_e64 v8, v58, v8, s[46:47]
	v_lshlrev_b32_e32 v8, 2, v8
	ds_bpermute_b32 v7, v8, v7
	ds_bpermute_b32 v6, v8, v6
	v_cmp_eq_u16_sdwa s[46:47], v3, v60 src0_sel:BYTE_0 src1_sel:DWORD
	; wave barrier
	s_waitcnt lgkmcnt(1)
	s_nop 0
	v_cndmask_b32_e64 v3, 0, v7, s[46:47]
	v_add_u32_e32 v2, v3, v2
	s_waitcnt lgkmcnt(0)
	v_and_b32_e32 v3, 1, v6
	v_cmp_eq_u32_e64 s[46:47], 1, v5
	s_nop 1
	v_cndmask_b32_e64 v3, v3, 1, s[46:47]
	v_cmp_eq_u32_e64 s[46:47], 0, v0
	s_nop 1
	v_cndmask_b32_e64 v5, v2, v62, s[46:47]
	v_cndmask_b32_e64 v6, v3, v63, s[46:47]
	ds_write_b32 v4, v5
	ds_write_b8 v4, v6 offset:4
	; wave barrier
	ds_read_u8 v7, v4 offset:12
	ds_read2_b32 v[2:3], v4 offset0:2 offset1:4
	ds_read_u8 v8, v4 offset:20
	ds_read_b32 v9, v4 offset:24
	ds_read_u8 v58, v4 offset:28
	s_waitcnt lgkmcnt(4)
	v_cmp_eq_u16_e64 s[46:47], 0, v7
	s_nop 1
	v_cndmask_b32_e64 v5, 0, v5, s[46:47]
	s_waitcnt lgkmcnt(3)
	v_add_u32_e32 v2, v5, v2
	v_and_b32_e32 v5, 1, v7
	v_cmp_eq_u32_e64 s[46:47], 1, v5
	s_nop 1
	v_cndmask_b32_e64 v5, v6, 1, s[46:47]
	s_waitcnt lgkmcnt(2)
	v_cmp_eq_u16_e64 s[46:47], 0, v8
	ds_write_b8 v4, v5 offset:12
	s_nop 0
	v_cndmask_b32_e64 v6, 0, v2, s[46:47]
	v_add_u32_e32 v3, v6, v3
	v_and_b32_e32 v6, 1, v8
	v_cmp_eq_u32_e64 s[46:47], 1, v6
	s_nop 1
	v_cndmask_b32_e64 v5, v5, 1, s[46:47]
	s_waitcnt lgkmcnt(1)
	v_cmp_eq_u16_e64 s[46:47], 0, v58
	ds_write2_b32 v4, v2, v3 offset0:2 offset1:4
	ds_write_b8 v4, v5 offset:20
	v_cndmask_b32_e64 v2, 0, v3, s[46:47]
	v_and_b32_e32 v3, 1, v58
	v_add_u32_e32 v2, v2, v9
	v_cmp_eq_u32_e64 s[46:47], 1, v3
	s_nop 1
	v_cndmask_b32_e64 v3, v5, 1, s[46:47]
	ds_write_b32 v4, v2 offset:24
	ds_write_b8 v4, v3 offset:28
.LBB805_163:
	s_or_b64 exec, exec, s[48:49]
	v_cmp_eq_u32_e64 s[46:47], 0, v0
	v_cmp_ne_u32_e64 s[48:49], 0, v0
	s_waitcnt lgkmcnt(0)
	s_barrier
	s_and_saveexec_b64 s[52:53], s[48:49]
	s_cbranch_execz .LBB805_165
; %bb.164:
	v_add_u32_e32 v2, -1, v0
	v_lshrrev_b32_e32 v3, 5, v2
	v_add_lshl_u32 v2, v3, v2, 3
	ds_read_b32 v62, v2
	ds_read_u8 v63, v2 offset:4
.LBB805_165:
	s_or_b64 exec, exec, s[52:53]
	s_and_saveexec_b64 s[60:61], vcc
	s_cbranch_execz .LBB805_188
; %bb.166:
	v_mov_b32_e32 v5, 0
	ds_read_b64 v[2:3], v5 offset:2096
	v_mbcnt_lo_u32_b32 v4, -1, 0
	v_mbcnt_hi_u32_b32 v73, -1, v4
	s_mov_b32 s71, 0
	v_cmp_eq_u32_e64 s[48:49], 0, v73
	s_waitcnt lgkmcnt(0)
	v_readfirstlane_b32 s3, v3
	s_and_saveexec_b64 s[52:53], s[48:49]
	s_cbranch_execz .LBB805_168
; %bb.167:
	s_add_i32 s70, s2, 64
	s_lshl_b64 s[72:73], s[70:71], 4
	s_add_u32 s72, s56, s72
	s_addc_u32 s73, s57, s73
	s_and_b32 s75, s3, 0xff000000
	s_mov_b32 s74, s71
	s_and_b32 s79, s3, 0xff0000
	s_mov_b32 s78, s71
	s_or_b64 s[74:75], s[78:79], s[74:75]
	s_and_b32 s79, s3, 0xff00
	s_or_b64 s[74:75], s[74:75], s[78:79]
	s_and_b32 s79, s3, 0xff
	s_or_b64 s[70:71], s[74:75], s[78:79]
	v_mov_b32_e32 v3, s71
	v_mov_b32_e32 v4, 1
	v_mov_b64_e32 v[6:7], s[72:73]
	;;#ASMSTART
	global_store_dwordx4 v[6:7], v[2:5] off sc1	
s_waitcnt vmcnt(0)
	;;#ASMEND
.LBB805_168:
	s_or_b64 exec, exec, s[52:53]
	v_xad_u32 v58, v73, -1, s2
	v_add_u32_e32 v4, 64, v58
	v_lshl_add_u64 v[60:61], v[4:5], 4, s[56:57]
	;;#ASMSTART
	global_load_dwordx4 v[6:9], v[60:61] off sc1	
s_waitcnt vmcnt(0)
	;;#ASMEND
	s_nop 0
	v_and_b32_e32 v3, 0xff0000, v6
	v_and_b32_e32 v4, 0xff000000, v6
	;; [unrolled: 1-line block ×3, first 2 shown]
	v_or_b32_sdwa v3, v6, v3 dst_sel:DWORD dst_unused:UNUSED_PAD src0_sel:WORD_0 src1_sel:DWORD
	v_or3_b32 v7, 0, 0, v7
	v_or3_b32 v6, v3, v4, 0
	v_cmp_eq_u16_sdwa s[70:71], v8, v5 src0_sel:BYTE_0 src1_sel:DWORD
	s_and_saveexec_b64 s[52:53], s[70:71]
	s_cbranch_execz .LBB805_174
; %bb.169:
	s_mov_b32 s59, 1
	s_mov_b64 s[70:71], 0
	v_mov_b32_e32 v3, 0
.LBB805_170:                            ; =>This Loop Header: Depth=1
                                        ;     Child Loop BB805_171 Depth 2
	s_max_u32 s72, s59, 1
.LBB805_171:                            ;   Parent Loop BB805_170 Depth=1
                                        ; =>  This Inner Loop Header: Depth=2
	s_add_i32 s72, s72, -1
	s_cmp_eq_u32 s72, 0
	s_sleep 1
	s_cbranch_scc0 .LBB805_171
; %bb.172:                              ;   in Loop: Header=BB805_170 Depth=1
	s_cmp_lt_u32 s59, 32
	s_cselect_b64 s[72:73], -1, 0
	s_cmp_lg_u64 s[72:73], 0
	s_addc_u32 s59, s59, 0
	;;#ASMSTART
	global_load_dwordx4 v[6:9], v[60:61] off sc1	
s_waitcnt vmcnt(0)
	;;#ASMEND
	s_nop 0
	v_cmp_ne_u16_sdwa s[72:73], v8, v3 src0_sel:BYTE_0 src1_sel:DWORD
	s_or_b64 s[70:71], s[72:73], s[70:71]
	s_andn2_b64 exec, exec, s[70:71]
	s_cbranch_execnz .LBB805_170
; %bb.173:
	s_or_b64 exec, exec, s[70:71]
	v_and_b32_e32 v7, 0xff, v7
.LBB805_174:
	s_or_b64 exec, exec, s[52:53]
	v_mov_b32_e32 v3, 2
	v_cmp_eq_u16_sdwa s[52:53], v8, v3 src0_sel:BYTE_0 src1_sel:DWORD
	v_lshlrev_b64 v[4:5], v73, -1
	v_and_b32_e32 v64, 63, v73
	v_and_b32_e32 v9, s53, v5
	v_or_b32_e32 v9, 0x80000000, v9
	v_and_b32_e32 v59, s52, v4
	v_ffbl_b32_e32 v9, v9
	v_add_u32_e32 v9, 32, v9
	v_ffbl_b32_e32 v59, v59
	v_cmp_ne_u32_e32 vcc, 63, v64
	v_min_u32_e32 v9, v59, v9
	s_mov_b32 s70, 0
	v_addc_co_u32_e32 v59, vcc, 0, v73, vcc
	v_lshlrev_b32_e32 v65, 2, v59
	ds_bpermute_b32 v59, v65, v7
	ds_bpermute_b32 v60, v65, v6
	v_and_b32_e32 v61, 1, v7
	s_mov_b32 s71, 1
	v_cmp_eq_u32_e32 vcc, 1, v61
	s_waitcnt lgkmcnt(1)
	v_and_b32_e32 v59, 1, v59
	v_cmp_lt_u32_e64 s[52:53], v64, v9
	v_cndmask_b32_e64 v59, v59, 1, vcc
	v_cmp_gt_u64_e32 vcc, s[70:71], v[6:7]
	s_and_b64 vcc, s[52:53], vcc
	v_and_b32_e32 v61, 0xffff, v59
	v_cndmask_b32_e64 v68, v7, v59, s[52:53]
	s_waitcnt lgkmcnt(0)
	v_cndmask_b32_e32 v59, 0, v60, vcc
	v_cmp_gt_u32_e32 vcc, 62, v64
	v_cndmask_b32_e64 v7, v7, v61, s[52:53]
	v_add_u32_e32 v6, v59, v6
	v_cndmask_b32_e64 v60, 0, 1, vcc
	v_lshlrev_b32_e32 v60, 1, v60
	v_add_lshl_u32 v66, v60, v73, 2
	ds_bpermute_b32 v60, v66, v7
	ds_bpermute_b32 v61, v66, v6
	v_and_b32_e32 v59, 1, v68
	v_cmp_eq_u32_e32 vcc, 1, v59
	v_mov_b32_e32 v59, 0
	s_waitcnt lgkmcnt(1)
	v_and_b32_e32 v60, 1, v60
	v_add_u32_e32 v67, 2, v64
	v_cndmask_b32_e64 v60, v60, 1, vcc
	v_cmp_eq_u16_sdwa vcc, v68, v59 src0_sel:BYTE_0 src1_sel:DWORD
	v_and_b32_e32 v69, 0xffff, v60
	v_add_u32_e32 v77, 32, v64
	s_waitcnt lgkmcnt(0)
	v_cndmask_b32_e32 v61, 0, v61, vcc
	v_cmp_gt_u32_e32 vcc, v67, v9
	s_nop 1
	v_cndmask_b32_e32 v60, v60, v68, vcc
	v_cndmask_b32_e64 v61, v61, 0, vcc
	v_cndmask_b32_e32 v7, v69, v7, vcc
	v_cmp_gt_u32_e32 vcc, 60, v64
	v_add_u32_e32 v6, v61, v6
	v_and_b32_e32 v71, 1, v60
	v_cndmask_b32_e64 v68, 0, 1, vcc
	v_lshlrev_b32_e32 v68, 2, v68
	v_add_lshl_u32 v68, v68, v73, 2
	ds_bpermute_b32 v70, v68, v7
	ds_bpermute_b32 v61, v68, v6
	v_cmp_eq_u32_e32 vcc, 1, v71
	v_add_u32_e32 v69, 4, v64
	s_waitcnt lgkmcnt(1)
	v_and_b32_e32 v70, 1, v70
	v_cndmask_b32_e64 v70, v70, 1, vcc
	v_cmp_eq_u16_sdwa vcc, v60, v59 src0_sel:BYTE_0 src1_sel:DWORD
	v_and_b32_e32 v71, 0xffff, v70
	s_waitcnt lgkmcnt(0)
	v_cndmask_b32_e32 v61, 0, v61, vcc
	v_cmp_gt_u32_e32 vcc, v69, v9
	s_nop 1
	v_cndmask_b32_e32 v60, v70, v60, vcc
	v_cndmask_b32_e64 v61, v61, 0, vcc
	v_cndmask_b32_e32 v7, v71, v7, vcc
	v_cmp_gt_u32_e32 vcc, 56, v64
	v_add_u32_e32 v6, v61, v6
	v_and_b32_e32 v74, 1, v60
	v_cndmask_b32_e64 v70, 0, 1, vcc
	v_lshlrev_b32_e32 v70, 3, v70
	v_add_lshl_u32 v70, v70, v73, 2
	ds_bpermute_b32 v72, v70, v7
	ds_bpermute_b32 v61, v70, v6
	v_cmp_eq_u32_e32 vcc, 1, v74
	v_add_u32_e32 v71, 8, v64
	s_waitcnt lgkmcnt(1)
	v_and_b32_e32 v72, 1, v72
	v_cndmask_b32_e64 v72, v72, 1, vcc
	v_cmp_eq_u16_sdwa vcc, v60, v59 src0_sel:BYTE_0 src1_sel:DWORD
	v_and_b32_e32 v74, 0xffff, v72
	;; [unrolled: 22-line block ×3, first 2 shown]
	s_waitcnt lgkmcnt(0)
	v_cndmask_b32_e32 v61, 0, v61, vcc
	v_cmp_gt_u32_e32 vcc, v74, v9
	s_nop 1
	v_cndmask_b32_e32 v60, v75, v60, vcc
	v_cndmask_b32_e64 v61, v61, 0, vcc
	v_cndmask_b32_e32 v7, v76, v7, vcc
	v_cmp_gt_u32_e32 vcc, 32, v64
	v_add_u32_e32 v6, v61, v6
	s_nop 0
	v_cndmask_b32_e64 v75, 0, 1, vcc
	v_lshlrev_b32_e32 v75, 5, v75
	v_add_lshl_u32 v76, v75, v73, 2
	ds_bpermute_b32 v7, v76, v7
	ds_bpermute_b32 v61, v76, v6
	v_and_b32_e32 v73, 1, v60
	v_cmp_eq_u32_e32 vcc, 1, v73
	s_waitcnt lgkmcnt(1)
	v_and_b32_e32 v7, 1, v7
	v_cndmask_b32_e64 v7, v7, 1, vcc
	v_cmp_eq_u16_sdwa vcc, v60, v59 src0_sel:BYTE_0 src1_sel:DWORD
	s_waitcnt lgkmcnt(0)
	s_nop 0
	v_cndmask_b32_e32 v61, 0, v61, vcc
	v_cmp_gt_u32_e32 vcc, v77, v9
	s_nop 1
	v_cndmask_b32_e64 v9, v61, 0, vcc
	v_cndmask_b32_e32 v7, v7, v60, vcc
	v_add_u32_e32 v6, v9, v6
	s_branch .LBB805_176
.LBB805_175:                            ;   in Loop: Header=BB805_176 Depth=1
	s_or_b64 exec, exec, s[52:53]
	v_cmp_eq_u16_sdwa s[52:53], v8, v3 src0_sel:BYTE_0 src1_sel:DWORD
	ds_bpermute_b32 v61, v65, v7
	v_and_b32_e32 v78, 1, v7
	v_and_b32_e32 v9, s53, v5
	v_or_b32_e32 v9, 0x80000000, v9
	v_and_b32_e32 v60, s52, v4
	v_ffbl_b32_e32 v9, v9
	v_add_u32_e32 v9, 32, v9
	v_ffbl_b32_e32 v60, v60
	v_min_u32_e32 v9, v60, v9
	ds_bpermute_b32 v60, v65, v6
	s_waitcnt lgkmcnt(1)
	v_and_b32_e32 v61, 1, v61
	v_cmp_eq_u32_e32 vcc, 1, v78
	v_cmp_lt_u32_e64 s[52:53], v64, v9
	v_subrev_u32_e32 v58, 64, v58
	v_cndmask_b32_e64 v61, v61, 1, vcc
	v_cmp_gt_u64_e32 vcc, s[70:71], v[6:7]
	v_and_b32_e32 v78, 0xffff, v61
	v_cndmask_b32_e64 v61, v7, v61, s[52:53]
	v_cndmask_b32_e64 v7, v7, v78, s[52:53]
	s_and_b64 vcc, s[52:53], vcc
	ds_bpermute_b32 v78, v66, v7
	s_waitcnt lgkmcnt(1)
	v_cndmask_b32_e32 v60, 0, v60, vcc
	v_add_u32_e32 v6, v60, v6
	ds_bpermute_b32 v60, v66, v6
	v_and_b32_e32 v79, 1, v61
	s_waitcnt lgkmcnt(1)
	v_and_b32_e32 v78, 1, v78
	v_cmp_eq_u32_e32 vcc, 1, v79
	s_nop 1
	v_cndmask_b32_e64 v78, v78, 1, vcc
	v_cmp_eq_u16_sdwa vcc, v61, v59 src0_sel:BYTE_0 src1_sel:DWORD
	v_and_b32_e32 v79, 0xffff, v78
	s_waitcnt lgkmcnt(0)
	v_cndmask_b32_e32 v60, 0, v60, vcc
	v_cmp_gt_u32_e32 vcc, v67, v9
	s_nop 1
	v_cndmask_b32_e32 v7, v79, v7, vcc
	v_cndmask_b32_e32 v61, v78, v61, vcc
	ds_bpermute_b32 v78, v68, v7
	v_cndmask_b32_e64 v60, v60, 0, vcc
	v_add_u32_e32 v6, v60, v6
	ds_bpermute_b32 v60, v68, v6
	v_and_b32_e32 v79, 1, v61
	s_waitcnt lgkmcnt(1)
	v_and_b32_e32 v78, 1, v78
	v_cmp_eq_u32_e32 vcc, 1, v79
	s_nop 1
	v_cndmask_b32_e64 v78, v78, 1, vcc
	v_cmp_eq_u16_sdwa vcc, v61, v59 src0_sel:BYTE_0 src1_sel:DWORD
	v_and_b32_e32 v79, 0xffff, v78
	s_waitcnt lgkmcnt(0)
	v_cndmask_b32_e32 v60, 0, v60, vcc
	v_cmp_gt_u32_e32 vcc, v69, v9
	s_nop 1
	v_cndmask_b32_e32 v7, v79, v7, vcc
	v_cndmask_b32_e32 v61, v78, v61, vcc
	ds_bpermute_b32 v78, v70, v7
	v_cndmask_b32_e64 v60, v60, 0, vcc
	;; [unrolled: 18-line block ×3, first 2 shown]
	v_add_u32_e32 v6, v60, v6
	ds_bpermute_b32 v60, v72, v6
	v_and_b32_e32 v79, 1, v61
	s_waitcnt lgkmcnt(1)
	v_and_b32_e32 v78, 1, v78
	v_cmp_eq_u32_e32 vcc, 1, v79
	s_nop 1
	v_cndmask_b32_e64 v78, v78, 1, vcc
	v_cmp_eq_u16_sdwa vcc, v61, v59 src0_sel:BYTE_0 src1_sel:DWORD
	v_and_b32_e32 v79, 0xffff, v78
	s_waitcnt lgkmcnt(0)
	v_cndmask_b32_e32 v60, 0, v60, vcc
	v_cmp_gt_u32_e32 vcc, v74, v9
	s_nop 1
	v_cndmask_b32_e64 v60, v60, 0, vcc
	v_cndmask_b32_e32 v7, v79, v7, vcc
	ds_bpermute_b32 v7, v76, v7
	v_add_u32_e32 v6, v60, v6
	ds_bpermute_b32 v60, v76, v6
	v_cndmask_b32_e32 v61, v78, v61, vcc
	v_and_b32_e32 v78, 1, v61
	v_cmp_eq_u32_e32 vcc, 1, v78
	s_waitcnt lgkmcnt(1)
	s_nop 0
	v_cndmask_b32_e64 v7, v7, 1, vcc
	v_cmp_eq_u16_sdwa vcc, v61, v59 src0_sel:BYTE_0 src1_sel:DWORD
	s_waitcnt lgkmcnt(0)
	s_nop 0
	v_cndmask_b32_e32 v60, 0, v60, vcc
	v_cmp_gt_u32_e32 vcc, v77, v9
	s_nop 1
	v_cndmask_b32_e64 v9, v60, 0, vcc
	v_cndmask_b32_e32 v7, v7, v61, vcc
	v_add_u32_e32 v6, v9, v6
	v_cmp_eq_u16_sdwa vcc, v73, v59 src0_sel:BYTE_0 src1_sel:DWORD
	v_and_b32_e32 v9, 1, v73
	v_and_b32_e32 v7, 1, v7
	v_cndmask_b32_e32 v6, 0, v6, vcc
	v_cmp_eq_u32_e32 vcc, 1, v9
	v_add_u32_e32 v6, v6, v75
	s_nop 0
	v_cndmask_b32_e64 v7, v7, 1, vcc
.LBB805_176:                            ; =>This Loop Header: Depth=1
                                        ;     Child Loop BB805_179 Depth 2
                                        ;       Child Loop BB805_180 Depth 3
	v_cmp_ne_u16_sdwa s[52:53], v8, v3 src0_sel:BYTE_0 src1_sel:DWORD
	v_mov_b32_e32 v73, v7
	v_mov_b32_e32 v75, v6
	v_cndmask_b32_e64 v7, 0, 1, s[52:53]
	;;#ASMSTART
	;;#ASMEND
	s_nop 0
	v_cmp_ne_u32_e32 vcc, 0, v7
	s_cmp_lg_u64 vcc, exec
	s_cbranch_scc1 .LBB805_183
; %bb.177:                              ;   in Loop: Header=BB805_176 Depth=1
	v_lshl_add_u64 v[60:61], v[58:59], 4, s[56:57]
	;;#ASMSTART
	global_load_dwordx4 v[6:9], v[60:61] off sc1	
s_waitcnt vmcnt(0)
	;;#ASMEND
	s_nop 0
	v_and_b32_e32 v9, 0xff0000, v6
	v_and_b32_e32 v78, 0xff000000, v6
	;; [unrolled: 1-line block ×3, first 2 shown]
	v_or_b32_sdwa v6, v6, v9 dst_sel:DWORD dst_unused:UNUSED_PAD src0_sel:WORD_0 src1_sel:DWORD
	v_or3_b32 v7, 0, 0, v7
	v_or3_b32 v6, v6, v78, 0
	v_cmp_eq_u16_sdwa s[72:73], v8, v59 src0_sel:BYTE_0 src1_sel:DWORD
	s_and_saveexec_b64 s[52:53], s[72:73]
	s_cbranch_execz .LBB805_175
; %bb.178:                              ;   in Loop: Header=BB805_176 Depth=1
	s_mov_b32 s59, 1
	s_mov_b64 s[72:73], 0
.LBB805_179:                            ;   Parent Loop BB805_176 Depth=1
                                        ; =>  This Loop Header: Depth=2
                                        ;       Child Loop BB805_180 Depth 3
	s_max_u32 s74, s59, 1
.LBB805_180:                            ;   Parent Loop BB805_176 Depth=1
                                        ;     Parent Loop BB805_179 Depth=2
                                        ; =>    This Inner Loop Header: Depth=3
	s_add_i32 s74, s74, -1
	s_cmp_eq_u32 s74, 0
	s_sleep 1
	s_cbranch_scc0 .LBB805_180
; %bb.181:                              ;   in Loop: Header=BB805_179 Depth=2
	s_cmp_lt_u32 s59, 32
	s_cselect_b64 s[74:75], -1, 0
	s_cmp_lg_u64 s[74:75], 0
	s_addc_u32 s59, s59, 0
	;;#ASMSTART
	global_load_dwordx4 v[6:9], v[60:61] off sc1	
s_waitcnt vmcnt(0)
	;;#ASMEND
	s_nop 0
	v_cmp_ne_u16_sdwa s[74:75], v8, v59 src0_sel:BYTE_0 src1_sel:DWORD
	s_or_b64 s[72:73], s[74:75], s[72:73]
	s_andn2_b64 exec, exec, s[72:73]
	s_cbranch_execnz .LBB805_179
; %bb.182:                              ;   in Loop: Header=BB805_176 Depth=1
	s_or_b64 exec, exec, s[72:73]
	v_and_b32_e32 v7, 0xff, v7
	s_branch .LBB805_175
.LBB805_183:                            ;   in Loop: Header=BB805_176 Depth=1
                                        ; implicit-def: $vgpr7
                                        ; implicit-def: $vgpr6
                                        ; implicit-def: $vgpr8
	s_cbranch_execz .LBB805_176
; %bb.184:
	s_and_saveexec_b64 s[52:53], s[48:49]
	s_cbranch_execz .LBB805_186
; %bb.185:
	s_and_b32 s48, s3, 0xff
	s_cmp_eq_u32 s48, 0
	s_cselect_b64 vcc, -1, 0
	s_bitcmp1_b32 s3, 0
	s_mov_b32 s49, 0
	s_cselect_b64 s[70:71], -1, 0
	s_add_i32 s48, s2, 64
	s_lshl_b64 s[2:3], s[48:49], 4
	v_cndmask_b32_e32 v3, 0, v75, vcc
	s_add_u32 s2, s56, s2
	v_add_u32_e32 v2, v3, v2
	v_and_b32_e32 v3, 1, v73
	s_addc_u32 s3, s57, s3
	v_mov_b32_e32 v5, 0
	v_cndmask_b32_e64 v3, v3, 1, s[70:71]
	v_mov_b32_e32 v4, 2
	v_mov_b64_e32 v[6:7], s[2:3]
	;;#ASMSTART
	global_store_dwordx4 v[6:7], v[2:5] off sc1	
s_waitcnt vmcnt(0)
	;;#ASMEND
.LBB805_186:
	s_or_b64 exec, exec, s[52:53]
	s_and_b64 exec, exec, s[46:47]
	s_cbranch_execz .LBB805_188
; %bb.187:
	v_mov_b32_e32 v2, 0
	ds_write_b32 v2, v75
	ds_write_b8 v2, v73 offset:4
.LBB805_188:
	s_or_b64 exec, exec, s[60:61]
	v_mov_b32_e32 v2, 0
	s_waitcnt lgkmcnt(0)
	s_barrier
	ds_read_b32 v3, v2
	v_cmp_eq_u16_sdwa vcc, v63, v2 src0_sel:BYTE_0 src1_sel:DWORD
	s_waitcnt lgkmcnt(0)
	s_nop 0
	v_cndmask_b32_e32 v4, 0, v3, vcc
	v_add_u32_e32 v4, v4, v62
	v_cndmask_b32_e64 v58, v4, v3, s[46:47]
	v_and_b32_e32 v3, 0xff, v11
	v_cmp_eq_u64_e32 vcc, 0, v[2:3]
	s_nop 1
	v_cndmask_b32_e32 v2, 0, v58, vcc
	v_add_u32_e32 v59, v2, v10
	v_cndmask_b32_e64 v2, 0, v59, s[50:51]
	v_add_u32_e32 v60, v2, v12
	v_cndmask_b32_e64 v2, 0, v60, s[4:5]
	;; [unrolled: 2-line block ×21, first 2 shown]
	v_add_u32_e32 v80, v2, v52
	s_branch .LBB805_209
.LBB805_189:
                                        ; implicit-def: $vgpr79
                                        ; implicit-def: $vgpr78
                                        ; implicit-def: $vgpr77
                                        ; implicit-def: $vgpr76
                                        ; implicit-def: $vgpr75
                                        ; implicit-def: $vgpr74
                                        ; implicit-def: $vgpr73
                                        ; implicit-def: $vgpr72
                                        ; implicit-def: $vgpr71
                                        ; implicit-def: $vgpr70
                                        ; implicit-def: $vgpr69
                                        ; implicit-def: $vgpr68
                                        ; implicit-def: $vgpr67
                                        ; implicit-def: $vgpr66
                                        ; implicit-def: $vgpr65
                                        ; implicit-def: $vgpr64
                                        ; implicit-def: $vgpr63
                                        ; implicit-def: $vgpr62
                                        ; implicit-def: $vgpr61
                                        ; implicit-def: $vgpr60
                                        ; implicit-def: $vgpr59
                                        ; implicit-def: $vgpr58
                                        ; implicit-def: $vgpr80
	s_cbranch_execz .LBB805_209
; %bb.190:
	s_cmp_lg_u64 s[68:69], 0
	s_cselect_b32 s3, s63, 0
	s_cselect_b32 s2, s62, 0
	s_mov_b32 s44, 0
	s_cmp_eq_u64 s[2:3], 0
	v_mov_b32_e32 v4, s76
	s_cbranch_scc1 .LBB805_192
; %bb.191:
	v_mov_b32_e32 v2, 0
	global_load_dword v4, v2, s[2:3]
.LBB805_192:
	s_mov_b32 s45, 1
	v_cmp_gt_u64_e32 vcc, s[44:45], v[12:13]
	v_cmp_gt_u64_e64 s[2:3], s[44:45], v[14:15]
	v_cmp_gt_u64_e64 s[4:5], s[44:45], v[16:17]
	v_cndmask_b32_e32 v2, 0, v10, vcc
	v_add_u32_e32 v2, v2, v12
	v_cndmask_b32_e64 v2, 0, v2, s[2:3]
	v_add_u32_e32 v2, v2, v14
	v_cndmask_b32_e64 v2, 0, v2, s[4:5]
	v_add_u32_e32 v2, v2, v16
	v_cmp_gt_u64_e64 s[6:7], s[44:45], v[18:19]
	v_cmp_gt_u64_e64 s[8:9], s[44:45], v[20:21]
	v_cmp_gt_u64_e64 s[10:11], s[44:45], v[22:23]
	v_cndmask_b32_e64 v2, 0, v2, s[6:7]
	v_add_u32_e32 v2, v2, v18
	v_cndmask_b32_e64 v2, 0, v2, s[8:9]
	v_add_u32_e32 v2, v2, v20
	v_cndmask_b32_e64 v2, 0, v2, s[10:11]
	v_add_u32_e32 v2, v2, v22
	v_cmp_gt_u64_e64 s[12:13], s[44:45], v[24:25]
	v_cmp_gt_u64_e64 s[14:15], s[44:45], v[26:27]
	v_cmp_gt_u64_e64 s[16:17], s[44:45], v[28:29]
	v_cndmask_b32_e64 v2, 0, v2, s[12:13]
	;; [unrolled: 9-line block ×6, first 2 shown]
	v_add_u32_e32 v2, v2, v48
	v_cndmask_b32_e64 v2, 0, v2, s[40:41]
	v_add_u32_e32 v2, v2, v50
	v_cndmask_b32_e64 v2, 0, v2, s[42:43]
	v_add_u32_e32 v2, v2, v52
	v_cmp_gt_u64_e64 s[44:45], s[44:45], v[56:57]
	v_add_lshl_u32 v1, v1, v0, 3
	s_nop 0
	v_cndmask_b32_e64 v2, 0, v2, s[44:45]
	v_add_u32_e32 v5, v2, v56
	v_or3_b32 v2, v55, v51, v49
	v_or3_b32 v2, v2, v47, v45
	;; [unrolled: 1-line block ×10, first 2 shown]
	v_and_b32_e32 v2, 1, v2
	v_cmp_eq_u32_e64 s[44:45], 1, v2
	s_nop 1
	v_cndmask_b32_e64 v6, v11, 1, s[44:45]
	v_cmp_gt_u32_e64 s[44:45], 64, v0
	ds_write_b32 v1, v5
	ds_write_b8 v1, v6 offset:4
	s_waitcnt lgkmcnt(0)
	s_barrier
	s_and_saveexec_b64 s[46:47], s[44:45]
	s_cbranch_execz .LBB805_204
; %bb.193:
	v_lshrrev_b32_e32 v1, 3, v0
	v_add_lshl_u32 v1, v1, v54, 3
	ds_read2_b32 v[8:9], v1 offset0:2 offset1:4
	ds_read_b64 v[2:3], v1
	ds_read_u8 v13, v1 offset:12
	ds_read_u8 v15, v1 offset:20
	ds_read_b32 v17, v1 offset:24
	ds_read_u8 v19, v1 offset:28
	v_mov_b32_e32 v21, 0
	s_waitcnt lgkmcnt(3)
	v_cmp_eq_u16_sdwa s[44:45], v13, v21 src0_sel:BYTE_0 src1_sel:DWORD
	v_and_b32_e32 v7, 1, v3
	s_nop 0
	v_cndmask_b32_e64 v23, 0, v2, s[44:45]
	v_add_u32_e32 v8, v23, v8
	s_waitcnt lgkmcnt(2)
	v_cmp_eq_u16_sdwa s[44:45], v15, v21 src0_sel:BYTE_0 src1_sel:DWORD
	s_nop 1
	v_cndmask_b32_e64 v8, 0, v8, s[44:45]
	v_add_u32_e32 v8, v8, v9
	s_waitcnt lgkmcnt(0)
	v_cmp_eq_u16_e64 s[44:45], 0, v19
	s_nop 1
	v_cndmask_b32_e64 v8, 0, v8, s[44:45]
	v_add_u32_e32 v9, v8, v17
	v_or_b32_e32 v8, v19, v15
	v_or_b32_e32 v8, v8, v13
	v_and_b32_e32 v8, 1, v8
	v_cmp_eq_u32_e64 s[44:45], 1, v8
	v_mbcnt_lo_u32_b32 v13, -1, 0
	v_and_b32_e32 v8, 0xffffff00, v3
	v_cndmask_b32_e64 v15, v7, 1, s[44:45]
	v_mbcnt_hi_u32_b32 v13, -1, v13
	v_and_b32_e32 v19, 15, v13
	v_or_b32_sdwa v17, v8, v15 dst_sel:DWORD dst_unused:UNUSED_PAD src0_sel:DWORD src1_sel:WORD_0
	v_mov_b32_dpp v21, v9 row_shr:1 row_mask:0xf bank_mask:0xf
	v_cmp_ne_u32_e64 s[44:45], 0, v19
	v_mov_b32_dpp v23, v17 row_shr:1 row_mask:0xf bank_mask:0xf
	s_and_saveexec_b64 s[48:49], s[44:45]
; %bb.194:
	v_and_b32_e32 v17, 1, v15
	v_and_b32_e32 v23, 1, v23
	v_cmp_eq_u32_e64 s[44:45], 1, v17
	s_nop 1
	v_cndmask_b32_e64 v23, v23, 1, s[44:45]
	v_cmp_eq_u16_e64 s[44:45], 0, v15
	v_or_b32_sdwa v17, v8, v23 dst_sel:DWORD dst_unused:UNUSED_PAD src0_sel:DWORD src1_sel:WORD_0
	s_nop 0
	v_cndmask_b32_e64 v15, 0, v21, s[44:45]
	v_add_u32_e32 v9, v15, v9
	v_mov_b32_e32 v15, v23
; %bb.195:
	s_or_b64 exec, exec, s[48:49]
	v_mov_b32_dpp v21, v9 row_shr:2 row_mask:0xf bank_mask:0xf
	v_mov_b32_dpp v23, v17 row_shr:2 row_mask:0xf bank_mask:0xf
	v_cmp_lt_u32_e64 s[44:45], 1, v19
	s_and_saveexec_b64 s[48:49], s[44:45]
; %bb.196:
	v_and_b32_e32 v17, 1, v15
	v_and_b32_e32 v23, 1, v23
	v_cmp_eq_u32_e64 s[44:45], 1, v17
	s_nop 1
	v_cndmask_b32_e64 v23, v23, 1, s[44:45]
	v_cmp_eq_u16_e64 s[44:45], 0, v15
	v_or_b32_sdwa v17, v8, v23 dst_sel:DWORD dst_unused:UNUSED_PAD src0_sel:DWORD src1_sel:WORD_0
	s_nop 0
	v_cndmask_b32_e64 v15, 0, v21, s[44:45]
	v_add_u32_e32 v9, v15, v9
	v_mov_b32_e32 v15, v23
; %bb.197:
	s_or_b64 exec, exec, s[48:49]
	v_mov_b32_dpp v21, v9 row_shr:4 row_mask:0xf bank_mask:0xf
	v_mov_b32_dpp v23, v17 row_shr:4 row_mask:0xf bank_mask:0xf
	v_cmp_lt_u32_e64 s[44:45], 3, v19
	;; [unrolled: 18-line block ×3, first 2 shown]
	s_and_saveexec_b64 s[48:49], s[44:45]
; %bb.200:
	v_and_b32_e32 v17, 1, v15
	v_and_b32_e32 v19, 1, v23
	v_cmp_eq_u32_e64 s[44:45], 1, v17
	s_nop 1
	v_cndmask_b32_e64 v19, v19, 1, s[44:45]
	v_cmp_eq_u16_e64 s[44:45], 0, v15
	v_or_b32_sdwa v17, v8, v19 dst_sel:DWORD dst_unused:UNUSED_PAD src0_sel:DWORD src1_sel:WORD_0
	s_nop 0
	v_cndmask_b32_e64 v15, 0, v21, s[44:45]
	v_add_u32_e32 v9, v15, v9
	v_mov_b32_e32 v15, v19
; %bb.201:
	s_or_b64 exec, exec, s[48:49]
	v_and_b32_e32 v23, 16, v13
	v_mov_b32_dpp v19, v9 row_bcast:15 row_mask:0xf bank_mask:0xf
	v_mov_b32_dpp v21, v17 row_bcast:15 row_mask:0xf bank_mask:0xf
	v_cmp_ne_u32_e64 s[44:45], 0, v23
	s_and_saveexec_b64 s[48:49], s[44:45]
; %bb.202:
	v_and_b32_e32 v17, 1, v15
	v_and_b32_e32 v21, 1, v21
	v_cmp_eq_u32_e64 s[44:45], 1, v17
	s_nop 1
	v_cndmask_b32_e64 v21, v21, 1, s[44:45]
	v_cmp_eq_u16_e64 s[44:45], 0, v15
	v_or_b32_sdwa v17, v8, v21 dst_sel:DWORD dst_unused:UNUSED_PAD src0_sel:DWORD src1_sel:WORD_0
	s_nop 0
	v_cndmask_b32_e64 v15, 0, v19, s[44:45]
	v_add_u32_e32 v9, v15, v9
	v_mov_b32_e32 v15, v21
; %bb.203:
	s_or_b64 exec, exec, s[48:49]
	v_mov_b32_dpp v17, v17 row_bcast:31 row_mask:0xf bank_mask:0xf
	v_and_b32_e32 v21, 1, v15
	v_and_b32_e32 v17, 1, v17
	v_cmp_eq_u32_e64 s[44:45], 1, v21
	v_mov_b32_e32 v21, 0
	v_cmp_eq_u16_sdwa s[48:49], v15, v21 src0_sel:BYTE_0 src1_sel:DWORD
	v_cndmask_b32_e64 v17, v17, 1, s[44:45]
	v_cmp_lt_u32_e64 s[44:45], 31, v13
	v_mov_b32_dpp v19, v9 row_bcast:31 row_mask:0xf bank_mask:0xf
	s_movk_i32 s50, 0xff
	v_cndmask_b32_e64 v15, v15, v17, s[44:45]
	s_and_b64 s[44:45], s[44:45], s[48:49]
	v_cndmask_b32_e64 v17, 0, v19, s[44:45]
	v_add_u32_e32 v9, v17, v9
	v_add_u32_e32 v17, -1, v13
	v_and_b32_e32 v19, 64, v13
	v_cmp_lt_i32_e64 s[44:45], v17, v19
	v_and_or_b32 v8, v15, s50, v8
	s_nop 0
	v_cndmask_b32_e64 v13, v17, v13, s[44:45]
	v_lshlrev_b32_e32 v13, 2, v13
	ds_bpermute_b32 v9, v13, v9
	ds_bpermute_b32 v8, v13, v8
	v_cmp_eq_u16_sdwa s[44:45], v3, v21 src0_sel:BYTE_0 src1_sel:DWORD
	; wave barrier
	s_waitcnt lgkmcnt(1)
	s_nop 0
	v_cndmask_b32_e64 v3, 0, v9, s[44:45]
	v_add_u32_e32 v2, v3, v2
	s_waitcnt lgkmcnt(0)
	v_and_b32_e32 v3, 1, v8
	v_cmp_eq_u32_e64 s[44:45], 1, v7
	s_nop 1
	v_cndmask_b32_e64 v3, v3, 1, s[44:45]
	v_cmp_eq_u32_e64 s[44:45], 0, v0
	s_nop 1
	v_cndmask_b32_e64 v5, v2, v5, s[44:45]
	v_cndmask_b32_e64 v6, v3, v6, s[44:45]
	ds_write_b32 v1, v5
	ds_write_b8 v1, v6 offset:4
	; wave barrier
	ds_read_u8 v7, v1 offset:12
	ds_read2_b32 v[2:3], v1 offset0:2 offset1:4
	ds_read_u8 v8, v1 offset:20
	ds_read_b32 v9, v1 offset:24
	ds_read_u8 v13, v1 offset:28
	s_waitcnt lgkmcnt(4)
	v_cmp_eq_u16_e64 s[44:45], 0, v7
	s_nop 1
	v_cndmask_b32_e64 v5, 0, v5, s[44:45]
	s_waitcnt lgkmcnt(3)
	v_add_u32_e32 v2, v5, v2
	v_and_b32_e32 v5, 1, v7
	v_cmp_eq_u32_e64 s[44:45], 1, v5
	s_nop 1
	v_cndmask_b32_e64 v5, v6, 1, s[44:45]
	s_waitcnt lgkmcnt(2)
	v_cmp_eq_u16_e64 s[44:45], 0, v8
	ds_write_b8 v1, v5 offset:12
	s_nop 0
	v_cndmask_b32_e64 v6, 0, v2, s[44:45]
	v_add_u32_e32 v3, v6, v3
	v_and_b32_e32 v6, 1, v8
	v_cmp_eq_u32_e64 s[44:45], 1, v6
	s_nop 1
	v_cndmask_b32_e64 v5, v5, 1, s[44:45]
	s_waitcnt lgkmcnt(1)
	v_cmp_eq_u16_e64 s[44:45], 0, v13
	ds_write2_b32 v1, v2, v3 offset0:2 offset1:4
	ds_write_b8 v1, v5 offset:20
	v_cndmask_b32_e64 v2, 0, v3, s[44:45]
	v_and_b32_e32 v3, 1, v13
	v_add_u32_e32 v2, v2, v9
	v_cmp_eq_u32_e64 s[44:45], 1, v3
	s_nop 1
	v_cndmask_b32_e64 v3, v5, 1, s[44:45]
	ds_write_b32 v1, v2 offset:24
	ds_write_b8 v1, v3 offset:28
.LBB805_204:
	s_or_b64 exec, exec, s[46:47]
	v_cmp_eq_u32_e64 s[44:45], 0, v0
	v_cmp_ne_u32_e64 s[46:47], 0, v0
	s_waitcnt vmcnt(0)
	v_mov_b32_e32 v58, v4
	s_waitcnt lgkmcnt(0)
	s_barrier
	s_and_saveexec_b64 s[48:49], s[46:47]
	s_cbranch_execz .LBB805_206
; %bb.205:
	v_add_u32_e32 v1, -1, v0
	v_lshrrev_b32_e32 v2, 5, v1
	v_add_lshl_u32 v1, v2, v1, 3
	ds_read_u8 v2, v1 offset:4
	ds_read_b32 v1, v1
	s_waitcnt lgkmcnt(1)
	v_cmp_eq_u16_e64 s[46:47], 0, v2
	s_nop 1
	v_cndmask_b32_e64 v2, 0, v4, s[46:47]
	s_waitcnt lgkmcnt(0)
	v_add_u32_e32 v58, v2, v1
.LBB805_206:
	s_or_b64 exec, exec, s[48:49]
	v_and_b32_e32 v3, 0xff, v11
	v_mov_b32_e32 v2, 0
	v_cmp_eq_u64_e64 s[46:47], 0, v[2:3]
	s_nop 1
	v_cndmask_b32_e64 v1, 0, v58, s[46:47]
	v_add_u32_e32 v59, v1, v10
	v_cndmask_b32_e32 v1, 0, v59, vcc
	v_add_u32_e32 v60, v1, v12
	v_cndmask_b32_e64 v1, 0, v60, s[2:3]
	v_add_u32_e32 v61, v1, v14
	v_cndmask_b32_e64 v1, 0, v61, s[4:5]
	;; [unrolled: 2-line block ×20, first 2 shown]
	s_and_saveexec_b64 s[2:3], s[44:45]
	s_cbranch_execz .LBB805_208
; %bb.207:
	ds_read_u8 v3, v2 offset:2100
	ds_read_b32 v5, v2 offset:2096
	s_add_u32 s4, s56, 0x400
	s_addc_u32 s5, s57, 0
	v_mov_b32_e32 v6, 2
	s_waitcnt lgkmcnt(1)
	v_cmp_eq_u16_e32 vcc, 0, v3
	v_mov_b32_e32 v7, v2
	s_nop 0
	v_cndmask_b32_e32 v4, 0, v4, vcc
	s_waitcnt lgkmcnt(0)
	v_add_u32_e32 v4, v4, v5
	v_and_b32_e32 v5, 0xffff, v3
	v_mov_b64_e32 v[2:3], s[4:5]
	;;#ASMSTART
	global_store_dwordx4 v[2:3], v[4:7] off sc1	
s_waitcnt vmcnt(0)
	;;#ASMEND
.LBB805_208:
	s_or_b64 exec, exec, s[2:3]
	v_add_u32_e32 v80, v1, v52
.LBB805_209:
	s_add_u32 s2, s54, s64
	s_addc_u32 s3, s55, s65
	s_add_u32 s2, s2, s66
	s_addc_u32 s3, s3, s67
	s_and_b64 vcc, exec, s[0:1]
	s_cbranch_vccz .LBB805_255
; %bb.210:
	s_movk_i32 s0, 0x5c
	v_mul_i32_i24_e32 v26, 0xffffffa8, v0
	v_mul_u32_u24_e32 v1, 0x5c, v0
	v_mad_u32_u24 v2, v0, s0, v26
	s_barrier
	ds_write2_b32 v1, v58, v59 offset1:1
	ds_write2_b32 v1, v60, v61 offset0:2 offset1:3
	ds_write2_b32 v1, v62, v63 offset0:4 offset1:5
	;; [unrolled: 1-line block ×10, first 2 shown]
	ds_write_b32 v1, v80 offset:88
	s_waitcnt lgkmcnt(0)
	s_barrier
	ds_read2st64_b32 v[24:25], v2 offset0:4 offset1:8
	ds_read2st64_b32 v[22:23], v2 offset0:12 offset1:16
	;; [unrolled: 1-line block ×11, first 2 shown]
	s_add_i32 s33, s33, s58
	v_mov_b32_e32 v55, 0
	v_lshl_add_u64 v[4:5], s[2:3], 0, v[54:55]
	v_cmp_gt_u32_e32 vcc, s33, v0
	s_and_saveexec_b64 s[0:1], vcc
	s_cbranch_execz .LBB805_212
; %bb.211:
	v_add_u32_e32 v1, v1, v26
	ds_read_b32 v1, v1
	s_waitcnt lgkmcnt(0)
	flat_store_dword v[4:5], v1
.LBB805_212:
	s_or_b64 exec, exec, s[0:1]
	v_or_b32_e32 v1, 0x100, v0
	v_cmp_gt_u32_e32 vcc, s33, v1
	s_and_saveexec_b64 s[0:1], vcc
	s_cbranch_execz .LBB805_214
; %bb.213:
	s_waitcnt lgkmcnt(0)
	flat_store_dword v[4:5], v24 offset:1024
.LBB805_214:
	s_or_b64 exec, exec, s[0:1]
	v_or_b32_e32 v1, 0x200, v0
	v_cmp_gt_u32_e32 vcc, s33, v1
	s_and_saveexec_b64 s[0:1], vcc
	s_cbranch_execz .LBB805_216
; %bb.215:
	s_waitcnt lgkmcnt(0)
	flat_store_dword v[4:5], v25 offset:2048
.LBB805_216:
	;; [unrolled: 9-line block ×3, first 2 shown]
	s_or_b64 exec, exec, s[0:1]
	v_or_b32_e32 v1, 0x400, v0
	v_cmp_gt_u32_e32 vcc, s33, v1
	s_and_saveexec_b64 s[0:1], vcc
	s_cbranch_execz .LBB805_220
; %bb.219:
	s_waitcnt lgkmcnt(0)
	v_add_co_u32_e32 v24, vcc, 0x1000, v4
	s_nop 1
	v_addc_co_u32_e32 v25, vcc, 0, v5, vcc
	flat_store_dword v[24:25], v23
.LBB805_220:
	s_or_b64 exec, exec, s[0:1]
	v_or_b32_e32 v1, 0x500, v0
	v_cmp_gt_u32_e32 vcc, s33, v1
	s_and_saveexec_b64 s[0:1], vcc
	s_cbranch_execz .LBB805_222
; %bb.221:
	s_waitcnt lgkmcnt(0)
	v_add_co_u32_e32 v22, vcc, 0x1000, v4
	s_nop 1
	v_addc_co_u32_e32 v23, vcc, 0, v5, vcc
	flat_store_dword v[22:23], v20 offset:1024
.LBB805_222:
	s_or_b64 exec, exec, s[0:1]
	v_or_b32_e32 v1, 0x600, v0
	v_cmp_gt_u32_e32 vcc, s33, v1
	s_and_saveexec_b64 s[0:1], vcc
	s_cbranch_execz .LBB805_224
; %bb.223:
	s_waitcnt lgkmcnt(0)
	v_add_co_u32_e32 v22, vcc, 0x1000, v4
	s_nop 1
	v_addc_co_u32_e32 v23, vcc, 0, v5, vcc
	flat_store_dword v[22:23], v21 offset:2048
.LBB805_224:
	s_or_b64 exec, exec, s[0:1]
	v_or_b32_e32 v1, 0x700, v0
	v_cmp_gt_u32_e32 vcc, s33, v1
	s_and_saveexec_b64 s[0:1], vcc
	s_cbranch_execz .LBB805_226
; %bb.225:
	s_waitcnt lgkmcnt(0)
	v_add_co_u32_e32 v20, vcc, 0x1000, v4
	s_nop 1
	v_addc_co_u32_e32 v21, vcc, 0, v5, vcc
	flat_store_dword v[20:21], v18 offset:3072
.LBB805_226:
	s_or_b64 exec, exec, s[0:1]
	v_or_b32_e32 v1, 0x800, v0
	v_cmp_gt_u32_e32 vcc, s33, v1
	s_and_saveexec_b64 s[0:1], vcc
	s_cbranch_execz .LBB805_228
; %bb.227:
	s_waitcnt lgkmcnt(0)
	v_add_co_u32_e32 v20, vcc, 0x2000, v4
	s_nop 1
	v_addc_co_u32_e32 v21, vcc, 0, v5, vcc
	flat_store_dword v[20:21], v19
.LBB805_228:
	s_or_b64 exec, exec, s[0:1]
	v_or_b32_e32 v1, 0x900, v0
	v_cmp_gt_u32_e32 vcc, s33, v1
	s_and_saveexec_b64 s[0:1], vcc
	s_cbranch_execz .LBB805_230
; %bb.229:
	s_waitcnt lgkmcnt(0)
	v_add_co_u32_e32 v18, vcc, 0x2000, v4
	s_nop 1
	v_addc_co_u32_e32 v19, vcc, 0, v5, vcc
	flat_store_dword v[18:19], v16 offset:1024
.LBB805_230:
	s_or_b64 exec, exec, s[0:1]
	v_or_b32_e32 v1, 0xa00, v0
	v_cmp_gt_u32_e32 vcc, s33, v1
	s_and_saveexec_b64 s[0:1], vcc
	s_cbranch_execz .LBB805_232
; %bb.231:
	s_waitcnt lgkmcnt(0)
	v_add_co_u32_e32 v18, vcc, 0x2000, v4
	s_nop 1
	v_addc_co_u32_e32 v19, vcc, 0, v5, vcc
	flat_store_dword v[18:19], v17 offset:2048
.LBB805_232:
	s_or_b64 exec, exec, s[0:1]
	v_or_b32_e32 v1, 0xb00, v0
	v_cmp_gt_u32_e32 vcc, s33, v1
	s_and_saveexec_b64 s[0:1], vcc
	s_cbranch_execz .LBB805_234
; %bb.233:
	s_waitcnt lgkmcnt(0)
	v_add_co_u32_e32 v16, vcc, 0x2000, v4
	s_nop 1
	v_addc_co_u32_e32 v17, vcc, 0, v5, vcc
	flat_store_dword v[16:17], v14 offset:3072
.LBB805_234:
	;; [unrolled: 48-line block ×4, first 2 shown]
	s_or_b64 exec, exec, s[0:1]
	v_or_b32_e32 v1, 0x1400, v0
	v_cmp_gt_u32_e32 vcc, s33, v1
	s_and_saveexec_b64 s[0:1], vcc
	s_cbranch_execz .LBB805_252
; %bb.251:
	s_waitcnt lgkmcnt(0)
	v_add_co_u32_e32 v8, vcc, 0x5000, v4
	s_nop 1
	v_addc_co_u32_e32 v9, vcc, 0, v5, vcc
	flat_store_dword v[8:9], v7
.LBB805_252:
	s_or_b64 exec, exec, s[0:1]
	v_or_b32_e32 v1, 0x1500, v0
	v_cmp_gt_u32_e32 vcc, s33, v1
	s_and_saveexec_b64 s[0:1], vcc
	s_cbranch_execz .LBB805_254
; %bb.253:
	v_add_co_u32_e32 v4, vcc, 0x5000, v4
	s_nop 1
	v_addc_co_u32_e32 v5, vcc, 0, v5, vcc
	s_waitcnt lgkmcnt(0)
	flat_store_dword v[4:5], v2 offset:1024
.LBB805_254:
	s_or_b64 exec, exec, s[0:1]
	s_waitcnt lgkmcnt(0)
	v_or_b32_e32 v2, 0x1600, v0
	v_mov_b32_e32 v1, v55
	v_cmp_gt_u32_e64 s[0:1], s33, v2
	s_branch .LBB805_257
.LBB805_255:
	s_mov_b64 s[0:1], 0
                                        ; implicit-def: $vgpr3
	s_cbranch_execz .LBB805_257
; %bb.256:
	v_mul_u32_u24_e32 v1, 0x5c, v0
	s_barrier
	s_movk_i32 s4, 0x5c
	ds_write2_b32 v1, v58, v59 offset1:1
	ds_write2_b32 v1, v60, v61 offset0:2 offset1:3
	ds_write2_b32 v1, v62, v63 offset0:4 offset1:5
	;; [unrolled: 1-line block ×10, first 2 shown]
	ds_write_b32 v1, v80 offset:88
	v_mov_b32_e32 v1, 0
	v_mul_i32_i24_e32 v2, 0xffffffa8, v0
	v_mad_u32_u24 v2, v0, s4, v2
	v_mov_b32_e32 v55, v1
	s_waitcnt lgkmcnt(0)
	s_barrier
	ds_read2st64_b32 v[4:5], v2 offset1:4
	ds_read2st64_b32 v[6:7], v2 offset0:8 offset1:12
	ds_read2st64_b32 v[8:9], v2 offset0:16 offset1:20
	ds_read2st64_b32 v[10:11], v2 offset0:24 offset1:28
	ds_read2st64_b32 v[12:13], v2 offset0:32 offset1:36
	ds_read2st64_b32 v[14:15], v2 offset0:40 offset1:44
	ds_read2st64_b32 v[16:17], v2 offset0:48 offset1:52
	ds_read2st64_b32 v[18:19], v2 offset0:56 offset1:60
	ds_read2st64_b32 v[20:21], v2 offset0:64 offset1:68
	ds_read2st64_b32 v[22:23], v2 offset0:72 offset1:76
	ds_read2st64_b32 v[24:25], v2 offset0:80 offset1:84
	ds_read_b32 v3, v2 offset:22528
	v_lshl_add_u64 v[26:27], s[2:3], 0, v[54:55]
	s_movk_i32 s4, 0x1000
	s_waitcnt lgkmcnt(0)
	flat_store_dword v[26:27], v4
	flat_store_dword v[26:27], v5 offset:1024
	flat_store_dword v[26:27], v6 offset:2048
	flat_store_dword v[26:27], v7 offset:3072
	v_add_co_u32_e32 v4, vcc, s4, v26
	s_movk_i32 s4, 0x2000
	s_nop 0
	v_addc_co_u32_e32 v5, vcc, 0, v27, vcc
	flat_store_dword v[4:5], v8
	flat_store_dword v[4:5], v9 offset:1024
	flat_store_dword v[4:5], v10 offset:2048
	;; [unrolled: 1-line block ×3, first 2 shown]
	v_add_co_u32_e32 v4, vcc, s4, v26
	s_movk_i32 s4, 0x3000
	s_nop 0
	v_addc_co_u32_e32 v5, vcc, 0, v27, vcc
	flat_store_dword v[4:5], v12
	flat_store_dword v[4:5], v13 offset:1024
	flat_store_dword v[4:5], v14 offset:2048
	;; [unrolled: 1-line block ×3, first 2 shown]
	v_add_co_u32_e32 v4, vcc, s4, v26
	s_or_b64 s[0:1], s[0:1], exec
	s_nop 0
	v_addc_co_u32_e32 v5, vcc, 0, v27, vcc
	flat_store_dword v[4:5], v16
	flat_store_dword v[4:5], v17 offset:1024
	flat_store_dword v[4:5], v18 offset:2048
	flat_store_dword v[4:5], v19 offset:3072
	v_add_co_u32_e32 v4, vcc, 0x4000, v26
	s_nop 1
	v_addc_co_u32_e32 v5, vcc, 0, v27, vcc
	flat_store_dword v[4:5], v20
	flat_store_dword v[4:5], v21 offset:1024
	flat_store_dword v[4:5], v22 offset:2048
	;; [unrolled: 1-line block ×3, first 2 shown]
	v_add_co_u32_e32 v4, vcc, 0x5000, v26
	s_nop 1
	v_addc_co_u32_e32 v5, vcc, 0, v27, vcc
	flat_store_dword v[4:5], v24
	flat_store_dword v[4:5], v25 offset:1024
.LBB805_257:
	s_and_saveexec_b64 s[4:5], s[0:1]
	s_cbranch_execz .LBB805_259
; %bb.258:
	v_lshl_add_u64 v[0:1], v[0:1], 2, s[2:3]
	v_add_co_u32_e32 v0, vcc, 0x5000, v0
	s_nop 1
	v_addc_co_u32_e32 v1, vcc, 0, v1, vcc
	flat_store_dword v[0:1], v3 offset:2048
	s_endpgm
.LBB805_259:
	s_endpgm
	.section	.rodata,"a",@progbits
	.p2align	6, 0x0
	.amdhsa_kernel _ZN7rocprim17ROCPRIM_400000_NS6detail17trampoline_kernelINS0_14default_configENS1_27scan_by_key_config_selectorIiiEEZZNS1_16scan_by_key_implILNS1_25lookback_scan_determinismE0ELb1ES3_N6thrust23THRUST_200600_302600_NS6detail15normal_iteratorINS9_10device_ptrIiEEEESE_SE_iNS9_4plusIiEE19head_flag_predicateiEE10hipError_tPvRmT2_T3_T4_T5_mT6_T7_P12ihipStream_tbENKUlT_T0_E_clISt17integral_constantIbLb1EESX_IbLb0EEEEDaST_SU_EUlST_E_NS1_11comp_targetILNS1_3genE5ELNS1_11target_archE942ELNS1_3gpuE9ELNS1_3repE0EEENS1_30default_config_static_selectorELNS0_4arch9wavefront6targetE1EEEvT1_
		.amdhsa_group_segment_fixed_size 25600
		.amdhsa_private_segment_fixed_size 0
		.amdhsa_kernarg_size 112
		.amdhsa_user_sgpr_count 2
		.amdhsa_user_sgpr_dispatch_ptr 0
		.amdhsa_user_sgpr_queue_ptr 0
		.amdhsa_user_sgpr_kernarg_segment_ptr 1
		.amdhsa_user_sgpr_dispatch_id 0
		.amdhsa_user_sgpr_kernarg_preload_length 0
		.amdhsa_user_sgpr_kernarg_preload_offset 0
		.amdhsa_user_sgpr_private_segment_size 0
		.amdhsa_uses_dynamic_stack 0
		.amdhsa_enable_private_segment 0
		.amdhsa_system_sgpr_workgroup_id_x 1
		.amdhsa_system_sgpr_workgroup_id_y 0
		.amdhsa_system_sgpr_workgroup_id_z 0
		.amdhsa_system_sgpr_workgroup_info 0
		.amdhsa_system_vgpr_workitem_id 0
		.amdhsa_next_free_vgpr 81
		.amdhsa_next_free_sgpr 80
		.amdhsa_accum_offset 84
		.amdhsa_reserve_vcc 1
		.amdhsa_float_round_mode_32 0
		.amdhsa_float_round_mode_16_64 0
		.amdhsa_float_denorm_mode_32 3
		.amdhsa_float_denorm_mode_16_64 3
		.amdhsa_dx10_clamp 1
		.amdhsa_ieee_mode 1
		.amdhsa_fp16_overflow 0
		.amdhsa_tg_split 0
		.amdhsa_exception_fp_ieee_invalid_op 0
		.amdhsa_exception_fp_denorm_src 0
		.amdhsa_exception_fp_ieee_div_zero 0
		.amdhsa_exception_fp_ieee_overflow 0
		.amdhsa_exception_fp_ieee_underflow 0
		.amdhsa_exception_fp_ieee_inexact 0
		.amdhsa_exception_int_div_zero 0
	.end_amdhsa_kernel
	.section	.text._ZN7rocprim17ROCPRIM_400000_NS6detail17trampoline_kernelINS0_14default_configENS1_27scan_by_key_config_selectorIiiEEZZNS1_16scan_by_key_implILNS1_25lookback_scan_determinismE0ELb1ES3_N6thrust23THRUST_200600_302600_NS6detail15normal_iteratorINS9_10device_ptrIiEEEESE_SE_iNS9_4plusIiEE19head_flag_predicateiEE10hipError_tPvRmT2_T3_T4_T5_mT6_T7_P12ihipStream_tbENKUlT_T0_E_clISt17integral_constantIbLb1EESX_IbLb0EEEEDaST_SU_EUlST_E_NS1_11comp_targetILNS1_3genE5ELNS1_11target_archE942ELNS1_3gpuE9ELNS1_3repE0EEENS1_30default_config_static_selectorELNS0_4arch9wavefront6targetE1EEEvT1_,"axG",@progbits,_ZN7rocprim17ROCPRIM_400000_NS6detail17trampoline_kernelINS0_14default_configENS1_27scan_by_key_config_selectorIiiEEZZNS1_16scan_by_key_implILNS1_25lookback_scan_determinismE0ELb1ES3_N6thrust23THRUST_200600_302600_NS6detail15normal_iteratorINS9_10device_ptrIiEEEESE_SE_iNS9_4plusIiEE19head_flag_predicateiEE10hipError_tPvRmT2_T3_T4_T5_mT6_T7_P12ihipStream_tbENKUlT_T0_E_clISt17integral_constantIbLb1EESX_IbLb0EEEEDaST_SU_EUlST_E_NS1_11comp_targetILNS1_3genE5ELNS1_11target_archE942ELNS1_3gpuE9ELNS1_3repE0EEENS1_30default_config_static_selectorELNS0_4arch9wavefront6targetE1EEEvT1_,comdat
.Lfunc_end805:
	.size	_ZN7rocprim17ROCPRIM_400000_NS6detail17trampoline_kernelINS0_14default_configENS1_27scan_by_key_config_selectorIiiEEZZNS1_16scan_by_key_implILNS1_25lookback_scan_determinismE0ELb1ES3_N6thrust23THRUST_200600_302600_NS6detail15normal_iteratorINS9_10device_ptrIiEEEESE_SE_iNS9_4plusIiEE19head_flag_predicateiEE10hipError_tPvRmT2_T3_T4_T5_mT6_T7_P12ihipStream_tbENKUlT_T0_E_clISt17integral_constantIbLb1EESX_IbLb0EEEEDaST_SU_EUlST_E_NS1_11comp_targetILNS1_3genE5ELNS1_11target_archE942ELNS1_3gpuE9ELNS1_3repE0EEENS1_30default_config_static_selectorELNS0_4arch9wavefront6targetE1EEEvT1_, .Lfunc_end805-_ZN7rocprim17ROCPRIM_400000_NS6detail17trampoline_kernelINS0_14default_configENS1_27scan_by_key_config_selectorIiiEEZZNS1_16scan_by_key_implILNS1_25lookback_scan_determinismE0ELb1ES3_N6thrust23THRUST_200600_302600_NS6detail15normal_iteratorINS9_10device_ptrIiEEEESE_SE_iNS9_4plusIiEE19head_flag_predicateiEE10hipError_tPvRmT2_T3_T4_T5_mT6_T7_P12ihipStream_tbENKUlT_T0_E_clISt17integral_constantIbLb1EESX_IbLb0EEEEDaST_SU_EUlST_E_NS1_11comp_targetILNS1_3genE5ELNS1_11target_archE942ELNS1_3gpuE9ELNS1_3repE0EEENS1_30default_config_static_selectorELNS0_4arch9wavefront6targetE1EEEvT1_
                                        ; -- End function
	.section	.AMDGPU.csdata,"",@progbits
; Kernel info:
; codeLenInByte = 15836
; NumSgprs: 86
; NumVgprs: 81
; NumAgprs: 0
; TotalNumVgprs: 81
; ScratchSize: 0
; MemoryBound: 0
; FloatMode: 240
; IeeeMode: 1
; LDSByteSize: 25600 bytes/workgroup (compile time only)
; SGPRBlocks: 10
; VGPRBlocks: 10
; NumSGPRsForWavesPerEU: 86
; NumVGPRsForWavesPerEU: 81
; AccumOffset: 84
; Occupancy: 2
; WaveLimiterHint : 1
; COMPUTE_PGM_RSRC2:SCRATCH_EN: 0
; COMPUTE_PGM_RSRC2:USER_SGPR: 2
; COMPUTE_PGM_RSRC2:TRAP_HANDLER: 0
; COMPUTE_PGM_RSRC2:TGID_X_EN: 1
; COMPUTE_PGM_RSRC2:TGID_Y_EN: 0
; COMPUTE_PGM_RSRC2:TGID_Z_EN: 0
; COMPUTE_PGM_RSRC2:TIDIG_COMP_CNT: 0
; COMPUTE_PGM_RSRC3_GFX90A:ACCUM_OFFSET: 20
; COMPUTE_PGM_RSRC3_GFX90A:TG_SPLIT: 0
	.section	.text._ZN7rocprim17ROCPRIM_400000_NS6detail17trampoline_kernelINS0_14default_configENS1_27scan_by_key_config_selectorIiiEEZZNS1_16scan_by_key_implILNS1_25lookback_scan_determinismE0ELb1ES3_N6thrust23THRUST_200600_302600_NS6detail15normal_iteratorINS9_10device_ptrIiEEEESE_SE_iNS9_4plusIiEE19head_flag_predicateiEE10hipError_tPvRmT2_T3_T4_T5_mT6_T7_P12ihipStream_tbENKUlT_T0_E_clISt17integral_constantIbLb1EESX_IbLb0EEEEDaST_SU_EUlST_E_NS1_11comp_targetILNS1_3genE4ELNS1_11target_archE910ELNS1_3gpuE8ELNS1_3repE0EEENS1_30default_config_static_selectorELNS0_4arch9wavefront6targetE1EEEvT1_,"axG",@progbits,_ZN7rocprim17ROCPRIM_400000_NS6detail17trampoline_kernelINS0_14default_configENS1_27scan_by_key_config_selectorIiiEEZZNS1_16scan_by_key_implILNS1_25lookback_scan_determinismE0ELb1ES3_N6thrust23THRUST_200600_302600_NS6detail15normal_iteratorINS9_10device_ptrIiEEEESE_SE_iNS9_4plusIiEE19head_flag_predicateiEE10hipError_tPvRmT2_T3_T4_T5_mT6_T7_P12ihipStream_tbENKUlT_T0_E_clISt17integral_constantIbLb1EESX_IbLb0EEEEDaST_SU_EUlST_E_NS1_11comp_targetILNS1_3genE4ELNS1_11target_archE910ELNS1_3gpuE8ELNS1_3repE0EEENS1_30default_config_static_selectorELNS0_4arch9wavefront6targetE1EEEvT1_,comdat
	.protected	_ZN7rocprim17ROCPRIM_400000_NS6detail17trampoline_kernelINS0_14default_configENS1_27scan_by_key_config_selectorIiiEEZZNS1_16scan_by_key_implILNS1_25lookback_scan_determinismE0ELb1ES3_N6thrust23THRUST_200600_302600_NS6detail15normal_iteratorINS9_10device_ptrIiEEEESE_SE_iNS9_4plusIiEE19head_flag_predicateiEE10hipError_tPvRmT2_T3_T4_T5_mT6_T7_P12ihipStream_tbENKUlT_T0_E_clISt17integral_constantIbLb1EESX_IbLb0EEEEDaST_SU_EUlST_E_NS1_11comp_targetILNS1_3genE4ELNS1_11target_archE910ELNS1_3gpuE8ELNS1_3repE0EEENS1_30default_config_static_selectorELNS0_4arch9wavefront6targetE1EEEvT1_ ; -- Begin function _ZN7rocprim17ROCPRIM_400000_NS6detail17trampoline_kernelINS0_14default_configENS1_27scan_by_key_config_selectorIiiEEZZNS1_16scan_by_key_implILNS1_25lookback_scan_determinismE0ELb1ES3_N6thrust23THRUST_200600_302600_NS6detail15normal_iteratorINS9_10device_ptrIiEEEESE_SE_iNS9_4plusIiEE19head_flag_predicateiEE10hipError_tPvRmT2_T3_T4_T5_mT6_T7_P12ihipStream_tbENKUlT_T0_E_clISt17integral_constantIbLb1EESX_IbLb0EEEEDaST_SU_EUlST_E_NS1_11comp_targetILNS1_3genE4ELNS1_11target_archE910ELNS1_3gpuE8ELNS1_3repE0EEENS1_30default_config_static_selectorELNS0_4arch9wavefront6targetE1EEEvT1_
	.globl	_ZN7rocprim17ROCPRIM_400000_NS6detail17trampoline_kernelINS0_14default_configENS1_27scan_by_key_config_selectorIiiEEZZNS1_16scan_by_key_implILNS1_25lookback_scan_determinismE0ELb1ES3_N6thrust23THRUST_200600_302600_NS6detail15normal_iteratorINS9_10device_ptrIiEEEESE_SE_iNS9_4plusIiEE19head_flag_predicateiEE10hipError_tPvRmT2_T3_T4_T5_mT6_T7_P12ihipStream_tbENKUlT_T0_E_clISt17integral_constantIbLb1EESX_IbLb0EEEEDaST_SU_EUlST_E_NS1_11comp_targetILNS1_3genE4ELNS1_11target_archE910ELNS1_3gpuE8ELNS1_3repE0EEENS1_30default_config_static_selectorELNS0_4arch9wavefront6targetE1EEEvT1_
	.p2align	8
	.type	_ZN7rocprim17ROCPRIM_400000_NS6detail17trampoline_kernelINS0_14default_configENS1_27scan_by_key_config_selectorIiiEEZZNS1_16scan_by_key_implILNS1_25lookback_scan_determinismE0ELb1ES3_N6thrust23THRUST_200600_302600_NS6detail15normal_iteratorINS9_10device_ptrIiEEEESE_SE_iNS9_4plusIiEE19head_flag_predicateiEE10hipError_tPvRmT2_T3_T4_T5_mT6_T7_P12ihipStream_tbENKUlT_T0_E_clISt17integral_constantIbLb1EESX_IbLb0EEEEDaST_SU_EUlST_E_NS1_11comp_targetILNS1_3genE4ELNS1_11target_archE910ELNS1_3gpuE8ELNS1_3repE0EEENS1_30default_config_static_selectorELNS0_4arch9wavefront6targetE1EEEvT1_,@function
_ZN7rocprim17ROCPRIM_400000_NS6detail17trampoline_kernelINS0_14default_configENS1_27scan_by_key_config_selectorIiiEEZZNS1_16scan_by_key_implILNS1_25lookback_scan_determinismE0ELb1ES3_N6thrust23THRUST_200600_302600_NS6detail15normal_iteratorINS9_10device_ptrIiEEEESE_SE_iNS9_4plusIiEE19head_flag_predicateiEE10hipError_tPvRmT2_T3_T4_T5_mT6_T7_P12ihipStream_tbENKUlT_T0_E_clISt17integral_constantIbLb1EESX_IbLb0EEEEDaST_SU_EUlST_E_NS1_11comp_targetILNS1_3genE4ELNS1_11target_archE910ELNS1_3gpuE8ELNS1_3repE0EEENS1_30default_config_static_selectorELNS0_4arch9wavefront6targetE1EEEvT1_: ; @_ZN7rocprim17ROCPRIM_400000_NS6detail17trampoline_kernelINS0_14default_configENS1_27scan_by_key_config_selectorIiiEEZZNS1_16scan_by_key_implILNS1_25lookback_scan_determinismE0ELb1ES3_N6thrust23THRUST_200600_302600_NS6detail15normal_iteratorINS9_10device_ptrIiEEEESE_SE_iNS9_4plusIiEE19head_flag_predicateiEE10hipError_tPvRmT2_T3_T4_T5_mT6_T7_P12ihipStream_tbENKUlT_T0_E_clISt17integral_constantIbLb1EESX_IbLb0EEEEDaST_SU_EUlST_E_NS1_11comp_targetILNS1_3genE4ELNS1_11target_archE910ELNS1_3gpuE8ELNS1_3repE0EEENS1_30default_config_static_selectorELNS0_4arch9wavefront6targetE1EEEvT1_
; %bb.0:
	.section	.rodata,"a",@progbits
	.p2align	6, 0x0
	.amdhsa_kernel _ZN7rocprim17ROCPRIM_400000_NS6detail17trampoline_kernelINS0_14default_configENS1_27scan_by_key_config_selectorIiiEEZZNS1_16scan_by_key_implILNS1_25lookback_scan_determinismE0ELb1ES3_N6thrust23THRUST_200600_302600_NS6detail15normal_iteratorINS9_10device_ptrIiEEEESE_SE_iNS9_4plusIiEE19head_flag_predicateiEE10hipError_tPvRmT2_T3_T4_T5_mT6_T7_P12ihipStream_tbENKUlT_T0_E_clISt17integral_constantIbLb1EESX_IbLb0EEEEDaST_SU_EUlST_E_NS1_11comp_targetILNS1_3genE4ELNS1_11target_archE910ELNS1_3gpuE8ELNS1_3repE0EEENS1_30default_config_static_selectorELNS0_4arch9wavefront6targetE1EEEvT1_
		.amdhsa_group_segment_fixed_size 0
		.amdhsa_private_segment_fixed_size 0
		.amdhsa_kernarg_size 112
		.amdhsa_user_sgpr_count 2
		.amdhsa_user_sgpr_dispatch_ptr 0
		.amdhsa_user_sgpr_queue_ptr 0
		.amdhsa_user_sgpr_kernarg_segment_ptr 1
		.amdhsa_user_sgpr_dispatch_id 0
		.amdhsa_user_sgpr_kernarg_preload_length 0
		.amdhsa_user_sgpr_kernarg_preload_offset 0
		.amdhsa_user_sgpr_private_segment_size 0
		.amdhsa_uses_dynamic_stack 0
		.amdhsa_enable_private_segment 0
		.amdhsa_system_sgpr_workgroup_id_x 1
		.amdhsa_system_sgpr_workgroup_id_y 0
		.amdhsa_system_sgpr_workgroup_id_z 0
		.amdhsa_system_sgpr_workgroup_info 0
		.amdhsa_system_vgpr_workitem_id 0
		.amdhsa_next_free_vgpr 1
		.amdhsa_next_free_sgpr 0
		.amdhsa_accum_offset 4
		.amdhsa_reserve_vcc 0
		.amdhsa_float_round_mode_32 0
		.amdhsa_float_round_mode_16_64 0
		.amdhsa_float_denorm_mode_32 3
		.amdhsa_float_denorm_mode_16_64 3
		.amdhsa_dx10_clamp 1
		.amdhsa_ieee_mode 1
		.amdhsa_fp16_overflow 0
		.amdhsa_tg_split 0
		.amdhsa_exception_fp_ieee_invalid_op 0
		.amdhsa_exception_fp_denorm_src 0
		.amdhsa_exception_fp_ieee_div_zero 0
		.amdhsa_exception_fp_ieee_overflow 0
		.amdhsa_exception_fp_ieee_underflow 0
		.amdhsa_exception_fp_ieee_inexact 0
		.amdhsa_exception_int_div_zero 0
	.end_amdhsa_kernel
	.section	.text._ZN7rocprim17ROCPRIM_400000_NS6detail17trampoline_kernelINS0_14default_configENS1_27scan_by_key_config_selectorIiiEEZZNS1_16scan_by_key_implILNS1_25lookback_scan_determinismE0ELb1ES3_N6thrust23THRUST_200600_302600_NS6detail15normal_iteratorINS9_10device_ptrIiEEEESE_SE_iNS9_4plusIiEE19head_flag_predicateiEE10hipError_tPvRmT2_T3_T4_T5_mT6_T7_P12ihipStream_tbENKUlT_T0_E_clISt17integral_constantIbLb1EESX_IbLb0EEEEDaST_SU_EUlST_E_NS1_11comp_targetILNS1_3genE4ELNS1_11target_archE910ELNS1_3gpuE8ELNS1_3repE0EEENS1_30default_config_static_selectorELNS0_4arch9wavefront6targetE1EEEvT1_,"axG",@progbits,_ZN7rocprim17ROCPRIM_400000_NS6detail17trampoline_kernelINS0_14default_configENS1_27scan_by_key_config_selectorIiiEEZZNS1_16scan_by_key_implILNS1_25lookback_scan_determinismE0ELb1ES3_N6thrust23THRUST_200600_302600_NS6detail15normal_iteratorINS9_10device_ptrIiEEEESE_SE_iNS9_4plusIiEE19head_flag_predicateiEE10hipError_tPvRmT2_T3_T4_T5_mT6_T7_P12ihipStream_tbENKUlT_T0_E_clISt17integral_constantIbLb1EESX_IbLb0EEEEDaST_SU_EUlST_E_NS1_11comp_targetILNS1_3genE4ELNS1_11target_archE910ELNS1_3gpuE8ELNS1_3repE0EEENS1_30default_config_static_selectorELNS0_4arch9wavefront6targetE1EEEvT1_,comdat
.Lfunc_end806:
	.size	_ZN7rocprim17ROCPRIM_400000_NS6detail17trampoline_kernelINS0_14default_configENS1_27scan_by_key_config_selectorIiiEEZZNS1_16scan_by_key_implILNS1_25lookback_scan_determinismE0ELb1ES3_N6thrust23THRUST_200600_302600_NS6detail15normal_iteratorINS9_10device_ptrIiEEEESE_SE_iNS9_4plusIiEE19head_flag_predicateiEE10hipError_tPvRmT2_T3_T4_T5_mT6_T7_P12ihipStream_tbENKUlT_T0_E_clISt17integral_constantIbLb1EESX_IbLb0EEEEDaST_SU_EUlST_E_NS1_11comp_targetILNS1_3genE4ELNS1_11target_archE910ELNS1_3gpuE8ELNS1_3repE0EEENS1_30default_config_static_selectorELNS0_4arch9wavefront6targetE1EEEvT1_, .Lfunc_end806-_ZN7rocprim17ROCPRIM_400000_NS6detail17trampoline_kernelINS0_14default_configENS1_27scan_by_key_config_selectorIiiEEZZNS1_16scan_by_key_implILNS1_25lookback_scan_determinismE0ELb1ES3_N6thrust23THRUST_200600_302600_NS6detail15normal_iteratorINS9_10device_ptrIiEEEESE_SE_iNS9_4plusIiEE19head_flag_predicateiEE10hipError_tPvRmT2_T3_T4_T5_mT6_T7_P12ihipStream_tbENKUlT_T0_E_clISt17integral_constantIbLb1EESX_IbLb0EEEEDaST_SU_EUlST_E_NS1_11comp_targetILNS1_3genE4ELNS1_11target_archE910ELNS1_3gpuE8ELNS1_3repE0EEENS1_30default_config_static_selectorELNS0_4arch9wavefront6targetE1EEEvT1_
                                        ; -- End function
	.section	.AMDGPU.csdata,"",@progbits
; Kernel info:
; codeLenInByte = 0
; NumSgprs: 6
; NumVgprs: 0
; NumAgprs: 0
; TotalNumVgprs: 0
; ScratchSize: 0
; MemoryBound: 0
; FloatMode: 240
; IeeeMode: 1
; LDSByteSize: 0 bytes/workgroup (compile time only)
; SGPRBlocks: 0
; VGPRBlocks: 0
; NumSGPRsForWavesPerEU: 6
; NumVGPRsForWavesPerEU: 1
; AccumOffset: 4
; Occupancy: 8
; WaveLimiterHint : 0
; COMPUTE_PGM_RSRC2:SCRATCH_EN: 0
; COMPUTE_PGM_RSRC2:USER_SGPR: 2
; COMPUTE_PGM_RSRC2:TRAP_HANDLER: 0
; COMPUTE_PGM_RSRC2:TGID_X_EN: 1
; COMPUTE_PGM_RSRC2:TGID_Y_EN: 0
; COMPUTE_PGM_RSRC2:TGID_Z_EN: 0
; COMPUTE_PGM_RSRC2:TIDIG_COMP_CNT: 0
; COMPUTE_PGM_RSRC3_GFX90A:ACCUM_OFFSET: 0
; COMPUTE_PGM_RSRC3_GFX90A:TG_SPLIT: 0
	.section	.text._ZN7rocprim17ROCPRIM_400000_NS6detail17trampoline_kernelINS0_14default_configENS1_27scan_by_key_config_selectorIiiEEZZNS1_16scan_by_key_implILNS1_25lookback_scan_determinismE0ELb1ES3_N6thrust23THRUST_200600_302600_NS6detail15normal_iteratorINS9_10device_ptrIiEEEESE_SE_iNS9_4plusIiEE19head_flag_predicateiEE10hipError_tPvRmT2_T3_T4_T5_mT6_T7_P12ihipStream_tbENKUlT_T0_E_clISt17integral_constantIbLb1EESX_IbLb0EEEEDaST_SU_EUlST_E_NS1_11comp_targetILNS1_3genE3ELNS1_11target_archE908ELNS1_3gpuE7ELNS1_3repE0EEENS1_30default_config_static_selectorELNS0_4arch9wavefront6targetE1EEEvT1_,"axG",@progbits,_ZN7rocprim17ROCPRIM_400000_NS6detail17trampoline_kernelINS0_14default_configENS1_27scan_by_key_config_selectorIiiEEZZNS1_16scan_by_key_implILNS1_25lookback_scan_determinismE0ELb1ES3_N6thrust23THRUST_200600_302600_NS6detail15normal_iteratorINS9_10device_ptrIiEEEESE_SE_iNS9_4plusIiEE19head_flag_predicateiEE10hipError_tPvRmT2_T3_T4_T5_mT6_T7_P12ihipStream_tbENKUlT_T0_E_clISt17integral_constantIbLb1EESX_IbLb0EEEEDaST_SU_EUlST_E_NS1_11comp_targetILNS1_3genE3ELNS1_11target_archE908ELNS1_3gpuE7ELNS1_3repE0EEENS1_30default_config_static_selectorELNS0_4arch9wavefront6targetE1EEEvT1_,comdat
	.protected	_ZN7rocprim17ROCPRIM_400000_NS6detail17trampoline_kernelINS0_14default_configENS1_27scan_by_key_config_selectorIiiEEZZNS1_16scan_by_key_implILNS1_25lookback_scan_determinismE0ELb1ES3_N6thrust23THRUST_200600_302600_NS6detail15normal_iteratorINS9_10device_ptrIiEEEESE_SE_iNS9_4plusIiEE19head_flag_predicateiEE10hipError_tPvRmT2_T3_T4_T5_mT6_T7_P12ihipStream_tbENKUlT_T0_E_clISt17integral_constantIbLb1EESX_IbLb0EEEEDaST_SU_EUlST_E_NS1_11comp_targetILNS1_3genE3ELNS1_11target_archE908ELNS1_3gpuE7ELNS1_3repE0EEENS1_30default_config_static_selectorELNS0_4arch9wavefront6targetE1EEEvT1_ ; -- Begin function _ZN7rocprim17ROCPRIM_400000_NS6detail17trampoline_kernelINS0_14default_configENS1_27scan_by_key_config_selectorIiiEEZZNS1_16scan_by_key_implILNS1_25lookback_scan_determinismE0ELb1ES3_N6thrust23THRUST_200600_302600_NS6detail15normal_iteratorINS9_10device_ptrIiEEEESE_SE_iNS9_4plusIiEE19head_flag_predicateiEE10hipError_tPvRmT2_T3_T4_T5_mT6_T7_P12ihipStream_tbENKUlT_T0_E_clISt17integral_constantIbLb1EESX_IbLb0EEEEDaST_SU_EUlST_E_NS1_11comp_targetILNS1_3genE3ELNS1_11target_archE908ELNS1_3gpuE7ELNS1_3repE0EEENS1_30default_config_static_selectorELNS0_4arch9wavefront6targetE1EEEvT1_
	.globl	_ZN7rocprim17ROCPRIM_400000_NS6detail17trampoline_kernelINS0_14default_configENS1_27scan_by_key_config_selectorIiiEEZZNS1_16scan_by_key_implILNS1_25lookback_scan_determinismE0ELb1ES3_N6thrust23THRUST_200600_302600_NS6detail15normal_iteratorINS9_10device_ptrIiEEEESE_SE_iNS9_4plusIiEE19head_flag_predicateiEE10hipError_tPvRmT2_T3_T4_T5_mT6_T7_P12ihipStream_tbENKUlT_T0_E_clISt17integral_constantIbLb1EESX_IbLb0EEEEDaST_SU_EUlST_E_NS1_11comp_targetILNS1_3genE3ELNS1_11target_archE908ELNS1_3gpuE7ELNS1_3repE0EEENS1_30default_config_static_selectorELNS0_4arch9wavefront6targetE1EEEvT1_
	.p2align	8
	.type	_ZN7rocprim17ROCPRIM_400000_NS6detail17trampoline_kernelINS0_14default_configENS1_27scan_by_key_config_selectorIiiEEZZNS1_16scan_by_key_implILNS1_25lookback_scan_determinismE0ELb1ES3_N6thrust23THRUST_200600_302600_NS6detail15normal_iteratorINS9_10device_ptrIiEEEESE_SE_iNS9_4plusIiEE19head_flag_predicateiEE10hipError_tPvRmT2_T3_T4_T5_mT6_T7_P12ihipStream_tbENKUlT_T0_E_clISt17integral_constantIbLb1EESX_IbLb0EEEEDaST_SU_EUlST_E_NS1_11comp_targetILNS1_3genE3ELNS1_11target_archE908ELNS1_3gpuE7ELNS1_3repE0EEENS1_30default_config_static_selectorELNS0_4arch9wavefront6targetE1EEEvT1_,@function
_ZN7rocprim17ROCPRIM_400000_NS6detail17trampoline_kernelINS0_14default_configENS1_27scan_by_key_config_selectorIiiEEZZNS1_16scan_by_key_implILNS1_25lookback_scan_determinismE0ELb1ES3_N6thrust23THRUST_200600_302600_NS6detail15normal_iteratorINS9_10device_ptrIiEEEESE_SE_iNS9_4plusIiEE19head_flag_predicateiEE10hipError_tPvRmT2_T3_T4_T5_mT6_T7_P12ihipStream_tbENKUlT_T0_E_clISt17integral_constantIbLb1EESX_IbLb0EEEEDaST_SU_EUlST_E_NS1_11comp_targetILNS1_3genE3ELNS1_11target_archE908ELNS1_3gpuE7ELNS1_3repE0EEENS1_30default_config_static_selectorELNS0_4arch9wavefront6targetE1EEEvT1_: ; @_ZN7rocprim17ROCPRIM_400000_NS6detail17trampoline_kernelINS0_14default_configENS1_27scan_by_key_config_selectorIiiEEZZNS1_16scan_by_key_implILNS1_25lookback_scan_determinismE0ELb1ES3_N6thrust23THRUST_200600_302600_NS6detail15normal_iteratorINS9_10device_ptrIiEEEESE_SE_iNS9_4plusIiEE19head_flag_predicateiEE10hipError_tPvRmT2_T3_T4_T5_mT6_T7_P12ihipStream_tbENKUlT_T0_E_clISt17integral_constantIbLb1EESX_IbLb0EEEEDaST_SU_EUlST_E_NS1_11comp_targetILNS1_3genE3ELNS1_11target_archE908ELNS1_3gpuE7ELNS1_3repE0EEENS1_30default_config_static_selectorELNS0_4arch9wavefront6targetE1EEEvT1_
; %bb.0:
	.section	.rodata,"a",@progbits
	.p2align	6, 0x0
	.amdhsa_kernel _ZN7rocprim17ROCPRIM_400000_NS6detail17trampoline_kernelINS0_14default_configENS1_27scan_by_key_config_selectorIiiEEZZNS1_16scan_by_key_implILNS1_25lookback_scan_determinismE0ELb1ES3_N6thrust23THRUST_200600_302600_NS6detail15normal_iteratorINS9_10device_ptrIiEEEESE_SE_iNS9_4plusIiEE19head_flag_predicateiEE10hipError_tPvRmT2_T3_T4_T5_mT6_T7_P12ihipStream_tbENKUlT_T0_E_clISt17integral_constantIbLb1EESX_IbLb0EEEEDaST_SU_EUlST_E_NS1_11comp_targetILNS1_3genE3ELNS1_11target_archE908ELNS1_3gpuE7ELNS1_3repE0EEENS1_30default_config_static_selectorELNS0_4arch9wavefront6targetE1EEEvT1_
		.amdhsa_group_segment_fixed_size 0
		.amdhsa_private_segment_fixed_size 0
		.amdhsa_kernarg_size 112
		.amdhsa_user_sgpr_count 2
		.amdhsa_user_sgpr_dispatch_ptr 0
		.amdhsa_user_sgpr_queue_ptr 0
		.amdhsa_user_sgpr_kernarg_segment_ptr 1
		.amdhsa_user_sgpr_dispatch_id 0
		.amdhsa_user_sgpr_kernarg_preload_length 0
		.amdhsa_user_sgpr_kernarg_preload_offset 0
		.amdhsa_user_sgpr_private_segment_size 0
		.amdhsa_uses_dynamic_stack 0
		.amdhsa_enable_private_segment 0
		.amdhsa_system_sgpr_workgroup_id_x 1
		.amdhsa_system_sgpr_workgroup_id_y 0
		.amdhsa_system_sgpr_workgroup_id_z 0
		.amdhsa_system_sgpr_workgroup_info 0
		.amdhsa_system_vgpr_workitem_id 0
		.amdhsa_next_free_vgpr 1
		.amdhsa_next_free_sgpr 0
		.amdhsa_accum_offset 4
		.amdhsa_reserve_vcc 0
		.amdhsa_float_round_mode_32 0
		.amdhsa_float_round_mode_16_64 0
		.amdhsa_float_denorm_mode_32 3
		.amdhsa_float_denorm_mode_16_64 3
		.amdhsa_dx10_clamp 1
		.amdhsa_ieee_mode 1
		.amdhsa_fp16_overflow 0
		.amdhsa_tg_split 0
		.amdhsa_exception_fp_ieee_invalid_op 0
		.amdhsa_exception_fp_denorm_src 0
		.amdhsa_exception_fp_ieee_div_zero 0
		.amdhsa_exception_fp_ieee_overflow 0
		.amdhsa_exception_fp_ieee_underflow 0
		.amdhsa_exception_fp_ieee_inexact 0
		.amdhsa_exception_int_div_zero 0
	.end_amdhsa_kernel
	.section	.text._ZN7rocprim17ROCPRIM_400000_NS6detail17trampoline_kernelINS0_14default_configENS1_27scan_by_key_config_selectorIiiEEZZNS1_16scan_by_key_implILNS1_25lookback_scan_determinismE0ELb1ES3_N6thrust23THRUST_200600_302600_NS6detail15normal_iteratorINS9_10device_ptrIiEEEESE_SE_iNS9_4plusIiEE19head_flag_predicateiEE10hipError_tPvRmT2_T3_T4_T5_mT6_T7_P12ihipStream_tbENKUlT_T0_E_clISt17integral_constantIbLb1EESX_IbLb0EEEEDaST_SU_EUlST_E_NS1_11comp_targetILNS1_3genE3ELNS1_11target_archE908ELNS1_3gpuE7ELNS1_3repE0EEENS1_30default_config_static_selectorELNS0_4arch9wavefront6targetE1EEEvT1_,"axG",@progbits,_ZN7rocprim17ROCPRIM_400000_NS6detail17trampoline_kernelINS0_14default_configENS1_27scan_by_key_config_selectorIiiEEZZNS1_16scan_by_key_implILNS1_25lookback_scan_determinismE0ELb1ES3_N6thrust23THRUST_200600_302600_NS6detail15normal_iteratorINS9_10device_ptrIiEEEESE_SE_iNS9_4plusIiEE19head_flag_predicateiEE10hipError_tPvRmT2_T3_T4_T5_mT6_T7_P12ihipStream_tbENKUlT_T0_E_clISt17integral_constantIbLb1EESX_IbLb0EEEEDaST_SU_EUlST_E_NS1_11comp_targetILNS1_3genE3ELNS1_11target_archE908ELNS1_3gpuE7ELNS1_3repE0EEENS1_30default_config_static_selectorELNS0_4arch9wavefront6targetE1EEEvT1_,comdat
.Lfunc_end807:
	.size	_ZN7rocprim17ROCPRIM_400000_NS6detail17trampoline_kernelINS0_14default_configENS1_27scan_by_key_config_selectorIiiEEZZNS1_16scan_by_key_implILNS1_25lookback_scan_determinismE0ELb1ES3_N6thrust23THRUST_200600_302600_NS6detail15normal_iteratorINS9_10device_ptrIiEEEESE_SE_iNS9_4plusIiEE19head_flag_predicateiEE10hipError_tPvRmT2_T3_T4_T5_mT6_T7_P12ihipStream_tbENKUlT_T0_E_clISt17integral_constantIbLb1EESX_IbLb0EEEEDaST_SU_EUlST_E_NS1_11comp_targetILNS1_3genE3ELNS1_11target_archE908ELNS1_3gpuE7ELNS1_3repE0EEENS1_30default_config_static_selectorELNS0_4arch9wavefront6targetE1EEEvT1_, .Lfunc_end807-_ZN7rocprim17ROCPRIM_400000_NS6detail17trampoline_kernelINS0_14default_configENS1_27scan_by_key_config_selectorIiiEEZZNS1_16scan_by_key_implILNS1_25lookback_scan_determinismE0ELb1ES3_N6thrust23THRUST_200600_302600_NS6detail15normal_iteratorINS9_10device_ptrIiEEEESE_SE_iNS9_4plusIiEE19head_flag_predicateiEE10hipError_tPvRmT2_T3_T4_T5_mT6_T7_P12ihipStream_tbENKUlT_T0_E_clISt17integral_constantIbLb1EESX_IbLb0EEEEDaST_SU_EUlST_E_NS1_11comp_targetILNS1_3genE3ELNS1_11target_archE908ELNS1_3gpuE7ELNS1_3repE0EEENS1_30default_config_static_selectorELNS0_4arch9wavefront6targetE1EEEvT1_
                                        ; -- End function
	.section	.AMDGPU.csdata,"",@progbits
; Kernel info:
; codeLenInByte = 0
; NumSgprs: 6
; NumVgprs: 0
; NumAgprs: 0
; TotalNumVgprs: 0
; ScratchSize: 0
; MemoryBound: 0
; FloatMode: 240
; IeeeMode: 1
; LDSByteSize: 0 bytes/workgroup (compile time only)
; SGPRBlocks: 0
; VGPRBlocks: 0
; NumSGPRsForWavesPerEU: 6
; NumVGPRsForWavesPerEU: 1
; AccumOffset: 4
; Occupancy: 8
; WaveLimiterHint : 0
; COMPUTE_PGM_RSRC2:SCRATCH_EN: 0
; COMPUTE_PGM_RSRC2:USER_SGPR: 2
; COMPUTE_PGM_RSRC2:TRAP_HANDLER: 0
; COMPUTE_PGM_RSRC2:TGID_X_EN: 1
; COMPUTE_PGM_RSRC2:TGID_Y_EN: 0
; COMPUTE_PGM_RSRC2:TGID_Z_EN: 0
; COMPUTE_PGM_RSRC2:TIDIG_COMP_CNT: 0
; COMPUTE_PGM_RSRC3_GFX90A:ACCUM_OFFSET: 0
; COMPUTE_PGM_RSRC3_GFX90A:TG_SPLIT: 0
	.section	.text._ZN7rocprim17ROCPRIM_400000_NS6detail17trampoline_kernelINS0_14default_configENS1_27scan_by_key_config_selectorIiiEEZZNS1_16scan_by_key_implILNS1_25lookback_scan_determinismE0ELb1ES3_N6thrust23THRUST_200600_302600_NS6detail15normal_iteratorINS9_10device_ptrIiEEEESE_SE_iNS9_4plusIiEE19head_flag_predicateiEE10hipError_tPvRmT2_T3_T4_T5_mT6_T7_P12ihipStream_tbENKUlT_T0_E_clISt17integral_constantIbLb1EESX_IbLb0EEEEDaST_SU_EUlST_E_NS1_11comp_targetILNS1_3genE2ELNS1_11target_archE906ELNS1_3gpuE6ELNS1_3repE0EEENS1_30default_config_static_selectorELNS0_4arch9wavefront6targetE1EEEvT1_,"axG",@progbits,_ZN7rocprim17ROCPRIM_400000_NS6detail17trampoline_kernelINS0_14default_configENS1_27scan_by_key_config_selectorIiiEEZZNS1_16scan_by_key_implILNS1_25lookback_scan_determinismE0ELb1ES3_N6thrust23THRUST_200600_302600_NS6detail15normal_iteratorINS9_10device_ptrIiEEEESE_SE_iNS9_4plusIiEE19head_flag_predicateiEE10hipError_tPvRmT2_T3_T4_T5_mT6_T7_P12ihipStream_tbENKUlT_T0_E_clISt17integral_constantIbLb1EESX_IbLb0EEEEDaST_SU_EUlST_E_NS1_11comp_targetILNS1_3genE2ELNS1_11target_archE906ELNS1_3gpuE6ELNS1_3repE0EEENS1_30default_config_static_selectorELNS0_4arch9wavefront6targetE1EEEvT1_,comdat
	.protected	_ZN7rocprim17ROCPRIM_400000_NS6detail17trampoline_kernelINS0_14default_configENS1_27scan_by_key_config_selectorIiiEEZZNS1_16scan_by_key_implILNS1_25lookback_scan_determinismE0ELb1ES3_N6thrust23THRUST_200600_302600_NS6detail15normal_iteratorINS9_10device_ptrIiEEEESE_SE_iNS9_4plusIiEE19head_flag_predicateiEE10hipError_tPvRmT2_T3_T4_T5_mT6_T7_P12ihipStream_tbENKUlT_T0_E_clISt17integral_constantIbLb1EESX_IbLb0EEEEDaST_SU_EUlST_E_NS1_11comp_targetILNS1_3genE2ELNS1_11target_archE906ELNS1_3gpuE6ELNS1_3repE0EEENS1_30default_config_static_selectorELNS0_4arch9wavefront6targetE1EEEvT1_ ; -- Begin function _ZN7rocprim17ROCPRIM_400000_NS6detail17trampoline_kernelINS0_14default_configENS1_27scan_by_key_config_selectorIiiEEZZNS1_16scan_by_key_implILNS1_25lookback_scan_determinismE0ELb1ES3_N6thrust23THRUST_200600_302600_NS6detail15normal_iteratorINS9_10device_ptrIiEEEESE_SE_iNS9_4plusIiEE19head_flag_predicateiEE10hipError_tPvRmT2_T3_T4_T5_mT6_T7_P12ihipStream_tbENKUlT_T0_E_clISt17integral_constantIbLb1EESX_IbLb0EEEEDaST_SU_EUlST_E_NS1_11comp_targetILNS1_3genE2ELNS1_11target_archE906ELNS1_3gpuE6ELNS1_3repE0EEENS1_30default_config_static_selectorELNS0_4arch9wavefront6targetE1EEEvT1_
	.globl	_ZN7rocprim17ROCPRIM_400000_NS6detail17trampoline_kernelINS0_14default_configENS1_27scan_by_key_config_selectorIiiEEZZNS1_16scan_by_key_implILNS1_25lookback_scan_determinismE0ELb1ES3_N6thrust23THRUST_200600_302600_NS6detail15normal_iteratorINS9_10device_ptrIiEEEESE_SE_iNS9_4plusIiEE19head_flag_predicateiEE10hipError_tPvRmT2_T3_T4_T5_mT6_T7_P12ihipStream_tbENKUlT_T0_E_clISt17integral_constantIbLb1EESX_IbLb0EEEEDaST_SU_EUlST_E_NS1_11comp_targetILNS1_3genE2ELNS1_11target_archE906ELNS1_3gpuE6ELNS1_3repE0EEENS1_30default_config_static_selectorELNS0_4arch9wavefront6targetE1EEEvT1_
	.p2align	8
	.type	_ZN7rocprim17ROCPRIM_400000_NS6detail17trampoline_kernelINS0_14default_configENS1_27scan_by_key_config_selectorIiiEEZZNS1_16scan_by_key_implILNS1_25lookback_scan_determinismE0ELb1ES3_N6thrust23THRUST_200600_302600_NS6detail15normal_iteratorINS9_10device_ptrIiEEEESE_SE_iNS9_4plusIiEE19head_flag_predicateiEE10hipError_tPvRmT2_T3_T4_T5_mT6_T7_P12ihipStream_tbENKUlT_T0_E_clISt17integral_constantIbLb1EESX_IbLb0EEEEDaST_SU_EUlST_E_NS1_11comp_targetILNS1_3genE2ELNS1_11target_archE906ELNS1_3gpuE6ELNS1_3repE0EEENS1_30default_config_static_selectorELNS0_4arch9wavefront6targetE1EEEvT1_,@function
_ZN7rocprim17ROCPRIM_400000_NS6detail17trampoline_kernelINS0_14default_configENS1_27scan_by_key_config_selectorIiiEEZZNS1_16scan_by_key_implILNS1_25lookback_scan_determinismE0ELb1ES3_N6thrust23THRUST_200600_302600_NS6detail15normal_iteratorINS9_10device_ptrIiEEEESE_SE_iNS9_4plusIiEE19head_flag_predicateiEE10hipError_tPvRmT2_T3_T4_T5_mT6_T7_P12ihipStream_tbENKUlT_T0_E_clISt17integral_constantIbLb1EESX_IbLb0EEEEDaST_SU_EUlST_E_NS1_11comp_targetILNS1_3genE2ELNS1_11target_archE906ELNS1_3gpuE6ELNS1_3repE0EEENS1_30default_config_static_selectorELNS0_4arch9wavefront6targetE1EEEvT1_: ; @_ZN7rocprim17ROCPRIM_400000_NS6detail17trampoline_kernelINS0_14default_configENS1_27scan_by_key_config_selectorIiiEEZZNS1_16scan_by_key_implILNS1_25lookback_scan_determinismE0ELb1ES3_N6thrust23THRUST_200600_302600_NS6detail15normal_iteratorINS9_10device_ptrIiEEEESE_SE_iNS9_4plusIiEE19head_flag_predicateiEE10hipError_tPvRmT2_T3_T4_T5_mT6_T7_P12ihipStream_tbENKUlT_T0_E_clISt17integral_constantIbLb1EESX_IbLb0EEEEDaST_SU_EUlST_E_NS1_11comp_targetILNS1_3genE2ELNS1_11target_archE906ELNS1_3gpuE6ELNS1_3repE0EEENS1_30default_config_static_selectorELNS0_4arch9wavefront6targetE1EEEvT1_
; %bb.0:
	.section	.rodata,"a",@progbits
	.p2align	6, 0x0
	.amdhsa_kernel _ZN7rocprim17ROCPRIM_400000_NS6detail17trampoline_kernelINS0_14default_configENS1_27scan_by_key_config_selectorIiiEEZZNS1_16scan_by_key_implILNS1_25lookback_scan_determinismE0ELb1ES3_N6thrust23THRUST_200600_302600_NS6detail15normal_iteratorINS9_10device_ptrIiEEEESE_SE_iNS9_4plusIiEE19head_flag_predicateiEE10hipError_tPvRmT2_T3_T4_T5_mT6_T7_P12ihipStream_tbENKUlT_T0_E_clISt17integral_constantIbLb1EESX_IbLb0EEEEDaST_SU_EUlST_E_NS1_11comp_targetILNS1_3genE2ELNS1_11target_archE906ELNS1_3gpuE6ELNS1_3repE0EEENS1_30default_config_static_selectorELNS0_4arch9wavefront6targetE1EEEvT1_
		.amdhsa_group_segment_fixed_size 0
		.amdhsa_private_segment_fixed_size 0
		.amdhsa_kernarg_size 112
		.amdhsa_user_sgpr_count 2
		.amdhsa_user_sgpr_dispatch_ptr 0
		.amdhsa_user_sgpr_queue_ptr 0
		.amdhsa_user_sgpr_kernarg_segment_ptr 1
		.amdhsa_user_sgpr_dispatch_id 0
		.amdhsa_user_sgpr_kernarg_preload_length 0
		.amdhsa_user_sgpr_kernarg_preload_offset 0
		.amdhsa_user_sgpr_private_segment_size 0
		.amdhsa_uses_dynamic_stack 0
		.amdhsa_enable_private_segment 0
		.amdhsa_system_sgpr_workgroup_id_x 1
		.amdhsa_system_sgpr_workgroup_id_y 0
		.amdhsa_system_sgpr_workgroup_id_z 0
		.amdhsa_system_sgpr_workgroup_info 0
		.amdhsa_system_vgpr_workitem_id 0
		.amdhsa_next_free_vgpr 1
		.amdhsa_next_free_sgpr 0
		.amdhsa_accum_offset 4
		.amdhsa_reserve_vcc 0
		.amdhsa_float_round_mode_32 0
		.amdhsa_float_round_mode_16_64 0
		.amdhsa_float_denorm_mode_32 3
		.amdhsa_float_denorm_mode_16_64 3
		.amdhsa_dx10_clamp 1
		.amdhsa_ieee_mode 1
		.amdhsa_fp16_overflow 0
		.amdhsa_tg_split 0
		.amdhsa_exception_fp_ieee_invalid_op 0
		.amdhsa_exception_fp_denorm_src 0
		.amdhsa_exception_fp_ieee_div_zero 0
		.amdhsa_exception_fp_ieee_overflow 0
		.amdhsa_exception_fp_ieee_underflow 0
		.amdhsa_exception_fp_ieee_inexact 0
		.amdhsa_exception_int_div_zero 0
	.end_amdhsa_kernel
	.section	.text._ZN7rocprim17ROCPRIM_400000_NS6detail17trampoline_kernelINS0_14default_configENS1_27scan_by_key_config_selectorIiiEEZZNS1_16scan_by_key_implILNS1_25lookback_scan_determinismE0ELb1ES3_N6thrust23THRUST_200600_302600_NS6detail15normal_iteratorINS9_10device_ptrIiEEEESE_SE_iNS9_4plusIiEE19head_flag_predicateiEE10hipError_tPvRmT2_T3_T4_T5_mT6_T7_P12ihipStream_tbENKUlT_T0_E_clISt17integral_constantIbLb1EESX_IbLb0EEEEDaST_SU_EUlST_E_NS1_11comp_targetILNS1_3genE2ELNS1_11target_archE906ELNS1_3gpuE6ELNS1_3repE0EEENS1_30default_config_static_selectorELNS0_4arch9wavefront6targetE1EEEvT1_,"axG",@progbits,_ZN7rocprim17ROCPRIM_400000_NS6detail17trampoline_kernelINS0_14default_configENS1_27scan_by_key_config_selectorIiiEEZZNS1_16scan_by_key_implILNS1_25lookback_scan_determinismE0ELb1ES3_N6thrust23THRUST_200600_302600_NS6detail15normal_iteratorINS9_10device_ptrIiEEEESE_SE_iNS9_4plusIiEE19head_flag_predicateiEE10hipError_tPvRmT2_T3_T4_T5_mT6_T7_P12ihipStream_tbENKUlT_T0_E_clISt17integral_constantIbLb1EESX_IbLb0EEEEDaST_SU_EUlST_E_NS1_11comp_targetILNS1_3genE2ELNS1_11target_archE906ELNS1_3gpuE6ELNS1_3repE0EEENS1_30default_config_static_selectorELNS0_4arch9wavefront6targetE1EEEvT1_,comdat
.Lfunc_end808:
	.size	_ZN7rocprim17ROCPRIM_400000_NS6detail17trampoline_kernelINS0_14default_configENS1_27scan_by_key_config_selectorIiiEEZZNS1_16scan_by_key_implILNS1_25lookback_scan_determinismE0ELb1ES3_N6thrust23THRUST_200600_302600_NS6detail15normal_iteratorINS9_10device_ptrIiEEEESE_SE_iNS9_4plusIiEE19head_flag_predicateiEE10hipError_tPvRmT2_T3_T4_T5_mT6_T7_P12ihipStream_tbENKUlT_T0_E_clISt17integral_constantIbLb1EESX_IbLb0EEEEDaST_SU_EUlST_E_NS1_11comp_targetILNS1_3genE2ELNS1_11target_archE906ELNS1_3gpuE6ELNS1_3repE0EEENS1_30default_config_static_selectorELNS0_4arch9wavefront6targetE1EEEvT1_, .Lfunc_end808-_ZN7rocprim17ROCPRIM_400000_NS6detail17trampoline_kernelINS0_14default_configENS1_27scan_by_key_config_selectorIiiEEZZNS1_16scan_by_key_implILNS1_25lookback_scan_determinismE0ELb1ES3_N6thrust23THRUST_200600_302600_NS6detail15normal_iteratorINS9_10device_ptrIiEEEESE_SE_iNS9_4plusIiEE19head_flag_predicateiEE10hipError_tPvRmT2_T3_T4_T5_mT6_T7_P12ihipStream_tbENKUlT_T0_E_clISt17integral_constantIbLb1EESX_IbLb0EEEEDaST_SU_EUlST_E_NS1_11comp_targetILNS1_3genE2ELNS1_11target_archE906ELNS1_3gpuE6ELNS1_3repE0EEENS1_30default_config_static_selectorELNS0_4arch9wavefront6targetE1EEEvT1_
                                        ; -- End function
	.section	.AMDGPU.csdata,"",@progbits
; Kernel info:
; codeLenInByte = 0
; NumSgprs: 6
; NumVgprs: 0
; NumAgprs: 0
; TotalNumVgprs: 0
; ScratchSize: 0
; MemoryBound: 0
; FloatMode: 240
; IeeeMode: 1
; LDSByteSize: 0 bytes/workgroup (compile time only)
; SGPRBlocks: 0
; VGPRBlocks: 0
; NumSGPRsForWavesPerEU: 6
; NumVGPRsForWavesPerEU: 1
; AccumOffset: 4
; Occupancy: 8
; WaveLimiterHint : 0
; COMPUTE_PGM_RSRC2:SCRATCH_EN: 0
; COMPUTE_PGM_RSRC2:USER_SGPR: 2
; COMPUTE_PGM_RSRC2:TRAP_HANDLER: 0
; COMPUTE_PGM_RSRC2:TGID_X_EN: 1
; COMPUTE_PGM_RSRC2:TGID_Y_EN: 0
; COMPUTE_PGM_RSRC2:TGID_Z_EN: 0
; COMPUTE_PGM_RSRC2:TIDIG_COMP_CNT: 0
; COMPUTE_PGM_RSRC3_GFX90A:ACCUM_OFFSET: 0
; COMPUTE_PGM_RSRC3_GFX90A:TG_SPLIT: 0
	.section	.text._ZN7rocprim17ROCPRIM_400000_NS6detail17trampoline_kernelINS0_14default_configENS1_27scan_by_key_config_selectorIiiEEZZNS1_16scan_by_key_implILNS1_25lookback_scan_determinismE0ELb1ES3_N6thrust23THRUST_200600_302600_NS6detail15normal_iteratorINS9_10device_ptrIiEEEESE_SE_iNS9_4plusIiEE19head_flag_predicateiEE10hipError_tPvRmT2_T3_T4_T5_mT6_T7_P12ihipStream_tbENKUlT_T0_E_clISt17integral_constantIbLb1EESX_IbLb0EEEEDaST_SU_EUlST_E_NS1_11comp_targetILNS1_3genE10ELNS1_11target_archE1200ELNS1_3gpuE4ELNS1_3repE0EEENS1_30default_config_static_selectorELNS0_4arch9wavefront6targetE1EEEvT1_,"axG",@progbits,_ZN7rocprim17ROCPRIM_400000_NS6detail17trampoline_kernelINS0_14default_configENS1_27scan_by_key_config_selectorIiiEEZZNS1_16scan_by_key_implILNS1_25lookback_scan_determinismE0ELb1ES3_N6thrust23THRUST_200600_302600_NS6detail15normal_iteratorINS9_10device_ptrIiEEEESE_SE_iNS9_4plusIiEE19head_flag_predicateiEE10hipError_tPvRmT2_T3_T4_T5_mT6_T7_P12ihipStream_tbENKUlT_T0_E_clISt17integral_constantIbLb1EESX_IbLb0EEEEDaST_SU_EUlST_E_NS1_11comp_targetILNS1_3genE10ELNS1_11target_archE1200ELNS1_3gpuE4ELNS1_3repE0EEENS1_30default_config_static_selectorELNS0_4arch9wavefront6targetE1EEEvT1_,comdat
	.protected	_ZN7rocprim17ROCPRIM_400000_NS6detail17trampoline_kernelINS0_14default_configENS1_27scan_by_key_config_selectorIiiEEZZNS1_16scan_by_key_implILNS1_25lookback_scan_determinismE0ELb1ES3_N6thrust23THRUST_200600_302600_NS6detail15normal_iteratorINS9_10device_ptrIiEEEESE_SE_iNS9_4plusIiEE19head_flag_predicateiEE10hipError_tPvRmT2_T3_T4_T5_mT6_T7_P12ihipStream_tbENKUlT_T0_E_clISt17integral_constantIbLb1EESX_IbLb0EEEEDaST_SU_EUlST_E_NS1_11comp_targetILNS1_3genE10ELNS1_11target_archE1200ELNS1_3gpuE4ELNS1_3repE0EEENS1_30default_config_static_selectorELNS0_4arch9wavefront6targetE1EEEvT1_ ; -- Begin function _ZN7rocprim17ROCPRIM_400000_NS6detail17trampoline_kernelINS0_14default_configENS1_27scan_by_key_config_selectorIiiEEZZNS1_16scan_by_key_implILNS1_25lookback_scan_determinismE0ELb1ES3_N6thrust23THRUST_200600_302600_NS6detail15normal_iteratorINS9_10device_ptrIiEEEESE_SE_iNS9_4plusIiEE19head_flag_predicateiEE10hipError_tPvRmT2_T3_T4_T5_mT6_T7_P12ihipStream_tbENKUlT_T0_E_clISt17integral_constantIbLb1EESX_IbLb0EEEEDaST_SU_EUlST_E_NS1_11comp_targetILNS1_3genE10ELNS1_11target_archE1200ELNS1_3gpuE4ELNS1_3repE0EEENS1_30default_config_static_selectorELNS0_4arch9wavefront6targetE1EEEvT1_
	.globl	_ZN7rocprim17ROCPRIM_400000_NS6detail17trampoline_kernelINS0_14default_configENS1_27scan_by_key_config_selectorIiiEEZZNS1_16scan_by_key_implILNS1_25lookback_scan_determinismE0ELb1ES3_N6thrust23THRUST_200600_302600_NS6detail15normal_iteratorINS9_10device_ptrIiEEEESE_SE_iNS9_4plusIiEE19head_flag_predicateiEE10hipError_tPvRmT2_T3_T4_T5_mT6_T7_P12ihipStream_tbENKUlT_T0_E_clISt17integral_constantIbLb1EESX_IbLb0EEEEDaST_SU_EUlST_E_NS1_11comp_targetILNS1_3genE10ELNS1_11target_archE1200ELNS1_3gpuE4ELNS1_3repE0EEENS1_30default_config_static_selectorELNS0_4arch9wavefront6targetE1EEEvT1_
	.p2align	8
	.type	_ZN7rocprim17ROCPRIM_400000_NS6detail17trampoline_kernelINS0_14default_configENS1_27scan_by_key_config_selectorIiiEEZZNS1_16scan_by_key_implILNS1_25lookback_scan_determinismE0ELb1ES3_N6thrust23THRUST_200600_302600_NS6detail15normal_iteratorINS9_10device_ptrIiEEEESE_SE_iNS9_4plusIiEE19head_flag_predicateiEE10hipError_tPvRmT2_T3_T4_T5_mT6_T7_P12ihipStream_tbENKUlT_T0_E_clISt17integral_constantIbLb1EESX_IbLb0EEEEDaST_SU_EUlST_E_NS1_11comp_targetILNS1_3genE10ELNS1_11target_archE1200ELNS1_3gpuE4ELNS1_3repE0EEENS1_30default_config_static_selectorELNS0_4arch9wavefront6targetE1EEEvT1_,@function
_ZN7rocprim17ROCPRIM_400000_NS6detail17trampoline_kernelINS0_14default_configENS1_27scan_by_key_config_selectorIiiEEZZNS1_16scan_by_key_implILNS1_25lookback_scan_determinismE0ELb1ES3_N6thrust23THRUST_200600_302600_NS6detail15normal_iteratorINS9_10device_ptrIiEEEESE_SE_iNS9_4plusIiEE19head_flag_predicateiEE10hipError_tPvRmT2_T3_T4_T5_mT6_T7_P12ihipStream_tbENKUlT_T0_E_clISt17integral_constantIbLb1EESX_IbLb0EEEEDaST_SU_EUlST_E_NS1_11comp_targetILNS1_3genE10ELNS1_11target_archE1200ELNS1_3gpuE4ELNS1_3repE0EEENS1_30default_config_static_selectorELNS0_4arch9wavefront6targetE1EEEvT1_: ; @_ZN7rocprim17ROCPRIM_400000_NS6detail17trampoline_kernelINS0_14default_configENS1_27scan_by_key_config_selectorIiiEEZZNS1_16scan_by_key_implILNS1_25lookback_scan_determinismE0ELb1ES3_N6thrust23THRUST_200600_302600_NS6detail15normal_iteratorINS9_10device_ptrIiEEEESE_SE_iNS9_4plusIiEE19head_flag_predicateiEE10hipError_tPvRmT2_T3_T4_T5_mT6_T7_P12ihipStream_tbENKUlT_T0_E_clISt17integral_constantIbLb1EESX_IbLb0EEEEDaST_SU_EUlST_E_NS1_11comp_targetILNS1_3genE10ELNS1_11target_archE1200ELNS1_3gpuE4ELNS1_3repE0EEENS1_30default_config_static_selectorELNS0_4arch9wavefront6targetE1EEEvT1_
; %bb.0:
	.section	.rodata,"a",@progbits
	.p2align	6, 0x0
	.amdhsa_kernel _ZN7rocprim17ROCPRIM_400000_NS6detail17trampoline_kernelINS0_14default_configENS1_27scan_by_key_config_selectorIiiEEZZNS1_16scan_by_key_implILNS1_25lookback_scan_determinismE0ELb1ES3_N6thrust23THRUST_200600_302600_NS6detail15normal_iteratorINS9_10device_ptrIiEEEESE_SE_iNS9_4plusIiEE19head_flag_predicateiEE10hipError_tPvRmT2_T3_T4_T5_mT6_T7_P12ihipStream_tbENKUlT_T0_E_clISt17integral_constantIbLb1EESX_IbLb0EEEEDaST_SU_EUlST_E_NS1_11comp_targetILNS1_3genE10ELNS1_11target_archE1200ELNS1_3gpuE4ELNS1_3repE0EEENS1_30default_config_static_selectorELNS0_4arch9wavefront6targetE1EEEvT1_
		.amdhsa_group_segment_fixed_size 0
		.amdhsa_private_segment_fixed_size 0
		.amdhsa_kernarg_size 112
		.amdhsa_user_sgpr_count 2
		.amdhsa_user_sgpr_dispatch_ptr 0
		.amdhsa_user_sgpr_queue_ptr 0
		.amdhsa_user_sgpr_kernarg_segment_ptr 1
		.amdhsa_user_sgpr_dispatch_id 0
		.amdhsa_user_sgpr_kernarg_preload_length 0
		.amdhsa_user_sgpr_kernarg_preload_offset 0
		.amdhsa_user_sgpr_private_segment_size 0
		.amdhsa_uses_dynamic_stack 0
		.amdhsa_enable_private_segment 0
		.amdhsa_system_sgpr_workgroup_id_x 1
		.amdhsa_system_sgpr_workgroup_id_y 0
		.amdhsa_system_sgpr_workgroup_id_z 0
		.amdhsa_system_sgpr_workgroup_info 0
		.amdhsa_system_vgpr_workitem_id 0
		.amdhsa_next_free_vgpr 1
		.amdhsa_next_free_sgpr 0
		.amdhsa_accum_offset 4
		.amdhsa_reserve_vcc 0
		.amdhsa_float_round_mode_32 0
		.amdhsa_float_round_mode_16_64 0
		.amdhsa_float_denorm_mode_32 3
		.amdhsa_float_denorm_mode_16_64 3
		.amdhsa_dx10_clamp 1
		.amdhsa_ieee_mode 1
		.amdhsa_fp16_overflow 0
		.amdhsa_tg_split 0
		.amdhsa_exception_fp_ieee_invalid_op 0
		.amdhsa_exception_fp_denorm_src 0
		.amdhsa_exception_fp_ieee_div_zero 0
		.amdhsa_exception_fp_ieee_overflow 0
		.amdhsa_exception_fp_ieee_underflow 0
		.amdhsa_exception_fp_ieee_inexact 0
		.amdhsa_exception_int_div_zero 0
	.end_amdhsa_kernel
	.section	.text._ZN7rocprim17ROCPRIM_400000_NS6detail17trampoline_kernelINS0_14default_configENS1_27scan_by_key_config_selectorIiiEEZZNS1_16scan_by_key_implILNS1_25lookback_scan_determinismE0ELb1ES3_N6thrust23THRUST_200600_302600_NS6detail15normal_iteratorINS9_10device_ptrIiEEEESE_SE_iNS9_4plusIiEE19head_flag_predicateiEE10hipError_tPvRmT2_T3_T4_T5_mT6_T7_P12ihipStream_tbENKUlT_T0_E_clISt17integral_constantIbLb1EESX_IbLb0EEEEDaST_SU_EUlST_E_NS1_11comp_targetILNS1_3genE10ELNS1_11target_archE1200ELNS1_3gpuE4ELNS1_3repE0EEENS1_30default_config_static_selectorELNS0_4arch9wavefront6targetE1EEEvT1_,"axG",@progbits,_ZN7rocprim17ROCPRIM_400000_NS6detail17trampoline_kernelINS0_14default_configENS1_27scan_by_key_config_selectorIiiEEZZNS1_16scan_by_key_implILNS1_25lookback_scan_determinismE0ELb1ES3_N6thrust23THRUST_200600_302600_NS6detail15normal_iteratorINS9_10device_ptrIiEEEESE_SE_iNS9_4plusIiEE19head_flag_predicateiEE10hipError_tPvRmT2_T3_T4_T5_mT6_T7_P12ihipStream_tbENKUlT_T0_E_clISt17integral_constantIbLb1EESX_IbLb0EEEEDaST_SU_EUlST_E_NS1_11comp_targetILNS1_3genE10ELNS1_11target_archE1200ELNS1_3gpuE4ELNS1_3repE0EEENS1_30default_config_static_selectorELNS0_4arch9wavefront6targetE1EEEvT1_,comdat
.Lfunc_end809:
	.size	_ZN7rocprim17ROCPRIM_400000_NS6detail17trampoline_kernelINS0_14default_configENS1_27scan_by_key_config_selectorIiiEEZZNS1_16scan_by_key_implILNS1_25lookback_scan_determinismE0ELb1ES3_N6thrust23THRUST_200600_302600_NS6detail15normal_iteratorINS9_10device_ptrIiEEEESE_SE_iNS9_4plusIiEE19head_flag_predicateiEE10hipError_tPvRmT2_T3_T4_T5_mT6_T7_P12ihipStream_tbENKUlT_T0_E_clISt17integral_constantIbLb1EESX_IbLb0EEEEDaST_SU_EUlST_E_NS1_11comp_targetILNS1_3genE10ELNS1_11target_archE1200ELNS1_3gpuE4ELNS1_3repE0EEENS1_30default_config_static_selectorELNS0_4arch9wavefront6targetE1EEEvT1_, .Lfunc_end809-_ZN7rocprim17ROCPRIM_400000_NS6detail17trampoline_kernelINS0_14default_configENS1_27scan_by_key_config_selectorIiiEEZZNS1_16scan_by_key_implILNS1_25lookback_scan_determinismE0ELb1ES3_N6thrust23THRUST_200600_302600_NS6detail15normal_iteratorINS9_10device_ptrIiEEEESE_SE_iNS9_4plusIiEE19head_flag_predicateiEE10hipError_tPvRmT2_T3_T4_T5_mT6_T7_P12ihipStream_tbENKUlT_T0_E_clISt17integral_constantIbLb1EESX_IbLb0EEEEDaST_SU_EUlST_E_NS1_11comp_targetILNS1_3genE10ELNS1_11target_archE1200ELNS1_3gpuE4ELNS1_3repE0EEENS1_30default_config_static_selectorELNS0_4arch9wavefront6targetE1EEEvT1_
                                        ; -- End function
	.section	.AMDGPU.csdata,"",@progbits
; Kernel info:
; codeLenInByte = 0
; NumSgprs: 6
; NumVgprs: 0
; NumAgprs: 0
; TotalNumVgprs: 0
; ScratchSize: 0
; MemoryBound: 0
; FloatMode: 240
; IeeeMode: 1
; LDSByteSize: 0 bytes/workgroup (compile time only)
; SGPRBlocks: 0
; VGPRBlocks: 0
; NumSGPRsForWavesPerEU: 6
; NumVGPRsForWavesPerEU: 1
; AccumOffset: 4
; Occupancy: 8
; WaveLimiterHint : 0
; COMPUTE_PGM_RSRC2:SCRATCH_EN: 0
; COMPUTE_PGM_RSRC2:USER_SGPR: 2
; COMPUTE_PGM_RSRC2:TRAP_HANDLER: 0
; COMPUTE_PGM_RSRC2:TGID_X_EN: 1
; COMPUTE_PGM_RSRC2:TGID_Y_EN: 0
; COMPUTE_PGM_RSRC2:TGID_Z_EN: 0
; COMPUTE_PGM_RSRC2:TIDIG_COMP_CNT: 0
; COMPUTE_PGM_RSRC3_GFX90A:ACCUM_OFFSET: 0
; COMPUTE_PGM_RSRC3_GFX90A:TG_SPLIT: 0
	.section	.text._ZN7rocprim17ROCPRIM_400000_NS6detail17trampoline_kernelINS0_14default_configENS1_27scan_by_key_config_selectorIiiEEZZNS1_16scan_by_key_implILNS1_25lookback_scan_determinismE0ELb1ES3_N6thrust23THRUST_200600_302600_NS6detail15normal_iteratorINS9_10device_ptrIiEEEESE_SE_iNS9_4plusIiEE19head_flag_predicateiEE10hipError_tPvRmT2_T3_T4_T5_mT6_T7_P12ihipStream_tbENKUlT_T0_E_clISt17integral_constantIbLb1EESX_IbLb0EEEEDaST_SU_EUlST_E_NS1_11comp_targetILNS1_3genE9ELNS1_11target_archE1100ELNS1_3gpuE3ELNS1_3repE0EEENS1_30default_config_static_selectorELNS0_4arch9wavefront6targetE1EEEvT1_,"axG",@progbits,_ZN7rocprim17ROCPRIM_400000_NS6detail17trampoline_kernelINS0_14default_configENS1_27scan_by_key_config_selectorIiiEEZZNS1_16scan_by_key_implILNS1_25lookback_scan_determinismE0ELb1ES3_N6thrust23THRUST_200600_302600_NS6detail15normal_iteratorINS9_10device_ptrIiEEEESE_SE_iNS9_4plusIiEE19head_flag_predicateiEE10hipError_tPvRmT2_T3_T4_T5_mT6_T7_P12ihipStream_tbENKUlT_T0_E_clISt17integral_constantIbLb1EESX_IbLb0EEEEDaST_SU_EUlST_E_NS1_11comp_targetILNS1_3genE9ELNS1_11target_archE1100ELNS1_3gpuE3ELNS1_3repE0EEENS1_30default_config_static_selectorELNS0_4arch9wavefront6targetE1EEEvT1_,comdat
	.protected	_ZN7rocprim17ROCPRIM_400000_NS6detail17trampoline_kernelINS0_14default_configENS1_27scan_by_key_config_selectorIiiEEZZNS1_16scan_by_key_implILNS1_25lookback_scan_determinismE0ELb1ES3_N6thrust23THRUST_200600_302600_NS6detail15normal_iteratorINS9_10device_ptrIiEEEESE_SE_iNS9_4plusIiEE19head_flag_predicateiEE10hipError_tPvRmT2_T3_T4_T5_mT6_T7_P12ihipStream_tbENKUlT_T0_E_clISt17integral_constantIbLb1EESX_IbLb0EEEEDaST_SU_EUlST_E_NS1_11comp_targetILNS1_3genE9ELNS1_11target_archE1100ELNS1_3gpuE3ELNS1_3repE0EEENS1_30default_config_static_selectorELNS0_4arch9wavefront6targetE1EEEvT1_ ; -- Begin function _ZN7rocprim17ROCPRIM_400000_NS6detail17trampoline_kernelINS0_14default_configENS1_27scan_by_key_config_selectorIiiEEZZNS1_16scan_by_key_implILNS1_25lookback_scan_determinismE0ELb1ES3_N6thrust23THRUST_200600_302600_NS6detail15normal_iteratorINS9_10device_ptrIiEEEESE_SE_iNS9_4plusIiEE19head_flag_predicateiEE10hipError_tPvRmT2_T3_T4_T5_mT6_T7_P12ihipStream_tbENKUlT_T0_E_clISt17integral_constantIbLb1EESX_IbLb0EEEEDaST_SU_EUlST_E_NS1_11comp_targetILNS1_3genE9ELNS1_11target_archE1100ELNS1_3gpuE3ELNS1_3repE0EEENS1_30default_config_static_selectorELNS0_4arch9wavefront6targetE1EEEvT1_
	.globl	_ZN7rocprim17ROCPRIM_400000_NS6detail17trampoline_kernelINS0_14default_configENS1_27scan_by_key_config_selectorIiiEEZZNS1_16scan_by_key_implILNS1_25lookback_scan_determinismE0ELb1ES3_N6thrust23THRUST_200600_302600_NS6detail15normal_iteratorINS9_10device_ptrIiEEEESE_SE_iNS9_4plusIiEE19head_flag_predicateiEE10hipError_tPvRmT2_T3_T4_T5_mT6_T7_P12ihipStream_tbENKUlT_T0_E_clISt17integral_constantIbLb1EESX_IbLb0EEEEDaST_SU_EUlST_E_NS1_11comp_targetILNS1_3genE9ELNS1_11target_archE1100ELNS1_3gpuE3ELNS1_3repE0EEENS1_30default_config_static_selectorELNS0_4arch9wavefront6targetE1EEEvT1_
	.p2align	8
	.type	_ZN7rocprim17ROCPRIM_400000_NS6detail17trampoline_kernelINS0_14default_configENS1_27scan_by_key_config_selectorIiiEEZZNS1_16scan_by_key_implILNS1_25lookback_scan_determinismE0ELb1ES3_N6thrust23THRUST_200600_302600_NS6detail15normal_iteratorINS9_10device_ptrIiEEEESE_SE_iNS9_4plusIiEE19head_flag_predicateiEE10hipError_tPvRmT2_T3_T4_T5_mT6_T7_P12ihipStream_tbENKUlT_T0_E_clISt17integral_constantIbLb1EESX_IbLb0EEEEDaST_SU_EUlST_E_NS1_11comp_targetILNS1_3genE9ELNS1_11target_archE1100ELNS1_3gpuE3ELNS1_3repE0EEENS1_30default_config_static_selectorELNS0_4arch9wavefront6targetE1EEEvT1_,@function
_ZN7rocprim17ROCPRIM_400000_NS6detail17trampoline_kernelINS0_14default_configENS1_27scan_by_key_config_selectorIiiEEZZNS1_16scan_by_key_implILNS1_25lookback_scan_determinismE0ELb1ES3_N6thrust23THRUST_200600_302600_NS6detail15normal_iteratorINS9_10device_ptrIiEEEESE_SE_iNS9_4plusIiEE19head_flag_predicateiEE10hipError_tPvRmT2_T3_T4_T5_mT6_T7_P12ihipStream_tbENKUlT_T0_E_clISt17integral_constantIbLb1EESX_IbLb0EEEEDaST_SU_EUlST_E_NS1_11comp_targetILNS1_3genE9ELNS1_11target_archE1100ELNS1_3gpuE3ELNS1_3repE0EEENS1_30default_config_static_selectorELNS0_4arch9wavefront6targetE1EEEvT1_: ; @_ZN7rocprim17ROCPRIM_400000_NS6detail17trampoline_kernelINS0_14default_configENS1_27scan_by_key_config_selectorIiiEEZZNS1_16scan_by_key_implILNS1_25lookback_scan_determinismE0ELb1ES3_N6thrust23THRUST_200600_302600_NS6detail15normal_iteratorINS9_10device_ptrIiEEEESE_SE_iNS9_4plusIiEE19head_flag_predicateiEE10hipError_tPvRmT2_T3_T4_T5_mT6_T7_P12ihipStream_tbENKUlT_T0_E_clISt17integral_constantIbLb1EESX_IbLb0EEEEDaST_SU_EUlST_E_NS1_11comp_targetILNS1_3genE9ELNS1_11target_archE1100ELNS1_3gpuE3ELNS1_3repE0EEENS1_30default_config_static_selectorELNS0_4arch9wavefront6targetE1EEEvT1_
; %bb.0:
	.section	.rodata,"a",@progbits
	.p2align	6, 0x0
	.amdhsa_kernel _ZN7rocprim17ROCPRIM_400000_NS6detail17trampoline_kernelINS0_14default_configENS1_27scan_by_key_config_selectorIiiEEZZNS1_16scan_by_key_implILNS1_25lookback_scan_determinismE0ELb1ES3_N6thrust23THRUST_200600_302600_NS6detail15normal_iteratorINS9_10device_ptrIiEEEESE_SE_iNS9_4plusIiEE19head_flag_predicateiEE10hipError_tPvRmT2_T3_T4_T5_mT6_T7_P12ihipStream_tbENKUlT_T0_E_clISt17integral_constantIbLb1EESX_IbLb0EEEEDaST_SU_EUlST_E_NS1_11comp_targetILNS1_3genE9ELNS1_11target_archE1100ELNS1_3gpuE3ELNS1_3repE0EEENS1_30default_config_static_selectorELNS0_4arch9wavefront6targetE1EEEvT1_
		.amdhsa_group_segment_fixed_size 0
		.amdhsa_private_segment_fixed_size 0
		.amdhsa_kernarg_size 112
		.amdhsa_user_sgpr_count 2
		.amdhsa_user_sgpr_dispatch_ptr 0
		.amdhsa_user_sgpr_queue_ptr 0
		.amdhsa_user_sgpr_kernarg_segment_ptr 1
		.amdhsa_user_sgpr_dispatch_id 0
		.amdhsa_user_sgpr_kernarg_preload_length 0
		.amdhsa_user_sgpr_kernarg_preload_offset 0
		.amdhsa_user_sgpr_private_segment_size 0
		.amdhsa_uses_dynamic_stack 0
		.amdhsa_enable_private_segment 0
		.amdhsa_system_sgpr_workgroup_id_x 1
		.amdhsa_system_sgpr_workgroup_id_y 0
		.amdhsa_system_sgpr_workgroup_id_z 0
		.amdhsa_system_sgpr_workgroup_info 0
		.amdhsa_system_vgpr_workitem_id 0
		.amdhsa_next_free_vgpr 1
		.amdhsa_next_free_sgpr 0
		.amdhsa_accum_offset 4
		.amdhsa_reserve_vcc 0
		.amdhsa_float_round_mode_32 0
		.amdhsa_float_round_mode_16_64 0
		.amdhsa_float_denorm_mode_32 3
		.amdhsa_float_denorm_mode_16_64 3
		.amdhsa_dx10_clamp 1
		.amdhsa_ieee_mode 1
		.amdhsa_fp16_overflow 0
		.amdhsa_tg_split 0
		.amdhsa_exception_fp_ieee_invalid_op 0
		.amdhsa_exception_fp_denorm_src 0
		.amdhsa_exception_fp_ieee_div_zero 0
		.amdhsa_exception_fp_ieee_overflow 0
		.amdhsa_exception_fp_ieee_underflow 0
		.amdhsa_exception_fp_ieee_inexact 0
		.amdhsa_exception_int_div_zero 0
	.end_amdhsa_kernel
	.section	.text._ZN7rocprim17ROCPRIM_400000_NS6detail17trampoline_kernelINS0_14default_configENS1_27scan_by_key_config_selectorIiiEEZZNS1_16scan_by_key_implILNS1_25lookback_scan_determinismE0ELb1ES3_N6thrust23THRUST_200600_302600_NS6detail15normal_iteratorINS9_10device_ptrIiEEEESE_SE_iNS9_4plusIiEE19head_flag_predicateiEE10hipError_tPvRmT2_T3_T4_T5_mT6_T7_P12ihipStream_tbENKUlT_T0_E_clISt17integral_constantIbLb1EESX_IbLb0EEEEDaST_SU_EUlST_E_NS1_11comp_targetILNS1_3genE9ELNS1_11target_archE1100ELNS1_3gpuE3ELNS1_3repE0EEENS1_30default_config_static_selectorELNS0_4arch9wavefront6targetE1EEEvT1_,"axG",@progbits,_ZN7rocprim17ROCPRIM_400000_NS6detail17trampoline_kernelINS0_14default_configENS1_27scan_by_key_config_selectorIiiEEZZNS1_16scan_by_key_implILNS1_25lookback_scan_determinismE0ELb1ES3_N6thrust23THRUST_200600_302600_NS6detail15normal_iteratorINS9_10device_ptrIiEEEESE_SE_iNS9_4plusIiEE19head_flag_predicateiEE10hipError_tPvRmT2_T3_T4_T5_mT6_T7_P12ihipStream_tbENKUlT_T0_E_clISt17integral_constantIbLb1EESX_IbLb0EEEEDaST_SU_EUlST_E_NS1_11comp_targetILNS1_3genE9ELNS1_11target_archE1100ELNS1_3gpuE3ELNS1_3repE0EEENS1_30default_config_static_selectorELNS0_4arch9wavefront6targetE1EEEvT1_,comdat
.Lfunc_end810:
	.size	_ZN7rocprim17ROCPRIM_400000_NS6detail17trampoline_kernelINS0_14default_configENS1_27scan_by_key_config_selectorIiiEEZZNS1_16scan_by_key_implILNS1_25lookback_scan_determinismE0ELb1ES3_N6thrust23THRUST_200600_302600_NS6detail15normal_iteratorINS9_10device_ptrIiEEEESE_SE_iNS9_4plusIiEE19head_flag_predicateiEE10hipError_tPvRmT2_T3_T4_T5_mT6_T7_P12ihipStream_tbENKUlT_T0_E_clISt17integral_constantIbLb1EESX_IbLb0EEEEDaST_SU_EUlST_E_NS1_11comp_targetILNS1_3genE9ELNS1_11target_archE1100ELNS1_3gpuE3ELNS1_3repE0EEENS1_30default_config_static_selectorELNS0_4arch9wavefront6targetE1EEEvT1_, .Lfunc_end810-_ZN7rocprim17ROCPRIM_400000_NS6detail17trampoline_kernelINS0_14default_configENS1_27scan_by_key_config_selectorIiiEEZZNS1_16scan_by_key_implILNS1_25lookback_scan_determinismE0ELb1ES3_N6thrust23THRUST_200600_302600_NS6detail15normal_iteratorINS9_10device_ptrIiEEEESE_SE_iNS9_4plusIiEE19head_flag_predicateiEE10hipError_tPvRmT2_T3_T4_T5_mT6_T7_P12ihipStream_tbENKUlT_T0_E_clISt17integral_constantIbLb1EESX_IbLb0EEEEDaST_SU_EUlST_E_NS1_11comp_targetILNS1_3genE9ELNS1_11target_archE1100ELNS1_3gpuE3ELNS1_3repE0EEENS1_30default_config_static_selectorELNS0_4arch9wavefront6targetE1EEEvT1_
                                        ; -- End function
	.section	.AMDGPU.csdata,"",@progbits
; Kernel info:
; codeLenInByte = 0
; NumSgprs: 6
; NumVgprs: 0
; NumAgprs: 0
; TotalNumVgprs: 0
; ScratchSize: 0
; MemoryBound: 0
; FloatMode: 240
; IeeeMode: 1
; LDSByteSize: 0 bytes/workgroup (compile time only)
; SGPRBlocks: 0
; VGPRBlocks: 0
; NumSGPRsForWavesPerEU: 6
; NumVGPRsForWavesPerEU: 1
; AccumOffset: 4
; Occupancy: 8
; WaveLimiterHint : 0
; COMPUTE_PGM_RSRC2:SCRATCH_EN: 0
; COMPUTE_PGM_RSRC2:USER_SGPR: 2
; COMPUTE_PGM_RSRC2:TRAP_HANDLER: 0
; COMPUTE_PGM_RSRC2:TGID_X_EN: 1
; COMPUTE_PGM_RSRC2:TGID_Y_EN: 0
; COMPUTE_PGM_RSRC2:TGID_Z_EN: 0
; COMPUTE_PGM_RSRC2:TIDIG_COMP_CNT: 0
; COMPUTE_PGM_RSRC3_GFX90A:ACCUM_OFFSET: 0
; COMPUTE_PGM_RSRC3_GFX90A:TG_SPLIT: 0
	.section	.text._ZN7rocprim17ROCPRIM_400000_NS6detail17trampoline_kernelINS0_14default_configENS1_27scan_by_key_config_selectorIiiEEZZNS1_16scan_by_key_implILNS1_25lookback_scan_determinismE0ELb1ES3_N6thrust23THRUST_200600_302600_NS6detail15normal_iteratorINS9_10device_ptrIiEEEESE_SE_iNS9_4plusIiEE19head_flag_predicateiEE10hipError_tPvRmT2_T3_T4_T5_mT6_T7_P12ihipStream_tbENKUlT_T0_E_clISt17integral_constantIbLb1EESX_IbLb0EEEEDaST_SU_EUlST_E_NS1_11comp_targetILNS1_3genE8ELNS1_11target_archE1030ELNS1_3gpuE2ELNS1_3repE0EEENS1_30default_config_static_selectorELNS0_4arch9wavefront6targetE1EEEvT1_,"axG",@progbits,_ZN7rocprim17ROCPRIM_400000_NS6detail17trampoline_kernelINS0_14default_configENS1_27scan_by_key_config_selectorIiiEEZZNS1_16scan_by_key_implILNS1_25lookback_scan_determinismE0ELb1ES3_N6thrust23THRUST_200600_302600_NS6detail15normal_iteratorINS9_10device_ptrIiEEEESE_SE_iNS9_4plusIiEE19head_flag_predicateiEE10hipError_tPvRmT2_T3_T4_T5_mT6_T7_P12ihipStream_tbENKUlT_T0_E_clISt17integral_constantIbLb1EESX_IbLb0EEEEDaST_SU_EUlST_E_NS1_11comp_targetILNS1_3genE8ELNS1_11target_archE1030ELNS1_3gpuE2ELNS1_3repE0EEENS1_30default_config_static_selectorELNS0_4arch9wavefront6targetE1EEEvT1_,comdat
	.protected	_ZN7rocprim17ROCPRIM_400000_NS6detail17trampoline_kernelINS0_14default_configENS1_27scan_by_key_config_selectorIiiEEZZNS1_16scan_by_key_implILNS1_25lookback_scan_determinismE0ELb1ES3_N6thrust23THRUST_200600_302600_NS6detail15normal_iteratorINS9_10device_ptrIiEEEESE_SE_iNS9_4plusIiEE19head_flag_predicateiEE10hipError_tPvRmT2_T3_T4_T5_mT6_T7_P12ihipStream_tbENKUlT_T0_E_clISt17integral_constantIbLb1EESX_IbLb0EEEEDaST_SU_EUlST_E_NS1_11comp_targetILNS1_3genE8ELNS1_11target_archE1030ELNS1_3gpuE2ELNS1_3repE0EEENS1_30default_config_static_selectorELNS0_4arch9wavefront6targetE1EEEvT1_ ; -- Begin function _ZN7rocprim17ROCPRIM_400000_NS6detail17trampoline_kernelINS0_14default_configENS1_27scan_by_key_config_selectorIiiEEZZNS1_16scan_by_key_implILNS1_25lookback_scan_determinismE0ELb1ES3_N6thrust23THRUST_200600_302600_NS6detail15normal_iteratorINS9_10device_ptrIiEEEESE_SE_iNS9_4plusIiEE19head_flag_predicateiEE10hipError_tPvRmT2_T3_T4_T5_mT6_T7_P12ihipStream_tbENKUlT_T0_E_clISt17integral_constantIbLb1EESX_IbLb0EEEEDaST_SU_EUlST_E_NS1_11comp_targetILNS1_3genE8ELNS1_11target_archE1030ELNS1_3gpuE2ELNS1_3repE0EEENS1_30default_config_static_selectorELNS0_4arch9wavefront6targetE1EEEvT1_
	.globl	_ZN7rocprim17ROCPRIM_400000_NS6detail17trampoline_kernelINS0_14default_configENS1_27scan_by_key_config_selectorIiiEEZZNS1_16scan_by_key_implILNS1_25lookback_scan_determinismE0ELb1ES3_N6thrust23THRUST_200600_302600_NS6detail15normal_iteratorINS9_10device_ptrIiEEEESE_SE_iNS9_4plusIiEE19head_flag_predicateiEE10hipError_tPvRmT2_T3_T4_T5_mT6_T7_P12ihipStream_tbENKUlT_T0_E_clISt17integral_constantIbLb1EESX_IbLb0EEEEDaST_SU_EUlST_E_NS1_11comp_targetILNS1_3genE8ELNS1_11target_archE1030ELNS1_3gpuE2ELNS1_3repE0EEENS1_30default_config_static_selectorELNS0_4arch9wavefront6targetE1EEEvT1_
	.p2align	8
	.type	_ZN7rocprim17ROCPRIM_400000_NS6detail17trampoline_kernelINS0_14default_configENS1_27scan_by_key_config_selectorIiiEEZZNS1_16scan_by_key_implILNS1_25lookback_scan_determinismE0ELb1ES3_N6thrust23THRUST_200600_302600_NS6detail15normal_iteratorINS9_10device_ptrIiEEEESE_SE_iNS9_4plusIiEE19head_flag_predicateiEE10hipError_tPvRmT2_T3_T4_T5_mT6_T7_P12ihipStream_tbENKUlT_T0_E_clISt17integral_constantIbLb1EESX_IbLb0EEEEDaST_SU_EUlST_E_NS1_11comp_targetILNS1_3genE8ELNS1_11target_archE1030ELNS1_3gpuE2ELNS1_3repE0EEENS1_30default_config_static_selectorELNS0_4arch9wavefront6targetE1EEEvT1_,@function
_ZN7rocprim17ROCPRIM_400000_NS6detail17trampoline_kernelINS0_14default_configENS1_27scan_by_key_config_selectorIiiEEZZNS1_16scan_by_key_implILNS1_25lookback_scan_determinismE0ELb1ES3_N6thrust23THRUST_200600_302600_NS6detail15normal_iteratorINS9_10device_ptrIiEEEESE_SE_iNS9_4plusIiEE19head_flag_predicateiEE10hipError_tPvRmT2_T3_T4_T5_mT6_T7_P12ihipStream_tbENKUlT_T0_E_clISt17integral_constantIbLb1EESX_IbLb0EEEEDaST_SU_EUlST_E_NS1_11comp_targetILNS1_3genE8ELNS1_11target_archE1030ELNS1_3gpuE2ELNS1_3repE0EEENS1_30default_config_static_selectorELNS0_4arch9wavefront6targetE1EEEvT1_: ; @_ZN7rocprim17ROCPRIM_400000_NS6detail17trampoline_kernelINS0_14default_configENS1_27scan_by_key_config_selectorIiiEEZZNS1_16scan_by_key_implILNS1_25lookback_scan_determinismE0ELb1ES3_N6thrust23THRUST_200600_302600_NS6detail15normal_iteratorINS9_10device_ptrIiEEEESE_SE_iNS9_4plusIiEE19head_flag_predicateiEE10hipError_tPvRmT2_T3_T4_T5_mT6_T7_P12ihipStream_tbENKUlT_T0_E_clISt17integral_constantIbLb1EESX_IbLb0EEEEDaST_SU_EUlST_E_NS1_11comp_targetILNS1_3genE8ELNS1_11target_archE1030ELNS1_3gpuE2ELNS1_3repE0EEENS1_30default_config_static_selectorELNS0_4arch9wavefront6targetE1EEEvT1_
; %bb.0:
	.section	.rodata,"a",@progbits
	.p2align	6, 0x0
	.amdhsa_kernel _ZN7rocprim17ROCPRIM_400000_NS6detail17trampoline_kernelINS0_14default_configENS1_27scan_by_key_config_selectorIiiEEZZNS1_16scan_by_key_implILNS1_25lookback_scan_determinismE0ELb1ES3_N6thrust23THRUST_200600_302600_NS6detail15normal_iteratorINS9_10device_ptrIiEEEESE_SE_iNS9_4plusIiEE19head_flag_predicateiEE10hipError_tPvRmT2_T3_T4_T5_mT6_T7_P12ihipStream_tbENKUlT_T0_E_clISt17integral_constantIbLb1EESX_IbLb0EEEEDaST_SU_EUlST_E_NS1_11comp_targetILNS1_3genE8ELNS1_11target_archE1030ELNS1_3gpuE2ELNS1_3repE0EEENS1_30default_config_static_selectorELNS0_4arch9wavefront6targetE1EEEvT1_
		.amdhsa_group_segment_fixed_size 0
		.amdhsa_private_segment_fixed_size 0
		.amdhsa_kernarg_size 112
		.amdhsa_user_sgpr_count 2
		.amdhsa_user_sgpr_dispatch_ptr 0
		.amdhsa_user_sgpr_queue_ptr 0
		.amdhsa_user_sgpr_kernarg_segment_ptr 1
		.amdhsa_user_sgpr_dispatch_id 0
		.amdhsa_user_sgpr_kernarg_preload_length 0
		.amdhsa_user_sgpr_kernarg_preload_offset 0
		.amdhsa_user_sgpr_private_segment_size 0
		.amdhsa_uses_dynamic_stack 0
		.amdhsa_enable_private_segment 0
		.amdhsa_system_sgpr_workgroup_id_x 1
		.amdhsa_system_sgpr_workgroup_id_y 0
		.amdhsa_system_sgpr_workgroup_id_z 0
		.amdhsa_system_sgpr_workgroup_info 0
		.amdhsa_system_vgpr_workitem_id 0
		.amdhsa_next_free_vgpr 1
		.amdhsa_next_free_sgpr 0
		.amdhsa_accum_offset 4
		.amdhsa_reserve_vcc 0
		.amdhsa_float_round_mode_32 0
		.amdhsa_float_round_mode_16_64 0
		.amdhsa_float_denorm_mode_32 3
		.amdhsa_float_denorm_mode_16_64 3
		.amdhsa_dx10_clamp 1
		.amdhsa_ieee_mode 1
		.amdhsa_fp16_overflow 0
		.amdhsa_tg_split 0
		.amdhsa_exception_fp_ieee_invalid_op 0
		.amdhsa_exception_fp_denorm_src 0
		.amdhsa_exception_fp_ieee_div_zero 0
		.amdhsa_exception_fp_ieee_overflow 0
		.amdhsa_exception_fp_ieee_underflow 0
		.amdhsa_exception_fp_ieee_inexact 0
		.amdhsa_exception_int_div_zero 0
	.end_amdhsa_kernel
	.section	.text._ZN7rocprim17ROCPRIM_400000_NS6detail17trampoline_kernelINS0_14default_configENS1_27scan_by_key_config_selectorIiiEEZZNS1_16scan_by_key_implILNS1_25lookback_scan_determinismE0ELb1ES3_N6thrust23THRUST_200600_302600_NS6detail15normal_iteratorINS9_10device_ptrIiEEEESE_SE_iNS9_4plusIiEE19head_flag_predicateiEE10hipError_tPvRmT2_T3_T4_T5_mT6_T7_P12ihipStream_tbENKUlT_T0_E_clISt17integral_constantIbLb1EESX_IbLb0EEEEDaST_SU_EUlST_E_NS1_11comp_targetILNS1_3genE8ELNS1_11target_archE1030ELNS1_3gpuE2ELNS1_3repE0EEENS1_30default_config_static_selectorELNS0_4arch9wavefront6targetE1EEEvT1_,"axG",@progbits,_ZN7rocprim17ROCPRIM_400000_NS6detail17trampoline_kernelINS0_14default_configENS1_27scan_by_key_config_selectorIiiEEZZNS1_16scan_by_key_implILNS1_25lookback_scan_determinismE0ELb1ES3_N6thrust23THRUST_200600_302600_NS6detail15normal_iteratorINS9_10device_ptrIiEEEESE_SE_iNS9_4plusIiEE19head_flag_predicateiEE10hipError_tPvRmT2_T3_T4_T5_mT6_T7_P12ihipStream_tbENKUlT_T0_E_clISt17integral_constantIbLb1EESX_IbLb0EEEEDaST_SU_EUlST_E_NS1_11comp_targetILNS1_3genE8ELNS1_11target_archE1030ELNS1_3gpuE2ELNS1_3repE0EEENS1_30default_config_static_selectorELNS0_4arch9wavefront6targetE1EEEvT1_,comdat
.Lfunc_end811:
	.size	_ZN7rocprim17ROCPRIM_400000_NS6detail17trampoline_kernelINS0_14default_configENS1_27scan_by_key_config_selectorIiiEEZZNS1_16scan_by_key_implILNS1_25lookback_scan_determinismE0ELb1ES3_N6thrust23THRUST_200600_302600_NS6detail15normal_iteratorINS9_10device_ptrIiEEEESE_SE_iNS9_4plusIiEE19head_flag_predicateiEE10hipError_tPvRmT2_T3_T4_T5_mT6_T7_P12ihipStream_tbENKUlT_T0_E_clISt17integral_constantIbLb1EESX_IbLb0EEEEDaST_SU_EUlST_E_NS1_11comp_targetILNS1_3genE8ELNS1_11target_archE1030ELNS1_3gpuE2ELNS1_3repE0EEENS1_30default_config_static_selectorELNS0_4arch9wavefront6targetE1EEEvT1_, .Lfunc_end811-_ZN7rocprim17ROCPRIM_400000_NS6detail17trampoline_kernelINS0_14default_configENS1_27scan_by_key_config_selectorIiiEEZZNS1_16scan_by_key_implILNS1_25lookback_scan_determinismE0ELb1ES3_N6thrust23THRUST_200600_302600_NS6detail15normal_iteratorINS9_10device_ptrIiEEEESE_SE_iNS9_4plusIiEE19head_flag_predicateiEE10hipError_tPvRmT2_T3_T4_T5_mT6_T7_P12ihipStream_tbENKUlT_T0_E_clISt17integral_constantIbLb1EESX_IbLb0EEEEDaST_SU_EUlST_E_NS1_11comp_targetILNS1_3genE8ELNS1_11target_archE1030ELNS1_3gpuE2ELNS1_3repE0EEENS1_30default_config_static_selectorELNS0_4arch9wavefront6targetE1EEEvT1_
                                        ; -- End function
	.section	.AMDGPU.csdata,"",@progbits
; Kernel info:
; codeLenInByte = 0
; NumSgprs: 6
; NumVgprs: 0
; NumAgprs: 0
; TotalNumVgprs: 0
; ScratchSize: 0
; MemoryBound: 0
; FloatMode: 240
; IeeeMode: 1
; LDSByteSize: 0 bytes/workgroup (compile time only)
; SGPRBlocks: 0
; VGPRBlocks: 0
; NumSGPRsForWavesPerEU: 6
; NumVGPRsForWavesPerEU: 1
; AccumOffset: 4
; Occupancy: 8
; WaveLimiterHint : 0
; COMPUTE_PGM_RSRC2:SCRATCH_EN: 0
; COMPUTE_PGM_RSRC2:USER_SGPR: 2
; COMPUTE_PGM_RSRC2:TRAP_HANDLER: 0
; COMPUTE_PGM_RSRC2:TGID_X_EN: 1
; COMPUTE_PGM_RSRC2:TGID_Y_EN: 0
; COMPUTE_PGM_RSRC2:TGID_Z_EN: 0
; COMPUTE_PGM_RSRC2:TIDIG_COMP_CNT: 0
; COMPUTE_PGM_RSRC3_GFX90A:ACCUM_OFFSET: 0
; COMPUTE_PGM_RSRC3_GFX90A:TG_SPLIT: 0
	.section	.text._ZN7rocprim17ROCPRIM_400000_NS6detail17trampoline_kernelINS0_14default_configENS1_27scan_by_key_config_selectorIiiEEZZNS1_16scan_by_key_implILNS1_25lookback_scan_determinismE0ELb1ES3_N6thrust23THRUST_200600_302600_NS6detail15normal_iteratorINS9_10device_ptrIiEEEESE_SE_iNS9_4plusIiEE19head_flag_predicateiEE10hipError_tPvRmT2_T3_T4_T5_mT6_T7_P12ihipStream_tbENKUlT_T0_E_clISt17integral_constantIbLb0EESX_IbLb1EEEEDaST_SU_EUlST_E_NS1_11comp_targetILNS1_3genE0ELNS1_11target_archE4294967295ELNS1_3gpuE0ELNS1_3repE0EEENS1_30default_config_static_selectorELNS0_4arch9wavefront6targetE1EEEvT1_,"axG",@progbits,_ZN7rocprim17ROCPRIM_400000_NS6detail17trampoline_kernelINS0_14default_configENS1_27scan_by_key_config_selectorIiiEEZZNS1_16scan_by_key_implILNS1_25lookback_scan_determinismE0ELb1ES3_N6thrust23THRUST_200600_302600_NS6detail15normal_iteratorINS9_10device_ptrIiEEEESE_SE_iNS9_4plusIiEE19head_flag_predicateiEE10hipError_tPvRmT2_T3_T4_T5_mT6_T7_P12ihipStream_tbENKUlT_T0_E_clISt17integral_constantIbLb0EESX_IbLb1EEEEDaST_SU_EUlST_E_NS1_11comp_targetILNS1_3genE0ELNS1_11target_archE4294967295ELNS1_3gpuE0ELNS1_3repE0EEENS1_30default_config_static_selectorELNS0_4arch9wavefront6targetE1EEEvT1_,comdat
	.protected	_ZN7rocprim17ROCPRIM_400000_NS6detail17trampoline_kernelINS0_14default_configENS1_27scan_by_key_config_selectorIiiEEZZNS1_16scan_by_key_implILNS1_25lookback_scan_determinismE0ELb1ES3_N6thrust23THRUST_200600_302600_NS6detail15normal_iteratorINS9_10device_ptrIiEEEESE_SE_iNS9_4plusIiEE19head_flag_predicateiEE10hipError_tPvRmT2_T3_T4_T5_mT6_T7_P12ihipStream_tbENKUlT_T0_E_clISt17integral_constantIbLb0EESX_IbLb1EEEEDaST_SU_EUlST_E_NS1_11comp_targetILNS1_3genE0ELNS1_11target_archE4294967295ELNS1_3gpuE0ELNS1_3repE0EEENS1_30default_config_static_selectorELNS0_4arch9wavefront6targetE1EEEvT1_ ; -- Begin function _ZN7rocprim17ROCPRIM_400000_NS6detail17trampoline_kernelINS0_14default_configENS1_27scan_by_key_config_selectorIiiEEZZNS1_16scan_by_key_implILNS1_25lookback_scan_determinismE0ELb1ES3_N6thrust23THRUST_200600_302600_NS6detail15normal_iteratorINS9_10device_ptrIiEEEESE_SE_iNS9_4plusIiEE19head_flag_predicateiEE10hipError_tPvRmT2_T3_T4_T5_mT6_T7_P12ihipStream_tbENKUlT_T0_E_clISt17integral_constantIbLb0EESX_IbLb1EEEEDaST_SU_EUlST_E_NS1_11comp_targetILNS1_3genE0ELNS1_11target_archE4294967295ELNS1_3gpuE0ELNS1_3repE0EEENS1_30default_config_static_selectorELNS0_4arch9wavefront6targetE1EEEvT1_
	.globl	_ZN7rocprim17ROCPRIM_400000_NS6detail17trampoline_kernelINS0_14default_configENS1_27scan_by_key_config_selectorIiiEEZZNS1_16scan_by_key_implILNS1_25lookback_scan_determinismE0ELb1ES3_N6thrust23THRUST_200600_302600_NS6detail15normal_iteratorINS9_10device_ptrIiEEEESE_SE_iNS9_4plusIiEE19head_flag_predicateiEE10hipError_tPvRmT2_T3_T4_T5_mT6_T7_P12ihipStream_tbENKUlT_T0_E_clISt17integral_constantIbLb0EESX_IbLb1EEEEDaST_SU_EUlST_E_NS1_11comp_targetILNS1_3genE0ELNS1_11target_archE4294967295ELNS1_3gpuE0ELNS1_3repE0EEENS1_30default_config_static_selectorELNS0_4arch9wavefront6targetE1EEEvT1_
	.p2align	8
	.type	_ZN7rocprim17ROCPRIM_400000_NS6detail17trampoline_kernelINS0_14default_configENS1_27scan_by_key_config_selectorIiiEEZZNS1_16scan_by_key_implILNS1_25lookback_scan_determinismE0ELb1ES3_N6thrust23THRUST_200600_302600_NS6detail15normal_iteratorINS9_10device_ptrIiEEEESE_SE_iNS9_4plusIiEE19head_flag_predicateiEE10hipError_tPvRmT2_T3_T4_T5_mT6_T7_P12ihipStream_tbENKUlT_T0_E_clISt17integral_constantIbLb0EESX_IbLb1EEEEDaST_SU_EUlST_E_NS1_11comp_targetILNS1_3genE0ELNS1_11target_archE4294967295ELNS1_3gpuE0ELNS1_3repE0EEENS1_30default_config_static_selectorELNS0_4arch9wavefront6targetE1EEEvT1_,@function
_ZN7rocprim17ROCPRIM_400000_NS6detail17trampoline_kernelINS0_14default_configENS1_27scan_by_key_config_selectorIiiEEZZNS1_16scan_by_key_implILNS1_25lookback_scan_determinismE0ELb1ES3_N6thrust23THRUST_200600_302600_NS6detail15normal_iteratorINS9_10device_ptrIiEEEESE_SE_iNS9_4plusIiEE19head_flag_predicateiEE10hipError_tPvRmT2_T3_T4_T5_mT6_T7_P12ihipStream_tbENKUlT_T0_E_clISt17integral_constantIbLb0EESX_IbLb1EEEEDaST_SU_EUlST_E_NS1_11comp_targetILNS1_3genE0ELNS1_11target_archE4294967295ELNS1_3gpuE0ELNS1_3repE0EEENS1_30default_config_static_selectorELNS0_4arch9wavefront6targetE1EEEvT1_: ; @_ZN7rocprim17ROCPRIM_400000_NS6detail17trampoline_kernelINS0_14default_configENS1_27scan_by_key_config_selectorIiiEEZZNS1_16scan_by_key_implILNS1_25lookback_scan_determinismE0ELb1ES3_N6thrust23THRUST_200600_302600_NS6detail15normal_iteratorINS9_10device_ptrIiEEEESE_SE_iNS9_4plusIiEE19head_flag_predicateiEE10hipError_tPvRmT2_T3_T4_T5_mT6_T7_P12ihipStream_tbENKUlT_T0_E_clISt17integral_constantIbLb0EESX_IbLb1EEEEDaST_SU_EUlST_E_NS1_11comp_targetILNS1_3genE0ELNS1_11target_archE4294967295ELNS1_3gpuE0ELNS1_3repE0EEENS1_30default_config_static_selectorELNS0_4arch9wavefront6targetE1EEEvT1_
; %bb.0:
	.section	.rodata,"a",@progbits
	.p2align	6, 0x0
	.amdhsa_kernel _ZN7rocprim17ROCPRIM_400000_NS6detail17trampoline_kernelINS0_14default_configENS1_27scan_by_key_config_selectorIiiEEZZNS1_16scan_by_key_implILNS1_25lookback_scan_determinismE0ELb1ES3_N6thrust23THRUST_200600_302600_NS6detail15normal_iteratorINS9_10device_ptrIiEEEESE_SE_iNS9_4plusIiEE19head_flag_predicateiEE10hipError_tPvRmT2_T3_T4_T5_mT6_T7_P12ihipStream_tbENKUlT_T0_E_clISt17integral_constantIbLb0EESX_IbLb1EEEEDaST_SU_EUlST_E_NS1_11comp_targetILNS1_3genE0ELNS1_11target_archE4294967295ELNS1_3gpuE0ELNS1_3repE0EEENS1_30default_config_static_selectorELNS0_4arch9wavefront6targetE1EEEvT1_
		.amdhsa_group_segment_fixed_size 0
		.amdhsa_private_segment_fixed_size 0
		.amdhsa_kernarg_size 112
		.amdhsa_user_sgpr_count 2
		.amdhsa_user_sgpr_dispatch_ptr 0
		.amdhsa_user_sgpr_queue_ptr 0
		.amdhsa_user_sgpr_kernarg_segment_ptr 1
		.amdhsa_user_sgpr_dispatch_id 0
		.amdhsa_user_sgpr_kernarg_preload_length 0
		.amdhsa_user_sgpr_kernarg_preload_offset 0
		.amdhsa_user_sgpr_private_segment_size 0
		.amdhsa_uses_dynamic_stack 0
		.amdhsa_enable_private_segment 0
		.amdhsa_system_sgpr_workgroup_id_x 1
		.amdhsa_system_sgpr_workgroup_id_y 0
		.amdhsa_system_sgpr_workgroup_id_z 0
		.amdhsa_system_sgpr_workgroup_info 0
		.amdhsa_system_vgpr_workitem_id 0
		.amdhsa_next_free_vgpr 1
		.amdhsa_next_free_sgpr 0
		.amdhsa_accum_offset 4
		.amdhsa_reserve_vcc 0
		.amdhsa_float_round_mode_32 0
		.amdhsa_float_round_mode_16_64 0
		.amdhsa_float_denorm_mode_32 3
		.amdhsa_float_denorm_mode_16_64 3
		.amdhsa_dx10_clamp 1
		.amdhsa_ieee_mode 1
		.amdhsa_fp16_overflow 0
		.amdhsa_tg_split 0
		.amdhsa_exception_fp_ieee_invalid_op 0
		.amdhsa_exception_fp_denorm_src 0
		.amdhsa_exception_fp_ieee_div_zero 0
		.amdhsa_exception_fp_ieee_overflow 0
		.amdhsa_exception_fp_ieee_underflow 0
		.amdhsa_exception_fp_ieee_inexact 0
		.amdhsa_exception_int_div_zero 0
	.end_amdhsa_kernel
	.section	.text._ZN7rocprim17ROCPRIM_400000_NS6detail17trampoline_kernelINS0_14default_configENS1_27scan_by_key_config_selectorIiiEEZZNS1_16scan_by_key_implILNS1_25lookback_scan_determinismE0ELb1ES3_N6thrust23THRUST_200600_302600_NS6detail15normal_iteratorINS9_10device_ptrIiEEEESE_SE_iNS9_4plusIiEE19head_flag_predicateiEE10hipError_tPvRmT2_T3_T4_T5_mT6_T7_P12ihipStream_tbENKUlT_T0_E_clISt17integral_constantIbLb0EESX_IbLb1EEEEDaST_SU_EUlST_E_NS1_11comp_targetILNS1_3genE0ELNS1_11target_archE4294967295ELNS1_3gpuE0ELNS1_3repE0EEENS1_30default_config_static_selectorELNS0_4arch9wavefront6targetE1EEEvT1_,"axG",@progbits,_ZN7rocprim17ROCPRIM_400000_NS6detail17trampoline_kernelINS0_14default_configENS1_27scan_by_key_config_selectorIiiEEZZNS1_16scan_by_key_implILNS1_25lookback_scan_determinismE0ELb1ES3_N6thrust23THRUST_200600_302600_NS6detail15normal_iteratorINS9_10device_ptrIiEEEESE_SE_iNS9_4plusIiEE19head_flag_predicateiEE10hipError_tPvRmT2_T3_T4_T5_mT6_T7_P12ihipStream_tbENKUlT_T0_E_clISt17integral_constantIbLb0EESX_IbLb1EEEEDaST_SU_EUlST_E_NS1_11comp_targetILNS1_3genE0ELNS1_11target_archE4294967295ELNS1_3gpuE0ELNS1_3repE0EEENS1_30default_config_static_selectorELNS0_4arch9wavefront6targetE1EEEvT1_,comdat
.Lfunc_end812:
	.size	_ZN7rocprim17ROCPRIM_400000_NS6detail17trampoline_kernelINS0_14default_configENS1_27scan_by_key_config_selectorIiiEEZZNS1_16scan_by_key_implILNS1_25lookback_scan_determinismE0ELb1ES3_N6thrust23THRUST_200600_302600_NS6detail15normal_iteratorINS9_10device_ptrIiEEEESE_SE_iNS9_4plusIiEE19head_flag_predicateiEE10hipError_tPvRmT2_T3_T4_T5_mT6_T7_P12ihipStream_tbENKUlT_T0_E_clISt17integral_constantIbLb0EESX_IbLb1EEEEDaST_SU_EUlST_E_NS1_11comp_targetILNS1_3genE0ELNS1_11target_archE4294967295ELNS1_3gpuE0ELNS1_3repE0EEENS1_30default_config_static_selectorELNS0_4arch9wavefront6targetE1EEEvT1_, .Lfunc_end812-_ZN7rocprim17ROCPRIM_400000_NS6detail17trampoline_kernelINS0_14default_configENS1_27scan_by_key_config_selectorIiiEEZZNS1_16scan_by_key_implILNS1_25lookback_scan_determinismE0ELb1ES3_N6thrust23THRUST_200600_302600_NS6detail15normal_iteratorINS9_10device_ptrIiEEEESE_SE_iNS9_4plusIiEE19head_flag_predicateiEE10hipError_tPvRmT2_T3_T4_T5_mT6_T7_P12ihipStream_tbENKUlT_T0_E_clISt17integral_constantIbLb0EESX_IbLb1EEEEDaST_SU_EUlST_E_NS1_11comp_targetILNS1_3genE0ELNS1_11target_archE4294967295ELNS1_3gpuE0ELNS1_3repE0EEENS1_30default_config_static_selectorELNS0_4arch9wavefront6targetE1EEEvT1_
                                        ; -- End function
	.section	.AMDGPU.csdata,"",@progbits
; Kernel info:
; codeLenInByte = 0
; NumSgprs: 6
; NumVgprs: 0
; NumAgprs: 0
; TotalNumVgprs: 0
; ScratchSize: 0
; MemoryBound: 0
; FloatMode: 240
; IeeeMode: 1
; LDSByteSize: 0 bytes/workgroup (compile time only)
; SGPRBlocks: 0
; VGPRBlocks: 0
; NumSGPRsForWavesPerEU: 6
; NumVGPRsForWavesPerEU: 1
; AccumOffset: 4
; Occupancy: 8
; WaveLimiterHint : 0
; COMPUTE_PGM_RSRC2:SCRATCH_EN: 0
; COMPUTE_PGM_RSRC2:USER_SGPR: 2
; COMPUTE_PGM_RSRC2:TRAP_HANDLER: 0
; COMPUTE_PGM_RSRC2:TGID_X_EN: 1
; COMPUTE_PGM_RSRC2:TGID_Y_EN: 0
; COMPUTE_PGM_RSRC2:TGID_Z_EN: 0
; COMPUTE_PGM_RSRC2:TIDIG_COMP_CNT: 0
; COMPUTE_PGM_RSRC3_GFX90A:ACCUM_OFFSET: 0
; COMPUTE_PGM_RSRC3_GFX90A:TG_SPLIT: 0
	.section	.text._ZN7rocprim17ROCPRIM_400000_NS6detail17trampoline_kernelINS0_14default_configENS1_27scan_by_key_config_selectorIiiEEZZNS1_16scan_by_key_implILNS1_25lookback_scan_determinismE0ELb1ES3_N6thrust23THRUST_200600_302600_NS6detail15normal_iteratorINS9_10device_ptrIiEEEESE_SE_iNS9_4plusIiEE19head_flag_predicateiEE10hipError_tPvRmT2_T3_T4_T5_mT6_T7_P12ihipStream_tbENKUlT_T0_E_clISt17integral_constantIbLb0EESX_IbLb1EEEEDaST_SU_EUlST_E_NS1_11comp_targetILNS1_3genE10ELNS1_11target_archE1201ELNS1_3gpuE5ELNS1_3repE0EEENS1_30default_config_static_selectorELNS0_4arch9wavefront6targetE1EEEvT1_,"axG",@progbits,_ZN7rocprim17ROCPRIM_400000_NS6detail17trampoline_kernelINS0_14default_configENS1_27scan_by_key_config_selectorIiiEEZZNS1_16scan_by_key_implILNS1_25lookback_scan_determinismE0ELb1ES3_N6thrust23THRUST_200600_302600_NS6detail15normal_iteratorINS9_10device_ptrIiEEEESE_SE_iNS9_4plusIiEE19head_flag_predicateiEE10hipError_tPvRmT2_T3_T4_T5_mT6_T7_P12ihipStream_tbENKUlT_T0_E_clISt17integral_constantIbLb0EESX_IbLb1EEEEDaST_SU_EUlST_E_NS1_11comp_targetILNS1_3genE10ELNS1_11target_archE1201ELNS1_3gpuE5ELNS1_3repE0EEENS1_30default_config_static_selectorELNS0_4arch9wavefront6targetE1EEEvT1_,comdat
	.protected	_ZN7rocprim17ROCPRIM_400000_NS6detail17trampoline_kernelINS0_14default_configENS1_27scan_by_key_config_selectorIiiEEZZNS1_16scan_by_key_implILNS1_25lookback_scan_determinismE0ELb1ES3_N6thrust23THRUST_200600_302600_NS6detail15normal_iteratorINS9_10device_ptrIiEEEESE_SE_iNS9_4plusIiEE19head_flag_predicateiEE10hipError_tPvRmT2_T3_T4_T5_mT6_T7_P12ihipStream_tbENKUlT_T0_E_clISt17integral_constantIbLb0EESX_IbLb1EEEEDaST_SU_EUlST_E_NS1_11comp_targetILNS1_3genE10ELNS1_11target_archE1201ELNS1_3gpuE5ELNS1_3repE0EEENS1_30default_config_static_selectorELNS0_4arch9wavefront6targetE1EEEvT1_ ; -- Begin function _ZN7rocprim17ROCPRIM_400000_NS6detail17trampoline_kernelINS0_14default_configENS1_27scan_by_key_config_selectorIiiEEZZNS1_16scan_by_key_implILNS1_25lookback_scan_determinismE0ELb1ES3_N6thrust23THRUST_200600_302600_NS6detail15normal_iteratorINS9_10device_ptrIiEEEESE_SE_iNS9_4plusIiEE19head_flag_predicateiEE10hipError_tPvRmT2_T3_T4_T5_mT6_T7_P12ihipStream_tbENKUlT_T0_E_clISt17integral_constantIbLb0EESX_IbLb1EEEEDaST_SU_EUlST_E_NS1_11comp_targetILNS1_3genE10ELNS1_11target_archE1201ELNS1_3gpuE5ELNS1_3repE0EEENS1_30default_config_static_selectorELNS0_4arch9wavefront6targetE1EEEvT1_
	.globl	_ZN7rocprim17ROCPRIM_400000_NS6detail17trampoline_kernelINS0_14default_configENS1_27scan_by_key_config_selectorIiiEEZZNS1_16scan_by_key_implILNS1_25lookback_scan_determinismE0ELb1ES3_N6thrust23THRUST_200600_302600_NS6detail15normal_iteratorINS9_10device_ptrIiEEEESE_SE_iNS9_4plusIiEE19head_flag_predicateiEE10hipError_tPvRmT2_T3_T4_T5_mT6_T7_P12ihipStream_tbENKUlT_T0_E_clISt17integral_constantIbLb0EESX_IbLb1EEEEDaST_SU_EUlST_E_NS1_11comp_targetILNS1_3genE10ELNS1_11target_archE1201ELNS1_3gpuE5ELNS1_3repE0EEENS1_30default_config_static_selectorELNS0_4arch9wavefront6targetE1EEEvT1_
	.p2align	8
	.type	_ZN7rocprim17ROCPRIM_400000_NS6detail17trampoline_kernelINS0_14default_configENS1_27scan_by_key_config_selectorIiiEEZZNS1_16scan_by_key_implILNS1_25lookback_scan_determinismE0ELb1ES3_N6thrust23THRUST_200600_302600_NS6detail15normal_iteratorINS9_10device_ptrIiEEEESE_SE_iNS9_4plusIiEE19head_flag_predicateiEE10hipError_tPvRmT2_T3_T4_T5_mT6_T7_P12ihipStream_tbENKUlT_T0_E_clISt17integral_constantIbLb0EESX_IbLb1EEEEDaST_SU_EUlST_E_NS1_11comp_targetILNS1_3genE10ELNS1_11target_archE1201ELNS1_3gpuE5ELNS1_3repE0EEENS1_30default_config_static_selectorELNS0_4arch9wavefront6targetE1EEEvT1_,@function
_ZN7rocprim17ROCPRIM_400000_NS6detail17trampoline_kernelINS0_14default_configENS1_27scan_by_key_config_selectorIiiEEZZNS1_16scan_by_key_implILNS1_25lookback_scan_determinismE0ELb1ES3_N6thrust23THRUST_200600_302600_NS6detail15normal_iteratorINS9_10device_ptrIiEEEESE_SE_iNS9_4plusIiEE19head_flag_predicateiEE10hipError_tPvRmT2_T3_T4_T5_mT6_T7_P12ihipStream_tbENKUlT_T0_E_clISt17integral_constantIbLb0EESX_IbLb1EEEEDaST_SU_EUlST_E_NS1_11comp_targetILNS1_3genE10ELNS1_11target_archE1201ELNS1_3gpuE5ELNS1_3repE0EEENS1_30default_config_static_selectorELNS0_4arch9wavefront6targetE1EEEvT1_: ; @_ZN7rocprim17ROCPRIM_400000_NS6detail17trampoline_kernelINS0_14default_configENS1_27scan_by_key_config_selectorIiiEEZZNS1_16scan_by_key_implILNS1_25lookback_scan_determinismE0ELb1ES3_N6thrust23THRUST_200600_302600_NS6detail15normal_iteratorINS9_10device_ptrIiEEEESE_SE_iNS9_4plusIiEE19head_flag_predicateiEE10hipError_tPvRmT2_T3_T4_T5_mT6_T7_P12ihipStream_tbENKUlT_T0_E_clISt17integral_constantIbLb0EESX_IbLb1EEEEDaST_SU_EUlST_E_NS1_11comp_targetILNS1_3genE10ELNS1_11target_archE1201ELNS1_3gpuE5ELNS1_3repE0EEENS1_30default_config_static_selectorELNS0_4arch9wavefront6targetE1EEEvT1_
; %bb.0:
	.section	.rodata,"a",@progbits
	.p2align	6, 0x0
	.amdhsa_kernel _ZN7rocprim17ROCPRIM_400000_NS6detail17trampoline_kernelINS0_14default_configENS1_27scan_by_key_config_selectorIiiEEZZNS1_16scan_by_key_implILNS1_25lookback_scan_determinismE0ELb1ES3_N6thrust23THRUST_200600_302600_NS6detail15normal_iteratorINS9_10device_ptrIiEEEESE_SE_iNS9_4plusIiEE19head_flag_predicateiEE10hipError_tPvRmT2_T3_T4_T5_mT6_T7_P12ihipStream_tbENKUlT_T0_E_clISt17integral_constantIbLb0EESX_IbLb1EEEEDaST_SU_EUlST_E_NS1_11comp_targetILNS1_3genE10ELNS1_11target_archE1201ELNS1_3gpuE5ELNS1_3repE0EEENS1_30default_config_static_selectorELNS0_4arch9wavefront6targetE1EEEvT1_
		.amdhsa_group_segment_fixed_size 0
		.amdhsa_private_segment_fixed_size 0
		.amdhsa_kernarg_size 112
		.amdhsa_user_sgpr_count 2
		.amdhsa_user_sgpr_dispatch_ptr 0
		.amdhsa_user_sgpr_queue_ptr 0
		.amdhsa_user_sgpr_kernarg_segment_ptr 1
		.amdhsa_user_sgpr_dispatch_id 0
		.amdhsa_user_sgpr_kernarg_preload_length 0
		.amdhsa_user_sgpr_kernarg_preload_offset 0
		.amdhsa_user_sgpr_private_segment_size 0
		.amdhsa_uses_dynamic_stack 0
		.amdhsa_enable_private_segment 0
		.amdhsa_system_sgpr_workgroup_id_x 1
		.amdhsa_system_sgpr_workgroup_id_y 0
		.amdhsa_system_sgpr_workgroup_id_z 0
		.amdhsa_system_sgpr_workgroup_info 0
		.amdhsa_system_vgpr_workitem_id 0
		.amdhsa_next_free_vgpr 1
		.amdhsa_next_free_sgpr 0
		.amdhsa_accum_offset 4
		.amdhsa_reserve_vcc 0
		.amdhsa_float_round_mode_32 0
		.amdhsa_float_round_mode_16_64 0
		.amdhsa_float_denorm_mode_32 3
		.amdhsa_float_denorm_mode_16_64 3
		.amdhsa_dx10_clamp 1
		.amdhsa_ieee_mode 1
		.amdhsa_fp16_overflow 0
		.amdhsa_tg_split 0
		.amdhsa_exception_fp_ieee_invalid_op 0
		.amdhsa_exception_fp_denorm_src 0
		.amdhsa_exception_fp_ieee_div_zero 0
		.amdhsa_exception_fp_ieee_overflow 0
		.amdhsa_exception_fp_ieee_underflow 0
		.amdhsa_exception_fp_ieee_inexact 0
		.amdhsa_exception_int_div_zero 0
	.end_amdhsa_kernel
	.section	.text._ZN7rocprim17ROCPRIM_400000_NS6detail17trampoline_kernelINS0_14default_configENS1_27scan_by_key_config_selectorIiiEEZZNS1_16scan_by_key_implILNS1_25lookback_scan_determinismE0ELb1ES3_N6thrust23THRUST_200600_302600_NS6detail15normal_iteratorINS9_10device_ptrIiEEEESE_SE_iNS9_4plusIiEE19head_flag_predicateiEE10hipError_tPvRmT2_T3_T4_T5_mT6_T7_P12ihipStream_tbENKUlT_T0_E_clISt17integral_constantIbLb0EESX_IbLb1EEEEDaST_SU_EUlST_E_NS1_11comp_targetILNS1_3genE10ELNS1_11target_archE1201ELNS1_3gpuE5ELNS1_3repE0EEENS1_30default_config_static_selectorELNS0_4arch9wavefront6targetE1EEEvT1_,"axG",@progbits,_ZN7rocprim17ROCPRIM_400000_NS6detail17trampoline_kernelINS0_14default_configENS1_27scan_by_key_config_selectorIiiEEZZNS1_16scan_by_key_implILNS1_25lookback_scan_determinismE0ELb1ES3_N6thrust23THRUST_200600_302600_NS6detail15normal_iteratorINS9_10device_ptrIiEEEESE_SE_iNS9_4plusIiEE19head_flag_predicateiEE10hipError_tPvRmT2_T3_T4_T5_mT6_T7_P12ihipStream_tbENKUlT_T0_E_clISt17integral_constantIbLb0EESX_IbLb1EEEEDaST_SU_EUlST_E_NS1_11comp_targetILNS1_3genE10ELNS1_11target_archE1201ELNS1_3gpuE5ELNS1_3repE0EEENS1_30default_config_static_selectorELNS0_4arch9wavefront6targetE1EEEvT1_,comdat
.Lfunc_end813:
	.size	_ZN7rocprim17ROCPRIM_400000_NS6detail17trampoline_kernelINS0_14default_configENS1_27scan_by_key_config_selectorIiiEEZZNS1_16scan_by_key_implILNS1_25lookback_scan_determinismE0ELb1ES3_N6thrust23THRUST_200600_302600_NS6detail15normal_iteratorINS9_10device_ptrIiEEEESE_SE_iNS9_4plusIiEE19head_flag_predicateiEE10hipError_tPvRmT2_T3_T4_T5_mT6_T7_P12ihipStream_tbENKUlT_T0_E_clISt17integral_constantIbLb0EESX_IbLb1EEEEDaST_SU_EUlST_E_NS1_11comp_targetILNS1_3genE10ELNS1_11target_archE1201ELNS1_3gpuE5ELNS1_3repE0EEENS1_30default_config_static_selectorELNS0_4arch9wavefront6targetE1EEEvT1_, .Lfunc_end813-_ZN7rocprim17ROCPRIM_400000_NS6detail17trampoline_kernelINS0_14default_configENS1_27scan_by_key_config_selectorIiiEEZZNS1_16scan_by_key_implILNS1_25lookback_scan_determinismE0ELb1ES3_N6thrust23THRUST_200600_302600_NS6detail15normal_iteratorINS9_10device_ptrIiEEEESE_SE_iNS9_4plusIiEE19head_flag_predicateiEE10hipError_tPvRmT2_T3_T4_T5_mT6_T7_P12ihipStream_tbENKUlT_T0_E_clISt17integral_constantIbLb0EESX_IbLb1EEEEDaST_SU_EUlST_E_NS1_11comp_targetILNS1_3genE10ELNS1_11target_archE1201ELNS1_3gpuE5ELNS1_3repE0EEENS1_30default_config_static_selectorELNS0_4arch9wavefront6targetE1EEEvT1_
                                        ; -- End function
	.section	.AMDGPU.csdata,"",@progbits
; Kernel info:
; codeLenInByte = 0
; NumSgprs: 6
; NumVgprs: 0
; NumAgprs: 0
; TotalNumVgprs: 0
; ScratchSize: 0
; MemoryBound: 0
; FloatMode: 240
; IeeeMode: 1
; LDSByteSize: 0 bytes/workgroup (compile time only)
; SGPRBlocks: 0
; VGPRBlocks: 0
; NumSGPRsForWavesPerEU: 6
; NumVGPRsForWavesPerEU: 1
; AccumOffset: 4
; Occupancy: 8
; WaveLimiterHint : 0
; COMPUTE_PGM_RSRC2:SCRATCH_EN: 0
; COMPUTE_PGM_RSRC2:USER_SGPR: 2
; COMPUTE_PGM_RSRC2:TRAP_HANDLER: 0
; COMPUTE_PGM_RSRC2:TGID_X_EN: 1
; COMPUTE_PGM_RSRC2:TGID_Y_EN: 0
; COMPUTE_PGM_RSRC2:TGID_Z_EN: 0
; COMPUTE_PGM_RSRC2:TIDIG_COMP_CNT: 0
; COMPUTE_PGM_RSRC3_GFX90A:ACCUM_OFFSET: 0
; COMPUTE_PGM_RSRC3_GFX90A:TG_SPLIT: 0
	.section	.text._ZN7rocprim17ROCPRIM_400000_NS6detail17trampoline_kernelINS0_14default_configENS1_27scan_by_key_config_selectorIiiEEZZNS1_16scan_by_key_implILNS1_25lookback_scan_determinismE0ELb1ES3_N6thrust23THRUST_200600_302600_NS6detail15normal_iteratorINS9_10device_ptrIiEEEESE_SE_iNS9_4plusIiEE19head_flag_predicateiEE10hipError_tPvRmT2_T3_T4_T5_mT6_T7_P12ihipStream_tbENKUlT_T0_E_clISt17integral_constantIbLb0EESX_IbLb1EEEEDaST_SU_EUlST_E_NS1_11comp_targetILNS1_3genE5ELNS1_11target_archE942ELNS1_3gpuE9ELNS1_3repE0EEENS1_30default_config_static_selectorELNS0_4arch9wavefront6targetE1EEEvT1_,"axG",@progbits,_ZN7rocprim17ROCPRIM_400000_NS6detail17trampoline_kernelINS0_14default_configENS1_27scan_by_key_config_selectorIiiEEZZNS1_16scan_by_key_implILNS1_25lookback_scan_determinismE0ELb1ES3_N6thrust23THRUST_200600_302600_NS6detail15normal_iteratorINS9_10device_ptrIiEEEESE_SE_iNS9_4plusIiEE19head_flag_predicateiEE10hipError_tPvRmT2_T3_T4_T5_mT6_T7_P12ihipStream_tbENKUlT_T0_E_clISt17integral_constantIbLb0EESX_IbLb1EEEEDaST_SU_EUlST_E_NS1_11comp_targetILNS1_3genE5ELNS1_11target_archE942ELNS1_3gpuE9ELNS1_3repE0EEENS1_30default_config_static_selectorELNS0_4arch9wavefront6targetE1EEEvT1_,comdat
	.protected	_ZN7rocprim17ROCPRIM_400000_NS6detail17trampoline_kernelINS0_14default_configENS1_27scan_by_key_config_selectorIiiEEZZNS1_16scan_by_key_implILNS1_25lookback_scan_determinismE0ELb1ES3_N6thrust23THRUST_200600_302600_NS6detail15normal_iteratorINS9_10device_ptrIiEEEESE_SE_iNS9_4plusIiEE19head_flag_predicateiEE10hipError_tPvRmT2_T3_T4_T5_mT6_T7_P12ihipStream_tbENKUlT_T0_E_clISt17integral_constantIbLb0EESX_IbLb1EEEEDaST_SU_EUlST_E_NS1_11comp_targetILNS1_3genE5ELNS1_11target_archE942ELNS1_3gpuE9ELNS1_3repE0EEENS1_30default_config_static_selectorELNS0_4arch9wavefront6targetE1EEEvT1_ ; -- Begin function _ZN7rocprim17ROCPRIM_400000_NS6detail17trampoline_kernelINS0_14default_configENS1_27scan_by_key_config_selectorIiiEEZZNS1_16scan_by_key_implILNS1_25lookback_scan_determinismE0ELb1ES3_N6thrust23THRUST_200600_302600_NS6detail15normal_iteratorINS9_10device_ptrIiEEEESE_SE_iNS9_4plusIiEE19head_flag_predicateiEE10hipError_tPvRmT2_T3_T4_T5_mT6_T7_P12ihipStream_tbENKUlT_T0_E_clISt17integral_constantIbLb0EESX_IbLb1EEEEDaST_SU_EUlST_E_NS1_11comp_targetILNS1_3genE5ELNS1_11target_archE942ELNS1_3gpuE9ELNS1_3repE0EEENS1_30default_config_static_selectorELNS0_4arch9wavefront6targetE1EEEvT1_
	.globl	_ZN7rocprim17ROCPRIM_400000_NS6detail17trampoline_kernelINS0_14default_configENS1_27scan_by_key_config_selectorIiiEEZZNS1_16scan_by_key_implILNS1_25lookback_scan_determinismE0ELb1ES3_N6thrust23THRUST_200600_302600_NS6detail15normal_iteratorINS9_10device_ptrIiEEEESE_SE_iNS9_4plusIiEE19head_flag_predicateiEE10hipError_tPvRmT2_T3_T4_T5_mT6_T7_P12ihipStream_tbENKUlT_T0_E_clISt17integral_constantIbLb0EESX_IbLb1EEEEDaST_SU_EUlST_E_NS1_11comp_targetILNS1_3genE5ELNS1_11target_archE942ELNS1_3gpuE9ELNS1_3repE0EEENS1_30default_config_static_selectorELNS0_4arch9wavefront6targetE1EEEvT1_
	.p2align	8
	.type	_ZN7rocprim17ROCPRIM_400000_NS6detail17trampoline_kernelINS0_14default_configENS1_27scan_by_key_config_selectorIiiEEZZNS1_16scan_by_key_implILNS1_25lookback_scan_determinismE0ELb1ES3_N6thrust23THRUST_200600_302600_NS6detail15normal_iteratorINS9_10device_ptrIiEEEESE_SE_iNS9_4plusIiEE19head_flag_predicateiEE10hipError_tPvRmT2_T3_T4_T5_mT6_T7_P12ihipStream_tbENKUlT_T0_E_clISt17integral_constantIbLb0EESX_IbLb1EEEEDaST_SU_EUlST_E_NS1_11comp_targetILNS1_3genE5ELNS1_11target_archE942ELNS1_3gpuE9ELNS1_3repE0EEENS1_30default_config_static_selectorELNS0_4arch9wavefront6targetE1EEEvT1_,@function
_ZN7rocprim17ROCPRIM_400000_NS6detail17trampoline_kernelINS0_14default_configENS1_27scan_by_key_config_selectorIiiEEZZNS1_16scan_by_key_implILNS1_25lookback_scan_determinismE0ELb1ES3_N6thrust23THRUST_200600_302600_NS6detail15normal_iteratorINS9_10device_ptrIiEEEESE_SE_iNS9_4plusIiEE19head_flag_predicateiEE10hipError_tPvRmT2_T3_T4_T5_mT6_T7_P12ihipStream_tbENKUlT_T0_E_clISt17integral_constantIbLb0EESX_IbLb1EEEEDaST_SU_EUlST_E_NS1_11comp_targetILNS1_3genE5ELNS1_11target_archE942ELNS1_3gpuE9ELNS1_3repE0EEENS1_30default_config_static_selectorELNS0_4arch9wavefront6targetE1EEEvT1_: ; @_ZN7rocprim17ROCPRIM_400000_NS6detail17trampoline_kernelINS0_14default_configENS1_27scan_by_key_config_selectorIiiEEZZNS1_16scan_by_key_implILNS1_25lookback_scan_determinismE0ELb1ES3_N6thrust23THRUST_200600_302600_NS6detail15normal_iteratorINS9_10device_ptrIiEEEESE_SE_iNS9_4plusIiEE19head_flag_predicateiEE10hipError_tPvRmT2_T3_T4_T5_mT6_T7_P12ihipStream_tbENKUlT_T0_E_clISt17integral_constantIbLb0EESX_IbLb1EEEEDaST_SU_EUlST_E_NS1_11comp_targetILNS1_3genE5ELNS1_11target_archE942ELNS1_3gpuE9ELNS1_3repE0EEENS1_30default_config_static_selectorELNS0_4arch9wavefront6targetE1EEEvT1_
; %bb.0:
	s_load_dword s74, s[0:1], 0x20
	s_load_dwordx4 s[64:67], s[0:1], 0x28
	s_load_dwordx2 s[72:73], s[0:1], 0x38
	v_cmp_ne_u32_e64 s[4:5], 0, v0
	v_cmp_eq_u32_e64 s[52:53], 0, v0
	s_and_saveexec_b64 s[2:3], s[52:53]
	s_cbranch_execz .LBB814_4
; %bb.1:
	s_mov_b64 s[8:9], exec
	v_mbcnt_lo_u32_b32 v1, s8, 0
	v_mbcnt_hi_u32_b32 v1, s9, v1
	v_cmp_eq_u32_e32 vcc, 0, v1
                                        ; implicit-def: $vgpr2
	s_and_saveexec_b64 s[6:7], vcc
	s_cbranch_execz .LBB814_3
; %bb.2:
	s_load_dwordx2 s[10:11], s[0:1], 0x68
	s_bcnt1_i32_b64 s8, s[8:9]
	v_mov_b32_e32 v2, 0
	v_mov_b32_e32 v3, s8
	s_waitcnt lgkmcnt(0)
	global_atomic_add v2, v2, v3, s[10:11] sc0
.LBB814_3:
	s_or_b64 exec, exec, s[6:7]
	s_waitcnt vmcnt(0)
	v_readfirstlane_b32 s6, v2
	v_mov_b32_e32 v2, 0
	s_nop 0
	v_add_u32_e32 v1, s6, v1
	ds_write_b32 v2, v1
.LBB814_4:
	s_or_b64 exec, exec, s[2:3]
	s_load_dwordx8 s[56:63], s[0:1], 0x0
	s_load_dword s2, s[0:1], 0x40
	s_load_dwordx4 s[68:71], s[0:1], 0x48
	v_mov_b32_e32 v7, 0
	s_waitcnt lgkmcnt(0)
	s_lshl_b64 s[54:55], s[58:59], 2
	s_barrier
	ds_read_b32 v6, v7
	s_add_u32 s0, s56, s54
	s_addc_u32 s1, s57, s55
	s_add_u32 s6, s60, s54
	s_mul_i32 s3, s73, s2
	s_mul_hi_u32 s8, s72, s2
	s_addc_u32 s7, s61, s55
	s_add_i32 s3, s8, s3
	s_movk_i32 s8, 0x1700
	s_waitcnt lgkmcnt(0)
	v_mul_lo_u32 v2, v6, s8
	v_mov_b32_e32 v3, v7
	v_lshlrev_b64 v[10:11], 2, v[2:3]
	s_mul_i32 s2, s72, s2
	v_lshl_add_u64 v[2:3], s[6:7], 0, v[10:11]
	s_add_u32 s6, s68, -1
	v_readfirstlane_b32 s67, v6
	v_lshl_add_u64 v[6:7], s[2:3], 0, v[6:7]
	s_addc_u32 s7, s69, -1
	v_cmp_le_u64_e64 s[2:3], s[6:7], v[6:7]
	v_lshl_add_u64 v[4:5], s[0:1], 0, v[10:11]
	s_mov_b64 s[0:1], -1
	s_and_b64 vcc, exec, s[2:3]
	s_mul_i32 s33, s6, 0xffffe900
	s_barrier
	s_barrier
	s_cbranch_vccz .LBB814_75
; %bb.5:
	flat_load_dword v1, v[4:5]
	s_add_i32 s60, s33, s66
	v_cmp_gt_u32_e32 vcc, s60, v0
	s_waitcnt vmcnt(0) lgkmcnt(0)
	v_mov_b32_e32 v8, v1
	s_and_saveexec_b64 s[0:1], vcc
	s_cbranch_execz .LBB814_7
; %bb.6:
	v_lshlrev_b32_e32 v6, 2, v0
	v_mov_b32_e32 v7, 0
	v_lshl_add_u64 v[6:7], v[4:5], 0, v[6:7]
	flat_load_dword v8, v[6:7]
.LBB814_7:
	s_or_b64 exec, exec, s[0:1]
	v_or_b32_e32 v6, 0x100, v0
	v_cmp_gt_u32_e64 s[6:7], s60, v6
	v_mov_b32_e32 v9, v1
	s_and_saveexec_b64 s[0:1], s[6:7]
	s_cbranch_execz .LBB814_9
; %bb.8:
	v_lshlrev_b32_e32 v6, 2, v0
	v_mov_b32_e32 v7, 0
	v_lshl_add_u64 v[6:7], v[4:5], 0, v[6:7]
	flat_load_dword v9, v[6:7] offset:1024
.LBB814_9:
	s_or_b64 exec, exec, s[0:1]
	v_or_b32_e32 v6, 0x200, v0
	v_cmp_gt_u32_e64 s[8:9], s60, v6
	v_mov_b32_e32 v49, v1
	s_and_saveexec_b64 s[0:1], s[8:9]
	s_cbranch_execz .LBB814_11
; %bb.10:
	v_lshlrev_b32_e32 v6, 2, v0
	v_mov_b32_e32 v7, 0
	v_lshl_add_u64 v[6:7], v[4:5], 0, v[6:7]
	flat_load_dword v49, v[6:7] offset:2048
.LBB814_11:
	;; [unrolled: 12-line block ×3, first 2 shown]
	s_or_b64 exec, exec, s[0:1]
	v_or_b32_e32 v6, 0x400, v0
	v_cmp_gt_u32_e64 s[12:13], s60, v6
	v_lshlrev_b32_e32 v6, 2, v6
	v_mov_b32_e32 v7, v1
	s_and_saveexec_b64 s[0:1], s[12:13]
	s_cbranch_execz .LBB814_15
; %bb.14:
	v_mov_b32_e32 v7, 0
	v_lshl_add_u64 v[12:13], v[4:5], 0, v[6:7]
	flat_load_dword v7, v[12:13]
.LBB814_15:
	s_or_b64 exec, exec, s[0:1]
	v_or_b32_e32 v12, 0x500, v0
	v_cmp_gt_u32_e64 s[14:15], s60, v12
	v_lshlrev_b32_e32 v12, 2, v12
	v_mov_b32_e32 v13, v1
	s_and_saveexec_b64 s[0:1], s[14:15]
	s_cbranch_execz .LBB814_17
; %bb.16:
	v_mov_b32_e32 v13, 0
	v_lshl_add_u64 v[14:15], v[4:5], 0, v[12:13]
	flat_load_dword v13, v[14:15]
.LBB814_17:
	;; [unrolled: 12-line block ×18, first 2 shown]
	s_or_b64 exec, exec, s[0:1]
	v_or_b32_e32 v46, 0x1600, v0
	v_cmp_gt_u32_e64 s[50:51], s60, v46
	v_lshlrev_b32_e32 v46, 2, v46
	s_and_saveexec_b64 s[0:1], s[50:51]
	s_cbranch_execz .LBB814_51
; %bb.50:
	v_mov_b32_e32 v47, 0
	v_lshl_add_u64 v[52:53], v[4:5], 0, v[46:47]
	flat_load_dword v1, v[52:53]
.LBB814_51:
	s_or_b64 exec, exec, s[0:1]
	v_lshlrev_b32_e32 v48, 2, v0
	s_waitcnt vmcnt(0) lgkmcnt(0)
	ds_write2st64_b32 v48, v8, v9 offset1:4
	ds_write2st64_b32 v48, v49, v50 offset0:8 offset1:12
	ds_write2st64_b32 v48, v7, v13 offset0:16 offset1:20
	;; [unrolled: 1-line block ×10, first 2 shown]
	ds_write_b32 v48, v1 offset:22528
	s_waitcnt lgkmcnt(0)
	s_barrier
	flat_load_dword v1, v[4:5]
	s_movk_i32 s0, 0x58
	v_mad_u32_u24 v76, v0, s0, v48
	s_movk_i32 s0, 0xffa8
	v_mad_i32_i24 v7, v0, s0, v76
	s_movk_i32 s0, 0xff
	v_cmp_ne_u32_e64 s[0:1], s0, v0
	ds_read2_b32 v[74:75], v76 offset1:1
	ds_read2_b32 v[72:73], v76 offset0:2 offset1:3
	ds_read2_b32 v[70:71], v76 offset0:4 offset1:5
	;; [unrolled: 1-line block ×10, first 2 shown]
	ds_read_b32 v77, v76 offset:88
	s_waitcnt lgkmcnt(0)
	ds_write_b32 v7, v74 offset:24576
	s_waitcnt lgkmcnt(0)
	s_barrier
	s_and_saveexec_b64 s[56:57], s[0:1]
	s_cbranch_execz .LBB814_53
; %bb.52:
	s_waitcnt vmcnt(0)
	ds_read_b32 v1, v48 offset:24580
.LBB814_53:
	s_or_b64 exec, exec, s[56:57]
	v_mov_b32_e32 v49, 0
	s_waitcnt lgkmcnt(0)
	s_barrier
	s_waitcnt lgkmcnt(0)
                                        ; implicit-def: $vgpr50
	s_and_saveexec_b64 s[0:1], vcc
	s_cbranch_execz .LBB814_76
; %bb.54:
	v_lshl_add_u64 v[50:51], v[2:3], 0, v[48:49]
	flat_load_dword v50, v[50:51]
	s_or_b64 exec, exec, s[0:1]
                                        ; implicit-def: $vgpr51
	s_and_saveexec_b64 s[0:1], s[6:7]
	s_cbranch_execnz .LBB814_77
.LBB814_55:
	s_or_b64 exec, exec, s[0:1]
                                        ; implicit-def: $vgpr52
	s_and_saveexec_b64 s[0:1], s[8:9]
	s_cbranch_execz .LBB814_78
.LBB814_56:
	v_mov_b32_e32 v49, 0
	v_lshl_add_u64 v[52:53], v[2:3], 0, v[48:49]
	flat_load_dword v52, v[52:53] offset:2048
	s_or_b64 exec, exec, s[0:1]
                                        ; implicit-def: $vgpr49
	s_and_saveexec_b64 s[0:1], s[10:11]
	s_cbranch_execnz .LBB814_79
.LBB814_57:
	s_or_b64 exec, exec, s[0:1]
                                        ; implicit-def: $vgpr7
	s_and_saveexec_b64 s[0:1], s[12:13]
	s_cbranch_execz .LBB814_80
.LBB814_58:
	v_mov_b32_e32 v7, 0
	v_lshl_add_u64 v[6:7], v[2:3], 0, v[6:7]
	flat_load_dword v7, v[6:7]
	s_or_b64 exec, exec, s[0:1]
                                        ; implicit-def: $vgpr6
	s_and_saveexec_b64 s[0:1], s[14:15]
	s_cbranch_execnz .LBB814_81
.LBB814_59:
	s_or_b64 exec, exec, s[0:1]
                                        ; implicit-def: $vgpr12
	s_and_saveexec_b64 s[0:1], s[16:17]
	s_cbranch_execz .LBB814_82
.LBB814_60:
	v_mov_b32_e32 v15, 0
	v_lshl_add_u64 v[12:13], v[2:3], 0, v[14:15]
	flat_load_dword v12, v[12:13]
	s_or_b64 exec, exec, s[0:1]
                                        ; implicit-def: $vgpr13
	s_and_saveexec_b64 s[0:1], s[18:19]
	s_cbranch_execnz .LBB814_83
.LBB814_61:
	s_or_b64 exec, exec, s[0:1]
                                        ; implicit-def: $vgpr14
	s_and_saveexec_b64 s[0:1], s[20:21]
	s_cbranch_execz .LBB814_84
.LBB814_62:
	v_mov_b32_e32 v19, 0
	v_lshl_add_u64 v[14:15], v[2:3], 0, v[18:19]
	flat_load_dword v14, v[14:15]
	s_or_b64 exec, exec, s[0:1]
                                        ; implicit-def: $vgpr15
	s_and_saveexec_b64 s[0:1], s[22:23]
	s_cbranch_execnz .LBB814_85
.LBB814_63:
	s_or_b64 exec, exec, s[0:1]
                                        ; implicit-def: $vgpr16
	s_and_saveexec_b64 s[0:1], s[24:25]
	s_cbranch_execz .LBB814_86
.LBB814_64:
	v_mov_b32_e32 v23, 0
	v_lshl_add_u64 v[16:17], v[2:3], 0, v[22:23]
	flat_load_dword v16, v[16:17]
	s_or_b64 exec, exec, s[0:1]
                                        ; implicit-def: $vgpr17
	s_and_saveexec_b64 s[0:1], s[26:27]
	s_cbranch_execnz .LBB814_87
.LBB814_65:
	s_or_b64 exec, exec, s[0:1]
                                        ; implicit-def: $vgpr18
	s_and_saveexec_b64 s[0:1], s[28:29]
	s_cbranch_execz .LBB814_88
.LBB814_66:
	v_mov_b32_e32 v27, 0
	v_lshl_add_u64 v[18:19], v[2:3], 0, v[26:27]
	flat_load_dword v18, v[18:19]
	s_or_b64 exec, exec, s[0:1]
                                        ; implicit-def: $vgpr19
	s_and_saveexec_b64 s[0:1], s[30:31]
	s_cbranch_execnz .LBB814_89
.LBB814_67:
	s_or_b64 exec, exec, s[0:1]
                                        ; implicit-def: $vgpr20
	s_and_saveexec_b64 s[0:1], s[34:35]
	s_cbranch_execz .LBB814_90
.LBB814_68:
	v_mov_b32_e32 v31, 0
	v_lshl_add_u64 v[20:21], v[2:3], 0, v[30:31]
	flat_load_dword v20, v[20:21]
	s_or_b64 exec, exec, s[0:1]
                                        ; implicit-def: $vgpr21
	s_and_saveexec_b64 s[0:1], s[36:37]
	s_cbranch_execnz .LBB814_91
.LBB814_69:
	s_or_b64 exec, exec, s[0:1]
                                        ; implicit-def: $vgpr22
	s_and_saveexec_b64 s[0:1], s[38:39]
	s_cbranch_execz .LBB814_92
.LBB814_70:
	v_mov_b32_e32 v35, 0
	v_lshl_add_u64 v[22:23], v[2:3], 0, v[34:35]
	flat_load_dword v22, v[22:23]
	s_or_b64 exec, exec, s[0:1]
                                        ; implicit-def: $vgpr23
	s_and_saveexec_b64 s[0:1], s[40:41]
	s_cbranch_execnz .LBB814_93
.LBB814_71:
	s_or_b64 exec, exec, s[0:1]
                                        ; implicit-def: $vgpr24
	s_and_saveexec_b64 s[0:1], s[42:43]
	s_cbranch_execz .LBB814_94
.LBB814_72:
	v_mov_b32_e32 v39, 0
	v_lshl_add_u64 v[24:25], v[2:3], 0, v[38:39]
	flat_load_dword v24, v[24:25]
	s_or_b64 exec, exec, s[0:1]
                                        ; implicit-def: $vgpr25
	s_and_saveexec_b64 s[0:1], s[44:45]
	s_cbranch_execnz .LBB814_95
.LBB814_73:
	s_or_b64 exec, exec, s[0:1]
                                        ; implicit-def: $vgpr26
	s_and_saveexec_b64 s[0:1], s[46:47]
	s_cbranch_execz .LBB814_96
.LBB814_74:
	v_mov_b32_e32 v43, 0
	v_lshl_add_u64 v[26:27], v[2:3], 0, v[42:43]
	flat_load_dword v26, v[26:27]
	s_or_b64 exec, exec, s[0:1]
                                        ; implicit-def: $vgpr27
	s_and_saveexec_b64 s[0:1], s[48:49]
	s_cbranch_execz .LBB814_98
	s_branch .LBB814_97
.LBB814_75:
	s_mov_b64 s[10:11], 0
                                        ; implicit-def: $sgpr8_sgpr9
                                        ; implicit-def: $vgpr6
                                        ; implicit-def: $vgpr12_vgpr13
                                        ; implicit-def: $vgpr14_vgpr15
                                        ; implicit-def: $vgpr16_vgpr17
                                        ; implicit-def: $vgpr18_vgpr19
                                        ; implicit-def: $vgpr20_vgpr21
                                        ; implicit-def: $vgpr22_vgpr23
                                        ; implicit-def: $vgpr24_vgpr25
                                        ; implicit-def: $vgpr26_vgpr27
                                        ; implicit-def: $vgpr28_vgpr29
                                        ; implicit-def: $vgpr30_vgpr31
                                        ; implicit-def: $vgpr32_vgpr33
                                        ; implicit-def: $vgpr34_vgpr35
                                        ; implicit-def: $vgpr36_vgpr37
                                        ; implicit-def: $vgpr38_vgpr39
                                        ; implicit-def: $vgpr40_vgpr41
                                        ; implicit-def: $vgpr42_vgpr43
                                        ; implicit-def: $vgpr44_vgpr45
                                        ; implicit-def: $vgpr46_vgpr47
                                        ; implicit-def: $vgpr48_vgpr49
                                        ; implicit-def: $vgpr50_vgpr51
                                        ; implicit-def: $vgpr52_vgpr53
                                        ; implicit-def: $vgpr54_vgpr55
                                        ; implicit-def: $sgpr6_sgpr7
	s_and_b64 vcc, exec, s[0:1]
	v_lshlrev_b32_e32 v56, 2, v0
	s_cbranch_vccz .LBB814_152
	s_branch .LBB814_147
.LBB814_76:
	s_or_b64 exec, exec, s[0:1]
                                        ; implicit-def: $vgpr51
	s_and_saveexec_b64 s[0:1], s[6:7]
	s_cbranch_execz .LBB814_55
.LBB814_77:
	v_mov_b32_e32 v49, 0
	v_lshl_add_u64 v[52:53], v[2:3], 0, v[48:49]
	flat_load_dword v51, v[52:53] offset:1024
	s_or_b64 exec, exec, s[0:1]
                                        ; implicit-def: $vgpr52
	s_and_saveexec_b64 s[0:1], s[8:9]
	s_cbranch_execnz .LBB814_56
.LBB814_78:
	s_or_b64 exec, exec, s[0:1]
                                        ; implicit-def: $vgpr49
	s_and_saveexec_b64 s[0:1], s[10:11]
	s_cbranch_execz .LBB814_57
.LBB814_79:
	v_mov_b32_e32 v49, 0
	v_lshl_add_u64 v[54:55], v[2:3], 0, v[48:49]
	flat_load_dword v49, v[54:55] offset:3072
	s_or_b64 exec, exec, s[0:1]
                                        ; implicit-def: $vgpr7
	s_and_saveexec_b64 s[0:1], s[12:13]
	s_cbranch_execnz .LBB814_58
.LBB814_80:
	s_or_b64 exec, exec, s[0:1]
                                        ; implicit-def: $vgpr6
	s_and_saveexec_b64 s[0:1], s[14:15]
	s_cbranch_execz .LBB814_59
.LBB814_81:
	v_mov_b32_e32 v13, 0
	v_lshl_add_u64 v[12:13], v[2:3], 0, v[12:13]
	flat_load_dword v6, v[12:13]
	s_or_b64 exec, exec, s[0:1]
                                        ; implicit-def: $vgpr12
	s_and_saveexec_b64 s[0:1], s[16:17]
	s_cbranch_execnz .LBB814_60
.LBB814_82:
	s_or_b64 exec, exec, s[0:1]
                                        ; implicit-def: $vgpr13
	s_and_saveexec_b64 s[0:1], s[18:19]
	s_cbranch_execz .LBB814_61
.LBB814_83:
	v_mov_b32_e32 v17, 0
	v_lshl_add_u64 v[14:15], v[2:3], 0, v[16:17]
	flat_load_dword v13, v[14:15]
	s_or_b64 exec, exec, s[0:1]
                                        ; implicit-def: $vgpr14
	s_and_saveexec_b64 s[0:1], s[20:21]
	s_cbranch_execnz .LBB814_62
.LBB814_84:
	s_or_b64 exec, exec, s[0:1]
                                        ; implicit-def: $vgpr15
	s_and_saveexec_b64 s[0:1], s[22:23]
	s_cbranch_execz .LBB814_63
.LBB814_85:
	v_mov_b32_e32 v21, 0
	v_lshl_add_u64 v[16:17], v[2:3], 0, v[20:21]
	flat_load_dword v15, v[16:17]
	s_or_b64 exec, exec, s[0:1]
                                        ; implicit-def: $vgpr16
	s_and_saveexec_b64 s[0:1], s[24:25]
	s_cbranch_execnz .LBB814_64
.LBB814_86:
	s_or_b64 exec, exec, s[0:1]
                                        ; implicit-def: $vgpr17
	s_and_saveexec_b64 s[0:1], s[26:27]
	s_cbranch_execz .LBB814_65
.LBB814_87:
	v_mov_b32_e32 v25, 0
	v_lshl_add_u64 v[18:19], v[2:3], 0, v[24:25]
	flat_load_dword v17, v[18:19]
	s_or_b64 exec, exec, s[0:1]
                                        ; implicit-def: $vgpr18
	s_and_saveexec_b64 s[0:1], s[28:29]
	s_cbranch_execnz .LBB814_66
.LBB814_88:
	s_or_b64 exec, exec, s[0:1]
                                        ; implicit-def: $vgpr19
	s_and_saveexec_b64 s[0:1], s[30:31]
	s_cbranch_execz .LBB814_67
.LBB814_89:
	v_mov_b32_e32 v29, 0
	v_lshl_add_u64 v[20:21], v[2:3], 0, v[28:29]
	flat_load_dword v19, v[20:21]
	s_or_b64 exec, exec, s[0:1]
                                        ; implicit-def: $vgpr20
	s_and_saveexec_b64 s[0:1], s[34:35]
	s_cbranch_execnz .LBB814_68
.LBB814_90:
	s_or_b64 exec, exec, s[0:1]
                                        ; implicit-def: $vgpr21
	s_and_saveexec_b64 s[0:1], s[36:37]
	s_cbranch_execz .LBB814_69
.LBB814_91:
	v_mov_b32_e32 v33, 0
	v_lshl_add_u64 v[22:23], v[2:3], 0, v[32:33]
	flat_load_dword v21, v[22:23]
	s_or_b64 exec, exec, s[0:1]
                                        ; implicit-def: $vgpr22
	s_and_saveexec_b64 s[0:1], s[38:39]
	s_cbranch_execnz .LBB814_70
.LBB814_92:
	s_or_b64 exec, exec, s[0:1]
                                        ; implicit-def: $vgpr23
	s_and_saveexec_b64 s[0:1], s[40:41]
	s_cbranch_execz .LBB814_71
.LBB814_93:
	v_mov_b32_e32 v37, 0
	v_lshl_add_u64 v[24:25], v[2:3], 0, v[36:37]
	flat_load_dword v23, v[24:25]
	s_or_b64 exec, exec, s[0:1]
                                        ; implicit-def: $vgpr24
	s_and_saveexec_b64 s[0:1], s[42:43]
	s_cbranch_execnz .LBB814_72
.LBB814_94:
	s_or_b64 exec, exec, s[0:1]
                                        ; implicit-def: $vgpr25
	s_and_saveexec_b64 s[0:1], s[44:45]
	s_cbranch_execz .LBB814_73
.LBB814_95:
	v_mov_b32_e32 v41, 0
	v_lshl_add_u64 v[26:27], v[2:3], 0, v[40:41]
	flat_load_dword v25, v[26:27]
	s_or_b64 exec, exec, s[0:1]
                                        ; implicit-def: $vgpr26
	s_and_saveexec_b64 s[0:1], s[46:47]
	s_cbranch_execnz .LBB814_74
.LBB814_96:
	s_or_b64 exec, exec, s[0:1]
                                        ; implicit-def: $vgpr27
	s_and_saveexec_b64 s[0:1], s[48:49]
	s_cbranch_execz .LBB814_98
.LBB814_97:
	v_mov_b32_e32 v45, 0
	v_lshl_add_u64 v[28:29], v[2:3], 0, v[44:45]
	flat_load_dword v27, v[28:29]
.LBB814_98:
	s_or_b64 exec, exec, s[0:1]
	v_mul_u32_u24_e32 v74, 23, v0
                                        ; implicit-def: $vgpr28
	s_and_saveexec_b64 s[0:1], s[50:51]
	s_cbranch_execz .LBB814_100
; %bb.99:
	v_mov_b32_e32 v47, 0
	v_lshl_add_u64 v[28:29], v[2:3], 0, v[46:47]
	flat_load_dword v28, v[28:29]
.LBB814_100:
	s_or_b64 exec, exec, s[0:1]
	s_waitcnt vmcnt(0) lgkmcnt(0)
	ds_write2st64_b32 v48, v50, v51 offset1:4
	ds_write2st64_b32 v48, v52, v49 offset0:8 offset1:12
	ds_write2st64_b32 v48, v7, v6 offset0:16 offset1:20
	;; [unrolled: 1-line block ×10, first 2 shown]
	ds_write_b32 v48, v28 offset:22528
	v_mov_b64_e32 v[12:13], 0
	v_cmp_gt_u32_e32 vcc, s60, v74
	s_mov_b64 s[10:11], 0
	s_mov_b64 s[0:1], 0
	v_mov_b64_e32 v[14:15], v[12:13]
	v_mov_b64_e32 v[16:17], v[12:13]
	;; [unrolled: 1-line block ×21, first 2 shown]
	s_waitcnt lgkmcnt(0)
	s_barrier
	s_waitcnt lgkmcnt(0)
                                        ; implicit-def: $sgpr8_sgpr9
                                        ; implicit-def: $vgpr6
	s_and_saveexec_b64 s[6:7], vcc
	s_cbranch_execz .LBB814_146
; %bb.101:
	ds_read_b32 v6, v76
	v_mov_b32_e32 v12, s74
	v_cmp_eq_u32_e32 vcc, 0, v75
	v_add_u32_e32 v7, 1, v74
	v_mov_b64_e32 v[14:15], 0
	s_waitcnt lgkmcnt(0)
	v_cndmask_b32_e32 v12, v12, v6, vcc
	v_cmp_ne_u32_e32 vcc, 0, v75
	s_mov_b64 s[12:13], 0
	v_mov_b64_e32 v[16:17], v[14:15]
	v_cndmask_b32_e64 v13, 0, 1, vcc
	v_cmp_gt_u32_e32 vcc, s60, v7
	v_mov_b64_e32 v[18:19], v[14:15]
	v_mov_b64_e32 v[20:21], v[14:15]
	;; [unrolled: 1-line block ×19, first 2 shown]
                                        ; implicit-def: $sgpr14_sgpr15
                                        ; implicit-def: $vgpr6
	s_and_saveexec_b64 s[8:9], vcc
	s_cbranch_execz .LBB814_145
; %bb.102:
	ds_read2_b32 v[6:7], v76 offset0:1 offset1:2
	v_mov_b32_e32 v14, s74
	v_cmp_eq_u32_e32 vcc, 0, v72
	v_add_u32_e32 v16, 2, v74
	s_mov_b64 s[14:15], 0
	s_waitcnt lgkmcnt(0)
	v_cndmask_b32_e32 v14, v14, v6, vcc
	v_cmp_ne_u32_e32 vcc, 0, v72
                                        ; implicit-def: $sgpr16_sgpr17
                                        ; implicit-def: $vgpr6
	s_nop 1
	v_cndmask_b32_e64 v15, 0, 1, vcc
	v_cmp_gt_u32_e32 vcc, s60, v16
	v_mov_b64_e32 v[16:17], 0
	v_mov_b64_e32 v[18:19], v[16:17]
	;; [unrolled: 1-line block ×20, first 2 shown]
	s_and_saveexec_b64 s[10:11], vcc
	s_cbranch_execz .LBB814_144
; %bb.103:
	v_mov_b32_e32 v16, s74
	v_cmp_eq_u32_e32 vcc, 0, v73
	v_add_u32_e32 v6, 3, v74
	v_mov_b64_e32 v[18:19], 0
	v_cndmask_b32_e32 v16, v16, v7, vcc
	v_cmp_ne_u32_e32 vcc, 0, v73
	s_mov_b64 s[16:17], 0
	v_mov_b64_e32 v[20:21], v[18:19]
	v_cndmask_b32_e64 v17, 0, 1, vcc
	v_cmp_gt_u32_e32 vcc, s60, v6
	v_mov_b64_e32 v[22:23], v[18:19]
	v_mov_b64_e32 v[24:25], v[18:19]
	;; [unrolled: 1-line block ×17, first 2 shown]
                                        ; implicit-def: $sgpr18_sgpr19
                                        ; implicit-def: $vgpr6
	s_and_saveexec_b64 s[12:13], vcc
	s_cbranch_execz .LBB814_143
; %bb.104:
	ds_read2_b32 v[6:7], v76 offset0:3 offset1:4
	v_mov_b32_e32 v18, s74
	v_cmp_eq_u32_e32 vcc, 0, v70
	v_add_u32_e32 v20, 4, v74
	s_mov_b64 s[18:19], 0
	s_waitcnt lgkmcnt(0)
	v_cndmask_b32_e32 v18, v18, v6, vcc
	v_cmp_ne_u32_e32 vcc, 0, v70
                                        ; implicit-def: $sgpr20_sgpr21
                                        ; implicit-def: $vgpr6
	s_nop 1
	v_cndmask_b32_e64 v19, 0, 1, vcc
	v_cmp_gt_u32_e32 vcc, s60, v20
	v_mov_b64_e32 v[20:21], 0
	v_mov_b64_e32 v[22:23], v[20:21]
	;; [unrolled: 1-line block ×18, first 2 shown]
	s_and_saveexec_b64 s[14:15], vcc
	s_cbranch_execz .LBB814_142
; %bb.105:
	v_mov_b32_e32 v20, s74
	v_cmp_eq_u32_e32 vcc, 0, v71
	v_add_u32_e32 v6, 5, v74
	v_mov_b64_e32 v[22:23], 0
	v_cndmask_b32_e32 v20, v20, v7, vcc
	v_cmp_ne_u32_e32 vcc, 0, v71
	s_mov_b64 s[20:21], 0
	v_mov_b64_e32 v[24:25], v[22:23]
	v_cndmask_b32_e64 v21, 0, 1, vcc
	v_cmp_gt_u32_e32 vcc, s60, v6
	v_mov_b64_e32 v[26:27], v[22:23]
	v_mov_b64_e32 v[28:29], v[22:23]
	v_mov_b64_e32 v[30:31], v[22:23]
	v_mov_b64_e32 v[32:33], v[22:23]
	v_mov_b64_e32 v[34:35], v[22:23]
	v_mov_b64_e32 v[36:37], v[22:23]
	v_mov_b64_e32 v[38:39], v[22:23]
	v_mov_b64_e32 v[40:41], v[22:23]
	v_mov_b64_e32 v[42:43], v[22:23]
	v_mov_b64_e32 v[44:45], v[22:23]
	v_mov_b64_e32 v[46:47], v[22:23]
	v_mov_b64_e32 v[48:49], v[22:23]
	v_mov_b64_e32 v[50:51], v[22:23]
	v_mov_b64_e32 v[52:53], v[22:23]
	v_mov_b64_e32 v[54:55], v[22:23]
                                        ; implicit-def: $sgpr22_sgpr23
                                        ; implicit-def: $vgpr6
	s_and_saveexec_b64 s[16:17], vcc
	s_cbranch_execz .LBB814_141
; %bb.106:
	ds_read2_b32 v[6:7], v76 offset0:5 offset1:6
	v_mov_b32_e32 v22, s74
	v_cmp_eq_u32_e32 vcc, 0, v68
	v_add_u32_e32 v24, 6, v74
	s_mov_b64 s[22:23], 0
	s_waitcnt lgkmcnt(0)
	v_cndmask_b32_e32 v22, v22, v6, vcc
	v_cmp_ne_u32_e32 vcc, 0, v68
                                        ; implicit-def: $sgpr24_sgpr25
                                        ; implicit-def: $vgpr6
	s_nop 1
	v_cndmask_b32_e64 v23, 0, 1, vcc
	v_cmp_gt_u32_e32 vcc, s60, v24
	v_mov_b64_e32 v[24:25], 0
	v_mov_b64_e32 v[26:27], v[24:25]
	;; [unrolled: 1-line block ×16, first 2 shown]
	s_and_saveexec_b64 s[18:19], vcc
	s_cbranch_execz .LBB814_140
; %bb.107:
	v_mov_b32_e32 v24, s74
	v_cmp_eq_u32_e32 vcc, 0, v69
	v_add_u32_e32 v6, 7, v74
	v_mov_b64_e32 v[26:27], 0
	v_cndmask_b32_e32 v24, v24, v7, vcc
	v_cmp_ne_u32_e32 vcc, 0, v69
	s_mov_b64 s[24:25], 0
	v_mov_b64_e32 v[28:29], v[26:27]
	v_cndmask_b32_e64 v25, 0, 1, vcc
	v_cmp_gt_u32_e32 vcc, s60, v6
	v_mov_b64_e32 v[30:31], v[26:27]
	v_mov_b64_e32 v[32:33], v[26:27]
	;; [unrolled: 1-line block ×13, first 2 shown]
                                        ; implicit-def: $sgpr26_sgpr27
                                        ; implicit-def: $vgpr6
	s_and_saveexec_b64 s[20:21], vcc
	s_cbranch_execz .LBB814_139
; %bb.108:
	ds_read2_b32 v[6:7], v76 offset0:7 offset1:8
	v_mov_b32_e32 v26, s74
	v_cmp_eq_u32_e32 vcc, 0, v66
	v_add_u32_e32 v28, 8, v74
	s_mov_b64 s[26:27], 0
	s_waitcnt lgkmcnt(0)
	v_cndmask_b32_e32 v26, v26, v6, vcc
	v_cmp_ne_u32_e32 vcc, 0, v66
                                        ; implicit-def: $sgpr28_sgpr29
                                        ; implicit-def: $vgpr6
	s_nop 1
	v_cndmask_b32_e64 v27, 0, 1, vcc
	v_cmp_gt_u32_e32 vcc, s60, v28
	v_mov_b64_e32 v[28:29], 0
	v_mov_b64_e32 v[30:31], v[28:29]
	v_mov_b64_e32 v[32:33], v[28:29]
	v_mov_b64_e32 v[34:35], v[28:29]
	v_mov_b64_e32 v[36:37], v[28:29]
	v_mov_b64_e32 v[38:39], v[28:29]
	v_mov_b64_e32 v[40:41], v[28:29]
	v_mov_b64_e32 v[42:43], v[28:29]
	v_mov_b64_e32 v[44:45], v[28:29]
	v_mov_b64_e32 v[46:47], v[28:29]
	v_mov_b64_e32 v[48:49], v[28:29]
	v_mov_b64_e32 v[50:51], v[28:29]
	v_mov_b64_e32 v[52:53], v[28:29]
	v_mov_b64_e32 v[54:55], v[28:29]
	s_and_saveexec_b64 s[22:23], vcc
	s_cbranch_execz .LBB814_138
; %bb.109:
	v_mov_b32_e32 v28, s74
	v_cmp_eq_u32_e32 vcc, 0, v67
	v_add_u32_e32 v6, 9, v74
	v_mov_b64_e32 v[30:31], 0
	v_cndmask_b32_e32 v28, v28, v7, vcc
	v_cmp_ne_u32_e32 vcc, 0, v67
	s_mov_b64 s[28:29], 0
	v_mov_b64_e32 v[32:33], v[30:31]
	v_cndmask_b32_e64 v29, 0, 1, vcc
	v_cmp_gt_u32_e32 vcc, s60, v6
	v_mov_b64_e32 v[34:35], v[30:31]
	v_mov_b64_e32 v[36:37], v[30:31]
	;; [unrolled: 1-line block ×11, first 2 shown]
                                        ; implicit-def: $sgpr30_sgpr31
                                        ; implicit-def: $vgpr6
	s_and_saveexec_b64 s[24:25], vcc
	s_cbranch_execz .LBB814_137
; %bb.110:
	ds_read2_b32 v[6:7], v76 offset0:9 offset1:10
	v_mov_b32_e32 v30, s74
	v_cmp_eq_u32_e32 vcc, 0, v64
	v_add_u32_e32 v32, 10, v74
	s_mov_b64 s[30:31], 0
	s_waitcnt lgkmcnt(0)
	v_cndmask_b32_e32 v30, v30, v6, vcc
	v_cmp_ne_u32_e32 vcc, 0, v64
                                        ; implicit-def: $sgpr34_sgpr35
                                        ; implicit-def: $vgpr6
	s_nop 1
	v_cndmask_b32_e64 v31, 0, 1, vcc
	v_cmp_gt_u32_e32 vcc, s60, v32
	v_mov_b64_e32 v[32:33], 0
	v_mov_b64_e32 v[34:35], v[32:33]
	;; [unrolled: 1-line block ×12, first 2 shown]
	s_and_saveexec_b64 s[26:27], vcc
	s_cbranch_execz .LBB814_136
; %bb.111:
	v_mov_b32_e32 v32, s74
	v_cmp_eq_u32_e32 vcc, 0, v65
	v_add_u32_e32 v6, 11, v74
	v_mov_b64_e32 v[34:35], 0
	v_cndmask_b32_e32 v32, v32, v7, vcc
	v_cmp_ne_u32_e32 vcc, 0, v65
	s_mov_b64 s[34:35], 0
	v_mov_b64_e32 v[36:37], v[34:35]
	v_cndmask_b32_e64 v33, 0, 1, vcc
	v_cmp_gt_u32_e32 vcc, s60, v6
	v_mov_b64_e32 v[38:39], v[34:35]
	v_mov_b64_e32 v[40:41], v[34:35]
	;; [unrolled: 1-line block ×9, first 2 shown]
                                        ; implicit-def: $sgpr36_sgpr37
                                        ; implicit-def: $vgpr6
	s_and_saveexec_b64 s[28:29], vcc
	s_cbranch_execz .LBB814_135
; %bb.112:
	ds_read2_b32 v[6:7], v76 offset0:11 offset1:12
	v_mov_b32_e32 v34, s74
	v_cmp_eq_u32_e32 vcc, 0, v62
	v_add_u32_e32 v36, 12, v74
	s_mov_b64 s[36:37], 0
	s_waitcnt lgkmcnt(0)
	v_cndmask_b32_e32 v34, v34, v6, vcc
	v_cmp_ne_u32_e32 vcc, 0, v62
                                        ; implicit-def: $sgpr38_sgpr39
                                        ; implicit-def: $vgpr6
	s_nop 1
	v_cndmask_b32_e64 v35, 0, 1, vcc
	v_cmp_gt_u32_e32 vcc, s60, v36
	v_mov_b64_e32 v[36:37], 0
	v_mov_b64_e32 v[38:39], v[36:37]
	;; [unrolled: 1-line block ×10, first 2 shown]
	s_and_saveexec_b64 s[30:31], vcc
	s_cbranch_execz .LBB814_134
; %bb.113:
	v_mov_b32_e32 v36, s74
	v_cmp_eq_u32_e32 vcc, 0, v63
	v_add_u32_e32 v6, 13, v74
	v_mov_b64_e32 v[38:39], 0
	v_cndmask_b32_e32 v36, v36, v7, vcc
	v_cmp_ne_u32_e32 vcc, 0, v63
	s_mov_b64 s[38:39], 0
	v_mov_b64_e32 v[40:41], v[38:39]
	v_cndmask_b32_e64 v37, 0, 1, vcc
	v_cmp_gt_u32_e32 vcc, s60, v6
	v_mov_b64_e32 v[42:43], v[38:39]
	v_mov_b64_e32 v[44:45], v[38:39]
	;; [unrolled: 1-line block ×7, first 2 shown]
                                        ; implicit-def: $sgpr40_sgpr41
                                        ; implicit-def: $vgpr6
	s_and_saveexec_b64 s[34:35], vcc
	s_cbranch_execz .LBB814_133
; %bb.114:
	ds_read2_b32 v[6:7], v76 offset0:13 offset1:14
	v_mov_b32_e32 v38, s74
	v_cmp_eq_u32_e32 vcc, 0, v60
	v_add_u32_e32 v40, 14, v74
	s_mov_b64 s[40:41], 0
	s_waitcnt lgkmcnt(0)
	v_cndmask_b32_e32 v38, v38, v6, vcc
	v_cmp_ne_u32_e32 vcc, 0, v60
                                        ; implicit-def: $sgpr42_sgpr43
                                        ; implicit-def: $vgpr6
	s_nop 1
	v_cndmask_b32_e64 v39, 0, 1, vcc
	v_cmp_gt_u32_e32 vcc, s60, v40
	v_mov_b64_e32 v[40:41], 0
	v_mov_b64_e32 v[42:43], v[40:41]
	;; [unrolled: 1-line block ×8, first 2 shown]
	s_and_saveexec_b64 s[36:37], vcc
	s_cbranch_execz .LBB814_132
; %bb.115:
	v_mov_b32_e32 v40, s74
	v_cmp_eq_u32_e32 vcc, 0, v61
	v_add_u32_e32 v6, 15, v74
	v_mov_b64_e32 v[42:43], 0
	v_cndmask_b32_e32 v40, v40, v7, vcc
	v_cmp_ne_u32_e32 vcc, 0, v61
	s_mov_b64 s[42:43], 0
	v_mov_b64_e32 v[44:45], v[42:43]
	v_cndmask_b32_e64 v41, 0, 1, vcc
	v_cmp_gt_u32_e32 vcc, s60, v6
	v_mov_b64_e32 v[46:47], v[42:43]
	v_mov_b64_e32 v[48:49], v[42:43]
	;; [unrolled: 1-line block ×5, first 2 shown]
                                        ; implicit-def: $sgpr44_sgpr45
                                        ; implicit-def: $vgpr6
	s_and_saveexec_b64 s[38:39], vcc
	s_cbranch_execz .LBB814_131
; %bb.116:
	ds_read2_b32 v[6:7], v76 offset0:15 offset1:16
	v_mov_b32_e32 v42, s74
	v_cmp_eq_u32_e32 vcc, 0, v58
	v_add_u32_e32 v44, 16, v74
	s_mov_b64 s[44:45], 0
	s_waitcnt lgkmcnt(0)
	v_cndmask_b32_e32 v42, v42, v6, vcc
	v_cmp_ne_u32_e32 vcc, 0, v58
                                        ; implicit-def: $sgpr46_sgpr47
                                        ; implicit-def: $vgpr6
	s_nop 1
	v_cndmask_b32_e64 v43, 0, 1, vcc
	v_cmp_gt_u32_e32 vcc, s60, v44
	v_mov_b64_e32 v[44:45], 0
	v_mov_b64_e32 v[46:47], v[44:45]
	;; [unrolled: 1-line block ×6, first 2 shown]
	s_and_saveexec_b64 s[40:41], vcc
	s_cbranch_execz .LBB814_130
; %bb.117:
	v_mov_b32_e32 v44, s74
	v_cmp_eq_u32_e32 vcc, 0, v59
	v_add_u32_e32 v6, 17, v74
	v_mov_b64_e32 v[46:47], 0
	v_cndmask_b32_e32 v44, v44, v7, vcc
	v_cmp_ne_u32_e32 vcc, 0, v59
	s_mov_b64 s[46:47], 0
	v_mov_b64_e32 v[48:49], v[46:47]
	v_cndmask_b32_e64 v45, 0, 1, vcc
	v_cmp_gt_u32_e32 vcc, s60, v6
	v_mov_b64_e32 v[50:51], v[46:47]
	v_mov_b64_e32 v[52:53], v[46:47]
	;; [unrolled: 1-line block ×3, first 2 shown]
                                        ; implicit-def: $sgpr48_sgpr49
                                        ; implicit-def: $vgpr6
	s_and_saveexec_b64 s[42:43], vcc
	s_cbranch_execz .LBB814_129
; %bb.118:
	ds_read2_b32 v[6:7], v76 offset0:17 offset1:18
	v_mov_b32_e32 v46, s74
	v_cmp_eq_u32_e32 vcc, 0, v56
	v_add_u32_e32 v48, 18, v74
	s_mov_b64 s[48:49], 0
	s_waitcnt lgkmcnt(0)
	v_cndmask_b32_e32 v46, v46, v6, vcc
	v_cmp_ne_u32_e32 vcc, 0, v56
                                        ; implicit-def: $sgpr50_sgpr51
                                        ; implicit-def: $vgpr6
	s_nop 1
	v_cndmask_b32_e64 v47, 0, 1, vcc
	v_cmp_gt_u32_e32 vcc, s60, v48
	v_mov_b64_e32 v[48:49], 0
	v_mov_b64_e32 v[50:51], v[48:49]
	;; [unrolled: 1-line block ×4, first 2 shown]
	s_and_saveexec_b64 s[44:45], vcc
	s_cbranch_execz .LBB814_128
; %bb.119:
	v_mov_b32_e32 v48, s74
	v_cmp_eq_u32_e32 vcc, 0, v57
	v_add_u32_e32 v6, 19, v74
	v_mov_b64_e32 v[50:51], 0
	v_cndmask_b32_e32 v48, v48, v7, vcc
	v_cmp_ne_u32_e32 vcc, 0, v57
	s_mov_b64 s[50:51], 0
	v_mov_b64_e32 v[52:53], v[50:51]
	v_cndmask_b32_e64 v49, 0, 1, vcc
	v_cmp_gt_u32_e32 vcc, s60, v6
	v_mov_b64_e32 v[54:55], v[50:51]
                                        ; implicit-def: $sgpr56_sgpr57
                                        ; implicit-def: $vgpr6
	s_and_saveexec_b64 s[46:47], vcc
	s_cbranch_execz .LBB814_127
; %bb.120:
	ds_read2_b32 v[6:7], v76 offset0:19 offset1:20
	v_mov_b32_e32 v50, s74
	v_cmp_eq_u32_e32 vcc, 0, v8
	v_add_u32_e32 v52, 20, v74
	s_mov_b64 s[56:57], 0
	s_waitcnt lgkmcnt(0)
	v_cndmask_b32_e32 v50, v50, v6, vcc
	v_cmp_ne_u32_e32 vcc, 0, v8
                                        ; implicit-def: $sgpr58_sgpr59
                                        ; implicit-def: $vgpr6
	s_nop 1
	v_cndmask_b32_e64 v51, 0, 1, vcc
	v_cmp_gt_u32_e32 vcc, s60, v52
	v_mov_b64_e32 v[52:53], 0
	v_mov_b64_e32 v[54:55], v[52:53]
	s_and_saveexec_b64 s[48:49], vcc
	s_cbranch_execz .LBB814_126
; %bb.121:
	v_mov_b32_e32 v8, s74
	v_cmp_eq_u32_e32 vcc, 0, v9
	v_add_u32_e32 v6, 21, v74
	v_mov_b64_e32 v[54:55], 0
	v_cndmask_b32_e32 v52, v8, v7, vcc
	v_cmp_ne_u32_e32 vcc, 0, v9
                                        ; implicit-def: $sgpr58_sgpr59
	s_nop 1
	v_cndmask_b32_e64 v53, 0, 1, vcc
	v_cmp_gt_u32_e32 vcc, s60, v6
                                        ; implicit-def: $vgpr6
	s_and_saveexec_b64 s[50:51], vcc
	s_cbranch_execz .LBB814_125
; %bb.122:
	ds_read2_b32 v[6:7], v76 offset0:21 offset1:22
	v_mov_b32_e32 v9, s74
	v_cmp_eq_u32_e32 vcc, 0, v77
	v_add_u32_e32 v8, 22, v74
                                        ; implicit-def: $sgpr58_sgpr59
	s_waitcnt lgkmcnt(0)
	v_cndmask_b32_e32 v54, v9, v6, vcc
	v_cmp_ne_u32_e32 vcc, 0, v77
                                        ; implicit-def: $vgpr6
	s_nop 1
	v_cndmask_b32_e64 v55, 0, 1, vcc
	v_cmp_gt_u32_e32 vcc, s60, v8
	s_and_saveexec_b64 s[60:61], vcc
	s_xor_b64 s[60:61], exec, s[60:61]
; %bb.123:
	v_mov_b32_e32 v6, s74
	v_cmp_ne_u32_e32 vcc, 0, v1
	s_mov_b64 s[56:57], exec
	s_and_b64 s[58:59], vcc, exec
	v_cndmask_b32_e32 v6, v7, v6, vcc
; %bb.124:
	s_or_b64 exec, exec, s[60:61]
	s_and_b64 s[58:59], s[58:59], exec
	s_and_b64 s[56:57], s[56:57], exec
.LBB814_125:
	s_or_b64 exec, exec, s[50:51]
	s_and_b64 s[58:59], s[58:59], exec
	s_and_b64 s[50:51], s[56:57], exec
.LBB814_126:
	s_or_b64 exec, exec, s[48:49]
	s_and_b64 s[56:57], s[58:59], exec
	s_and_b64 s[48:49], s[50:51], exec
.LBB814_127:
	s_or_b64 exec, exec, s[46:47]
	s_and_b64 s[50:51], s[56:57], exec
	s_and_b64 s[46:47], s[48:49], exec
.LBB814_128:
	s_or_b64 exec, exec, s[44:45]
	s_and_b64 s[48:49], s[50:51], exec
	s_and_b64 s[44:45], s[46:47], exec
.LBB814_129:
	s_or_b64 exec, exec, s[42:43]
	s_and_b64 s[46:47], s[48:49], exec
	s_and_b64 s[42:43], s[44:45], exec
.LBB814_130:
	s_or_b64 exec, exec, s[40:41]
	s_and_b64 s[44:45], s[46:47], exec
	s_and_b64 s[40:41], s[42:43], exec
.LBB814_131:
	s_or_b64 exec, exec, s[38:39]
	s_and_b64 s[42:43], s[44:45], exec
	s_and_b64 s[38:39], s[40:41], exec
.LBB814_132:
	s_or_b64 exec, exec, s[36:37]
	s_and_b64 s[40:41], s[42:43], exec
	s_and_b64 s[36:37], s[38:39], exec
.LBB814_133:
	s_or_b64 exec, exec, s[34:35]
	s_and_b64 s[38:39], s[40:41], exec
	s_and_b64 s[34:35], s[36:37], exec
.LBB814_134:
	s_or_b64 exec, exec, s[30:31]
	s_and_b64 s[36:37], s[38:39], exec
	s_and_b64 s[30:31], s[34:35], exec
.LBB814_135:
	s_or_b64 exec, exec, s[28:29]
	s_and_b64 s[34:35], s[36:37], exec
	s_and_b64 s[28:29], s[30:31], exec
.LBB814_136:
	s_or_b64 exec, exec, s[26:27]
	s_and_b64 s[30:31], s[34:35], exec
	s_and_b64 s[26:27], s[28:29], exec
.LBB814_137:
	s_or_b64 exec, exec, s[24:25]
	s_and_b64 s[28:29], s[30:31], exec
	s_and_b64 s[24:25], s[26:27], exec
.LBB814_138:
	s_or_b64 exec, exec, s[22:23]
	s_and_b64 s[26:27], s[28:29], exec
	s_and_b64 s[22:23], s[24:25], exec
.LBB814_139:
	s_or_b64 exec, exec, s[20:21]
	s_and_b64 s[24:25], s[26:27], exec
	s_and_b64 s[20:21], s[22:23], exec
.LBB814_140:
	s_or_b64 exec, exec, s[18:19]
	s_and_b64 s[22:23], s[24:25], exec
	s_and_b64 s[18:19], s[20:21], exec
.LBB814_141:
	s_or_b64 exec, exec, s[16:17]
	s_and_b64 s[20:21], s[22:23], exec
	s_and_b64 s[16:17], s[18:19], exec
.LBB814_142:
	s_or_b64 exec, exec, s[14:15]
	s_and_b64 s[18:19], s[20:21], exec
	s_and_b64 s[14:15], s[16:17], exec
.LBB814_143:
	s_or_b64 exec, exec, s[12:13]
	s_and_b64 s[16:17], s[18:19], exec
	s_and_b64 s[12:13], s[14:15], exec
.LBB814_144:
	s_or_b64 exec, exec, s[10:11]
	s_and_b64 s[14:15], s[16:17], exec
	s_and_b64 s[10:11], s[12:13], exec
.LBB814_145:
	s_or_b64 exec, exec, s[8:9]
	s_and_b64 s[8:9], s[14:15], exec
	s_and_b64 s[10:11], s[10:11], exec
.LBB814_146:
	s_or_b64 exec, exec, s[6:7]
	s_mov_b64 s[6:7], 0
	s_and_b64 vcc, exec, s[0:1]
	v_lshlrev_b32_e32 v56, 2, v0
	s_cbranch_vccz .LBB814_152
.LBB814_147:
	v_mov_b32_e32 v57, 0
	v_lshl_add_u64 v[6:7], v[4:5], 0, v[56:57]
	v_add_co_u32_e32 v8, vcc, 0x1000, v6
	s_movk_i32 s6, 0x58
	s_nop 0
	v_addc_co_u32_e32 v9, vcc, 0, v7, vcc
	flat_load_dword v1, v[6:7]
	flat_load_dword v14, v[6:7] offset:1024
	flat_load_dword v15, v[6:7] offset:2048
	flat_load_dword v16, v[6:7] offset:3072
	flat_load_dword v17, v[8:9]
	flat_load_dword v18, v[8:9] offset:1024
	flat_load_dword v19, v[8:9] offset:2048
	;; [unrolled: 1-line block ×3, first 2 shown]
	v_add_co_u32_e32 v8, vcc, 0x2000, v6
	s_movk_i32 s11, 0x1000
	s_nop 0
	v_addc_co_u32_e32 v9, vcc, 0, v7, vcc
	v_add_co_u32_e32 v12, vcc, 0x3000, v6
	s_mov_b32 s0, 0
	s_nop 0
	v_addc_co_u32_e32 v13, vcc, 0, v7, vcc
	flat_load_dword v21, v[8:9]
	flat_load_dword v22, v[8:9] offset:1024
	flat_load_dword v23, v[8:9] offset:2048
	flat_load_dword v24, v[8:9] offset:3072
	flat_load_dword v25, v[12:13]
	flat_load_dword v26, v[12:13] offset:1024
	flat_load_dword v27, v[12:13] offset:2048
	;; [unrolled: 1-line block ×3, first 2 shown]
	v_add_co_u32_e32 v8, vcc, 0x4000, v6
	s_movk_i32 s10, 0x2000
	s_nop 0
	v_addc_co_u32_e32 v9, vcc, 0, v7, vcc
	v_add_co_u32_e32 v6, vcc, 0x5000, v6
	s_movk_i32 s9, 0x3000
	s_nop 0
	v_addc_co_u32_e32 v7, vcc, 0, v7, vcc
	flat_load_dword v12, v[8:9]
	flat_load_dword v13, v[8:9] offset:1024
	flat_load_dword v29, v[8:9] offset:2048
	;; [unrolled: 1-line block ×3, first 2 shown]
	flat_load_dword v31, v[6:7]
	flat_load_dword v32, v[6:7] offset:1024
	flat_load_dword v33, v[6:7] offset:2048
	v_add_co_u32_e32 v4, vcc, 0x5000, v4
	s_movk_i32 s8, 0x4000
	s_nop 0
	v_addc_co_u32_e32 v5, vcc, 0, v5, vcc
	s_movk_i32 s1, 0x5000
	s_waitcnt vmcnt(0) lgkmcnt(0)
	ds_write2st64_b32 v56, v1, v14 offset1:4
	ds_write2st64_b32 v56, v15, v16 offset0:8 offset1:12
	ds_write2st64_b32 v56, v17, v18 offset0:16 offset1:20
	;; [unrolled: 1-line block ×10, first 2 shown]
	ds_write_b32 v56, v33 offset:22528
	s_waitcnt lgkmcnt(0)
	s_barrier
	flat_load_dword v1, v[4:5] offset:3072
	v_mad_u32_u24 v14, v0, s6, v56
	s_movk_i32 s6, 0xffa8
	v_mad_i32_i24 v15, v0, s6, v14
	s_movk_i32 s6, 0xff
	v_cmp_ne_u32_e32 vcc, s6, v0
	ds_read2_b32 v[12:13], v14 offset1:1
	ds_read2_b32 v[16:17], v14 offset0:2 offset1:3
	ds_read2_b32 v[20:21], v14 offset0:4 offset1:5
	ds_read2_b32 v[24:25], v14 offset0:6 offset1:7
	ds_read2_b32 v[28:29], v14 offset0:8 offset1:9
	ds_read2_b32 v[32:33], v14 offset0:10 offset1:11
	ds_read2_b32 v[36:37], v14 offset0:12 offset1:13
	ds_read2_b32 v[40:41], v14 offset0:14 offset1:15
	ds_read2_b32 v[8:9], v14 offset0:16 offset1:17
	ds_read2_b32 v[6:7], v14 offset0:18 offset1:19
	ds_read2_b32 v[4:5], v14 offset0:20 offset1:21
	ds_read_b32 v55, v14 offset:88
	s_waitcnt lgkmcnt(0)
	ds_write_b32 v15, v12 offset:24576
	s_waitcnt lgkmcnt(0)
	s_barrier
	s_and_saveexec_b64 s[6:7], vcc
	s_cbranch_execz .LBB814_149
; %bb.148:
	s_waitcnt vmcnt(0)
	ds_read_b32 v1, v56 offset:24580
.LBB814_149:
	s_or_b64 exec, exec, s[6:7]
	v_lshl_add_u64 v[2:3], v[2:3], 0, v[56:57]
	v_add_co_u32_e32 v18, vcc, s11, v2
	s_waitcnt lgkmcnt(0)
	s_nop 0
	v_addc_co_u32_e32 v19, vcc, 0, v3, vcc
	s_barrier
	flat_load_dword v12, v[2:3]
	flat_load_dword v15, v[2:3] offset:1024
	flat_load_dword v26, v[2:3] offset:2048
	;; [unrolled: 1-line block ×3, first 2 shown]
	flat_load_dword v30, v[18:19]
	flat_load_dword v31, v[18:19] offset:1024
	flat_load_dword v34, v[18:19] offset:2048
	;; [unrolled: 1-line block ×3, first 2 shown]
	v_add_co_u32_e32 v18, vcc, s10, v2
	s_nop 1
	v_addc_co_u32_e32 v19, vcc, 0, v3, vcc
	v_add_co_u32_e32 v22, vcc, s9, v2
	s_nop 1
	v_addc_co_u32_e32 v23, vcc, 0, v3, vcc
	flat_load_dword v38, v[18:19]
	flat_load_dword v39, v[18:19] offset:1024
	flat_load_dword v42, v[18:19] offset:2048
	;; [unrolled: 1-line block ×3, first 2 shown]
	flat_load_dword v44, v[22:23]
	flat_load_dword v45, v[22:23] offset:1024
	flat_load_dword v46, v[22:23] offset:2048
	;; [unrolled: 1-line block ×3, first 2 shown]
	v_add_co_u32_e32 v18, vcc, s8, v2
	s_nop 1
	v_addc_co_u32_e32 v19, vcc, 0, v3, vcc
	v_add_co_u32_e32 v2, vcc, s1, v2
	s_mov_b32 s1, 1
	s_nop 0
	v_addc_co_u32_e32 v3, vcc, 0, v3, vcc
	flat_load_dword v22, v[18:19]
	flat_load_dword v23, v[18:19] offset:1024
	flat_load_dword v48, v[18:19] offset:2048
	;; [unrolled: 1-line block ×3, first 2 shown]
	flat_load_dword v50, v[2:3]
	flat_load_dword v51, v[2:3] offset:1024
	flat_load_dword v52, v[2:3] offset:2048
	v_cmp_eq_u32_e32 vcc, 0, v13
	s_waitcnt vmcnt(0) lgkmcnt(0)
	ds_write2st64_b32 v56, v12, v15 offset1:4
	ds_write2st64_b32 v56, v26, v27 offset0:8 offset1:12
	ds_write2st64_b32 v56, v30, v31 offset0:16 offset1:20
	;; [unrolled: 1-line block ×10, first 2 shown]
	ds_write_b32 v56, v52 offset:22528
	s_waitcnt lgkmcnt(0)
	s_barrier
	ds_read2_b32 v[18:19], v14 offset0:1 offset1:2
	ds_read2_b32 v[22:23], v14 offset0:3 offset1:4
	;; [unrolled: 1-line block ×11, first 2 shown]
	v_mov_b64_e32 v[12:13], s[0:1]
	v_mov_b32_e32 v15, s74
	s_and_saveexec_b64 s[0:1], vcc
	s_cbranch_execz .LBB814_151
; %bb.150:
	ds_read_b32 v15, v14
	v_mov_b64_e32 v[12:13], 0
.LBB814_151:
	s_or_b64 exec, exec, s[0:1]
	v_mov_b32_e32 v57, s74
	v_cmp_eq_u32_e32 vcc, 0, v16
	s_waitcnt lgkmcnt(0)
	v_or_b32_e32 v12, v12, v15
	v_cmp_ne_u32_e64 s[8:9], 0, v1
	v_cndmask_b32_e32 v14, v57, v18, vcc
	v_cmp_ne_u32_e32 vcc, 0, v16
	s_mov_b64 s[10:11], -1
                                        ; implicit-def: $sgpr6_sgpr7
	s_nop 0
	v_cndmask_b32_e64 v15, 0, 1, vcc
	v_cmp_eq_u32_e32 vcc, 0, v17
	s_nop 1
	v_cndmask_b32_e32 v16, v57, v19, vcc
	v_cmp_ne_u32_e32 vcc, 0, v17
	s_nop 1
	v_cndmask_b32_e64 v17, 0, 1, vcc
	v_cmp_eq_u32_e32 vcc, 0, v20
	s_nop 1
	v_cndmask_b32_e32 v18, v57, v22, vcc
	v_cmp_ne_u32_e32 vcc, 0, v20
	;; [unrolled: 6-line block ×16, first 2 shown]
	v_cndmask_b32_e64 v6, v3, v57, s[8:9]
	s_nop 0
	v_cndmask_b32_e64 v47, 0, 1, vcc
	v_cmp_eq_u32_e32 vcc, 0, v7
	s_nop 1
	v_cndmask_b32_e32 v48, v57, v49, vcc
	v_cmp_ne_u32_e32 vcc, 0, v7
	s_nop 1
	v_cndmask_b32_e64 v49, 0, 1, vcc
	v_cmp_eq_u32_e32 vcc, 0, v4
	s_nop 1
	v_cndmask_b32_e32 v50, v57, v52, vcc
	v_cmp_ne_u32_e32 vcc, 0, v4
	;; [unrolled: 6-line block ×4, first 2 shown]
	s_nop 1
	v_cndmask_b32_e64 v55, 0, 1, vcc
.LBB814_152:
	v_mov_b64_e32 v[58:59], s[6:7]
	s_and_saveexec_b64 s[0:1], s[10:11]
; %bb.153:
	v_cndmask_b32_e64 v7, 0, 1, s[8:9]
	v_mov_b64_e32 v[58:59], v[6:7]
; %bb.154:
	s_or_b64 exec, exec, s[0:1]
	s_mov_b32 s0, 0
	s_cmp_lg_u32 s67, 0
	v_or_b32_e32 v57, v59, v55
	v_lshrrev_b32_e32 v1, 5, v0
	v_cmp_gt_u32_e32 vcc, 64, v0
	s_barrier
	s_cbranch_scc0 .LBB814_189
; %bb.155:
	s_mov_b32 s1, 1
	v_cmp_gt_u64_e64 s[6:7], s[0:1], v[14:15]
	v_cmp_gt_u64_e64 s[8:9], s[0:1], v[16:17]
	v_cmp_gt_u64_e64 s[10:11], s[0:1], v[18:19]
	v_cndmask_b32_e64 v2, 0, v12, s[6:7]
	v_add_u32_e32 v2, v2, v14
	v_cndmask_b32_e64 v2, 0, v2, s[8:9]
	v_add_u32_e32 v2, v2, v16
	v_cndmask_b32_e64 v2, 0, v2, s[10:11]
	v_add_u32_e32 v2, v2, v18
	v_cmp_gt_u64_e64 s[12:13], s[0:1], v[20:21]
	v_cmp_gt_u64_e64 s[14:15], s[0:1], v[22:23]
	v_cmp_gt_u64_e64 s[16:17], s[0:1], v[24:25]
	v_cndmask_b32_e64 v2, 0, v2, s[12:13]
	v_add_u32_e32 v2, v2, v20
	v_cndmask_b32_e64 v2, 0, v2, s[14:15]
	v_add_u32_e32 v2, v2, v22
	v_cndmask_b32_e64 v2, 0, v2, s[16:17]
	v_add_u32_e32 v2, v2, v24
	;; [unrolled: 9-line block ×7, first 2 shown]
	v_cmp_gt_u64_e64 s[0:1], s[0:1], v[58:59]
	s_nop 1
	v_cndmask_b32_e64 v2, 0, v2, s[0:1]
	v_add_u32_e32 v64, v2, v58
	v_or3_b32 v2, v57, v53, v51
	v_or3_b32 v2, v2, v49, v47
	;; [unrolled: 1-line block ×10, first 2 shown]
	v_and_b32_e32 v2, 1, v2
	v_cmp_eq_u32_e64 s[0:1], 1, v2
	v_add_lshl_u32 v2, v1, v0, 3
	s_nop 0
	v_cndmask_b32_e64 v65, v13, 1, s[0:1]
	ds_write_b32 v2, v64
	ds_write_b8 v2, v65 offset:4
	s_waitcnt lgkmcnt(0)
	s_barrier
	s_and_saveexec_b64 s[50:51], vcc
	s_cbranch_execz .LBB814_167
; %bb.156:
	v_lshrrev_b32_e32 v2, 3, v0
	v_add_lshl_u32 v4, v2, v56, 3
	ds_read2_b32 v[6:7], v4 offset0:2 offset1:4
	ds_read_b64 v[2:3], v4
	ds_read_u8 v8, v4 offset:12
	ds_read_u8 v9, v4 offset:20
	ds_read_b32 v60, v4 offset:24
	ds_read_u8 v61, v4 offset:28
	v_mov_b32_e32 v62, 0
	s_waitcnt lgkmcnt(3)
	v_cmp_eq_u16_sdwa s[0:1], v8, v62 src0_sel:BYTE_0 src1_sel:DWORD
	v_and_b32_e32 v5, 1, v3
	s_nop 0
	v_cndmask_b32_e64 v63, 0, v2, s[0:1]
	v_add_u32_e32 v6, v63, v6
	s_waitcnt lgkmcnt(2)
	v_cmp_eq_u16_sdwa s[0:1], v9, v62 src0_sel:BYTE_0 src1_sel:DWORD
	s_nop 1
	v_cndmask_b32_e64 v6, 0, v6, s[0:1]
	v_add_u32_e32 v6, v6, v7
	s_waitcnt lgkmcnt(0)
	v_cmp_eq_u16_e64 s[0:1], 0, v61
	s_nop 1
	v_cndmask_b32_e64 v6, 0, v6, s[0:1]
	v_add_u32_e32 v7, v6, v60
	v_or_b32_e32 v6, v61, v9
	v_or_b32_e32 v6, v6, v8
	v_and_b32_e32 v6, 1, v6
	v_cmp_eq_u32_e64 s[0:1], 1, v6
	v_mbcnt_lo_u32_b32 v8, -1, 0
	v_and_b32_e32 v6, 0xffffff00, v3
	v_cndmask_b32_e64 v9, v5, 1, s[0:1]
	v_mbcnt_hi_u32_b32 v8, -1, v8
	v_and_b32_e32 v61, 15, v8
	v_or_b32_sdwa v60, v6, v9 dst_sel:DWORD dst_unused:UNUSED_PAD src0_sel:DWORD src1_sel:WORD_0
	v_mov_b32_dpp v62, v7 row_shr:1 row_mask:0xf bank_mask:0xf
	v_cmp_ne_u32_e64 s[0:1], 0, v61
	v_mov_b32_dpp v63, v60 row_shr:1 row_mask:0xf bank_mask:0xf
	s_and_saveexec_b64 s[56:57], s[0:1]
; %bb.157:
	v_and_b32_e32 v60, 1, v9
	v_and_b32_e32 v63, 1, v63
	v_cmp_eq_u32_e64 s[0:1], 1, v60
	s_nop 1
	v_cndmask_b32_e64 v63, v63, 1, s[0:1]
	v_cmp_eq_u16_e64 s[0:1], 0, v9
	v_or_b32_sdwa v60, v6, v63 dst_sel:DWORD dst_unused:UNUSED_PAD src0_sel:DWORD src1_sel:WORD_0
	s_nop 0
	v_cndmask_b32_e64 v9, 0, v62, s[0:1]
	v_add_u32_e32 v7, v9, v7
	v_mov_b32_e32 v9, v63
; %bb.158:
	s_or_b64 exec, exec, s[56:57]
	v_mov_b32_dpp v62, v7 row_shr:2 row_mask:0xf bank_mask:0xf
	v_mov_b32_dpp v63, v60 row_shr:2 row_mask:0xf bank_mask:0xf
	v_cmp_lt_u32_e64 s[0:1], 1, v61
	s_and_saveexec_b64 s[56:57], s[0:1]
; %bb.159:
	v_and_b32_e32 v60, 1, v9
	v_and_b32_e32 v63, 1, v63
	v_cmp_eq_u32_e64 s[0:1], 1, v60
	s_nop 1
	v_cndmask_b32_e64 v63, v63, 1, s[0:1]
	v_cmp_eq_u16_e64 s[0:1], 0, v9
	v_or_b32_sdwa v60, v6, v63 dst_sel:DWORD dst_unused:UNUSED_PAD src0_sel:DWORD src1_sel:WORD_0
	s_nop 0
	v_cndmask_b32_e64 v9, 0, v62, s[0:1]
	v_add_u32_e32 v7, v9, v7
	v_mov_b32_e32 v9, v63
; %bb.160:
	s_or_b64 exec, exec, s[56:57]
	v_mov_b32_dpp v62, v7 row_shr:4 row_mask:0xf bank_mask:0xf
	v_mov_b32_dpp v63, v60 row_shr:4 row_mask:0xf bank_mask:0xf
	v_cmp_lt_u32_e64 s[0:1], 3, v61
	;; [unrolled: 18-line block ×3, first 2 shown]
	s_and_saveexec_b64 s[56:57], s[0:1]
; %bb.163:
	v_and_b32_e32 v60, 1, v9
	v_and_b32_e32 v61, 1, v63
	v_cmp_eq_u32_e64 s[0:1], 1, v60
	s_nop 1
	v_cndmask_b32_e64 v61, v61, 1, s[0:1]
	v_cmp_eq_u16_e64 s[0:1], 0, v9
	v_or_b32_sdwa v60, v6, v61 dst_sel:DWORD dst_unused:UNUSED_PAD src0_sel:DWORD src1_sel:WORD_0
	s_nop 0
	v_cndmask_b32_e64 v9, 0, v62, s[0:1]
	v_add_u32_e32 v7, v9, v7
	v_mov_b32_e32 v9, v61
; %bb.164:
	s_or_b64 exec, exec, s[56:57]
	v_and_b32_e32 v63, 16, v8
	v_mov_b32_dpp v61, v7 row_bcast:15 row_mask:0xf bank_mask:0xf
	v_mov_b32_dpp v62, v60 row_bcast:15 row_mask:0xf bank_mask:0xf
	v_cmp_ne_u32_e64 s[0:1], 0, v63
	s_and_saveexec_b64 s[56:57], s[0:1]
; %bb.165:
	v_and_b32_e32 v60, 1, v9
	v_and_b32_e32 v62, 1, v62
	v_cmp_eq_u32_e64 s[0:1], 1, v60
	s_nop 1
	v_cndmask_b32_e64 v62, v62, 1, s[0:1]
	v_cmp_eq_u16_e64 s[0:1], 0, v9
	v_or_b32_sdwa v60, v6, v62 dst_sel:DWORD dst_unused:UNUSED_PAD src0_sel:DWORD src1_sel:WORD_0
	s_nop 0
	v_cndmask_b32_e64 v9, 0, v61, s[0:1]
	v_add_u32_e32 v7, v9, v7
	v_mov_b32_e32 v9, v62
; %bb.166:
	s_or_b64 exec, exec, s[56:57]
	v_mov_b32_dpp v60, v60 row_bcast:31 row_mask:0xf bank_mask:0xf
	v_and_b32_e32 v62, 1, v9
	v_and_b32_e32 v60, 1, v60
	v_cmp_eq_u32_e64 s[0:1], 1, v62
	v_mov_b32_e32 v62, 0
	v_cmp_eq_u16_sdwa s[56:57], v9, v62 src0_sel:BYTE_0 src1_sel:DWORD
	v_cndmask_b32_e64 v60, v60, 1, s[0:1]
	v_cmp_lt_u32_e64 s[0:1], 31, v8
	v_mov_b32_dpp v61, v7 row_bcast:31 row_mask:0xf bank_mask:0xf
	s_movk_i32 s58, 0xff
	v_cndmask_b32_e64 v9, v9, v60, s[0:1]
	s_and_b64 s[0:1], s[0:1], s[56:57]
	v_cndmask_b32_e64 v60, 0, v61, s[0:1]
	v_add_u32_e32 v7, v60, v7
	v_add_u32_e32 v60, -1, v8
	v_and_b32_e32 v61, 64, v8
	v_cmp_lt_i32_e64 s[0:1], v60, v61
	v_and_or_b32 v6, v9, s58, v6
	s_nop 0
	v_cndmask_b32_e64 v8, v60, v8, s[0:1]
	v_lshlrev_b32_e32 v8, 2, v8
	ds_bpermute_b32 v7, v8, v7
	ds_bpermute_b32 v6, v8, v6
	v_cmp_eq_u16_sdwa s[0:1], v3, v62 src0_sel:BYTE_0 src1_sel:DWORD
	; wave barrier
	s_waitcnt lgkmcnt(1)
	s_nop 0
	v_cndmask_b32_e64 v3, 0, v7, s[0:1]
	v_add_u32_e32 v2, v3, v2
	s_waitcnt lgkmcnt(0)
	v_and_b32_e32 v3, 1, v6
	v_cmp_eq_u32_e64 s[0:1], 1, v5
	v_cndmask_b32_e64 v5, v2, v64, s[52:53]
	s_nop 0
	v_cndmask_b32_e64 v3, v3, 1, s[0:1]
	v_cndmask_b32_e64 v6, v3, v65, s[52:53]
	ds_write_b32 v4, v5
	ds_write_b8 v4, v6 offset:4
	; wave barrier
	ds_read_u8 v7, v4 offset:12
	ds_read2_b32 v[2:3], v4 offset0:2 offset1:4
	ds_read_u8 v8, v4 offset:20
	ds_read_b32 v9, v4 offset:24
	ds_read_u8 v60, v4 offset:28
	s_waitcnt lgkmcnt(4)
	v_cmp_eq_u16_e64 s[0:1], 0, v7
	s_nop 1
	v_cndmask_b32_e64 v5, 0, v5, s[0:1]
	s_waitcnt lgkmcnt(3)
	v_add_u32_e32 v2, v5, v2
	v_and_b32_e32 v5, 1, v7
	v_cmp_eq_u32_e64 s[0:1], 1, v5
	s_nop 1
	v_cndmask_b32_e64 v5, v6, 1, s[0:1]
	s_waitcnt lgkmcnt(2)
	v_cmp_eq_u16_e64 s[0:1], 0, v8
	ds_write_b8 v4, v5 offset:12
	s_nop 0
	v_cndmask_b32_e64 v6, 0, v2, s[0:1]
	v_add_u32_e32 v3, v6, v3
	v_and_b32_e32 v6, 1, v8
	v_cmp_eq_u32_e64 s[0:1], 1, v6
	s_nop 1
	v_cndmask_b32_e64 v5, v5, 1, s[0:1]
	s_waitcnt lgkmcnt(1)
	v_cmp_eq_u16_e64 s[0:1], 0, v60
	ds_write2_b32 v4, v2, v3 offset0:2 offset1:4
	ds_write_b8 v4, v5 offset:20
	v_cndmask_b32_e64 v2, 0, v3, s[0:1]
	v_and_b32_e32 v3, 1, v60
	v_add_u32_e32 v2, v2, v9
	v_cmp_eq_u32_e64 s[0:1], 1, v3
	s_nop 1
	v_cndmask_b32_e64 v3, v5, 1, s[0:1]
	ds_write_b32 v4, v2 offset:24
	ds_write_b8 v4, v3 offset:28
.LBB814_167:
	s_or_b64 exec, exec, s[50:51]
	s_waitcnt lgkmcnt(0)
	s_barrier
	s_and_saveexec_b64 s[0:1], s[4:5]
	s_cbranch_execz .LBB814_169
; %bb.168:
	v_add_u32_e32 v2, -1, v0
	v_lshrrev_b32_e32 v3, 5, v2
	v_add_lshl_u32 v2, v3, v2, 3
	ds_read_b32 v64, v2
	ds_read_u8 v65, v2 offset:4
.LBB814_169:
	s_or_b64 exec, exec, s[0:1]
	s_and_saveexec_b64 s[56:57], vcc
	s_cbranch_execz .LBB814_188
; %bb.170:
	v_mov_b32_e32 v5, 0
	ds_read_b64 v[2:3], v5 offset:2096
	v_mbcnt_lo_u32_b32 v4, -1, 0
	v_mbcnt_hi_u32_b32 v75, -1, v4
	s_mov_b32 s59, 0
	v_cmp_eq_u32_e64 s[50:51], 0, v75
	s_waitcnt lgkmcnt(0)
	v_readfirstlane_b32 s68, v3
	s_and_saveexec_b64 s[0:1], s[50:51]
	s_cbranch_execz .LBB814_172
; %bb.171:
	s_add_i32 s58, s67, 64
	s_lshl_b64 s[60:61], s[58:59], 4
	s_add_u32 s60, s64, s60
	s_addc_u32 s61, s65, s61
	s_and_b32 s77, s68, 0xff000000
	s_mov_b32 s76, s59
	s_and_b32 s79, s68, 0xff0000
	s_mov_b32 s78, s59
	s_or_b64 s[76:77], s[78:79], s[76:77]
	s_and_b32 s79, s68, 0xff00
	s_or_b64 s[76:77], s[76:77], s[78:79]
	s_and_b32 s79, s68, 0xff
	s_or_b64 s[58:59], s[76:77], s[78:79]
	v_mov_b32_e32 v3, s59
	v_mov_b32_e32 v4, 1
	v_mov_b64_e32 v[6:7], s[60:61]
	;;#ASMSTART
	global_store_dwordx4 v[6:7], v[2:5] off sc1	
s_waitcnt vmcnt(0)
	;;#ASMEND
.LBB814_172:
	s_or_b64 exec, exec, s[0:1]
	v_xad_u32 v60, v75, -1, s67
	v_add_u32_e32 v4, 64, v60
	v_lshl_add_u64 v[62:63], v[4:5], 4, s[64:65]
	;;#ASMSTART
	global_load_dwordx4 v[6:9], v[62:63] off sc1	
s_waitcnt vmcnt(0)
	;;#ASMEND
	s_nop 0
	v_and_b32_e32 v3, 0xff0000, v6
	v_and_b32_e32 v4, 0xff000000, v6
	;; [unrolled: 1-line block ×3, first 2 shown]
	v_or_b32_sdwa v3, v6, v3 dst_sel:DWORD dst_unused:UNUSED_PAD src0_sel:WORD_0 src1_sel:DWORD
	v_or3_b32 v7, 0, 0, v7
	v_or3_b32 v6, v3, v4, 0
	v_cmp_eq_u16_sdwa s[58:59], v8, v5 src0_sel:BYTE_0 src1_sel:DWORD
	s_and_saveexec_b64 s[0:1], s[58:59]
	s_cbranch_execz .LBB814_176
; %bb.173:
	s_mov_b64 s[58:59], 0
	v_mov_b32_e32 v3, 0
.LBB814_174:                            ; =>This Inner Loop Header: Depth=1
	;;#ASMSTART
	global_load_dwordx4 v[6:9], v[62:63] off sc1	
s_waitcnt vmcnt(0)
	;;#ASMEND
	s_nop 0
	v_cmp_ne_u16_sdwa s[60:61], v8, v3 src0_sel:BYTE_0 src1_sel:DWORD
	s_or_b64 s[58:59], s[60:61], s[58:59]
	s_andn2_b64 exec, exec, s[58:59]
	s_cbranch_execnz .LBB814_174
; %bb.175:
	s_or_b64 exec, exec, s[58:59]
	v_and_b32_e32 v7, 0xff, v7
.LBB814_176:
	s_or_b64 exec, exec, s[0:1]
	v_mov_b32_e32 v3, 2
	v_cmp_eq_u16_sdwa s[0:1], v8, v3 src0_sel:BYTE_0 src1_sel:DWORD
	v_lshlrev_b64 v[4:5], v75, -1
	v_and_b32_e32 v66, 63, v75
	v_and_b32_e32 v9, s1, v5
	v_or_b32_e32 v9, 0x80000000, v9
	v_and_b32_e32 v61, s0, v4
	v_ffbl_b32_e32 v9, v9
	v_add_u32_e32 v9, 32, v9
	v_ffbl_b32_e32 v61, v61
	v_cmp_ne_u32_e32 vcc, 63, v66
	v_min_u32_e32 v9, v61, v9
	s_mov_b32 s58, 0
	v_addc_co_u32_e32 v61, vcc, 0, v75, vcc
	v_lshlrev_b32_e32 v67, 2, v61
	ds_bpermute_b32 v61, v67, v7
	ds_bpermute_b32 v62, v67, v6
	v_and_b32_e32 v63, 1, v7
	s_mov_b32 s59, 1
	v_cmp_eq_u32_e32 vcc, 1, v63
	s_waitcnt lgkmcnt(1)
	v_and_b32_e32 v61, 1, v61
	v_cmp_lt_u32_e64 s[0:1], v66, v9
	v_cndmask_b32_e64 v61, v61, 1, vcc
	v_cmp_gt_u64_e32 vcc, s[58:59], v[6:7]
	s_and_b64 vcc, s[0:1], vcc
	v_and_b32_e32 v63, 0xffff, v61
	v_cndmask_b32_e64 v70, v7, v61, s[0:1]
	s_waitcnt lgkmcnt(0)
	v_cndmask_b32_e32 v61, 0, v62, vcc
	v_cmp_gt_u32_e32 vcc, 62, v66
	v_cndmask_b32_e64 v7, v7, v63, s[0:1]
	v_add_u32_e32 v6, v61, v6
	v_cndmask_b32_e64 v62, 0, 1, vcc
	v_lshlrev_b32_e32 v62, 1, v62
	v_add_lshl_u32 v68, v62, v75, 2
	ds_bpermute_b32 v62, v68, v7
	ds_bpermute_b32 v63, v68, v6
	v_and_b32_e32 v61, 1, v70
	v_cmp_eq_u32_e32 vcc, 1, v61
	v_mov_b32_e32 v61, 0
	s_waitcnt lgkmcnt(1)
	v_and_b32_e32 v62, 1, v62
	v_add_u32_e32 v69, 2, v66
	v_cndmask_b32_e64 v62, v62, 1, vcc
	v_cmp_eq_u16_sdwa vcc, v70, v61 src0_sel:BYTE_0 src1_sel:DWORD
	v_and_b32_e32 v71, 0xffff, v62
	v_add_u32_e32 v79, 32, v66
	s_waitcnt lgkmcnt(0)
	v_cndmask_b32_e32 v63, 0, v63, vcc
	v_cmp_gt_u32_e32 vcc, v69, v9
	s_nop 1
	v_cndmask_b32_e32 v62, v62, v70, vcc
	v_cndmask_b32_e64 v63, v63, 0, vcc
	v_cndmask_b32_e32 v7, v71, v7, vcc
	v_cmp_gt_u32_e32 vcc, 60, v66
	v_add_u32_e32 v6, v63, v6
	v_and_b32_e32 v73, 1, v62
	v_cndmask_b32_e64 v70, 0, 1, vcc
	v_lshlrev_b32_e32 v70, 2, v70
	v_add_lshl_u32 v70, v70, v75, 2
	ds_bpermute_b32 v72, v70, v7
	ds_bpermute_b32 v63, v70, v6
	v_cmp_eq_u32_e32 vcc, 1, v73
	v_add_u32_e32 v71, 4, v66
	s_waitcnt lgkmcnt(1)
	v_and_b32_e32 v72, 1, v72
	v_cndmask_b32_e64 v72, v72, 1, vcc
	v_cmp_eq_u16_sdwa vcc, v62, v61 src0_sel:BYTE_0 src1_sel:DWORD
	v_and_b32_e32 v73, 0xffff, v72
	s_waitcnt lgkmcnt(0)
	v_cndmask_b32_e32 v63, 0, v63, vcc
	v_cmp_gt_u32_e32 vcc, v71, v9
	s_nop 1
	v_cndmask_b32_e32 v62, v72, v62, vcc
	v_cndmask_b32_e64 v63, v63, 0, vcc
	v_cndmask_b32_e32 v7, v73, v7, vcc
	v_cmp_gt_u32_e32 vcc, 56, v66
	v_add_u32_e32 v6, v63, v6
	v_and_b32_e32 v76, 1, v62
	v_cndmask_b32_e64 v72, 0, 1, vcc
	v_lshlrev_b32_e32 v72, 3, v72
	v_add_lshl_u32 v72, v72, v75, 2
	ds_bpermute_b32 v74, v72, v7
	ds_bpermute_b32 v63, v72, v6
	v_cmp_eq_u32_e32 vcc, 1, v76
	v_add_u32_e32 v73, 8, v66
	s_waitcnt lgkmcnt(1)
	v_and_b32_e32 v74, 1, v74
	v_cndmask_b32_e64 v74, v74, 1, vcc
	v_cmp_eq_u16_sdwa vcc, v62, v61 src0_sel:BYTE_0 src1_sel:DWORD
	v_and_b32_e32 v76, 0xffff, v74
	;; [unrolled: 22-line block ×3, first 2 shown]
	s_waitcnt lgkmcnt(0)
	v_cndmask_b32_e32 v63, 0, v63, vcc
	v_cmp_gt_u32_e32 vcc, v76, v9
	s_nop 1
	v_cndmask_b32_e32 v62, v77, v62, vcc
	v_cndmask_b32_e64 v63, v63, 0, vcc
	v_cndmask_b32_e32 v7, v78, v7, vcc
	v_cmp_gt_u32_e32 vcc, 32, v66
	v_add_u32_e32 v6, v63, v6
	s_nop 0
	v_cndmask_b32_e64 v77, 0, 1, vcc
	v_lshlrev_b32_e32 v77, 5, v77
	v_add_lshl_u32 v78, v77, v75, 2
	ds_bpermute_b32 v7, v78, v7
	ds_bpermute_b32 v63, v78, v6
	v_and_b32_e32 v75, 1, v62
	v_cmp_eq_u32_e32 vcc, 1, v75
	s_waitcnt lgkmcnt(1)
	v_and_b32_e32 v7, 1, v7
	v_cndmask_b32_e64 v7, v7, 1, vcc
	v_cmp_eq_u16_sdwa vcc, v62, v61 src0_sel:BYTE_0 src1_sel:DWORD
	s_waitcnt lgkmcnt(0)
	s_nop 0
	v_cndmask_b32_e32 v63, 0, v63, vcc
	v_cmp_gt_u32_e32 vcc, v79, v9
	s_nop 1
	v_cndmask_b32_e64 v9, v63, 0, vcc
	v_cndmask_b32_e32 v7, v7, v62, vcc
	v_add_u32_e32 v6, v9, v6
	s_branch .LBB814_178
.LBB814_177:                            ;   in Loop: Header=BB814_178 Depth=1
	s_or_b64 exec, exec, s[0:1]
	v_cmp_eq_u16_sdwa s[0:1], v8, v3 src0_sel:BYTE_0 src1_sel:DWORD
	ds_bpermute_b32 v63, v67, v7
	v_and_b32_e32 v80, 1, v7
	v_and_b32_e32 v9, s1, v5
	v_or_b32_e32 v9, 0x80000000, v9
	v_and_b32_e32 v62, s0, v4
	v_ffbl_b32_e32 v9, v9
	v_add_u32_e32 v9, 32, v9
	v_ffbl_b32_e32 v62, v62
	v_min_u32_e32 v9, v62, v9
	ds_bpermute_b32 v62, v67, v6
	s_waitcnt lgkmcnt(1)
	v_and_b32_e32 v63, 1, v63
	v_cmp_eq_u32_e32 vcc, 1, v80
	v_cmp_lt_u32_e64 s[0:1], v66, v9
	v_subrev_u32_e32 v60, 64, v60
	v_cndmask_b32_e64 v63, v63, 1, vcc
	v_cmp_gt_u64_e32 vcc, s[58:59], v[6:7]
	v_and_b32_e32 v80, 0xffff, v63
	v_cndmask_b32_e64 v63, v7, v63, s[0:1]
	v_cndmask_b32_e64 v7, v7, v80, s[0:1]
	s_and_b64 vcc, s[0:1], vcc
	ds_bpermute_b32 v80, v68, v7
	s_waitcnt lgkmcnt(1)
	v_cndmask_b32_e32 v62, 0, v62, vcc
	v_add_u32_e32 v6, v62, v6
	ds_bpermute_b32 v62, v68, v6
	v_and_b32_e32 v81, 1, v63
	s_waitcnt lgkmcnt(1)
	v_and_b32_e32 v80, 1, v80
	v_cmp_eq_u32_e32 vcc, 1, v81
	s_nop 1
	v_cndmask_b32_e64 v80, v80, 1, vcc
	v_cmp_eq_u16_sdwa vcc, v63, v61 src0_sel:BYTE_0 src1_sel:DWORD
	v_and_b32_e32 v81, 0xffff, v80
	s_waitcnt lgkmcnt(0)
	v_cndmask_b32_e32 v62, 0, v62, vcc
	v_cmp_gt_u32_e32 vcc, v69, v9
	s_nop 1
	v_cndmask_b32_e32 v7, v81, v7, vcc
	v_cndmask_b32_e32 v63, v80, v63, vcc
	ds_bpermute_b32 v80, v70, v7
	v_cndmask_b32_e64 v62, v62, 0, vcc
	v_add_u32_e32 v6, v62, v6
	ds_bpermute_b32 v62, v70, v6
	v_and_b32_e32 v81, 1, v63
	s_waitcnt lgkmcnt(1)
	v_and_b32_e32 v80, 1, v80
	v_cmp_eq_u32_e32 vcc, 1, v81
	s_nop 1
	v_cndmask_b32_e64 v80, v80, 1, vcc
	v_cmp_eq_u16_sdwa vcc, v63, v61 src0_sel:BYTE_0 src1_sel:DWORD
	v_and_b32_e32 v81, 0xffff, v80
	s_waitcnt lgkmcnt(0)
	v_cndmask_b32_e32 v62, 0, v62, vcc
	v_cmp_gt_u32_e32 vcc, v71, v9
	s_nop 1
	v_cndmask_b32_e32 v7, v81, v7, vcc
	v_cndmask_b32_e32 v63, v80, v63, vcc
	ds_bpermute_b32 v80, v72, v7
	v_cndmask_b32_e64 v62, v62, 0, vcc
	v_add_u32_e32 v6, v62, v6
	ds_bpermute_b32 v62, v72, v6
	v_and_b32_e32 v81, 1, v63
	s_waitcnt lgkmcnt(1)
	v_and_b32_e32 v80, 1, v80
	v_cmp_eq_u32_e32 vcc, 1, v81
	s_nop 1
	v_cndmask_b32_e64 v80, v80, 1, vcc
	v_cmp_eq_u16_sdwa vcc, v63, v61 src0_sel:BYTE_0 src1_sel:DWORD
	v_and_b32_e32 v81, 0xffff, v80
	s_waitcnt lgkmcnt(0)
	v_cndmask_b32_e32 v62, 0, v62, vcc
	v_cmp_gt_u32_e32 vcc, v73, v9
	s_nop 1
	v_cndmask_b32_e32 v7, v81, v7, vcc
	v_cndmask_b32_e32 v63, v80, v63, vcc
	ds_bpermute_b32 v80, v74, v7
	v_cndmask_b32_e64 v62, v62, 0, vcc
	v_add_u32_e32 v6, v62, v6
	ds_bpermute_b32 v62, v74, v6
	v_and_b32_e32 v81, 1, v63
	s_waitcnt lgkmcnt(1)
	v_and_b32_e32 v80, 1, v80
	v_cmp_eq_u32_e32 vcc, 1, v81
	s_nop 1
	v_cndmask_b32_e64 v80, v80, 1, vcc
	v_cmp_eq_u16_sdwa vcc, v63, v61 src0_sel:BYTE_0 src1_sel:DWORD
	v_and_b32_e32 v81, 0xffff, v80
	s_waitcnt lgkmcnt(0)
	v_cndmask_b32_e32 v62, 0, v62, vcc
	v_cmp_gt_u32_e32 vcc, v76, v9
	s_nop 1
	v_cndmask_b32_e64 v62, v62, 0, vcc
	v_cndmask_b32_e32 v7, v81, v7, vcc
	ds_bpermute_b32 v7, v78, v7
	v_add_u32_e32 v6, v62, v6
	ds_bpermute_b32 v62, v78, v6
	v_cndmask_b32_e32 v63, v80, v63, vcc
	v_and_b32_e32 v80, 1, v63
	v_cmp_eq_u32_e32 vcc, 1, v80
	s_waitcnt lgkmcnt(1)
	s_nop 0
	v_cndmask_b32_e64 v7, v7, 1, vcc
	v_cmp_eq_u16_sdwa vcc, v63, v61 src0_sel:BYTE_0 src1_sel:DWORD
	s_waitcnt lgkmcnt(0)
	s_nop 0
	v_cndmask_b32_e32 v62, 0, v62, vcc
	v_cmp_gt_u32_e32 vcc, v79, v9
	s_nop 1
	v_cndmask_b32_e64 v9, v62, 0, vcc
	v_cndmask_b32_e32 v7, v7, v63, vcc
	v_add_u32_e32 v6, v9, v6
	v_cmp_eq_u16_sdwa vcc, v75, v61 src0_sel:BYTE_0 src1_sel:DWORD
	v_and_b32_e32 v9, 1, v75
	v_and_b32_e32 v7, 1, v7
	v_cndmask_b32_e32 v6, 0, v6, vcc
	v_cmp_eq_u32_e32 vcc, 1, v9
	v_add_u32_e32 v6, v6, v77
	s_nop 0
	v_cndmask_b32_e64 v7, v7, 1, vcc
.LBB814_178:                            ; =>This Loop Header: Depth=1
                                        ;     Child Loop BB814_181 Depth 2
	v_cmp_ne_u16_sdwa s[0:1], v8, v3 src0_sel:BYTE_0 src1_sel:DWORD
	v_mov_b32_e32 v75, v7
	v_mov_b32_e32 v77, v6
	v_cndmask_b32_e64 v7, 0, 1, s[0:1]
	;;#ASMSTART
	;;#ASMEND
	s_nop 0
	v_cmp_ne_u32_e32 vcc, 0, v7
	s_cmp_lg_u64 vcc, exec
	s_cbranch_scc1 .LBB814_183
; %bb.179:                              ;   in Loop: Header=BB814_178 Depth=1
	v_lshl_add_u64 v[62:63], v[60:61], 4, s[64:65]
	;;#ASMSTART
	global_load_dwordx4 v[6:9], v[62:63] off sc1	
s_waitcnt vmcnt(0)
	;;#ASMEND
	s_nop 0
	v_and_b32_e32 v9, 0xff0000, v6
	v_and_b32_e32 v80, 0xff000000, v6
	;; [unrolled: 1-line block ×3, first 2 shown]
	v_or_b32_sdwa v6, v6, v9 dst_sel:DWORD dst_unused:UNUSED_PAD src0_sel:WORD_0 src1_sel:DWORD
	v_or3_b32 v7, 0, 0, v7
	v_or3_b32 v6, v6, v80, 0
	v_cmp_eq_u16_sdwa s[60:61], v8, v61 src0_sel:BYTE_0 src1_sel:DWORD
	s_and_saveexec_b64 s[0:1], s[60:61]
	s_cbranch_execz .LBB814_177
; %bb.180:                              ;   in Loop: Header=BB814_178 Depth=1
	s_mov_b64 s[60:61], 0
.LBB814_181:                            ;   Parent Loop BB814_178 Depth=1
                                        ; =>  This Inner Loop Header: Depth=2
	;;#ASMSTART
	global_load_dwordx4 v[6:9], v[62:63] off sc1	
s_waitcnt vmcnt(0)
	;;#ASMEND
	s_nop 0
	v_cmp_ne_u16_sdwa s[76:77], v8, v61 src0_sel:BYTE_0 src1_sel:DWORD
	s_or_b64 s[60:61], s[76:77], s[60:61]
	s_andn2_b64 exec, exec, s[60:61]
	s_cbranch_execnz .LBB814_181
; %bb.182:                              ;   in Loop: Header=BB814_178 Depth=1
	s_or_b64 exec, exec, s[60:61]
	v_and_b32_e32 v7, 0xff, v7
	s_branch .LBB814_177
.LBB814_183:                            ;   in Loop: Header=BB814_178 Depth=1
                                        ; implicit-def: $vgpr7
                                        ; implicit-def: $vgpr6
                                        ; implicit-def: $vgpr8
	s_cbranch_execz .LBB814_178
; %bb.184:
	s_and_saveexec_b64 s[0:1], s[50:51]
	s_cbranch_execz .LBB814_186
; %bb.185:
	s_and_b32 s50, s68, 0xff
	s_cmp_eq_u32 s50, 0
	s_cselect_b64 vcc, -1, 0
	s_bitcmp1_b32 s68, 0
	s_mov_b32 s51, 0
	s_cselect_b64 s[58:59], -1, 0
	s_add_i32 s50, s67, 64
	s_lshl_b64 s[50:51], s[50:51], 4
	v_cndmask_b32_e32 v3, 0, v77, vcc
	s_add_u32 s50, s64, s50
	v_add_u32_e32 v2, v3, v2
	v_and_b32_e32 v3, 1, v75
	s_addc_u32 s51, s65, s51
	v_mov_b32_e32 v5, 0
	v_cndmask_b32_e64 v3, v3, 1, s[58:59]
	v_mov_b32_e32 v4, 2
	v_mov_b64_e32 v[6:7], s[50:51]
	;;#ASMSTART
	global_store_dwordx4 v[6:7], v[2:5] off sc1	
s_waitcnt vmcnt(0)
	;;#ASMEND
.LBB814_186:
	s_or_b64 exec, exec, s[0:1]
	s_and_b64 exec, exec, s[52:53]
	s_cbranch_execz .LBB814_188
; %bb.187:
	v_mov_b32_e32 v2, 0
	ds_write_b32 v2, v77
	ds_write_b8 v2, v75 offset:4
.LBB814_188:
	s_or_b64 exec, exec, s[56:57]
	v_mov_b32_e32 v2, 0
	s_waitcnt lgkmcnt(0)
	s_barrier
	ds_read_b32 v3, v2
	v_cmp_eq_u16_sdwa vcc, v65, v2 src0_sel:BYTE_0 src1_sel:DWORD
	s_waitcnt lgkmcnt(0)
	s_nop 0
	v_cndmask_b32_e32 v4, 0, v3, vcc
	v_add_u32_e32 v4, v4, v64
	v_cndmask_b32_e64 v60, v4, v3, s[52:53]
	v_and_b32_e32 v3, 0xff, v13
	v_cmp_eq_u64_e32 vcc, 0, v[2:3]
	s_nop 1
	v_cndmask_b32_e32 v2, 0, v60, vcc
	v_add_u32_e32 v61, v2, v12
	v_cndmask_b32_e64 v2, 0, v61, s[6:7]
	v_add_u32_e32 v62, v2, v14
	v_cndmask_b32_e64 v2, 0, v62, s[8:9]
	;; [unrolled: 2-line block ×21, first 2 shown]
	v_add_u32_e32 v82, v2, v54
	s_branch .LBB814_209
.LBB814_189:
                                        ; implicit-def: $vgpr81
                                        ; implicit-def: $vgpr80
                                        ; implicit-def: $vgpr79
                                        ; implicit-def: $vgpr78
                                        ; implicit-def: $vgpr77
                                        ; implicit-def: $vgpr76
                                        ; implicit-def: $vgpr75
                                        ; implicit-def: $vgpr74
                                        ; implicit-def: $vgpr73
                                        ; implicit-def: $vgpr72
                                        ; implicit-def: $vgpr71
                                        ; implicit-def: $vgpr70
                                        ; implicit-def: $vgpr69
                                        ; implicit-def: $vgpr68
                                        ; implicit-def: $vgpr67
                                        ; implicit-def: $vgpr66
                                        ; implicit-def: $vgpr65
                                        ; implicit-def: $vgpr64
                                        ; implicit-def: $vgpr63
                                        ; implicit-def: $vgpr62
                                        ; implicit-def: $vgpr61
                                        ; implicit-def: $vgpr60
                                        ; implicit-def: $vgpr82
	s_cbranch_execz .LBB814_209
; %bb.190:
	s_cmp_lg_u64 s[72:73], 0
	s_cselect_b32 s7, s71, 0
	s_cselect_b32 s6, s70, 0
	s_mov_b32 s0, 0
	s_cmp_eq_u64 s[6:7], 0
	v_mov_b32_e32 v4, s74
	s_cbranch_scc1 .LBB814_192
; %bb.191:
	v_mov_b32_e32 v2, 0
	global_load_dword v4, v2, s[6:7]
.LBB814_192:
	s_mov_b32 s1, 1
	v_cmp_gt_u64_e32 vcc, s[0:1], v[14:15]
	v_cmp_gt_u64_e64 s[6:7], s[0:1], v[16:17]
	v_cmp_gt_u64_e64 s[8:9], s[0:1], v[18:19]
	v_cndmask_b32_e32 v2, 0, v12, vcc
	v_add_u32_e32 v2, v2, v14
	v_cndmask_b32_e64 v2, 0, v2, s[6:7]
	v_add_u32_e32 v2, v2, v16
	v_cndmask_b32_e64 v2, 0, v2, s[8:9]
	v_add_u32_e32 v2, v2, v18
	v_cmp_gt_u64_e64 s[10:11], s[0:1], v[20:21]
	v_cmp_gt_u64_e64 s[12:13], s[0:1], v[22:23]
	v_cmp_gt_u64_e64 s[14:15], s[0:1], v[24:25]
	v_cndmask_b32_e64 v2, 0, v2, s[10:11]
	v_add_u32_e32 v2, v2, v20
	v_cndmask_b32_e64 v2, 0, v2, s[12:13]
	v_add_u32_e32 v2, v2, v22
	v_cndmask_b32_e64 v2, 0, v2, s[14:15]
	v_add_u32_e32 v2, v2, v24
	v_cmp_gt_u64_e64 s[16:17], s[0:1], v[26:27]
	v_cmp_gt_u64_e64 s[18:19], s[0:1], v[28:29]
	v_cmp_gt_u64_e64 s[20:21], s[0:1], v[30:31]
	v_cndmask_b32_e64 v2, 0, v2, s[16:17]
	;; [unrolled: 9-line block ×6, first 2 shown]
	v_add_u32_e32 v2, v2, v50
	v_cndmask_b32_e64 v2, 0, v2, s[44:45]
	v_add_u32_e32 v2, v2, v52
	v_cndmask_b32_e64 v2, 0, v2, s[46:47]
	v_add_u32_e32 v2, v2, v54
	v_cmp_gt_u64_e64 s[0:1], s[0:1], v[58:59]
	v_add_lshl_u32 v1, v1, v0, 3
	s_nop 0
	v_cndmask_b32_e64 v2, 0, v2, s[0:1]
	v_add_u32_e32 v5, v2, v58
	v_or3_b32 v2, v57, v53, v51
	v_or3_b32 v2, v2, v49, v47
	;; [unrolled: 1-line block ×10, first 2 shown]
	v_and_b32_e32 v2, 1, v2
	v_cmp_eq_u32_e64 s[0:1], 1, v2
	s_nop 1
	v_cndmask_b32_e64 v6, v13, 1, s[0:1]
	v_cmp_gt_u32_e64 s[0:1], 64, v0
	ds_write_b32 v1, v5
	ds_write_b8 v1, v6 offset:4
	s_waitcnt lgkmcnt(0)
	s_barrier
	s_and_saveexec_b64 s[48:49], s[0:1]
	s_cbranch_execz .LBB814_204
; %bb.193:
	v_lshrrev_b32_e32 v1, 3, v0
	v_add_lshl_u32 v1, v1, v56, 3
	ds_read2_b32 v[8:9], v1 offset0:2 offset1:4
	ds_read_b64 v[2:3], v1
	ds_read_u8 v15, v1 offset:12
	ds_read_u8 v17, v1 offset:20
	ds_read_b32 v19, v1 offset:24
	ds_read_u8 v21, v1 offset:28
	v_mov_b32_e32 v23, 0
	s_waitcnt lgkmcnt(3)
	v_cmp_eq_u16_sdwa s[0:1], v15, v23 src0_sel:BYTE_0 src1_sel:DWORD
	v_and_b32_e32 v7, 1, v3
	s_nop 0
	v_cndmask_b32_e64 v25, 0, v2, s[0:1]
	v_add_u32_e32 v8, v25, v8
	s_waitcnt lgkmcnt(2)
	v_cmp_eq_u16_sdwa s[0:1], v17, v23 src0_sel:BYTE_0 src1_sel:DWORD
	s_nop 1
	v_cndmask_b32_e64 v8, 0, v8, s[0:1]
	v_add_u32_e32 v8, v8, v9
	s_waitcnt lgkmcnt(0)
	v_cmp_eq_u16_e64 s[0:1], 0, v21
	s_nop 1
	v_cndmask_b32_e64 v8, 0, v8, s[0:1]
	v_add_u32_e32 v9, v8, v19
	v_or_b32_e32 v8, v21, v17
	v_or_b32_e32 v8, v8, v15
	v_and_b32_e32 v8, 1, v8
	v_cmp_eq_u32_e64 s[0:1], 1, v8
	v_mbcnt_lo_u32_b32 v15, -1, 0
	v_and_b32_e32 v8, 0xffffff00, v3
	v_cndmask_b32_e64 v17, v7, 1, s[0:1]
	v_mbcnt_hi_u32_b32 v15, -1, v15
	v_and_b32_e32 v21, 15, v15
	v_or_b32_sdwa v19, v8, v17 dst_sel:DWORD dst_unused:UNUSED_PAD src0_sel:DWORD src1_sel:WORD_0
	v_mov_b32_dpp v23, v9 row_shr:1 row_mask:0xf bank_mask:0xf
	v_cmp_ne_u32_e64 s[0:1], 0, v21
	v_mov_b32_dpp v25, v19 row_shr:1 row_mask:0xf bank_mask:0xf
	s_and_saveexec_b64 s[50:51], s[0:1]
; %bb.194:
	v_and_b32_e32 v19, 1, v17
	v_and_b32_e32 v25, 1, v25
	v_cmp_eq_u32_e64 s[0:1], 1, v19
	s_nop 1
	v_cndmask_b32_e64 v25, v25, 1, s[0:1]
	v_cmp_eq_u16_e64 s[0:1], 0, v17
	v_or_b32_sdwa v19, v8, v25 dst_sel:DWORD dst_unused:UNUSED_PAD src0_sel:DWORD src1_sel:WORD_0
	s_nop 0
	v_cndmask_b32_e64 v17, 0, v23, s[0:1]
	v_add_u32_e32 v9, v17, v9
	v_mov_b32_e32 v17, v25
; %bb.195:
	s_or_b64 exec, exec, s[50:51]
	v_mov_b32_dpp v23, v9 row_shr:2 row_mask:0xf bank_mask:0xf
	v_mov_b32_dpp v25, v19 row_shr:2 row_mask:0xf bank_mask:0xf
	v_cmp_lt_u32_e64 s[0:1], 1, v21
	s_and_saveexec_b64 s[50:51], s[0:1]
; %bb.196:
	v_and_b32_e32 v19, 1, v17
	v_and_b32_e32 v25, 1, v25
	v_cmp_eq_u32_e64 s[0:1], 1, v19
	s_nop 1
	v_cndmask_b32_e64 v25, v25, 1, s[0:1]
	v_cmp_eq_u16_e64 s[0:1], 0, v17
	v_or_b32_sdwa v19, v8, v25 dst_sel:DWORD dst_unused:UNUSED_PAD src0_sel:DWORD src1_sel:WORD_0
	s_nop 0
	v_cndmask_b32_e64 v17, 0, v23, s[0:1]
	v_add_u32_e32 v9, v17, v9
	v_mov_b32_e32 v17, v25
; %bb.197:
	s_or_b64 exec, exec, s[50:51]
	v_mov_b32_dpp v23, v9 row_shr:4 row_mask:0xf bank_mask:0xf
	v_mov_b32_dpp v25, v19 row_shr:4 row_mask:0xf bank_mask:0xf
	v_cmp_lt_u32_e64 s[0:1], 3, v21
	s_and_saveexec_b64 s[50:51], s[0:1]
; %bb.198:
	v_and_b32_e32 v19, 1, v17
	v_and_b32_e32 v25, 1, v25
	v_cmp_eq_u32_e64 s[0:1], 1, v19
	s_nop 1
	v_cndmask_b32_e64 v25, v25, 1, s[0:1]
	v_cmp_eq_u16_e64 s[0:1], 0, v17
	v_or_b32_sdwa v19, v8, v25 dst_sel:DWORD dst_unused:UNUSED_PAD src0_sel:DWORD src1_sel:WORD_0
	s_nop 0
	v_cndmask_b32_e64 v17, 0, v23, s[0:1]
	v_add_u32_e32 v9, v17, v9
	v_mov_b32_e32 v17, v25
; %bb.199:
	s_or_b64 exec, exec, s[50:51]
	v_mov_b32_dpp v23, v9 row_shr:8 row_mask:0xf bank_mask:0xf
	v_mov_b32_dpp v25, v19 row_shr:8 row_mask:0xf bank_mask:0xf
	v_cmp_lt_u32_e64 s[0:1], 7, v21
	s_and_saveexec_b64 s[50:51], s[0:1]
; %bb.200:
	v_and_b32_e32 v19, 1, v17
	v_and_b32_e32 v21, 1, v25
	v_cmp_eq_u32_e64 s[0:1], 1, v19
	s_nop 1
	v_cndmask_b32_e64 v21, v21, 1, s[0:1]
	v_cmp_eq_u16_e64 s[0:1], 0, v17
	v_or_b32_sdwa v19, v8, v21 dst_sel:DWORD dst_unused:UNUSED_PAD src0_sel:DWORD src1_sel:WORD_0
	s_nop 0
	v_cndmask_b32_e64 v17, 0, v23, s[0:1]
	v_add_u32_e32 v9, v17, v9
	v_mov_b32_e32 v17, v21
; %bb.201:
	s_or_b64 exec, exec, s[50:51]
	v_and_b32_e32 v25, 16, v15
	v_mov_b32_dpp v21, v9 row_bcast:15 row_mask:0xf bank_mask:0xf
	v_mov_b32_dpp v23, v19 row_bcast:15 row_mask:0xf bank_mask:0xf
	v_cmp_ne_u32_e64 s[0:1], 0, v25
	s_and_saveexec_b64 s[50:51], s[0:1]
; %bb.202:
	v_and_b32_e32 v19, 1, v17
	v_and_b32_e32 v23, 1, v23
	v_cmp_eq_u32_e64 s[0:1], 1, v19
	s_nop 1
	v_cndmask_b32_e64 v23, v23, 1, s[0:1]
	v_cmp_eq_u16_e64 s[0:1], 0, v17
	v_or_b32_sdwa v19, v8, v23 dst_sel:DWORD dst_unused:UNUSED_PAD src0_sel:DWORD src1_sel:WORD_0
	s_nop 0
	v_cndmask_b32_e64 v17, 0, v21, s[0:1]
	v_add_u32_e32 v9, v17, v9
	v_mov_b32_e32 v17, v23
; %bb.203:
	s_or_b64 exec, exec, s[50:51]
	v_mov_b32_dpp v19, v19 row_bcast:31 row_mask:0xf bank_mask:0xf
	v_and_b32_e32 v23, 1, v17
	v_and_b32_e32 v19, 1, v19
	v_cmp_eq_u32_e64 s[0:1], 1, v23
	v_mov_b32_e32 v23, 0
	v_cmp_eq_u16_sdwa s[50:51], v17, v23 src0_sel:BYTE_0 src1_sel:DWORD
	v_cndmask_b32_e64 v19, v19, 1, s[0:1]
	v_cmp_lt_u32_e64 s[0:1], 31, v15
	v_mov_b32_dpp v21, v9 row_bcast:31 row_mask:0xf bank_mask:0xf
	s_movk_i32 s56, 0xff
	v_cndmask_b32_e64 v17, v17, v19, s[0:1]
	s_and_b64 s[0:1], s[0:1], s[50:51]
	v_cndmask_b32_e64 v19, 0, v21, s[0:1]
	v_add_u32_e32 v9, v19, v9
	v_add_u32_e32 v19, -1, v15
	v_and_b32_e32 v21, 64, v15
	v_cmp_lt_i32_e64 s[0:1], v19, v21
	v_and_or_b32 v8, v17, s56, v8
	s_nop 0
	v_cndmask_b32_e64 v15, v19, v15, s[0:1]
	v_lshlrev_b32_e32 v15, 2, v15
	ds_bpermute_b32 v9, v15, v9
	ds_bpermute_b32 v8, v15, v8
	v_cmp_eq_u16_sdwa s[0:1], v3, v23 src0_sel:BYTE_0 src1_sel:DWORD
	; wave barrier
	s_waitcnt lgkmcnt(1)
	s_nop 0
	v_cndmask_b32_e64 v3, 0, v9, s[0:1]
	v_add_u32_e32 v2, v3, v2
	s_waitcnt lgkmcnt(0)
	v_and_b32_e32 v3, 1, v8
	v_cmp_eq_u32_e64 s[0:1], 1, v7
	v_cndmask_b32_e64 v5, v2, v5, s[52:53]
	s_nop 0
	v_cndmask_b32_e64 v3, v3, 1, s[0:1]
	v_cndmask_b32_e64 v6, v3, v6, s[52:53]
	ds_write_b32 v1, v5
	ds_write_b8 v1, v6 offset:4
	; wave barrier
	ds_read_u8 v7, v1 offset:12
	ds_read2_b32 v[2:3], v1 offset0:2 offset1:4
	ds_read_u8 v8, v1 offset:20
	ds_read_b32 v9, v1 offset:24
	ds_read_u8 v15, v1 offset:28
	s_waitcnt lgkmcnt(4)
	v_cmp_eq_u16_e64 s[0:1], 0, v7
	s_nop 1
	v_cndmask_b32_e64 v5, 0, v5, s[0:1]
	s_waitcnt lgkmcnt(3)
	v_add_u32_e32 v2, v5, v2
	v_and_b32_e32 v5, 1, v7
	v_cmp_eq_u32_e64 s[0:1], 1, v5
	s_nop 1
	v_cndmask_b32_e64 v5, v6, 1, s[0:1]
	s_waitcnt lgkmcnt(2)
	v_cmp_eq_u16_e64 s[0:1], 0, v8
	ds_write_b8 v1, v5 offset:12
	s_nop 0
	v_cndmask_b32_e64 v6, 0, v2, s[0:1]
	v_add_u32_e32 v3, v6, v3
	v_and_b32_e32 v6, 1, v8
	v_cmp_eq_u32_e64 s[0:1], 1, v6
	s_nop 1
	v_cndmask_b32_e64 v5, v5, 1, s[0:1]
	s_waitcnt lgkmcnt(1)
	v_cmp_eq_u16_e64 s[0:1], 0, v15
	ds_write2_b32 v1, v2, v3 offset0:2 offset1:4
	ds_write_b8 v1, v5 offset:20
	v_cndmask_b32_e64 v2, 0, v3, s[0:1]
	v_and_b32_e32 v3, 1, v15
	v_add_u32_e32 v2, v2, v9
	v_cmp_eq_u32_e64 s[0:1], 1, v3
	s_nop 1
	v_cndmask_b32_e64 v3, v5, 1, s[0:1]
	ds_write_b32 v1, v2 offset:24
	ds_write_b8 v1, v3 offset:28
.LBB814_204:
	s_or_b64 exec, exec, s[48:49]
	s_waitcnt vmcnt(0)
	v_mov_b32_e32 v60, v4
	s_waitcnt lgkmcnt(0)
	s_barrier
	s_and_saveexec_b64 s[48:49], s[4:5]
	s_cbranch_execz .LBB814_206
; %bb.205:
	v_add_u32_e32 v1, -1, v0
	v_lshrrev_b32_e32 v2, 5, v1
	v_add_lshl_u32 v1, v2, v1, 3
	ds_read_u8 v2, v1 offset:4
	ds_read_b32 v1, v1
	s_waitcnt lgkmcnt(1)
	v_cmp_eq_u16_e64 s[0:1], 0, v2
	s_nop 1
	v_cndmask_b32_e64 v2, 0, v4, s[0:1]
	s_waitcnt lgkmcnt(0)
	v_add_u32_e32 v60, v2, v1
.LBB814_206:
	s_or_b64 exec, exec, s[48:49]
	v_and_b32_e32 v3, 0xff, v13
	v_mov_b32_e32 v2, 0
	v_cmp_eq_u64_e64 s[0:1], 0, v[2:3]
	s_nop 1
	v_cndmask_b32_e64 v1, 0, v60, s[0:1]
	v_add_u32_e32 v61, v1, v12
	v_cndmask_b32_e32 v1, 0, v61, vcc
	v_add_u32_e32 v62, v1, v14
	v_cndmask_b32_e64 v1, 0, v62, s[6:7]
	v_add_u32_e32 v63, v1, v16
	v_cndmask_b32_e64 v1, 0, v63, s[8:9]
	;; [unrolled: 2-line block ×20, first 2 shown]
	s_and_saveexec_b64 s[0:1], s[52:53]
	s_cbranch_execz .LBB814_208
; %bb.207:
	ds_read_u8 v3, v2 offset:2100
	ds_read_b32 v5, v2 offset:2096
	s_add_u32 s4, s64, 0x400
	s_addc_u32 s5, s65, 0
	v_mov_b32_e32 v6, 2
	s_waitcnt lgkmcnt(1)
	v_cmp_eq_u16_e32 vcc, 0, v3
	v_mov_b32_e32 v7, v2
	s_nop 0
	v_cndmask_b32_e32 v4, 0, v4, vcc
	s_waitcnt lgkmcnt(0)
	v_add_u32_e32 v4, v4, v5
	v_and_b32_e32 v5, 0xffff, v3
	v_mov_b64_e32 v[2:3], s[4:5]
	;;#ASMSTART
	global_store_dwordx4 v[2:3], v[4:7] off sc1	
s_waitcnt vmcnt(0)
	;;#ASMEND
.LBB814_208:
	s_or_b64 exec, exec, s[0:1]
	v_add_u32_e32 v82, v1, v54
.LBB814_209:
	s_add_u32 s0, s62, s54
	s_addc_u32 s1, s63, s55
	v_lshl_add_u64 v[2:3], s[0:1], 0, v[10:11]
	s_and_b64 vcc, exec, s[2:3]
	s_cbranch_vccz .LBB814_255
; %bb.210:
	s_movk_i32 s0, 0x5c
	v_mul_i32_i24_e32 v28, 0xffffffa8, v0
	v_mul_u32_u24_e32 v1, 0x5c, v0
	v_mad_u32_u24 v4, v0, s0, v28
	s_barrier
	ds_write2_b32 v1, v60, v61 offset1:1
	ds_write2_b32 v1, v62, v63 offset0:2 offset1:3
	ds_write2_b32 v1, v64, v65 offset0:4 offset1:5
	;; [unrolled: 1-line block ×10, first 2 shown]
	ds_write_b32 v1, v82 offset:88
	s_waitcnt lgkmcnt(0)
	s_barrier
	ds_read2st64_b32 v[26:27], v4 offset0:4 offset1:8
	ds_read2st64_b32 v[24:25], v4 offset0:12 offset1:16
	;; [unrolled: 1-line block ×11, first 2 shown]
	s_add_i32 s33, s33, s66
	v_mov_b32_e32 v57, 0
	v_lshl_add_u64 v[6:7], v[2:3], 0, v[56:57]
	v_cmp_gt_u32_e32 vcc, s33, v0
	s_and_saveexec_b64 s[0:1], vcc
	s_cbranch_execz .LBB814_212
; %bb.211:
	v_add_u32_e32 v1, v1, v28
	ds_read_b32 v1, v1
	s_waitcnt lgkmcnt(0)
	flat_store_dword v[6:7], v1
.LBB814_212:
	s_or_b64 exec, exec, s[0:1]
	v_or_b32_e32 v1, 0x100, v0
	v_cmp_gt_u32_e32 vcc, s33, v1
	s_and_saveexec_b64 s[0:1], vcc
	s_cbranch_execz .LBB814_214
; %bb.213:
	s_waitcnt lgkmcnt(0)
	flat_store_dword v[6:7], v26 offset:1024
.LBB814_214:
	s_or_b64 exec, exec, s[0:1]
	v_or_b32_e32 v1, 0x200, v0
	v_cmp_gt_u32_e32 vcc, s33, v1
	s_and_saveexec_b64 s[0:1], vcc
	s_cbranch_execz .LBB814_216
; %bb.215:
	s_waitcnt lgkmcnt(0)
	flat_store_dword v[6:7], v27 offset:2048
.LBB814_216:
	;; [unrolled: 9-line block ×3, first 2 shown]
	s_or_b64 exec, exec, s[0:1]
	v_or_b32_e32 v1, 0x400, v0
	v_cmp_gt_u32_e32 vcc, s33, v1
	s_and_saveexec_b64 s[0:1], vcc
	s_cbranch_execz .LBB814_220
; %bb.219:
	s_waitcnt lgkmcnt(0)
	v_add_co_u32_e32 v26, vcc, 0x1000, v6
	s_nop 1
	v_addc_co_u32_e32 v27, vcc, 0, v7, vcc
	flat_store_dword v[26:27], v25
.LBB814_220:
	s_or_b64 exec, exec, s[0:1]
	v_or_b32_e32 v1, 0x500, v0
	v_cmp_gt_u32_e32 vcc, s33, v1
	s_and_saveexec_b64 s[0:1], vcc
	s_cbranch_execz .LBB814_222
; %bb.221:
	s_waitcnt lgkmcnt(0)
	v_add_co_u32_e32 v24, vcc, 0x1000, v6
	s_nop 1
	v_addc_co_u32_e32 v25, vcc, 0, v7, vcc
	flat_store_dword v[24:25], v22 offset:1024
.LBB814_222:
	s_or_b64 exec, exec, s[0:1]
	v_or_b32_e32 v1, 0x600, v0
	v_cmp_gt_u32_e32 vcc, s33, v1
	s_and_saveexec_b64 s[0:1], vcc
	s_cbranch_execz .LBB814_224
; %bb.223:
	s_waitcnt lgkmcnt(0)
	v_add_co_u32_e32 v24, vcc, 0x1000, v6
	s_nop 1
	v_addc_co_u32_e32 v25, vcc, 0, v7, vcc
	flat_store_dword v[24:25], v23 offset:2048
.LBB814_224:
	s_or_b64 exec, exec, s[0:1]
	v_or_b32_e32 v1, 0x700, v0
	v_cmp_gt_u32_e32 vcc, s33, v1
	s_and_saveexec_b64 s[0:1], vcc
	s_cbranch_execz .LBB814_226
; %bb.225:
	s_waitcnt lgkmcnt(0)
	v_add_co_u32_e32 v22, vcc, 0x1000, v6
	s_nop 1
	v_addc_co_u32_e32 v23, vcc, 0, v7, vcc
	flat_store_dword v[22:23], v20 offset:3072
.LBB814_226:
	s_or_b64 exec, exec, s[0:1]
	v_or_b32_e32 v1, 0x800, v0
	v_cmp_gt_u32_e32 vcc, s33, v1
	s_and_saveexec_b64 s[0:1], vcc
	s_cbranch_execz .LBB814_228
; %bb.227:
	s_waitcnt lgkmcnt(0)
	v_add_co_u32_e32 v22, vcc, 0x2000, v6
	s_nop 1
	v_addc_co_u32_e32 v23, vcc, 0, v7, vcc
	flat_store_dword v[22:23], v21
.LBB814_228:
	s_or_b64 exec, exec, s[0:1]
	v_or_b32_e32 v1, 0x900, v0
	v_cmp_gt_u32_e32 vcc, s33, v1
	s_and_saveexec_b64 s[0:1], vcc
	s_cbranch_execz .LBB814_230
; %bb.229:
	s_waitcnt lgkmcnt(0)
	v_add_co_u32_e32 v20, vcc, 0x2000, v6
	s_nop 1
	v_addc_co_u32_e32 v21, vcc, 0, v7, vcc
	flat_store_dword v[20:21], v18 offset:1024
.LBB814_230:
	s_or_b64 exec, exec, s[0:1]
	v_or_b32_e32 v1, 0xa00, v0
	v_cmp_gt_u32_e32 vcc, s33, v1
	s_and_saveexec_b64 s[0:1], vcc
	s_cbranch_execz .LBB814_232
; %bb.231:
	s_waitcnt lgkmcnt(0)
	v_add_co_u32_e32 v20, vcc, 0x2000, v6
	s_nop 1
	v_addc_co_u32_e32 v21, vcc, 0, v7, vcc
	flat_store_dword v[20:21], v19 offset:2048
.LBB814_232:
	s_or_b64 exec, exec, s[0:1]
	v_or_b32_e32 v1, 0xb00, v0
	v_cmp_gt_u32_e32 vcc, s33, v1
	s_and_saveexec_b64 s[0:1], vcc
	s_cbranch_execz .LBB814_234
; %bb.233:
	s_waitcnt lgkmcnt(0)
	v_add_co_u32_e32 v18, vcc, 0x2000, v6
	s_nop 1
	v_addc_co_u32_e32 v19, vcc, 0, v7, vcc
	flat_store_dword v[18:19], v16 offset:3072
.LBB814_234:
	;; [unrolled: 48-line block ×4, first 2 shown]
	s_or_b64 exec, exec, s[0:1]
	v_or_b32_e32 v1, 0x1400, v0
	v_cmp_gt_u32_e32 vcc, s33, v1
	s_and_saveexec_b64 s[0:1], vcc
	s_cbranch_execz .LBB814_252
; %bb.251:
	s_waitcnt lgkmcnt(0)
	v_add_co_u32_e32 v10, vcc, 0x5000, v6
	s_nop 1
	v_addc_co_u32_e32 v11, vcc, 0, v7, vcc
	flat_store_dword v[10:11], v9
.LBB814_252:
	s_or_b64 exec, exec, s[0:1]
	v_or_b32_e32 v1, 0x1500, v0
	v_cmp_gt_u32_e32 vcc, s33, v1
	s_and_saveexec_b64 s[0:1], vcc
	s_cbranch_execz .LBB814_254
; %bb.253:
	v_add_co_u32_e32 v6, vcc, 0x5000, v6
	s_nop 1
	v_addc_co_u32_e32 v7, vcc, 0, v7, vcc
	s_waitcnt lgkmcnt(0)
	flat_store_dword v[6:7], v4 offset:1024
.LBB814_254:
	s_or_b64 exec, exec, s[0:1]
	s_waitcnt lgkmcnt(0)
	v_or_b32_e32 v4, 0x1600, v0
	v_mov_b32_e32 v1, v57
	v_cmp_gt_u32_e64 s[0:1], s33, v4
	s_branch .LBB814_257
.LBB814_255:
	s_mov_b64 s[0:1], 0
                                        ; implicit-def: $vgpr5
	s_cbranch_execz .LBB814_257
; %bb.256:
	v_mul_u32_u24_e32 v1, 0x5c, v0
	s_barrier
	s_movk_i32 s2, 0x5c
	ds_write2_b32 v1, v60, v61 offset1:1
	ds_write2_b32 v1, v62, v63 offset0:2 offset1:3
	ds_write2_b32 v1, v64, v65 offset0:4 offset1:5
	;; [unrolled: 1-line block ×10, first 2 shown]
	ds_write_b32 v1, v82 offset:88
	v_mov_b32_e32 v1, 0
	v_mul_i32_i24_e32 v4, 0xffffffa8, v0
	v_mad_u32_u24 v4, v0, s2, v4
	v_mov_b32_e32 v57, v1
	s_waitcnt lgkmcnt(0)
	s_barrier
	ds_read2st64_b32 v[6:7], v4 offset1:4
	ds_read2st64_b32 v[8:9], v4 offset0:8 offset1:12
	ds_read2st64_b32 v[10:11], v4 offset0:16 offset1:20
	;; [unrolled: 1-line block ×10, first 2 shown]
	ds_read_b32 v5, v4 offset:22528
	v_lshl_add_u64 v[28:29], v[2:3], 0, v[56:57]
	s_movk_i32 s2, 0x1000
	s_waitcnt lgkmcnt(0)
	flat_store_dword v[28:29], v6
	flat_store_dword v[28:29], v7 offset:1024
	flat_store_dword v[28:29], v8 offset:2048
	flat_store_dword v[28:29], v9 offset:3072
	v_add_co_u32_e32 v6, vcc, s2, v28
	s_movk_i32 s2, 0x2000
	s_nop 0
	v_addc_co_u32_e32 v7, vcc, 0, v29, vcc
	flat_store_dword v[6:7], v10
	flat_store_dword v[6:7], v11 offset:1024
	flat_store_dword v[6:7], v12 offset:2048
	;; [unrolled: 1-line block ×3, first 2 shown]
	v_add_co_u32_e32 v6, vcc, s2, v28
	s_movk_i32 s2, 0x3000
	s_nop 0
	v_addc_co_u32_e32 v7, vcc, 0, v29, vcc
	flat_store_dword v[6:7], v14
	flat_store_dword v[6:7], v15 offset:1024
	flat_store_dword v[6:7], v16 offset:2048
	;; [unrolled: 1-line block ×3, first 2 shown]
	v_add_co_u32_e32 v6, vcc, s2, v28
	s_or_b64 s[0:1], s[0:1], exec
	s_nop 0
	v_addc_co_u32_e32 v7, vcc, 0, v29, vcc
	flat_store_dword v[6:7], v18
	flat_store_dword v[6:7], v19 offset:1024
	flat_store_dword v[6:7], v20 offset:2048
	;; [unrolled: 1-line block ×3, first 2 shown]
	v_add_co_u32_e32 v6, vcc, 0x4000, v28
	s_nop 1
	v_addc_co_u32_e32 v7, vcc, 0, v29, vcc
	flat_store_dword v[6:7], v22
	flat_store_dword v[6:7], v23 offset:1024
	flat_store_dword v[6:7], v24 offset:2048
	;; [unrolled: 1-line block ×3, first 2 shown]
	v_add_co_u32_e32 v6, vcc, 0x5000, v28
	s_nop 1
	v_addc_co_u32_e32 v7, vcc, 0, v29, vcc
	flat_store_dword v[6:7], v26
	flat_store_dword v[6:7], v27 offset:1024
.LBB814_257:
	s_and_saveexec_b64 s[2:3], s[0:1]
	s_cbranch_execz .LBB814_259
; %bb.258:
	v_lshl_add_u64 v[0:1], v[0:1], 2, v[2:3]
	v_add_co_u32_e32 v0, vcc, 0x5000, v0
	s_nop 1
	v_addc_co_u32_e32 v1, vcc, 0, v1, vcc
	flat_store_dword v[0:1], v5 offset:2048
	s_endpgm
.LBB814_259:
	s_endpgm
	.section	.rodata,"a",@progbits
	.p2align	6, 0x0
	.amdhsa_kernel _ZN7rocprim17ROCPRIM_400000_NS6detail17trampoline_kernelINS0_14default_configENS1_27scan_by_key_config_selectorIiiEEZZNS1_16scan_by_key_implILNS1_25lookback_scan_determinismE0ELb1ES3_N6thrust23THRUST_200600_302600_NS6detail15normal_iteratorINS9_10device_ptrIiEEEESE_SE_iNS9_4plusIiEE19head_flag_predicateiEE10hipError_tPvRmT2_T3_T4_T5_mT6_T7_P12ihipStream_tbENKUlT_T0_E_clISt17integral_constantIbLb0EESX_IbLb1EEEEDaST_SU_EUlST_E_NS1_11comp_targetILNS1_3genE5ELNS1_11target_archE942ELNS1_3gpuE9ELNS1_3repE0EEENS1_30default_config_static_selectorELNS0_4arch9wavefront6targetE1EEEvT1_
		.amdhsa_group_segment_fixed_size 25600
		.amdhsa_private_segment_fixed_size 0
		.amdhsa_kernarg_size 112
		.amdhsa_user_sgpr_count 2
		.amdhsa_user_sgpr_dispatch_ptr 0
		.amdhsa_user_sgpr_queue_ptr 0
		.amdhsa_user_sgpr_kernarg_segment_ptr 1
		.amdhsa_user_sgpr_dispatch_id 0
		.amdhsa_user_sgpr_kernarg_preload_length 0
		.amdhsa_user_sgpr_kernarg_preload_offset 0
		.amdhsa_user_sgpr_private_segment_size 0
		.amdhsa_uses_dynamic_stack 0
		.amdhsa_enable_private_segment 0
		.amdhsa_system_sgpr_workgroup_id_x 1
		.amdhsa_system_sgpr_workgroup_id_y 0
		.amdhsa_system_sgpr_workgroup_id_z 0
		.amdhsa_system_sgpr_workgroup_info 0
		.amdhsa_system_vgpr_workitem_id 0
		.amdhsa_next_free_vgpr 83
		.amdhsa_next_free_sgpr 80
		.amdhsa_accum_offset 84
		.amdhsa_reserve_vcc 1
		.amdhsa_float_round_mode_32 0
		.amdhsa_float_round_mode_16_64 0
		.amdhsa_float_denorm_mode_32 3
		.amdhsa_float_denorm_mode_16_64 3
		.amdhsa_dx10_clamp 1
		.amdhsa_ieee_mode 1
		.amdhsa_fp16_overflow 0
		.amdhsa_tg_split 0
		.amdhsa_exception_fp_ieee_invalid_op 0
		.amdhsa_exception_fp_denorm_src 0
		.amdhsa_exception_fp_ieee_div_zero 0
		.amdhsa_exception_fp_ieee_overflow 0
		.amdhsa_exception_fp_ieee_underflow 0
		.amdhsa_exception_fp_ieee_inexact 0
		.amdhsa_exception_int_div_zero 0
	.end_amdhsa_kernel
	.section	.text._ZN7rocprim17ROCPRIM_400000_NS6detail17trampoline_kernelINS0_14default_configENS1_27scan_by_key_config_selectorIiiEEZZNS1_16scan_by_key_implILNS1_25lookback_scan_determinismE0ELb1ES3_N6thrust23THRUST_200600_302600_NS6detail15normal_iteratorINS9_10device_ptrIiEEEESE_SE_iNS9_4plusIiEE19head_flag_predicateiEE10hipError_tPvRmT2_T3_T4_T5_mT6_T7_P12ihipStream_tbENKUlT_T0_E_clISt17integral_constantIbLb0EESX_IbLb1EEEEDaST_SU_EUlST_E_NS1_11comp_targetILNS1_3genE5ELNS1_11target_archE942ELNS1_3gpuE9ELNS1_3repE0EEENS1_30default_config_static_selectorELNS0_4arch9wavefront6targetE1EEEvT1_,"axG",@progbits,_ZN7rocprim17ROCPRIM_400000_NS6detail17trampoline_kernelINS0_14default_configENS1_27scan_by_key_config_selectorIiiEEZZNS1_16scan_by_key_implILNS1_25lookback_scan_determinismE0ELb1ES3_N6thrust23THRUST_200600_302600_NS6detail15normal_iteratorINS9_10device_ptrIiEEEESE_SE_iNS9_4plusIiEE19head_flag_predicateiEE10hipError_tPvRmT2_T3_T4_T5_mT6_T7_P12ihipStream_tbENKUlT_T0_E_clISt17integral_constantIbLb0EESX_IbLb1EEEEDaST_SU_EUlST_E_NS1_11comp_targetILNS1_3genE5ELNS1_11target_archE942ELNS1_3gpuE9ELNS1_3repE0EEENS1_30default_config_static_selectorELNS0_4arch9wavefront6targetE1EEEvT1_,comdat
.Lfunc_end814:
	.size	_ZN7rocprim17ROCPRIM_400000_NS6detail17trampoline_kernelINS0_14default_configENS1_27scan_by_key_config_selectorIiiEEZZNS1_16scan_by_key_implILNS1_25lookback_scan_determinismE0ELb1ES3_N6thrust23THRUST_200600_302600_NS6detail15normal_iteratorINS9_10device_ptrIiEEEESE_SE_iNS9_4plusIiEE19head_flag_predicateiEE10hipError_tPvRmT2_T3_T4_T5_mT6_T7_P12ihipStream_tbENKUlT_T0_E_clISt17integral_constantIbLb0EESX_IbLb1EEEEDaST_SU_EUlST_E_NS1_11comp_targetILNS1_3genE5ELNS1_11target_archE942ELNS1_3gpuE9ELNS1_3repE0EEENS1_30default_config_static_selectorELNS0_4arch9wavefront6targetE1EEEvT1_, .Lfunc_end814-_ZN7rocprim17ROCPRIM_400000_NS6detail17trampoline_kernelINS0_14default_configENS1_27scan_by_key_config_selectorIiiEEZZNS1_16scan_by_key_implILNS1_25lookback_scan_determinismE0ELb1ES3_N6thrust23THRUST_200600_302600_NS6detail15normal_iteratorINS9_10device_ptrIiEEEESE_SE_iNS9_4plusIiEE19head_flag_predicateiEE10hipError_tPvRmT2_T3_T4_T5_mT6_T7_P12ihipStream_tbENKUlT_T0_E_clISt17integral_constantIbLb0EESX_IbLb1EEEEDaST_SU_EUlST_E_NS1_11comp_targetILNS1_3genE5ELNS1_11target_archE942ELNS1_3gpuE9ELNS1_3repE0EEENS1_30default_config_static_selectorELNS0_4arch9wavefront6targetE1EEEvT1_
                                        ; -- End function
	.section	.AMDGPU.csdata,"",@progbits
; Kernel info:
; codeLenInByte = 15768
; NumSgprs: 86
; NumVgprs: 83
; NumAgprs: 0
; TotalNumVgprs: 83
; ScratchSize: 0
; MemoryBound: 0
; FloatMode: 240
; IeeeMode: 1
; LDSByteSize: 25600 bytes/workgroup (compile time only)
; SGPRBlocks: 10
; VGPRBlocks: 10
; NumSGPRsForWavesPerEU: 86
; NumVGPRsForWavesPerEU: 83
; AccumOffset: 84
; Occupancy: 2
; WaveLimiterHint : 1
; COMPUTE_PGM_RSRC2:SCRATCH_EN: 0
; COMPUTE_PGM_RSRC2:USER_SGPR: 2
; COMPUTE_PGM_RSRC2:TRAP_HANDLER: 0
; COMPUTE_PGM_RSRC2:TGID_X_EN: 1
; COMPUTE_PGM_RSRC2:TGID_Y_EN: 0
; COMPUTE_PGM_RSRC2:TGID_Z_EN: 0
; COMPUTE_PGM_RSRC2:TIDIG_COMP_CNT: 0
; COMPUTE_PGM_RSRC3_GFX90A:ACCUM_OFFSET: 20
; COMPUTE_PGM_RSRC3_GFX90A:TG_SPLIT: 0
	.section	.text._ZN7rocprim17ROCPRIM_400000_NS6detail17trampoline_kernelINS0_14default_configENS1_27scan_by_key_config_selectorIiiEEZZNS1_16scan_by_key_implILNS1_25lookback_scan_determinismE0ELb1ES3_N6thrust23THRUST_200600_302600_NS6detail15normal_iteratorINS9_10device_ptrIiEEEESE_SE_iNS9_4plusIiEE19head_flag_predicateiEE10hipError_tPvRmT2_T3_T4_T5_mT6_T7_P12ihipStream_tbENKUlT_T0_E_clISt17integral_constantIbLb0EESX_IbLb1EEEEDaST_SU_EUlST_E_NS1_11comp_targetILNS1_3genE4ELNS1_11target_archE910ELNS1_3gpuE8ELNS1_3repE0EEENS1_30default_config_static_selectorELNS0_4arch9wavefront6targetE1EEEvT1_,"axG",@progbits,_ZN7rocprim17ROCPRIM_400000_NS6detail17trampoline_kernelINS0_14default_configENS1_27scan_by_key_config_selectorIiiEEZZNS1_16scan_by_key_implILNS1_25lookback_scan_determinismE0ELb1ES3_N6thrust23THRUST_200600_302600_NS6detail15normal_iteratorINS9_10device_ptrIiEEEESE_SE_iNS9_4plusIiEE19head_flag_predicateiEE10hipError_tPvRmT2_T3_T4_T5_mT6_T7_P12ihipStream_tbENKUlT_T0_E_clISt17integral_constantIbLb0EESX_IbLb1EEEEDaST_SU_EUlST_E_NS1_11comp_targetILNS1_3genE4ELNS1_11target_archE910ELNS1_3gpuE8ELNS1_3repE0EEENS1_30default_config_static_selectorELNS0_4arch9wavefront6targetE1EEEvT1_,comdat
	.protected	_ZN7rocprim17ROCPRIM_400000_NS6detail17trampoline_kernelINS0_14default_configENS1_27scan_by_key_config_selectorIiiEEZZNS1_16scan_by_key_implILNS1_25lookback_scan_determinismE0ELb1ES3_N6thrust23THRUST_200600_302600_NS6detail15normal_iteratorINS9_10device_ptrIiEEEESE_SE_iNS9_4plusIiEE19head_flag_predicateiEE10hipError_tPvRmT2_T3_T4_T5_mT6_T7_P12ihipStream_tbENKUlT_T0_E_clISt17integral_constantIbLb0EESX_IbLb1EEEEDaST_SU_EUlST_E_NS1_11comp_targetILNS1_3genE4ELNS1_11target_archE910ELNS1_3gpuE8ELNS1_3repE0EEENS1_30default_config_static_selectorELNS0_4arch9wavefront6targetE1EEEvT1_ ; -- Begin function _ZN7rocprim17ROCPRIM_400000_NS6detail17trampoline_kernelINS0_14default_configENS1_27scan_by_key_config_selectorIiiEEZZNS1_16scan_by_key_implILNS1_25lookback_scan_determinismE0ELb1ES3_N6thrust23THRUST_200600_302600_NS6detail15normal_iteratorINS9_10device_ptrIiEEEESE_SE_iNS9_4plusIiEE19head_flag_predicateiEE10hipError_tPvRmT2_T3_T4_T5_mT6_T7_P12ihipStream_tbENKUlT_T0_E_clISt17integral_constantIbLb0EESX_IbLb1EEEEDaST_SU_EUlST_E_NS1_11comp_targetILNS1_3genE4ELNS1_11target_archE910ELNS1_3gpuE8ELNS1_3repE0EEENS1_30default_config_static_selectorELNS0_4arch9wavefront6targetE1EEEvT1_
	.globl	_ZN7rocprim17ROCPRIM_400000_NS6detail17trampoline_kernelINS0_14default_configENS1_27scan_by_key_config_selectorIiiEEZZNS1_16scan_by_key_implILNS1_25lookback_scan_determinismE0ELb1ES3_N6thrust23THRUST_200600_302600_NS6detail15normal_iteratorINS9_10device_ptrIiEEEESE_SE_iNS9_4plusIiEE19head_flag_predicateiEE10hipError_tPvRmT2_T3_T4_T5_mT6_T7_P12ihipStream_tbENKUlT_T0_E_clISt17integral_constantIbLb0EESX_IbLb1EEEEDaST_SU_EUlST_E_NS1_11comp_targetILNS1_3genE4ELNS1_11target_archE910ELNS1_3gpuE8ELNS1_3repE0EEENS1_30default_config_static_selectorELNS0_4arch9wavefront6targetE1EEEvT1_
	.p2align	8
	.type	_ZN7rocprim17ROCPRIM_400000_NS6detail17trampoline_kernelINS0_14default_configENS1_27scan_by_key_config_selectorIiiEEZZNS1_16scan_by_key_implILNS1_25lookback_scan_determinismE0ELb1ES3_N6thrust23THRUST_200600_302600_NS6detail15normal_iteratorINS9_10device_ptrIiEEEESE_SE_iNS9_4plusIiEE19head_flag_predicateiEE10hipError_tPvRmT2_T3_T4_T5_mT6_T7_P12ihipStream_tbENKUlT_T0_E_clISt17integral_constantIbLb0EESX_IbLb1EEEEDaST_SU_EUlST_E_NS1_11comp_targetILNS1_3genE4ELNS1_11target_archE910ELNS1_3gpuE8ELNS1_3repE0EEENS1_30default_config_static_selectorELNS0_4arch9wavefront6targetE1EEEvT1_,@function
_ZN7rocprim17ROCPRIM_400000_NS6detail17trampoline_kernelINS0_14default_configENS1_27scan_by_key_config_selectorIiiEEZZNS1_16scan_by_key_implILNS1_25lookback_scan_determinismE0ELb1ES3_N6thrust23THRUST_200600_302600_NS6detail15normal_iteratorINS9_10device_ptrIiEEEESE_SE_iNS9_4plusIiEE19head_flag_predicateiEE10hipError_tPvRmT2_T3_T4_T5_mT6_T7_P12ihipStream_tbENKUlT_T0_E_clISt17integral_constantIbLb0EESX_IbLb1EEEEDaST_SU_EUlST_E_NS1_11comp_targetILNS1_3genE4ELNS1_11target_archE910ELNS1_3gpuE8ELNS1_3repE0EEENS1_30default_config_static_selectorELNS0_4arch9wavefront6targetE1EEEvT1_: ; @_ZN7rocprim17ROCPRIM_400000_NS6detail17trampoline_kernelINS0_14default_configENS1_27scan_by_key_config_selectorIiiEEZZNS1_16scan_by_key_implILNS1_25lookback_scan_determinismE0ELb1ES3_N6thrust23THRUST_200600_302600_NS6detail15normal_iteratorINS9_10device_ptrIiEEEESE_SE_iNS9_4plusIiEE19head_flag_predicateiEE10hipError_tPvRmT2_T3_T4_T5_mT6_T7_P12ihipStream_tbENKUlT_T0_E_clISt17integral_constantIbLb0EESX_IbLb1EEEEDaST_SU_EUlST_E_NS1_11comp_targetILNS1_3genE4ELNS1_11target_archE910ELNS1_3gpuE8ELNS1_3repE0EEENS1_30default_config_static_selectorELNS0_4arch9wavefront6targetE1EEEvT1_
; %bb.0:
	.section	.rodata,"a",@progbits
	.p2align	6, 0x0
	.amdhsa_kernel _ZN7rocprim17ROCPRIM_400000_NS6detail17trampoline_kernelINS0_14default_configENS1_27scan_by_key_config_selectorIiiEEZZNS1_16scan_by_key_implILNS1_25lookback_scan_determinismE0ELb1ES3_N6thrust23THRUST_200600_302600_NS6detail15normal_iteratorINS9_10device_ptrIiEEEESE_SE_iNS9_4plusIiEE19head_flag_predicateiEE10hipError_tPvRmT2_T3_T4_T5_mT6_T7_P12ihipStream_tbENKUlT_T0_E_clISt17integral_constantIbLb0EESX_IbLb1EEEEDaST_SU_EUlST_E_NS1_11comp_targetILNS1_3genE4ELNS1_11target_archE910ELNS1_3gpuE8ELNS1_3repE0EEENS1_30default_config_static_selectorELNS0_4arch9wavefront6targetE1EEEvT1_
		.amdhsa_group_segment_fixed_size 0
		.amdhsa_private_segment_fixed_size 0
		.amdhsa_kernarg_size 112
		.amdhsa_user_sgpr_count 2
		.amdhsa_user_sgpr_dispatch_ptr 0
		.amdhsa_user_sgpr_queue_ptr 0
		.amdhsa_user_sgpr_kernarg_segment_ptr 1
		.amdhsa_user_sgpr_dispatch_id 0
		.amdhsa_user_sgpr_kernarg_preload_length 0
		.amdhsa_user_sgpr_kernarg_preload_offset 0
		.amdhsa_user_sgpr_private_segment_size 0
		.amdhsa_uses_dynamic_stack 0
		.amdhsa_enable_private_segment 0
		.amdhsa_system_sgpr_workgroup_id_x 1
		.amdhsa_system_sgpr_workgroup_id_y 0
		.amdhsa_system_sgpr_workgroup_id_z 0
		.amdhsa_system_sgpr_workgroup_info 0
		.amdhsa_system_vgpr_workitem_id 0
		.amdhsa_next_free_vgpr 1
		.amdhsa_next_free_sgpr 0
		.amdhsa_accum_offset 4
		.amdhsa_reserve_vcc 0
		.amdhsa_float_round_mode_32 0
		.amdhsa_float_round_mode_16_64 0
		.amdhsa_float_denorm_mode_32 3
		.amdhsa_float_denorm_mode_16_64 3
		.amdhsa_dx10_clamp 1
		.amdhsa_ieee_mode 1
		.amdhsa_fp16_overflow 0
		.amdhsa_tg_split 0
		.amdhsa_exception_fp_ieee_invalid_op 0
		.amdhsa_exception_fp_denorm_src 0
		.amdhsa_exception_fp_ieee_div_zero 0
		.amdhsa_exception_fp_ieee_overflow 0
		.amdhsa_exception_fp_ieee_underflow 0
		.amdhsa_exception_fp_ieee_inexact 0
		.amdhsa_exception_int_div_zero 0
	.end_amdhsa_kernel
	.section	.text._ZN7rocprim17ROCPRIM_400000_NS6detail17trampoline_kernelINS0_14default_configENS1_27scan_by_key_config_selectorIiiEEZZNS1_16scan_by_key_implILNS1_25lookback_scan_determinismE0ELb1ES3_N6thrust23THRUST_200600_302600_NS6detail15normal_iteratorINS9_10device_ptrIiEEEESE_SE_iNS9_4plusIiEE19head_flag_predicateiEE10hipError_tPvRmT2_T3_T4_T5_mT6_T7_P12ihipStream_tbENKUlT_T0_E_clISt17integral_constantIbLb0EESX_IbLb1EEEEDaST_SU_EUlST_E_NS1_11comp_targetILNS1_3genE4ELNS1_11target_archE910ELNS1_3gpuE8ELNS1_3repE0EEENS1_30default_config_static_selectorELNS0_4arch9wavefront6targetE1EEEvT1_,"axG",@progbits,_ZN7rocprim17ROCPRIM_400000_NS6detail17trampoline_kernelINS0_14default_configENS1_27scan_by_key_config_selectorIiiEEZZNS1_16scan_by_key_implILNS1_25lookback_scan_determinismE0ELb1ES3_N6thrust23THRUST_200600_302600_NS6detail15normal_iteratorINS9_10device_ptrIiEEEESE_SE_iNS9_4plusIiEE19head_flag_predicateiEE10hipError_tPvRmT2_T3_T4_T5_mT6_T7_P12ihipStream_tbENKUlT_T0_E_clISt17integral_constantIbLb0EESX_IbLb1EEEEDaST_SU_EUlST_E_NS1_11comp_targetILNS1_3genE4ELNS1_11target_archE910ELNS1_3gpuE8ELNS1_3repE0EEENS1_30default_config_static_selectorELNS0_4arch9wavefront6targetE1EEEvT1_,comdat
.Lfunc_end815:
	.size	_ZN7rocprim17ROCPRIM_400000_NS6detail17trampoline_kernelINS0_14default_configENS1_27scan_by_key_config_selectorIiiEEZZNS1_16scan_by_key_implILNS1_25lookback_scan_determinismE0ELb1ES3_N6thrust23THRUST_200600_302600_NS6detail15normal_iteratorINS9_10device_ptrIiEEEESE_SE_iNS9_4plusIiEE19head_flag_predicateiEE10hipError_tPvRmT2_T3_T4_T5_mT6_T7_P12ihipStream_tbENKUlT_T0_E_clISt17integral_constantIbLb0EESX_IbLb1EEEEDaST_SU_EUlST_E_NS1_11comp_targetILNS1_3genE4ELNS1_11target_archE910ELNS1_3gpuE8ELNS1_3repE0EEENS1_30default_config_static_selectorELNS0_4arch9wavefront6targetE1EEEvT1_, .Lfunc_end815-_ZN7rocprim17ROCPRIM_400000_NS6detail17trampoline_kernelINS0_14default_configENS1_27scan_by_key_config_selectorIiiEEZZNS1_16scan_by_key_implILNS1_25lookback_scan_determinismE0ELb1ES3_N6thrust23THRUST_200600_302600_NS6detail15normal_iteratorINS9_10device_ptrIiEEEESE_SE_iNS9_4plusIiEE19head_flag_predicateiEE10hipError_tPvRmT2_T3_T4_T5_mT6_T7_P12ihipStream_tbENKUlT_T0_E_clISt17integral_constantIbLb0EESX_IbLb1EEEEDaST_SU_EUlST_E_NS1_11comp_targetILNS1_3genE4ELNS1_11target_archE910ELNS1_3gpuE8ELNS1_3repE0EEENS1_30default_config_static_selectorELNS0_4arch9wavefront6targetE1EEEvT1_
                                        ; -- End function
	.section	.AMDGPU.csdata,"",@progbits
; Kernel info:
; codeLenInByte = 0
; NumSgprs: 6
; NumVgprs: 0
; NumAgprs: 0
; TotalNumVgprs: 0
; ScratchSize: 0
; MemoryBound: 0
; FloatMode: 240
; IeeeMode: 1
; LDSByteSize: 0 bytes/workgroup (compile time only)
; SGPRBlocks: 0
; VGPRBlocks: 0
; NumSGPRsForWavesPerEU: 6
; NumVGPRsForWavesPerEU: 1
; AccumOffset: 4
; Occupancy: 8
; WaveLimiterHint : 0
; COMPUTE_PGM_RSRC2:SCRATCH_EN: 0
; COMPUTE_PGM_RSRC2:USER_SGPR: 2
; COMPUTE_PGM_RSRC2:TRAP_HANDLER: 0
; COMPUTE_PGM_RSRC2:TGID_X_EN: 1
; COMPUTE_PGM_RSRC2:TGID_Y_EN: 0
; COMPUTE_PGM_RSRC2:TGID_Z_EN: 0
; COMPUTE_PGM_RSRC2:TIDIG_COMP_CNT: 0
; COMPUTE_PGM_RSRC3_GFX90A:ACCUM_OFFSET: 0
; COMPUTE_PGM_RSRC3_GFX90A:TG_SPLIT: 0
	.section	.text._ZN7rocprim17ROCPRIM_400000_NS6detail17trampoline_kernelINS0_14default_configENS1_27scan_by_key_config_selectorIiiEEZZNS1_16scan_by_key_implILNS1_25lookback_scan_determinismE0ELb1ES3_N6thrust23THRUST_200600_302600_NS6detail15normal_iteratorINS9_10device_ptrIiEEEESE_SE_iNS9_4plusIiEE19head_flag_predicateiEE10hipError_tPvRmT2_T3_T4_T5_mT6_T7_P12ihipStream_tbENKUlT_T0_E_clISt17integral_constantIbLb0EESX_IbLb1EEEEDaST_SU_EUlST_E_NS1_11comp_targetILNS1_3genE3ELNS1_11target_archE908ELNS1_3gpuE7ELNS1_3repE0EEENS1_30default_config_static_selectorELNS0_4arch9wavefront6targetE1EEEvT1_,"axG",@progbits,_ZN7rocprim17ROCPRIM_400000_NS6detail17trampoline_kernelINS0_14default_configENS1_27scan_by_key_config_selectorIiiEEZZNS1_16scan_by_key_implILNS1_25lookback_scan_determinismE0ELb1ES3_N6thrust23THRUST_200600_302600_NS6detail15normal_iteratorINS9_10device_ptrIiEEEESE_SE_iNS9_4plusIiEE19head_flag_predicateiEE10hipError_tPvRmT2_T3_T4_T5_mT6_T7_P12ihipStream_tbENKUlT_T0_E_clISt17integral_constantIbLb0EESX_IbLb1EEEEDaST_SU_EUlST_E_NS1_11comp_targetILNS1_3genE3ELNS1_11target_archE908ELNS1_3gpuE7ELNS1_3repE0EEENS1_30default_config_static_selectorELNS0_4arch9wavefront6targetE1EEEvT1_,comdat
	.protected	_ZN7rocprim17ROCPRIM_400000_NS6detail17trampoline_kernelINS0_14default_configENS1_27scan_by_key_config_selectorIiiEEZZNS1_16scan_by_key_implILNS1_25lookback_scan_determinismE0ELb1ES3_N6thrust23THRUST_200600_302600_NS6detail15normal_iteratorINS9_10device_ptrIiEEEESE_SE_iNS9_4plusIiEE19head_flag_predicateiEE10hipError_tPvRmT2_T3_T4_T5_mT6_T7_P12ihipStream_tbENKUlT_T0_E_clISt17integral_constantIbLb0EESX_IbLb1EEEEDaST_SU_EUlST_E_NS1_11comp_targetILNS1_3genE3ELNS1_11target_archE908ELNS1_3gpuE7ELNS1_3repE0EEENS1_30default_config_static_selectorELNS0_4arch9wavefront6targetE1EEEvT1_ ; -- Begin function _ZN7rocprim17ROCPRIM_400000_NS6detail17trampoline_kernelINS0_14default_configENS1_27scan_by_key_config_selectorIiiEEZZNS1_16scan_by_key_implILNS1_25lookback_scan_determinismE0ELb1ES3_N6thrust23THRUST_200600_302600_NS6detail15normal_iteratorINS9_10device_ptrIiEEEESE_SE_iNS9_4plusIiEE19head_flag_predicateiEE10hipError_tPvRmT2_T3_T4_T5_mT6_T7_P12ihipStream_tbENKUlT_T0_E_clISt17integral_constantIbLb0EESX_IbLb1EEEEDaST_SU_EUlST_E_NS1_11comp_targetILNS1_3genE3ELNS1_11target_archE908ELNS1_3gpuE7ELNS1_3repE0EEENS1_30default_config_static_selectorELNS0_4arch9wavefront6targetE1EEEvT1_
	.globl	_ZN7rocprim17ROCPRIM_400000_NS6detail17trampoline_kernelINS0_14default_configENS1_27scan_by_key_config_selectorIiiEEZZNS1_16scan_by_key_implILNS1_25lookback_scan_determinismE0ELb1ES3_N6thrust23THRUST_200600_302600_NS6detail15normal_iteratorINS9_10device_ptrIiEEEESE_SE_iNS9_4plusIiEE19head_flag_predicateiEE10hipError_tPvRmT2_T3_T4_T5_mT6_T7_P12ihipStream_tbENKUlT_T0_E_clISt17integral_constantIbLb0EESX_IbLb1EEEEDaST_SU_EUlST_E_NS1_11comp_targetILNS1_3genE3ELNS1_11target_archE908ELNS1_3gpuE7ELNS1_3repE0EEENS1_30default_config_static_selectorELNS0_4arch9wavefront6targetE1EEEvT1_
	.p2align	8
	.type	_ZN7rocprim17ROCPRIM_400000_NS6detail17trampoline_kernelINS0_14default_configENS1_27scan_by_key_config_selectorIiiEEZZNS1_16scan_by_key_implILNS1_25lookback_scan_determinismE0ELb1ES3_N6thrust23THRUST_200600_302600_NS6detail15normal_iteratorINS9_10device_ptrIiEEEESE_SE_iNS9_4plusIiEE19head_flag_predicateiEE10hipError_tPvRmT2_T3_T4_T5_mT6_T7_P12ihipStream_tbENKUlT_T0_E_clISt17integral_constantIbLb0EESX_IbLb1EEEEDaST_SU_EUlST_E_NS1_11comp_targetILNS1_3genE3ELNS1_11target_archE908ELNS1_3gpuE7ELNS1_3repE0EEENS1_30default_config_static_selectorELNS0_4arch9wavefront6targetE1EEEvT1_,@function
_ZN7rocprim17ROCPRIM_400000_NS6detail17trampoline_kernelINS0_14default_configENS1_27scan_by_key_config_selectorIiiEEZZNS1_16scan_by_key_implILNS1_25lookback_scan_determinismE0ELb1ES3_N6thrust23THRUST_200600_302600_NS6detail15normal_iteratorINS9_10device_ptrIiEEEESE_SE_iNS9_4plusIiEE19head_flag_predicateiEE10hipError_tPvRmT2_T3_T4_T5_mT6_T7_P12ihipStream_tbENKUlT_T0_E_clISt17integral_constantIbLb0EESX_IbLb1EEEEDaST_SU_EUlST_E_NS1_11comp_targetILNS1_3genE3ELNS1_11target_archE908ELNS1_3gpuE7ELNS1_3repE0EEENS1_30default_config_static_selectorELNS0_4arch9wavefront6targetE1EEEvT1_: ; @_ZN7rocprim17ROCPRIM_400000_NS6detail17trampoline_kernelINS0_14default_configENS1_27scan_by_key_config_selectorIiiEEZZNS1_16scan_by_key_implILNS1_25lookback_scan_determinismE0ELb1ES3_N6thrust23THRUST_200600_302600_NS6detail15normal_iteratorINS9_10device_ptrIiEEEESE_SE_iNS9_4plusIiEE19head_flag_predicateiEE10hipError_tPvRmT2_T3_T4_T5_mT6_T7_P12ihipStream_tbENKUlT_T0_E_clISt17integral_constantIbLb0EESX_IbLb1EEEEDaST_SU_EUlST_E_NS1_11comp_targetILNS1_3genE3ELNS1_11target_archE908ELNS1_3gpuE7ELNS1_3repE0EEENS1_30default_config_static_selectorELNS0_4arch9wavefront6targetE1EEEvT1_
; %bb.0:
	.section	.rodata,"a",@progbits
	.p2align	6, 0x0
	.amdhsa_kernel _ZN7rocprim17ROCPRIM_400000_NS6detail17trampoline_kernelINS0_14default_configENS1_27scan_by_key_config_selectorIiiEEZZNS1_16scan_by_key_implILNS1_25lookback_scan_determinismE0ELb1ES3_N6thrust23THRUST_200600_302600_NS6detail15normal_iteratorINS9_10device_ptrIiEEEESE_SE_iNS9_4plusIiEE19head_flag_predicateiEE10hipError_tPvRmT2_T3_T4_T5_mT6_T7_P12ihipStream_tbENKUlT_T0_E_clISt17integral_constantIbLb0EESX_IbLb1EEEEDaST_SU_EUlST_E_NS1_11comp_targetILNS1_3genE3ELNS1_11target_archE908ELNS1_3gpuE7ELNS1_3repE0EEENS1_30default_config_static_selectorELNS0_4arch9wavefront6targetE1EEEvT1_
		.amdhsa_group_segment_fixed_size 0
		.amdhsa_private_segment_fixed_size 0
		.amdhsa_kernarg_size 112
		.amdhsa_user_sgpr_count 2
		.amdhsa_user_sgpr_dispatch_ptr 0
		.amdhsa_user_sgpr_queue_ptr 0
		.amdhsa_user_sgpr_kernarg_segment_ptr 1
		.amdhsa_user_sgpr_dispatch_id 0
		.amdhsa_user_sgpr_kernarg_preload_length 0
		.amdhsa_user_sgpr_kernarg_preload_offset 0
		.amdhsa_user_sgpr_private_segment_size 0
		.amdhsa_uses_dynamic_stack 0
		.amdhsa_enable_private_segment 0
		.amdhsa_system_sgpr_workgroup_id_x 1
		.amdhsa_system_sgpr_workgroup_id_y 0
		.amdhsa_system_sgpr_workgroup_id_z 0
		.amdhsa_system_sgpr_workgroup_info 0
		.amdhsa_system_vgpr_workitem_id 0
		.amdhsa_next_free_vgpr 1
		.amdhsa_next_free_sgpr 0
		.amdhsa_accum_offset 4
		.amdhsa_reserve_vcc 0
		.amdhsa_float_round_mode_32 0
		.amdhsa_float_round_mode_16_64 0
		.amdhsa_float_denorm_mode_32 3
		.amdhsa_float_denorm_mode_16_64 3
		.amdhsa_dx10_clamp 1
		.amdhsa_ieee_mode 1
		.amdhsa_fp16_overflow 0
		.amdhsa_tg_split 0
		.amdhsa_exception_fp_ieee_invalid_op 0
		.amdhsa_exception_fp_denorm_src 0
		.amdhsa_exception_fp_ieee_div_zero 0
		.amdhsa_exception_fp_ieee_overflow 0
		.amdhsa_exception_fp_ieee_underflow 0
		.amdhsa_exception_fp_ieee_inexact 0
		.amdhsa_exception_int_div_zero 0
	.end_amdhsa_kernel
	.section	.text._ZN7rocprim17ROCPRIM_400000_NS6detail17trampoline_kernelINS0_14default_configENS1_27scan_by_key_config_selectorIiiEEZZNS1_16scan_by_key_implILNS1_25lookback_scan_determinismE0ELb1ES3_N6thrust23THRUST_200600_302600_NS6detail15normal_iteratorINS9_10device_ptrIiEEEESE_SE_iNS9_4plusIiEE19head_flag_predicateiEE10hipError_tPvRmT2_T3_T4_T5_mT6_T7_P12ihipStream_tbENKUlT_T0_E_clISt17integral_constantIbLb0EESX_IbLb1EEEEDaST_SU_EUlST_E_NS1_11comp_targetILNS1_3genE3ELNS1_11target_archE908ELNS1_3gpuE7ELNS1_3repE0EEENS1_30default_config_static_selectorELNS0_4arch9wavefront6targetE1EEEvT1_,"axG",@progbits,_ZN7rocprim17ROCPRIM_400000_NS6detail17trampoline_kernelINS0_14default_configENS1_27scan_by_key_config_selectorIiiEEZZNS1_16scan_by_key_implILNS1_25lookback_scan_determinismE0ELb1ES3_N6thrust23THRUST_200600_302600_NS6detail15normal_iteratorINS9_10device_ptrIiEEEESE_SE_iNS9_4plusIiEE19head_flag_predicateiEE10hipError_tPvRmT2_T3_T4_T5_mT6_T7_P12ihipStream_tbENKUlT_T0_E_clISt17integral_constantIbLb0EESX_IbLb1EEEEDaST_SU_EUlST_E_NS1_11comp_targetILNS1_3genE3ELNS1_11target_archE908ELNS1_3gpuE7ELNS1_3repE0EEENS1_30default_config_static_selectorELNS0_4arch9wavefront6targetE1EEEvT1_,comdat
.Lfunc_end816:
	.size	_ZN7rocprim17ROCPRIM_400000_NS6detail17trampoline_kernelINS0_14default_configENS1_27scan_by_key_config_selectorIiiEEZZNS1_16scan_by_key_implILNS1_25lookback_scan_determinismE0ELb1ES3_N6thrust23THRUST_200600_302600_NS6detail15normal_iteratorINS9_10device_ptrIiEEEESE_SE_iNS9_4plusIiEE19head_flag_predicateiEE10hipError_tPvRmT2_T3_T4_T5_mT6_T7_P12ihipStream_tbENKUlT_T0_E_clISt17integral_constantIbLb0EESX_IbLb1EEEEDaST_SU_EUlST_E_NS1_11comp_targetILNS1_3genE3ELNS1_11target_archE908ELNS1_3gpuE7ELNS1_3repE0EEENS1_30default_config_static_selectorELNS0_4arch9wavefront6targetE1EEEvT1_, .Lfunc_end816-_ZN7rocprim17ROCPRIM_400000_NS6detail17trampoline_kernelINS0_14default_configENS1_27scan_by_key_config_selectorIiiEEZZNS1_16scan_by_key_implILNS1_25lookback_scan_determinismE0ELb1ES3_N6thrust23THRUST_200600_302600_NS6detail15normal_iteratorINS9_10device_ptrIiEEEESE_SE_iNS9_4plusIiEE19head_flag_predicateiEE10hipError_tPvRmT2_T3_T4_T5_mT6_T7_P12ihipStream_tbENKUlT_T0_E_clISt17integral_constantIbLb0EESX_IbLb1EEEEDaST_SU_EUlST_E_NS1_11comp_targetILNS1_3genE3ELNS1_11target_archE908ELNS1_3gpuE7ELNS1_3repE0EEENS1_30default_config_static_selectorELNS0_4arch9wavefront6targetE1EEEvT1_
                                        ; -- End function
	.section	.AMDGPU.csdata,"",@progbits
; Kernel info:
; codeLenInByte = 0
; NumSgprs: 6
; NumVgprs: 0
; NumAgprs: 0
; TotalNumVgprs: 0
; ScratchSize: 0
; MemoryBound: 0
; FloatMode: 240
; IeeeMode: 1
; LDSByteSize: 0 bytes/workgroup (compile time only)
; SGPRBlocks: 0
; VGPRBlocks: 0
; NumSGPRsForWavesPerEU: 6
; NumVGPRsForWavesPerEU: 1
; AccumOffset: 4
; Occupancy: 8
; WaveLimiterHint : 0
; COMPUTE_PGM_RSRC2:SCRATCH_EN: 0
; COMPUTE_PGM_RSRC2:USER_SGPR: 2
; COMPUTE_PGM_RSRC2:TRAP_HANDLER: 0
; COMPUTE_PGM_RSRC2:TGID_X_EN: 1
; COMPUTE_PGM_RSRC2:TGID_Y_EN: 0
; COMPUTE_PGM_RSRC2:TGID_Z_EN: 0
; COMPUTE_PGM_RSRC2:TIDIG_COMP_CNT: 0
; COMPUTE_PGM_RSRC3_GFX90A:ACCUM_OFFSET: 0
; COMPUTE_PGM_RSRC3_GFX90A:TG_SPLIT: 0
	.section	.text._ZN7rocprim17ROCPRIM_400000_NS6detail17trampoline_kernelINS0_14default_configENS1_27scan_by_key_config_selectorIiiEEZZNS1_16scan_by_key_implILNS1_25lookback_scan_determinismE0ELb1ES3_N6thrust23THRUST_200600_302600_NS6detail15normal_iteratorINS9_10device_ptrIiEEEESE_SE_iNS9_4plusIiEE19head_flag_predicateiEE10hipError_tPvRmT2_T3_T4_T5_mT6_T7_P12ihipStream_tbENKUlT_T0_E_clISt17integral_constantIbLb0EESX_IbLb1EEEEDaST_SU_EUlST_E_NS1_11comp_targetILNS1_3genE2ELNS1_11target_archE906ELNS1_3gpuE6ELNS1_3repE0EEENS1_30default_config_static_selectorELNS0_4arch9wavefront6targetE1EEEvT1_,"axG",@progbits,_ZN7rocprim17ROCPRIM_400000_NS6detail17trampoline_kernelINS0_14default_configENS1_27scan_by_key_config_selectorIiiEEZZNS1_16scan_by_key_implILNS1_25lookback_scan_determinismE0ELb1ES3_N6thrust23THRUST_200600_302600_NS6detail15normal_iteratorINS9_10device_ptrIiEEEESE_SE_iNS9_4plusIiEE19head_flag_predicateiEE10hipError_tPvRmT2_T3_T4_T5_mT6_T7_P12ihipStream_tbENKUlT_T0_E_clISt17integral_constantIbLb0EESX_IbLb1EEEEDaST_SU_EUlST_E_NS1_11comp_targetILNS1_3genE2ELNS1_11target_archE906ELNS1_3gpuE6ELNS1_3repE0EEENS1_30default_config_static_selectorELNS0_4arch9wavefront6targetE1EEEvT1_,comdat
	.protected	_ZN7rocprim17ROCPRIM_400000_NS6detail17trampoline_kernelINS0_14default_configENS1_27scan_by_key_config_selectorIiiEEZZNS1_16scan_by_key_implILNS1_25lookback_scan_determinismE0ELb1ES3_N6thrust23THRUST_200600_302600_NS6detail15normal_iteratorINS9_10device_ptrIiEEEESE_SE_iNS9_4plusIiEE19head_flag_predicateiEE10hipError_tPvRmT2_T3_T4_T5_mT6_T7_P12ihipStream_tbENKUlT_T0_E_clISt17integral_constantIbLb0EESX_IbLb1EEEEDaST_SU_EUlST_E_NS1_11comp_targetILNS1_3genE2ELNS1_11target_archE906ELNS1_3gpuE6ELNS1_3repE0EEENS1_30default_config_static_selectorELNS0_4arch9wavefront6targetE1EEEvT1_ ; -- Begin function _ZN7rocprim17ROCPRIM_400000_NS6detail17trampoline_kernelINS0_14default_configENS1_27scan_by_key_config_selectorIiiEEZZNS1_16scan_by_key_implILNS1_25lookback_scan_determinismE0ELb1ES3_N6thrust23THRUST_200600_302600_NS6detail15normal_iteratorINS9_10device_ptrIiEEEESE_SE_iNS9_4plusIiEE19head_flag_predicateiEE10hipError_tPvRmT2_T3_T4_T5_mT6_T7_P12ihipStream_tbENKUlT_T0_E_clISt17integral_constantIbLb0EESX_IbLb1EEEEDaST_SU_EUlST_E_NS1_11comp_targetILNS1_3genE2ELNS1_11target_archE906ELNS1_3gpuE6ELNS1_3repE0EEENS1_30default_config_static_selectorELNS0_4arch9wavefront6targetE1EEEvT1_
	.globl	_ZN7rocprim17ROCPRIM_400000_NS6detail17trampoline_kernelINS0_14default_configENS1_27scan_by_key_config_selectorIiiEEZZNS1_16scan_by_key_implILNS1_25lookback_scan_determinismE0ELb1ES3_N6thrust23THRUST_200600_302600_NS6detail15normal_iteratorINS9_10device_ptrIiEEEESE_SE_iNS9_4plusIiEE19head_flag_predicateiEE10hipError_tPvRmT2_T3_T4_T5_mT6_T7_P12ihipStream_tbENKUlT_T0_E_clISt17integral_constantIbLb0EESX_IbLb1EEEEDaST_SU_EUlST_E_NS1_11comp_targetILNS1_3genE2ELNS1_11target_archE906ELNS1_3gpuE6ELNS1_3repE0EEENS1_30default_config_static_selectorELNS0_4arch9wavefront6targetE1EEEvT1_
	.p2align	8
	.type	_ZN7rocprim17ROCPRIM_400000_NS6detail17trampoline_kernelINS0_14default_configENS1_27scan_by_key_config_selectorIiiEEZZNS1_16scan_by_key_implILNS1_25lookback_scan_determinismE0ELb1ES3_N6thrust23THRUST_200600_302600_NS6detail15normal_iteratorINS9_10device_ptrIiEEEESE_SE_iNS9_4plusIiEE19head_flag_predicateiEE10hipError_tPvRmT2_T3_T4_T5_mT6_T7_P12ihipStream_tbENKUlT_T0_E_clISt17integral_constantIbLb0EESX_IbLb1EEEEDaST_SU_EUlST_E_NS1_11comp_targetILNS1_3genE2ELNS1_11target_archE906ELNS1_3gpuE6ELNS1_3repE0EEENS1_30default_config_static_selectorELNS0_4arch9wavefront6targetE1EEEvT1_,@function
_ZN7rocprim17ROCPRIM_400000_NS6detail17trampoline_kernelINS0_14default_configENS1_27scan_by_key_config_selectorIiiEEZZNS1_16scan_by_key_implILNS1_25lookback_scan_determinismE0ELb1ES3_N6thrust23THRUST_200600_302600_NS6detail15normal_iteratorINS9_10device_ptrIiEEEESE_SE_iNS9_4plusIiEE19head_flag_predicateiEE10hipError_tPvRmT2_T3_T4_T5_mT6_T7_P12ihipStream_tbENKUlT_T0_E_clISt17integral_constantIbLb0EESX_IbLb1EEEEDaST_SU_EUlST_E_NS1_11comp_targetILNS1_3genE2ELNS1_11target_archE906ELNS1_3gpuE6ELNS1_3repE0EEENS1_30default_config_static_selectorELNS0_4arch9wavefront6targetE1EEEvT1_: ; @_ZN7rocprim17ROCPRIM_400000_NS6detail17trampoline_kernelINS0_14default_configENS1_27scan_by_key_config_selectorIiiEEZZNS1_16scan_by_key_implILNS1_25lookback_scan_determinismE0ELb1ES3_N6thrust23THRUST_200600_302600_NS6detail15normal_iteratorINS9_10device_ptrIiEEEESE_SE_iNS9_4plusIiEE19head_flag_predicateiEE10hipError_tPvRmT2_T3_T4_T5_mT6_T7_P12ihipStream_tbENKUlT_T0_E_clISt17integral_constantIbLb0EESX_IbLb1EEEEDaST_SU_EUlST_E_NS1_11comp_targetILNS1_3genE2ELNS1_11target_archE906ELNS1_3gpuE6ELNS1_3repE0EEENS1_30default_config_static_selectorELNS0_4arch9wavefront6targetE1EEEvT1_
; %bb.0:
	.section	.rodata,"a",@progbits
	.p2align	6, 0x0
	.amdhsa_kernel _ZN7rocprim17ROCPRIM_400000_NS6detail17trampoline_kernelINS0_14default_configENS1_27scan_by_key_config_selectorIiiEEZZNS1_16scan_by_key_implILNS1_25lookback_scan_determinismE0ELb1ES3_N6thrust23THRUST_200600_302600_NS6detail15normal_iteratorINS9_10device_ptrIiEEEESE_SE_iNS9_4plusIiEE19head_flag_predicateiEE10hipError_tPvRmT2_T3_T4_T5_mT6_T7_P12ihipStream_tbENKUlT_T0_E_clISt17integral_constantIbLb0EESX_IbLb1EEEEDaST_SU_EUlST_E_NS1_11comp_targetILNS1_3genE2ELNS1_11target_archE906ELNS1_3gpuE6ELNS1_3repE0EEENS1_30default_config_static_selectorELNS0_4arch9wavefront6targetE1EEEvT1_
		.amdhsa_group_segment_fixed_size 0
		.amdhsa_private_segment_fixed_size 0
		.amdhsa_kernarg_size 112
		.amdhsa_user_sgpr_count 2
		.amdhsa_user_sgpr_dispatch_ptr 0
		.amdhsa_user_sgpr_queue_ptr 0
		.amdhsa_user_sgpr_kernarg_segment_ptr 1
		.amdhsa_user_sgpr_dispatch_id 0
		.amdhsa_user_sgpr_kernarg_preload_length 0
		.amdhsa_user_sgpr_kernarg_preload_offset 0
		.amdhsa_user_sgpr_private_segment_size 0
		.amdhsa_uses_dynamic_stack 0
		.amdhsa_enable_private_segment 0
		.amdhsa_system_sgpr_workgroup_id_x 1
		.amdhsa_system_sgpr_workgroup_id_y 0
		.amdhsa_system_sgpr_workgroup_id_z 0
		.amdhsa_system_sgpr_workgroup_info 0
		.amdhsa_system_vgpr_workitem_id 0
		.amdhsa_next_free_vgpr 1
		.amdhsa_next_free_sgpr 0
		.amdhsa_accum_offset 4
		.amdhsa_reserve_vcc 0
		.amdhsa_float_round_mode_32 0
		.amdhsa_float_round_mode_16_64 0
		.amdhsa_float_denorm_mode_32 3
		.amdhsa_float_denorm_mode_16_64 3
		.amdhsa_dx10_clamp 1
		.amdhsa_ieee_mode 1
		.amdhsa_fp16_overflow 0
		.amdhsa_tg_split 0
		.amdhsa_exception_fp_ieee_invalid_op 0
		.amdhsa_exception_fp_denorm_src 0
		.amdhsa_exception_fp_ieee_div_zero 0
		.amdhsa_exception_fp_ieee_overflow 0
		.amdhsa_exception_fp_ieee_underflow 0
		.amdhsa_exception_fp_ieee_inexact 0
		.amdhsa_exception_int_div_zero 0
	.end_amdhsa_kernel
	.section	.text._ZN7rocprim17ROCPRIM_400000_NS6detail17trampoline_kernelINS0_14default_configENS1_27scan_by_key_config_selectorIiiEEZZNS1_16scan_by_key_implILNS1_25lookback_scan_determinismE0ELb1ES3_N6thrust23THRUST_200600_302600_NS6detail15normal_iteratorINS9_10device_ptrIiEEEESE_SE_iNS9_4plusIiEE19head_flag_predicateiEE10hipError_tPvRmT2_T3_T4_T5_mT6_T7_P12ihipStream_tbENKUlT_T0_E_clISt17integral_constantIbLb0EESX_IbLb1EEEEDaST_SU_EUlST_E_NS1_11comp_targetILNS1_3genE2ELNS1_11target_archE906ELNS1_3gpuE6ELNS1_3repE0EEENS1_30default_config_static_selectorELNS0_4arch9wavefront6targetE1EEEvT1_,"axG",@progbits,_ZN7rocprim17ROCPRIM_400000_NS6detail17trampoline_kernelINS0_14default_configENS1_27scan_by_key_config_selectorIiiEEZZNS1_16scan_by_key_implILNS1_25lookback_scan_determinismE0ELb1ES3_N6thrust23THRUST_200600_302600_NS6detail15normal_iteratorINS9_10device_ptrIiEEEESE_SE_iNS9_4plusIiEE19head_flag_predicateiEE10hipError_tPvRmT2_T3_T4_T5_mT6_T7_P12ihipStream_tbENKUlT_T0_E_clISt17integral_constantIbLb0EESX_IbLb1EEEEDaST_SU_EUlST_E_NS1_11comp_targetILNS1_3genE2ELNS1_11target_archE906ELNS1_3gpuE6ELNS1_3repE0EEENS1_30default_config_static_selectorELNS0_4arch9wavefront6targetE1EEEvT1_,comdat
.Lfunc_end817:
	.size	_ZN7rocprim17ROCPRIM_400000_NS6detail17trampoline_kernelINS0_14default_configENS1_27scan_by_key_config_selectorIiiEEZZNS1_16scan_by_key_implILNS1_25lookback_scan_determinismE0ELb1ES3_N6thrust23THRUST_200600_302600_NS6detail15normal_iteratorINS9_10device_ptrIiEEEESE_SE_iNS9_4plusIiEE19head_flag_predicateiEE10hipError_tPvRmT2_T3_T4_T5_mT6_T7_P12ihipStream_tbENKUlT_T0_E_clISt17integral_constantIbLb0EESX_IbLb1EEEEDaST_SU_EUlST_E_NS1_11comp_targetILNS1_3genE2ELNS1_11target_archE906ELNS1_3gpuE6ELNS1_3repE0EEENS1_30default_config_static_selectorELNS0_4arch9wavefront6targetE1EEEvT1_, .Lfunc_end817-_ZN7rocprim17ROCPRIM_400000_NS6detail17trampoline_kernelINS0_14default_configENS1_27scan_by_key_config_selectorIiiEEZZNS1_16scan_by_key_implILNS1_25lookback_scan_determinismE0ELb1ES3_N6thrust23THRUST_200600_302600_NS6detail15normal_iteratorINS9_10device_ptrIiEEEESE_SE_iNS9_4plusIiEE19head_flag_predicateiEE10hipError_tPvRmT2_T3_T4_T5_mT6_T7_P12ihipStream_tbENKUlT_T0_E_clISt17integral_constantIbLb0EESX_IbLb1EEEEDaST_SU_EUlST_E_NS1_11comp_targetILNS1_3genE2ELNS1_11target_archE906ELNS1_3gpuE6ELNS1_3repE0EEENS1_30default_config_static_selectorELNS0_4arch9wavefront6targetE1EEEvT1_
                                        ; -- End function
	.section	.AMDGPU.csdata,"",@progbits
; Kernel info:
; codeLenInByte = 0
; NumSgprs: 6
; NumVgprs: 0
; NumAgprs: 0
; TotalNumVgprs: 0
; ScratchSize: 0
; MemoryBound: 0
; FloatMode: 240
; IeeeMode: 1
; LDSByteSize: 0 bytes/workgroup (compile time only)
; SGPRBlocks: 0
; VGPRBlocks: 0
; NumSGPRsForWavesPerEU: 6
; NumVGPRsForWavesPerEU: 1
; AccumOffset: 4
; Occupancy: 8
; WaveLimiterHint : 0
; COMPUTE_PGM_RSRC2:SCRATCH_EN: 0
; COMPUTE_PGM_RSRC2:USER_SGPR: 2
; COMPUTE_PGM_RSRC2:TRAP_HANDLER: 0
; COMPUTE_PGM_RSRC2:TGID_X_EN: 1
; COMPUTE_PGM_RSRC2:TGID_Y_EN: 0
; COMPUTE_PGM_RSRC2:TGID_Z_EN: 0
; COMPUTE_PGM_RSRC2:TIDIG_COMP_CNT: 0
; COMPUTE_PGM_RSRC3_GFX90A:ACCUM_OFFSET: 0
; COMPUTE_PGM_RSRC3_GFX90A:TG_SPLIT: 0
	.section	.text._ZN7rocprim17ROCPRIM_400000_NS6detail17trampoline_kernelINS0_14default_configENS1_27scan_by_key_config_selectorIiiEEZZNS1_16scan_by_key_implILNS1_25lookback_scan_determinismE0ELb1ES3_N6thrust23THRUST_200600_302600_NS6detail15normal_iteratorINS9_10device_ptrIiEEEESE_SE_iNS9_4plusIiEE19head_flag_predicateiEE10hipError_tPvRmT2_T3_T4_T5_mT6_T7_P12ihipStream_tbENKUlT_T0_E_clISt17integral_constantIbLb0EESX_IbLb1EEEEDaST_SU_EUlST_E_NS1_11comp_targetILNS1_3genE10ELNS1_11target_archE1200ELNS1_3gpuE4ELNS1_3repE0EEENS1_30default_config_static_selectorELNS0_4arch9wavefront6targetE1EEEvT1_,"axG",@progbits,_ZN7rocprim17ROCPRIM_400000_NS6detail17trampoline_kernelINS0_14default_configENS1_27scan_by_key_config_selectorIiiEEZZNS1_16scan_by_key_implILNS1_25lookback_scan_determinismE0ELb1ES3_N6thrust23THRUST_200600_302600_NS6detail15normal_iteratorINS9_10device_ptrIiEEEESE_SE_iNS9_4plusIiEE19head_flag_predicateiEE10hipError_tPvRmT2_T3_T4_T5_mT6_T7_P12ihipStream_tbENKUlT_T0_E_clISt17integral_constantIbLb0EESX_IbLb1EEEEDaST_SU_EUlST_E_NS1_11comp_targetILNS1_3genE10ELNS1_11target_archE1200ELNS1_3gpuE4ELNS1_3repE0EEENS1_30default_config_static_selectorELNS0_4arch9wavefront6targetE1EEEvT1_,comdat
	.protected	_ZN7rocprim17ROCPRIM_400000_NS6detail17trampoline_kernelINS0_14default_configENS1_27scan_by_key_config_selectorIiiEEZZNS1_16scan_by_key_implILNS1_25lookback_scan_determinismE0ELb1ES3_N6thrust23THRUST_200600_302600_NS6detail15normal_iteratorINS9_10device_ptrIiEEEESE_SE_iNS9_4plusIiEE19head_flag_predicateiEE10hipError_tPvRmT2_T3_T4_T5_mT6_T7_P12ihipStream_tbENKUlT_T0_E_clISt17integral_constantIbLb0EESX_IbLb1EEEEDaST_SU_EUlST_E_NS1_11comp_targetILNS1_3genE10ELNS1_11target_archE1200ELNS1_3gpuE4ELNS1_3repE0EEENS1_30default_config_static_selectorELNS0_4arch9wavefront6targetE1EEEvT1_ ; -- Begin function _ZN7rocprim17ROCPRIM_400000_NS6detail17trampoline_kernelINS0_14default_configENS1_27scan_by_key_config_selectorIiiEEZZNS1_16scan_by_key_implILNS1_25lookback_scan_determinismE0ELb1ES3_N6thrust23THRUST_200600_302600_NS6detail15normal_iteratorINS9_10device_ptrIiEEEESE_SE_iNS9_4plusIiEE19head_flag_predicateiEE10hipError_tPvRmT2_T3_T4_T5_mT6_T7_P12ihipStream_tbENKUlT_T0_E_clISt17integral_constantIbLb0EESX_IbLb1EEEEDaST_SU_EUlST_E_NS1_11comp_targetILNS1_3genE10ELNS1_11target_archE1200ELNS1_3gpuE4ELNS1_3repE0EEENS1_30default_config_static_selectorELNS0_4arch9wavefront6targetE1EEEvT1_
	.globl	_ZN7rocprim17ROCPRIM_400000_NS6detail17trampoline_kernelINS0_14default_configENS1_27scan_by_key_config_selectorIiiEEZZNS1_16scan_by_key_implILNS1_25lookback_scan_determinismE0ELb1ES3_N6thrust23THRUST_200600_302600_NS6detail15normal_iteratorINS9_10device_ptrIiEEEESE_SE_iNS9_4plusIiEE19head_flag_predicateiEE10hipError_tPvRmT2_T3_T4_T5_mT6_T7_P12ihipStream_tbENKUlT_T0_E_clISt17integral_constantIbLb0EESX_IbLb1EEEEDaST_SU_EUlST_E_NS1_11comp_targetILNS1_3genE10ELNS1_11target_archE1200ELNS1_3gpuE4ELNS1_3repE0EEENS1_30default_config_static_selectorELNS0_4arch9wavefront6targetE1EEEvT1_
	.p2align	8
	.type	_ZN7rocprim17ROCPRIM_400000_NS6detail17trampoline_kernelINS0_14default_configENS1_27scan_by_key_config_selectorIiiEEZZNS1_16scan_by_key_implILNS1_25lookback_scan_determinismE0ELb1ES3_N6thrust23THRUST_200600_302600_NS6detail15normal_iteratorINS9_10device_ptrIiEEEESE_SE_iNS9_4plusIiEE19head_flag_predicateiEE10hipError_tPvRmT2_T3_T4_T5_mT6_T7_P12ihipStream_tbENKUlT_T0_E_clISt17integral_constantIbLb0EESX_IbLb1EEEEDaST_SU_EUlST_E_NS1_11comp_targetILNS1_3genE10ELNS1_11target_archE1200ELNS1_3gpuE4ELNS1_3repE0EEENS1_30default_config_static_selectorELNS0_4arch9wavefront6targetE1EEEvT1_,@function
_ZN7rocprim17ROCPRIM_400000_NS6detail17trampoline_kernelINS0_14default_configENS1_27scan_by_key_config_selectorIiiEEZZNS1_16scan_by_key_implILNS1_25lookback_scan_determinismE0ELb1ES3_N6thrust23THRUST_200600_302600_NS6detail15normal_iteratorINS9_10device_ptrIiEEEESE_SE_iNS9_4plusIiEE19head_flag_predicateiEE10hipError_tPvRmT2_T3_T4_T5_mT6_T7_P12ihipStream_tbENKUlT_T0_E_clISt17integral_constantIbLb0EESX_IbLb1EEEEDaST_SU_EUlST_E_NS1_11comp_targetILNS1_3genE10ELNS1_11target_archE1200ELNS1_3gpuE4ELNS1_3repE0EEENS1_30default_config_static_selectorELNS0_4arch9wavefront6targetE1EEEvT1_: ; @_ZN7rocprim17ROCPRIM_400000_NS6detail17trampoline_kernelINS0_14default_configENS1_27scan_by_key_config_selectorIiiEEZZNS1_16scan_by_key_implILNS1_25lookback_scan_determinismE0ELb1ES3_N6thrust23THRUST_200600_302600_NS6detail15normal_iteratorINS9_10device_ptrIiEEEESE_SE_iNS9_4plusIiEE19head_flag_predicateiEE10hipError_tPvRmT2_T3_T4_T5_mT6_T7_P12ihipStream_tbENKUlT_T0_E_clISt17integral_constantIbLb0EESX_IbLb1EEEEDaST_SU_EUlST_E_NS1_11comp_targetILNS1_3genE10ELNS1_11target_archE1200ELNS1_3gpuE4ELNS1_3repE0EEENS1_30default_config_static_selectorELNS0_4arch9wavefront6targetE1EEEvT1_
; %bb.0:
	.section	.rodata,"a",@progbits
	.p2align	6, 0x0
	.amdhsa_kernel _ZN7rocprim17ROCPRIM_400000_NS6detail17trampoline_kernelINS0_14default_configENS1_27scan_by_key_config_selectorIiiEEZZNS1_16scan_by_key_implILNS1_25lookback_scan_determinismE0ELb1ES3_N6thrust23THRUST_200600_302600_NS6detail15normal_iteratorINS9_10device_ptrIiEEEESE_SE_iNS9_4plusIiEE19head_flag_predicateiEE10hipError_tPvRmT2_T3_T4_T5_mT6_T7_P12ihipStream_tbENKUlT_T0_E_clISt17integral_constantIbLb0EESX_IbLb1EEEEDaST_SU_EUlST_E_NS1_11comp_targetILNS1_3genE10ELNS1_11target_archE1200ELNS1_3gpuE4ELNS1_3repE0EEENS1_30default_config_static_selectorELNS0_4arch9wavefront6targetE1EEEvT1_
		.amdhsa_group_segment_fixed_size 0
		.amdhsa_private_segment_fixed_size 0
		.amdhsa_kernarg_size 112
		.amdhsa_user_sgpr_count 2
		.amdhsa_user_sgpr_dispatch_ptr 0
		.amdhsa_user_sgpr_queue_ptr 0
		.amdhsa_user_sgpr_kernarg_segment_ptr 1
		.amdhsa_user_sgpr_dispatch_id 0
		.amdhsa_user_sgpr_kernarg_preload_length 0
		.amdhsa_user_sgpr_kernarg_preload_offset 0
		.amdhsa_user_sgpr_private_segment_size 0
		.amdhsa_uses_dynamic_stack 0
		.amdhsa_enable_private_segment 0
		.amdhsa_system_sgpr_workgroup_id_x 1
		.amdhsa_system_sgpr_workgroup_id_y 0
		.amdhsa_system_sgpr_workgroup_id_z 0
		.amdhsa_system_sgpr_workgroup_info 0
		.amdhsa_system_vgpr_workitem_id 0
		.amdhsa_next_free_vgpr 1
		.amdhsa_next_free_sgpr 0
		.amdhsa_accum_offset 4
		.amdhsa_reserve_vcc 0
		.amdhsa_float_round_mode_32 0
		.amdhsa_float_round_mode_16_64 0
		.amdhsa_float_denorm_mode_32 3
		.amdhsa_float_denorm_mode_16_64 3
		.amdhsa_dx10_clamp 1
		.amdhsa_ieee_mode 1
		.amdhsa_fp16_overflow 0
		.amdhsa_tg_split 0
		.amdhsa_exception_fp_ieee_invalid_op 0
		.amdhsa_exception_fp_denorm_src 0
		.amdhsa_exception_fp_ieee_div_zero 0
		.amdhsa_exception_fp_ieee_overflow 0
		.amdhsa_exception_fp_ieee_underflow 0
		.amdhsa_exception_fp_ieee_inexact 0
		.amdhsa_exception_int_div_zero 0
	.end_amdhsa_kernel
	.section	.text._ZN7rocprim17ROCPRIM_400000_NS6detail17trampoline_kernelINS0_14default_configENS1_27scan_by_key_config_selectorIiiEEZZNS1_16scan_by_key_implILNS1_25lookback_scan_determinismE0ELb1ES3_N6thrust23THRUST_200600_302600_NS6detail15normal_iteratorINS9_10device_ptrIiEEEESE_SE_iNS9_4plusIiEE19head_flag_predicateiEE10hipError_tPvRmT2_T3_T4_T5_mT6_T7_P12ihipStream_tbENKUlT_T0_E_clISt17integral_constantIbLb0EESX_IbLb1EEEEDaST_SU_EUlST_E_NS1_11comp_targetILNS1_3genE10ELNS1_11target_archE1200ELNS1_3gpuE4ELNS1_3repE0EEENS1_30default_config_static_selectorELNS0_4arch9wavefront6targetE1EEEvT1_,"axG",@progbits,_ZN7rocprim17ROCPRIM_400000_NS6detail17trampoline_kernelINS0_14default_configENS1_27scan_by_key_config_selectorIiiEEZZNS1_16scan_by_key_implILNS1_25lookback_scan_determinismE0ELb1ES3_N6thrust23THRUST_200600_302600_NS6detail15normal_iteratorINS9_10device_ptrIiEEEESE_SE_iNS9_4plusIiEE19head_flag_predicateiEE10hipError_tPvRmT2_T3_T4_T5_mT6_T7_P12ihipStream_tbENKUlT_T0_E_clISt17integral_constantIbLb0EESX_IbLb1EEEEDaST_SU_EUlST_E_NS1_11comp_targetILNS1_3genE10ELNS1_11target_archE1200ELNS1_3gpuE4ELNS1_3repE0EEENS1_30default_config_static_selectorELNS0_4arch9wavefront6targetE1EEEvT1_,comdat
.Lfunc_end818:
	.size	_ZN7rocprim17ROCPRIM_400000_NS6detail17trampoline_kernelINS0_14default_configENS1_27scan_by_key_config_selectorIiiEEZZNS1_16scan_by_key_implILNS1_25lookback_scan_determinismE0ELb1ES3_N6thrust23THRUST_200600_302600_NS6detail15normal_iteratorINS9_10device_ptrIiEEEESE_SE_iNS9_4plusIiEE19head_flag_predicateiEE10hipError_tPvRmT2_T3_T4_T5_mT6_T7_P12ihipStream_tbENKUlT_T0_E_clISt17integral_constantIbLb0EESX_IbLb1EEEEDaST_SU_EUlST_E_NS1_11comp_targetILNS1_3genE10ELNS1_11target_archE1200ELNS1_3gpuE4ELNS1_3repE0EEENS1_30default_config_static_selectorELNS0_4arch9wavefront6targetE1EEEvT1_, .Lfunc_end818-_ZN7rocprim17ROCPRIM_400000_NS6detail17trampoline_kernelINS0_14default_configENS1_27scan_by_key_config_selectorIiiEEZZNS1_16scan_by_key_implILNS1_25lookback_scan_determinismE0ELb1ES3_N6thrust23THRUST_200600_302600_NS6detail15normal_iteratorINS9_10device_ptrIiEEEESE_SE_iNS9_4plusIiEE19head_flag_predicateiEE10hipError_tPvRmT2_T3_T4_T5_mT6_T7_P12ihipStream_tbENKUlT_T0_E_clISt17integral_constantIbLb0EESX_IbLb1EEEEDaST_SU_EUlST_E_NS1_11comp_targetILNS1_3genE10ELNS1_11target_archE1200ELNS1_3gpuE4ELNS1_3repE0EEENS1_30default_config_static_selectorELNS0_4arch9wavefront6targetE1EEEvT1_
                                        ; -- End function
	.section	.AMDGPU.csdata,"",@progbits
; Kernel info:
; codeLenInByte = 0
; NumSgprs: 6
; NumVgprs: 0
; NumAgprs: 0
; TotalNumVgprs: 0
; ScratchSize: 0
; MemoryBound: 0
; FloatMode: 240
; IeeeMode: 1
; LDSByteSize: 0 bytes/workgroup (compile time only)
; SGPRBlocks: 0
; VGPRBlocks: 0
; NumSGPRsForWavesPerEU: 6
; NumVGPRsForWavesPerEU: 1
; AccumOffset: 4
; Occupancy: 8
; WaveLimiterHint : 0
; COMPUTE_PGM_RSRC2:SCRATCH_EN: 0
; COMPUTE_PGM_RSRC2:USER_SGPR: 2
; COMPUTE_PGM_RSRC2:TRAP_HANDLER: 0
; COMPUTE_PGM_RSRC2:TGID_X_EN: 1
; COMPUTE_PGM_RSRC2:TGID_Y_EN: 0
; COMPUTE_PGM_RSRC2:TGID_Z_EN: 0
; COMPUTE_PGM_RSRC2:TIDIG_COMP_CNT: 0
; COMPUTE_PGM_RSRC3_GFX90A:ACCUM_OFFSET: 0
; COMPUTE_PGM_RSRC3_GFX90A:TG_SPLIT: 0
	.section	.text._ZN7rocprim17ROCPRIM_400000_NS6detail17trampoline_kernelINS0_14default_configENS1_27scan_by_key_config_selectorIiiEEZZNS1_16scan_by_key_implILNS1_25lookback_scan_determinismE0ELb1ES3_N6thrust23THRUST_200600_302600_NS6detail15normal_iteratorINS9_10device_ptrIiEEEESE_SE_iNS9_4plusIiEE19head_flag_predicateiEE10hipError_tPvRmT2_T3_T4_T5_mT6_T7_P12ihipStream_tbENKUlT_T0_E_clISt17integral_constantIbLb0EESX_IbLb1EEEEDaST_SU_EUlST_E_NS1_11comp_targetILNS1_3genE9ELNS1_11target_archE1100ELNS1_3gpuE3ELNS1_3repE0EEENS1_30default_config_static_selectorELNS0_4arch9wavefront6targetE1EEEvT1_,"axG",@progbits,_ZN7rocprim17ROCPRIM_400000_NS6detail17trampoline_kernelINS0_14default_configENS1_27scan_by_key_config_selectorIiiEEZZNS1_16scan_by_key_implILNS1_25lookback_scan_determinismE0ELb1ES3_N6thrust23THRUST_200600_302600_NS6detail15normal_iteratorINS9_10device_ptrIiEEEESE_SE_iNS9_4plusIiEE19head_flag_predicateiEE10hipError_tPvRmT2_T3_T4_T5_mT6_T7_P12ihipStream_tbENKUlT_T0_E_clISt17integral_constantIbLb0EESX_IbLb1EEEEDaST_SU_EUlST_E_NS1_11comp_targetILNS1_3genE9ELNS1_11target_archE1100ELNS1_3gpuE3ELNS1_3repE0EEENS1_30default_config_static_selectorELNS0_4arch9wavefront6targetE1EEEvT1_,comdat
	.protected	_ZN7rocprim17ROCPRIM_400000_NS6detail17trampoline_kernelINS0_14default_configENS1_27scan_by_key_config_selectorIiiEEZZNS1_16scan_by_key_implILNS1_25lookback_scan_determinismE0ELb1ES3_N6thrust23THRUST_200600_302600_NS6detail15normal_iteratorINS9_10device_ptrIiEEEESE_SE_iNS9_4plusIiEE19head_flag_predicateiEE10hipError_tPvRmT2_T3_T4_T5_mT6_T7_P12ihipStream_tbENKUlT_T0_E_clISt17integral_constantIbLb0EESX_IbLb1EEEEDaST_SU_EUlST_E_NS1_11comp_targetILNS1_3genE9ELNS1_11target_archE1100ELNS1_3gpuE3ELNS1_3repE0EEENS1_30default_config_static_selectorELNS0_4arch9wavefront6targetE1EEEvT1_ ; -- Begin function _ZN7rocprim17ROCPRIM_400000_NS6detail17trampoline_kernelINS0_14default_configENS1_27scan_by_key_config_selectorIiiEEZZNS1_16scan_by_key_implILNS1_25lookback_scan_determinismE0ELb1ES3_N6thrust23THRUST_200600_302600_NS6detail15normal_iteratorINS9_10device_ptrIiEEEESE_SE_iNS9_4plusIiEE19head_flag_predicateiEE10hipError_tPvRmT2_T3_T4_T5_mT6_T7_P12ihipStream_tbENKUlT_T0_E_clISt17integral_constantIbLb0EESX_IbLb1EEEEDaST_SU_EUlST_E_NS1_11comp_targetILNS1_3genE9ELNS1_11target_archE1100ELNS1_3gpuE3ELNS1_3repE0EEENS1_30default_config_static_selectorELNS0_4arch9wavefront6targetE1EEEvT1_
	.globl	_ZN7rocprim17ROCPRIM_400000_NS6detail17trampoline_kernelINS0_14default_configENS1_27scan_by_key_config_selectorIiiEEZZNS1_16scan_by_key_implILNS1_25lookback_scan_determinismE0ELb1ES3_N6thrust23THRUST_200600_302600_NS6detail15normal_iteratorINS9_10device_ptrIiEEEESE_SE_iNS9_4plusIiEE19head_flag_predicateiEE10hipError_tPvRmT2_T3_T4_T5_mT6_T7_P12ihipStream_tbENKUlT_T0_E_clISt17integral_constantIbLb0EESX_IbLb1EEEEDaST_SU_EUlST_E_NS1_11comp_targetILNS1_3genE9ELNS1_11target_archE1100ELNS1_3gpuE3ELNS1_3repE0EEENS1_30default_config_static_selectorELNS0_4arch9wavefront6targetE1EEEvT1_
	.p2align	8
	.type	_ZN7rocprim17ROCPRIM_400000_NS6detail17trampoline_kernelINS0_14default_configENS1_27scan_by_key_config_selectorIiiEEZZNS1_16scan_by_key_implILNS1_25lookback_scan_determinismE0ELb1ES3_N6thrust23THRUST_200600_302600_NS6detail15normal_iteratorINS9_10device_ptrIiEEEESE_SE_iNS9_4plusIiEE19head_flag_predicateiEE10hipError_tPvRmT2_T3_T4_T5_mT6_T7_P12ihipStream_tbENKUlT_T0_E_clISt17integral_constantIbLb0EESX_IbLb1EEEEDaST_SU_EUlST_E_NS1_11comp_targetILNS1_3genE9ELNS1_11target_archE1100ELNS1_3gpuE3ELNS1_3repE0EEENS1_30default_config_static_selectorELNS0_4arch9wavefront6targetE1EEEvT1_,@function
_ZN7rocprim17ROCPRIM_400000_NS6detail17trampoline_kernelINS0_14default_configENS1_27scan_by_key_config_selectorIiiEEZZNS1_16scan_by_key_implILNS1_25lookback_scan_determinismE0ELb1ES3_N6thrust23THRUST_200600_302600_NS6detail15normal_iteratorINS9_10device_ptrIiEEEESE_SE_iNS9_4plusIiEE19head_flag_predicateiEE10hipError_tPvRmT2_T3_T4_T5_mT6_T7_P12ihipStream_tbENKUlT_T0_E_clISt17integral_constantIbLb0EESX_IbLb1EEEEDaST_SU_EUlST_E_NS1_11comp_targetILNS1_3genE9ELNS1_11target_archE1100ELNS1_3gpuE3ELNS1_3repE0EEENS1_30default_config_static_selectorELNS0_4arch9wavefront6targetE1EEEvT1_: ; @_ZN7rocprim17ROCPRIM_400000_NS6detail17trampoline_kernelINS0_14default_configENS1_27scan_by_key_config_selectorIiiEEZZNS1_16scan_by_key_implILNS1_25lookback_scan_determinismE0ELb1ES3_N6thrust23THRUST_200600_302600_NS6detail15normal_iteratorINS9_10device_ptrIiEEEESE_SE_iNS9_4plusIiEE19head_flag_predicateiEE10hipError_tPvRmT2_T3_T4_T5_mT6_T7_P12ihipStream_tbENKUlT_T0_E_clISt17integral_constantIbLb0EESX_IbLb1EEEEDaST_SU_EUlST_E_NS1_11comp_targetILNS1_3genE9ELNS1_11target_archE1100ELNS1_3gpuE3ELNS1_3repE0EEENS1_30default_config_static_selectorELNS0_4arch9wavefront6targetE1EEEvT1_
; %bb.0:
	.section	.rodata,"a",@progbits
	.p2align	6, 0x0
	.amdhsa_kernel _ZN7rocprim17ROCPRIM_400000_NS6detail17trampoline_kernelINS0_14default_configENS1_27scan_by_key_config_selectorIiiEEZZNS1_16scan_by_key_implILNS1_25lookback_scan_determinismE0ELb1ES3_N6thrust23THRUST_200600_302600_NS6detail15normal_iteratorINS9_10device_ptrIiEEEESE_SE_iNS9_4plusIiEE19head_flag_predicateiEE10hipError_tPvRmT2_T3_T4_T5_mT6_T7_P12ihipStream_tbENKUlT_T0_E_clISt17integral_constantIbLb0EESX_IbLb1EEEEDaST_SU_EUlST_E_NS1_11comp_targetILNS1_3genE9ELNS1_11target_archE1100ELNS1_3gpuE3ELNS1_3repE0EEENS1_30default_config_static_selectorELNS0_4arch9wavefront6targetE1EEEvT1_
		.amdhsa_group_segment_fixed_size 0
		.amdhsa_private_segment_fixed_size 0
		.amdhsa_kernarg_size 112
		.amdhsa_user_sgpr_count 2
		.amdhsa_user_sgpr_dispatch_ptr 0
		.amdhsa_user_sgpr_queue_ptr 0
		.amdhsa_user_sgpr_kernarg_segment_ptr 1
		.amdhsa_user_sgpr_dispatch_id 0
		.amdhsa_user_sgpr_kernarg_preload_length 0
		.amdhsa_user_sgpr_kernarg_preload_offset 0
		.amdhsa_user_sgpr_private_segment_size 0
		.amdhsa_uses_dynamic_stack 0
		.amdhsa_enable_private_segment 0
		.amdhsa_system_sgpr_workgroup_id_x 1
		.amdhsa_system_sgpr_workgroup_id_y 0
		.amdhsa_system_sgpr_workgroup_id_z 0
		.amdhsa_system_sgpr_workgroup_info 0
		.amdhsa_system_vgpr_workitem_id 0
		.amdhsa_next_free_vgpr 1
		.amdhsa_next_free_sgpr 0
		.amdhsa_accum_offset 4
		.amdhsa_reserve_vcc 0
		.amdhsa_float_round_mode_32 0
		.amdhsa_float_round_mode_16_64 0
		.amdhsa_float_denorm_mode_32 3
		.amdhsa_float_denorm_mode_16_64 3
		.amdhsa_dx10_clamp 1
		.amdhsa_ieee_mode 1
		.amdhsa_fp16_overflow 0
		.amdhsa_tg_split 0
		.amdhsa_exception_fp_ieee_invalid_op 0
		.amdhsa_exception_fp_denorm_src 0
		.amdhsa_exception_fp_ieee_div_zero 0
		.amdhsa_exception_fp_ieee_overflow 0
		.amdhsa_exception_fp_ieee_underflow 0
		.amdhsa_exception_fp_ieee_inexact 0
		.amdhsa_exception_int_div_zero 0
	.end_amdhsa_kernel
	.section	.text._ZN7rocprim17ROCPRIM_400000_NS6detail17trampoline_kernelINS0_14default_configENS1_27scan_by_key_config_selectorIiiEEZZNS1_16scan_by_key_implILNS1_25lookback_scan_determinismE0ELb1ES3_N6thrust23THRUST_200600_302600_NS6detail15normal_iteratorINS9_10device_ptrIiEEEESE_SE_iNS9_4plusIiEE19head_flag_predicateiEE10hipError_tPvRmT2_T3_T4_T5_mT6_T7_P12ihipStream_tbENKUlT_T0_E_clISt17integral_constantIbLb0EESX_IbLb1EEEEDaST_SU_EUlST_E_NS1_11comp_targetILNS1_3genE9ELNS1_11target_archE1100ELNS1_3gpuE3ELNS1_3repE0EEENS1_30default_config_static_selectorELNS0_4arch9wavefront6targetE1EEEvT1_,"axG",@progbits,_ZN7rocprim17ROCPRIM_400000_NS6detail17trampoline_kernelINS0_14default_configENS1_27scan_by_key_config_selectorIiiEEZZNS1_16scan_by_key_implILNS1_25lookback_scan_determinismE0ELb1ES3_N6thrust23THRUST_200600_302600_NS6detail15normal_iteratorINS9_10device_ptrIiEEEESE_SE_iNS9_4plusIiEE19head_flag_predicateiEE10hipError_tPvRmT2_T3_T4_T5_mT6_T7_P12ihipStream_tbENKUlT_T0_E_clISt17integral_constantIbLb0EESX_IbLb1EEEEDaST_SU_EUlST_E_NS1_11comp_targetILNS1_3genE9ELNS1_11target_archE1100ELNS1_3gpuE3ELNS1_3repE0EEENS1_30default_config_static_selectorELNS0_4arch9wavefront6targetE1EEEvT1_,comdat
.Lfunc_end819:
	.size	_ZN7rocprim17ROCPRIM_400000_NS6detail17trampoline_kernelINS0_14default_configENS1_27scan_by_key_config_selectorIiiEEZZNS1_16scan_by_key_implILNS1_25lookback_scan_determinismE0ELb1ES3_N6thrust23THRUST_200600_302600_NS6detail15normal_iteratorINS9_10device_ptrIiEEEESE_SE_iNS9_4plusIiEE19head_flag_predicateiEE10hipError_tPvRmT2_T3_T4_T5_mT6_T7_P12ihipStream_tbENKUlT_T0_E_clISt17integral_constantIbLb0EESX_IbLb1EEEEDaST_SU_EUlST_E_NS1_11comp_targetILNS1_3genE9ELNS1_11target_archE1100ELNS1_3gpuE3ELNS1_3repE0EEENS1_30default_config_static_selectorELNS0_4arch9wavefront6targetE1EEEvT1_, .Lfunc_end819-_ZN7rocprim17ROCPRIM_400000_NS6detail17trampoline_kernelINS0_14default_configENS1_27scan_by_key_config_selectorIiiEEZZNS1_16scan_by_key_implILNS1_25lookback_scan_determinismE0ELb1ES3_N6thrust23THRUST_200600_302600_NS6detail15normal_iteratorINS9_10device_ptrIiEEEESE_SE_iNS9_4plusIiEE19head_flag_predicateiEE10hipError_tPvRmT2_T3_T4_T5_mT6_T7_P12ihipStream_tbENKUlT_T0_E_clISt17integral_constantIbLb0EESX_IbLb1EEEEDaST_SU_EUlST_E_NS1_11comp_targetILNS1_3genE9ELNS1_11target_archE1100ELNS1_3gpuE3ELNS1_3repE0EEENS1_30default_config_static_selectorELNS0_4arch9wavefront6targetE1EEEvT1_
                                        ; -- End function
	.section	.AMDGPU.csdata,"",@progbits
; Kernel info:
; codeLenInByte = 0
; NumSgprs: 6
; NumVgprs: 0
; NumAgprs: 0
; TotalNumVgprs: 0
; ScratchSize: 0
; MemoryBound: 0
; FloatMode: 240
; IeeeMode: 1
; LDSByteSize: 0 bytes/workgroup (compile time only)
; SGPRBlocks: 0
; VGPRBlocks: 0
; NumSGPRsForWavesPerEU: 6
; NumVGPRsForWavesPerEU: 1
; AccumOffset: 4
; Occupancy: 8
; WaveLimiterHint : 0
; COMPUTE_PGM_RSRC2:SCRATCH_EN: 0
; COMPUTE_PGM_RSRC2:USER_SGPR: 2
; COMPUTE_PGM_RSRC2:TRAP_HANDLER: 0
; COMPUTE_PGM_RSRC2:TGID_X_EN: 1
; COMPUTE_PGM_RSRC2:TGID_Y_EN: 0
; COMPUTE_PGM_RSRC2:TGID_Z_EN: 0
; COMPUTE_PGM_RSRC2:TIDIG_COMP_CNT: 0
; COMPUTE_PGM_RSRC3_GFX90A:ACCUM_OFFSET: 0
; COMPUTE_PGM_RSRC3_GFX90A:TG_SPLIT: 0
	.section	.text._ZN7rocprim17ROCPRIM_400000_NS6detail17trampoline_kernelINS0_14default_configENS1_27scan_by_key_config_selectorIiiEEZZNS1_16scan_by_key_implILNS1_25lookback_scan_determinismE0ELb1ES3_N6thrust23THRUST_200600_302600_NS6detail15normal_iteratorINS9_10device_ptrIiEEEESE_SE_iNS9_4plusIiEE19head_flag_predicateiEE10hipError_tPvRmT2_T3_T4_T5_mT6_T7_P12ihipStream_tbENKUlT_T0_E_clISt17integral_constantIbLb0EESX_IbLb1EEEEDaST_SU_EUlST_E_NS1_11comp_targetILNS1_3genE8ELNS1_11target_archE1030ELNS1_3gpuE2ELNS1_3repE0EEENS1_30default_config_static_selectorELNS0_4arch9wavefront6targetE1EEEvT1_,"axG",@progbits,_ZN7rocprim17ROCPRIM_400000_NS6detail17trampoline_kernelINS0_14default_configENS1_27scan_by_key_config_selectorIiiEEZZNS1_16scan_by_key_implILNS1_25lookback_scan_determinismE0ELb1ES3_N6thrust23THRUST_200600_302600_NS6detail15normal_iteratorINS9_10device_ptrIiEEEESE_SE_iNS9_4plusIiEE19head_flag_predicateiEE10hipError_tPvRmT2_T3_T4_T5_mT6_T7_P12ihipStream_tbENKUlT_T0_E_clISt17integral_constantIbLb0EESX_IbLb1EEEEDaST_SU_EUlST_E_NS1_11comp_targetILNS1_3genE8ELNS1_11target_archE1030ELNS1_3gpuE2ELNS1_3repE0EEENS1_30default_config_static_selectorELNS0_4arch9wavefront6targetE1EEEvT1_,comdat
	.protected	_ZN7rocprim17ROCPRIM_400000_NS6detail17trampoline_kernelINS0_14default_configENS1_27scan_by_key_config_selectorIiiEEZZNS1_16scan_by_key_implILNS1_25lookback_scan_determinismE0ELb1ES3_N6thrust23THRUST_200600_302600_NS6detail15normal_iteratorINS9_10device_ptrIiEEEESE_SE_iNS9_4plusIiEE19head_flag_predicateiEE10hipError_tPvRmT2_T3_T4_T5_mT6_T7_P12ihipStream_tbENKUlT_T0_E_clISt17integral_constantIbLb0EESX_IbLb1EEEEDaST_SU_EUlST_E_NS1_11comp_targetILNS1_3genE8ELNS1_11target_archE1030ELNS1_3gpuE2ELNS1_3repE0EEENS1_30default_config_static_selectorELNS0_4arch9wavefront6targetE1EEEvT1_ ; -- Begin function _ZN7rocprim17ROCPRIM_400000_NS6detail17trampoline_kernelINS0_14default_configENS1_27scan_by_key_config_selectorIiiEEZZNS1_16scan_by_key_implILNS1_25lookback_scan_determinismE0ELb1ES3_N6thrust23THRUST_200600_302600_NS6detail15normal_iteratorINS9_10device_ptrIiEEEESE_SE_iNS9_4plusIiEE19head_flag_predicateiEE10hipError_tPvRmT2_T3_T4_T5_mT6_T7_P12ihipStream_tbENKUlT_T0_E_clISt17integral_constantIbLb0EESX_IbLb1EEEEDaST_SU_EUlST_E_NS1_11comp_targetILNS1_3genE8ELNS1_11target_archE1030ELNS1_3gpuE2ELNS1_3repE0EEENS1_30default_config_static_selectorELNS0_4arch9wavefront6targetE1EEEvT1_
	.globl	_ZN7rocprim17ROCPRIM_400000_NS6detail17trampoline_kernelINS0_14default_configENS1_27scan_by_key_config_selectorIiiEEZZNS1_16scan_by_key_implILNS1_25lookback_scan_determinismE0ELb1ES3_N6thrust23THRUST_200600_302600_NS6detail15normal_iteratorINS9_10device_ptrIiEEEESE_SE_iNS9_4plusIiEE19head_flag_predicateiEE10hipError_tPvRmT2_T3_T4_T5_mT6_T7_P12ihipStream_tbENKUlT_T0_E_clISt17integral_constantIbLb0EESX_IbLb1EEEEDaST_SU_EUlST_E_NS1_11comp_targetILNS1_3genE8ELNS1_11target_archE1030ELNS1_3gpuE2ELNS1_3repE0EEENS1_30default_config_static_selectorELNS0_4arch9wavefront6targetE1EEEvT1_
	.p2align	8
	.type	_ZN7rocprim17ROCPRIM_400000_NS6detail17trampoline_kernelINS0_14default_configENS1_27scan_by_key_config_selectorIiiEEZZNS1_16scan_by_key_implILNS1_25lookback_scan_determinismE0ELb1ES3_N6thrust23THRUST_200600_302600_NS6detail15normal_iteratorINS9_10device_ptrIiEEEESE_SE_iNS9_4plusIiEE19head_flag_predicateiEE10hipError_tPvRmT2_T3_T4_T5_mT6_T7_P12ihipStream_tbENKUlT_T0_E_clISt17integral_constantIbLb0EESX_IbLb1EEEEDaST_SU_EUlST_E_NS1_11comp_targetILNS1_3genE8ELNS1_11target_archE1030ELNS1_3gpuE2ELNS1_3repE0EEENS1_30default_config_static_selectorELNS0_4arch9wavefront6targetE1EEEvT1_,@function
_ZN7rocprim17ROCPRIM_400000_NS6detail17trampoline_kernelINS0_14default_configENS1_27scan_by_key_config_selectorIiiEEZZNS1_16scan_by_key_implILNS1_25lookback_scan_determinismE0ELb1ES3_N6thrust23THRUST_200600_302600_NS6detail15normal_iteratorINS9_10device_ptrIiEEEESE_SE_iNS9_4plusIiEE19head_flag_predicateiEE10hipError_tPvRmT2_T3_T4_T5_mT6_T7_P12ihipStream_tbENKUlT_T0_E_clISt17integral_constantIbLb0EESX_IbLb1EEEEDaST_SU_EUlST_E_NS1_11comp_targetILNS1_3genE8ELNS1_11target_archE1030ELNS1_3gpuE2ELNS1_3repE0EEENS1_30default_config_static_selectorELNS0_4arch9wavefront6targetE1EEEvT1_: ; @_ZN7rocprim17ROCPRIM_400000_NS6detail17trampoline_kernelINS0_14default_configENS1_27scan_by_key_config_selectorIiiEEZZNS1_16scan_by_key_implILNS1_25lookback_scan_determinismE0ELb1ES3_N6thrust23THRUST_200600_302600_NS6detail15normal_iteratorINS9_10device_ptrIiEEEESE_SE_iNS9_4plusIiEE19head_flag_predicateiEE10hipError_tPvRmT2_T3_T4_T5_mT6_T7_P12ihipStream_tbENKUlT_T0_E_clISt17integral_constantIbLb0EESX_IbLb1EEEEDaST_SU_EUlST_E_NS1_11comp_targetILNS1_3genE8ELNS1_11target_archE1030ELNS1_3gpuE2ELNS1_3repE0EEENS1_30default_config_static_selectorELNS0_4arch9wavefront6targetE1EEEvT1_
; %bb.0:
	.section	.rodata,"a",@progbits
	.p2align	6, 0x0
	.amdhsa_kernel _ZN7rocprim17ROCPRIM_400000_NS6detail17trampoline_kernelINS0_14default_configENS1_27scan_by_key_config_selectorIiiEEZZNS1_16scan_by_key_implILNS1_25lookback_scan_determinismE0ELb1ES3_N6thrust23THRUST_200600_302600_NS6detail15normal_iteratorINS9_10device_ptrIiEEEESE_SE_iNS9_4plusIiEE19head_flag_predicateiEE10hipError_tPvRmT2_T3_T4_T5_mT6_T7_P12ihipStream_tbENKUlT_T0_E_clISt17integral_constantIbLb0EESX_IbLb1EEEEDaST_SU_EUlST_E_NS1_11comp_targetILNS1_3genE8ELNS1_11target_archE1030ELNS1_3gpuE2ELNS1_3repE0EEENS1_30default_config_static_selectorELNS0_4arch9wavefront6targetE1EEEvT1_
		.amdhsa_group_segment_fixed_size 0
		.amdhsa_private_segment_fixed_size 0
		.amdhsa_kernarg_size 112
		.amdhsa_user_sgpr_count 2
		.amdhsa_user_sgpr_dispatch_ptr 0
		.amdhsa_user_sgpr_queue_ptr 0
		.amdhsa_user_sgpr_kernarg_segment_ptr 1
		.amdhsa_user_sgpr_dispatch_id 0
		.amdhsa_user_sgpr_kernarg_preload_length 0
		.amdhsa_user_sgpr_kernarg_preload_offset 0
		.amdhsa_user_sgpr_private_segment_size 0
		.amdhsa_uses_dynamic_stack 0
		.amdhsa_enable_private_segment 0
		.amdhsa_system_sgpr_workgroup_id_x 1
		.amdhsa_system_sgpr_workgroup_id_y 0
		.amdhsa_system_sgpr_workgroup_id_z 0
		.amdhsa_system_sgpr_workgroup_info 0
		.amdhsa_system_vgpr_workitem_id 0
		.amdhsa_next_free_vgpr 1
		.amdhsa_next_free_sgpr 0
		.amdhsa_accum_offset 4
		.amdhsa_reserve_vcc 0
		.amdhsa_float_round_mode_32 0
		.amdhsa_float_round_mode_16_64 0
		.amdhsa_float_denorm_mode_32 3
		.amdhsa_float_denorm_mode_16_64 3
		.amdhsa_dx10_clamp 1
		.amdhsa_ieee_mode 1
		.amdhsa_fp16_overflow 0
		.amdhsa_tg_split 0
		.amdhsa_exception_fp_ieee_invalid_op 0
		.amdhsa_exception_fp_denorm_src 0
		.amdhsa_exception_fp_ieee_div_zero 0
		.amdhsa_exception_fp_ieee_overflow 0
		.amdhsa_exception_fp_ieee_underflow 0
		.amdhsa_exception_fp_ieee_inexact 0
		.amdhsa_exception_int_div_zero 0
	.end_amdhsa_kernel
	.section	.text._ZN7rocprim17ROCPRIM_400000_NS6detail17trampoline_kernelINS0_14default_configENS1_27scan_by_key_config_selectorIiiEEZZNS1_16scan_by_key_implILNS1_25lookback_scan_determinismE0ELb1ES3_N6thrust23THRUST_200600_302600_NS6detail15normal_iteratorINS9_10device_ptrIiEEEESE_SE_iNS9_4plusIiEE19head_flag_predicateiEE10hipError_tPvRmT2_T3_T4_T5_mT6_T7_P12ihipStream_tbENKUlT_T0_E_clISt17integral_constantIbLb0EESX_IbLb1EEEEDaST_SU_EUlST_E_NS1_11comp_targetILNS1_3genE8ELNS1_11target_archE1030ELNS1_3gpuE2ELNS1_3repE0EEENS1_30default_config_static_selectorELNS0_4arch9wavefront6targetE1EEEvT1_,"axG",@progbits,_ZN7rocprim17ROCPRIM_400000_NS6detail17trampoline_kernelINS0_14default_configENS1_27scan_by_key_config_selectorIiiEEZZNS1_16scan_by_key_implILNS1_25lookback_scan_determinismE0ELb1ES3_N6thrust23THRUST_200600_302600_NS6detail15normal_iteratorINS9_10device_ptrIiEEEESE_SE_iNS9_4plusIiEE19head_flag_predicateiEE10hipError_tPvRmT2_T3_T4_T5_mT6_T7_P12ihipStream_tbENKUlT_T0_E_clISt17integral_constantIbLb0EESX_IbLb1EEEEDaST_SU_EUlST_E_NS1_11comp_targetILNS1_3genE8ELNS1_11target_archE1030ELNS1_3gpuE2ELNS1_3repE0EEENS1_30default_config_static_selectorELNS0_4arch9wavefront6targetE1EEEvT1_,comdat
.Lfunc_end820:
	.size	_ZN7rocprim17ROCPRIM_400000_NS6detail17trampoline_kernelINS0_14default_configENS1_27scan_by_key_config_selectorIiiEEZZNS1_16scan_by_key_implILNS1_25lookback_scan_determinismE0ELb1ES3_N6thrust23THRUST_200600_302600_NS6detail15normal_iteratorINS9_10device_ptrIiEEEESE_SE_iNS9_4plusIiEE19head_flag_predicateiEE10hipError_tPvRmT2_T3_T4_T5_mT6_T7_P12ihipStream_tbENKUlT_T0_E_clISt17integral_constantIbLb0EESX_IbLb1EEEEDaST_SU_EUlST_E_NS1_11comp_targetILNS1_3genE8ELNS1_11target_archE1030ELNS1_3gpuE2ELNS1_3repE0EEENS1_30default_config_static_selectorELNS0_4arch9wavefront6targetE1EEEvT1_, .Lfunc_end820-_ZN7rocprim17ROCPRIM_400000_NS6detail17trampoline_kernelINS0_14default_configENS1_27scan_by_key_config_selectorIiiEEZZNS1_16scan_by_key_implILNS1_25lookback_scan_determinismE0ELb1ES3_N6thrust23THRUST_200600_302600_NS6detail15normal_iteratorINS9_10device_ptrIiEEEESE_SE_iNS9_4plusIiEE19head_flag_predicateiEE10hipError_tPvRmT2_T3_T4_T5_mT6_T7_P12ihipStream_tbENKUlT_T0_E_clISt17integral_constantIbLb0EESX_IbLb1EEEEDaST_SU_EUlST_E_NS1_11comp_targetILNS1_3genE8ELNS1_11target_archE1030ELNS1_3gpuE2ELNS1_3repE0EEENS1_30default_config_static_selectorELNS0_4arch9wavefront6targetE1EEEvT1_
                                        ; -- End function
	.section	.AMDGPU.csdata,"",@progbits
; Kernel info:
; codeLenInByte = 0
; NumSgprs: 6
; NumVgprs: 0
; NumAgprs: 0
; TotalNumVgprs: 0
; ScratchSize: 0
; MemoryBound: 0
; FloatMode: 240
; IeeeMode: 1
; LDSByteSize: 0 bytes/workgroup (compile time only)
; SGPRBlocks: 0
; VGPRBlocks: 0
; NumSGPRsForWavesPerEU: 6
; NumVGPRsForWavesPerEU: 1
; AccumOffset: 4
; Occupancy: 8
; WaveLimiterHint : 0
; COMPUTE_PGM_RSRC2:SCRATCH_EN: 0
; COMPUTE_PGM_RSRC2:USER_SGPR: 2
; COMPUTE_PGM_RSRC2:TRAP_HANDLER: 0
; COMPUTE_PGM_RSRC2:TGID_X_EN: 1
; COMPUTE_PGM_RSRC2:TGID_Y_EN: 0
; COMPUTE_PGM_RSRC2:TGID_Z_EN: 0
; COMPUTE_PGM_RSRC2:TIDIG_COMP_CNT: 0
; COMPUTE_PGM_RSRC3_GFX90A:ACCUM_OFFSET: 0
; COMPUTE_PGM_RSRC3_GFX90A:TG_SPLIT: 0
	.section	.text._ZN7rocprim17ROCPRIM_400000_NS6detail17trampoline_kernelINS0_14default_configENS1_27scan_by_key_config_selectorIssEEZZNS1_16scan_by_key_implILNS1_25lookback_scan_determinismE0ELb0ES3_N6thrust23THRUST_200600_302600_NS6detail15normal_iteratorINS9_10device_ptrIsEEEESE_SE_sNS9_4plusIsEE19head_flag_predicatesEE10hipError_tPvRmT2_T3_T4_T5_mT6_T7_P12ihipStream_tbENKUlT_T0_E_clISt17integral_constantIbLb0EESY_EEDaST_SU_EUlST_E_NS1_11comp_targetILNS1_3genE0ELNS1_11target_archE4294967295ELNS1_3gpuE0ELNS1_3repE0EEENS1_30default_config_static_selectorELNS0_4arch9wavefront6targetE1EEEvT1_,"axG",@progbits,_ZN7rocprim17ROCPRIM_400000_NS6detail17trampoline_kernelINS0_14default_configENS1_27scan_by_key_config_selectorIssEEZZNS1_16scan_by_key_implILNS1_25lookback_scan_determinismE0ELb0ES3_N6thrust23THRUST_200600_302600_NS6detail15normal_iteratorINS9_10device_ptrIsEEEESE_SE_sNS9_4plusIsEE19head_flag_predicatesEE10hipError_tPvRmT2_T3_T4_T5_mT6_T7_P12ihipStream_tbENKUlT_T0_E_clISt17integral_constantIbLb0EESY_EEDaST_SU_EUlST_E_NS1_11comp_targetILNS1_3genE0ELNS1_11target_archE4294967295ELNS1_3gpuE0ELNS1_3repE0EEENS1_30default_config_static_selectorELNS0_4arch9wavefront6targetE1EEEvT1_,comdat
	.protected	_ZN7rocprim17ROCPRIM_400000_NS6detail17trampoline_kernelINS0_14default_configENS1_27scan_by_key_config_selectorIssEEZZNS1_16scan_by_key_implILNS1_25lookback_scan_determinismE0ELb0ES3_N6thrust23THRUST_200600_302600_NS6detail15normal_iteratorINS9_10device_ptrIsEEEESE_SE_sNS9_4plusIsEE19head_flag_predicatesEE10hipError_tPvRmT2_T3_T4_T5_mT6_T7_P12ihipStream_tbENKUlT_T0_E_clISt17integral_constantIbLb0EESY_EEDaST_SU_EUlST_E_NS1_11comp_targetILNS1_3genE0ELNS1_11target_archE4294967295ELNS1_3gpuE0ELNS1_3repE0EEENS1_30default_config_static_selectorELNS0_4arch9wavefront6targetE1EEEvT1_ ; -- Begin function _ZN7rocprim17ROCPRIM_400000_NS6detail17trampoline_kernelINS0_14default_configENS1_27scan_by_key_config_selectorIssEEZZNS1_16scan_by_key_implILNS1_25lookback_scan_determinismE0ELb0ES3_N6thrust23THRUST_200600_302600_NS6detail15normal_iteratorINS9_10device_ptrIsEEEESE_SE_sNS9_4plusIsEE19head_flag_predicatesEE10hipError_tPvRmT2_T3_T4_T5_mT6_T7_P12ihipStream_tbENKUlT_T0_E_clISt17integral_constantIbLb0EESY_EEDaST_SU_EUlST_E_NS1_11comp_targetILNS1_3genE0ELNS1_11target_archE4294967295ELNS1_3gpuE0ELNS1_3repE0EEENS1_30default_config_static_selectorELNS0_4arch9wavefront6targetE1EEEvT1_
	.globl	_ZN7rocprim17ROCPRIM_400000_NS6detail17trampoline_kernelINS0_14default_configENS1_27scan_by_key_config_selectorIssEEZZNS1_16scan_by_key_implILNS1_25lookback_scan_determinismE0ELb0ES3_N6thrust23THRUST_200600_302600_NS6detail15normal_iteratorINS9_10device_ptrIsEEEESE_SE_sNS9_4plusIsEE19head_flag_predicatesEE10hipError_tPvRmT2_T3_T4_T5_mT6_T7_P12ihipStream_tbENKUlT_T0_E_clISt17integral_constantIbLb0EESY_EEDaST_SU_EUlST_E_NS1_11comp_targetILNS1_3genE0ELNS1_11target_archE4294967295ELNS1_3gpuE0ELNS1_3repE0EEENS1_30default_config_static_selectorELNS0_4arch9wavefront6targetE1EEEvT1_
	.p2align	8
	.type	_ZN7rocprim17ROCPRIM_400000_NS6detail17trampoline_kernelINS0_14default_configENS1_27scan_by_key_config_selectorIssEEZZNS1_16scan_by_key_implILNS1_25lookback_scan_determinismE0ELb0ES3_N6thrust23THRUST_200600_302600_NS6detail15normal_iteratorINS9_10device_ptrIsEEEESE_SE_sNS9_4plusIsEE19head_flag_predicatesEE10hipError_tPvRmT2_T3_T4_T5_mT6_T7_P12ihipStream_tbENKUlT_T0_E_clISt17integral_constantIbLb0EESY_EEDaST_SU_EUlST_E_NS1_11comp_targetILNS1_3genE0ELNS1_11target_archE4294967295ELNS1_3gpuE0ELNS1_3repE0EEENS1_30default_config_static_selectorELNS0_4arch9wavefront6targetE1EEEvT1_,@function
_ZN7rocprim17ROCPRIM_400000_NS6detail17trampoline_kernelINS0_14default_configENS1_27scan_by_key_config_selectorIssEEZZNS1_16scan_by_key_implILNS1_25lookback_scan_determinismE0ELb0ES3_N6thrust23THRUST_200600_302600_NS6detail15normal_iteratorINS9_10device_ptrIsEEEESE_SE_sNS9_4plusIsEE19head_flag_predicatesEE10hipError_tPvRmT2_T3_T4_T5_mT6_T7_P12ihipStream_tbENKUlT_T0_E_clISt17integral_constantIbLb0EESY_EEDaST_SU_EUlST_E_NS1_11comp_targetILNS1_3genE0ELNS1_11target_archE4294967295ELNS1_3gpuE0ELNS1_3repE0EEENS1_30default_config_static_selectorELNS0_4arch9wavefront6targetE1EEEvT1_: ; @_ZN7rocprim17ROCPRIM_400000_NS6detail17trampoline_kernelINS0_14default_configENS1_27scan_by_key_config_selectorIssEEZZNS1_16scan_by_key_implILNS1_25lookback_scan_determinismE0ELb0ES3_N6thrust23THRUST_200600_302600_NS6detail15normal_iteratorINS9_10device_ptrIsEEEESE_SE_sNS9_4plusIsEE19head_flag_predicatesEE10hipError_tPvRmT2_T3_T4_T5_mT6_T7_P12ihipStream_tbENKUlT_T0_E_clISt17integral_constantIbLb0EESY_EEDaST_SU_EUlST_E_NS1_11comp_targetILNS1_3genE0ELNS1_11target_archE4294967295ELNS1_3gpuE0ELNS1_3repE0EEENS1_30default_config_static_selectorELNS0_4arch9wavefront6targetE1EEEvT1_
; %bb.0:
	.section	.rodata,"a",@progbits
	.p2align	6, 0x0
	.amdhsa_kernel _ZN7rocprim17ROCPRIM_400000_NS6detail17trampoline_kernelINS0_14default_configENS1_27scan_by_key_config_selectorIssEEZZNS1_16scan_by_key_implILNS1_25lookback_scan_determinismE0ELb0ES3_N6thrust23THRUST_200600_302600_NS6detail15normal_iteratorINS9_10device_ptrIsEEEESE_SE_sNS9_4plusIsEE19head_flag_predicatesEE10hipError_tPvRmT2_T3_T4_T5_mT6_T7_P12ihipStream_tbENKUlT_T0_E_clISt17integral_constantIbLb0EESY_EEDaST_SU_EUlST_E_NS1_11comp_targetILNS1_3genE0ELNS1_11target_archE4294967295ELNS1_3gpuE0ELNS1_3repE0EEENS1_30default_config_static_selectorELNS0_4arch9wavefront6targetE1EEEvT1_
		.amdhsa_group_segment_fixed_size 0
		.amdhsa_private_segment_fixed_size 0
		.amdhsa_kernarg_size 112
		.amdhsa_user_sgpr_count 2
		.amdhsa_user_sgpr_dispatch_ptr 0
		.amdhsa_user_sgpr_queue_ptr 0
		.amdhsa_user_sgpr_kernarg_segment_ptr 1
		.amdhsa_user_sgpr_dispatch_id 0
		.amdhsa_user_sgpr_kernarg_preload_length 0
		.amdhsa_user_sgpr_kernarg_preload_offset 0
		.amdhsa_user_sgpr_private_segment_size 0
		.amdhsa_uses_dynamic_stack 0
		.amdhsa_enable_private_segment 0
		.amdhsa_system_sgpr_workgroup_id_x 1
		.amdhsa_system_sgpr_workgroup_id_y 0
		.amdhsa_system_sgpr_workgroup_id_z 0
		.amdhsa_system_sgpr_workgroup_info 0
		.amdhsa_system_vgpr_workitem_id 0
		.amdhsa_next_free_vgpr 1
		.amdhsa_next_free_sgpr 0
		.amdhsa_accum_offset 4
		.amdhsa_reserve_vcc 0
		.amdhsa_float_round_mode_32 0
		.amdhsa_float_round_mode_16_64 0
		.amdhsa_float_denorm_mode_32 3
		.amdhsa_float_denorm_mode_16_64 3
		.amdhsa_dx10_clamp 1
		.amdhsa_ieee_mode 1
		.amdhsa_fp16_overflow 0
		.amdhsa_tg_split 0
		.amdhsa_exception_fp_ieee_invalid_op 0
		.amdhsa_exception_fp_denorm_src 0
		.amdhsa_exception_fp_ieee_div_zero 0
		.amdhsa_exception_fp_ieee_overflow 0
		.amdhsa_exception_fp_ieee_underflow 0
		.amdhsa_exception_fp_ieee_inexact 0
		.amdhsa_exception_int_div_zero 0
	.end_amdhsa_kernel
	.section	.text._ZN7rocprim17ROCPRIM_400000_NS6detail17trampoline_kernelINS0_14default_configENS1_27scan_by_key_config_selectorIssEEZZNS1_16scan_by_key_implILNS1_25lookback_scan_determinismE0ELb0ES3_N6thrust23THRUST_200600_302600_NS6detail15normal_iteratorINS9_10device_ptrIsEEEESE_SE_sNS9_4plusIsEE19head_flag_predicatesEE10hipError_tPvRmT2_T3_T4_T5_mT6_T7_P12ihipStream_tbENKUlT_T0_E_clISt17integral_constantIbLb0EESY_EEDaST_SU_EUlST_E_NS1_11comp_targetILNS1_3genE0ELNS1_11target_archE4294967295ELNS1_3gpuE0ELNS1_3repE0EEENS1_30default_config_static_selectorELNS0_4arch9wavefront6targetE1EEEvT1_,"axG",@progbits,_ZN7rocprim17ROCPRIM_400000_NS6detail17trampoline_kernelINS0_14default_configENS1_27scan_by_key_config_selectorIssEEZZNS1_16scan_by_key_implILNS1_25lookback_scan_determinismE0ELb0ES3_N6thrust23THRUST_200600_302600_NS6detail15normal_iteratorINS9_10device_ptrIsEEEESE_SE_sNS9_4plusIsEE19head_flag_predicatesEE10hipError_tPvRmT2_T3_T4_T5_mT6_T7_P12ihipStream_tbENKUlT_T0_E_clISt17integral_constantIbLb0EESY_EEDaST_SU_EUlST_E_NS1_11comp_targetILNS1_3genE0ELNS1_11target_archE4294967295ELNS1_3gpuE0ELNS1_3repE0EEENS1_30default_config_static_selectorELNS0_4arch9wavefront6targetE1EEEvT1_,comdat
.Lfunc_end821:
	.size	_ZN7rocprim17ROCPRIM_400000_NS6detail17trampoline_kernelINS0_14default_configENS1_27scan_by_key_config_selectorIssEEZZNS1_16scan_by_key_implILNS1_25lookback_scan_determinismE0ELb0ES3_N6thrust23THRUST_200600_302600_NS6detail15normal_iteratorINS9_10device_ptrIsEEEESE_SE_sNS9_4plusIsEE19head_flag_predicatesEE10hipError_tPvRmT2_T3_T4_T5_mT6_T7_P12ihipStream_tbENKUlT_T0_E_clISt17integral_constantIbLb0EESY_EEDaST_SU_EUlST_E_NS1_11comp_targetILNS1_3genE0ELNS1_11target_archE4294967295ELNS1_3gpuE0ELNS1_3repE0EEENS1_30default_config_static_selectorELNS0_4arch9wavefront6targetE1EEEvT1_, .Lfunc_end821-_ZN7rocprim17ROCPRIM_400000_NS6detail17trampoline_kernelINS0_14default_configENS1_27scan_by_key_config_selectorIssEEZZNS1_16scan_by_key_implILNS1_25lookback_scan_determinismE0ELb0ES3_N6thrust23THRUST_200600_302600_NS6detail15normal_iteratorINS9_10device_ptrIsEEEESE_SE_sNS9_4plusIsEE19head_flag_predicatesEE10hipError_tPvRmT2_T3_T4_T5_mT6_T7_P12ihipStream_tbENKUlT_T0_E_clISt17integral_constantIbLb0EESY_EEDaST_SU_EUlST_E_NS1_11comp_targetILNS1_3genE0ELNS1_11target_archE4294967295ELNS1_3gpuE0ELNS1_3repE0EEENS1_30default_config_static_selectorELNS0_4arch9wavefront6targetE1EEEvT1_
                                        ; -- End function
	.section	.AMDGPU.csdata,"",@progbits
; Kernel info:
; codeLenInByte = 0
; NumSgprs: 6
; NumVgprs: 0
; NumAgprs: 0
; TotalNumVgprs: 0
; ScratchSize: 0
; MemoryBound: 0
; FloatMode: 240
; IeeeMode: 1
; LDSByteSize: 0 bytes/workgroup (compile time only)
; SGPRBlocks: 0
; VGPRBlocks: 0
; NumSGPRsForWavesPerEU: 6
; NumVGPRsForWavesPerEU: 1
; AccumOffset: 4
; Occupancy: 8
; WaveLimiterHint : 0
; COMPUTE_PGM_RSRC2:SCRATCH_EN: 0
; COMPUTE_PGM_RSRC2:USER_SGPR: 2
; COMPUTE_PGM_RSRC2:TRAP_HANDLER: 0
; COMPUTE_PGM_RSRC2:TGID_X_EN: 1
; COMPUTE_PGM_RSRC2:TGID_Y_EN: 0
; COMPUTE_PGM_RSRC2:TGID_Z_EN: 0
; COMPUTE_PGM_RSRC2:TIDIG_COMP_CNT: 0
; COMPUTE_PGM_RSRC3_GFX90A:ACCUM_OFFSET: 0
; COMPUTE_PGM_RSRC3_GFX90A:TG_SPLIT: 0
	.section	.text._ZN7rocprim17ROCPRIM_400000_NS6detail17trampoline_kernelINS0_14default_configENS1_27scan_by_key_config_selectorIssEEZZNS1_16scan_by_key_implILNS1_25lookback_scan_determinismE0ELb0ES3_N6thrust23THRUST_200600_302600_NS6detail15normal_iteratorINS9_10device_ptrIsEEEESE_SE_sNS9_4plusIsEE19head_flag_predicatesEE10hipError_tPvRmT2_T3_T4_T5_mT6_T7_P12ihipStream_tbENKUlT_T0_E_clISt17integral_constantIbLb0EESY_EEDaST_SU_EUlST_E_NS1_11comp_targetILNS1_3genE10ELNS1_11target_archE1201ELNS1_3gpuE5ELNS1_3repE0EEENS1_30default_config_static_selectorELNS0_4arch9wavefront6targetE1EEEvT1_,"axG",@progbits,_ZN7rocprim17ROCPRIM_400000_NS6detail17trampoline_kernelINS0_14default_configENS1_27scan_by_key_config_selectorIssEEZZNS1_16scan_by_key_implILNS1_25lookback_scan_determinismE0ELb0ES3_N6thrust23THRUST_200600_302600_NS6detail15normal_iteratorINS9_10device_ptrIsEEEESE_SE_sNS9_4plusIsEE19head_flag_predicatesEE10hipError_tPvRmT2_T3_T4_T5_mT6_T7_P12ihipStream_tbENKUlT_T0_E_clISt17integral_constantIbLb0EESY_EEDaST_SU_EUlST_E_NS1_11comp_targetILNS1_3genE10ELNS1_11target_archE1201ELNS1_3gpuE5ELNS1_3repE0EEENS1_30default_config_static_selectorELNS0_4arch9wavefront6targetE1EEEvT1_,comdat
	.protected	_ZN7rocprim17ROCPRIM_400000_NS6detail17trampoline_kernelINS0_14default_configENS1_27scan_by_key_config_selectorIssEEZZNS1_16scan_by_key_implILNS1_25lookback_scan_determinismE0ELb0ES3_N6thrust23THRUST_200600_302600_NS6detail15normal_iteratorINS9_10device_ptrIsEEEESE_SE_sNS9_4plusIsEE19head_flag_predicatesEE10hipError_tPvRmT2_T3_T4_T5_mT6_T7_P12ihipStream_tbENKUlT_T0_E_clISt17integral_constantIbLb0EESY_EEDaST_SU_EUlST_E_NS1_11comp_targetILNS1_3genE10ELNS1_11target_archE1201ELNS1_3gpuE5ELNS1_3repE0EEENS1_30default_config_static_selectorELNS0_4arch9wavefront6targetE1EEEvT1_ ; -- Begin function _ZN7rocprim17ROCPRIM_400000_NS6detail17trampoline_kernelINS0_14default_configENS1_27scan_by_key_config_selectorIssEEZZNS1_16scan_by_key_implILNS1_25lookback_scan_determinismE0ELb0ES3_N6thrust23THRUST_200600_302600_NS6detail15normal_iteratorINS9_10device_ptrIsEEEESE_SE_sNS9_4plusIsEE19head_flag_predicatesEE10hipError_tPvRmT2_T3_T4_T5_mT6_T7_P12ihipStream_tbENKUlT_T0_E_clISt17integral_constantIbLb0EESY_EEDaST_SU_EUlST_E_NS1_11comp_targetILNS1_3genE10ELNS1_11target_archE1201ELNS1_3gpuE5ELNS1_3repE0EEENS1_30default_config_static_selectorELNS0_4arch9wavefront6targetE1EEEvT1_
	.globl	_ZN7rocprim17ROCPRIM_400000_NS6detail17trampoline_kernelINS0_14default_configENS1_27scan_by_key_config_selectorIssEEZZNS1_16scan_by_key_implILNS1_25lookback_scan_determinismE0ELb0ES3_N6thrust23THRUST_200600_302600_NS6detail15normal_iteratorINS9_10device_ptrIsEEEESE_SE_sNS9_4plusIsEE19head_flag_predicatesEE10hipError_tPvRmT2_T3_T4_T5_mT6_T7_P12ihipStream_tbENKUlT_T0_E_clISt17integral_constantIbLb0EESY_EEDaST_SU_EUlST_E_NS1_11comp_targetILNS1_3genE10ELNS1_11target_archE1201ELNS1_3gpuE5ELNS1_3repE0EEENS1_30default_config_static_selectorELNS0_4arch9wavefront6targetE1EEEvT1_
	.p2align	8
	.type	_ZN7rocprim17ROCPRIM_400000_NS6detail17trampoline_kernelINS0_14default_configENS1_27scan_by_key_config_selectorIssEEZZNS1_16scan_by_key_implILNS1_25lookback_scan_determinismE0ELb0ES3_N6thrust23THRUST_200600_302600_NS6detail15normal_iteratorINS9_10device_ptrIsEEEESE_SE_sNS9_4plusIsEE19head_flag_predicatesEE10hipError_tPvRmT2_T3_T4_T5_mT6_T7_P12ihipStream_tbENKUlT_T0_E_clISt17integral_constantIbLb0EESY_EEDaST_SU_EUlST_E_NS1_11comp_targetILNS1_3genE10ELNS1_11target_archE1201ELNS1_3gpuE5ELNS1_3repE0EEENS1_30default_config_static_selectorELNS0_4arch9wavefront6targetE1EEEvT1_,@function
_ZN7rocprim17ROCPRIM_400000_NS6detail17trampoline_kernelINS0_14default_configENS1_27scan_by_key_config_selectorIssEEZZNS1_16scan_by_key_implILNS1_25lookback_scan_determinismE0ELb0ES3_N6thrust23THRUST_200600_302600_NS6detail15normal_iteratorINS9_10device_ptrIsEEEESE_SE_sNS9_4plusIsEE19head_flag_predicatesEE10hipError_tPvRmT2_T3_T4_T5_mT6_T7_P12ihipStream_tbENKUlT_T0_E_clISt17integral_constantIbLb0EESY_EEDaST_SU_EUlST_E_NS1_11comp_targetILNS1_3genE10ELNS1_11target_archE1201ELNS1_3gpuE5ELNS1_3repE0EEENS1_30default_config_static_selectorELNS0_4arch9wavefront6targetE1EEEvT1_: ; @_ZN7rocprim17ROCPRIM_400000_NS6detail17trampoline_kernelINS0_14default_configENS1_27scan_by_key_config_selectorIssEEZZNS1_16scan_by_key_implILNS1_25lookback_scan_determinismE0ELb0ES3_N6thrust23THRUST_200600_302600_NS6detail15normal_iteratorINS9_10device_ptrIsEEEESE_SE_sNS9_4plusIsEE19head_flag_predicatesEE10hipError_tPvRmT2_T3_T4_T5_mT6_T7_P12ihipStream_tbENKUlT_T0_E_clISt17integral_constantIbLb0EESY_EEDaST_SU_EUlST_E_NS1_11comp_targetILNS1_3genE10ELNS1_11target_archE1201ELNS1_3gpuE5ELNS1_3repE0EEENS1_30default_config_static_selectorELNS0_4arch9wavefront6targetE1EEEvT1_
; %bb.0:
	.section	.rodata,"a",@progbits
	.p2align	6, 0x0
	.amdhsa_kernel _ZN7rocprim17ROCPRIM_400000_NS6detail17trampoline_kernelINS0_14default_configENS1_27scan_by_key_config_selectorIssEEZZNS1_16scan_by_key_implILNS1_25lookback_scan_determinismE0ELb0ES3_N6thrust23THRUST_200600_302600_NS6detail15normal_iteratorINS9_10device_ptrIsEEEESE_SE_sNS9_4plusIsEE19head_flag_predicatesEE10hipError_tPvRmT2_T3_T4_T5_mT6_T7_P12ihipStream_tbENKUlT_T0_E_clISt17integral_constantIbLb0EESY_EEDaST_SU_EUlST_E_NS1_11comp_targetILNS1_3genE10ELNS1_11target_archE1201ELNS1_3gpuE5ELNS1_3repE0EEENS1_30default_config_static_selectorELNS0_4arch9wavefront6targetE1EEEvT1_
		.amdhsa_group_segment_fixed_size 0
		.amdhsa_private_segment_fixed_size 0
		.amdhsa_kernarg_size 112
		.amdhsa_user_sgpr_count 2
		.amdhsa_user_sgpr_dispatch_ptr 0
		.amdhsa_user_sgpr_queue_ptr 0
		.amdhsa_user_sgpr_kernarg_segment_ptr 1
		.amdhsa_user_sgpr_dispatch_id 0
		.amdhsa_user_sgpr_kernarg_preload_length 0
		.amdhsa_user_sgpr_kernarg_preload_offset 0
		.amdhsa_user_sgpr_private_segment_size 0
		.amdhsa_uses_dynamic_stack 0
		.amdhsa_enable_private_segment 0
		.amdhsa_system_sgpr_workgroup_id_x 1
		.amdhsa_system_sgpr_workgroup_id_y 0
		.amdhsa_system_sgpr_workgroup_id_z 0
		.amdhsa_system_sgpr_workgroup_info 0
		.amdhsa_system_vgpr_workitem_id 0
		.amdhsa_next_free_vgpr 1
		.amdhsa_next_free_sgpr 0
		.amdhsa_accum_offset 4
		.amdhsa_reserve_vcc 0
		.amdhsa_float_round_mode_32 0
		.amdhsa_float_round_mode_16_64 0
		.amdhsa_float_denorm_mode_32 3
		.amdhsa_float_denorm_mode_16_64 3
		.amdhsa_dx10_clamp 1
		.amdhsa_ieee_mode 1
		.amdhsa_fp16_overflow 0
		.amdhsa_tg_split 0
		.amdhsa_exception_fp_ieee_invalid_op 0
		.amdhsa_exception_fp_denorm_src 0
		.amdhsa_exception_fp_ieee_div_zero 0
		.amdhsa_exception_fp_ieee_overflow 0
		.amdhsa_exception_fp_ieee_underflow 0
		.amdhsa_exception_fp_ieee_inexact 0
		.amdhsa_exception_int_div_zero 0
	.end_amdhsa_kernel
	.section	.text._ZN7rocprim17ROCPRIM_400000_NS6detail17trampoline_kernelINS0_14default_configENS1_27scan_by_key_config_selectorIssEEZZNS1_16scan_by_key_implILNS1_25lookback_scan_determinismE0ELb0ES3_N6thrust23THRUST_200600_302600_NS6detail15normal_iteratorINS9_10device_ptrIsEEEESE_SE_sNS9_4plusIsEE19head_flag_predicatesEE10hipError_tPvRmT2_T3_T4_T5_mT6_T7_P12ihipStream_tbENKUlT_T0_E_clISt17integral_constantIbLb0EESY_EEDaST_SU_EUlST_E_NS1_11comp_targetILNS1_3genE10ELNS1_11target_archE1201ELNS1_3gpuE5ELNS1_3repE0EEENS1_30default_config_static_selectorELNS0_4arch9wavefront6targetE1EEEvT1_,"axG",@progbits,_ZN7rocprim17ROCPRIM_400000_NS6detail17trampoline_kernelINS0_14default_configENS1_27scan_by_key_config_selectorIssEEZZNS1_16scan_by_key_implILNS1_25lookback_scan_determinismE0ELb0ES3_N6thrust23THRUST_200600_302600_NS6detail15normal_iteratorINS9_10device_ptrIsEEEESE_SE_sNS9_4plusIsEE19head_flag_predicatesEE10hipError_tPvRmT2_T3_T4_T5_mT6_T7_P12ihipStream_tbENKUlT_T0_E_clISt17integral_constantIbLb0EESY_EEDaST_SU_EUlST_E_NS1_11comp_targetILNS1_3genE10ELNS1_11target_archE1201ELNS1_3gpuE5ELNS1_3repE0EEENS1_30default_config_static_selectorELNS0_4arch9wavefront6targetE1EEEvT1_,comdat
.Lfunc_end822:
	.size	_ZN7rocprim17ROCPRIM_400000_NS6detail17trampoline_kernelINS0_14default_configENS1_27scan_by_key_config_selectorIssEEZZNS1_16scan_by_key_implILNS1_25lookback_scan_determinismE0ELb0ES3_N6thrust23THRUST_200600_302600_NS6detail15normal_iteratorINS9_10device_ptrIsEEEESE_SE_sNS9_4plusIsEE19head_flag_predicatesEE10hipError_tPvRmT2_T3_T4_T5_mT6_T7_P12ihipStream_tbENKUlT_T0_E_clISt17integral_constantIbLb0EESY_EEDaST_SU_EUlST_E_NS1_11comp_targetILNS1_3genE10ELNS1_11target_archE1201ELNS1_3gpuE5ELNS1_3repE0EEENS1_30default_config_static_selectorELNS0_4arch9wavefront6targetE1EEEvT1_, .Lfunc_end822-_ZN7rocprim17ROCPRIM_400000_NS6detail17trampoline_kernelINS0_14default_configENS1_27scan_by_key_config_selectorIssEEZZNS1_16scan_by_key_implILNS1_25lookback_scan_determinismE0ELb0ES3_N6thrust23THRUST_200600_302600_NS6detail15normal_iteratorINS9_10device_ptrIsEEEESE_SE_sNS9_4plusIsEE19head_flag_predicatesEE10hipError_tPvRmT2_T3_T4_T5_mT6_T7_P12ihipStream_tbENKUlT_T0_E_clISt17integral_constantIbLb0EESY_EEDaST_SU_EUlST_E_NS1_11comp_targetILNS1_3genE10ELNS1_11target_archE1201ELNS1_3gpuE5ELNS1_3repE0EEENS1_30default_config_static_selectorELNS0_4arch9wavefront6targetE1EEEvT1_
                                        ; -- End function
	.section	.AMDGPU.csdata,"",@progbits
; Kernel info:
; codeLenInByte = 0
; NumSgprs: 6
; NumVgprs: 0
; NumAgprs: 0
; TotalNumVgprs: 0
; ScratchSize: 0
; MemoryBound: 0
; FloatMode: 240
; IeeeMode: 1
; LDSByteSize: 0 bytes/workgroup (compile time only)
; SGPRBlocks: 0
; VGPRBlocks: 0
; NumSGPRsForWavesPerEU: 6
; NumVGPRsForWavesPerEU: 1
; AccumOffset: 4
; Occupancy: 8
; WaveLimiterHint : 0
; COMPUTE_PGM_RSRC2:SCRATCH_EN: 0
; COMPUTE_PGM_RSRC2:USER_SGPR: 2
; COMPUTE_PGM_RSRC2:TRAP_HANDLER: 0
; COMPUTE_PGM_RSRC2:TGID_X_EN: 1
; COMPUTE_PGM_RSRC2:TGID_Y_EN: 0
; COMPUTE_PGM_RSRC2:TGID_Z_EN: 0
; COMPUTE_PGM_RSRC2:TIDIG_COMP_CNT: 0
; COMPUTE_PGM_RSRC3_GFX90A:ACCUM_OFFSET: 0
; COMPUTE_PGM_RSRC3_GFX90A:TG_SPLIT: 0
	.section	.text._ZN7rocprim17ROCPRIM_400000_NS6detail17trampoline_kernelINS0_14default_configENS1_27scan_by_key_config_selectorIssEEZZNS1_16scan_by_key_implILNS1_25lookback_scan_determinismE0ELb0ES3_N6thrust23THRUST_200600_302600_NS6detail15normal_iteratorINS9_10device_ptrIsEEEESE_SE_sNS9_4plusIsEE19head_flag_predicatesEE10hipError_tPvRmT2_T3_T4_T5_mT6_T7_P12ihipStream_tbENKUlT_T0_E_clISt17integral_constantIbLb0EESY_EEDaST_SU_EUlST_E_NS1_11comp_targetILNS1_3genE5ELNS1_11target_archE942ELNS1_3gpuE9ELNS1_3repE0EEENS1_30default_config_static_selectorELNS0_4arch9wavefront6targetE1EEEvT1_,"axG",@progbits,_ZN7rocprim17ROCPRIM_400000_NS6detail17trampoline_kernelINS0_14default_configENS1_27scan_by_key_config_selectorIssEEZZNS1_16scan_by_key_implILNS1_25lookback_scan_determinismE0ELb0ES3_N6thrust23THRUST_200600_302600_NS6detail15normal_iteratorINS9_10device_ptrIsEEEESE_SE_sNS9_4plusIsEE19head_flag_predicatesEE10hipError_tPvRmT2_T3_T4_T5_mT6_T7_P12ihipStream_tbENKUlT_T0_E_clISt17integral_constantIbLb0EESY_EEDaST_SU_EUlST_E_NS1_11comp_targetILNS1_3genE5ELNS1_11target_archE942ELNS1_3gpuE9ELNS1_3repE0EEENS1_30default_config_static_selectorELNS0_4arch9wavefront6targetE1EEEvT1_,comdat
	.protected	_ZN7rocprim17ROCPRIM_400000_NS6detail17trampoline_kernelINS0_14default_configENS1_27scan_by_key_config_selectorIssEEZZNS1_16scan_by_key_implILNS1_25lookback_scan_determinismE0ELb0ES3_N6thrust23THRUST_200600_302600_NS6detail15normal_iteratorINS9_10device_ptrIsEEEESE_SE_sNS9_4plusIsEE19head_flag_predicatesEE10hipError_tPvRmT2_T3_T4_T5_mT6_T7_P12ihipStream_tbENKUlT_T0_E_clISt17integral_constantIbLb0EESY_EEDaST_SU_EUlST_E_NS1_11comp_targetILNS1_3genE5ELNS1_11target_archE942ELNS1_3gpuE9ELNS1_3repE0EEENS1_30default_config_static_selectorELNS0_4arch9wavefront6targetE1EEEvT1_ ; -- Begin function _ZN7rocprim17ROCPRIM_400000_NS6detail17trampoline_kernelINS0_14default_configENS1_27scan_by_key_config_selectorIssEEZZNS1_16scan_by_key_implILNS1_25lookback_scan_determinismE0ELb0ES3_N6thrust23THRUST_200600_302600_NS6detail15normal_iteratorINS9_10device_ptrIsEEEESE_SE_sNS9_4plusIsEE19head_flag_predicatesEE10hipError_tPvRmT2_T3_T4_T5_mT6_T7_P12ihipStream_tbENKUlT_T0_E_clISt17integral_constantIbLb0EESY_EEDaST_SU_EUlST_E_NS1_11comp_targetILNS1_3genE5ELNS1_11target_archE942ELNS1_3gpuE9ELNS1_3repE0EEENS1_30default_config_static_selectorELNS0_4arch9wavefront6targetE1EEEvT1_
	.globl	_ZN7rocprim17ROCPRIM_400000_NS6detail17trampoline_kernelINS0_14default_configENS1_27scan_by_key_config_selectorIssEEZZNS1_16scan_by_key_implILNS1_25lookback_scan_determinismE0ELb0ES3_N6thrust23THRUST_200600_302600_NS6detail15normal_iteratorINS9_10device_ptrIsEEEESE_SE_sNS9_4plusIsEE19head_flag_predicatesEE10hipError_tPvRmT2_T3_T4_T5_mT6_T7_P12ihipStream_tbENKUlT_T0_E_clISt17integral_constantIbLb0EESY_EEDaST_SU_EUlST_E_NS1_11comp_targetILNS1_3genE5ELNS1_11target_archE942ELNS1_3gpuE9ELNS1_3repE0EEENS1_30default_config_static_selectorELNS0_4arch9wavefront6targetE1EEEvT1_
	.p2align	8
	.type	_ZN7rocprim17ROCPRIM_400000_NS6detail17trampoline_kernelINS0_14default_configENS1_27scan_by_key_config_selectorIssEEZZNS1_16scan_by_key_implILNS1_25lookback_scan_determinismE0ELb0ES3_N6thrust23THRUST_200600_302600_NS6detail15normal_iteratorINS9_10device_ptrIsEEEESE_SE_sNS9_4plusIsEE19head_flag_predicatesEE10hipError_tPvRmT2_T3_T4_T5_mT6_T7_P12ihipStream_tbENKUlT_T0_E_clISt17integral_constantIbLb0EESY_EEDaST_SU_EUlST_E_NS1_11comp_targetILNS1_3genE5ELNS1_11target_archE942ELNS1_3gpuE9ELNS1_3repE0EEENS1_30default_config_static_selectorELNS0_4arch9wavefront6targetE1EEEvT1_,@function
_ZN7rocprim17ROCPRIM_400000_NS6detail17trampoline_kernelINS0_14default_configENS1_27scan_by_key_config_selectorIssEEZZNS1_16scan_by_key_implILNS1_25lookback_scan_determinismE0ELb0ES3_N6thrust23THRUST_200600_302600_NS6detail15normal_iteratorINS9_10device_ptrIsEEEESE_SE_sNS9_4plusIsEE19head_flag_predicatesEE10hipError_tPvRmT2_T3_T4_T5_mT6_T7_P12ihipStream_tbENKUlT_T0_E_clISt17integral_constantIbLb0EESY_EEDaST_SU_EUlST_E_NS1_11comp_targetILNS1_3genE5ELNS1_11target_archE942ELNS1_3gpuE9ELNS1_3repE0EEENS1_30default_config_static_selectorELNS0_4arch9wavefront6targetE1EEEvT1_: ; @_ZN7rocprim17ROCPRIM_400000_NS6detail17trampoline_kernelINS0_14default_configENS1_27scan_by_key_config_selectorIssEEZZNS1_16scan_by_key_implILNS1_25lookback_scan_determinismE0ELb0ES3_N6thrust23THRUST_200600_302600_NS6detail15normal_iteratorINS9_10device_ptrIsEEEESE_SE_sNS9_4plusIsEE19head_flag_predicatesEE10hipError_tPvRmT2_T3_T4_T5_mT6_T7_P12ihipStream_tbENKUlT_T0_E_clISt17integral_constantIbLb0EESY_EEDaST_SU_EUlST_E_NS1_11comp_targetILNS1_3genE5ELNS1_11target_archE942ELNS1_3gpuE9ELNS1_3repE0EEENS1_30default_config_static_selectorELNS0_4arch9wavefront6targetE1EEEvT1_
; %bb.0:
	s_load_dwordx8 s[52:59], s[0:1], 0x0
	s_load_dwordx4 s[60:63], s[0:1], 0x28
	s_load_dwordx2 s[72:73], s[0:1], 0x38
	s_load_dword s3, s[0:1], 0x40
	s_load_dwordx4 s[64:67], s[0:1], 0x48
	s_waitcnt lgkmcnt(0)
	s_lshl_b64 s[68:69], s[54:55], 1
	s_add_u32 s4, s52, s68
	s_addc_u32 s5, s53, s69
	s_add_u32 s6, s56, s68
	s_mul_i32 s0, s73, s3
	s_mul_hi_u32 s1, s72, s3
	s_addc_u32 s7, s57, s69
	s_add_i32 s8, s1, s0
	s_mul_i32 s0, s2, 0x1800
	s_mov_b32 s1, 0
	s_lshl_b64 s[70:71], s[0:1], 1
	s_add_u32 s54, s4, s70
	s_addc_u32 s55, s5, s71
	s_add_u32 s52, s6, s70
	s_mul_i32 s3, s72, s3
	s_addc_u32 s53, s7, s71
	s_add_u32 s0, s3, s2
	s_addc_u32 s1, s8, 0
	s_add_u32 s4, s64, -1
	s_addc_u32 s5, s65, -1
	v_mov_b64_e32 v[2:3], s[4:5]
	v_cmp_ge_u64_e64 s[0:1], s[0:1], v[2:3]
	s_mov_b64 s[20:21], -1
	s_and_b64 vcc, exec, s[0:1]
	s_mul_i32 s33, s4, 0xffffe800
	s_barrier
	s_cbranch_vccz .LBB823_122
; %bb.1:
	v_mov_b64_e32 v[2:3], s[54:55]
	flat_load_ushort v1, v[2:3]
	s_add_i32 s3, s33, s62
	v_cmp_gt_u32_e32 vcc, s3, v0
	s_waitcnt vmcnt(0) lgkmcnt(0)
	v_mov_b32_e32 v22, v1
	s_and_saveexec_b64 s[4:5], vcc
	s_cbranch_execz .LBB823_3
; %bb.2:
	v_lshlrev_b32_e32 v2, 1, v0
	v_mov_b32_e32 v3, 0
	v_lshl_add_u64 v[2:3], s[54:55], 0, v[2:3]
	flat_load_ushort v22, v[2:3]
.LBB823_3:
	s_or_b64 exec, exec, s[4:5]
	v_or_b32_e32 v2, 0x100, v0
	v_cmp_gt_u32_e64 s[50:51], s3, v2
	v_mov_b32_e32 v23, v1
	s_and_saveexec_b64 s[4:5], s[50:51]
	s_cbranch_execz .LBB823_5
; %bb.4:
	v_lshlrev_b32_e32 v2, 1, v0
	v_mov_b32_e32 v3, 0
	v_lshl_add_u64 v[2:3], s[54:55], 0, v[2:3]
	flat_load_ushort v23, v[2:3] offset:512
.LBB823_5:
	s_or_b64 exec, exec, s[4:5]
	v_or_b32_e32 v2, 0x200, v0
	v_cmp_gt_u32_e64 s[4:5], s3, v2
	v_mov_b32_e32 v24, v1
	s_and_saveexec_b64 s[6:7], s[4:5]
	s_cbranch_execz .LBB823_7
; %bb.6:
	v_lshlrev_b32_e32 v2, 1, v0
	v_mov_b32_e32 v3, 0
	v_lshl_add_u64 v[2:3], s[54:55], 0, v[2:3]
	flat_load_ushort v24, v[2:3] offset:1024
.LBB823_7:
	;; [unrolled: 12-line block ×7, first 2 shown]
	s_or_b64 exec, exec, s[16:17]
	v_or_b32_e32 v2, 0x800, v0
	v_cmp_gt_u32_e64 s[16:17], s3, v2
	v_lshlrev_b32_e32 v2, 1, v2
	v_mov_b32_e32 v3, v1
	s_and_saveexec_b64 s[18:19], s[16:17]
	s_cbranch_execz .LBB823_19
; %bb.18:
	v_mov_b32_e32 v3, 0
	v_lshl_add_u64 v[4:5], s[54:55], 0, v[2:3]
	flat_load_ushort v3, v[4:5]
.LBB823_19:
	s_or_b64 exec, exec, s[18:19]
	v_or_b32_e32 v4, 0x900, v0
	v_cmp_gt_u32_e64 s[18:19], s3, v4
	v_lshlrev_b32_e32 v4, 1, v4
	v_mov_b32_e32 v5, v1
	s_and_saveexec_b64 s[20:21], s[18:19]
	s_cbranch_execz .LBB823_21
; %bb.20:
	v_mov_b32_e32 v5, 0
	v_lshl_add_u64 v[6:7], s[54:55], 0, v[4:5]
	flat_load_ushort v5, v[6:7]
.LBB823_21:
	;; [unrolled: 12-line block ×15, first 2 shown]
	s_or_b64 exec, exec, s[48:49]
	v_or_b32_e32 v36, 0x1700, v0
	v_cmp_gt_u32_e64 s[48:49], s3, v36
	v_lshlrev_b32_e32 v46, 1, v36
	s_and_saveexec_b64 s[56:57], s[48:49]
	s_cbranch_execz .LBB823_49
; %bb.48:
	v_mov_b32_e32 v47, 0
	v_lshl_add_u64 v[36:37], s[54:55], 0, v[46:47]
	flat_load_ushort v1, v[36:37]
.LBB823_49:
	s_or_b64 exec, exec, s[56:57]
	v_lshlrev_b32_e32 v36, 1, v0
	v_mad_u32_u24 v49, v0, 46, v36
	s_waitcnt vmcnt(0) lgkmcnt(0)
	ds_write_b16 v36, v22
	ds_write_b16 v36, v23 offset:512
	ds_write_b16 v36, v24 offset:1024
	;; [unrolled: 1-line block ×23, first 2 shown]
	s_waitcnt lgkmcnt(0)
	s_barrier
	ds_read_b128 v[22:25], v49 offset:32
	ds_read_b128 v[30:33], v49
	ds_read_b128 v[26:29], v49 offset:16
	s_movk_i32 s56, 0xffd2
	v_mad_i32_i24 v1, v0, s56, v49
	s_waitcnt lgkmcnt(2)
	v_lshrrev_b32_e32 v48, 16, v25
	ds_write_b16 v1, v48 offset:12288
	s_waitcnt lgkmcnt(0)
	s_barrier
	s_barrier
	s_waitcnt lgkmcnt(0)
                                        ; implicit-def: $vgpr1
	s_and_saveexec_b64 s[56:57], vcc
	s_cbranch_execz .LBB823_193
; %bb.50:
	v_mov_b32_e32 v37, 0
	v_lshl_add_u64 v[50:51], s[52:53], 0, v[36:37]
	flat_load_ushort v1, v[50:51]
	s_or_b64 exec, exec, s[56:57]
                                        ; implicit-def: $vgpr50
	s_and_saveexec_b64 s[56:57], s[50:51]
	s_cbranch_execnz .LBB823_194
.LBB823_51:
	s_or_b64 exec, exec, s[56:57]
                                        ; implicit-def: $vgpr51
	s_and_saveexec_b64 s[50:51], s[4:5]
	s_cbranch_execz .LBB823_195
.LBB823_52:
	v_mov_b32_e32 v37, 0
	v_lshl_add_u64 v[52:53], s[52:53], 0, v[36:37]
	flat_load_ushort v51, v[52:53] offset:1024
	s_or_b64 exec, exec, s[50:51]
                                        ; implicit-def: $vgpr52
	s_and_saveexec_b64 s[4:5], s[6:7]
	s_cbranch_execnz .LBB823_196
.LBB823_53:
	s_or_b64 exec, exec, s[4:5]
                                        ; implicit-def: $vgpr53
	s_and_saveexec_b64 s[4:5], s[8:9]
	s_cbranch_execz .LBB823_197
.LBB823_54:
	v_mov_b32_e32 v37, 0
	v_lshl_add_u64 v[54:55], s[52:53], 0, v[36:37]
	flat_load_ushort v53, v[54:55] offset:2048
	s_or_b64 exec, exec, s[4:5]
                                        ; implicit-def: $vgpr54
	s_and_saveexec_b64 s[4:5], s[10:11]
	s_cbranch_execnz .LBB823_198
.LBB823_55:
	s_or_b64 exec, exec, s[4:5]
                                        ; implicit-def: $vgpr55
	s_and_saveexec_b64 s[4:5], s[12:13]
	s_cbranch_execz .LBB823_199
.LBB823_56:
	v_mov_b32_e32 v37, 0
	v_lshl_add_u64 v[56:57], s[52:53], 0, v[36:37]
	flat_load_ushort v55, v[56:57] offset:3072
	s_or_b64 exec, exec, s[4:5]
                                        ; implicit-def: $vgpr37
	s_and_saveexec_b64 s[4:5], s[14:15]
	s_cbranch_execnz .LBB823_200
.LBB823_57:
	s_or_b64 exec, exec, s[4:5]
                                        ; implicit-def: $vgpr3
	s_and_saveexec_b64 s[4:5], s[16:17]
	s_cbranch_execz .LBB823_201
.LBB823_58:
	v_mov_b32_e32 v3, 0
	v_lshl_add_u64 v[2:3], s[52:53], 0, v[2:3]
	flat_load_ushort v3, v[2:3]
	s_or_b64 exec, exec, s[4:5]
                                        ; implicit-def: $vgpr2
	s_and_saveexec_b64 s[4:5], s[18:19]
	s_cbranch_execnz .LBB823_202
.LBB823_59:
	s_or_b64 exec, exec, s[4:5]
                                        ; implicit-def: $vgpr4
	s_and_saveexec_b64 s[4:5], s[20:21]
	s_cbranch_execz .LBB823_203
.LBB823_60:
	v_mov_b32_e32 v7, 0
	v_lshl_add_u64 v[4:5], s[52:53], 0, v[6:7]
	flat_load_ushort v4, v[4:5]
	s_or_b64 exec, exec, s[4:5]
                                        ; implicit-def: $vgpr5
	s_and_saveexec_b64 s[4:5], s[22:23]
	s_cbranch_execnz .LBB823_204
.LBB823_61:
	s_or_b64 exec, exec, s[4:5]
                                        ; implicit-def: $vgpr6
	s_and_saveexec_b64 s[4:5], s[24:25]
	s_cbranch_execz .LBB823_205
.LBB823_62:
	v_mov_b32_e32 v11, 0
	v_lshl_add_u64 v[6:7], s[52:53], 0, v[10:11]
	flat_load_ushort v6, v[6:7]
	s_or_b64 exec, exec, s[4:5]
                                        ; implicit-def: $vgpr7
	s_and_saveexec_b64 s[4:5], s[26:27]
	s_cbranch_execnz .LBB823_206
.LBB823_63:
	s_or_b64 exec, exec, s[4:5]
                                        ; implicit-def: $vgpr8
	s_and_saveexec_b64 s[4:5], s[28:29]
	s_cbranch_execz .LBB823_207
.LBB823_64:
	v_mov_b32_e32 v15, 0
	v_lshl_add_u64 v[8:9], s[52:53], 0, v[14:15]
	flat_load_ushort v8, v[8:9]
	s_or_b64 exec, exec, s[4:5]
                                        ; implicit-def: $vgpr9
	s_and_saveexec_b64 s[4:5], s[30:31]
	s_cbranch_execnz .LBB823_208
.LBB823_65:
	s_or_b64 exec, exec, s[4:5]
                                        ; implicit-def: $vgpr10
	s_and_saveexec_b64 s[4:5], s[34:35]
	s_cbranch_execz .LBB823_209
.LBB823_66:
	v_mov_b32_e32 v19, 0
	v_lshl_add_u64 v[10:11], s[52:53], 0, v[18:19]
	flat_load_ushort v10, v[10:11]
	s_or_b64 exec, exec, s[4:5]
                                        ; implicit-def: $vgpr11
	s_and_saveexec_b64 s[4:5], s[36:37]
	s_cbranch_execnz .LBB823_210
.LBB823_67:
	s_or_b64 exec, exec, s[4:5]
                                        ; implicit-def: $vgpr12
	s_and_saveexec_b64 s[4:5], s[38:39]
	s_cbranch_execz .LBB823_211
.LBB823_68:
	v_mov_b32_e32 v35, 0
	v_lshl_add_u64 v[12:13], s[52:53], 0, v[34:35]
	flat_load_ushort v12, v[12:13]
	s_or_b64 exec, exec, s[4:5]
                                        ; implicit-def: $vgpr13
	s_and_saveexec_b64 s[4:5], s[40:41]
	s_cbranch_execnz .LBB823_212
.LBB823_69:
	s_or_b64 exec, exec, s[4:5]
                                        ; implicit-def: $vgpr14
	s_and_saveexec_b64 s[4:5], s[42:43]
	s_cbranch_execz .LBB823_213
.LBB823_70:
	v_mov_b32_e32 v41, 0
	v_lshl_add_u64 v[14:15], s[52:53], 0, v[40:41]
	flat_load_ushort v14, v[14:15]
	s_or_b64 exec, exec, s[4:5]
                                        ; implicit-def: $vgpr15
	s_and_saveexec_b64 s[4:5], s[44:45]
	s_cbranch_execnz .LBB823_214
.LBB823_71:
	s_or_b64 exec, exec, s[4:5]
                                        ; implicit-def: $vgpr16
	s_and_saveexec_b64 s[4:5], s[46:47]
	s_cbranch_execz .LBB823_73
.LBB823_72:
	v_mov_b32_e32 v45, 0
	v_lshl_add_u64 v[16:17], s[52:53], 0, v[44:45]
	flat_load_ushort v16, v[16:17]
.LBB823_73:
	s_or_b64 exec, exec, s[4:5]
	v_mul_u32_u24_e32 v41, 24, v0
                                        ; implicit-def: $vgpr17
	s_and_saveexec_b64 s[4:5], s[48:49]
	s_cbranch_execz .LBB823_75
; %bb.74:
	v_mov_b32_e32 v47, 0
	v_lshl_add_u64 v[18:19], s[52:53], 0, v[46:47]
	flat_load_ushort v17, v[18:19]
.LBB823_75:
	s_or_b64 exec, exec, s[4:5]
	s_mov_b32 s4, 0
	s_mov_b32 s5, s4
	s_waitcnt vmcnt(0) lgkmcnt(0)
	ds_write_b16 v36, v1
	ds_write_b16 v36, v50 offset:512
	ds_write_b16 v36, v51 offset:1024
	;; [unrolled: 1-line block ×23, first 2 shown]
	s_mov_b32 s6, s4
	s_mov_b32 s7, s4
	;; [unrolled: 1-line block ×6, first 2 shown]
	v_mov_b64_e32 v[2:3], s[4:5]
	s_mov_b32 s14, s4
	s_mov_b32 s15, s4
	v_mov_b64_e32 v[8:9], s[10:11]
	s_mov_b32 s12, s4
	s_mov_b32 s13, s4
	;; [unrolled: 1-line block ×4, first 2 shown]
	v_mov_b64_e32 v[20:21], s[14:15]
	v_mov_b64_e32 v[4:5], s[6:7]
	;; [unrolled: 1-line block ×4, first 2 shown]
	v_cmp_gt_u32_e32 vcc, s3, v41
	s_mov_b64 s[20:21], 0
	v_mov_b64_e32 v[38:39], s[16:17]
	v_mov_b64_e32 v[18:19], s[12:13]
	v_mov_b32_e32 v1, 0
	s_mov_b64 s[8:9], 0
	v_mov_b64_e32 v[14:15], v[6:7]
	v_mov_b64_e32 v[12:13], v[4:5]
	;; [unrolled: 1-line block ×3, first 2 shown]
	s_waitcnt lgkmcnt(0)
	s_barrier
	s_waitcnt lgkmcnt(0)
                                        ; implicit-def: $vgpr40
	s_and_saveexec_b64 s[6:7], vcc
	s_cbranch_execz .LBB823_121
; %bb.76:
	ds_read_u16 v1, v49
	s_mov_b32 s8, 0
	v_cmp_ne_u16_e32 vcc, 0, v30
	v_or_b32_e32 v2, 1, v41
	s_mov_b32 s9, s8
	v_cndmask_b32_e64 v3, 0, 1, vcc
	s_waitcnt lgkmcnt(0)
	v_lshl_or_b32 v38, v3, 16, v1
	v_cmp_gt_u32_e32 vcc, s3, v2
	s_mov_b32 s10, s8
	s_mov_b32 s11, s8
	;; [unrolled: 1-line block ×6, first 2 shown]
	v_mov_b64_e32 v[2:3], s[8:9]
	s_mov_b32 s18, s8
	s_mov_b32 s19, s8
	v_mov_b64_e32 v[8:9], s[14:15]
	v_mov_b32_e32 v39, 0
	s_mov_b32 s16, s8
	s_mov_b32 s17, s8
	v_mov_b64_e32 v[20:21], s[18:19]
	v_mov_b64_e32 v[4:5], s[10:11]
	;; [unrolled: 1-line block ×4, first 2 shown]
	s_mov_b64 s[24:25], 0
	v_mov_b64_e32 v[18:19], s[16:17]
	v_mov_b64_e32 v[14:15], v[6:7]
	;; [unrolled: 1-line block ×4, first 2 shown]
	v_mov_b32_e32 v1, v39
                                        ; implicit-def: $vgpr40
	s_and_saveexec_b64 s[22:23], vcc
	s_cbranch_execz .LBB823_120
; %bb.77:
	ds_read_b128 v[34:37], v49 offset:2
	v_mov_b32_e32 v1, 0
	v_cmp_ne_u16_sdwa s[24:25], v30, v1 src0_sel:WORD_1 src1_sel:DWORD
	v_or_b32_e32 v2, 2, v41
	v_cmp_gt_u32_e32 vcc, s3, v2
	v_cndmask_b32_e64 v3, 0, 1, s[24:25]
	s_waitcnt lgkmcnt(0)
	v_and_b32_e32 v4, 0xffff, v34
	v_lshl_or_b32 v39, v3, 16, v4
	v_mov_b64_e32 v[2:3], s[8:9]
	v_mov_b64_e32 v[8:9], s[14:15]
	;; [unrolled: 1-line block ×6, first 2 shown]
	s_mov_b64 s[24:25], 0
	v_mov_b64_e32 v[18:19], s[16:17]
	v_mov_b64_e32 v[14:15], v[6:7]
	;; [unrolled: 1-line block ×4, first 2 shown]
                                        ; implicit-def: $vgpr40
	s_and_saveexec_b64 s[16:17], vcc
	s_cbranch_execz .LBB823_119
; %bb.78:
	v_or_b32_e32 v2, 3, v41
	v_cmp_ne_u16_e32 vcc, 0, v31
	s_mov_b32 s9, s8
	s_mov_b32 s10, s8
	v_cndmask_b32_e64 v1, 0, 1, vcc
	v_cmp_gt_u32_e32 vcc, s3, v2
	s_mov_b32 s11, s8
	s_mov_b32 s12, s8
	;; [unrolled: 1-line block ×5, first 2 shown]
	v_mov_b64_e32 v[2:3], s[8:9]
	s_mov_b32 s28, s8
	s_mov_b32 s29, s8
	v_mov_b64_e32 v[8:9], s[14:15]
	s_mov_b32 s30, s8
	s_mov_b32 s31, s8
	v_mov_b64_e32 v[18:19], s[28:29]
	v_mov_b64_e32 v[4:5], s[10:11]
	;; [unrolled: 1-line block ×4, first 2 shown]
	v_alignbit_b32 v1, v1, v34, 16
	v_mov_b64_e32 v[20:21], s[30:31]
	v_mov_b64_e32 v[14:15], v[6:7]
	;; [unrolled: 1-line block ×4, first 2 shown]
                                        ; implicit-def: $vgpr40
	s_and_saveexec_b64 s[18:19], vcc
	s_cbranch_execz .LBB823_118
; %bb.79:
	v_mov_b32_e32 v20, 0
	v_cmp_ne_u16_sdwa s[24:25], v31, v20 src0_sel:WORD_1 src1_sel:DWORD
	v_and_b32_e32 v2, 0xffff, v35
	v_or_b32_e32 v3, 4, v41
	v_cndmask_b32_e64 v4, 0, 1, s[24:25]
	v_lshl_or_b32 v18, v4, 16, v2
	v_cmp_gt_u32_e32 vcc, s3, v3
	v_mov_b64_e32 v[2:3], s[8:9]
	v_mov_b64_e32 v[8:9], s[14:15]
	;; [unrolled: 1-line block ×5, first 2 shown]
	v_mov_b32_e32 v19, v20
	v_mov_b32_e32 v21, v20
	s_mov_b64 s[26:27], 0
	v_mov_b64_e32 v[14:15], v[6:7]
	v_mov_b64_e32 v[12:13], v[4:5]
	;; [unrolled: 1-line block ×3, first 2 shown]
                                        ; implicit-def: $vgpr40
	s_and_saveexec_b64 s[24:25], vcc
	s_cbranch_execz .LBB823_117
; %bb.80:
	v_cmp_ne_u16_e32 vcc, 0, v32
	v_or_b32_e32 v2, 5, v41
	s_mov_b32 s9, s8
	v_cndmask_b32_e64 v3, 0, 1, vcc
	v_alignbit_b32 v19, v3, v35, 16
	v_cmp_gt_u32_e32 vcc, s3, v2
	s_mov_b32 s10, s8
	s_mov_b32 s11, s8
	;; [unrolled: 1-line block ×6, first 2 shown]
	v_mov_b64_e32 v[2:3], s[8:9]
	v_mov_b64_e32 v[8:9], s[14:15]
	;; [unrolled: 1-line block ×5, first 2 shown]
	v_mov_b32_e32 v21, v20
	s_mov_b64 s[28:29], 0
	v_mov_b64_e32 v[14:15], v[6:7]
	v_mov_b64_e32 v[12:13], v[4:5]
	;; [unrolled: 1-line block ×3, first 2 shown]
                                        ; implicit-def: $vgpr40
	s_and_saveexec_b64 s[26:27], vcc
	s_cbranch_execz .LBB823_116
; %bb.81:
	v_mov_b32_e32 v3, 0
	v_cmp_ne_u16_sdwa s[28:29], v32, v3 src0_sel:WORD_1 src1_sel:DWORD
	v_and_b32_e32 v2, 0xffff, v36
	v_or_b32_e32 v4, 6, v41
	v_cndmask_b32_e64 v3, 0, 1, s[28:29]
	v_lshl_or_b32 v20, v3, 16, v2
	v_cmp_gt_u32_e32 vcc, s3, v4
	v_mov_b64_e32 v[2:3], s[8:9]
	v_mov_b64_e32 v[8:9], s[14:15]
	v_mov_b64_e32 v[4:5], s[10:11]
	v_mov_b64_e32 v[6:7], s[12:13]
	v_mov_b64_e32 v[16:17], v[8:9]
	v_mov_b32_e32 v21, s8
	s_mov_b64 s[30:31], 0
	v_mov_b64_e32 v[14:15], v[6:7]
	v_mov_b64_e32 v[12:13], v[4:5]
	;; [unrolled: 1-line block ×3, first 2 shown]
                                        ; implicit-def: $vgpr40
	s_and_saveexec_b64 s[28:29], vcc
	s_cbranch_execz .LBB823_115
; %bb.82:
	v_cmp_ne_u16_e32 vcc, 0, v33
	v_or_b32_e32 v2, 7, v41
	s_mov_b32 s9, s8
	v_cndmask_b32_e64 v3, 0, 1, vcc
	v_alignbit_b32 v21, v3, v36, 16
	v_cmp_gt_u32_e32 vcc, s3, v2
	s_mov_b32 s10, s8
	s_mov_b32 s11, s8
	;; [unrolled: 1-line block ×6, first 2 shown]
	v_mov_b64_e32 v[2:3], s[8:9]
	v_mov_b64_e32 v[8:9], s[14:15]
	;; [unrolled: 1-line block ×5, first 2 shown]
	s_mov_b64 s[34:35], 0
	v_mov_b64_e32 v[14:15], v[6:7]
	v_mov_b64_e32 v[12:13], v[4:5]
	;; [unrolled: 1-line block ×3, first 2 shown]
                                        ; implicit-def: $vgpr40
	s_and_saveexec_b64 s[30:31], vcc
	s_cbranch_execz .LBB823_114
; %bb.83:
	v_mov_b32_e32 v4, 0
	v_cmp_ne_u16_sdwa s[34:35], v33, v4 src0_sel:WORD_1 src1_sel:DWORD
	v_and_b32_e32 v2, 0xffff, v37
	v_add_u32_e32 v3, 8, v41
	v_cndmask_b32_e64 v5, 0, 1, s[34:35]
	v_mov_b64_e32 v[16:17], s[14:15]
	v_lshl_or_b32 v2, v5, 16, v2
	v_cmp_gt_u32_e32 vcc, s3, v3
	v_mov_b32_e32 v3, v4
	v_mov_b32_e32 v5, v4
	;; [unrolled: 1-line block ×6, first 2 shown]
	s_mov_b64 s[36:37], 0
	v_mov_b64_e32 v[14:15], s[12:13]
	v_mov_b64_e32 v[12:13], s[10:11]
	;; [unrolled: 1-line block ×3, first 2 shown]
                                        ; implicit-def: $vgpr40
	s_and_saveexec_b64 s[34:35], vcc
	s_cbranch_execz .LBB823_113
; %bb.84:
	v_cmp_ne_u16_e32 vcc, 0, v26
	s_mov_b32 s14, s8
	s_mov_b32 s15, s8
	v_add_u32_e32 v5, 9, v41
	v_cndmask_b32_e64 v3, 0, 1, vcc
	s_mov_b32 s9, s8
	s_mov_b32 s10, s8
	;; [unrolled: 1-line block ×5, first 2 shown]
	v_mov_b64_e32 v[16:17], s[14:15]
	v_alignbit_b32 v3, v3, v37, 16
	v_cmp_gt_u32_e32 vcc, s3, v5
	v_mov_b32_e32 v5, v4
	v_mov_b32_e32 v6, v4
	;; [unrolled: 1-line block ×5, first 2 shown]
	s_mov_b64 s[38:39], 0
	v_mov_b64_e32 v[14:15], s[12:13]
	v_mov_b64_e32 v[12:13], s[10:11]
	;; [unrolled: 1-line block ×3, first 2 shown]
                                        ; implicit-def: $vgpr40
	s_and_saveexec_b64 s[36:37], vcc
	s_cbranch_execz .LBB823_112
; %bb.85:
	ds_read_b128 v[30:33], v49 offset:18
	v_mov_b32_e32 v6, 0
	v_cmp_ne_u16_sdwa s[38:39], v26, v6 src0_sel:WORD_1 src1_sel:DWORD
	v_add_u32_e32 v5, 10, v41
	v_mov_b64_e32 v[16:17], s[14:15]
	v_cndmask_b32_e64 v4, 0, 1, s[38:39]
	s_waitcnt lgkmcnt(0)
	v_and_b32_e32 v7, 0xffff, v30
	v_lshl_or_b32 v4, v4, 16, v7
	v_cmp_gt_u32_e32 vcc, s3, v5
	v_mov_b32_e32 v5, v6
	v_mov_b32_e32 v7, v6
	;; [unrolled: 1-line block ×4, first 2 shown]
	s_mov_b64 s[40:41], 0
	v_mov_b64_e32 v[14:15], s[12:13]
	v_mov_b64_e32 v[12:13], s[10:11]
	;; [unrolled: 1-line block ×3, first 2 shown]
                                        ; implicit-def: $vgpr40
	s_and_saveexec_b64 s[38:39], vcc
	s_cbranch_execz .LBB823_111
; %bb.86:
	v_cmp_ne_u16_e32 vcc, 0, v27
	s_mov_b32 s14, s8
	s_mov_b32 s15, s8
	v_add_u32_e32 v7, 11, v41
	v_cndmask_b32_e64 v5, 0, 1, vcc
	s_mov_b32 s9, s8
	s_mov_b32 s10, s8
	;; [unrolled: 1-line block ×5, first 2 shown]
	v_mov_b64_e32 v[16:17], s[14:15]
	v_alignbit_b32 v5, v5, v30, 16
	v_cmp_gt_u32_e32 vcc, s3, v7
	v_mov_b32_e32 v7, v6
	v_mov_b32_e32 v8, v6
	;; [unrolled: 1-line block ×3, first 2 shown]
	s_mov_b64 s[42:43], 0
	v_mov_b64_e32 v[14:15], s[12:13]
	v_mov_b64_e32 v[12:13], s[10:11]
	v_mov_b64_e32 v[10:11], s[8:9]
                                        ; implicit-def: $vgpr40
	s_and_saveexec_b64 s[40:41], vcc
	s_cbranch_execz .LBB823_110
; %bb.87:
	v_mov_b32_e32 v8, 0
	v_cmp_ne_u16_sdwa s[42:43], v27, v8 src0_sel:WORD_1 src1_sel:DWORD
	v_and_b32_e32 v6, 0xffff, v31
	v_add_u32_e32 v7, 12, v41
	v_cndmask_b32_e64 v9, 0, 1, s[42:43]
	v_mov_b64_e32 v[16:17], s[14:15]
	v_lshl_or_b32 v6, v9, 16, v6
	v_cmp_gt_u32_e32 vcc, s3, v7
	v_mov_b32_e32 v7, v8
	v_mov_b32_e32 v9, v8
	s_mov_b64 s[44:45], 0
	v_mov_b64_e32 v[14:15], s[12:13]
	v_mov_b64_e32 v[12:13], s[10:11]
	;; [unrolled: 1-line block ×3, first 2 shown]
                                        ; implicit-def: $vgpr40
	s_and_saveexec_b64 s[42:43], vcc
	s_cbranch_execz .LBB823_109
; %bb.88:
	v_cmp_ne_u16_e32 vcc, 0, v28
	s_mov_b32 s14, s8
	s_mov_b32 s15, s8
	v_add_u32_e32 v9, 13, v41
	v_cndmask_b32_e64 v7, 0, 1, vcc
	s_mov_b32 s9, s8
	s_mov_b32 s10, s8
	;; [unrolled: 1-line block ×5, first 2 shown]
	v_mov_b64_e32 v[16:17], s[14:15]
	v_alignbit_b32 v7, v7, v31, 16
	v_cmp_gt_u32_e32 vcc, s3, v9
	v_mov_b32_e32 v9, v8
	s_mov_b64 s[46:47], 0
	v_mov_b64_e32 v[14:15], s[12:13]
	v_mov_b64_e32 v[12:13], s[10:11]
	;; [unrolled: 1-line block ×3, first 2 shown]
                                        ; implicit-def: $vgpr40
	s_and_saveexec_b64 s[44:45], vcc
	s_cbranch_execz .LBB823_108
; %bb.89:
	v_mov_b32_e32 v9, 0
	v_add_u32_e32 v10, 14, v41
	v_cmp_ne_u16_sdwa s[46:47], v28, v9 src0_sel:WORD_1 src1_sel:DWORD
	v_and_b32_e32 v8, 0xffff, v32
	v_cmp_gt_u32_e32 vcc, s3, v10
	v_cndmask_b32_e64 v9, 0, 1, s[46:47]
	v_mov_b64_e32 v[16:17], s[14:15]
	v_lshl_or_b32 v8, v9, 16, v8
	v_mov_b32_e32 v9, s8
	s_mov_b64 s[46:47], 0
	v_mov_b64_e32 v[14:15], s[12:13]
	v_mov_b64_e32 v[12:13], s[10:11]
	;; [unrolled: 1-line block ×3, first 2 shown]
                                        ; implicit-def: $vgpr40
	s_and_saveexec_b64 s[8:9], vcc
	s_cbranch_execz .LBB823_107
; %bb.90:
	s_mov_b32 s76, 0
	v_add_u32_e32 v10, 15, v41
	v_cmp_ne_u16_e32 vcc, 0, v29
	s_mov_b32 s77, s76
	s_mov_b32 s78, s76
	v_cndmask_b32_e64 v9, 0, 1, vcc
	v_cmp_gt_u32_e32 vcc, s3, v10
	s_mov_b32 s79, s76
	s_mov_b32 s80, s76
	;; [unrolled: 1-line block ×5, first 2 shown]
	v_mov_b64_e32 v[10:11], s[76:77]
	v_alignbit_b32 v9, v9, v32, 16
	s_mov_b64 s[12:13], 0
	v_mov_b64_e32 v[12:13], s[78:79]
	v_mov_b64_e32 v[14:15], s[80:81]
	;; [unrolled: 1-line block ×3, first 2 shown]
                                        ; implicit-def: $vgpr40
	s_and_saveexec_b64 s[10:11], vcc
	s_cbranch_execz .LBB823_106
; %bb.91:
	v_mov_b32_e32 v12, 0
	v_cmp_ne_u16_sdwa s[12:13], v29, v12 src0_sel:WORD_1 src1_sel:DWORD
	v_and_b32_e32 v10, 0xffff, v33
	v_add_u32_e32 v11, 16, v41
	v_cndmask_b32_e64 v13, 0, 1, s[12:13]
	v_lshl_or_b32 v10, v13, 16, v10
	v_cmp_gt_u32_e32 vcc, s3, v11
	v_mov_b32_e32 v11, v12
	v_mov_b32_e32 v13, v12
	;; [unrolled: 1-line block ×6, first 2 shown]
	s_mov_b64 s[14:15], 0
                                        ; implicit-def: $vgpr40
	s_and_saveexec_b64 s[12:13], vcc
	s_cbranch_execz .LBB823_105
; %bb.92:
	v_cmp_ne_u16_e32 vcc, 0, v22
	v_add_u32_e32 v13, 17, v41
	v_mov_b32_e32 v14, v12
	v_cndmask_b32_e64 v11, 0, 1, vcc
	v_alignbit_b32 v11, v11, v33, 16
	v_cmp_gt_u32_e32 vcc, s3, v13
	v_mov_b32_e32 v13, v12
	v_mov_b32_e32 v15, v12
	;; [unrolled: 1-line block ×4, first 2 shown]
                                        ; implicit-def: $vgpr40
	s_and_saveexec_b64 s[14:15], vcc
	s_cbranch_execz .LBB823_104
; %bb.93:
	ds_read_b96 v[26:28], v49 offset:34
	v_mov_b32_e32 v14, 0
	v_cmp_ne_u16_sdwa s[46:47], v22, v14 src0_sel:WORD_1 src1_sel:DWORD
	v_add_u32_e32 v13, 18, v41
	v_cmp_gt_u32_e32 vcc, s3, v13
	v_cndmask_b32_e64 v12, 0, 1, s[46:47]
	s_waitcnt lgkmcnt(0)
	v_and_b32_e32 v15, 0xffff, v26
	v_lshl_or_b32 v12, v12, 16, v15
	v_mov_b32_e32 v13, v14
	v_mov_b32_e32 v15, v14
	;; [unrolled: 1-line block ×4, first 2 shown]
	s_mov_b64 s[48:49], 0
                                        ; implicit-def: $vgpr40
	s_and_saveexec_b64 s[46:47], vcc
	s_cbranch_execz .LBB823_103
; %bb.94:
	v_cmp_ne_u16_e32 vcc, 0, v23
	v_add_u32_e32 v15, 19, v41
	v_mov_b32_e32 v16, v14
	v_cndmask_b32_e64 v13, 0, 1, vcc
	v_alignbit_b32 v13, v13, v26, 16
	v_cmp_gt_u32_e32 vcc, s3, v15
	v_mov_b32_e32 v15, v14
	v_mov_b32_e32 v17, v14
	s_mov_b64 s[50:51], 0
                                        ; implicit-def: $vgpr40
	s_and_saveexec_b64 s[48:49], vcc
	s_cbranch_execz .LBB823_102
; %bb.95:
	v_mov_b32_e32 v16, 0
	v_cmp_ne_u16_sdwa s[50:51], v23, v16 src0_sel:WORD_1 src1_sel:DWORD
	v_and_b32_e32 v14, 0xffff, v27
	v_add_u32_e32 v15, 20, v41
	v_cndmask_b32_e64 v17, 0, 1, s[50:51]
	v_lshl_or_b32 v14, v17, 16, v14
	v_cmp_gt_u32_e32 vcc, s3, v15
	v_mov_b32_e32 v15, v16
	v_mov_b32_e32 v17, v16
	s_mov_b64 s[56:57], 0
                                        ; implicit-def: $vgpr40
	s_and_saveexec_b64 s[50:51], vcc
	s_cbranch_execz .LBB823_101
; %bb.96:
	v_cmp_ne_u16_e32 vcc, 0, v24
	v_add_u32_e32 v17, 21, v41
	s_mov_b32 s5, 0
	v_cndmask_b32_e64 v15, 0, 1, vcc
	v_alignbit_b32 v15, v15, v27, 16
	v_cmp_gt_u32_e32 vcc, s3, v17
	v_mov_b32_e32 v17, v16
	s_mov_b64 s[64:65], 0
                                        ; implicit-def: $vgpr40
	s_and_saveexec_b64 s[56:57], vcc
	s_cbranch_execz .LBB823_100
; %bb.97:
	v_mov_b32_e32 v17, 0
	v_cmp_ne_u16_sdwa s[64:65], v24, v17 src0_sel:WORD_1 src1_sel:DWORD
	v_and_b32_e32 v16, 0xffff, v28
	v_add_u32_e32 v22, 22, v41
	v_cndmask_b32_e64 v17, 0, 1, s[64:65]
	v_lshl_or_b32 v16, v17, 16, v16
	v_cmp_gt_u32_e32 vcc, s3, v22
	v_mov_b32_e32 v17, s5
	s_mov_b64 s[64:65], 0
                                        ; implicit-def: $vgpr40
	s_and_saveexec_b64 s[74:75], vcc
	s_xor_b64 s[74:75], exec, s[74:75]
	s_cbranch_execz .LBB823_99
; %bb.98:
	ds_read_u16 v40, v49 offset:46
	v_add_u32_e32 v22, 23, v41
	v_cmp_ne_u16_e32 vcc, 0, v25
	s_nop 1
	v_cndmask_b32_e64 v17, 0, 1, vcc
	v_cmp_gt_u32_e32 vcc, s3, v22
	v_alignbit_b32 v17, v17, v28, 16
	s_and_b64 s[64:65], vcc, exec
.LBB823_99:
	s_or_b64 exec, exec, s[74:75]
	s_and_b64 s[64:65], s[64:65], exec
.LBB823_100:
	s_or_b64 exec, exec, s[56:57]
	s_and_b64 s[56:57], s[64:65], exec
.LBB823_101:
	s_or_b64 exec, exec, s[50:51]
	s_and_b64 s[50:51], s[56:57], exec
.LBB823_102:
	s_or_b64 exec, exec, s[48:49]
	s_and_b64 s[48:49], s[50:51], exec
.LBB823_103:
	s_or_b64 exec, exec, s[46:47]
	s_and_b64 s[46:47], s[48:49], exec
.LBB823_104:
	s_or_b64 exec, exec, s[14:15]
	s_and_b64 s[14:15], s[46:47], exec
.LBB823_105:
	s_or_b64 exec, exec, s[12:13]
	s_and_b64 s[12:13], s[14:15], exec
.LBB823_106:
	s_or_b64 exec, exec, s[10:11]
	s_and_b64 s[46:47], s[12:13], exec
.LBB823_107:
	s_or_b64 exec, exec, s[8:9]
	s_and_b64 s[46:47], s[46:47], exec
.LBB823_108:
	s_or_b64 exec, exec, s[44:45]
	s_and_b64 s[44:45], s[46:47], exec
.LBB823_109:
	s_or_b64 exec, exec, s[42:43]
	s_and_b64 s[42:43], s[44:45], exec
.LBB823_110:
	s_or_b64 exec, exec, s[40:41]
	s_and_b64 s[40:41], s[42:43], exec
.LBB823_111:
	s_or_b64 exec, exec, s[38:39]
	s_and_b64 s[38:39], s[40:41], exec
.LBB823_112:
	s_or_b64 exec, exec, s[36:37]
	s_and_b64 s[36:37], s[38:39], exec
.LBB823_113:
	s_or_b64 exec, exec, s[34:35]
	s_and_b64 s[34:35], s[36:37], exec
.LBB823_114:
	s_or_b64 exec, exec, s[30:31]
	s_and_b64 s[30:31], s[34:35], exec
.LBB823_115:
	s_or_b64 exec, exec, s[28:29]
	s_and_b64 s[28:29], s[30:31], exec
.LBB823_116:
	s_or_b64 exec, exec, s[26:27]
	s_and_b64 s[26:27], s[28:29], exec
.LBB823_117:
	s_or_b64 exec, exec, s[24:25]
	s_and_b64 s[24:25], s[26:27], exec
.LBB823_118:
	s_or_b64 exec, exec, s[18:19]
	s_and_b64 s[24:25], s[24:25], exec
.LBB823_119:
	s_or_b64 exec, exec, s[16:17]
	s_and_b64 s[24:25], s[24:25], exec
.LBB823_120:
	s_or_b64 exec, exec, s[22:23]
	s_and_b64 s[8:9], s[24:25], exec
.LBB823_121:
	s_or_b64 exec, exec, s[6:7]
	s_and_b64 vcc, exec, s[20:21]
	v_lshlrev_b32_e32 v22, 1, v0
	s_cbranch_vccnz .LBB823_123
	s_branch .LBB823_124
.LBB823_122:
	s_mov_b64 s[8:9], 0
                                        ; implicit-def: $vgpr38_vgpr39
                                        ; implicit-def: $vgpr18_vgpr19_vgpr20_vgpr21
                                        ; implicit-def: $vgpr2_vgpr3_vgpr4_vgpr5_vgpr6_vgpr7_vgpr8_vgpr9
                                        ; implicit-def: $vgpr10_vgpr11_vgpr12_vgpr13_vgpr14_vgpr15_vgpr16_vgpr17
                                        ; implicit-def: $vgpr48
                                        ; implicit-def: $vgpr40
                                        ; implicit-def: $vgpr1
                                        ; implicit-def: $sgpr4
	s_and_b64 vcc, exec, s[20:21]
	v_lshlrev_b32_e32 v22, 1, v0
	s_cbranch_vccz .LBB823_124
.LBB823_123:
	v_mov_b32_e32 v23, 0
	v_lshl_add_u64 v[2:3], s[54:55], 0, v[22:23]
	v_add_co_u32_e32 v4, vcc, 0x1000, v2
	flat_load_ushort v1, v[2:3]
	flat_load_ushort v8, v[2:3] offset:512
	flat_load_ushort v9, v[2:3] offset:1024
	;; [unrolled: 1-line block ×7, first 2 shown]
	v_addc_co_u32_e32 v5, vcc, 0, v3, vcc
	v_add_co_u32_e32 v2, vcc, 0x2000, v2
	flat_load_ushort v15, v[4:5]
	flat_load_ushort v16, v[4:5] offset:512
	flat_load_ushort v17, v[4:5] offset:1024
	;; [unrolled: 1-line block ×7, first 2 shown]
	v_addc_co_u32_e32 v3, vcc, 0, v3, vcc
	flat_load_ushort v25, v[2:3]
	flat_load_ushort v26, v[2:3] offset:512
	flat_load_ushort v27, v[2:3] offset:1024
	;; [unrolled: 1-line block ×7, first 2 shown]
	s_movk_i32 s3, 0x1000
	v_lshl_add_u64 v[2:3], s[52:53], 0, v[22:23]
	v_add_co_u32_e32 v4, vcc, s3, v2
	s_movk_i32 s4, 0x2000
	v_mad_u32_u24 v33, v0, 46, v22
	s_movk_i32 s5, 0xffd2
	v_addc_co_u32_e32 v5, vcc, 0, v3, vcc
	v_mad_i32_i24 v34, v0, s5, v33
	v_add_co_u32_e32 v6, vcc, s4, v2
	s_or_b64 s[8:9], s[8:9], exec
	s_nop 0
	v_addc_co_u32_e32 v7, vcc, 0, v3, vcc
	s_waitcnt vmcnt(0) lgkmcnt(0)
	ds_write_b16 v22, v1
	ds_write_b16 v22, v8 offset:512
	ds_write_b16 v22, v9 offset:1024
	;; [unrolled: 1-line block ×23, first 2 shown]
	s_waitcnt lgkmcnt(0)
	s_barrier
	ds_read_b128 v[24:27], v33 offset:30
	ds_read_u16 v48, v33 offset:46
	ds_read_b32 v1, v33
	ds_read_u16 v14, v33 offset:4
	ds_read_b64 v[8:9], v33 offset:6
	ds_read_b128 v[10:13], v33 offset:14
	s_waitcnt lgkmcnt(4)
	ds_write_b16 v34, v48 offset:12288
	s_waitcnt lgkmcnt(0)
	s_barrier
	s_barrier
	flat_load_ushort v15, v[2:3]
	flat_load_ushort v16, v[2:3] offset:512
	flat_load_ushort v17, v[2:3] offset:1024
	;; [unrolled: 1-line block ×7, first 2 shown]
	flat_load_ushort v29, v[4:5]
	flat_load_ushort v30, v[4:5] offset:512
	flat_load_ushort v31, v[4:5] offset:1024
	;; [unrolled: 1-line block ×6, first 2 shown]
                                        ; kill: killed $vgpr2 killed $vgpr3
	flat_load_ushort v2, v[4:5] offset:3584
	flat_load_ushort v3, v[6:7]
	flat_load_ushort v37, v[6:7] offset:512
	flat_load_ushort v38, v[6:7] offset:1024
	;; [unrolled: 1-line block ×7, first 2 shown]
	v_cmp_ne_u16_sdwa s[4:5], v1, v23 src0_sel:WORD_1 src1_sel:DWORD
	v_cmp_ne_u16_e32 vcc, 0, v1
	s_waitcnt vmcnt(0) lgkmcnt(0)
	ds_write_b16 v22, v15
	ds_write_b16 v22, v16 offset:512
	ds_write_b16 v22, v17 offset:1024
	;; [unrolled: 1-line block ×23, first 2 shown]
	v_cndmask_b32_e64 v44, 0, 1, s[4:5]
	v_cmp_ne_u16_sdwa s[4:5], v9, v23 src0_sel:WORD_1 src1_sel:DWORD
	v_cndmask_b32_e64 v45, 0, 1, vcc
	v_cmp_ne_u16_e32 vcc, 0, v14
	v_cndmask_b32_e64 v14, 0, 1, s[4:5]
	v_cmp_ne_u16_sdwa s[4:5], v8, v23 src0_sel:WORD_1 src1_sel:DWORD
	s_waitcnt lgkmcnt(0)
	s_barrier
	ds_read_b32 v15, v33
	ds_read_u16 v16, v33 offset:4
	ds_read_b64 v[6:7], v33 offset:6
	ds_read_b128 v[2:5], v33 offset:14
	ds_read_b128 v[28:31], v33 offset:30
	ds_read_u16 v40, v33 offset:46
	v_cndmask_b32_e64 v1, 0, 1, vcc
	v_cndmask_b32_e64 v46, 0, 1, s[4:5]
	v_cmp_ne_u16_e32 vcc, 0, v9
	v_cmp_ne_u16_sdwa s[4:5], v13, v23 src0_sel:WORD_1 src1_sel:DWORD
	s_waitcnt lgkmcnt(4)
	v_lshl_or_b32 v1, v1, 16, v16
	v_cndmask_b32_e64 v9, 0, 1, vcc
	v_cndmask_b32_e64 v47, 0, 1, s[4:5]
	s_waitcnt lgkmcnt(3)
	v_and_b32_e32 v16, 0xffff, v7
	v_cmp_ne_u16_sdwa s[4:5], v12, v23 src0_sel:WORD_1 src1_sel:DWORD
	s_waitcnt lgkmcnt(2)
	v_and_b32_e32 v33, 0xffff, v5
	v_lshl_or_b32 v20, v9, 16, v16
	v_alignbit_b32 v9, v47, v5, 16
	v_cndmask_b32_e64 v5, 0, 1, s[4:5]
	v_cmp_ne_u16_sdwa s[4:5], v11, v23 src0_sel:WORD_1 src1_sel:DWORD
	v_cmp_ne_u16_e32 vcc, 0, v8
	v_and_b32_e32 v17, 0xffff, v15
	v_alignbit_b32 v39, v44, v15, 16
	v_and_b32_e32 v15, 0xffff, v6
	v_alignbit_b32 v21, v14, v7, 16
	v_alignbit_b32 v19, v46, v6, 16
	v_and_b32_e32 v6, 0xffff, v4
	v_alignbit_b32 v7, v5, v4, 16
	v_cndmask_b32_e64 v4, 0, 1, s[4:5]
	v_cmp_ne_u16_sdwa s[4:5], v10, v23 src0_sel:WORD_1 src1_sel:DWORD
	v_cndmask_b32_e64 v8, 0, 1, vcc
	v_and_b32_e32 v32, 0xffff, v3
	v_alignbit_b32 v5, v4, v3, 16
	v_cndmask_b32_e64 v3, 0, 1, s[4:5]
	v_cmp_ne_u16_e32 vcc, 0, v13
	v_and_b32_e32 v14, 0xffff, v2
	v_alignbit_b32 v3, v3, v2, 16
	v_cndmask_b32_e64 v2, 0, 1, vcc
	v_cmp_ne_u16_e32 vcc, 0, v12
	v_lshl_or_b32 v18, v8, 16, v15
	v_lshl_or_b32 v8, v2, 16, v33
	v_cndmask_b32_e64 v2, 0, 1, vcc
	v_cmp_ne_u16_e32 vcc, 0, v11
	v_cmp_ne_u16_sdwa s[4:5], v27, v23 src0_sel:WORD_1 src1_sel:DWORD
	v_lshl_or_b32 v6, v2, 16, v6
	v_cndmask_b32_e64 v2, 0, 1, vcc
	v_cmp_ne_u16_e32 vcc, 0, v10
	v_cndmask_b32_e64 v11, 0, 1, s[4:5]
	v_cmp_ne_u16_sdwa s[4:5], v26, v23 src0_sel:WORD_1 src1_sel:DWORD
	v_lshl_or_b32 v38, v45, 16, v17
	v_lshl_or_b32 v4, v2, 16, v32
	v_cndmask_b32_e64 v2, 0, 1, vcc
	s_waitcnt lgkmcnt(1)
	v_alignbit_b32 v17, v11, v31, 16
	v_cndmask_b32_e64 v11, 0, 1, s[4:5]
	v_cmp_ne_u16_sdwa s[4:5], v25, v23 src0_sel:WORD_1 src1_sel:DWORD
	v_cmp_ne_u16_e32 vcc, 0, v27
	v_and_b32_e32 v16, 0xffff, v31
	v_alignbit_b32 v15, v11, v30, 16
	v_cndmask_b32_e64 v11, 0, 1, s[4:5]
	v_cmp_ne_u16_sdwa s[4:5], v24, v23 src0_sel:WORD_1 src1_sel:DWORD
	v_cndmask_b32_e64 v23, 0, 1, vcc
	v_cmp_ne_u16_e32 vcc, 0, v26
	v_lshl_or_b32 v2, v2, 16, v14
	v_and_b32_e32 v14, 0xffff, v30
	v_lshl_or_b32 v16, v23, 16, v16
	v_cndmask_b32_e64 v23, 0, 1, vcc
	v_cmp_ne_u16_e32 vcc, 0, v25
	v_and_b32_e32 v12, 0xffff, v29
	v_lshl_or_b32 v14, v23, 16, v14
	v_cndmask_b32_e64 v23, 0, 1, vcc
	v_cmp_ne_u16_e32 vcc, 0, v24
	v_and_b32_e32 v10, 0xffff, v28
	v_alignbit_b32 v13, v11, v29, 16
	v_cndmask_b32_e64 v11, 0, 1, s[4:5]
	v_lshl_or_b32 v12, v23, 16, v12
	v_cndmask_b32_e64 v23, 0, 1, vcc
	v_alignbit_b32 v11, v11, v28, 16
	v_lshl_or_b32 v10, v23, 16, v10
                                        ; implicit-def: $sgpr4
.LBB823_124:
	v_mov_b32_e32 v23, s4
	s_and_saveexec_b64 s[4:5], s[8:9]
	s_cbranch_execz .LBB823_126
; %bb.125:
	v_cmp_ne_u16_e32 vcc, 0, v48
	s_waitcnt lgkmcnt(0)
	v_and_b32_e32 v23, 0xffff, v40
	v_cndmask_b32_e64 v24, 0, 1, vcc
	v_lshl_or_b32 v23, v24, 16, v23
.LBB823_126:
	s_or_b64 exec, exec, s[4:5]
	s_cmp_lg_u32 s2, 0
	v_mbcnt_lo_u32_b32 v34, -1, 0
	s_waitcnt lgkmcnt(0)
	s_barrier
	s_cbranch_scc0 .LBB823_215
; %bb.127:
	s_mov_b32 s3, 0x10000
	v_cmp_gt_u32_e64 s[52:53], s3, v39
	v_cmp_gt_u32_e64 s[4:5], s3, v1
	v_cmp_gt_u32_e64 s[6:7], s3, v18
	v_cndmask_b32_e64 v24, 0, v38, s[52:53]
	v_add_u16_e32 v24, v24, v39
	v_cndmask_b32_e64 v24, 0, v24, s[4:5]
	v_add_u16_e32 v24, v24, v1
	v_cndmask_b32_e64 v24, 0, v24, s[6:7]
	v_add_u16_e32 v24, v24, v18
	v_cmp_gt_u32_e64 s[8:9], s3, v19
	v_cmp_gt_u32_e64 s[10:11], s3, v20
	v_cmp_gt_u32_e64 s[12:13], s3, v21
	v_cndmask_b32_e64 v24, 0, v24, s[8:9]
	v_add_u16_e32 v24, v24, v19
	v_cndmask_b32_e64 v24, 0, v24, s[10:11]
	v_add_u16_e32 v24, v24, v20
	v_cndmask_b32_e64 v24, 0, v24, s[12:13]
	v_add_u16_e32 v24, v24, v21
	;; [unrolled: 9-line block ×5, first 2 shown]
	v_cmp_gt_u32_e64 s[34:35], s3, v11
	v_cmp_gt_u32_e64 s[36:37], s3, v12
	v_or3_b32 v25, v23, v17, v16
	v_cndmask_b32_e64 v24, 0, v24, s[34:35]
	v_add_u16_e32 v24, v24, v11
	v_cndmask_b32_e64 v24, 0, v24, s[36:37]
	v_add_u16_e32 v24, v24, v12
	v_cmp_gt_u32_e64 s[38:39], s3, v13
	v_or3_b32 v25, v25, v15, v14
	v_or3_b32 v25, v25, v13, v12
	v_cndmask_b32_e64 v24, 0, v24, s[38:39]
	v_add_u16_e32 v24, v24, v13
	v_cmp_gt_u32_e64 s[40:41], s3, v14
	v_or3_b32 v25, v25, v11, v10
	v_or3_b32 v25, v25, v9, v8
	;; [unrolled: 5-line block ×5, first 2 shown]
	v_cndmask_b32_e64 v24, 0, v24, s[46:47]
	v_add_u16_e32 v24, v24, v17
	v_cmp_gt_u32_e64 s[48:49], s3, v23
	v_and_b32_e32 v25, 0x10000, v25
	v_lshrrev_b32_e32 v35, 16, v38
	v_cndmask_b32_e64 v26, 0, v24, s[48:49]
	v_cmp_ne_u32_e32 vcc, 0, v25
	v_add_u16_e32 v24, v26, v23
	v_mbcnt_hi_u32_b32 v27, -1, v34
	v_cndmask_b32_e64 v25, v35, 1, vcc
	v_add_u16_e32 v26, v26, v23
	v_and_b32_e32 v29, 15, v27
	v_lshl_or_b32 v26, v25, 16, v26
	v_cmp_ne_u32_e32 vcc, 0, v29
	s_nop 0
	v_mov_b32_dpp v28, v26 row_shr:1 row_mask:0xf bank_mask:0xf
	s_and_saveexec_b64 s[50:51], vcc
	s_cbranch_execz .LBB823_129
; %bb.128:
	v_cmp_eq_u32_e32 vcc, 0, v25
	v_and_b32_e32 v25, 1, v25
	v_mov_b32_e32 v31, 1
	v_cndmask_b32_e32 v26, 0, v28, vcc
	v_and_b32_sdwa v28, v28, v31 dst_sel:DWORD dst_unused:UNUSED_PAD src0_sel:WORD_1 src1_sel:DWORD
	v_cmp_eq_u32_e32 vcc, 1, v25
	v_add_u16_e32 v30, v26, v24
	v_add_u16_e32 v24, v26, v24
	v_cndmask_b32_e64 v25, v28, 1, vcc
	v_lshlrev_b32_e32 v28, 16, v25
	v_or_b32_e32 v26, v28, v24
	v_mov_b32_e32 v24, v30
.LBB823_129:
	s_or_b64 exec, exec, s[50:51]
	v_lshrrev_b32_e32 v28, 16, v26
	v_mov_b32_dpp v30, v26 row_shr:2 row_mask:0xf bank_mask:0xf
	v_cmp_lt_u32_e32 vcc, 1, v29
	s_and_saveexec_b64 s[50:51], vcc
	s_cbranch_execz .LBB823_131
; %bb.130:
	v_cmp_gt_u32_e32 vcc, s3, v26
	v_and_b32_e32 v25, 0x10000, v26
	v_mov_b32_e32 v26, 1
	v_cndmask_b32_e32 v28, 0, v30, vcc
	v_and_b32_sdwa v26, v30, v26 dst_sel:DWORD dst_unused:UNUSED_PAD src0_sel:WORD_1 src1_sel:DWORD
	v_cmp_ne_u32_e32 vcc, 0, v25
	v_add_u16_e32 v31, v28, v24
	v_add_u16_e32 v24, v28, v24
	v_cndmask_b32_e64 v25, v26, 1, vcc
	v_lshlrev_b32_e32 v26, 16, v25
	v_or_b32_e32 v26, v26, v24
	v_mov_b32_e32 v28, v25
	v_mov_b32_e32 v24, v31
.LBB823_131:
	s_or_b64 exec, exec, s[50:51]
	v_mov_b32_dpp v30, v26 row_shr:4 row_mask:0xf bank_mask:0xf
	v_cmp_lt_u32_e32 vcc, 3, v29
	s_and_saveexec_b64 s[50:51], vcc
	s_cbranch_execz .LBB823_133
; %bb.132:
	v_mov_b32_e32 v25, 0
	v_cmp_eq_u16_sdwa vcc, v28, v25 src0_sel:BYTE_0 src1_sel:DWORD
	v_and_b32_e32 v25, 1, v28
	v_mov_b32_e32 v28, 1
	v_cndmask_b32_e32 v26, 0, v30, vcc
	v_and_b32_sdwa v28, v30, v28 dst_sel:DWORD dst_unused:UNUSED_PAD src0_sel:WORD_1 src1_sel:DWORD
	v_cmp_eq_u32_e32 vcc, 1, v25
	v_add_u16_e32 v31, v26, v24
	v_add_u16_e32 v24, v26, v24
	v_cndmask_b32_e64 v25, v28, 1, vcc
	v_lshlrev_b32_e32 v28, 16, v25
	v_or_b32_e32 v26, v28, v24
	v_mov_b32_e32 v28, v25
	v_mov_b32_e32 v24, v31
.LBB823_133:
	s_or_b64 exec, exec, s[50:51]
	v_mov_b32_dpp v30, v26 row_shr:8 row_mask:0xf bank_mask:0xf
	v_cmp_lt_u32_e32 vcc, 7, v29
	s_and_saveexec_b64 s[50:51], vcc
	s_cbranch_execz .LBB823_135
; %bb.134:
	v_mov_b32_e32 v25, 0
	v_cmp_eq_u16_sdwa vcc, v28, v25 src0_sel:BYTE_0 src1_sel:DWORD
	v_and_b32_e32 v25, 1, v28
	v_mov_b32_e32 v28, 1
	v_cndmask_b32_e32 v26, 0, v30, vcc
	v_and_b32_sdwa v28, v30, v28 dst_sel:DWORD dst_unused:UNUSED_PAD src0_sel:WORD_1 src1_sel:DWORD
	v_cmp_eq_u32_e32 vcc, 1, v25
	v_add_u16_e32 v29, v26, v24
	v_add_u16_e32 v24, v26, v24
	v_cndmask_b32_e64 v25, v28, 1, vcc
	v_lshlrev_b32_e32 v28, 16, v25
	v_or_b32_e32 v26, v28, v24
	v_mov_b32_e32 v28, v25
	v_mov_b32_e32 v24, v29
.LBB823_135:
	s_or_b64 exec, exec, s[50:51]
	v_and_b32_e32 v30, 16, v27
	v_mov_b32_dpp v29, v26 row_bcast:15 row_mask:0xf bank_mask:0xf
	v_cmp_ne_u32_e32 vcc, 0, v30
	s_and_saveexec_b64 s[50:51], vcc
	s_cbranch_execz .LBB823_137
; %bb.136:
	v_mov_b32_e32 v25, 0
	v_cmp_eq_u16_sdwa vcc, v28, v25 src0_sel:BYTE_0 src1_sel:DWORD
	v_and_b32_e32 v25, 1, v28
	v_mov_b32_e32 v28, 1
	v_cndmask_b32_e32 v26, 0, v29, vcc
	v_and_b32_sdwa v28, v29, v28 dst_sel:DWORD dst_unused:UNUSED_PAD src0_sel:WORD_1 src1_sel:DWORD
	v_cmp_eq_u32_e32 vcc, 1, v25
	v_add_u16_e32 v30, v26, v24
	v_add_u16_e32 v24, v26, v24
	v_cndmask_b32_e64 v25, v28, 1, vcc
	v_lshlrev_b32_e32 v28, 16, v25
	v_or_b32_e32 v26, v28, v24
	v_mov_b32_e32 v24, v30
	v_mov_b32_e32 v28, v25
.LBB823_137:
	s_or_b64 exec, exec, s[50:51]
	v_mov_b32_dpp v26, v26 row_bcast:31 row_mask:0xf bank_mask:0xf
	v_cmp_lt_u32_e32 vcc, 31, v27
	s_and_saveexec_b64 s[50:51], vcc
; %bb.138:
	v_mov_b32_e32 v25, 0
	v_cmp_eq_u16_sdwa vcc, v28, v25 src0_sel:BYTE_0 src1_sel:DWORD
	s_nop 1
	v_cndmask_b32_e32 v25, 0, v26, vcc
	v_add_u16_e32 v24, v25, v24
	v_and_b32_e32 v25, 1, v28
	v_mov_b32_e32 v28, 1
	v_and_b32_sdwa v26, v26, v28 dst_sel:DWORD dst_unused:UNUSED_PAD src0_sel:WORD_1 src1_sel:DWORD
	v_cmp_eq_u32_e32 vcc, 1, v25
	s_nop 1
	v_cndmask_b32_e64 v25, v26, 1, vcc
; %bb.139:
	s_or_b64 exec, exec, s[50:51]
	v_or_b32_e32 v28, 63, v0
	v_lshrrev_b32_e32 v26, 6, v0
	v_cmp_eq_u32_e32 vcc, v28, v0
	s_and_saveexec_b64 s[50:51], vcc
	s_cbranch_execz .LBB823_141
; %bb.140:
	v_lshlrev_b32_e32 v28, 2, v26
	ds_write_b16 v28, v24
	ds_write_b8 v28, v25 offset:2
.LBB823_141:
	s_or_b64 exec, exec, s[50:51]
	v_cmp_gt_u32_e32 vcc, 4, v0
	s_waitcnt lgkmcnt(0)
	s_barrier
	s_and_saveexec_b64 s[50:51], vcc
	s_cbranch_execz .LBB823_147
; %bb.142:
	v_lshlrev_b32_e32 v28, 2, v0
	ds_read_b32 v29, v28
	v_and_b32_e32 v32, 3, v27
	v_cmp_ne_u32_e32 vcc, 0, v32
	s_waitcnt lgkmcnt(0)
	v_lshrrev_b32_e32 v31, 16, v29
	v_mov_b32_dpp v33, v29 row_shr:1 row_mask:0xf bank_mask:0xf
	v_mov_b32_e32 v30, v29
	s_and_saveexec_b64 s[54:55], vcc
	s_cbranch_execz .LBB823_144
; %bb.143:
	v_mov_b32_e32 v30, 0
	v_cmp_eq_u16_sdwa vcc, v31, v30 src0_sel:BYTE_0 src1_sel:DWORD
	v_and_b32_e32 v31, 0x10000, v29
	v_mov_b32_e32 v40, 1
	v_cndmask_b32_e32 v37, 0, v33, vcc
	v_and_b32_sdwa v33, v33, v40 dst_sel:DWORD dst_unused:UNUSED_PAD src0_sel:WORD_1 src1_sel:DWORD
	v_cmp_ne_u32_e32 vcc, 0, v31
	v_and_b32_e32 v36, 0xff000000, v29
	v_add_u16_e32 v30, v37, v29
	v_cndmask_b32_e64 v31, v33, 1, vcc
	v_lshlrev_b32_e32 v33, 16, v31
	v_add_u16_e32 v29, v37, v29
	v_or3_b32 v29, v33, v36, v29
.LBB823_144:
	s_or_b64 exec, exec, s[54:55]
	s_nop 0
	v_mov_b32_dpp v33, v29 row_shr:2 row_mask:0xf bank_mask:0xf
	v_cmp_lt_u32_e32 vcc, 1, v32
	s_and_saveexec_b64 s[54:55], vcc
; %bb.145:
	v_and_b32_e32 v31, 0xff0000, v29
	v_cmp_eq_u32_e32 vcc, 0, v31
	v_and_b32_e32 v29, 0x10000, v29
	s_nop 0
	v_cndmask_b32_e32 v31, 0, v33, vcc
	v_add_u16_e32 v30, v31, v30
	v_mov_b32_e32 v31, 1
	v_and_b32_sdwa v31, v33, v31 dst_sel:DWORD dst_unused:UNUSED_PAD src0_sel:WORD_1 src1_sel:DWORD
	v_cmp_eq_u32_e32 vcc, 0, v29
	s_nop 1
	v_cndmask_b32_e32 v31, 1, v31, vcc
; %bb.146:
	s_or_b64 exec, exec, s[54:55]
	ds_write_b16 v28, v30
	ds_write_b8 v28, v31 offset:2
.LBB823_147:
	s_or_b64 exec, exec, s[50:51]
	v_cmp_gt_u32_e32 vcc, 64, v0
	v_cmp_lt_u32_e64 s[50:51], 63, v0
	v_mov_b32_e32 v36, 0
	v_mov_b32_e32 v37, 0
	s_waitcnt lgkmcnt(0)
	s_barrier
	s_and_saveexec_b64 s[54:55], s[50:51]
	s_cbranch_execz .LBB823_149
; %bb.148:
	v_lshl_add_u32 v26, v26, 2, -4
	ds_read_u16 v36, v26
	ds_read_u8 v37, v26 offset:2
	v_mov_b32_e32 v28, 0
	v_and_b32_e32 v29, 1, v25
	v_cmp_eq_u16_sdwa s[50:51], v25, v28 src0_sel:BYTE_0 src1_sel:DWORD
	s_waitcnt lgkmcnt(1)
	s_nop 0
	v_cndmask_b32_e64 v25, 0, v36, s[50:51]
	v_cmp_eq_u32_e64 s[50:51], 1, v29
	v_add_u16_e32 v24, v25, v24
	s_waitcnt lgkmcnt(0)
	v_cndmask_b32_e64 v25, v37, 1, s[50:51]
.LBB823_149:
	s_or_b64 exec, exec, s[54:55]
	v_and_b32_e32 v25, 0xff, v25
	v_and_b32_e32 v24, 0xffff, v24
	v_lshl_or_b32 v24, v25, 16, v24
	v_add_u32_e32 v25, -1, v27
	v_and_b32_e32 v26, 64, v27
	v_cmp_lt_i32_e64 s[50:51], v25, v26
	s_nop 1
	v_cndmask_b32_e64 v25, v25, v27, s[50:51]
	v_lshlrev_b32_e32 v25, 2, v25
	ds_bpermute_b32 v40, v25, v24
	v_cmp_eq_u32_e64 s[50:51], 0, v27
	s_and_saveexec_b64 s[54:55], vcc
	s_cbranch_execz .LBB823_192
; %bb.150:
	v_mov_b32_e32 v31, 0
	ds_read_b32 v24, v31 offset:12
	s_and_saveexec_b64 s[56:57], s[50:51]
	s_cbranch_execz .LBB823_152
; %bb.151:
	s_add_i32 s64, s2, 64
	s_mov_b32 s65, 0
	s_lshl_b64 s[64:65], s[64:65], 3
	s_add_u32 s64, s60, s64
	v_mov_b32_e32 v25, 1
	s_addc_u32 s65, s61, s65
	s_waitcnt lgkmcnt(0)
	global_store_dwordx2 v31, v[24:25], s[64:65] sc1
.LBB823_152:
	s_or_b64 exec, exec, s[56:57]
	v_xad_u32 v26, v27, -1, s2
	v_add_u32_e32 v30, 64, v26
	v_lshl_add_u64 v[32:33], v[30:31], 3, s[60:61]
	global_load_dwordx2 v[28:29], v[32:33], off sc1
	s_waitcnt vmcnt(0)
	v_cmp_eq_u16_sdwa s[64:65], v29, v31 src0_sel:BYTE_0 src1_sel:DWORD
	s_and_saveexec_b64 s[56:57], s[64:65]
	s_cbranch_execz .LBB823_156
; %bb.153:
	s_mov_b64 s[64:65], 0
	v_mov_b32_e32 v25, 0
.LBB823_154:                            ; =>This Inner Loop Header: Depth=1
	global_load_dwordx2 v[28:29], v[32:33], off sc1
	s_waitcnt vmcnt(0)
	v_cmp_ne_u16_sdwa s[74:75], v29, v25 src0_sel:BYTE_0 src1_sel:DWORD
	s_or_b64 s[64:65], s[74:75], s[64:65]
	s_andn2_b64 exec, exec, s[64:65]
	s_cbranch_execnz .LBB823_154
; %bb.155:
	s_or_b64 exec, exec, s[64:65]
.LBB823_156:
	s_or_b64 exec, exec, s[56:57]
	v_mov_b32_e32 v25, 2
	v_cmp_eq_u16_sdwa s[56:57], v29, v25 src0_sel:BYTE_0 src1_sel:DWORD
	v_lshlrev_b64 v[30:31], v27, -1
	v_and_b32_e32 v52, 0xffffff, v28
	v_and_b32_e32 v25, s57, v31
	v_or_b32_e32 v25, 0x80000000, v25
	v_ffbl_b32_e32 v25, v25
	v_add_u32_e32 v33, 32, v25
	v_and_b32_e32 v25, 63, v27
	v_cmp_ne_u32_e32 vcc, 63, v25
	v_and_b32_e32 v32, s56, v30
	v_ffbl_b32_e32 v32, v32
	v_addc_co_u32_e32 v41, vcc, 0, v27, vcc
	v_lshlrev_b32_e32 v41, 2, v41
	ds_bpermute_b32 v42, v41, v52
	v_min_u32_e32 v33, v32, v33
	v_lshrrev_b32_e32 v32, 16, v28
	v_cmp_lt_u32_e32 vcc, v25, v33
	v_bfe_u32 v50, v28, 16, 8
	s_and_saveexec_b64 s[56:57], vcc
	s_cbranch_execz .LBB823_158
; %bb.157:
	v_and_b32_e32 v32, 0xff0000, v28
	v_cmp_eq_u32_e32 vcc, 0, v32
	v_and_b32_e32 v32, 0x10000, v32
	v_mov_b32_e32 v45, 1
	s_waitcnt lgkmcnt(0)
	v_cndmask_b32_e32 v43, 0, v42, vcc
	v_and_b32_sdwa v42, v42, v45 dst_sel:DWORD dst_unused:UNUSED_PAD src0_sel:WORD_1 src1_sel:DWORD
	v_cmp_ne_u32_e32 vcc, 0, v32
	v_add_u16_e32 v44, v43, v28
	v_add_u16_e32 v28, v43, v28
	v_cndmask_b32_e64 v32, v42, 1, vcc
	v_lshlrev_b32_e32 v42, 16, v32
	v_or_b32_e32 v52, v42, v28
	v_mov_b32_e32 v28, v44
	v_mov_b32_e32 v50, v32
.LBB823_158:
	s_or_b64 exec, exec, s[56:57]
	v_cmp_gt_u32_e32 vcc, 62, v25
	v_add_u32_e32 v43, 2, v25
	s_waitcnt lgkmcnt(0)
	v_cndmask_b32_e64 v42, 0, 1, vcc
	v_lshlrev_b32_e32 v42, 1, v42
	v_add_lshl_u32 v42, v42, v27, 2
	ds_bpermute_b32 v44, v42, v52
	v_cmp_le_u32_e32 vcc, v43, v33
	s_and_saveexec_b64 s[56:57], vcc
	s_cbranch_execz .LBB823_160
; %bb.159:
	v_cmp_eq_u16_e32 vcc, 0, v50
	v_and_b32_e32 v32, 1, v50
	v_mov_b32_e32 v47, 1
	s_waitcnt lgkmcnt(0)
	v_cndmask_b32_e32 v45, 0, v44, vcc
	v_and_b32_sdwa v44, v44, v47 dst_sel:DWORD dst_unused:UNUSED_PAD src0_sel:WORD_1 src1_sel:DWORD
	v_cmp_eq_u32_e32 vcc, 1, v32
	v_add_u16_e32 v46, v45, v28
	v_add_u16_e32 v28, v45, v28
	v_cndmask_b32_e64 v32, v44, 1, vcc
	v_lshlrev_b32_e32 v44, 16, v32
	v_or_b32_e32 v52, v44, v28
	v_mov_b32_e32 v28, v46
	v_mov_b32_e32 v50, v32
.LBB823_160:
	s_or_b64 exec, exec, s[56:57]
	v_cmp_gt_u32_e32 vcc, 60, v25
	v_add_u32_e32 v45, 4, v25
	s_waitcnt lgkmcnt(0)
	v_cndmask_b32_e64 v44, 0, 1, vcc
	v_lshlrev_b32_e32 v44, 2, v44
	v_add_lshl_u32 v44, v44, v27, 2
	ds_bpermute_b32 v46, v44, v52
	v_cmp_le_u32_e32 vcc, v45, v33
	s_and_saveexec_b64 s[56:57], vcc
	s_cbranch_execz .LBB823_162
; %bb.161:
	v_cmp_eq_u16_e32 vcc, 0, v50
	v_and_b32_e32 v32, 1, v50
	v_mov_b32_e32 v49, 1
	s_waitcnt lgkmcnt(0)
	v_cndmask_b32_e32 v47, 0, v46, vcc
	v_and_b32_sdwa v46, v46, v49 dst_sel:DWORD dst_unused:UNUSED_PAD src0_sel:WORD_1 src1_sel:DWORD
	v_cmp_eq_u32_e32 vcc, 1, v32
	v_add_u16_e32 v48, v47, v28
	v_add_u16_e32 v28, v47, v28
	v_cndmask_b32_e64 v32, v46, 1, vcc
	v_lshlrev_b32_e32 v46, 16, v32
	v_or_b32_e32 v52, v46, v28
	v_mov_b32_e32 v28, v48
	v_mov_b32_e32 v50, v32
.LBB823_162:
	;; [unrolled: 27-line block ×4, first 2 shown]
	s_or_b64 exec, exec, s[56:57]
	v_cmp_gt_u32_e32 vcc, 32, v25
	v_add_u32_e32 v53, 32, v25
	s_waitcnt lgkmcnt(0)
	v_cndmask_b32_e64 v51, 0, 1, vcc
	v_lshlrev_b32_e32 v51, 5, v51
	v_add_lshl_u32 v51, v51, v27, 2
	ds_bpermute_b32 v27, v51, v52
	v_cmp_le_u32_e32 vcc, v53, v33
	s_and_saveexec_b64 s[56:57], vcc
	s_cbranch_execz .LBB823_168
; %bb.167:
	v_cmp_eq_u16_e32 vcc, 0, v50
	v_mov_b32_e32 v33, 1
	s_waitcnt lgkmcnt(0)
	v_cndmask_b32_e32 v32, 0, v27, vcc
	v_add_u16_e32 v28, v32, v28
	v_and_b32_e32 v32, 1, v50
	v_and_b32_sdwa v27, v27, v33 dst_sel:DWORD dst_unused:UNUSED_PAD src0_sel:WORD_1 src1_sel:DWORD
	v_cmp_eq_u32_e32 vcc, 1, v32
	s_nop 1
	v_cndmask_b32_e64 v32, v27, 1, vcc
.LBB823_168:
	s_or_b64 exec, exec, s[56:57]
	s_waitcnt lgkmcnt(0)
	v_mov_b32_e32 v27, 0
	v_mov_b32_e32 v54, 2
	;; [unrolled: 1-line block ×3, first 2 shown]
	s_branch .LBB823_170
.LBB823_169:                            ;   in Loop: Header=BB823_170 Depth=1
	s_or_b64 exec, exec, s[56:57]
	v_cmp_eq_u16_sdwa vcc, v50, v27 src0_sel:BYTE_0 src1_sel:DWORD
	v_and_b32_e32 v32, 1, v50
	v_and_b32_e32 v33, 1, v33
	v_cndmask_b32_e32 v28, 0, v28, vcc
	v_cmp_eq_u32_e32 vcc, 1, v32
	v_subrev_u32_e32 v26, 64, v26
	v_add_u16_e32 v28, v28, v52
	v_cndmask_b32_e64 v32, v33, 1, vcc
.LBB823_170:                            ; =>This Loop Header: Depth=1
                                        ;     Child Loop BB823_173 Depth 2
	v_cmp_ne_u16_sdwa s[56:57], v29, v54 src0_sel:BYTE_0 src1_sel:DWORD
	v_mov_b32_e32 v50, v32
	v_mov_b32_e32 v52, v28
	v_cndmask_b32_e64 v29, 0, 1, s[56:57]
	;;#ASMSTART
	;;#ASMEND
	s_nop 0
	v_cmp_ne_u32_e32 vcc, 0, v29
	s_cmp_lg_u64 vcc, exec
	s_cbranch_scc1 .LBB823_187
; %bb.171:                              ;   in Loop: Header=BB823_170 Depth=1
	v_lshl_add_u64 v[32:33], v[26:27], 3, s[60:61]
	global_load_dwordx2 v[28:29], v[32:33], off sc1
	s_waitcnt vmcnt(0)
	v_cmp_eq_u16_sdwa s[64:65], v29, v27 src0_sel:BYTE_0 src1_sel:DWORD
	s_and_saveexec_b64 s[56:57], s[64:65]
	s_cbranch_execz .LBB823_175
; %bb.172:                              ;   in Loop: Header=BB823_170 Depth=1
	s_mov_b64 s[64:65], 0
.LBB823_173:                            ;   Parent Loop BB823_170 Depth=1
                                        ; =>  This Inner Loop Header: Depth=2
	global_load_dwordx2 v[28:29], v[32:33], off sc1
	s_waitcnt vmcnt(0)
	v_cmp_ne_u16_sdwa s[74:75], v29, v27 src0_sel:BYTE_0 src1_sel:DWORD
	s_or_b64 s[64:65], s[74:75], s[64:65]
	s_andn2_b64 exec, exec, s[64:65]
	s_cbranch_execnz .LBB823_173
; %bb.174:                              ;   in Loop: Header=BB823_170 Depth=1
	s_or_b64 exec, exec, s[64:65]
.LBB823_175:                            ;   in Loop: Header=BB823_170 Depth=1
	s_or_b64 exec, exec, s[56:57]
	v_cmp_eq_u16_sdwa s[56:57], v29, v54 src0_sel:BYTE_0 src1_sel:DWORD
	s_waitcnt lgkmcnt(0)
	v_and_b32_e32 v57, 0xffffff, v28
	ds_bpermute_b32 v58, v41, v57
	v_and_b32_e32 v32, s57, v31
	v_or_b32_e32 v32, 0x80000000, v32
	v_and_b32_e32 v33, s56, v30
	v_ffbl_b32_e32 v32, v32
	v_add_u32_e32 v32, 32, v32
	v_ffbl_b32_e32 v33, v33
	v_min_u32_e32 v32, v33, v32
	v_lshrrev_b32_e32 v33, 16, v28
	v_cmp_lt_u32_e32 vcc, v25, v32
	v_bfe_u32 v56, v28, 16, 8
	s_and_saveexec_b64 s[56:57], vcc
	s_cbranch_execz .LBB823_177
; %bb.176:                              ;   in Loop: Header=BB823_170 Depth=1
	v_and_b32_e32 v33, 0xff0000, v28
	v_cmp_eq_u32_e32 vcc, 0, v33
	v_and_b32_e32 v33, 0x10000, v33
	s_waitcnt lgkmcnt(0)
	v_and_b32_sdwa v57, v58, v55 dst_sel:DWORD dst_unused:UNUSED_PAD src0_sel:WORD_1 src1_sel:DWORD
	v_cndmask_b32_e32 v56, 0, v58, vcc
	v_cmp_ne_u32_e32 vcc, 0, v33
	v_add_u16_e32 v59, v56, v28
	v_add_u16_e32 v28, v56, v28
	v_cndmask_b32_e64 v33, v57, 1, vcc
	v_lshlrev_b32_e32 v57, 16, v33
	v_or_b32_e32 v57, v57, v28
	v_mov_b32_e32 v28, v59
	v_mov_b32_e32 v56, v33
.LBB823_177:                            ;   in Loop: Header=BB823_170 Depth=1
	s_or_b64 exec, exec, s[56:57]
	s_waitcnt lgkmcnt(0)
	ds_bpermute_b32 v58, v42, v57
	v_cmp_le_u32_e32 vcc, v43, v32
	s_and_saveexec_b64 s[56:57], vcc
	s_cbranch_execz .LBB823_179
; %bb.178:                              ;   in Loop: Header=BB823_170 Depth=1
	v_cmp_eq_u16_e32 vcc, 0, v56
	v_and_b32_e32 v33, 1, v56
	s_waitcnt lgkmcnt(0)
	v_and_b32_sdwa v56, v58, v55 dst_sel:DWORD dst_unused:UNUSED_PAD src0_sel:WORD_1 src1_sel:DWORD
	v_cndmask_b32_e32 v57, 0, v58, vcc
	v_cmp_eq_u32_e32 vcc, 1, v33
	v_add_u16_e32 v59, v57, v28
	v_add_u16_e32 v28, v57, v28
	v_cndmask_b32_e64 v33, v56, 1, vcc
	v_lshlrev_b32_e32 v56, 16, v33
	v_or_b32_e32 v57, v56, v28
	v_mov_b32_e32 v28, v59
	v_mov_b32_e32 v56, v33
.LBB823_179:                            ;   in Loop: Header=BB823_170 Depth=1
	s_or_b64 exec, exec, s[56:57]
	s_waitcnt lgkmcnt(0)
	ds_bpermute_b32 v58, v44, v57
	v_cmp_le_u32_e32 vcc, v45, v32
	s_and_saveexec_b64 s[56:57], vcc
	s_cbranch_execz .LBB823_181
; %bb.180:                              ;   in Loop: Header=BB823_170 Depth=1
	v_cmp_eq_u16_e32 vcc, 0, v56
	v_and_b32_e32 v33, 1, v56
	s_waitcnt lgkmcnt(0)
	v_and_b32_sdwa v56, v58, v55 dst_sel:DWORD dst_unused:UNUSED_PAD src0_sel:WORD_1 src1_sel:DWORD
	v_cndmask_b32_e32 v57, 0, v58, vcc
	v_cmp_eq_u32_e32 vcc, 1, v33
	v_add_u16_e32 v59, v57, v28
	v_add_u16_e32 v28, v57, v28
	v_cndmask_b32_e64 v33, v56, 1, vcc
	v_lshlrev_b32_e32 v56, 16, v33
	v_or_b32_e32 v57, v56, v28
	v_mov_b32_e32 v28, v59
	v_mov_b32_e32 v56, v33
.LBB823_181:                            ;   in Loop: Header=BB823_170 Depth=1
	;; [unrolled: 21-line block ×4, first 2 shown]
	s_or_b64 exec, exec, s[56:57]
	ds_bpermute_b32 v57, v51, v57
	v_cmp_le_u32_e32 vcc, v53, v32
	s_and_saveexec_b64 s[56:57], vcc
	s_cbranch_execz .LBB823_169
; %bb.186:                              ;   in Loop: Header=BB823_170 Depth=1
	v_cmp_eq_u16_e32 vcc, 0, v56
	s_waitcnt lgkmcnt(0)
	v_lshrrev_b32_e32 v33, 16, v57
	v_cndmask_b32_e32 v32, 0, v57, vcc
	v_add_u16_e32 v28, v32, v28
	v_and_b32_e32 v32, 1, v56
	v_cmp_eq_u32_e32 vcc, 1, v32
	s_nop 1
	v_cndmask_b32_e64 v33, v33, 1, vcc
	s_branch .LBB823_169
.LBB823_187:                            ;   in Loop: Header=BB823_170 Depth=1
                                        ; implicit-def: $vgpr32
                                        ; implicit-def: $vgpr28
	s_cbranch_execz .LBB823_170
; %bb.188:
	s_and_saveexec_b64 s[56:57], s[50:51]
	s_cbranch_execz .LBB823_190
; %bb.189:
	v_and_b32_e32 v25, 0xff0000, v24
	s_mov_b32 s3, 0
	v_cmp_eq_u32_e32 vcc, 0, v25
	v_and_b32_e32 v26, 0x10000, v24
	v_mov_b32_e32 v27, 1
	s_add_i32 s2, s2, 64
	v_cndmask_b32_e32 v25, 0, v52, vcc
	v_and_b32_sdwa v27, v50, v27 dst_sel:WORD_1 dst_unused:UNUSED_PAD src0_sel:DWORD src1_sel:DWORD
	v_mov_b32_e32 v28, 0x10000
	v_cmp_eq_u32_e32 vcc, 0, v26
	s_lshl_b64 s[2:3], s[2:3], 3
	s_add_u32 s2, s60, s2
	v_cndmask_b32_e32 v26, v28, v27, vcc
	v_add_u16_e32 v24, v25, v24
	s_addc_u32 s3, s61, s3
	v_mov_b32_e32 v27, 0
	v_or_b32_e32 v24, v26, v24
	v_mov_b32_e32 v25, 2
	global_store_dwordx2 v27, v[24:25], s[2:3] sc1
.LBB823_190:
	s_or_b64 exec, exec, s[56:57]
	v_cmp_eq_u32_e32 vcc, 0, v0
	s_and_b64 exec, exec, vcc
	s_cbranch_execz .LBB823_192
; %bb.191:
	v_mov_b32_e32 v24, 0
	ds_write_b16 v24, v52 offset:12
	ds_write_b8 v24, v50 offset:14
.LBB823_192:
	s_or_b64 exec, exec, s[54:55]
	s_waitcnt lgkmcnt(0)
	v_lshrrev_b32_e32 v24, 16, v40
	v_mov_b32_e32 v26, 0
	s_mov_b32 s2, 0x10000
	v_cndmask_b32_e64 v24, v24, v37, s[50:51]
	v_cndmask_b32_e64 v25, v40, v36, s[50:51]
	s_barrier
	ds_read_b32 v27, v26 offset:12
	v_cmp_gt_u32_e32 vcc, s2, v38
	v_and_b32_e32 v28, 0x10000, v38
	v_and_b32_e32 v24, 1, v24
	v_cndmask_b32_e32 v25, 0, v25, vcc
	v_cmp_ne_u32_e32 vcc, 0, v28
	s_nop 1
	v_cndmask_b32_e64 v24, v24, 1, vcc
	v_cmp_eq_u32_e32 vcc, 0, v0
	s_nop 1
	v_cndmask_b32_e32 v24, v24, v35, vcc
	v_cndmask_b32_e64 v25, v25, 0, vcc
	v_cmp_eq_u16_sdwa vcc, v24, v26 src0_sel:BYTE_0 src1_sel:DWORD
	v_add_u16_e32 v25, v25, v38
	s_waitcnt lgkmcnt(0)
	v_cndmask_b32_e32 v24, 0, v27, vcc
	v_add_u16_e32 v50, v25, v24
	v_cndmask_b32_e64 v24, 0, v50, s[52:53]
	v_add_u16_e32 v24, v24, v39
	v_cndmask_b32_e64 v25, 0, v24, s[4:5]
	;; [unrolled: 2-line block ×23, first 2 shown]
	v_add_u16_e32 v49, v49, v23
	s_branch .LBB823_245
.LBB823_193:
	s_or_b64 exec, exec, s[56:57]
                                        ; implicit-def: $vgpr50
	s_and_saveexec_b64 s[56:57], s[50:51]
	s_cbranch_execz .LBB823_51
.LBB823_194:
	v_mov_b32_e32 v37, 0
	v_lshl_add_u64 v[50:51], s[52:53], 0, v[36:37]
	flat_load_ushort v50, v[50:51] offset:512
	s_or_b64 exec, exec, s[56:57]
                                        ; implicit-def: $vgpr51
	s_and_saveexec_b64 s[50:51], s[4:5]
	s_cbranch_execnz .LBB823_52
.LBB823_195:
	s_or_b64 exec, exec, s[50:51]
                                        ; implicit-def: $vgpr52
	s_and_saveexec_b64 s[4:5], s[6:7]
	s_cbranch_execz .LBB823_53
.LBB823_196:
	v_mov_b32_e32 v37, 0
	v_lshl_add_u64 v[52:53], s[52:53], 0, v[36:37]
	flat_load_ushort v52, v[52:53] offset:1536
	s_or_b64 exec, exec, s[4:5]
                                        ; implicit-def: $vgpr53
	s_and_saveexec_b64 s[4:5], s[8:9]
	s_cbranch_execnz .LBB823_54
.LBB823_197:
	s_or_b64 exec, exec, s[4:5]
                                        ; implicit-def: $vgpr54
	s_and_saveexec_b64 s[4:5], s[10:11]
	s_cbranch_execz .LBB823_55
.LBB823_198:
	v_mov_b32_e32 v37, 0
	v_lshl_add_u64 v[54:55], s[52:53], 0, v[36:37]
	flat_load_ushort v54, v[54:55] offset:2560
	s_or_b64 exec, exec, s[4:5]
                                        ; implicit-def: $vgpr55
	s_and_saveexec_b64 s[4:5], s[12:13]
	s_cbranch_execnz .LBB823_56
.LBB823_199:
	s_or_b64 exec, exec, s[4:5]
                                        ; implicit-def: $vgpr37
	s_and_saveexec_b64 s[4:5], s[14:15]
	s_cbranch_execz .LBB823_57
.LBB823_200:
	v_mov_b32_e32 v37, 0
	v_lshl_add_u64 v[56:57], s[52:53], 0, v[36:37]
	flat_load_ushort v37, v[56:57] offset:3584
	s_or_b64 exec, exec, s[4:5]
                                        ; implicit-def: $vgpr3
	s_and_saveexec_b64 s[4:5], s[16:17]
	s_cbranch_execnz .LBB823_58
.LBB823_201:
	s_or_b64 exec, exec, s[4:5]
                                        ; implicit-def: $vgpr2
	s_and_saveexec_b64 s[4:5], s[18:19]
	s_cbranch_execz .LBB823_59
.LBB823_202:
	v_mov_b32_e32 v5, 0
	v_lshl_add_u64 v[4:5], s[52:53], 0, v[4:5]
	flat_load_ushort v2, v[4:5]
	s_or_b64 exec, exec, s[4:5]
                                        ; implicit-def: $vgpr4
	s_and_saveexec_b64 s[4:5], s[20:21]
	s_cbranch_execnz .LBB823_60
.LBB823_203:
	s_or_b64 exec, exec, s[4:5]
                                        ; implicit-def: $vgpr5
	s_and_saveexec_b64 s[4:5], s[22:23]
	s_cbranch_execz .LBB823_61
.LBB823_204:
	v_mov_b32_e32 v9, 0
	v_lshl_add_u64 v[6:7], s[52:53], 0, v[8:9]
	flat_load_ushort v5, v[6:7]
	s_or_b64 exec, exec, s[4:5]
                                        ; implicit-def: $vgpr6
	s_and_saveexec_b64 s[4:5], s[24:25]
	s_cbranch_execnz .LBB823_62
.LBB823_205:
	s_or_b64 exec, exec, s[4:5]
                                        ; implicit-def: $vgpr7
	s_and_saveexec_b64 s[4:5], s[26:27]
	s_cbranch_execz .LBB823_63
.LBB823_206:
	v_mov_b32_e32 v13, 0
	v_lshl_add_u64 v[8:9], s[52:53], 0, v[12:13]
	flat_load_ushort v7, v[8:9]
	s_or_b64 exec, exec, s[4:5]
                                        ; implicit-def: $vgpr8
	s_and_saveexec_b64 s[4:5], s[28:29]
	s_cbranch_execnz .LBB823_64
.LBB823_207:
	s_or_b64 exec, exec, s[4:5]
                                        ; implicit-def: $vgpr9
	s_and_saveexec_b64 s[4:5], s[30:31]
	s_cbranch_execz .LBB823_65
.LBB823_208:
	v_mov_b32_e32 v17, 0
	v_lshl_add_u64 v[10:11], s[52:53], 0, v[16:17]
	flat_load_ushort v9, v[10:11]
	s_or_b64 exec, exec, s[4:5]
                                        ; implicit-def: $vgpr10
	s_and_saveexec_b64 s[4:5], s[34:35]
	s_cbranch_execnz .LBB823_66
.LBB823_209:
	s_or_b64 exec, exec, s[4:5]
                                        ; implicit-def: $vgpr11
	s_and_saveexec_b64 s[4:5], s[36:37]
	s_cbranch_execz .LBB823_67
.LBB823_210:
	v_mov_b32_e32 v21, 0
	v_lshl_add_u64 v[12:13], s[52:53], 0, v[20:21]
	flat_load_ushort v11, v[12:13]
	s_or_b64 exec, exec, s[4:5]
                                        ; implicit-def: $vgpr12
	s_and_saveexec_b64 s[4:5], s[38:39]
	s_cbranch_execnz .LBB823_68
.LBB823_211:
	s_or_b64 exec, exec, s[4:5]
                                        ; implicit-def: $vgpr13
	s_and_saveexec_b64 s[4:5], s[40:41]
	s_cbranch_execz .LBB823_69
.LBB823_212:
	v_mov_b32_e32 v39, 0
	v_lshl_add_u64 v[14:15], s[52:53], 0, v[38:39]
	flat_load_ushort v13, v[14:15]
	s_or_b64 exec, exec, s[4:5]
                                        ; implicit-def: $vgpr14
	s_and_saveexec_b64 s[4:5], s[42:43]
	s_cbranch_execnz .LBB823_70
.LBB823_213:
	s_or_b64 exec, exec, s[4:5]
                                        ; implicit-def: $vgpr15
	s_and_saveexec_b64 s[4:5], s[44:45]
	s_cbranch_execz .LBB823_71
.LBB823_214:
	v_mov_b32_e32 v43, 0
	v_lshl_add_u64 v[16:17], s[52:53], 0, v[42:43]
	flat_load_ushort v15, v[16:17]
	s_or_b64 exec, exec, s[4:5]
                                        ; implicit-def: $vgpr16
	s_and_saveexec_b64 s[4:5], s[46:47]
	s_cbranch_execz .LBB823_73
	s_branch .LBB823_72
.LBB823_215:
                                        ; implicit-def: $vgpr50
                                        ; implicit-def: $vgpr24
                                        ; implicit-def: $vgpr25
                                        ; implicit-def: $vgpr26
                                        ; implicit-def: $vgpr27
                                        ; implicit-def: $vgpr28
                                        ; implicit-def: $vgpr29
                                        ; implicit-def: $vgpr31
                                        ; implicit-def: $vgpr30
                                        ; implicit-def: $vgpr32
                                        ; implicit-def: $vgpr33
                                        ; implicit-def: $vgpr35
                                        ; implicit-def: $vgpr36
                                        ; implicit-def: $vgpr37
                                        ; implicit-def: $vgpr40
                                        ; implicit-def: $vgpr42
                                        ; implicit-def: $vgpr41
                                        ; implicit-def: $vgpr43
                                        ; implicit-def: $vgpr44
                                        ; implicit-def: $vgpr45
                                        ; implicit-def: $vgpr46
                                        ; implicit-def: $vgpr47
                                        ; implicit-def: $vgpr48
                                        ; implicit-def: $vgpr49
	s_cbranch_execz .LBB823_245
; %bb.216:
	s_cmp_lg_u64 s[72:73], 0
	s_cselect_b32 s5, s67, 0
	s_cselect_b32 s4, s66, 0
	s_cmp_lg_u64 s[4:5], 0
	s_cselect_b64 s[6:7], -1, 0
	v_cmp_eq_u32_e32 vcc, 0, v0
	v_cmp_ne_u32_e64 s[2:3], 0, v0
	s_and_b64 s[8:9], vcc, s[6:7]
	s_and_saveexec_b64 s[6:7], s[8:9]
	s_cbranch_execz .LBB823_218
; %bb.217:
	v_mov_b32_e32 v24, 0
	global_load_ushort v25, v24, s[4:5]
	global_load_ubyte v26, v24, s[4:5] offset:2
	s_mov_b32 s4, 0x10000
	v_and_b32_e32 v24, 0x10000, v38
	v_mov_b32_e32 v27, 1
	v_cmp_gt_u32_e64 s[4:5], s4, v38
	v_mov_b32_e32 v28, 0x10000
	s_waitcnt vmcnt(0)
	v_and_b32_sdwa v26, v26, v27 dst_sel:WORD_1 dst_unused:UNUSED_PAD src0_sel:DWORD src1_sel:DWORD
	v_cndmask_b32_e64 v25, 0, v25, s[4:5]
	v_cmp_eq_u32_e64 s[4:5], 0, v24
	v_add_u16_e32 v25, v25, v38
	s_nop 0
	v_cndmask_b32_e64 v24, v28, v26, s[4:5]
	v_or_b32_e32 v38, v24, v25
.LBB823_218:
	s_or_b64 exec, exec, s[6:7]
	s_mov_b32 s50, 0x10000
	v_cmp_gt_u32_e64 s[4:5], s50, v39
	v_and_b32_e32 v25, 0x10000, v39
	v_cmp_gt_u32_e64 s[6:7], s50, v1
	v_cndmask_b32_e64 v24, 0, v38, s[4:5]
	v_add_u16_e32 v24, v24, v39
	v_cmp_ne_u32_e64 s[52:53], 0, v25
	v_cndmask_b32_e64 v25, 0, v24, s[6:7]
	v_add_u16_e32 v25, v25, v1
	v_and_b32_e32 v26, 0x10000, v1
	v_cmp_gt_u32_e64 s[8:9], s50, v18
	v_cmp_ne_u32_e64 s[54:55], 0, v26
	v_cmp_gt_u32_e64 s[10:11], s50, v19
	v_cndmask_b32_e64 v26, 0, v25, s[8:9]
	v_add_u16_e32 v26, v26, v18
	v_cndmask_b32_e64 v27, 0, v26, s[10:11]
	v_add_u16_e32 v27, v27, v19
	v_cmp_gt_u32_e64 s[12:13], s50, v20
	v_bfe_u32 v30, v19, 16, 1
	v_mov_b32_e32 v53, 1
	v_cndmask_b32_e64 v28, 0, v27, s[12:13]
	v_lshlrev_b16_e32 v30, 1, v30
	v_and_b32_sdwa v31, v18, v53 dst_sel:DWORD dst_unused:UNUSED_PAD src0_sel:WORD_1 src1_sel:DWORD
	v_add_u16_e32 v28, v28, v20
	v_cmp_gt_u32_e64 s[14:15], s50, v21
	v_or_b32_e32 v30, v31, v30
	v_bfe_u32 v31, v21, 16, 1
	v_and_b32_sdwa v32, v20, v53 dst_sel:DWORD dst_unused:UNUSED_PAD src0_sel:WORD_1 src1_sel:DWORD
	v_cndmask_b32_e64 v29, 0, v28, s[14:15]
	v_lshlrev_b16_e32 v31, 3, v31
	v_lshlrev_b16_e32 v32, 2, v32
	v_add_u16_e32 v29, v29, v21
	v_or_b32_e32 v31, v31, v32
	v_cmp_gt_u32_e64 s[16:17], s50, v2
	v_or_b32_e32 v49, v30, v31
	v_cmp_gt_u32_e64 s[18:19], s50, v3
	v_cndmask_b32_e64 v30, 0, v29, s[16:17]
	v_add_u16_e32 v31, v30, v2
	v_cndmask_b32_e64 v30, 0, v31, s[18:19]
	v_add_u16_e32 v30, v30, v3
	v_cmp_gt_u32_e64 s[20:21], s50, v4
	v_cmp_gt_u32_e64 s[22:23], s50, v5
	v_cmp_gt_u32_e64 s[24:25], s50, v6
	v_cndmask_b32_e64 v32, 0, v30, s[20:21]
	v_add_u16_e32 v32, v32, v4
	v_cndmask_b32_e64 v33, 0, v32, s[22:23]
	v_add_u16_e32 v33, v33, v5
	v_cndmask_b32_e64 v35, 0, v33, s[24:25]
	v_add_u16_e32 v35, v35, v6
	v_cmp_gt_u32_e64 s[26:27], s50, v7
	v_cmp_gt_u32_e64 s[28:29], s50, v8
	v_cmp_gt_u32_e64 s[30:31], s50, v9
	v_cndmask_b32_e64 v36, 0, v35, s[26:27]
	v_add_u16_e32 v36, v36, v7
	;; [unrolled: 9-line block ×3, first 2 shown]
	v_cndmask_b32_e64 v41, 0, v42, s[36:37]
	v_add_u16_e32 v41, v41, v11
	v_cndmask_b32_e64 v43, 0, v41, s[38:39]
	v_and_b32_e32 v52, 0x10000, v23
	v_add_u16_e32 v43, v43, v12
	v_cmp_gt_u32_e64 s[40:41], s50, v13
	v_cmp_ne_u32_e64 s[56:57], 0, v52
	v_or_b32_e32 v52, v16, v8
	v_or_b32_e32 v55, v17, v9
	;; [unrolled: 1-line block ×3, first 2 shown]
	v_cndmask_b32_e64 v44, 0, v43, s[40:41]
	v_or_b32_e32 v56, v14, v6
	v_or_b32_e32 v58, v12, v4
	v_or_b32_e32 v59, v13, v5
	v_or_b32_e32 v61, v11, v3
	v_bfe_u32 v57, v57, 16, 1
	v_bfe_u32 v55, v55, 16, 1
	v_and_b32_sdwa v52, v52, v53 dst_sel:DWORD dst_unused:UNUSED_PAD src0_sel:WORD_1 src1_sel:DWORD
	v_add_u16_e32 v44, v44, v13
	v_cmp_gt_u32_e64 s[42:43], s50, v14
	v_or_b32_e32 v60, v10, v2
	v_bfe_u32 v61, v61, 16, 1
	v_bfe_u32 v59, v59, 16, 1
	v_and_b32_sdwa v58, v58, v53 dst_sel:DWORD dst_unused:UNUSED_PAD src0_sel:WORD_1 src1_sel:DWORD
	v_lshlrev_b16_e32 v57, 1, v57
	v_and_b32_sdwa v56, v56, v53 dst_sel:DWORD dst_unused:UNUSED_PAD src0_sel:WORD_1 src1_sel:DWORD
	v_lshlrev_b16_e32 v55, 3, v55
	v_lshlrev_b16_e32 v52, 2, v52
	v_cndmask_b32_e64 v45, 0, v44, s[42:43]
	v_lshlrev_b16_e32 v61, 1, v61
	v_and_b32_sdwa v60, v60, v53 dst_sel:DWORD dst_unused:UNUSED_PAD src0_sel:WORD_1 src1_sel:DWORD
	v_lshlrev_b16_e32 v59, 3, v59
	v_lshlrev_b16_e32 v58, 2, v58
	v_or_b32_e32 v56, v56, v57
	v_or_b32_e32 v52, v55, v52
	v_add_u16_e32 v45, v45, v14
	v_cmp_gt_u32_e64 s[44:45], s50, v15
	v_or_b32_e32 v60, v60, v61
	v_or_b32_e32 v58, v59, v58
	;; [unrolled: 1-line block ×3, first 2 shown]
	v_cndmask_b32_e64 v46, 0, v45, s[44:45]
	v_or_b32_e32 v58, v60, v58
	v_lshlrev_b16_e32 v52, 4, v52
	v_add_u16_e32 v46, v46, v15
	v_cmp_gt_u32_e64 s[46:47], s50, v16
	v_or_b32_e32 v52, v58, v52
	v_or_b32_e32 v49, v52, v49
	v_cndmask_b32_e64 v47, 0, v46, s[46:47]
	v_mov_b32_e32 v52, 0
	v_add_u16_e32 v47, v47, v16
	v_cmp_gt_u32_e64 s[48:49], s50, v17
	v_cmp_ne_u16_sdwa s[64:65], v49, v52 src0_sel:BYTE_0 src1_sel:DWORD
	s_or_b64 s[56:57], s[56:57], s[64:65]
	v_cndmask_b32_e64 v48, 0, v47, s[48:49]
	v_add_u16_e32 v48, v48, v17
	v_cmp_gt_u32_e64 s[50:51], s50, v23
	s_or_b64 s[54:55], s[56:57], s[54:55]
	v_lshrrev_b32_e32 v50, 16, v38
	v_cndmask_b32_e64 v54, 0, v48, s[50:51]
	s_or_b64 s[52:53], s[54:55], s[52:53]
	v_cndmask_b32_e64 v52, v50, 1, s[52:53]
	v_mbcnt_hi_u32_b32 v34, -1, v34
	v_add_u16_e32 v49, v54, v23
	v_add_u16_e32 v51, v54, v23
	v_and_b32_e32 v55, 15, v34
	v_lshl_or_b32 v54, v52, 16, v49
	v_cmp_ne_u32_e64 s[52:53], 0, v55
	s_nop 0
	v_mov_b32_dpp v56, v54 row_shr:1 row_mask:0xf bank_mask:0xf
	s_and_saveexec_b64 s[54:55], s[52:53]
; %bb.219:
	v_cmp_eq_u32_e64 s[52:53], 0, v52
	v_and_b32_e32 v52, 1, v52
	v_and_b32_sdwa v53, v56, v53 dst_sel:DWORD dst_unused:UNUSED_PAD src0_sel:WORD_1 src1_sel:DWORD
	v_cndmask_b32_e64 v54, 0, v56, s[52:53]
	v_cmp_eq_u32_e64 s[52:53], 1, v52
	v_add_u16_e32 v57, v51, v54
	v_add_u16_e32 v51, v51, v54
	v_cndmask_b32_e64 v52, v53, 1, s[52:53]
	v_lshlrev_b32_e32 v53, 16, v52
	v_or_b32_e32 v54, v53, v51
	v_mov_b32_e32 v51, v57
; %bb.220:
	s_or_b64 exec, exec, s[54:55]
	v_lshrrev_b32_e32 v53, 16, v54
	v_mov_b32_dpp v56, v54 row_shr:2 row_mask:0xf bank_mask:0xf
	v_cmp_lt_u32_e64 s[52:53], 1, v55
	s_and_saveexec_b64 s[54:55], s[52:53]
	s_cbranch_execz .LBB823_222
; %bb.221:
	s_mov_b32 s52, 0x10000
	v_cmp_gt_u32_e64 s[52:53], s52, v54
	v_and_b32_e32 v52, 0x10000, v54
	v_mov_b32_e32 v54, 1
	v_cndmask_b32_e64 v53, 0, v56, s[52:53]
	v_and_b32_sdwa v54, v56, v54 dst_sel:DWORD dst_unused:UNUSED_PAD src0_sel:WORD_1 src1_sel:DWORD
	v_cmp_ne_u32_e64 s[52:53], 0, v52
	v_add_u16_e32 v57, v53, v51
	v_add_u16_e32 v51, v53, v51
	v_cndmask_b32_e64 v52, v54, 1, s[52:53]
	v_lshlrev_b32_e32 v54, 16, v52
	v_or_b32_e32 v54, v54, v51
	v_mov_b32_e32 v53, v52
	v_mov_b32_e32 v51, v57
.LBB823_222:
	s_or_b64 exec, exec, s[54:55]
	v_mov_b32_dpp v56, v54 row_shr:4 row_mask:0xf bank_mask:0xf
	v_cmp_lt_u32_e64 s[52:53], 3, v55
	s_and_saveexec_b64 s[54:55], s[52:53]
	s_cbranch_execz .LBB823_224
; %bb.223:
	v_mov_b32_e32 v52, 0
	v_cmp_eq_u16_sdwa s[52:53], v53, v52 src0_sel:BYTE_0 src1_sel:DWORD
	v_and_b32_e32 v52, 1, v53
	v_mov_b32_e32 v53, 1
	v_cndmask_b32_e64 v54, 0, v56, s[52:53]
	v_and_b32_sdwa v53, v56, v53 dst_sel:DWORD dst_unused:UNUSED_PAD src0_sel:WORD_1 src1_sel:DWORD
	v_cmp_eq_u32_e64 s[52:53], 1, v52
	v_add_u16_e32 v57, v54, v51
	v_add_u16_e32 v51, v54, v51
	v_cndmask_b32_e64 v52, v53, 1, s[52:53]
	v_lshlrev_b32_e32 v53, 16, v52
	v_or_b32_e32 v54, v53, v51
	v_mov_b32_e32 v53, v52
	v_mov_b32_e32 v51, v57
.LBB823_224:
	s_or_b64 exec, exec, s[54:55]
	v_mov_b32_dpp v56, v54 row_shr:8 row_mask:0xf bank_mask:0xf
	v_cmp_lt_u32_e64 s[52:53], 7, v55
	s_and_saveexec_b64 s[54:55], s[52:53]
	s_cbranch_execz .LBB823_226
; %bb.225:
	v_mov_b32_e32 v52, 0
	v_cmp_eq_u16_sdwa s[52:53], v53, v52 src0_sel:BYTE_0 src1_sel:DWORD
	v_and_b32_e32 v52, 1, v53
	v_mov_b32_e32 v53, 1
	v_cndmask_b32_e64 v54, 0, v56, s[52:53]
	v_and_b32_sdwa v53, v56, v53 dst_sel:DWORD dst_unused:UNUSED_PAD src0_sel:WORD_1 src1_sel:DWORD
	v_cmp_eq_u32_e64 s[52:53], 1, v52
	v_add_u16_e32 v55, v54, v51
	v_add_u16_e32 v51, v54, v51
	v_cndmask_b32_e64 v52, v53, 1, s[52:53]
	v_lshlrev_b32_e32 v53, 16, v52
	v_or_b32_e32 v54, v53, v51
	v_mov_b32_e32 v53, v52
	v_mov_b32_e32 v51, v55
.LBB823_226:
	s_or_b64 exec, exec, s[54:55]
	v_and_b32_e32 v56, 16, v34
	v_mov_b32_dpp v55, v54 row_bcast:15 row_mask:0xf bank_mask:0xf
	v_cmp_ne_u32_e64 s[52:53], 0, v56
	s_and_saveexec_b64 s[54:55], s[52:53]
	s_cbranch_execz .LBB823_228
; %bb.227:
	v_mov_b32_e32 v52, 0
	v_cmp_eq_u16_sdwa s[52:53], v53, v52 src0_sel:BYTE_0 src1_sel:DWORD
	v_and_b32_e32 v52, 1, v53
	v_mov_b32_e32 v53, 1
	v_cndmask_b32_e64 v54, 0, v55, s[52:53]
	v_and_b32_sdwa v53, v55, v53 dst_sel:DWORD dst_unused:UNUSED_PAD src0_sel:WORD_1 src1_sel:DWORD
	v_cmp_eq_u32_e64 s[52:53], 1, v52
	v_add_u16_e32 v56, v54, v51
	v_add_u16_e32 v51, v54, v51
	v_cndmask_b32_e64 v52, v53, 1, s[52:53]
	v_lshlrev_b32_e32 v53, 16, v52
	v_or_b32_e32 v54, v53, v51
	v_mov_b32_e32 v51, v56
	v_mov_b32_e32 v53, v52
.LBB823_228:
	s_or_b64 exec, exec, s[54:55]
	v_mov_b32_dpp v54, v54 row_bcast:31 row_mask:0xf bank_mask:0xf
	v_cmp_lt_u32_e64 s[52:53], 31, v34
	s_and_saveexec_b64 s[54:55], s[52:53]
; %bb.229:
	v_mov_b32_e32 v52, 0
	v_cmp_eq_u16_sdwa s[52:53], v53, v52 src0_sel:BYTE_0 src1_sel:DWORD
	s_nop 1
	v_cndmask_b32_e64 v52, 0, v54, s[52:53]
	v_add_u16_e32 v51, v52, v51
	v_and_b32_e32 v52, 1, v53
	v_mov_b32_e32 v53, 1
	v_and_b32_sdwa v53, v54, v53 dst_sel:DWORD dst_unused:UNUSED_PAD src0_sel:WORD_1 src1_sel:DWORD
	v_cmp_eq_u32_e64 s[52:53], 1, v52
	s_nop 1
	v_cndmask_b32_e64 v52, v53, 1, s[52:53]
; %bb.230:
	s_or_b64 exec, exec, s[54:55]
	v_or_b32_e32 v54, 63, v0
	v_lshrrev_b32_e32 v53, 6, v0
	v_cmp_eq_u32_e64 s[52:53], v54, v0
	s_and_saveexec_b64 s[54:55], s[52:53]
	s_cbranch_execz .LBB823_232
; %bb.231:
	v_lshlrev_b32_e32 v54, 2, v53
	ds_write_b16 v54, v51
	ds_write_b8 v54, v52 offset:2
.LBB823_232:
	s_or_b64 exec, exec, s[54:55]
	v_cmp_gt_u32_e64 s[52:53], 4, v0
	s_waitcnt lgkmcnt(0)
	s_barrier
	s_and_saveexec_b64 s[54:55], s[52:53]
	s_cbranch_execz .LBB823_238
; %bb.233:
	v_lshlrev_b32_e32 v54, 2, v0
	ds_read_b32 v55, v54
	v_and_b32_e32 v58, 3, v34
	v_cmp_ne_u32_e64 s[52:53], 0, v58
	s_waitcnt lgkmcnt(0)
	v_lshrrev_b32_e32 v57, 16, v55
	v_mov_b32_dpp v59, v55 row_shr:1 row_mask:0xf bank_mask:0xf
	v_mov_b32_e32 v56, v55
	s_and_saveexec_b64 s[56:57], s[52:53]
	s_cbranch_execz .LBB823_235
; %bb.234:
	v_mov_b32_e32 v56, 0
	v_cmp_eq_u16_sdwa s[52:53], v57, v56 src0_sel:BYTE_0 src1_sel:DWORD
	v_and_b32_e32 v57, 0x10000, v55
	v_mov_b32_e32 v62, 1
	v_cndmask_b32_e64 v61, 0, v59, s[52:53]
	v_and_b32_sdwa v59, v59, v62 dst_sel:DWORD dst_unused:UNUSED_PAD src0_sel:WORD_1 src1_sel:DWORD
	v_cmp_ne_u32_e64 s[52:53], 0, v57
	v_and_b32_e32 v60, 0xff000000, v55
	v_add_u16_e32 v56, v61, v55
	v_cndmask_b32_e64 v57, v59, 1, s[52:53]
	v_lshlrev_b32_e32 v59, 16, v57
	v_add_u16_e32 v55, v61, v55
	v_or3_b32 v55, v59, v60, v55
.LBB823_235:
	s_or_b64 exec, exec, s[56:57]
	s_nop 0
	v_mov_b32_dpp v59, v55 row_shr:2 row_mask:0xf bank_mask:0xf
	v_cmp_lt_u32_e64 s[52:53], 1, v58
	s_and_saveexec_b64 s[56:57], s[52:53]
; %bb.236:
	v_and_b32_e32 v57, 0xff0000, v55
	v_cmp_eq_u32_e64 s[52:53], 0, v57
	v_and_b32_e32 v55, 0x10000, v55
	s_nop 0
	v_cndmask_b32_e64 v57, 0, v59, s[52:53]
	v_add_u16_e32 v56, v57, v56
	v_mov_b32_e32 v57, 1
	v_and_b32_sdwa v57, v59, v57 dst_sel:DWORD dst_unused:UNUSED_PAD src0_sel:WORD_1 src1_sel:DWORD
	v_cmp_eq_u32_e64 s[52:53], 0, v55
	s_nop 1
	v_cndmask_b32_e64 v57, 1, v57, s[52:53]
; %bb.237:
	s_or_b64 exec, exec, s[56:57]
	ds_write_b16 v54, v56
	ds_write_b8 v54, v57 offset:2
.LBB823_238:
	s_or_b64 exec, exec, s[54:55]
	v_cmp_lt_u32_e64 s[52:53], 63, v0
	v_mov_b32_e32 v54, 0
	s_waitcnt lgkmcnt(0)
	s_barrier
	s_and_saveexec_b64 s[54:55], s[52:53]
	s_cbranch_execz .LBB823_240
; %bb.239:
	v_lshl_add_u32 v53, v53, 2, -4
	ds_read_u16 v54, v53
	ds_read_u8 v53, v53 offset:2
	v_mov_b32_e32 v55, 0
	v_and_b32_e32 v56, 1, v52
	v_cmp_eq_u16_sdwa s[52:53], v52, v55 src0_sel:BYTE_0 src1_sel:DWORD
	s_waitcnt lgkmcnt(1)
	s_nop 0
	v_cndmask_b32_e64 v52, 0, v54, s[52:53]
	v_cmp_eq_u32_e64 s[52:53], 1, v56
	v_add_u16_e32 v51, v52, v51
	s_waitcnt lgkmcnt(0)
	v_cndmask_b32_e64 v52, v53, 1, s[52:53]
.LBB823_240:
	s_or_b64 exec, exec, s[54:55]
	v_and_b32_e32 v52, 0xff, v52
	v_and_b32_e32 v51, 0xffff, v51
	v_lshl_or_b32 v51, v52, 16, v51
	v_add_u32_e32 v52, -1, v34
	v_and_b32_e32 v53, 64, v34
	v_cmp_lt_i32_e64 s[52:53], v52, v53
	s_nop 1
	v_cndmask_b32_e64 v52, v52, v34, s[52:53]
	v_lshlrev_b32_e32 v52, 2, v52
	ds_bpermute_b32 v51, v52, v51
	s_and_saveexec_b64 s[52:53], s[2:3]
	s_cbranch_execz .LBB823_242
; %bb.241:
	v_cmp_eq_u32_e64 s[2:3], 0, v34
	v_and_b32_e32 v25, 0xff0000, v38
	v_mov_b32_e32 v50, 0
	s_waitcnt lgkmcnt(0)
	v_cndmask_b32_e64 v24, v51, v54, s[2:3]
	v_and_b32_e32 v24, 0xffff, v24
	v_cmp_eq_u32_e64 s[2:3], 0, v25
	;;#ASMSTART
	;;#ASMEND
	s_nop 1
	v_cndmask_b32_e64 v24, 0, v24, s[2:3]
	v_add_u32_e32 v38, v24, v38
	v_cndmask_b32_e64 v24, 0, v38, s[4:5]
	v_add_u16_e32 v24, v24, v39
	v_cndmask_b32_e64 v25, 0, v24, s[6:7]
	v_add_u16_e32 v25, v25, v1
	;; [unrolled: 2-line block ×23, first 2 shown]
.LBB823_242:
	s_or_b64 exec, exec, s[52:53]
	s_and_saveexec_b64 s[2:3], vcc
	s_cbranch_execz .LBB823_244
; %bb.243:
	v_mov_b32_e32 v1, 0
	ds_read_u8 v2, v1 offset:14
	ds_read_u16 v3, v1 offset:12
	s_waitcnt lgkmcnt(1)
	v_lshlrev_b32_e32 v2, 16, v2
	s_waitcnt lgkmcnt(0)
	v_or_b32_e32 v2, v2, v3
	v_mov_b32_e32 v3, 2
	global_store_dwordx2 v1, v[2:3], s[60:61] offset:512 sc1
.LBB823_244:
	s_or_b64 exec, exec, s[2:3]
	v_lshl_or_b32 v50, v50, 16, v38
.LBB823_245:
	s_add_u32 s2, s58, s68
	s_addc_u32 s3, s59, s69
	s_add_u32 s2, s2, s70
	s_addc_u32 s3, s3, s71
	s_and_b64 vcc, exec, s[0:1]
	v_mul_u32_u24_e32 v4, 24, v0
	s_cbranch_vccz .LBB823_295
; %bb.246:
	s_add_i32 s33, s33, s62
	v_cmp_le_u32_e32 vcc, s33, v4
	v_or_b32_e32 v8, 1, v4
	v_or_b32_e32 v7, 2, v4
	;; [unrolled: 1-line block ×7, first 2 shown]
	s_and_saveexec_b64 s[0:1], vcc
	s_xor_b64 s[0:1], exec, s[0:1]
; %bb.247:
	v_or_b32_e32 v8, 1, v4
	v_or_b32_e32 v7, 2, v4
	;; [unrolled: 1-line block ×7, first 2 shown]
; %bb.248:
	s_andn2_saveexec_b64 s[0:1], s[0:1]
	s_or_b64 exec, exec, s[0:1]
	v_lshlrev_b32_e32 v39, 1, v4
	v_lshlrev_b32_e32 v8, 1, v8
	;; [unrolled: 1-line block ×4, first 2 shown]
	s_mov_b32 s0, 0x5040100
	s_waitcnt lgkmcnt(0)
	s_barrier
	ds_write_b16 v39, v50
	ds_write_b16 v8, v24
	ds_write_b16 v7, v25
	ds_write_b16 v6, v26
	v_lshlrev_b32_e32 v5, 1, v5
	v_lshlrev_b32_e32 v3, 1, v3
	;; [unrolled: 1-line block ×4, first 2 shown]
	v_perm_b32 v9, v42, v40, s0
	v_perm_b32 v8, v37, v36, s0
	v_perm_b32 v7, v35, v33, s0
	v_perm_b32 v6, v32, v30, s0
	ds_write_b16 v5, v27
	ds_write_b16 v3, v28
	ds_write_b16 v2, v29
	ds_write_b16 v1, v31
	ds_write_b128 v39, v[6:9] offset:16
	v_perm_b32 v9, v49, v48, s0
	v_perm_b32 v8, v47, v46, s0
	;; [unrolled: 1-line block ×4, first 2 shown]
	s_movk_i32 s0, 0xffd2
	v_mad_i32_i24 v2, v0, s0, v39
	ds_write_b128 v39, v[6:9] offset:32
	s_waitcnt lgkmcnt(0)
	s_barrier
	ds_read_u16 v53, v2 offset:512
	ds_read_u16 v52, v2 offset:1024
	;; [unrolled: 1-line block ×23, first 2 shown]
	v_mov_b32_e32 v23, 0
	v_lshl_add_u64 v[2:3], s[2:3], 0, v[22:23]
	v_cmp_gt_u32_e32 vcc, s33, v0
	s_and_saveexec_b64 s[0:1], vcc
	s_cbranch_execz .LBB823_250
; %bb.249:
	v_mul_i32_i24_e32 v54, 0xffffffd2, v0
	v_add_u32_e32 v39, v39, v54
	ds_read_u16 v39, v39
	s_waitcnt lgkmcnt(0)
	flat_store_short v[2:3], v39
.LBB823_250:
	s_or_b64 exec, exec, s[0:1]
	v_or_b32_e32 v39, 0x100, v0
	v_cmp_gt_u32_e32 vcc, s33, v39
	s_and_saveexec_b64 s[0:1], vcc
	s_cbranch_execz .LBB823_252
; %bb.251:
	s_waitcnt lgkmcnt(0)
	flat_store_short v[2:3], v53 offset:512
.LBB823_252:
	s_or_b64 exec, exec, s[0:1]
	v_or_b32_e32 v39, 0x200, v0
	v_cmp_gt_u32_e32 vcc, s33, v39
	s_and_saveexec_b64 s[0:1], vcc
	s_cbranch_execz .LBB823_254
; %bb.253:
	s_waitcnt lgkmcnt(0)
	flat_store_short v[2:3], v52 offset:1024
.LBB823_254:
	;; [unrolled: 9-line block ×4, first 2 shown]
	s_or_b64 exec, exec, s[0:1]
	s_waitcnt lgkmcnt(0)
	v_or_b32_e32 v38, 0x500, v0
	v_cmp_gt_u32_e32 vcc, s33, v38
	s_and_saveexec_b64 s[0:1], vcc
	s_cbranch_execz .LBB823_260
; %bb.259:
	flat_store_short v[2:3], v34 offset:2560
.LBB823_260:
	s_or_b64 exec, exec, s[0:1]
	v_or_b32_e32 v34, 0x600, v0
	v_cmp_gt_u32_e32 vcc, s33, v34
	s_and_saveexec_b64 s[0:1], vcc
	s_cbranch_execz .LBB823_262
; %bb.261:
	flat_store_short v[2:3], v21 offset:3072
.LBB823_262:
	s_or_b64 exec, exec, s[0:1]
	v_or_b32_e32 v21, 0x700, v0
	v_cmp_gt_u32_e32 vcc, s33, v21
	s_and_saveexec_b64 s[0:1], vcc
	s_cbranch_execz .LBB823_264
; %bb.263:
	flat_store_short v[2:3], v20 offset:3584
.LBB823_264:
	s_or_b64 exec, exec, s[0:1]
	v_or_b32_e32 v20, 0x800, v0
	v_cmp_gt_u32_e32 vcc, s33, v20
	s_and_saveexec_b64 s[0:1], vcc
	s_cbranch_execz .LBB823_266
; %bb.265:
	v_add_co_u32_e32 v20, vcc, 0x1000, v2
	s_nop 1
	v_addc_co_u32_e32 v21, vcc, 0, v3, vcc
	flat_store_short v[20:21], v19
.LBB823_266:
	s_or_b64 exec, exec, s[0:1]
	v_or_b32_e32 v19, 0x900, v0
	v_cmp_gt_u32_e32 vcc, s33, v19
	s_and_saveexec_b64 s[0:1], vcc
	s_cbranch_execz .LBB823_268
; %bb.267:
	v_add_co_u32_e32 v20, vcc, 0x1000, v2
	s_nop 1
	v_addc_co_u32_e32 v21, vcc, 0, v3, vcc
	flat_store_short v[20:21], v18 offset:512
.LBB823_268:
	s_or_b64 exec, exec, s[0:1]
	v_or_b32_e32 v18, 0xa00, v0
	v_cmp_gt_u32_e32 vcc, s33, v18
	s_and_saveexec_b64 s[0:1], vcc
	s_cbranch_execz .LBB823_270
; %bb.269:
	v_add_co_u32_e32 v18, vcc, 0x1000, v2
	s_nop 1
	v_addc_co_u32_e32 v19, vcc, 0, v3, vcc
	flat_store_short v[18:19], v17 offset:1024
.LBB823_270:
	;; [unrolled: 11-line block ×7, first 2 shown]
	s_or_b64 exec, exec, s[0:1]
	v_or_b32_e32 v12, 0x1000, v0
	v_cmp_gt_u32_e32 vcc, s33, v12
	s_and_saveexec_b64 s[0:1], vcc
	s_cbranch_execz .LBB823_282
; %bb.281:
	v_add_co_u32_e32 v12, vcc, 0x2000, v2
	s_nop 1
	v_addc_co_u32_e32 v13, vcc, 0, v3, vcc
	flat_store_short v[12:13], v11
.LBB823_282:
	s_or_b64 exec, exec, s[0:1]
	v_or_b32_e32 v11, 0x1100, v0
	v_cmp_gt_u32_e32 vcc, s33, v11
	s_and_saveexec_b64 s[0:1], vcc
	s_cbranch_execz .LBB823_284
; %bb.283:
	v_add_co_u32_e32 v12, vcc, 0x2000, v2
	s_nop 1
	v_addc_co_u32_e32 v13, vcc, 0, v3, vcc
	flat_store_short v[12:13], v10 offset:512
.LBB823_284:
	s_or_b64 exec, exec, s[0:1]
	v_or_b32_e32 v10, 0x1200, v0
	v_cmp_gt_u32_e32 vcc, s33, v10
	s_and_saveexec_b64 s[0:1], vcc
	s_cbranch_execz .LBB823_286
; %bb.285:
	v_add_co_u32_e32 v10, vcc, 0x2000, v2
	s_nop 1
	v_addc_co_u32_e32 v11, vcc, 0, v3, vcc
	flat_store_short v[10:11], v9 offset:1024
.LBB823_286:
	;; [unrolled: 11-line block ×6, first 2 shown]
	s_or_b64 exec, exec, s[0:1]
	v_or_b32_e32 v2, 0x1700, v0
	v_mov_b32_e32 v1, v23
	v_cmp_gt_u32_e64 s[0:1], s33, v2
	s_branch .LBB823_297
.LBB823_295:
	s_mov_b64 s[0:1], 0
                                        ; implicit-def: $vgpr5
	s_cbranch_execz .LBB823_297
; %bb.296:
	s_mov_b32 s4, 0x5040100
	v_lshlrev_b32_e32 v6, 1, v4
	v_perm_b32 v5, v31, v29, s4
	v_perm_b32 v4, v28, v27, s4
	;; [unrolled: 1-line block ×4, first 2 shown]
	s_waitcnt lgkmcnt(0)
	s_barrier
	ds_write_b128 v6, v[2:5]
	v_perm_b32 v5, v42, v40, s4
	v_perm_b32 v4, v37, v36, s4
	;; [unrolled: 1-line block ×4, first 2 shown]
	ds_write_b128 v6, v[2:5] offset:16
	v_perm_b32 v4, v47, v46, s4
	v_perm_b32 v3, v45, v44, s4
	;; [unrolled: 1-line block ×4, first 2 shown]
	v_mov_b32_e32 v1, 0
	s_movk_i32 s4, 0xffd2
	ds_write_b128 v6, v[2:5] offset:32
	v_mad_i32_i24 v2, v0, s4, v6
	v_mov_b32_e32 v23, v1
	s_waitcnt lgkmcnt(0)
	s_barrier
	ds_read_u16 v4, v2
	ds_read_u16 v6, v2 offset:512
	ds_read_u16 v7, v2 offset:1024
	;; [unrolled: 1-line block ×23, first 2 shown]
	v_lshl_add_u64 v[2:3], s[2:3], 0, v[22:23]
	s_movk_i32 s4, 0x1000
	s_waitcnt lgkmcnt(0)
	flat_store_short v[2:3], v4
	flat_store_short v[2:3], v6 offset:512
	flat_store_short v[2:3], v7 offset:1024
	;; [unrolled: 1-line block ×7, first 2 shown]
	v_add_co_u32_e32 v6, vcc, s4, v2
	s_or_b64 s[0:1], s[0:1], exec
	s_nop 0
	v_addc_co_u32_e32 v7, vcc, 0, v3, vcc
	v_add_co_u32_e32 v2, vcc, 0x2000, v2
	flat_store_short v[6:7], v13
	flat_store_short v[6:7], v14 offset:512
	flat_store_short v[6:7], v15 offset:1024
	;; [unrolled: 1-line block ×7, first 2 shown]
	v_addc_co_u32_e32 v3, vcc, 0, v3, vcc
	flat_store_short v[2:3], v21
	flat_store_short v[2:3], v24 offset:512
	flat_store_short v[2:3], v25 offset:1024
	;; [unrolled: 1-line block ×6, first 2 shown]
.LBB823_297:
	s_and_saveexec_b64 s[4:5], s[0:1]
	s_cbranch_execz .LBB823_299
; %bb.298:
	v_lshl_add_u64 v[0:1], v[0:1], 1, s[2:3]
	v_add_co_u32_e32 v0, vcc, 0x2000, v0
	s_nop 1
	v_addc_co_u32_e32 v1, vcc, 0, v1, vcc
	flat_store_short v[0:1], v5 offset:3584
	s_endpgm
.LBB823_299:
	s_endpgm
	.section	.rodata,"a",@progbits
	.p2align	6, 0x0
	.amdhsa_kernel _ZN7rocprim17ROCPRIM_400000_NS6detail17trampoline_kernelINS0_14default_configENS1_27scan_by_key_config_selectorIssEEZZNS1_16scan_by_key_implILNS1_25lookback_scan_determinismE0ELb0ES3_N6thrust23THRUST_200600_302600_NS6detail15normal_iteratorINS9_10device_ptrIsEEEESE_SE_sNS9_4plusIsEE19head_flag_predicatesEE10hipError_tPvRmT2_T3_T4_T5_mT6_T7_P12ihipStream_tbENKUlT_T0_E_clISt17integral_constantIbLb0EESY_EEDaST_SU_EUlST_E_NS1_11comp_targetILNS1_3genE5ELNS1_11target_archE942ELNS1_3gpuE9ELNS1_3repE0EEENS1_30default_config_static_selectorELNS0_4arch9wavefront6targetE1EEEvT1_
		.amdhsa_group_segment_fixed_size 13312
		.amdhsa_private_segment_fixed_size 0
		.amdhsa_kernarg_size 112
		.amdhsa_user_sgpr_count 2
		.amdhsa_user_sgpr_dispatch_ptr 0
		.amdhsa_user_sgpr_queue_ptr 0
		.amdhsa_user_sgpr_kernarg_segment_ptr 1
		.amdhsa_user_sgpr_dispatch_id 0
		.amdhsa_user_sgpr_kernarg_preload_length 0
		.amdhsa_user_sgpr_kernarg_preload_offset 0
		.amdhsa_user_sgpr_private_segment_size 0
		.amdhsa_uses_dynamic_stack 0
		.amdhsa_enable_private_segment 0
		.amdhsa_system_sgpr_workgroup_id_x 1
		.amdhsa_system_sgpr_workgroup_id_y 0
		.amdhsa_system_sgpr_workgroup_id_z 0
		.amdhsa_system_sgpr_workgroup_info 0
		.amdhsa_system_vgpr_workitem_id 0
		.amdhsa_next_free_vgpr 63
		.amdhsa_next_free_sgpr 84
		.amdhsa_accum_offset 64
		.amdhsa_reserve_vcc 1
		.amdhsa_float_round_mode_32 0
		.amdhsa_float_round_mode_16_64 0
		.amdhsa_float_denorm_mode_32 3
		.amdhsa_float_denorm_mode_16_64 3
		.amdhsa_dx10_clamp 1
		.amdhsa_ieee_mode 1
		.amdhsa_fp16_overflow 0
		.amdhsa_tg_split 0
		.amdhsa_exception_fp_ieee_invalid_op 0
		.amdhsa_exception_fp_denorm_src 0
		.amdhsa_exception_fp_ieee_div_zero 0
		.amdhsa_exception_fp_ieee_overflow 0
		.amdhsa_exception_fp_ieee_underflow 0
		.amdhsa_exception_fp_ieee_inexact 0
		.amdhsa_exception_int_div_zero 0
	.end_amdhsa_kernel
	.section	.text._ZN7rocprim17ROCPRIM_400000_NS6detail17trampoline_kernelINS0_14default_configENS1_27scan_by_key_config_selectorIssEEZZNS1_16scan_by_key_implILNS1_25lookback_scan_determinismE0ELb0ES3_N6thrust23THRUST_200600_302600_NS6detail15normal_iteratorINS9_10device_ptrIsEEEESE_SE_sNS9_4plusIsEE19head_flag_predicatesEE10hipError_tPvRmT2_T3_T4_T5_mT6_T7_P12ihipStream_tbENKUlT_T0_E_clISt17integral_constantIbLb0EESY_EEDaST_SU_EUlST_E_NS1_11comp_targetILNS1_3genE5ELNS1_11target_archE942ELNS1_3gpuE9ELNS1_3repE0EEENS1_30default_config_static_selectorELNS0_4arch9wavefront6targetE1EEEvT1_,"axG",@progbits,_ZN7rocprim17ROCPRIM_400000_NS6detail17trampoline_kernelINS0_14default_configENS1_27scan_by_key_config_selectorIssEEZZNS1_16scan_by_key_implILNS1_25lookback_scan_determinismE0ELb0ES3_N6thrust23THRUST_200600_302600_NS6detail15normal_iteratorINS9_10device_ptrIsEEEESE_SE_sNS9_4plusIsEE19head_flag_predicatesEE10hipError_tPvRmT2_T3_T4_T5_mT6_T7_P12ihipStream_tbENKUlT_T0_E_clISt17integral_constantIbLb0EESY_EEDaST_SU_EUlST_E_NS1_11comp_targetILNS1_3genE5ELNS1_11target_archE942ELNS1_3gpuE9ELNS1_3repE0EEENS1_30default_config_static_selectorELNS0_4arch9wavefront6targetE1EEEvT1_,comdat
.Lfunc_end823:
	.size	_ZN7rocprim17ROCPRIM_400000_NS6detail17trampoline_kernelINS0_14default_configENS1_27scan_by_key_config_selectorIssEEZZNS1_16scan_by_key_implILNS1_25lookback_scan_determinismE0ELb0ES3_N6thrust23THRUST_200600_302600_NS6detail15normal_iteratorINS9_10device_ptrIsEEEESE_SE_sNS9_4plusIsEE19head_flag_predicatesEE10hipError_tPvRmT2_T3_T4_T5_mT6_T7_P12ihipStream_tbENKUlT_T0_E_clISt17integral_constantIbLb0EESY_EEDaST_SU_EUlST_E_NS1_11comp_targetILNS1_3genE5ELNS1_11target_archE942ELNS1_3gpuE9ELNS1_3repE0EEENS1_30default_config_static_selectorELNS0_4arch9wavefront6targetE1EEEvT1_, .Lfunc_end823-_ZN7rocprim17ROCPRIM_400000_NS6detail17trampoline_kernelINS0_14default_configENS1_27scan_by_key_config_selectorIssEEZZNS1_16scan_by_key_implILNS1_25lookback_scan_determinismE0ELb0ES3_N6thrust23THRUST_200600_302600_NS6detail15normal_iteratorINS9_10device_ptrIsEEEESE_SE_sNS9_4plusIsEE19head_flag_predicatesEE10hipError_tPvRmT2_T3_T4_T5_mT6_T7_P12ihipStream_tbENKUlT_T0_E_clISt17integral_constantIbLb0EESY_EEDaST_SU_EUlST_E_NS1_11comp_targetILNS1_3genE5ELNS1_11target_archE942ELNS1_3gpuE9ELNS1_3repE0EEENS1_30default_config_static_selectorELNS0_4arch9wavefront6targetE1EEEvT1_
                                        ; -- End function
	.section	.AMDGPU.csdata,"",@progbits
; Kernel info:
; codeLenInByte = 15612
; NumSgprs: 90
; NumVgprs: 63
; NumAgprs: 0
; TotalNumVgprs: 63
; ScratchSize: 0
; MemoryBound: 0
; FloatMode: 240
; IeeeMode: 1
; LDSByteSize: 13312 bytes/workgroup (compile time only)
; SGPRBlocks: 11
; VGPRBlocks: 7
; NumSGPRsForWavesPerEU: 90
; NumVGPRsForWavesPerEU: 63
; AccumOffset: 64
; Occupancy: 4
; WaveLimiterHint : 1
; COMPUTE_PGM_RSRC2:SCRATCH_EN: 0
; COMPUTE_PGM_RSRC2:USER_SGPR: 2
; COMPUTE_PGM_RSRC2:TRAP_HANDLER: 0
; COMPUTE_PGM_RSRC2:TGID_X_EN: 1
; COMPUTE_PGM_RSRC2:TGID_Y_EN: 0
; COMPUTE_PGM_RSRC2:TGID_Z_EN: 0
; COMPUTE_PGM_RSRC2:TIDIG_COMP_CNT: 0
; COMPUTE_PGM_RSRC3_GFX90A:ACCUM_OFFSET: 15
; COMPUTE_PGM_RSRC3_GFX90A:TG_SPLIT: 0
	.section	.text._ZN7rocprim17ROCPRIM_400000_NS6detail17trampoline_kernelINS0_14default_configENS1_27scan_by_key_config_selectorIssEEZZNS1_16scan_by_key_implILNS1_25lookback_scan_determinismE0ELb0ES3_N6thrust23THRUST_200600_302600_NS6detail15normal_iteratorINS9_10device_ptrIsEEEESE_SE_sNS9_4plusIsEE19head_flag_predicatesEE10hipError_tPvRmT2_T3_T4_T5_mT6_T7_P12ihipStream_tbENKUlT_T0_E_clISt17integral_constantIbLb0EESY_EEDaST_SU_EUlST_E_NS1_11comp_targetILNS1_3genE4ELNS1_11target_archE910ELNS1_3gpuE8ELNS1_3repE0EEENS1_30default_config_static_selectorELNS0_4arch9wavefront6targetE1EEEvT1_,"axG",@progbits,_ZN7rocprim17ROCPRIM_400000_NS6detail17trampoline_kernelINS0_14default_configENS1_27scan_by_key_config_selectorIssEEZZNS1_16scan_by_key_implILNS1_25lookback_scan_determinismE0ELb0ES3_N6thrust23THRUST_200600_302600_NS6detail15normal_iteratorINS9_10device_ptrIsEEEESE_SE_sNS9_4plusIsEE19head_flag_predicatesEE10hipError_tPvRmT2_T3_T4_T5_mT6_T7_P12ihipStream_tbENKUlT_T0_E_clISt17integral_constantIbLb0EESY_EEDaST_SU_EUlST_E_NS1_11comp_targetILNS1_3genE4ELNS1_11target_archE910ELNS1_3gpuE8ELNS1_3repE0EEENS1_30default_config_static_selectorELNS0_4arch9wavefront6targetE1EEEvT1_,comdat
	.protected	_ZN7rocprim17ROCPRIM_400000_NS6detail17trampoline_kernelINS0_14default_configENS1_27scan_by_key_config_selectorIssEEZZNS1_16scan_by_key_implILNS1_25lookback_scan_determinismE0ELb0ES3_N6thrust23THRUST_200600_302600_NS6detail15normal_iteratorINS9_10device_ptrIsEEEESE_SE_sNS9_4plusIsEE19head_flag_predicatesEE10hipError_tPvRmT2_T3_T4_T5_mT6_T7_P12ihipStream_tbENKUlT_T0_E_clISt17integral_constantIbLb0EESY_EEDaST_SU_EUlST_E_NS1_11comp_targetILNS1_3genE4ELNS1_11target_archE910ELNS1_3gpuE8ELNS1_3repE0EEENS1_30default_config_static_selectorELNS0_4arch9wavefront6targetE1EEEvT1_ ; -- Begin function _ZN7rocprim17ROCPRIM_400000_NS6detail17trampoline_kernelINS0_14default_configENS1_27scan_by_key_config_selectorIssEEZZNS1_16scan_by_key_implILNS1_25lookback_scan_determinismE0ELb0ES3_N6thrust23THRUST_200600_302600_NS6detail15normal_iteratorINS9_10device_ptrIsEEEESE_SE_sNS9_4plusIsEE19head_flag_predicatesEE10hipError_tPvRmT2_T3_T4_T5_mT6_T7_P12ihipStream_tbENKUlT_T0_E_clISt17integral_constantIbLb0EESY_EEDaST_SU_EUlST_E_NS1_11comp_targetILNS1_3genE4ELNS1_11target_archE910ELNS1_3gpuE8ELNS1_3repE0EEENS1_30default_config_static_selectorELNS0_4arch9wavefront6targetE1EEEvT1_
	.globl	_ZN7rocprim17ROCPRIM_400000_NS6detail17trampoline_kernelINS0_14default_configENS1_27scan_by_key_config_selectorIssEEZZNS1_16scan_by_key_implILNS1_25lookback_scan_determinismE0ELb0ES3_N6thrust23THRUST_200600_302600_NS6detail15normal_iteratorINS9_10device_ptrIsEEEESE_SE_sNS9_4plusIsEE19head_flag_predicatesEE10hipError_tPvRmT2_T3_T4_T5_mT6_T7_P12ihipStream_tbENKUlT_T0_E_clISt17integral_constantIbLb0EESY_EEDaST_SU_EUlST_E_NS1_11comp_targetILNS1_3genE4ELNS1_11target_archE910ELNS1_3gpuE8ELNS1_3repE0EEENS1_30default_config_static_selectorELNS0_4arch9wavefront6targetE1EEEvT1_
	.p2align	8
	.type	_ZN7rocprim17ROCPRIM_400000_NS6detail17trampoline_kernelINS0_14default_configENS1_27scan_by_key_config_selectorIssEEZZNS1_16scan_by_key_implILNS1_25lookback_scan_determinismE0ELb0ES3_N6thrust23THRUST_200600_302600_NS6detail15normal_iteratorINS9_10device_ptrIsEEEESE_SE_sNS9_4plusIsEE19head_flag_predicatesEE10hipError_tPvRmT2_T3_T4_T5_mT6_T7_P12ihipStream_tbENKUlT_T0_E_clISt17integral_constantIbLb0EESY_EEDaST_SU_EUlST_E_NS1_11comp_targetILNS1_3genE4ELNS1_11target_archE910ELNS1_3gpuE8ELNS1_3repE0EEENS1_30default_config_static_selectorELNS0_4arch9wavefront6targetE1EEEvT1_,@function
_ZN7rocprim17ROCPRIM_400000_NS6detail17trampoline_kernelINS0_14default_configENS1_27scan_by_key_config_selectorIssEEZZNS1_16scan_by_key_implILNS1_25lookback_scan_determinismE0ELb0ES3_N6thrust23THRUST_200600_302600_NS6detail15normal_iteratorINS9_10device_ptrIsEEEESE_SE_sNS9_4plusIsEE19head_flag_predicatesEE10hipError_tPvRmT2_T3_T4_T5_mT6_T7_P12ihipStream_tbENKUlT_T0_E_clISt17integral_constantIbLb0EESY_EEDaST_SU_EUlST_E_NS1_11comp_targetILNS1_3genE4ELNS1_11target_archE910ELNS1_3gpuE8ELNS1_3repE0EEENS1_30default_config_static_selectorELNS0_4arch9wavefront6targetE1EEEvT1_: ; @_ZN7rocprim17ROCPRIM_400000_NS6detail17trampoline_kernelINS0_14default_configENS1_27scan_by_key_config_selectorIssEEZZNS1_16scan_by_key_implILNS1_25lookback_scan_determinismE0ELb0ES3_N6thrust23THRUST_200600_302600_NS6detail15normal_iteratorINS9_10device_ptrIsEEEESE_SE_sNS9_4plusIsEE19head_flag_predicatesEE10hipError_tPvRmT2_T3_T4_T5_mT6_T7_P12ihipStream_tbENKUlT_T0_E_clISt17integral_constantIbLb0EESY_EEDaST_SU_EUlST_E_NS1_11comp_targetILNS1_3genE4ELNS1_11target_archE910ELNS1_3gpuE8ELNS1_3repE0EEENS1_30default_config_static_selectorELNS0_4arch9wavefront6targetE1EEEvT1_
; %bb.0:
	.section	.rodata,"a",@progbits
	.p2align	6, 0x0
	.amdhsa_kernel _ZN7rocprim17ROCPRIM_400000_NS6detail17trampoline_kernelINS0_14default_configENS1_27scan_by_key_config_selectorIssEEZZNS1_16scan_by_key_implILNS1_25lookback_scan_determinismE0ELb0ES3_N6thrust23THRUST_200600_302600_NS6detail15normal_iteratorINS9_10device_ptrIsEEEESE_SE_sNS9_4plusIsEE19head_flag_predicatesEE10hipError_tPvRmT2_T3_T4_T5_mT6_T7_P12ihipStream_tbENKUlT_T0_E_clISt17integral_constantIbLb0EESY_EEDaST_SU_EUlST_E_NS1_11comp_targetILNS1_3genE4ELNS1_11target_archE910ELNS1_3gpuE8ELNS1_3repE0EEENS1_30default_config_static_selectorELNS0_4arch9wavefront6targetE1EEEvT1_
		.amdhsa_group_segment_fixed_size 0
		.amdhsa_private_segment_fixed_size 0
		.amdhsa_kernarg_size 112
		.amdhsa_user_sgpr_count 2
		.amdhsa_user_sgpr_dispatch_ptr 0
		.amdhsa_user_sgpr_queue_ptr 0
		.amdhsa_user_sgpr_kernarg_segment_ptr 1
		.amdhsa_user_sgpr_dispatch_id 0
		.amdhsa_user_sgpr_kernarg_preload_length 0
		.amdhsa_user_sgpr_kernarg_preload_offset 0
		.amdhsa_user_sgpr_private_segment_size 0
		.amdhsa_uses_dynamic_stack 0
		.amdhsa_enable_private_segment 0
		.amdhsa_system_sgpr_workgroup_id_x 1
		.amdhsa_system_sgpr_workgroup_id_y 0
		.amdhsa_system_sgpr_workgroup_id_z 0
		.amdhsa_system_sgpr_workgroup_info 0
		.amdhsa_system_vgpr_workitem_id 0
		.amdhsa_next_free_vgpr 1
		.amdhsa_next_free_sgpr 0
		.amdhsa_accum_offset 4
		.amdhsa_reserve_vcc 0
		.amdhsa_float_round_mode_32 0
		.amdhsa_float_round_mode_16_64 0
		.amdhsa_float_denorm_mode_32 3
		.amdhsa_float_denorm_mode_16_64 3
		.amdhsa_dx10_clamp 1
		.amdhsa_ieee_mode 1
		.amdhsa_fp16_overflow 0
		.amdhsa_tg_split 0
		.amdhsa_exception_fp_ieee_invalid_op 0
		.amdhsa_exception_fp_denorm_src 0
		.amdhsa_exception_fp_ieee_div_zero 0
		.amdhsa_exception_fp_ieee_overflow 0
		.amdhsa_exception_fp_ieee_underflow 0
		.amdhsa_exception_fp_ieee_inexact 0
		.amdhsa_exception_int_div_zero 0
	.end_amdhsa_kernel
	.section	.text._ZN7rocprim17ROCPRIM_400000_NS6detail17trampoline_kernelINS0_14default_configENS1_27scan_by_key_config_selectorIssEEZZNS1_16scan_by_key_implILNS1_25lookback_scan_determinismE0ELb0ES3_N6thrust23THRUST_200600_302600_NS6detail15normal_iteratorINS9_10device_ptrIsEEEESE_SE_sNS9_4plusIsEE19head_flag_predicatesEE10hipError_tPvRmT2_T3_T4_T5_mT6_T7_P12ihipStream_tbENKUlT_T0_E_clISt17integral_constantIbLb0EESY_EEDaST_SU_EUlST_E_NS1_11comp_targetILNS1_3genE4ELNS1_11target_archE910ELNS1_3gpuE8ELNS1_3repE0EEENS1_30default_config_static_selectorELNS0_4arch9wavefront6targetE1EEEvT1_,"axG",@progbits,_ZN7rocprim17ROCPRIM_400000_NS6detail17trampoline_kernelINS0_14default_configENS1_27scan_by_key_config_selectorIssEEZZNS1_16scan_by_key_implILNS1_25lookback_scan_determinismE0ELb0ES3_N6thrust23THRUST_200600_302600_NS6detail15normal_iteratorINS9_10device_ptrIsEEEESE_SE_sNS9_4plusIsEE19head_flag_predicatesEE10hipError_tPvRmT2_T3_T4_T5_mT6_T7_P12ihipStream_tbENKUlT_T0_E_clISt17integral_constantIbLb0EESY_EEDaST_SU_EUlST_E_NS1_11comp_targetILNS1_3genE4ELNS1_11target_archE910ELNS1_3gpuE8ELNS1_3repE0EEENS1_30default_config_static_selectorELNS0_4arch9wavefront6targetE1EEEvT1_,comdat
.Lfunc_end824:
	.size	_ZN7rocprim17ROCPRIM_400000_NS6detail17trampoline_kernelINS0_14default_configENS1_27scan_by_key_config_selectorIssEEZZNS1_16scan_by_key_implILNS1_25lookback_scan_determinismE0ELb0ES3_N6thrust23THRUST_200600_302600_NS6detail15normal_iteratorINS9_10device_ptrIsEEEESE_SE_sNS9_4plusIsEE19head_flag_predicatesEE10hipError_tPvRmT2_T3_T4_T5_mT6_T7_P12ihipStream_tbENKUlT_T0_E_clISt17integral_constantIbLb0EESY_EEDaST_SU_EUlST_E_NS1_11comp_targetILNS1_3genE4ELNS1_11target_archE910ELNS1_3gpuE8ELNS1_3repE0EEENS1_30default_config_static_selectorELNS0_4arch9wavefront6targetE1EEEvT1_, .Lfunc_end824-_ZN7rocprim17ROCPRIM_400000_NS6detail17trampoline_kernelINS0_14default_configENS1_27scan_by_key_config_selectorIssEEZZNS1_16scan_by_key_implILNS1_25lookback_scan_determinismE0ELb0ES3_N6thrust23THRUST_200600_302600_NS6detail15normal_iteratorINS9_10device_ptrIsEEEESE_SE_sNS9_4plusIsEE19head_flag_predicatesEE10hipError_tPvRmT2_T3_T4_T5_mT6_T7_P12ihipStream_tbENKUlT_T0_E_clISt17integral_constantIbLb0EESY_EEDaST_SU_EUlST_E_NS1_11comp_targetILNS1_3genE4ELNS1_11target_archE910ELNS1_3gpuE8ELNS1_3repE0EEENS1_30default_config_static_selectorELNS0_4arch9wavefront6targetE1EEEvT1_
                                        ; -- End function
	.section	.AMDGPU.csdata,"",@progbits
; Kernel info:
; codeLenInByte = 0
; NumSgprs: 6
; NumVgprs: 0
; NumAgprs: 0
; TotalNumVgprs: 0
; ScratchSize: 0
; MemoryBound: 0
; FloatMode: 240
; IeeeMode: 1
; LDSByteSize: 0 bytes/workgroup (compile time only)
; SGPRBlocks: 0
; VGPRBlocks: 0
; NumSGPRsForWavesPerEU: 6
; NumVGPRsForWavesPerEU: 1
; AccumOffset: 4
; Occupancy: 8
; WaveLimiterHint : 0
; COMPUTE_PGM_RSRC2:SCRATCH_EN: 0
; COMPUTE_PGM_RSRC2:USER_SGPR: 2
; COMPUTE_PGM_RSRC2:TRAP_HANDLER: 0
; COMPUTE_PGM_RSRC2:TGID_X_EN: 1
; COMPUTE_PGM_RSRC2:TGID_Y_EN: 0
; COMPUTE_PGM_RSRC2:TGID_Z_EN: 0
; COMPUTE_PGM_RSRC2:TIDIG_COMP_CNT: 0
; COMPUTE_PGM_RSRC3_GFX90A:ACCUM_OFFSET: 0
; COMPUTE_PGM_RSRC3_GFX90A:TG_SPLIT: 0
	.section	.text._ZN7rocprim17ROCPRIM_400000_NS6detail17trampoline_kernelINS0_14default_configENS1_27scan_by_key_config_selectorIssEEZZNS1_16scan_by_key_implILNS1_25lookback_scan_determinismE0ELb0ES3_N6thrust23THRUST_200600_302600_NS6detail15normal_iteratorINS9_10device_ptrIsEEEESE_SE_sNS9_4plusIsEE19head_flag_predicatesEE10hipError_tPvRmT2_T3_T4_T5_mT6_T7_P12ihipStream_tbENKUlT_T0_E_clISt17integral_constantIbLb0EESY_EEDaST_SU_EUlST_E_NS1_11comp_targetILNS1_3genE3ELNS1_11target_archE908ELNS1_3gpuE7ELNS1_3repE0EEENS1_30default_config_static_selectorELNS0_4arch9wavefront6targetE1EEEvT1_,"axG",@progbits,_ZN7rocprim17ROCPRIM_400000_NS6detail17trampoline_kernelINS0_14default_configENS1_27scan_by_key_config_selectorIssEEZZNS1_16scan_by_key_implILNS1_25lookback_scan_determinismE0ELb0ES3_N6thrust23THRUST_200600_302600_NS6detail15normal_iteratorINS9_10device_ptrIsEEEESE_SE_sNS9_4plusIsEE19head_flag_predicatesEE10hipError_tPvRmT2_T3_T4_T5_mT6_T7_P12ihipStream_tbENKUlT_T0_E_clISt17integral_constantIbLb0EESY_EEDaST_SU_EUlST_E_NS1_11comp_targetILNS1_3genE3ELNS1_11target_archE908ELNS1_3gpuE7ELNS1_3repE0EEENS1_30default_config_static_selectorELNS0_4arch9wavefront6targetE1EEEvT1_,comdat
	.protected	_ZN7rocprim17ROCPRIM_400000_NS6detail17trampoline_kernelINS0_14default_configENS1_27scan_by_key_config_selectorIssEEZZNS1_16scan_by_key_implILNS1_25lookback_scan_determinismE0ELb0ES3_N6thrust23THRUST_200600_302600_NS6detail15normal_iteratorINS9_10device_ptrIsEEEESE_SE_sNS9_4plusIsEE19head_flag_predicatesEE10hipError_tPvRmT2_T3_T4_T5_mT6_T7_P12ihipStream_tbENKUlT_T0_E_clISt17integral_constantIbLb0EESY_EEDaST_SU_EUlST_E_NS1_11comp_targetILNS1_3genE3ELNS1_11target_archE908ELNS1_3gpuE7ELNS1_3repE0EEENS1_30default_config_static_selectorELNS0_4arch9wavefront6targetE1EEEvT1_ ; -- Begin function _ZN7rocprim17ROCPRIM_400000_NS6detail17trampoline_kernelINS0_14default_configENS1_27scan_by_key_config_selectorIssEEZZNS1_16scan_by_key_implILNS1_25lookback_scan_determinismE0ELb0ES3_N6thrust23THRUST_200600_302600_NS6detail15normal_iteratorINS9_10device_ptrIsEEEESE_SE_sNS9_4plusIsEE19head_flag_predicatesEE10hipError_tPvRmT2_T3_T4_T5_mT6_T7_P12ihipStream_tbENKUlT_T0_E_clISt17integral_constantIbLb0EESY_EEDaST_SU_EUlST_E_NS1_11comp_targetILNS1_3genE3ELNS1_11target_archE908ELNS1_3gpuE7ELNS1_3repE0EEENS1_30default_config_static_selectorELNS0_4arch9wavefront6targetE1EEEvT1_
	.globl	_ZN7rocprim17ROCPRIM_400000_NS6detail17trampoline_kernelINS0_14default_configENS1_27scan_by_key_config_selectorIssEEZZNS1_16scan_by_key_implILNS1_25lookback_scan_determinismE0ELb0ES3_N6thrust23THRUST_200600_302600_NS6detail15normal_iteratorINS9_10device_ptrIsEEEESE_SE_sNS9_4plusIsEE19head_flag_predicatesEE10hipError_tPvRmT2_T3_T4_T5_mT6_T7_P12ihipStream_tbENKUlT_T0_E_clISt17integral_constantIbLb0EESY_EEDaST_SU_EUlST_E_NS1_11comp_targetILNS1_3genE3ELNS1_11target_archE908ELNS1_3gpuE7ELNS1_3repE0EEENS1_30default_config_static_selectorELNS0_4arch9wavefront6targetE1EEEvT1_
	.p2align	8
	.type	_ZN7rocprim17ROCPRIM_400000_NS6detail17trampoline_kernelINS0_14default_configENS1_27scan_by_key_config_selectorIssEEZZNS1_16scan_by_key_implILNS1_25lookback_scan_determinismE0ELb0ES3_N6thrust23THRUST_200600_302600_NS6detail15normal_iteratorINS9_10device_ptrIsEEEESE_SE_sNS9_4plusIsEE19head_flag_predicatesEE10hipError_tPvRmT2_T3_T4_T5_mT6_T7_P12ihipStream_tbENKUlT_T0_E_clISt17integral_constantIbLb0EESY_EEDaST_SU_EUlST_E_NS1_11comp_targetILNS1_3genE3ELNS1_11target_archE908ELNS1_3gpuE7ELNS1_3repE0EEENS1_30default_config_static_selectorELNS0_4arch9wavefront6targetE1EEEvT1_,@function
_ZN7rocprim17ROCPRIM_400000_NS6detail17trampoline_kernelINS0_14default_configENS1_27scan_by_key_config_selectorIssEEZZNS1_16scan_by_key_implILNS1_25lookback_scan_determinismE0ELb0ES3_N6thrust23THRUST_200600_302600_NS6detail15normal_iteratorINS9_10device_ptrIsEEEESE_SE_sNS9_4plusIsEE19head_flag_predicatesEE10hipError_tPvRmT2_T3_T4_T5_mT6_T7_P12ihipStream_tbENKUlT_T0_E_clISt17integral_constantIbLb0EESY_EEDaST_SU_EUlST_E_NS1_11comp_targetILNS1_3genE3ELNS1_11target_archE908ELNS1_3gpuE7ELNS1_3repE0EEENS1_30default_config_static_selectorELNS0_4arch9wavefront6targetE1EEEvT1_: ; @_ZN7rocprim17ROCPRIM_400000_NS6detail17trampoline_kernelINS0_14default_configENS1_27scan_by_key_config_selectorIssEEZZNS1_16scan_by_key_implILNS1_25lookback_scan_determinismE0ELb0ES3_N6thrust23THRUST_200600_302600_NS6detail15normal_iteratorINS9_10device_ptrIsEEEESE_SE_sNS9_4plusIsEE19head_flag_predicatesEE10hipError_tPvRmT2_T3_T4_T5_mT6_T7_P12ihipStream_tbENKUlT_T0_E_clISt17integral_constantIbLb0EESY_EEDaST_SU_EUlST_E_NS1_11comp_targetILNS1_3genE3ELNS1_11target_archE908ELNS1_3gpuE7ELNS1_3repE0EEENS1_30default_config_static_selectorELNS0_4arch9wavefront6targetE1EEEvT1_
; %bb.0:
	.section	.rodata,"a",@progbits
	.p2align	6, 0x0
	.amdhsa_kernel _ZN7rocprim17ROCPRIM_400000_NS6detail17trampoline_kernelINS0_14default_configENS1_27scan_by_key_config_selectorIssEEZZNS1_16scan_by_key_implILNS1_25lookback_scan_determinismE0ELb0ES3_N6thrust23THRUST_200600_302600_NS6detail15normal_iteratorINS9_10device_ptrIsEEEESE_SE_sNS9_4plusIsEE19head_flag_predicatesEE10hipError_tPvRmT2_T3_T4_T5_mT6_T7_P12ihipStream_tbENKUlT_T0_E_clISt17integral_constantIbLb0EESY_EEDaST_SU_EUlST_E_NS1_11comp_targetILNS1_3genE3ELNS1_11target_archE908ELNS1_3gpuE7ELNS1_3repE0EEENS1_30default_config_static_selectorELNS0_4arch9wavefront6targetE1EEEvT1_
		.amdhsa_group_segment_fixed_size 0
		.amdhsa_private_segment_fixed_size 0
		.amdhsa_kernarg_size 112
		.amdhsa_user_sgpr_count 2
		.amdhsa_user_sgpr_dispatch_ptr 0
		.amdhsa_user_sgpr_queue_ptr 0
		.amdhsa_user_sgpr_kernarg_segment_ptr 1
		.amdhsa_user_sgpr_dispatch_id 0
		.amdhsa_user_sgpr_kernarg_preload_length 0
		.amdhsa_user_sgpr_kernarg_preload_offset 0
		.amdhsa_user_sgpr_private_segment_size 0
		.amdhsa_uses_dynamic_stack 0
		.amdhsa_enable_private_segment 0
		.amdhsa_system_sgpr_workgroup_id_x 1
		.amdhsa_system_sgpr_workgroup_id_y 0
		.amdhsa_system_sgpr_workgroup_id_z 0
		.amdhsa_system_sgpr_workgroup_info 0
		.amdhsa_system_vgpr_workitem_id 0
		.amdhsa_next_free_vgpr 1
		.amdhsa_next_free_sgpr 0
		.amdhsa_accum_offset 4
		.amdhsa_reserve_vcc 0
		.amdhsa_float_round_mode_32 0
		.amdhsa_float_round_mode_16_64 0
		.amdhsa_float_denorm_mode_32 3
		.amdhsa_float_denorm_mode_16_64 3
		.amdhsa_dx10_clamp 1
		.amdhsa_ieee_mode 1
		.amdhsa_fp16_overflow 0
		.amdhsa_tg_split 0
		.amdhsa_exception_fp_ieee_invalid_op 0
		.amdhsa_exception_fp_denorm_src 0
		.amdhsa_exception_fp_ieee_div_zero 0
		.amdhsa_exception_fp_ieee_overflow 0
		.amdhsa_exception_fp_ieee_underflow 0
		.amdhsa_exception_fp_ieee_inexact 0
		.amdhsa_exception_int_div_zero 0
	.end_amdhsa_kernel
	.section	.text._ZN7rocprim17ROCPRIM_400000_NS6detail17trampoline_kernelINS0_14default_configENS1_27scan_by_key_config_selectorIssEEZZNS1_16scan_by_key_implILNS1_25lookback_scan_determinismE0ELb0ES3_N6thrust23THRUST_200600_302600_NS6detail15normal_iteratorINS9_10device_ptrIsEEEESE_SE_sNS9_4plusIsEE19head_flag_predicatesEE10hipError_tPvRmT2_T3_T4_T5_mT6_T7_P12ihipStream_tbENKUlT_T0_E_clISt17integral_constantIbLb0EESY_EEDaST_SU_EUlST_E_NS1_11comp_targetILNS1_3genE3ELNS1_11target_archE908ELNS1_3gpuE7ELNS1_3repE0EEENS1_30default_config_static_selectorELNS0_4arch9wavefront6targetE1EEEvT1_,"axG",@progbits,_ZN7rocprim17ROCPRIM_400000_NS6detail17trampoline_kernelINS0_14default_configENS1_27scan_by_key_config_selectorIssEEZZNS1_16scan_by_key_implILNS1_25lookback_scan_determinismE0ELb0ES3_N6thrust23THRUST_200600_302600_NS6detail15normal_iteratorINS9_10device_ptrIsEEEESE_SE_sNS9_4plusIsEE19head_flag_predicatesEE10hipError_tPvRmT2_T3_T4_T5_mT6_T7_P12ihipStream_tbENKUlT_T0_E_clISt17integral_constantIbLb0EESY_EEDaST_SU_EUlST_E_NS1_11comp_targetILNS1_3genE3ELNS1_11target_archE908ELNS1_3gpuE7ELNS1_3repE0EEENS1_30default_config_static_selectorELNS0_4arch9wavefront6targetE1EEEvT1_,comdat
.Lfunc_end825:
	.size	_ZN7rocprim17ROCPRIM_400000_NS6detail17trampoline_kernelINS0_14default_configENS1_27scan_by_key_config_selectorIssEEZZNS1_16scan_by_key_implILNS1_25lookback_scan_determinismE0ELb0ES3_N6thrust23THRUST_200600_302600_NS6detail15normal_iteratorINS9_10device_ptrIsEEEESE_SE_sNS9_4plusIsEE19head_flag_predicatesEE10hipError_tPvRmT2_T3_T4_T5_mT6_T7_P12ihipStream_tbENKUlT_T0_E_clISt17integral_constantIbLb0EESY_EEDaST_SU_EUlST_E_NS1_11comp_targetILNS1_3genE3ELNS1_11target_archE908ELNS1_3gpuE7ELNS1_3repE0EEENS1_30default_config_static_selectorELNS0_4arch9wavefront6targetE1EEEvT1_, .Lfunc_end825-_ZN7rocprim17ROCPRIM_400000_NS6detail17trampoline_kernelINS0_14default_configENS1_27scan_by_key_config_selectorIssEEZZNS1_16scan_by_key_implILNS1_25lookback_scan_determinismE0ELb0ES3_N6thrust23THRUST_200600_302600_NS6detail15normal_iteratorINS9_10device_ptrIsEEEESE_SE_sNS9_4plusIsEE19head_flag_predicatesEE10hipError_tPvRmT2_T3_T4_T5_mT6_T7_P12ihipStream_tbENKUlT_T0_E_clISt17integral_constantIbLb0EESY_EEDaST_SU_EUlST_E_NS1_11comp_targetILNS1_3genE3ELNS1_11target_archE908ELNS1_3gpuE7ELNS1_3repE0EEENS1_30default_config_static_selectorELNS0_4arch9wavefront6targetE1EEEvT1_
                                        ; -- End function
	.section	.AMDGPU.csdata,"",@progbits
; Kernel info:
; codeLenInByte = 0
; NumSgprs: 6
; NumVgprs: 0
; NumAgprs: 0
; TotalNumVgprs: 0
; ScratchSize: 0
; MemoryBound: 0
; FloatMode: 240
; IeeeMode: 1
; LDSByteSize: 0 bytes/workgroup (compile time only)
; SGPRBlocks: 0
; VGPRBlocks: 0
; NumSGPRsForWavesPerEU: 6
; NumVGPRsForWavesPerEU: 1
; AccumOffset: 4
; Occupancy: 8
; WaveLimiterHint : 0
; COMPUTE_PGM_RSRC2:SCRATCH_EN: 0
; COMPUTE_PGM_RSRC2:USER_SGPR: 2
; COMPUTE_PGM_RSRC2:TRAP_HANDLER: 0
; COMPUTE_PGM_RSRC2:TGID_X_EN: 1
; COMPUTE_PGM_RSRC2:TGID_Y_EN: 0
; COMPUTE_PGM_RSRC2:TGID_Z_EN: 0
; COMPUTE_PGM_RSRC2:TIDIG_COMP_CNT: 0
; COMPUTE_PGM_RSRC3_GFX90A:ACCUM_OFFSET: 0
; COMPUTE_PGM_RSRC3_GFX90A:TG_SPLIT: 0
	.section	.text._ZN7rocprim17ROCPRIM_400000_NS6detail17trampoline_kernelINS0_14default_configENS1_27scan_by_key_config_selectorIssEEZZNS1_16scan_by_key_implILNS1_25lookback_scan_determinismE0ELb0ES3_N6thrust23THRUST_200600_302600_NS6detail15normal_iteratorINS9_10device_ptrIsEEEESE_SE_sNS9_4plusIsEE19head_flag_predicatesEE10hipError_tPvRmT2_T3_T4_T5_mT6_T7_P12ihipStream_tbENKUlT_T0_E_clISt17integral_constantIbLb0EESY_EEDaST_SU_EUlST_E_NS1_11comp_targetILNS1_3genE2ELNS1_11target_archE906ELNS1_3gpuE6ELNS1_3repE0EEENS1_30default_config_static_selectorELNS0_4arch9wavefront6targetE1EEEvT1_,"axG",@progbits,_ZN7rocprim17ROCPRIM_400000_NS6detail17trampoline_kernelINS0_14default_configENS1_27scan_by_key_config_selectorIssEEZZNS1_16scan_by_key_implILNS1_25lookback_scan_determinismE0ELb0ES3_N6thrust23THRUST_200600_302600_NS6detail15normal_iteratorINS9_10device_ptrIsEEEESE_SE_sNS9_4plusIsEE19head_flag_predicatesEE10hipError_tPvRmT2_T3_T4_T5_mT6_T7_P12ihipStream_tbENKUlT_T0_E_clISt17integral_constantIbLb0EESY_EEDaST_SU_EUlST_E_NS1_11comp_targetILNS1_3genE2ELNS1_11target_archE906ELNS1_3gpuE6ELNS1_3repE0EEENS1_30default_config_static_selectorELNS0_4arch9wavefront6targetE1EEEvT1_,comdat
	.protected	_ZN7rocprim17ROCPRIM_400000_NS6detail17trampoline_kernelINS0_14default_configENS1_27scan_by_key_config_selectorIssEEZZNS1_16scan_by_key_implILNS1_25lookback_scan_determinismE0ELb0ES3_N6thrust23THRUST_200600_302600_NS6detail15normal_iteratorINS9_10device_ptrIsEEEESE_SE_sNS9_4plusIsEE19head_flag_predicatesEE10hipError_tPvRmT2_T3_T4_T5_mT6_T7_P12ihipStream_tbENKUlT_T0_E_clISt17integral_constantIbLb0EESY_EEDaST_SU_EUlST_E_NS1_11comp_targetILNS1_3genE2ELNS1_11target_archE906ELNS1_3gpuE6ELNS1_3repE0EEENS1_30default_config_static_selectorELNS0_4arch9wavefront6targetE1EEEvT1_ ; -- Begin function _ZN7rocprim17ROCPRIM_400000_NS6detail17trampoline_kernelINS0_14default_configENS1_27scan_by_key_config_selectorIssEEZZNS1_16scan_by_key_implILNS1_25lookback_scan_determinismE0ELb0ES3_N6thrust23THRUST_200600_302600_NS6detail15normal_iteratorINS9_10device_ptrIsEEEESE_SE_sNS9_4plusIsEE19head_flag_predicatesEE10hipError_tPvRmT2_T3_T4_T5_mT6_T7_P12ihipStream_tbENKUlT_T0_E_clISt17integral_constantIbLb0EESY_EEDaST_SU_EUlST_E_NS1_11comp_targetILNS1_3genE2ELNS1_11target_archE906ELNS1_3gpuE6ELNS1_3repE0EEENS1_30default_config_static_selectorELNS0_4arch9wavefront6targetE1EEEvT1_
	.globl	_ZN7rocprim17ROCPRIM_400000_NS6detail17trampoline_kernelINS0_14default_configENS1_27scan_by_key_config_selectorIssEEZZNS1_16scan_by_key_implILNS1_25lookback_scan_determinismE0ELb0ES3_N6thrust23THRUST_200600_302600_NS6detail15normal_iteratorINS9_10device_ptrIsEEEESE_SE_sNS9_4plusIsEE19head_flag_predicatesEE10hipError_tPvRmT2_T3_T4_T5_mT6_T7_P12ihipStream_tbENKUlT_T0_E_clISt17integral_constantIbLb0EESY_EEDaST_SU_EUlST_E_NS1_11comp_targetILNS1_3genE2ELNS1_11target_archE906ELNS1_3gpuE6ELNS1_3repE0EEENS1_30default_config_static_selectorELNS0_4arch9wavefront6targetE1EEEvT1_
	.p2align	8
	.type	_ZN7rocprim17ROCPRIM_400000_NS6detail17trampoline_kernelINS0_14default_configENS1_27scan_by_key_config_selectorIssEEZZNS1_16scan_by_key_implILNS1_25lookback_scan_determinismE0ELb0ES3_N6thrust23THRUST_200600_302600_NS6detail15normal_iteratorINS9_10device_ptrIsEEEESE_SE_sNS9_4plusIsEE19head_flag_predicatesEE10hipError_tPvRmT2_T3_T4_T5_mT6_T7_P12ihipStream_tbENKUlT_T0_E_clISt17integral_constantIbLb0EESY_EEDaST_SU_EUlST_E_NS1_11comp_targetILNS1_3genE2ELNS1_11target_archE906ELNS1_3gpuE6ELNS1_3repE0EEENS1_30default_config_static_selectorELNS0_4arch9wavefront6targetE1EEEvT1_,@function
_ZN7rocprim17ROCPRIM_400000_NS6detail17trampoline_kernelINS0_14default_configENS1_27scan_by_key_config_selectorIssEEZZNS1_16scan_by_key_implILNS1_25lookback_scan_determinismE0ELb0ES3_N6thrust23THRUST_200600_302600_NS6detail15normal_iteratorINS9_10device_ptrIsEEEESE_SE_sNS9_4plusIsEE19head_flag_predicatesEE10hipError_tPvRmT2_T3_T4_T5_mT6_T7_P12ihipStream_tbENKUlT_T0_E_clISt17integral_constantIbLb0EESY_EEDaST_SU_EUlST_E_NS1_11comp_targetILNS1_3genE2ELNS1_11target_archE906ELNS1_3gpuE6ELNS1_3repE0EEENS1_30default_config_static_selectorELNS0_4arch9wavefront6targetE1EEEvT1_: ; @_ZN7rocprim17ROCPRIM_400000_NS6detail17trampoline_kernelINS0_14default_configENS1_27scan_by_key_config_selectorIssEEZZNS1_16scan_by_key_implILNS1_25lookback_scan_determinismE0ELb0ES3_N6thrust23THRUST_200600_302600_NS6detail15normal_iteratorINS9_10device_ptrIsEEEESE_SE_sNS9_4plusIsEE19head_flag_predicatesEE10hipError_tPvRmT2_T3_T4_T5_mT6_T7_P12ihipStream_tbENKUlT_T0_E_clISt17integral_constantIbLb0EESY_EEDaST_SU_EUlST_E_NS1_11comp_targetILNS1_3genE2ELNS1_11target_archE906ELNS1_3gpuE6ELNS1_3repE0EEENS1_30default_config_static_selectorELNS0_4arch9wavefront6targetE1EEEvT1_
; %bb.0:
	.section	.rodata,"a",@progbits
	.p2align	6, 0x0
	.amdhsa_kernel _ZN7rocprim17ROCPRIM_400000_NS6detail17trampoline_kernelINS0_14default_configENS1_27scan_by_key_config_selectorIssEEZZNS1_16scan_by_key_implILNS1_25lookback_scan_determinismE0ELb0ES3_N6thrust23THRUST_200600_302600_NS6detail15normal_iteratorINS9_10device_ptrIsEEEESE_SE_sNS9_4plusIsEE19head_flag_predicatesEE10hipError_tPvRmT2_T3_T4_T5_mT6_T7_P12ihipStream_tbENKUlT_T0_E_clISt17integral_constantIbLb0EESY_EEDaST_SU_EUlST_E_NS1_11comp_targetILNS1_3genE2ELNS1_11target_archE906ELNS1_3gpuE6ELNS1_3repE0EEENS1_30default_config_static_selectorELNS0_4arch9wavefront6targetE1EEEvT1_
		.amdhsa_group_segment_fixed_size 0
		.amdhsa_private_segment_fixed_size 0
		.amdhsa_kernarg_size 112
		.amdhsa_user_sgpr_count 2
		.amdhsa_user_sgpr_dispatch_ptr 0
		.amdhsa_user_sgpr_queue_ptr 0
		.amdhsa_user_sgpr_kernarg_segment_ptr 1
		.amdhsa_user_sgpr_dispatch_id 0
		.amdhsa_user_sgpr_kernarg_preload_length 0
		.amdhsa_user_sgpr_kernarg_preload_offset 0
		.amdhsa_user_sgpr_private_segment_size 0
		.amdhsa_uses_dynamic_stack 0
		.amdhsa_enable_private_segment 0
		.amdhsa_system_sgpr_workgroup_id_x 1
		.amdhsa_system_sgpr_workgroup_id_y 0
		.amdhsa_system_sgpr_workgroup_id_z 0
		.amdhsa_system_sgpr_workgroup_info 0
		.amdhsa_system_vgpr_workitem_id 0
		.amdhsa_next_free_vgpr 1
		.amdhsa_next_free_sgpr 0
		.amdhsa_accum_offset 4
		.amdhsa_reserve_vcc 0
		.amdhsa_float_round_mode_32 0
		.amdhsa_float_round_mode_16_64 0
		.amdhsa_float_denorm_mode_32 3
		.amdhsa_float_denorm_mode_16_64 3
		.amdhsa_dx10_clamp 1
		.amdhsa_ieee_mode 1
		.amdhsa_fp16_overflow 0
		.amdhsa_tg_split 0
		.amdhsa_exception_fp_ieee_invalid_op 0
		.amdhsa_exception_fp_denorm_src 0
		.amdhsa_exception_fp_ieee_div_zero 0
		.amdhsa_exception_fp_ieee_overflow 0
		.amdhsa_exception_fp_ieee_underflow 0
		.amdhsa_exception_fp_ieee_inexact 0
		.amdhsa_exception_int_div_zero 0
	.end_amdhsa_kernel
	.section	.text._ZN7rocprim17ROCPRIM_400000_NS6detail17trampoline_kernelINS0_14default_configENS1_27scan_by_key_config_selectorIssEEZZNS1_16scan_by_key_implILNS1_25lookback_scan_determinismE0ELb0ES3_N6thrust23THRUST_200600_302600_NS6detail15normal_iteratorINS9_10device_ptrIsEEEESE_SE_sNS9_4plusIsEE19head_flag_predicatesEE10hipError_tPvRmT2_T3_T4_T5_mT6_T7_P12ihipStream_tbENKUlT_T0_E_clISt17integral_constantIbLb0EESY_EEDaST_SU_EUlST_E_NS1_11comp_targetILNS1_3genE2ELNS1_11target_archE906ELNS1_3gpuE6ELNS1_3repE0EEENS1_30default_config_static_selectorELNS0_4arch9wavefront6targetE1EEEvT1_,"axG",@progbits,_ZN7rocprim17ROCPRIM_400000_NS6detail17trampoline_kernelINS0_14default_configENS1_27scan_by_key_config_selectorIssEEZZNS1_16scan_by_key_implILNS1_25lookback_scan_determinismE0ELb0ES3_N6thrust23THRUST_200600_302600_NS6detail15normal_iteratorINS9_10device_ptrIsEEEESE_SE_sNS9_4plusIsEE19head_flag_predicatesEE10hipError_tPvRmT2_T3_T4_T5_mT6_T7_P12ihipStream_tbENKUlT_T0_E_clISt17integral_constantIbLb0EESY_EEDaST_SU_EUlST_E_NS1_11comp_targetILNS1_3genE2ELNS1_11target_archE906ELNS1_3gpuE6ELNS1_3repE0EEENS1_30default_config_static_selectorELNS0_4arch9wavefront6targetE1EEEvT1_,comdat
.Lfunc_end826:
	.size	_ZN7rocprim17ROCPRIM_400000_NS6detail17trampoline_kernelINS0_14default_configENS1_27scan_by_key_config_selectorIssEEZZNS1_16scan_by_key_implILNS1_25lookback_scan_determinismE0ELb0ES3_N6thrust23THRUST_200600_302600_NS6detail15normal_iteratorINS9_10device_ptrIsEEEESE_SE_sNS9_4plusIsEE19head_flag_predicatesEE10hipError_tPvRmT2_T3_T4_T5_mT6_T7_P12ihipStream_tbENKUlT_T0_E_clISt17integral_constantIbLb0EESY_EEDaST_SU_EUlST_E_NS1_11comp_targetILNS1_3genE2ELNS1_11target_archE906ELNS1_3gpuE6ELNS1_3repE0EEENS1_30default_config_static_selectorELNS0_4arch9wavefront6targetE1EEEvT1_, .Lfunc_end826-_ZN7rocprim17ROCPRIM_400000_NS6detail17trampoline_kernelINS0_14default_configENS1_27scan_by_key_config_selectorIssEEZZNS1_16scan_by_key_implILNS1_25lookback_scan_determinismE0ELb0ES3_N6thrust23THRUST_200600_302600_NS6detail15normal_iteratorINS9_10device_ptrIsEEEESE_SE_sNS9_4plusIsEE19head_flag_predicatesEE10hipError_tPvRmT2_T3_T4_T5_mT6_T7_P12ihipStream_tbENKUlT_T0_E_clISt17integral_constantIbLb0EESY_EEDaST_SU_EUlST_E_NS1_11comp_targetILNS1_3genE2ELNS1_11target_archE906ELNS1_3gpuE6ELNS1_3repE0EEENS1_30default_config_static_selectorELNS0_4arch9wavefront6targetE1EEEvT1_
                                        ; -- End function
	.section	.AMDGPU.csdata,"",@progbits
; Kernel info:
; codeLenInByte = 0
; NumSgprs: 6
; NumVgprs: 0
; NumAgprs: 0
; TotalNumVgprs: 0
; ScratchSize: 0
; MemoryBound: 0
; FloatMode: 240
; IeeeMode: 1
; LDSByteSize: 0 bytes/workgroup (compile time only)
; SGPRBlocks: 0
; VGPRBlocks: 0
; NumSGPRsForWavesPerEU: 6
; NumVGPRsForWavesPerEU: 1
; AccumOffset: 4
; Occupancy: 8
; WaveLimiterHint : 0
; COMPUTE_PGM_RSRC2:SCRATCH_EN: 0
; COMPUTE_PGM_RSRC2:USER_SGPR: 2
; COMPUTE_PGM_RSRC2:TRAP_HANDLER: 0
; COMPUTE_PGM_RSRC2:TGID_X_EN: 1
; COMPUTE_PGM_RSRC2:TGID_Y_EN: 0
; COMPUTE_PGM_RSRC2:TGID_Z_EN: 0
; COMPUTE_PGM_RSRC2:TIDIG_COMP_CNT: 0
; COMPUTE_PGM_RSRC3_GFX90A:ACCUM_OFFSET: 0
; COMPUTE_PGM_RSRC3_GFX90A:TG_SPLIT: 0
	.section	.text._ZN7rocprim17ROCPRIM_400000_NS6detail17trampoline_kernelINS0_14default_configENS1_27scan_by_key_config_selectorIssEEZZNS1_16scan_by_key_implILNS1_25lookback_scan_determinismE0ELb0ES3_N6thrust23THRUST_200600_302600_NS6detail15normal_iteratorINS9_10device_ptrIsEEEESE_SE_sNS9_4plusIsEE19head_flag_predicatesEE10hipError_tPvRmT2_T3_T4_T5_mT6_T7_P12ihipStream_tbENKUlT_T0_E_clISt17integral_constantIbLb0EESY_EEDaST_SU_EUlST_E_NS1_11comp_targetILNS1_3genE10ELNS1_11target_archE1200ELNS1_3gpuE4ELNS1_3repE0EEENS1_30default_config_static_selectorELNS0_4arch9wavefront6targetE1EEEvT1_,"axG",@progbits,_ZN7rocprim17ROCPRIM_400000_NS6detail17trampoline_kernelINS0_14default_configENS1_27scan_by_key_config_selectorIssEEZZNS1_16scan_by_key_implILNS1_25lookback_scan_determinismE0ELb0ES3_N6thrust23THRUST_200600_302600_NS6detail15normal_iteratorINS9_10device_ptrIsEEEESE_SE_sNS9_4plusIsEE19head_flag_predicatesEE10hipError_tPvRmT2_T3_T4_T5_mT6_T7_P12ihipStream_tbENKUlT_T0_E_clISt17integral_constantIbLb0EESY_EEDaST_SU_EUlST_E_NS1_11comp_targetILNS1_3genE10ELNS1_11target_archE1200ELNS1_3gpuE4ELNS1_3repE0EEENS1_30default_config_static_selectorELNS0_4arch9wavefront6targetE1EEEvT1_,comdat
	.protected	_ZN7rocprim17ROCPRIM_400000_NS6detail17trampoline_kernelINS0_14default_configENS1_27scan_by_key_config_selectorIssEEZZNS1_16scan_by_key_implILNS1_25lookback_scan_determinismE0ELb0ES3_N6thrust23THRUST_200600_302600_NS6detail15normal_iteratorINS9_10device_ptrIsEEEESE_SE_sNS9_4plusIsEE19head_flag_predicatesEE10hipError_tPvRmT2_T3_T4_T5_mT6_T7_P12ihipStream_tbENKUlT_T0_E_clISt17integral_constantIbLb0EESY_EEDaST_SU_EUlST_E_NS1_11comp_targetILNS1_3genE10ELNS1_11target_archE1200ELNS1_3gpuE4ELNS1_3repE0EEENS1_30default_config_static_selectorELNS0_4arch9wavefront6targetE1EEEvT1_ ; -- Begin function _ZN7rocprim17ROCPRIM_400000_NS6detail17trampoline_kernelINS0_14default_configENS1_27scan_by_key_config_selectorIssEEZZNS1_16scan_by_key_implILNS1_25lookback_scan_determinismE0ELb0ES3_N6thrust23THRUST_200600_302600_NS6detail15normal_iteratorINS9_10device_ptrIsEEEESE_SE_sNS9_4plusIsEE19head_flag_predicatesEE10hipError_tPvRmT2_T3_T4_T5_mT6_T7_P12ihipStream_tbENKUlT_T0_E_clISt17integral_constantIbLb0EESY_EEDaST_SU_EUlST_E_NS1_11comp_targetILNS1_3genE10ELNS1_11target_archE1200ELNS1_3gpuE4ELNS1_3repE0EEENS1_30default_config_static_selectorELNS0_4arch9wavefront6targetE1EEEvT1_
	.globl	_ZN7rocprim17ROCPRIM_400000_NS6detail17trampoline_kernelINS0_14default_configENS1_27scan_by_key_config_selectorIssEEZZNS1_16scan_by_key_implILNS1_25lookback_scan_determinismE0ELb0ES3_N6thrust23THRUST_200600_302600_NS6detail15normal_iteratorINS9_10device_ptrIsEEEESE_SE_sNS9_4plusIsEE19head_flag_predicatesEE10hipError_tPvRmT2_T3_T4_T5_mT6_T7_P12ihipStream_tbENKUlT_T0_E_clISt17integral_constantIbLb0EESY_EEDaST_SU_EUlST_E_NS1_11comp_targetILNS1_3genE10ELNS1_11target_archE1200ELNS1_3gpuE4ELNS1_3repE0EEENS1_30default_config_static_selectorELNS0_4arch9wavefront6targetE1EEEvT1_
	.p2align	8
	.type	_ZN7rocprim17ROCPRIM_400000_NS6detail17trampoline_kernelINS0_14default_configENS1_27scan_by_key_config_selectorIssEEZZNS1_16scan_by_key_implILNS1_25lookback_scan_determinismE0ELb0ES3_N6thrust23THRUST_200600_302600_NS6detail15normal_iteratorINS9_10device_ptrIsEEEESE_SE_sNS9_4plusIsEE19head_flag_predicatesEE10hipError_tPvRmT2_T3_T4_T5_mT6_T7_P12ihipStream_tbENKUlT_T0_E_clISt17integral_constantIbLb0EESY_EEDaST_SU_EUlST_E_NS1_11comp_targetILNS1_3genE10ELNS1_11target_archE1200ELNS1_3gpuE4ELNS1_3repE0EEENS1_30default_config_static_selectorELNS0_4arch9wavefront6targetE1EEEvT1_,@function
_ZN7rocprim17ROCPRIM_400000_NS6detail17trampoline_kernelINS0_14default_configENS1_27scan_by_key_config_selectorIssEEZZNS1_16scan_by_key_implILNS1_25lookback_scan_determinismE0ELb0ES3_N6thrust23THRUST_200600_302600_NS6detail15normal_iteratorINS9_10device_ptrIsEEEESE_SE_sNS9_4plusIsEE19head_flag_predicatesEE10hipError_tPvRmT2_T3_T4_T5_mT6_T7_P12ihipStream_tbENKUlT_T0_E_clISt17integral_constantIbLb0EESY_EEDaST_SU_EUlST_E_NS1_11comp_targetILNS1_3genE10ELNS1_11target_archE1200ELNS1_3gpuE4ELNS1_3repE0EEENS1_30default_config_static_selectorELNS0_4arch9wavefront6targetE1EEEvT1_: ; @_ZN7rocprim17ROCPRIM_400000_NS6detail17trampoline_kernelINS0_14default_configENS1_27scan_by_key_config_selectorIssEEZZNS1_16scan_by_key_implILNS1_25lookback_scan_determinismE0ELb0ES3_N6thrust23THRUST_200600_302600_NS6detail15normal_iteratorINS9_10device_ptrIsEEEESE_SE_sNS9_4plusIsEE19head_flag_predicatesEE10hipError_tPvRmT2_T3_T4_T5_mT6_T7_P12ihipStream_tbENKUlT_T0_E_clISt17integral_constantIbLb0EESY_EEDaST_SU_EUlST_E_NS1_11comp_targetILNS1_3genE10ELNS1_11target_archE1200ELNS1_3gpuE4ELNS1_3repE0EEENS1_30default_config_static_selectorELNS0_4arch9wavefront6targetE1EEEvT1_
; %bb.0:
	.section	.rodata,"a",@progbits
	.p2align	6, 0x0
	.amdhsa_kernel _ZN7rocprim17ROCPRIM_400000_NS6detail17trampoline_kernelINS0_14default_configENS1_27scan_by_key_config_selectorIssEEZZNS1_16scan_by_key_implILNS1_25lookback_scan_determinismE0ELb0ES3_N6thrust23THRUST_200600_302600_NS6detail15normal_iteratorINS9_10device_ptrIsEEEESE_SE_sNS9_4plusIsEE19head_flag_predicatesEE10hipError_tPvRmT2_T3_T4_T5_mT6_T7_P12ihipStream_tbENKUlT_T0_E_clISt17integral_constantIbLb0EESY_EEDaST_SU_EUlST_E_NS1_11comp_targetILNS1_3genE10ELNS1_11target_archE1200ELNS1_3gpuE4ELNS1_3repE0EEENS1_30default_config_static_selectorELNS0_4arch9wavefront6targetE1EEEvT1_
		.amdhsa_group_segment_fixed_size 0
		.amdhsa_private_segment_fixed_size 0
		.amdhsa_kernarg_size 112
		.amdhsa_user_sgpr_count 2
		.amdhsa_user_sgpr_dispatch_ptr 0
		.amdhsa_user_sgpr_queue_ptr 0
		.amdhsa_user_sgpr_kernarg_segment_ptr 1
		.amdhsa_user_sgpr_dispatch_id 0
		.amdhsa_user_sgpr_kernarg_preload_length 0
		.amdhsa_user_sgpr_kernarg_preload_offset 0
		.amdhsa_user_sgpr_private_segment_size 0
		.amdhsa_uses_dynamic_stack 0
		.amdhsa_enable_private_segment 0
		.amdhsa_system_sgpr_workgroup_id_x 1
		.amdhsa_system_sgpr_workgroup_id_y 0
		.amdhsa_system_sgpr_workgroup_id_z 0
		.amdhsa_system_sgpr_workgroup_info 0
		.amdhsa_system_vgpr_workitem_id 0
		.amdhsa_next_free_vgpr 1
		.amdhsa_next_free_sgpr 0
		.amdhsa_accum_offset 4
		.amdhsa_reserve_vcc 0
		.amdhsa_float_round_mode_32 0
		.amdhsa_float_round_mode_16_64 0
		.amdhsa_float_denorm_mode_32 3
		.amdhsa_float_denorm_mode_16_64 3
		.amdhsa_dx10_clamp 1
		.amdhsa_ieee_mode 1
		.amdhsa_fp16_overflow 0
		.amdhsa_tg_split 0
		.amdhsa_exception_fp_ieee_invalid_op 0
		.amdhsa_exception_fp_denorm_src 0
		.amdhsa_exception_fp_ieee_div_zero 0
		.amdhsa_exception_fp_ieee_overflow 0
		.amdhsa_exception_fp_ieee_underflow 0
		.amdhsa_exception_fp_ieee_inexact 0
		.amdhsa_exception_int_div_zero 0
	.end_amdhsa_kernel
	.section	.text._ZN7rocprim17ROCPRIM_400000_NS6detail17trampoline_kernelINS0_14default_configENS1_27scan_by_key_config_selectorIssEEZZNS1_16scan_by_key_implILNS1_25lookback_scan_determinismE0ELb0ES3_N6thrust23THRUST_200600_302600_NS6detail15normal_iteratorINS9_10device_ptrIsEEEESE_SE_sNS9_4plusIsEE19head_flag_predicatesEE10hipError_tPvRmT2_T3_T4_T5_mT6_T7_P12ihipStream_tbENKUlT_T0_E_clISt17integral_constantIbLb0EESY_EEDaST_SU_EUlST_E_NS1_11comp_targetILNS1_3genE10ELNS1_11target_archE1200ELNS1_3gpuE4ELNS1_3repE0EEENS1_30default_config_static_selectorELNS0_4arch9wavefront6targetE1EEEvT1_,"axG",@progbits,_ZN7rocprim17ROCPRIM_400000_NS6detail17trampoline_kernelINS0_14default_configENS1_27scan_by_key_config_selectorIssEEZZNS1_16scan_by_key_implILNS1_25lookback_scan_determinismE0ELb0ES3_N6thrust23THRUST_200600_302600_NS6detail15normal_iteratorINS9_10device_ptrIsEEEESE_SE_sNS9_4plusIsEE19head_flag_predicatesEE10hipError_tPvRmT2_T3_T4_T5_mT6_T7_P12ihipStream_tbENKUlT_T0_E_clISt17integral_constantIbLb0EESY_EEDaST_SU_EUlST_E_NS1_11comp_targetILNS1_3genE10ELNS1_11target_archE1200ELNS1_3gpuE4ELNS1_3repE0EEENS1_30default_config_static_selectorELNS0_4arch9wavefront6targetE1EEEvT1_,comdat
.Lfunc_end827:
	.size	_ZN7rocprim17ROCPRIM_400000_NS6detail17trampoline_kernelINS0_14default_configENS1_27scan_by_key_config_selectorIssEEZZNS1_16scan_by_key_implILNS1_25lookback_scan_determinismE0ELb0ES3_N6thrust23THRUST_200600_302600_NS6detail15normal_iteratorINS9_10device_ptrIsEEEESE_SE_sNS9_4plusIsEE19head_flag_predicatesEE10hipError_tPvRmT2_T3_T4_T5_mT6_T7_P12ihipStream_tbENKUlT_T0_E_clISt17integral_constantIbLb0EESY_EEDaST_SU_EUlST_E_NS1_11comp_targetILNS1_3genE10ELNS1_11target_archE1200ELNS1_3gpuE4ELNS1_3repE0EEENS1_30default_config_static_selectorELNS0_4arch9wavefront6targetE1EEEvT1_, .Lfunc_end827-_ZN7rocprim17ROCPRIM_400000_NS6detail17trampoline_kernelINS0_14default_configENS1_27scan_by_key_config_selectorIssEEZZNS1_16scan_by_key_implILNS1_25lookback_scan_determinismE0ELb0ES3_N6thrust23THRUST_200600_302600_NS6detail15normal_iteratorINS9_10device_ptrIsEEEESE_SE_sNS9_4plusIsEE19head_flag_predicatesEE10hipError_tPvRmT2_T3_T4_T5_mT6_T7_P12ihipStream_tbENKUlT_T0_E_clISt17integral_constantIbLb0EESY_EEDaST_SU_EUlST_E_NS1_11comp_targetILNS1_3genE10ELNS1_11target_archE1200ELNS1_3gpuE4ELNS1_3repE0EEENS1_30default_config_static_selectorELNS0_4arch9wavefront6targetE1EEEvT1_
                                        ; -- End function
	.section	.AMDGPU.csdata,"",@progbits
; Kernel info:
; codeLenInByte = 0
; NumSgprs: 6
; NumVgprs: 0
; NumAgprs: 0
; TotalNumVgprs: 0
; ScratchSize: 0
; MemoryBound: 0
; FloatMode: 240
; IeeeMode: 1
; LDSByteSize: 0 bytes/workgroup (compile time only)
; SGPRBlocks: 0
; VGPRBlocks: 0
; NumSGPRsForWavesPerEU: 6
; NumVGPRsForWavesPerEU: 1
; AccumOffset: 4
; Occupancy: 8
; WaveLimiterHint : 0
; COMPUTE_PGM_RSRC2:SCRATCH_EN: 0
; COMPUTE_PGM_RSRC2:USER_SGPR: 2
; COMPUTE_PGM_RSRC2:TRAP_HANDLER: 0
; COMPUTE_PGM_RSRC2:TGID_X_EN: 1
; COMPUTE_PGM_RSRC2:TGID_Y_EN: 0
; COMPUTE_PGM_RSRC2:TGID_Z_EN: 0
; COMPUTE_PGM_RSRC2:TIDIG_COMP_CNT: 0
; COMPUTE_PGM_RSRC3_GFX90A:ACCUM_OFFSET: 0
; COMPUTE_PGM_RSRC3_GFX90A:TG_SPLIT: 0
	.section	.text._ZN7rocprim17ROCPRIM_400000_NS6detail17trampoline_kernelINS0_14default_configENS1_27scan_by_key_config_selectorIssEEZZNS1_16scan_by_key_implILNS1_25lookback_scan_determinismE0ELb0ES3_N6thrust23THRUST_200600_302600_NS6detail15normal_iteratorINS9_10device_ptrIsEEEESE_SE_sNS9_4plusIsEE19head_flag_predicatesEE10hipError_tPvRmT2_T3_T4_T5_mT6_T7_P12ihipStream_tbENKUlT_T0_E_clISt17integral_constantIbLb0EESY_EEDaST_SU_EUlST_E_NS1_11comp_targetILNS1_3genE9ELNS1_11target_archE1100ELNS1_3gpuE3ELNS1_3repE0EEENS1_30default_config_static_selectorELNS0_4arch9wavefront6targetE1EEEvT1_,"axG",@progbits,_ZN7rocprim17ROCPRIM_400000_NS6detail17trampoline_kernelINS0_14default_configENS1_27scan_by_key_config_selectorIssEEZZNS1_16scan_by_key_implILNS1_25lookback_scan_determinismE0ELb0ES3_N6thrust23THRUST_200600_302600_NS6detail15normal_iteratorINS9_10device_ptrIsEEEESE_SE_sNS9_4plusIsEE19head_flag_predicatesEE10hipError_tPvRmT2_T3_T4_T5_mT6_T7_P12ihipStream_tbENKUlT_T0_E_clISt17integral_constantIbLb0EESY_EEDaST_SU_EUlST_E_NS1_11comp_targetILNS1_3genE9ELNS1_11target_archE1100ELNS1_3gpuE3ELNS1_3repE0EEENS1_30default_config_static_selectorELNS0_4arch9wavefront6targetE1EEEvT1_,comdat
	.protected	_ZN7rocprim17ROCPRIM_400000_NS6detail17trampoline_kernelINS0_14default_configENS1_27scan_by_key_config_selectorIssEEZZNS1_16scan_by_key_implILNS1_25lookback_scan_determinismE0ELb0ES3_N6thrust23THRUST_200600_302600_NS6detail15normal_iteratorINS9_10device_ptrIsEEEESE_SE_sNS9_4plusIsEE19head_flag_predicatesEE10hipError_tPvRmT2_T3_T4_T5_mT6_T7_P12ihipStream_tbENKUlT_T0_E_clISt17integral_constantIbLb0EESY_EEDaST_SU_EUlST_E_NS1_11comp_targetILNS1_3genE9ELNS1_11target_archE1100ELNS1_3gpuE3ELNS1_3repE0EEENS1_30default_config_static_selectorELNS0_4arch9wavefront6targetE1EEEvT1_ ; -- Begin function _ZN7rocprim17ROCPRIM_400000_NS6detail17trampoline_kernelINS0_14default_configENS1_27scan_by_key_config_selectorIssEEZZNS1_16scan_by_key_implILNS1_25lookback_scan_determinismE0ELb0ES3_N6thrust23THRUST_200600_302600_NS6detail15normal_iteratorINS9_10device_ptrIsEEEESE_SE_sNS9_4plusIsEE19head_flag_predicatesEE10hipError_tPvRmT2_T3_T4_T5_mT6_T7_P12ihipStream_tbENKUlT_T0_E_clISt17integral_constantIbLb0EESY_EEDaST_SU_EUlST_E_NS1_11comp_targetILNS1_3genE9ELNS1_11target_archE1100ELNS1_3gpuE3ELNS1_3repE0EEENS1_30default_config_static_selectorELNS0_4arch9wavefront6targetE1EEEvT1_
	.globl	_ZN7rocprim17ROCPRIM_400000_NS6detail17trampoline_kernelINS0_14default_configENS1_27scan_by_key_config_selectorIssEEZZNS1_16scan_by_key_implILNS1_25lookback_scan_determinismE0ELb0ES3_N6thrust23THRUST_200600_302600_NS6detail15normal_iteratorINS9_10device_ptrIsEEEESE_SE_sNS9_4plusIsEE19head_flag_predicatesEE10hipError_tPvRmT2_T3_T4_T5_mT6_T7_P12ihipStream_tbENKUlT_T0_E_clISt17integral_constantIbLb0EESY_EEDaST_SU_EUlST_E_NS1_11comp_targetILNS1_3genE9ELNS1_11target_archE1100ELNS1_3gpuE3ELNS1_3repE0EEENS1_30default_config_static_selectorELNS0_4arch9wavefront6targetE1EEEvT1_
	.p2align	8
	.type	_ZN7rocprim17ROCPRIM_400000_NS6detail17trampoline_kernelINS0_14default_configENS1_27scan_by_key_config_selectorIssEEZZNS1_16scan_by_key_implILNS1_25lookback_scan_determinismE0ELb0ES3_N6thrust23THRUST_200600_302600_NS6detail15normal_iteratorINS9_10device_ptrIsEEEESE_SE_sNS9_4plusIsEE19head_flag_predicatesEE10hipError_tPvRmT2_T3_T4_T5_mT6_T7_P12ihipStream_tbENKUlT_T0_E_clISt17integral_constantIbLb0EESY_EEDaST_SU_EUlST_E_NS1_11comp_targetILNS1_3genE9ELNS1_11target_archE1100ELNS1_3gpuE3ELNS1_3repE0EEENS1_30default_config_static_selectorELNS0_4arch9wavefront6targetE1EEEvT1_,@function
_ZN7rocprim17ROCPRIM_400000_NS6detail17trampoline_kernelINS0_14default_configENS1_27scan_by_key_config_selectorIssEEZZNS1_16scan_by_key_implILNS1_25lookback_scan_determinismE0ELb0ES3_N6thrust23THRUST_200600_302600_NS6detail15normal_iteratorINS9_10device_ptrIsEEEESE_SE_sNS9_4plusIsEE19head_flag_predicatesEE10hipError_tPvRmT2_T3_T4_T5_mT6_T7_P12ihipStream_tbENKUlT_T0_E_clISt17integral_constantIbLb0EESY_EEDaST_SU_EUlST_E_NS1_11comp_targetILNS1_3genE9ELNS1_11target_archE1100ELNS1_3gpuE3ELNS1_3repE0EEENS1_30default_config_static_selectorELNS0_4arch9wavefront6targetE1EEEvT1_: ; @_ZN7rocprim17ROCPRIM_400000_NS6detail17trampoline_kernelINS0_14default_configENS1_27scan_by_key_config_selectorIssEEZZNS1_16scan_by_key_implILNS1_25lookback_scan_determinismE0ELb0ES3_N6thrust23THRUST_200600_302600_NS6detail15normal_iteratorINS9_10device_ptrIsEEEESE_SE_sNS9_4plusIsEE19head_flag_predicatesEE10hipError_tPvRmT2_T3_T4_T5_mT6_T7_P12ihipStream_tbENKUlT_T0_E_clISt17integral_constantIbLb0EESY_EEDaST_SU_EUlST_E_NS1_11comp_targetILNS1_3genE9ELNS1_11target_archE1100ELNS1_3gpuE3ELNS1_3repE0EEENS1_30default_config_static_selectorELNS0_4arch9wavefront6targetE1EEEvT1_
; %bb.0:
	.section	.rodata,"a",@progbits
	.p2align	6, 0x0
	.amdhsa_kernel _ZN7rocprim17ROCPRIM_400000_NS6detail17trampoline_kernelINS0_14default_configENS1_27scan_by_key_config_selectorIssEEZZNS1_16scan_by_key_implILNS1_25lookback_scan_determinismE0ELb0ES3_N6thrust23THRUST_200600_302600_NS6detail15normal_iteratorINS9_10device_ptrIsEEEESE_SE_sNS9_4plusIsEE19head_flag_predicatesEE10hipError_tPvRmT2_T3_T4_T5_mT6_T7_P12ihipStream_tbENKUlT_T0_E_clISt17integral_constantIbLb0EESY_EEDaST_SU_EUlST_E_NS1_11comp_targetILNS1_3genE9ELNS1_11target_archE1100ELNS1_3gpuE3ELNS1_3repE0EEENS1_30default_config_static_selectorELNS0_4arch9wavefront6targetE1EEEvT1_
		.amdhsa_group_segment_fixed_size 0
		.amdhsa_private_segment_fixed_size 0
		.amdhsa_kernarg_size 112
		.amdhsa_user_sgpr_count 2
		.amdhsa_user_sgpr_dispatch_ptr 0
		.amdhsa_user_sgpr_queue_ptr 0
		.amdhsa_user_sgpr_kernarg_segment_ptr 1
		.amdhsa_user_sgpr_dispatch_id 0
		.amdhsa_user_sgpr_kernarg_preload_length 0
		.amdhsa_user_sgpr_kernarg_preload_offset 0
		.amdhsa_user_sgpr_private_segment_size 0
		.amdhsa_uses_dynamic_stack 0
		.amdhsa_enable_private_segment 0
		.amdhsa_system_sgpr_workgroup_id_x 1
		.amdhsa_system_sgpr_workgroup_id_y 0
		.amdhsa_system_sgpr_workgroup_id_z 0
		.amdhsa_system_sgpr_workgroup_info 0
		.amdhsa_system_vgpr_workitem_id 0
		.amdhsa_next_free_vgpr 1
		.amdhsa_next_free_sgpr 0
		.amdhsa_accum_offset 4
		.amdhsa_reserve_vcc 0
		.amdhsa_float_round_mode_32 0
		.amdhsa_float_round_mode_16_64 0
		.amdhsa_float_denorm_mode_32 3
		.amdhsa_float_denorm_mode_16_64 3
		.amdhsa_dx10_clamp 1
		.amdhsa_ieee_mode 1
		.amdhsa_fp16_overflow 0
		.amdhsa_tg_split 0
		.amdhsa_exception_fp_ieee_invalid_op 0
		.amdhsa_exception_fp_denorm_src 0
		.amdhsa_exception_fp_ieee_div_zero 0
		.amdhsa_exception_fp_ieee_overflow 0
		.amdhsa_exception_fp_ieee_underflow 0
		.amdhsa_exception_fp_ieee_inexact 0
		.amdhsa_exception_int_div_zero 0
	.end_amdhsa_kernel
	.section	.text._ZN7rocprim17ROCPRIM_400000_NS6detail17trampoline_kernelINS0_14default_configENS1_27scan_by_key_config_selectorIssEEZZNS1_16scan_by_key_implILNS1_25lookback_scan_determinismE0ELb0ES3_N6thrust23THRUST_200600_302600_NS6detail15normal_iteratorINS9_10device_ptrIsEEEESE_SE_sNS9_4plusIsEE19head_flag_predicatesEE10hipError_tPvRmT2_T3_T4_T5_mT6_T7_P12ihipStream_tbENKUlT_T0_E_clISt17integral_constantIbLb0EESY_EEDaST_SU_EUlST_E_NS1_11comp_targetILNS1_3genE9ELNS1_11target_archE1100ELNS1_3gpuE3ELNS1_3repE0EEENS1_30default_config_static_selectorELNS0_4arch9wavefront6targetE1EEEvT1_,"axG",@progbits,_ZN7rocprim17ROCPRIM_400000_NS6detail17trampoline_kernelINS0_14default_configENS1_27scan_by_key_config_selectorIssEEZZNS1_16scan_by_key_implILNS1_25lookback_scan_determinismE0ELb0ES3_N6thrust23THRUST_200600_302600_NS6detail15normal_iteratorINS9_10device_ptrIsEEEESE_SE_sNS9_4plusIsEE19head_flag_predicatesEE10hipError_tPvRmT2_T3_T4_T5_mT6_T7_P12ihipStream_tbENKUlT_T0_E_clISt17integral_constantIbLb0EESY_EEDaST_SU_EUlST_E_NS1_11comp_targetILNS1_3genE9ELNS1_11target_archE1100ELNS1_3gpuE3ELNS1_3repE0EEENS1_30default_config_static_selectorELNS0_4arch9wavefront6targetE1EEEvT1_,comdat
.Lfunc_end828:
	.size	_ZN7rocprim17ROCPRIM_400000_NS6detail17trampoline_kernelINS0_14default_configENS1_27scan_by_key_config_selectorIssEEZZNS1_16scan_by_key_implILNS1_25lookback_scan_determinismE0ELb0ES3_N6thrust23THRUST_200600_302600_NS6detail15normal_iteratorINS9_10device_ptrIsEEEESE_SE_sNS9_4plusIsEE19head_flag_predicatesEE10hipError_tPvRmT2_T3_T4_T5_mT6_T7_P12ihipStream_tbENKUlT_T0_E_clISt17integral_constantIbLb0EESY_EEDaST_SU_EUlST_E_NS1_11comp_targetILNS1_3genE9ELNS1_11target_archE1100ELNS1_3gpuE3ELNS1_3repE0EEENS1_30default_config_static_selectorELNS0_4arch9wavefront6targetE1EEEvT1_, .Lfunc_end828-_ZN7rocprim17ROCPRIM_400000_NS6detail17trampoline_kernelINS0_14default_configENS1_27scan_by_key_config_selectorIssEEZZNS1_16scan_by_key_implILNS1_25lookback_scan_determinismE0ELb0ES3_N6thrust23THRUST_200600_302600_NS6detail15normal_iteratorINS9_10device_ptrIsEEEESE_SE_sNS9_4plusIsEE19head_flag_predicatesEE10hipError_tPvRmT2_T3_T4_T5_mT6_T7_P12ihipStream_tbENKUlT_T0_E_clISt17integral_constantIbLb0EESY_EEDaST_SU_EUlST_E_NS1_11comp_targetILNS1_3genE9ELNS1_11target_archE1100ELNS1_3gpuE3ELNS1_3repE0EEENS1_30default_config_static_selectorELNS0_4arch9wavefront6targetE1EEEvT1_
                                        ; -- End function
	.section	.AMDGPU.csdata,"",@progbits
; Kernel info:
; codeLenInByte = 0
; NumSgprs: 6
; NumVgprs: 0
; NumAgprs: 0
; TotalNumVgprs: 0
; ScratchSize: 0
; MemoryBound: 0
; FloatMode: 240
; IeeeMode: 1
; LDSByteSize: 0 bytes/workgroup (compile time only)
; SGPRBlocks: 0
; VGPRBlocks: 0
; NumSGPRsForWavesPerEU: 6
; NumVGPRsForWavesPerEU: 1
; AccumOffset: 4
; Occupancy: 8
; WaveLimiterHint : 0
; COMPUTE_PGM_RSRC2:SCRATCH_EN: 0
; COMPUTE_PGM_RSRC2:USER_SGPR: 2
; COMPUTE_PGM_RSRC2:TRAP_HANDLER: 0
; COMPUTE_PGM_RSRC2:TGID_X_EN: 1
; COMPUTE_PGM_RSRC2:TGID_Y_EN: 0
; COMPUTE_PGM_RSRC2:TGID_Z_EN: 0
; COMPUTE_PGM_RSRC2:TIDIG_COMP_CNT: 0
; COMPUTE_PGM_RSRC3_GFX90A:ACCUM_OFFSET: 0
; COMPUTE_PGM_RSRC3_GFX90A:TG_SPLIT: 0
	.section	.text._ZN7rocprim17ROCPRIM_400000_NS6detail17trampoline_kernelINS0_14default_configENS1_27scan_by_key_config_selectorIssEEZZNS1_16scan_by_key_implILNS1_25lookback_scan_determinismE0ELb0ES3_N6thrust23THRUST_200600_302600_NS6detail15normal_iteratorINS9_10device_ptrIsEEEESE_SE_sNS9_4plusIsEE19head_flag_predicatesEE10hipError_tPvRmT2_T3_T4_T5_mT6_T7_P12ihipStream_tbENKUlT_T0_E_clISt17integral_constantIbLb0EESY_EEDaST_SU_EUlST_E_NS1_11comp_targetILNS1_3genE8ELNS1_11target_archE1030ELNS1_3gpuE2ELNS1_3repE0EEENS1_30default_config_static_selectorELNS0_4arch9wavefront6targetE1EEEvT1_,"axG",@progbits,_ZN7rocprim17ROCPRIM_400000_NS6detail17trampoline_kernelINS0_14default_configENS1_27scan_by_key_config_selectorIssEEZZNS1_16scan_by_key_implILNS1_25lookback_scan_determinismE0ELb0ES3_N6thrust23THRUST_200600_302600_NS6detail15normal_iteratorINS9_10device_ptrIsEEEESE_SE_sNS9_4plusIsEE19head_flag_predicatesEE10hipError_tPvRmT2_T3_T4_T5_mT6_T7_P12ihipStream_tbENKUlT_T0_E_clISt17integral_constantIbLb0EESY_EEDaST_SU_EUlST_E_NS1_11comp_targetILNS1_3genE8ELNS1_11target_archE1030ELNS1_3gpuE2ELNS1_3repE0EEENS1_30default_config_static_selectorELNS0_4arch9wavefront6targetE1EEEvT1_,comdat
	.protected	_ZN7rocprim17ROCPRIM_400000_NS6detail17trampoline_kernelINS0_14default_configENS1_27scan_by_key_config_selectorIssEEZZNS1_16scan_by_key_implILNS1_25lookback_scan_determinismE0ELb0ES3_N6thrust23THRUST_200600_302600_NS6detail15normal_iteratorINS9_10device_ptrIsEEEESE_SE_sNS9_4plusIsEE19head_flag_predicatesEE10hipError_tPvRmT2_T3_T4_T5_mT6_T7_P12ihipStream_tbENKUlT_T0_E_clISt17integral_constantIbLb0EESY_EEDaST_SU_EUlST_E_NS1_11comp_targetILNS1_3genE8ELNS1_11target_archE1030ELNS1_3gpuE2ELNS1_3repE0EEENS1_30default_config_static_selectorELNS0_4arch9wavefront6targetE1EEEvT1_ ; -- Begin function _ZN7rocprim17ROCPRIM_400000_NS6detail17trampoline_kernelINS0_14default_configENS1_27scan_by_key_config_selectorIssEEZZNS1_16scan_by_key_implILNS1_25lookback_scan_determinismE0ELb0ES3_N6thrust23THRUST_200600_302600_NS6detail15normal_iteratorINS9_10device_ptrIsEEEESE_SE_sNS9_4plusIsEE19head_flag_predicatesEE10hipError_tPvRmT2_T3_T4_T5_mT6_T7_P12ihipStream_tbENKUlT_T0_E_clISt17integral_constantIbLb0EESY_EEDaST_SU_EUlST_E_NS1_11comp_targetILNS1_3genE8ELNS1_11target_archE1030ELNS1_3gpuE2ELNS1_3repE0EEENS1_30default_config_static_selectorELNS0_4arch9wavefront6targetE1EEEvT1_
	.globl	_ZN7rocprim17ROCPRIM_400000_NS6detail17trampoline_kernelINS0_14default_configENS1_27scan_by_key_config_selectorIssEEZZNS1_16scan_by_key_implILNS1_25lookback_scan_determinismE0ELb0ES3_N6thrust23THRUST_200600_302600_NS6detail15normal_iteratorINS9_10device_ptrIsEEEESE_SE_sNS9_4plusIsEE19head_flag_predicatesEE10hipError_tPvRmT2_T3_T4_T5_mT6_T7_P12ihipStream_tbENKUlT_T0_E_clISt17integral_constantIbLb0EESY_EEDaST_SU_EUlST_E_NS1_11comp_targetILNS1_3genE8ELNS1_11target_archE1030ELNS1_3gpuE2ELNS1_3repE0EEENS1_30default_config_static_selectorELNS0_4arch9wavefront6targetE1EEEvT1_
	.p2align	8
	.type	_ZN7rocprim17ROCPRIM_400000_NS6detail17trampoline_kernelINS0_14default_configENS1_27scan_by_key_config_selectorIssEEZZNS1_16scan_by_key_implILNS1_25lookback_scan_determinismE0ELb0ES3_N6thrust23THRUST_200600_302600_NS6detail15normal_iteratorINS9_10device_ptrIsEEEESE_SE_sNS9_4plusIsEE19head_flag_predicatesEE10hipError_tPvRmT2_T3_T4_T5_mT6_T7_P12ihipStream_tbENKUlT_T0_E_clISt17integral_constantIbLb0EESY_EEDaST_SU_EUlST_E_NS1_11comp_targetILNS1_3genE8ELNS1_11target_archE1030ELNS1_3gpuE2ELNS1_3repE0EEENS1_30default_config_static_selectorELNS0_4arch9wavefront6targetE1EEEvT1_,@function
_ZN7rocprim17ROCPRIM_400000_NS6detail17trampoline_kernelINS0_14default_configENS1_27scan_by_key_config_selectorIssEEZZNS1_16scan_by_key_implILNS1_25lookback_scan_determinismE0ELb0ES3_N6thrust23THRUST_200600_302600_NS6detail15normal_iteratorINS9_10device_ptrIsEEEESE_SE_sNS9_4plusIsEE19head_flag_predicatesEE10hipError_tPvRmT2_T3_T4_T5_mT6_T7_P12ihipStream_tbENKUlT_T0_E_clISt17integral_constantIbLb0EESY_EEDaST_SU_EUlST_E_NS1_11comp_targetILNS1_3genE8ELNS1_11target_archE1030ELNS1_3gpuE2ELNS1_3repE0EEENS1_30default_config_static_selectorELNS0_4arch9wavefront6targetE1EEEvT1_: ; @_ZN7rocprim17ROCPRIM_400000_NS6detail17trampoline_kernelINS0_14default_configENS1_27scan_by_key_config_selectorIssEEZZNS1_16scan_by_key_implILNS1_25lookback_scan_determinismE0ELb0ES3_N6thrust23THRUST_200600_302600_NS6detail15normal_iteratorINS9_10device_ptrIsEEEESE_SE_sNS9_4plusIsEE19head_flag_predicatesEE10hipError_tPvRmT2_T3_T4_T5_mT6_T7_P12ihipStream_tbENKUlT_T0_E_clISt17integral_constantIbLb0EESY_EEDaST_SU_EUlST_E_NS1_11comp_targetILNS1_3genE8ELNS1_11target_archE1030ELNS1_3gpuE2ELNS1_3repE0EEENS1_30default_config_static_selectorELNS0_4arch9wavefront6targetE1EEEvT1_
; %bb.0:
	.section	.rodata,"a",@progbits
	.p2align	6, 0x0
	.amdhsa_kernel _ZN7rocprim17ROCPRIM_400000_NS6detail17trampoline_kernelINS0_14default_configENS1_27scan_by_key_config_selectorIssEEZZNS1_16scan_by_key_implILNS1_25lookback_scan_determinismE0ELb0ES3_N6thrust23THRUST_200600_302600_NS6detail15normal_iteratorINS9_10device_ptrIsEEEESE_SE_sNS9_4plusIsEE19head_flag_predicatesEE10hipError_tPvRmT2_T3_T4_T5_mT6_T7_P12ihipStream_tbENKUlT_T0_E_clISt17integral_constantIbLb0EESY_EEDaST_SU_EUlST_E_NS1_11comp_targetILNS1_3genE8ELNS1_11target_archE1030ELNS1_3gpuE2ELNS1_3repE0EEENS1_30default_config_static_selectorELNS0_4arch9wavefront6targetE1EEEvT1_
		.amdhsa_group_segment_fixed_size 0
		.amdhsa_private_segment_fixed_size 0
		.amdhsa_kernarg_size 112
		.amdhsa_user_sgpr_count 2
		.amdhsa_user_sgpr_dispatch_ptr 0
		.amdhsa_user_sgpr_queue_ptr 0
		.amdhsa_user_sgpr_kernarg_segment_ptr 1
		.amdhsa_user_sgpr_dispatch_id 0
		.amdhsa_user_sgpr_kernarg_preload_length 0
		.amdhsa_user_sgpr_kernarg_preload_offset 0
		.amdhsa_user_sgpr_private_segment_size 0
		.amdhsa_uses_dynamic_stack 0
		.amdhsa_enable_private_segment 0
		.amdhsa_system_sgpr_workgroup_id_x 1
		.amdhsa_system_sgpr_workgroup_id_y 0
		.amdhsa_system_sgpr_workgroup_id_z 0
		.amdhsa_system_sgpr_workgroup_info 0
		.amdhsa_system_vgpr_workitem_id 0
		.amdhsa_next_free_vgpr 1
		.amdhsa_next_free_sgpr 0
		.amdhsa_accum_offset 4
		.amdhsa_reserve_vcc 0
		.amdhsa_float_round_mode_32 0
		.amdhsa_float_round_mode_16_64 0
		.amdhsa_float_denorm_mode_32 3
		.amdhsa_float_denorm_mode_16_64 3
		.amdhsa_dx10_clamp 1
		.amdhsa_ieee_mode 1
		.amdhsa_fp16_overflow 0
		.amdhsa_tg_split 0
		.amdhsa_exception_fp_ieee_invalid_op 0
		.amdhsa_exception_fp_denorm_src 0
		.amdhsa_exception_fp_ieee_div_zero 0
		.amdhsa_exception_fp_ieee_overflow 0
		.amdhsa_exception_fp_ieee_underflow 0
		.amdhsa_exception_fp_ieee_inexact 0
		.amdhsa_exception_int_div_zero 0
	.end_amdhsa_kernel
	.section	.text._ZN7rocprim17ROCPRIM_400000_NS6detail17trampoline_kernelINS0_14default_configENS1_27scan_by_key_config_selectorIssEEZZNS1_16scan_by_key_implILNS1_25lookback_scan_determinismE0ELb0ES3_N6thrust23THRUST_200600_302600_NS6detail15normal_iteratorINS9_10device_ptrIsEEEESE_SE_sNS9_4plusIsEE19head_flag_predicatesEE10hipError_tPvRmT2_T3_T4_T5_mT6_T7_P12ihipStream_tbENKUlT_T0_E_clISt17integral_constantIbLb0EESY_EEDaST_SU_EUlST_E_NS1_11comp_targetILNS1_3genE8ELNS1_11target_archE1030ELNS1_3gpuE2ELNS1_3repE0EEENS1_30default_config_static_selectorELNS0_4arch9wavefront6targetE1EEEvT1_,"axG",@progbits,_ZN7rocprim17ROCPRIM_400000_NS6detail17trampoline_kernelINS0_14default_configENS1_27scan_by_key_config_selectorIssEEZZNS1_16scan_by_key_implILNS1_25lookback_scan_determinismE0ELb0ES3_N6thrust23THRUST_200600_302600_NS6detail15normal_iteratorINS9_10device_ptrIsEEEESE_SE_sNS9_4plusIsEE19head_flag_predicatesEE10hipError_tPvRmT2_T3_T4_T5_mT6_T7_P12ihipStream_tbENKUlT_T0_E_clISt17integral_constantIbLb0EESY_EEDaST_SU_EUlST_E_NS1_11comp_targetILNS1_3genE8ELNS1_11target_archE1030ELNS1_3gpuE2ELNS1_3repE0EEENS1_30default_config_static_selectorELNS0_4arch9wavefront6targetE1EEEvT1_,comdat
.Lfunc_end829:
	.size	_ZN7rocprim17ROCPRIM_400000_NS6detail17trampoline_kernelINS0_14default_configENS1_27scan_by_key_config_selectorIssEEZZNS1_16scan_by_key_implILNS1_25lookback_scan_determinismE0ELb0ES3_N6thrust23THRUST_200600_302600_NS6detail15normal_iteratorINS9_10device_ptrIsEEEESE_SE_sNS9_4plusIsEE19head_flag_predicatesEE10hipError_tPvRmT2_T3_T4_T5_mT6_T7_P12ihipStream_tbENKUlT_T0_E_clISt17integral_constantIbLb0EESY_EEDaST_SU_EUlST_E_NS1_11comp_targetILNS1_3genE8ELNS1_11target_archE1030ELNS1_3gpuE2ELNS1_3repE0EEENS1_30default_config_static_selectorELNS0_4arch9wavefront6targetE1EEEvT1_, .Lfunc_end829-_ZN7rocprim17ROCPRIM_400000_NS6detail17trampoline_kernelINS0_14default_configENS1_27scan_by_key_config_selectorIssEEZZNS1_16scan_by_key_implILNS1_25lookback_scan_determinismE0ELb0ES3_N6thrust23THRUST_200600_302600_NS6detail15normal_iteratorINS9_10device_ptrIsEEEESE_SE_sNS9_4plusIsEE19head_flag_predicatesEE10hipError_tPvRmT2_T3_T4_T5_mT6_T7_P12ihipStream_tbENKUlT_T0_E_clISt17integral_constantIbLb0EESY_EEDaST_SU_EUlST_E_NS1_11comp_targetILNS1_3genE8ELNS1_11target_archE1030ELNS1_3gpuE2ELNS1_3repE0EEENS1_30default_config_static_selectorELNS0_4arch9wavefront6targetE1EEEvT1_
                                        ; -- End function
	.section	.AMDGPU.csdata,"",@progbits
; Kernel info:
; codeLenInByte = 0
; NumSgprs: 6
; NumVgprs: 0
; NumAgprs: 0
; TotalNumVgprs: 0
; ScratchSize: 0
; MemoryBound: 0
; FloatMode: 240
; IeeeMode: 1
; LDSByteSize: 0 bytes/workgroup (compile time only)
; SGPRBlocks: 0
; VGPRBlocks: 0
; NumSGPRsForWavesPerEU: 6
; NumVGPRsForWavesPerEU: 1
; AccumOffset: 4
; Occupancy: 8
; WaveLimiterHint : 0
; COMPUTE_PGM_RSRC2:SCRATCH_EN: 0
; COMPUTE_PGM_RSRC2:USER_SGPR: 2
; COMPUTE_PGM_RSRC2:TRAP_HANDLER: 0
; COMPUTE_PGM_RSRC2:TGID_X_EN: 1
; COMPUTE_PGM_RSRC2:TGID_Y_EN: 0
; COMPUTE_PGM_RSRC2:TGID_Z_EN: 0
; COMPUTE_PGM_RSRC2:TIDIG_COMP_CNT: 0
; COMPUTE_PGM_RSRC3_GFX90A:ACCUM_OFFSET: 0
; COMPUTE_PGM_RSRC3_GFX90A:TG_SPLIT: 0
	.section	.text._ZN7rocprim17ROCPRIM_400000_NS6detail17trampoline_kernelINS0_14default_configENS1_27scan_by_key_config_selectorIssEEZZNS1_16scan_by_key_implILNS1_25lookback_scan_determinismE0ELb0ES3_N6thrust23THRUST_200600_302600_NS6detail15normal_iteratorINS9_10device_ptrIsEEEESE_SE_sNS9_4plusIsEE19head_flag_predicatesEE10hipError_tPvRmT2_T3_T4_T5_mT6_T7_P12ihipStream_tbENKUlT_T0_E_clISt17integral_constantIbLb1EESY_EEDaST_SU_EUlST_E_NS1_11comp_targetILNS1_3genE0ELNS1_11target_archE4294967295ELNS1_3gpuE0ELNS1_3repE0EEENS1_30default_config_static_selectorELNS0_4arch9wavefront6targetE1EEEvT1_,"axG",@progbits,_ZN7rocprim17ROCPRIM_400000_NS6detail17trampoline_kernelINS0_14default_configENS1_27scan_by_key_config_selectorIssEEZZNS1_16scan_by_key_implILNS1_25lookback_scan_determinismE0ELb0ES3_N6thrust23THRUST_200600_302600_NS6detail15normal_iteratorINS9_10device_ptrIsEEEESE_SE_sNS9_4plusIsEE19head_flag_predicatesEE10hipError_tPvRmT2_T3_T4_T5_mT6_T7_P12ihipStream_tbENKUlT_T0_E_clISt17integral_constantIbLb1EESY_EEDaST_SU_EUlST_E_NS1_11comp_targetILNS1_3genE0ELNS1_11target_archE4294967295ELNS1_3gpuE0ELNS1_3repE0EEENS1_30default_config_static_selectorELNS0_4arch9wavefront6targetE1EEEvT1_,comdat
	.protected	_ZN7rocprim17ROCPRIM_400000_NS6detail17trampoline_kernelINS0_14default_configENS1_27scan_by_key_config_selectorIssEEZZNS1_16scan_by_key_implILNS1_25lookback_scan_determinismE0ELb0ES3_N6thrust23THRUST_200600_302600_NS6detail15normal_iteratorINS9_10device_ptrIsEEEESE_SE_sNS9_4plusIsEE19head_flag_predicatesEE10hipError_tPvRmT2_T3_T4_T5_mT6_T7_P12ihipStream_tbENKUlT_T0_E_clISt17integral_constantIbLb1EESY_EEDaST_SU_EUlST_E_NS1_11comp_targetILNS1_3genE0ELNS1_11target_archE4294967295ELNS1_3gpuE0ELNS1_3repE0EEENS1_30default_config_static_selectorELNS0_4arch9wavefront6targetE1EEEvT1_ ; -- Begin function _ZN7rocprim17ROCPRIM_400000_NS6detail17trampoline_kernelINS0_14default_configENS1_27scan_by_key_config_selectorIssEEZZNS1_16scan_by_key_implILNS1_25lookback_scan_determinismE0ELb0ES3_N6thrust23THRUST_200600_302600_NS6detail15normal_iteratorINS9_10device_ptrIsEEEESE_SE_sNS9_4plusIsEE19head_flag_predicatesEE10hipError_tPvRmT2_T3_T4_T5_mT6_T7_P12ihipStream_tbENKUlT_T0_E_clISt17integral_constantIbLb1EESY_EEDaST_SU_EUlST_E_NS1_11comp_targetILNS1_3genE0ELNS1_11target_archE4294967295ELNS1_3gpuE0ELNS1_3repE0EEENS1_30default_config_static_selectorELNS0_4arch9wavefront6targetE1EEEvT1_
	.globl	_ZN7rocprim17ROCPRIM_400000_NS6detail17trampoline_kernelINS0_14default_configENS1_27scan_by_key_config_selectorIssEEZZNS1_16scan_by_key_implILNS1_25lookback_scan_determinismE0ELb0ES3_N6thrust23THRUST_200600_302600_NS6detail15normal_iteratorINS9_10device_ptrIsEEEESE_SE_sNS9_4plusIsEE19head_flag_predicatesEE10hipError_tPvRmT2_T3_T4_T5_mT6_T7_P12ihipStream_tbENKUlT_T0_E_clISt17integral_constantIbLb1EESY_EEDaST_SU_EUlST_E_NS1_11comp_targetILNS1_3genE0ELNS1_11target_archE4294967295ELNS1_3gpuE0ELNS1_3repE0EEENS1_30default_config_static_selectorELNS0_4arch9wavefront6targetE1EEEvT1_
	.p2align	8
	.type	_ZN7rocprim17ROCPRIM_400000_NS6detail17trampoline_kernelINS0_14default_configENS1_27scan_by_key_config_selectorIssEEZZNS1_16scan_by_key_implILNS1_25lookback_scan_determinismE0ELb0ES3_N6thrust23THRUST_200600_302600_NS6detail15normal_iteratorINS9_10device_ptrIsEEEESE_SE_sNS9_4plusIsEE19head_flag_predicatesEE10hipError_tPvRmT2_T3_T4_T5_mT6_T7_P12ihipStream_tbENKUlT_T0_E_clISt17integral_constantIbLb1EESY_EEDaST_SU_EUlST_E_NS1_11comp_targetILNS1_3genE0ELNS1_11target_archE4294967295ELNS1_3gpuE0ELNS1_3repE0EEENS1_30default_config_static_selectorELNS0_4arch9wavefront6targetE1EEEvT1_,@function
_ZN7rocprim17ROCPRIM_400000_NS6detail17trampoline_kernelINS0_14default_configENS1_27scan_by_key_config_selectorIssEEZZNS1_16scan_by_key_implILNS1_25lookback_scan_determinismE0ELb0ES3_N6thrust23THRUST_200600_302600_NS6detail15normal_iteratorINS9_10device_ptrIsEEEESE_SE_sNS9_4plusIsEE19head_flag_predicatesEE10hipError_tPvRmT2_T3_T4_T5_mT6_T7_P12ihipStream_tbENKUlT_T0_E_clISt17integral_constantIbLb1EESY_EEDaST_SU_EUlST_E_NS1_11comp_targetILNS1_3genE0ELNS1_11target_archE4294967295ELNS1_3gpuE0ELNS1_3repE0EEENS1_30default_config_static_selectorELNS0_4arch9wavefront6targetE1EEEvT1_: ; @_ZN7rocprim17ROCPRIM_400000_NS6detail17trampoline_kernelINS0_14default_configENS1_27scan_by_key_config_selectorIssEEZZNS1_16scan_by_key_implILNS1_25lookback_scan_determinismE0ELb0ES3_N6thrust23THRUST_200600_302600_NS6detail15normal_iteratorINS9_10device_ptrIsEEEESE_SE_sNS9_4plusIsEE19head_flag_predicatesEE10hipError_tPvRmT2_T3_T4_T5_mT6_T7_P12ihipStream_tbENKUlT_T0_E_clISt17integral_constantIbLb1EESY_EEDaST_SU_EUlST_E_NS1_11comp_targetILNS1_3genE0ELNS1_11target_archE4294967295ELNS1_3gpuE0ELNS1_3repE0EEENS1_30default_config_static_selectorELNS0_4arch9wavefront6targetE1EEEvT1_
; %bb.0:
	.section	.rodata,"a",@progbits
	.p2align	6, 0x0
	.amdhsa_kernel _ZN7rocprim17ROCPRIM_400000_NS6detail17trampoline_kernelINS0_14default_configENS1_27scan_by_key_config_selectorIssEEZZNS1_16scan_by_key_implILNS1_25lookback_scan_determinismE0ELb0ES3_N6thrust23THRUST_200600_302600_NS6detail15normal_iteratorINS9_10device_ptrIsEEEESE_SE_sNS9_4plusIsEE19head_flag_predicatesEE10hipError_tPvRmT2_T3_T4_T5_mT6_T7_P12ihipStream_tbENKUlT_T0_E_clISt17integral_constantIbLb1EESY_EEDaST_SU_EUlST_E_NS1_11comp_targetILNS1_3genE0ELNS1_11target_archE4294967295ELNS1_3gpuE0ELNS1_3repE0EEENS1_30default_config_static_selectorELNS0_4arch9wavefront6targetE1EEEvT1_
		.amdhsa_group_segment_fixed_size 0
		.amdhsa_private_segment_fixed_size 0
		.amdhsa_kernarg_size 112
		.amdhsa_user_sgpr_count 2
		.amdhsa_user_sgpr_dispatch_ptr 0
		.amdhsa_user_sgpr_queue_ptr 0
		.amdhsa_user_sgpr_kernarg_segment_ptr 1
		.amdhsa_user_sgpr_dispatch_id 0
		.amdhsa_user_sgpr_kernarg_preload_length 0
		.amdhsa_user_sgpr_kernarg_preload_offset 0
		.amdhsa_user_sgpr_private_segment_size 0
		.amdhsa_uses_dynamic_stack 0
		.amdhsa_enable_private_segment 0
		.amdhsa_system_sgpr_workgroup_id_x 1
		.amdhsa_system_sgpr_workgroup_id_y 0
		.amdhsa_system_sgpr_workgroup_id_z 0
		.amdhsa_system_sgpr_workgroup_info 0
		.amdhsa_system_vgpr_workitem_id 0
		.amdhsa_next_free_vgpr 1
		.amdhsa_next_free_sgpr 0
		.amdhsa_accum_offset 4
		.amdhsa_reserve_vcc 0
		.amdhsa_float_round_mode_32 0
		.amdhsa_float_round_mode_16_64 0
		.amdhsa_float_denorm_mode_32 3
		.amdhsa_float_denorm_mode_16_64 3
		.amdhsa_dx10_clamp 1
		.amdhsa_ieee_mode 1
		.amdhsa_fp16_overflow 0
		.amdhsa_tg_split 0
		.amdhsa_exception_fp_ieee_invalid_op 0
		.amdhsa_exception_fp_denorm_src 0
		.amdhsa_exception_fp_ieee_div_zero 0
		.amdhsa_exception_fp_ieee_overflow 0
		.amdhsa_exception_fp_ieee_underflow 0
		.amdhsa_exception_fp_ieee_inexact 0
		.amdhsa_exception_int_div_zero 0
	.end_amdhsa_kernel
	.section	.text._ZN7rocprim17ROCPRIM_400000_NS6detail17trampoline_kernelINS0_14default_configENS1_27scan_by_key_config_selectorIssEEZZNS1_16scan_by_key_implILNS1_25lookback_scan_determinismE0ELb0ES3_N6thrust23THRUST_200600_302600_NS6detail15normal_iteratorINS9_10device_ptrIsEEEESE_SE_sNS9_4plusIsEE19head_flag_predicatesEE10hipError_tPvRmT2_T3_T4_T5_mT6_T7_P12ihipStream_tbENKUlT_T0_E_clISt17integral_constantIbLb1EESY_EEDaST_SU_EUlST_E_NS1_11comp_targetILNS1_3genE0ELNS1_11target_archE4294967295ELNS1_3gpuE0ELNS1_3repE0EEENS1_30default_config_static_selectorELNS0_4arch9wavefront6targetE1EEEvT1_,"axG",@progbits,_ZN7rocprim17ROCPRIM_400000_NS6detail17trampoline_kernelINS0_14default_configENS1_27scan_by_key_config_selectorIssEEZZNS1_16scan_by_key_implILNS1_25lookback_scan_determinismE0ELb0ES3_N6thrust23THRUST_200600_302600_NS6detail15normal_iteratorINS9_10device_ptrIsEEEESE_SE_sNS9_4plusIsEE19head_flag_predicatesEE10hipError_tPvRmT2_T3_T4_T5_mT6_T7_P12ihipStream_tbENKUlT_T0_E_clISt17integral_constantIbLb1EESY_EEDaST_SU_EUlST_E_NS1_11comp_targetILNS1_3genE0ELNS1_11target_archE4294967295ELNS1_3gpuE0ELNS1_3repE0EEENS1_30default_config_static_selectorELNS0_4arch9wavefront6targetE1EEEvT1_,comdat
.Lfunc_end830:
	.size	_ZN7rocprim17ROCPRIM_400000_NS6detail17trampoline_kernelINS0_14default_configENS1_27scan_by_key_config_selectorIssEEZZNS1_16scan_by_key_implILNS1_25lookback_scan_determinismE0ELb0ES3_N6thrust23THRUST_200600_302600_NS6detail15normal_iteratorINS9_10device_ptrIsEEEESE_SE_sNS9_4plusIsEE19head_flag_predicatesEE10hipError_tPvRmT2_T3_T4_T5_mT6_T7_P12ihipStream_tbENKUlT_T0_E_clISt17integral_constantIbLb1EESY_EEDaST_SU_EUlST_E_NS1_11comp_targetILNS1_3genE0ELNS1_11target_archE4294967295ELNS1_3gpuE0ELNS1_3repE0EEENS1_30default_config_static_selectorELNS0_4arch9wavefront6targetE1EEEvT1_, .Lfunc_end830-_ZN7rocprim17ROCPRIM_400000_NS6detail17trampoline_kernelINS0_14default_configENS1_27scan_by_key_config_selectorIssEEZZNS1_16scan_by_key_implILNS1_25lookback_scan_determinismE0ELb0ES3_N6thrust23THRUST_200600_302600_NS6detail15normal_iteratorINS9_10device_ptrIsEEEESE_SE_sNS9_4plusIsEE19head_flag_predicatesEE10hipError_tPvRmT2_T3_T4_T5_mT6_T7_P12ihipStream_tbENKUlT_T0_E_clISt17integral_constantIbLb1EESY_EEDaST_SU_EUlST_E_NS1_11comp_targetILNS1_3genE0ELNS1_11target_archE4294967295ELNS1_3gpuE0ELNS1_3repE0EEENS1_30default_config_static_selectorELNS0_4arch9wavefront6targetE1EEEvT1_
                                        ; -- End function
	.section	.AMDGPU.csdata,"",@progbits
; Kernel info:
; codeLenInByte = 0
; NumSgprs: 6
; NumVgprs: 0
; NumAgprs: 0
; TotalNumVgprs: 0
; ScratchSize: 0
; MemoryBound: 0
; FloatMode: 240
; IeeeMode: 1
; LDSByteSize: 0 bytes/workgroup (compile time only)
; SGPRBlocks: 0
; VGPRBlocks: 0
; NumSGPRsForWavesPerEU: 6
; NumVGPRsForWavesPerEU: 1
; AccumOffset: 4
; Occupancy: 8
; WaveLimiterHint : 0
; COMPUTE_PGM_RSRC2:SCRATCH_EN: 0
; COMPUTE_PGM_RSRC2:USER_SGPR: 2
; COMPUTE_PGM_RSRC2:TRAP_HANDLER: 0
; COMPUTE_PGM_RSRC2:TGID_X_EN: 1
; COMPUTE_PGM_RSRC2:TGID_Y_EN: 0
; COMPUTE_PGM_RSRC2:TGID_Z_EN: 0
; COMPUTE_PGM_RSRC2:TIDIG_COMP_CNT: 0
; COMPUTE_PGM_RSRC3_GFX90A:ACCUM_OFFSET: 0
; COMPUTE_PGM_RSRC3_GFX90A:TG_SPLIT: 0
	.section	.text._ZN7rocprim17ROCPRIM_400000_NS6detail17trampoline_kernelINS0_14default_configENS1_27scan_by_key_config_selectorIssEEZZNS1_16scan_by_key_implILNS1_25lookback_scan_determinismE0ELb0ES3_N6thrust23THRUST_200600_302600_NS6detail15normal_iteratorINS9_10device_ptrIsEEEESE_SE_sNS9_4plusIsEE19head_flag_predicatesEE10hipError_tPvRmT2_T3_T4_T5_mT6_T7_P12ihipStream_tbENKUlT_T0_E_clISt17integral_constantIbLb1EESY_EEDaST_SU_EUlST_E_NS1_11comp_targetILNS1_3genE10ELNS1_11target_archE1201ELNS1_3gpuE5ELNS1_3repE0EEENS1_30default_config_static_selectorELNS0_4arch9wavefront6targetE1EEEvT1_,"axG",@progbits,_ZN7rocprim17ROCPRIM_400000_NS6detail17trampoline_kernelINS0_14default_configENS1_27scan_by_key_config_selectorIssEEZZNS1_16scan_by_key_implILNS1_25lookback_scan_determinismE0ELb0ES3_N6thrust23THRUST_200600_302600_NS6detail15normal_iteratorINS9_10device_ptrIsEEEESE_SE_sNS9_4plusIsEE19head_flag_predicatesEE10hipError_tPvRmT2_T3_T4_T5_mT6_T7_P12ihipStream_tbENKUlT_T0_E_clISt17integral_constantIbLb1EESY_EEDaST_SU_EUlST_E_NS1_11comp_targetILNS1_3genE10ELNS1_11target_archE1201ELNS1_3gpuE5ELNS1_3repE0EEENS1_30default_config_static_selectorELNS0_4arch9wavefront6targetE1EEEvT1_,comdat
	.protected	_ZN7rocprim17ROCPRIM_400000_NS6detail17trampoline_kernelINS0_14default_configENS1_27scan_by_key_config_selectorIssEEZZNS1_16scan_by_key_implILNS1_25lookback_scan_determinismE0ELb0ES3_N6thrust23THRUST_200600_302600_NS6detail15normal_iteratorINS9_10device_ptrIsEEEESE_SE_sNS9_4plusIsEE19head_flag_predicatesEE10hipError_tPvRmT2_T3_T4_T5_mT6_T7_P12ihipStream_tbENKUlT_T0_E_clISt17integral_constantIbLb1EESY_EEDaST_SU_EUlST_E_NS1_11comp_targetILNS1_3genE10ELNS1_11target_archE1201ELNS1_3gpuE5ELNS1_3repE0EEENS1_30default_config_static_selectorELNS0_4arch9wavefront6targetE1EEEvT1_ ; -- Begin function _ZN7rocprim17ROCPRIM_400000_NS6detail17trampoline_kernelINS0_14default_configENS1_27scan_by_key_config_selectorIssEEZZNS1_16scan_by_key_implILNS1_25lookback_scan_determinismE0ELb0ES3_N6thrust23THRUST_200600_302600_NS6detail15normal_iteratorINS9_10device_ptrIsEEEESE_SE_sNS9_4plusIsEE19head_flag_predicatesEE10hipError_tPvRmT2_T3_T4_T5_mT6_T7_P12ihipStream_tbENKUlT_T0_E_clISt17integral_constantIbLb1EESY_EEDaST_SU_EUlST_E_NS1_11comp_targetILNS1_3genE10ELNS1_11target_archE1201ELNS1_3gpuE5ELNS1_3repE0EEENS1_30default_config_static_selectorELNS0_4arch9wavefront6targetE1EEEvT1_
	.globl	_ZN7rocprim17ROCPRIM_400000_NS6detail17trampoline_kernelINS0_14default_configENS1_27scan_by_key_config_selectorIssEEZZNS1_16scan_by_key_implILNS1_25lookback_scan_determinismE0ELb0ES3_N6thrust23THRUST_200600_302600_NS6detail15normal_iteratorINS9_10device_ptrIsEEEESE_SE_sNS9_4plusIsEE19head_flag_predicatesEE10hipError_tPvRmT2_T3_T4_T5_mT6_T7_P12ihipStream_tbENKUlT_T0_E_clISt17integral_constantIbLb1EESY_EEDaST_SU_EUlST_E_NS1_11comp_targetILNS1_3genE10ELNS1_11target_archE1201ELNS1_3gpuE5ELNS1_3repE0EEENS1_30default_config_static_selectorELNS0_4arch9wavefront6targetE1EEEvT1_
	.p2align	8
	.type	_ZN7rocprim17ROCPRIM_400000_NS6detail17trampoline_kernelINS0_14default_configENS1_27scan_by_key_config_selectorIssEEZZNS1_16scan_by_key_implILNS1_25lookback_scan_determinismE0ELb0ES3_N6thrust23THRUST_200600_302600_NS6detail15normal_iteratorINS9_10device_ptrIsEEEESE_SE_sNS9_4plusIsEE19head_flag_predicatesEE10hipError_tPvRmT2_T3_T4_T5_mT6_T7_P12ihipStream_tbENKUlT_T0_E_clISt17integral_constantIbLb1EESY_EEDaST_SU_EUlST_E_NS1_11comp_targetILNS1_3genE10ELNS1_11target_archE1201ELNS1_3gpuE5ELNS1_3repE0EEENS1_30default_config_static_selectorELNS0_4arch9wavefront6targetE1EEEvT1_,@function
_ZN7rocprim17ROCPRIM_400000_NS6detail17trampoline_kernelINS0_14default_configENS1_27scan_by_key_config_selectorIssEEZZNS1_16scan_by_key_implILNS1_25lookback_scan_determinismE0ELb0ES3_N6thrust23THRUST_200600_302600_NS6detail15normal_iteratorINS9_10device_ptrIsEEEESE_SE_sNS9_4plusIsEE19head_flag_predicatesEE10hipError_tPvRmT2_T3_T4_T5_mT6_T7_P12ihipStream_tbENKUlT_T0_E_clISt17integral_constantIbLb1EESY_EEDaST_SU_EUlST_E_NS1_11comp_targetILNS1_3genE10ELNS1_11target_archE1201ELNS1_3gpuE5ELNS1_3repE0EEENS1_30default_config_static_selectorELNS0_4arch9wavefront6targetE1EEEvT1_: ; @_ZN7rocprim17ROCPRIM_400000_NS6detail17trampoline_kernelINS0_14default_configENS1_27scan_by_key_config_selectorIssEEZZNS1_16scan_by_key_implILNS1_25lookback_scan_determinismE0ELb0ES3_N6thrust23THRUST_200600_302600_NS6detail15normal_iteratorINS9_10device_ptrIsEEEESE_SE_sNS9_4plusIsEE19head_flag_predicatesEE10hipError_tPvRmT2_T3_T4_T5_mT6_T7_P12ihipStream_tbENKUlT_T0_E_clISt17integral_constantIbLb1EESY_EEDaST_SU_EUlST_E_NS1_11comp_targetILNS1_3genE10ELNS1_11target_archE1201ELNS1_3gpuE5ELNS1_3repE0EEENS1_30default_config_static_selectorELNS0_4arch9wavefront6targetE1EEEvT1_
; %bb.0:
	.section	.rodata,"a",@progbits
	.p2align	6, 0x0
	.amdhsa_kernel _ZN7rocprim17ROCPRIM_400000_NS6detail17trampoline_kernelINS0_14default_configENS1_27scan_by_key_config_selectorIssEEZZNS1_16scan_by_key_implILNS1_25lookback_scan_determinismE0ELb0ES3_N6thrust23THRUST_200600_302600_NS6detail15normal_iteratorINS9_10device_ptrIsEEEESE_SE_sNS9_4plusIsEE19head_flag_predicatesEE10hipError_tPvRmT2_T3_T4_T5_mT6_T7_P12ihipStream_tbENKUlT_T0_E_clISt17integral_constantIbLb1EESY_EEDaST_SU_EUlST_E_NS1_11comp_targetILNS1_3genE10ELNS1_11target_archE1201ELNS1_3gpuE5ELNS1_3repE0EEENS1_30default_config_static_selectorELNS0_4arch9wavefront6targetE1EEEvT1_
		.amdhsa_group_segment_fixed_size 0
		.amdhsa_private_segment_fixed_size 0
		.amdhsa_kernarg_size 112
		.amdhsa_user_sgpr_count 2
		.amdhsa_user_sgpr_dispatch_ptr 0
		.amdhsa_user_sgpr_queue_ptr 0
		.amdhsa_user_sgpr_kernarg_segment_ptr 1
		.amdhsa_user_sgpr_dispatch_id 0
		.amdhsa_user_sgpr_kernarg_preload_length 0
		.amdhsa_user_sgpr_kernarg_preload_offset 0
		.amdhsa_user_sgpr_private_segment_size 0
		.amdhsa_uses_dynamic_stack 0
		.amdhsa_enable_private_segment 0
		.amdhsa_system_sgpr_workgroup_id_x 1
		.amdhsa_system_sgpr_workgroup_id_y 0
		.amdhsa_system_sgpr_workgroup_id_z 0
		.amdhsa_system_sgpr_workgroup_info 0
		.amdhsa_system_vgpr_workitem_id 0
		.amdhsa_next_free_vgpr 1
		.amdhsa_next_free_sgpr 0
		.amdhsa_accum_offset 4
		.amdhsa_reserve_vcc 0
		.amdhsa_float_round_mode_32 0
		.amdhsa_float_round_mode_16_64 0
		.amdhsa_float_denorm_mode_32 3
		.amdhsa_float_denorm_mode_16_64 3
		.amdhsa_dx10_clamp 1
		.amdhsa_ieee_mode 1
		.amdhsa_fp16_overflow 0
		.amdhsa_tg_split 0
		.amdhsa_exception_fp_ieee_invalid_op 0
		.amdhsa_exception_fp_denorm_src 0
		.amdhsa_exception_fp_ieee_div_zero 0
		.amdhsa_exception_fp_ieee_overflow 0
		.amdhsa_exception_fp_ieee_underflow 0
		.amdhsa_exception_fp_ieee_inexact 0
		.amdhsa_exception_int_div_zero 0
	.end_amdhsa_kernel
	.section	.text._ZN7rocprim17ROCPRIM_400000_NS6detail17trampoline_kernelINS0_14default_configENS1_27scan_by_key_config_selectorIssEEZZNS1_16scan_by_key_implILNS1_25lookback_scan_determinismE0ELb0ES3_N6thrust23THRUST_200600_302600_NS6detail15normal_iteratorINS9_10device_ptrIsEEEESE_SE_sNS9_4plusIsEE19head_flag_predicatesEE10hipError_tPvRmT2_T3_T4_T5_mT6_T7_P12ihipStream_tbENKUlT_T0_E_clISt17integral_constantIbLb1EESY_EEDaST_SU_EUlST_E_NS1_11comp_targetILNS1_3genE10ELNS1_11target_archE1201ELNS1_3gpuE5ELNS1_3repE0EEENS1_30default_config_static_selectorELNS0_4arch9wavefront6targetE1EEEvT1_,"axG",@progbits,_ZN7rocprim17ROCPRIM_400000_NS6detail17trampoline_kernelINS0_14default_configENS1_27scan_by_key_config_selectorIssEEZZNS1_16scan_by_key_implILNS1_25lookback_scan_determinismE0ELb0ES3_N6thrust23THRUST_200600_302600_NS6detail15normal_iteratorINS9_10device_ptrIsEEEESE_SE_sNS9_4plusIsEE19head_flag_predicatesEE10hipError_tPvRmT2_T3_T4_T5_mT6_T7_P12ihipStream_tbENKUlT_T0_E_clISt17integral_constantIbLb1EESY_EEDaST_SU_EUlST_E_NS1_11comp_targetILNS1_3genE10ELNS1_11target_archE1201ELNS1_3gpuE5ELNS1_3repE0EEENS1_30default_config_static_selectorELNS0_4arch9wavefront6targetE1EEEvT1_,comdat
.Lfunc_end831:
	.size	_ZN7rocprim17ROCPRIM_400000_NS6detail17trampoline_kernelINS0_14default_configENS1_27scan_by_key_config_selectorIssEEZZNS1_16scan_by_key_implILNS1_25lookback_scan_determinismE0ELb0ES3_N6thrust23THRUST_200600_302600_NS6detail15normal_iteratorINS9_10device_ptrIsEEEESE_SE_sNS9_4plusIsEE19head_flag_predicatesEE10hipError_tPvRmT2_T3_T4_T5_mT6_T7_P12ihipStream_tbENKUlT_T0_E_clISt17integral_constantIbLb1EESY_EEDaST_SU_EUlST_E_NS1_11comp_targetILNS1_3genE10ELNS1_11target_archE1201ELNS1_3gpuE5ELNS1_3repE0EEENS1_30default_config_static_selectorELNS0_4arch9wavefront6targetE1EEEvT1_, .Lfunc_end831-_ZN7rocprim17ROCPRIM_400000_NS6detail17trampoline_kernelINS0_14default_configENS1_27scan_by_key_config_selectorIssEEZZNS1_16scan_by_key_implILNS1_25lookback_scan_determinismE0ELb0ES3_N6thrust23THRUST_200600_302600_NS6detail15normal_iteratorINS9_10device_ptrIsEEEESE_SE_sNS9_4plusIsEE19head_flag_predicatesEE10hipError_tPvRmT2_T3_T4_T5_mT6_T7_P12ihipStream_tbENKUlT_T0_E_clISt17integral_constantIbLb1EESY_EEDaST_SU_EUlST_E_NS1_11comp_targetILNS1_3genE10ELNS1_11target_archE1201ELNS1_3gpuE5ELNS1_3repE0EEENS1_30default_config_static_selectorELNS0_4arch9wavefront6targetE1EEEvT1_
                                        ; -- End function
	.section	.AMDGPU.csdata,"",@progbits
; Kernel info:
; codeLenInByte = 0
; NumSgprs: 6
; NumVgprs: 0
; NumAgprs: 0
; TotalNumVgprs: 0
; ScratchSize: 0
; MemoryBound: 0
; FloatMode: 240
; IeeeMode: 1
; LDSByteSize: 0 bytes/workgroup (compile time only)
; SGPRBlocks: 0
; VGPRBlocks: 0
; NumSGPRsForWavesPerEU: 6
; NumVGPRsForWavesPerEU: 1
; AccumOffset: 4
; Occupancy: 8
; WaveLimiterHint : 0
; COMPUTE_PGM_RSRC2:SCRATCH_EN: 0
; COMPUTE_PGM_RSRC2:USER_SGPR: 2
; COMPUTE_PGM_RSRC2:TRAP_HANDLER: 0
; COMPUTE_PGM_RSRC2:TGID_X_EN: 1
; COMPUTE_PGM_RSRC2:TGID_Y_EN: 0
; COMPUTE_PGM_RSRC2:TGID_Z_EN: 0
; COMPUTE_PGM_RSRC2:TIDIG_COMP_CNT: 0
; COMPUTE_PGM_RSRC3_GFX90A:ACCUM_OFFSET: 0
; COMPUTE_PGM_RSRC3_GFX90A:TG_SPLIT: 0
	.section	.text._ZN7rocprim17ROCPRIM_400000_NS6detail17trampoline_kernelINS0_14default_configENS1_27scan_by_key_config_selectorIssEEZZNS1_16scan_by_key_implILNS1_25lookback_scan_determinismE0ELb0ES3_N6thrust23THRUST_200600_302600_NS6detail15normal_iteratorINS9_10device_ptrIsEEEESE_SE_sNS9_4plusIsEE19head_flag_predicatesEE10hipError_tPvRmT2_T3_T4_T5_mT6_T7_P12ihipStream_tbENKUlT_T0_E_clISt17integral_constantIbLb1EESY_EEDaST_SU_EUlST_E_NS1_11comp_targetILNS1_3genE5ELNS1_11target_archE942ELNS1_3gpuE9ELNS1_3repE0EEENS1_30default_config_static_selectorELNS0_4arch9wavefront6targetE1EEEvT1_,"axG",@progbits,_ZN7rocprim17ROCPRIM_400000_NS6detail17trampoline_kernelINS0_14default_configENS1_27scan_by_key_config_selectorIssEEZZNS1_16scan_by_key_implILNS1_25lookback_scan_determinismE0ELb0ES3_N6thrust23THRUST_200600_302600_NS6detail15normal_iteratorINS9_10device_ptrIsEEEESE_SE_sNS9_4plusIsEE19head_flag_predicatesEE10hipError_tPvRmT2_T3_T4_T5_mT6_T7_P12ihipStream_tbENKUlT_T0_E_clISt17integral_constantIbLb1EESY_EEDaST_SU_EUlST_E_NS1_11comp_targetILNS1_3genE5ELNS1_11target_archE942ELNS1_3gpuE9ELNS1_3repE0EEENS1_30default_config_static_selectorELNS0_4arch9wavefront6targetE1EEEvT1_,comdat
	.protected	_ZN7rocprim17ROCPRIM_400000_NS6detail17trampoline_kernelINS0_14default_configENS1_27scan_by_key_config_selectorIssEEZZNS1_16scan_by_key_implILNS1_25lookback_scan_determinismE0ELb0ES3_N6thrust23THRUST_200600_302600_NS6detail15normal_iteratorINS9_10device_ptrIsEEEESE_SE_sNS9_4plusIsEE19head_flag_predicatesEE10hipError_tPvRmT2_T3_T4_T5_mT6_T7_P12ihipStream_tbENKUlT_T0_E_clISt17integral_constantIbLb1EESY_EEDaST_SU_EUlST_E_NS1_11comp_targetILNS1_3genE5ELNS1_11target_archE942ELNS1_3gpuE9ELNS1_3repE0EEENS1_30default_config_static_selectorELNS0_4arch9wavefront6targetE1EEEvT1_ ; -- Begin function _ZN7rocprim17ROCPRIM_400000_NS6detail17trampoline_kernelINS0_14default_configENS1_27scan_by_key_config_selectorIssEEZZNS1_16scan_by_key_implILNS1_25lookback_scan_determinismE0ELb0ES3_N6thrust23THRUST_200600_302600_NS6detail15normal_iteratorINS9_10device_ptrIsEEEESE_SE_sNS9_4plusIsEE19head_flag_predicatesEE10hipError_tPvRmT2_T3_T4_T5_mT6_T7_P12ihipStream_tbENKUlT_T0_E_clISt17integral_constantIbLb1EESY_EEDaST_SU_EUlST_E_NS1_11comp_targetILNS1_3genE5ELNS1_11target_archE942ELNS1_3gpuE9ELNS1_3repE0EEENS1_30default_config_static_selectorELNS0_4arch9wavefront6targetE1EEEvT1_
	.globl	_ZN7rocprim17ROCPRIM_400000_NS6detail17trampoline_kernelINS0_14default_configENS1_27scan_by_key_config_selectorIssEEZZNS1_16scan_by_key_implILNS1_25lookback_scan_determinismE0ELb0ES3_N6thrust23THRUST_200600_302600_NS6detail15normal_iteratorINS9_10device_ptrIsEEEESE_SE_sNS9_4plusIsEE19head_flag_predicatesEE10hipError_tPvRmT2_T3_T4_T5_mT6_T7_P12ihipStream_tbENKUlT_T0_E_clISt17integral_constantIbLb1EESY_EEDaST_SU_EUlST_E_NS1_11comp_targetILNS1_3genE5ELNS1_11target_archE942ELNS1_3gpuE9ELNS1_3repE0EEENS1_30default_config_static_selectorELNS0_4arch9wavefront6targetE1EEEvT1_
	.p2align	8
	.type	_ZN7rocprim17ROCPRIM_400000_NS6detail17trampoline_kernelINS0_14default_configENS1_27scan_by_key_config_selectorIssEEZZNS1_16scan_by_key_implILNS1_25lookback_scan_determinismE0ELb0ES3_N6thrust23THRUST_200600_302600_NS6detail15normal_iteratorINS9_10device_ptrIsEEEESE_SE_sNS9_4plusIsEE19head_flag_predicatesEE10hipError_tPvRmT2_T3_T4_T5_mT6_T7_P12ihipStream_tbENKUlT_T0_E_clISt17integral_constantIbLb1EESY_EEDaST_SU_EUlST_E_NS1_11comp_targetILNS1_3genE5ELNS1_11target_archE942ELNS1_3gpuE9ELNS1_3repE0EEENS1_30default_config_static_selectorELNS0_4arch9wavefront6targetE1EEEvT1_,@function
_ZN7rocprim17ROCPRIM_400000_NS6detail17trampoline_kernelINS0_14default_configENS1_27scan_by_key_config_selectorIssEEZZNS1_16scan_by_key_implILNS1_25lookback_scan_determinismE0ELb0ES3_N6thrust23THRUST_200600_302600_NS6detail15normal_iteratorINS9_10device_ptrIsEEEESE_SE_sNS9_4plusIsEE19head_flag_predicatesEE10hipError_tPvRmT2_T3_T4_T5_mT6_T7_P12ihipStream_tbENKUlT_T0_E_clISt17integral_constantIbLb1EESY_EEDaST_SU_EUlST_E_NS1_11comp_targetILNS1_3genE5ELNS1_11target_archE942ELNS1_3gpuE9ELNS1_3repE0EEENS1_30default_config_static_selectorELNS0_4arch9wavefront6targetE1EEEvT1_: ; @_ZN7rocprim17ROCPRIM_400000_NS6detail17trampoline_kernelINS0_14default_configENS1_27scan_by_key_config_selectorIssEEZZNS1_16scan_by_key_implILNS1_25lookback_scan_determinismE0ELb0ES3_N6thrust23THRUST_200600_302600_NS6detail15normal_iteratorINS9_10device_ptrIsEEEESE_SE_sNS9_4plusIsEE19head_flag_predicatesEE10hipError_tPvRmT2_T3_T4_T5_mT6_T7_P12ihipStream_tbENKUlT_T0_E_clISt17integral_constantIbLb1EESY_EEDaST_SU_EUlST_E_NS1_11comp_targetILNS1_3genE5ELNS1_11target_archE942ELNS1_3gpuE9ELNS1_3repE0EEENS1_30default_config_static_selectorELNS0_4arch9wavefront6targetE1EEEvT1_
; %bb.0:
	s_load_dwordx4 s[68:71], s[0:1], 0x28
	s_load_dwordx2 s[76:77], s[0:1], 0x38
	v_cmp_ne_u32_e64 s[4:5], 0, v0
	v_cmp_eq_u32_e64 s[56:57], 0, v0
	s_and_saveexec_b64 s[2:3], s[56:57]
	s_cbranch_execz .LBB832_4
; %bb.1:
	s_mov_b64 s[8:9], exec
	v_mbcnt_lo_u32_b32 v1, s8, 0
	v_mbcnt_hi_u32_b32 v1, s9, v1
	v_cmp_eq_u32_e32 vcc, 0, v1
                                        ; implicit-def: $vgpr2
	s_and_saveexec_b64 s[6:7], vcc
	s_cbranch_execz .LBB832_3
; %bb.2:
	s_load_dwordx2 s[10:11], s[0:1], 0x68
	s_bcnt1_i32_b64 s8, s[8:9]
	v_mov_b32_e32 v2, 0
	v_mov_b32_e32 v3, s8
	s_waitcnt lgkmcnt(0)
	global_atomic_add v2, v2, v3, s[10:11] sc0
.LBB832_3:
	s_or_b64 exec, exec, s[6:7]
	s_waitcnt vmcnt(0)
	v_readfirstlane_b32 s6, v2
	v_mov_b32_e32 v2, 0
	s_nop 0
	v_add_u32_e32 v1, s6, v1
	ds_write_b32 v2, v1
.LBB832_4:
	s_or_b64 exec, exec, s[2:3]
	s_load_dwordx8 s[60:67], s[0:1], 0x0
	s_load_dword s2, s[0:1], 0x40
	s_load_dwordx4 s[72:75], s[0:1], 0x48
	v_mov_b32_e32 v3, 0
	s_waitcnt lgkmcnt(0)
	s_barrier
	ds_read_b32 v2, v3
	s_lshl_b64 s[58:59], s[62:63], 1
	s_add_u32 s6, s60, s58
	s_addc_u32 s7, s61, s59
	s_add_u32 s8, s64, s58
	s_mul_i32 s0, s77, s2
	s_mul_hi_u32 s1, s76, s2
	s_waitcnt lgkmcnt(0)
	v_readfirstlane_b32 s71, v2
	s_addc_u32 s9, s65, s59
	s_add_i32 s3, s1, s0
	s_mov_b32 s1, 0
	s_mul_i32 s0, s71, 0x1800
	s_lshl_b64 s[60:61], s[0:1], 1
	s_add_u32 s54, s6, s60
	s_addc_u32 s55, s7, s61
	s_add_u32 s0, s8, s60
	s_addc_u32 s1, s9, s61
	s_mul_i32 s2, s76, s2
	s_add_u32 s8, s72, -1
	v_lshl_add_u64 v[2:3], s[2:3], 0, v[2:3]
	s_addc_u32 s9, s73, -1
	v_cmp_le_u64_e64 s[2:3], s[8:9], v[2:3]
	s_mov_b64 s[6:7], -1
	s_and_b64 vcc, exec, s[2:3]
	s_mul_i32 s33, s8, 0xffffe800
	s_barrier
	s_barrier
	s_cbranch_vccz .LBB832_126
; %bb.5:
	v_mov_b64_e32 v[2:3], s[54:55]
	flat_load_ushort v3, v[2:3]
	s_add_i32 s78, s33, s70
	v_cmp_gt_u32_e32 vcc, s78, v0
	s_waitcnt vmcnt(0) lgkmcnt(0)
	v_mov_b32_e32 v19, v3
	s_and_saveexec_b64 s[6:7], vcc
	s_cbranch_execz .LBB832_7
; %bb.6:
	v_lshlrev_b32_e32 v4, 1, v0
	v_mov_b32_e32 v5, 0
	v_lshl_add_u64 v[4:5], s[54:55], 0, v[4:5]
	flat_load_ushort v19, v[4:5]
.LBB832_7:
	s_or_b64 exec, exec, s[6:7]
	v_or_b32_e32 v1, 0x100, v0
	v_cmp_gt_u32_e64 s[6:7], s78, v1
	v_mov_b32_e32 v20, v3
	s_and_saveexec_b64 s[8:9], s[6:7]
	s_cbranch_execz .LBB832_9
; %bb.8:
	v_lshlrev_b32_e32 v4, 1, v0
	v_mov_b32_e32 v5, 0
	v_lshl_add_u64 v[4:5], s[54:55], 0, v[4:5]
	flat_load_ushort v20, v[4:5] offset:512
.LBB832_9:
	s_or_b64 exec, exec, s[8:9]
	v_or_b32_e32 v1, 0x200, v0
	v_cmp_gt_u32_e64 s[8:9], s78, v1
	v_mov_b32_e32 v21, v3
	s_and_saveexec_b64 s[10:11], s[8:9]
	s_cbranch_execz .LBB832_11
; %bb.10:
	v_lshlrev_b32_e32 v4, 1, v0
	v_mov_b32_e32 v5, 0
	v_lshl_add_u64 v[4:5], s[54:55], 0, v[4:5]
	flat_load_ushort v21, v[4:5] offset:1024
.LBB832_11:
	;; [unrolled: 12-line block ×7, first 2 shown]
	s_or_b64 exec, exec, s[20:21]
	v_or_b32_e32 v1, 0x800, v0
	v_cmp_gt_u32_e64 s[20:21], s78, v1
	v_mov_b32_e32 v27, v3
	s_and_saveexec_b64 s[22:23], s[20:21]
	s_cbranch_execz .LBB832_23
; %bb.22:
	v_lshlrev_b32_e32 v4, 1, v1
	v_mov_b32_e32 v5, 0
	v_lshl_add_u64 v[4:5], s[54:55], 0, v[4:5]
	flat_load_ushort v27, v[4:5]
.LBB832_23:
	s_or_b64 exec, exec, s[22:23]
	v_or_b32_e32 v4, 0x900, v0
	v_cmp_gt_u32_e64 s[22:23], s78, v4
	v_mov_b32_e32 v28, v3
	s_and_saveexec_b64 s[24:25], s[22:23]
	s_cbranch_execz .LBB832_25
; %bb.24:
	v_lshlrev_b32_e32 v6, 1, v4
	v_mov_b32_e32 v7, 0
	v_lshl_add_u64 v[6:7], s[54:55], 0, v[6:7]
	flat_load_ushort v28, v[6:7]
.LBB832_25:
	s_or_b64 exec, exec, s[24:25]
	v_or_b32_e32 v5, 0xa00, v0
	v_cmp_gt_u32_e64 s[24:25], s78, v5
	v_mov_b32_e32 v29, v3
	s_and_saveexec_b64 s[26:27], s[24:25]
	s_cbranch_execz .LBB832_27
; %bb.26:
	v_lshlrev_b32_e32 v6, 1, v5
	v_mov_b32_e32 v7, 0
	v_lshl_add_u64 v[6:7], s[54:55], 0, v[6:7]
	flat_load_ushort v29, v[6:7]
.LBB832_27:
	s_or_b64 exec, exec, s[26:27]
	v_or_b32_e32 v6, 0xb00, v0
	v_cmp_gt_u32_e64 s[26:27], s78, v6
	v_mov_b32_e32 v30, v3
	s_and_saveexec_b64 s[28:29], s[26:27]
	s_cbranch_execz .LBB832_29
; %bb.28:
	v_lshlrev_b32_e32 v8, 1, v6
	v_mov_b32_e32 v9, 0
	v_lshl_add_u64 v[8:9], s[54:55], 0, v[8:9]
	flat_load_ushort v30, v[8:9]
.LBB832_29:
	s_or_b64 exec, exec, s[28:29]
	v_or_b32_e32 v7, 0xc00, v0
	v_cmp_gt_u32_e64 s[28:29], s78, v7
	v_mov_b32_e32 v31, v3
	s_and_saveexec_b64 s[30:31], s[28:29]
	s_cbranch_execz .LBB832_31
; %bb.30:
	v_lshlrev_b32_e32 v8, 1, v7
	v_mov_b32_e32 v9, 0
	v_lshl_add_u64 v[8:9], s[54:55], 0, v[8:9]
	flat_load_ushort v31, v[8:9]
.LBB832_31:
	s_or_b64 exec, exec, s[30:31]
	v_or_b32_e32 v8, 0xd00, v0
	v_cmp_gt_u32_e64 s[30:31], s78, v8
	v_mov_b32_e32 v32, v3
	s_and_saveexec_b64 s[34:35], s[30:31]
	s_cbranch_execz .LBB832_33
; %bb.32:
	v_lshlrev_b32_e32 v10, 1, v8
	v_mov_b32_e32 v11, 0
	v_lshl_add_u64 v[10:11], s[54:55], 0, v[10:11]
	flat_load_ushort v32, v[10:11]
.LBB832_33:
	s_or_b64 exec, exec, s[34:35]
	v_or_b32_e32 v9, 0xe00, v0
	v_cmp_gt_u32_e64 s[34:35], s78, v9
	v_mov_b32_e32 v33, v3
	s_and_saveexec_b64 s[36:37], s[34:35]
	s_cbranch_execz .LBB832_35
; %bb.34:
	v_lshlrev_b32_e32 v10, 1, v9
	v_mov_b32_e32 v11, 0
	v_lshl_add_u64 v[10:11], s[54:55], 0, v[10:11]
	flat_load_ushort v33, v[10:11]
.LBB832_35:
	s_or_b64 exec, exec, s[36:37]
	v_or_b32_e32 v10, 0xf00, v0
	v_cmp_gt_u32_e64 s[36:37], s78, v10
	v_mov_b32_e32 v34, v3
	s_and_saveexec_b64 s[38:39], s[36:37]
	s_cbranch_execz .LBB832_37
; %bb.36:
	v_lshlrev_b32_e32 v12, 1, v10
	v_mov_b32_e32 v13, 0
	v_lshl_add_u64 v[12:13], s[54:55], 0, v[12:13]
	flat_load_ushort v34, v[12:13]
.LBB832_37:
	s_or_b64 exec, exec, s[38:39]
	v_or_b32_e32 v11, 0x1000, v0
	v_cmp_gt_u32_e64 s[38:39], s78, v11
	v_mov_b32_e32 v35, v3
	s_and_saveexec_b64 s[40:41], s[38:39]
	s_cbranch_execz .LBB832_39
; %bb.38:
	v_lshlrev_b32_e32 v12, 1, v11
	v_mov_b32_e32 v13, 0
	v_lshl_add_u64 v[12:13], s[54:55], 0, v[12:13]
	flat_load_ushort v35, v[12:13]
.LBB832_39:
	s_or_b64 exec, exec, s[40:41]
	v_or_b32_e32 v12, 0x1100, v0
	v_cmp_gt_u32_e64 s[40:41], s78, v12
	v_mov_b32_e32 v36, v3
	s_and_saveexec_b64 s[42:43], s[40:41]
	s_cbranch_execz .LBB832_41
; %bb.40:
	v_lshlrev_b32_e32 v14, 1, v12
	v_mov_b32_e32 v15, 0
	v_lshl_add_u64 v[14:15], s[54:55], 0, v[14:15]
	flat_load_ushort v36, v[14:15]
.LBB832_41:
	s_or_b64 exec, exec, s[42:43]
	v_or_b32_e32 v13, 0x1200, v0
	v_cmp_gt_u32_e64 s[42:43], s78, v13
	v_mov_b32_e32 v37, v3
	s_and_saveexec_b64 s[44:45], s[42:43]
	s_cbranch_execz .LBB832_43
; %bb.42:
	v_lshlrev_b32_e32 v14, 1, v13
	v_mov_b32_e32 v15, 0
	v_lshl_add_u64 v[14:15], s[54:55], 0, v[14:15]
	flat_load_ushort v37, v[14:15]
.LBB832_43:
	s_or_b64 exec, exec, s[44:45]
	v_or_b32_e32 v14, 0x1300, v0
	v_cmp_gt_u32_e64 s[44:45], s78, v14
	v_mov_b32_e32 v38, v3
	s_and_saveexec_b64 s[46:47], s[44:45]
	s_cbranch_execz .LBB832_45
; %bb.44:
	v_lshlrev_b32_e32 v16, 1, v14
	v_mov_b32_e32 v17, 0
	v_lshl_add_u64 v[16:17], s[54:55], 0, v[16:17]
	flat_load_ushort v38, v[16:17]
.LBB832_45:
	s_or_b64 exec, exec, s[46:47]
	v_or_b32_e32 v15, 0x1400, v0
	v_cmp_gt_u32_e64 s[46:47], s78, v15
	v_mov_b32_e32 v39, v3
	s_and_saveexec_b64 s[48:49], s[46:47]
	s_cbranch_execz .LBB832_47
; %bb.46:
	v_lshlrev_b32_e32 v16, 1, v15
	v_mov_b32_e32 v17, 0
	v_lshl_add_u64 v[16:17], s[54:55], 0, v[16:17]
	flat_load_ushort v39, v[16:17]
.LBB832_47:
	s_or_b64 exec, exec, s[48:49]
	v_or_b32_e32 v16, 0x1500, v0
	v_cmp_gt_u32_e64 s[48:49], s78, v16
	v_mov_b32_e32 v40, v3
	s_and_saveexec_b64 s[50:51], s[48:49]
	s_cbranch_execz .LBB832_49
; %bb.48:
	v_lshlrev_b32_e32 v40, 1, v16
	v_mov_b32_e32 v41, 0
	v_lshl_add_u64 v[40:41], s[54:55], 0, v[40:41]
	flat_load_ushort v40, v[40:41]
.LBB832_49:
	s_or_b64 exec, exec, s[50:51]
	v_or_b32_e32 v17, 0x1600, v0
	v_cmp_gt_u32_e64 s[50:51], s78, v17
	v_mov_b32_e32 v41, v3
	s_and_saveexec_b64 s[52:53], s[50:51]
	s_cbranch_execz .LBB832_51
; %bb.50:
	v_lshlrev_b32_e32 v42, 1, v17
	v_mov_b32_e32 v43, 0
	v_lshl_add_u64 v[42:43], s[54:55], 0, v[42:43]
	flat_load_ushort v41, v[42:43]
.LBB832_51:
	s_or_b64 exec, exec, s[52:53]
	v_or_b32_e32 v18, 0x1700, v0
	v_cmp_gt_u32_e64 s[52:53], s78, v18
	s_and_saveexec_b64 s[62:63], s[52:53]
	s_cbranch_execz .LBB832_53
; %bb.52:
	v_lshlrev_b32_e32 v2, 1, v18
	v_mov_b32_e32 v3, 0
	v_lshl_add_u64 v[2:3], s[54:55], 0, v[2:3]
	flat_load_ushort v3, v[2:3]
.LBB832_53:
	s_or_b64 exec, exec, s[62:63]
	v_lshlrev_b32_e32 v2, 1, v0
	s_waitcnt vmcnt(0) lgkmcnt(0)
	ds_write_b16 v2, v19
	ds_write_b16 v2, v20 offset:512
	ds_write_b16 v2, v21 offset:1024
	ds_write_b16 v2, v22 offset:1536
	ds_write_b16 v2, v23 offset:2048
	ds_write_b16 v2, v24 offset:2560
	ds_write_b16 v2, v25 offset:3072
	ds_write_b16 v2, v26 offset:3584
	ds_write_b16 v2, v27 offset:4096
	ds_write_b16 v2, v28 offset:4608
	ds_write_b16 v2, v29 offset:5120
	ds_write_b16 v2, v30 offset:5632
	ds_write_b16 v2, v31 offset:6144
	ds_write_b16 v2, v32 offset:6656
	ds_write_b16 v2, v33 offset:7168
	ds_write_b16 v2, v34 offset:7680
	ds_write_b16 v2, v35 offset:8192
	ds_write_b16 v2, v36 offset:8704
	ds_write_b16 v2, v37 offset:9216
	ds_write_b16 v2, v38 offset:9728
	ds_write_b16 v2, v39 offset:10240
	ds_write_b16 v2, v40 offset:10752
	ds_write_b16 v2, v41 offset:11264
	ds_write_b16 v2, v3 offset:11776
	v_mad_u32_u24 v41, v0, 46, v2
	s_waitcnt lgkmcnt(0)
	s_barrier
	ds_read_b128 v[22:25], v41 offset:32
	ds_read_b128 v[30:33], v41
	ds_read_b128 v[26:29], v41 offset:16
	s_movk_i32 s62, 0xffd2
	v_mad_i32_i24 v3, v0, s62, v41
	s_waitcnt lgkmcnt(2)
	v_lshrrev_b32_e32 v40, 16, v25
	ds_write_b16 v3, v40 offset:12288
	s_waitcnt lgkmcnt(0)
	s_barrier
	s_barrier
	s_waitcnt lgkmcnt(0)
                                        ; implicit-def: $vgpr19
	s_and_saveexec_b64 s[62:63], vcc
	s_cbranch_execz .LBB832_201
; %bb.54:
	v_mov_b32_e32 v3, 0
	v_lshl_add_u64 v[20:21], s[0:1], 0, v[2:3]
	flat_load_ushort v19, v[20:21]
	s_or_b64 exec, exec, s[62:63]
                                        ; implicit-def: $vgpr20
	s_and_saveexec_b64 s[62:63], s[6:7]
	s_cbranch_execnz .LBB832_202
.LBB832_55:
	s_or_b64 exec, exec, s[62:63]
                                        ; implicit-def: $vgpr21
	s_and_saveexec_b64 s[6:7], s[8:9]
	s_cbranch_execz .LBB832_203
.LBB832_56:
	v_mov_b32_e32 v3, 0
	v_lshl_add_u64 v[34:35], s[0:1], 0, v[2:3]
	flat_load_ushort v21, v[34:35] offset:1024
	s_or_b64 exec, exec, s[6:7]
                                        ; implicit-def: $vgpr34
	s_and_saveexec_b64 s[6:7], s[10:11]
	s_cbranch_execnz .LBB832_204
.LBB832_57:
	s_or_b64 exec, exec, s[6:7]
                                        ; implicit-def: $vgpr35
	s_and_saveexec_b64 s[6:7], s[12:13]
	s_cbranch_execz .LBB832_205
.LBB832_58:
	v_mov_b32_e32 v3, 0
	v_lshl_add_u64 v[36:37], s[0:1], 0, v[2:3]
	flat_load_ushort v35, v[36:37] offset:2048
	s_or_b64 exec, exec, s[6:7]
                                        ; implicit-def: $vgpr36
	s_and_saveexec_b64 s[6:7], s[14:15]
	s_cbranch_execnz .LBB832_206
.LBB832_59:
	s_or_b64 exec, exec, s[6:7]
                                        ; implicit-def: $vgpr37
	s_and_saveexec_b64 s[6:7], s[16:17]
	s_cbranch_execz .LBB832_207
.LBB832_60:
	v_mov_b32_e32 v3, 0
	v_lshl_add_u64 v[38:39], s[0:1], 0, v[2:3]
	flat_load_ushort v37, v[38:39] offset:3072
	s_or_b64 exec, exec, s[6:7]
                                        ; implicit-def: $vgpr3
	s_and_saveexec_b64 s[6:7], s[18:19]
	s_cbranch_execnz .LBB832_208
.LBB832_61:
	s_or_b64 exec, exec, s[6:7]
                                        ; implicit-def: $vgpr38
	s_and_saveexec_b64 s[6:7], s[20:21]
	s_cbranch_execz .LBB832_209
.LBB832_62:
	v_lshlrev_b32_e32 v38, 1, v1
	v_mov_b32_e32 v39, 0
	v_lshl_add_u64 v[38:39], s[0:1], 0, v[38:39]
	flat_load_ushort v38, v[38:39]
	s_or_b64 exec, exec, s[6:7]
                                        ; implicit-def: $vgpr1
	s_and_saveexec_b64 s[6:7], s[22:23]
	s_cbranch_execnz .LBB832_210
.LBB832_63:
	s_or_b64 exec, exec, s[6:7]
                                        ; implicit-def: $vgpr4
	s_and_saveexec_b64 s[6:7], s[24:25]
	s_cbranch_execz .LBB832_211
.LBB832_64:
	v_lshlrev_b32_e32 v4, 1, v5
	v_mov_b32_e32 v5, 0
	v_lshl_add_u64 v[4:5], s[0:1], 0, v[4:5]
	flat_load_ushort v4, v[4:5]
	s_or_b64 exec, exec, s[6:7]
                                        ; implicit-def: $vgpr5
	s_and_saveexec_b64 s[6:7], s[26:27]
	s_cbranch_execnz .LBB832_212
.LBB832_65:
	s_or_b64 exec, exec, s[6:7]
                                        ; implicit-def: $vgpr6
	s_and_saveexec_b64 s[6:7], s[28:29]
	s_cbranch_execz .LBB832_213
.LBB832_66:
	v_lshlrev_b32_e32 v6, 1, v7
	v_mov_b32_e32 v7, 0
	v_lshl_add_u64 v[6:7], s[0:1], 0, v[6:7]
	flat_load_ushort v6, v[6:7]
	s_or_b64 exec, exec, s[6:7]
                                        ; implicit-def: $vgpr7
	s_and_saveexec_b64 s[6:7], s[30:31]
	s_cbranch_execnz .LBB832_214
.LBB832_67:
	s_or_b64 exec, exec, s[6:7]
                                        ; implicit-def: $vgpr8
	s_and_saveexec_b64 s[6:7], s[34:35]
	s_cbranch_execz .LBB832_215
.LBB832_68:
	v_lshlrev_b32_e32 v8, 1, v9
	v_mov_b32_e32 v9, 0
	v_lshl_add_u64 v[8:9], s[0:1], 0, v[8:9]
	flat_load_ushort v8, v[8:9]
	s_or_b64 exec, exec, s[6:7]
                                        ; implicit-def: $vgpr9
	s_and_saveexec_b64 s[6:7], s[36:37]
	s_cbranch_execnz .LBB832_216
.LBB832_69:
	s_or_b64 exec, exec, s[6:7]
                                        ; implicit-def: $vgpr10
	s_and_saveexec_b64 s[6:7], s[38:39]
	s_cbranch_execz .LBB832_217
.LBB832_70:
	v_lshlrev_b32_e32 v10, 1, v11
	v_mov_b32_e32 v11, 0
	v_lshl_add_u64 v[10:11], s[0:1], 0, v[10:11]
	flat_load_ushort v10, v[10:11]
	s_or_b64 exec, exec, s[6:7]
                                        ; implicit-def: $vgpr11
	s_and_saveexec_b64 s[6:7], s[40:41]
	s_cbranch_execnz .LBB832_218
.LBB832_71:
	s_or_b64 exec, exec, s[6:7]
                                        ; implicit-def: $vgpr12
	s_and_saveexec_b64 s[6:7], s[42:43]
	s_cbranch_execz .LBB832_219
.LBB832_72:
	v_lshlrev_b32_e32 v12, 1, v13
	v_mov_b32_e32 v13, 0
	v_lshl_add_u64 v[12:13], s[0:1], 0, v[12:13]
	flat_load_ushort v12, v[12:13]
	s_or_b64 exec, exec, s[6:7]
                                        ; implicit-def: $vgpr13
	s_and_saveexec_b64 s[6:7], s[44:45]
	s_cbranch_execnz .LBB832_220
.LBB832_73:
	s_or_b64 exec, exec, s[6:7]
                                        ; implicit-def: $vgpr14
	s_and_saveexec_b64 s[6:7], s[46:47]
	s_cbranch_execz .LBB832_221
.LBB832_74:
	v_lshlrev_b32_e32 v14, 1, v15
	v_mov_b32_e32 v15, 0
	v_lshl_add_u64 v[14:15], s[0:1], 0, v[14:15]
	flat_load_ushort v14, v[14:15]
	s_or_b64 exec, exec, s[6:7]
                                        ; implicit-def: $vgpr15
	s_and_saveexec_b64 s[6:7], s[48:49]
	s_cbranch_execnz .LBB832_222
.LBB832_75:
	s_or_b64 exec, exec, s[6:7]
                                        ; implicit-def: $vgpr16
	s_and_saveexec_b64 s[6:7], s[50:51]
	s_cbranch_execz .LBB832_77
.LBB832_76:
	v_lshlrev_b32_e32 v16, 1, v17
	v_mov_b32_e32 v17, 0
	v_lshl_add_u64 v[16:17], s[0:1], 0, v[16:17]
	flat_load_ushort v16, v[16:17]
.LBB832_77:
	s_or_b64 exec, exec, s[6:7]
	v_mul_u32_u24_e32 v43, 24, v0
                                        ; implicit-def: $vgpr17
	s_and_saveexec_b64 s[6:7], s[52:53]
	s_cbranch_execz .LBB832_79
; %bb.78:
	v_lshlrev_b32_e32 v44, 1, v18
	v_mov_b32_e32 v45, 0
	v_lshl_add_u64 v[44:45], s[0:1], 0, v[44:45]
	flat_load_ushort v17, v[44:45]
.LBB832_79:
	s_or_b64 exec, exec, s[6:7]
	s_mov_b32 s8, 0
	s_mov_b32 s9, s8
	s_waitcnt vmcnt(0) lgkmcnt(0)
	ds_write_b16 v2, v19
	ds_write_b16 v2, v20 offset:512
	ds_write_b16 v2, v21 offset:1024
	;; [unrolled: 1-line block ×23, first 2 shown]
	s_mov_b32 s10, s8
	s_mov_b32 s11, s8
	;; [unrolled: 1-line block ×6, first 2 shown]
	v_mov_b64_e32 v[2:3], s[8:9]
	s_mov_b32 s18, s8
	s_mov_b32 s19, s8
	v_mov_b64_e32 v[8:9], s[14:15]
	s_mov_b32 s16, s8
	s_mov_b32 s17, s8
	;; [unrolled: 1-line block ×4, first 2 shown]
	v_mov_b64_e32 v[20:21], s[18:19]
	v_mov_b64_e32 v[4:5], s[10:11]
	;; [unrolled: 1-line block ×4, first 2 shown]
	v_cmp_gt_u32_e32 vcc, s78, v43
	s_mov_b64 s[6:7], 0
	v_mov_b64_e32 v[38:39], s[20:21]
	v_mov_b64_e32 v[18:19], s[16:17]
	v_mov_b32_e32 v1, 0
	s_mov_b64 s[12:13], 0
	v_mov_b64_e32 v[14:15], v[6:7]
	v_mov_b64_e32 v[12:13], v[4:5]
	;; [unrolled: 1-line block ×3, first 2 shown]
	s_waitcnt lgkmcnt(0)
	s_barrier
	s_waitcnt lgkmcnt(0)
                                        ; implicit-def: $vgpr42
	s_and_saveexec_b64 s[10:11], vcc
	s_cbranch_execz .LBB832_125
; %bb.80:
	ds_read_u16 v1, v41
	s_mov_b32 s12, 0
	v_cmp_ne_u16_e32 vcc, 0, v30
	v_or_b32_e32 v2, 1, v43
	s_mov_b32 s13, s12
	v_cndmask_b32_e64 v3, 0, 1, vcc
	s_waitcnt lgkmcnt(0)
	v_lshl_or_b32 v38, v3, 16, v1
	v_cmp_gt_u32_e32 vcc, s78, v2
	s_mov_b32 s14, s12
	s_mov_b32 s15, s12
	;; [unrolled: 1-line block ×6, first 2 shown]
	v_mov_b64_e32 v[2:3], s[12:13]
	s_mov_b32 s20, s12
	s_mov_b32 s21, s12
	v_mov_b64_e32 v[8:9], s[18:19]
	v_mov_b32_e32 v39, 0
	s_mov_b32 s22, s12
	s_mov_b32 s23, s12
	v_mov_b64_e32 v[18:19], s[20:21]
	v_mov_b64_e32 v[4:5], s[14:15]
	;; [unrolled: 1-line block ×4, first 2 shown]
	s_mov_b64 s[26:27], 0
	v_mov_b64_e32 v[20:21], s[22:23]
	v_mov_b64_e32 v[14:15], v[6:7]
	;; [unrolled: 1-line block ×4, first 2 shown]
	v_mov_b32_e32 v1, v39
                                        ; implicit-def: $vgpr42
	s_and_saveexec_b64 s[24:25], vcc
	s_cbranch_execz .LBB832_124
; %bb.81:
	ds_read_b128 v[34:37], v41 offset:2
	v_mov_b32_e32 v1, 0
	v_cmp_ne_u16_sdwa s[26:27], v30, v1 src0_sel:WORD_1 src1_sel:DWORD
	v_or_b32_e32 v2, 2, v43
	v_cmp_gt_u32_e32 vcc, s78, v2
	v_cndmask_b32_e64 v3, 0, 1, s[26:27]
	s_waitcnt lgkmcnt(0)
	v_and_b32_e32 v4, 0xffff, v34
	v_lshl_or_b32 v39, v3, 16, v4
	v_mov_b64_e32 v[2:3], s[12:13]
	v_mov_b64_e32 v[8:9], s[18:19]
	;; [unrolled: 1-line block ×6, first 2 shown]
	s_mov_b64 s[26:27], 0
	v_mov_b64_e32 v[20:21], s[22:23]
	v_mov_b64_e32 v[14:15], v[6:7]
	;; [unrolled: 1-line block ×4, first 2 shown]
                                        ; implicit-def: $vgpr42
	s_and_saveexec_b64 s[20:21], vcc
	s_cbranch_execz .LBB832_123
; %bb.82:
	v_or_b32_e32 v2, 3, v43
	v_cmp_ne_u16_e32 vcc, 0, v31
	s_mov_b32 s13, s12
	s_mov_b32 s14, s12
	v_cndmask_b32_e64 v1, 0, 1, vcc
	v_cmp_gt_u32_e32 vcc, s78, v2
	s_mov_b32 s15, s12
	s_mov_b32 s16, s12
	;; [unrolled: 1-line block ×5, first 2 shown]
	v_mov_b64_e32 v[2:3], s[12:13]
	s_mov_b32 s28, s12
	s_mov_b32 s29, s12
	v_mov_b64_e32 v[8:9], s[18:19]
	s_mov_b32 s30, s12
	s_mov_b32 s31, s12
	v_mov_b64_e32 v[18:19], s[28:29]
	v_mov_b64_e32 v[4:5], s[14:15]
	;; [unrolled: 1-line block ×4, first 2 shown]
	v_alignbit_b32 v1, v1, v34, 16
	v_mov_b64_e32 v[20:21], s[30:31]
	v_mov_b64_e32 v[14:15], v[6:7]
	;; [unrolled: 1-line block ×4, first 2 shown]
                                        ; implicit-def: $vgpr42
	s_and_saveexec_b64 s[22:23], vcc
	s_cbranch_execz .LBB832_122
; %bb.83:
	v_mov_b32_e32 v20, 0
	v_cmp_ne_u16_sdwa s[26:27], v31, v20 src0_sel:WORD_1 src1_sel:DWORD
	v_and_b32_e32 v2, 0xffff, v35
	v_or_b32_e32 v3, 4, v43
	v_cndmask_b32_e64 v4, 0, 1, s[26:27]
	v_lshl_or_b32 v18, v4, 16, v2
	v_cmp_gt_u32_e32 vcc, s78, v3
	v_mov_b64_e32 v[2:3], s[12:13]
	v_mov_b64_e32 v[8:9], s[18:19]
	;; [unrolled: 1-line block ×5, first 2 shown]
	v_mov_b32_e32 v19, v20
	v_mov_b32_e32 v21, v20
	s_mov_b64 s[28:29], 0
	v_mov_b64_e32 v[14:15], v[6:7]
	v_mov_b64_e32 v[12:13], v[4:5]
	;; [unrolled: 1-line block ×3, first 2 shown]
                                        ; implicit-def: $vgpr42
	s_and_saveexec_b64 s[26:27], vcc
	s_cbranch_execz .LBB832_121
; %bb.84:
	v_cmp_ne_u16_e32 vcc, 0, v32
	v_or_b32_e32 v2, 5, v43
	s_mov_b32 s13, s12
	v_cndmask_b32_e64 v3, 0, 1, vcc
	v_alignbit_b32 v19, v3, v35, 16
	v_cmp_gt_u32_e32 vcc, s78, v2
	s_mov_b32 s14, s12
	s_mov_b32 s15, s12
	s_mov_b32 s16, s12
	s_mov_b32 s17, s12
	s_mov_b32 s18, s12
	s_mov_b32 s19, s12
	v_mov_b64_e32 v[2:3], s[12:13]
	v_mov_b64_e32 v[8:9], s[18:19]
	;; [unrolled: 1-line block ×5, first 2 shown]
	v_mov_b32_e32 v21, v20
	s_mov_b64 s[30:31], 0
	v_mov_b64_e32 v[14:15], v[6:7]
	v_mov_b64_e32 v[12:13], v[4:5]
	;; [unrolled: 1-line block ×3, first 2 shown]
                                        ; implicit-def: $vgpr42
	s_and_saveexec_b64 s[28:29], vcc
	s_cbranch_execz .LBB832_120
; %bb.85:
	v_mov_b32_e32 v3, 0
	v_cmp_ne_u16_sdwa s[30:31], v32, v3 src0_sel:WORD_1 src1_sel:DWORD
	v_and_b32_e32 v2, 0xffff, v36
	v_or_b32_e32 v4, 6, v43
	v_cndmask_b32_e64 v3, 0, 1, s[30:31]
	v_lshl_or_b32 v20, v3, 16, v2
	v_cmp_gt_u32_e32 vcc, s78, v4
	v_mov_b64_e32 v[2:3], s[12:13]
	v_mov_b64_e32 v[8:9], s[18:19]
	;; [unrolled: 1-line block ×5, first 2 shown]
	v_mov_b32_e32 v21, s12
	s_mov_b64 s[34:35], 0
	v_mov_b64_e32 v[14:15], v[6:7]
	v_mov_b64_e32 v[12:13], v[4:5]
	;; [unrolled: 1-line block ×3, first 2 shown]
                                        ; implicit-def: $vgpr42
	s_and_saveexec_b64 s[30:31], vcc
	s_cbranch_execz .LBB832_119
; %bb.86:
	v_cmp_ne_u16_e32 vcc, 0, v33
	v_or_b32_e32 v2, 7, v43
	s_mov_b32 s13, s12
	v_cndmask_b32_e64 v3, 0, 1, vcc
	v_alignbit_b32 v21, v3, v36, 16
	v_cmp_gt_u32_e32 vcc, s78, v2
	s_mov_b32 s14, s12
	s_mov_b32 s15, s12
	;; [unrolled: 1-line block ×6, first 2 shown]
	v_mov_b64_e32 v[2:3], s[12:13]
	v_mov_b64_e32 v[8:9], s[18:19]
	;; [unrolled: 1-line block ×5, first 2 shown]
	s_mov_b64 s[36:37], 0
	v_mov_b64_e32 v[14:15], v[6:7]
	v_mov_b64_e32 v[12:13], v[4:5]
	;; [unrolled: 1-line block ×3, first 2 shown]
                                        ; implicit-def: $vgpr42
	s_and_saveexec_b64 s[34:35], vcc
	s_cbranch_execz .LBB832_118
; %bb.87:
	v_mov_b32_e32 v4, 0
	v_cmp_ne_u16_sdwa s[36:37], v33, v4 src0_sel:WORD_1 src1_sel:DWORD
	v_and_b32_e32 v2, 0xffff, v37
	v_add_u32_e32 v3, 8, v43
	v_cndmask_b32_e64 v5, 0, 1, s[36:37]
	v_mov_b64_e32 v[10:11], s[12:13]
	v_lshl_or_b32 v2, v5, 16, v2
	v_cmp_gt_u32_e32 vcc, s78, v3
	v_mov_b32_e32 v3, v4
	v_mov_b32_e32 v5, v4
	;; [unrolled: 1-line block ×6, first 2 shown]
	s_mov_b64 s[38:39], 0
	v_mov_b64_e32 v[12:13], s[14:15]
	v_mov_b64_e32 v[14:15], s[16:17]
	;; [unrolled: 1-line block ×3, first 2 shown]
                                        ; implicit-def: $vgpr42
	s_and_saveexec_b64 s[36:37], vcc
	s_cbranch_execz .LBB832_117
; %bb.88:
	v_cmp_ne_u16_e32 vcc, 0, v26
	s_mov_b32 s13, s12
	v_add_u32_e32 v5, 9, v43
	v_cndmask_b32_e64 v3, 0, 1, vcc
	s_mov_b32 s14, s12
	s_mov_b32 s15, s12
	;; [unrolled: 1-line block ×6, first 2 shown]
	v_mov_b64_e32 v[10:11], s[12:13]
	v_alignbit_b32 v3, v3, v37, 16
	v_cmp_gt_u32_e32 vcc, s78, v5
	v_mov_b32_e32 v5, v4
	v_mov_b32_e32 v6, v4
	;; [unrolled: 1-line block ×5, first 2 shown]
	s_mov_b64 s[40:41], 0
	v_mov_b64_e32 v[12:13], s[14:15]
	v_mov_b64_e32 v[14:15], s[16:17]
	;; [unrolled: 1-line block ×3, first 2 shown]
                                        ; implicit-def: $vgpr42
	s_and_saveexec_b64 s[38:39], vcc
	s_cbranch_execz .LBB832_116
; %bb.89:
	ds_read_b128 v[30:33], v41 offset:18
	v_mov_b32_e32 v6, 0
	v_cmp_ne_u16_sdwa s[40:41], v26, v6 src0_sel:WORD_1 src1_sel:DWORD
	v_add_u32_e32 v5, 10, v43
	v_mov_b64_e32 v[10:11], s[12:13]
	v_cndmask_b32_e64 v4, 0, 1, s[40:41]
	s_waitcnt lgkmcnt(0)
	v_and_b32_e32 v7, 0xffff, v30
	v_lshl_or_b32 v4, v4, 16, v7
	v_cmp_gt_u32_e32 vcc, s78, v5
	v_mov_b32_e32 v5, v6
	v_mov_b32_e32 v7, v6
	;; [unrolled: 1-line block ×4, first 2 shown]
	s_mov_b64 s[42:43], 0
	v_mov_b64_e32 v[12:13], s[14:15]
	v_mov_b64_e32 v[14:15], s[16:17]
	;; [unrolled: 1-line block ×3, first 2 shown]
                                        ; implicit-def: $vgpr42
	s_and_saveexec_b64 s[40:41], vcc
	s_cbranch_execz .LBB832_115
; %bb.90:
	v_cmp_ne_u16_e32 vcc, 0, v27
	s_mov_b32 s13, s12
	v_add_u32_e32 v7, 11, v43
	v_cndmask_b32_e64 v5, 0, 1, vcc
	s_mov_b32 s14, s12
	s_mov_b32 s15, s12
	;; [unrolled: 1-line block ×6, first 2 shown]
	v_mov_b64_e32 v[10:11], s[12:13]
	v_alignbit_b32 v5, v5, v30, 16
	v_cmp_gt_u32_e32 vcc, s78, v7
	v_mov_b32_e32 v7, v6
	v_mov_b32_e32 v8, v6
	;; [unrolled: 1-line block ×3, first 2 shown]
	s_mov_b64 s[44:45], 0
	v_mov_b64_e32 v[12:13], s[14:15]
	v_mov_b64_e32 v[14:15], s[16:17]
	;; [unrolled: 1-line block ×3, first 2 shown]
                                        ; implicit-def: $vgpr42
	s_and_saveexec_b64 s[42:43], vcc
	s_cbranch_execz .LBB832_114
; %bb.91:
	v_mov_b32_e32 v8, 0
	v_cmp_ne_u16_sdwa s[44:45], v27, v8 src0_sel:WORD_1 src1_sel:DWORD
	v_and_b32_e32 v6, 0xffff, v31
	v_add_u32_e32 v7, 12, v43
	v_cndmask_b32_e64 v9, 0, 1, s[44:45]
	v_mov_b64_e32 v[10:11], s[12:13]
	v_lshl_or_b32 v6, v9, 16, v6
	v_cmp_gt_u32_e32 vcc, s78, v7
	v_mov_b32_e32 v7, v8
	v_mov_b32_e32 v9, v8
	s_mov_b64 s[46:47], 0
	v_mov_b64_e32 v[12:13], s[14:15]
	v_mov_b64_e32 v[14:15], s[16:17]
	;; [unrolled: 1-line block ×3, first 2 shown]
                                        ; implicit-def: $vgpr42
	s_and_saveexec_b64 s[44:45], vcc
	s_cbranch_execz .LBB832_113
; %bb.92:
	v_cmp_ne_u16_e32 vcc, 0, v28
	s_mov_b32 s13, s12
	v_add_u32_e32 v9, 13, v43
	v_cndmask_b32_e64 v7, 0, 1, vcc
	s_mov_b32 s14, s12
	s_mov_b32 s15, s12
	;; [unrolled: 1-line block ×6, first 2 shown]
	v_mov_b64_e32 v[10:11], s[12:13]
	v_alignbit_b32 v7, v7, v31, 16
	v_cmp_gt_u32_e32 vcc, s78, v9
	v_mov_b32_e32 v9, v8
	s_mov_b64 s[48:49], 0
	v_mov_b64_e32 v[12:13], s[14:15]
	v_mov_b64_e32 v[14:15], s[16:17]
	;; [unrolled: 1-line block ×3, first 2 shown]
                                        ; implicit-def: $vgpr42
	s_and_saveexec_b64 s[46:47], vcc
	s_cbranch_execz .LBB832_112
; %bb.93:
	v_mov_b32_e32 v9, 0
	v_add_u32_e32 v10, 14, v43
	v_cmp_ne_u16_sdwa s[48:49], v28, v9 src0_sel:WORD_1 src1_sel:DWORD
	v_and_b32_e32 v8, 0xffff, v32
	v_cmp_gt_u32_e32 vcc, s78, v10
	v_cndmask_b32_e64 v9, 0, 1, s[48:49]
	v_mov_b64_e32 v[10:11], s[12:13]
	v_lshl_or_b32 v8, v9, 16, v8
	v_mov_b32_e32 v9, s12
	s_mov_b64 s[48:49], 0
	v_mov_b64_e32 v[12:13], s[14:15]
	v_mov_b64_e32 v[14:15], s[16:17]
	;; [unrolled: 1-line block ×3, first 2 shown]
                                        ; implicit-def: $vgpr42
	s_and_saveexec_b64 s[12:13], vcc
	s_cbranch_execz .LBB832_111
; %bb.94:
	s_mov_b32 s80, 0
	v_add_u32_e32 v10, 15, v43
	v_cmp_ne_u16_e32 vcc, 0, v29
	s_mov_b32 s81, s80
	s_mov_b32 s82, s80
	v_cndmask_b32_e64 v9, 0, 1, vcc
	v_cmp_gt_u32_e32 vcc, s78, v10
	s_mov_b32 s83, s80
	s_mov_b32 s84, s80
	;; [unrolled: 1-line block ×5, first 2 shown]
	v_mov_b64_e32 v[10:11], s[80:81]
	v_alignbit_b32 v9, v9, v32, 16
	s_mov_b64 s[16:17], 0
	v_mov_b64_e32 v[12:13], s[82:83]
	v_mov_b64_e32 v[14:15], s[84:85]
	;; [unrolled: 1-line block ×3, first 2 shown]
                                        ; implicit-def: $vgpr42
	s_and_saveexec_b64 s[14:15], vcc
	s_cbranch_execz .LBB832_110
; %bb.95:
	v_mov_b32_e32 v12, 0
	v_cmp_ne_u16_sdwa s[16:17], v29, v12 src0_sel:WORD_1 src1_sel:DWORD
	v_and_b32_e32 v10, 0xffff, v33
	v_add_u32_e32 v11, 16, v43
	v_cndmask_b32_e64 v13, 0, 1, s[16:17]
	v_lshl_or_b32 v10, v13, 16, v10
	v_cmp_gt_u32_e32 vcc, s78, v11
	v_mov_b32_e32 v11, v12
	v_mov_b32_e32 v13, v12
	;; [unrolled: 1-line block ×6, first 2 shown]
	s_mov_b64 s[18:19], 0
                                        ; implicit-def: $vgpr42
	s_and_saveexec_b64 s[16:17], vcc
	s_cbranch_execz .LBB832_109
; %bb.96:
	v_cmp_ne_u16_e32 vcc, 0, v22
	v_add_u32_e32 v13, 17, v43
	v_mov_b32_e32 v14, v12
	v_cndmask_b32_e64 v11, 0, 1, vcc
	v_alignbit_b32 v11, v11, v33, 16
	v_cmp_gt_u32_e32 vcc, s78, v13
	v_mov_b32_e32 v13, v12
	v_mov_b32_e32 v15, v12
	;; [unrolled: 1-line block ×4, first 2 shown]
                                        ; implicit-def: $vgpr42
	s_and_saveexec_b64 s[18:19], vcc
	s_cbranch_execz .LBB832_108
; %bb.97:
	ds_read_b96 v[26:28], v41 offset:34
	v_mov_b32_e32 v14, 0
	v_cmp_ne_u16_sdwa s[48:49], v22, v14 src0_sel:WORD_1 src1_sel:DWORD
	v_add_u32_e32 v13, 18, v43
	v_cmp_gt_u32_e32 vcc, s78, v13
	v_cndmask_b32_e64 v12, 0, 1, s[48:49]
	s_waitcnt lgkmcnt(0)
	v_and_b32_e32 v15, 0xffff, v26
	v_lshl_or_b32 v12, v12, 16, v15
	v_mov_b32_e32 v13, v14
	v_mov_b32_e32 v15, v14
	;; [unrolled: 1-line block ×4, first 2 shown]
	s_mov_b64 s[50:51], 0
                                        ; implicit-def: $vgpr42
	s_and_saveexec_b64 s[48:49], vcc
	s_cbranch_execz .LBB832_107
; %bb.98:
	v_cmp_ne_u16_e32 vcc, 0, v23
	v_add_u32_e32 v15, 19, v43
	v_mov_b32_e32 v16, v14
	v_cndmask_b32_e64 v13, 0, 1, vcc
	v_alignbit_b32 v13, v13, v26, 16
	v_cmp_gt_u32_e32 vcc, s78, v15
	v_mov_b32_e32 v15, v14
	v_mov_b32_e32 v17, v14
	s_mov_b64 s[52:53], 0
                                        ; implicit-def: $vgpr42
	s_and_saveexec_b64 s[50:51], vcc
	s_cbranch_execz .LBB832_106
; %bb.99:
	v_mov_b32_e32 v16, 0
	v_cmp_ne_u16_sdwa s[52:53], v23, v16 src0_sel:WORD_1 src1_sel:DWORD
	v_and_b32_e32 v14, 0xffff, v27
	v_add_u32_e32 v15, 20, v43
	v_cndmask_b32_e64 v17, 0, 1, s[52:53]
	v_lshl_or_b32 v14, v17, 16, v14
	v_cmp_gt_u32_e32 vcc, s78, v15
	v_mov_b32_e32 v15, v16
	v_mov_b32_e32 v17, v16
	s_mov_b64 s[62:63], 0
                                        ; implicit-def: $vgpr42
	s_and_saveexec_b64 s[52:53], vcc
	s_cbranch_execz .LBB832_105
; %bb.100:
	v_cmp_ne_u16_e32 vcc, 0, v24
	v_add_u32_e32 v17, 21, v43
	s_mov_b32 s9, 0
	v_cndmask_b32_e64 v15, 0, 1, vcc
	v_alignbit_b32 v15, v15, v27, 16
	v_cmp_gt_u32_e32 vcc, s78, v17
	v_mov_b32_e32 v17, v16
	s_mov_b64 s[64:65], 0
                                        ; implicit-def: $vgpr42
	s_and_saveexec_b64 s[62:63], vcc
	s_cbranch_execz .LBB832_104
; %bb.101:
	v_mov_b32_e32 v17, 0
	v_cmp_ne_u16_sdwa s[64:65], v24, v17 src0_sel:WORD_1 src1_sel:DWORD
	v_and_b32_e32 v16, 0xffff, v28
	v_add_u32_e32 v22, 22, v43
	v_cndmask_b32_e64 v17, 0, 1, s[64:65]
	v_lshl_or_b32 v16, v17, 16, v16
	v_cmp_gt_u32_e32 vcc, s78, v22
	v_mov_b32_e32 v17, s9
	s_mov_b64 s[64:65], 0
                                        ; implicit-def: $vgpr42
	s_and_saveexec_b64 s[72:73], vcc
	s_xor_b64 s[72:73], exec, s[72:73]
	s_cbranch_execz .LBB832_103
; %bb.102:
	ds_read_u16 v42, v41 offset:46
	v_add_u32_e32 v22, 23, v43
	v_cmp_ne_u16_e32 vcc, 0, v25
	s_nop 1
	v_cndmask_b32_e64 v17, 0, 1, vcc
	v_cmp_gt_u32_e32 vcc, s78, v22
	v_alignbit_b32 v17, v17, v28, 16
	s_and_b64 s[64:65], vcc, exec
.LBB832_103:
	s_or_b64 exec, exec, s[72:73]
	s_and_b64 s[64:65], s[64:65], exec
.LBB832_104:
	s_or_b64 exec, exec, s[62:63]
	s_and_b64 s[62:63], s[64:65], exec
.LBB832_105:
	s_or_b64 exec, exec, s[52:53]
	s_and_b64 s[52:53], s[62:63], exec
.LBB832_106:
	s_or_b64 exec, exec, s[50:51]
	s_and_b64 s[50:51], s[52:53], exec
.LBB832_107:
	s_or_b64 exec, exec, s[48:49]
	s_and_b64 s[48:49], s[50:51], exec
.LBB832_108:
	s_or_b64 exec, exec, s[18:19]
	s_and_b64 s[18:19], s[48:49], exec
.LBB832_109:
	s_or_b64 exec, exec, s[16:17]
	s_and_b64 s[16:17], s[18:19], exec
.LBB832_110:
	s_or_b64 exec, exec, s[14:15]
	s_and_b64 s[48:49], s[16:17], exec
.LBB832_111:
	s_or_b64 exec, exec, s[12:13]
	s_and_b64 s[48:49], s[48:49], exec
.LBB832_112:
	s_or_b64 exec, exec, s[46:47]
	s_and_b64 s[46:47], s[48:49], exec
.LBB832_113:
	s_or_b64 exec, exec, s[44:45]
	s_and_b64 s[44:45], s[46:47], exec
.LBB832_114:
	s_or_b64 exec, exec, s[42:43]
	s_and_b64 s[42:43], s[44:45], exec
.LBB832_115:
	s_or_b64 exec, exec, s[40:41]
	s_and_b64 s[40:41], s[42:43], exec
.LBB832_116:
	s_or_b64 exec, exec, s[38:39]
	s_and_b64 s[38:39], s[40:41], exec
.LBB832_117:
	s_or_b64 exec, exec, s[36:37]
	s_and_b64 s[36:37], s[38:39], exec
.LBB832_118:
	s_or_b64 exec, exec, s[34:35]
	s_and_b64 s[34:35], s[36:37], exec
.LBB832_119:
	s_or_b64 exec, exec, s[30:31]
	s_and_b64 s[30:31], s[34:35], exec
.LBB832_120:
	s_or_b64 exec, exec, s[28:29]
	s_and_b64 s[28:29], s[30:31], exec
.LBB832_121:
	s_or_b64 exec, exec, s[26:27]
	s_and_b64 s[26:27], s[28:29], exec
.LBB832_122:
	s_or_b64 exec, exec, s[22:23]
	s_and_b64 s[26:27], s[26:27], exec
.LBB832_123:
	s_or_b64 exec, exec, s[20:21]
	s_and_b64 s[26:27], s[26:27], exec
.LBB832_124:
	s_or_b64 exec, exec, s[24:25]
	s_and_b64 s[12:13], s[26:27], exec
.LBB832_125:
	s_or_b64 exec, exec, s[10:11]
	s_and_b64 vcc, exec, s[6:7]
	v_lshlrev_b32_e32 v22, 1, v0
	s_cbranch_vccnz .LBB832_127
	s_branch .LBB832_128
.LBB832_126:
	s_mov_b64 s[12:13], 0
                                        ; implicit-def: $vgpr38_vgpr39
                                        ; implicit-def: $vgpr18_vgpr19_vgpr20_vgpr21
                                        ; implicit-def: $vgpr2_vgpr3_vgpr4_vgpr5_vgpr6_vgpr7_vgpr8_vgpr9
                                        ; implicit-def: $vgpr10_vgpr11_vgpr12_vgpr13_vgpr14_vgpr15_vgpr16_vgpr17
                                        ; implicit-def: $vgpr40
                                        ; implicit-def: $vgpr42
                                        ; implicit-def: $vgpr1
                                        ; implicit-def: $sgpr8
	s_and_b64 vcc, exec, s[6:7]
	v_lshlrev_b32_e32 v22, 1, v0
	s_cbranch_vccz .LBB832_128
.LBB832_127:
	v_mov_b32_e32 v23, 0
	v_lshl_add_u64 v[2:3], s[54:55], 0, v[22:23]
	v_add_co_u32_e32 v4, vcc, 0x1000, v2
	flat_load_ushort v1, v[2:3]
	flat_load_ushort v8, v[2:3] offset:512
	flat_load_ushort v9, v[2:3] offset:1024
	;; [unrolled: 1-line block ×7, first 2 shown]
	v_addc_co_u32_e32 v5, vcc, 0, v3, vcc
	v_add_co_u32_e32 v2, vcc, 0x2000, v2
	flat_load_ushort v15, v[4:5]
	flat_load_ushort v16, v[4:5] offset:512
	flat_load_ushort v17, v[4:5] offset:1024
	;; [unrolled: 1-line block ×7, first 2 shown]
	v_addc_co_u32_e32 v3, vcc, 0, v3, vcc
	flat_load_ushort v25, v[2:3]
	flat_load_ushort v26, v[2:3] offset:512
	flat_load_ushort v27, v[2:3] offset:1024
	;; [unrolled: 1-line block ×7, first 2 shown]
	s_movk_i32 s6, 0x1000
	v_lshl_add_u64 v[2:3], s[0:1], 0, v[22:23]
	v_add_co_u32_e32 v4, vcc, s6, v2
	s_movk_i32 s7, 0x2000
	v_mad_u32_u24 v33, v0, 46, v22
	s_movk_i32 s8, 0xffd2
	v_addc_co_u32_e32 v5, vcc, 0, v3, vcc
	v_mad_i32_i24 v34, v0, s8, v33
	v_add_co_u32_e32 v6, vcc, s7, v2
	s_or_b64 s[12:13], s[12:13], exec
	s_nop 0
	v_addc_co_u32_e32 v7, vcc, 0, v3, vcc
                                        ; implicit-def: $sgpr8
	s_waitcnt vmcnt(0) lgkmcnt(0)
	ds_write_b16 v22, v1
	ds_write_b16 v22, v8 offset:512
	ds_write_b16 v22, v9 offset:1024
	ds_write_b16 v22, v10 offset:1536
	ds_write_b16 v22, v11 offset:2048
	ds_write_b16 v22, v12 offset:2560
	ds_write_b16 v22, v13 offset:3072
	ds_write_b16 v22, v14 offset:3584
	ds_write_b16 v22, v15 offset:4096
	ds_write_b16 v22, v16 offset:4608
	ds_write_b16 v22, v17 offset:5120
	ds_write_b16 v22, v18 offset:5632
	ds_write_b16 v22, v19 offset:6144
	ds_write_b16 v22, v20 offset:6656
	ds_write_b16 v22, v21 offset:7168
	ds_write_b16 v22, v24 offset:7680
	ds_write_b16 v22, v25 offset:8192
	ds_write_b16 v22, v26 offset:8704
	ds_write_b16 v22, v27 offset:9216
	ds_write_b16 v22, v28 offset:9728
	ds_write_b16 v22, v29 offset:10240
	ds_write_b16 v22, v30 offset:10752
	ds_write_b16 v22, v31 offset:11264
	ds_write_b16 v22, v32 offset:11776
	s_waitcnt lgkmcnt(0)
	s_barrier
	ds_read_b128 v[24:27], v33 offset:30
	ds_read_u16 v40, v33 offset:46
	ds_read_b32 v1, v33
	ds_read_u16 v14, v33 offset:4
	ds_read_b64 v[8:9], v33 offset:6
	ds_read_b128 v[10:13], v33 offset:14
	s_waitcnt lgkmcnt(4)
	ds_write_b16 v34, v40 offset:12288
	s_waitcnt lgkmcnt(0)
	s_barrier
	s_barrier
	flat_load_ushort v15, v[2:3]
	flat_load_ushort v16, v[2:3] offset:512
	flat_load_ushort v17, v[2:3] offset:1024
	;; [unrolled: 1-line block ×7, first 2 shown]
	flat_load_ushort v29, v[4:5]
	flat_load_ushort v30, v[4:5] offset:512
	flat_load_ushort v31, v[4:5] offset:1024
	;; [unrolled: 1-line block ×6, first 2 shown]
                                        ; kill: killed $vgpr2 killed $vgpr3
	flat_load_ushort v2, v[4:5] offset:3584
	flat_load_ushort v3, v[6:7]
	flat_load_ushort v37, v[6:7] offset:512
	flat_load_ushort v38, v[6:7] offset:1024
	;; [unrolled: 1-line block ×7, first 2 shown]
	v_cmp_ne_u16_sdwa s[0:1], v1, v23 src0_sel:WORD_1 src1_sel:DWORD
	v_cmp_ne_u16_e32 vcc, 0, v1
	s_waitcnt vmcnt(0) lgkmcnt(0)
	ds_write_b16 v22, v15
	ds_write_b16 v22, v16 offset:512
	ds_write_b16 v22, v17 offset:1024
	;; [unrolled: 1-line block ×23, first 2 shown]
	v_cndmask_b32_e64 v45, 0, 1, s[0:1]
	v_cmp_ne_u16_sdwa s[0:1], v9, v23 src0_sel:WORD_1 src1_sel:DWORD
	v_cndmask_b32_e64 v46, 0, 1, vcc
	v_cmp_ne_u16_e32 vcc, 0, v14
	v_cndmask_b32_e64 v14, 0, 1, s[0:1]
	v_cmp_ne_u16_sdwa s[0:1], v8, v23 src0_sel:WORD_1 src1_sel:DWORD
	s_waitcnt lgkmcnt(0)
	s_barrier
	ds_read_b32 v15, v33
	ds_read_u16 v16, v33 offset:4
	ds_read_b64 v[6:7], v33 offset:6
	ds_read_b128 v[2:5], v33 offset:14
	ds_read_b128 v[28:31], v33 offset:30
	ds_read_u16 v42, v33 offset:46
	v_cndmask_b32_e64 v1, 0, 1, vcc
	v_cndmask_b32_e64 v47, 0, 1, s[0:1]
	v_cmp_ne_u16_e32 vcc, 0, v9
	v_cmp_ne_u16_sdwa s[0:1], v13, v23 src0_sel:WORD_1 src1_sel:DWORD
	s_waitcnt lgkmcnt(4)
	v_lshl_or_b32 v1, v1, 16, v16
	v_cndmask_b32_e64 v9, 0, 1, vcc
	v_cndmask_b32_e64 v48, 0, 1, s[0:1]
	s_waitcnt lgkmcnt(3)
	v_and_b32_e32 v16, 0xffff, v7
	v_cmp_ne_u16_sdwa s[0:1], v12, v23 src0_sel:WORD_1 src1_sel:DWORD
	s_waitcnt lgkmcnt(2)
	v_and_b32_e32 v33, 0xffff, v5
	v_lshl_or_b32 v20, v9, 16, v16
	v_alignbit_b32 v9, v48, v5, 16
	v_cndmask_b32_e64 v5, 0, 1, s[0:1]
	v_cmp_ne_u16_sdwa s[0:1], v11, v23 src0_sel:WORD_1 src1_sel:DWORD
	v_cmp_ne_u16_e32 vcc, 0, v8
	v_and_b32_e32 v17, 0xffff, v15
	v_alignbit_b32 v39, v45, v15, 16
	v_and_b32_e32 v15, 0xffff, v6
	v_alignbit_b32 v21, v14, v7, 16
	v_alignbit_b32 v19, v47, v6, 16
	v_and_b32_e32 v6, 0xffff, v4
	v_alignbit_b32 v7, v5, v4, 16
	v_cndmask_b32_e64 v4, 0, 1, s[0:1]
	v_cmp_ne_u16_sdwa s[0:1], v10, v23 src0_sel:WORD_1 src1_sel:DWORD
	v_cndmask_b32_e64 v8, 0, 1, vcc
	v_and_b32_e32 v32, 0xffff, v3
	v_alignbit_b32 v5, v4, v3, 16
	v_cndmask_b32_e64 v3, 0, 1, s[0:1]
	v_cmp_ne_u16_e32 vcc, 0, v13
	v_and_b32_e32 v14, 0xffff, v2
	v_alignbit_b32 v3, v3, v2, 16
	v_cndmask_b32_e64 v2, 0, 1, vcc
	v_cmp_ne_u16_e32 vcc, 0, v12
	v_lshl_or_b32 v18, v8, 16, v15
	v_lshl_or_b32 v8, v2, 16, v33
	v_cndmask_b32_e64 v2, 0, 1, vcc
	v_cmp_ne_u16_e32 vcc, 0, v11
	v_cmp_ne_u16_sdwa s[0:1], v27, v23 src0_sel:WORD_1 src1_sel:DWORD
	v_lshl_or_b32 v6, v2, 16, v6
	v_cndmask_b32_e64 v2, 0, 1, vcc
	v_cmp_ne_u16_e32 vcc, 0, v10
	v_cndmask_b32_e64 v11, 0, 1, s[0:1]
	v_cmp_ne_u16_sdwa s[0:1], v26, v23 src0_sel:WORD_1 src1_sel:DWORD
	v_lshl_or_b32 v38, v46, 16, v17
	v_lshl_or_b32 v4, v2, 16, v32
	v_cndmask_b32_e64 v2, 0, 1, vcc
	s_waitcnt lgkmcnt(1)
	v_alignbit_b32 v17, v11, v31, 16
	v_cndmask_b32_e64 v11, 0, 1, s[0:1]
	v_cmp_ne_u16_sdwa s[0:1], v25, v23 src0_sel:WORD_1 src1_sel:DWORD
	v_cmp_ne_u16_e32 vcc, 0, v27
	v_and_b32_e32 v16, 0xffff, v31
	v_alignbit_b32 v15, v11, v30, 16
	v_cndmask_b32_e64 v11, 0, 1, s[0:1]
	v_cmp_ne_u16_sdwa s[0:1], v24, v23 src0_sel:WORD_1 src1_sel:DWORD
	v_cndmask_b32_e64 v23, 0, 1, vcc
	v_cmp_ne_u16_e32 vcc, 0, v26
	v_lshl_or_b32 v2, v2, 16, v14
	v_and_b32_e32 v14, 0xffff, v30
	v_lshl_or_b32 v16, v23, 16, v16
	v_cndmask_b32_e64 v23, 0, 1, vcc
	v_cmp_ne_u16_e32 vcc, 0, v25
	v_and_b32_e32 v12, 0xffff, v29
	v_lshl_or_b32 v14, v23, 16, v14
	v_cndmask_b32_e64 v23, 0, 1, vcc
	v_cmp_ne_u16_e32 vcc, 0, v24
	v_and_b32_e32 v10, 0xffff, v28
	v_alignbit_b32 v13, v11, v29, 16
	v_cndmask_b32_e64 v11, 0, 1, s[0:1]
	v_lshl_or_b32 v12, v23, 16, v12
	v_cndmask_b32_e64 v23, 0, 1, vcc
	v_alignbit_b32 v11, v11, v28, 16
	v_lshl_or_b32 v10, v23, 16, v10
.LBB832_128:
	v_mov_b32_e32 v23, s8
	s_and_saveexec_b64 s[0:1], s[12:13]
	s_cbranch_execz .LBB832_130
; %bb.129:
	v_cmp_ne_u16_e32 vcc, 0, v40
	s_waitcnt lgkmcnt(0)
	v_and_b32_e32 v23, 0xffff, v42
	v_cndmask_b32_e64 v24, 0, 1, vcc
	v_lshl_or_b32 v23, v24, 16, v23
.LBB832_130:
	s_or_b64 exec, exec, s[0:1]
	s_cmp_lg_u32 s71, 0
	v_mbcnt_lo_u32_b32 v34, -1, 0
	s_waitcnt lgkmcnt(0)
	s_barrier
	s_cbranch_scc0 .LBB832_223
; %bb.131:
	s_mov_b32 s0, 0x10000
	v_cmp_gt_u32_e64 s[6:7], s0, v39
	v_cmp_gt_u32_e64 s[8:9], s0, v1
	v_cmp_gt_u32_e64 s[10:11], s0, v18
	v_cndmask_b32_e64 v24, 0, v38, s[6:7]
	v_add_u16_e32 v24, v24, v39
	v_cndmask_b32_e64 v24, 0, v24, s[8:9]
	v_add_u16_e32 v24, v24, v1
	v_cndmask_b32_e64 v24, 0, v24, s[10:11]
	v_add_u16_e32 v24, v24, v18
	v_cmp_gt_u32_e64 s[12:13], s0, v19
	v_cmp_gt_u32_e64 s[14:15], s0, v20
	v_cmp_gt_u32_e64 s[16:17], s0, v21
	v_cndmask_b32_e64 v24, 0, v24, s[12:13]
	v_add_u16_e32 v24, v24, v19
	v_cndmask_b32_e64 v24, 0, v24, s[14:15]
	v_add_u16_e32 v24, v24, v20
	v_cndmask_b32_e64 v24, 0, v24, s[16:17]
	v_add_u16_e32 v24, v24, v21
	;; [unrolled: 9-line block ×5, first 2 shown]
	v_cmp_gt_u32_e64 s[38:39], s0, v11
	v_cmp_gt_u32_e64 s[40:41], s0, v12
	v_or3_b32 v25, v23, v17, v16
	v_cndmask_b32_e64 v24, 0, v24, s[38:39]
	v_add_u16_e32 v24, v24, v11
	v_cndmask_b32_e64 v24, 0, v24, s[40:41]
	v_add_u16_e32 v24, v24, v12
	v_cmp_gt_u32_e64 s[42:43], s0, v13
	v_or3_b32 v25, v25, v15, v14
	v_or3_b32 v25, v25, v13, v12
	v_cndmask_b32_e64 v24, 0, v24, s[42:43]
	v_add_u16_e32 v24, v24, v13
	v_cmp_gt_u32_e64 s[44:45], s0, v14
	v_or3_b32 v25, v25, v11, v10
	v_or3_b32 v25, v25, v9, v8
	;; [unrolled: 5-line block ×5, first 2 shown]
	v_cndmask_b32_e64 v24, 0, v24, s[50:51]
	v_add_u16_e32 v24, v24, v17
	v_cmp_gt_u32_e64 s[52:53], s0, v23
	v_and_b32_e32 v25, 0x10000, v25
	v_lshrrev_b32_e32 v35, 16, v38
	v_cndmask_b32_e64 v26, 0, v24, s[52:53]
	v_cmp_ne_u32_e32 vcc, 0, v25
	v_add_u16_e32 v24, v26, v23
	v_mbcnt_hi_u32_b32 v27, -1, v34
	v_cndmask_b32_e64 v25, v35, 1, vcc
	v_add_u16_e32 v26, v26, v23
	v_and_b32_e32 v29, 15, v27
	v_lshl_or_b32 v26, v25, 16, v26
	v_cmp_ne_u32_e32 vcc, 0, v29
	s_nop 0
	v_mov_b32_dpp v28, v26 row_shr:1 row_mask:0xf bank_mask:0xf
	s_and_saveexec_b64 s[0:1], vcc
	s_cbranch_execz .LBB832_133
; %bb.132:
	v_cmp_eq_u32_e32 vcc, 0, v25
	v_and_b32_e32 v25, 1, v25
	v_mov_b32_e32 v31, 1
	v_cndmask_b32_e32 v26, 0, v28, vcc
	v_and_b32_sdwa v28, v28, v31 dst_sel:DWORD dst_unused:UNUSED_PAD src0_sel:WORD_1 src1_sel:DWORD
	v_cmp_eq_u32_e32 vcc, 1, v25
	v_add_u16_e32 v30, v26, v24
	v_add_u16_e32 v24, v26, v24
	v_cndmask_b32_e64 v25, v28, 1, vcc
	v_lshlrev_b32_e32 v28, 16, v25
	v_or_b32_e32 v26, v28, v24
	v_mov_b32_e32 v24, v30
.LBB832_133:
	s_or_b64 exec, exec, s[0:1]
	v_lshrrev_b32_e32 v28, 16, v26
	v_mov_b32_dpp v30, v26 row_shr:2 row_mask:0xf bank_mask:0xf
	v_cmp_lt_u32_e32 vcc, 1, v29
	s_and_saveexec_b64 s[0:1], vcc
	s_cbranch_execz .LBB832_135
; %bb.134:
	s_mov_b32 s54, 0x10000
	v_cmp_gt_u32_e32 vcc, s54, v26
	v_and_b32_e32 v25, 0x10000, v26
	v_mov_b32_e32 v26, 1
	v_cndmask_b32_e32 v28, 0, v30, vcc
	v_and_b32_sdwa v26, v30, v26 dst_sel:DWORD dst_unused:UNUSED_PAD src0_sel:WORD_1 src1_sel:DWORD
	v_cmp_ne_u32_e32 vcc, 0, v25
	v_add_u16_e32 v31, v28, v24
	v_add_u16_e32 v24, v28, v24
	v_cndmask_b32_e64 v25, v26, 1, vcc
	v_lshlrev_b32_e32 v26, 16, v25
	v_or_b32_e32 v26, v26, v24
	v_mov_b32_e32 v28, v25
	v_mov_b32_e32 v24, v31
.LBB832_135:
	s_or_b64 exec, exec, s[0:1]
	v_mov_b32_dpp v30, v26 row_shr:4 row_mask:0xf bank_mask:0xf
	v_cmp_lt_u32_e32 vcc, 3, v29
	s_and_saveexec_b64 s[0:1], vcc
	s_cbranch_execz .LBB832_137
; %bb.136:
	v_mov_b32_e32 v25, 0
	v_cmp_eq_u16_sdwa vcc, v28, v25 src0_sel:BYTE_0 src1_sel:DWORD
	v_and_b32_e32 v25, 1, v28
	v_mov_b32_e32 v28, 1
	v_cndmask_b32_e32 v26, 0, v30, vcc
	v_and_b32_sdwa v28, v30, v28 dst_sel:DWORD dst_unused:UNUSED_PAD src0_sel:WORD_1 src1_sel:DWORD
	v_cmp_eq_u32_e32 vcc, 1, v25
	v_add_u16_e32 v31, v26, v24
	v_add_u16_e32 v24, v26, v24
	v_cndmask_b32_e64 v25, v28, 1, vcc
	v_lshlrev_b32_e32 v28, 16, v25
	v_or_b32_e32 v26, v28, v24
	v_mov_b32_e32 v28, v25
	v_mov_b32_e32 v24, v31
.LBB832_137:
	s_or_b64 exec, exec, s[0:1]
	v_mov_b32_dpp v30, v26 row_shr:8 row_mask:0xf bank_mask:0xf
	v_cmp_lt_u32_e32 vcc, 7, v29
	s_and_saveexec_b64 s[0:1], vcc
	s_cbranch_execz .LBB832_139
; %bb.138:
	v_mov_b32_e32 v25, 0
	v_cmp_eq_u16_sdwa vcc, v28, v25 src0_sel:BYTE_0 src1_sel:DWORD
	v_and_b32_e32 v25, 1, v28
	v_mov_b32_e32 v28, 1
	v_cndmask_b32_e32 v26, 0, v30, vcc
	v_and_b32_sdwa v28, v30, v28 dst_sel:DWORD dst_unused:UNUSED_PAD src0_sel:WORD_1 src1_sel:DWORD
	v_cmp_eq_u32_e32 vcc, 1, v25
	v_add_u16_e32 v29, v26, v24
	v_add_u16_e32 v24, v26, v24
	v_cndmask_b32_e64 v25, v28, 1, vcc
	v_lshlrev_b32_e32 v28, 16, v25
	v_or_b32_e32 v26, v28, v24
	v_mov_b32_e32 v28, v25
	v_mov_b32_e32 v24, v29
.LBB832_139:
	s_or_b64 exec, exec, s[0:1]
	v_and_b32_e32 v30, 16, v27
	v_mov_b32_dpp v29, v26 row_bcast:15 row_mask:0xf bank_mask:0xf
	v_cmp_ne_u32_e32 vcc, 0, v30
	s_and_saveexec_b64 s[0:1], vcc
	s_cbranch_execz .LBB832_141
; %bb.140:
	v_mov_b32_e32 v25, 0
	v_cmp_eq_u16_sdwa vcc, v28, v25 src0_sel:BYTE_0 src1_sel:DWORD
	v_and_b32_e32 v25, 1, v28
	v_mov_b32_e32 v28, 1
	v_cndmask_b32_e32 v26, 0, v29, vcc
	v_and_b32_sdwa v28, v29, v28 dst_sel:DWORD dst_unused:UNUSED_PAD src0_sel:WORD_1 src1_sel:DWORD
	v_cmp_eq_u32_e32 vcc, 1, v25
	v_add_u16_e32 v30, v26, v24
	v_add_u16_e32 v24, v26, v24
	v_cndmask_b32_e64 v25, v28, 1, vcc
	v_lshlrev_b32_e32 v28, 16, v25
	v_or_b32_e32 v26, v28, v24
	v_mov_b32_e32 v24, v30
	v_mov_b32_e32 v28, v25
.LBB832_141:
	s_or_b64 exec, exec, s[0:1]
	v_mov_b32_dpp v26, v26 row_bcast:31 row_mask:0xf bank_mask:0xf
	v_cmp_lt_u32_e32 vcc, 31, v27
	s_and_saveexec_b64 s[0:1], vcc
; %bb.142:
	v_mov_b32_e32 v25, 0
	v_cmp_eq_u16_sdwa vcc, v28, v25 src0_sel:BYTE_0 src1_sel:DWORD
	s_nop 1
	v_cndmask_b32_e32 v25, 0, v26, vcc
	v_add_u16_e32 v24, v25, v24
	v_and_b32_e32 v25, 1, v28
	v_mov_b32_e32 v28, 1
	v_and_b32_sdwa v26, v26, v28 dst_sel:DWORD dst_unused:UNUSED_PAD src0_sel:WORD_1 src1_sel:DWORD
	v_cmp_eq_u32_e32 vcc, 1, v25
	s_nop 1
	v_cndmask_b32_e64 v25, v26, 1, vcc
; %bb.143:
	s_or_b64 exec, exec, s[0:1]
	v_or_b32_e32 v28, 63, v0
	v_lshrrev_b32_e32 v26, 6, v0
	v_cmp_eq_u32_e32 vcc, v28, v0
	s_and_saveexec_b64 s[0:1], vcc
	s_cbranch_execz .LBB832_145
; %bb.144:
	v_lshlrev_b32_e32 v28, 2, v26
	ds_write_b16 v28, v24
	ds_write_b8 v28, v25 offset:2
.LBB832_145:
	s_or_b64 exec, exec, s[0:1]
	v_cmp_gt_u32_e32 vcc, 4, v0
	s_waitcnt lgkmcnt(0)
	s_barrier
	s_and_saveexec_b64 s[0:1], vcc
	s_cbranch_execz .LBB832_151
; %bb.146:
	v_lshlrev_b32_e32 v28, 2, v0
	ds_read_b32 v29, v28
	v_and_b32_e32 v32, 3, v27
	v_cmp_ne_u32_e32 vcc, 0, v32
	s_waitcnt lgkmcnt(0)
	v_lshrrev_b32_e32 v31, 16, v29
	v_mov_b32_dpp v33, v29 row_shr:1 row_mask:0xf bank_mask:0xf
	v_mov_b32_e32 v30, v29
	s_and_saveexec_b64 s[54:55], vcc
	s_cbranch_execz .LBB832_148
; %bb.147:
	v_mov_b32_e32 v30, 0
	v_cmp_eq_u16_sdwa vcc, v31, v30 src0_sel:BYTE_0 src1_sel:DWORD
	v_and_b32_e32 v31, 0x10000, v29
	v_mov_b32_e32 v40, 1
	v_cndmask_b32_e32 v37, 0, v33, vcc
	v_and_b32_sdwa v33, v33, v40 dst_sel:DWORD dst_unused:UNUSED_PAD src0_sel:WORD_1 src1_sel:DWORD
	v_cmp_ne_u32_e32 vcc, 0, v31
	v_and_b32_e32 v36, 0xff000000, v29
	v_add_u16_e32 v30, v37, v29
	v_cndmask_b32_e64 v31, v33, 1, vcc
	v_lshlrev_b32_e32 v33, 16, v31
	v_add_u16_e32 v29, v37, v29
	v_or3_b32 v29, v33, v36, v29
.LBB832_148:
	s_or_b64 exec, exec, s[54:55]
	s_nop 0
	v_mov_b32_dpp v33, v29 row_shr:2 row_mask:0xf bank_mask:0xf
	v_cmp_lt_u32_e32 vcc, 1, v32
	s_and_saveexec_b64 s[54:55], vcc
; %bb.149:
	v_and_b32_e32 v31, 0xff0000, v29
	v_cmp_eq_u32_e32 vcc, 0, v31
	v_and_b32_e32 v29, 0x10000, v29
	s_nop 0
	v_cndmask_b32_e32 v31, 0, v33, vcc
	v_add_u16_e32 v30, v31, v30
	v_mov_b32_e32 v31, 1
	v_and_b32_sdwa v31, v33, v31 dst_sel:DWORD dst_unused:UNUSED_PAD src0_sel:WORD_1 src1_sel:DWORD
	v_cmp_eq_u32_e32 vcc, 0, v29
	s_nop 1
	v_cndmask_b32_e32 v31, 1, v31, vcc
; %bb.150:
	s_or_b64 exec, exec, s[54:55]
	ds_write_b16 v28, v30
	ds_write_b8 v28, v31 offset:2
.LBB832_151:
	s_or_b64 exec, exec, s[0:1]
	v_cmp_gt_u32_e32 vcc, 64, v0
	v_cmp_lt_u32_e64 s[0:1], 63, v0
	v_mov_b32_e32 v36, 0
	v_mov_b32_e32 v37, 0
	s_waitcnt lgkmcnt(0)
	s_barrier
	s_and_saveexec_b64 s[54:55], s[0:1]
	s_cbranch_execz .LBB832_153
; %bb.152:
	v_lshl_add_u32 v26, v26, 2, -4
	ds_read_u16 v36, v26
	ds_read_u8 v37, v26 offset:2
	v_mov_b32_e32 v28, 0
	v_and_b32_e32 v29, 1, v25
	v_cmp_eq_u16_sdwa s[0:1], v25, v28 src0_sel:BYTE_0 src1_sel:DWORD
	s_waitcnt lgkmcnt(1)
	s_nop 0
	v_cndmask_b32_e64 v25, 0, v36, s[0:1]
	v_cmp_eq_u32_e64 s[0:1], 1, v29
	v_add_u16_e32 v24, v25, v24
	s_waitcnt lgkmcnt(0)
	v_cndmask_b32_e64 v25, v37, 1, s[0:1]
.LBB832_153:
	s_or_b64 exec, exec, s[54:55]
	v_and_b32_e32 v25, 0xff, v25
	v_and_b32_e32 v24, 0xffff, v24
	v_lshl_or_b32 v24, v25, 16, v24
	v_add_u32_e32 v25, -1, v27
	v_and_b32_e32 v26, 64, v27
	v_cmp_lt_i32_e64 s[0:1], v25, v26
	v_cmp_eq_u32_e64 s[54:55], 0, v27
	s_nop 0
	v_cndmask_b32_e64 v25, v25, v27, s[0:1]
	v_lshlrev_b32_e32 v25, 2, v25
	ds_bpermute_b32 v40, v25, v24
	s_and_saveexec_b64 s[0:1], vcc
	s_cbranch_execz .LBB832_200
; %bb.154:
	v_mov_b32_e32 v33, 0
	ds_read_b32 v24, v33 offset:12
	s_and_saveexec_b64 s[62:63], s[54:55]
	s_cbranch_execz .LBB832_156
; %bb.155:
	s_add_i32 s64, s71, 64
	s_mov_b32 s65, 0
	s_lshl_b64 s[64:65], s[64:65], 3
	s_add_u32 s64, s68, s64
	v_mov_b32_e32 v25, 1
	s_addc_u32 s65, s69, s65
	s_waitcnt lgkmcnt(0)
	global_store_dwordx2 v33, v[24:25], s[64:65] sc1
.LBB832_156:
	s_or_b64 exec, exec, s[62:63]
	v_xad_u32 v26, v27, -1, s71
	v_add_u32_e32 v32, 64, v26
	v_lshl_add_u64 v[30:31], v[32:33], 3, s[68:69]
	global_load_dwordx2 v[28:29], v[30:31], off sc1
	s_waitcnt vmcnt(0)
	v_cmp_eq_u16_sdwa s[64:65], v29, v33 src0_sel:BYTE_0 src1_sel:DWORD
	s_and_saveexec_b64 s[62:63], s[64:65]
	s_cbranch_execz .LBB832_162
; %bb.157:
	s_mov_b32 s72, 1
	s_mov_b64 s[64:65], 0
	v_mov_b32_e32 v25, 0
.LBB832_158:                            ; =>This Loop Header: Depth=1
                                        ;     Child Loop BB832_159 Depth 2
	s_max_u32 s73, s72, 1
.LBB832_159:                            ;   Parent Loop BB832_158 Depth=1
                                        ; =>  This Inner Loop Header: Depth=2
	s_add_i32 s73, s73, -1
	s_cmp_eq_u32 s73, 0
	s_sleep 1
	s_cbranch_scc0 .LBB832_159
; %bb.160:                              ;   in Loop: Header=BB832_158 Depth=1
	global_load_dwordx2 v[28:29], v[30:31], off sc1
	s_cmp_lt_u32 s72, 32
	s_cselect_b64 s[78:79], -1, 0
	s_cmp_lg_u64 s[78:79], 0
	s_addc_u32 s72, s72, 0
	s_waitcnt vmcnt(0)
	v_cmp_ne_u16_sdwa s[78:79], v29, v25 src0_sel:BYTE_0 src1_sel:DWORD
	s_or_b64 s[64:65], s[78:79], s[64:65]
	s_andn2_b64 exec, exec, s[64:65]
	s_cbranch_execnz .LBB832_158
; %bb.161:
	s_or_b64 exec, exec, s[64:65]
.LBB832_162:
	s_or_b64 exec, exec, s[62:63]
	v_mov_b32_e32 v25, 2
	v_cmp_eq_u16_sdwa s[62:63], v29, v25 src0_sel:BYTE_0 src1_sel:DWORD
	v_lshlrev_b64 v[30:31], v27, -1
	v_and_b32_e32 v52, 0xffffff, v28
	v_and_b32_e32 v25, s63, v31
	v_or_b32_e32 v25, 0x80000000, v25
	v_ffbl_b32_e32 v25, v25
	v_add_u32_e32 v33, 32, v25
	v_and_b32_e32 v25, 63, v27
	v_cmp_ne_u32_e32 vcc, 63, v25
	v_and_b32_e32 v32, s62, v30
	v_ffbl_b32_e32 v32, v32
	v_addc_co_u32_e32 v41, vcc, 0, v27, vcc
	v_lshlrev_b32_e32 v41, 2, v41
	ds_bpermute_b32 v42, v41, v52
	v_min_u32_e32 v33, v32, v33
	v_lshrrev_b32_e32 v32, 16, v28
	v_cmp_lt_u32_e32 vcc, v25, v33
	v_bfe_u32 v50, v28, 16, 8
	s_and_saveexec_b64 s[62:63], vcc
	s_cbranch_execz .LBB832_164
; %bb.163:
	v_and_b32_e32 v32, 0xff0000, v28
	v_cmp_eq_u32_e32 vcc, 0, v32
	v_and_b32_e32 v32, 0x10000, v32
	v_mov_b32_e32 v45, 1
	s_waitcnt lgkmcnt(0)
	v_cndmask_b32_e32 v43, 0, v42, vcc
	v_and_b32_sdwa v42, v42, v45 dst_sel:DWORD dst_unused:UNUSED_PAD src0_sel:WORD_1 src1_sel:DWORD
	v_cmp_ne_u32_e32 vcc, 0, v32
	v_add_u16_e32 v44, v43, v28
	v_add_u16_e32 v28, v43, v28
	v_cndmask_b32_e64 v32, v42, 1, vcc
	v_lshlrev_b32_e32 v42, 16, v32
	v_or_b32_e32 v52, v42, v28
	v_mov_b32_e32 v28, v44
	v_mov_b32_e32 v50, v32
.LBB832_164:
	s_or_b64 exec, exec, s[62:63]
	v_cmp_gt_u32_e32 vcc, 62, v25
	v_add_u32_e32 v43, 2, v25
	s_waitcnt lgkmcnt(0)
	v_cndmask_b32_e64 v42, 0, 1, vcc
	v_lshlrev_b32_e32 v42, 1, v42
	v_add_lshl_u32 v42, v42, v27, 2
	ds_bpermute_b32 v44, v42, v52
	v_cmp_le_u32_e32 vcc, v43, v33
	s_and_saveexec_b64 s[62:63], vcc
	s_cbranch_execz .LBB832_166
; %bb.165:
	v_cmp_eq_u16_e32 vcc, 0, v50
	v_and_b32_e32 v32, 1, v50
	v_mov_b32_e32 v47, 1
	s_waitcnt lgkmcnt(0)
	v_cndmask_b32_e32 v45, 0, v44, vcc
	v_and_b32_sdwa v44, v44, v47 dst_sel:DWORD dst_unused:UNUSED_PAD src0_sel:WORD_1 src1_sel:DWORD
	v_cmp_eq_u32_e32 vcc, 1, v32
	v_add_u16_e32 v46, v45, v28
	v_add_u16_e32 v28, v45, v28
	v_cndmask_b32_e64 v32, v44, 1, vcc
	v_lshlrev_b32_e32 v44, 16, v32
	v_or_b32_e32 v52, v44, v28
	v_mov_b32_e32 v28, v46
	v_mov_b32_e32 v50, v32
.LBB832_166:
	s_or_b64 exec, exec, s[62:63]
	v_cmp_gt_u32_e32 vcc, 60, v25
	v_add_u32_e32 v45, 4, v25
	s_waitcnt lgkmcnt(0)
	v_cndmask_b32_e64 v44, 0, 1, vcc
	v_lshlrev_b32_e32 v44, 2, v44
	v_add_lshl_u32 v44, v44, v27, 2
	ds_bpermute_b32 v46, v44, v52
	v_cmp_le_u32_e32 vcc, v45, v33
	s_and_saveexec_b64 s[62:63], vcc
	s_cbranch_execz .LBB832_168
; %bb.167:
	v_cmp_eq_u16_e32 vcc, 0, v50
	v_and_b32_e32 v32, 1, v50
	v_mov_b32_e32 v49, 1
	s_waitcnt lgkmcnt(0)
	v_cndmask_b32_e32 v47, 0, v46, vcc
	v_and_b32_sdwa v46, v46, v49 dst_sel:DWORD dst_unused:UNUSED_PAD src0_sel:WORD_1 src1_sel:DWORD
	v_cmp_eq_u32_e32 vcc, 1, v32
	v_add_u16_e32 v48, v47, v28
	v_add_u16_e32 v28, v47, v28
	v_cndmask_b32_e64 v32, v46, 1, vcc
	v_lshlrev_b32_e32 v46, 16, v32
	v_or_b32_e32 v52, v46, v28
	v_mov_b32_e32 v28, v48
	v_mov_b32_e32 v50, v32
.LBB832_168:
	;; [unrolled: 27-line block ×4, first 2 shown]
	s_or_b64 exec, exec, s[62:63]
	v_cmp_gt_u32_e32 vcc, 32, v25
	s_waitcnt lgkmcnt(0)
	s_nop 0
	v_cndmask_b32_e64 v51, 0, 1, vcc
	v_lshlrev_b32_e32 v51, 5, v51
	v_add_lshl_u32 v51, v51, v27, 2
	ds_bpermute_b32 v27, v51, v52
	v_add_u32_e32 v52, 32, v25
	v_cmp_le_u32_e32 vcc, v52, v33
	s_and_saveexec_b64 s[62:63], vcc
	s_cbranch_execz .LBB832_174
; %bb.173:
	v_cmp_eq_u16_e32 vcc, 0, v50
	v_mov_b32_e32 v33, 1
	s_waitcnt lgkmcnt(0)
	v_cndmask_b32_e32 v32, 0, v27, vcc
	v_add_u16_e32 v28, v32, v28
	v_and_b32_e32 v32, 1, v50
	v_and_b32_sdwa v27, v27, v33 dst_sel:DWORD dst_unused:UNUSED_PAD src0_sel:WORD_1 src1_sel:DWORD
	v_cmp_eq_u32_e32 vcc, 1, v32
	s_nop 1
	v_cndmask_b32_e64 v32, v27, 1, vcc
.LBB832_174:
	s_or_b64 exec, exec, s[62:63]
	s_waitcnt lgkmcnt(0)
	v_mov_b32_e32 v27, 0
	v_mov_b32_e32 v54, 2
	;; [unrolled: 1-line block ×3, first 2 shown]
	s_branch .LBB832_176
.LBB832_175:                            ;   in Loop: Header=BB832_176 Depth=1
	s_or_b64 exec, exec, s[62:63]
	v_cmp_eq_u16_sdwa vcc, v50, v27 src0_sel:BYTE_0 src1_sel:DWORD
	v_and_b32_e32 v32, 1, v50
	v_and_b32_e32 v33, 1, v33
	v_cndmask_b32_e32 v28, 0, v28, vcc
	v_cmp_eq_u32_e32 vcc, 1, v32
	v_subrev_u32_e32 v26, 64, v26
	v_add_u16_e32 v28, v28, v53
	v_cndmask_b32_e64 v32, v33, 1, vcc
.LBB832_176:                            ; =>This Loop Header: Depth=1
                                        ;     Child Loop BB832_179 Depth 2
                                        ;       Child Loop BB832_180 Depth 3
	v_cmp_ne_u16_sdwa s[62:63], v29, v54 src0_sel:BYTE_0 src1_sel:DWORD
	v_mov_b32_e32 v50, v32
	v_mov_b32_e32 v53, v28
	v_cndmask_b32_e64 v29, 0, 1, s[62:63]
	;;#ASMSTART
	;;#ASMEND
	s_nop 0
	v_cmp_ne_u32_e32 vcc, 0, v29
	s_cmp_lg_u64 vcc, exec
	s_cbranch_scc1 .LBB832_195
; %bb.177:                              ;   in Loop: Header=BB832_176 Depth=1
	v_lshl_add_u64 v[32:33], v[26:27], 3, s[68:69]
	global_load_dwordx2 v[28:29], v[32:33], off sc1
	s_waitcnt vmcnt(0)
	v_cmp_eq_u16_sdwa s[64:65], v29, v27 src0_sel:BYTE_0 src1_sel:DWORD
	s_and_saveexec_b64 s[62:63], s[64:65]
	s_cbranch_execz .LBB832_183
; %bb.178:                              ;   in Loop: Header=BB832_176 Depth=1
	s_mov_b32 s72, 1
	s_mov_b64 s[64:65], 0
.LBB832_179:                            ;   Parent Loop BB832_176 Depth=1
                                        ; =>  This Loop Header: Depth=2
                                        ;       Child Loop BB832_180 Depth 3
	s_max_u32 s73, s72, 1
.LBB832_180:                            ;   Parent Loop BB832_176 Depth=1
                                        ;     Parent Loop BB832_179 Depth=2
                                        ; =>    This Inner Loop Header: Depth=3
	s_add_i32 s73, s73, -1
	s_cmp_eq_u32 s73, 0
	s_sleep 1
	s_cbranch_scc0 .LBB832_180
; %bb.181:                              ;   in Loop: Header=BB832_179 Depth=2
	global_load_dwordx2 v[28:29], v[32:33], off sc1
	s_cmp_lt_u32 s72, 32
	s_cselect_b64 s[78:79], -1, 0
	s_cmp_lg_u64 s[78:79], 0
	s_addc_u32 s72, s72, 0
	s_waitcnt vmcnt(0)
	v_cmp_ne_u16_sdwa s[78:79], v29, v27 src0_sel:BYTE_0 src1_sel:DWORD
	s_or_b64 s[64:65], s[78:79], s[64:65]
	s_andn2_b64 exec, exec, s[64:65]
	s_cbranch_execnz .LBB832_179
; %bb.182:                              ;   in Loop: Header=BB832_176 Depth=1
	s_or_b64 exec, exec, s[64:65]
.LBB832_183:                            ;   in Loop: Header=BB832_176 Depth=1
	s_or_b64 exec, exec, s[62:63]
	v_cmp_eq_u16_sdwa s[62:63], v29, v54 src0_sel:BYTE_0 src1_sel:DWORD
	s_waitcnt lgkmcnt(0)
	v_and_b32_e32 v57, 0xffffff, v28
	ds_bpermute_b32 v58, v41, v57
	v_and_b32_e32 v32, s63, v31
	v_or_b32_e32 v32, 0x80000000, v32
	v_and_b32_e32 v33, s62, v30
	v_ffbl_b32_e32 v32, v32
	v_add_u32_e32 v32, 32, v32
	v_ffbl_b32_e32 v33, v33
	v_min_u32_e32 v32, v33, v32
	v_lshrrev_b32_e32 v33, 16, v28
	v_cmp_lt_u32_e32 vcc, v25, v32
	v_bfe_u32 v56, v28, 16, 8
	s_and_saveexec_b64 s[62:63], vcc
	s_cbranch_execz .LBB832_185
; %bb.184:                              ;   in Loop: Header=BB832_176 Depth=1
	v_and_b32_e32 v33, 0xff0000, v28
	v_cmp_eq_u32_e32 vcc, 0, v33
	v_and_b32_e32 v33, 0x10000, v33
	s_waitcnt lgkmcnt(0)
	v_and_b32_sdwa v57, v58, v55 dst_sel:DWORD dst_unused:UNUSED_PAD src0_sel:WORD_1 src1_sel:DWORD
	v_cndmask_b32_e32 v56, 0, v58, vcc
	v_cmp_ne_u32_e32 vcc, 0, v33
	v_add_u16_e32 v59, v56, v28
	v_add_u16_e32 v28, v56, v28
	v_cndmask_b32_e64 v33, v57, 1, vcc
	v_lshlrev_b32_e32 v57, 16, v33
	v_or_b32_e32 v57, v57, v28
	v_mov_b32_e32 v28, v59
	v_mov_b32_e32 v56, v33
.LBB832_185:                            ;   in Loop: Header=BB832_176 Depth=1
	s_or_b64 exec, exec, s[62:63]
	s_waitcnt lgkmcnt(0)
	ds_bpermute_b32 v58, v42, v57
	v_cmp_le_u32_e32 vcc, v43, v32
	s_and_saveexec_b64 s[62:63], vcc
	s_cbranch_execz .LBB832_187
; %bb.186:                              ;   in Loop: Header=BB832_176 Depth=1
	v_cmp_eq_u16_e32 vcc, 0, v56
	v_and_b32_e32 v33, 1, v56
	s_waitcnt lgkmcnt(0)
	v_and_b32_sdwa v56, v58, v55 dst_sel:DWORD dst_unused:UNUSED_PAD src0_sel:WORD_1 src1_sel:DWORD
	v_cndmask_b32_e32 v57, 0, v58, vcc
	v_cmp_eq_u32_e32 vcc, 1, v33
	v_add_u16_e32 v59, v57, v28
	v_add_u16_e32 v28, v57, v28
	v_cndmask_b32_e64 v33, v56, 1, vcc
	v_lshlrev_b32_e32 v56, 16, v33
	v_or_b32_e32 v57, v56, v28
	v_mov_b32_e32 v28, v59
	v_mov_b32_e32 v56, v33
.LBB832_187:                            ;   in Loop: Header=BB832_176 Depth=1
	s_or_b64 exec, exec, s[62:63]
	s_waitcnt lgkmcnt(0)
	ds_bpermute_b32 v58, v44, v57
	v_cmp_le_u32_e32 vcc, v45, v32
	s_and_saveexec_b64 s[62:63], vcc
	s_cbranch_execz .LBB832_189
; %bb.188:                              ;   in Loop: Header=BB832_176 Depth=1
	v_cmp_eq_u16_e32 vcc, 0, v56
	v_and_b32_e32 v33, 1, v56
	s_waitcnt lgkmcnt(0)
	v_and_b32_sdwa v56, v58, v55 dst_sel:DWORD dst_unused:UNUSED_PAD src0_sel:WORD_1 src1_sel:DWORD
	v_cndmask_b32_e32 v57, 0, v58, vcc
	v_cmp_eq_u32_e32 vcc, 1, v33
	v_add_u16_e32 v59, v57, v28
	v_add_u16_e32 v28, v57, v28
	v_cndmask_b32_e64 v33, v56, 1, vcc
	v_lshlrev_b32_e32 v56, 16, v33
	v_or_b32_e32 v57, v56, v28
	v_mov_b32_e32 v28, v59
	v_mov_b32_e32 v56, v33
.LBB832_189:                            ;   in Loop: Header=BB832_176 Depth=1
	;; [unrolled: 21-line block ×4, first 2 shown]
	s_or_b64 exec, exec, s[62:63]
	ds_bpermute_b32 v57, v51, v57
	v_cmp_le_u32_e32 vcc, v52, v32
	s_and_saveexec_b64 s[62:63], vcc
	s_cbranch_execz .LBB832_175
; %bb.194:                              ;   in Loop: Header=BB832_176 Depth=1
	v_cmp_eq_u16_e32 vcc, 0, v56
	s_waitcnt lgkmcnt(0)
	v_lshrrev_b32_e32 v33, 16, v57
	v_cndmask_b32_e32 v32, 0, v57, vcc
	v_add_u16_e32 v28, v32, v28
	v_and_b32_e32 v32, 1, v56
	v_cmp_eq_u32_e32 vcc, 1, v32
	s_nop 1
	v_cndmask_b32_e64 v33, v33, 1, vcc
	s_branch .LBB832_175
.LBB832_195:                            ;   in Loop: Header=BB832_176 Depth=1
                                        ; implicit-def: $vgpr32
                                        ; implicit-def: $vgpr28
	s_cbranch_execz .LBB832_176
; %bb.196:
	s_and_saveexec_b64 s[62:63], s[54:55]
	s_cbranch_execz .LBB832_198
; %bb.197:
	v_and_b32_e32 v25, 0xff0000, v24
	s_mov_b32 s65, 0
	v_cmp_eq_u32_e32 vcc, 0, v25
	v_and_b32_e32 v26, 0x10000, v24
	v_mov_b32_e32 v27, 1
	s_add_i32 s64, s71, 64
	v_cndmask_b32_e32 v25, 0, v53, vcc
	v_and_b32_sdwa v27, v50, v27 dst_sel:WORD_1 dst_unused:UNUSED_PAD src0_sel:DWORD src1_sel:DWORD
	v_mov_b32_e32 v28, 0x10000
	v_cmp_eq_u32_e32 vcc, 0, v26
	s_lshl_b64 s[64:65], s[64:65], 3
	s_add_u32 s64, s68, s64
	v_cndmask_b32_e32 v26, v28, v27, vcc
	v_add_u16_e32 v24, v25, v24
	s_addc_u32 s65, s69, s65
	v_mov_b32_e32 v27, 0
	v_or_b32_e32 v24, v26, v24
	v_mov_b32_e32 v25, 2
	global_store_dwordx2 v27, v[24:25], s[64:65] sc1
.LBB832_198:
	s_or_b64 exec, exec, s[62:63]
	s_and_b64 exec, exec, s[56:57]
	s_cbranch_execz .LBB832_200
; %bb.199:
	v_mov_b32_e32 v24, 0
	ds_write_b16 v24, v53 offset:12
	ds_write_b8 v24, v50 offset:14
.LBB832_200:
	s_or_b64 exec, exec, s[0:1]
	s_waitcnt lgkmcnt(0)
	v_lshrrev_b32_e32 v24, 16, v40
	v_mov_b32_e32 v26, 0
	s_mov_b32 s0, 0x10000
	v_cndmask_b32_e64 v24, v24, v37, s[54:55]
	v_cndmask_b32_e64 v25, v40, v36, s[54:55]
	s_barrier
	ds_read_b32 v27, v26 offset:12
	v_cmp_gt_u32_e32 vcc, s0, v38
	v_and_b32_e32 v28, 0x10000, v38
	v_and_b32_e32 v24, 1, v24
	v_cndmask_b32_e32 v25, 0, v25, vcc
	v_cmp_ne_u32_e32 vcc, 0, v28
	v_cndmask_b32_e64 v25, v25, 0, s[56:57]
	v_add_u16_e32 v25, v25, v38
	v_cndmask_b32_e64 v24, v24, 1, vcc
	v_cndmask_b32_e64 v24, v24, v35, s[56:57]
	v_cmp_eq_u16_sdwa vcc, v24, v26 src0_sel:BYTE_0 src1_sel:DWORD
	s_waitcnt lgkmcnt(0)
	s_nop 0
	v_cndmask_b32_e32 v24, 0, v27, vcc
	v_add_u16_e32 v50, v25, v24
	v_cndmask_b32_e64 v24, 0, v50, s[6:7]
	v_add_u16_e32 v24, v24, v39
	v_cndmask_b32_e64 v25, 0, v24, s[8:9]
	v_add_u16_e32 v25, v25, v1
	v_cndmask_b32_e64 v26, 0, v25, s[10:11]
	v_add_u16_e32 v26, v26, v18
	v_cndmask_b32_e64 v27, 0, v26, s[12:13]
	v_add_u16_e32 v27, v27, v19
	v_cndmask_b32_e64 v28, 0, v27, s[14:15]
	v_add_u16_e32 v28, v28, v20
	v_cndmask_b32_e64 v29, 0, v28, s[16:17]
	v_add_u16_e32 v29, v29, v21
	v_cndmask_b32_e64 v30, 0, v29, s[18:19]
	v_add_u16_e32 v31, v30, v2
	v_cndmask_b32_e64 v30, 0, v31, s[20:21]
	v_add_u16_e32 v30, v30, v3
	v_cndmask_b32_e64 v32, 0, v30, s[22:23]
	v_add_u16_e32 v32, v32, v4
	v_cndmask_b32_e64 v33, 0, v32, s[24:25]
	v_add_u16_e32 v33, v33, v5
	v_cndmask_b32_e64 v35, 0, v33, s[26:27]
	v_add_u16_e32 v35, v35, v6
	v_cndmask_b32_e64 v36, 0, v35, s[28:29]
	v_add_u16_e32 v36, v36, v7
	v_cndmask_b32_e64 v37, 0, v36, s[30:31]
	v_add_u16_e32 v37, v37, v8
	v_cndmask_b32_e64 v40, 0, v37, s[34:35]
	v_add_u16_e32 v40, v40, v9
	v_cndmask_b32_e64 v41, 0, v40, s[36:37]
	v_add_u16_e32 v42, v41, v10
	v_cndmask_b32_e64 v41, 0, v42, s[38:39]
	v_add_u16_e32 v41, v41, v11
	v_cndmask_b32_e64 v43, 0, v41, s[40:41]
	v_add_u16_e32 v43, v43, v12
	v_cndmask_b32_e64 v44, 0, v43, s[42:43]
	v_add_u16_e32 v44, v44, v13
	v_cndmask_b32_e64 v45, 0, v44, s[44:45]
	v_add_u16_e32 v45, v45, v14
	v_cndmask_b32_e64 v46, 0, v45, s[46:47]
	v_add_u16_e32 v46, v46, v15
	v_cndmask_b32_e64 v47, 0, v46, s[48:49]
	v_add_u16_e32 v47, v47, v16
	v_cndmask_b32_e64 v48, 0, v47, s[50:51]
	v_add_u16_e32 v48, v48, v17
	v_cndmask_b32_e64 v49, 0, v48, s[52:53]
	v_add_u16_e32 v49, v49, v23
	s_branch .LBB832_253
.LBB832_201:
	s_or_b64 exec, exec, s[62:63]
                                        ; implicit-def: $vgpr20
	s_and_saveexec_b64 s[62:63], s[6:7]
	s_cbranch_execz .LBB832_55
.LBB832_202:
	v_mov_b32_e32 v3, 0
	v_lshl_add_u64 v[20:21], s[0:1], 0, v[2:3]
	flat_load_ushort v20, v[20:21] offset:512
	s_or_b64 exec, exec, s[62:63]
                                        ; implicit-def: $vgpr21
	s_and_saveexec_b64 s[6:7], s[8:9]
	s_cbranch_execnz .LBB832_56
.LBB832_203:
	s_or_b64 exec, exec, s[6:7]
                                        ; implicit-def: $vgpr34
	s_and_saveexec_b64 s[6:7], s[10:11]
	s_cbranch_execz .LBB832_57
.LBB832_204:
	v_mov_b32_e32 v3, 0
	v_lshl_add_u64 v[34:35], s[0:1], 0, v[2:3]
	flat_load_ushort v34, v[34:35] offset:1536
	s_or_b64 exec, exec, s[6:7]
                                        ; implicit-def: $vgpr35
	s_and_saveexec_b64 s[6:7], s[12:13]
	s_cbranch_execnz .LBB832_58
.LBB832_205:
	s_or_b64 exec, exec, s[6:7]
                                        ; implicit-def: $vgpr36
	s_and_saveexec_b64 s[6:7], s[14:15]
	s_cbranch_execz .LBB832_59
.LBB832_206:
	v_mov_b32_e32 v3, 0
	v_lshl_add_u64 v[36:37], s[0:1], 0, v[2:3]
	flat_load_ushort v36, v[36:37] offset:2560
	s_or_b64 exec, exec, s[6:7]
                                        ; implicit-def: $vgpr37
	s_and_saveexec_b64 s[6:7], s[16:17]
	s_cbranch_execnz .LBB832_60
.LBB832_207:
	s_or_b64 exec, exec, s[6:7]
                                        ; implicit-def: $vgpr3
	s_and_saveexec_b64 s[6:7], s[18:19]
	s_cbranch_execz .LBB832_61
.LBB832_208:
	v_mov_b32_e32 v3, 0
	v_lshl_add_u64 v[38:39], s[0:1], 0, v[2:3]
	flat_load_ushort v3, v[38:39] offset:3584
	s_or_b64 exec, exec, s[6:7]
                                        ; implicit-def: $vgpr38
	s_and_saveexec_b64 s[6:7], s[20:21]
	s_cbranch_execnz .LBB832_62
.LBB832_209:
	s_or_b64 exec, exec, s[6:7]
                                        ; implicit-def: $vgpr1
	s_and_saveexec_b64 s[6:7], s[22:23]
	s_cbranch_execz .LBB832_63
.LBB832_210:
	v_lshlrev_b32_e32 v42, 1, v4
	v_mov_b32_e32 v43, 0
	v_lshl_add_u64 v[42:43], s[0:1], 0, v[42:43]
	flat_load_ushort v1, v[42:43]
	s_or_b64 exec, exec, s[6:7]
                                        ; implicit-def: $vgpr4
	s_and_saveexec_b64 s[6:7], s[24:25]
	s_cbranch_execnz .LBB832_64
.LBB832_211:
	s_or_b64 exec, exec, s[6:7]
                                        ; implicit-def: $vgpr5
	s_and_saveexec_b64 s[6:7], s[26:27]
	s_cbranch_execz .LBB832_65
.LBB832_212:
	v_lshlrev_b32_e32 v42, 1, v6
	v_mov_b32_e32 v43, 0
	v_lshl_add_u64 v[42:43], s[0:1], 0, v[42:43]
	flat_load_ushort v5, v[42:43]
	s_or_b64 exec, exec, s[6:7]
                                        ; implicit-def: $vgpr6
	s_and_saveexec_b64 s[6:7], s[28:29]
	s_cbranch_execnz .LBB832_66
.LBB832_213:
	s_or_b64 exec, exec, s[6:7]
                                        ; implicit-def: $vgpr7
	s_and_saveexec_b64 s[6:7], s[30:31]
	s_cbranch_execz .LBB832_67
.LBB832_214:
	v_lshlrev_b32_e32 v42, 1, v8
	v_mov_b32_e32 v43, 0
	v_lshl_add_u64 v[42:43], s[0:1], 0, v[42:43]
	flat_load_ushort v7, v[42:43]
	s_or_b64 exec, exec, s[6:7]
                                        ; implicit-def: $vgpr8
	s_and_saveexec_b64 s[6:7], s[34:35]
	s_cbranch_execnz .LBB832_68
.LBB832_215:
	s_or_b64 exec, exec, s[6:7]
                                        ; implicit-def: $vgpr9
	s_and_saveexec_b64 s[6:7], s[36:37]
	s_cbranch_execz .LBB832_69
.LBB832_216:
	v_lshlrev_b32_e32 v42, 1, v10
	v_mov_b32_e32 v43, 0
	v_lshl_add_u64 v[42:43], s[0:1], 0, v[42:43]
	flat_load_ushort v9, v[42:43]
	s_or_b64 exec, exec, s[6:7]
                                        ; implicit-def: $vgpr10
	s_and_saveexec_b64 s[6:7], s[38:39]
	s_cbranch_execnz .LBB832_70
.LBB832_217:
	s_or_b64 exec, exec, s[6:7]
                                        ; implicit-def: $vgpr11
	s_and_saveexec_b64 s[6:7], s[40:41]
	s_cbranch_execz .LBB832_71
.LBB832_218:
	v_lshlrev_b32_e32 v42, 1, v12
	v_mov_b32_e32 v43, 0
	v_lshl_add_u64 v[42:43], s[0:1], 0, v[42:43]
	flat_load_ushort v11, v[42:43]
	s_or_b64 exec, exec, s[6:7]
                                        ; implicit-def: $vgpr12
	s_and_saveexec_b64 s[6:7], s[42:43]
	s_cbranch_execnz .LBB832_72
.LBB832_219:
	s_or_b64 exec, exec, s[6:7]
                                        ; implicit-def: $vgpr13
	s_and_saveexec_b64 s[6:7], s[44:45]
	s_cbranch_execz .LBB832_73
.LBB832_220:
	v_lshlrev_b32_e32 v42, 1, v14
	v_mov_b32_e32 v43, 0
	v_lshl_add_u64 v[42:43], s[0:1], 0, v[42:43]
	flat_load_ushort v13, v[42:43]
	s_or_b64 exec, exec, s[6:7]
                                        ; implicit-def: $vgpr14
	s_and_saveexec_b64 s[6:7], s[46:47]
	s_cbranch_execnz .LBB832_74
.LBB832_221:
	s_or_b64 exec, exec, s[6:7]
                                        ; implicit-def: $vgpr15
	s_and_saveexec_b64 s[6:7], s[48:49]
	s_cbranch_execz .LBB832_75
.LBB832_222:
	v_lshlrev_b32_e32 v42, 1, v16
	v_mov_b32_e32 v43, 0
	v_lshl_add_u64 v[42:43], s[0:1], 0, v[42:43]
	flat_load_ushort v15, v[42:43]
	s_or_b64 exec, exec, s[6:7]
                                        ; implicit-def: $vgpr16
	s_and_saveexec_b64 s[6:7], s[50:51]
	s_cbranch_execz .LBB832_77
	s_branch .LBB832_76
.LBB832_223:
                                        ; implicit-def: $vgpr50
                                        ; implicit-def: $vgpr24
                                        ; implicit-def: $vgpr25
                                        ; implicit-def: $vgpr26
                                        ; implicit-def: $vgpr27
                                        ; implicit-def: $vgpr28
                                        ; implicit-def: $vgpr29
                                        ; implicit-def: $vgpr31
                                        ; implicit-def: $vgpr30
                                        ; implicit-def: $vgpr32
                                        ; implicit-def: $vgpr33
                                        ; implicit-def: $vgpr35
                                        ; implicit-def: $vgpr36
                                        ; implicit-def: $vgpr37
                                        ; implicit-def: $vgpr40
                                        ; implicit-def: $vgpr42
                                        ; implicit-def: $vgpr41
                                        ; implicit-def: $vgpr43
                                        ; implicit-def: $vgpr44
                                        ; implicit-def: $vgpr45
                                        ; implicit-def: $vgpr46
                                        ; implicit-def: $vgpr47
                                        ; implicit-def: $vgpr48
                                        ; implicit-def: $vgpr49
	s_cbranch_execz .LBB832_253
; %bb.224:
	s_cmp_lg_u64 s[76:77], 0
	s_cselect_b32 s7, s75, 0
	s_cselect_b32 s6, s74, 0
	s_cmp_lg_u64 s[6:7], 0
	s_cselect_b64 s[0:1], -1, 0
	s_and_b64 s[8:9], s[56:57], s[0:1]
	s_and_saveexec_b64 s[0:1], s[8:9]
	s_cbranch_execz .LBB832_226
; %bb.225:
	v_mov_b32_e32 v24, 0
	global_load_ushort v25, v24, s[6:7]
	global_load_ubyte v26, v24, s[6:7] offset:2
	s_mov_b32 s6, 0x10000
	v_and_b32_e32 v24, 0x10000, v38
	v_mov_b32_e32 v27, 1
	v_cmp_gt_u32_e32 vcc, s6, v38
	v_mov_b32_e32 v28, 0x10000
	s_waitcnt vmcnt(0)
	v_and_b32_sdwa v26, v26, v27 dst_sel:WORD_1 dst_unused:UNUSED_PAD src0_sel:DWORD src1_sel:DWORD
	v_cndmask_b32_e32 v25, 0, v25, vcc
	v_cmp_eq_u32_e32 vcc, 0, v24
	v_add_u16_e32 v25, v25, v38
	s_nop 0
	v_cndmask_b32_e32 v24, v28, v26, vcc
	v_or_b32_e32 v38, v24, v25
.LBB832_226:
	s_or_b64 exec, exec, s[0:1]
	s_mov_b32 s0, 0x10000
	v_cmp_gt_u32_e32 vcc, s0, v39
	v_and_b32_e32 v25, 0x10000, v39
	v_cmp_gt_u32_e64 s[6:7], s0, v1
	v_cndmask_b32_e32 v24, 0, v38, vcc
	v_add_u16_e32 v24, v24, v39
	v_cmp_ne_u32_e64 s[52:53], 0, v25
	v_cndmask_b32_e64 v25, 0, v24, s[6:7]
	v_add_u16_e32 v25, v25, v1
	v_and_b32_e32 v26, 0x10000, v1
	v_cmp_gt_u32_e64 s[8:9], s0, v18
	v_cmp_ne_u32_e64 s[54:55], 0, v26
	v_cmp_gt_u32_e64 s[10:11], s0, v19
	v_cndmask_b32_e64 v26, 0, v25, s[8:9]
	v_add_u16_e32 v26, v26, v18
	v_cndmask_b32_e64 v27, 0, v26, s[10:11]
	v_add_u16_e32 v27, v27, v19
	v_cmp_gt_u32_e64 s[12:13], s0, v20
	v_bfe_u32 v30, v19, 16, 1
	v_mov_b32_e32 v53, 1
	v_cndmask_b32_e64 v28, 0, v27, s[12:13]
	v_lshlrev_b16_e32 v30, 1, v30
	v_and_b32_sdwa v31, v18, v53 dst_sel:DWORD dst_unused:UNUSED_PAD src0_sel:WORD_1 src1_sel:DWORD
	v_add_u16_e32 v28, v28, v20
	v_cmp_gt_u32_e64 s[14:15], s0, v21
	v_or_b32_e32 v30, v31, v30
	v_bfe_u32 v31, v21, 16, 1
	v_and_b32_sdwa v32, v20, v53 dst_sel:DWORD dst_unused:UNUSED_PAD src0_sel:WORD_1 src1_sel:DWORD
	v_cndmask_b32_e64 v29, 0, v28, s[14:15]
	v_lshlrev_b16_e32 v31, 3, v31
	v_lshlrev_b16_e32 v32, 2, v32
	v_add_u16_e32 v29, v29, v21
	v_or_b32_e32 v31, v31, v32
	v_cmp_gt_u32_e64 s[16:17], s0, v2
	v_or_b32_e32 v49, v30, v31
	v_cmp_gt_u32_e64 s[18:19], s0, v3
	v_cndmask_b32_e64 v30, 0, v29, s[16:17]
	v_add_u16_e32 v31, v30, v2
	v_cndmask_b32_e64 v30, 0, v31, s[18:19]
	v_add_u16_e32 v30, v30, v3
	v_cmp_gt_u32_e64 s[20:21], s0, v4
	v_cmp_gt_u32_e64 s[22:23], s0, v5
	v_cmp_gt_u32_e64 s[24:25], s0, v6
	v_cndmask_b32_e64 v32, 0, v30, s[20:21]
	v_add_u16_e32 v32, v32, v4
	v_cndmask_b32_e64 v33, 0, v32, s[22:23]
	v_add_u16_e32 v33, v33, v5
	v_cndmask_b32_e64 v35, 0, v33, s[24:25]
	v_add_u16_e32 v35, v35, v6
	v_cmp_gt_u32_e64 s[26:27], s0, v7
	v_cmp_gt_u32_e64 s[28:29], s0, v8
	v_cmp_gt_u32_e64 s[30:31], s0, v9
	v_cndmask_b32_e64 v36, 0, v35, s[26:27]
	v_add_u16_e32 v36, v36, v7
	;; [unrolled: 9-line block ×3, first 2 shown]
	v_cndmask_b32_e64 v41, 0, v42, s[36:37]
	v_add_u16_e32 v41, v41, v11
	v_cndmask_b32_e64 v43, 0, v41, s[38:39]
	v_and_b32_e32 v52, 0x10000, v23
	v_add_u16_e32 v43, v43, v12
	v_cmp_gt_u32_e64 s[40:41], s0, v13
	v_cmp_gt_u32_e64 s[42:43], s0, v14
	;; [unrolled: 1-line block ×6, first 2 shown]
	v_cmp_ne_u32_e64 s[0:1], 0, v52
	v_or_b32_e32 v52, v16, v8
	v_or_b32_e32 v55, v17, v9
	;; [unrolled: 1-line block ×3, first 2 shown]
	v_cndmask_b32_e64 v44, 0, v43, s[40:41]
	v_or_b32_e32 v56, v14, v6
	v_or_b32_e32 v58, v12, v4
	;; [unrolled: 1-line block ×4, first 2 shown]
	v_bfe_u32 v57, v57, 16, 1
	v_bfe_u32 v55, v55, 16, 1
	v_and_b32_sdwa v52, v52, v53 dst_sel:DWORD dst_unused:UNUSED_PAD src0_sel:WORD_1 src1_sel:DWORD
	v_add_u16_e32 v44, v44, v13
	v_or_b32_e32 v60, v10, v2
	v_bfe_u32 v61, v61, 16, 1
	v_bfe_u32 v59, v59, 16, 1
	v_and_b32_sdwa v58, v58, v53 dst_sel:DWORD dst_unused:UNUSED_PAD src0_sel:WORD_1 src1_sel:DWORD
	v_lshlrev_b16_e32 v57, 1, v57
	v_and_b32_sdwa v56, v56, v53 dst_sel:DWORD dst_unused:UNUSED_PAD src0_sel:WORD_1 src1_sel:DWORD
	v_lshlrev_b16_e32 v55, 3, v55
	v_lshlrev_b16_e32 v52, 2, v52
	v_cndmask_b32_e64 v45, 0, v44, s[42:43]
	v_lshlrev_b16_e32 v61, 1, v61
	v_and_b32_sdwa v60, v60, v53 dst_sel:DWORD dst_unused:UNUSED_PAD src0_sel:WORD_1 src1_sel:DWORD
	v_lshlrev_b16_e32 v59, 3, v59
	v_lshlrev_b16_e32 v58, 2, v58
	v_or_b32_e32 v56, v56, v57
	v_or_b32_e32 v52, v55, v52
	v_add_u16_e32 v45, v45, v14
	v_or_b32_e32 v60, v60, v61
	v_or_b32_e32 v58, v59, v58
	;; [unrolled: 1-line block ×3, first 2 shown]
	v_cndmask_b32_e64 v46, 0, v45, s[44:45]
	v_or_b32_e32 v58, v60, v58
	v_lshlrev_b16_e32 v52, 4, v52
	v_add_u16_e32 v46, v46, v15
	v_or_b32_e32 v52, v58, v52
	v_cndmask_b32_e64 v47, 0, v46, s[46:47]
	v_or_b32_e32 v49, v52, v49
	v_mov_b32_e32 v52, 0
	v_add_u16_e32 v47, v47, v16
	v_cmp_ne_u16_sdwa s[62:63], v49, v52 src0_sel:BYTE_0 src1_sel:DWORD
	v_cndmask_b32_e64 v48, 0, v47, s[48:49]
	s_or_b64 s[0:1], s[0:1], s[62:63]
	v_add_u16_e32 v48, v48, v17
	s_or_b64 s[0:1], s[0:1], s[54:55]
	v_lshrrev_b32_e32 v50, 16, v38
	v_cndmask_b32_e64 v54, 0, v48, s[50:51]
	s_or_b64 s[0:1], s[0:1], s[52:53]
	v_cndmask_b32_e64 v52, v50, 1, s[0:1]
	v_mbcnt_hi_u32_b32 v34, -1, v34
	v_add_u16_e32 v49, v54, v23
	v_add_u16_e32 v51, v54, v23
	v_and_b32_e32 v55, 15, v34
	v_lshl_or_b32 v54, v52, 16, v49
	v_cmp_ne_u32_e64 s[0:1], 0, v55
	s_nop 0
	v_mov_b32_dpp v56, v54 row_shr:1 row_mask:0xf bank_mask:0xf
	s_and_saveexec_b64 s[52:53], s[0:1]
; %bb.227:
	v_cmp_eq_u32_e64 s[0:1], 0, v52
	v_and_b32_e32 v52, 1, v52
	v_and_b32_sdwa v53, v56, v53 dst_sel:DWORD dst_unused:UNUSED_PAD src0_sel:WORD_1 src1_sel:DWORD
	v_cndmask_b32_e64 v54, 0, v56, s[0:1]
	v_cmp_eq_u32_e64 s[0:1], 1, v52
	v_add_u16_e32 v57, v51, v54
	v_add_u16_e32 v51, v51, v54
	v_cndmask_b32_e64 v52, v53, 1, s[0:1]
	v_lshlrev_b32_e32 v53, 16, v52
	v_or_b32_e32 v54, v53, v51
	v_mov_b32_e32 v51, v57
; %bb.228:
	s_or_b64 exec, exec, s[52:53]
	v_lshrrev_b32_e32 v53, 16, v54
	v_mov_b32_dpp v56, v54 row_shr:2 row_mask:0xf bank_mask:0xf
	v_cmp_lt_u32_e64 s[0:1], 1, v55
	s_and_saveexec_b64 s[52:53], s[0:1]
	s_cbranch_execz .LBB832_230
; %bb.229:
	s_mov_b32 s0, 0x10000
	v_cmp_gt_u32_e64 s[0:1], s0, v54
	v_and_b32_e32 v52, 0x10000, v54
	v_mov_b32_e32 v54, 1
	v_cndmask_b32_e64 v53, 0, v56, s[0:1]
	v_and_b32_sdwa v54, v56, v54 dst_sel:DWORD dst_unused:UNUSED_PAD src0_sel:WORD_1 src1_sel:DWORD
	v_cmp_ne_u32_e64 s[0:1], 0, v52
	v_add_u16_e32 v57, v53, v51
	v_add_u16_e32 v51, v53, v51
	v_cndmask_b32_e64 v52, v54, 1, s[0:1]
	v_lshlrev_b32_e32 v54, 16, v52
	v_or_b32_e32 v54, v54, v51
	v_mov_b32_e32 v53, v52
	v_mov_b32_e32 v51, v57
.LBB832_230:
	s_or_b64 exec, exec, s[52:53]
	v_mov_b32_dpp v56, v54 row_shr:4 row_mask:0xf bank_mask:0xf
	v_cmp_lt_u32_e64 s[0:1], 3, v55
	s_and_saveexec_b64 s[52:53], s[0:1]
	s_cbranch_execz .LBB832_232
; %bb.231:
	v_mov_b32_e32 v52, 0
	v_cmp_eq_u16_sdwa s[0:1], v53, v52 src0_sel:BYTE_0 src1_sel:DWORD
	v_and_b32_e32 v52, 1, v53
	v_mov_b32_e32 v53, 1
	v_cndmask_b32_e64 v54, 0, v56, s[0:1]
	v_and_b32_sdwa v53, v56, v53 dst_sel:DWORD dst_unused:UNUSED_PAD src0_sel:WORD_1 src1_sel:DWORD
	v_cmp_eq_u32_e64 s[0:1], 1, v52
	v_add_u16_e32 v57, v54, v51
	v_add_u16_e32 v51, v54, v51
	v_cndmask_b32_e64 v52, v53, 1, s[0:1]
	v_lshlrev_b32_e32 v53, 16, v52
	v_or_b32_e32 v54, v53, v51
	v_mov_b32_e32 v53, v52
	v_mov_b32_e32 v51, v57
.LBB832_232:
	s_or_b64 exec, exec, s[52:53]
	v_mov_b32_dpp v56, v54 row_shr:8 row_mask:0xf bank_mask:0xf
	v_cmp_lt_u32_e64 s[0:1], 7, v55
	s_and_saveexec_b64 s[52:53], s[0:1]
	s_cbranch_execz .LBB832_234
; %bb.233:
	v_mov_b32_e32 v52, 0
	v_cmp_eq_u16_sdwa s[0:1], v53, v52 src0_sel:BYTE_0 src1_sel:DWORD
	v_and_b32_e32 v52, 1, v53
	v_mov_b32_e32 v53, 1
	v_cndmask_b32_e64 v54, 0, v56, s[0:1]
	v_and_b32_sdwa v53, v56, v53 dst_sel:DWORD dst_unused:UNUSED_PAD src0_sel:WORD_1 src1_sel:DWORD
	v_cmp_eq_u32_e64 s[0:1], 1, v52
	v_add_u16_e32 v55, v54, v51
	v_add_u16_e32 v51, v54, v51
	v_cndmask_b32_e64 v52, v53, 1, s[0:1]
	v_lshlrev_b32_e32 v53, 16, v52
	v_or_b32_e32 v54, v53, v51
	v_mov_b32_e32 v53, v52
	v_mov_b32_e32 v51, v55
.LBB832_234:
	s_or_b64 exec, exec, s[52:53]
	v_and_b32_e32 v56, 16, v34
	v_mov_b32_dpp v55, v54 row_bcast:15 row_mask:0xf bank_mask:0xf
	v_cmp_ne_u32_e64 s[0:1], 0, v56
	s_and_saveexec_b64 s[52:53], s[0:1]
	s_cbranch_execz .LBB832_236
; %bb.235:
	v_mov_b32_e32 v52, 0
	v_cmp_eq_u16_sdwa s[0:1], v53, v52 src0_sel:BYTE_0 src1_sel:DWORD
	v_and_b32_e32 v52, 1, v53
	v_mov_b32_e32 v53, 1
	v_cndmask_b32_e64 v54, 0, v55, s[0:1]
	v_and_b32_sdwa v53, v55, v53 dst_sel:DWORD dst_unused:UNUSED_PAD src0_sel:WORD_1 src1_sel:DWORD
	v_cmp_eq_u32_e64 s[0:1], 1, v52
	v_add_u16_e32 v56, v54, v51
	v_add_u16_e32 v51, v54, v51
	v_cndmask_b32_e64 v52, v53, 1, s[0:1]
	v_lshlrev_b32_e32 v53, 16, v52
	v_or_b32_e32 v54, v53, v51
	v_mov_b32_e32 v51, v56
	v_mov_b32_e32 v53, v52
.LBB832_236:
	s_or_b64 exec, exec, s[52:53]
	v_mov_b32_dpp v54, v54 row_bcast:31 row_mask:0xf bank_mask:0xf
	v_cmp_lt_u32_e64 s[0:1], 31, v34
	s_and_saveexec_b64 s[52:53], s[0:1]
; %bb.237:
	v_mov_b32_e32 v52, 0
	v_cmp_eq_u16_sdwa s[0:1], v53, v52 src0_sel:BYTE_0 src1_sel:DWORD
	s_nop 1
	v_cndmask_b32_e64 v52, 0, v54, s[0:1]
	v_add_u16_e32 v51, v52, v51
	v_and_b32_e32 v52, 1, v53
	v_mov_b32_e32 v53, 1
	v_and_b32_sdwa v53, v54, v53 dst_sel:DWORD dst_unused:UNUSED_PAD src0_sel:WORD_1 src1_sel:DWORD
	v_cmp_eq_u32_e64 s[0:1], 1, v52
	s_nop 1
	v_cndmask_b32_e64 v52, v53, 1, s[0:1]
; %bb.238:
	s_or_b64 exec, exec, s[52:53]
	v_or_b32_e32 v54, 63, v0
	v_lshrrev_b32_e32 v53, 6, v0
	v_cmp_eq_u32_e64 s[0:1], v54, v0
	s_and_saveexec_b64 s[52:53], s[0:1]
	s_cbranch_execz .LBB832_240
; %bb.239:
	v_lshlrev_b32_e32 v54, 2, v53
	ds_write_b16 v54, v51
	ds_write_b8 v54, v52 offset:2
.LBB832_240:
	s_or_b64 exec, exec, s[52:53]
	v_cmp_gt_u32_e64 s[0:1], 4, v0
	s_waitcnt lgkmcnt(0)
	s_barrier
	s_and_saveexec_b64 s[52:53], s[0:1]
	s_cbranch_execz .LBB832_246
; %bb.241:
	v_lshlrev_b32_e32 v54, 2, v0
	ds_read_b32 v55, v54
	v_and_b32_e32 v58, 3, v34
	v_cmp_ne_u32_e64 s[0:1], 0, v58
	s_waitcnt lgkmcnt(0)
	v_lshrrev_b32_e32 v57, 16, v55
	v_mov_b32_dpp v59, v55 row_shr:1 row_mask:0xf bank_mask:0xf
	v_mov_b32_e32 v56, v55
	s_and_saveexec_b64 s[54:55], s[0:1]
	s_cbranch_execz .LBB832_243
; %bb.242:
	v_mov_b32_e32 v56, 0
	v_cmp_eq_u16_sdwa s[0:1], v57, v56 src0_sel:BYTE_0 src1_sel:DWORD
	v_and_b32_e32 v57, 0x10000, v55
	v_mov_b32_e32 v62, 1
	v_cndmask_b32_e64 v61, 0, v59, s[0:1]
	v_and_b32_sdwa v59, v59, v62 dst_sel:DWORD dst_unused:UNUSED_PAD src0_sel:WORD_1 src1_sel:DWORD
	v_cmp_ne_u32_e64 s[0:1], 0, v57
	v_and_b32_e32 v60, 0xff000000, v55
	v_add_u16_e32 v56, v61, v55
	v_cndmask_b32_e64 v57, v59, 1, s[0:1]
	v_lshlrev_b32_e32 v59, 16, v57
	v_add_u16_e32 v55, v61, v55
	v_or3_b32 v55, v59, v60, v55
.LBB832_243:
	s_or_b64 exec, exec, s[54:55]
	s_nop 0
	v_mov_b32_dpp v59, v55 row_shr:2 row_mask:0xf bank_mask:0xf
	v_cmp_lt_u32_e64 s[0:1], 1, v58
	s_and_saveexec_b64 s[54:55], s[0:1]
; %bb.244:
	v_and_b32_e32 v57, 0xff0000, v55
	v_cmp_eq_u32_e64 s[0:1], 0, v57
	v_and_b32_e32 v55, 0x10000, v55
	s_nop 0
	v_cndmask_b32_e64 v57, 0, v59, s[0:1]
	v_add_u16_e32 v56, v57, v56
	v_mov_b32_e32 v57, 1
	v_and_b32_sdwa v57, v59, v57 dst_sel:DWORD dst_unused:UNUSED_PAD src0_sel:WORD_1 src1_sel:DWORD
	v_cmp_eq_u32_e64 s[0:1], 0, v55
	s_nop 1
	v_cndmask_b32_e64 v57, 1, v57, s[0:1]
; %bb.245:
	s_or_b64 exec, exec, s[54:55]
	ds_write_b16 v54, v56
	ds_write_b8 v54, v57 offset:2
.LBB832_246:
	s_or_b64 exec, exec, s[52:53]
	v_cmp_lt_u32_e64 s[0:1], 63, v0
	v_mov_b32_e32 v54, 0
	s_waitcnt lgkmcnt(0)
	s_barrier
	s_and_saveexec_b64 s[52:53], s[0:1]
	s_cbranch_execz .LBB832_248
; %bb.247:
	v_lshl_add_u32 v53, v53, 2, -4
	ds_read_u16 v54, v53
	ds_read_u8 v53, v53 offset:2
	v_mov_b32_e32 v55, 0
	v_and_b32_e32 v56, 1, v52
	v_cmp_eq_u16_sdwa s[0:1], v52, v55 src0_sel:BYTE_0 src1_sel:DWORD
	s_waitcnt lgkmcnt(1)
	s_nop 0
	v_cndmask_b32_e64 v52, 0, v54, s[0:1]
	v_cmp_eq_u32_e64 s[0:1], 1, v56
	v_add_u16_e32 v51, v52, v51
	s_waitcnt lgkmcnt(0)
	v_cndmask_b32_e64 v52, v53, 1, s[0:1]
.LBB832_248:
	s_or_b64 exec, exec, s[52:53]
	v_and_b32_e32 v52, 0xff, v52
	v_and_b32_e32 v51, 0xffff, v51
	v_lshl_or_b32 v51, v52, 16, v51
	v_add_u32_e32 v52, -1, v34
	v_and_b32_e32 v53, 64, v34
	v_cmp_lt_i32_e64 s[0:1], v52, v53
	s_nop 1
	v_cndmask_b32_e64 v52, v52, v34, s[0:1]
	v_lshlrev_b32_e32 v52, 2, v52
	ds_bpermute_b32 v51, v52, v51
	s_and_saveexec_b64 s[52:53], s[4:5]
	s_cbranch_execz .LBB832_250
; %bb.249:
	v_cmp_eq_u32_e64 s[0:1], 0, v34
	v_and_b32_e32 v25, 0xff0000, v38
	v_mov_b32_e32 v50, 0
	s_waitcnt lgkmcnt(0)
	v_cndmask_b32_e64 v24, v51, v54, s[0:1]
	v_and_b32_e32 v24, 0xffff, v24
	v_cmp_eq_u32_e64 s[0:1], 0, v25
	;;#ASMSTART
	;;#ASMEND
	s_nop 1
	v_cndmask_b32_e64 v24, 0, v24, s[0:1]
	v_add_u32_e32 v38, v24, v38
	v_cndmask_b32_e32 v24, 0, v38, vcc
	v_add_u16_e32 v24, v24, v39
	v_cndmask_b32_e64 v25, 0, v24, s[6:7]
	v_add_u16_e32 v25, v25, v1
	v_cndmask_b32_e64 v1, 0, v25, s[8:9]
	;; [unrolled: 2-line block ×22, first 2 shown]
	v_add_u16_e32 v49, v1, v23
.LBB832_250:
	s_or_b64 exec, exec, s[52:53]
	s_and_saveexec_b64 s[0:1], s[56:57]
	s_cbranch_execz .LBB832_252
; %bb.251:
	v_mov_b32_e32 v1, 0
	ds_read_u8 v2, v1 offset:14
	ds_read_u16 v3, v1 offset:12
	s_waitcnt lgkmcnt(1)
	v_lshlrev_b32_e32 v2, 16, v2
	s_waitcnt lgkmcnt(0)
	v_or_b32_e32 v2, v2, v3
	v_mov_b32_e32 v3, 2
	global_store_dwordx2 v1, v[2:3], s[68:69] offset:512 sc1
.LBB832_252:
	s_or_b64 exec, exec, s[0:1]
	v_lshl_or_b32 v50, v50, 16, v38
.LBB832_253:
	s_add_u32 s0, s66, s58
	s_addc_u32 s1, s67, s59
	s_add_u32 s0, s0, s60
	s_addc_u32 s1, s1, s61
	s_and_b64 vcc, exec, s[2:3]
	v_mul_u32_u24_e32 v4, 24, v0
	s_cbranch_vccz .LBB832_305
; %bb.254:
	s_add_i32 s33, s33, s70
	v_cmp_le_u32_e32 vcc, s33, v4
                                        ; implicit-def: $vgpr1
                                        ; implicit-def: $vgpr2
                                        ; implicit-def: $vgpr3
                                        ; implicit-def: $vgpr5
                                        ; implicit-def: $vgpr6
                                        ; implicit-def: $vgpr7
                                        ; implicit-def: $vgpr8
	s_and_saveexec_b64 s[2:3], vcc
	s_xor_b64 s[2:3], exec, s[2:3]
; %bb.255:
	v_or_b32_e32 v1, 1, v4
	v_or_b32_e32 v2, 2, v4
	;; [unrolled: 1-line block ×7, first 2 shown]
; %bb.256:
	s_andn2_saveexec_b64 s[2:3], s[2:3]
; %bb.257:
	v_or_b32_e32 v1, 1, v4
	v_or_b32_e32 v2, 2, v4
	;; [unrolled: 1-line block ×7, first 2 shown]
; %bb.258:
	s_or_b64 exec, exec, s[2:3]
	v_lshlrev_b32_e32 v39, 1, v4
	v_lshlrev_b32_e32 v1, 1, v1
	s_waitcnt lgkmcnt(0)
	s_barrier
	ds_write_b16 v39, v50
	ds_write_b16 v1, v24
	v_lshlrev_b32_e32 v1, 1, v2
	ds_write_b16 v1, v25
	v_lshlrev_b32_e32 v1, 1, v3
	;; [unrolled: 2-line block ×5, first 2 shown]
	s_mov_b32 s2, 0x5040100
	ds_write_b16 v1, v29
	v_lshlrev_b32_e32 v1, 1, v8
	v_perm_b32 v9, v42, v40, s2
	v_perm_b32 v8, v37, v36, s2
	;; [unrolled: 1-line block ×4, first 2 shown]
	ds_write_b16 v1, v31
	ds_write_b128 v39, v[6:9] offset:16
	v_perm_b32 v9, v49, v48, s2
	v_perm_b32 v8, v47, v46, s2
	;; [unrolled: 1-line block ×4, first 2 shown]
	s_movk_i32 s2, 0xffd2
	v_mad_i32_i24 v2, v0, s2, v39
	ds_write_b128 v39, v[6:9] offset:32
	s_waitcnt lgkmcnt(0)
	s_barrier
	ds_read_u16 v53, v2 offset:512
	ds_read_u16 v52, v2 offset:1024
	;; [unrolled: 1-line block ×23, first 2 shown]
	v_mov_b32_e32 v23, 0
	v_lshl_add_u64 v[2:3], s[0:1], 0, v[22:23]
	v_cmp_gt_u32_e32 vcc, s33, v0
	s_and_saveexec_b64 s[2:3], vcc
	s_cbranch_execz .LBB832_260
; %bb.259:
	v_mul_i32_i24_e32 v54, 0xffffffd2, v0
	v_add_u32_e32 v39, v39, v54
	ds_read_u16 v39, v39
	s_waitcnt lgkmcnt(0)
	flat_store_short v[2:3], v39
.LBB832_260:
	s_or_b64 exec, exec, s[2:3]
	v_or_b32_e32 v39, 0x100, v0
	v_cmp_gt_u32_e32 vcc, s33, v39
	s_and_saveexec_b64 s[2:3], vcc
	s_cbranch_execz .LBB832_262
; %bb.261:
	s_waitcnt lgkmcnt(0)
	flat_store_short v[2:3], v53 offset:512
.LBB832_262:
	s_or_b64 exec, exec, s[2:3]
	v_or_b32_e32 v39, 0x200, v0
	v_cmp_gt_u32_e32 vcc, s33, v39
	s_and_saveexec_b64 s[2:3], vcc
	s_cbranch_execz .LBB832_264
; %bb.263:
	s_waitcnt lgkmcnt(0)
	flat_store_short v[2:3], v52 offset:1024
.LBB832_264:
	;; [unrolled: 9-line block ×4, first 2 shown]
	s_or_b64 exec, exec, s[2:3]
	s_waitcnt lgkmcnt(0)
	v_or_b32_e32 v38, 0x500, v0
	v_cmp_gt_u32_e32 vcc, s33, v38
	s_and_saveexec_b64 s[2:3], vcc
	s_cbranch_execz .LBB832_270
; %bb.269:
	flat_store_short v[2:3], v34 offset:2560
.LBB832_270:
	s_or_b64 exec, exec, s[2:3]
	v_or_b32_e32 v34, 0x600, v0
	v_cmp_gt_u32_e32 vcc, s33, v34
	s_and_saveexec_b64 s[2:3], vcc
	s_cbranch_execz .LBB832_272
; %bb.271:
	flat_store_short v[2:3], v21 offset:3072
.LBB832_272:
	s_or_b64 exec, exec, s[2:3]
	;; [unrolled: 8-line block ×3, first 2 shown]
	v_or_b32_e32 v20, 0x800, v0
	v_cmp_gt_u32_e32 vcc, s33, v20
	s_and_saveexec_b64 s[2:3], vcc
	s_cbranch_execz .LBB832_276
; %bb.275:
	v_add_co_u32_e32 v20, vcc, 0x1000, v2
	s_nop 1
	v_addc_co_u32_e32 v21, vcc, 0, v3, vcc
	flat_store_short v[20:21], v19
.LBB832_276:
	s_or_b64 exec, exec, s[2:3]
	v_or_b32_e32 v19, 0x900, v0
	v_cmp_gt_u32_e32 vcc, s33, v19
	s_and_saveexec_b64 s[2:3], vcc
	s_cbranch_execz .LBB832_278
; %bb.277:
	v_add_co_u32_e32 v20, vcc, 0x1000, v2
	s_nop 1
	v_addc_co_u32_e32 v21, vcc, 0, v3, vcc
	flat_store_short v[20:21], v18 offset:512
.LBB832_278:
	s_or_b64 exec, exec, s[2:3]
	v_or_b32_e32 v18, 0xa00, v0
	v_cmp_gt_u32_e32 vcc, s33, v18
	s_and_saveexec_b64 s[2:3], vcc
	s_cbranch_execz .LBB832_280
; %bb.279:
	v_add_co_u32_e32 v18, vcc, 0x1000, v2
	s_nop 1
	v_addc_co_u32_e32 v19, vcc, 0, v3, vcc
	flat_store_short v[18:19], v17 offset:1024
.LBB832_280:
	;; [unrolled: 11-line block ×7, first 2 shown]
	s_or_b64 exec, exec, s[2:3]
	v_or_b32_e32 v12, 0x1000, v0
	v_cmp_gt_u32_e32 vcc, s33, v12
	s_and_saveexec_b64 s[2:3], vcc
	s_cbranch_execz .LBB832_292
; %bb.291:
	v_add_co_u32_e32 v12, vcc, 0x2000, v2
	s_nop 1
	v_addc_co_u32_e32 v13, vcc, 0, v3, vcc
	flat_store_short v[12:13], v11
.LBB832_292:
	s_or_b64 exec, exec, s[2:3]
	v_or_b32_e32 v11, 0x1100, v0
	v_cmp_gt_u32_e32 vcc, s33, v11
	s_and_saveexec_b64 s[2:3], vcc
	s_cbranch_execz .LBB832_294
; %bb.293:
	v_add_co_u32_e32 v12, vcc, 0x2000, v2
	s_nop 1
	v_addc_co_u32_e32 v13, vcc, 0, v3, vcc
	flat_store_short v[12:13], v10 offset:512
.LBB832_294:
	s_or_b64 exec, exec, s[2:3]
	v_or_b32_e32 v10, 0x1200, v0
	v_cmp_gt_u32_e32 vcc, s33, v10
	s_and_saveexec_b64 s[2:3], vcc
	s_cbranch_execz .LBB832_296
; %bb.295:
	v_add_co_u32_e32 v10, vcc, 0x2000, v2
	s_nop 1
	v_addc_co_u32_e32 v11, vcc, 0, v3, vcc
	flat_store_short v[10:11], v9 offset:1024
.LBB832_296:
	;; [unrolled: 11-line block ×6, first 2 shown]
	s_or_b64 exec, exec, s[2:3]
	v_or_b32_e32 v2, 0x1700, v0
	v_mov_b32_e32 v1, v23
	v_cmp_gt_u32_e64 s[2:3], s33, v2
	s_branch .LBB832_307
.LBB832_305:
	s_mov_b64 s[2:3], 0
                                        ; implicit-def: $vgpr5
	s_cbranch_execz .LBB832_307
; %bb.306:
	s_mov_b32 s4, 0x5040100
	v_lshlrev_b32_e32 v6, 1, v4
	v_perm_b32 v5, v31, v29, s4
	v_perm_b32 v4, v28, v27, s4
	;; [unrolled: 1-line block ×4, first 2 shown]
	s_waitcnt lgkmcnt(0)
	s_barrier
	ds_write_b128 v6, v[2:5]
	v_perm_b32 v5, v42, v40, s4
	v_perm_b32 v4, v37, v36, s4
	;; [unrolled: 1-line block ×4, first 2 shown]
	ds_write_b128 v6, v[2:5] offset:16
	v_perm_b32 v4, v47, v46, s4
	v_perm_b32 v3, v45, v44, s4
	;; [unrolled: 1-line block ×4, first 2 shown]
	v_mov_b32_e32 v1, 0
	s_movk_i32 s4, 0xffd2
	ds_write_b128 v6, v[2:5] offset:32
	v_mad_i32_i24 v2, v0, s4, v6
	v_mov_b32_e32 v23, v1
	s_waitcnt lgkmcnt(0)
	s_barrier
	ds_read_u16 v4, v2
	ds_read_u16 v6, v2 offset:512
	ds_read_u16 v7, v2 offset:1024
	;; [unrolled: 1-line block ×23, first 2 shown]
	v_lshl_add_u64 v[2:3], s[0:1], 0, v[22:23]
	s_movk_i32 s4, 0x1000
	s_waitcnt lgkmcnt(0)
	flat_store_short v[2:3], v4
	flat_store_short v[2:3], v6 offset:512
	flat_store_short v[2:3], v7 offset:1024
	;; [unrolled: 1-line block ×7, first 2 shown]
	v_add_co_u32_e32 v6, vcc, s4, v2
	s_or_b64 s[2:3], s[2:3], exec
	s_nop 0
	v_addc_co_u32_e32 v7, vcc, 0, v3, vcc
	v_add_co_u32_e32 v2, vcc, 0x2000, v2
	flat_store_short v[6:7], v13
	flat_store_short v[6:7], v14 offset:512
	flat_store_short v[6:7], v15 offset:1024
	;; [unrolled: 1-line block ×7, first 2 shown]
	v_addc_co_u32_e32 v3, vcc, 0, v3, vcc
	flat_store_short v[2:3], v21
	flat_store_short v[2:3], v24 offset:512
	flat_store_short v[2:3], v25 offset:1024
	;; [unrolled: 1-line block ×6, first 2 shown]
.LBB832_307:
	s_and_saveexec_b64 s[4:5], s[2:3]
	s_cbranch_execz .LBB832_309
; %bb.308:
	v_lshl_add_u64 v[0:1], v[0:1], 1, s[0:1]
	v_add_co_u32_e32 v0, vcc, 0x2000, v0
	s_nop 1
	v_addc_co_u32_e32 v1, vcc, 0, v1, vcc
	flat_store_short v[0:1], v5 offset:3584
	s_endpgm
.LBB832_309:
	s_endpgm
	.section	.rodata,"a",@progbits
	.p2align	6, 0x0
	.amdhsa_kernel _ZN7rocprim17ROCPRIM_400000_NS6detail17trampoline_kernelINS0_14default_configENS1_27scan_by_key_config_selectorIssEEZZNS1_16scan_by_key_implILNS1_25lookback_scan_determinismE0ELb0ES3_N6thrust23THRUST_200600_302600_NS6detail15normal_iteratorINS9_10device_ptrIsEEEESE_SE_sNS9_4plusIsEE19head_flag_predicatesEE10hipError_tPvRmT2_T3_T4_T5_mT6_T7_P12ihipStream_tbENKUlT_T0_E_clISt17integral_constantIbLb1EESY_EEDaST_SU_EUlST_E_NS1_11comp_targetILNS1_3genE5ELNS1_11target_archE942ELNS1_3gpuE9ELNS1_3repE0EEENS1_30default_config_static_selectorELNS0_4arch9wavefront6targetE1EEEvT1_
		.amdhsa_group_segment_fixed_size 13312
		.amdhsa_private_segment_fixed_size 0
		.amdhsa_kernarg_size 112
		.amdhsa_user_sgpr_count 2
		.amdhsa_user_sgpr_dispatch_ptr 0
		.amdhsa_user_sgpr_queue_ptr 0
		.amdhsa_user_sgpr_kernarg_segment_ptr 1
		.amdhsa_user_sgpr_dispatch_id 0
		.amdhsa_user_sgpr_kernarg_preload_length 0
		.amdhsa_user_sgpr_kernarg_preload_offset 0
		.amdhsa_user_sgpr_private_segment_size 0
		.amdhsa_uses_dynamic_stack 0
		.amdhsa_enable_private_segment 0
		.amdhsa_system_sgpr_workgroup_id_x 1
		.amdhsa_system_sgpr_workgroup_id_y 0
		.amdhsa_system_sgpr_workgroup_id_z 0
		.amdhsa_system_sgpr_workgroup_info 0
		.amdhsa_system_vgpr_workitem_id 0
		.amdhsa_next_free_vgpr 63
		.amdhsa_next_free_sgpr 88
		.amdhsa_accum_offset 64
		.amdhsa_reserve_vcc 1
		.amdhsa_float_round_mode_32 0
		.amdhsa_float_round_mode_16_64 0
		.amdhsa_float_denorm_mode_32 3
		.amdhsa_float_denorm_mode_16_64 3
		.amdhsa_dx10_clamp 1
		.amdhsa_ieee_mode 1
		.amdhsa_fp16_overflow 0
		.amdhsa_tg_split 0
		.amdhsa_exception_fp_ieee_invalid_op 0
		.amdhsa_exception_fp_denorm_src 0
		.amdhsa_exception_fp_ieee_div_zero 0
		.amdhsa_exception_fp_ieee_overflow 0
		.amdhsa_exception_fp_ieee_underflow 0
		.amdhsa_exception_fp_ieee_inexact 0
		.amdhsa_exception_int_div_zero 0
	.end_amdhsa_kernel
	.section	.text._ZN7rocprim17ROCPRIM_400000_NS6detail17trampoline_kernelINS0_14default_configENS1_27scan_by_key_config_selectorIssEEZZNS1_16scan_by_key_implILNS1_25lookback_scan_determinismE0ELb0ES3_N6thrust23THRUST_200600_302600_NS6detail15normal_iteratorINS9_10device_ptrIsEEEESE_SE_sNS9_4plusIsEE19head_flag_predicatesEE10hipError_tPvRmT2_T3_T4_T5_mT6_T7_P12ihipStream_tbENKUlT_T0_E_clISt17integral_constantIbLb1EESY_EEDaST_SU_EUlST_E_NS1_11comp_targetILNS1_3genE5ELNS1_11target_archE942ELNS1_3gpuE9ELNS1_3repE0EEENS1_30default_config_static_selectorELNS0_4arch9wavefront6targetE1EEEvT1_,"axG",@progbits,_ZN7rocprim17ROCPRIM_400000_NS6detail17trampoline_kernelINS0_14default_configENS1_27scan_by_key_config_selectorIssEEZZNS1_16scan_by_key_implILNS1_25lookback_scan_determinismE0ELb0ES3_N6thrust23THRUST_200600_302600_NS6detail15normal_iteratorINS9_10device_ptrIsEEEESE_SE_sNS9_4plusIsEE19head_flag_predicatesEE10hipError_tPvRmT2_T3_T4_T5_mT6_T7_P12ihipStream_tbENKUlT_T0_E_clISt17integral_constantIbLb1EESY_EEDaST_SU_EUlST_E_NS1_11comp_targetILNS1_3genE5ELNS1_11target_archE942ELNS1_3gpuE9ELNS1_3repE0EEENS1_30default_config_static_selectorELNS0_4arch9wavefront6targetE1EEEvT1_,comdat
.Lfunc_end832:
	.size	_ZN7rocprim17ROCPRIM_400000_NS6detail17trampoline_kernelINS0_14default_configENS1_27scan_by_key_config_selectorIssEEZZNS1_16scan_by_key_implILNS1_25lookback_scan_determinismE0ELb0ES3_N6thrust23THRUST_200600_302600_NS6detail15normal_iteratorINS9_10device_ptrIsEEEESE_SE_sNS9_4plusIsEE19head_flag_predicatesEE10hipError_tPvRmT2_T3_T4_T5_mT6_T7_P12ihipStream_tbENKUlT_T0_E_clISt17integral_constantIbLb1EESY_EEDaST_SU_EUlST_E_NS1_11comp_targetILNS1_3genE5ELNS1_11target_archE942ELNS1_3gpuE9ELNS1_3repE0EEENS1_30default_config_static_selectorELNS0_4arch9wavefront6targetE1EEEvT1_, .Lfunc_end832-_ZN7rocprim17ROCPRIM_400000_NS6detail17trampoline_kernelINS0_14default_configENS1_27scan_by_key_config_selectorIssEEZZNS1_16scan_by_key_implILNS1_25lookback_scan_determinismE0ELb0ES3_N6thrust23THRUST_200600_302600_NS6detail15normal_iteratorINS9_10device_ptrIsEEEESE_SE_sNS9_4plusIsEE19head_flag_predicatesEE10hipError_tPvRmT2_T3_T4_T5_mT6_T7_P12ihipStream_tbENKUlT_T0_E_clISt17integral_constantIbLb1EESY_EEDaST_SU_EUlST_E_NS1_11comp_targetILNS1_3genE5ELNS1_11target_archE942ELNS1_3gpuE9ELNS1_3repE0EEENS1_30default_config_static_selectorELNS0_4arch9wavefront6targetE1EEEvT1_
                                        ; -- End function
	.section	.AMDGPU.csdata,"",@progbits
; Kernel info:
; codeLenInByte = 15868
; NumSgprs: 94
; NumVgprs: 63
; NumAgprs: 0
; TotalNumVgprs: 63
; ScratchSize: 0
; MemoryBound: 0
; FloatMode: 240
; IeeeMode: 1
; LDSByteSize: 13312 bytes/workgroup (compile time only)
; SGPRBlocks: 11
; VGPRBlocks: 7
; NumSGPRsForWavesPerEU: 94
; NumVGPRsForWavesPerEU: 63
; AccumOffset: 64
; Occupancy: 4
; WaveLimiterHint : 1
; COMPUTE_PGM_RSRC2:SCRATCH_EN: 0
; COMPUTE_PGM_RSRC2:USER_SGPR: 2
; COMPUTE_PGM_RSRC2:TRAP_HANDLER: 0
; COMPUTE_PGM_RSRC2:TGID_X_EN: 1
; COMPUTE_PGM_RSRC2:TGID_Y_EN: 0
; COMPUTE_PGM_RSRC2:TGID_Z_EN: 0
; COMPUTE_PGM_RSRC2:TIDIG_COMP_CNT: 0
; COMPUTE_PGM_RSRC3_GFX90A:ACCUM_OFFSET: 15
; COMPUTE_PGM_RSRC3_GFX90A:TG_SPLIT: 0
	.section	.text._ZN7rocprim17ROCPRIM_400000_NS6detail17trampoline_kernelINS0_14default_configENS1_27scan_by_key_config_selectorIssEEZZNS1_16scan_by_key_implILNS1_25lookback_scan_determinismE0ELb0ES3_N6thrust23THRUST_200600_302600_NS6detail15normal_iteratorINS9_10device_ptrIsEEEESE_SE_sNS9_4plusIsEE19head_flag_predicatesEE10hipError_tPvRmT2_T3_T4_T5_mT6_T7_P12ihipStream_tbENKUlT_T0_E_clISt17integral_constantIbLb1EESY_EEDaST_SU_EUlST_E_NS1_11comp_targetILNS1_3genE4ELNS1_11target_archE910ELNS1_3gpuE8ELNS1_3repE0EEENS1_30default_config_static_selectorELNS0_4arch9wavefront6targetE1EEEvT1_,"axG",@progbits,_ZN7rocprim17ROCPRIM_400000_NS6detail17trampoline_kernelINS0_14default_configENS1_27scan_by_key_config_selectorIssEEZZNS1_16scan_by_key_implILNS1_25lookback_scan_determinismE0ELb0ES3_N6thrust23THRUST_200600_302600_NS6detail15normal_iteratorINS9_10device_ptrIsEEEESE_SE_sNS9_4plusIsEE19head_flag_predicatesEE10hipError_tPvRmT2_T3_T4_T5_mT6_T7_P12ihipStream_tbENKUlT_T0_E_clISt17integral_constantIbLb1EESY_EEDaST_SU_EUlST_E_NS1_11comp_targetILNS1_3genE4ELNS1_11target_archE910ELNS1_3gpuE8ELNS1_3repE0EEENS1_30default_config_static_selectorELNS0_4arch9wavefront6targetE1EEEvT1_,comdat
	.protected	_ZN7rocprim17ROCPRIM_400000_NS6detail17trampoline_kernelINS0_14default_configENS1_27scan_by_key_config_selectorIssEEZZNS1_16scan_by_key_implILNS1_25lookback_scan_determinismE0ELb0ES3_N6thrust23THRUST_200600_302600_NS6detail15normal_iteratorINS9_10device_ptrIsEEEESE_SE_sNS9_4plusIsEE19head_flag_predicatesEE10hipError_tPvRmT2_T3_T4_T5_mT6_T7_P12ihipStream_tbENKUlT_T0_E_clISt17integral_constantIbLb1EESY_EEDaST_SU_EUlST_E_NS1_11comp_targetILNS1_3genE4ELNS1_11target_archE910ELNS1_3gpuE8ELNS1_3repE0EEENS1_30default_config_static_selectorELNS0_4arch9wavefront6targetE1EEEvT1_ ; -- Begin function _ZN7rocprim17ROCPRIM_400000_NS6detail17trampoline_kernelINS0_14default_configENS1_27scan_by_key_config_selectorIssEEZZNS1_16scan_by_key_implILNS1_25lookback_scan_determinismE0ELb0ES3_N6thrust23THRUST_200600_302600_NS6detail15normal_iteratorINS9_10device_ptrIsEEEESE_SE_sNS9_4plusIsEE19head_flag_predicatesEE10hipError_tPvRmT2_T3_T4_T5_mT6_T7_P12ihipStream_tbENKUlT_T0_E_clISt17integral_constantIbLb1EESY_EEDaST_SU_EUlST_E_NS1_11comp_targetILNS1_3genE4ELNS1_11target_archE910ELNS1_3gpuE8ELNS1_3repE0EEENS1_30default_config_static_selectorELNS0_4arch9wavefront6targetE1EEEvT1_
	.globl	_ZN7rocprim17ROCPRIM_400000_NS6detail17trampoline_kernelINS0_14default_configENS1_27scan_by_key_config_selectorIssEEZZNS1_16scan_by_key_implILNS1_25lookback_scan_determinismE0ELb0ES3_N6thrust23THRUST_200600_302600_NS6detail15normal_iteratorINS9_10device_ptrIsEEEESE_SE_sNS9_4plusIsEE19head_flag_predicatesEE10hipError_tPvRmT2_T3_T4_T5_mT6_T7_P12ihipStream_tbENKUlT_T0_E_clISt17integral_constantIbLb1EESY_EEDaST_SU_EUlST_E_NS1_11comp_targetILNS1_3genE4ELNS1_11target_archE910ELNS1_3gpuE8ELNS1_3repE0EEENS1_30default_config_static_selectorELNS0_4arch9wavefront6targetE1EEEvT1_
	.p2align	8
	.type	_ZN7rocprim17ROCPRIM_400000_NS6detail17trampoline_kernelINS0_14default_configENS1_27scan_by_key_config_selectorIssEEZZNS1_16scan_by_key_implILNS1_25lookback_scan_determinismE0ELb0ES3_N6thrust23THRUST_200600_302600_NS6detail15normal_iteratorINS9_10device_ptrIsEEEESE_SE_sNS9_4plusIsEE19head_flag_predicatesEE10hipError_tPvRmT2_T3_T4_T5_mT6_T7_P12ihipStream_tbENKUlT_T0_E_clISt17integral_constantIbLb1EESY_EEDaST_SU_EUlST_E_NS1_11comp_targetILNS1_3genE4ELNS1_11target_archE910ELNS1_3gpuE8ELNS1_3repE0EEENS1_30default_config_static_selectorELNS0_4arch9wavefront6targetE1EEEvT1_,@function
_ZN7rocprim17ROCPRIM_400000_NS6detail17trampoline_kernelINS0_14default_configENS1_27scan_by_key_config_selectorIssEEZZNS1_16scan_by_key_implILNS1_25lookback_scan_determinismE0ELb0ES3_N6thrust23THRUST_200600_302600_NS6detail15normal_iteratorINS9_10device_ptrIsEEEESE_SE_sNS9_4plusIsEE19head_flag_predicatesEE10hipError_tPvRmT2_T3_T4_T5_mT6_T7_P12ihipStream_tbENKUlT_T0_E_clISt17integral_constantIbLb1EESY_EEDaST_SU_EUlST_E_NS1_11comp_targetILNS1_3genE4ELNS1_11target_archE910ELNS1_3gpuE8ELNS1_3repE0EEENS1_30default_config_static_selectorELNS0_4arch9wavefront6targetE1EEEvT1_: ; @_ZN7rocprim17ROCPRIM_400000_NS6detail17trampoline_kernelINS0_14default_configENS1_27scan_by_key_config_selectorIssEEZZNS1_16scan_by_key_implILNS1_25lookback_scan_determinismE0ELb0ES3_N6thrust23THRUST_200600_302600_NS6detail15normal_iteratorINS9_10device_ptrIsEEEESE_SE_sNS9_4plusIsEE19head_flag_predicatesEE10hipError_tPvRmT2_T3_T4_T5_mT6_T7_P12ihipStream_tbENKUlT_T0_E_clISt17integral_constantIbLb1EESY_EEDaST_SU_EUlST_E_NS1_11comp_targetILNS1_3genE4ELNS1_11target_archE910ELNS1_3gpuE8ELNS1_3repE0EEENS1_30default_config_static_selectorELNS0_4arch9wavefront6targetE1EEEvT1_
; %bb.0:
	.section	.rodata,"a",@progbits
	.p2align	6, 0x0
	.amdhsa_kernel _ZN7rocprim17ROCPRIM_400000_NS6detail17trampoline_kernelINS0_14default_configENS1_27scan_by_key_config_selectorIssEEZZNS1_16scan_by_key_implILNS1_25lookback_scan_determinismE0ELb0ES3_N6thrust23THRUST_200600_302600_NS6detail15normal_iteratorINS9_10device_ptrIsEEEESE_SE_sNS9_4plusIsEE19head_flag_predicatesEE10hipError_tPvRmT2_T3_T4_T5_mT6_T7_P12ihipStream_tbENKUlT_T0_E_clISt17integral_constantIbLb1EESY_EEDaST_SU_EUlST_E_NS1_11comp_targetILNS1_3genE4ELNS1_11target_archE910ELNS1_3gpuE8ELNS1_3repE0EEENS1_30default_config_static_selectorELNS0_4arch9wavefront6targetE1EEEvT1_
		.amdhsa_group_segment_fixed_size 0
		.amdhsa_private_segment_fixed_size 0
		.amdhsa_kernarg_size 112
		.amdhsa_user_sgpr_count 2
		.amdhsa_user_sgpr_dispatch_ptr 0
		.amdhsa_user_sgpr_queue_ptr 0
		.amdhsa_user_sgpr_kernarg_segment_ptr 1
		.amdhsa_user_sgpr_dispatch_id 0
		.amdhsa_user_sgpr_kernarg_preload_length 0
		.amdhsa_user_sgpr_kernarg_preload_offset 0
		.amdhsa_user_sgpr_private_segment_size 0
		.amdhsa_uses_dynamic_stack 0
		.amdhsa_enable_private_segment 0
		.amdhsa_system_sgpr_workgroup_id_x 1
		.amdhsa_system_sgpr_workgroup_id_y 0
		.amdhsa_system_sgpr_workgroup_id_z 0
		.amdhsa_system_sgpr_workgroup_info 0
		.amdhsa_system_vgpr_workitem_id 0
		.amdhsa_next_free_vgpr 1
		.amdhsa_next_free_sgpr 0
		.amdhsa_accum_offset 4
		.amdhsa_reserve_vcc 0
		.amdhsa_float_round_mode_32 0
		.amdhsa_float_round_mode_16_64 0
		.amdhsa_float_denorm_mode_32 3
		.amdhsa_float_denorm_mode_16_64 3
		.amdhsa_dx10_clamp 1
		.amdhsa_ieee_mode 1
		.amdhsa_fp16_overflow 0
		.amdhsa_tg_split 0
		.amdhsa_exception_fp_ieee_invalid_op 0
		.amdhsa_exception_fp_denorm_src 0
		.amdhsa_exception_fp_ieee_div_zero 0
		.amdhsa_exception_fp_ieee_overflow 0
		.amdhsa_exception_fp_ieee_underflow 0
		.amdhsa_exception_fp_ieee_inexact 0
		.amdhsa_exception_int_div_zero 0
	.end_amdhsa_kernel
	.section	.text._ZN7rocprim17ROCPRIM_400000_NS6detail17trampoline_kernelINS0_14default_configENS1_27scan_by_key_config_selectorIssEEZZNS1_16scan_by_key_implILNS1_25lookback_scan_determinismE0ELb0ES3_N6thrust23THRUST_200600_302600_NS6detail15normal_iteratorINS9_10device_ptrIsEEEESE_SE_sNS9_4plusIsEE19head_flag_predicatesEE10hipError_tPvRmT2_T3_T4_T5_mT6_T7_P12ihipStream_tbENKUlT_T0_E_clISt17integral_constantIbLb1EESY_EEDaST_SU_EUlST_E_NS1_11comp_targetILNS1_3genE4ELNS1_11target_archE910ELNS1_3gpuE8ELNS1_3repE0EEENS1_30default_config_static_selectorELNS0_4arch9wavefront6targetE1EEEvT1_,"axG",@progbits,_ZN7rocprim17ROCPRIM_400000_NS6detail17trampoline_kernelINS0_14default_configENS1_27scan_by_key_config_selectorIssEEZZNS1_16scan_by_key_implILNS1_25lookback_scan_determinismE0ELb0ES3_N6thrust23THRUST_200600_302600_NS6detail15normal_iteratorINS9_10device_ptrIsEEEESE_SE_sNS9_4plusIsEE19head_flag_predicatesEE10hipError_tPvRmT2_T3_T4_T5_mT6_T7_P12ihipStream_tbENKUlT_T0_E_clISt17integral_constantIbLb1EESY_EEDaST_SU_EUlST_E_NS1_11comp_targetILNS1_3genE4ELNS1_11target_archE910ELNS1_3gpuE8ELNS1_3repE0EEENS1_30default_config_static_selectorELNS0_4arch9wavefront6targetE1EEEvT1_,comdat
.Lfunc_end833:
	.size	_ZN7rocprim17ROCPRIM_400000_NS6detail17trampoline_kernelINS0_14default_configENS1_27scan_by_key_config_selectorIssEEZZNS1_16scan_by_key_implILNS1_25lookback_scan_determinismE0ELb0ES3_N6thrust23THRUST_200600_302600_NS6detail15normal_iteratorINS9_10device_ptrIsEEEESE_SE_sNS9_4plusIsEE19head_flag_predicatesEE10hipError_tPvRmT2_T3_T4_T5_mT6_T7_P12ihipStream_tbENKUlT_T0_E_clISt17integral_constantIbLb1EESY_EEDaST_SU_EUlST_E_NS1_11comp_targetILNS1_3genE4ELNS1_11target_archE910ELNS1_3gpuE8ELNS1_3repE0EEENS1_30default_config_static_selectorELNS0_4arch9wavefront6targetE1EEEvT1_, .Lfunc_end833-_ZN7rocprim17ROCPRIM_400000_NS6detail17trampoline_kernelINS0_14default_configENS1_27scan_by_key_config_selectorIssEEZZNS1_16scan_by_key_implILNS1_25lookback_scan_determinismE0ELb0ES3_N6thrust23THRUST_200600_302600_NS6detail15normal_iteratorINS9_10device_ptrIsEEEESE_SE_sNS9_4plusIsEE19head_flag_predicatesEE10hipError_tPvRmT2_T3_T4_T5_mT6_T7_P12ihipStream_tbENKUlT_T0_E_clISt17integral_constantIbLb1EESY_EEDaST_SU_EUlST_E_NS1_11comp_targetILNS1_3genE4ELNS1_11target_archE910ELNS1_3gpuE8ELNS1_3repE0EEENS1_30default_config_static_selectorELNS0_4arch9wavefront6targetE1EEEvT1_
                                        ; -- End function
	.section	.AMDGPU.csdata,"",@progbits
; Kernel info:
; codeLenInByte = 0
; NumSgprs: 6
; NumVgprs: 0
; NumAgprs: 0
; TotalNumVgprs: 0
; ScratchSize: 0
; MemoryBound: 0
; FloatMode: 240
; IeeeMode: 1
; LDSByteSize: 0 bytes/workgroup (compile time only)
; SGPRBlocks: 0
; VGPRBlocks: 0
; NumSGPRsForWavesPerEU: 6
; NumVGPRsForWavesPerEU: 1
; AccumOffset: 4
; Occupancy: 8
; WaveLimiterHint : 0
; COMPUTE_PGM_RSRC2:SCRATCH_EN: 0
; COMPUTE_PGM_RSRC2:USER_SGPR: 2
; COMPUTE_PGM_RSRC2:TRAP_HANDLER: 0
; COMPUTE_PGM_RSRC2:TGID_X_EN: 1
; COMPUTE_PGM_RSRC2:TGID_Y_EN: 0
; COMPUTE_PGM_RSRC2:TGID_Z_EN: 0
; COMPUTE_PGM_RSRC2:TIDIG_COMP_CNT: 0
; COMPUTE_PGM_RSRC3_GFX90A:ACCUM_OFFSET: 0
; COMPUTE_PGM_RSRC3_GFX90A:TG_SPLIT: 0
	.section	.text._ZN7rocprim17ROCPRIM_400000_NS6detail17trampoline_kernelINS0_14default_configENS1_27scan_by_key_config_selectorIssEEZZNS1_16scan_by_key_implILNS1_25lookback_scan_determinismE0ELb0ES3_N6thrust23THRUST_200600_302600_NS6detail15normal_iteratorINS9_10device_ptrIsEEEESE_SE_sNS9_4plusIsEE19head_flag_predicatesEE10hipError_tPvRmT2_T3_T4_T5_mT6_T7_P12ihipStream_tbENKUlT_T0_E_clISt17integral_constantIbLb1EESY_EEDaST_SU_EUlST_E_NS1_11comp_targetILNS1_3genE3ELNS1_11target_archE908ELNS1_3gpuE7ELNS1_3repE0EEENS1_30default_config_static_selectorELNS0_4arch9wavefront6targetE1EEEvT1_,"axG",@progbits,_ZN7rocprim17ROCPRIM_400000_NS6detail17trampoline_kernelINS0_14default_configENS1_27scan_by_key_config_selectorIssEEZZNS1_16scan_by_key_implILNS1_25lookback_scan_determinismE0ELb0ES3_N6thrust23THRUST_200600_302600_NS6detail15normal_iteratorINS9_10device_ptrIsEEEESE_SE_sNS9_4plusIsEE19head_flag_predicatesEE10hipError_tPvRmT2_T3_T4_T5_mT6_T7_P12ihipStream_tbENKUlT_T0_E_clISt17integral_constantIbLb1EESY_EEDaST_SU_EUlST_E_NS1_11comp_targetILNS1_3genE3ELNS1_11target_archE908ELNS1_3gpuE7ELNS1_3repE0EEENS1_30default_config_static_selectorELNS0_4arch9wavefront6targetE1EEEvT1_,comdat
	.protected	_ZN7rocprim17ROCPRIM_400000_NS6detail17trampoline_kernelINS0_14default_configENS1_27scan_by_key_config_selectorIssEEZZNS1_16scan_by_key_implILNS1_25lookback_scan_determinismE0ELb0ES3_N6thrust23THRUST_200600_302600_NS6detail15normal_iteratorINS9_10device_ptrIsEEEESE_SE_sNS9_4plusIsEE19head_flag_predicatesEE10hipError_tPvRmT2_T3_T4_T5_mT6_T7_P12ihipStream_tbENKUlT_T0_E_clISt17integral_constantIbLb1EESY_EEDaST_SU_EUlST_E_NS1_11comp_targetILNS1_3genE3ELNS1_11target_archE908ELNS1_3gpuE7ELNS1_3repE0EEENS1_30default_config_static_selectorELNS0_4arch9wavefront6targetE1EEEvT1_ ; -- Begin function _ZN7rocprim17ROCPRIM_400000_NS6detail17trampoline_kernelINS0_14default_configENS1_27scan_by_key_config_selectorIssEEZZNS1_16scan_by_key_implILNS1_25lookback_scan_determinismE0ELb0ES3_N6thrust23THRUST_200600_302600_NS6detail15normal_iteratorINS9_10device_ptrIsEEEESE_SE_sNS9_4plusIsEE19head_flag_predicatesEE10hipError_tPvRmT2_T3_T4_T5_mT6_T7_P12ihipStream_tbENKUlT_T0_E_clISt17integral_constantIbLb1EESY_EEDaST_SU_EUlST_E_NS1_11comp_targetILNS1_3genE3ELNS1_11target_archE908ELNS1_3gpuE7ELNS1_3repE0EEENS1_30default_config_static_selectorELNS0_4arch9wavefront6targetE1EEEvT1_
	.globl	_ZN7rocprim17ROCPRIM_400000_NS6detail17trampoline_kernelINS0_14default_configENS1_27scan_by_key_config_selectorIssEEZZNS1_16scan_by_key_implILNS1_25lookback_scan_determinismE0ELb0ES3_N6thrust23THRUST_200600_302600_NS6detail15normal_iteratorINS9_10device_ptrIsEEEESE_SE_sNS9_4plusIsEE19head_flag_predicatesEE10hipError_tPvRmT2_T3_T4_T5_mT6_T7_P12ihipStream_tbENKUlT_T0_E_clISt17integral_constantIbLb1EESY_EEDaST_SU_EUlST_E_NS1_11comp_targetILNS1_3genE3ELNS1_11target_archE908ELNS1_3gpuE7ELNS1_3repE0EEENS1_30default_config_static_selectorELNS0_4arch9wavefront6targetE1EEEvT1_
	.p2align	8
	.type	_ZN7rocprim17ROCPRIM_400000_NS6detail17trampoline_kernelINS0_14default_configENS1_27scan_by_key_config_selectorIssEEZZNS1_16scan_by_key_implILNS1_25lookback_scan_determinismE0ELb0ES3_N6thrust23THRUST_200600_302600_NS6detail15normal_iteratorINS9_10device_ptrIsEEEESE_SE_sNS9_4plusIsEE19head_flag_predicatesEE10hipError_tPvRmT2_T3_T4_T5_mT6_T7_P12ihipStream_tbENKUlT_T0_E_clISt17integral_constantIbLb1EESY_EEDaST_SU_EUlST_E_NS1_11comp_targetILNS1_3genE3ELNS1_11target_archE908ELNS1_3gpuE7ELNS1_3repE0EEENS1_30default_config_static_selectorELNS0_4arch9wavefront6targetE1EEEvT1_,@function
_ZN7rocprim17ROCPRIM_400000_NS6detail17trampoline_kernelINS0_14default_configENS1_27scan_by_key_config_selectorIssEEZZNS1_16scan_by_key_implILNS1_25lookback_scan_determinismE0ELb0ES3_N6thrust23THRUST_200600_302600_NS6detail15normal_iteratorINS9_10device_ptrIsEEEESE_SE_sNS9_4plusIsEE19head_flag_predicatesEE10hipError_tPvRmT2_T3_T4_T5_mT6_T7_P12ihipStream_tbENKUlT_T0_E_clISt17integral_constantIbLb1EESY_EEDaST_SU_EUlST_E_NS1_11comp_targetILNS1_3genE3ELNS1_11target_archE908ELNS1_3gpuE7ELNS1_3repE0EEENS1_30default_config_static_selectorELNS0_4arch9wavefront6targetE1EEEvT1_: ; @_ZN7rocprim17ROCPRIM_400000_NS6detail17trampoline_kernelINS0_14default_configENS1_27scan_by_key_config_selectorIssEEZZNS1_16scan_by_key_implILNS1_25lookback_scan_determinismE0ELb0ES3_N6thrust23THRUST_200600_302600_NS6detail15normal_iteratorINS9_10device_ptrIsEEEESE_SE_sNS9_4plusIsEE19head_flag_predicatesEE10hipError_tPvRmT2_T3_T4_T5_mT6_T7_P12ihipStream_tbENKUlT_T0_E_clISt17integral_constantIbLb1EESY_EEDaST_SU_EUlST_E_NS1_11comp_targetILNS1_3genE3ELNS1_11target_archE908ELNS1_3gpuE7ELNS1_3repE0EEENS1_30default_config_static_selectorELNS0_4arch9wavefront6targetE1EEEvT1_
; %bb.0:
	.section	.rodata,"a",@progbits
	.p2align	6, 0x0
	.amdhsa_kernel _ZN7rocprim17ROCPRIM_400000_NS6detail17trampoline_kernelINS0_14default_configENS1_27scan_by_key_config_selectorIssEEZZNS1_16scan_by_key_implILNS1_25lookback_scan_determinismE0ELb0ES3_N6thrust23THRUST_200600_302600_NS6detail15normal_iteratorINS9_10device_ptrIsEEEESE_SE_sNS9_4plusIsEE19head_flag_predicatesEE10hipError_tPvRmT2_T3_T4_T5_mT6_T7_P12ihipStream_tbENKUlT_T0_E_clISt17integral_constantIbLb1EESY_EEDaST_SU_EUlST_E_NS1_11comp_targetILNS1_3genE3ELNS1_11target_archE908ELNS1_3gpuE7ELNS1_3repE0EEENS1_30default_config_static_selectorELNS0_4arch9wavefront6targetE1EEEvT1_
		.amdhsa_group_segment_fixed_size 0
		.amdhsa_private_segment_fixed_size 0
		.amdhsa_kernarg_size 112
		.amdhsa_user_sgpr_count 2
		.amdhsa_user_sgpr_dispatch_ptr 0
		.amdhsa_user_sgpr_queue_ptr 0
		.amdhsa_user_sgpr_kernarg_segment_ptr 1
		.amdhsa_user_sgpr_dispatch_id 0
		.amdhsa_user_sgpr_kernarg_preload_length 0
		.amdhsa_user_sgpr_kernarg_preload_offset 0
		.amdhsa_user_sgpr_private_segment_size 0
		.amdhsa_uses_dynamic_stack 0
		.amdhsa_enable_private_segment 0
		.amdhsa_system_sgpr_workgroup_id_x 1
		.amdhsa_system_sgpr_workgroup_id_y 0
		.amdhsa_system_sgpr_workgroup_id_z 0
		.amdhsa_system_sgpr_workgroup_info 0
		.amdhsa_system_vgpr_workitem_id 0
		.amdhsa_next_free_vgpr 1
		.amdhsa_next_free_sgpr 0
		.amdhsa_accum_offset 4
		.amdhsa_reserve_vcc 0
		.amdhsa_float_round_mode_32 0
		.amdhsa_float_round_mode_16_64 0
		.amdhsa_float_denorm_mode_32 3
		.amdhsa_float_denorm_mode_16_64 3
		.amdhsa_dx10_clamp 1
		.amdhsa_ieee_mode 1
		.amdhsa_fp16_overflow 0
		.amdhsa_tg_split 0
		.amdhsa_exception_fp_ieee_invalid_op 0
		.amdhsa_exception_fp_denorm_src 0
		.amdhsa_exception_fp_ieee_div_zero 0
		.amdhsa_exception_fp_ieee_overflow 0
		.amdhsa_exception_fp_ieee_underflow 0
		.amdhsa_exception_fp_ieee_inexact 0
		.amdhsa_exception_int_div_zero 0
	.end_amdhsa_kernel
	.section	.text._ZN7rocprim17ROCPRIM_400000_NS6detail17trampoline_kernelINS0_14default_configENS1_27scan_by_key_config_selectorIssEEZZNS1_16scan_by_key_implILNS1_25lookback_scan_determinismE0ELb0ES3_N6thrust23THRUST_200600_302600_NS6detail15normal_iteratorINS9_10device_ptrIsEEEESE_SE_sNS9_4plusIsEE19head_flag_predicatesEE10hipError_tPvRmT2_T3_T4_T5_mT6_T7_P12ihipStream_tbENKUlT_T0_E_clISt17integral_constantIbLb1EESY_EEDaST_SU_EUlST_E_NS1_11comp_targetILNS1_3genE3ELNS1_11target_archE908ELNS1_3gpuE7ELNS1_3repE0EEENS1_30default_config_static_selectorELNS0_4arch9wavefront6targetE1EEEvT1_,"axG",@progbits,_ZN7rocprim17ROCPRIM_400000_NS6detail17trampoline_kernelINS0_14default_configENS1_27scan_by_key_config_selectorIssEEZZNS1_16scan_by_key_implILNS1_25lookback_scan_determinismE0ELb0ES3_N6thrust23THRUST_200600_302600_NS6detail15normal_iteratorINS9_10device_ptrIsEEEESE_SE_sNS9_4plusIsEE19head_flag_predicatesEE10hipError_tPvRmT2_T3_T4_T5_mT6_T7_P12ihipStream_tbENKUlT_T0_E_clISt17integral_constantIbLb1EESY_EEDaST_SU_EUlST_E_NS1_11comp_targetILNS1_3genE3ELNS1_11target_archE908ELNS1_3gpuE7ELNS1_3repE0EEENS1_30default_config_static_selectorELNS0_4arch9wavefront6targetE1EEEvT1_,comdat
.Lfunc_end834:
	.size	_ZN7rocprim17ROCPRIM_400000_NS6detail17trampoline_kernelINS0_14default_configENS1_27scan_by_key_config_selectorIssEEZZNS1_16scan_by_key_implILNS1_25lookback_scan_determinismE0ELb0ES3_N6thrust23THRUST_200600_302600_NS6detail15normal_iteratorINS9_10device_ptrIsEEEESE_SE_sNS9_4plusIsEE19head_flag_predicatesEE10hipError_tPvRmT2_T3_T4_T5_mT6_T7_P12ihipStream_tbENKUlT_T0_E_clISt17integral_constantIbLb1EESY_EEDaST_SU_EUlST_E_NS1_11comp_targetILNS1_3genE3ELNS1_11target_archE908ELNS1_3gpuE7ELNS1_3repE0EEENS1_30default_config_static_selectorELNS0_4arch9wavefront6targetE1EEEvT1_, .Lfunc_end834-_ZN7rocprim17ROCPRIM_400000_NS6detail17trampoline_kernelINS0_14default_configENS1_27scan_by_key_config_selectorIssEEZZNS1_16scan_by_key_implILNS1_25lookback_scan_determinismE0ELb0ES3_N6thrust23THRUST_200600_302600_NS6detail15normal_iteratorINS9_10device_ptrIsEEEESE_SE_sNS9_4plusIsEE19head_flag_predicatesEE10hipError_tPvRmT2_T3_T4_T5_mT6_T7_P12ihipStream_tbENKUlT_T0_E_clISt17integral_constantIbLb1EESY_EEDaST_SU_EUlST_E_NS1_11comp_targetILNS1_3genE3ELNS1_11target_archE908ELNS1_3gpuE7ELNS1_3repE0EEENS1_30default_config_static_selectorELNS0_4arch9wavefront6targetE1EEEvT1_
                                        ; -- End function
	.section	.AMDGPU.csdata,"",@progbits
; Kernel info:
; codeLenInByte = 0
; NumSgprs: 6
; NumVgprs: 0
; NumAgprs: 0
; TotalNumVgprs: 0
; ScratchSize: 0
; MemoryBound: 0
; FloatMode: 240
; IeeeMode: 1
; LDSByteSize: 0 bytes/workgroup (compile time only)
; SGPRBlocks: 0
; VGPRBlocks: 0
; NumSGPRsForWavesPerEU: 6
; NumVGPRsForWavesPerEU: 1
; AccumOffset: 4
; Occupancy: 8
; WaveLimiterHint : 0
; COMPUTE_PGM_RSRC2:SCRATCH_EN: 0
; COMPUTE_PGM_RSRC2:USER_SGPR: 2
; COMPUTE_PGM_RSRC2:TRAP_HANDLER: 0
; COMPUTE_PGM_RSRC2:TGID_X_EN: 1
; COMPUTE_PGM_RSRC2:TGID_Y_EN: 0
; COMPUTE_PGM_RSRC2:TGID_Z_EN: 0
; COMPUTE_PGM_RSRC2:TIDIG_COMP_CNT: 0
; COMPUTE_PGM_RSRC3_GFX90A:ACCUM_OFFSET: 0
; COMPUTE_PGM_RSRC3_GFX90A:TG_SPLIT: 0
	.section	.text._ZN7rocprim17ROCPRIM_400000_NS6detail17trampoline_kernelINS0_14default_configENS1_27scan_by_key_config_selectorIssEEZZNS1_16scan_by_key_implILNS1_25lookback_scan_determinismE0ELb0ES3_N6thrust23THRUST_200600_302600_NS6detail15normal_iteratorINS9_10device_ptrIsEEEESE_SE_sNS9_4plusIsEE19head_flag_predicatesEE10hipError_tPvRmT2_T3_T4_T5_mT6_T7_P12ihipStream_tbENKUlT_T0_E_clISt17integral_constantIbLb1EESY_EEDaST_SU_EUlST_E_NS1_11comp_targetILNS1_3genE2ELNS1_11target_archE906ELNS1_3gpuE6ELNS1_3repE0EEENS1_30default_config_static_selectorELNS0_4arch9wavefront6targetE1EEEvT1_,"axG",@progbits,_ZN7rocprim17ROCPRIM_400000_NS6detail17trampoline_kernelINS0_14default_configENS1_27scan_by_key_config_selectorIssEEZZNS1_16scan_by_key_implILNS1_25lookback_scan_determinismE0ELb0ES3_N6thrust23THRUST_200600_302600_NS6detail15normal_iteratorINS9_10device_ptrIsEEEESE_SE_sNS9_4plusIsEE19head_flag_predicatesEE10hipError_tPvRmT2_T3_T4_T5_mT6_T7_P12ihipStream_tbENKUlT_T0_E_clISt17integral_constantIbLb1EESY_EEDaST_SU_EUlST_E_NS1_11comp_targetILNS1_3genE2ELNS1_11target_archE906ELNS1_3gpuE6ELNS1_3repE0EEENS1_30default_config_static_selectorELNS0_4arch9wavefront6targetE1EEEvT1_,comdat
	.protected	_ZN7rocprim17ROCPRIM_400000_NS6detail17trampoline_kernelINS0_14default_configENS1_27scan_by_key_config_selectorIssEEZZNS1_16scan_by_key_implILNS1_25lookback_scan_determinismE0ELb0ES3_N6thrust23THRUST_200600_302600_NS6detail15normal_iteratorINS9_10device_ptrIsEEEESE_SE_sNS9_4plusIsEE19head_flag_predicatesEE10hipError_tPvRmT2_T3_T4_T5_mT6_T7_P12ihipStream_tbENKUlT_T0_E_clISt17integral_constantIbLb1EESY_EEDaST_SU_EUlST_E_NS1_11comp_targetILNS1_3genE2ELNS1_11target_archE906ELNS1_3gpuE6ELNS1_3repE0EEENS1_30default_config_static_selectorELNS0_4arch9wavefront6targetE1EEEvT1_ ; -- Begin function _ZN7rocprim17ROCPRIM_400000_NS6detail17trampoline_kernelINS0_14default_configENS1_27scan_by_key_config_selectorIssEEZZNS1_16scan_by_key_implILNS1_25lookback_scan_determinismE0ELb0ES3_N6thrust23THRUST_200600_302600_NS6detail15normal_iteratorINS9_10device_ptrIsEEEESE_SE_sNS9_4plusIsEE19head_flag_predicatesEE10hipError_tPvRmT2_T3_T4_T5_mT6_T7_P12ihipStream_tbENKUlT_T0_E_clISt17integral_constantIbLb1EESY_EEDaST_SU_EUlST_E_NS1_11comp_targetILNS1_3genE2ELNS1_11target_archE906ELNS1_3gpuE6ELNS1_3repE0EEENS1_30default_config_static_selectorELNS0_4arch9wavefront6targetE1EEEvT1_
	.globl	_ZN7rocprim17ROCPRIM_400000_NS6detail17trampoline_kernelINS0_14default_configENS1_27scan_by_key_config_selectorIssEEZZNS1_16scan_by_key_implILNS1_25lookback_scan_determinismE0ELb0ES3_N6thrust23THRUST_200600_302600_NS6detail15normal_iteratorINS9_10device_ptrIsEEEESE_SE_sNS9_4plusIsEE19head_flag_predicatesEE10hipError_tPvRmT2_T3_T4_T5_mT6_T7_P12ihipStream_tbENKUlT_T0_E_clISt17integral_constantIbLb1EESY_EEDaST_SU_EUlST_E_NS1_11comp_targetILNS1_3genE2ELNS1_11target_archE906ELNS1_3gpuE6ELNS1_3repE0EEENS1_30default_config_static_selectorELNS0_4arch9wavefront6targetE1EEEvT1_
	.p2align	8
	.type	_ZN7rocprim17ROCPRIM_400000_NS6detail17trampoline_kernelINS0_14default_configENS1_27scan_by_key_config_selectorIssEEZZNS1_16scan_by_key_implILNS1_25lookback_scan_determinismE0ELb0ES3_N6thrust23THRUST_200600_302600_NS6detail15normal_iteratorINS9_10device_ptrIsEEEESE_SE_sNS9_4plusIsEE19head_flag_predicatesEE10hipError_tPvRmT2_T3_T4_T5_mT6_T7_P12ihipStream_tbENKUlT_T0_E_clISt17integral_constantIbLb1EESY_EEDaST_SU_EUlST_E_NS1_11comp_targetILNS1_3genE2ELNS1_11target_archE906ELNS1_3gpuE6ELNS1_3repE0EEENS1_30default_config_static_selectorELNS0_4arch9wavefront6targetE1EEEvT1_,@function
_ZN7rocprim17ROCPRIM_400000_NS6detail17trampoline_kernelINS0_14default_configENS1_27scan_by_key_config_selectorIssEEZZNS1_16scan_by_key_implILNS1_25lookback_scan_determinismE0ELb0ES3_N6thrust23THRUST_200600_302600_NS6detail15normal_iteratorINS9_10device_ptrIsEEEESE_SE_sNS9_4plusIsEE19head_flag_predicatesEE10hipError_tPvRmT2_T3_T4_T5_mT6_T7_P12ihipStream_tbENKUlT_T0_E_clISt17integral_constantIbLb1EESY_EEDaST_SU_EUlST_E_NS1_11comp_targetILNS1_3genE2ELNS1_11target_archE906ELNS1_3gpuE6ELNS1_3repE0EEENS1_30default_config_static_selectorELNS0_4arch9wavefront6targetE1EEEvT1_: ; @_ZN7rocprim17ROCPRIM_400000_NS6detail17trampoline_kernelINS0_14default_configENS1_27scan_by_key_config_selectorIssEEZZNS1_16scan_by_key_implILNS1_25lookback_scan_determinismE0ELb0ES3_N6thrust23THRUST_200600_302600_NS6detail15normal_iteratorINS9_10device_ptrIsEEEESE_SE_sNS9_4plusIsEE19head_flag_predicatesEE10hipError_tPvRmT2_T3_T4_T5_mT6_T7_P12ihipStream_tbENKUlT_T0_E_clISt17integral_constantIbLb1EESY_EEDaST_SU_EUlST_E_NS1_11comp_targetILNS1_3genE2ELNS1_11target_archE906ELNS1_3gpuE6ELNS1_3repE0EEENS1_30default_config_static_selectorELNS0_4arch9wavefront6targetE1EEEvT1_
; %bb.0:
	.section	.rodata,"a",@progbits
	.p2align	6, 0x0
	.amdhsa_kernel _ZN7rocprim17ROCPRIM_400000_NS6detail17trampoline_kernelINS0_14default_configENS1_27scan_by_key_config_selectorIssEEZZNS1_16scan_by_key_implILNS1_25lookback_scan_determinismE0ELb0ES3_N6thrust23THRUST_200600_302600_NS6detail15normal_iteratorINS9_10device_ptrIsEEEESE_SE_sNS9_4plusIsEE19head_flag_predicatesEE10hipError_tPvRmT2_T3_T4_T5_mT6_T7_P12ihipStream_tbENKUlT_T0_E_clISt17integral_constantIbLb1EESY_EEDaST_SU_EUlST_E_NS1_11comp_targetILNS1_3genE2ELNS1_11target_archE906ELNS1_3gpuE6ELNS1_3repE0EEENS1_30default_config_static_selectorELNS0_4arch9wavefront6targetE1EEEvT1_
		.amdhsa_group_segment_fixed_size 0
		.amdhsa_private_segment_fixed_size 0
		.amdhsa_kernarg_size 112
		.amdhsa_user_sgpr_count 2
		.amdhsa_user_sgpr_dispatch_ptr 0
		.amdhsa_user_sgpr_queue_ptr 0
		.amdhsa_user_sgpr_kernarg_segment_ptr 1
		.amdhsa_user_sgpr_dispatch_id 0
		.amdhsa_user_sgpr_kernarg_preload_length 0
		.amdhsa_user_sgpr_kernarg_preload_offset 0
		.amdhsa_user_sgpr_private_segment_size 0
		.amdhsa_uses_dynamic_stack 0
		.amdhsa_enable_private_segment 0
		.amdhsa_system_sgpr_workgroup_id_x 1
		.amdhsa_system_sgpr_workgroup_id_y 0
		.amdhsa_system_sgpr_workgroup_id_z 0
		.amdhsa_system_sgpr_workgroup_info 0
		.amdhsa_system_vgpr_workitem_id 0
		.amdhsa_next_free_vgpr 1
		.amdhsa_next_free_sgpr 0
		.amdhsa_accum_offset 4
		.amdhsa_reserve_vcc 0
		.amdhsa_float_round_mode_32 0
		.amdhsa_float_round_mode_16_64 0
		.amdhsa_float_denorm_mode_32 3
		.amdhsa_float_denorm_mode_16_64 3
		.amdhsa_dx10_clamp 1
		.amdhsa_ieee_mode 1
		.amdhsa_fp16_overflow 0
		.amdhsa_tg_split 0
		.amdhsa_exception_fp_ieee_invalid_op 0
		.amdhsa_exception_fp_denorm_src 0
		.amdhsa_exception_fp_ieee_div_zero 0
		.amdhsa_exception_fp_ieee_overflow 0
		.amdhsa_exception_fp_ieee_underflow 0
		.amdhsa_exception_fp_ieee_inexact 0
		.amdhsa_exception_int_div_zero 0
	.end_amdhsa_kernel
	.section	.text._ZN7rocprim17ROCPRIM_400000_NS6detail17trampoline_kernelINS0_14default_configENS1_27scan_by_key_config_selectorIssEEZZNS1_16scan_by_key_implILNS1_25lookback_scan_determinismE0ELb0ES3_N6thrust23THRUST_200600_302600_NS6detail15normal_iteratorINS9_10device_ptrIsEEEESE_SE_sNS9_4plusIsEE19head_flag_predicatesEE10hipError_tPvRmT2_T3_T4_T5_mT6_T7_P12ihipStream_tbENKUlT_T0_E_clISt17integral_constantIbLb1EESY_EEDaST_SU_EUlST_E_NS1_11comp_targetILNS1_3genE2ELNS1_11target_archE906ELNS1_3gpuE6ELNS1_3repE0EEENS1_30default_config_static_selectorELNS0_4arch9wavefront6targetE1EEEvT1_,"axG",@progbits,_ZN7rocprim17ROCPRIM_400000_NS6detail17trampoline_kernelINS0_14default_configENS1_27scan_by_key_config_selectorIssEEZZNS1_16scan_by_key_implILNS1_25lookback_scan_determinismE0ELb0ES3_N6thrust23THRUST_200600_302600_NS6detail15normal_iteratorINS9_10device_ptrIsEEEESE_SE_sNS9_4plusIsEE19head_flag_predicatesEE10hipError_tPvRmT2_T3_T4_T5_mT6_T7_P12ihipStream_tbENKUlT_T0_E_clISt17integral_constantIbLb1EESY_EEDaST_SU_EUlST_E_NS1_11comp_targetILNS1_3genE2ELNS1_11target_archE906ELNS1_3gpuE6ELNS1_3repE0EEENS1_30default_config_static_selectorELNS0_4arch9wavefront6targetE1EEEvT1_,comdat
.Lfunc_end835:
	.size	_ZN7rocprim17ROCPRIM_400000_NS6detail17trampoline_kernelINS0_14default_configENS1_27scan_by_key_config_selectorIssEEZZNS1_16scan_by_key_implILNS1_25lookback_scan_determinismE0ELb0ES3_N6thrust23THRUST_200600_302600_NS6detail15normal_iteratorINS9_10device_ptrIsEEEESE_SE_sNS9_4plusIsEE19head_flag_predicatesEE10hipError_tPvRmT2_T3_T4_T5_mT6_T7_P12ihipStream_tbENKUlT_T0_E_clISt17integral_constantIbLb1EESY_EEDaST_SU_EUlST_E_NS1_11comp_targetILNS1_3genE2ELNS1_11target_archE906ELNS1_3gpuE6ELNS1_3repE0EEENS1_30default_config_static_selectorELNS0_4arch9wavefront6targetE1EEEvT1_, .Lfunc_end835-_ZN7rocprim17ROCPRIM_400000_NS6detail17trampoline_kernelINS0_14default_configENS1_27scan_by_key_config_selectorIssEEZZNS1_16scan_by_key_implILNS1_25lookback_scan_determinismE0ELb0ES3_N6thrust23THRUST_200600_302600_NS6detail15normal_iteratorINS9_10device_ptrIsEEEESE_SE_sNS9_4plusIsEE19head_flag_predicatesEE10hipError_tPvRmT2_T3_T4_T5_mT6_T7_P12ihipStream_tbENKUlT_T0_E_clISt17integral_constantIbLb1EESY_EEDaST_SU_EUlST_E_NS1_11comp_targetILNS1_3genE2ELNS1_11target_archE906ELNS1_3gpuE6ELNS1_3repE0EEENS1_30default_config_static_selectorELNS0_4arch9wavefront6targetE1EEEvT1_
                                        ; -- End function
	.section	.AMDGPU.csdata,"",@progbits
; Kernel info:
; codeLenInByte = 0
; NumSgprs: 6
; NumVgprs: 0
; NumAgprs: 0
; TotalNumVgprs: 0
; ScratchSize: 0
; MemoryBound: 0
; FloatMode: 240
; IeeeMode: 1
; LDSByteSize: 0 bytes/workgroup (compile time only)
; SGPRBlocks: 0
; VGPRBlocks: 0
; NumSGPRsForWavesPerEU: 6
; NumVGPRsForWavesPerEU: 1
; AccumOffset: 4
; Occupancy: 8
; WaveLimiterHint : 0
; COMPUTE_PGM_RSRC2:SCRATCH_EN: 0
; COMPUTE_PGM_RSRC2:USER_SGPR: 2
; COMPUTE_PGM_RSRC2:TRAP_HANDLER: 0
; COMPUTE_PGM_RSRC2:TGID_X_EN: 1
; COMPUTE_PGM_RSRC2:TGID_Y_EN: 0
; COMPUTE_PGM_RSRC2:TGID_Z_EN: 0
; COMPUTE_PGM_RSRC2:TIDIG_COMP_CNT: 0
; COMPUTE_PGM_RSRC3_GFX90A:ACCUM_OFFSET: 0
; COMPUTE_PGM_RSRC3_GFX90A:TG_SPLIT: 0
	.section	.text._ZN7rocprim17ROCPRIM_400000_NS6detail17trampoline_kernelINS0_14default_configENS1_27scan_by_key_config_selectorIssEEZZNS1_16scan_by_key_implILNS1_25lookback_scan_determinismE0ELb0ES3_N6thrust23THRUST_200600_302600_NS6detail15normal_iteratorINS9_10device_ptrIsEEEESE_SE_sNS9_4plusIsEE19head_flag_predicatesEE10hipError_tPvRmT2_T3_T4_T5_mT6_T7_P12ihipStream_tbENKUlT_T0_E_clISt17integral_constantIbLb1EESY_EEDaST_SU_EUlST_E_NS1_11comp_targetILNS1_3genE10ELNS1_11target_archE1200ELNS1_3gpuE4ELNS1_3repE0EEENS1_30default_config_static_selectorELNS0_4arch9wavefront6targetE1EEEvT1_,"axG",@progbits,_ZN7rocprim17ROCPRIM_400000_NS6detail17trampoline_kernelINS0_14default_configENS1_27scan_by_key_config_selectorIssEEZZNS1_16scan_by_key_implILNS1_25lookback_scan_determinismE0ELb0ES3_N6thrust23THRUST_200600_302600_NS6detail15normal_iteratorINS9_10device_ptrIsEEEESE_SE_sNS9_4plusIsEE19head_flag_predicatesEE10hipError_tPvRmT2_T3_T4_T5_mT6_T7_P12ihipStream_tbENKUlT_T0_E_clISt17integral_constantIbLb1EESY_EEDaST_SU_EUlST_E_NS1_11comp_targetILNS1_3genE10ELNS1_11target_archE1200ELNS1_3gpuE4ELNS1_3repE0EEENS1_30default_config_static_selectorELNS0_4arch9wavefront6targetE1EEEvT1_,comdat
	.protected	_ZN7rocprim17ROCPRIM_400000_NS6detail17trampoline_kernelINS0_14default_configENS1_27scan_by_key_config_selectorIssEEZZNS1_16scan_by_key_implILNS1_25lookback_scan_determinismE0ELb0ES3_N6thrust23THRUST_200600_302600_NS6detail15normal_iteratorINS9_10device_ptrIsEEEESE_SE_sNS9_4plusIsEE19head_flag_predicatesEE10hipError_tPvRmT2_T3_T4_T5_mT6_T7_P12ihipStream_tbENKUlT_T0_E_clISt17integral_constantIbLb1EESY_EEDaST_SU_EUlST_E_NS1_11comp_targetILNS1_3genE10ELNS1_11target_archE1200ELNS1_3gpuE4ELNS1_3repE0EEENS1_30default_config_static_selectorELNS0_4arch9wavefront6targetE1EEEvT1_ ; -- Begin function _ZN7rocprim17ROCPRIM_400000_NS6detail17trampoline_kernelINS0_14default_configENS1_27scan_by_key_config_selectorIssEEZZNS1_16scan_by_key_implILNS1_25lookback_scan_determinismE0ELb0ES3_N6thrust23THRUST_200600_302600_NS6detail15normal_iteratorINS9_10device_ptrIsEEEESE_SE_sNS9_4plusIsEE19head_flag_predicatesEE10hipError_tPvRmT2_T3_T4_T5_mT6_T7_P12ihipStream_tbENKUlT_T0_E_clISt17integral_constantIbLb1EESY_EEDaST_SU_EUlST_E_NS1_11comp_targetILNS1_3genE10ELNS1_11target_archE1200ELNS1_3gpuE4ELNS1_3repE0EEENS1_30default_config_static_selectorELNS0_4arch9wavefront6targetE1EEEvT1_
	.globl	_ZN7rocprim17ROCPRIM_400000_NS6detail17trampoline_kernelINS0_14default_configENS1_27scan_by_key_config_selectorIssEEZZNS1_16scan_by_key_implILNS1_25lookback_scan_determinismE0ELb0ES3_N6thrust23THRUST_200600_302600_NS6detail15normal_iteratorINS9_10device_ptrIsEEEESE_SE_sNS9_4plusIsEE19head_flag_predicatesEE10hipError_tPvRmT2_T3_T4_T5_mT6_T7_P12ihipStream_tbENKUlT_T0_E_clISt17integral_constantIbLb1EESY_EEDaST_SU_EUlST_E_NS1_11comp_targetILNS1_3genE10ELNS1_11target_archE1200ELNS1_3gpuE4ELNS1_3repE0EEENS1_30default_config_static_selectorELNS0_4arch9wavefront6targetE1EEEvT1_
	.p2align	8
	.type	_ZN7rocprim17ROCPRIM_400000_NS6detail17trampoline_kernelINS0_14default_configENS1_27scan_by_key_config_selectorIssEEZZNS1_16scan_by_key_implILNS1_25lookback_scan_determinismE0ELb0ES3_N6thrust23THRUST_200600_302600_NS6detail15normal_iteratorINS9_10device_ptrIsEEEESE_SE_sNS9_4plusIsEE19head_flag_predicatesEE10hipError_tPvRmT2_T3_T4_T5_mT6_T7_P12ihipStream_tbENKUlT_T0_E_clISt17integral_constantIbLb1EESY_EEDaST_SU_EUlST_E_NS1_11comp_targetILNS1_3genE10ELNS1_11target_archE1200ELNS1_3gpuE4ELNS1_3repE0EEENS1_30default_config_static_selectorELNS0_4arch9wavefront6targetE1EEEvT1_,@function
_ZN7rocprim17ROCPRIM_400000_NS6detail17trampoline_kernelINS0_14default_configENS1_27scan_by_key_config_selectorIssEEZZNS1_16scan_by_key_implILNS1_25lookback_scan_determinismE0ELb0ES3_N6thrust23THRUST_200600_302600_NS6detail15normal_iteratorINS9_10device_ptrIsEEEESE_SE_sNS9_4plusIsEE19head_flag_predicatesEE10hipError_tPvRmT2_T3_T4_T5_mT6_T7_P12ihipStream_tbENKUlT_T0_E_clISt17integral_constantIbLb1EESY_EEDaST_SU_EUlST_E_NS1_11comp_targetILNS1_3genE10ELNS1_11target_archE1200ELNS1_3gpuE4ELNS1_3repE0EEENS1_30default_config_static_selectorELNS0_4arch9wavefront6targetE1EEEvT1_: ; @_ZN7rocprim17ROCPRIM_400000_NS6detail17trampoline_kernelINS0_14default_configENS1_27scan_by_key_config_selectorIssEEZZNS1_16scan_by_key_implILNS1_25lookback_scan_determinismE0ELb0ES3_N6thrust23THRUST_200600_302600_NS6detail15normal_iteratorINS9_10device_ptrIsEEEESE_SE_sNS9_4plusIsEE19head_flag_predicatesEE10hipError_tPvRmT2_T3_T4_T5_mT6_T7_P12ihipStream_tbENKUlT_T0_E_clISt17integral_constantIbLb1EESY_EEDaST_SU_EUlST_E_NS1_11comp_targetILNS1_3genE10ELNS1_11target_archE1200ELNS1_3gpuE4ELNS1_3repE0EEENS1_30default_config_static_selectorELNS0_4arch9wavefront6targetE1EEEvT1_
; %bb.0:
	.section	.rodata,"a",@progbits
	.p2align	6, 0x0
	.amdhsa_kernel _ZN7rocprim17ROCPRIM_400000_NS6detail17trampoline_kernelINS0_14default_configENS1_27scan_by_key_config_selectorIssEEZZNS1_16scan_by_key_implILNS1_25lookback_scan_determinismE0ELb0ES3_N6thrust23THRUST_200600_302600_NS6detail15normal_iteratorINS9_10device_ptrIsEEEESE_SE_sNS9_4plusIsEE19head_flag_predicatesEE10hipError_tPvRmT2_T3_T4_T5_mT6_T7_P12ihipStream_tbENKUlT_T0_E_clISt17integral_constantIbLb1EESY_EEDaST_SU_EUlST_E_NS1_11comp_targetILNS1_3genE10ELNS1_11target_archE1200ELNS1_3gpuE4ELNS1_3repE0EEENS1_30default_config_static_selectorELNS0_4arch9wavefront6targetE1EEEvT1_
		.amdhsa_group_segment_fixed_size 0
		.amdhsa_private_segment_fixed_size 0
		.amdhsa_kernarg_size 112
		.amdhsa_user_sgpr_count 2
		.amdhsa_user_sgpr_dispatch_ptr 0
		.amdhsa_user_sgpr_queue_ptr 0
		.amdhsa_user_sgpr_kernarg_segment_ptr 1
		.amdhsa_user_sgpr_dispatch_id 0
		.amdhsa_user_sgpr_kernarg_preload_length 0
		.amdhsa_user_sgpr_kernarg_preload_offset 0
		.amdhsa_user_sgpr_private_segment_size 0
		.amdhsa_uses_dynamic_stack 0
		.amdhsa_enable_private_segment 0
		.amdhsa_system_sgpr_workgroup_id_x 1
		.amdhsa_system_sgpr_workgroup_id_y 0
		.amdhsa_system_sgpr_workgroup_id_z 0
		.amdhsa_system_sgpr_workgroup_info 0
		.amdhsa_system_vgpr_workitem_id 0
		.amdhsa_next_free_vgpr 1
		.amdhsa_next_free_sgpr 0
		.amdhsa_accum_offset 4
		.amdhsa_reserve_vcc 0
		.amdhsa_float_round_mode_32 0
		.amdhsa_float_round_mode_16_64 0
		.amdhsa_float_denorm_mode_32 3
		.amdhsa_float_denorm_mode_16_64 3
		.amdhsa_dx10_clamp 1
		.amdhsa_ieee_mode 1
		.amdhsa_fp16_overflow 0
		.amdhsa_tg_split 0
		.amdhsa_exception_fp_ieee_invalid_op 0
		.amdhsa_exception_fp_denorm_src 0
		.amdhsa_exception_fp_ieee_div_zero 0
		.amdhsa_exception_fp_ieee_overflow 0
		.amdhsa_exception_fp_ieee_underflow 0
		.amdhsa_exception_fp_ieee_inexact 0
		.amdhsa_exception_int_div_zero 0
	.end_amdhsa_kernel
	.section	.text._ZN7rocprim17ROCPRIM_400000_NS6detail17trampoline_kernelINS0_14default_configENS1_27scan_by_key_config_selectorIssEEZZNS1_16scan_by_key_implILNS1_25lookback_scan_determinismE0ELb0ES3_N6thrust23THRUST_200600_302600_NS6detail15normal_iteratorINS9_10device_ptrIsEEEESE_SE_sNS9_4plusIsEE19head_flag_predicatesEE10hipError_tPvRmT2_T3_T4_T5_mT6_T7_P12ihipStream_tbENKUlT_T0_E_clISt17integral_constantIbLb1EESY_EEDaST_SU_EUlST_E_NS1_11comp_targetILNS1_3genE10ELNS1_11target_archE1200ELNS1_3gpuE4ELNS1_3repE0EEENS1_30default_config_static_selectorELNS0_4arch9wavefront6targetE1EEEvT1_,"axG",@progbits,_ZN7rocprim17ROCPRIM_400000_NS6detail17trampoline_kernelINS0_14default_configENS1_27scan_by_key_config_selectorIssEEZZNS1_16scan_by_key_implILNS1_25lookback_scan_determinismE0ELb0ES3_N6thrust23THRUST_200600_302600_NS6detail15normal_iteratorINS9_10device_ptrIsEEEESE_SE_sNS9_4plusIsEE19head_flag_predicatesEE10hipError_tPvRmT2_T3_T4_T5_mT6_T7_P12ihipStream_tbENKUlT_T0_E_clISt17integral_constantIbLb1EESY_EEDaST_SU_EUlST_E_NS1_11comp_targetILNS1_3genE10ELNS1_11target_archE1200ELNS1_3gpuE4ELNS1_3repE0EEENS1_30default_config_static_selectorELNS0_4arch9wavefront6targetE1EEEvT1_,comdat
.Lfunc_end836:
	.size	_ZN7rocprim17ROCPRIM_400000_NS6detail17trampoline_kernelINS0_14default_configENS1_27scan_by_key_config_selectorIssEEZZNS1_16scan_by_key_implILNS1_25lookback_scan_determinismE0ELb0ES3_N6thrust23THRUST_200600_302600_NS6detail15normal_iteratorINS9_10device_ptrIsEEEESE_SE_sNS9_4plusIsEE19head_flag_predicatesEE10hipError_tPvRmT2_T3_T4_T5_mT6_T7_P12ihipStream_tbENKUlT_T0_E_clISt17integral_constantIbLb1EESY_EEDaST_SU_EUlST_E_NS1_11comp_targetILNS1_3genE10ELNS1_11target_archE1200ELNS1_3gpuE4ELNS1_3repE0EEENS1_30default_config_static_selectorELNS0_4arch9wavefront6targetE1EEEvT1_, .Lfunc_end836-_ZN7rocprim17ROCPRIM_400000_NS6detail17trampoline_kernelINS0_14default_configENS1_27scan_by_key_config_selectorIssEEZZNS1_16scan_by_key_implILNS1_25lookback_scan_determinismE0ELb0ES3_N6thrust23THRUST_200600_302600_NS6detail15normal_iteratorINS9_10device_ptrIsEEEESE_SE_sNS9_4plusIsEE19head_flag_predicatesEE10hipError_tPvRmT2_T3_T4_T5_mT6_T7_P12ihipStream_tbENKUlT_T0_E_clISt17integral_constantIbLb1EESY_EEDaST_SU_EUlST_E_NS1_11comp_targetILNS1_3genE10ELNS1_11target_archE1200ELNS1_3gpuE4ELNS1_3repE0EEENS1_30default_config_static_selectorELNS0_4arch9wavefront6targetE1EEEvT1_
                                        ; -- End function
	.section	.AMDGPU.csdata,"",@progbits
; Kernel info:
; codeLenInByte = 0
; NumSgprs: 6
; NumVgprs: 0
; NumAgprs: 0
; TotalNumVgprs: 0
; ScratchSize: 0
; MemoryBound: 0
; FloatMode: 240
; IeeeMode: 1
; LDSByteSize: 0 bytes/workgroup (compile time only)
; SGPRBlocks: 0
; VGPRBlocks: 0
; NumSGPRsForWavesPerEU: 6
; NumVGPRsForWavesPerEU: 1
; AccumOffset: 4
; Occupancy: 8
; WaveLimiterHint : 0
; COMPUTE_PGM_RSRC2:SCRATCH_EN: 0
; COMPUTE_PGM_RSRC2:USER_SGPR: 2
; COMPUTE_PGM_RSRC2:TRAP_HANDLER: 0
; COMPUTE_PGM_RSRC2:TGID_X_EN: 1
; COMPUTE_PGM_RSRC2:TGID_Y_EN: 0
; COMPUTE_PGM_RSRC2:TGID_Z_EN: 0
; COMPUTE_PGM_RSRC2:TIDIG_COMP_CNT: 0
; COMPUTE_PGM_RSRC3_GFX90A:ACCUM_OFFSET: 0
; COMPUTE_PGM_RSRC3_GFX90A:TG_SPLIT: 0
	.section	.text._ZN7rocprim17ROCPRIM_400000_NS6detail17trampoline_kernelINS0_14default_configENS1_27scan_by_key_config_selectorIssEEZZNS1_16scan_by_key_implILNS1_25lookback_scan_determinismE0ELb0ES3_N6thrust23THRUST_200600_302600_NS6detail15normal_iteratorINS9_10device_ptrIsEEEESE_SE_sNS9_4plusIsEE19head_flag_predicatesEE10hipError_tPvRmT2_T3_T4_T5_mT6_T7_P12ihipStream_tbENKUlT_T0_E_clISt17integral_constantIbLb1EESY_EEDaST_SU_EUlST_E_NS1_11comp_targetILNS1_3genE9ELNS1_11target_archE1100ELNS1_3gpuE3ELNS1_3repE0EEENS1_30default_config_static_selectorELNS0_4arch9wavefront6targetE1EEEvT1_,"axG",@progbits,_ZN7rocprim17ROCPRIM_400000_NS6detail17trampoline_kernelINS0_14default_configENS1_27scan_by_key_config_selectorIssEEZZNS1_16scan_by_key_implILNS1_25lookback_scan_determinismE0ELb0ES3_N6thrust23THRUST_200600_302600_NS6detail15normal_iteratorINS9_10device_ptrIsEEEESE_SE_sNS9_4plusIsEE19head_flag_predicatesEE10hipError_tPvRmT2_T3_T4_T5_mT6_T7_P12ihipStream_tbENKUlT_T0_E_clISt17integral_constantIbLb1EESY_EEDaST_SU_EUlST_E_NS1_11comp_targetILNS1_3genE9ELNS1_11target_archE1100ELNS1_3gpuE3ELNS1_3repE0EEENS1_30default_config_static_selectorELNS0_4arch9wavefront6targetE1EEEvT1_,comdat
	.protected	_ZN7rocprim17ROCPRIM_400000_NS6detail17trampoline_kernelINS0_14default_configENS1_27scan_by_key_config_selectorIssEEZZNS1_16scan_by_key_implILNS1_25lookback_scan_determinismE0ELb0ES3_N6thrust23THRUST_200600_302600_NS6detail15normal_iteratorINS9_10device_ptrIsEEEESE_SE_sNS9_4plusIsEE19head_flag_predicatesEE10hipError_tPvRmT2_T3_T4_T5_mT6_T7_P12ihipStream_tbENKUlT_T0_E_clISt17integral_constantIbLb1EESY_EEDaST_SU_EUlST_E_NS1_11comp_targetILNS1_3genE9ELNS1_11target_archE1100ELNS1_3gpuE3ELNS1_3repE0EEENS1_30default_config_static_selectorELNS0_4arch9wavefront6targetE1EEEvT1_ ; -- Begin function _ZN7rocprim17ROCPRIM_400000_NS6detail17trampoline_kernelINS0_14default_configENS1_27scan_by_key_config_selectorIssEEZZNS1_16scan_by_key_implILNS1_25lookback_scan_determinismE0ELb0ES3_N6thrust23THRUST_200600_302600_NS6detail15normal_iteratorINS9_10device_ptrIsEEEESE_SE_sNS9_4plusIsEE19head_flag_predicatesEE10hipError_tPvRmT2_T3_T4_T5_mT6_T7_P12ihipStream_tbENKUlT_T0_E_clISt17integral_constantIbLb1EESY_EEDaST_SU_EUlST_E_NS1_11comp_targetILNS1_3genE9ELNS1_11target_archE1100ELNS1_3gpuE3ELNS1_3repE0EEENS1_30default_config_static_selectorELNS0_4arch9wavefront6targetE1EEEvT1_
	.globl	_ZN7rocprim17ROCPRIM_400000_NS6detail17trampoline_kernelINS0_14default_configENS1_27scan_by_key_config_selectorIssEEZZNS1_16scan_by_key_implILNS1_25lookback_scan_determinismE0ELb0ES3_N6thrust23THRUST_200600_302600_NS6detail15normal_iteratorINS9_10device_ptrIsEEEESE_SE_sNS9_4plusIsEE19head_flag_predicatesEE10hipError_tPvRmT2_T3_T4_T5_mT6_T7_P12ihipStream_tbENKUlT_T0_E_clISt17integral_constantIbLb1EESY_EEDaST_SU_EUlST_E_NS1_11comp_targetILNS1_3genE9ELNS1_11target_archE1100ELNS1_3gpuE3ELNS1_3repE0EEENS1_30default_config_static_selectorELNS0_4arch9wavefront6targetE1EEEvT1_
	.p2align	8
	.type	_ZN7rocprim17ROCPRIM_400000_NS6detail17trampoline_kernelINS0_14default_configENS1_27scan_by_key_config_selectorIssEEZZNS1_16scan_by_key_implILNS1_25lookback_scan_determinismE0ELb0ES3_N6thrust23THRUST_200600_302600_NS6detail15normal_iteratorINS9_10device_ptrIsEEEESE_SE_sNS9_4plusIsEE19head_flag_predicatesEE10hipError_tPvRmT2_T3_T4_T5_mT6_T7_P12ihipStream_tbENKUlT_T0_E_clISt17integral_constantIbLb1EESY_EEDaST_SU_EUlST_E_NS1_11comp_targetILNS1_3genE9ELNS1_11target_archE1100ELNS1_3gpuE3ELNS1_3repE0EEENS1_30default_config_static_selectorELNS0_4arch9wavefront6targetE1EEEvT1_,@function
_ZN7rocprim17ROCPRIM_400000_NS6detail17trampoline_kernelINS0_14default_configENS1_27scan_by_key_config_selectorIssEEZZNS1_16scan_by_key_implILNS1_25lookback_scan_determinismE0ELb0ES3_N6thrust23THRUST_200600_302600_NS6detail15normal_iteratorINS9_10device_ptrIsEEEESE_SE_sNS9_4plusIsEE19head_flag_predicatesEE10hipError_tPvRmT2_T3_T4_T5_mT6_T7_P12ihipStream_tbENKUlT_T0_E_clISt17integral_constantIbLb1EESY_EEDaST_SU_EUlST_E_NS1_11comp_targetILNS1_3genE9ELNS1_11target_archE1100ELNS1_3gpuE3ELNS1_3repE0EEENS1_30default_config_static_selectorELNS0_4arch9wavefront6targetE1EEEvT1_: ; @_ZN7rocprim17ROCPRIM_400000_NS6detail17trampoline_kernelINS0_14default_configENS1_27scan_by_key_config_selectorIssEEZZNS1_16scan_by_key_implILNS1_25lookback_scan_determinismE0ELb0ES3_N6thrust23THRUST_200600_302600_NS6detail15normal_iteratorINS9_10device_ptrIsEEEESE_SE_sNS9_4plusIsEE19head_flag_predicatesEE10hipError_tPvRmT2_T3_T4_T5_mT6_T7_P12ihipStream_tbENKUlT_T0_E_clISt17integral_constantIbLb1EESY_EEDaST_SU_EUlST_E_NS1_11comp_targetILNS1_3genE9ELNS1_11target_archE1100ELNS1_3gpuE3ELNS1_3repE0EEENS1_30default_config_static_selectorELNS0_4arch9wavefront6targetE1EEEvT1_
; %bb.0:
	.section	.rodata,"a",@progbits
	.p2align	6, 0x0
	.amdhsa_kernel _ZN7rocprim17ROCPRIM_400000_NS6detail17trampoline_kernelINS0_14default_configENS1_27scan_by_key_config_selectorIssEEZZNS1_16scan_by_key_implILNS1_25lookback_scan_determinismE0ELb0ES3_N6thrust23THRUST_200600_302600_NS6detail15normal_iteratorINS9_10device_ptrIsEEEESE_SE_sNS9_4plusIsEE19head_flag_predicatesEE10hipError_tPvRmT2_T3_T4_T5_mT6_T7_P12ihipStream_tbENKUlT_T0_E_clISt17integral_constantIbLb1EESY_EEDaST_SU_EUlST_E_NS1_11comp_targetILNS1_3genE9ELNS1_11target_archE1100ELNS1_3gpuE3ELNS1_3repE0EEENS1_30default_config_static_selectorELNS0_4arch9wavefront6targetE1EEEvT1_
		.amdhsa_group_segment_fixed_size 0
		.amdhsa_private_segment_fixed_size 0
		.amdhsa_kernarg_size 112
		.amdhsa_user_sgpr_count 2
		.amdhsa_user_sgpr_dispatch_ptr 0
		.amdhsa_user_sgpr_queue_ptr 0
		.amdhsa_user_sgpr_kernarg_segment_ptr 1
		.amdhsa_user_sgpr_dispatch_id 0
		.amdhsa_user_sgpr_kernarg_preload_length 0
		.amdhsa_user_sgpr_kernarg_preload_offset 0
		.amdhsa_user_sgpr_private_segment_size 0
		.amdhsa_uses_dynamic_stack 0
		.amdhsa_enable_private_segment 0
		.amdhsa_system_sgpr_workgroup_id_x 1
		.amdhsa_system_sgpr_workgroup_id_y 0
		.amdhsa_system_sgpr_workgroup_id_z 0
		.amdhsa_system_sgpr_workgroup_info 0
		.amdhsa_system_vgpr_workitem_id 0
		.amdhsa_next_free_vgpr 1
		.amdhsa_next_free_sgpr 0
		.amdhsa_accum_offset 4
		.amdhsa_reserve_vcc 0
		.amdhsa_float_round_mode_32 0
		.amdhsa_float_round_mode_16_64 0
		.amdhsa_float_denorm_mode_32 3
		.amdhsa_float_denorm_mode_16_64 3
		.amdhsa_dx10_clamp 1
		.amdhsa_ieee_mode 1
		.amdhsa_fp16_overflow 0
		.amdhsa_tg_split 0
		.amdhsa_exception_fp_ieee_invalid_op 0
		.amdhsa_exception_fp_denorm_src 0
		.amdhsa_exception_fp_ieee_div_zero 0
		.amdhsa_exception_fp_ieee_overflow 0
		.amdhsa_exception_fp_ieee_underflow 0
		.amdhsa_exception_fp_ieee_inexact 0
		.amdhsa_exception_int_div_zero 0
	.end_amdhsa_kernel
	.section	.text._ZN7rocprim17ROCPRIM_400000_NS6detail17trampoline_kernelINS0_14default_configENS1_27scan_by_key_config_selectorIssEEZZNS1_16scan_by_key_implILNS1_25lookback_scan_determinismE0ELb0ES3_N6thrust23THRUST_200600_302600_NS6detail15normal_iteratorINS9_10device_ptrIsEEEESE_SE_sNS9_4plusIsEE19head_flag_predicatesEE10hipError_tPvRmT2_T3_T4_T5_mT6_T7_P12ihipStream_tbENKUlT_T0_E_clISt17integral_constantIbLb1EESY_EEDaST_SU_EUlST_E_NS1_11comp_targetILNS1_3genE9ELNS1_11target_archE1100ELNS1_3gpuE3ELNS1_3repE0EEENS1_30default_config_static_selectorELNS0_4arch9wavefront6targetE1EEEvT1_,"axG",@progbits,_ZN7rocprim17ROCPRIM_400000_NS6detail17trampoline_kernelINS0_14default_configENS1_27scan_by_key_config_selectorIssEEZZNS1_16scan_by_key_implILNS1_25lookback_scan_determinismE0ELb0ES3_N6thrust23THRUST_200600_302600_NS6detail15normal_iteratorINS9_10device_ptrIsEEEESE_SE_sNS9_4plusIsEE19head_flag_predicatesEE10hipError_tPvRmT2_T3_T4_T5_mT6_T7_P12ihipStream_tbENKUlT_T0_E_clISt17integral_constantIbLb1EESY_EEDaST_SU_EUlST_E_NS1_11comp_targetILNS1_3genE9ELNS1_11target_archE1100ELNS1_3gpuE3ELNS1_3repE0EEENS1_30default_config_static_selectorELNS0_4arch9wavefront6targetE1EEEvT1_,comdat
.Lfunc_end837:
	.size	_ZN7rocprim17ROCPRIM_400000_NS6detail17trampoline_kernelINS0_14default_configENS1_27scan_by_key_config_selectorIssEEZZNS1_16scan_by_key_implILNS1_25lookback_scan_determinismE0ELb0ES3_N6thrust23THRUST_200600_302600_NS6detail15normal_iteratorINS9_10device_ptrIsEEEESE_SE_sNS9_4plusIsEE19head_flag_predicatesEE10hipError_tPvRmT2_T3_T4_T5_mT6_T7_P12ihipStream_tbENKUlT_T0_E_clISt17integral_constantIbLb1EESY_EEDaST_SU_EUlST_E_NS1_11comp_targetILNS1_3genE9ELNS1_11target_archE1100ELNS1_3gpuE3ELNS1_3repE0EEENS1_30default_config_static_selectorELNS0_4arch9wavefront6targetE1EEEvT1_, .Lfunc_end837-_ZN7rocprim17ROCPRIM_400000_NS6detail17trampoline_kernelINS0_14default_configENS1_27scan_by_key_config_selectorIssEEZZNS1_16scan_by_key_implILNS1_25lookback_scan_determinismE0ELb0ES3_N6thrust23THRUST_200600_302600_NS6detail15normal_iteratorINS9_10device_ptrIsEEEESE_SE_sNS9_4plusIsEE19head_flag_predicatesEE10hipError_tPvRmT2_T3_T4_T5_mT6_T7_P12ihipStream_tbENKUlT_T0_E_clISt17integral_constantIbLb1EESY_EEDaST_SU_EUlST_E_NS1_11comp_targetILNS1_3genE9ELNS1_11target_archE1100ELNS1_3gpuE3ELNS1_3repE0EEENS1_30default_config_static_selectorELNS0_4arch9wavefront6targetE1EEEvT1_
                                        ; -- End function
	.section	.AMDGPU.csdata,"",@progbits
; Kernel info:
; codeLenInByte = 0
; NumSgprs: 6
; NumVgprs: 0
; NumAgprs: 0
; TotalNumVgprs: 0
; ScratchSize: 0
; MemoryBound: 0
; FloatMode: 240
; IeeeMode: 1
; LDSByteSize: 0 bytes/workgroup (compile time only)
; SGPRBlocks: 0
; VGPRBlocks: 0
; NumSGPRsForWavesPerEU: 6
; NumVGPRsForWavesPerEU: 1
; AccumOffset: 4
; Occupancy: 8
; WaveLimiterHint : 0
; COMPUTE_PGM_RSRC2:SCRATCH_EN: 0
; COMPUTE_PGM_RSRC2:USER_SGPR: 2
; COMPUTE_PGM_RSRC2:TRAP_HANDLER: 0
; COMPUTE_PGM_RSRC2:TGID_X_EN: 1
; COMPUTE_PGM_RSRC2:TGID_Y_EN: 0
; COMPUTE_PGM_RSRC2:TGID_Z_EN: 0
; COMPUTE_PGM_RSRC2:TIDIG_COMP_CNT: 0
; COMPUTE_PGM_RSRC3_GFX90A:ACCUM_OFFSET: 0
; COMPUTE_PGM_RSRC3_GFX90A:TG_SPLIT: 0
	.section	.text._ZN7rocprim17ROCPRIM_400000_NS6detail17trampoline_kernelINS0_14default_configENS1_27scan_by_key_config_selectorIssEEZZNS1_16scan_by_key_implILNS1_25lookback_scan_determinismE0ELb0ES3_N6thrust23THRUST_200600_302600_NS6detail15normal_iteratorINS9_10device_ptrIsEEEESE_SE_sNS9_4plusIsEE19head_flag_predicatesEE10hipError_tPvRmT2_T3_T4_T5_mT6_T7_P12ihipStream_tbENKUlT_T0_E_clISt17integral_constantIbLb1EESY_EEDaST_SU_EUlST_E_NS1_11comp_targetILNS1_3genE8ELNS1_11target_archE1030ELNS1_3gpuE2ELNS1_3repE0EEENS1_30default_config_static_selectorELNS0_4arch9wavefront6targetE1EEEvT1_,"axG",@progbits,_ZN7rocprim17ROCPRIM_400000_NS6detail17trampoline_kernelINS0_14default_configENS1_27scan_by_key_config_selectorIssEEZZNS1_16scan_by_key_implILNS1_25lookback_scan_determinismE0ELb0ES3_N6thrust23THRUST_200600_302600_NS6detail15normal_iteratorINS9_10device_ptrIsEEEESE_SE_sNS9_4plusIsEE19head_flag_predicatesEE10hipError_tPvRmT2_T3_T4_T5_mT6_T7_P12ihipStream_tbENKUlT_T0_E_clISt17integral_constantIbLb1EESY_EEDaST_SU_EUlST_E_NS1_11comp_targetILNS1_3genE8ELNS1_11target_archE1030ELNS1_3gpuE2ELNS1_3repE0EEENS1_30default_config_static_selectorELNS0_4arch9wavefront6targetE1EEEvT1_,comdat
	.protected	_ZN7rocprim17ROCPRIM_400000_NS6detail17trampoline_kernelINS0_14default_configENS1_27scan_by_key_config_selectorIssEEZZNS1_16scan_by_key_implILNS1_25lookback_scan_determinismE0ELb0ES3_N6thrust23THRUST_200600_302600_NS6detail15normal_iteratorINS9_10device_ptrIsEEEESE_SE_sNS9_4plusIsEE19head_flag_predicatesEE10hipError_tPvRmT2_T3_T4_T5_mT6_T7_P12ihipStream_tbENKUlT_T0_E_clISt17integral_constantIbLb1EESY_EEDaST_SU_EUlST_E_NS1_11comp_targetILNS1_3genE8ELNS1_11target_archE1030ELNS1_3gpuE2ELNS1_3repE0EEENS1_30default_config_static_selectorELNS0_4arch9wavefront6targetE1EEEvT1_ ; -- Begin function _ZN7rocprim17ROCPRIM_400000_NS6detail17trampoline_kernelINS0_14default_configENS1_27scan_by_key_config_selectorIssEEZZNS1_16scan_by_key_implILNS1_25lookback_scan_determinismE0ELb0ES3_N6thrust23THRUST_200600_302600_NS6detail15normal_iteratorINS9_10device_ptrIsEEEESE_SE_sNS9_4plusIsEE19head_flag_predicatesEE10hipError_tPvRmT2_T3_T4_T5_mT6_T7_P12ihipStream_tbENKUlT_T0_E_clISt17integral_constantIbLb1EESY_EEDaST_SU_EUlST_E_NS1_11comp_targetILNS1_3genE8ELNS1_11target_archE1030ELNS1_3gpuE2ELNS1_3repE0EEENS1_30default_config_static_selectorELNS0_4arch9wavefront6targetE1EEEvT1_
	.globl	_ZN7rocprim17ROCPRIM_400000_NS6detail17trampoline_kernelINS0_14default_configENS1_27scan_by_key_config_selectorIssEEZZNS1_16scan_by_key_implILNS1_25lookback_scan_determinismE0ELb0ES3_N6thrust23THRUST_200600_302600_NS6detail15normal_iteratorINS9_10device_ptrIsEEEESE_SE_sNS9_4plusIsEE19head_flag_predicatesEE10hipError_tPvRmT2_T3_T4_T5_mT6_T7_P12ihipStream_tbENKUlT_T0_E_clISt17integral_constantIbLb1EESY_EEDaST_SU_EUlST_E_NS1_11comp_targetILNS1_3genE8ELNS1_11target_archE1030ELNS1_3gpuE2ELNS1_3repE0EEENS1_30default_config_static_selectorELNS0_4arch9wavefront6targetE1EEEvT1_
	.p2align	8
	.type	_ZN7rocprim17ROCPRIM_400000_NS6detail17trampoline_kernelINS0_14default_configENS1_27scan_by_key_config_selectorIssEEZZNS1_16scan_by_key_implILNS1_25lookback_scan_determinismE0ELb0ES3_N6thrust23THRUST_200600_302600_NS6detail15normal_iteratorINS9_10device_ptrIsEEEESE_SE_sNS9_4plusIsEE19head_flag_predicatesEE10hipError_tPvRmT2_T3_T4_T5_mT6_T7_P12ihipStream_tbENKUlT_T0_E_clISt17integral_constantIbLb1EESY_EEDaST_SU_EUlST_E_NS1_11comp_targetILNS1_3genE8ELNS1_11target_archE1030ELNS1_3gpuE2ELNS1_3repE0EEENS1_30default_config_static_selectorELNS0_4arch9wavefront6targetE1EEEvT1_,@function
_ZN7rocprim17ROCPRIM_400000_NS6detail17trampoline_kernelINS0_14default_configENS1_27scan_by_key_config_selectorIssEEZZNS1_16scan_by_key_implILNS1_25lookback_scan_determinismE0ELb0ES3_N6thrust23THRUST_200600_302600_NS6detail15normal_iteratorINS9_10device_ptrIsEEEESE_SE_sNS9_4plusIsEE19head_flag_predicatesEE10hipError_tPvRmT2_T3_T4_T5_mT6_T7_P12ihipStream_tbENKUlT_T0_E_clISt17integral_constantIbLb1EESY_EEDaST_SU_EUlST_E_NS1_11comp_targetILNS1_3genE8ELNS1_11target_archE1030ELNS1_3gpuE2ELNS1_3repE0EEENS1_30default_config_static_selectorELNS0_4arch9wavefront6targetE1EEEvT1_: ; @_ZN7rocprim17ROCPRIM_400000_NS6detail17trampoline_kernelINS0_14default_configENS1_27scan_by_key_config_selectorIssEEZZNS1_16scan_by_key_implILNS1_25lookback_scan_determinismE0ELb0ES3_N6thrust23THRUST_200600_302600_NS6detail15normal_iteratorINS9_10device_ptrIsEEEESE_SE_sNS9_4plusIsEE19head_flag_predicatesEE10hipError_tPvRmT2_T3_T4_T5_mT6_T7_P12ihipStream_tbENKUlT_T0_E_clISt17integral_constantIbLb1EESY_EEDaST_SU_EUlST_E_NS1_11comp_targetILNS1_3genE8ELNS1_11target_archE1030ELNS1_3gpuE2ELNS1_3repE0EEENS1_30default_config_static_selectorELNS0_4arch9wavefront6targetE1EEEvT1_
; %bb.0:
	.section	.rodata,"a",@progbits
	.p2align	6, 0x0
	.amdhsa_kernel _ZN7rocprim17ROCPRIM_400000_NS6detail17trampoline_kernelINS0_14default_configENS1_27scan_by_key_config_selectorIssEEZZNS1_16scan_by_key_implILNS1_25lookback_scan_determinismE0ELb0ES3_N6thrust23THRUST_200600_302600_NS6detail15normal_iteratorINS9_10device_ptrIsEEEESE_SE_sNS9_4plusIsEE19head_flag_predicatesEE10hipError_tPvRmT2_T3_T4_T5_mT6_T7_P12ihipStream_tbENKUlT_T0_E_clISt17integral_constantIbLb1EESY_EEDaST_SU_EUlST_E_NS1_11comp_targetILNS1_3genE8ELNS1_11target_archE1030ELNS1_3gpuE2ELNS1_3repE0EEENS1_30default_config_static_selectorELNS0_4arch9wavefront6targetE1EEEvT1_
		.amdhsa_group_segment_fixed_size 0
		.amdhsa_private_segment_fixed_size 0
		.amdhsa_kernarg_size 112
		.amdhsa_user_sgpr_count 2
		.amdhsa_user_sgpr_dispatch_ptr 0
		.amdhsa_user_sgpr_queue_ptr 0
		.amdhsa_user_sgpr_kernarg_segment_ptr 1
		.amdhsa_user_sgpr_dispatch_id 0
		.amdhsa_user_sgpr_kernarg_preload_length 0
		.amdhsa_user_sgpr_kernarg_preload_offset 0
		.amdhsa_user_sgpr_private_segment_size 0
		.amdhsa_uses_dynamic_stack 0
		.amdhsa_enable_private_segment 0
		.amdhsa_system_sgpr_workgroup_id_x 1
		.amdhsa_system_sgpr_workgroup_id_y 0
		.amdhsa_system_sgpr_workgroup_id_z 0
		.amdhsa_system_sgpr_workgroup_info 0
		.amdhsa_system_vgpr_workitem_id 0
		.amdhsa_next_free_vgpr 1
		.amdhsa_next_free_sgpr 0
		.amdhsa_accum_offset 4
		.amdhsa_reserve_vcc 0
		.amdhsa_float_round_mode_32 0
		.amdhsa_float_round_mode_16_64 0
		.amdhsa_float_denorm_mode_32 3
		.amdhsa_float_denorm_mode_16_64 3
		.amdhsa_dx10_clamp 1
		.amdhsa_ieee_mode 1
		.amdhsa_fp16_overflow 0
		.amdhsa_tg_split 0
		.amdhsa_exception_fp_ieee_invalid_op 0
		.amdhsa_exception_fp_denorm_src 0
		.amdhsa_exception_fp_ieee_div_zero 0
		.amdhsa_exception_fp_ieee_overflow 0
		.amdhsa_exception_fp_ieee_underflow 0
		.amdhsa_exception_fp_ieee_inexact 0
		.amdhsa_exception_int_div_zero 0
	.end_amdhsa_kernel
	.section	.text._ZN7rocprim17ROCPRIM_400000_NS6detail17trampoline_kernelINS0_14default_configENS1_27scan_by_key_config_selectorIssEEZZNS1_16scan_by_key_implILNS1_25lookback_scan_determinismE0ELb0ES3_N6thrust23THRUST_200600_302600_NS6detail15normal_iteratorINS9_10device_ptrIsEEEESE_SE_sNS9_4plusIsEE19head_flag_predicatesEE10hipError_tPvRmT2_T3_T4_T5_mT6_T7_P12ihipStream_tbENKUlT_T0_E_clISt17integral_constantIbLb1EESY_EEDaST_SU_EUlST_E_NS1_11comp_targetILNS1_3genE8ELNS1_11target_archE1030ELNS1_3gpuE2ELNS1_3repE0EEENS1_30default_config_static_selectorELNS0_4arch9wavefront6targetE1EEEvT1_,"axG",@progbits,_ZN7rocprim17ROCPRIM_400000_NS6detail17trampoline_kernelINS0_14default_configENS1_27scan_by_key_config_selectorIssEEZZNS1_16scan_by_key_implILNS1_25lookback_scan_determinismE0ELb0ES3_N6thrust23THRUST_200600_302600_NS6detail15normal_iteratorINS9_10device_ptrIsEEEESE_SE_sNS9_4plusIsEE19head_flag_predicatesEE10hipError_tPvRmT2_T3_T4_T5_mT6_T7_P12ihipStream_tbENKUlT_T0_E_clISt17integral_constantIbLb1EESY_EEDaST_SU_EUlST_E_NS1_11comp_targetILNS1_3genE8ELNS1_11target_archE1030ELNS1_3gpuE2ELNS1_3repE0EEENS1_30default_config_static_selectorELNS0_4arch9wavefront6targetE1EEEvT1_,comdat
.Lfunc_end838:
	.size	_ZN7rocprim17ROCPRIM_400000_NS6detail17trampoline_kernelINS0_14default_configENS1_27scan_by_key_config_selectorIssEEZZNS1_16scan_by_key_implILNS1_25lookback_scan_determinismE0ELb0ES3_N6thrust23THRUST_200600_302600_NS6detail15normal_iteratorINS9_10device_ptrIsEEEESE_SE_sNS9_4plusIsEE19head_flag_predicatesEE10hipError_tPvRmT2_T3_T4_T5_mT6_T7_P12ihipStream_tbENKUlT_T0_E_clISt17integral_constantIbLb1EESY_EEDaST_SU_EUlST_E_NS1_11comp_targetILNS1_3genE8ELNS1_11target_archE1030ELNS1_3gpuE2ELNS1_3repE0EEENS1_30default_config_static_selectorELNS0_4arch9wavefront6targetE1EEEvT1_, .Lfunc_end838-_ZN7rocprim17ROCPRIM_400000_NS6detail17trampoline_kernelINS0_14default_configENS1_27scan_by_key_config_selectorIssEEZZNS1_16scan_by_key_implILNS1_25lookback_scan_determinismE0ELb0ES3_N6thrust23THRUST_200600_302600_NS6detail15normal_iteratorINS9_10device_ptrIsEEEESE_SE_sNS9_4plusIsEE19head_flag_predicatesEE10hipError_tPvRmT2_T3_T4_T5_mT6_T7_P12ihipStream_tbENKUlT_T0_E_clISt17integral_constantIbLb1EESY_EEDaST_SU_EUlST_E_NS1_11comp_targetILNS1_3genE8ELNS1_11target_archE1030ELNS1_3gpuE2ELNS1_3repE0EEENS1_30default_config_static_selectorELNS0_4arch9wavefront6targetE1EEEvT1_
                                        ; -- End function
	.section	.AMDGPU.csdata,"",@progbits
; Kernel info:
; codeLenInByte = 0
; NumSgprs: 6
; NumVgprs: 0
; NumAgprs: 0
; TotalNumVgprs: 0
; ScratchSize: 0
; MemoryBound: 0
; FloatMode: 240
; IeeeMode: 1
; LDSByteSize: 0 bytes/workgroup (compile time only)
; SGPRBlocks: 0
; VGPRBlocks: 0
; NumSGPRsForWavesPerEU: 6
; NumVGPRsForWavesPerEU: 1
; AccumOffset: 4
; Occupancy: 8
; WaveLimiterHint : 0
; COMPUTE_PGM_RSRC2:SCRATCH_EN: 0
; COMPUTE_PGM_RSRC2:USER_SGPR: 2
; COMPUTE_PGM_RSRC2:TRAP_HANDLER: 0
; COMPUTE_PGM_RSRC2:TGID_X_EN: 1
; COMPUTE_PGM_RSRC2:TGID_Y_EN: 0
; COMPUTE_PGM_RSRC2:TGID_Z_EN: 0
; COMPUTE_PGM_RSRC2:TIDIG_COMP_CNT: 0
; COMPUTE_PGM_RSRC3_GFX90A:ACCUM_OFFSET: 0
; COMPUTE_PGM_RSRC3_GFX90A:TG_SPLIT: 0
	.section	.text._ZN7rocprim17ROCPRIM_400000_NS6detail17trampoline_kernelINS0_14default_configENS1_27scan_by_key_config_selectorIssEEZZNS1_16scan_by_key_implILNS1_25lookback_scan_determinismE0ELb0ES3_N6thrust23THRUST_200600_302600_NS6detail15normal_iteratorINS9_10device_ptrIsEEEESE_SE_sNS9_4plusIsEE19head_flag_predicatesEE10hipError_tPvRmT2_T3_T4_T5_mT6_T7_P12ihipStream_tbENKUlT_T0_E_clISt17integral_constantIbLb1EESX_IbLb0EEEEDaST_SU_EUlST_E_NS1_11comp_targetILNS1_3genE0ELNS1_11target_archE4294967295ELNS1_3gpuE0ELNS1_3repE0EEENS1_30default_config_static_selectorELNS0_4arch9wavefront6targetE1EEEvT1_,"axG",@progbits,_ZN7rocprim17ROCPRIM_400000_NS6detail17trampoline_kernelINS0_14default_configENS1_27scan_by_key_config_selectorIssEEZZNS1_16scan_by_key_implILNS1_25lookback_scan_determinismE0ELb0ES3_N6thrust23THRUST_200600_302600_NS6detail15normal_iteratorINS9_10device_ptrIsEEEESE_SE_sNS9_4plusIsEE19head_flag_predicatesEE10hipError_tPvRmT2_T3_T4_T5_mT6_T7_P12ihipStream_tbENKUlT_T0_E_clISt17integral_constantIbLb1EESX_IbLb0EEEEDaST_SU_EUlST_E_NS1_11comp_targetILNS1_3genE0ELNS1_11target_archE4294967295ELNS1_3gpuE0ELNS1_3repE0EEENS1_30default_config_static_selectorELNS0_4arch9wavefront6targetE1EEEvT1_,comdat
	.protected	_ZN7rocprim17ROCPRIM_400000_NS6detail17trampoline_kernelINS0_14default_configENS1_27scan_by_key_config_selectorIssEEZZNS1_16scan_by_key_implILNS1_25lookback_scan_determinismE0ELb0ES3_N6thrust23THRUST_200600_302600_NS6detail15normal_iteratorINS9_10device_ptrIsEEEESE_SE_sNS9_4plusIsEE19head_flag_predicatesEE10hipError_tPvRmT2_T3_T4_T5_mT6_T7_P12ihipStream_tbENKUlT_T0_E_clISt17integral_constantIbLb1EESX_IbLb0EEEEDaST_SU_EUlST_E_NS1_11comp_targetILNS1_3genE0ELNS1_11target_archE4294967295ELNS1_3gpuE0ELNS1_3repE0EEENS1_30default_config_static_selectorELNS0_4arch9wavefront6targetE1EEEvT1_ ; -- Begin function _ZN7rocprim17ROCPRIM_400000_NS6detail17trampoline_kernelINS0_14default_configENS1_27scan_by_key_config_selectorIssEEZZNS1_16scan_by_key_implILNS1_25lookback_scan_determinismE0ELb0ES3_N6thrust23THRUST_200600_302600_NS6detail15normal_iteratorINS9_10device_ptrIsEEEESE_SE_sNS9_4plusIsEE19head_flag_predicatesEE10hipError_tPvRmT2_T3_T4_T5_mT6_T7_P12ihipStream_tbENKUlT_T0_E_clISt17integral_constantIbLb1EESX_IbLb0EEEEDaST_SU_EUlST_E_NS1_11comp_targetILNS1_3genE0ELNS1_11target_archE4294967295ELNS1_3gpuE0ELNS1_3repE0EEENS1_30default_config_static_selectorELNS0_4arch9wavefront6targetE1EEEvT1_
	.globl	_ZN7rocprim17ROCPRIM_400000_NS6detail17trampoline_kernelINS0_14default_configENS1_27scan_by_key_config_selectorIssEEZZNS1_16scan_by_key_implILNS1_25lookback_scan_determinismE0ELb0ES3_N6thrust23THRUST_200600_302600_NS6detail15normal_iteratorINS9_10device_ptrIsEEEESE_SE_sNS9_4plusIsEE19head_flag_predicatesEE10hipError_tPvRmT2_T3_T4_T5_mT6_T7_P12ihipStream_tbENKUlT_T0_E_clISt17integral_constantIbLb1EESX_IbLb0EEEEDaST_SU_EUlST_E_NS1_11comp_targetILNS1_3genE0ELNS1_11target_archE4294967295ELNS1_3gpuE0ELNS1_3repE0EEENS1_30default_config_static_selectorELNS0_4arch9wavefront6targetE1EEEvT1_
	.p2align	8
	.type	_ZN7rocprim17ROCPRIM_400000_NS6detail17trampoline_kernelINS0_14default_configENS1_27scan_by_key_config_selectorIssEEZZNS1_16scan_by_key_implILNS1_25lookback_scan_determinismE0ELb0ES3_N6thrust23THRUST_200600_302600_NS6detail15normal_iteratorINS9_10device_ptrIsEEEESE_SE_sNS9_4plusIsEE19head_flag_predicatesEE10hipError_tPvRmT2_T3_T4_T5_mT6_T7_P12ihipStream_tbENKUlT_T0_E_clISt17integral_constantIbLb1EESX_IbLb0EEEEDaST_SU_EUlST_E_NS1_11comp_targetILNS1_3genE0ELNS1_11target_archE4294967295ELNS1_3gpuE0ELNS1_3repE0EEENS1_30default_config_static_selectorELNS0_4arch9wavefront6targetE1EEEvT1_,@function
_ZN7rocprim17ROCPRIM_400000_NS6detail17trampoline_kernelINS0_14default_configENS1_27scan_by_key_config_selectorIssEEZZNS1_16scan_by_key_implILNS1_25lookback_scan_determinismE0ELb0ES3_N6thrust23THRUST_200600_302600_NS6detail15normal_iteratorINS9_10device_ptrIsEEEESE_SE_sNS9_4plusIsEE19head_flag_predicatesEE10hipError_tPvRmT2_T3_T4_T5_mT6_T7_P12ihipStream_tbENKUlT_T0_E_clISt17integral_constantIbLb1EESX_IbLb0EEEEDaST_SU_EUlST_E_NS1_11comp_targetILNS1_3genE0ELNS1_11target_archE4294967295ELNS1_3gpuE0ELNS1_3repE0EEENS1_30default_config_static_selectorELNS0_4arch9wavefront6targetE1EEEvT1_: ; @_ZN7rocprim17ROCPRIM_400000_NS6detail17trampoline_kernelINS0_14default_configENS1_27scan_by_key_config_selectorIssEEZZNS1_16scan_by_key_implILNS1_25lookback_scan_determinismE0ELb0ES3_N6thrust23THRUST_200600_302600_NS6detail15normal_iteratorINS9_10device_ptrIsEEEESE_SE_sNS9_4plusIsEE19head_flag_predicatesEE10hipError_tPvRmT2_T3_T4_T5_mT6_T7_P12ihipStream_tbENKUlT_T0_E_clISt17integral_constantIbLb1EESX_IbLb0EEEEDaST_SU_EUlST_E_NS1_11comp_targetILNS1_3genE0ELNS1_11target_archE4294967295ELNS1_3gpuE0ELNS1_3repE0EEENS1_30default_config_static_selectorELNS0_4arch9wavefront6targetE1EEEvT1_
; %bb.0:
	.section	.rodata,"a",@progbits
	.p2align	6, 0x0
	.amdhsa_kernel _ZN7rocprim17ROCPRIM_400000_NS6detail17trampoline_kernelINS0_14default_configENS1_27scan_by_key_config_selectorIssEEZZNS1_16scan_by_key_implILNS1_25lookback_scan_determinismE0ELb0ES3_N6thrust23THRUST_200600_302600_NS6detail15normal_iteratorINS9_10device_ptrIsEEEESE_SE_sNS9_4plusIsEE19head_flag_predicatesEE10hipError_tPvRmT2_T3_T4_T5_mT6_T7_P12ihipStream_tbENKUlT_T0_E_clISt17integral_constantIbLb1EESX_IbLb0EEEEDaST_SU_EUlST_E_NS1_11comp_targetILNS1_3genE0ELNS1_11target_archE4294967295ELNS1_3gpuE0ELNS1_3repE0EEENS1_30default_config_static_selectorELNS0_4arch9wavefront6targetE1EEEvT1_
		.amdhsa_group_segment_fixed_size 0
		.amdhsa_private_segment_fixed_size 0
		.amdhsa_kernarg_size 112
		.amdhsa_user_sgpr_count 2
		.amdhsa_user_sgpr_dispatch_ptr 0
		.amdhsa_user_sgpr_queue_ptr 0
		.amdhsa_user_sgpr_kernarg_segment_ptr 1
		.amdhsa_user_sgpr_dispatch_id 0
		.amdhsa_user_sgpr_kernarg_preload_length 0
		.amdhsa_user_sgpr_kernarg_preload_offset 0
		.amdhsa_user_sgpr_private_segment_size 0
		.amdhsa_uses_dynamic_stack 0
		.amdhsa_enable_private_segment 0
		.amdhsa_system_sgpr_workgroup_id_x 1
		.amdhsa_system_sgpr_workgroup_id_y 0
		.amdhsa_system_sgpr_workgroup_id_z 0
		.amdhsa_system_sgpr_workgroup_info 0
		.amdhsa_system_vgpr_workitem_id 0
		.amdhsa_next_free_vgpr 1
		.amdhsa_next_free_sgpr 0
		.amdhsa_accum_offset 4
		.amdhsa_reserve_vcc 0
		.amdhsa_float_round_mode_32 0
		.amdhsa_float_round_mode_16_64 0
		.amdhsa_float_denorm_mode_32 3
		.amdhsa_float_denorm_mode_16_64 3
		.amdhsa_dx10_clamp 1
		.amdhsa_ieee_mode 1
		.amdhsa_fp16_overflow 0
		.amdhsa_tg_split 0
		.amdhsa_exception_fp_ieee_invalid_op 0
		.amdhsa_exception_fp_denorm_src 0
		.amdhsa_exception_fp_ieee_div_zero 0
		.amdhsa_exception_fp_ieee_overflow 0
		.amdhsa_exception_fp_ieee_underflow 0
		.amdhsa_exception_fp_ieee_inexact 0
		.amdhsa_exception_int_div_zero 0
	.end_amdhsa_kernel
	.section	.text._ZN7rocprim17ROCPRIM_400000_NS6detail17trampoline_kernelINS0_14default_configENS1_27scan_by_key_config_selectorIssEEZZNS1_16scan_by_key_implILNS1_25lookback_scan_determinismE0ELb0ES3_N6thrust23THRUST_200600_302600_NS6detail15normal_iteratorINS9_10device_ptrIsEEEESE_SE_sNS9_4plusIsEE19head_flag_predicatesEE10hipError_tPvRmT2_T3_T4_T5_mT6_T7_P12ihipStream_tbENKUlT_T0_E_clISt17integral_constantIbLb1EESX_IbLb0EEEEDaST_SU_EUlST_E_NS1_11comp_targetILNS1_3genE0ELNS1_11target_archE4294967295ELNS1_3gpuE0ELNS1_3repE0EEENS1_30default_config_static_selectorELNS0_4arch9wavefront6targetE1EEEvT1_,"axG",@progbits,_ZN7rocprim17ROCPRIM_400000_NS6detail17trampoline_kernelINS0_14default_configENS1_27scan_by_key_config_selectorIssEEZZNS1_16scan_by_key_implILNS1_25lookback_scan_determinismE0ELb0ES3_N6thrust23THRUST_200600_302600_NS6detail15normal_iteratorINS9_10device_ptrIsEEEESE_SE_sNS9_4plusIsEE19head_flag_predicatesEE10hipError_tPvRmT2_T3_T4_T5_mT6_T7_P12ihipStream_tbENKUlT_T0_E_clISt17integral_constantIbLb1EESX_IbLb0EEEEDaST_SU_EUlST_E_NS1_11comp_targetILNS1_3genE0ELNS1_11target_archE4294967295ELNS1_3gpuE0ELNS1_3repE0EEENS1_30default_config_static_selectorELNS0_4arch9wavefront6targetE1EEEvT1_,comdat
.Lfunc_end839:
	.size	_ZN7rocprim17ROCPRIM_400000_NS6detail17trampoline_kernelINS0_14default_configENS1_27scan_by_key_config_selectorIssEEZZNS1_16scan_by_key_implILNS1_25lookback_scan_determinismE0ELb0ES3_N6thrust23THRUST_200600_302600_NS6detail15normal_iteratorINS9_10device_ptrIsEEEESE_SE_sNS9_4plusIsEE19head_flag_predicatesEE10hipError_tPvRmT2_T3_T4_T5_mT6_T7_P12ihipStream_tbENKUlT_T0_E_clISt17integral_constantIbLb1EESX_IbLb0EEEEDaST_SU_EUlST_E_NS1_11comp_targetILNS1_3genE0ELNS1_11target_archE4294967295ELNS1_3gpuE0ELNS1_3repE0EEENS1_30default_config_static_selectorELNS0_4arch9wavefront6targetE1EEEvT1_, .Lfunc_end839-_ZN7rocprim17ROCPRIM_400000_NS6detail17trampoline_kernelINS0_14default_configENS1_27scan_by_key_config_selectorIssEEZZNS1_16scan_by_key_implILNS1_25lookback_scan_determinismE0ELb0ES3_N6thrust23THRUST_200600_302600_NS6detail15normal_iteratorINS9_10device_ptrIsEEEESE_SE_sNS9_4plusIsEE19head_flag_predicatesEE10hipError_tPvRmT2_T3_T4_T5_mT6_T7_P12ihipStream_tbENKUlT_T0_E_clISt17integral_constantIbLb1EESX_IbLb0EEEEDaST_SU_EUlST_E_NS1_11comp_targetILNS1_3genE0ELNS1_11target_archE4294967295ELNS1_3gpuE0ELNS1_3repE0EEENS1_30default_config_static_selectorELNS0_4arch9wavefront6targetE1EEEvT1_
                                        ; -- End function
	.section	.AMDGPU.csdata,"",@progbits
; Kernel info:
; codeLenInByte = 0
; NumSgprs: 6
; NumVgprs: 0
; NumAgprs: 0
; TotalNumVgprs: 0
; ScratchSize: 0
; MemoryBound: 0
; FloatMode: 240
; IeeeMode: 1
; LDSByteSize: 0 bytes/workgroup (compile time only)
; SGPRBlocks: 0
; VGPRBlocks: 0
; NumSGPRsForWavesPerEU: 6
; NumVGPRsForWavesPerEU: 1
; AccumOffset: 4
; Occupancy: 8
; WaveLimiterHint : 0
; COMPUTE_PGM_RSRC2:SCRATCH_EN: 0
; COMPUTE_PGM_RSRC2:USER_SGPR: 2
; COMPUTE_PGM_RSRC2:TRAP_HANDLER: 0
; COMPUTE_PGM_RSRC2:TGID_X_EN: 1
; COMPUTE_PGM_RSRC2:TGID_Y_EN: 0
; COMPUTE_PGM_RSRC2:TGID_Z_EN: 0
; COMPUTE_PGM_RSRC2:TIDIG_COMP_CNT: 0
; COMPUTE_PGM_RSRC3_GFX90A:ACCUM_OFFSET: 0
; COMPUTE_PGM_RSRC3_GFX90A:TG_SPLIT: 0
	.section	.text._ZN7rocprim17ROCPRIM_400000_NS6detail17trampoline_kernelINS0_14default_configENS1_27scan_by_key_config_selectorIssEEZZNS1_16scan_by_key_implILNS1_25lookback_scan_determinismE0ELb0ES3_N6thrust23THRUST_200600_302600_NS6detail15normal_iteratorINS9_10device_ptrIsEEEESE_SE_sNS9_4plusIsEE19head_flag_predicatesEE10hipError_tPvRmT2_T3_T4_T5_mT6_T7_P12ihipStream_tbENKUlT_T0_E_clISt17integral_constantIbLb1EESX_IbLb0EEEEDaST_SU_EUlST_E_NS1_11comp_targetILNS1_3genE10ELNS1_11target_archE1201ELNS1_3gpuE5ELNS1_3repE0EEENS1_30default_config_static_selectorELNS0_4arch9wavefront6targetE1EEEvT1_,"axG",@progbits,_ZN7rocprim17ROCPRIM_400000_NS6detail17trampoline_kernelINS0_14default_configENS1_27scan_by_key_config_selectorIssEEZZNS1_16scan_by_key_implILNS1_25lookback_scan_determinismE0ELb0ES3_N6thrust23THRUST_200600_302600_NS6detail15normal_iteratorINS9_10device_ptrIsEEEESE_SE_sNS9_4plusIsEE19head_flag_predicatesEE10hipError_tPvRmT2_T3_T4_T5_mT6_T7_P12ihipStream_tbENKUlT_T0_E_clISt17integral_constantIbLb1EESX_IbLb0EEEEDaST_SU_EUlST_E_NS1_11comp_targetILNS1_3genE10ELNS1_11target_archE1201ELNS1_3gpuE5ELNS1_3repE0EEENS1_30default_config_static_selectorELNS0_4arch9wavefront6targetE1EEEvT1_,comdat
	.protected	_ZN7rocprim17ROCPRIM_400000_NS6detail17trampoline_kernelINS0_14default_configENS1_27scan_by_key_config_selectorIssEEZZNS1_16scan_by_key_implILNS1_25lookback_scan_determinismE0ELb0ES3_N6thrust23THRUST_200600_302600_NS6detail15normal_iteratorINS9_10device_ptrIsEEEESE_SE_sNS9_4plusIsEE19head_flag_predicatesEE10hipError_tPvRmT2_T3_T4_T5_mT6_T7_P12ihipStream_tbENKUlT_T0_E_clISt17integral_constantIbLb1EESX_IbLb0EEEEDaST_SU_EUlST_E_NS1_11comp_targetILNS1_3genE10ELNS1_11target_archE1201ELNS1_3gpuE5ELNS1_3repE0EEENS1_30default_config_static_selectorELNS0_4arch9wavefront6targetE1EEEvT1_ ; -- Begin function _ZN7rocprim17ROCPRIM_400000_NS6detail17trampoline_kernelINS0_14default_configENS1_27scan_by_key_config_selectorIssEEZZNS1_16scan_by_key_implILNS1_25lookback_scan_determinismE0ELb0ES3_N6thrust23THRUST_200600_302600_NS6detail15normal_iteratorINS9_10device_ptrIsEEEESE_SE_sNS9_4plusIsEE19head_flag_predicatesEE10hipError_tPvRmT2_T3_T4_T5_mT6_T7_P12ihipStream_tbENKUlT_T0_E_clISt17integral_constantIbLb1EESX_IbLb0EEEEDaST_SU_EUlST_E_NS1_11comp_targetILNS1_3genE10ELNS1_11target_archE1201ELNS1_3gpuE5ELNS1_3repE0EEENS1_30default_config_static_selectorELNS0_4arch9wavefront6targetE1EEEvT1_
	.globl	_ZN7rocprim17ROCPRIM_400000_NS6detail17trampoline_kernelINS0_14default_configENS1_27scan_by_key_config_selectorIssEEZZNS1_16scan_by_key_implILNS1_25lookback_scan_determinismE0ELb0ES3_N6thrust23THRUST_200600_302600_NS6detail15normal_iteratorINS9_10device_ptrIsEEEESE_SE_sNS9_4plusIsEE19head_flag_predicatesEE10hipError_tPvRmT2_T3_T4_T5_mT6_T7_P12ihipStream_tbENKUlT_T0_E_clISt17integral_constantIbLb1EESX_IbLb0EEEEDaST_SU_EUlST_E_NS1_11comp_targetILNS1_3genE10ELNS1_11target_archE1201ELNS1_3gpuE5ELNS1_3repE0EEENS1_30default_config_static_selectorELNS0_4arch9wavefront6targetE1EEEvT1_
	.p2align	8
	.type	_ZN7rocprim17ROCPRIM_400000_NS6detail17trampoline_kernelINS0_14default_configENS1_27scan_by_key_config_selectorIssEEZZNS1_16scan_by_key_implILNS1_25lookback_scan_determinismE0ELb0ES3_N6thrust23THRUST_200600_302600_NS6detail15normal_iteratorINS9_10device_ptrIsEEEESE_SE_sNS9_4plusIsEE19head_flag_predicatesEE10hipError_tPvRmT2_T3_T4_T5_mT6_T7_P12ihipStream_tbENKUlT_T0_E_clISt17integral_constantIbLb1EESX_IbLb0EEEEDaST_SU_EUlST_E_NS1_11comp_targetILNS1_3genE10ELNS1_11target_archE1201ELNS1_3gpuE5ELNS1_3repE0EEENS1_30default_config_static_selectorELNS0_4arch9wavefront6targetE1EEEvT1_,@function
_ZN7rocprim17ROCPRIM_400000_NS6detail17trampoline_kernelINS0_14default_configENS1_27scan_by_key_config_selectorIssEEZZNS1_16scan_by_key_implILNS1_25lookback_scan_determinismE0ELb0ES3_N6thrust23THRUST_200600_302600_NS6detail15normal_iteratorINS9_10device_ptrIsEEEESE_SE_sNS9_4plusIsEE19head_flag_predicatesEE10hipError_tPvRmT2_T3_T4_T5_mT6_T7_P12ihipStream_tbENKUlT_T0_E_clISt17integral_constantIbLb1EESX_IbLb0EEEEDaST_SU_EUlST_E_NS1_11comp_targetILNS1_3genE10ELNS1_11target_archE1201ELNS1_3gpuE5ELNS1_3repE0EEENS1_30default_config_static_selectorELNS0_4arch9wavefront6targetE1EEEvT1_: ; @_ZN7rocprim17ROCPRIM_400000_NS6detail17trampoline_kernelINS0_14default_configENS1_27scan_by_key_config_selectorIssEEZZNS1_16scan_by_key_implILNS1_25lookback_scan_determinismE0ELb0ES3_N6thrust23THRUST_200600_302600_NS6detail15normal_iteratorINS9_10device_ptrIsEEEESE_SE_sNS9_4plusIsEE19head_flag_predicatesEE10hipError_tPvRmT2_T3_T4_T5_mT6_T7_P12ihipStream_tbENKUlT_T0_E_clISt17integral_constantIbLb1EESX_IbLb0EEEEDaST_SU_EUlST_E_NS1_11comp_targetILNS1_3genE10ELNS1_11target_archE1201ELNS1_3gpuE5ELNS1_3repE0EEENS1_30default_config_static_selectorELNS0_4arch9wavefront6targetE1EEEvT1_
; %bb.0:
	.section	.rodata,"a",@progbits
	.p2align	6, 0x0
	.amdhsa_kernel _ZN7rocprim17ROCPRIM_400000_NS6detail17trampoline_kernelINS0_14default_configENS1_27scan_by_key_config_selectorIssEEZZNS1_16scan_by_key_implILNS1_25lookback_scan_determinismE0ELb0ES3_N6thrust23THRUST_200600_302600_NS6detail15normal_iteratorINS9_10device_ptrIsEEEESE_SE_sNS9_4plusIsEE19head_flag_predicatesEE10hipError_tPvRmT2_T3_T4_T5_mT6_T7_P12ihipStream_tbENKUlT_T0_E_clISt17integral_constantIbLb1EESX_IbLb0EEEEDaST_SU_EUlST_E_NS1_11comp_targetILNS1_3genE10ELNS1_11target_archE1201ELNS1_3gpuE5ELNS1_3repE0EEENS1_30default_config_static_selectorELNS0_4arch9wavefront6targetE1EEEvT1_
		.amdhsa_group_segment_fixed_size 0
		.amdhsa_private_segment_fixed_size 0
		.amdhsa_kernarg_size 112
		.amdhsa_user_sgpr_count 2
		.amdhsa_user_sgpr_dispatch_ptr 0
		.amdhsa_user_sgpr_queue_ptr 0
		.amdhsa_user_sgpr_kernarg_segment_ptr 1
		.amdhsa_user_sgpr_dispatch_id 0
		.amdhsa_user_sgpr_kernarg_preload_length 0
		.amdhsa_user_sgpr_kernarg_preload_offset 0
		.amdhsa_user_sgpr_private_segment_size 0
		.amdhsa_uses_dynamic_stack 0
		.amdhsa_enable_private_segment 0
		.amdhsa_system_sgpr_workgroup_id_x 1
		.amdhsa_system_sgpr_workgroup_id_y 0
		.amdhsa_system_sgpr_workgroup_id_z 0
		.amdhsa_system_sgpr_workgroup_info 0
		.amdhsa_system_vgpr_workitem_id 0
		.amdhsa_next_free_vgpr 1
		.amdhsa_next_free_sgpr 0
		.amdhsa_accum_offset 4
		.amdhsa_reserve_vcc 0
		.amdhsa_float_round_mode_32 0
		.amdhsa_float_round_mode_16_64 0
		.amdhsa_float_denorm_mode_32 3
		.amdhsa_float_denorm_mode_16_64 3
		.amdhsa_dx10_clamp 1
		.amdhsa_ieee_mode 1
		.amdhsa_fp16_overflow 0
		.amdhsa_tg_split 0
		.amdhsa_exception_fp_ieee_invalid_op 0
		.amdhsa_exception_fp_denorm_src 0
		.amdhsa_exception_fp_ieee_div_zero 0
		.amdhsa_exception_fp_ieee_overflow 0
		.amdhsa_exception_fp_ieee_underflow 0
		.amdhsa_exception_fp_ieee_inexact 0
		.amdhsa_exception_int_div_zero 0
	.end_amdhsa_kernel
	.section	.text._ZN7rocprim17ROCPRIM_400000_NS6detail17trampoline_kernelINS0_14default_configENS1_27scan_by_key_config_selectorIssEEZZNS1_16scan_by_key_implILNS1_25lookback_scan_determinismE0ELb0ES3_N6thrust23THRUST_200600_302600_NS6detail15normal_iteratorINS9_10device_ptrIsEEEESE_SE_sNS9_4plusIsEE19head_flag_predicatesEE10hipError_tPvRmT2_T3_T4_T5_mT6_T7_P12ihipStream_tbENKUlT_T0_E_clISt17integral_constantIbLb1EESX_IbLb0EEEEDaST_SU_EUlST_E_NS1_11comp_targetILNS1_3genE10ELNS1_11target_archE1201ELNS1_3gpuE5ELNS1_3repE0EEENS1_30default_config_static_selectorELNS0_4arch9wavefront6targetE1EEEvT1_,"axG",@progbits,_ZN7rocprim17ROCPRIM_400000_NS6detail17trampoline_kernelINS0_14default_configENS1_27scan_by_key_config_selectorIssEEZZNS1_16scan_by_key_implILNS1_25lookback_scan_determinismE0ELb0ES3_N6thrust23THRUST_200600_302600_NS6detail15normal_iteratorINS9_10device_ptrIsEEEESE_SE_sNS9_4plusIsEE19head_flag_predicatesEE10hipError_tPvRmT2_T3_T4_T5_mT6_T7_P12ihipStream_tbENKUlT_T0_E_clISt17integral_constantIbLb1EESX_IbLb0EEEEDaST_SU_EUlST_E_NS1_11comp_targetILNS1_3genE10ELNS1_11target_archE1201ELNS1_3gpuE5ELNS1_3repE0EEENS1_30default_config_static_selectorELNS0_4arch9wavefront6targetE1EEEvT1_,comdat
.Lfunc_end840:
	.size	_ZN7rocprim17ROCPRIM_400000_NS6detail17trampoline_kernelINS0_14default_configENS1_27scan_by_key_config_selectorIssEEZZNS1_16scan_by_key_implILNS1_25lookback_scan_determinismE0ELb0ES3_N6thrust23THRUST_200600_302600_NS6detail15normal_iteratorINS9_10device_ptrIsEEEESE_SE_sNS9_4plusIsEE19head_flag_predicatesEE10hipError_tPvRmT2_T3_T4_T5_mT6_T7_P12ihipStream_tbENKUlT_T0_E_clISt17integral_constantIbLb1EESX_IbLb0EEEEDaST_SU_EUlST_E_NS1_11comp_targetILNS1_3genE10ELNS1_11target_archE1201ELNS1_3gpuE5ELNS1_3repE0EEENS1_30default_config_static_selectorELNS0_4arch9wavefront6targetE1EEEvT1_, .Lfunc_end840-_ZN7rocprim17ROCPRIM_400000_NS6detail17trampoline_kernelINS0_14default_configENS1_27scan_by_key_config_selectorIssEEZZNS1_16scan_by_key_implILNS1_25lookback_scan_determinismE0ELb0ES3_N6thrust23THRUST_200600_302600_NS6detail15normal_iteratorINS9_10device_ptrIsEEEESE_SE_sNS9_4plusIsEE19head_flag_predicatesEE10hipError_tPvRmT2_T3_T4_T5_mT6_T7_P12ihipStream_tbENKUlT_T0_E_clISt17integral_constantIbLb1EESX_IbLb0EEEEDaST_SU_EUlST_E_NS1_11comp_targetILNS1_3genE10ELNS1_11target_archE1201ELNS1_3gpuE5ELNS1_3repE0EEENS1_30default_config_static_selectorELNS0_4arch9wavefront6targetE1EEEvT1_
                                        ; -- End function
	.section	.AMDGPU.csdata,"",@progbits
; Kernel info:
; codeLenInByte = 0
; NumSgprs: 6
; NumVgprs: 0
; NumAgprs: 0
; TotalNumVgprs: 0
; ScratchSize: 0
; MemoryBound: 0
; FloatMode: 240
; IeeeMode: 1
; LDSByteSize: 0 bytes/workgroup (compile time only)
; SGPRBlocks: 0
; VGPRBlocks: 0
; NumSGPRsForWavesPerEU: 6
; NumVGPRsForWavesPerEU: 1
; AccumOffset: 4
; Occupancy: 8
; WaveLimiterHint : 0
; COMPUTE_PGM_RSRC2:SCRATCH_EN: 0
; COMPUTE_PGM_RSRC2:USER_SGPR: 2
; COMPUTE_PGM_RSRC2:TRAP_HANDLER: 0
; COMPUTE_PGM_RSRC2:TGID_X_EN: 1
; COMPUTE_PGM_RSRC2:TGID_Y_EN: 0
; COMPUTE_PGM_RSRC2:TGID_Z_EN: 0
; COMPUTE_PGM_RSRC2:TIDIG_COMP_CNT: 0
; COMPUTE_PGM_RSRC3_GFX90A:ACCUM_OFFSET: 0
; COMPUTE_PGM_RSRC3_GFX90A:TG_SPLIT: 0
	.section	.text._ZN7rocprim17ROCPRIM_400000_NS6detail17trampoline_kernelINS0_14default_configENS1_27scan_by_key_config_selectorIssEEZZNS1_16scan_by_key_implILNS1_25lookback_scan_determinismE0ELb0ES3_N6thrust23THRUST_200600_302600_NS6detail15normal_iteratorINS9_10device_ptrIsEEEESE_SE_sNS9_4plusIsEE19head_flag_predicatesEE10hipError_tPvRmT2_T3_T4_T5_mT6_T7_P12ihipStream_tbENKUlT_T0_E_clISt17integral_constantIbLb1EESX_IbLb0EEEEDaST_SU_EUlST_E_NS1_11comp_targetILNS1_3genE5ELNS1_11target_archE942ELNS1_3gpuE9ELNS1_3repE0EEENS1_30default_config_static_selectorELNS0_4arch9wavefront6targetE1EEEvT1_,"axG",@progbits,_ZN7rocprim17ROCPRIM_400000_NS6detail17trampoline_kernelINS0_14default_configENS1_27scan_by_key_config_selectorIssEEZZNS1_16scan_by_key_implILNS1_25lookback_scan_determinismE0ELb0ES3_N6thrust23THRUST_200600_302600_NS6detail15normal_iteratorINS9_10device_ptrIsEEEESE_SE_sNS9_4plusIsEE19head_flag_predicatesEE10hipError_tPvRmT2_T3_T4_T5_mT6_T7_P12ihipStream_tbENKUlT_T0_E_clISt17integral_constantIbLb1EESX_IbLb0EEEEDaST_SU_EUlST_E_NS1_11comp_targetILNS1_3genE5ELNS1_11target_archE942ELNS1_3gpuE9ELNS1_3repE0EEENS1_30default_config_static_selectorELNS0_4arch9wavefront6targetE1EEEvT1_,comdat
	.protected	_ZN7rocprim17ROCPRIM_400000_NS6detail17trampoline_kernelINS0_14default_configENS1_27scan_by_key_config_selectorIssEEZZNS1_16scan_by_key_implILNS1_25lookback_scan_determinismE0ELb0ES3_N6thrust23THRUST_200600_302600_NS6detail15normal_iteratorINS9_10device_ptrIsEEEESE_SE_sNS9_4plusIsEE19head_flag_predicatesEE10hipError_tPvRmT2_T3_T4_T5_mT6_T7_P12ihipStream_tbENKUlT_T0_E_clISt17integral_constantIbLb1EESX_IbLb0EEEEDaST_SU_EUlST_E_NS1_11comp_targetILNS1_3genE5ELNS1_11target_archE942ELNS1_3gpuE9ELNS1_3repE0EEENS1_30default_config_static_selectorELNS0_4arch9wavefront6targetE1EEEvT1_ ; -- Begin function _ZN7rocprim17ROCPRIM_400000_NS6detail17trampoline_kernelINS0_14default_configENS1_27scan_by_key_config_selectorIssEEZZNS1_16scan_by_key_implILNS1_25lookback_scan_determinismE0ELb0ES3_N6thrust23THRUST_200600_302600_NS6detail15normal_iteratorINS9_10device_ptrIsEEEESE_SE_sNS9_4plusIsEE19head_flag_predicatesEE10hipError_tPvRmT2_T3_T4_T5_mT6_T7_P12ihipStream_tbENKUlT_T0_E_clISt17integral_constantIbLb1EESX_IbLb0EEEEDaST_SU_EUlST_E_NS1_11comp_targetILNS1_3genE5ELNS1_11target_archE942ELNS1_3gpuE9ELNS1_3repE0EEENS1_30default_config_static_selectorELNS0_4arch9wavefront6targetE1EEEvT1_
	.globl	_ZN7rocprim17ROCPRIM_400000_NS6detail17trampoline_kernelINS0_14default_configENS1_27scan_by_key_config_selectorIssEEZZNS1_16scan_by_key_implILNS1_25lookback_scan_determinismE0ELb0ES3_N6thrust23THRUST_200600_302600_NS6detail15normal_iteratorINS9_10device_ptrIsEEEESE_SE_sNS9_4plusIsEE19head_flag_predicatesEE10hipError_tPvRmT2_T3_T4_T5_mT6_T7_P12ihipStream_tbENKUlT_T0_E_clISt17integral_constantIbLb1EESX_IbLb0EEEEDaST_SU_EUlST_E_NS1_11comp_targetILNS1_3genE5ELNS1_11target_archE942ELNS1_3gpuE9ELNS1_3repE0EEENS1_30default_config_static_selectorELNS0_4arch9wavefront6targetE1EEEvT1_
	.p2align	8
	.type	_ZN7rocprim17ROCPRIM_400000_NS6detail17trampoline_kernelINS0_14default_configENS1_27scan_by_key_config_selectorIssEEZZNS1_16scan_by_key_implILNS1_25lookback_scan_determinismE0ELb0ES3_N6thrust23THRUST_200600_302600_NS6detail15normal_iteratorINS9_10device_ptrIsEEEESE_SE_sNS9_4plusIsEE19head_flag_predicatesEE10hipError_tPvRmT2_T3_T4_T5_mT6_T7_P12ihipStream_tbENKUlT_T0_E_clISt17integral_constantIbLb1EESX_IbLb0EEEEDaST_SU_EUlST_E_NS1_11comp_targetILNS1_3genE5ELNS1_11target_archE942ELNS1_3gpuE9ELNS1_3repE0EEENS1_30default_config_static_selectorELNS0_4arch9wavefront6targetE1EEEvT1_,@function
_ZN7rocprim17ROCPRIM_400000_NS6detail17trampoline_kernelINS0_14default_configENS1_27scan_by_key_config_selectorIssEEZZNS1_16scan_by_key_implILNS1_25lookback_scan_determinismE0ELb0ES3_N6thrust23THRUST_200600_302600_NS6detail15normal_iteratorINS9_10device_ptrIsEEEESE_SE_sNS9_4plusIsEE19head_flag_predicatesEE10hipError_tPvRmT2_T3_T4_T5_mT6_T7_P12ihipStream_tbENKUlT_T0_E_clISt17integral_constantIbLb1EESX_IbLb0EEEEDaST_SU_EUlST_E_NS1_11comp_targetILNS1_3genE5ELNS1_11target_archE942ELNS1_3gpuE9ELNS1_3repE0EEENS1_30default_config_static_selectorELNS0_4arch9wavefront6targetE1EEEvT1_: ; @_ZN7rocprim17ROCPRIM_400000_NS6detail17trampoline_kernelINS0_14default_configENS1_27scan_by_key_config_selectorIssEEZZNS1_16scan_by_key_implILNS1_25lookback_scan_determinismE0ELb0ES3_N6thrust23THRUST_200600_302600_NS6detail15normal_iteratorINS9_10device_ptrIsEEEESE_SE_sNS9_4plusIsEE19head_flag_predicatesEE10hipError_tPvRmT2_T3_T4_T5_mT6_T7_P12ihipStream_tbENKUlT_T0_E_clISt17integral_constantIbLb1EESX_IbLb0EEEEDaST_SU_EUlST_E_NS1_11comp_targetILNS1_3genE5ELNS1_11target_archE942ELNS1_3gpuE9ELNS1_3repE0EEENS1_30default_config_static_selectorELNS0_4arch9wavefront6targetE1EEEvT1_
; %bb.0:
	s_load_dwordx8 s[52:59], s[0:1], 0x0
	s_load_dwordx4 s[60:63], s[0:1], 0x28
	s_load_dwordx2 s[72:73], s[0:1], 0x38
	s_load_dword s3, s[0:1], 0x40
	s_load_dwordx4 s[64:67], s[0:1], 0x48
	s_waitcnt lgkmcnt(0)
	s_lshl_b64 s[68:69], s[54:55], 1
	s_add_u32 s4, s52, s68
	s_addc_u32 s5, s53, s69
	s_add_u32 s6, s56, s68
	s_mul_i32 s0, s73, s3
	s_mul_hi_u32 s1, s72, s3
	s_addc_u32 s7, s57, s69
	s_add_i32 s8, s1, s0
	s_mul_i32 s0, s2, 0x1800
	s_mov_b32 s1, 0
	s_lshl_b64 s[70:71], s[0:1], 1
	s_add_u32 s54, s4, s70
	s_addc_u32 s55, s5, s71
	s_add_u32 s52, s6, s70
	s_mul_i32 s3, s72, s3
	s_addc_u32 s53, s7, s71
	s_add_u32 s0, s3, s2
	s_addc_u32 s1, s8, 0
	s_add_u32 s4, s64, -1
	s_addc_u32 s5, s65, -1
	v_mov_b64_e32 v[2:3], s[4:5]
	v_cmp_ge_u64_e64 s[0:1], s[0:1], v[2:3]
	s_mov_b64 s[20:21], -1
	s_and_b64 vcc, exec, s[0:1]
	s_mul_i32 s33, s4, 0xffffe800
	s_barrier
	s_cbranch_vccz .LBB841_122
; %bb.1:
	v_mov_b64_e32 v[2:3], s[54:55]
	flat_load_ushort v3, v[2:3]
	s_add_i32 s3, s33, s62
	v_cmp_gt_u32_e32 vcc, s3, v0
	s_waitcnt vmcnt(0) lgkmcnt(0)
	v_mov_b32_e32 v19, v3
	s_and_saveexec_b64 s[4:5], vcc
	s_cbranch_execz .LBB841_3
; %bb.2:
	v_lshlrev_b32_e32 v4, 1, v0
	v_mov_b32_e32 v5, 0
	v_lshl_add_u64 v[4:5], s[54:55], 0, v[4:5]
	flat_load_ushort v19, v[4:5]
.LBB841_3:
	s_or_b64 exec, exec, s[4:5]
	v_or_b32_e32 v1, 0x100, v0
	v_cmp_gt_u32_e64 s[50:51], s3, v1
	v_mov_b32_e32 v20, v3
	s_and_saveexec_b64 s[4:5], s[50:51]
	s_cbranch_execz .LBB841_5
; %bb.4:
	v_lshlrev_b32_e32 v4, 1, v0
	v_mov_b32_e32 v5, 0
	v_lshl_add_u64 v[4:5], s[54:55], 0, v[4:5]
	flat_load_ushort v20, v[4:5] offset:512
.LBB841_5:
	s_or_b64 exec, exec, s[4:5]
	v_or_b32_e32 v1, 0x200, v0
	v_cmp_gt_u32_e64 s[4:5], s3, v1
	v_mov_b32_e32 v21, v3
	s_and_saveexec_b64 s[6:7], s[4:5]
	s_cbranch_execz .LBB841_7
; %bb.6:
	v_lshlrev_b32_e32 v4, 1, v0
	v_mov_b32_e32 v5, 0
	v_lshl_add_u64 v[4:5], s[54:55], 0, v[4:5]
	flat_load_ushort v21, v[4:5] offset:1024
.LBB841_7:
	;; [unrolled: 12-line block ×7, first 2 shown]
	s_or_b64 exec, exec, s[16:17]
	v_or_b32_e32 v1, 0x800, v0
	v_cmp_gt_u32_e64 s[16:17], s3, v1
	v_mov_b32_e32 v27, v3
	s_and_saveexec_b64 s[18:19], s[16:17]
	s_cbranch_execz .LBB841_19
; %bb.18:
	v_lshlrev_b32_e32 v4, 1, v1
	v_mov_b32_e32 v5, 0
	v_lshl_add_u64 v[4:5], s[54:55], 0, v[4:5]
	flat_load_ushort v27, v[4:5]
.LBB841_19:
	s_or_b64 exec, exec, s[18:19]
	v_or_b32_e32 v4, 0x900, v0
	v_cmp_gt_u32_e64 s[18:19], s3, v4
	v_mov_b32_e32 v28, v3
	s_and_saveexec_b64 s[20:21], s[18:19]
	s_cbranch_execz .LBB841_21
; %bb.20:
	v_lshlrev_b32_e32 v6, 1, v4
	v_mov_b32_e32 v7, 0
	v_lshl_add_u64 v[6:7], s[54:55], 0, v[6:7]
	flat_load_ushort v28, v[6:7]
.LBB841_21:
	;; [unrolled: 12-line block ×15, first 2 shown]
	s_or_b64 exec, exec, s[48:49]
	v_or_b32_e32 v18, 0x1700, v0
	v_cmp_gt_u32_e64 s[48:49], s3, v18
	s_and_saveexec_b64 s[56:57], s[48:49]
	s_cbranch_execz .LBB841_49
; %bb.48:
	v_lshlrev_b32_e32 v2, 1, v18
	v_mov_b32_e32 v3, 0
	v_lshl_add_u64 v[2:3], s[54:55], 0, v[2:3]
	flat_load_ushort v3, v[2:3]
.LBB841_49:
	s_or_b64 exec, exec, s[56:57]
	v_lshlrev_b32_e32 v2, 1, v0
	s_waitcnt vmcnt(0) lgkmcnt(0)
	ds_write_b16 v2, v19
	ds_write_b16 v2, v20 offset:512
	ds_write_b16 v2, v21 offset:1024
	;; [unrolled: 1-line block ×23, first 2 shown]
	v_mad_u32_u24 v41, v0, 46, v2
	s_waitcnt lgkmcnt(0)
	s_barrier
	ds_read_b128 v[22:25], v41 offset:32
	ds_read_b128 v[30:33], v41
	ds_read_b128 v[26:29], v41 offset:16
	s_movk_i32 s56, 0xffd2
	v_mad_i32_i24 v3, v0, s56, v41
	s_waitcnt lgkmcnt(2)
	v_lshrrev_b32_e32 v40, 16, v25
	ds_write_b16 v3, v40 offset:12288
	s_waitcnt lgkmcnt(0)
	s_barrier
	s_barrier
	s_waitcnt lgkmcnt(0)
                                        ; implicit-def: $vgpr19
	s_and_saveexec_b64 s[56:57], vcc
	s_cbranch_execz .LBB841_197
; %bb.50:
	v_mov_b32_e32 v3, 0
	v_lshl_add_u64 v[20:21], s[52:53], 0, v[2:3]
	flat_load_ushort v19, v[20:21]
	s_or_b64 exec, exec, s[56:57]
                                        ; implicit-def: $vgpr20
	s_and_saveexec_b64 s[56:57], s[50:51]
	s_cbranch_execnz .LBB841_198
.LBB841_51:
	s_or_b64 exec, exec, s[56:57]
                                        ; implicit-def: $vgpr21
	s_and_saveexec_b64 s[50:51], s[4:5]
	s_cbranch_execz .LBB841_199
.LBB841_52:
	v_mov_b32_e32 v3, 0
	v_lshl_add_u64 v[34:35], s[52:53], 0, v[2:3]
	flat_load_ushort v21, v[34:35] offset:1024
	s_or_b64 exec, exec, s[50:51]
                                        ; implicit-def: $vgpr34
	s_and_saveexec_b64 s[4:5], s[6:7]
	s_cbranch_execnz .LBB841_200
.LBB841_53:
	s_or_b64 exec, exec, s[4:5]
                                        ; implicit-def: $vgpr35
	s_and_saveexec_b64 s[4:5], s[8:9]
	s_cbranch_execz .LBB841_201
.LBB841_54:
	v_mov_b32_e32 v3, 0
	v_lshl_add_u64 v[36:37], s[52:53], 0, v[2:3]
	flat_load_ushort v35, v[36:37] offset:2048
	s_or_b64 exec, exec, s[4:5]
                                        ; implicit-def: $vgpr36
	s_and_saveexec_b64 s[4:5], s[10:11]
	s_cbranch_execnz .LBB841_202
.LBB841_55:
	s_or_b64 exec, exec, s[4:5]
                                        ; implicit-def: $vgpr37
	s_and_saveexec_b64 s[4:5], s[12:13]
	s_cbranch_execz .LBB841_203
.LBB841_56:
	v_mov_b32_e32 v3, 0
	v_lshl_add_u64 v[38:39], s[52:53], 0, v[2:3]
	flat_load_ushort v37, v[38:39] offset:3072
	s_or_b64 exec, exec, s[4:5]
                                        ; implicit-def: $vgpr3
	s_and_saveexec_b64 s[4:5], s[14:15]
	s_cbranch_execnz .LBB841_204
.LBB841_57:
	s_or_b64 exec, exec, s[4:5]
                                        ; implicit-def: $vgpr38
	s_and_saveexec_b64 s[4:5], s[16:17]
	s_cbranch_execz .LBB841_205
.LBB841_58:
	v_lshlrev_b32_e32 v38, 1, v1
	v_mov_b32_e32 v39, 0
	v_lshl_add_u64 v[38:39], s[52:53], 0, v[38:39]
	flat_load_ushort v38, v[38:39]
	s_or_b64 exec, exec, s[4:5]
                                        ; implicit-def: $vgpr1
	s_and_saveexec_b64 s[4:5], s[18:19]
	s_cbranch_execnz .LBB841_206
.LBB841_59:
	s_or_b64 exec, exec, s[4:5]
                                        ; implicit-def: $vgpr4
	s_and_saveexec_b64 s[4:5], s[20:21]
	s_cbranch_execz .LBB841_207
.LBB841_60:
	v_lshlrev_b32_e32 v4, 1, v5
	v_mov_b32_e32 v5, 0
	v_lshl_add_u64 v[4:5], s[52:53], 0, v[4:5]
	flat_load_ushort v4, v[4:5]
	s_or_b64 exec, exec, s[4:5]
                                        ; implicit-def: $vgpr5
	s_and_saveexec_b64 s[4:5], s[22:23]
	s_cbranch_execnz .LBB841_208
.LBB841_61:
	s_or_b64 exec, exec, s[4:5]
                                        ; implicit-def: $vgpr6
	s_and_saveexec_b64 s[4:5], s[24:25]
	s_cbranch_execz .LBB841_209
.LBB841_62:
	v_lshlrev_b32_e32 v6, 1, v7
	v_mov_b32_e32 v7, 0
	v_lshl_add_u64 v[6:7], s[52:53], 0, v[6:7]
	flat_load_ushort v6, v[6:7]
	s_or_b64 exec, exec, s[4:5]
                                        ; implicit-def: $vgpr7
	s_and_saveexec_b64 s[4:5], s[26:27]
	s_cbranch_execnz .LBB841_210
.LBB841_63:
	s_or_b64 exec, exec, s[4:5]
                                        ; implicit-def: $vgpr8
	s_and_saveexec_b64 s[4:5], s[28:29]
	s_cbranch_execz .LBB841_211
.LBB841_64:
	v_lshlrev_b32_e32 v8, 1, v9
	v_mov_b32_e32 v9, 0
	v_lshl_add_u64 v[8:9], s[52:53], 0, v[8:9]
	flat_load_ushort v8, v[8:9]
	s_or_b64 exec, exec, s[4:5]
                                        ; implicit-def: $vgpr9
	s_and_saveexec_b64 s[4:5], s[30:31]
	s_cbranch_execnz .LBB841_212
.LBB841_65:
	s_or_b64 exec, exec, s[4:5]
                                        ; implicit-def: $vgpr10
	s_and_saveexec_b64 s[4:5], s[34:35]
	s_cbranch_execz .LBB841_213
.LBB841_66:
	v_lshlrev_b32_e32 v10, 1, v11
	v_mov_b32_e32 v11, 0
	v_lshl_add_u64 v[10:11], s[52:53], 0, v[10:11]
	flat_load_ushort v10, v[10:11]
	s_or_b64 exec, exec, s[4:5]
                                        ; implicit-def: $vgpr11
	s_and_saveexec_b64 s[4:5], s[36:37]
	s_cbranch_execnz .LBB841_214
.LBB841_67:
	s_or_b64 exec, exec, s[4:5]
                                        ; implicit-def: $vgpr12
	s_and_saveexec_b64 s[4:5], s[38:39]
	s_cbranch_execz .LBB841_215
.LBB841_68:
	v_lshlrev_b32_e32 v12, 1, v13
	v_mov_b32_e32 v13, 0
	v_lshl_add_u64 v[12:13], s[52:53], 0, v[12:13]
	flat_load_ushort v12, v[12:13]
	s_or_b64 exec, exec, s[4:5]
                                        ; implicit-def: $vgpr13
	s_and_saveexec_b64 s[4:5], s[40:41]
	s_cbranch_execnz .LBB841_216
.LBB841_69:
	s_or_b64 exec, exec, s[4:5]
                                        ; implicit-def: $vgpr14
	s_and_saveexec_b64 s[4:5], s[42:43]
	s_cbranch_execz .LBB841_217
.LBB841_70:
	v_lshlrev_b32_e32 v14, 1, v15
	v_mov_b32_e32 v15, 0
	v_lshl_add_u64 v[14:15], s[52:53], 0, v[14:15]
	flat_load_ushort v14, v[14:15]
	s_or_b64 exec, exec, s[4:5]
                                        ; implicit-def: $vgpr15
	s_and_saveexec_b64 s[4:5], s[44:45]
	s_cbranch_execnz .LBB841_218
.LBB841_71:
	s_or_b64 exec, exec, s[4:5]
                                        ; implicit-def: $vgpr16
	s_and_saveexec_b64 s[4:5], s[46:47]
	s_cbranch_execz .LBB841_73
.LBB841_72:
	v_lshlrev_b32_e32 v16, 1, v17
	v_mov_b32_e32 v17, 0
	v_lshl_add_u64 v[16:17], s[52:53], 0, v[16:17]
	flat_load_ushort v16, v[16:17]
.LBB841_73:
	s_or_b64 exec, exec, s[4:5]
	v_mul_u32_u24_e32 v43, 24, v0
                                        ; implicit-def: $vgpr17
	s_and_saveexec_b64 s[4:5], s[48:49]
	s_cbranch_execz .LBB841_75
; %bb.74:
	v_lshlrev_b32_e32 v44, 1, v18
	v_mov_b32_e32 v45, 0
	v_lshl_add_u64 v[44:45], s[52:53], 0, v[44:45]
	flat_load_ushort v17, v[44:45]
.LBB841_75:
	s_or_b64 exec, exec, s[4:5]
	s_mov_b32 s4, 0
	s_mov_b32 s5, s4
	s_waitcnt vmcnt(0) lgkmcnt(0)
	ds_write_b16 v2, v19
	ds_write_b16 v2, v20 offset:512
	ds_write_b16 v2, v21 offset:1024
	;; [unrolled: 1-line block ×23, first 2 shown]
	s_mov_b32 s6, s4
	s_mov_b32 s7, s4
	s_mov_b32 s8, s4
	s_mov_b32 s9, s4
	s_mov_b32 s10, s4
	s_mov_b32 s11, s4
	v_mov_b64_e32 v[2:3], s[4:5]
	s_mov_b32 s14, s4
	s_mov_b32 s15, s4
	v_mov_b64_e32 v[8:9], s[10:11]
	s_mov_b32 s12, s4
	s_mov_b32 s13, s4
	;; [unrolled: 1-line block ×4, first 2 shown]
	v_mov_b64_e32 v[20:21], s[14:15]
	v_mov_b64_e32 v[4:5], s[6:7]
	;; [unrolled: 1-line block ×4, first 2 shown]
	v_cmp_gt_u32_e32 vcc, s3, v43
	s_mov_b64 s[20:21], 0
	v_mov_b64_e32 v[38:39], s[16:17]
	v_mov_b64_e32 v[18:19], s[12:13]
	v_mov_b32_e32 v1, 0
	s_mov_b64 s[8:9], 0
	v_mov_b64_e32 v[14:15], v[6:7]
	v_mov_b64_e32 v[12:13], v[4:5]
	;; [unrolled: 1-line block ×3, first 2 shown]
	s_waitcnt lgkmcnt(0)
	s_barrier
	s_waitcnt lgkmcnt(0)
                                        ; implicit-def: $vgpr42
	s_and_saveexec_b64 s[6:7], vcc
	s_cbranch_execz .LBB841_121
; %bb.76:
	ds_read_u16 v1, v41
	s_mov_b32 s8, 0
	v_cmp_ne_u16_e32 vcc, 0, v30
	v_or_b32_e32 v2, 1, v43
	s_mov_b32 s9, s8
	v_cndmask_b32_e64 v3, 0, 1, vcc
	s_waitcnt lgkmcnt(0)
	v_lshl_or_b32 v38, v3, 16, v1
	v_cmp_gt_u32_e32 vcc, s3, v2
	s_mov_b32 s10, s8
	s_mov_b32 s11, s8
	s_mov_b32 s12, s8
	s_mov_b32 s13, s8
	s_mov_b32 s14, s8
	s_mov_b32 s15, s8
	v_mov_b64_e32 v[2:3], s[8:9]
	s_mov_b32 s18, s8
	s_mov_b32 s19, s8
	v_mov_b64_e32 v[8:9], s[14:15]
	v_mov_b32_e32 v39, 0
	s_mov_b32 s16, s8
	s_mov_b32 s17, s8
	v_mov_b64_e32 v[20:21], s[18:19]
	v_mov_b64_e32 v[4:5], s[10:11]
	;; [unrolled: 1-line block ×4, first 2 shown]
	s_mov_b64 s[24:25], 0
	v_mov_b64_e32 v[18:19], s[16:17]
	v_mov_b64_e32 v[14:15], v[6:7]
	;; [unrolled: 1-line block ×4, first 2 shown]
	v_mov_b32_e32 v1, v39
                                        ; implicit-def: $vgpr42
	s_and_saveexec_b64 s[22:23], vcc
	s_cbranch_execz .LBB841_120
; %bb.77:
	ds_read_b128 v[34:37], v41 offset:2
	v_mov_b32_e32 v1, 0
	v_cmp_ne_u16_sdwa s[24:25], v30, v1 src0_sel:WORD_1 src1_sel:DWORD
	v_or_b32_e32 v2, 2, v43
	v_cmp_gt_u32_e32 vcc, s3, v2
	v_cndmask_b32_e64 v3, 0, 1, s[24:25]
	s_waitcnt lgkmcnt(0)
	v_and_b32_e32 v4, 0xffff, v34
	v_lshl_or_b32 v39, v3, 16, v4
	v_mov_b64_e32 v[2:3], s[8:9]
	v_mov_b64_e32 v[8:9], s[14:15]
	;; [unrolled: 1-line block ×6, first 2 shown]
	s_mov_b64 s[24:25], 0
	v_mov_b64_e32 v[18:19], s[16:17]
	v_mov_b64_e32 v[14:15], v[6:7]
	;; [unrolled: 1-line block ×4, first 2 shown]
                                        ; implicit-def: $vgpr42
	s_and_saveexec_b64 s[16:17], vcc
	s_cbranch_execz .LBB841_119
; %bb.78:
	v_or_b32_e32 v2, 3, v43
	v_cmp_ne_u16_e32 vcc, 0, v31
	s_mov_b32 s9, s8
	s_mov_b32 s10, s8
	v_cndmask_b32_e64 v1, 0, 1, vcc
	v_cmp_gt_u32_e32 vcc, s3, v2
	s_mov_b32 s11, s8
	s_mov_b32 s12, s8
	s_mov_b32 s13, s8
	s_mov_b32 s14, s8
	s_mov_b32 s15, s8
	v_mov_b64_e32 v[2:3], s[8:9]
	s_mov_b32 s28, s8
	s_mov_b32 s29, s8
	v_mov_b64_e32 v[8:9], s[14:15]
	s_mov_b32 s30, s8
	s_mov_b32 s31, s8
	v_mov_b64_e32 v[18:19], s[28:29]
	v_mov_b64_e32 v[4:5], s[10:11]
	;; [unrolled: 1-line block ×4, first 2 shown]
	v_alignbit_b32 v1, v1, v34, 16
	v_mov_b64_e32 v[20:21], s[30:31]
	v_mov_b64_e32 v[14:15], v[6:7]
	;; [unrolled: 1-line block ×4, first 2 shown]
                                        ; implicit-def: $vgpr42
	s_and_saveexec_b64 s[18:19], vcc
	s_cbranch_execz .LBB841_118
; %bb.79:
	v_mov_b32_e32 v20, 0
	v_cmp_ne_u16_sdwa s[24:25], v31, v20 src0_sel:WORD_1 src1_sel:DWORD
	v_and_b32_e32 v2, 0xffff, v35
	v_or_b32_e32 v3, 4, v43
	v_cndmask_b32_e64 v4, 0, 1, s[24:25]
	v_lshl_or_b32 v18, v4, 16, v2
	v_cmp_gt_u32_e32 vcc, s3, v3
	v_mov_b64_e32 v[2:3], s[8:9]
	v_mov_b64_e32 v[8:9], s[14:15]
	;; [unrolled: 1-line block ×5, first 2 shown]
	v_mov_b32_e32 v19, v20
	v_mov_b32_e32 v21, v20
	s_mov_b64 s[26:27], 0
	v_mov_b64_e32 v[14:15], v[6:7]
	v_mov_b64_e32 v[12:13], v[4:5]
	;; [unrolled: 1-line block ×3, first 2 shown]
                                        ; implicit-def: $vgpr42
	s_and_saveexec_b64 s[24:25], vcc
	s_cbranch_execz .LBB841_117
; %bb.80:
	v_cmp_ne_u16_e32 vcc, 0, v32
	v_or_b32_e32 v2, 5, v43
	s_mov_b32 s9, s8
	v_cndmask_b32_e64 v3, 0, 1, vcc
	v_alignbit_b32 v19, v3, v35, 16
	v_cmp_gt_u32_e32 vcc, s3, v2
	s_mov_b32 s10, s8
	s_mov_b32 s11, s8
	;; [unrolled: 1-line block ×6, first 2 shown]
	v_mov_b64_e32 v[2:3], s[8:9]
	v_mov_b64_e32 v[8:9], s[14:15]
	;; [unrolled: 1-line block ×5, first 2 shown]
	v_mov_b32_e32 v21, v20
	s_mov_b64 s[28:29], 0
	v_mov_b64_e32 v[14:15], v[6:7]
	v_mov_b64_e32 v[12:13], v[4:5]
	;; [unrolled: 1-line block ×3, first 2 shown]
                                        ; implicit-def: $vgpr42
	s_and_saveexec_b64 s[26:27], vcc
	s_cbranch_execz .LBB841_116
; %bb.81:
	v_mov_b32_e32 v3, 0
	v_cmp_ne_u16_sdwa s[28:29], v32, v3 src0_sel:WORD_1 src1_sel:DWORD
	v_and_b32_e32 v2, 0xffff, v36
	v_or_b32_e32 v4, 6, v43
	v_cndmask_b32_e64 v3, 0, 1, s[28:29]
	v_lshl_or_b32 v20, v3, 16, v2
	v_cmp_gt_u32_e32 vcc, s3, v4
	v_mov_b64_e32 v[2:3], s[8:9]
	v_mov_b64_e32 v[8:9], s[14:15]
	;; [unrolled: 1-line block ×5, first 2 shown]
	v_mov_b32_e32 v21, s8
	s_mov_b64 s[30:31], 0
	v_mov_b64_e32 v[14:15], v[6:7]
	v_mov_b64_e32 v[12:13], v[4:5]
	;; [unrolled: 1-line block ×3, first 2 shown]
                                        ; implicit-def: $vgpr42
	s_and_saveexec_b64 s[28:29], vcc
	s_cbranch_execz .LBB841_115
; %bb.82:
	v_cmp_ne_u16_e32 vcc, 0, v33
	v_or_b32_e32 v2, 7, v43
	s_mov_b32 s9, s8
	v_cndmask_b32_e64 v3, 0, 1, vcc
	v_alignbit_b32 v21, v3, v36, 16
	v_cmp_gt_u32_e32 vcc, s3, v2
	s_mov_b32 s10, s8
	s_mov_b32 s11, s8
	;; [unrolled: 1-line block ×6, first 2 shown]
	v_mov_b64_e32 v[2:3], s[8:9]
	v_mov_b64_e32 v[8:9], s[14:15]
	;; [unrolled: 1-line block ×5, first 2 shown]
	s_mov_b64 s[34:35], 0
	v_mov_b64_e32 v[14:15], v[6:7]
	v_mov_b64_e32 v[12:13], v[4:5]
	;; [unrolled: 1-line block ×3, first 2 shown]
                                        ; implicit-def: $vgpr42
	s_and_saveexec_b64 s[30:31], vcc
	s_cbranch_execz .LBB841_114
; %bb.83:
	v_mov_b32_e32 v4, 0
	v_cmp_ne_u16_sdwa s[34:35], v33, v4 src0_sel:WORD_1 src1_sel:DWORD
	v_and_b32_e32 v2, 0xffff, v37
	v_add_u32_e32 v3, 8, v43
	v_cndmask_b32_e64 v5, 0, 1, s[34:35]
	v_mov_b64_e32 v[16:17], s[14:15]
	v_lshl_or_b32 v2, v5, 16, v2
	v_cmp_gt_u32_e32 vcc, s3, v3
	v_mov_b32_e32 v3, v4
	v_mov_b32_e32 v5, v4
	;; [unrolled: 1-line block ×6, first 2 shown]
	s_mov_b64 s[36:37], 0
	v_mov_b64_e32 v[14:15], s[12:13]
	v_mov_b64_e32 v[12:13], s[10:11]
	;; [unrolled: 1-line block ×3, first 2 shown]
                                        ; implicit-def: $vgpr42
	s_and_saveexec_b64 s[34:35], vcc
	s_cbranch_execz .LBB841_113
; %bb.84:
	v_cmp_ne_u16_e32 vcc, 0, v26
	s_mov_b32 s14, s8
	s_mov_b32 s15, s8
	v_add_u32_e32 v5, 9, v43
	v_cndmask_b32_e64 v3, 0, 1, vcc
	s_mov_b32 s9, s8
	s_mov_b32 s10, s8
	;; [unrolled: 1-line block ×5, first 2 shown]
	v_mov_b64_e32 v[16:17], s[14:15]
	v_alignbit_b32 v3, v3, v37, 16
	v_cmp_gt_u32_e32 vcc, s3, v5
	v_mov_b32_e32 v5, v4
	v_mov_b32_e32 v6, v4
	;; [unrolled: 1-line block ×5, first 2 shown]
	s_mov_b64 s[38:39], 0
	v_mov_b64_e32 v[14:15], s[12:13]
	v_mov_b64_e32 v[12:13], s[10:11]
	;; [unrolled: 1-line block ×3, first 2 shown]
                                        ; implicit-def: $vgpr42
	s_and_saveexec_b64 s[36:37], vcc
	s_cbranch_execz .LBB841_112
; %bb.85:
	ds_read_b128 v[30:33], v41 offset:18
	v_mov_b32_e32 v6, 0
	v_cmp_ne_u16_sdwa s[38:39], v26, v6 src0_sel:WORD_1 src1_sel:DWORD
	v_add_u32_e32 v5, 10, v43
	v_mov_b64_e32 v[16:17], s[14:15]
	v_cndmask_b32_e64 v4, 0, 1, s[38:39]
	s_waitcnt lgkmcnt(0)
	v_and_b32_e32 v7, 0xffff, v30
	v_lshl_or_b32 v4, v4, 16, v7
	v_cmp_gt_u32_e32 vcc, s3, v5
	v_mov_b32_e32 v5, v6
	v_mov_b32_e32 v7, v6
	v_mov_b32_e32 v8, v6
	v_mov_b32_e32 v9, v6
	s_mov_b64 s[40:41], 0
	v_mov_b64_e32 v[14:15], s[12:13]
	v_mov_b64_e32 v[12:13], s[10:11]
	;; [unrolled: 1-line block ×3, first 2 shown]
                                        ; implicit-def: $vgpr42
	s_and_saveexec_b64 s[38:39], vcc
	s_cbranch_execz .LBB841_111
; %bb.86:
	v_cmp_ne_u16_e32 vcc, 0, v27
	s_mov_b32 s14, s8
	s_mov_b32 s15, s8
	v_add_u32_e32 v7, 11, v43
	v_cndmask_b32_e64 v5, 0, 1, vcc
	s_mov_b32 s9, s8
	s_mov_b32 s10, s8
	;; [unrolled: 1-line block ×5, first 2 shown]
	v_mov_b64_e32 v[16:17], s[14:15]
	v_alignbit_b32 v5, v5, v30, 16
	v_cmp_gt_u32_e32 vcc, s3, v7
	v_mov_b32_e32 v7, v6
	v_mov_b32_e32 v8, v6
	;; [unrolled: 1-line block ×3, first 2 shown]
	s_mov_b64 s[42:43], 0
	v_mov_b64_e32 v[14:15], s[12:13]
	v_mov_b64_e32 v[12:13], s[10:11]
	;; [unrolled: 1-line block ×3, first 2 shown]
                                        ; implicit-def: $vgpr42
	s_and_saveexec_b64 s[40:41], vcc
	s_cbranch_execz .LBB841_110
; %bb.87:
	v_mov_b32_e32 v8, 0
	v_cmp_ne_u16_sdwa s[42:43], v27, v8 src0_sel:WORD_1 src1_sel:DWORD
	v_and_b32_e32 v6, 0xffff, v31
	v_add_u32_e32 v7, 12, v43
	v_cndmask_b32_e64 v9, 0, 1, s[42:43]
	v_mov_b64_e32 v[16:17], s[14:15]
	v_lshl_or_b32 v6, v9, 16, v6
	v_cmp_gt_u32_e32 vcc, s3, v7
	v_mov_b32_e32 v7, v8
	v_mov_b32_e32 v9, v8
	s_mov_b64 s[44:45], 0
	v_mov_b64_e32 v[14:15], s[12:13]
	v_mov_b64_e32 v[12:13], s[10:11]
	;; [unrolled: 1-line block ×3, first 2 shown]
                                        ; implicit-def: $vgpr42
	s_and_saveexec_b64 s[42:43], vcc
	s_cbranch_execz .LBB841_109
; %bb.88:
	v_cmp_ne_u16_e32 vcc, 0, v28
	s_mov_b32 s14, s8
	s_mov_b32 s15, s8
	v_add_u32_e32 v9, 13, v43
	v_cndmask_b32_e64 v7, 0, 1, vcc
	s_mov_b32 s9, s8
	s_mov_b32 s10, s8
	;; [unrolled: 1-line block ×5, first 2 shown]
	v_mov_b64_e32 v[16:17], s[14:15]
	v_alignbit_b32 v7, v7, v31, 16
	v_cmp_gt_u32_e32 vcc, s3, v9
	v_mov_b32_e32 v9, v8
	s_mov_b64 s[46:47], 0
	v_mov_b64_e32 v[14:15], s[12:13]
	v_mov_b64_e32 v[12:13], s[10:11]
	;; [unrolled: 1-line block ×3, first 2 shown]
                                        ; implicit-def: $vgpr42
	s_and_saveexec_b64 s[44:45], vcc
	s_cbranch_execz .LBB841_108
; %bb.89:
	v_mov_b32_e32 v9, 0
	v_add_u32_e32 v10, 14, v43
	v_cmp_ne_u16_sdwa s[46:47], v28, v9 src0_sel:WORD_1 src1_sel:DWORD
	v_and_b32_e32 v8, 0xffff, v32
	v_cmp_gt_u32_e32 vcc, s3, v10
	v_cndmask_b32_e64 v9, 0, 1, s[46:47]
	v_mov_b64_e32 v[16:17], s[14:15]
	v_lshl_or_b32 v8, v9, 16, v8
	v_mov_b32_e32 v9, s8
	s_mov_b64 s[46:47], 0
	v_mov_b64_e32 v[14:15], s[12:13]
	v_mov_b64_e32 v[12:13], s[10:11]
	;; [unrolled: 1-line block ×3, first 2 shown]
                                        ; implicit-def: $vgpr42
	s_and_saveexec_b64 s[8:9], vcc
	s_cbranch_execz .LBB841_107
; %bb.90:
	s_mov_b32 s76, 0
	v_add_u32_e32 v10, 15, v43
	v_cmp_ne_u16_e32 vcc, 0, v29
	s_mov_b32 s77, s76
	s_mov_b32 s78, s76
	v_cndmask_b32_e64 v9, 0, 1, vcc
	v_cmp_gt_u32_e32 vcc, s3, v10
	s_mov_b32 s79, s76
	s_mov_b32 s80, s76
	;; [unrolled: 1-line block ×5, first 2 shown]
	v_mov_b64_e32 v[10:11], s[76:77]
	v_alignbit_b32 v9, v9, v32, 16
	s_mov_b64 s[12:13], 0
	v_mov_b64_e32 v[12:13], s[78:79]
	v_mov_b64_e32 v[14:15], s[80:81]
	;; [unrolled: 1-line block ×3, first 2 shown]
                                        ; implicit-def: $vgpr42
	s_and_saveexec_b64 s[10:11], vcc
	s_cbranch_execz .LBB841_106
; %bb.91:
	v_mov_b32_e32 v12, 0
	v_cmp_ne_u16_sdwa s[12:13], v29, v12 src0_sel:WORD_1 src1_sel:DWORD
	v_and_b32_e32 v10, 0xffff, v33
	v_add_u32_e32 v11, 16, v43
	v_cndmask_b32_e64 v13, 0, 1, s[12:13]
	v_lshl_or_b32 v10, v13, 16, v10
	v_cmp_gt_u32_e32 vcc, s3, v11
	v_mov_b32_e32 v11, v12
	v_mov_b32_e32 v13, v12
	;; [unrolled: 1-line block ×6, first 2 shown]
	s_mov_b64 s[14:15], 0
                                        ; implicit-def: $vgpr42
	s_and_saveexec_b64 s[12:13], vcc
	s_cbranch_execz .LBB841_105
; %bb.92:
	v_cmp_ne_u16_e32 vcc, 0, v22
	v_add_u32_e32 v13, 17, v43
	v_mov_b32_e32 v14, v12
	v_cndmask_b32_e64 v11, 0, 1, vcc
	v_alignbit_b32 v11, v11, v33, 16
	v_cmp_gt_u32_e32 vcc, s3, v13
	v_mov_b32_e32 v13, v12
	v_mov_b32_e32 v15, v12
	;; [unrolled: 1-line block ×4, first 2 shown]
                                        ; implicit-def: $vgpr42
	s_and_saveexec_b64 s[14:15], vcc
	s_cbranch_execz .LBB841_104
; %bb.93:
	ds_read_b96 v[26:28], v41 offset:34
	v_mov_b32_e32 v14, 0
	v_cmp_ne_u16_sdwa s[46:47], v22, v14 src0_sel:WORD_1 src1_sel:DWORD
	v_add_u32_e32 v13, 18, v43
	v_cmp_gt_u32_e32 vcc, s3, v13
	v_cndmask_b32_e64 v12, 0, 1, s[46:47]
	s_waitcnt lgkmcnt(0)
	v_and_b32_e32 v15, 0xffff, v26
	v_lshl_or_b32 v12, v12, 16, v15
	v_mov_b32_e32 v13, v14
	v_mov_b32_e32 v15, v14
	v_mov_b32_e32 v16, v14
	v_mov_b32_e32 v17, v14
	s_mov_b64 s[48:49], 0
                                        ; implicit-def: $vgpr42
	s_and_saveexec_b64 s[46:47], vcc
	s_cbranch_execz .LBB841_103
; %bb.94:
	v_cmp_ne_u16_e32 vcc, 0, v23
	v_add_u32_e32 v15, 19, v43
	v_mov_b32_e32 v16, v14
	v_cndmask_b32_e64 v13, 0, 1, vcc
	v_alignbit_b32 v13, v13, v26, 16
	v_cmp_gt_u32_e32 vcc, s3, v15
	v_mov_b32_e32 v15, v14
	v_mov_b32_e32 v17, v14
	s_mov_b64 s[50:51], 0
                                        ; implicit-def: $vgpr42
	s_and_saveexec_b64 s[48:49], vcc
	s_cbranch_execz .LBB841_102
; %bb.95:
	v_mov_b32_e32 v16, 0
	v_cmp_ne_u16_sdwa s[50:51], v23, v16 src0_sel:WORD_1 src1_sel:DWORD
	v_and_b32_e32 v14, 0xffff, v27
	v_add_u32_e32 v15, 20, v43
	v_cndmask_b32_e64 v17, 0, 1, s[50:51]
	v_lshl_or_b32 v14, v17, 16, v14
	v_cmp_gt_u32_e32 vcc, s3, v15
	v_mov_b32_e32 v15, v16
	v_mov_b32_e32 v17, v16
	s_mov_b64 s[56:57], 0
                                        ; implicit-def: $vgpr42
	s_and_saveexec_b64 s[50:51], vcc
	s_cbranch_execz .LBB841_101
; %bb.96:
	v_cmp_ne_u16_e32 vcc, 0, v24
	v_add_u32_e32 v17, 21, v43
	s_mov_b32 s5, 0
	v_cndmask_b32_e64 v15, 0, 1, vcc
	v_alignbit_b32 v15, v15, v27, 16
	v_cmp_gt_u32_e32 vcc, s3, v17
	v_mov_b32_e32 v17, v16
	s_mov_b64 s[64:65], 0
                                        ; implicit-def: $vgpr42
	s_and_saveexec_b64 s[56:57], vcc
	s_cbranch_execz .LBB841_100
; %bb.97:
	v_mov_b32_e32 v17, 0
	v_cmp_ne_u16_sdwa s[64:65], v24, v17 src0_sel:WORD_1 src1_sel:DWORD
	v_and_b32_e32 v16, 0xffff, v28
	v_add_u32_e32 v22, 22, v43
	v_cndmask_b32_e64 v17, 0, 1, s[64:65]
	v_lshl_or_b32 v16, v17, 16, v16
	v_cmp_gt_u32_e32 vcc, s3, v22
	v_mov_b32_e32 v17, s5
	s_mov_b64 s[64:65], 0
                                        ; implicit-def: $vgpr42
	s_and_saveexec_b64 s[74:75], vcc
	s_xor_b64 s[74:75], exec, s[74:75]
	s_cbranch_execz .LBB841_99
; %bb.98:
	ds_read_u16 v42, v41 offset:46
	v_add_u32_e32 v22, 23, v43
	v_cmp_ne_u16_e32 vcc, 0, v25
	s_nop 1
	v_cndmask_b32_e64 v17, 0, 1, vcc
	v_cmp_gt_u32_e32 vcc, s3, v22
	v_alignbit_b32 v17, v17, v28, 16
	s_and_b64 s[64:65], vcc, exec
.LBB841_99:
	s_or_b64 exec, exec, s[74:75]
	s_and_b64 s[64:65], s[64:65], exec
.LBB841_100:
	s_or_b64 exec, exec, s[56:57]
	s_and_b64 s[56:57], s[64:65], exec
.LBB841_101:
	s_or_b64 exec, exec, s[50:51]
	s_and_b64 s[50:51], s[56:57], exec
.LBB841_102:
	s_or_b64 exec, exec, s[48:49]
	s_and_b64 s[48:49], s[50:51], exec
.LBB841_103:
	s_or_b64 exec, exec, s[46:47]
	s_and_b64 s[46:47], s[48:49], exec
.LBB841_104:
	s_or_b64 exec, exec, s[14:15]
	s_and_b64 s[14:15], s[46:47], exec
.LBB841_105:
	s_or_b64 exec, exec, s[12:13]
	s_and_b64 s[12:13], s[14:15], exec
.LBB841_106:
	s_or_b64 exec, exec, s[10:11]
	s_and_b64 s[46:47], s[12:13], exec
.LBB841_107:
	s_or_b64 exec, exec, s[8:9]
	s_and_b64 s[46:47], s[46:47], exec
.LBB841_108:
	s_or_b64 exec, exec, s[44:45]
	s_and_b64 s[44:45], s[46:47], exec
.LBB841_109:
	s_or_b64 exec, exec, s[42:43]
	s_and_b64 s[42:43], s[44:45], exec
.LBB841_110:
	s_or_b64 exec, exec, s[40:41]
	s_and_b64 s[40:41], s[42:43], exec
.LBB841_111:
	s_or_b64 exec, exec, s[38:39]
	s_and_b64 s[38:39], s[40:41], exec
.LBB841_112:
	s_or_b64 exec, exec, s[36:37]
	s_and_b64 s[36:37], s[38:39], exec
.LBB841_113:
	s_or_b64 exec, exec, s[34:35]
	s_and_b64 s[34:35], s[36:37], exec
.LBB841_114:
	s_or_b64 exec, exec, s[30:31]
	s_and_b64 s[30:31], s[34:35], exec
.LBB841_115:
	s_or_b64 exec, exec, s[28:29]
	s_and_b64 s[28:29], s[30:31], exec
.LBB841_116:
	s_or_b64 exec, exec, s[26:27]
	s_and_b64 s[26:27], s[28:29], exec
.LBB841_117:
	s_or_b64 exec, exec, s[24:25]
	s_and_b64 s[24:25], s[26:27], exec
.LBB841_118:
	s_or_b64 exec, exec, s[18:19]
	s_and_b64 s[24:25], s[24:25], exec
.LBB841_119:
	s_or_b64 exec, exec, s[16:17]
	s_and_b64 s[24:25], s[24:25], exec
.LBB841_120:
	s_or_b64 exec, exec, s[22:23]
	s_and_b64 s[8:9], s[24:25], exec
.LBB841_121:
	s_or_b64 exec, exec, s[6:7]
	s_and_b64 vcc, exec, s[20:21]
	v_lshlrev_b32_e32 v22, 1, v0
	s_cbranch_vccnz .LBB841_123
	s_branch .LBB841_124
.LBB841_122:
	s_mov_b64 s[8:9], 0
                                        ; implicit-def: $vgpr38_vgpr39
                                        ; implicit-def: $vgpr18_vgpr19_vgpr20_vgpr21
                                        ; implicit-def: $vgpr2_vgpr3_vgpr4_vgpr5_vgpr6_vgpr7_vgpr8_vgpr9
                                        ; implicit-def: $vgpr10_vgpr11_vgpr12_vgpr13_vgpr14_vgpr15_vgpr16_vgpr17
                                        ; implicit-def: $vgpr40
                                        ; implicit-def: $vgpr42
                                        ; implicit-def: $vgpr1
                                        ; implicit-def: $sgpr4
	s_and_b64 vcc, exec, s[20:21]
	v_lshlrev_b32_e32 v22, 1, v0
	s_cbranch_vccz .LBB841_124
.LBB841_123:
	v_mov_b32_e32 v23, 0
	v_lshl_add_u64 v[2:3], s[54:55], 0, v[22:23]
	v_add_co_u32_e32 v4, vcc, 0x1000, v2
	flat_load_ushort v1, v[2:3]
	flat_load_ushort v8, v[2:3] offset:512
	flat_load_ushort v9, v[2:3] offset:1024
	;; [unrolled: 1-line block ×7, first 2 shown]
	v_addc_co_u32_e32 v5, vcc, 0, v3, vcc
	v_add_co_u32_e32 v2, vcc, 0x2000, v2
	flat_load_ushort v15, v[4:5]
	flat_load_ushort v16, v[4:5] offset:512
	flat_load_ushort v17, v[4:5] offset:1024
	;; [unrolled: 1-line block ×7, first 2 shown]
	v_addc_co_u32_e32 v3, vcc, 0, v3, vcc
	flat_load_ushort v25, v[2:3]
	flat_load_ushort v26, v[2:3] offset:512
	flat_load_ushort v27, v[2:3] offset:1024
	;; [unrolled: 1-line block ×7, first 2 shown]
	s_movk_i32 s3, 0x1000
	v_lshl_add_u64 v[2:3], s[52:53], 0, v[22:23]
	v_add_co_u32_e32 v4, vcc, s3, v2
	s_movk_i32 s4, 0x2000
	v_mad_u32_u24 v33, v0, 46, v22
	s_movk_i32 s5, 0xffd2
	v_addc_co_u32_e32 v5, vcc, 0, v3, vcc
	v_mad_i32_i24 v34, v0, s5, v33
	v_add_co_u32_e32 v6, vcc, s4, v2
	s_or_b64 s[8:9], s[8:9], exec
	s_nop 0
	v_addc_co_u32_e32 v7, vcc, 0, v3, vcc
	s_waitcnt vmcnt(0) lgkmcnt(0)
	ds_write_b16 v22, v1
	ds_write_b16 v22, v8 offset:512
	ds_write_b16 v22, v9 offset:1024
	;; [unrolled: 1-line block ×23, first 2 shown]
	s_waitcnt lgkmcnt(0)
	s_barrier
	ds_read_b128 v[24:27], v33 offset:30
	ds_read_u16 v40, v33 offset:46
	ds_read_b32 v1, v33
	ds_read_u16 v14, v33 offset:4
	ds_read_b64 v[8:9], v33 offset:6
	ds_read_b128 v[10:13], v33 offset:14
	s_waitcnt lgkmcnt(4)
	ds_write_b16 v34, v40 offset:12288
	s_waitcnt lgkmcnt(0)
	s_barrier
	s_barrier
	flat_load_ushort v15, v[2:3]
	flat_load_ushort v16, v[2:3] offset:512
	flat_load_ushort v17, v[2:3] offset:1024
	;; [unrolled: 1-line block ×7, first 2 shown]
	flat_load_ushort v29, v[4:5]
	flat_load_ushort v30, v[4:5] offset:512
	flat_load_ushort v31, v[4:5] offset:1024
	;; [unrolled: 1-line block ×6, first 2 shown]
                                        ; kill: killed $vgpr2 killed $vgpr3
	flat_load_ushort v2, v[4:5] offset:3584
	flat_load_ushort v3, v[6:7]
	flat_load_ushort v37, v[6:7] offset:512
	flat_load_ushort v38, v[6:7] offset:1024
	flat_load_ushort v39, v[6:7] offset:1536
	flat_load_ushort v41, v[6:7] offset:2048
	flat_load_ushort v42, v[6:7] offset:2560
	flat_load_ushort v43, v[6:7] offset:3072
	flat_load_ushort v44, v[6:7] offset:3584
	v_cmp_ne_u16_sdwa s[4:5], v1, v23 src0_sel:WORD_1 src1_sel:DWORD
	v_cmp_ne_u16_e32 vcc, 0, v1
	s_waitcnt vmcnt(0) lgkmcnt(0)
	ds_write_b16 v22, v15
	ds_write_b16 v22, v16 offset:512
	ds_write_b16 v22, v17 offset:1024
	;; [unrolled: 1-line block ×23, first 2 shown]
	v_cndmask_b32_e64 v45, 0, 1, s[4:5]
	v_cmp_ne_u16_sdwa s[4:5], v9, v23 src0_sel:WORD_1 src1_sel:DWORD
	v_cndmask_b32_e64 v46, 0, 1, vcc
	v_cmp_ne_u16_e32 vcc, 0, v14
	v_cndmask_b32_e64 v14, 0, 1, s[4:5]
	v_cmp_ne_u16_sdwa s[4:5], v8, v23 src0_sel:WORD_1 src1_sel:DWORD
	s_waitcnt lgkmcnt(0)
	s_barrier
	ds_read_b32 v15, v33
	ds_read_u16 v16, v33 offset:4
	ds_read_b64 v[6:7], v33 offset:6
	ds_read_b128 v[2:5], v33 offset:14
	ds_read_b128 v[28:31], v33 offset:30
	ds_read_u16 v42, v33 offset:46
	v_cndmask_b32_e64 v1, 0, 1, vcc
	v_cndmask_b32_e64 v47, 0, 1, s[4:5]
	v_cmp_ne_u16_e32 vcc, 0, v9
	v_cmp_ne_u16_sdwa s[4:5], v13, v23 src0_sel:WORD_1 src1_sel:DWORD
	s_waitcnt lgkmcnt(4)
	v_lshl_or_b32 v1, v1, 16, v16
	v_cndmask_b32_e64 v9, 0, 1, vcc
	v_cndmask_b32_e64 v48, 0, 1, s[4:5]
	s_waitcnt lgkmcnt(3)
	v_and_b32_e32 v16, 0xffff, v7
	v_cmp_ne_u16_sdwa s[4:5], v12, v23 src0_sel:WORD_1 src1_sel:DWORD
	s_waitcnt lgkmcnt(2)
	v_and_b32_e32 v33, 0xffff, v5
	v_lshl_or_b32 v20, v9, 16, v16
	v_alignbit_b32 v9, v48, v5, 16
	v_cndmask_b32_e64 v5, 0, 1, s[4:5]
	v_cmp_ne_u16_sdwa s[4:5], v11, v23 src0_sel:WORD_1 src1_sel:DWORD
	v_cmp_ne_u16_e32 vcc, 0, v8
	v_and_b32_e32 v17, 0xffff, v15
	v_alignbit_b32 v39, v45, v15, 16
	v_and_b32_e32 v15, 0xffff, v6
	v_alignbit_b32 v21, v14, v7, 16
	v_alignbit_b32 v19, v47, v6, 16
	v_and_b32_e32 v6, 0xffff, v4
	v_alignbit_b32 v7, v5, v4, 16
	v_cndmask_b32_e64 v4, 0, 1, s[4:5]
	v_cmp_ne_u16_sdwa s[4:5], v10, v23 src0_sel:WORD_1 src1_sel:DWORD
	v_cndmask_b32_e64 v8, 0, 1, vcc
	v_and_b32_e32 v32, 0xffff, v3
	v_alignbit_b32 v5, v4, v3, 16
	v_cndmask_b32_e64 v3, 0, 1, s[4:5]
	v_cmp_ne_u16_e32 vcc, 0, v13
	v_and_b32_e32 v14, 0xffff, v2
	v_alignbit_b32 v3, v3, v2, 16
	v_cndmask_b32_e64 v2, 0, 1, vcc
	v_cmp_ne_u16_e32 vcc, 0, v12
	v_lshl_or_b32 v18, v8, 16, v15
	v_lshl_or_b32 v8, v2, 16, v33
	v_cndmask_b32_e64 v2, 0, 1, vcc
	v_cmp_ne_u16_e32 vcc, 0, v11
	v_cmp_ne_u16_sdwa s[4:5], v27, v23 src0_sel:WORD_1 src1_sel:DWORD
	v_lshl_or_b32 v6, v2, 16, v6
	v_cndmask_b32_e64 v2, 0, 1, vcc
	v_cmp_ne_u16_e32 vcc, 0, v10
	v_cndmask_b32_e64 v11, 0, 1, s[4:5]
	v_cmp_ne_u16_sdwa s[4:5], v26, v23 src0_sel:WORD_1 src1_sel:DWORD
	v_lshl_or_b32 v38, v46, 16, v17
	v_lshl_or_b32 v4, v2, 16, v32
	v_cndmask_b32_e64 v2, 0, 1, vcc
	s_waitcnt lgkmcnt(1)
	v_alignbit_b32 v17, v11, v31, 16
	v_cndmask_b32_e64 v11, 0, 1, s[4:5]
	v_cmp_ne_u16_sdwa s[4:5], v25, v23 src0_sel:WORD_1 src1_sel:DWORD
	v_cmp_ne_u16_e32 vcc, 0, v27
	v_and_b32_e32 v16, 0xffff, v31
	v_alignbit_b32 v15, v11, v30, 16
	v_cndmask_b32_e64 v11, 0, 1, s[4:5]
	v_cmp_ne_u16_sdwa s[4:5], v24, v23 src0_sel:WORD_1 src1_sel:DWORD
	v_cndmask_b32_e64 v23, 0, 1, vcc
	v_cmp_ne_u16_e32 vcc, 0, v26
	v_lshl_or_b32 v2, v2, 16, v14
	v_and_b32_e32 v14, 0xffff, v30
	v_lshl_or_b32 v16, v23, 16, v16
	v_cndmask_b32_e64 v23, 0, 1, vcc
	v_cmp_ne_u16_e32 vcc, 0, v25
	v_and_b32_e32 v12, 0xffff, v29
	v_lshl_or_b32 v14, v23, 16, v14
	v_cndmask_b32_e64 v23, 0, 1, vcc
	v_cmp_ne_u16_e32 vcc, 0, v24
	v_and_b32_e32 v10, 0xffff, v28
	v_alignbit_b32 v13, v11, v29, 16
	v_cndmask_b32_e64 v11, 0, 1, s[4:5]
	v_lshl_or_b32 v12, v23, 16, v12
	v_cndmask_b32_e64 v23, 0, 1, vcc
	v_alignbit_b32 v11, v11, v28, 16
	v_lshl_or_b32 v10, v23, 16, v10
                                        ; implicit-def: $sgpr4
.LBB841_124:
	v_mov_b32_e32 v23, s4
	s_and_saveexec_b64 s[4:5], s[8:9]
	s_cbranch_execz .LBB841_126
; %bb.125:
	v_cmp_ne_u16_e32 vcc, 0, v40
	s_waitcnt lgkmcnt(0)
	v_and_b32_e32 v23, 0xffff, v42
	v_cndmask_b32_e64 v24, 0, 1, vcc
	v_lshl_or_b32 v23, v24, 16, v23
.LBB841_126:
	s_or_b64 exec, exec, s[4:5]
	s_cmp_lg_u32 s2, 0
	v_mbcnt_lo_u32_b32 v34, -1, 0
	s_waitcnt lgkmcnt(0)
	s_barrier
	s_cbranch_scc0 .LBB841_219
; %bb.127:
	s_mov_b32 s3, 0x10000
	v_cmp_gt_u32_e64 s[52:53], s3, v39
	v_cmp_gt_u32_e64 s[4:5], s3, v1
	v_cmp_gt_u32_e64 s[6:7], s3, v18
	v_cndmask_b32_e64 v24, 0, v38, s[52:53]
	v_add_u16_e32 v24, v24, v39
	v_cndmask_b32_e64 v24, 0, v24, s[4:5]
	v_add_u16_e32 v24, v24, v1
	v_cndmask_b32_e64 v24, 0, v24, s[6:7]
	v_add_u16_e32 v24, v24, v18
	v_cmp_gt_u32_e64 s[8:9], s3, v19
	v_cmp_gt_u32_e64 s[10:11], s3, v20
	v_cmp_gt_u32_e64 s[12:13], s3, v21
	v_cndmask_b32_e64 v24, 0, v24, s[8:9]
	v_add_u16_e32 v24, v24, v19
	v_cndmask_b32_e64 v24, 0, v24, s[10:11]
	v_add_u16_e32 v24, v24, v20
	v_cndmask_b32_e64 v24, 0, v24, s[12:13]
	v_add_u16_e32 v24, v24, v21
	;; [unrolled: 9-line block ×5, first 2 shown]
	v_cmp_gt_u32_e64 s[34:35], s3, v11
	v_cmp_gt_u32_e64 s[36:37], s3, v12
	v_or3_b32 v25, v23, v17, v16
	v_cndmask_b32_e64 v24, 0, v24, s[34:35]
	v_add_u16_e32 v24, v24, v11
	v_cndmask_b32_e64 v24, 0, v24, s[36:37]
	v_add_u16_e32 v24, v24, v12
	v_cmp_gt_u32_e64 s[38:39], s3, v13
	v_or3_b32 v25, v25, v15, v14
	v_or3_b32 v25, v25, v13, v12
	v_cndmask_b32_e64 v24, 0, v24, s[38:39]
	v_add_u16_e32 v24, v24, v13
	v_cmp_gt_u32_e64 s[40:41], s3, v14
	v_or3_b32 v25, v25, v11, v10
	v_or3_b32 v25, v25, v9, v8
	;; [unrolled: 5-line block ×5, first 2 shown]
	v_cndmask_b32_e64 v24, 0, v24, s[46:47]
	v_add_u16_e32 v24, v24, v17
	v_cmp_gt_u32_e64 s[48:49], s3, v23
	v_and_b32_e32 v25, 0x10000, v25
	v_lshrrev_b32_e32 v35, 16, v38
	v_cndmask_b32_e64 v26, 0, v24, s[48:49]
	v_cmp_ne_u32_e32 vcc, 0, v25
	v_add_u16_e32 v24, v26, v23
	v_mbcnt_hi_u32_b32 v27, -1, v34
	v_cndmask_b32_e64 v25, v35, 1, vcc
	v_add_u16_e32 v26, v26, v23
	v_and_b32_e32 v29, 15, v27
	v_lshl_or_b32 v26, v25, 16, v26
	v_cmp_ne_u32_e32 vcc, 0, v29
	s_nop 0
	v_mov_b32_dpp v28, v26 row_shr:1 row_mask:0xf bank_mask:0xf
	s_and_saveexec_b64 s[50:51], vcc
	s_cbranch_execz .LBB841_129
; %bb.128:
	v_cmp_eq_u32_e32 vcc, 0, v25
	v_and_b32_e32 v25, 1, v25
	v_mov_b32_e32 v31, 1
	v_cndmask_b32_e32 v26, 0, v28, vcc
	v_and_b32_sdwa v28, v28, v31 dst_sel:DWORD dst_unused:UNUSED_PAD src0_sel:WORD_1 src1_sel:DWORD
	v_cmp_eq_u32_e32 vcc, 1, v25
	v_add_u16_e32 v30, v26, v24
	v_add_u16_e32 v24, v26, v24
	v_cndmask_b32_e64 v25, v28, 1, vcc
	v_lshlrev_b32_e32 v28, 16, v25
	v_or_b32_e32 v26, v28, v24
	v_mov_b32_e32 v24, v30
.LBB841_129:
	s_or_b64 exec, exec, s[50:51]
	v_lshrrev_b32_e32 v28, 16, v26
	v_mov_b32_dpp v30, v26 row_shr:2 row_mask:0xf bank_mask:0xf
	v_cmp_lt_u32_e32 vcc, 1, v29
	s_and_saveexec_b64 s[50:51], vcc
	s_cbranch_execz .LBB841_131
; %bb.130:
	v_cmp_gt_u32_e32 vcc, s3, v26
	v_and_b32_e32 v25, 0x10000, v26
	v_mov_b32_e32 v26, 1
	v_cndmask_b32_e32 v28, 0, v30, vcc
	v_and_b32_sdwa v26, v30, v26 dst_sel:DWORD dst_unused:UNUSED_PAD src0_sel:WORD_1 src1_sel:DWORD
	v_cmp_ne_u32_e32 vcc, 0, v25
	v_add_u16_e32 v31, v28, v24
	v_add_u16_e32 v24, v28, v24
	v_cndmask_b32_e64 v25, v26, 1, vcc
	v_lshlrev_b32_e32 v26, 16, v25
	v_or_b32_e32 v26, v26, v24
	v_mov_b32_e32 v28, v25
	v_mov_b32_e32 v24, v31
.LBB841_131:
	s_or_b64 exec, exec, s[50:51]
	v_mov_b32_dpp v30, v26 row_shr:4 row_mask:0xf bank_mask:0xf
	v_cmp_lt_u32_e32 vcc, 3, v29
	s_and_saveexec_b64 s[50:51], vcc
	s_cbranch_execz .LBB841_133
; %bb.132:
	v_mov_b32_e32 v25, 0
	v_cmp_eq_u16_sdwa vcc, v28, v25 src0_sel:BYTE_0 src1_sel:DWORD
	v_and_b32_e32 v25, 1, v28
	v_mov_b32_e32 v28, 1
	v_cndmask_b32_e32 v26, 0, v30, vcc
	v_and_b32_sdwa v28, v30, v28 dst_sel:DWORD dst_unused:UNUSED_PAD src0_sel:WORD_1 src1_sel:DWORD
	v_cmp_eq_u32_e32 vcc, 1, v25
	v_add_u16_e32 v31, v26, v24
	v_add_u16_e32 v24, v26, v24
	v_cndmask_b32_e64 v25, v28, 1, vcc
	v_lshlrev_b32_e32 v28, 16, v25
	v_or_b32_e32 v26, v28, v24
	v_mov_b32_e32 v28, v25
	v_mov_b32_e32 v24, v31
.LBB841_133:
	s_or_b64 exec, exec, s[50:51]
	v_mov_b32_dpp v30, v26 row_shr:8 row_mask:0xf bank_mask:0xf
	v_cmp_lt_u32_e32 vcc, 7, v29
	s_and_saveexec_b64 s[50:51], vcc
	s_cbranch_execz .LBB841_135
; %bb.134:
	v_mov_b32_e32 v25, 0
	v_cmp_eq_u16_sdwa vcc, v28, v25 src0_sel:BYTE_0 src1_sel:DWORD
	v_and_b32_e32 v25, 1, v28
	v_mov_b32_e32 v28, 1
	v_cndmask_b32_e32 v26, 0, v30, vcc
	v_and_b32_sdwa v28, v30, v28 dst_sel:DWORD dst_unused:UNUSED_PAD src0_sel:WORD_1 src1_sel:DWORD
	v_cmp_eq_u32_e32 vcc, 1, v25
	v_add_u16_e32 v29, v26, v24
	v_add_u16_e32 v24, v26, v24
	v_cndmask_b32_e64 v25, v28, 1, vcc
	v_lshlrev_b32_e32 v28, 16, v25
	v_or_b32_e32 v26, v28, v24
	v_mov_b32_e32 v28, v25
	v_mov_b32_e32 v24, v29
.LBB841_135:
	s_or_b64 exec, exec, s[50:51]
	v_and_b32_e32 v30, 16, v27
	v_mov_b32_dpp v29, v26 row_bcast:15 row_mask:0xf bank_mask:0xf
	v_cmp_ne_u32_e32 vcc, 0, v30
	s_and_saveexec_b64 s[50:51], vcc
	s_cbranch_execz .LBB841_137
; %bb.136:
	v_mov_b32_e32 v25, 0
	v_cmp_eq_u16_sdwa vcc, v28, v25 src0_sel:BYTE_0 src1_sel:DWORD
	v_and_b32_e32 v25, 1, v28
	v_mov_b32_e32 v28, 1
	v_cndmask_b32_e32 v26, 0, v29, vcc
	v_and_b32_sdwa v28, v29, v28 dst_sel:DWORD dst_unused:UNUSED_PAD src0_sel:WORD_1 src1_sel:DWORD
	v_cmp_eq_u32_e32 vcc, 1, v25
	v_add_u16_e32 v30, v26, v24
	v_add_u16_e32 v24, v26, v24
	v_cndmask_b32_e64 v25, v28, 1, vcc
	v_lshlrev_b32_e32 v28, 16, v25
	v_or_b32_e32 v26, v28, v24
	v_mov_b32_e32 v24, v30
	v_mov_b32_e32 v28, v25
.LBB841_137:
	s_or_b64 exec, exec, s[50:51]
	v_mov_b32_dpp v26, v26 row_bcast:31 row_mask:0xf bank_mask:0xf
	v_cmp_lt_u32_e32 vcc, 31, v27
	s_and_saveexec_b64 s[50:51], vcc
; %bb.138:
	v_mov_b32_e32 v25, 0
	v_cmp_eq_u16_sdwa vcc, v28, v25 src0_sel:BYTE_0 src1_sel:DWORD
	s_nop 1
	v_cndmask_b32_e32 v25, 0, v26, vcc
	v_add_u16_e32 v24, v25, v24
	v_and_b32_e32 v25, 1, v28
	v_mov_b32_e32 v28, 1
	v_and_b32_sdwa v26, v26, v28 dst_sel:DWORD dst_unused:UNUSED_PAD src0_sel:WORD_1 src1_sel:DWORD
	v_cmp_eq_u32_e32 vcc, 1, v25
	s_nop 1
	v_cndmask_b32_e64 v25, v26, 1, vcc
; %bb.139:
	s_or_b64 exec, exec, s[50:51]
	v_or_b32_e32 v28, 63, v0
	v_lshrrev_b32_e32 v26, 6, v0
	v_cmp_eq_u32_e32 vcc, v28, v0
	s_and_saveexec_b64 s[50:51], vcc
	s_cbranch_execz .LBB841_141
; %bb.140:
	v_lshlrev_b32_e32 v28, 2, v26
	ds_write_b16 v28, v24
	ds_write_b8 v28, v25 offset:2
.LBB841_141:
	s_or_b64 exec, exec, s[50:51]
	v_cmp_gt_u32_e32 vcc, 4, v0
	s_waitcnt lgkmcnt(0)
	s_barrier
	s_and_saveexec_b64 s[50:51], vcc
	s_cbranch_execz .LBB841_147
; %bb.142:
	v_lshlrev_b32_e32 v28, 2, v0
	ds_read_b32 v29, v28
	v_and_b32_e32 v32, 3, v27
	v_cmp_ne_u32_e32 vcc, 0, v32
	s_waitcnt lgkmcnt(0)
	v_lshrrev_b32_e32 v31, 16, v29
	v_mov_b32_dpp v33, v29 row_shr:1 row_mask:0xf bank_mask:0xf
	v_mov_b32_e32 v30, v29
	s_and_saveexec_b64 s[54:55], vcc
	s_cbranch_execz .LBB841_144
; %bb.143:
	v_mov_b32_e32 v30, 0
	v_cmp_eq_u16_sdwa vcc, v31, v30 src0_sel:BYTE_0 src1_sel:DWORD
	v_and_b32_e32 v31, 0x10000, v29
	v_mov_b32_e32 v40, 1
	v_cndmask_b32_e32 v37, 0, v33, vcc
	v_and_b32_sdwa v33, v33, v40 dst_sel:DWORD dst_unused:UNUSED_PAD src0_sel:WORD_1 src1_sel:DWORD
	v_cmp_ne_u32_e32 vcc, 0, v31
	v_and_b32_e32 v36, 0xff000000, v29
	v_add_u16_e32 v30, v37, v29
	v_cndmask_b32_e64 v31, v33, 1, vcc
	v_lshlrev_b32_e32 v33, 16, v31
	v_add_u16_e32 v29, v37, v29
	v_or3_b32 v29, v33, v36, v29
.LBB841_144:
	s_or_b64 exec, exec, s[54:55]
	s_nop 0
	v_mov_b32_dpp v33, v29 row_shr:2 row_mask:0xf bank_mask:0xf
	v_cmp_lt_u32_e32 vcc, 1, v32
	s_and_saveexec_b64 s[54:55], vcc
; %bb.145:
	v_and_b32_e32 v31, 0xff0000, v29
	v_cmp_eq_u32_e32 vcc, 0, v31
	v_and_b32_e32 v29, 0x10000, v29
	s_nop 0
	v_cndmask_b32_e32 v31, 0, v33, vcc
	v_add_u16_e32 v30, v31, v30
	v_mov_b32_e32 v31, 1
	v_and_b32_sdwa v31, v33, v31 dst_sel:DWORD dst_unused:UNUSED_PAD src0_sel:WORD_1 src1_sel:DWORD
	v_cmp_eq_u32_e32 vcc, 0, v29
	s_nop 1
	v_cndmask_b32_e32 v31, 1, v31, vcc
; %bb.146:
	s_or_b64 exec, exec, s[54:55]
	ds_write_b16 v28, v30
	ds_write_b8 v28, v31 offset:2
.LBB841_147:
	s_or_b64 exec, exec, s[50:51]
	v_cmp_gt_u32_e32 vcc, 64, v0
	v_cmp_lt_u32_e64 s[50:51], 63, v0
	v_mov_b32_e32 v36, 0
	v_mov_b32_e32 v37, 0
	s_waitcnt lgkmcnt(0)
	s_barrier
	s_and_saveexec_b64 s[54:55], s[50:51]
	s_cbranch_execz .LBB841_149
; %bb.148:
	v_lshl_add_u32 v26, v26, 2, -4
	ds_read_u16 v36, v26
	ds_read_u8 v37, v26 offset:2
	v_mov_b32_e32 v28, 0
	v_and_b32_e32 v29, 1, v25
	v_cmp_eq_u16_sdwa s[50:51], v25, v28 src0_sel:BYTE_0 src1_sel:DWORD
	s_waitcnt lgkmcnt(1)
	s_nop 0
	v_cndmask_b32_e64 v25, 0, v36, s[50:51]
	v_cmp_eq_u32_e64 s[50:51], 1, v29
	v_add_u16_e32 v24, v25, v24
	s_waitcnt lgkmcnt(0)
	v_cndmask_b32_e64 v25, v37, 1, s[50:51]
.LBB841_149:
	s_or_b64 exec, exec, s[54:55]
	v_and_b32_e32 v25, 0xff, v25
	v_and_b32_e32 v24, 0xffff, v24
	v_lshl_or_b32 v24, v25, 16, v24
	v_add_u32_e32 v25, -1, v27
	v_and_b32_e32 v26, 64, v27
	v_cmp_lt_i32_e64 s[50:51], v25, v26
	s_nop 1
	v_cndmask_b32_e64 v25, v25, v27, s[50:51]
	v_lshlrev_b32_e32 v25, 2, v25
	ds_bpermute_b32 v40, v25, v24
	v_cmp_eq_u32_e64 s[50:51], 0, v27
	s_and_saveexec_b64 s[54:55], vcc
	s_cbranch_execz .LBB841_196
; %bb.150:
	v_mov_b32_e32 v33, 0
	ds_read_b32 v24, v33 offset:12
	s_and_saveexec_b64 s[56:57], s[50:51]
	s_cbranch_execz .LBB841_152
; %bb.151:
	s_add_i32 s64, s2, 64
	s_mov_b32 s65, 0
	s_lshl_b64 s[64:65], s[64:65], 3
	s_add_u32 s64, s60, s64
	v_mov_b32_e32 v25, 1
	s_addc_u32 s65, s61, s65
	s_waitcnt lgkmcnt(0)
	global_store_dwordx2 v33, v[24:25], s[64:65] sc1
.LBB841_152:
	s_or_b64 exec, exec, s[56:57]
	v_xad_u32 v26, v27, -1, s2
	v_add_u32_e32 v32, 64, v26
	v_lshl_add_u64 v[30:31], v[32:33], 3, s[60:61]
	global_load_dwordx2 v[28:29], v[30:31], off sc1
	s_waitcnt vmcnt(0)
	v_cmp_eq_u16_sdwa s[64:65], v29, v33 src0_sel:BYTE_0 src1_sel:DWORD
	s_and_saveexec_b64 s[56:57], s[64:65]
	s_cbranch_execz .LBB841_158
; %bb.153:
	s_mov_b32 s3, 1
	s_mov_b64 s[64:65], 0
	v_mov_b32_e32 v25, 0
.LBB841_154:                            ; =>This Loop Header: Depth=1
                                        ;     Child Loop BB841_155 Depth 2
	s_max_u32 s63, s3, 1
.LBB841_155:                            ;   Parent Loop BB841_154 Depth=1
                                        ; =>  This Inner Loop Header: Depth=2
	s_add_i32 s63, s63, -1
	s_cmp_eq_u32 s63, 0
	s_sleep 1
	s_cbranch_scc0 .LBB841_155
; %bb.156:                              ;   in Loop: Header=BB841_154 Depth=1
	global_load_dwordx2 v[28:29], v[30:31], off sc1
	s_cmp_lt_u32 s3, 32
	s_cselect_b64 s[74:75], -1, 0
	s_cmp_lg_u64 s[74:75], 0
	s_addc_u32 s3, s3, 0
	s_waitcnt vmcnt(0)
	v_cmp_ne_u16_sdwa s[74:75], v29, v25 src0_sel:BYTE_0 src1_sel:DWORD
	s_or_b64 s[64:65], s[74:75], s[64:65]
	s_andn2_b64 exec, exec, s[64:65]
	s_cbranch_execnz .LBB841_154
; %bb.157:
	s_or_b64 exec, exec, s[64:65]
.LBB841_158:
	s_or_b64 exec, exec, s[56:57]
	v_mov_b32_e32 v25, 2
	v_cmp_eq_u16_sdwa s[56:57], v29, v25 src0_sel:BYTE_0 src1_sel:DWORD
	v_lshlrev_b64 v[30:31], v27, -1
	v_and_b32_e32 v52, 0xffffff, v28
	v_and_b32_e32 v25, s57, v31
	v_or_b32_e32 v25, 0x80000000, v25
	v_ffbl_b32_e32 v25, v25
	v_add_u32_e32 v33, 32, v25
	v_and_b32_e32 v25, 63, v27
	v_cmp_ne_u32_e32 vcc, 63, v25
	v_and_b32_e32 v32, s56, v30
	v_ffbl_b32_e32 v32, v32
	v_addc_co_u32_e32 v41, vcc, 0, v27, vcc
	v_lshlrev_b32_e32 v41, 2, v41
	ds_bpermute_b32 v42, v41, v52
	v_min_u32_e32 v33, v32, v33
	v_lshrrev_b32_e32 v32, 16, v28
	v_cmp_lt_u32_e32 vcc, v25, v33
	v_bfe_u32 v50, v28, 16, 8
	s_and_saveexec_b64 s[56:57], vcc
	s_cbranch_execz .LBB841_160
; %bb.159:
	v_and_b32_e32 v32, 0xff0000, v28
	v_cmp_eq_u32_e32 vcc, 0, v32
	v_and_b32_e32 v32, 0x10000, v32
	v_mov_b32_e32 v45, 1
	s_waitcnt lgkmcnt(0)
	v_cndmask_b32_e32 v43, 0, v42, vcc
	v_and_b32_sdwa v42, v42, v45 dst_sel:DWORD dst_unused:UNUSED_PAD src0_sel:WORD_1 src1_sel:DWORD
	v_cmp_ne_u32_e32 vcc, 0, v32
	v_add_u16_e32 v44, v43, v28
	v_add_u16_e32 v28, v43, v28
	v_cndmask_b32_e64 v32, v42, 1, vcc
	v_lshlrev_b32_e32 v42, 16, v32
	v_or_b32_e32 v52, v42, v28
	v_mov_b32_e32 v28, v44
	v_mov_b32_e32 v50, v32
.LBB841_160:
	s_or_b64 exec, exec, s[56:57]
	v_cmp_gt_u32_e32 vcc, 62, v25
	v_add_u32_e32 v43, 2, v25
	s_waitcnt lgkmcnt(0)
	v_cndmask_b32_e64 v42, 0, 1, vcc
	v_lshlrev_b32_e32 v42, 1, v42
	v_add_lshl_u32 v42, v42, v27, 2
	ds_bpermute_b32 v44, v42, v52
	v_cmp_le_u32_e32 vcc, v43, v33
	s_and_saveexec_b64 s[56:57], vcc
	s_cbranch_execz .LBB841_162
; %bb.161:
	v_cmp_eq_u16_e32 vcc, 0, v50
	v_and_b32_e32 v32, 1, v50
	v_mov_b32_e32 v47, 1
	s_waitcnt lgkmcnt(0)
	v_cndmask_b32_e32 v45, 0, v44, vcc
	v_and_b32_sdwa v44, v44, v47 dst_sel:DWORD dst_unused:UNUSED_PAD src0_sel:WORD_1 src1_sel:DWORD
	v_cmp_eq_u32_e32 vcc, 1, v32
	v_add_u16_e32 v46, v45, v28
	v_add_u16_e32 v28, v45, v28
	v_cndmask_b32_e64 v32, v44, 1, vcc
	v_lshlrev_b32_e32 v44, 16, v32
	v_or_b32_e32 v52, v44, v28
	v_mov_b32_e32 v28, v46
	v_mov_b32_e32 v50, v32
.LBB841_162:
	s_or_b64 exec, exec, s[56:57]
	v_cmp_gt_u32_e32 vcc, 60, v25
	v_add_u32_e32 v45, 4, v25
	s_waitcnt lgkmcnt(0)
	v_cndmask_b32_e64 v44, 0, 1, vcc
	v_lshlrev_b32_e32 v44, 2, v44
	v_add_lshl_u32 v44, v44, v27, 2
	ds_bpermute_b32 v46, v44, v52
	v_cmp_le_u32_e32 vcc, v45, v33
	s_and_saveexec_b64 s[56:57], vcc
	s_cbranch_execz .LBB841_164
; %bb.163:
	v_cmp_eq_u16_e32 vcc, 0, v50
	v_and_b32_e32 v32, 1, v50
	v_mov_b32_e32 v49, 1
	s_waitcnt lgkmcnt(0)
	v_cndmask_b32_e32 v47, 0, v46, vcc
	v_and_b32_sdwa v46, v46, v49 dst_sel:DWORD dst_unused:UNUSED_PAD src0_sel:WORD_1 src1_sel:DWORD
	v_cmp_eq_u32_e32 vcc, 1, v32
	v_add_u16_e32 v48, v47, v28
	v_add_u16_e32 v28, v47, v28
	v_cndmask_b32_e64 v32, v46, 1, vcc
	v_lshlrev_b32_e32 v46, 16, v32
	v_or_b32_e32 v52, v46, v28
	v_mov_b32_e32 v28, v48
	v_mov_b32_e32 v50, v32
.LBB841_164:
	;; [unrolled: 27-line block ×4, first 2 shown]
	s_or_b64 exec, exec, s[56:57]
	v_cmp_gt_u32_e32 vcc, 32, v25
	v_add_u32_e32 v53, 32, v25
	s_waitcnt lgkmcnt(0)
	v_cndmask_b32_e64 v51, 0, 1, vcc
	v_lshlrev_b32_e32 v51, 5, v51
	v_add_lshl_u32 v51, v51, v27, 2
	ds_bpermute_b32 v27, v51, v52
	v_cmp_le_u32_e32 vcc, v53, v33
	s_and_saveexec_b64 s[56:57], vcc
	s_cbranch_execz .LBB841_170
; %bb.169:
	v_cmp_eq_u16_e32 vcc, 0, v50
	v_mov_b32_e32 v33, 1
	s_waitcnt lgkmcnt(0)
	v_cndmask_b32_e32 v32, 0, v27, vcc
	v_add_u16_e32 v28, v32, v28
	v_and_b32_e32 v32, 1, v50
	v_and_b32_sdwa v27, v27, v33 dst_sel:DWORD dst_unused:UNUSED_PAD src0_sel:WORD_1 src1_sel:DWORD
	v_cmp_eq_u32_e32 vcc, 1, v32
	s_nop 1
	v_cndmask_b32_e64 v32, v27, 1, vcc
.LBB841_170:
	s_or_b64 exec, exec, s[56:57]
	s_waitcnt lgkmcnt(0)
	v_mov_b32_e32 v27, 0
	v_mov_b32_e32 v54, 2
	;; [unrolled: 1-line block ×3, first 2 shown]
	s_branch .LBB841_172
.LBB841_171:                            ;   in Loop: Header=BB841_172 Depth=1
	s_or_b64 exec, exec, s[56:57]
	v_cmp_eq_u16_sdwa vcc, v50, v27 src0_sel:BYTE_0 src1_sel:DWORD
	v_and_b32_e32 v32, 1, v50
	v_and_b32_e32 v33, 1, v33
	v_cndmask_b32_e32 v28, 0, v28, vcc
	v_cmp_eq_u32_e32 vcc, 1, v32
	v_subrev_u32_e32 v26, 64, v26
	v_add_u16_e32 v28, v28, v52
	v_cndmask_b32_e64 v32, v33, 1, vcc
.LBB841_172:                            ; =>This Loop Header: Depth=1
                                        ;     Child Loop BB841_175 Depth 2
                                        ;       Child Loop BB841_176 Depth 3
	v_cmp_ne_u16_sdwa s[56:57], v29, v54 src0_sel:BYTE_0 src1_sel:DWORD
	v_mov_b32_e32 v50, v32
	v_mov_b32_e32 v52, v28
	v_cndmask_b32_e64 v29, 0, 1, s[56:57]
	;;#ASMSTART
	;;#ASMEND
	s_nop 0
	v_cmp_ne_u32_e32 vcc, 0, v29
	s_cmp_lg_u64 vcc, exec
	s_cbranch_scc1 .LBB841_191
; %bb.173:                              ;   in Loop: Header=BB841_172 Depth=1
	v_lshl_add_u64 v[32:33], v[26:27], 3, s[60:61]
	global_load_dwordx2 v[28:29], v[32:33], off sc1
	s_waitcnt vmcnt(0)
	v_cmp_eq_u16_sdwa s[64:65], v29, v27 src0_sel:BYTE_0 src1_sel:DWORD
	s_and_saveexec_b64 s[56:57], s[64:65]
	s_cbranch_execz .LBB841_179
; %bb.174:                              ;   in Loop: Header=BB841_172 Depth=1
	s_mov_b32 s3, 1
	s_mov_b64 s[64:65], 0
.LBB841_175:                            ;   Parent Loop BB841_172 Depth=1
                                        ; =>  This Loop Header: Depth=2
                                        ;       Child Loop BB841_176 Depth 3
	s_max_u32 s63, s3, 1
.LBB841_176:                            ;   Parent Loop BB841_172 Depth=1
                                        ;     Parent Loop BB841_175 Depth=2
                                        ; =>    This Inner Loop Header: Depth=3
	s_add_i32 s63, s63, -1
	s_cmp_eq_u32 s63, 0
	s_sleep 1
	s_cbranch_scc0 .LBB841_176
; %bb.177:                              ;   in Loop: Header=BB841_175 Depth=2
	global_load_dwordx2 v[28:29], v[32:33], off sc1
	s_cmp_lt_u32 s3, 32
	s_cselect_b64 s[74:75], -1, 0
	s_cmp_lg_u64 s[74:75], 0
	s_addc_u32 s3, s3, 0
	s_waitcnt vmcnt(0)
	v_cmp_ne_u16_sdwa s[74:75], v29, v27 src0_sel:BYTE_0 src1_sel:DWORD
	s_or_b64 s[64:65], s[74:75], s[64:65]
	s_andn2_b64 exec, exec, s[64:65]
	s_cbranch_execnz .LBB841_175
; %bb.178:                              ;   in Loop: Header=BB841_172 Depth=1
	s_or_b64 exec, exec, s[64:65]
.LBB841_179:                            ;   in Loop: Header=BB841_172 Depth=1
	s_or_b64 exec, exec, s[56:57]
	v_cmp_eq_u16_sdwa s[56:57], v29, v54 src0_sel:BYTE_0 src1_sel:DWORD
	s_waitcnt lgkmcnt(0)
	v_and_b32_e32 v57, 0xffffff, v28
	ds_bpermute_b32 v58, v41, v57
	v_and_b32_e32 v32, s57, v31
	v_or_b32_e32 v32, 0x80000000, v32
	v_and_b32_e32 v33, s56, v30
	v_ffbl_b32_e32 v32, v32
	v_add_u32_e32 v32, 32, v32
	v_ffbl_b32_e32 v33, v33
	v_min_u32_e32 v32, v33, v32
	v_lshrrev_b32_e32 v33, 16, v28
	v_cmp_lt_u32_e32 vcc, v25, v32
	v_bfe_u32 v56, v28, 16, 8
	s_and_saveexec_b64 s[56:57], vcc
	s_cbranch_execz .LBB841_181
; %bb.180:                              ;   in Loop: Header=BB841_172 Depth=1
	v_and_b32_e32 v33, 0xff0000, v28
	v_cmp_eq_u32_e32 vcc, 0, v33
	v_and_b32_e32 v33, 0x10000, v33
	s_waitcnt lgkmcnt(0)
	v_and_b32_sdwa v57, v58, v55 dst_sel:DWORD dst_unused:UNUSED_PAD src0_sel:WORD_1 src1_sel:DWORD
	v_cndmask_b32_e32 v56, 0, v58, vcc
	v_cmp_ne_u32_e32 vcc, 0, v33
	v_add_u16_e32 v59, v56, v28
	v_add_u16_e32 v28, v56, v28
	v_cndmask_b32_e64 v33, v57, 1, vcc
	v_lshlrev_b32_e32 v57, 16, v33
	v_or_b32_e32 v57, v57, v28
	v_mov_b32_e32 v28, v59
	v_mov_b32_e32 v56, v33
.LBB841_181:                            ;   in Loop: Header=BB841_172 Depth=1
	s_or_b64 exec, exec, s[56:57]
	s_waitcnt lgkmcnt(0)
	ds_bpermute_b32 v58, v42, v57
	v_cmp_le_u32_e32 vcc, v43, v32
	s_and_saveexec_b64 s[56:57], vcc
	s_cbranch_execz .LBB841_183
; %bb.182:                              ;   in Loop: Header=BB841_172 Depth=1
	v_cmp_eq_u16_e32 vcc, 0, v56
	v_and_b32_e32 v33, 1, v56
	s_waitcnt lgkmcnt(0)
	v_and_b32_sdwa v56, v58, v55 dst_sel:DWORD dst_unused:UNUSED_PAD src0_sel:WORD_1 src1_sel:DWORD
	v_cndmask_b32_e32 v57, 0, v58, vcc
	v_cmp_eq_u32_e32 vcc, 1, v33
	v_add_u16_e32 v59, v57, v28
	v_add_u16_e32 v28, v57, v28
	v_cndmask_b32_e64 v33, v56, 1, vcc
	v_lshlrev_b32_e32 v56, 16, v33
	v_or_b32_e32 v57, v56, v28
	v_mov_b32_e32 v28, v59
	v_mov_b32_e32 v56, v33
.LBB841_183:                            ;   in Loop: Header=BB841_172 Depth=1
	s_or_b64 exec, exec, s[56:57]
	s_waitcnt lgkmcnt(0)
	ds_bpermute_b32 v58, v44, v57
	v_cmp_le_u32_e32 vcc, v45, v32
	s_and_saveexec_b64 s[56:57], vcc
	s_cbranch_execz .LBB841_185
; %bb.184:                              ;   in Loop: Header=BB841_172 Depth=1
	v_cmp_eq_u16_e32 vcc, 0, v56
	v_and_b32_e32 v33, 1, v56
	s_waitcnt lgkmcnt(0)
	v_and_b32_sdwa v56, v58, v55 dst_sel:DWORD dst_unused:UNUSED_PAD src0_sel:WORD_1 src1_sel:DWORD
	v_cndmask_b32_e32 v57, 0, v58, vcc
	v_cmp_eq_u32_e32 vcc, 1, v33
	v_add_u16_e32 v59, v57, v28
	v_add_u16_e32 v28, v57, v28
	v_cndmask_b32_e64 v33, v56, 1, vcc
	v_lshlrev_b32_e32 v56, 16, v33
	v_or_b32_e32 v57, v56, v28
	v_mov_b32_e32 v28, v59
	v_mov_b32_e32 v56, v33
.LBB841_185:                            ;   in Loop: Header=BB841_172 Depth=1
	;; [unrolled: 21-line block ×4, first 2 shown]
	s_or_b64 exec, exec, s[56:57]
	ds_bpermute_b32 v57, v51, v57
	v_cmp_le_u32_e32 vcc, v53, v32
	s_and_saveexec_b64 s[56:57], vcc
	s_cbranch_execz .LBB841_171
; %bb.190:                              ;   in Loop: Header=BB841_172 Depth=1
	v_cmp_eq_u16_e32 vcc, 0, v56
	s_waitcnt lgkmcnt(0)
	v_lshrrev_b32_e32 v33, 16, v57
	v_cndmask_b32_e32 v32, 0, v57, vcc
	v_add_u16_e32 v28, v32, v28
	v_and_b32_e32 v32, 1, v56
	v_cmp_eq_u32_e32 vcc, 1, v32
	s_nop 1
	v_cndmask_b32_e64 v33, v33, 1, vcc
	s_branch .LBB841_171
.LBB841_191:                            ;   in Loop: Header=BB841_172 Depth=1
                                        ; implicit-def: $vgpr32
                                        ; implicit-def: $vgpr28
	s_cbranch_execz .LBB841_172
; %bb.192:
	s_and_saveexec_b64 s[56:57], s[50:51]
	s_cbranch_execz .LBB841_194
; %bb.193:
	v_and_b32_e32 v25, 0xff0000, v24
	s_mov_b32 s3, 0
	v_cmp_eq_u32_e32 vcc, 0, v25
	v_and_b32_e32 v26, 0x10000, v24
	v_mov_b32_e32 v27, 1
	s_add_i32 s2, s2, 64
	v_cndmask_b32_e32 v25, 0, v52, vcc
	v_and_b32_sdwa v27, v50, v27 dst_sel:WORD_1 dst_unused:UNUSED_PAD src0_sel:DWORD src1_sel:DWORD
	v_mov_b32_e32 v28, 0x10000
	v_cmp_eq_u32_e32 vcc, 0, v26
	s_lshl_b64 s[2:3], s[2:3], 3
	s_add_u32 s2, s60, s2
	v_cndmask_b32_e32 v26, v28, v27, vcc
	v_add_u16_e32 v24, v25, v24
	s_addc_u32 s3, s61, s3
	v_mov_b32_e32 v27, 0
	v_or_b32_e32 v24, v26, v24
	v_mov_b32_e32 v25, 2
	global_store_dwordx2 v27, v[24:25], s[2:3] sc1
.LBB841_194:
	s_or_b64 exec, exec, s[56:57]
	v_cmp_eq_u32_e32 vcc, 0, v0
	s_and_b64 exec, exec, vcc
	s_cbranch_execz .LBB841_196
; %bb.195:
	v_mov_b32_e32 v24, 0
	ds_write_b16 v24, v52 offset:12
	ds_write_b8 v24, v50 offset:14
.LBB841_196:
	s_or_b64 exec, exec, s[54:55]
	s_waitcnt lgkmcnt(0)
	v_lshrrev_b32_e32 v24, 16, v40
	v_mov_b32_e32 v26, 0
	s_mov_b32 s2, 0x10000
	v_cndmask_b32_e64 v24, v24, v37, s[50:51]
	v_cndmask_b32_e64 v25, v40, v36, s[50:51]
	s_barrier
	ds_read_b32 v27, v26 offset:12
	v_cmp_gt_u32_e32 vcc, s2, v38
	v_and_b32_e32 v28, 0x10000, v38
	v_and_b32_e32 v24, 1, v24
	v_cndmask_b32_e32 v25, 0, v25, vcc
	v_cmp_ne_u32_e32 vcc, 0, v28
	s_nop 1
	v_cndmask_b32_e64 v24, v24, 1, vcc
	v_cmp_eq_u32_e32 vcc, 0, v0
	s_nop 1
	v_cndmask_b32_e32 v24, v24, v35, vcc
	v_cndmask_b32_e64 v25, v25, 0, vcc
	v_cmp_eq_u16_sdwa vcc, v24, v26 src0_sel:BYTE_0 src1_sel:DWORD
	v_add_u16_e32 v25, v25, v38
	s_waitcnt lgkmcnt(0)
	v_cndmask_b32_e32 v24, 0, v27, vcc
	v_add_u16_e32 v50, v25, v24
	v_cndmask_b32_e64 v24, 0, v50, s[52:53]
	v_add_u16_e32 v24, v24, v39
	v_cndmask_b32_e64 v25, 0, v24, s[4:5]
	;; [unrolled: 2-line block ×23, first 2 shown]
	v_add_u16_e32 v49, v49, v23
	s_branch .LBB841_249
.LBB841_197:
	s_or_b64 exec, exec, s[56:57]
                                        ; implicit-def: $vgpr20
	s_and_saveexec_b64 s[56:57], s[50:51]
	s_cbranch_execz .LBB841_51
.LBB841_198:
	v_mov_b32_e32 v3, 0
	v_lshl_add_u64 v[20:21], s[52:53], 0, v[2:3]
	flat_load_ushort v20, v[20:21] offset:512
	s_or_b64 exec, exec, s[56:57]
                                        ; implicit-def: $vgpr21
	s_and_saveexec_b64 s[50:51], s[4:5]
	s_cbranch_execnz .LBB841_52
.LBB841_199:
	s_or_b64 exec, exec, s[50:51]
                                        ; implicit-def: $vgpr34
	s_and_saveexec_b64 s[4:5], s[6:7]
	s_cbranch_execz .LBB841_53
.LBB841_200:
	v_mov_b32_e32 v3, 0
	v_lshl_add_u64 v[34:35], s[52:53], 0, v[2:3]
	flat_load_ushort v34, v[34:35] offset:1536
	s_or_b64 exec, exec, s[4:5]
                                        ; implicit-def: $vgpr35
	s_and_saveexec_b64 s[4:5], s[8:9]
	s_cbranch_execnz .LBB841_54
.LBB841_201:
	s_or_b64 exec, exec, s[4:5]
                                        ; implicit-def: $vgpr36
	s_and_saveexec_b64 s[4:5], s[10:11]
	s_cbranch_execz .LBB841_55
.LBB841_202:
	v_mov_b32_e32 v3, 0
	v_lshl_add_u64 v[36:37], s[52:53], 0, v[2:3]
	flat_load_ushort v36, v[36:37] offset:2560
	s_or_b64 exec, exec, s[4:5]
                                        ; implicit-def: $vgpr37
	s_and_saveexec_b64 s[4:5], s[12:13]
	s_cbranch_execnz .LBB841_56
.LBB841_203:
	s_or_b64 exec, exec, s[4:5]
                                        ; implicit-def: $vgpr3
	s_and_saveexec_b64 s[4:5], s[14:15]
	s_cbranch_execz .LBB841_57
.LBB841_204:
	v_mov_b32_e32 v3, 0
	v_lshl_add_u64 v[38:39], s[52:53], 0, v[2:3]
	flat_load_ushort v3, v[38:39] offset:3584
	s_or_b64 exec, exec, s[4:5]
                                        ; implicit-def: $vgpr38
	s_and_saveexec_b64 s[4:5], s[16:17]
	s_cbranch_execnz .LBB841_58
.LBB841_205:
	s_or_b64 exec, exec, s[4:5]
                                        ; implicit-def: $vgpr1
	s_and_saveexec_b64 s[4:5], s[18:19]
	s_cbranch_execz .LBB841_59
.LBB841_206:
	v_lshlrev_b32_e32 v42, 1, v4
	v_mov_b32_e32 v43, 0
	v_lshl_add_u64 v[42:43], s[52:53], 0, v[42:43]
	flat_load_ushort v1, v[42:43]
	s_or_b64 exec, exec, s[4:5]
                                        ; implicit-def: $vgpr4
	s_and_saveexec_b64 s[4:5], s[20:21]
	s_cbranch_execnz .LBB841_60
.LBB841_207:
	s_or_b64 exec, exec, s[4:5]
                                        ; implicit-def: $vgpr5
	s_and_saveexec_b64 s[4:5], s[22:23]
	s_cbranch_execz .LBB841_61
.LBB841_208:
	v_lshlrev_b32_e32 v42, 1, v6
	v_mov_b32_e32 v43, 0
	v_lshl_add_u64 v[42:43], s[52:53], 0, v[42:43]
	flat_load_ushort v5, v[42:43]
	s_or_b64 exec, exec, s[4:5]
                                        ; implicit-def: $vgpr6
	s_and_saveexec_b64 s[4:5], s[24:25]
	s_cbranch_execnz .LBB841_62
.LBB841_209:
	s_or_b64 exec, exec, s[4:5]
                                        ; implicit-def: $vgpr7
	s_and_saveexec_b64 s[4:5], s[26:27]
	s_cbranch_execz .LBB841_63
.LBB841_210:
	v_lshlrev_b32_e32 v42, 1, v8
	v_mov_b32_e32 v43, 0
	v_lshl_add_u64 v[42:43], s[52:53], 0, v[42:43]
	flat_load_ushort v7, v[42:43]
	s_or_b64 exec, exec, s[4:5]
                                        ; implicit-def: $vgpr8
	s_and_saveexec_b64 s[4:5], s[28:29]
	s_cbranch_execnz .LBB841_64
.LBB841_211:
	s_or_b64 exec, exec, s[4:5]
                                        ; implicit-def: $vgpr9
	s_and_saveexec_b64 s[4:5], s[30:31]
	s_cbranch_execz .LBB841_65
.LBB841_212:
	v_lshlrev_b32_e32 v42, 1, v10
	v_mov_b32_e32 v43, 0
	v_lshl_add_u64 v[42:43], s[52:53], 0, v[42:43]
	flat_load_ushort v9, v[42:43]
	s_or_b64 exec, exec, s[4:5]
                                        ; implicit-def: $vgpr10
	s_and_saveexec_b64 s[4:5], s[34:35]
	s_cbranch_execnz .LBB841_66
.LBB841_213:
	s_or_b64 exec, exec, s[4:5]
                                        ; implicit-def: $vgpr11
	s_and_saveexec_b64 s[4:5], s[36:37]
	s_cbranch_execz .LBB841_67
.LBB841_214:
	v_lshlrev_b32_e32 v42, 1, v12
	v_mov_b32_e32 v43, 0
	v_lshl_add_u64 v[42:43], s[52:53], 0, v[42:43]
	flat_load_ushort v11, v[42:43]
	s_or_b64 exec, exec, s[4:5]
                                        ; implicit-def: $vgpr12
	s_and_saveexec_b64 s[4:5], s[38:39]
	s_cbranch_execnz .LBB841_68
.LBB841_215:
	s_or_b64 exec, exec, s[4:5]
                                        ; implicit-def: $vgpr13
	s_and_saveexec_b64 s[4:5], s[40:41]
	s_cbranch_execz .LBB841_69
.LBB841_216:
	v_lshlrev_b32_e32 v42, 1, v14
	v_mov_b32_e32 v43, 0
	v_lshl_add_u64 v[42:43], s[52:53], 0, v[42:43]
	flat_load_ushort v13, v[42:43]
	s_or_b64 exec, exec, s[4:5]
                                        ; implicit-def: $vgpr14
	s_and_saveexec_b64 s[4:5], s[42:43]
	s_cbranch_execnz .LBB841_70
.LBB841_217:
	s_or_b64 exec, exec, s[4:5]
                                        ; implicit-def: $vgpr15
	s_and_saveexec_b64 s[4:5], s[44:45]
	s_cbranch_execz .LBB841_71
.LBB841_218:
	v_lshlrev_b32_e32 v42, 1, v16
	v_mov_b32_e32 v43, 0
	v_lshl_add_u64 v[42:43], s[52:53], 0, v[42:43]
	flat_load_ushort v15, v[42:43]
	s_or_b64 exec, exec, s[4:5]
                                        ; implicit-def: $vgpr16
	s_and_saveexec_b64 s[4:5], s[46:47]
	s_cbranch_execz .LBB841_73
	s_branch .LBB841_72
.LBB841_219:
                                        ; implicit-def: $vgpr50
                                        ; implicit-def: $vgpr24
                                        ; implicit-def: $vgpr25
                                        ; implicit-def: $vgpr26
                                        ; implicit-def: $vgpr27
                                        ; implicit-def: $vgpr28
                                        ; implicit-def: $vgpr29
                                        ; implicit-def: $vgpr31
                                        ; implicit-def: $vgpr30
                                        ; implicit-def: $vgpr32
                                        ; implicit-def: $vgpr33
                                        ; implicit-def: $vgpr35
                                        ; implicit-def: $vgpr36
                                        ; implicit-def: $vgpr37
                                        ; implicit-def: $vgpr40
                                        ; implicit-def: $vgpr42
                                        ; implicit-def: $vgpr41
                                        ; implicit-def: $vgpr43
                                        ; implicit-def: $vgpr44
                                        ; implicit-def: $vgpr45
                                        ; implicit-def: $vgpr46
                                        ; implicit-def: $vgpr47
                                        ; implicit-def: $vgpr48
                                        ; implicit-def: $vgpr49
	s_cbranch_execz .LBB841_249
; %bb.220:
	s_cmp_lg_u64 s[72:73], 0
	s_cselect_b32 s5, s67, 0
	s_cselect_b32 s4, s66, 0
	s_cmp_lg_u64 s[4:5], 0
	s_cselect_b64 s[6:7], -1, 0
	v_cmp_eq_u32_e32 vcc, 0, v0
	v_cmp_ne_u32_e64 s[2:3], 0, v0
	s_and_b64 s[8:9], vcc, s[6:7]
	s_and_saveexec_b64 s[6:7], s[8:9]
	s_cbranch_execz .LBB841_222
; %bb.221:
	v_mov_b32_e32 v24, 0
	global_load_ushort v25, v24, s[4:5]
	global_load_ubyte v26, v24, s[4:5] offset:2
	s_mov_b32 s4, 0x10000
	v_and_b32_e32 v24, 0x10000, v38
	v_mov_b32_e32 v27, 1
	v_cmp_gt_u32_e64 s[4:5], s4, v38
	v_mov_b32_e32 v28, 0x10000
	s_waitcnt vmcnt(0)
	v_and_b32_sdwa v26, v26, v27 dst_sel:WORD_1 dst_unused:UNUSED_PAD src0_sel:DWORD src1_sel:DWORD
	v_cndmask_b32_e64 v25, 0, v25, s[4:5]
	v_cmp_eq_u32_e64 s[4:5], 0, v24
	v_add_u16_e32 v25, v25, v38
	s_nop 0
	v_cndmask_b32_e64 v24, v28, v26, s[4:5]
	v_or_b32_e32 v38, v24, v25
.LBB841_222:
	s_or_b64 exec, exec, s[6:7]
	s_mov_b32 s50, 0x10000
	v_cmp_gt_u32_e64 s[4:5], s50, v39
	v_and_b32_e32 v25, 0x10000, v39
	v_cmp_gt_u32_e64 s[6:7], s50, v1
	v_cndmask_b32_e64 v24, 0, v38, s[4:5]
	v_add_u16_e32 v24, v24, v39
	v_cmp_ne_u32_e64 s[52:53], 0, v25
	v_cndmask_b32_e64 v25, 0, v24, s[6:7]
	v_add_u16_e32 v25, v25, v1
	v_and_b32_e32 v26, 0x10000, v1
	v_cmp_gt_u32_e64 s[8:9], s50, v18
	v_cmp_ne_u32_e64 s[54:55], 0, v26
	v_cmp_gt_u32_e64 s[10:11], s50, v19
	v_cndmask_b32_e64 v26, 0, v25, s[8:9]
	v_add_u16_e32 v26, v26, v18
	v_cndmask_b32_e64 v27, 0, v26, s[10:11]
	v_add_u16_e32 v27, v27, v19
	v_cmp_gt_u32_e64 s[12:13], s50, v20
	v_bfe_u32 v30, v19, 16, 1
	v_mov_b32_e32 v53, 1
	v_cndmask_b32_e64 v28, 0, v27, s[12:13]
	v_lshlrev_b16_e32 v30, 1, v30
	v_and_b32_sdwa v31, v18, v53 dst_sel:DWORD dst_unused:UNUSED_PAD src0_sel:WORD_1 src1_sel:DWORD
	v_add_u16_e32 v28, v28, v20
	v_cmp_gt_u32_e64 s[14:15], s50, v21
	v_or_b32_e32 v30, v31, v30
	v_bfe_u32 v31, v21, 16, 1
	v_and_b32_sdwa v32, v20, v53 dst_sel:DWORD dst_unused:UNUSED_PAD src0_sel:WORD_1 src1_sel:DWORD
	v_cndmask_b32_e64 v29, 0, v28, s[14:15]
	v_lshlrev_b16_e32 v31, 3, v31
	v_lshlrev_b16_e32 v32, 2, v32
	v_add_u16_e32 v29, v29, v21
	v_or_b32_e32 v31, v31, v32
	v_cmp_gt_u32_e64 s[16:17], s50, v2
	v_or_b32_e32 v49, v30, v31
	v_cmp_gt_u32_e64 s[18:19], s50, v3
	v_cndmask_b32_e64 v30, 0, v29, s[16:17]
	v_add_u16_e32 v31, v30, v2
	v_cndmask_b32_e64 v30, 0, v31, s[18:19]
	v_add_u16_e32 v30, v30, v3
	v_cmp_gt_u32_e64 s[20:21], s50, v4
	v_cmp_gt_u32_e64 s[22:23], s50, v5
	v_cmp_gt_u32_e64 s[24:25], s50, v6
	v_cndmask_b32_e64 v32, 0, v30, s[20:21]
	v_add_u16_e32 v32, v32, v4
	v_cndmask_b32_e64 v33, 0, v32, s[22:23]
	v_add_u16_e32 v33, v33, v5
	v_cndmask_b32_e64 v35, 0, v33, s[24:25]
	v_add_u16_e32 v35, v35, v6
	v_cmp_gt_u32_e64 s[26:27], s50, v7
	v_cmp_gt_u32_e64 s[28:29], s50, v8
	v_cmp_gt_u32_e64 s[30:31], s50, v9
	v_cndmask_b32_e64 v36, 0, v35, s[26:27]
	v_add_u16_e32 v36, v36, v7
	;; [unrolled: 9-line block ×3, first 2 shown]
	v_cndmask_b32_e64 v41, 0, v42, s[36:37]
	v_add_u16_e32 v41, v41, v11
	v_cndmask_b32_e64 v43, 0, v41, s[38:39]
	v_and_b32_e32 v52, 0x10000, v23
	v_add_u16_e32 v43, v43, v12
	v_cmp_gt_u32_e64 s[40:41], s50, v13
	v_cmp_ne_u32_e64 s[56:57], 0, v52
	v_or_b32_e32 v52, v16, v8
	v_or_b32_e32 v55, v17, v9
	;; [unrolled: 1-line block ×3, first 2 shown]
	v_cndmask_b32_e64 v44, 0, v43, s[40:41]
	v_or_b32_e32 v56, v14, v6
	v_or_b32_e32 v58, v12, v4
	;; [unrolled: 1-line block ×4, first 2 shown]
	v_bfe_u32 v57, v57, 16, 1
	v_bfe_u32 v55, v55, 16, 1
	v_and_b32_sdwa v52, v52, v53 dst_sel:DWORD dst_unused:UNUSED_PAD src0_sel:WORD_1 src1_sel:DWORD
	v_add_u16_e32 v44, v44, v13
	v_cmp_gt_u32_e64 s[42:43], s50, v14
	v_or_b32_e32 v60, v10, v2
	v_bfe_u32 v61, v61, 16, 1
	v_bfe_u32 v59, v59, 16, 1
	v_and_b32_sdwa v58, v58, v53 dst_sel:DWORD dst_unused:UNUSED_PAD src0_sel:WORD_1 src1_sel:DWORD
	v_lshlrev_b16_e32 v57, 1, v57
	v_and_b32_sdwa v56, v56, v53 dst_sel:DWORD dst_unused:UNUSED_PAD src0_sel:WORD_1 src1_sel:DWORD
	v_lshlrev_b16_e32 v55, 3, v55
	v_lshlrev_b16_e32 v52, 2, v52
	v_cndmask_b32_e64 v45, 0, v44, s[42:43]
	v_lshlrev_b16_e32 v61, 1, v61
	v_and_b32_sdwa v60, v60, v53 dst_sel:DWORD dst_unused:UNUSED_PAD src0_sel:WORD_1 src1_sel:DWORD
	v_lshlrev_b16_e32 v59, 3, v59
	v_lshlrev_b16_e32 v58, 2, v58
	v_or_b32_e32 v56, v56, v57
	v_or_b32_e32 v52, v55, v52
	v_add_u16_e32 v45, v45, v14
	v_cmp_gt_u32_e64 s[44:45], s50, v15
	v_or_b32_e32 v60, v60, v61
	v_or_b32_e32 v58, v59, v58
	v_or_b32_e32 v52, v56, v52
	v_cndmask_b32_e64 v46, 0, v45, s[44:45]
	v_or_b32_e32 v58, v60, v58
	v_lshlrev_b16_e32 v52, 4, v52
	v_add_u16_e32 v46, v46, v15
	v_cmp_gt_u32_e64 s[46:47], s50, v16
	v_or_b32_e32 v52, v58, v52
	v_or_b32_e32 v49, v52, v49
	v_cndmask_b32_e64 v47, 0, v46, s[46:47]
	v_mov_b32_e32 v52, 0
	v_add_u16_e32 v47, v47, v16
	v_cmp_gt_u32_e64 s[48:49], s50, v17
	v_cmp_ne_u16_sdwa s[64:65], v49, v52 src0_sel:BYTE_0 src1_sel:DWORD
	s_or_b64 s[56:57], s[56:57], s[64:65]
	v_cndmask_b32_e64 v48, 0, v47, s[48:49]
	v_add_u16_e32 v48, v48, v17
	v_cmp_gt_u32_e64 s[50:51], s50, v23
	s_or_b64 s[54:55], s[56:57], s[54:55]
	v_lshrrev_b32_e32 v50, 16, v38
	v_cndmask_b32_e64 v54, 0, v48, s[50:51]
	s_or_b64 s[52:53], s[54:55], s[52:53]
	v_cndmask_b32_e64 v52, v50, 1, s[52:53]
	v_mbcnt_hi_u32_b32 v34, -1, v34
	v_add_u16_e32 v49, v54, v23
	v_add_u16_e32 v51, v54, v23
	v_and_b32_e32 v55, 15, v34
	v_lshl_or_b32 v54, v52, 16, v49
	v_cmp_ne_u32_e64 s[52:53], 0, v55
	s_nop 0
	v_mov_b32_dpp v56, v54 row_shr:1 row_mask:0xf bank_mask:0xf
	s_and_saveexec_b64 s[54:55], s[52:53]
; %bb.223:
	v_cmp_eq_u32_e64 s[52:53], 0, v52
	v_and_b32_e32 v52, 1, v52
	v_and_b32_sdwa v53, v56, v53 dst_sel:DWORD dst_unused:UNUSED_PAD src0_sel:WORD_1 src1_sel:DWORD
	v_cndmask_b32_e64 v54, 0, v56, s[52:53]
	v_cmp_eq_u32_e64 s[52:53], 1, v52
	v_add_u16_e32 v57, v51, v54
	v_add_u16_e32 v51, v51, v54
	v_cndmask_b32_e64 v52, v53, 1, s[52:53]
	v_lshlrev_b32_e32 v53, 16, v52
	v_or_b32_e32 v54, v53, v51
	v_mov_b32_e32 v51, v57
; %bb.224:
	s_or_b64 exec, exec, s[54:55]
	v_lshrrev_b32_e32 v53, 16, v54
	v_mov_b32_dpp v56, v54 row_shr:2 row_mask:0xf bank_mask:0xf
	v_cmp_lt_u32_e64 s[52:53], 1, v55
	s_and_saveexec_b64 s[54:55], s[52:53]
	s_cbranch_execz .LBB841_226
; %bb.225:
	s_mov_b32 s52, 0x10000
	v_cmp_gt_u32_e64 s[52:53], s52, v54
	v_and_b32_e32 v52, 0x10000, v54
	v_mov_b32_e32 v54, 1
	v_cndmask_b32_e64 v53, 0, v56, s[52:53]
	v_and_b32_sdwa v54, v56, v54 dst_sel:DWORD dst_unused:UNUSED_PAD src0_sel:WORD_1 src1_sel:DWORD
	v_cmp_ne_u32_e64 s[52:53], 0, v52
	v_add_u16_e32 v57, v53, v51
	v_add_u16_e32 v51, v53, v51
	v_cndmask_b32_e64 v52, v54, 1, s[52:53]
	v_lshlrev_b32_e32 v54, 16, v52
	v_or_b32_e32 v54, v54, v51
	v_mov_b32_e32 v53, v52
	v_mov_b32_e32 v51, v57
.LBB841_226:
	s_or_b64 exec, exec, s[54:55]
	v_mov_b32_dpp v56, v54 row_shr:4 row_mask:0xf bank_mask:0xf
	v_cmp_lt_u32_e64 s[52:53], 3, v55
	s_and_saveexec_b64 s[54:55], s[52:53]
	s_cbranch_execz .LBB841_228
; %bb.227:
	v_mov_b32_e32 v52, 0
	v_cmp_eq_u16_sdwa s[52:53], v53, v52 src0_sel:BYTE_0 src1_sel:DWORD
	v_and_b32_e32 v52, 1, v53
	v_mov_b32_e32 v53, 1
	v_cndmask_b32_e64 v54, 0, v56, s[52:53]
	v_and_b32_sdwa v53, v56, v53 dst_sel:DWORD dst_unused:UNUSED_PAD src0_sel:WORD_1 src1_sel:DWORD
	v_cmp_eq_u32_e64 s[52:53], 1, v52
	v_add_u16_e32 v57, v54, v51
	v_add_u16_e32 v51, v54, v51
	v_cndmask_b32_e64 v52, v53, 1, s[52:53]
	v_lshlrev_b32_e32 v53, 16, v52
	v_or_b32_e32 v54, v53, v51
	v_mov_b32_e32 v53, v52
	v_mov_b32_e32 v51, v57
.LBB841_228:
	s_or_b64 exec, exec, s[54:55]
	v_mov_b32_dpp v56, v54 row_shr:8 row_mask:0xf bank_mask:0xf
	v_cmp_lt_u32_e64 s[52:53], 7, v55
	s_and_saveexec_b64 s[54:55], s[52:53]
	s_cbranch_execz .LBB841_230
; %bb.229:
	v_mov_b32_e32 v52, 0
	v_cmp_eq_u16_sdwa s[52:53], v53, v52 src0_sel:BYTE_0 src1_sel:DWORD
	v_and_b32_e32 v52, 1, v53
	v_mov_b32_e32 v53, 1
	v_cndmask_b32_e64 v54, 0, v56, s[52:53]
	v_and_b32_sdwa v53, v56, v53 dst_sel:DWORD dst_unused:UNUSED_PAD src0_sel:WORD_1 src1_sel:DWORD
	v_cmp_eq_u32_e64 s[52:53], 1, v52
	v_add_u16_e32 v55, v54, v51
	v_add_u16_e32 v51, v54, v51
	v_cndmask_b32_e64 v52, v53, 1, s[52:53]
	v_lshlrev_b32_e32 v53, 16, v52
	v_or_b32_e32 v54, v53, v51
	v_mov_b32_e32 v53, v52
	v_mov_b32_e32 v51, v55
.LBB841_230:
	s_or_b64 exec, exec, s[54:55]
	v_and_b32_e32 v56, 16, v34
	v_mov_b32_dpp v55, v54 row_bcast:15 row_mask:0xf bank_mask:0xf
	v_cmp_ne_u32_e64 s[52:53], 0, v56
	s_and_saveexec_b64 s[54:55], s[52:53]
	s_cbranch_execz .LBB841_232
; %bb.231:
	v_mov_b32_e32 v52, 0
	v_cmp_eq_u16_sdwa s[52:53], v53, v52 src0_sel:BYTE_0 src1_sel:DWORD
	v_and_b32_e32 v52, 1, v53
	v_mov_b32_e32 v53, 1
	v_cndmask_b32_e64 v54, 0, v55, s[52:53]
	v_and_b32_sdwa v53, v55, v53 dst_sel:DWORD dst_unused:UNUSED_PAD src0_sel:WORD_1 src1_sel:DWORD
	v_cmp_eq_u32_e64 s[52:53], 1, v52
	v_add_u16_e32 v56, v54, v51
	v_add_u16_e32 v51, v54, v51
	v_cndmask_b32_e64 v52, v53, 1, s[52:53]
	v_lshlrev_b32_e32 v53, 16, v52
	v_or_b32_e32 v54, v53, v51
	v_mov_b32_e32 v51, v56
	v_mov_b32_e32 v53, v52
.LBB841_232:
	s_or_b64 exec, exec, s[54:55]
	v_mov_b32_dpp v54, v54 row_bcast:31 row_mask:0xf bank_mask:0xf
	v_cmp_lt_u32_e64 s[52:53], 31, v34
	s_and_saveexec_b64 s[54:55], s[52:53]
; %bb.233:
	v_mov_b32_e32 v52, 0
	v_cmp_eq_u16_sdwa s[52:53], v53, v52 src0_sel:BYTE_0 src1_sel:DWORD
	s_nop 1
	v_cndmask_b32_e64 v52, 0, v54, s[52:53]
	v_add_u16_e32 v51, v52, v51
	v_and_b32_e32 v52, 1, v53
	v_mov_b32_e32 v53, 1
	v_and_b32_sdwa v53, v54, v53 dst_sel:DWORD dst_unused:UNUSED_PAD src0_sel:WORD_1 src1_sel:DWORD
	v_cmp_eq_u32_e64 s[52:53], 1, v52
	s_nop 1
	v_cndmask_b32_e64 v52, v53, 1, s[52:53]
; %bb.234:
	s_or_b64 exec, exec, s[54:55]
	v_or_b32_e32 v54, 63, v0
	v_lshrrev_b32_e32 v53, 6, v0
	v_cmp_eq_u32_e64 s[52:53], v54, v0
	s_and_saveexec_b64 s[54:55], s[52:53]
	s_cbranch_execz .LBB841_236
; %bb.235:
	v_lshlrev_b32_e32 v54, 2, v53
	ds_write_b16 v54, v51
	ds_write_b8 v54, v52 offset:2
.LBB841_236:
	s_or_b64 exec, exec, s[54:55]
	v_cmp_gt_u32_e64 s[52:53], 4, v0
	s_waitcnt lgkmcnt(0)
	s_barrier
	s_and_saveexec_b64 s[54:55], s[52:53]
	s_cbranch_execz .LBB841_242
; %bb.237:
	v_lshlrev_b32_e32 v54, 2, v0
	ds_read_b32 v55, v54
	v_and_b32_e32 v58, 3, v34
	v_cmp_ne_u32_e64 s[52:53], 0, v58
	s_waitcnt lgkmcnt(0)
	v_lshrrev_b32_e32 v57, 16, v55
	v_mov_b32_dpp v59, v55 row_shr:1 row_mask:0xf bank_mask:0xf
	v_mov_b32_e32 v56, v55
	s_and_saveexec_b64 s[56:57], s[52:53]
	s_cbranch_execz .LBB841_239
; %bb.238:
	v_mov_b32_e32 v56, 0
	v_cmp_eq_u16_sdwa s[52:53], v57, v56 src0_sel:BYTE_0 src1_sel:DWORD
	v_and_b32_e32 v57, 0x10000, v55
	v_mov_b32_e32 v62, 1
	v_cndmask_b32_e64 v61, 0, v59, s[52:53]
	v_and_b32_sdwa v59, v59, v62 dst_sel:DWORD dst_unused:UNUSED_PAD src0_sel:WORD_1 src1_sel:DWORD
	v_cmp_ne_u32_e64 s[52:53], 0, v57
	v_and_b32_e32 v60, 0xff000000, v55
	v_add_u16_e32 v56, v61, v55
	v_cndmask_b32_e64 v57, v59, 1, s[52:53]
	v_lshlrev_b32_e32 v59, 16, v57
	v_add_u16_e32 v55, v61, v55
	v_or3_b32 v55, v59, v60, v55
.LBB841_239:
	s_or_b64 exec, exec, s[56:57]
	s_nop 0
	v_mov_b32_dpp v59, v55 row_shr:2 row_mask:0xf bank_mask:0xf
	v_cmp_lt_u32_e64 s[52:53], 1, v58
	s_and_saveexec_b64 s[56:57], s[52:53]
; %bb.240:
	v_and_b32_e32 v57, 0xff0000, v55
	v_cmp_eq_u32_e64 s[52:53], 0, v57
	v_and_b32_e32 v55, 0x10000, v55
	s_nop 0
	v_cndmask_b32_e64 v57, 0, v59, s[52:53]
	v_add_u16_e32 v56, v57, v56
	v_mov_b32_e32 v57, 1
	v_and_b32_sdwa v57, v59, v57 dst_sel:DWORD dst_unused:UNUSED_PAD src0_sel:WORD_1 src1_sel:DWORD
	v_cmp_eq_u32_e64 s[52:53], 0, v55
	s_nop 1
	v_cndmask_b32_e64 v57, 1, v57, s[52:53]
; %bb.241:
	s_or_b64 exec, exec, s[56:57]
	ds_write_b16 v54, v56
	ds_write_b8 v54, v57 offset:2
.LBB841_242:
	s_or_b64 exec, exec, s[54:55]
	v_cmp_lt_u32_e64 s[52:53], 63, v0
	v_mov_b32_e32 v54, 0
	s_waitcnt lgkmcnt(0)
	s_barrier
	s_and_saveexec_b64 s[54:55], s[52:53]
	s_cbranch_execz .LBB841_244
; %bb.243:
	v_lshl_add_u32 v53, v53, 2, -4
	ds_read_u16 v54, v53
	ds_read_u8 v53, v53 offset:2
	v_mov_b32_e32 v55, 0
	v_and_b32_e32 v56, 1, v52
	v_cmp_eq_u16_sdwa s[52:53], v52, v55 src0_sel:BYTE_0 src1_sel:DWORD
	s_waitcnt lgkmcnt(1)
	s_nop 0
	v_cndmask_b32_e64 v52, 0, v54, s[52:53]
	v_cmp_eq_u32_e64 s[52:53], 1, v56
	v_add_u16_e32 v51, v52, v51
	s_waitcnt lgkmcnt(0)
	v_cndmask_b32_e64 v52, v53, 1, s[52:53]
.LBB841_244:
	s_or_b64 exec, exec, s[54:55]
	v_and_b32_e32 v52, 0xff, v52
	v_and_b32_e32 v51, 0xffff, v51
	v_lshl_or_b32 v51, v52, 16, v51
	v_add_u32_e32 v52, -1, v34
	v_and_b32_e32 v53, 64, v34
	v_cmp_lt_i32_e64 s[52:53], v52, v53
	s_nop 1
	v_cndmask_b32_e64 v52, v52, v34, s[52:53]
	v_lshlrev_b32_e32 v52, 2, v52
	ds_bpermute_b32 v51, v52, v51
	s_and_saveexec_b64 s[52:53], s[2:3]
	s_cbranch_execz .LBB841_246
; %bb.245:
	v_cmp_eq_u32_e64 s[2:3], 0, v34
	v_and_b32_e32 v25, 0xff0000, v38
	v_mov_b32_e32 v50, 0
	s_waitcnt lgkmcnt(0)
	v_cndmask_b32_e64 v24, v51, v54, s[2:3]
	v_and_b32_e32 v24, 0xffff, v24
	v_cmp_eq_u32_e64 s[2:3], 0, v25
	;;#ASMSTART
	;;#ASMEND
	s_nop 1
	v_cndmask_b32_e64 v24, 0, v24, s[2:3]
	v_add_u32_e32 v38, v24, v38
	v_cndmask_b32_e64 v24, 0, v38, s[4:5]
	v_add_u16_e32 v24, v24, v39
	v_cndmask_b32_e64 v25, 0, v24, s[6:7]
	v_add_u16_e32 v25, v25, v1
	;; [unrolled: 2-line block ×23, first 2 shown]
.LBB841_246:
	s_or_b64 exec, exec, s[52:53]
	s_and_saveexec_b64 s[2:3], vcc
	s_cbranch_execz .LBB841_248
; %bb.247:
	v_mov_b32_e32 v1, 0
	ds_read_u8 v2, v1 offset:14
	ds_read_u16 v3, v1 offset:12
	s_waitcnt lgkmcnt(1)
	v_lshlrev_b32_e32 v2, 16, v2
	s_waitcnt lgkmcnt(0)
	v_or_b32_e32 v2, v2, v3
	v_mov_b32_e32 v3, 2
	global_store_dwordx2 v1, v[2:3], s[60:61] offset:512 sc1
.LBB841_248:
	s_or_b64 exec, exec, s[2:3]
	v_lshl_or_b32 v50, v50, 16, v38
.LBB841_249:
	s_add_u32 s2, s58, s68
	s_addc_u32 s3, s59, s69
	s_add_u32 s2, s2, s70
	s_addc_u32 s3, s3, s71
	s_and_b64 vcc, exec, s[0:1]
	v_mul_u32_u24_e32 v4, 24, v0
	s_cbranch_vccz .LBB841_301
; %bb.250:
	s_add_i32 s33, s33, s62
	v_cmp_le_u32_e32 vcc, s33, v4
                                        ; implicit-def: $vgpr1
                                        ; implicit-def: $vgpr2
                                        ; implicit-def: $vgpr3
                                        ; implicit-def: $vgpr5
                                        ; implicit-def: $vgpr6
                                        ; implicit-def: $vgpr7
                                        ; implicit-def: $vgpr8
	s_and_saveexec_b64 s[0:1], vcc
	s_xor_b64 s[0:1], exec, s[0:1]
; %bb.251:
	v_or_b32_e32 v1, 1, v4
	v_or_b32_e32 v2, 2, v4
	v_or_b32_e32 v3, 3, v4
	v_or_b32_e32 v5, 4, v4
	v_or_b32_e32 v6, 5, v4
	v_or_b32_e32 v7, 6, v4
	v_or_b32_e32 v8, 7, v4
; %bb.252:
	s_andn2_saveexec_b64 s[0:1], s[0:1]
; %bb.253:
	v_or_b32_e32 v1, 1, v4
	v_or_b32_e32 v2, 2, v4
	;; [unrolled: 1-line block ×7, first 2 shown]
; %bb.254:
	s_or_b64 exec, exec, s[0:1]
	v_lshlrev_b32_e32 v39, 1, v4
	v_lshlrev_b32_e32 v1, 1, v1
	s_waitcnt lgkmcnt(0)
	s_barrier
	ds_write_b16 v39, v50
	ds_write_b16 v1, v24
	v_lshlrev_b32_e32 v1, 1, v2
	ds_write_b16 v1, v25
	v_lshlrev_b32_e32 v1, 1, v3
	;; [unrolled: 2-line block ×5, first 2 shown]
	s_mov_b32 s0, 0x5040100
	ds_write_b16 v1, v29
	v_lshlrev_b32_e32 v1, 1, v8
	v_perm_b32 v9, v42, v40, s0
	v_perm_b32 v8, v37, v36, s0
	;; [unrolled: 1-line block ×4, first 2 shown]
	ds_write_b16 v1, v31
	ds_write_b128 v39, v[6:9] offset:16
	v_perm_b32 v9, v49, v48, s0
	v_perm_b32 v8, v47, v46, s0
	;; [unrolled: 1-line block ×4, first 2 shown]
	s_movk_i32 s0, 0xffd2
	v_mad_i32_i24 v2, v0, s0, v39
	ds_write_b128 v39, v[6:9] offset:32
	s_waitcnt lgkmcnt(0)
	s_barrier
	ds_read_u16 v53, v2 offset:512
	ds_read_u16 v52, v2 offset:1024
	;; [unrolled: 1-line block ×23, first 2 shown]
	v_mov_b32_e32 v23, 0
	v_lshl_add_u64 v[2:3], s[2:3], 0, v[22:23]
	v_cmp_gt_u32_e32 vcc, s33, v0
	s_and_saveexec_b64 s[0:1], vcc
	s_cbranch_execz .LBB841_256
; %bb.255:
	v_mul_i32_i24_e32 v54, 0xffffffd2, v0
	v_add_u32_e32 v39, v39, v54
	ds_read_u16 v39, v39
	s_waitcnt lgkmcnt(0)
	flat_store_short v[2:3], v39
.LBB841_256:
	s_or_b64 exec, exec, s[0:1]
	v_or_b32_e32 v39, 0x100, v0
	v_cmp_gt_u32_e32 vcc, s33, v39
	s_and_saveexec_b64 s[0:1], vcc
	s_cbranch_execz .LBB841_258
; %bb.257:
	s_waitcnt lgkmcnt(0)
	flat_store_short v[2:3], v53 offset:512
.LBB841_258:
	s_or_b64 exec, exec, s[0:1]
	v_or_b32_e32 v39, 0x200, v0
	v_cmp_gt_u32_e32 vcc, s33, v39
	s_and_saveexec_b64 s[0:1], vcc
	s_cbranch_execz .LBB841_260
; %bb.259:
	s_waitcnt lgkmcnt(0)
	flat_store_short v[2:3], v52 offset:1024
.LBB841_260:
	;; [unrolled: 9-line block ×4, first 2 shown]
	s_or_b64 exec, exec, s[0:1]
	s_waitcnt lgkmcnt(0)
	v_or_b32_e32 v38, 0x500, v0
	v_cmp_gt_u32_e32 vcc, s33, v38
	s_and_saveexec_b64 s[0:1], vcc
	s_cbranch_execz .LBB841_266
; %bb.265:
	flat_store_short v[2:3], v34 offset:2560
.LBB841_266:
	s_or_b64 exec, exec, s[0:1]
	v_or_b32_e32 v34, 0x600, v0
	v_cmp_gt_u32_e32 vcc, s33, v34
	s_and_saveexec_b64 s[0:1], vcc
	s_cbranch_execz .LBB841_268
; %bb.267:
	flat_store_short v[2:3], v21 offset:3072
.LBB841_268:
	s_or_b64 exec, exec, s[0:1]
	;; [unrolled: 8-line block ×3, first 2 shown]
	v_or_b32_e32 v20, 0x800, v0
	v_cmp_gt_u32_e32 vcc, s33, v20
	s_and_saveexec_b64 s[0:1], vcc
	s_cbranch_execz .LBB841_272
; %bb.271:
	v_add_co_u32_e32 v20, vcc, 0x1000, v2
	s_nop 1
	v_addc_co_u32_e32 v21, vcc, 0, v3, vcc
	flat_store_short v[20:21], v19
.LBB841_272:
	s_or_b64 exec, exec, s[0:1]
	v_or_b32_e32 v19, 0x900, v0
	v_cmp_gt_u32_e32 vcc, s33, v19
	s_and_saveexec_b64 s[0:1], vcc
	s_cbranch_execz .LBB841_274
; %bb.273:
	v_add_co_u32_e32 v20, vcc, 0x1000, v2
	s_nop 1
	v_addc_co_u32_e32 v21, vcc, 0, v3, vcc
	flat_store_short v[20:21], v18 offset:512
.LBB841_274:
	s_or_b64 exec, exec, s[0:1]
	v_or_b32_e32 v18, 0xa00, v0
	v_cmp_gt_u32_e32 vcc, s33, v18
	s_and_saveexec_b64 s[0:1], vcc
	s_cbranch_execz .LBB841_276
; %bb.275:
	v_add_co_u32_e32 v18, vcc, 0x1000, v2
	s_nop 1
	v_addc_co_u32_e32 v19, vcc, 0, v3, vcc
	flat_store_short v[18:19], v17 offset:1024
.LBB841_276:
	;; [unrolled: 11-line block ×7, first 2 shown]
	s_or_b64 exec, exec, s[0:1]
	v_or_b32_e32 v12, 0x1000, v0
	v_cmp_gt_u32_e32 vcc, s33, v12
	s_and_saveexec_b64 s[0:1], vcc
	s_cbranch_execz .LBB841_288
; %bb.287:
	v_add_co_u32_e32 v12, vcc, 0x2000, v2
	s_nop 1
	v_addc_co_u32_e32 v13, vcc, 0, v3, vcc
	flat_store_short v[12:13], v11
.LBB841_288:
	s_or_b64 exec, exec, s[0:1]
	v_or_b32_e32 v11, 0x1100, v0
	v_cmp_gt_u32_e32 vcc, s33, v11
	s_and_saveexec_b64 s[0:1], vcc
	s_cbranch_execz .LBB841_290
; %bb.289:
	v_add_co_u32_e32 v12, vcc, 0x2000, v2
	s_nop 1
	v_addc_co_u32_e32 v13, vcc, 0, v3, vcc
	flat_store_short v[12:13], v10 offset:512
.LBB841_290:
	s_or_b64 exec, exec, s[0:1]
	v_or_b32_e32 v10, 0x1200, v0
	v_cmp_gt_u32_e32 vcc, s33, v10
	s_and_saveexec_b64 s[0:1], vcc
	s_cbranch_execz .LBB841_292
; %bb.291:
	v_add_co_u32_e32 v10, vcc, 0x2000, v2
	s_nop 1
	v_addc_co_u32_e32 v11, vcc, 0, v3, vcc
	flat_store_short v[10:11], v9 offset:1024
.LBB841_292:
	;; [unrolled: 11-line block ×6, first 2 shown]
	s_or_b64 exec, exec, s[0:1]
	v_or_b32_e32 v2, 0x1700, v0
	v_mov_b32_e32 v1, v23
	v_cmp_gt_u32_e64 s[0:1], s33, v2
	s_branch .LBB841_303
.LBB841_301:
	s_mov_b64 s[0:1], 0
                                        ; implicit-def: $vgpr5
	s_cbranch_execz .LBB841_303
; %bb.302:
	s_mov_b32 s4, 0x5040100
	v_lshlrev_b32_e32 v6, 1, v4
	v_perm_b32 v5, v31, v29, s4
	v_perm_b32 v4, v28, v27, s4
	;; [unrolled: 1-line block ×4, first 2 shown]
	s_waitcnt lgkmcnt(0)
	s_barrier
	ds_write_b128 v6, v[2:5]
	v_perm_b32 v5, v42, v40, s4
	v_perm_b32 v4, v37, v36, s4
	;; [unrolled: 1-line block ×4, first 2 shown]
	ds_write_b128 v6, v[2:5] offset:16
	v_perm_b32 v4, v47, v46, s4
	v_perm_b32 v3, v45, v44, s4
	;; [unrolled: 1-line block ×4, first 2 shown]
	v_mov_b32_e32 v1, 0
	s_movk_i32 s4, 0xffd2
	ds_write_b128 v6, v[2:5] offset:32
	v_mad_i32_i24 v2, v0, s4, v6
	v_mov_b32_e32 v23, v1
	s_waitcnt lgkmcnt(0)
	s_barrier
	ds_read_u16 v4, v2
	ds_read_u16 v6, v2 offset:512
	ds_read_u16 v7, v2 offset:1024
	;; [unrolled: 1-line block ×23, first 2 shown]
	v_lshl_add_u64 v[2:3], s[2:3], 0, v[22:23]
	s_movk_i32 s4, 0x1000
	s_waitcnt lgkmcnt(0)
	flat_store_short v[2:3], v4
	flat_store_short v[2:3], v6 offset:512
	flat_store_short v[2:3], v7 offset:1024
	;; [unrolled: 1-line block ×7, first 2 shown]
	v_add_co_u32_e32 v6, vcc, s4, v2
	s_or_b64 s[0:1], s[0:1], exec
	s_nop 0
	v_addc_co_u32_e32 v7, vcc, 0, v3, vcc
	v_add_co_u32_e32 v2, vcc, 0x2000, v2
	flat_store_short v[6:7], v13
	flat_store_short v[6:7], v14 offset:512
	flat_store_short v[6:7], v15 offset:1024
	;; [unrolled: 1-line block ×7, first 2 shown]
	v_addc_co_u32_e32 v3, vcc, 0, v3, vcc
	flat_store_short v[2:3], v21
	flat_store_short v[2:3], v24 offset:512
	flat_store_short v[2:3], v25 offset:1024
	;; [unrolled: 1-line block ×6, first 2 shown]
.LBB841_303:
	s_and_saveexec_b64 s[4:5], s[0:1]
	s_cbranch_execz .LBB841_305
; %bb.304:
	v_lshl_add_u64 v[0:1], v[0:1], 1, s[2:3]
	v_add_co_u32_e32 v0, vcc, 0x2000, v0
	s_nop 1
	v_addc_co_u32_e32 v1, vcc, 0, v1, vcc
	flat_store_short v[0:1], v5 offset:3584
	s_endpgm
.LBB841_305:
	s_endpgm
	.section	.rodata,"a",@progbits
	.p2align	6, 0x0
	.amdhsa_kernel _ZN7rocprim17ROCPRIM_400000_NS6detail17trampoline_kernelINS0_14default_configENS1_27scan_by_key_config_selectorIssEEZZNS1_16scan_by_key_implILNS1_25lookback_scan_determinismE0ELb0ES3_N6thrust23THRUST_200600_302600_NS6detail15normal_iteratorINS9_10device_ptrIsEEEESE_SE_sNS9_4plusIsEE19head_flag_predicatesEE10hipError_tPvRmT2_T3_T4_T5_mT6_T7_P12ihipStream_tbENKUlT_T0_E_clISt17integral_constantIbLb1EESX_IbLb0EEEEDaST_SU_EUlST_E_NS1_11comp_targetILNS1_3genE5ELNS1_11target_archE942ELNS1_3gpuE9ELNS1_3repE0EEENS1_30default_config_static_selectorELNS0_4arch9wavefront6targetE1EEEvT1_
		.amdhsa_group_segment_fixed_size 13312
		.amdhsa_private_segment_fixed_size 0
		.amdhsa_kernarg_size 112
		.amdhsa_user_sgpr_count 2
		.amdhsa_user_sgpr_dispatch_ptr 0
		.amdhsa_user_sgpr_queue_ptr 0
		.amdhsa_user_sgpr_kernarg_segment_ptr 1
		.amdhsa_user_sgpr_dispatch_id 0
		.amdhsa_user_sgpr_kernarg_preload_length 0
		.amdhsa_user_sgpr_kernarg_preload_offset 0
		.amdhsa_user_sgpr_private_segment_size 0
		.amdhsa_uses_dynamic_stack 0
		.amdhsa_enable_private_segment 0
		.amdhsa_system_sgpr_workgroup_id_x 1
		.amdhsa_system_sgpr_workgroup_id_y 0
		.amdhsa_system_sgpr_workgroup_id_z 0
		.amdhsa_system_sgpr_workgroup_info 0
		.amdhsa_system_vgpr_workitem_id 0
		.amdhsa_next_free_vgpr 63
		.amdhsa_next_free_sgpr 84
		.amdhsa_accum_offset 64
		.amdhsa_reserve_vcc 1
		.amdhsa_float_round_mode_32 0
		.amdhsa_float_round_mode_16_64 0
		.amdhsa_float_denorm_mode_32 3
		.amdhsa_float_denorm_mode_16_64 3
		.amdhsa_dx10_clamp 1
		.amdhsa_ieee_mode 1
		.amdhsa_fp16_overflow 0
		.amdhsa_tg_split 0
		.amdhsa_exception_fp_ieee_invalid_op 0
		.amdhsa_exception_fp_denorm_src 0
		.amdhsa_exception_fp_ieee_div_zero 0
		.amdhsa_exception_fp_ieee_overflow 0
		.amdhsa_exception_fp_ieee_underflow 0
		.amdhsa_exception_fp_ieee_inexact 0
		.amdhsa_exception_int_div_zero 0
	.end_amdhsa_kernel
	.section	.text._ZN7rocprim17ROCPRIM_400000_NS6detail17trampoline_kernelINS0_14default_configENS1_27scan_by_key_config_selectorIssEEZZNS1_16scan_by_key_implILNS1_25lookback_scan_determinismE0ELb0ES3_N6thrust23THRUST_200600_302600_NS6detail15normal_iteratorINS9_10device_ptrIsEEEESE_SE_sNS9_4plusIsEE19head_flag_predicatesEE10hipError_tPvRmT2_T3_T4_T5_mT6_T7_P12ihipStream_tbENKUlT_T0_E_clISt17integral_constantIbLb1EESX_IbLb0EEEEDaST_SU_EUlST_E_NS1_11comp_targetILNS1_3genE5ELNS1_11target_archE942ELNS1_3gpuE9ELNS1_3repE0EEENS1_30default_config_static_selectorELNS0_4arch9wavefront6targetE1EEEvT1_,"axG",@progbits,_ZN7rocprim17ROCPRIM_400000_NS6detail17trampoline_kernelINS0_14default_configENS1_27scan_by_key_config_selectorIssEEZZNS1_16scan_by_key_implILNS1_25lookback_scan_determinismE0ELb0ES3_N6thrust23THRUST_200600_302600_NS6detail15normal_iteratorINS9_10device_ptrIsEEEESE_SE_sNS9_4plusIsEE19head_flag_predicatesEE10hipError_tPvRmT2_T3_T4_T5_mT6_T7_P12ihipStream_tbENKUlT_T0_E_clISt17integral_constantIbLb1EESX_IbLb0EEEEDaST_SU_EUlST_E_NS1_11comp_targetILNS1_3genE5ELNS1_11target_archE942ELNS1_3gpuE9ELNS1_3repE0EEENS1_30default_config_static_selectorELNS0_4arch9wavefront6targetE1EEEvT1_,comdat
.Lfunc_end841:
	.size	_ZN7rocprim17ROCPRIM_400000_NS6detail17trampoline_kernelINS0_14default_configENS1_27scan_by_key_config_selectorIssEEZZNS1_16scan_by_key_implILNS1_25lookback_scan_determinismE0ELb0ES3_N6thrust23THRUST_200600_302600_NS6detail15normal_iteratorINS9_10device_ptrIsEEEESE_SE_sNS9_4plusIsEE19head_flag_predicatesEE10hipError_tPvRmT2_T3_T4_T5_mT6_T7_P12ihipStream_tbENKUlT_T0_E_clISt17integral_constantIbLb1EESX_IbLb0EEEEDaST_SU_EUlST_E_NS1_11comp_targetILNS1_3genE5ELNS1_11target_archE942ELNS1_3gpuE9ELNS1_3repE0EEENS1_30default_config_static_selectorELNS0_4arch9wavefront6targetE1EEEvT1_, .Lfunc_end841-_ZN7rocprim17ROCPRIM_400000_NS6detail17trampoline_kernelINS0_14default_configENS1_27scan_by_key_config_selectorIssEEZZNS1_16scan_by_key_implILNS1_25lookback_scan_determinismE0ELb0ES3_N6thrust23THRUST_200600_302600_NS6detail15normal_iteratorINS9_10device_ptrIsEEEESE_SE_sNS9_4plusIsEE19head_flag_predicatesEE10hipError_tPvRmT2_T3_T4_T5_mT6_T7_P12ihipStream_tbENKUlT_T0_E_clISt17integral_constantIbLb1EESX_IbLb0EEEEDaST_SU_EUlST_E_NS1_11comp_targetILNS1_3genE5ELNS1_11target_archE942ELNS1_3gpuE9ELNS1_3repE0EEENS1_30default_config_static_selectorELNS0_4arch9wavefront6targetE1EEEvT1_
                                        ; -- End function
	.section	.AMDGPU.csdata,"",@progbits
; Kernel info:
; codeLenInByte = 15756
; NumSgprs: 90
; NumVgprs: 63
; NumAgprs: 0
; TotalNumVgprs: 63
; ScratchSize: 0
; MemoryBound: 0
; FloatMode: 240
; IeeeMode: 1
; LDSByteSize: 13312 bytes/workgroup (compile time only)
; SGPRBlocks: 11
; VGPRBlocks: 7
; NumSGPRsForWavesPerEU: 90
; NumVGPRsForWavesPerEU: 63
; AccumOffset: 64
; Occupancy: 4
; WaveLimiterHint : 1
; COMPUTE_PGM_RSRC2:SCRATCH_EN: 0
; COMPUTE_PGM_RSRC2:USER_SGPR: 2
; COMPUTE_PGM_RSRC2:TRAP_HANDLER: 0
; COMPUTE_PGM_RSRC2:TGID_X_EN: 1
; COMPUTE_PGM_RSRC2:TGID_Y_EN: 0
; COMPUTE_PGM_RSRC2:TGID_Z_EN: 0
; COMPUTE_PGM_RSRC2:TIDIG_COMP_CNT: 0
; COMPUTE_PGM_RSRC3_GFX90A:ACCUM_OFFSET: 15
; COMPUTE_PGM_RSRC3_GFX90A:TG_SPLIT: 0
	.section	.text._ZN7rocprim17ROCPRIM_400000_NS6detail17trampoline_kernelINS0_14default_configENS1_27scan_by_key_config_selectorIssEEZZNS1_16scan_by_key_implILNS1_25lookback_scan_determinismE0ELb0ES3_N6thrust23THRUST_200600_302600_NS6detail15normal_iteratorINS9_10device_ptrIsEEEESE_SE_sNS9_4plusIsEE19head_flag_predicatesEE10hipError_tPvRmT2_T3_T4_T5_mT6_T7_P12ihipStream_tbENKUlT_T0_E_clISt17integral_constantIbLb1EESX_IbLb0EEEEDaST_SU_EUlST_E_NS1_11comp_targetILNS1_3genE4ELNS1_11target_archE910ELNS1_3gpuE8ELNS1_3repE0EEENS1_30default_config_static_selectorELNS0_4arch9wavefront6targetE1EEEvT1_,"axG",@progbits,_ZN7rocprim17ROCPRIM_400000_NS6detail17trampoline_kernelINS0_14default_configENS1_27scan_by_key_config_selectorIssEEZZNS1_16scan_by_key_implILNS1_25lookback_scan_determinismE0ELb0ES3_N6thrust23THRUST_200600_302600_NS6detail15normal_iteratorINS9_10device_ptrIsEEEESE_SE_sNS9_4plusIsEE19head_flag_predicatesEE10hipError_tPvRmT2_T3_T4_T5_mT6_T7_P12ihipStream_tbENKUlT_T0_E_clISt17integral_constantIbLb1EESX_IbLb0EEEEDaST_SU_EUlST_E_NS1_11comp_targetILNS1_3genE4ELNS1_11target_archE910ELNS1_3gpuE8ELNS1_3repE0EEENS1_30default_config_static_selectorELNS0_4arch9wavefront6targetE1EEEvT1_,comdat
	.protected	_ZN7rocprim17ROCPRIM_400000_NS6detail17trampoline_kernelINS0_14default_configENS1_27scan_by_key_config_selectorIssEEZZNS1_16scan_by_key_implILNS1_25lookback_scan_determinismE0ELb0ES3_N6thrust23THRUST_200600_302600_NS6detail15normal_iteratorINS9_10device_ptrIsEEEESE_SE_sNS9_4plusIsEE19head_flag_predicatesEE10hipError_tPvRmT2_T3_T4_T5_mT6_T7_P12ihipStream_tbENKUlT_T0_E_clISt17integral_constantIbLb1EESX_IbLb0EEEEDaST_SU_EUlST_E_NS1_11comp_targetILNS1_3genE4ELNS1_11target_archE910ELNS1_3gpuE8ELNS1_3repE0EEENS1_30default_config_static_selectorELNS0_4arch9wavefront6targetE1EEEvT1_ ; -- Begin function _ZN7rocprim17ROCPRIM_400000_NS6detail17trampoline_kernelINS0_14default_configENS1_27scan_by_key_config_selectorIssEEZZNS1_16scan_by_key_implILNS1_25lookback_scan_determinismE0ELb0ES3_N6thrust23THRUST_200600_302600_NS6detail15normal_iteratorINS9_10device_ptrIsEEEESE_SE_sNS9_4plusIsEE19head_flag_predicatesEE10hipError_tPvRmT2_T3_T4_T5_mT6_T7_P12ihipStream_tbENKUlT_T0_E_clISt17integral_constantIbLb1EESX_IbLb0EEEEDaST_SU_EUlST_E_NS1_11comp_targetILNS1_3genE4ELNS1_11target_archE910ELNS1_3gpuE8ELNS1_3repE0EEENS1_30default_config_static_selectorELNS0_4arch9wavefront6targetE1EEEvT1_
	.globl	_ZN7rocprim17ROCPRIM_400000_NS6detail17trampoline_kernelINS0_14default_configENS1_27scan_by_key_config_selectorIssEEZZNS1_16scan_by_key_implILNS1_25lookback_scan_determinismE0ELb0ES3_N6thrust23THRUST_200600_302600_NS6detail15normal_iteratorINS9_10device_ptrIsEEEESE_SE_sNS9_4plusIsEE19head_flag_predicatesEE10hipError_tPvRmT2_T3_T4_T5_mT6_T7_P12ihipStream_tbENKUlT_T0_E_clISt17integral_constantIbLb1EESX_IbLb0EEEEDaST_SU_EUlST_E_NS1_11comp_targetILNS1_3genE4ELNS1_11target_archE910ELNS1_3gpuE8ELNS1_3repE0EEENS1_30default_config_static_selectorELNS0_4arch9wavefront6targetE1EEEvT1_
	.p2align	8
	.type	_ZN7rocprim17ROCPRIM_400000_NS6detail17trampoline_kernelINS0_14default_configENS1_27scan_by_key_config_selectorIssEEZZNS1_16scan_by_key_implILNS1_25lookback_scan_determinismE0ELb0ES3_N6thrust23THRUST_200600_302600_NS6detail15normal_iteratorINS9_10device_ptrIsEEEESE_SE_sNS9_4plusIsEE19head_flag_predicatesEE10hipError_tPvRmT2_T3_T4_T5_mT6_T7_P12ihipStream_tbENKUlT_T0_E_clISt17integral_constantIbLb1EESX_IbLb0EEEEDaST_SU_EUlST_E_NS1_11comp_targetILNS1_3genE4ELNS1_11target_archE910ELNS1_3gpuE8ELNS1_3repE0EEENS1_30default_config_static_selectorELNS0_4arch9wavefront6targetE1EEEvT1_,@function
_ZN7rocprim17ROCPRIM_400000_NS6detail17trampoline_kernelINS0_14default_configENS1_27scan_by_key_config_selectorIssEEZZNS1_16scan_by_key_implILNS1_25lookback_scan_determinismE0ELb0ES3_N6thrust23THRUST_200600_302600_NS6detail15normal_iteratorINS9_10device_ptrIsEEEESE_SE_sNS9_4plusIsEE19head_flag_predicatesEE10hipError_tPvRmT2_T3_T4_T5_mT6_T7_P12ihipStream_tbENKUlT_T0_E_clISt17integral_constantIbLb1EESX_IbLb0EEEEDaST_SU_EUlST_E_NS1_11comp_targetILNS1_3genE4ELNS1_11target_archE910ELNS1_3gpuE8ELNS1_3repE0EEENS1_30default_config_static_selectorELNS0_4arch9wavefront6targetE1EEEvT1_: ; @_ZN7rocprim17ROCPRIM_400000_NS6detail17trampoline_kernelINS0_14default_configENS1_27scan_by_key_config_selectorIssEEZZNS1_16scan_by_key_implILNS1_25lookback_scan_determinismE0ELb0ES3_N6thrust23THRUST_200600_302600_NS6detail15normal_iteratorINS9_10device_ptrIsEEEESE_SE_sNS9_4plusIsEE19head_flag_predicatesEE10hipError_tPvRmT2_T3_T4_T5_mT6_T7_P12ihipStream_tbENKUlT_T0_E_clISt17integral_constantIbLb1EESX_IbLb0EEEEDaST_SU_EUlST_E_NS1_11comp_targetILNS1_3genE4ELNS1_11target_archE910ELNS1_3gpuE8ELNS1_3repE0EEENS1_30default_config_static_selectorELNS0_4arch9wavefront6targetE1EEEvT1_
; %bb.0:
	.section	.rodata,"a",@progbits
	.p2align	6, 0x0
	.amdhsa_kernel _ZN7rocprim17ROCPRIM_400000_NS6detail17trampoline_kernelINS0_14default_configENS1_27scan_by_key_config_selectorIssEEZZNS1_16scan_by_key_implILNS1_25lookback_scan_determinismE0ELb0ES3_N6thrust23THRUST_200600_302600_NS6detail15normal_iteratorINS9_10device_ptrIsEEEESE_SE_sNS9_4plusIsEE19head_flag_predicatesEE10hipError_tPvRmT2_T3_T4_T5_mT6_T7_P12ihipStream_tbENKUlT_T0_E_clISt17integral_constantIbLb1EESX_IbLb0EEEEDaST_SU_EUlST_E_NS1_11comp_targetILNS1_3genE4ELNS1_11target_archE910ELNS1_3gpuE8ELNS1_3repE0EEENS1_30default_config_static_selectorELNS0_4arch9wavefront6targetE1EEEvT1_
		.amdhsa_group_segment_fixed_size 0
		.amdhsa_private_segment_fixed_size 0
		.amdhsa_kernarg_size 112
		.amdhsa_user_sgpr_count 2
		.amdhsa_user_sgpr_dispatch_ptr 0
		.amdhsa_user_sgpr_queue_ptr 0
		.amdhsa_user_sgpr_kernarg_segment_ptr 1
		.amdhsa_user_sgpr_dispatch_id 0
		.amdhsa_user_sgpr_kernarg_preload_length 0
		.amdhsa_user_sgpr_kernarg_preload_offset 0
		.amdhsa_user_sgpr_private_segment_size 0
		.amdhsa_uses_dynamic_stack 0
		.amdhsa_enable_private_segment 0
		.amdhsa_system_sgpr_workgroup_id_x 1
		.amdhsa_system_sgpr_workgroup_id_y 0
		.amdhsa_system_sgpr_workgroup_id_z 0
		.amdhsa_system_sgpr_workgroup_info 0
		.amdhsa_system_vgpr_workitem_id 0
		.amdhsa_next_free_vgpr 1
		.amdhsa_next_free_sgpr 0
		.amdhsa_accum_offset 4
		.amdhsa_reserve_vcc 0
		.amdhsa_float_round_mode_32 0
		.amdhsa_float_round_mode_16_64 0
		.amdhsa_float_denorm_mode_32 3
		.amdhsa_float_denorm_mode_16_64 3
		.amdhsa_dx10_clamp 1
		.amdhsa_ieee_mode 1
		.amdhsa_fp16_overflow 0
		.amdhsa_tg_split 0
		.amdhsa_exception_fp_ieee_invalid_op 0
		.amdhsa_exception_fp_denorm_src 0
		.amdhsa_exception_fp_ieee_div_zero 0
		.amdhsa_exception_fp_ieee_overflow 0
		.amdhsa_exception_fp_ieee_underflow 0
		.amdhsa_exception_fp_ieee_inexact 0
		.amdhsa_exception_int_div_zero 0
	.end_amdhsa_kernel
	.section	.text._ZN7rocprim17ROCPRIM_400000_NS6detail17trampoline_kernelINS0_14default_configENS1_27scan_by_key_config_selectorIssEEZZNS1_16scan_by_key_implILNS1_25lookback_scan_determinismE0ELb0ES3_N6thrust23THRUST_200600_302600_NS6detail15normal_iteratorINS9_10device_ptrIsEEEESE_SE_sNS9_4plusIsEE19head_flag_predicatesEE10hipError_tPvRmT2_T3_T4_T5_mT6_T7_P12ihipStream_tbENKUlT_T0_E_clISt17integral_constantIbLb1EESX_IbLb0EEEEDaST_SU_EUlST_E_NS1_11comp_targetILNS1_3genE4ELNS1_11target_archE910ELNS1_3gpuE8ELNS1_3repE0EEENS1_30default_config_static_selectorELNS0_4arch9wavefront6targetE1EEEvT1_,"axG",@progbits,_ZN7rocprim17ROCPRIM_400000_NS6detail17trampoline_kernelINS0_14default_configENS1_27scan_by_key_config_selectorIssEEZZNS1_16scan_by_key_implILNS1_25lookback_scan_determinismE0ELb0ES3_N6thrust23THRUST_200600_302600_NS6detail15normal_iteratorINS9_10device_ptrIsEEEESE_SE_sNS9_4plusIsEE19head_flag_predicatesEE10hipError_tPvRmT2_T3_T4_T5_mT6_T7_P12ihipStream_tbENKUlT_T0_E_clISt17integral_constantIbLb1EESX_IbLb0EEEEDaST_SU_EUlST_E_NS1_11comp_targetILNS1_3genE4ELNS1_11target_archE910ELNS1_3gpuE8ELNS1_3repE0EEENS1_30default_config_static_selectorELNS0_4arch9wavefront6targetE1EEEvT1_,comdat
.Lfunc_end842:
	.size	_ZN7rocprim17ROCPRIM_400000_NS6detail17trampoline_kernelINS0_14default_configENS1_27scan_by_key_config_selectorIssEEZZNS1_16scan_by_key_implILNS1_25lookback_scan_determinismE0ELb0ES3_N6thrust23THRUST_200600_302600_NS6detail15normal_iteratorINS9_10device_ptrIsEEEESE_SE_sNS9_4plusIsEE19head_flag_predicatesEE10hipError_tPvRmT2_T3_T4_T5_mT6_T7_P12ihipStream_tbENKUlT_T0_E_clISt17integral_constantIbLb1EESX_IbLb0EEEEDaST_SU_EUlST_E_NS1_11comp_targetILNS1_3genE4ELNS1_11target_archE910ELNS1_3gpuE8ELNS1_3repE0EEENS1_30default_config_static_selectorELNS0_4arch9wavefront6targetE1EEEvT1_, .Lfunc_end842-_ZN7rocprim17ROCPRIM_400000_NS6detail17trampoline_kernelINS0_14default_configENS1_27scan_by_key_config_selectorIssEEZZNS1_16scan_by_key_implILNS1_25lookback_scan_determinismE0ELb0ES3_N6thrust23THRUST_200600_302600_NS6detail15normal_iteratorINS9_10device_ptrIsEEEESE_SE_sNS9_4plusIsEE19head_flag_predicatesEE10hipError_tPvRmT2_T3_T4_T5_mT6_T7_P12ihipStream_tbENKUlT_T0_E_clISt17integral_constantIbLb1EESX_IbLb0EEEEDaST_SU_EUlST_E_NS1_11comp_targetILNS1_3genE4ELNS1_11target_archE910ELNS1_3gpuE8ELNS1_3repE0EEENS1_30default_config_static_selectorELNS0_4arch9wavefront6targetE1EEEvT1_
                                        ; -- End function
	.section	.AMDGPU.csdata,"",@progbits
; Kernel info:
; codeLenInByte = 0
; NumSgprs: 6
; NumVgprs: 0
; NumAgprs: 0
; TotalNumVgprs: 0
; ScratchSize: 0
; MemoryBound: 0
; FloatMode: 240
; IeeeMode: 1
; LDSByteSize: 0 bytes/workgroup (compile time only)
; SGPRBlocks: 0
; VGPRBlocks: 0
; NumSGPRsForWavesPerEU: 6
; NumVGPRsForWavesPerEU: 1
; AccumOffset: 4
; Occupancy: 8
; WaveLimiterHint : 0
; COMPUTE_PGM_RSRC2:SCRATCH_EN: 0
; COMPUTE_PGM_RSRC2:USER_SGPR: 2
; COMPUTE_PGM_RSRC2:TRAP_HANDLER: 0
; COMPUTE_PGM_RSRC2:TGID_X_EN: 1
; COMPUTE_PGM_RSRC2:TGID_Y_EN: 0
; COMPUTE_PGM_RSRC2:TGID_Z_EN: 0
; COMPUTE_PGM_RSRC2:TIDIG_COMP_CNT: 0
; COMPUTE_PGM_RSRC3_GFX90A:ACCUM_OFFSET: 0
; COMPUTE_PGM_RSRC3_GFX90A:TG_SPLIT: 0
	.section	.text._ZN7rocprim17ROCPRIM_400000_NS6detail17trampoline_kernelINS0_14default_configENS1_27scan_by_key_config_selectorIssEEZZNS1_16scan_by_key_implILNS1_25lookback_scan_determinismE0ELb0ES3_N6thrust23THRUST_200600_302600_NS6detail15normal_iteratorINS9_10device_ptrIsEEEESE_SE_sNS9_4plusIsEE19head_flag_predicatesEE10hipError_tPvRmT2_T3_T4_T5_mT6_T7_P12ihipStream_tbENKUlT_T0_E_clISt17integral_constantIbLb1EESX_IbLb0EEEEDaST_SU_EUlST_E_NS1_11comp_targetILNS1_3genE3ELNS1_11target_archE908ELNS1_3gpuE7ELNS1_3repE0EEENS1_30default_config_static_selectorELNS0_4arch9wavefront6targetE1EEEvT1_,"axG",@progbits,_ZN7rocprim17ROCPRIM_400000_NS6detail17trampoline_kernelINS0_14default_configENS1_27scan_by_key_config_selectorIssEEZZNS1_16scan_by_key_implILNS1_25lookback_scan_determinismE0ELb0ES3_N6thrust23THRUST_200600_302600_NS6detail15normal_iteratorINS9_10device_ptrIsEEEESE_SE_sNS9_4plusIsEE19head_flag_predicatesEE10hipError_tPvRmT2_T3_T4_T5_mT6_T7_P12ihipStream_tbENKUlT_T0_E_clISt17integral_constantIbLb1EESX_IbLb0EEEEDaST_SU_EUlST_E_NS1_11comp_targetILNS1_3genE3ELNS1_11target_archE908ELNS1_3gpuE7ELNS1_3repE0EEENS1_30default_config_static_selectorELNS0_4arch9wavefront6targetE1EEEvT1_,comdat
	.protected	_ZN7rocprim17ROCPRIM_400000_NS6detail17trampoline_kernelINS0_14default_configENS1_27scan_by_key_config_selectorIssEEZZNS1_16scan_by_key_implILNS1_25lookback_scan_determinismE0ELb0ES3_N6thrust23THRUST_200600_302600_NS6detail15normal_iteratorINS9_10device_ptrIsEEEESE_SE_sNS9_4plusIsEE19head_flag_predicatesEE10hipError_tPvRmT2_T3_T4_T5_mT6_T7_P12ihipStream_tbENKUlT_T0_E_clISt17integral_constantIbLb1EESX_IbLb0EEEEDaST_SU_EUlST_E_NS1_11comp_targetILNS1_3genE3ELNS1_11target_archE908ELNS1_3gpuE7ELNS1_3repE0EEENS1_30default_config_static_selectorELNS0_4arch9wavefront6targetE1EEEvT1_ ; -- Begin function _ZN7rocprim17ROCPRIM_400000_NS6detail17trampoline_kernelINS0_14default_configENS1_27scan_by_key_config_selectorIssEEZZNS1_16scan_by_key_implILNS1_25lookback_scan_determinismE0ELb0ES3_N6thrust23THRUST_200600_302600_NS6detail15normal_iteratorINS9_10device_ptrIsEEEESE_SE_sNS9_4plusIsEE19head_flag_predicatesEE10hipError_tPvRmT2_T3_T4_T5_mT6_T7_P12ihipStream_tbENKUlT_T0_E_clISt17integral_constantIbLb1EESX_IbLb0EEEEDaST_SU_EUlST_E_NS1_11comp_targetILNS1_3genE3ELNS1_11target_archE908ELNS1_3gpuE7ELNS1_3repE0EEENS1_30default_config_static_selectorELNS0_4arch9wavefront6targetE1EEEvT1_
	.globl	_ZN7rocprim17ROCPRIM_400000_NS6detail17trampoline_kernelINS0_14default_configENS1_27scan_by_key_config_selectorIssEEZZNS1_16scan_by_key_implILNS1_25lookback_scan_determinismE0ELb0ES3_N6thrust23THRUST_200600_302600_NS6detail15normal_iteratorINS9_10device_ptrIsEEEESE_SE_sNS9_4plusIsEE19head_flag_predicatesEE10hipError_tPvRmT2_T3_T4_T5_mT6_T7_P12ihipStream_tbENKUlT_T0_E_clISt17integral_constantIbLb1EESX_IbLb0EEEEDaST_SU_EUlST_E_NS1_11comp_targetILNS1_3genE3ELNS1_11target_archE908ELNS1_3gpuE7ELNS1_3repE0EEENS1_30default_config_static_selectorELNS0_4arch9wavefront6targetE1EEEvT1_
	.p2align	8
	.type	_ZN7rocprim17ROCPRIM_400000_NS6detail17trampoline_kernelINS0_14default_configENS1_27scan_by_key_config_selectorIssEEZZNS1_16scan_by_key_implILNS1_25lookback_scan_determinismE0ELb0ES3_N6thrust23THRUST_200600_302600_NS6detail15normal_iteratorINS9_10device_ptrIsEEEESE_SE_sNS9_4plusIsEE19head_flag_predicatesEE10hipError_tPvRmT2_T3_T4_T5_mT6_T7_P12ihipStream_tbENKUlT_T0_E_clISt17integral_constantIbLb1EESX_IbLb0EEEEDaST_SU_EUlST_E_NS1_11comp_targetILNS1_3genE3ELNS1_11target_archE908ELNS1_3gpuE7ELNS1_3repE0EEENS1_30default_config_static_selectorELNS0_4arch9wavefront6targetE1EEEvT1_,@function
_ZN7rocprim17ROCPRIM_400000_NS6detail17trampoline_kernelINS0_14default_configENS1_27scan_by_key_config_selectorIssEEZZNS1_16scan_by_key_implILNS1_25lookback_scan_determinismE0ELb0ES3_N6thrust23THRUST_200600_302600_NS6detail15normal_iteratorINS9_10device_ptrIsEEEESE_SE_sNS9_4plusIsEE19head_flag_predicatesEE10hipError_tPvRmT2_T3_T4_T5_mT6_T7_P12ihipStream_tbENKUlT_T0_E_clISt17integral_constantIbLb1EESX_IbLb0EEEEDaST_SU_EUlST_E_NS1_11comp_targetILNS1_3genE3ELNS1_11target_archE908ELNS1_3gpuE7ELNS1_3repE0EEENS1_30default_config_static_selectorELNS0_4arch9wavefront6targetE1EEEvT1_: ; @_ZN7rocprim17ROCPRIM_400000_NS6detail17trampoline_kernelINS0_14default_configENS1_27scan_by_key_config_selectorIssEEZZNS1_16scan_by_key_implILNS1_25lookback_scan_determinismE0ELb0ES3_N6thrust23THRUST_200600_302600_NS6detail15normal_iteratorINS9_10device_ptrIsEEEESE_SE_sNS9_4plusIsEE19head_flag_predicatesEE10hipError_tPvRmT2_T3_T4_T5_mT6_T7_P12ihipStream_tbENKUlT_T0_E_clISt17integral_constantIbLb1EESX_IbLb0EEEEDaST_SU_EUlST_E_NS1_11comp_targetILNS1_3genE3ELNS1_11target_archE908ELNS1_3gpuE7ELNS1_3repE0EEENS1_30default_config_static_selectorELNS0_4arch9wavefront6targetE1EEEvT1_
; %bb.0:
	.section	.rodata,"a",@progbits
	.p2align	6, 0x0
	.amdhsa_kernel _ZN7rocprim17ROCPRIM_400000_NS6detail17trampoline_kernelINS0_14default_configENS1_27scan_by_key_config_selectorIssEEZZNS1_16scan_by_key_implILNS1_25lookback_scan_determinismE0ELb0ES3_N6thrust23THRUST_200600_302600_NS6detail15normal_iteratorINS9_10device_ptrIsEEEESE_SE_sNS9_4plusIsEE19head_flag_predicatesEE10hipError_tPvRmT2_T3_T4_T5_mT6_T7_P12ihipStream_tbENKUlT_T0_E_clISt17integral_constantIbLb1EESX_IbLb0EEEEDaST_SU_EUlST_E_NS1_11comp_targetILNS1_3genE3ELNS1_11target_archE908ELNS1_3gpuE7ELNS1_3repE0EEENS1_30default_config_static_selectorELNS0_4arch9wavefront6targetE1EEEvT1_
		.amdhsa_group_segment_fixed_size 0
		.amdhsa_private_segment_fixed_size 0
		.amdhsa_kernarg_size 112
		.amdhsa_user_sgpr_count 2
		.amdhsa_user_sgpr_dispatch_ptr 0
		.amdhsa_user_sgpr_queue_ptr 0
		.amdhsa_user_sgpr_kernarg_segment_ptr 1
		.amdhsa_user_sgpr_dispatch_id 0
		.amdhsa_user_sgpr_kernarg_preload_length 0
		.amdhsa_user_sgpr_kernarg_preload_offset 0
		.amdhsa_user_sgpr_private_segment_size 0
		.amdhsa_uses_dynamic_stack 0
		.amdhsa_enable_private_segment 0
		.amdhsa_system_sgpr_workgroup_id_x 1
		.amdhsa_system_sgpr_workgroup_id_y 0
		.amdhsa_system_sgpr_workgroup_id_z 0
		.amdhsa_system_sgpr_workgroup_info 0
		.amdhsa_system_vgpr_workitem_id 0
		.amdhsa_next_free_vgpr 1
		.amdhsa_next_free_sgpr 0
		.amdhsa_accum_offset 4
		.amdhsa_reserve_vcc 0
		.amdhsa_float_round_mode_32 0
		.amdhsa_float_round_mode_16_64 0
		.amdhsa_float_denorm_mode_32 3
		.amdhsa_float_denorm_mode_16_64 3
		.amdhsa_dx10_clamp 1
		.amdhsa_ieee_mode 1
		.amdhsa_fp16_overflow 0
		.amdhsa_tg_split 0
		.amdhsa_exception_fp_ieee_invalid_op 0
		.amdhsa_exception_fp_denorm_src 0
		.amdhsa_exception_fp_ieee_div_zero 0
		.amdhsa_exception_fp_ieee_overflow 0
		.amdhsa_exception_fp_ieee_underflow 0
		.amdhsa_exception_fp_ieee_inexact 0
		.amdhsa_exception_int_div_zero 0
	.end_amdhsa_kernel
	.section	.text._ZN7rocprim17ROCPRIM_400000_NS6detail17trampoline_kernelINS0_14default_configENS1_27scan_by_key_config_selectorIssEEZZNS1_16scan_by_key_implILNS1_25lookback_scan_determinismE0ELb0ES3_N6thrust23THRUST_200600_302600_NS6detail15normal_iteratorINS9_10device_ptrIsEEEESE_SE_sNS9_4plusIsEE19head_flag_predicatesEE10hipError_tPvRmT2_T3_T4_T5_mT6_T7_P12ihipStream_tbENKUlT_T0_E_clISt17integral_constantIbLb1EESX_IbLb0EEEEDaST_SU_EUlST_E_NS1_11comp_targetILNS1_3genE3ELNS1_11target_archE908ELNS1_3gpuE7ELNS1_3repE0EEENS1_30default_config_static_selectorELNS0_4arch9wavefront6targetE1EEEvT1_,"axG",@progbits,_ZN7rocprim17ROCPRIM_400000_NS6detail17trampoline_kernelINS0_14default_configENS1_27scan_by_key_config_selectorIssEEZZNS1_16scan_by_key_implILNS1_25lookback_scan_determinismE0ELb0ES3_N6thrust23THRUST_200600_302600_NS6detail15normal_iteratorINS9_10device_ptrIsEEEESE_SE_sNS9_4plusIsEE19head_flag_predicatesEE10hipError_tPvRmT2_T3_T4_T5_mT6_T7_P12ihipStream_tbENKUlT_T0_E_clISt17integral_constantIbLb1EESX_IbLb0EEEEDaST_SU_EUlST_E_NS1_11comp_targetILNS1_3genE3ELNS1_11target_archE908ELNS1_3gpuE7ELNS1_3repE0EEENS1_30default_config_static_selectorELNS0_4arch9wavefront6targetE1EEEvT1_,comdat
.Lfunc_end843:
	.size	_ZN7rocprim17ROCPRIM_400000_NS6detail17trampoline_kernelINS0_14default_configENS1_27scan_by_key_config_selectorIssEEZZNS1_16scan_by_key_implILNS1_25lookback_scan_determinismE0ELb0ES3_N6thrust23THRUST_200600_302600_NS6detail15normal_iteratorINS9_10device_ptrIsEEEESE_SE_sNS9_4plusIsEE19head_flag_predicatesEE10hipError_tPvRmT2_T3_T4_T5_mT6_T7_P12ihipStream_tbENKUlT_T0_E_clISt17integral_constantIbLb1EESX_IbLb0EEEEDaST_SU_EUlST_E_NS1_11comp_targetILNS1_3genE3ELNS1_11target_archE908ELNS1_3gpuE7ELNS1_3repE0EEENS1_30default_config_static_selectorELNS0_4arch9wavefront6targetE1EEEvT1_, .Lfunc_end843-_ZN7rocprim17ROCPRIM_400000_NS6detail17trampoline_kernelINS0_14default_configENS1_27scan_by_key_config_selectorIssEEZZNS1_16scan_by_key_implILNS1_25lookback_scan_determinismE0ELb0ES3_N6thrust23THRUST_200600_302600_NS6detail15normal_iteratorINS9_10device_ptrIsEEEESE_SE_sNS9_4plusIsEE19head_flag_predicatesEE10hipError_tPvRmT2_T3_T4_T5_mT6_T7_P12ihipStream_tbENKUlT_T0_E_clISt17integral_constantIbLb1EESX_IbLb0EEEEDaST_SU_EUlST_E_NS1_11comp_targetILNS1_3genE3ELNS1_11target_archE908ELNS1_3gpuE7ELNS1_3repE0EEENS1_30default_config_static_selectorELNS0_4arch9wavefront6targetE1EEEvT1_
                                        ; -- End function
	.section	.AMDGPU.csdata,"",@progbits
; Kernel info:
; codeLenInByte = 0
; NumSgprs: 6
; NumVgprs: 0
; NumAgprs: 0
; TotalNumVgprs: 0
; ScratchSize: 0
; MemoryBound: 0
; FloatMode: 240
; IeeeMode: 1
; LDSByteSize: 0 bytes/workgroup (compile time only)
; SGPRBlocks: 0
; VGPRBlocks: 0
; NumSGPRsForWavesPerEU: 6
; NumVGPRsForWavesPerEU: 1
; AccumOffset: 4
; Occupancy: 8
; WaveLimiterHint : 0
; COMPUTE_PGM_RSRC2:SCRATCH_EN: 0
; COMPUTE_PGM_RSRC2:USER_SGPR: 2
; COMPUTE_PGM_RSRC2:TRAP_HANDLER: 0
; COMPUTE_PGM_RSRC2:TGID_X_EN: 1
; COMPUTE_PGM_RSRC2:TGID_Y_EN: 0
; COMPUTE_PGM_RSRC2:TGID_Z_EN: 0
; COMPUTE_PGM_RSRC2:TIDIG_COMP_CNT: 0
; COMPUTE_PGM_RSRC3_GFX90A:ACCUM_OFFSET: 0
; COMPUTE_PGM_RSRC3_GFX90A:TG_SPLIT: 0
	.section	.text._ZN7rocprim17ROCPRIM_400000_NS6detail17trampoline_kernelINS0_14default_configENS1_27scan_by_key_config_selectorIssEEZZNS1_16scan_by_key_implILNS1_25lookback_scan_determinismE0ELb0ES3_N6thrust23THRUST_200600_302600_NS6detail15normal_iteratorINS9_10device_ptrIsEEEESE_SE_sNS9_4plusIsEE19head_flag_predicatesEE10hipError_tPvRmT2_T3_T4_T5_mT6_T7_P12ihipStream_tbENKUlT_T0_E_clISt17integral_constantIbLb1EESX_IbLb0EEEEDaST_SU_EUlST_E_NS1_11comp_targetILNS1_3genE2ELNS1_11target_archE906ELNS1_3gpuE6ELNS1_3repE0EEENS1_30default_config_static_selectorELNS0_4arch9wavefront6targetE1EEEvT1_,"axG",@progbits,_ZN7rocprim17ROCPRIM_400000_NS6detail17trampoline_kernelINS0_14default_configENS1_27scan_by_key_config_selectorIssEEZZNS1_16scan_by_key_implILNS1_25lookback_scan_determinismE0ELb0ES3_N6thrust23THRUST_200600_302600_NS6detail15normal_iteratorINS9_10device_ptrIsEEEESE_SE_sNS9_4plusIsEE19head_flag_predicatesEE10hipError_tPvRmT2_T3_T4_T5_mT6_T7_P12ihipStream_tbENKUlT_T0_E_clISt17integral_constantIbLb1EESX_IbLb0EEEEDaST_SU_EUlST_E_NS1_11comp_targetILNS1_3genE2ELNS1_11target_archE906ELNS1_3gpuE6ELNS1_3repE0EEENS1_30default_config_static_selectorELNS0_4arch9wavefront6targetE1EEEvT1_,comdat
	.protected	_ZN7rocprim17ROCPRIM_400000_NS6detail17trampoline_kernelINS0_14default_configENS1_27scan_by_key_config_selectorIssEEZZNS1_16scan_by_key_implILNS1_25lookback_scan_determinismE0ELb0ES3_N6thrust23THRUST_200600_302600_NS6detail15normal_iteratorINS9_10device_ptrIsEEEESE_SE_sNS9_4plusIsEE19head_flag_predicatesEE10hipError_tPvRmT2_T3_T4_T5_mT6_T7_P12ihipStream_tbENKUlT_T0_E_clISt17integral_constantIbLb1EESX_IbLb0EEEEDaST_SU_EUlST_E_NS1_11comp_targetILNS1_3genE2ELNS1_11target_archE906ELNS1_3gpuE6ELNS1_3repE0EEENS1_30default_config_static_selectorELNS0_4arch9wavefront6targetE1EEEvT1_ ; -- Begin function _ZN7rocprim17ROCPRIM_400000_NS6detail17trampoline_kernelINS0_14default_configENS1_27scan_by_key_config_selectorIssEEZZNS1_16scan_by_key_implILNS1_25lookback_scan_determinismE0ELb0ES3_N6thrust23THRUST_200600_302600_NS6detail15normal_iteratorINS9_10device_ptrIsEEEESE_SE_sNS9_4plusIsEE19head_flag_predicatesEE10hipError_tPvRmT2_T3_T4_T5_mT6_T7_P12ihipStream_tbENKUlT_T0_E_clISt17integral_constantIbLb1EESX_IbLb0EEEEDaST_SU_EUlST_E_NS1_11comp_targetILNS1_3genE2ELNS1_11target_archE906ELNS1_3gpuE6ELNS1_3repE0EEENS1_30default_config_static_selectorELNS0_4arch9wavefront6targetE1EEEvT1_
	.globl	_ZN7rocprim17ROCPRIM_400000_NS6detail17trampoline_kernelINS0_14default_configENS1_27scan_by_key_config_selectorIssEEZZNS1_16scan_by_key_implILNS1_25lookback_scan_determinismE0ELb0ES3_N6thrust23THRUST_200600_302600_NS6detail15normal_iteratorINS9_10device_ptrIsEEEESE_SE_sNS9_4plusIsEE19head_flag_predicatesEE10hipError_tPvRmT2_T3_T4_T5_mT6_T7_P12ihipStream_tbENKUlT_T0_E_clISt17integral_constantIbLb1EESX_IbLb0EEEEDaST_SU_EUlST_E_NS1_11comp_targetILNS1_3genE2ELNS1_11target_archE906ELNS1_3gpuE6ELNS1_3repE0EEENS1_30default_config_static_selectorELNS0_4arch9wavefront6targetE1EEEvT1_
	.p2align	8
	.type	_ZN7rocprim17ROCPRIM_400000_NS6detail17trampoline_kernelINS0_14default_configENS1_27scan_by_key_config_selectorIssEEZZNS1_16scan_by_key_implILNS1_25lookback_scan_determinismE0ELb0ES3_N6thrust23THRUST_200600_302600_NS6detail15normal_iteratorINS9_10device_ptrIsEEEESE_SE_sNS9_4plusIsEE19head_flag_predicatesEE10hipError_tPvRmT2_T3_T4_T5_mT6_T7_P12ihipStream_tbENKUlT_T0_E_clISt17integral_constantIbLb1EESX_IbLb0EEEEDaST_SU_EUlST_E_NS1_11comp_targetILNS1_3genE2ELNS1_11target_archE906ELNS1_3gpuE6ELNS1_3repE0EEENS1_30default_config_static_selectorELNS0_4arch9wavefront6targetE1EEEvT1_,@function
_ZN7rocprim17ROCPRIM_400000_NS6detail17trampoline_kernelINS0_14default_configENS1_27scan_by_key_config_selectorIssEEZZNS1_16scan_by_key_implILNS1_25lookback_scan_determinismE0ELb0ES3_N6thrust23THRUST_200600_302600_NS6detail15normal_iteratorINS9_10device_ptrIsEEEESE_SE_sNS9_4plusIsEE19head_flag_predicatesEE10hipError_tPvRmT2_T3_T4_T5_mT6_T7_P12ihipStream_tbENKUlT_T0_E_clISt17integral_constantIbLb1EESX_IbLb0EEEEDaST_SU_EUlST_E_NS1_11comp_targetILNS1_3genE2ELNS1_11target_archE906ELNS1_3gpuE6ELNS1_3repE0EEENS1_30default_config_static_selectorELNS0_4arch9wavefront6targetE1EEEvT1_: ; @_ZN7rocprim17ROCPRIM_400000_NS6detail17trampoline_kernelINS0_14default_configENS1_27scan_by_key_config_selectorIssEEZZNS1_16scan_by_key_implILNS1_25lookback_scan_determinismE0ELb0ES3_N6thrust23THRUST_200600_302600_NS6detail15normal_iteratorINS9_10device_ptrIsEEEESE_SE_sNS9_4plusIsEE19head_flag_predicatesEE10hipError_tPvRmT2_T3_T4_T5_mT6_T7_P12ihipStream_tbENKUlT_T0_E_clISt17integral_constantIbLb1EESX_IbLb0EEEEDaST_SU_EUlST_E_NS1_11comp_targetILNS1_3genE2ELNS1_11target_archE906ELNS1_3gpuE6ELNS1_3repE0EEENS1_30default_config_static_selectorELNS0_4arch9wavefront6targetE1EEEvT1_
; %bb.0:
	.section	.rodata,"a",@progbits
	.p2align	6, 0x0
	.amdhsa_kernel _ZN7rocprim17ROCPRIM_400000_NS6detail17trampoline_kernelINS0_14default_configENS1_27scan_by_key_config_selectorIssEEZZNS1_16scan_by_key_implILNS1_25lookback_scan_determinismE0ELb0ES3_N6thrust23THRUST_200600_302600_NS6detail15normal_iteratorINS9_10device_ptrIsEEEESE_SE_sNS9_4plusIsEE19head_flag_predicatesEE10hipError_tPvRmT2_T3_T4_T5_mT6_T7_P12ihipStream_tbENKUlT_T0_E_clISt17integral_constantIbLb1EESX_IbLb0EEEEDaST_SU_EUlST_E_NS1_11comp_targetILNS1_3genE2ELNS1_11target_archE906ELNS1_3gpuE6ELNS1_3repE0EEENS1_30default_config_static_selectorELNS0_4arch9wavefront6targetE1EEEvT1_
		.amdhsa_group_segment_fixed_size 0
		.amdhsa_private_segment_fixed_size 0
		.amdhsa_kernarg_size 112
		.amdhsa_user_sgpr_count 2
		.amdhsa_user_sgpr_dispatch_ptr 0
		.amdhsa_user_sgpr_queue_ptr 0
		.amdhsa_user_sgpr_kernarg_segment_ptr 1
		.amdhsa_user_sgpr_dispatch_id 0
		.amdhsa_user_sgpr_kernarg_preload_length 0
		.amdhsa_user_sgpr_kernarg_preload_offset 0
		.amdhsa_user_sgpr_private_segment_size 0
		.amdhsa_uses_dynamic_stack 0
		.amdhsa_enable_private_segment 0
		.amdhsa_system_sgpr_workgroup_id_x 1
		.amdhsa_system_sgpr_workgroup_id_y 0
		.amdhsa_system_sgpr_workgroup_id_z 0
		.amdhsa_system_sgpr_workgroup_info 0
		.amdhsa_system_vgpr_workitem_id 0
		.amdhsa_next_free_vgpr 1
		.amdhsa_next_free_sgpr 0
		.amdhsa_accum_offset 4
		.amdhsa_reserve_vcc 0
		.amdhsa_float_round_mode_32 0
		.amdhsa_float_round_mode_16_64 0
		.amdhsa_float_denorm_mode_32 3
		.amdhsa_float_denorm_mode_16_64 3
		.amdhsa_dx10_clamp 1
		.amdhsa_ieee_mode 1
		.amdhsa_fp16_overflow 0
		.amdhsa_tg_split 0
		.amdhsa_exception_fp_ieee_invalid_op 0
		.amdhsa_exception_fp_denorm_src 0
		.amdhsa_exception_fp_ieee_div_zero 0
		.amdhsa_exception_fp_ieee_overflow 0
		.amdhsa_exception_fp_ieee_underflow 0
		.amdhsa_exception_fp_ieee_inexact 0
		.amdhsa_exception_int_div_zero 0
	.end_amdhsa_kernel
	.section	.text._ZN7rocprim17ROCPRIM_400000_NS6detail17trampoline_kernelINS0_14default_configENS1_27scan_by_key_config_selectorIssEEZZNS1_16scan_by_key_implILNS1_25lookback_scan_determinismE0ELb0ES3_N6thrust23THRUST_200600_302600_NS6detail15normal_iteratorINS9_10device_ptrIsEEEESE_SE_sNS9_4plusIsEE19head_flag_predicatesEE10hipError_tPvRmT2_T3_T4_T5_mT6_T7_P12ihipStream_tbENKUlT_T0_E_clISt17integral_constantIbLb1EESX_IbLb0EEEEDaST_SU_EUlST_E_NS1_11comp_targetILNS1_3genE2ELNS1_11target_archE906ELNS1_3gpuE6ELNS1_3repE0EEENS1_30default_config_static_selectorELNS0_4arch9wavefront6targetE1EEEvT1_,"axG",@progbits,_ZN7rocprim17ROCPRIM_400000_NS6detail17trampoline_kernelINS0_14default_configENS1_27scan_by_key_config_selectorIssEEZZNS1_16scan_by_key_implILNS1_25lookback_scan_determinismE0ELb0ES3_N6thrust23THRUST_200600_302600_NS6detail15normal_iteratorINS9_10device_ptrIsEEEESE_SE_sNS9_4plusIsEE19head_flag_predicatesEE10hipError_tPvRmT2_T3_T4_T5_mT6_T7_P12ihipStream_tbENKUlT_T0_E_clISt17integral_constantIbLb1EESX_IbLb0EEEEDaST_SU_EUlST_E_NS1_11comp_targetILNS1_3genE2ELNS1_11target_archE906ELNS1_3gpuE6ELNS1_3repE0EEENS1_30default_config_static_selectorELNS0_4arch9wavefront6targetE1EEEvT1_,comdat
.Lfunc_end844:
	.size	_ZN7rocprim17ROCPRIM_400000_NS6detail17trampoline_kernelINS0_14default_configENS1_27scan_by_key_config_selectorIssEEZZNS1_16scan_by_key_implILNS1_25lookback_scan_determinismE0ELb0ES3_N6thrust23THRUST_200600_302600_NS6detail15normal_iteratorINS9_10device_ptrIsEEEESE_SE_sNS9_4plusIsEE19head_flag_predicatesEE10hipError_tPvRmT2_T3_T4_T5_mT6_T7_P12ihipStream_tbENKUlT_T0_E_clISt17integral_constantIbLb1EESX_IbLb0EEEEDaST_SU_EUlST_E_NS1_11comp_targetILNS1_3genE2ELNS1_11target_archE906ELNS1_3gpuE6ELNS1_3repE0EEENS1_30default_config_static_selectorELNS0_4arch9wavefront6targetE1EEEvT1_, .Lfunc_end844-_ZN7rocprim17ROCPRIM_400000_NS6detail17trampoline_kernelINS0_14default_configENS1_27scan_by_key_config_selectorIssEEZZNS1_16scan_by_key_implILNS1_25lookback_scan_determinismE0ELb0ES3_N6thrust23THRUST_200600_302600_NS6detail15normal_iteratorINS9_10device_ptrIsEEEESE_SE_sNS9_4plusIsEE19head_flag_predicatesEE10hipError_tPvRmT2_T3_T4_T5_mT6_T7_P12ihipStream_tbENKUlT_T0_E_clISt17integral_constantIbLb1EESX_IbLb0EEEEDaST_SU_EUlST_E_NS1_11comp_targetILNS1_3genE2ELNS1_11target_archE906ELNS1_3gpuE6ELNS1_3repE0EEENS1_30default_config_static_selectorELNS0_4arch9wavefront6targetE1EEEvT1_
                                        ; -- End function
	.section	.AMDGPU.csdata,"",@progbits
; Kernel info:
; codeLenInByte = 0
; NumSgprs: 6
; NumVgprs: 0
; NumAgprs: 0
; TotalNumVgprs: 0
; ScratchSize: 0
; MemoryBound: 0
; FloatMode: 240
; IeeeMode: 1
; LDSByteSize: 0 bytes/workgroup (compile time only)
; SGPRBlocks: 0
; VGPRBlocks: 0
; NumSGPRsForWavesPerEU: 6
; NumVGPRsForWavesPerEU: 1
; AccumOffset: 4
; Occupancy: 8
; WaveLimiterHint : 0
; COMPUTE_PGM_RSRC2:SCRATCH_EN: 0
; COMPUTE_PGM_RSRC2:USER_SGPR: 2
; COMPUTE_PGM_RSRC2:TRAP_HANDLER: 0
; COMPUTE_PGM_RSRC2:TGID_X_EN: 1
; COMPUTE_PGM_RSRC2:TGID_Y_EN: 0
; COMPUTE_PGM_RSRC2:TGID_Z_EN: 0
; COMPUTE_PGM_RSRC2:TIDIG_COMP_CNT: 0
; COMPUTE_PGM_RSRC3_GFX90A:ACCUM_OFFSET: 0
; COMPUTE_PGM_RSRC3_GFX90A:TG_SPLIT: 0
	.section	.text._ZN7rocprim17ROCPRIM_400000_NS6detail17trampoline_kernelINS0_14default_configENS1_27scan_by_key_config_selectorIssEEZZNS1_16scan_by_key_implILNS1_25lookback_scan_determinismE0ELb0ES3_N6thrust23THRUST_200600_302600_NS6detail15normal_iteratorINS9_10device_ptrIsEEEESE_SE_sNS9_4plusIsEE19head_flag_predicatesEE10hipError_tPvRmT2_T3_T4_T5_mT6_T7_P12ihipStream_tbENKUlT_T0_E_clISt17integral_constantIbLb1EESX_IbLb0EEEEDaST_SU_EUlST_E_NS1_11comp_targetILNS1_3genE10ELNS1_11target_archE1200ELNS1_3gpuE4ELNS1_3repE0EEENS1_30default_config_static_selectorELNS0_4arch9wavefront6targetE1EEEvT1_,"axG",@progbits,_ZN7rocprim17ROCPRIM_400000_NS6detail17trampoline_kernelINS0_14default_configENS1_27scan_by_key_config_selectorIssEEZZNS1_16scan_by_key_implILNS1_25lookback_scan_determinismE0ELb0ES3_N6thrust23THRUST_200600_302600_NS6detail15normal_iteratorINS9_10device_ptrIsEEEESE_SE_sNS9_4plusIsEE19head_flag_predicatesEE10hipError_tPvRmT2_T3_T4_T5_mT6_T7_P12ihipStream_tbENKUlT_T0_E_clISt17integral_constantIbLb1EESX_IbLb0EEEEDaST_SU_EUlST_E_NS1_11comp_targetILNS1_3genE10ELNS1_11target_archE1200ELNS1_3gpuE4ELNS1_3repE0EEENS1_30default_config_static_selectorELNS0_4arch9wavefront6targetE1EEEvT1_,comdat
	.protected	_ZN7rocprim17ROCPRIM_400000_NS6detail17trampoline_kernelINS0_14default_configENS1_27scan_by_key_config_selectorIssEEZZNS1_16scan_by_key_implILNS1_25lookback_scan_determinismE0ELb0ES3_N6thrust23THRUST_200600_302600_NS6detail15normal_iteratorINS9_10device_ptrIsEEEESE_SE_sNS9_4plusIsEE19head_flag_predicatesEE10hipError_tPvRmT2_T3_T4_T5_mT6_T7_P12ihipStream_tbENKUlT_T0_E_clISt17integral_constantIbLb1EESX_IbLb0EEEEDaST_SU_EUlST_E_NS1_11comp_targetILNS1_3genE10ELNS1_11target_archE1200ELNS1_3gpuE4ELNS1_3repE0EEENS1_30default_config_static_selectorELNS0_4arch9wavefront6targetE1EEEvT1_ ; -- Begin function _ZN7rocprim17ROCPRIM_400000_NS6detail17trampoline_kernelINS0_14default_configENS1_27scan_by_key_config_selectorIssEEZZNS1_16scan_by_key_implILNS1_25lookback_scan_determinismE0ELb0ES3_N6thrust23THRUST_200600_302600_NS6detail15normal_iteratorINS9_10device_ptrIsEEEESE_SE_sNS9_4plusIsEE19head_flag_predicatesEE10hipError_tPvRmT2_T3_T4_T5_mT6_T7_P12ihipStream_tbENKUlT_T0_E_clISt17integral_constantIbLb1EESX_IbLb0EEEEDaST_SU_EUlST_E_NS1_11comp_targetILNS1_3genE10ELNS1_11target_archE1200ELNS1_3gpuE4ELNS1_3repE0EEENS1_30default_config_static_selectorELNS0_4arch9wavefront6targetE1EEEvT1_
	.globl	_ZN7rocprim17ROCPRIM_400000_NS6detail17trampoline_kernelINS0_14default_configENS1_27scan_by_key_config_selectorIssEEZZNS1_16scan_by_key_implILNS1_25lookback_scan_determinismE0ELb0ES3_N6thrust23THRUST_200600_302600_NS6detail15normal_iteratorINS9_10device_ptrIsEEEESE_SE_sNS9_4plusIsEE19head_flag_predicatesEE10hipError_tPvRmT2_T3_T4_T5_mT6_T7_P12ihipStream_tbENKUlT_T0_E_clISt17integral_constantIbLb1EESX_IbLb0EEEEDaST_SU_EUlST_E_NS1_11comp_targetILNS1_3genE10ELNS1_11target_archE1200ELNS1_3gpuE4ELNS1_3repE0EEENS1_30default_config_static_selectorELNS0_4arch9wavefront6targetE1EEEvT1_
	.p2align	8
	.type	_ZN7rocprim17ROCPRIM_400000_NS6detail17trampoline_kernelINS0_14default_configENS1_27scan_by_key_config_selectorIssEEZZNS1_16scan_by_key_implILNS1_25lookback_scan_determinismE0ELb0ES3_N6thrust23THRUST_200600_302600_NS6detail15normal_iteratorINS9_10device_ptrIsEEEESE_SE_sNS9_4plusIsEE19head_flag_predicatesEE10hipError_tPvRmT2_T3_T4_T5_mT6_T7_P12ihipStream_tbENKUlT_T0_E_clISt17integral_constantIbLb1EESX_IbLb0EEEEDaST_SU_EUlST_E_NS1_11comp_targetILNS1_3genE10ELNS1_11target_archE1200ELNS1_3gpuE4ELNS1_3repE0EEENS1_30default_config_static_selectorELNS0_4arch9wavefront6targetE1EEEvT1_,@function
_ZN7rocprim17ROCPRIM_400000_NS6detail17trampoline_kernelINS0_14default_configENS1_27scan_by_key_config_selectorIssEEZZNS1_16scan_by_key_implILNS1_25lookback_scan_determinismE0ELb0ES3_N6thrust23THRUST_200600_302600_NS6detail15normal_iteratorINS9_10device_ptrIsEEEESE_SE_sNS9_4plusIsEE19head_flag_predicatesEE10hipError_tPvRmT2_T3_T4_T5_mT6_T7_P12ihipStream_tbENKUlT_T0_E_clISt17integral_constantIbLb1EESX_IbLb0EEEEDaST_SU_EUlST_E_NS1_11comp_targetILNS1_3genE10ELNS1_11target_archE1200ELNS1_3gpuE4ELNS1_3repE0EEENS1_30default_config_static_selectorELNS0_4arch9wavefront6targetE1EEEvT1_: ; @_ZN7rocprim17ROCPRIM_400000_NS6detail17trampoline_kernelINS0_14default_configENS1_27scan_by_key_config_selectorIssEEZZNS1_16scan_by_key_implILNS1_25lookback_scan_determinismE0ELb0ES3_N6thrust23THRUST_200600_302600_NS6detail15normal_iteratorINS9_10device_ptrIsEEEESE_SE_sNS9_4plusIsEE19head_flag_predicatesEE10hipError_tPvRmT2_T3_T4_T5_mT6_T7_P12ihipStream_tbENKUlT_T0_E_clISt17integral_constantIbLb1EESX_IbLb0EEEEDaST_SU_EUlST_E_NS1_11comp_targetILNS1_3genE10ELNS1_11target_archE1200ELNS1_3gpuE4ELNS1_3repE0EEENS1_30default_config_static_selectorELNS0_4arch9wavefront6targetE1EEEvT1_
; %bb.0:
	.section	.rodata,"a",@progbits
	.p2align	6, 0x0
	.amdhsa_kernel _ZN7rocprim17ROCPRIM_400000_NS6detail17trampoline_kernelINS0_14default_configENS1_27scan_by_key_config_selectorIssEEZZNS1_16scan_by_key_implILNS1_25lookback_scan_determinismE0ELb0ES3_N6thrust23THRUST_200600_302600_NS6detail15normal_iteratorINS9_10device_ptrIsEEEESE_SE_sNS9_4plusIsEE19head_flag_predicatesEE10hipError_tPvRmT2_T3_T4_T5_mT6_T7_P12ihipStream_tbENKUlT_T0_E_clISt17integral_constantIbLb1EESX_IbLb0EEEEDaST_SU_EUlST_E_NS1_11comp_targetILNS1_3genE10ELNS1_11target_archE1200ELNS1_3gpuE4ELNS1_3repE0EEENS1_30default_config_static_selectorELNS0_4arch9wavefront6targetE1EEEvT1_
		.amdhsa_group_segment_fixed_size 0
		.amdhsa_private_segment_fixed_size 0
		.amdhsa_kernarg_size 112
		.amdhsa_user_sgpr_count 2
		.amdhsa_user_sgpr_dispatch_ptr 0
		.amdhsa_user_sgpr_queue_ptr 0
		.amdhsa_user_sgpr_kernarg_segment_ptr 1
		.amdhsa_user_sgpr_dispatch_id 0
		.amdhsa_user_sgpr_kernarg_preload_length 0
		.amdhsa_user_sgpr_kernarg_preload_offset 0
		.amdhsa_user_sgpr_private_segment_size 0
		.amdhsa_uses_dynamic_stack 0
		.amdhsa_enable_private_segment 0
		.amdhsa_system_sgpr_workgroup_id_x 1
		.amdhsa_system_sgpr_workgroup_id_y 0
		.amdhsa_system_sgpr_workgroup_id_z 0
		.amdhsa_system_sgpr_workgroup_info 0
		.amdhsa_system_vgpr_workitem_id 0
		.amdhsa_next_free_vgpr 1
		.amdhsa_next_free_sgpr 0
		.amdhsa_accum_offset 4
		.amdhsa_reserve_vcc 0
		.amdhsa_float_round_mode_32 0
		.amdhsa_float_round_mode_16_64 0
		.amdhsa_float_denorm_mode_32 3
		.amdhsa_float_denorm_mode_16_64 3
		.amdhsa_dx10_clamp 1
		.amdhsa_ieee_mode 1
		.amdhsa_fp16_overflow 0
		.amdhsa_tg_split 0
		.amdhsa_exception_fp_ieee_invalid_op 0
		.amdhsa_exception_fp_denorm_src 0
		.amdhsa_exception_fp_ieee_div_zero 0
		.amdhsa_exception_fp_ieee_overflow 0
		.amdhsa_exception_fp_ieee_underflow 0
		.amdhsa_exception_fp_ieee_inexact 0
		.amdhsa_exception_int_div_zero 0
	.end_amdhsa_kernel
	.section	.text._ZN7rocprim17ROCPRIM_400000_NS6detail17trampoline_kernelINS0_14default_configENS1_27scan_by_key_config_selectorIssEEZZNS1_16scan_by_key_implILNS1_25lookback_scan_determinismE0ELb0ES3_N6thrust23THRUST_200600_302600_NS6detail15normal_iteratorINS9_10device_ptrIsEEEESE_SE_sNS9_4plusIsEE19head_flag_predicatesEE10hipError_tPvRmT2_T3_T4_T5_mT6_T7_P12ihipStream_tbENKUlT_T0_E_clISt17integral_constantIbLb1EESX_IbLb0EEEEDaST_SU_EUlST_E_NS1_11comp_targetILNS1_3genE10ELNS1_11target_archE1200ELNS1_3gpuE4ELNS1_3repE0EEENS1_30default_config_static_selectorELNS0_4arch9wavefront6targetE1EEEvT1_,"axG",@progbits,_ZN7rocprim17ROCPRIM_400000_NS6detail17trampoline_kernelINS0_14default_configENS1_27scan_by_key_config_selectorIssEEZZNS1_16scan_by_key_implILNS1_25lookback_scan_determinismE0ELb0ES3_N6thrust23THRUST_200600_302600_NS6detail15normal_iteratorINS9_10device_ptrIsEEEESE_SE_sNS9_4plusIsEE19head_flag_predicatesEE10hipError_tPvRmT2_T3_T4_T5_mT6_T7_P12ihipStream_tbENKUlT_T0_E_clISt17integral_constantIbLb1EESX_IbLb0EEEEDaST_SU_EUlST_E_NS1_11comp_targetILNS1_3genE10ELNS1_11target_archE1200ELNS1_3gpuE4ELNS1_3repE0EEENS1_30default_config_static_selectorELNS0_4arch9wavefront6targetE1EEEvT1_,comdat
.Lfunc_end845:
	.size	_ZN7rocprim17ROCPRIM_400000_NS6detail17trampoline_kernelINS0_14default_configENS1_27scan_by_key_config_selectorIssEEZZNS1_16scan_by_key_implILNS1_25lookback_scan_determinismE0ELb0ES3_N6thrust23THRUST_200600_302600_NS6detail15normal_iteratorINS9_10device_ptrIsEEEESE_SE_sNS9_4plusIsEE19head_flag_predicatesEE10hipError_tPvRmT2_T3_T4_T5_mT6_T7_P12ihipStream_tbENKUlT_T0_E_clISt17integral_constantIbLb1EESX_IbLb0EEEEDaST_SU_EUlST_E_NS1_11comp_targetILNS1_3genE10ELNS1_11target_archE1200ELNS1_3gpuE4ELNS1_3repE0EEENS1_30default_config_static_selectorELNS0_4arch9wavefront6targetE1EEEvT1_, .Lfunc_end845-_ZN7rocprim17ROCPRIM_400000_NS6detail17trampoline_kernelINS0_14default_configENS1_27scan_by_key_config_selectorIssEEZZNS1_16scan_by_key_implILNS1_25lookback_scan_determinismE0ELb0ES3_N6thrust23THRUST_200600_302600_NS6detail15normal_iteratorINS9_10device_ptrIsEEEESE_SE_sNS9_4plusIsEE19head_flag_predicatesEE10hipError_tPvRmT2_T3_T4_T5_mT6_T7_P12ihipStream_tbENKUlT_T0_E_clISt17integral_constantIbLb1EESX_IbLb0EEEEDaST_SU_EUlST_E_NS1_11comp_targetILNS1_3genE10ELNS1_11target_archE1200ELNS1_3gpuE4ELNS1_3repE0EEENS1_30default_config_static_selectorELNS0_4arch9wavefront6targetE1EEEvT1_
                                        ; -- End function
	.section	.AMDGPU.csdata,"",@progbits
; Kernel info:
; codeLenInByte = 0
; NumSgprs: 6
; NumVgprs: 0
; NumAgprs: 0
; TotalNumVgprs: 0
; ScratchSize: 0
; MemoryBound: 0
; FloatMode: 240
; IeeeMode: 1
; LDSByteSize: 0 bytes/workgroup (compile time only)
; SGPRBlocks: 0
; VGPRBlocks: 0
; NumSGPRsForWavesPerEU: 6
; NumVGPRsForWavesPerEU: 1
; AccumOffset: 4
; Occupancy: 8
; WaveLimiterHint : 0
; COMPUTE_PGM_RSRC2:SCRATCH_EN: 0
; COMPUTE_PGM_RSRC2:USER_SGPR: 2
; COMPUTE_PGM_RSRC2:TRAP_HANDLER: 0
; COMPUTE_PGM_RSRC2:TGID_X_EN: 1
; COMPUTE_PGM_RSRC2:TGID_Y_EN: 0
; COMPUTE_PGM_RSRC2:TGID_Z_EN: 0
; COMPUTE_PGM_RSRC2:TIDIG_COMP_CNT: 0
; COMPUTE_PGM_RSRC3_GFX90A:ACCUM_OFFSET: 0
; COMPUTE_PGM_RSRC3_GFX90A:TG_SPLIT: 0
	.section	.text._ZN7rocprim17ROCPRIM_400000_NS6detail17trampoline_kernelINS0_14default_configENS1_27scan_by_key_config_selectorIssEEZZNS1_16scan_by_key_implILNS1_25lookback_scan_determinismE0ELb0ES3_N6thrust23THRUST_200600_302600_NS6detail15normal_iteratorINS9_10device_ptrIsEEEESE_SE_sNS9_4plusIsEE19head_flag_predicatesEE10hipError_tPvRmT2_T3_T4_T5_mT6_T7_P12ihipStream_tbENKUlT_T0_E_clISt17integral_constantIbLb1EESX_IbLb0EEEEDaST_SU_EUlST_E_NS1_11comp_targetILNS1_3genE9ELNS1_11target_archE1100ELNS1_3gpuE3ELNS1_3repE0EEENS1_30default_config_static_selectorELNS0_4arch9wavefront6targetE1EEEvT1_,"axG",@progbits,_ZN7rocprim17ROCPRIM_400000_NS6detail17trampoline_kernelINS0_14default_configENS1_27scan_by_key_config_selectorIssEEZZNS1_16scan_by_key_implILNS1_25lookback_scan_determinismE0ELb0ES3_N6thrust23THRUST_200600_302600_NS6detail15normal_iteratorINS9_10device_ptrIsEEEESE_SE_sNS9_4plusIsEE19head_flag_predicatesEE10hipError_tPvRmT2_T3_T4_T5_mT6_T7_P12ihipStream_tbENKUlT_T0_E_clISt17integral_constantIbLb1EESX_IbLb0EEEEDaST_SU_EUlST_E_NS1_11comp_targetILNS1_3genE9ELNS1_11target_archE1100ELNS1_3gpuE3ELNS1_3repE0EEENS1_30default_config_static_selectorELNS0_4arch9wavefront6targetE1EEEvT1_,comdat
	.protected	_ZN7rocprim17ROCPRIM_400000_NS6detail17trampoline_kernelINS0_14default_configENS1_27scan_by_key_config_selectorIssEEZZNS1_16scan_by_key_implILNS1_25lookback_scan_determinismE0ELb0ES3_N6thrust23THRUST_200600_302600_NS6detail15normal_iteratorINS9_10device_ptrIsEEEESE_SE_sNS9_4plusIsEE19head_flag_predicatesEE10hipError_tPvRmT2_T3_T4_T5_mT6_T7_P12ihipStream_tbENKUlT_T0_E_clISt17integral_constantIbLb1EESX_IbLb0EEEEDaST_SU_EUlST_E_NS1_11comp_targetILNS1_3genE9ELNS1_11target_archE1100ELNS1_3gpuE3ELNS1_3repE0EEENS1_30default_config_static_selectorELNS0_4arch9wavefront6targetE1EEEvT1_ ; -- Begin function _ZN7rocprim17ROCPRIM_400000_NS6detail17trampoline_kernelINS0_14default_configENS1_27scan_by_key_config_selectorIssEEZZNS1_16scan_by_key_implILNS1_25lookback_scan_determinismE0ELb0ES3_N6thrust23THRUST_200600_302600_NS6detail15normal_iteratorINS9_10device_ptrIsEEEESE_SE_sNS9_4plusIsEE19head_flag_predicatesEE10hipError_tPvRmT2_T3_T4_T5_mT6_T7_P12ihipStream_tbENKUlT_T0_E_clISt17integral_constantIbLb1EESX_IbLb0EEEEDaST_SU_EUlST_E_NS1_11comp_targetILNS1_3genE9ELNS1_11target_archE1100ELNS1_3gpuE3ELNS1_3repE0EEENS1_30default_config_static_selectorELNS0_4arch9wavefront6targetE1EEEvT1_
	.globl	_ZN7rocprim17ROCPRIM_400000_NS6detail17trampoline_kernelINS0_14default_configENS1_27scan_by_key_config_selectorIssEEZZNS1_16scan_by_key_implILNS1_25lookback_scan_determinismE0ELb0ES3_N6thrust23THRUST_200600_302600_NS6detail15normal_iteratorINS9_10device_ptrIsEEEESE_SE_sNS9_4plusIsEE19head_flag_predicatesEE10hipError_tPvRmT2_T3_T4_T5_mT6_T7_P12ihipStream_tbENKUlT_T0_E_clISt17integral_constantIbLb1EESX_IbLb0EEEEDaST_SU_EUlST_E_NS1_11comp_targetILNS1_3genE9ELNS1_11target_archE1100ELNS1_3gpuE3ELNS1_3repE0EEENS1_30default_config_static_selectorELNS0_4arch9wavefront6targetE1EEEvT1_
	.p2align	8
	.type	_ZN7rocprim17ROCPRIM_400000_NS6detail17trampoline_kernelINS0_14default_configENS1_27scan_by_key_config_selectorIssEEZZNS1_16scan_by_key_implILNS1_25lookback_scan_determinismE0ELb0ES3_N6thrust23THRUST_200600_302600_NS6detail15normal_iteratorINS9_10device_ptrIsEEEESE_SE_sNS9_4plusIsEE19head_flag_predicatesEE10hipError_tPvRmT2_T3_T4_T5_mT6_T7_P12ihipStream_tbENKUlT_T0_E_clISt17integral_constantIbLb1EESX_IbLb0EEEEDaST_SU_EUlST_E_NS1_11comp_targetILNS1_3genE9ELNS1_11target_archE1100ELNS1_3gpuE3ELNS1_3repE0EEENS1_30default_config_static_selectorELNS0_4arch9wavefront6targetE1EEEvT1_,@function
_ZN7rocprim17ROCPRIM_400000_NS6detail17trampoline_kernelINS0_14default_configENS1_27scan_by_key_config_selectorIssEEZZNS1_16scan_by_key_implILNS1_25lookback_scan_determinismE0ELb0ES3_N6thrust23THRUST_200600_302600_NS6detail15normal_iteratorINS9_10device_ptrIsEEEESE_SE_sNS9_4plusIsEE19head_flag_predicatesEE10hipError_tPvRmT2_T3_T4_T5_mT6_T7_P12ihipStream_tbENKUlT_T0_E_clISt17integral_constantIbLb1EESX_IbLb0EEEEDaST_SU_EUlST_E_NS1_11comp_targetILNS1_3genE9ELNS1_11target_archE1100ELNS1_3gpuE3ELNS1_3repE0EEENS1_30default_config_static_selectorELNS0_4arch9wavefront6targetE1EEEvT1_: ; @_ZN7rocprim17ROCPRIM_400000_NS6detail17trampoline_kernelINS0_14default_configENS1_27scan_by_key_config_selectorIssEEZZNS1_16scan_by_key_implILNS1_25lookback_scan_determinismE0ELb0ES3_N6thrust23THRUST_200600_302600_NS6detail15normal_iteratorINS9_10device_ptrIsEEEESE_SE_sNS9_4plusIsEE19head_flag_predicatesEE10hipError_tPvRmT2_T3_T4_T5_mT6_T7_P12ihipStream_tbENKUlT_T0_E_clISt17integral_constantIbLb1EESX_IbLb0EEEEDaST_SU_EUlST_E_NS1_11comp_targetILNS1_3genE9ELNS1_11target_archE1100ELNS1_3gpuE3ELNS1_3repE0EEENS1_30default_config_static_selectorELNS0_4arch9wavefront6targetE1EEEvT1_
; %bb.0:
	.section	.rodata,"a",@progbits
	.p2align	6, 0x0
	.amdhsa_kernel _ZN7rocprim17ROCPRIM_400000_NS6detail17trampoline_kernelINS0_14default_configENS1_27scan_by_key_config_selectorIssEEZZNS1_16scan_by_key_implILNS1_25lookback_scan_determinismE0ELb0ES3_N6thrust23THRUST_200600_302600_NS6detail15normal_iteratorINS9_10device_ptrIsEEEESE_SE_sNS9_4plusIsEE19head_flag_predicatesEE10hipError_tPvRmT2_T3_T4_T5_mT6_T7_P12ihipStream_tbENKUlT_T0_E_clISt17integral_constantIbLb1EESX_IbLb0EEEEDaST_SU_EUlST_E_NS1_11comp_targetILNS1_3genE9ELNS1_11target_archE1100ELNS1_3gpuE3ELNS1_3repE0EEENS1_30default_config_static_selectorELNS0_4arch9wavefront6targetE1EEEvT1_
		.amdhsa_group_segment_fixed_size 0
		.amdhsa_private_segment_fixed_size 0
		.amdhsa_kernarg_size 112
		.amdhsa_user_sgpr_count 2
		.amdhsa_user_sgpr_dispatch_ptr 0
		.amdhsa_user_sgpr_queue_ptr 0
		.amdhsa_user_sgpr_kernarg_segment_ptr 1
		.amdhsa_user_sgpr_dispatch_id 0
		.amdhsa_user_sgpr_kernarg_preload_length 0
		.amdhsa_user_sgpr_kernarg_preload_offset 0
		.amdhsa_user_sgpr_private_segment_size 0
		.amdhsa_uses_dynamic_stack 0
		.amdhsa_enable_private_segment 0
		.amdhsa_system_sgpr_workgroup_id_x 1
		.amdhsa_system_sgpr_workgroup_id_y 0
		.amdhsa_system_sgpr_workgroup_id_z 0
		.amdhsa_system_sgpr_workgroup_info 0
		.amdhsa_system_vgpr_workitem_id 0
		.amdhsa_next_free_vgpr 1
		.amdhsa_next_free_sgpr 0
		.amdhsa_accum_offset 4
		.amdhsa_reserve_vcc 0
		.amdhsa_float_round_mode_32 0
		.amdhsa_float_round_mode_16_64 0
		.amdhsa_float_denorm_mode_32 3
		.amdhsa_float_denorm_mode_16_64 3
		.amdhsa_dx10_clamp 1
		.amdhsa_ieee_mode 1
		.amdhsa_fp16_overflow 0
		.amdhsa_tg_split 0
		.amdhsa_exception_fp_ieee_invalid_op 0
		.amdhsa_exception_fp_denorm_src 0
		.amdhsa_exception_fp_ieee_div_zero 0
		.amdhsa_exception_fp_ieee_overflow 0
		.amdhsa_exception_fp_ieee_underflow 0
		.amdhsa_exception_fp_ieee_inexact 0
		.amdhsa_exception_int_div_zero 0
	.end_amdhsa_kernel
	.section	.text._ZN7rocprim17ROCPRIM_400000_NS6detail17trampoline_kernelINS0_14default_configENS1_27scan_by_key_config_selectorIssEEZZNS1_16scan_by_key_implILNS1_25lookback_scan_determinismE0ELb0ES3_N6thrust23THRUST_200600_302600_NS6detail15normal_iteratorINS9_10device_ptrIsEEEESE_SE_sNS9_4plusIsEE19head_flag_predicatesEE10hipError_tPvRmT2_T3_T4_T5_mT6_T7_P12ihipStream_tbENKUlT_T0_E_clISt17integral_constantIbLb1EESX_IbLb0EEEEDaST_SU_EUlST_E_NS1_11comp_targetILNS1_3genE9ELNS1_11target_archE1100ELNS1_3gpuE3ELNS1_3repE0EEENS1_30default_config_static_selectorELNS0_4arch9wavefront6targetE1EEEvT1_,"axG",@progbits,_ZN7rocprim17ROCPRIM_400000_NS6detail17trampoline_kernelINS0_14default_configENS1_27scan_by_key_config_selectorIssEEZZNS1_16scan_by_key_implILNS1_25lookback_scan_determinismE0ELb0ES3_N6thrust23THRUST_200600_302600_NS6detail15normal_iteratorINS9_10device_ptrIsEEEESE_SE_sNS9_4plusIsEE19head_flag_predicatesEE10hipError_tPvRmT2_T3_T4_T5_mT6_T7_P12ihipStream_tbENKUlT_T0_E_clISt17integral_constantIbLb1EESX_IbLb0EEEEDaST_SU_EUlST_E_NS1_11comp_targetILNS1_3genE9ELNS1_11target_archE1100ELNS1_3gpuE3ELNS1_3repE0EEENS1_30default_config_static_selectorELNS0_4arch9wavefront6targetE1EEEvT1_,comdat
.Lfunc_end846:
	.size	_ZN7rocprim17ROCPRIM_400000_NS6detail17trampoline_kernelINS0_14default_configENS1_27scan_by_key_config_selectorIssEEZZNS1_16scan_by_key_implILNS1_25lookback_scan_determinismE0ELb0ES3_N6thrust23THRUST_200600_302600_NS6detail15normal_iteratorINS9_10device_ptrIsEEEESE_SE_sNS9_4plusIsEE19head_flag_predicatesEE10hipError_tPvRmT2_T3_T4_T5_mT6_T7_P12ihipStream_tbENKUlT_T0_E_clISt17integral_constantIbLb1EESX_IbLb0EEEEDaST_SU_EUlST_E_NS1_11comp_targetILNS1_3genE9ELNS1_11target_archE1100ELNS1_3gpuE3ELNS1_3repE0EEENS1_30default_config_static_selectorELNS0_4arch9wavefront6targetE1EEEvT1_, .Lfunc_end846-_ZN7rocprim17ROCPRIM_400000_NS6detail17trampoline_kernelINS0_14default_configENS1_27scan_by_key_config_selectorIssEEZZNS1_16scan_by_key_implILNS1_25lookback_scan_determinismE0ELb0ES3_N6thrust23THRUST_200600_302600_NS6detail15normal_iteratorINS9_10device_ptrIsEEEESE_SE_sNS9_4plusIsEE19head_flag_predicatesEE10hipError_tPvRmT2_T3_T4_T5_mT6_T7_P12ihipStream_tbENKUlT_T0_E_clISt17integral_constantIbLb1EESX_IbLb0EEEEDaST_SU_EUlST_E_NS1_11comp_targetILNS1_3genE9ELNS1_11target_archE1100ELNS1_3gpuE3ELNS1_3repE0EEENS1_30default_config_static_selectorELNS0_4arch9wavefront6targetE1EEEvT1_
                                        ; -- End function
	.section	.AMDGPU.csdata,"",@progbits
; Kernel info:
; codeLenInByte = 0
; NumSgprs: 6
; NumVgprs: 0
; NumAgprs: 0
; TotalNumVgprs: 0
; ScratchSize: 0
; MemoryBound: 0
; FloatMode: 240
; IeeeMode: 1
; LDSByteSize: 0 bytes/workgroup (compile time only)
; SGPRBlocks: 0
; VGPRBlocks: 0
; NumSGPRsForWavesPerEU: 6
; NumVGPRsForWavesPerEU: 1
; AccumOffset: 4
; Occupancy: 8
; WaveLimiterHint : 0
; COMPUTE_PGM_RSRC2:SCRATCH_EN: 0
; COMPUTE_PGM_RSRC2:USER_SGPR: 2
; COMPUTE_PGM_RSRC2:TRAP_HANDLER: 0
; COMPUTE_PGM_RSRC2:TGID_X_EN: 1
; COMPUTE_PGM_RSRC2:TGID_Y_EN: 0
; COMPUTE_PGM_RSRC2:TGID_Z_EN: 0
; COMPUTE_PGM_RSRC2:TIDIG_COMP_CNT: 0
; COMPUTE_PGM_RSRC3_GFX90A:ACCUM_OFFSET: 0
; COMPUTE_PGM_RSRC3_GFX90A:TG_SPLIT: 0
	.section	.text._ZN7rocprim17ROCPRIM_400000_NS6detail17trampoline_kernelINS0_14default_configENS1_27scan_by_key_config_selectorIssEEZZNS1_16scan_by_key_implILNS1_25lookback_scan_determinismE0ELb0ES3_N6thrust23THRUST_200600_302600_NS6detail15normal_iteratorINS9_10device_ptrIsEEEESE_SE_sNS9_4plusIsEE19head_flag_predicatesEE10hipError_tPvRmT2_T3_T4_T5_mT6_T7_P12ihipStream_tbENKUlT_T0_E_clISt17integral_constantIbLb1EESX_IbLb0EEEEDaST_SU_EUlST_E_NS1_11comp_targetILNS1_3genE8ELNS1_11target_archE1030ELNS1_3gpuE2ELNS1_3repE0EEENS1_30default_config_static_selectorELNS0_4arch9wavefront6targetE1EEEvT1_,"axG",@progbits,_ZN7rocprim17ROCPRIM_400000_NS6detail17trampoline_kernelINS0_14default_configENS1_27scan_by_key_config_selectorIssEEZZNS1_16scan_by_key_implILNS1_25lookback_scan_determinismE0ELb0ES3_N6thrust23THRUST_200600_302600_NS6detail15normal_iteratorINS9_10device_ptrIsEEEESE_SE_sNS9_4plusIsEE19head_flag_predicatesEE10hipError_tPvRmT2_T3_T4_T5_mT6_T7_P12ihipStream_tbENKUlT_T0_E_clISt17integral_constantIbLb1EESX_IbLb0EEEEDaST_SU_EUlST_E_NS1_11comp_targetILNS1_3genE8ELNS1_11target_archE1030ELNS1_3gpuE2ELNS1_3repE0EEENS1_30default_config_static_selectorELNS0_4arch9wavefront6targetE1EEEvT1_,comdat
	.protected	_ZN7rocprim17ROCPRIM_400000_NS6detail17trampoline_kernelINS0_14default_configENS1_27scan_by_key_config_selectorIssEEZZNS1_16scan_by_key_implILNS1_25lookback_scan_determinismE0ELb0ES3_N6thrust23THRUST_200600_302600_NS6detail15normal_iteratorINS9_10device_ptrIsEEEESE_SE_sNS9_4plusIsEE19head_flag_predicatesEE10hipError_tPvRmT2_T3_T4_T5_mT6_T7_P12ihipStream_tbENKUlT_T0_E_clISt17integral_constantIbLb1EESX_IbLb0EEEEDaST_SU_EUlST_E_NS1_11comp_targetILNS1_3genE8ELNS1_11target_archE1030ELNS1_3gpuE2ELNS1_3repE0EEENS1_30default_config_static_selectorELNS0_4arch9wavefront6targetE1EEEvT1_ ; -- Begin function _ZN7rocprim17ROCPRIM_400000_NS6detail17trampoline_kernelINS0_14default_configENS1_27scan_by_key_config_selectorIssEEZZNS1_16scan_by_key_implILNS1_25lookback_scan_determinismE0ELb0ES3_N6thrust23THRUST_200600_302600_NS6detail15normal_iteratorINS9_10device_ptrIsEEEESE_SE_sNS9_4plusIsEE19head_flag_predicatesEE10hipError_tPvRmT2_T3_T4_T5_mT6_T7_P12ihipStream_tbENKUlT_T0_E_clISt17integral_constantIbLb1EESX_IbLb0EEEEDaST_SU_EUlST_E_NS1_11comp_targetILNS1_3genE8ELNS1_11target_archE1030ELNS1_3gpuE2ELNS1_3repE0EEENS1_30default_config_static_selectorELNS0_4arch9wavefront6targetE1EEEvT1_
	.globl	_ZN7rocprim17ROCPRIM_400000_NS6detail17trampoline_kernelINS0_14default_configENS1_27scan_by_key_config_selectorIssEEZZNS1_16scan_by_key_implILNS1_25lookback_scan_determinismE0ELb0ES3_N6thrust23THRUST_200600_302600_NS6detail15normal_iteratorINS9_10device_ptrIsEEEESE_SE_sNS9_4plusIsEE19head_flag_predicatesEE10hipError_tPvRmT2_T3_T4_T5_mT6_T7_P12ihipStream_tbENKUlT_T0_E_clISt17integral_constantIbLb1EESX_IbLb0EEEEDaST_SU_EUlST_E_NS1_11comp_targetILNS1_3genE8ELNS1_11target_archE1030ELNS1_3gpuE2ELNS1_3repE0EEENS1_30default_config_static_selectorELNS0_4arch9wavefront6targetE1EEEvT1_
	.p2align	8
	.type	_ZN7rocprim17ROCPRIM_400000_NS6detail17trampoline_kernelINS0_14default_configENS1_27scan_by_key_config_selectorIssEEZZNS1_16scan_by_key_implILNS1_25lookback_scan_determinismE0ELb0ES3_N6thrust23THRUST_200600_302600_NS6detail15normal_iteratorINS9_10device_ptrIsEEEESE_SE_sNS9_4plusIsEE19head_flag_predicatesEE10hipError_tPvRmT2_T3_T4_T5_mT6_T7_P12ihipStream_tbENKUlT_T0_E_clISt17integral_constantIbLb1EESX_IbLb0EEEEDaST_SU_EUlST_E_NS1_11comp_targetILNS1_3genE8ELNS1_11target_archE1030ELNS1_3gpuE2ELNS1_3repE0EEENS1_30default_config_static_selectorELNS0_4arch9wavefront6targetE1EEEvT1_,@function
_ZN7rocprim17ROCPRIM_400000_NS6detail17trampoline_kernelINS0_14default_configENS1_27scan_by_key_config_selectorIssEEZZNS1_16scan_by_key_implILNS1_25lookback_scan_determinismE0ELb0ES3_N6thrust23THRUST_200600_302600_NS6detail15normal_iteratorINS9_10device_ptrIsEEEESE_SE_sNS9_4plusIsEE19head_flag_predicatesEE10hipError_tPvRmT2_T3_T4_T5_mT6_T7_P12ihipStream_tbENKUlT_T0_E_clISt17integral_constantIbLb1EESX_IbLb0EEEEDaST_SU_EUlST_E_NS1_11comp_targetILNS1_3genE8ELNS1_11target_archE1030ELNS1_3gpuE2ELNS1_3repE0EEENS1_30default_config_static_selectorELNS0_4arch9wavefront6targetE1EEEvT1_: ; @_ZN7rocprim17ROCPRIM_400000_NS6detail17trampoline_kernelINS0_14default_configENS1_27scan_by_key_config_selectorIssEEZZNS1_16scan_by_key_implILNS1_25lookback_scan_determinismE0ELb0ES3_N6thrust23THRUST_200600_302600_NS6detail15normal_iteratorINS9_10device_ptrIsEEEESE_SE_sNS9_4plusIsEE19head_flag_predicatesEE10hipError_tPvRmT2_T3_T4_T5_mT6_T7_P12ihipStream_tbENKUlT_T0_E_clISt17integral_constantIbLb1EESX_IbLb0EEEEDaST_SU_EUlST_E_NS1_11comp_targetILNS1_3genE8ELNS1_11target_archE1030ELNS1_3gpuE2ELNS1_3repE0EEENS1_30default_config_static_selectorELNS0_4arch9wavefront6targetE1EEEvT1_
; %bb.0:
	.section	.rodata,"a",@progbits
	.p2align	6, 0x0
	.amdhsa_kernel _ZN7rocprim17ROCPRIM_400000_NS6detail17trampoline_kernelINS0_14default_configENS1_27scan_by_key_config_selectorIssEEZZNS1_16scan_by_key_implILNS1_25lookback_scan_determinismE0ELb0ES3_N6thrust23THRUST_200600_302600_NS6detail15normal_iteratorINS9_10device_ptrIsEEEESE_SE_sNS9_4plusIsEE19head_flag_predicatesEE10hipError_tPvRmT2_T3_T4_T5_mT6_T7_P12ihipStream_tbENKUlT_T0_E_clISt17integral_constantIbLb1EESX_IbLb0EEEEDaST_SU_EUlST_E_NS1_11comp_targetILNS1_3genE8ELNS1_11target_archE1030ELNS1_3gpuE2ELNS1_3repE0EEENS1_30default_config_static_selectorELNS0_4arch9wavefront6targetE1EEEvT1_
		.amdhsa_group_segment_fixed_size 0
		.amdhsa_private_segment_fixed_size 0
		.amdhsa_kernarg_size 112
		.amdhsa_user_sgpr_count 2
		.amdhsa_user_sgpr_dispatch_ptr 0
		.amdhsa_user_sgpr_queue_ptr 0
		.amdhsa_user_sgpr_kernarg_segment_ptr 1
		.amdhsa_user_sgpr_dispatch_id 0
		.amdhsa_user_sgpr_kernarg_preload_length 0
		.amdhsa_user_sgpr_kernarg_preload_offset 0
		.amdhsa_user_sgpr_private_segment_size 0
		.amdhsa_uses_dynamic_stack 0
		.amdhsa_enable_private_segment 0
		.amdhsa_system_sgpr_workgroup_id_x 1
		.amdhsa_system_sgpr_workgroup_id_y 0
		.amdhsa_system_sgpr_workgroup_id_z 0
		.amdhsa_system_sgpr_workgroup_info 0
		.amdhsa_system_vgpr_workitem_id 0
		.amdhsa_next_free_vgpr 1
		.amdhsa_next_free_sgpr 0
		.amdhsa_accum_offset 4
		.amdhsa_reserve_vcc 0
		.amdhsa_float_round_mode_32 0
		.amdhsa_float_round_mode_16_64 0
		.amdhsa_float_denorm_mode_32 3
		.amdhsa_float_denorm_mode_16_64 3
		.amdhsa_dx10_clamp 1
		.amdhsa_ieee_mode 1
		.amdhsa_fp16_overflow 0
		.amdhsa_tg_split 0
		.amdhsa_exception_fp_ieee_invalid_op 0
		.amdhsa_exception_fp_denorm_src 0
		.amdhsa_exception_fp_ieee_div_zero 0
		.amdhsa_exception_fp_ieee_overflow 0
		.amdhsa_exception_fp_ieee_underflow 0
		.amdhsa_exception_fp_ieee_inexact 0
		.amdhsa_exception_int_div_zero 0
	.end_amdhsa_kernel
	.section	.text._ZN7rocprim17ROCPRIM_400000_NS6detail17trampoline_kernelINS0_14default_configENS1_27scan_by_key_config_selectorIssEEZZNS1_16scan_by_key_implILNS1_25lookback_scan_determinismE0ELb0ES3_N6thrust23THRUST_200600_302600_NS6detail15normal_iteratorINS9_10device_ptrIsEEEESE_SE_sNS9_4plusIsEE19head_flag_predicatesEE10hipError_tPvRmT2_T3_T4_T5_mT6_T7_P12ihipStream_tbENKUlT_T0_E_clISt17integral_constantIbLb1EESX_IbLb0EEEEDaST_SU_EUlST_E_NS1_11comp_targetILNS1_3genE8ELNS1_11target_archE1030ELNS1_3gpuE2ELNS1_3repE0EEENS1_30default_config_static_selectorELNS0_4arch9wavefront6targetE1EEEvT1_,"axG",@progbits,_ZN7rocprim17ROCPRIM_400000_NS6detail17trampoline_kernelINS0_14default_configENS1_27scan_by_key_config_selectorIssEEZZNS1_16scan_by_key_implILNS1_25lookback_scan_determinismE0ELb0ES3_N6thrust23THRUST_200600_302600_NS6detail15normal_iteratorINS9_10device_ptrIsEEEESE_SE_sNS9_4plusIsEE19head_flag_predicatesEE10hipError_tPvRmT2_T3_T4_T5_mT6_T7_P12ihipStream_tbENKUlT_T0_E_clISt17integral_constantIbLb1EESX_IbLb0EEEEDaST_SU_EUlST_E_NS1_11comp_targetILNS1_3genE8ELNS1_11target_archE1030ELNS1_3gpuE2ELNS1_3repE0EEENS1_30default_config_static_selectorELNS0_4arch9wavefront6targetE1EEEvT1_,comdat
.Lfunc_end847:
	.size	_ZN7rocprim17ROCPRIM_400000_NS6detail17trampoline_kernelINS0_14default_configENS1_27scan_by_key_config_selectorIssEEZZNS1_16scan_by_key_implILNS1_25lookback_scan_determinismE0ELb0ES3_N6thrust23THRUST_200600_302600_NS6detail15normal_iteratorINS9_10device_ptrIsEEEESE_SE_sNS9_4plusIsEE19head_flag_predicatesEE10hipError_tPvRmT2_T3_T4_T5_mT6_T7_P12ihipStream_tbENKUlT_T0_E_clISt17integral_constantIbLb1EESX_IbLb0EEEEDaST_SU_EUlST_E_NS1_11comp_targetILNS1_3genE8ELNS1_11target_archE1030ELNS1_3gpuE2ELNS1_3repE0EEENS1_30default_config_static_selectorELNS0_4arch9wavefront6targetE1EEEvT1_, .Lfunc_end847-_ZN7rocprim17ROCPRIM_400000_NS6detail17trampoline_kernelINS0_14default_configENS1_27scan_by_key_config_selectorIssEEZZNS1_16scan_by_key_implILNS1_25lookback_scan_determinismE0ELb0ES3_N6thrust23THRUST_200600_302600_NS6detail15normal_iteratorINS9_10device_ptrIsEEEESE_SE_sNS9_4plusIsEE19head_flag_predicatesEE10hipError_tPvRmT2_T3_T4_T5_mT6_T7_P12ihipStream_tbENKUlT_T0_E_clISt17integral_constantIbLb1EESX_IbLb0EEEEDaST_SU_EUlST_E_NS1_11comp_targetILNS1_3genE8ELNS1_11target_archE1030ELNS1_3gpuE2ELNS1_3repE0EEENS1_30default_config_static_selectorELNS0_4arch9wavefront6targetE1EEEvT1_
                                        ; -- End function
	.section	.AMDGPU.csdata,"",@progbits
; Kernel info:
; codeLenInByte = 0
; NumSgprs: 6
; NumVgprs: 0
; NumAgprs: 0
; TotalNumVgprs: 0
; ScratchSize: 0
; MemoryBound: 0
; FloatMode: 240
; IeeeMode: 1
; LDSByteSize: 0 bytes/workgroup (compile time only)
; SGPRBlocks: 0
; VGPRBlocks: 0
; NumSGPRsForWavesPerEU: 6
; NumVGPRsForWavesPerEU: 1
; AccumOffset: 4
; Occupancy: 8
; WaveLimiterHint : 0
; COMPUTE_PGM_RSRC2:SCRATCH_EN: 0
; COMPUTE_PGM_RSRC2:USER_SGPR: 2
; COMPUTE_PGM_RSRC2:TRAP_HANDLER: 0
; COMPUTE_PGM_RSRC2:TGID_X_EN: 1
; COMPUTE_PGM_RSRC2:TGID_Y_EN: 0
; COMPUTE_PGM_RSRC2:TGID_Z_EN: 0
; COMPUTE_PGM_RSRC2:TIDIG_COMP_CNT: 0
; COMPUTE_PGM_RSRC3_GFX90A:ACCUM_OFFSET: 0
; COMPUTE_PGM_RSRC3_GFX90A:TG_SPLIT: 0
	.section	.text._ZN7rocprim17ROCPRIM_400000_NS6detail17trampoline_kernelINS0_14default_configENS1_27scan_by_key_config_selectorIssEEZZNS1_16scan_by_key_implILNS1_25lookback_scan_determinismE0ELb0ES3_N6thrust23THRUST_200600_302600_NS6detail15normal_iteratorINS9_10device_ptrIsEEEESE_SE_sNS9_4plusIsEE19head_flag_predicatesEE10hipError_tPvRmT2_T3_T4_T5_mT6_T7_P12ihipStream_tbENKUlT_T0_E_clISt17integral_constantIbLb0EESX_IbLb1EEEEDaST_SU_EUlST_E_NS1_11comp_targetILNS1_3genE0ELNS1_11target_archE4294967295ELNS1_3gpuE0ELNS1_3repE0EEENS1_30default_config_static_selectorELNS0_4arch9wavefront6targetE1EEEvT1_,"axG",@progbits,_ZN7rocprim17ROCPRIM_400000_NS6detail17trampoline_kernelINS0_14default_configENS1_27scan_by_key_config_selectorIssEEZZNS1_16scan_by_key_implILNS1_25lookback_scan_determinismE0ELb0ES3_N6thrust23THRUST_200600_302600_NS6detail15normal_iteratorINS9_10device_ptrIsEEEESE_SE_sNS9_4plusIsEE19head_flag_predicatesEE10hipError_tPvRmT2_T3_T4_T5_mT6_T7_P12ihipStream_tbENKUlT_T0_E_clISt17integral_constantIbLb0EESX_IbLb1EEEEDaST_SU_EUlST_E_NS1_11comp_targetILNS1_3genE0ELNS1_11target_archE4294967295ELNS1_3gpuE0ELNS1_3repE0EEENS1_30default_config_static_selectorELNS0_4arch9wavefront6targetE1EEEvT1_,comdat
	.protected	_ZN7rocprim17ROCPRIM_400000_NS6detail17trampoline_kernelINS0_14default_configENS1_27scan_by_key_config_selectorIssEEZZNS1_16scan_by_key_implILNS1_25lookback_scan_determinismE0ELb0ES3_N6thrust23THRUST_200600_302600_NS6detail15normal_iteratorINS9_10device_ptrIsEEEESE_SE_sNS9_4plusIsEE19head_flag_predicatesEE10hipError_tPvRmT2_T3_T4_T5_mT6_T7_P12ihipStream_tbENKUlT_T0_E_clISt17integral_constantIbLb0EESX_IbLb1EEEEDaST_SU_EUlST_E_NS1_11comp_targetILNS1_3genE0ELNS1_11target_archE4294967295ELNS1_3gpuE0ELNS1_3repE0EEENS1_30default_config_static_selectorELNS0_4arch9wavefront6targetE1EEEvT1_ ; -- Begin function _ZN7rocprim17ROCPRIM_400000_NS6detail17trampoline_kernelINS0_14default_configENS1_27scan_by_key_config_selectorIssEEZZNS1_16scan_by_key_implILNS1_25lookback_scan_determinismE0ELb0ES3_N6thrust23THRUST_200600_302600_NS6detail15normal_iteratorINS9_10device_ptrIsEEEESE_SE_sNS9_4plusIsEE19head_flag_predicatesEE10hipError_tPvRmT2_T3_T4_T5_mT6_T7_P12ihipStream_tbENKUlT_T0_E_clISt17integral_constantIbLb0EESX_IbLb1EEEEDaST_SU_EUlST_E_NS1_11comp_targetILNS1_3genE0ELNS1_11target_archE4294967295ELNS1_3gpuE0ELNS1_3repE0EEENS1_30default_config_static_selectorELNS0_4arch9wavefront6targetE1EEEvT1_
	.globl	_ZN7rocprim17ROCPRIM_400000_NS6detail17trampoline_kernelINS0_14default_configENS1_27scan_by_key_config_selectorIssEEZZNS1_16scan_by_key_implILNS1_25lookback_scan_determinismE0ELb0ES3_N6thrust23THRUST_200600_302600_NS6detail15normal_iteratorINS9_10device_ptrIsEEEESE_SE_sNS9_4plusIsEE19head_flag_predicatesEE10hipError_tPvRmT2_T3_T4_T5_mT6_T7_P12ihipStream_tbENKUlT_T0_E_clISt17integral_constantIbLb0EESX_IbLb1EEEEDaST_SU_EUlST_E_NS1_11comp_targetILNS1_3genE0ELNS1_11target_archE4294967295ELNS1_3gpuE0ELNS1_3repE0EEENS1_30default_config_static_selectorELNS0_4arch9wavefront6targetE1EEEvT1_
	.p2align	8
	.type	_ZN7rocprim17ROCPRIM_400000_NS6detail17trampoline_kernelINS0_14default_configENS1_27scan_by_key_config_selectorIssEEZZNS1_16scan_by_key_implILNS1_25lookback_scan_determinismE0ELb0ES3_N6thrust23THRUST_200600_302600_NS6detail15normal_iteratorINS9_10device_ptrIsEEEESE_SE_sNS9_4plusIsEE19head_flag_predicatesEE10hipError_tPvRmT2_T3_T4_T5_mT6_T7_P12ihipStream_tbENKUlT_T0_E_clISt17integral_constantIbLb0EESX_IbLb1EEEEDaST_SU_EUlST_E_NS1_11comp_targetILNS1_3genE0ELNS1_11target_archE4294967295ELNS1_3gpuE0ELNS1_3repE0EEENS1_30default_config_static_selectorELNS0_4arch9wavefront6targetE1EEEvT1_,@function
_ZN7rocprim17ROCPRIM_400000_NS6detail17trampoline_kernelINS0_14default_configENS1_27scan_by_key_config_selectorIssEEZZNS1_16scan_by_key_implILNS1_25lookback_scan_determinismE0ELb0ES3_N6thrust23THRUST_200600_302600_NS6detail15normal_iteratorINS9_10device_ptrIsEEEESE_SE_sNS9_4plusIsEE19head_flag_predicatesEE10hipError_tPvRmT2_T3_T4_T5_mT6_T7_P12ihipStream_tbENKUlT_T0_E_clISt17integral_constantIbLb0EESX_IbLb1EEEEDaST_SU_EUlST_E_NS1_11comp_targetILNS1_3genE0ELNS1_11target_archE4294967295ELNS1_3gpuE0ELNS1_3repE0EEENS1_30default_config_static_selectorELNS0_4arch9wavefront6targetE1EEEvT1_: ; @_ZN7rocprim17ROCPRIM_400000_NS6detail17trampoline_kernelINS0_14default_configENS1_27scan_by_key_config_selectorIssEEZZNS1_16scan_by_key_implILNS1_25lookback_scan_determinismE0ELb0ES3_N6thrust23THRUST_200600_302600_NS6detail15normal_iteratorINS9_10device_ptrIsEEEESE_SE_sNS9_4plusIsEE19head_flag_predicatesEE10hipError_tPvRmT2_T3_T4_T5_mT6_T7_P12ihipStream_tbENKUlT_T0_E_clISt17integral_constantIbLb0EESX_IbLb1EEEEDaST_SU_EUlST_E_NS1_11comp_targetILNS1_3genE0ELNS1_11target_archE4294967295ELNS1_3gpuE0ELNS1_3repE0EEENS1_30default_config_static_selectorELNS0_4arch9wavefront6targetE1EEEvT1_
; %bb.0:
	.section	.rodata,"a",@progbits
	.p2align	6, 0x0
	.amdhsa_kernel _ZN7rocprim17ROCPRIM_400000_NS6detail17trampoline_kernelINS0_14default_configENS1_27scan_by_key_config_selectorIssEEZZNS1_16scan_by_key_implILNS1_25lookback_scan_determinismE0ELb0ES3_N6thrust23THRUST_200600_302600_NS6detail15normal_iteratorINS9_10device_ptrIsEEEESE_SE_sNS9_4plusIsEE19head_flag_predicatesEE10hipError_tPvRmT2_T3_T4_T5_mT6_T7_P12ihipStream_tbENKUlT_T0_E_clISt17integral_constantIbLb0EESX_IbLb1EEEEDaST_SU_EUlST_E_NS1_11comp_targetILNS1_3genE0ELNS1_11target_archE4294967295ELNS1_3gpuE0ELNS1_3repE0EEENS1_30default_config_static_selectorELNS0_4arch9wavefront6targetE1EEEvT1_
		.amdhsa_group_segment_fixed_size 0
		.amdhsa_private_segment_fixed_size 0
		.amdhsa_kernarg_size 112
		.amdhsa_user_sgpr_count 2
		.amdhsa_user_sgpr_dispatch_ptr 0
		.amdhsa_user_sgpr_queue_ptr 0
		.amdhsa_user_sgpr_kernarg_segment_ptr 1
		.amdhsa_user_sgpr_dispatch_id 0
		.amdhsa_user_sgpr_kernarg_preload_length 0
		.amdhsa_user_sgpr_kernarg_preload_offset 0
		.amdhsa_user_sgpr_private_segment_size 0
		.amdhsa_uses_dynamic_stack 0
		.amdhsa_enable_private_segment 0
		.amdhsa_system_sgpr_workgroup_id_x 1
		.amdhsa_system_sgpr_workgroup_id_y 0
		.amdhsa_system_sgpr_workgroup_id_z 0
		.amdhsa_system_sgpr_workgroup_info 0
		.amdhsa_system_vgpr_workitem_id 0
		.amdhsa_next_free_vgpr 1
		.amdhsa_next_free_sgpr 0
		.amdhsa_accum_offset 4
		.amdhsa_reserve_vcc 0
		.amdhsa_float_round_mode_32 0
		.amdhsa_float_round_mode_16_64 0
		.amdhsa_float_denorm_mode_32 3
		.amdhsa_float_denorm_mode_16_64 3
		.amdhsa_dx10_clamp 1
		.amdhsa_ieee_mode 1
		.amdhsa_fp16_overflow 0
		.amdhsa_tg_split 0
		.amdhsa_exception_fp_ieee_invalid_op 0
		.amdhsa_exception_fp_denorm_src 0
		.amdhsa_exception_fp_ieee_div_zero 0
		.amdhsa_exception_fp_ieee_overflow 0
		.amdhsa_exception_fp_ieee_underflow 0
		.amdhsa_exception_fp_ieee_inexact 0
		.amdhsa_exception_int_div_zero 0
	.end_amdhsa_kernel
	.section	.text._ZN7rocprim17ROCPRIM_400000_NS6detail17trampoline_kernelINS0_14default_configENS1_27scan_by_key_config_selectorIssEEZZNS1_16scan_by_key_implILNS1_25lookback_scan_determinismE0ELb0ES3_N6thrust23THRUST_200600_302600_NS6detail15normal_iteratorINS9_10device_ptrIsEEEESE_SE_sNS9_4plusIsEE19head_flag_predicatesEE10hipError_tPvRmT2_T3_T4_T5_mT6_T7_P12ihipStream_tbENKUlT_T0_E_clISt17integral_constantIbLb0EESX_IbLb1EEEEDaST_SU_EUlST_E_NS1_11comp_targetILNS1_3genE0ELNS1_11target_archE4294967295ELNS1_3gpuE0ELNS1_3repE0EEENS1_30default_config_static_selectorELNS0_4arch9wavefront6targetE1EEEvT1_,"axG",@progbits,_ZN7rocprim17ROCPRIM_400000_NS6detail17trampoline_kernelINS0_14default_configENS1_27scan_by_key_config_selectorIssEEZZNS1_16scan_by_key_implILNS1_25lookback_scan_determinismE0ELb0ES3_N6thrust23THRUST_200600_302600_NS6detail15normal_iteratorINS9_10device_ptrIsEEEESE_SE_sNS9_4plusIsEE19head_flag_predicatesEE10hipError_tPvRmT2_T3_T4_T5_mT6_T7_P12ihipStream_tbENKUlT_T0_E_clISt17integral_constantIbLb0EESX_IbLb1EEEEDaST_SU_EUlST_E_NS1_11comp_targetILNS1_3genE0ELNS1_11target_archE4294967295ELNS1_3gpuE0ELNS1_3repE0EEENS1_30default_config_static_selectorELNS0_4arch9wavefront6targetE1EEEvT1_,comdat
.Lfunc_end848:
	.size	_ZN7rocprim17ROCPRIM_400000_NS6detail17trampoline_kernelINS0_14default_configENS1_27scan_by_key_config_selectorIssEEZZNS1_16scan_by_key_implILNS1_25lookback_scan_determinismE0ELb0ES3_N6thrust23THRUST_200600_302600_NS6detail15normal_iteratorINS9_10device_ptrIsEEEESE_SE_sNS9_4plusIsEE19head_flag_predicatesEE10hipError_tPvRmT2_T3_T4_T5_mT6_T7_P12ihipStream_tbENKUlT_T0_E_clISt17integral_constantIbLb0EESX_IbLb1EEEEDaST_SU_EUlST_E_NS1_11comp_targetILNS1_3genE0ELNS1_11target_archE4294967295ELNS1_3gpuE0ELNS1_3repE0EEENS1_30default_config_static_selectorELNS0_4arch9wavefront6targetE1EEEvT1_, .Lfunc_end848-_ZN7rocprim17ROCPRIM_400000_NS6detail17trampoline_kernelINS0_14default_configENS1_27scan_by_key_config_selectorIssEEZZNS1_16scan_by_key_implILNS1_25lookback_scan_determinismE0ELb0ES3_N6thrust23THRUST_200600_302600_NS6detail15normal_iteratorINS9_10device_ptrIsEEEESE_SE_sNS9_4plusIsEE19head_flag_predicatesEE10hipError_tPvRmT2_T3_T4_T5_mT6_T7_P12ihipStream_tbENKUlT_T0_E_clISt17integral_constantIbLb0EESX_IbLb1EEEEDaST_SU_EUlST_E_NS1_11comp_targetILNS1_3genE0ELNS1_11target_archE4294967295ELNS1_3gpuE0ELNS1_3repE0EEENS1_30default_config_static_selectorELNS0_4arch9wavefront6targetE1EEEvT1_
                                        ; -- End function
	.section	.AMDGPU.csdata,"",@progbits
; Kernel info:
; codeLenInByte = 0
; NumSgprs: 6
; NumVgprs: 0
; NumAgprs: 0
; TotalNumVgprs: 0
; ScratchSize: 0
; MemoryBound: 0
; FloatMode: 240
; IeeeMode: 1
; LDSByteSize: 0 bytes/workgroup (compile time only)
; SGPRBlocks: 0
; VGPRBlocks: 0
; NumSGPRsForWavesPerEU: 6
; NumVGPRsForWavesPerEU: 1
; AccumOffset: 4
; Occupancy: 8
; WaveLimiterHint : 0
; COMPUTE_PGM_RSRC2:SCRATCH_EN: 0
; COMPUTE_PGM_RSRC2:USER_SGPR: 2
; COMPUTE_PGM_RSRC2:TRAP_HANDLER: 0
; COMPUTE_PGM_RSRC2:TGID_X_EN: 1
; COMPUTE_PGM_RSRC2:TGID_Y_EN: 0
; COMPUTE_PGM_RSRC2:TGID_Z_EN: 0
; COMPUTE_PGM_RSRC2:TIDIG_COMP_CNT: 0
; COMPUTE_PGM_RSRC3_GFX90A:ACCUM_OFFSET: 0
; COMPUTE_PGM_RSRC3_GFX90A:TG_SPLIT: 0
	.section	.text._ZN7rocprim17ROCPRIM_400000_NS6detail17trampoline_kernelINS0_14default_configENS1_27scan_by_key_config_selectorIssEEZZNS1_16scan_by_key_implILNS1_25lookback_scan_determinismE0ELb0ES3_N6thrust23THRUST_200600_302600_NS6detail15normal_iteratorINS9_10device_ptrIsEEEESE_SE_sNS9_4plusIsEE19head_flag_predicatesEE10hipError_tPvRmT2_T3_T4_T5_mT6_T7_P12ihipStream_tbENKUlT_T0_E_clISt17integral_constantIbLb0EESX_IbLb1EEEEDaST_SU_EUlST_E_NS1_11comp_targetILNS1_3genE10ELNS1_11target_archE1201ELNS1_3gpuE5ELNS1_3repE0EEENS1_30default_config_static_selectorELNS0_4arch9wavefront6targetE1EEEvT1_,"axG",@progbits,_ZN7rocprim17ROCPRIM_400000_NS6detail17trampoline_kernelINS0_14default_configENS1_27scan_by_key_config_selectorIssEEZZNS1_16scan_by_key_implILNS1_25lookback_scan_determinismE0ELb0ES3_N6thrust23THRUST_200600_302600_NS6detail15normal_iteratorINS9_10device_ptrIsEEEESE_SE_sNS9_4plusIsEE19head_flag_predicatesEE10hipError_tPvRmT2_T3_T4_T5_mT6_T7_P12ihipStream_tbENKUlT_T0_E_clISt17integral_constantIbLb0EESX_IbLb1EEEEDaST_SU_EUlST_E_NS1_11comp_targetILNS1_3genE10ELNS1_11target_archE1201ELNS1_3gpuE5ELNS1_3repE0EEENS1_30default_config_static_selectorELNS0_4arch9wavefront6targetE1EEEvT1_,comdat
	.protected	_ZN7rocprim17ROCPRIM_400000_NS6detail17trampoline_kernelINS0_14default_configENS1_27scan_by_key_config_selectorIssEEZZNS1_16scan_by_key_implILNS1_25lookback_scan_determinismE0ELb0ES3_N6thrust23THRUST_200600_302600_NS6detail15normal_iteratorINS9_10device_ptrIsEEEESE_SE_sNS9_4plusIsEE19head_flag_predicatesEE10hipError_tPvRmT2_T3_T4_T5_mT6_T7_P12ihipStream_tbENKUlT_T0_E_clISt17integral_constantIbLb0EESX_IbLb1EEEEDaST_SU_EUlST_E_NS1_11comp_targetILNS1_3genE10ELNS1_11target_archE1201ELNS1_3gpuE5ELNS1_3repE0EEENS1_30default_config_static_selectorELNS0_4arch9wavefront6targetE1EEEvT1_ ; -- Begin function _ZN7rocprim17ROCPRIM_400000_NS6detail17trampoline_kernelINS0_14default_configENS1_27scan_by_key_config_selectorIssEEZZNS1_16scan_by_key_implILNS1_25lookback_scan_determinismE0ELb0ES3_N6thrust23THRUST_200600_302600_NS6detail15normal_iteratorINS9_10device_ptrIsEEEESE_SE_sNS9_4plusIsEE19head_flag_predicatesEE10hipError_tPvRmT2_T3_T4_T5_mT6_T7_P12ihipStream_tbENKUlT_T0_E_clISt17integral_constantIbLb0EESX_IbLb1EEEEDaST_SU_EUlST_E_NS1_11comp_targetILNS1_3genE10ELNS1_11target_archE1201ELNS1_3gpuE5ELNS1_3repE0EEENS1_30default_config_static_selectorELNS0_4arch9wavefront6targetE1EEEvT1_
	.globl	_ZN7rocprim17ROCPRIM_400000_NS6detail17trampoline_kernelINS0_14default_configENS1_27scan_by_key_config_selectorIssEEZZNS1_16scan_by_key_implILNS1_25lookback_scan_determinismE0ELb0ES3_N6thrust23THRUST_200600_302600_NS6detail15normal_iteratorINS9_10device_ptrIsEEEESE_SE_sNS9_4plusIsEE19head_flag_predicatesEE10hipError_tPvRmT2_T3_T4_T5_mT6_T7_P12ihipStream_tbENKUlT_T0_E_clISt17integral_constantIbLb0EESX_IbLb1EEEEDaST_SU_EUlST_E_NS1_11comp_targetILNS1_3genE10ELNS1_11target_archE1201ELNS1_3gpuE5ELNS1_3repE0EEENS1_30default_config_static_selectorELNS0_4arch9wavefront6targetE1EEEvT1_
	.p2align	8
	.type	_ZN7rocprim17ROCPRIM_400000_NS6detail17trampoline_kernelINS0_14default_configENS1_27scan_by_key_config_selectorIssEEZZNS1_16scan_by_key_implILNS1_25lookback_scan_determinismE0ELb0ES3_N6thrust23THRUST_200600_302600_NS6detail15normal_iteratorINS9_10device_ptrIsEEEESE_SE_sNS9_4plusIsEE19head_flag_predicatesEE10hipError_tPvRmT2_T3_T4_T5_mT6_T7_P12ihipStream_tbENKUlT_T0_E_clISt17integral_constantIbLb0EESX_IbLb1EEEEDaST_SU_EUlST_E_NS1_11comp_targetILNS1_3genE10ELNS1_11target_archE1201ELNS1_3gpuE5ELNS1_3repE0EEENS1_30default_config_static_selectorELNS0_4arch9wavefront6targetE1EEEvT1_,@function
_ZN7rocprim17ROCPRIM_400000_NS6detail17trampoline_kernelINS0_14default_configENS1_27scan_by_key_config_selectorIssEEZZNS1_16scan_by_key_implILNS1_25lookback_scan_determinismE0ELb0ES3_N6thrust23THRUST_200600_302600_NS6detail15normal_iteratorINS9_10device_ptrIsEEEESE_SE_sNS9_4plusIsEE19head_flag_predicatesEE10hipError_tPvRmT2_T3_T4_T5_mT6_T7_P12ihipStream_tbENKUlT_T0_E_clISt17integral_constantIbLb0EESX_IbLb1EEEEDaST_SU_EUlST_E_NS1_11comp_targetILNS1_3genE10ELNS1_11target_archE1201ELNS1_3gpuE5ELNS1_3repE0EEENS1_30default_config_static_selectorELNS0_4arch9wavefront6targetE1EEEvT1_: ; @_ZN7rocprim17ROCPRIM_400000_NS6detail17trampoline_kernelINS0_14default_configENS1_27scan_by_key_config_selectorIssEEZZNS1_16scan_by_key_implILNS1_25lookback_scan_determinismE0ELb0ES3_N6thrust23THRUST_200600_302600_NS6detail15normal_iteratorINS9_10device_ptrIsEEEESE_SE_sNS9_4plusIsEE19head_flag_predicatesEE10hipError_tPvRmT2_T3_T4_T5_mT6_T7_P12ihipStream_tbENKUlT_T0_E_clISt17integral_constantIbLb0EESX_IbLb1EEEEDaST_SU_EUlST_E_NS1_11comp_targetILNS1_3genE10ELNS1_11target_archE1201ELNS1_3gpuE5ELNS1_3repE0EEENS1_30default_config_static_selectorELNS0_4arch9wavefront6targetE1EEEvT1_
; %bb.0:
	.section	.rodata,"a",@progbits
	.p2align	6, 0x0
	.amdhsa_kernel _ZN7rocprim17ROCPRIM_400000_NS6detail17trampoline_kernelINS0_14default_configENS1_27scan_by_key_config_selectorIssEEZZNS1_16scan_by_key_implILNS1_25lookback_scan_determinismE0ELb0ES3_N6thrust23THRUST_200600_302600_NS6detail15normal_iteratorINS9_10device_ptrIsEEEESE_SE_sNS9_4plusIsEE19head_flag_predicatesEE10hipError_tPvRmT2_T3_T4_T5_mT6_T7_P12ihipStream_tbENKUlT_T0_E_clISt17integral_constantIbLb0EESX_IbLb1EEEEDaST_SU_EUlST_E_NS1_11comp_targetILNS1_3genE10ELNS1_11target_archE1201ELNS1_3gpuE5ELNS1_3repE0EEENS1_30default_config_static_selectorELNS0_4arch9wavefront6targetE1EEEvT1_
		.amdhsa_group_segment_fixed_size 0
		.amdhsa_private_segment_fixed_size 0
		.amdhsa_kernarg_size 112
		.amdhsa_user_sgpr_count 2
		.amdhsa_user_sgpr_dispatch_ptr 0
		.amdhsa_user_sgpr_queue_ptr 0
		.amdhsa_user_sgpr_kernarg_segment_ptr 1
		.amdhsa_user_sgpr_dispatch_id 0
		.amdhsa_user_sgpr_kernarg_preload_length 0
		.amdhsa_user_sgpr_kernarg_preload_offset 0
		.amdhsa_user_sgpr_private_segment_size 0
		.amdhsa_uses_dynamic_stack 0
		.amdhsa_enable_private_segment 0
		.amdhsa_system_sgpr_workgroup_id_x 1
		.amdhsa_system_sgpr_workgroup_id_y 0
		.amdhsa_system_sgpr_workgroup_id_z 0
		.amdhsa_system_sgpr_workgroup_info 0
		.amdhsa_system_vgpr_workitem_id 0
		.amdhsa_next_free_vgpr 1
		.amdhsa_next_free_sgpr 0
		.amdhsa_accum_offset 4
		.amdhsa_reserve_vcc 0
		.amdhsa_float_round_mode_32 0
		.amdhsa_float_round_mode_16_64 0
		.amdhsa_float_denorm_mode_32 3
		.amdhsa_float_denorm_mode_16_64 3
		.amdhsa_dx10_clamp 1
		.amdhsa_ieee_mode 1
		.amdhsa_fp16_overflow 0
		.amdhsa_tg_split 0
		.amdhsa_exception_fp_ieee_invalid_op 0
		.amdhsa_exception_fp_denorm_src 0
		.amdhsa_exception_fp_ieee_div_zero 0
		.amdhsa_exception_fp_ieee_overflow 0
		.amdhsa_exception_fp_ieee_underflow 0
		.amdhsa_exception_fp_ieee_inexact 0
		.amdhsa_exception_int_div_zero 0
	.end_amdhsa_kernel
	.section	.text._ZN7rocprim17ROCPRIM_400000_NS6detail17trampoline_kernelINS0_14default_configENS1_27scan_by_key_config_selectorIssEEZZNS1_16scan_by_key_implILNS1_25lookback_scan_determinismE0ELb0ES3_N6thrust23THRUST_200600_302600_NS6detail15normal_iteratorINS9_10device_ptrIsEEEESE_SE_sNS9_4plusIsEE19head_flag_predicatesEE10hipError_tPvRmT2_T3_T4_T5_mT6_T7_P12ihipStream_tbENKUlT_T0_E_clISt17integral_constantIbLb0EESX_IbLb1EEEEDaST_SU_EUlST_E_NS1_11comp_targetILNS1_3genE10ELNS1_11target_archE1201ELNS1_3gpuE5ELNS1_3repE0EEENS1_30default_config_static_selectorELNS0_4arch9wavefront6targetE1EEEvT1_,"axG",@progbits,_ZN7rocprim17ROCPRIM_400000_NS6detail17trampoline_kernelINS0_14default_configENS1_27scan_by_key_config_selectorIssEEZZNS1_16scan_by_key_implILNS1_25lookback_scan_determinismE0ELb0ES3_N6thrust23THRUST_200600_302600_NS6detail15normal_iteratorINS9_10device_ptrIsEEEESE_SE_sNS9_4plusIsEE19head_flag_predicatesEE10hipError_tPvRmT2_T3_T4_T5_mT6_T7_P12ihipStream_tbENKUlT_T0_E_clISt17integral_constantIbLb0EESX_IbLb1EEEEDaST_SU_EUlST_E_NS1_11comp_targetILNS1_3genE10ELNS1_11target_archE1201ELNS1_3gpuE5ELNS1_3repE0EEENS1_30default_config_static_selectorELNS0_4arch9wavefront6targetE1EEEvT1_,comdat
.Lfunc_end849:
	.size	_ZN7rocprim17ROCPRIM_400000_NS6detail17trampoline_kernelINS0_14default_configENS1_27scan_by_key_config_selectorIssEEZZNS1_16scan_by_key_implILNS1_25lookback_scan_determinismE0ELb0ES3_N6thrust23THRUST_200600_302600_NS6detail15normal_iteratorINS9_10device_ptrIsEEEESE_SE_sNS9_4plusIsEE19head_flag_predicatesEE10hipError_tPvRmT2_T3_T4_T5_mT6_T7_P12ihipStream_tbENKUlT_T0_E_clISt17integral_constantIbLb0EESX_IbLb1EEEEDaST_SU_EUlST_E_NS1_11comp_targetILNS1_3genE10ELNS1_11target_archE1201ELNS1_3gpuE5ELNS1_3repE0EEENS1_30default_config_static_selectorELNS0_4arch9wavefront6targetE1EEEvT1_, .Lfunc_end849-_ZN7rocprim17ROCPRIM_400000_NS6detail17trampoline_kernelINS0_14default_configENS1_27scan_by_key_config_selectorIssEEZZNS1_16scan_by_key_implILNS1_25lookback_scan_determinismE0ELb0ES3_N6thrust23THRUST_200600_302600_NS6detail15normal_iteratorINS9_10device_ptrIsEEEESE_SE_sNS9_4plusIsEE19head_flag_predicatesEE10hipError_tPvRmT2_T3_T4_T5_mT6_T7_P12ihipStream_tbENKUlT_T0_E_clISt17integral_constantIbLb0EESX_IbLb1EEEEDaST_SU_EUlST_E_NS1_11comp_targetILNS1_3genE10ELNS1_11target_archE1201ELNS1_3gpuE5ELNS1_3repE0EEENS1_30default_config_static_selectorELNS0_4arch9wavefront6targetE1EEEvT1_
                                        ; -- End function
	.section	.AMDGPU.csdata,"",@progbits
; Kernel info:
; codeLenInByte = 0
; NumSgprs: 6
; NumVgprs: 0
; NumAgprs: 0
; TotalNumVgprs: 0
; ScratchSize: 0
; MemoryBound: 0
; FloatMode: 240
; IeeeMode: 1
; LDSByteSize: 0 bytes/workgroup (compile time only)
; SGPRBlocks: 0
; VGPRBlocks: 0
; NumSGPRsForWavesPerEU: 6
; NumVGPRsForWavesPerEU: 1
; AccumOffset: 4
; Occupancy: 8
; WaveLimiterHint : 0
; COMPUTE_PGM_RSRC2:SCRATCH_EN: 0
; COMPUTE_PGM_RSRC2:USER_SGPR: 2
; COMPUTE_PGM_RSRC2:TRAP_HANDLER: 0
; COMPUTE_PGM_RSRC2:TGID_X_EN: 1
; COMPUTE_PGM_RSRC2:TGID_Y_EN: 0
; COMPUTE_PGM_RSRC2:TGID_Z_EN: 0
; COMPUTE_PGM_RSRC2:TIDIG_COMP_CNT: 0
; COMPUTE_PGM_RSRC3_GFX90A:ACCUM_OFFSET: 0
; COMPUTE_PGM_RSRC3_GFX90A:TG_SPLIT: 0
	.section	.text._ZN7rocprim17ROCPRIM_400000_NS6detail17trampoline_kernelINS0_14default_configENS1_27scan_by_key_config_selectorIssEEZZNS1_16scan_by_key_implILNS1_25lookback_scan_determinismE0ELb0ES3_N6thrust23THRUST_200600_302600_NS6detail15normal_iteratorINS9_10device_ptrIsEEEESE_SE_sNS9_4plusIsEE19head_flag_predicatesEE10hipError_tPvRmT2_T3_T4_T5_mT6_T7_P12ihipStream_tbENKUlT_T0_E_clISt17integral_constantIbLb0EESX_IbLb1EEEEDaST_SU_EUlST_E_NS1_11comp_targetILNS1_3genE5ELNS1_11target_archE942ELNS1_3gpuE9ELNS1_3repE0EEENS1_30default_config_static_selectorELNS0_4arch9wavefront6targetE1EEEvT1_,"axG",@progbits,_ZN7rocprim17ROCPRIM_400000_NS6detail17trampoline_kernelINS0_14default_configENS1_27scan_by_key_config_selectorIssEEZZNS1_16scan_by_key_implILNS1_25lookback_scan_determinismE0ELb0ES3_N6thrust23THRUST_200600_302600_NS6detail15normal_iteratorINS9_10device_ptrIsEEEESE_SE_sNS9_4plusIsEE19head_flag_predicatesEE10hipError_tPvRmT2_T3_T4_T5_mT6_T7_P12ihipStream_tbENKUlT_T0_E_clISt17integral_constantIbLb0EESX_IbLb1EEEEDaST_SU_EUlST_E_NS1_11comp_targetILNS1_3genE5ELNS1_11target_archE942ELNS1_3gpuE9ELNS1_3repE0EEENS1_30default_config_static_selectorELNS0_4arch9wavefront6targetE1EEEvT1_,comdat
	.protected	_ZN7rocprim17ROCPRIM_400000_NS6detail17trampoline_kernelINS0_14default_configENS1_27scan_by_key_config_selectorIssEEZZNS1_16scan_by_key_implILNS1_25lookback_scan_determinismE0ELb0ES3_N6thrust23THRUST_200600_302600_NS6detail15normal_iteratorINS9_10device_ptrIsEEEESE_SE_sNS9_4plusIsEE19head_flag_predicatesEE10hipError_tPvRmT2_T3_T4_T5_mT6_T7_P12ihipStream_tbENKUlT_T0_E_clISt17integral_constantIbLb0EESX_IbLb1EEEEDaST_SU_EUlST_E_NS1_11comp_targetILNS1_3genE5ELNS1_11target_archE942ELNS1_3gpuE9ELNS1_3repE0EEENS1_30default_config_static_selectorELNS0_4arch9wavefront6targetE1EEEvT1_ ; -- Begin function _ZN7rocprim17ROCPRIM_400000_NS6detail17trampoline_kernelINS0_14default_configENS1_27scan_by_key_config_selectorIssEEZZNS1_16scan_by_key_implILNS1_25lookback_scan_determinismE0ELb0ES3_N6thrust23THRUST_200600_302600_NS6detail15normal_iteratorINS9_10device_ptrIsEEEESE_SE_sNS9_4plusIsEE19head_flag_predicatesEE10hipError_tPvRmT2_T3_T4_T5_mT6_T7_P12ihipStream_tbENKUlT_T0_E_clISt17integral_constantIbLb0EESX_IbLb1EEEEDaST_SU_EUlST_E_NS1_11comp_targetILNS1_3genE5ELNS1_11target_archE942ELNS1_3gpuE9ELNS1_3repE0EEENS1_30default_config_static_selectorELNS0_4arch9wavefront6targetE1EEEvT1_
	.globl	_ZN7rocprim17ROCPRIM_400000_NS6detail17trampoline_kernelINS0_14default_configENS1_27scan_by_key_config_selectorIssEEZZNS1_16scan_by_key_implILNS1_25lookback_scan_determinismE0ELb0ES3_N6thrust23THRUST_200600_302600_NS6detail15normal_iteratorINS9_10device_ptrIsEEEESE_SE_sNS9_4plusIsEE19head_flag_predicatesEE10hipError_tPvRmT2_T3_T4_T5_mT6_T7_P12ihipStream_tbENKUlT_T0_E_clISt17integral_constantIbLb0EESX_IbLb1EEEEDaST_SU_EUlST_E_NS1_11comp_targetILNS1_3genE5ELNS1_11target_archE942ELNS1_3gpuE9ELNS1_3repE0EEENS1_30default_config_static_selectorELNS0_4arch9wavefront6targetE1EEEvT1_
	.p2align	8
	.type	_ZN7rocprim17ROCPRIM_400000_NS6detail17trampoline_kernelINS0_14default_configENS1_27scan_by_key_config_selectorIssEEZZNS1_16scan_by_key_implILNS1_25lookback_scan_determinismE0ELb0ES3_N6thrust23THRUST_200600_302600_NS6detail15normal_iteratorINS9_10device_ptrIsEEEESE_SE_sNS9_4plusIsEE19head_flag_predicatesEE10hipError_tPvRmT2_T3_T4_T5_mT6_T7_P12ihipStream_tbENKUlT_T0_E_clISt17integral_constantIbLb0EESX_IbLb1EEEEDaST_SU_EUlST_E_NS1_11comp_targetILNS1_3genE5ELNS1_11target_archE942ELNS1_3gpuE9ELNS1_3repE0EEENS1_30default_config_static_selectorELNS0_4arch9wavefront6targetE1EEEvT1_,@function
_ZN7rocprim17ROCPRIM_400000_NS6detail17trampoline_kernelINS0_14default_configENS1_27scan_by_key_config_selectorIssEEZZNS1_16scan_by_key_implILNS1_25lookback_scan_determinismE0ELb0ES3_N6thrust23THRUST_200600_302600_NS6detail15normal_iteratorINS9_10device_ptrIsEEEESE_SE_sNS9_4plusIsEE19head_flag_predicatesEE10hipError_tPvRmT2_T3_T4_T5_mT6_T7_P12ihipStream_tbENKUlT_T0_E_clISt17integral_constantIbLb0EESX_IbLb1EEEEDaST_SU_EUlST_E_NS1_11comp_targetILNS1_3genE5ELNS1_11target_archE942ELNS1_3gpuE9ELNS1_3repE0EEENS1_30default_config_static_selectorELNS0_4arch9wavefront6targetE1EEEvT1_: ; @_ZN7rocprim17ROCPRIM_400000_NS6detail17trampoline_kernelINS0_14default_configENS1_27scan_by_key_config_selectorIssEEZZNS1_16scan_by_key_implILNS1_25lookback_scan_determinismE0ELb0ES3_N6thrust23THRUST_200600_302600_NS6detail15normal_iteratorINS9_10device_ptrIsEEEESE_SE_sNS9_4plusIsEE19head_flag_predicatesEE10hipError_tPvRmT2_T3_T4_T5_mT6_T7_P12ihipStream_tbENKUlT_T0_E_clISt17integral_constantIbLb0EESX_IbLb1EEEEDaST_SU_EUlST_E_NS1_11comp_targetILNS1_3genE5ELNS1_11target_archE942ELNS1_3gpuE9ELNS1_3repE0EEENS1_30default_config_static_selectorELNS0_4arch9wavefront6targetE1EEEvT1_
; %bb.0:
	s_load_dwordx4 s[68:71], s[0:1], 0x28
	s_load_dwordx2 s[76:77], s[0:1], 0x38
	v_cmp_ne_u32_e64 s[4:5], 0, v0
	v_cmp_eq_u32_e64 s[56:57], 0, v0
	s_and_saveexec_b64 s[2:3], s[56:57]
	s_cbranch_execz .LBB850_4
; %bb.1:
	s_mov_b64 s[8:9], exec
	v_mbcnt_lo_u32_b32 v1, s8, 0
	v_mbcnt_hi_u32_b32 v1, s9, v1
	v_cmp_eq_u32_e32 vcc, 0, v1
                                        ; implicit-def: $vgpr2
	s_and_saveexec_b64 s[6:7], vcc
	s_cbranch_execz .LBB850_3
; %bb.2:
	s_load_dwordx2 s[10:11], s[0:1], 0x68
	s_bcnt1_i32_b64 s8, s[8:9]
	v_mov_b32_e32 v2, 0
	v_mov_b32_e32 v3, s8
	s_waitcnt lgkmcnt(0)
	global_atomic_add v2, v2, v3, s[10:11] sc0
.LBB850_3:
	s_or_b64 exec, exec, s[6:7]
	s_waitcnt vmcnt(0)
	v_readfirstlane_b32 s6, v2
	v_mov_b32_e32 v2, 0
	s_nop 0
	v_add_u32_e32 v1, s6, v1
	ds_write_b32 v2, v1
.LBB850_4:
	s_or_b64 exec, exec, s[2:3]
	s_load_dwordx8 s[60:67], s[0:1], 0x0
	s_load_dword s2, s[0:1], 0x40
	s_load_dwordx4 s[72:75], s[0:1], 0x48
	v_mov_b32_e32 v3, 0
	s_waitcnt lgkmcnt(0)
	s_barrier
	ds_read_b32 v2, v3
	s_lshl_b64 s[58:59], s[62:63], 1
	s_add_u32 s6, s60, s58
	s_addc_u32 s7, s61, s59
	s_add_u32 s8, s64, s58
	s_mul_i32 s0, s77, s2
	s_mul_hi_u32 s1, s76, s2
	s_waitcnt lgkmcnt(0)
	v_readfirstlane_b32 s71, v2
	s_addc_u32 s9, s65, s59
	s_add_i32 s3, s1, s0
	s_mov_b32 s1, 0
	s_mul_i32 s0, s71, 0x1800
	s_lshl_b64 s[60:61], s[0:1], 1
	s_add_u32 s54, s6, s60
	s_addc_u32 s55, s7, s61
	s_add_u32 s0, s8, s60
	s_addc_u32 s1, s9, s61
	s_mul_i32 s2, s76, s2
	s_add_u32 s8, s72, -1
	v_lshl_add_u64 v[2:3], s[2:3], 0, v[2:3]
	s_addc_u32 s9, s73, -1
	v_cmp_le_u64_e64 s[2:3], s[8:9], v[2:3]
	s_mov_b64 s[6:7], -1
	s_and_b64 vcc, exec, s[2:3]
	s_mul_i32 s33, s8, 0xffffe800
	s_barrier
	s_barrier
	s_cbranch_vccz .LBB850_126
; %bb.5:
	v_mov_b64_e32 v[2:3], s[54:55]
	flat_load_ushort v1, v[2:3]
	s_add_i32 s78, s33, s70
	v_cmp_gt_u32_e32 vcc, s78, v0
	s_waitcnt vmcnt(0) lgkmcnt(0)
	v_mov_b32_e32 v22, v1
	s_and_saveexec_b64 s[6:7], vcc
	s_cbranch_execz .LBB850_7
; %bb.6:
	v_lshlrev_b32_e32 v2, 1, v0
	v_mov_b32_e32 v3, 0
	v_lshl_add_u64 v[2:3], s[54:55], 0, v[2:3]
	flat_load_ushort v22, v[2:3]
.LBB850_7:
	s_or_b64 exec, exec, s[6:7]
	v_or_b32_e32 v2, 0x100, v0
	v_cmp_gt_u32_e64 s[6:7], s78, v2
	v_mov_b32_e32 v23, v1
	s_and_saveexec_b64 s[8:9], s[6:7]
	s_cbranch_execz .LBB850_9
; %bb.8:
	v_lshlrev_b32_e32 v2, 1, v0
	v_mov_b32_e32 v3, 0
	v_lshl_add_u64 v[2:3], s[54:55], 0, v[2:3]
	flat_load_ushort v23, v[2:3] offset:512
.LBB850_9:
	s_or_b64 exec, exec, s[8:9]
	v_or_b32_e32 v2, 0x200, v0
	v_cmp_gt_u32_e64 s[8:9], s78, v2
	v_mov_b32_e32 v24, v1
	s_and_saveexec_b64 s[10:11], s[8:9]
	s_cbranch_execz .LBB850_11
; %bb.10:
	v_lshlrev_b32_e32 v2, 1, v0
	v_mov_b32_e32 v3, 0
	v_lshl_add_u64 v[2:3], s[54:55], 0, v[2:3]
	flat_load_ushort v24, v[2:3] offset:1024
.LBB850_11:
	;; [unrolled: 12-line block ×7, first 2 shown]
	s_or_b64 exec, exec, s[20:21]
	v_or_b32_e32 v2, 0x800, v0
	v_cmp_gt_u32_e64 s[20:21], s78, v2
	v_lshlrev_b32_e32 v2, 1, v2
	v_mov_b32_e32 v3, v1
	s_and_saveexec_b64 s[22:23], s[20:21]
	s_cbranch_execz .LBB850_23
; %bb.22:
	v_mov_b32_e32 v3, 0
	v_lshl_add_u64 v[4:5], s[54:55], 0, v[2:3]
	flat_load_ushort v3, v[4:5]
.LBB850_23:
	s_or_b64 exec, exec, s[22:23]
	v_or_b32_e32 v4, 0x900, v0
	v_cmp_gt_u32_e64 s[22:23], s78, v4
	v_lshlrev_b32_e32 v4, 1, v4
	v_mov_b32_e32 v5, v1
	s_and_saveexec_b64 s[24:25], s[22:23]
	s_cbranch_execz .LBB850_25
; %bb.24:
	v_mov_b32_e32 v5, 0
	v_lshl_add_u64 v[6:7], s[54:55], 0, v[4:5]
	flat_load_ushort v5, v[6:7]
.LBB850_25:
	;; [unrolled: 12-line block ×15, first 2 shown]
	s_or_b64 exec, exec, s[52:53]
	v_or_b32_e32 v36, 0x1700, v0
	v_cmp_gt_u32_e64 s[52:53], s78, v36
	v_lshlrev_b32_e32 v46, 1, v36
	s_and_saveexec_b64 s[62:63], s[52:53]
	s_cbranch_execz .LBB850_53
; %bb.52:
	v_mov_b32_e32 v47, 0
	v_lshl_add_u64 v[36:37], s[54:55], 0, v[46:47]
	flat_load_ushort v1, v[36:37]
.LBB850_53:
	s_or_b64 exec, exec, s[62:63]
	v_lshlrev_b32_e32 v36, 1, v0
	v_mad_u32_u24 v49, v0, 46, v36
	s_waitcnt vmcnt(0) lgkmcnt(0)
	ds_write_b16 v36, v22
	ds_write_b16 v36, v23 offset:512
	ds_write_b16 v36, v24 offset:1024
	;; [unrolled: 1-line block ×23, first 2 shown]
	s_waitcnt lgkmcnt(0)
	s_barrier
	ds_read_b128 v[22:25], v49 offset:32
	ds_read_b128 v[30:33], v49
	ds_read_b128 v[26:29], v49 offset:16
	s_movk_i32 s62, 0xffd2
	v_mad_i32_i24 v1, v0, s62, v49
	s_waitcnt lgkmcnt(2)
	v_lshrrev_b32_e32 v48, 16, v25
	ds_write_b16 v1, v48 offset:12288
	s_waitcnt lgkmcnt(0)
	s_barrier
	s_barrier
	s_waitcnt lgkmcnt(0)
                                        ; implicit-def: $vgpr1
	s_and_saveexec_b64 s[62:63], vcc
	s_cbranch_execz .LBB850_197
; %bb.54:
	v_mov_b32_e32 v37, 0
	v_lshl_add_u64 v[50:51], s[0:1], 0, v[36:37]
	flat_load_ushort v1, v[50:51]
	s_or_b64 exec, exec, s[62:63]
                                        ; implicit-def: $vgpr50
	s_and_saveexec_b64 s[62:63], s[6:7]
	s_cbranch_execnz .LBB850_198
.LBB850_55:
	s_or_b64 exec, exec, s[62:63]
                                        ; implicit-def: $vgpr51
	s_and_saveexec_b64 s[6:7], s[8:9]
	s_cbranch_execz .LBB850_199
.LBB850_56:
	v_mov_b32_e32 v37, 0
	v_lshl_add_u64 v[52:53], s[0:1], 0, v[36:37]
	flat_load_ushort v51, v[52:53] offset:1024
	s_or_b64 exec, exec, s[6:7]
                                        ; implicit-def: $vgpr52
	s_and_saveexec_b64 s[6:7], s[10:11]
	s_cbranch_execnz .LBB850_200
.LBB850_57:
	s_or_b64 exec, exec, s[6:7]
                                        ; implicit-def: $vgpr53
	s_and_saveexec_b64 s[6:7], s[12:13]
	s_cbranch_execz .LBB850_201
.LBB850_58:
	v_mov_b32_e32 v37, 0
	v_lshl_add_u64 v[54:55], s[0:1], 0, v[36:37]
	flat_load_ushort v53, v[54:55] offset:2048
	s_or_b64 exec, exec, s[6:7]
                                        ; implicit-def: $vgpr54
	s_and_saveexec_b64 s[6:7], s[14:15]
	s_cbranch_execnz .LBB850_202
.LBB850_59:
	s_or_b64 exec, exec, s[6:7]
                                        ; implicit-def: $vgpr55
	s_and_saveexec_b64 s[6:7], s[16:17]
	s_cbranch_execz .LBB850_203
.LBB850_60:
	v_mov_b32_e32 v37, 0
	v_lshl_add_u64 v[56:57], s[0:1], 0, v[36:37]
	flat_load_ushort v55, v[56:57] offset:3072
	s_or_b64 exec, exec, s[6:7]
                                        ; implicit-def: $vgpr37
	s_and_saveexec_b64 s[6:7], s[18:19]
	s_cbranch_execnz .LBB850_204
.LBB850_61:
	s_or_b64 exec, exec, s[6:7]
                                        ; implicit-def: $vgpr3
	s_and_saveexec_b64 s[6:7], s[20:21]
	s_cbranch_execz .LBB850_205
.LBB850_62:
	v_mov_b32_e32 v3, 0
	v_lshl_add_u64 v[2:3], s[0:1], 0, v[2:3]
	flat_load_ushort v3, v[2:3]
	s_or_b64 exec, exec, s[6:7]
                                        ; implicit-def: $vgpr2
	s_and_saveexec_b64 s[6:7], s[22:23]
	s_cbranch_execnz .LBB850_206
.LBB850_63:
	s_or_b64 exec, exec, s[6:7]
                                        ; implicit-def: $vgpr4
	s_and_saveexec_b64 s[6:7], s[24:25]
	s_cbranch_execz .LBB850_207
.LBB850_64:
	v_mov_b32_e32 v7, 0
	v_lshl_add_u64 v[4:5], s[0:1], 0, v[6:7]
	flat_load_ushort v4, v[4:5]
	s_or_b64 exec, exec, s[6:7]
                                        ; implicit-def: $vgpr5
	s_and_saveexec_b64 s[6:7], s[26:27]
	s_cbranch_execnz .LBB850_208
.LBB850_65:
	s_or_b64 exec, exec, s[6:7]
                                        ; implicit-def: $vgpr6
	s_and_saveexec_b64 s[6:7], s[28:29]
	s_cbranch_execz .LBB850_209
.LBB850_66:
	v_mov_b32_e32 v11, 0
	v_lshl_add_u64 v[6:7], s[0:1], 0, v[10:11]
	flat_load_ushort v6, v[6:7]
	s_or_b64 exec, exec, s[6:7]
                                        ; implicit-def: $vgpr7
	s_and_saveexec_b64 s[6:7], s[30:31]
	s_cbranch_execnz .LBB850_210
.LBB850_67:
	s_or_b64 exec, exec, s[6:7]
                                        ; implicit-def: $vgpr8
	s_and_saveexec_b64 s[6:7], s[34:35]
	s_cbranch_execz .LBB850_211
.LBB850_68:
	v_mov_b32_e32 v15, 0
	v_lshl_add_u64 v[8:9], s[0:1], 0, v[14:15]
	flat_load_ushort v8, v[8:9]
	s_or_b64 exec, exec, s[6:7]
                                        ; implicit-def: $vgpr9
	s_and_saveexec_b64 s[6:7], s[36:37]
	s_cbranch_execnz .LBB850_212
.LBB850_69:
	s_or_b64 exec, exec, s[6:7]
                                        ; implicit-def: $vgpr10
	s_and_saveexec_b64 s[6:7], s[38:39]
	s_cbranch_execz .LBB850_213
.LBB850_70:
	v_mov_b32_e32 v19, 0
	v_lshl_add_u64 v[10:11], s[0:1], 0, v[18:19]
	flat_load_ushort v10, v[10:11]
	s_or_b64 exec, exec, s[6:7]
                                        ; implicit-def: $vgpr11
	s_and_saveexec_b64 s[6:7], s[40:41]
	s_cbranch_execnz .LBB850_214
.LBB850_71:
	s_or_b64 exec, exec, s[6:7]
                                        ; implicit-def: $vgpr12
	s_and_saveexec_b64 s[6:7], s[42:43]
	s_cbranch_execz .LBB850_215
.LBB850_72:
	v_mov_b32_e32 v35, 0
	v_lshl_add_u64 v[12:13], s[0:1], 0, v[34:35]
	flat_load_ushort v12, v[12:13]
	s_or_b64 exec, exec, s[6:7]
                                        ; implicit-def: $vgpr13
	s_and_saveexec_b64 s[6:7], s[44:45]
	s_cbranch_execnz .LBB850_216
.LBB850_73:
	s_or_b64 exec, exec, s[6:7]
                                        ; implicit-def: $vgpr14
	s_and_saveexec_b64 s[6:7], s[46:47]
	s_cbranch_execz .LBB850_217
.LBB850_74:
	v_mov_b32_e32 v41, 0
	v_lshl_add_u64 v[14:15], s[0:1], 0, v[40:41]
	flat_load_ushort v14, v[14:15]
	s_or_b64 exec, exec, s[6:7]
                                        ; implicit-def: $vgpr15
	s_and_saveexec_b64 s[6:7], s[48:49]
	s_cbranch_execnz .LBB850_218
.LBB850_75:
	s_or_b64 exec, exec, s[6:7]
                                        ; implicit-def: $vgpr16
	s_and_saveexec_b64 s[6:7], s[50:51]
	s_cbranch_execz .LBB850_77
.LBB850_76:
	v_mov_b32_e32 v45, 0
	v_lshl_add_u64 v[16:17], s[0:1], 0, v[44:45]
	flat_load_ushort v16, v[16:17]
.LBB850_77:
	s_or_b64 exec, exec, s[6:7]
	v_mul_u32_u24_e32 v41, 24, v0
                                        ; implicit-def: $vgpr17
	s_and_saveexec_b64 s[6:7], s[52:53]
	s_cbranch_execz .LBB850_79
; %bb.78:
	v_mov_b32_e32 v47, 0
	v_lshl_add_u64 v[18:19], s[0:1], 0, v[46:47]
	flat_load_ushort v17, v[18:19]
.LBB850_79:
	s_or_b64 exec, exec, s[6:7]
	s_mov_b32 s8, 0
	s_mov_b32 s9, s8
	s_waitcnt vmcnt(0) lgkmcnt(0)
	ds_write_b16 v36, v1
	ds_write_b16 v36, v50 offset:512
	ds_write_b16 v36, v51 offset:1024
	;; [unrolled: 1-line block ×23, first 2 shown]
	s_mov_b32 s10, s8
	s_mov_b32 s11, s8
	;; [unrolled: 1-line block ×6, first 2 shown]
	v_mov_b64_e32 v[2:3], s[8:9]
	s_mov_b32 s18, s8
	s_mov_b32 s19, s8
	v_mov_b64_e32 v[8:9], s[14:15]
	s_mov_b32 s16, s8
	s_mov_b32 s17, s8
	;; [unrolled: 1-line block ×4, first 2 shown]
	v_mov_b64_e32 v[20:21], s[18:19]
	v_mov_b64_e32 v[4:5], s[10:11]
	;; [unrolled: 1-line block ×4, first 2 shown]
	v_cmp_gt_u32_e32 vcc, s78, v41
	s_mov_b64 s[6:7], 0
	v_mov_b64_e32 v[38:39], s[20:21]
	v_mov_b64_e32 v[18:19], s[16:17]
	v_mov_b32_e32 v1, 0
	s_mov_b64 s[12:13], 0
	v_mov_b64_e32 v[14:15], v[6:7]
	v_mov_b64_e32 v[12:13], v[4:5]
	;; [unrolled: 1-line block ×3, first 2 shown]
	s_waitcnt lgkmcnt(0)
	s_barrier
	s_waitcnt lgkmcnt(0)
                                        ; implicit-def: $vgpr40
	s_and_saveexec_b64 s[10:11], vcc
	s_cbranch_execz .LBB850_125
; %bb.80:
	ds_read_u16 v1, v49
	s_mov_b32 s12, 0
	v_cmp_ne_u16_e32 vcc, 0, v30
	v_or_b32_e32 v2, 1, v41
	s_mov_b32 s13, s12
	v_cndmask_b32_e64 v3, 0, 1, vcc
	s_waitcnt lgkmcnt(0)
	v_lshl_or_b32 v38, v3, 16, v1
	v_cmp_gt_u32_e32 vcc, s78, v2
	s_mov_b32 s14, s12
	s_mov_b32 s15, s12
	;; [unrolled: 1-line block ×6, first 2 shown]
	v_mov_b64_e32 v[2:3], s[12:13]
	s_mov_b32 s20, s12
	s_mov_b32 s21, s12
	v_mov_b64_e32 v[8:9], s[18:19]
	v_mov_b32_e32 v39, 0
	s_mov_b32 s22, s12
	s_mov_b32 s23, s12
	v_mov_b64_e32 v[18:19], s[20:21]
	v_mov_b64_e32 v[4:5], s[14:15]
	;; [unrolled: 1-line block ×4, first 2 shown]
	s_mov_b64 s[26:27], 0
	v_mov_b64_e32 v[20:21], s[22:23]
	v_mov_b64_e32 v[14:15], v[6:7]
	;; [unrolled: 1-line block ×4, first 2 shown]
	v_mov_b32_e32 v1, v39
                                        ; implicit-def: $vgpr40
	s_and_saveexec_b64 s[24:25], vcc
	s_cbranch_execz .LBB850_124
; %bb.81:
	ds_read_b128 v[34:37], v49 offset:2
	v_mov_b32_e32 v1, 0
	v_cmp_ne_u16_sdwa s[26:27], v30, v1 src0_sel:WORD_1 src1_sel:DWORD
	v_or_b32_e32 v2, 2, v41
	v_cmp_gt_u32_e32 vcc, s78, v2
	v_cndmask_b32_e64 v3, 0, 1, s[26:27]
	s_waitcnt lgkmcnt(0)
	v_and_b32_e32 v4, 0xffff, v34
	v_lshl_or_b32 v39, v3, 16, v4
	v_mov_b64_e32 v[2:3], s[12:13]
	v_mov_b64_e32 v[8:9], s[18:19]
	;; [unrolled: 1-line block ×6, first 2 shown]
	s_mov_b64 s[26:27], 0
	v_mov_b64_e32 v[20:21], s[22:23]
	v_mov_b64_e32 v[14:15], v[6:7]
	;; [unrolled: 1-line block ×4, first 2 shown]
                                        ; implicit-def: $vgpr40
	s_and_saveexec_b64 s[20:21], vcc
	s_cbranch_execz .LBB850_123
; %bb.82:
	v_or_b32_e32 v2, 3, v41
	v_cmp_ne_u16_e32 vcc, 0, v31
	s_mov_b32 s13, s12
	s_mov_b32 s14, s12
	v_cndmask_b32_e64 v1, 0, 1, vcc
	v_cmp_gt_u32_e32 vcc, s78, v2
	s_mov_b32 s15, s12
	s_mov_b32 s16, s12
	;; [unrolled: 1-line block ×5, first 2 shown]
	v_mov_b64_e32 v[2:3], s[12:13]
	s_mov_b32 s28, s12
	s_mov_b32 s29, s12
	v_mov_b64_e32 v[8:9], s[18:19]
	s_mov_b32 s30, s12
	s_mov_b32 s31, s12
	v_mov_b64_e32 v[18:19], s[28:29]
	v_mov_b64_e32 v[4:5], s[14:15]
	;; [unrolled: 1-line block ×4, first 2 shown]
	v_alignbit_b32 v1, v1, v34, 16
	v_mov_b64_e32 v[20:21], s[30:31]
	v_mov_b64_e32 v[14:15], v[6:7]
	;; [unrolled: 1-line block ×4, first 2 shown]
                                        ; implicit-def: $vgpr40
	s_and_saveexec_b64 s[22:23], vcc
	s_cbranch_execz .LBB850_122
; %bb.83:
	v_mov_b32_e32 v20, 0
	v_cmp_ne_u16_sdwa s[26:27], v31, v20 src0_sel:WORD_1 src1_sel:DWORD
	v_and_b32_e32 v2, 0xffff, v35
	v_or_b32_e32 v3, 4, v41
	v_cndmask_b32_e64 v4, 0, 1, s[26:27]
	v_lshl_or_b32 v18, v4, 16, v2
	v_cmp_gt_u32_e32 vcc, s78, v3
	v_mov_b64_e32 v[2:3], s[12:13]
	v_mov_b64_e32 v[8:9], s[18:19]
	;; [unrolled: 1-line block ×5, first 2 shown]
	v_mov_b32_e32 v19, v20
	v_mov_b32_e32 v21, v20
	s_mov_b64 s[28:29], 0
	v_mov_b64_e32 v[14:15], v[6:7]
	v_mov_b64_e32 v[12:13], v[4:5]
	;; [unrolled: 1-line block ×3, first 2 shown]
                                        ; implicit-def: $vgpr40
	s_and_saveexec_b64 s[26:27], vcc
	s_cbranch_execz .LBB850_121
; %bb.84:
	v_cmp_ne_u16_e32 vcc, 0, v32
	v_or_b32_e32 v2, 5, v41
	s_mov_b32 s13, s12
	v_cndmask_b32_e64 v3, 0, 1, vcc
	v_alignbit_b32 v19, v3, v35, 16
	v_cmp_gt_u32_e32 vcc, s78, v2
	s_mov_b32 s14, s12
	s_mov_b32 s15, s12
	;; [unrolled: 1-line block ×6, first 2 shown]
	v_mov_b64_e32 v[2:3], s[12:13]
	v_mov_b64_e32 v[8:9], s[18:19]
	v_mov_b64_e32 v[4:5], s[14:15]
	v_mov_b64_e32 v[6:7], s[16:17]
	v_mov_b64_e32 v[16:17], v[8:9]
	v_mov_b32_e32 v21, v20
	s_mov_b64 s[30:31], 0
	v_mov_b64_e32 v[14:15], v[6:7]
	v_mov_b64_e32 v[12:13], v[4:5]
	;; [unrolled: 1-line block ×3, first 2 shown]
                                        ; implicit-def: $vgpr40
	s_and_saveexec_b64 s[28:29], vcc
	s_cbranch_execz .LBB850_120
; %bb.85:
	v_mov_b32_e32 v3, 0
	v_cmp_ne_u16_sdwa s[30:31], v32, v3 src0_sel:WORD_1 src1_sel:DWORD
	v_and_b32_e32 v2, 0xffff, v36
	v_or_b32_e32 v4, 6, v41
	v_cndmask_b32_e64 v3, 0, 1, s[30:31]
	v_lshl_or_b32 v20, v3, 16, v2
	v_cmp_gt_u32_e32 vcc, s78, v4
	v_mov_b64_e32 v[2:3], s[12:13]
	v_mov_b64_e32 v[8:9], s[18:19]
	;; [unrolled: 1-line block ×5, first 2 shown]
	v_mov_b32_e32 v21, s12
	s_mov_b64 s[34:35], 0
	v_mov_b64_e32 v[14:15], v[6:7]
	v_mov_b64_e32 v[12:13], v[4:5]
	;; [unrolled: 1-line block ×3, first 2 shown]
                                        ; implicit-def: $vgpr40
	s_and_saveexec_b64 s[30:31], vcc
	s_cbranch_execz .LBB850_119
; %bb.86:
	v_cmp_ne_u16_e32 vcc, 0, v33
	v_or_b32_e32 v2, 7, v41
	s_mov_b32 s13, s12
	v_cndmask_b32_e64 v3, 0, 1, vcc
	v_alignbit_b32 v21, v3, v36, 16
	v_cmp_gt_u32_e32 vcc, s78, v2
	s_mov_b32 s14, s12
	s_mov_b32 s15, s12
	;; [unrolled: 1-line block ×6, first 2 shown]
	v_mov_b64_e32 v[2:3], s[12:13]
	v_mov_b64_e32 v[8:9], s[18:19]
	;; [unrolled: 1-line block ×5, first 2 shown]
	s_mov_b64 s[36:37], 0
	v_mov_b64_e32 v[14:15], v[6:7]
	v_mov_b64_e32 v[12:13], v[4:5]
	;; [unrolled: 1-line block ×3, first 2 shown]
                                        ; implicit-def: $vgpr40
	s_and_saveexec_b64 s[34:35], vcc
	s_cbranch_execz .LBB850_118
; %bb.87:
	v_mov_b32_e32 v4, 0
	v_cmp_ne_u16_sdwa s[36:37], v33, v4 src0_sel:WORD_1 src1_sel:DWORD
	v_and_b32_e32 v2, 0xffff, v37
	v_add_u32_e32 v3, 8, v41
	v_cndmask_b32_e64 v5, 0, 1, s[36:37]
	v_mov_b64_e32 v[10:11], s[12:13]
	v_lshl_or_b32 v2, v5, 16, v2
	v_cmp_gt_u32_e32 vcc, s78, v3
	v_mov_b32_e32 v3, v4
	v_mov_b32_e32 v5, v4
	;; [unrolled: 1-line block ×6, first 2 shown]
	s_mov_b64 s[38:39], 0
	v_mov_b64_e32 v[12:13], s[14:15]
	v_mov_b64_e32 v[14:15], s[16:17]
	;; [unrolled: 1-line block ×3, first 2 shown]
                                        ; implicit-def: $vgpr40
	s_and_saveexec_b64 s[36:37], vcc
	s_cbranch_execz .LBB850_117
; %bb.88:
	v_cmp_ne_u16_e32 vcc, 0, v26
	s_mov_b32 s13, s12
	v_add_u32_e32 v5, 9, v41
	v_cndmask_b32_e64 v3, 0, 1, vcc
	s_mov_b32 s14, s12
	s_mov_b32 s15, s12
	;; [unrolled: 1-line block ×6, first 2 shown]
	v_mov_b64_e32 v[10:11], s[12:13]
	v_alignbit_b32 v3, v3, v37, 16
	v_cmp_gt_u32_e32 vcc, s78, v5
	v_mov_b32_e32 v5, v4
	v_mov_b32_e32 v6, v4
	;; [unrolled: 1-line block ×5, first 2 shown]
	s_mov_b64 s[40:41], 0
	v_mov_b64_e32 v[12:13], s[14:15]
	v_mov_b64_e32 v[14:15], s[16:17]
	;; [unrolled: 1-line block ×3, first 2 shown]
                                        ; implicit-def: $vgpr40
	s_and_saveexec_b64 s[38:39], vcc
	s_cbranch_execz .LBB850_116
; %bb.89:
	ds_read_b128 v[30:33], v49 offset:18
	v_mov_b32_e32 v6, 0
	v_cmp_ne_u16_sdwa s[40:41], v26, v6 src0_sel:WORD_1 src1_sel:DWORD
	v_add_u32_e32 v5, 10, v41
	v_mov_b64_e32 v[10:11], s[12:13]
	v_cndmask_b32_e64 v4, 0, 1, s[40:41]
	s_waitcnt lgkmcnt(0)
	v_and_b32_e32 v7, 0xffff, v30
	v_lshl_or_b32 v4, v4, 16, v7
	v_cmp_gt_u32_e32 vcc, s78, v5
	v_mov_b32_e32 v5, v6
	v_mov_b32_e32 v7, v6
	;; [unrolled: 1-line block ×4, first 2 shown]
	s_mov_b64 s[42:43], 0
	v_mov_b64_e32 v[12:13], s[14:15]
	v_mov_b64_e32 v[14:15], s[16:17]
	;; [unrolled: 1-line block ×3, first 2 shown]
                                        ; implicit-def: $vgpr40
	s_and_saveexec_b64 s[40:41], vcc
	s_cbranch_execz .LBB850_115
; %bb.90:
	v_cmp_ne_u16_e32 vcc, 0, v27
	s_mov_b32 s13, s12
	v_add_u32_e32 v7, 11, v41
	v_cndmask_b32_e64 v5, 0, 1, vcc
	s_mov_b32 s14, s12
	s_mov_b32 s15, s12
	s_mov_b32 s16, s12
	s_mov_b32 s17, s12
	s_mov_b32 s18, s12
	s_mov_b32 s19, s12
	v_mov_b64_e32 v[10:11], s[12:13]
	v_alignbit_b32 v5, v5, v30, 16
	v_cmp_gt_u32_e32 vcc, s78, v7
	v_mov_b32_e32 v7, v6
	v_mov_b32_e32 v8, v6
	;; [unrolled: 1-line block ×3, first 2 shown]
	s_mov_b64 s[44:45], 0
	v_mov_b64_e32 v[12:13], s[14:15]
	v_mov_b64_e32 v[14:15], s[16:17]
	;; [unrolled: 1-line block ×3, first 2 shown]
                                        ; implicit-def: $vgpr40
	s_and_saveexec_b64 s[42:43], vcc
	s_cbranch_execz .LBB850_114
; %bb.91:
	v_mov_b32_e32 v8, 0
	v_cmp_ne_u16_sdwa s[44:45], v27, v8 src0_sel:WORD_1 src1_sel:DWORD
	v_and_b32_e32 v6, 0xffff, v31
	v_add_u32_e32 v7, 12, v41
	v_cndmask_b32_e64 v9, 0, 1, s[44:45]
	v_mov_b64_e32 v[10:11], s[12:13]
	v_lshl_or_b32 v6, v9, 16, v6
	v_cmp_gt_u32_e32 vcc, s78, v7
	v_mov_b32_e32 v7, v8
	v_mov_b32_e32 v9, v8
	s_mov_b64 s[46:47], 0
	v_mov_b64_e32 v[12:13], s[14:15]
	v_mov_b64_e32 v[14:15], s[16:17]
	;; [unrolled: 1-line block ×3, first 2 shown]
                                        ; implicit-def: $vgpr40
	s_and_saveexec_b64 s[44:45], vcc
	s_cbranch_execz .LBB850_113
; %bb.92:
	v_cmp_ne_u16_e32 vcc, 0, v28
	s_mov_b32 s13, s12
	v_add_u32_e32 v9, 13, v41
	v_cndmask_b32_e64 v7, 0, 1, vcc
	s_mov_b32 s14, s12
	s_mov_b32 s15, s12
	;; [unrolled: 1-line block ×6, first 2 shown]
	v_mov_b64_e32 v[10:11], s[12:13]
	v_alignbit_b32 v7, v7, v31, 16
	v_cmp_gt_u32_e32 vcc, s78, v9
	v_mov_b32_e32 v9, v8
	s_mov_b64 s[48:49], 0
	v_mov_b64_e32 v[12:13], s[14:15]
	v_mov_b64_e32 v[14:15], s[16:17]
	;; [unrolled: 1-line block ×3, first 2 shown]
                                        ; implicit-def: $vgpr40
	s_and_saveexec_b64 s[46:47], vcc
	s_cbranch_execz .LBB850_112
; %bb.93:
	v_mov_b32_e32 v9, 0
	v_add_u32_e32 v10, 14, v41
	v_cmp_ne_u16_sdwa s[48:49], v28, v9 src0_sel:WORD_1 src1_sel:DWORD
	v_and_b32_e32 v8, 0xffff, v32
	v_cmp_gt_u32_e32 vcc, s78, v10
	v_cndmask_b32_e64 v9, 0, 1, s[48:49]
	v_mov_b64_e32 v[10:11], s[12:13]
	v_lshl_or_b32 v8, v9, 16, v8
	v_mov_b32_e32 v9, s12
	s_mov_b64 s[48:49], 0
	v_mov_b64_e32 v[12:13], s[14:15]
	v_mov_b64_e32 v[14:15], s[16:17]
	;; [unrolled: 1-line block ×3, first 2 shown]
                                        ; implicit-def: $vgpr40
	s_and_saveexec_b64 s[12:13], vcc
	s_cbranch_execz .LBB850_111
; %bb.94:
	s_mov_b32 s80, 0
	v_add_u32_e32 v10, 15, v41
	v_cmp_ne_u16_e32 vcc, 0, v29
	s_mov_b32 s81, s80
	s_mov_b32 s82, s80
	v_cndmask_b32_e64 v9, 0, 1, vcc
	v_cmp_gt_u32_e32 vcc, s78, v10
	s_mov_b32 s83, s80
	s_mov_b32 s84, s80
	;; [unrolled: 1-line block ×5, first 2 shown]
	v_mov_b64_e32 v[10:11], s[80:81]
	v_alignbit_b32 v9, v9, v32, 16
	s_mov_b64 s[16:17], 0
	v_mov_b64_e32 v[12:13], s[82:83]
	v_mov_b64_e32 v[14:15], s[84:85]
	;; [unrolled: 1-line block ×3, first 2 shown]
                                        ; implicit-def: $vgpr40
	s_and_saveexec_b64 s[14:15], vcc
	s_cbranch_execz .LBB850_110
; %bb.95:
	v_mov_b32_e32 v12, 0
	v_cmp_ne_u16_sdwa s[16:17], v29, v12 src0_sel:WORD_1 src1_sel:DWORD
	v_and_b32_e32 v10, 0xffff, v33
	v_add_u32_e32 v11, 16, v41
	v_cndmask_b32_e64 v13, 0, 1, s[16:17]
	v_lshl_or_b32 v10, v13, 16, v10
	v_cmp_gt_u32_e32 vcc, s78, v11
	v_mov_b32_e32 v11, v12
	v_mov_b32_e32 v13, v12
	;; [unrolled: 1-line block ×6, first 2 shown]
	s_mov_b64 s[18:19], 0
                                        ; implicit-def: $vgpr40
	s_and_saveexec_b64 s[16:17], vcc
	s_cbranch_execz .LBB850_109
; %bb.96:
	v_cmp_ne_u16_e32 vcc, 0, v22
	v_add_u32_e32 v13, 17, v41
	v_mov_b32_e32 v14, v12
	v_cndmask_b32_e64 v11, 0, 1, vcc
	v_alignbit_b32 v11, v11, v33, 16
	v_cmp_gt_u32_e32 vcc, s78, v13
	v_mov_b32_e32 v13, v12
	v_mov_b32_e32 v15, v12
	;; [unrolled: 1-line block ×4, first 2 shown]
                                        ; implicit-def: $vgpr40
	s_and_saveexec_b64 s[18:19], vcc
	s_cbranch_execz .LBB850_108
; %bb.97:
	ds_read_b96 v[26:28], v49 offset:34
	v_mov_b32_e32 v14, 0
	v_cmp_ne_u16_sdwa s[48:49], v22, v14 src0_sel:WORD_1 src1_sel:DWORD
	v_add_u32_e32 v13, 18, v41
	v_cmp_gt_u32_e32 vcc, s78, v13
	v_cndmask_b32_e64 v12, 0, 1, s[48:49]
	s_waitcnt lgkmcnt(0)
	v_and_b32_e32 v15, 0xffff, v26
	v_lshl_or_b32 v12, v12, 16, v15
	v_mov_b32_e32 v13, v14
	v_mov_b32_e32 v15, v14
	;; [unrolled: 1-line block ×4, first 2 shown]
	s_mov_b64 s[50:51], 0
                                        ; implicit-def: $vgpr40
	s_and_saveexec_b64 s[48:49], vcc
	s_cbranch_execz .LBB850_107
; %bb.98:
	v_cmp_ne_u16_e32 vcc, 0, v23
	v_add_u32_e32 v15, 19, v41
	v_mov_b32_e32 v16, v14
	v_cndmask_b32_e64 v13, 0, 1, vcc
	v_alignbit_b32 v13, v13, v26, 16
	v_cmp_gt_u32_e32 vcc, s78, v15
	v_mov_b32_e32 v15, v14
	v_mov_b32_e32 v17, v14
	s_mov_b64 s[52:53], 0
                                        ; implicit-def: $vgpr40
	s_and_saveexec_b64 s[50:51], vcc
	s_cbranch_execz .LBB850_106
; %bb.99:
	v_mov_b32_e32 v16, 0
	v_cmp_ne_u16_sdwa s[52:53], v23, v16 src0_sel:WORD_1 src1_sel:DWORD
	v_and_b32_e32 v14, 0xffff, v27
	v_add_u32_e32 v15, 20, v41
	v_cndmask_b32_e64 v17, 0, 1, s[52:53]
	v_lshl_or_b32 v14, v17, 16, v14
	v_cmp_gt_u32_e32 vcc, s78, v15
	v_mov_b32_e32 v15, v16
	v_mov_b32_e32 v17, v16
	s_mov_b64 s[62:63], 0
                                        ; implicit-def: $vgpr40
	s_and_saveexec_b64 s[52:53], vcc
	s_cbranch_execz .LBB850_105
; %bb.100:
	v_cmp_ne_u16_e32 vcc, 0, v24
	v_add_u32_e32 v17, 21, v41
	s_mov_b32 s9, 0
	v_cndmask_b32_e64 v15, 0, 1, vcc
	v_alignbit_b32 v15, v15, v27, 16
	v_cmp_gt_u32_e32 vcc, s78, v17
	v_mov_b32_e32 v17, v16
	s_mov_b64 s[64:65], 0
                                        ; implicit-def: $vgpr40
	s_and_saveexec_b64 s[62:63], vcc
	s_cbranch_execz .LBB850_104
; %bb.101:
	v_mov_b32_e32 v17, 0
	v_cmp_ne_u16_sdwa s[64:65], v24, v17 src0_sel:WORD_1 src1_sel:DWORD
	v_and_b32_e32 v16, 0xffff, v28
	v_add_u32_e32 v22, 22, v41
	v_cndmask_b32_e64 v17, 0, 1, s[64:65]
	v_lshl_or_b32 v16, v17, 16, v16
	v_cmp_gt_u32_e32 vcc, s78, v22
	v_mov_b32_e32 v17, s9
	s_mov_b64 s[64:65], 0
                                        ; implicit-def: $vgpr40
	s_and_saveexec_b64 s[72:73], vcc
	s_xor_b64 s[72:73], exec, s[72:73]
	s_cbranch_execz .LBB850_103
; %bb.102:
	ds_read_u16 v40, v49 offset:46
	v_add_u32_e32 v22, 23, v41
	v_cmp_ne_u16_e32 vcc, 0, v25
	s_nop 1
	v_cndmask_b32_e64 v17, 0, 1, vcc
	v_cmp_gt_u32_e32 vcc, s78, v22
	v_alignbit_b32 v17, v17, v28, 16
	s_and_b64 s[64:65], vcc, exec
.LBB850_103:
	s_or_b64 exec, exec, s[72:73]
	s_and_b64 s[64:65], s[64:65], exec
.LBB850_104:
	s_or_b64 exec, exec, s[62:63]
	s_and_b64 s[62:63], s[64:65], exec
.LBB850_105:
	s_or_b64 exec, exec, s[52:53]
	s_and_b64 s[52:53], s[62:63], exec
.LBB850_106:
	s_or_b64 exec, exec, s[50:51]
	s_and_b64 s[50:51], s[52:53], exec
.LBB850_107:
	s_or_b64 exec, exec, s[48:49]
	s_and_b64 s[48:49], s[50:51], exec
.LBB850_108:
	s_or_b64 exec, exec, s[18:19]
	s_and_b64 s[18:19], s[48:49], exec
.LBB850_109:
	s_or_b64 exec, exec, s[16:17]
	s_and_b64 s[16:17], s[18:19], exec
.LBB850_110:
	s_or_b64 exec, exec, s[14:15]
	s_and_b64 s[48:49], s[16:17], exec
.LBB850_111:
	s_or_b64 exec, exec, s[12:13]
	s_and_b64 s[48:49], s[48:49], exec
.LBB850_112:
	s_or_b64 exec, exec, s[46:47]
	s_and_b64 s[46:47], s[48:49], exec
.LBB850_113:
	s_or_b64 exec, exec, s[44:45]
	s_and_b64 s[44:45], s[46:47], exec
.LBB850_114:
	s_or_b64 exec, exec, s[42:43]
	s_and_b64 s[42:43], s[44:45], exec
.LBB850_115:
	s_or_b64 exec, exec, s[40:41]
	s_and_b64 s[40:41], s[42:43], exec
.LBB850_116:
	s_or_b64 exec, exec, s[38:39]
	s_and_b64 s[38:39], s[40:41], exec
.LBB850_117:
	s_or_b64 exec, exec, s[36:37]
	s_and_b64 s[36:37], s[38:39], exec
.LBB850_118:
	s_or_b64 exec, exec, s[34:35]
	s_and_b64 s[34:35], s[36:37], exec
.LBB850_119:
	s_or_b64 exec, exec, s[30:31]
	s_and_b64 s[30:31], s[34:35], exec
.LBB850_120:
	s_or_b64 exec, exec, s[28:29]
	s_and_b64 s[28:29], s[30:31], exec
.LBB850_121:
	s_or_b64 exec, exec, s[26:27]
	s_and_b64 s[26:27], s[28:29], exec
.LBB850_122:
	s_or_b64 exec, exec, s[22:23]
	s_and_b64 s[26:27], s[26:27], exec
.LBB850_123:
	s_or_b64 exec, exec, s[20:21]
	s_and_b64 s[26:27], s[26:27], exec
.LBB850_124:
	s_or_b64 exec, exec, s[24:25]
	s_and_b64 s[12:13], s[26:27], exec
.LBB850_125:
	s_or_b64 exec, exec, s[10:11]
	s_and_b64 vcc, exec, s[6:7]
	v_lshlrev_b32_e32 v22, 1, v0
	s_cbranch_vccnz .LBB850_127
	s_branch .LBB850_128
.LBB850_126:
	s_mov_b64 s[12:13], 0
                                        ; implicit-def: $vgpr38_vgpr39
                                        ; implicit-def: $vgpr18_vgpr19_vgpr20_vgpr21
                                        ; implicit-def: $vgpr2_vgpr3_vgpr4_vgpr5_vgpr6_vgpr7_vgpr8_vgpr9
                                        ; implicit-def: $vgpr10_vgpr11_vgpr12_vgpr13_vgpr14_vgpr15_vgpr16_vgpr17
                                        ; implicit-def: $vgpr48
                                        ; implicit-def: $vgpr40
                                        ; implicit-def: $vgpr1
                                        ; implicit-def: $sgpr8
	s_and_b64 vcc, exec, s[6:7]
	v_lshlrev_b32_e32 v22, 1, v0
	s_cbranch_vccz .LBB850_128
.LBB850_127:
	v_mov_b32_e32 v23, 0
	v_lshl_add_u64 v[2:3], s[54:55], 0, v[22:23]
	v_add_co_u32_e32 v4, vcc, 0x1000, v2
	flat_load_ushort v1, v[2:3]
	flat_load_ushort v8, v[2:3] offset:512
	flat_load_ushort v9, v[2:3] offset:1024
	;; [unrolled: 1-line block ×7, first 2 shown]
	v_addc_co_u32_e32 v5, vcc, 0, v3, vcc
	v_add_co_u32_e32 v2, vcc, 0x2000, v2
	flat_load_ushort v15, v[4:5]
	flat_load_ushort v16, v[4:5] offset:512
	flat_load_ushort v17, v[4:5] offset:1024
	;; [unrolled: 1-line block ×7, first 2 shown]
	v_addc_co_u32_e32 v3, vcc, 0, v3, vcc
	flat_load_ushort v25, v[2:3]
	flat_load_ushort v26, v[2:3] offset:512
	flat_load_ushort v27, v[2:3] offset:1024
	;; [unrolled: 1-line block ×7, first 2 shown]
	s_movk_i32 s6, 0x1000
	v_lshl_add_u64 v[2:3], s[0:1], 0, v[22:23]
	v_add_co_u32_e32 v4, vcc, s6, v2
	s_movk_i32 s7, 0x2000
	v_mad_u32_u24 v33, v0, 46, v22
	s_movk_i32 s8, 0xffd2
	v_addc_co_u32_e32 v5, vcc, 0, v3, vcc
	v_mad_i32_i24 v34, v0, s8, v33
	v_add_co_u32_e32 v6, vcc, s7, v2
	s_or_b64 s[12:13], s[12:13], exec
	s_nop 0
	v_addc_co_u32_e32 v7, vcc, 0, v3, vcc
                                        ; implicit-def: $sgpr8
	s_waitcnt vmcnt(0) lgkmcnt(0)
	ds_write_b16 v22, v1
	ds_write_b16 v22, v8 offset:512
	ds_write_b16 v22, v9 offset:1024
	;; [unrolled: 1-line block ×23, first 2 shown]
	s_waitcnt lgkmcnt(0)
	s_barrier
	ds_read_b128 v[24:27], v33 offset:30
	ds_read_u16 v48, v33 offset:46
	ds_read_b32 v1, v33
	ds_read_u16 v14, v33 offset:4
	ds_read_b64 v[8:9], v33 offset:6
	ds_read_b128 v[10:13], v33 offset:14
	s_waitcnt lgkmcnt(4)
	ds_write_b16 v34, v48 offset:12288
	s_waitcnt lgkmcnt(0)
	s_barrier
	s_barrier
	flat_load_ushort v15, v[2:3]
	flat_load_ushort v16, v[2:3] offset:512
	flat_load_ushort v17, v[2:3] offset:1024
	;; [unrolled: 1-line block ×7, first 2 shown]
	flat_load_ushort v29, v[4:5]
	flat_load_ushort v30, v[4:5] offset:512
	flat_load_ushort v31, v[4:5] offset:1024
	;; [unrolled: 1-line block ×6, first 2 shown]
                                        ; kill: killed $vgpr2 killed $vgpr3
	flat_load_ushort v2, v[4:5] offset:3584
	flat_load_ushort v3, v[6:7]
	flat_load_ushort v37, v[6:7] offset:512
	flat_load_ushort v38, v[6:7] offset:1024
	;; [unrolled: 1-line block ×7, first 2 shown]
	v_cmp_ne_u16_sdwa s[0:1], v1, v23 src0_sel:WORD_1 src1_sel:DWORD
	v_cmp_ne_u16_e32 vcc, 0, v1
	s_waitcnt vmcnt(0) lgkmcnt(0)
	ds_write_b16 v22, v15
	ds_write_b16 v22, v16 offset:512
	ds_write_b16 v22, v17 offset:1024
	;; [unrolled: 1-line block ×23, first 2 shown]
	v_cndmask_b32_e64 v44, 0, 1, s[0:1]
	v_cmp_ne_u16_sdwa s[0:1], v9, v23 src0_sel:WORD_1 src1_sel:DWORD
	v_cndmask_b32_e64 v45, 0, 1, vcc
	v_cmp_ne_u16_e32 vcc, 0, v14
	v_cndmask_b32_e64 v14, 0, 1, s[0:1]
	v_cmp_ne_u16_sdwa s[0:1], v8, v23 src0_sel:WORD_1 src1_sel:DWORD
	s_waitcnt lgkmcnt(0)
	s_barrier
	ds_read_b32 v15, v33
	ds_read_u16 v16, v33 offset:4
	ds_read_b64 v[6:7], v33 offset:6
	ds_read_b128 v[2:5], v33 offset:14
	ds_read_b128 v[28:31], v33 offset:30
	ds_read_u16 v40, v33 offset:46
	v_cndmask_b32_e64 v1, 0, 1, vcc
	v_cndmask_b32_e64 v46, 0, 1, s[0:1]
	v_cmp_ne_u16_e32 vcc, 0, v9
	v_cmp_ne_u16_sdwa s[0:1], v13, v23 src0_sel:WORD_1 src1_sel:DWORD
	s_waitcnt lgkmcnt(4)
	v_lshl_or_b32 v1, v1, 16, v16
	v_cndmask_b32_e64 v9, 0, 1, vcc
	v_cndmask_b32_e64 v47, 0, 1, s[0:1]
	s_waitcnt lgkmcnt(3)
	v_and_b32_e32 v16, 0xffff, v7
	v_cmp_ne_u16_sdwa s[0:1], v12, v23 src0_sel:WORD_1 src1_sel:DWORD
	s_waitcnt lgkmcnt(2)
	v_and_b32_e32 v33, 0xffff, v5
	v_lshl_or_b32 v20, v9, 16, v16
	v_alignbit_b32 v9, v47, v5, 16
	v_cndmask_b32_e64 v5, 0, 1, s[0:1]
	v_cmp_ne_u16_sdwa s[0:1], v11, v23 src0_sel:WORD_1 src1_sel:DWORD
	v_cmp_ne_u16_e32 vcc, 0, v8
	v_and_b32_e32 v17, 0xffff, v15
	v_alignbit_b32 v39, v44, v15, 16
	v_and_b32_e32 v15, 0xffff, v6
	v_alignbit_b32 v21, v14, v7, 16
	v_alignbit_b32 v19, v46, v6, 16
	v_and_b32_e32 v6, 0xffff, v4
	v_alignbit_b32 v7, v5, v4, 16
	v_cndmask_b32_e64 v4, 0, 1, s[0:1]
	v_cmp_ne_u16_sdwa s[0:1], v10, v23 src0_sel:WORD_1 src1_sel:DWORD
	v_cndmask_b32_e64 v8, 0, 1, vcc
	v_and_b32_e32 v32, 0xffff, v3
	v_alignbit_b32 v5, v4, v3, 16
	v_cndmask_b32_e64 v3, 0, 1, s[0:1]
	v_cmp_ne_u16_e32 vcc, 0, v13
	v_and_b32_e32 v14, 0xffff, v2
	v_alignbit_b32 v3, v3, v2, 16
	v_cndmask_b32_e64 v2, 0, 1, vcc
	v_cmp_ne_u16_e32 vcc, 0, v12
	v_lshl_or_b32 v18, v8, 16, v15
	v_lshl_or_b32 v8, v2, 16, v33
	v_cndmask_b32_e64 v2, 0, 1, vcc
	v_cmp_ne_u16_e32 vcc, 0, v11
	v_cmp_ne_u16_sdwa s[0:1], v27, v23 src0_sel:WORD_1 src1_sel:DWORD
	v_lshl_or_b32 v6, v2, 16, v6
	v_cndmask_b32_e64 v2, 0, 1, vcc
	v_cmp_ne_u16_e32 vcc, 0, v10
	v_cndmask_b32_e64 v11, 0, 1, s[0:1]
	v_cmp_ne_u16_sdwa s[0:1], v26, v23 src0_sel:WORD_1 src1_sel:DWORD
	v_lshl_or_b32 v38, v45, 16, v17
	v_lshl_or_b32 v4, v2, 16, v32
	v_cndmask_b32_e64 v2, 0, 1, vcc
	s_waitcnt lgkmcnt(1)
	v_alignbit_b32 v17, v11, v31, 16
	v_cndmask_b32_e64 v11, 0, 1, s[0:1]
	v_cmp_ne_u16_sdwa s[0:1], v25, v23 src0_sel:WORD_1 src1_sel:DWORD
	v_cmp_ne_u16_e32 vcc, 0, v27
	v_and_b32_e32 v16, 0xffff, v31
	v_alignbit_b32 v15, v11, v30, 16
	v_cndmask_b32_e64 v11, 0, 1, s[0:1]
	v_cmp_ne_u16_sdwa s[0:1], v24, v23 src0_sel:WORD_1 src1_sel:DWORD
	v_cndmask_b32_e64 v23, 0, 1, vcc
	v_cmp_ne_u16_e32 vcc, 0, v26
	v_lshl_or_b32 v2, v2, 16, v14
	v_and_b32_e32 v14, 0xffff, v30
	v_lshl_or_b32 v16, v23, 16, v16
	v_cndmask_b32_e64 v23, 0, 1, vcc
	v_cmp_ne_u16_e32 vcc, 0, v25
	v_and_b32_e32 v12, 0xffff, v29
	v_lshl_or_b32 v14, v23, 16, v14
	v_cndmask_b32_e64 v23, 0, 1, vcc
	v_cmp_ne_u16_e32 vcc, 0, v24
	v_and_b32_e32 v10, 0xffff, v28
	v_alignbit_b32 v13, v11, v29, 16
	v_cndmask_b32_e64 v11, 0, 1, s[0:1]
	v_lshl_or_b32 v12, v23, 16, v12
	v_cndmask_b32_e64 v23, 0, 1, vcc
	v_alignbit_b32 v11, v11, v28, 16
	v_lshl_or_b32 v10, v23, 16, v10
.LBB850_128:
	v_mov_b32_e32 v23, s8
	s_and_saveexec_b64 s[0:1], s[12:13]
	s_cbranch_execz .LBB850_130
; %bb.129:
	v_cmp_ne_u16_e32 vcc, 0, v48
	s_waitcnt lgkmcnt(0)
	v_and_b32_e32 v23, 0xffff, v40
	v_cndmask_b32_e64 v24, 0, 1, vcc
	v_lshl_or_b32 v23, v24, 16, v23
.LBB850_130:
	s_or_b64 exec, exec, s[0:1]
	s_cmp_lg_u32 s71, 0
	v_mbcnt_lo_u32_b32 v34, -1, 0
	s_waitcnt lgkmcnt(0)
	s_barrier
	s_cbranch_scc0 .LBB850_219
; %bb.131:
	s_mov_b32 s0, 0x10000
	v_cmp_gt_u32_e64 s[6:7], s0, v39
	v_cmp_gt_u32_e64 s[8:9], s0, v1
	v_cmp_gt_u32_e64 s[10:11], s0, v18
	v_cndmask_b32_e64 v24, 0, v38, s[6:7]
	v_add_u16_e32 v24, v24, v39
	v_cndmask_b32_e64 v24, 0, v24, s[8:9]
	v_add_u16_e32 v24, v24, v1
	v_cndmask_b32_e64 v24, 0, v24, s[10:11]
	v_add_u16_e32 v24, v24, v18
	v_cmp_gt_u32_e64 s[12:13], s0, v19
	v_cmp_gt_u32_e64 s[14:15], s0, v20
	v_cmp_gt_u32_e64 s[16:17], s0, v21
	v_cndmask_b32_e64 v24, 0, v24, s[12:13]
	v_add_u16_e32 v24, v24, v19
	v_cndmask_b32_e64 v24, 0, v24, s[14:15]
	v_add_u16_e32 v24, v24, v20
	v_cndmask_b32_e64 v24, 0, v24, s[16:17]
	v_add_u16_e32 v24, v24, v21
	;; [unrolled: 9-line block ×5, first 2 shown]
	v_cmp_gt_u32_e64 s[38:39], s0, v11
	v_cmp_gt_u32_e64 s[40:41], s0, v12
	v_or3_b32 v25, v23, v17, v16
	v_cndmask_b32_e64 v24, 0, v24, s[38:39]
	v_add_u16_e32 v24, v24, v11
	v_cndmask_b32_e64 v24, 0, v24, s[40:41]
	v_add_u16_e32 v24, v24, v12
	v_cmp_gt_u32_e64 s[42:43], s0, v13
	v_or3_b32 v25, v25, v15, v14
	v_or3_b32 v25, v25, v13, v12
	v_cndmask_b32_e64 v24, 0, v24, s[42:43]
	v_add_u16_e32 v24, v24, v13
	v_cmp_gt_u32_e64 s[44:45], s0, v14
	v_or3_b32 v25, v25, v11, v10
	v_or3_b32 v25, v25, v9, v8
	;; [unrolled: 5-line block ×5, first 2 shown]
	v_cndmask_b32_e64 v24, 0, v24, s[50:51]
	v_add_u16_e32 v24, v24, v17
	v_cmp_gt_u32_e64 s[52:53], s0, v23
	v_and_b32_e32 v25, 0x10000, v25
	v_lshrrev_b32_e32 v35, 16, v38
	v_cndmask_b32_e64 v26, 0, v24, s[52:53]
	v_cmp_ne_u32_e32 vcc, 0, v25
	v_add_u16_e32 v24, v26, v23
	v_mbcnt_hi_u32_b32 v27, -1, v34
	v_cndmask_b32_e64 v25, v35, 1, vcc
	v_add_u16_e32 v26, v26, v23
	v_and_b32_e32 v29, 15, v27
	v_lshl_or_b32 v26, v25, 16, v26
	v_cmp_ne_u32_e32 vcc, 0, v29
	s_nop 0
	v_mov_b32_dpp v28, v26 row_shr:1 row_mask:0xf bank_mask:0xf
	s_and_saveexec_b64 s[0:1], vcc
	s_cbranch_execz .LBB850_133
; %bb.132:
	v_cmp_eq_u32_e32 vcc, 0, v25
	v_and_b32_e32 v25, 1, v25
	v_mov_b32_e32 v31, 1
	v_cndmask_b32_e32 v26, 0, v28, vcc
	v_and_b32_sdwa v28, v28, v31 dst_sel:DWORD dst_unused:UNUSED_PAD src0_sel:WORD_1 src1_sel:DWORD
	v_cmp_eq_u32_e32 vcc, 1, v25
	v_add_u16_e32 v30, v26, v24
	v_add_u16_e32 v24, v26, v24
	v_cndmask_b32_e64 v25, v28, 1, vcc
	v_lshlrev_b32_e32 v28, 16, v25
	v_or_b32_e32 v26, v28, v24
	v_mov_b32_e32 v24, v30
.LBB850_133:
	s_or_b64 exec, exec, s[0:1]
	v_lshrrev_b32_e32 v28, 16, v26
	v_mov_b32_dpp v30, v26 row_shr:2 row_mask:0xf bank_mask:0xf
	v_cmp_lt_u32_e32 vcc, 1, v29
	s_and_saveexec_b64 s[0:1], vcc
	s_cbranch_execz .LBB850_135
; %bb.134:
	s_mov_b32 s54, 0x10000
	v_cmp_gt_u32_e32 vcc, s54, v26
	v_and_b32_e32 v25, 0x10000, v26
	v_mov_b32_e32 v26, 1
	v_cndmask_b32_e32 v28, 0, v30, vcc
	v_and_b32_sdwa v26, v30, v26 dst_sel:DWORD dst_unused:UNUSED_PAD src0_sel:WORD_1 src1_sel:DWORD
	v_cmp_ne_u32_e32 vcc, 0, v25
	v_add_u16_e32 v31, v28, v24
	v_add_u16_e32 v24, v28, v24
	v_cndmask_b32_e64 v25, v26, 1, vcc
	v_lshlrev_b32_e32 v26, 16, v25
	v_or_b32_e32 v26, v26, v24
	v_mov_b32_e32 v28, v25
	v_mov_b32_e32 v24, v31
.LBB850_135:
	s_or_b64 exec, exec, s[0:1]
	v_mov_b32_dpp v30, v26 row_shr:4 row_mask:0xf bank_mask:0xf
	v_cmp_lt_u32_e32 vcc, 3, v29
	s_and_saveexec_b64 s[0:1], vcc
	s_cbranch_execz .LBB850_137
; %bb.136:
	v_mov_b32_e32 v25, 0
	v_cmp_eq_u16_sdwa vcc, v28, v25 src0_sel:BYTE_0 src1_sel:DWORD
	v_and_b32_e32 v25, 1, v28
	v_mov_b32_e32 v28, 1
	v_cndmask_b32_e32 v26, 0, v30, vcc
	v_and_b32_sdwa v28, v30, v28 dst_sel:DWORD dst_unused:UNUSED_PAD src0_sel:WORD_1 src1_sel:DWORD
	v_cmp_eq_u32_e32 vcc, 1, v25
	v_add_u16_e32 v31, v26, v24
	v_add_u16_e32 v24, v26, v24
	v_cndmask_b32_e64 v25, v28, 1, vcc
	v_lshlrev_b32_e32 v28, 16, v25
	v_or_b32_e32 v26, v28, v24
	v_mov_b32_e32 v28, v25
	v_mov_b32_e32 v24, v31
.LBB850_137:
	s_or_b64 exec, exec, s[0:1]
	v_mov_b32_dpp v30, v26 row_shr:8 row_mask:0xf bank_mask:0xf
	v_cmp_lt_u32_e32 vcc, 7, v29
	s_and_saveexec_b64 s[0:1], vcc
	s_cbranch_execz .LBB850_139
; %bb.138:
	v_mov_b32_e32 v25, 0
	v_cmp_eq_u16_sdwa vcc, v28, v25 src0_sel:BYTE_0 src1_sel:DWORD
	v_and_b32_e32 v25, 1, v28
	v_mov_b32_e32 v28, 1
	v_cndmask_b32_e32 v26, 0, v30, vcc
	v_and_b32_sdwa v28, v30, v28 dst_sel:DWORD dst_unused:UNUSED_PAD src0_sel:WORD_1 src1_sel:DWORD
	v_cmp_eq_u32_e32 vcc, 1, v25
	v_add_u16_e32 v29, v26, v24
	v_add_u16_e32 v24, v26, v24
	v_cndmask_b32_e64 v25, v28, 1, vcc
	v_lshlrev_b32_e32 v28, 16, v25
	v_or_b32_e32 v26, v28, v24
	v_mov_b32_e32 v28, v25
	v_mov_b32_e32 v24, v29
.LBB850_139:
	s_or_b64 exec, exec, s[0:1]
	v_and_b32_e32 v30, 16, v27
	v_mov_b32_dpp v29, v26 row_bcast:15 row_mask:0xf bank_mask:0xf
	v_cmp_ne_u32_e32 vcc, 0, v30
	s_and_saveexec_b64 s[0:1], vcc
	s_cbranch_execz .LBB850_141
; %bb.140:
	v_mov_b32_e32 v25, 0
	v_cmp_eq_u16_sdwa vcc, v28, v25 src0_sel:BYTE_0 src1_sel:DWORD
	v_and_b32_e32 v25, 1, v28
	v_mov_b32_e32 v28, 1
	v_cndmask_b32_e32 v26, 0, v29, vcc
	v_and_b32_sdwa v28, v29, v28 dst_sel:DWORD dst_unused:UNUSED_PAD src0_sel:WORD_1 src1_sel:DWORD
	v_cmp_eq_u32_e32 vcc, 1, v25
	v_add_u16_e32 v30, v26, v24
	v_add_u16_e32 v24, v26, v24
	v_cndmask_b32_e64 v25, v28, 1, vcc
	v_lshlrev_b32_e32 v28, 16, v25
	v_or_b32_e32 v26, v28, v24
	v_mov_b32_e32 v24, v30
	v_mov_b32_e32 v28, v25
.LBB850_141:
	s_or_b64 exec, exec, s[0:1]
	v_mov_b32_dpp v26, v26 row_bcast:31 row_mask:0xf bank_mask:0xf
	v_cmp_lt_u32_e32 vcc, 31, v27
	s_and_saveexec_b64 s[0:1], vcc
; %bb.142:
	v_mov_b32_e32 v25, 0
	v_cmp_eq_u16_sdwa vcc, v28, v25 src0_sel:BYTE_0 src1_sel:DWORD
	s_nop 1
	v_cndmask_b32_e32 v25, 0, v26, vcc
	v_add_u16_e32 v24, v25, v24
	v_and_b32_e32 v25, 1, v28
	v_mov_b32_e32 v28, 1
	v_and_b32_sdwa v26, v26, v28 dst_sel:DWORD dst_unused:UNUSED_PAD src0_sel:WORD_1 src1_sel:DWORD
	v_cmp_eq_u32_e32 vcc, 1, v25
	s_nop 1
	v_cndmask_b32_e64 v25, v26, 1, vcc
; %bb.143:
	s_or_b64 exec, exec, s[0:1]
	v_or_b32_e32 v28, 63, v0
	v_lshrrev_b32_e32 v26, 6, v0
	v_cmp_eq_u32_e32 vcc, v28, v0
	s_and_saveexec_b64 s[0:1], vcc
	s_cbranch_execz .LBB850_145
; %bb.144:
	v_lshlrev_b32_e32 v28, 2, v26
	ds_write_b16 v28, v24
	ds_write_b8 v28, v25 offset:2
.LBB850_145:
	s_or_b64 exec, exec, s[0:1]
	v_cmp_gt_u32_e32 vcc, 4, v0
	s_waitcnt lgkmcnt(0)
	s_barrier
	s_and_saveexec_b64 s[0:1], vcc
	s_cbranch_execz .LBB850_151
; %bb.146:
	v_lshlrev_b32_e32 v28, 2, v0
	ds_read_b32 v29, v28
	v_and_b32_e32 v32, 3, v27
	v_cmp_ne_u32_e32 vcc, 0, v32
	s_waitcnt lgkmcnt(0)
	v_lshrrev_b32_e32 v31, 16, v29
	v_mov_b32_dpp v33, v29 row_shr:1 row_mask:0xf bank_mask:0xf
	v_mov_b32_e32 v30, v29
	s_and_saveexec_b64 s[54:55], vcc
	s_cbranch_execz .LBB850_148
; %bb.147:
	v_mov_b32_e32 v30, 0
	v_cmp_eq_u16_sdwa vcc, v31, v30 src0_sel:BYTE_0 src1_sel:DWORD
	v_and_b32_e32 v31, 0x10000, v29
	v_mov_b32_e32 v40, 1
	v_cndmask_b32_e32 v37, 0, v33, vcc
	v_and_b32_sdwa v33, v33, v40 dst_sel:DWORD dst_unused:UNUSED_PAD src0_sel:WORD_1 src1_sel:DWORD
	v_cmp_ne_u32_e32 vcc, 0, v31
	v_and_b32_e32 v36, 0xff000000, v29
	v_add_u16_e32 v30, v37, v29
	v_cndmask_b32_e64 v31, v33, 1, vcc
	v_lshlrev_b32_e32 v33, 16, v31
	v_add_u16_e32 v29, v37, v29
	v_or3_b32 v29, v33, v36, v29
.LBB850_148:
	s_or_b64 exec, exec, s[54:55]
	s_nop 0
	v_mov_b32_dpp v33, v29 row_shr:2 row_mask:0xf bank_mask:0xf
	v_cmp_lt_u32_e32 vcc, 1, v32
	s_and_saveexec_b64 s[54:55], vcc
; %bb.149:
	v_and_b32_e32 v31, 0xff0000, v29
	v_cmp_eq_u32_e32 vcc, 0, v31
	v_and_b32_e32 v29, 0x10000, v29
	s_nop 0
	v_cndmask_b32_e32 v31, 0, v33, vcc
	v_add_u16_e32 v30, v31, v30
	v_mov_b32_e32 v31, 1
	v_and_b32_sdwa v31, v33, v31 dst_sel:DWORD dst_unused:UNUSED_PAD src0_sel:WORD_1 src1_sel:DWORD
	v_cmp_eq_u32_e32 vcc, 0, v29
	s_nop 1
	v_cndmask_b32_e32 v31, 1, v31, vcc
; %bb.150:
	s_or_b64 exec, exec, s[54:55]
	ds_write_b16 v28, v30
	ds_write_b8 v28, v31 offset:2
.LBB850_151:
	s_or_b64 exec, exec, s[0:1]
	v_cmp_gt_u32_e32 vcc, 64, v0
	v_cmp_lt_u32_e64 s[0:1], 63, v0
	v_mov_b32_e32 v36, 0
	v_mov_b32_e32 v37, 0
	s_waitcnt lgkmcnt(0)
	s_barrier
	s_and_saveexec_b64 s[54:55], s[0:1]
	s_cbranch_execz .LBB850_153
; %bb.152:
	v_lshl_add_u32 v26, v26, 2, -4
	ds_read_u16 v36, v26
	ds_read_u8 v37, v26 offset:2
	v_mov_b32_e32 v28, 0
	v_and_b32_e32 v29, 1, v25
	v_cmp_eq_u16_sdwa s[0:1], v25, v28 src0_sel:BYTE_0 src1_sel:DWORD
	s_waitcnt lgkmcnt(1)
	s_nop 0
	v_cndmask_b32_e64 v25, 0, v36, s[0:1]
	v_cmp_eq_u32_e64 s[0:1], 1, v29
	v_add_u16_e32 v24, v25, v24
	s_waitcnt lgkmcnt(0)
	v_cndmask_b32_e64 v25, v37, 1, s[0:1]
.LBB850_153:
	s_or_b64 exec, exec, s[54:55]
	v_and_b32_e32 v25, 0xff, v25
	v_and_b32_e32 v24, 0xffff, v24
	v_lshl_or_b32 v24, v25, 16, v24
	v_add_u32_e32 v25, -1, v27
	v_and_b32_e32 v26, 64, v27
	v_cmp_lt_i32_e64 s[0:1], v25, v26
	v_cmp_eq_u32_e64 s[54:55], 0, v27
	s_nop 0
	v_cndmask_b32_e64 v25, v25, v27, s[0:1]
	v_lshlrev_b32_e32 v25, 2, v25
	ds_bpermute_b32 v40, v25, v24
	s_and_saveexec_b64 s[0:1], vcc
	s_cbranch_execz .LBB850_196
; %bb.154:
	v_mov_b32_e32 v31, 0
	ds_read_b32 v24, v31 offset:12
	s_and_saveexec_b64 s[62:63], s[54:55]
	s_cbranch_execz .LBB850_156
; %bb.155:
	s_add_i32 s64, s71, 64
	s_mov_b32 s65, 0
	s_lshl_b64 s[64:65], s[64:65], 3
	s_add_u32 s64, s68, s64
	v_mov_b32_e32 v25, 1
	s_addc_u32 s65, s69, s65
	s_waitcnt lgkmcnt(0)
	global_store_dwordx2 v31, v[24:25], s[64:65] sc1
.LBB850_156:
	s_or_b64 exec, exec, s[62:63]
	v_xad_u32 v26, v27, -1, s71
	v_add_u32_e32 v30, 64, v26
	v_lshl_add_u64 v[32:33], v[30:31], 3, s[68:69]
	global_load_dwordx2 v[28:29], v[32:33], off sc1
	s_waitcnt vmcnt(0)
	v_cmp_eq_u16_sdwa s[64:65], v29, v31 src0_sel:BYTE_0 src1_sel:DWORD
	s_and_saveexec_b64 s[62:63], s[64:65]
	s_cbranch_execz .LBB850_160
; %bb.157:
	s_mov_b64 s[64:65], 0
	v_mov_b32_e32 v25, 0
.LBB850_158:                            ; =>This Inner Loop Header: Depth=1
	global_load_dwordx2 v[28:29], v[32:33], off sc1
	s_waitcnt vmcnt(0)
	v_cmp_ne_u16_sdwa s[72:73], v29, v25 src0_sel:BYTE_0 src1_sel:DWORD
	s_or_b64 s[64:65], s[72:73], s[64:65]
	s_andn2_b64 exec, exec, s[64:65]
	s_cbranch_execnz .LBB850_158
; %bb.159:
	s_or_b64 exec, exec, s[64:65]
.LBB850_160:
	s_or_b64 exec, exec, s[62:63]
	v_mov_b32_e32 v25, 2
	v_cmp_eq_u16_sdwa s[62:63], v29, v25 src0_sel:BYTE_0 src1_sel:DWORD
	v_lshlrev_b64 v[30:31], v27, -1
	v_and_b32_e32 v52, 0xffffff, v28
	v_and_b32_e32 v25, s63, v31
	v_or_b32_e32 v25, 0x80000000, v25
	v_ffbl_b32_e32 v25, v25
	v_add_u32_e32 v33, 32, v25
	v_and_b32_e32 v25, 63, v27
	v_cmp_ne_u32_e32 vcc, 63, v25
	v_and_b32_e32 v32, s62, v30
	v_ffbl_b32_e32 v32, v32
	v_addc_co_u32_e32 v41, vcc, 0, v27, vcc
	v_lshlrev_b32_e32 v41, 2, v41
	ds_bpermute_b32 v42, v41, v52
	v_min_u32_e32 v33, v32, v33
	v_lshrrev_b32_e32 v32, 16, v28
	v_cmp_lt_u32_e32 vcc, v25, v33
	v_bfe_u32 v50, v28, 16, 8
	s_and_saveexec_b64 s[62:63], vcc
	s_cbranch_execz .LBB850_162
; %bb.161:
	v_and_b32_e32 v32, 0xff0000, v28
	v_cmp_eq_u32_e32 vcc, 0, v32
	v_and_b32_e32 v32, 0x10000, v32
	v_mov_b32_e32 v45, 1
	s_waitcnt lgkmcnt(0)
	v_cndmask_b32_e32 v43, 0, v42, vcc
	v_and_b32_sdwa v42, v42, v45 dst_sel:DWORD dst_unused:UNUSED_PAD src0_sel:WORD_1 src1_sel:DWORD
	v_cmp_ne_u32_e32 vcc, 0, v32
	v_add_u16_e32 v44, v43, v28
	v_add_u16_e32 v28, v43, v28
	v_cndmask_b32_e64 v32, v42, 1, vcc
	v_lshlrev_b32_e32 v42, 16, v32
	v_or_b32_e32 v52, v42, v28
	v_mov_b32_e32 v28, v44
	v_mov_b32_e32 v50, v32
.LBB850_162:
	s_or_b64 exec, exec, s[62:63]
	v_cmp_gt_u32_e32 vcc, 62, v25
	v_add_u32_e32 v43, 2, v25
	s_waitcnt lgkmcnt(0)
	v_cndmask_b32_e64 v42, 0, 1, vcc
	v_lshlrev_b32_e32 v42, 1, v42
	v_add_lshl_u32 v42, v42, v27, 2
	ds_bpermute_b32 v44, v42, v52
	v_cmp_le_u32_e32 vcc, v43, v33
	s_and_saveexec_b64 s[62:63], vcc
	s_cbranch_execz .LBB850_164
; %bb.163:
	v_cmp_eq_u16_e32 vcc, 0, v50
	v_and_b32_e32 v32, 1, v50
	v_mov_b32_e32 v47, 1
	s_waitcnt lgkmcnt(0)
	v_cndmask_b32_e32 v45, 0, v44, vcc
	v_and_b32_sdwa v44, v44, v47 dst_sel:DWORD dst_unused:UNUSED_PAD src0_sel:WORD_1 src1_sel:DWORD
	v_cmp_eq_u32_e32 vcc, 1, v32
	v_add_u16_e32 v46, v45, v28
	v_add_u16_e32 v28, v45, v28
	v_cndmask_b32_e64 v32, v44, 1, vcc
	v_lshlrev_b32_e32 v44, 16, v32
	v_or_b32_e32 v52, v44, v28
	v_mov_b32_e32 v28, v46
	v_mov_b32_e32 v50, v32
.LBB850_164:
	s_or_b64 exec, exec, s[62:63]
	v_cmp_gt_u32_e32 vcc, 60, v25
	v_add_u32_e32 v45, 4, v25
	s_waitcnt lgkmcnt(0)
	v_cndmask_b32_e64 v44, 0, 1, vcc
	v_lshlrev_b32_e32 v44, 2, v44
	v_add_lshl_u32 v44, v44, v27, 2
	ds_bpermute_b32 v46, v44, v52
	v_cmp_le_u32_e32 vcc, v45, v33
	s_and_saveexec_b64 s[62:63], vcc
	s_cbranch_execz .LBB850_166
; %bb.165:
	v_cmp_eq_u16_e32 vcc, 0, v50
	v_and_b32_e32 v32, 1, v50
	v_mov_b32_e32 v49, 1
	s_waitcnt lgkmcnt(0)
	v_cndmask_b32_e32 v47, 0, v46, vcc
	v_and_b32_sdwa v46, v46, v49 dst_sel:DWORD dst_unused:UNUSED_PAD src0_sel:WORD_1 src1_sel:DWORD
	v_cmp_eq_u32_e32 vcc, 1, v32
	v_add_u16_e32 v48, v47, v28
	v_add_u16_e32 v28, v47, v28
	v_cndmask_b32_e64 v32, v46, 1, vcc
	v_lshlrev_b32_e32 v46, 16, v32
	v_or_b32_e32 v52, v46, v28
	v_mov_b32_e32 v28, v48
	v_mov_b32_e32 v50, v32
.LBB850_166:
	;; [unrolled: 27-line block ×4, first 2 shown]
	s_or_b64 exec, exec, s[62:63]
	v_cmp_gt_u32_e32 vcc, 32, v25
	s_waitcnt lgkmcnt(0)
	s_nop 0
	v_cndmask_b32_e64 v51, 0, 1, vcc
	v_lshlrev_b32_e32 v51, 5, v51
	v_add_lshl_u32 v51, v51, v27, 2
	ds_bpermute_b32 v27, v51, v52
	v_add_u32_e32 v52, 32, v25
	v_cmp_le_u32_e32 vcc, v52, v33
	s_and_saveexec_b64 s[62:63], vcc
	s_cbranch_execz .LBB850_172
; %bb.171:
	v_cmp_eq_u16_e32 vcc, 0, v50
	v_mov_b32_e32 v33, 1
	s_waitcnt lgkmcnt(0)
	v_cndmask_b32_e32 v32, 0, v27, vcc
	v_add_u16_e32 v28, v32, v28
	v_and_b32_e32 v32, 1, v50
	v_and_b32_sdwa v27, v27, v33 dst_sel:DWORD dst_unused:UNUSED_PAD src0_sel:WORD_1 src1_sel:DWORD
	v_cmp_eq_u32_e32 vcc, 1, v32
	s_nop 1
	v_cndmask_b32_e64 v32, v27, 1, vcc
.LBB850_172:
	s_or_b64 exec, exec, s[62:63]
	s_waitcnt lgkmcnt(0)
	v_mov_b32_e32 v27, 0
	v_mov_b32_e32 v54, 2
	;; [unrolled: 1-line block ×3, first 2 shown]
	s_branch .LBB850_174
.LBB850_173:                            ;   in Loop: Header=BB850_174 Depth=1
	s_or_b64 exec, exec, s[62:63]
	v_cmp_eq_u16_sdwa vcc, v50, v27 src0_sel:BYTE_0 src1_sel:DWORD
	v_and_b32_e32 v32, 1, v50
	v_and_b32_e32 v33, 1, v33
	v_cndmask_b32_e32 v28, 0, v28, vcc
	v_cmp_eq_u32_e32 vcc, 1, v32
	v_subrev_u32_e32 v26, 64, v26
	v_add_u16_e32 v28, v28, v53
	v_cndmask_b32_e64 v32, v33, 1, vcc
.LBB850_174:                            ; =>This Loop Header: Depth=1
                                        ;     Child Loop BB850_177 Depth 2
	v_cmp_ne_u16_sdwa s[62:63], v29, v54 src0_sel:BYTE_0 src1_sel:DWORD
	v_mov_b32_e32 v50, v32
	v_mov_b32_e32 v53, v28
	v_cndmask_b32_e64 v29, 0, 1, s[62:63]
	;;#ASMSTART
	;;#ASMEND
	s_nop 0
	v_cmp_ne_u32_e32 vcc, 0, v29
	s_cmp_lg_u64 vcc, exec
	s_cbranch_scc1 .LBB850_191
; %bb.175:                              ;   in Loop: Header=BB850_174 Depth=1
	v_lshl_add_u64 v[32:33], v[26:27], 3, s[68:69]
	global_load_dwordx2 v[28:29], v[32:33], off sc1
	s_waitcnt vmcnt(0)
	v_cmp_eq_u16_sdwa s[64:65], v29, v27 src0_sel:BYTE_0 src1_sel:DWORD
	s_and_saveexec_b64 s[62:63], s[64:65]
	s_cbranch_execz .LBB850_179
; %bb.176:                              ;   in Loop: Header=BB850_174 Depth=1
	s_mov_b64 s[64:65], 0
.LBB850_177:                            ;   Parent Loop BB850_174 Depth=1
                                        ; =>  This Inner Loop Header: Depth=2
	global_load_dwordx2 v[28:29], v[32:33], off sc1
	s_waitcnt vmcnt(0)
	v_cmp_ne_u16_sdwa s[72:73], v29, v27 src0_sel:BYTE_0 src1_sel:DWORD
	s_or_b64 s[64:65], s[72:73], s[64:65]
	s_andn2_b64 exec, exec, s[64:65]
	s_cbranch_execnz .LBB850_177
; %bb.178:                              ;   in Loop: Header=BB850_174 Depth=1
	s_or_b64 exec, exec, s[64:65]
.LBB850_179:                            ;   in Loop: Header=BB850_174 Depth=1
	s_or_b64 exec, exec, s[62:63]
	v_cmp_eq_u16_sdwa s[62:63], v29, v54 src0_sel:BYTE_0 src1_sel:DWORD
	s_waitcnt lgkmcnt(0)
	v_and_b32_e32 v57, 0xffffff, v28
	ds_bpermute_b32 v58, v41, v57
	v_and_b32_e32 v32, s63, v31
	v_or_b32_e32 v32, 0x80000000, v32
	v_and_b32_e32 v33, s62, v30
	v_ffbl_b32_e32 v32, v32
	v_add_u32_e32 v32, 32, v32
	v_ffbl_b32_e32 v33, v33
	v_min_u32_e32 v32, v33, v32
	v_lshrrev_b32_e32 v33, 16, v28
	v_cmp_lt_u32_e32 vcc, v25, v32
	v_bfe_u32 v56, v28, 16, 8
	s_and_saveexec_b64 s[62:63], vcc
	s_cbranch_execz .LBB850_181
; %bb.180:                              ;   in Loop: Header=BB850_174 Depth=1
	v_and_b32_e32 v33, 0xff0000, v28
	v_cmp_eq_u32_e32 vcc, 0, v33
	v_and_b32_e32 v33, 0x10000, v33
	s_waitcnt lgkmcnt(0)
	v_and_b32_sdwa v57, v58, v55 dst_sel:DWORD dst_unused:UNUSED_PAD src0_sel:WORD_1 src1_sel:DWORD
	v_cndmask_b32_e32 v56, 0, v58, vcc
	v_cmp_ne_u32_e32 vcc, 0, v33
	v_add_u16_e32 v59, v56, v28
	v_add_u16_e32 v28, v56, v28
	v_cndmask_b32_e64 v33, v57, 1, vcc
	v_lshlrev_b32_e32 v57, 16, v33
	v_or_b32_e32 v57, v57, v28
	v_mov_b32_e32 v28, v59
	v_mov_b32_e32 v56, v33
.LBB850_181:                            ;   in Loop: Header=BB850_174 Depth=1
	s_or_b64 exec, exec, s[62:63]
	s_waitcnt lgkmcnt(0)
	ds_bpermute_b32 v58, v42, v57
	v_cmp_le_u32_e32 vcc, v43, v32
	s_and_saveexec_b64 s[62:63], vcc
	s_cbranch_execz .LBB850_183
; %bb.182:                              ;   in Loop: Header=BB850_174 Depth=1
	v_cmp_eq_u16_e32 vcc, 0, v56
	v_and_b32_e32 v33, 1, v56
	s_waitcnt lgkmcnt(0)
	v_and_b32_sdwa v56, v58, v55 dst_sel:DWORD dst_unused:UNUSED_PAD src0_sel:WORD_1 src1_sel:DWORD
	v_cndmask_b32_e32 v57, 0, v58, vcc
	v_cmp_eq_u32_e32 vcc, 1, v33
	v_add_u16_e32 v59, v57, v28
	v_add_u16_e32 v28, v57, v28
	v_cndmask_b32_e64 v33, v56, 1, vcc
	v_lshlrev_b32_e32 v56, 16, v33
	v_or_b32_e32 v57, v56, v28
	v_mov_b32_e32 v28, v59
	v_mov_b32_e32 v56, v33
.LBB850_183:                            ;   in Loop: Header=BB850_174 Depth=1
	s_or_b64 exec, exec, s[62:63]
	s_waitcnt lgkmcnt(0)
	ds_bpermute_b32 v58, v44, v57
	v_cmp_le_u32_e32 vcc, v45, v32
	s_and_saveexec_b64 s[62:63], vcc
	s_cbranch_execz .LBB850_185
; %bb.184:                              ;   in Loop: Header=BB850_174 Depth=1
	v_cmp_eq_u16_e32 vcc, 0, v56
	v_and_b32_e32 v33, 1, v56
	s_waitcnt lgkmcnt(0)
	v_and_b32_sdwa v56, v58, v55 dst_sel:DWORD dst_unused:UNUSED_PAD src0_sel:WORD_1 src1_sel:DWORD
	v_cndmask_b32_e32 v57, 0, v58, vcc
	v_cmp_eq_u32_e32 vcc, 1, v33
	v_add_u16_e32 v59, v57, v28
	v_add_u16_e32 v28, v57, v28
	v_cndmask_b32_e64 v33, v56, 1, vcc
	v_lshlrev_b32_e32 v56, 16, v33
	v_or_b32_e32 v57, v56, v28
	v_mov_b32_e32 v28, v59
	v_mov_b32_e32 v56, v33
.LBB850_185:                            ;   in Loop: Header=BB850_174 Depth=1
	;; [unrolled: 21-line block ×4, first 2 shown]
	s_or_b64 exec, exec, s[62:63]
	ds_bpermute_b32 v57, v51, v57
	v_cmp_le_u32_e32 vcc, v52, v32
	s_and_saveexec_b64 s[62:63], vcc
	s_cbranch_execz .LBB850_173
; %bb.190:                              ;   in Loop: Header=BB850_174 Depth=1
	v_cmp_eq_u16_e32 vcc, 0, v56
	s_waitcnt lgkmcnt(0)
	v_lshrrev_b32_e32 v33, 16, v57
	v_cndmask_b32_e32 v32, 0, v57, vcc
	v_add_u16_e32 v28, v32, v28
	v_and_b32_e32 v32, 1, v56
	v_cmp_eq_u32_e32 vcc, 1, v32
	s_nop 1
	v_cndmask_b32_e64 v33, v33, 1, vcc
	s_branch .LBB850_173
.LBB850_191:                            ;   in Loop: Header=BB850_174 Depth=1
                                        ; implicit-def: $vgpr32
                                        ; implicit-def: $vgpr28
	s_cbranch_execz .LBB850_174
; %bb.192:
	s_and_saveexec_b64 s[62:63], s[54:55]
	s_cbranch_execz .LBB850_194
; %bb.193:
	v_and_b32_e32 v25, 0xff0000, v24
	s_mov_b32 s65, 0
	v_cmp_eq_u32_e32 vcc, 0, v25
	v_and_b32_e32 v26, 0x10000, v24
	v_mov_b32_e32 v27, 1
	s_add_i32 s64, s71, 64
	v_cndmask_b32_e32 v25, 0, v53, vcc
	v_and_b32_sdwa v27, v50, v27 dst_sel:WORD_1 dst_unused:UNUSED_PAD src0_sel:DWORD src1_sel:DWORD
	v_mov_b32_e32 v28, 0x10000
	v_cmp_eq_u32_e32 vcc, 0, v26
	s_lshl_b64 s[64:65], s[64:65], 3
	s_add_u32 s64, s68, s64
	v_cndmask_b32_e32 v26, v28, v27, vcc
	v_add_u16_e32 v24, v25, v24
	s_addc_u32 s65, s69, s65
	v_mov_b32_e32 v27, 0
	v_or_b32_e32 v24, v26, v24
	v_mov_b32_e32 v25, 2
	global_store_dwordx2 v27, v[24:25], s[64:65] sc1
.LBB850_194:
	s_or_b64 exec, exec, s[62:63]
	s_and_b64 exec, exec, s[56:57]
	s_cbranch_execz .LBB850_196
; %bb.195:
	v_mov_b32_e32 v24, 0
	ds_write_b16 v24, v53 offset:12
	ds_write_b8 v24, v50 offset:14
.LBB850_196:
	s_or_b64 exec, exec, s[0:1]
	s_waitcnt lgkmcnt(0)
	v_lshrrev_b32_e32 v24, 16, v40
	v_mov_b32_e32 v26, 0
	s_mov_b32 s0, 0x10000
	v_cndmask_b32_e64 v24, v24, v37, s[54:55]
	v_cndmask_b32_e64 v25, v40, v36, s[54:55]
	s_barrier
	ds_read_b32 v27, v26 offset:12
	v_cmp_gt_u32_e32 vcc, s0, v38
	v_and_b32_e32 v28, 0x10000, v38
	v_and_b32_e32 v24, 1, v24
	v_cndmask_b32_e32 v25, 0, v25, vcc
	v_cmp_ne_u32_e32 vcc, 0, v28
	v_cndmask_b32_e64 v25, v25, 0, s[56:57]
	v_add_u16_e32 v25, v25, v38
	v_cndmask_b32_e64 v24, v24, 1, vcc
	v_cndmask_b32_e64 v24, v24, v35, s[56:57]
	v_cmp_eq_u16_sdwa vcc, v24, v26 src0_sel:BYTE_0 src1_sel:DWORD
	s_waitcnt lgkmcnt(0)
	s_nop 0
	v_cndmask_b32_e32 v24, 0, v27, vcc
	v_add_u16_e32 v50, v25, v24
	v_cndmask_b32_e64 v24, 0, v50, s[6:7]
	v_add_u16_e32 v24, v24, v39
	v_cndmask_b32_e64 v25, 0, v24, s[8:9]
	;; [unrolled: 2-line block ×23, first 2 shown]
	v_add_u16_e32 v49, v49, v23
	s_branch .LBB850_249
.LBB850_197:
	s_or_b64 exec, exec, s[62:63]
                                        ; implicit-def: $vgpr50
	s_and_saveexec_b64 s[62:63], s[6:7]
	s_cbranch_execz .LBB850_55
.LBB850_198:
	v_mov_b32_e32 v37, 0
	v_lshl_add_u64 v[50:51], s[0:1], 0, v[36:37]
	flat_load_ushort v50, v[50:51] offset:512
	s_or_b64 exec, exec, s[62:63]
                                        ; implicit-def: $vgpr51
	s_and_saveexec_b64 s[6:7], s[8:9]
	s_cbranch_execnz .LBB850_56
.LBB850_199:
	s_or_b64 exec, exec, s[6:7]
                                        ; implicit-def: $vgpr52
	s_and_saveexec_b64 s[6:7], s[10:11]
	s_cbranch_execz .LBB850_57
.LBB850_200:
	v_mov_b32_e32 v37, 0
	v_lshl_add_u64 v[52:53], s[0:1], 0, v[36:37]
	flat_load_ushort v52, v[52:53] offset:1536
	s_or_b64 exec, exec, s[6:7]
                                        ; implicit-def: $vgpr53
	s_and_saveexec_b64 s[6:7], s[12:13]
	s_cbranch_execnz .LBB850_58
.LBB850_201:
	s_or_b64 exec, exec, s[6:7]
                                        ; implicit-def: $vgpr54
	s_and_saveexec_b64 s[6:7], s[14:15]
	s_cbranch_execz .LBB850_59
.LBB850_202:
	v_mov_b32_e32 v37, 0
	v_lshl_add_u64 v[54:55], s[0:1], 0, v[36:37]
	flat_load_ushort v54, v[54:55] offset:2560
	s_or_b64 exec, exec, s[6:7]
                                        ; implicit-def: $vgpr55
	s_and_saveexec_b64 s[6:7], s[16:17]
	s_cbranch_execnz .LBB850_60
.LBB850_203:
	s_or_b64 exec, exec, s[6:7]
                                        ; implicit-def: $vgpr37
	s_and_saveexec_b64 s[6:7], s[18:19]
	s_cbranch_execz .LBB850_61
.LBB850_204:
	v_mov_b32_e32 v37, 0
	v_lshl_add_u64 v[56:57], s[0:1], 0, v[36:37]
	flat_load_ushort v37, v[56:57] offset:3584
	s_or_b64 exec, exec, s[6:7]
                                        ; implicit-def: $vgpr3
	s_and_saveexec_b64 s[6:7], s[20:21]
	s_cbranch_execnz .LBB850_62
.LBB850_205:
	s_or_b64 exec, exec, s[6:7]
                                        ; implicit-def: $vgpr2
	s_and_saveexec_b64 s[6:7], s[22:23]
	s_cbranch_execz .LBB850_63
.LBB850_206:
	v_mov_b32_e32 v5, 0
	v_lshl_add_u64 v[4:5], s[0:1], 0, v[4:5]
	flat_load_ushort v2, v[4:5]
	s_or_b64 exec, exec, s[6:7]
                                        ; implicit-def: $vgpr4
	s_and_saveexec_b64 s[6:7], s[24:25]
	s_cbranch_execnz .LBB850_64
.LBB850_207:
	s_or_b64 exec, exec, s[6:7]
                                        ; implicit-def: $vgpr5
	s_and_saveexec_b64 s[6:7], s[26:27]
	s_cbranch_execz .LBB850_65
.LBB850_208:
	v_mov_b32_e32 v9, 0
	v_lshl_add_u64 v[6:7], s[0:1], 0, v[8:9]
	flat_load_ushort v5, v[6:7]
	s_or_b64 exec, exec, s[6:7]
                                        ; implicit-def: $vgpr6
	s_and_saveexec_b64 s[6:7], s[28:29]
	s_cbranch_execnz .LBB850_66
.LBB850_209:
	s_or_b64 exec, exec, s[6:7]
                                        ; implicit-def: $vgpr7
	s_and_saveexec_b64 s[6:7], s[30:31]
	s_cbranch_execz .LBB850_67
.LBB850_210:
	v_mov_b32_e32 v13, 0
	v_lshl_add_u64 v[8:9], s[0:1], 0, v[12:13]
	flat_load_ushort v7, v[8:9]
	s_or_b64 exec, exec, s[6:7]
                                        ; implicit-def: $vgpr8
	s_and_saveexec_b64 s[6:7], s[34:35]
	s_cbranch_execnz .LBB850_68
.LBB850_211:
	s_or_b64 exec, exec, s[6:7]
                                        ; implicit-def: $vgpr9
	s_and_saveexec_b64 s[6:7], s[36:37]
	s_cbranch_execz .LBB850_69
.LBB850_212:
	v_mov_b32_e32 v17, 0
	v_lshl_add_u64 v[10:11], s[0:1], 0, v[16:17]
	flat_load_ushort v9, v[10:11]
	s_or_b64 exec, exec, s[6:7]
                                        ; implicit-def: $vgpr10
	s_and_saveexec_b64 s[6:7], s[38:39]
	s_cbranch_execnz .LBB850_70
.LBB850_213:
	s_or_b64 exec, exec, s[6:7]
                                        ; implicit-def: $vgpr11
	s_and_saveexec_b64 s[6:7], s[40:41]
	s_cbranch_execz .LBB850_71
.LBB850_214:
	v_mov_b32_e32 v21, 0
	v_lshl_add_u64 v[12:13], s[0:1], 0, v[20:21]
	flat_load_ushort v11, v[12:13]
	s_or_b64 exec, exec, s[6:7]
                                        ; implicit-def: $vgpr12
	s_and_saveexec_b64 s[6:7], s[42:43]
	s_cbranch_execnz .LBB850_72
.LBB850_215:
	s_or_b64 exec, exec, s[6:7]
                                        ; implicit-def: $vgpr13
	s_and_saveexec_b64 s[6:7], s[44:45]
	s_cbranch_execz .LBB850_73
.LBB850_216:
	v_mov_b32_e32 v39, 0
	v_lshl_add_u64 v[14:15], s[0:1], 0, v[38:39]
	flat_load_ushort v13, v[14:15]
	s_or_b64 exec, exec, s[6:7]
                                        ; implicit-def: $vgpr14
	s_and_saveexec_b64 s[6:7], s[46:47]
	s_cbranch_execnz .LBB850_74
.LBB850_217:
	s_or_b64 exec, exec, s[6:7]
                                        ; implicit-def: $vgpr15
	s_and_saveexec_b64 s[6:7], s[48:49]
	s_cbranch_execz .LBB850_75
.LBB850_218:
	v_mov_b32_e32 v43, 0
	v_lshl_add_u64 v[16:17], s[0:1], 0, v[42:43]
	flat_load_ushort v15, v[16:17]
	s_or_b64 exec, exec, s[6:7]
                                        ; implicit-def: $vgpr16
	s_and_saveexec_b64 s[6:7], s[50:51]
	s_cbranch_execz .LBB850_77
	s_branch .LBB850_76
.LBB850_219:
                                        ; implicit-def: $vgpr50
                                        ; implicit-def: $vgpr24
                                        ; implicit-def: $vgpr25
                                        ; implicit-def: $vgpr26
                                        ; implicit-def: $vgpr27
                                        ; implicit-def: $vgpr28
                                        ; implicit-def: $vgpr29
                                        ; implicit-def: $vgpr31
                                        ; implicit-def: $vgpr30
                                        ; implicit-def: $vgpr32
                                        ; implicit-def: $vgpr33
                                        ; implicit-def: $vgpr35
                                        ; implicit-def: $vgpr36
                                        ; implicit-def: $vgpr37
                                        ; implicit-def: $vgpr40
                                        ; implicit-def: $vgpr42
                                        ; implicit-def: $vgpr41
                                        ; implicit-def: $vgpr43
                                        ; implicit-def: $vgpr44
                                        ; implicit-def: $vgpr45
                                        ; implicit-def: $vgpr46
                                        ; implicit-def: $vgpr47
                                        ; implicit-def: $vgpr48
                                        ; implicit-def: $vgpr49
	s_cbranch_execz .LBB850_249
; %bb.220:
	s_cmp_lg_u64 s[76:77], 0
	s_cselect_b32 s7, s75, 0
	s_cselect_b32 s6, s74, 0
	s_cmp_lg_u64 s[6:7], 0
	s_cselect_b64 s[0:1], -1, 0
	s_and_b64 s[8:9], s[56:57], s[0:1]
	s_and_saveexec_b64 s[0:1], s[8:9]
	s_cbranch_execz .LBB850_222
; %bb.221:
	v_mov_b32_e32 v24, 0
	global_load_ushort v25, v24, s[6:7]
	global_load_ubyte v26, v24, s[6:7] offset:2
	s_mov_b32 s6, 0x10000
	v_and_b32_e32 v24, 0x10000, v38
	v_mov_b32_e32 v27, 1
	v_cmp_gt_u32_e32 vcc, s6, v38
	v_mov_b32_e32 v28, 0x10000
	s_waitcnt vmcnt(0)
	v_and_b32_sdwa v26, v26, v27 dst_sel:WORD_1 dst_unused:UNUSED_PAD src0_sel:DWORD src1_sel:DWORD
	v_cndmask_b32_e32 v25, 0, v25, vcc
	v_cmp_eq_u32_e32 vcc, 0, v24
	v_add_u16_e32 v25, v25, v38
	s_nop 0
	v_cndmask_b32_e32 v24, v28, v26, vcc
	v_or_b32_e32 v38, v24, v25
.LBB850_222:
	s_or_b64 exec, exec, s[0:1]
	s_mov_b32 s0, 0x10000
	v_cmp_gt_u32_e32 vcc, s0, v39
	v_and_b32_e32 v25, 0x10000, v39
	v_cmp_gt_u32_e64 s[6:7], s0, v1
	v_cndmask_b32_e32 v24, 0, v38, vcc
	v_add_u16_e32 v24, v24, v39
	v_cmp_ne_u32_e64 s[52:53], 0, v25
	v_cndmask_b32_e64 v25, 0, v24, s[6:7]
	v_add_u16_e32 v25, v25, v1
	v_and_b32_e32 v26, 0x10000, v1
	v_cmp_gt_u32_e64 s[8:9], s0, v18
	v_cmp_ne_u32_e64 s[54:55], 0, v26
	v_cmp_gt_u32_e64 s[10:11], s0, v19
	v_cndmask_b32_e64 v26, 0, v25, s[8:9]
	v_add_u16_e32 v26, v26, v18
	v_cndmask_b32_e64 v27, 0, v26, s[10:11]
	v_add_u16_e32 v27, v27, v19
	v_cmp_gt_u32_e64 s[12:13], s0, v20
	v_bfe_u32 v30, v19, 16, 1
	v_mov_b32_e32 v53, 1
	v_cndmask_b32_e64 v28, 0, v27, s[12:13]
	v_lshlrev_b16_e32 v30, 1, v30
	v_and_b32_sdwa v31, v18, v53 dst_sel:DWORD dst_unused:UNUSED_PAD src0_sel:WORD_1 src1_sel:DWORD
	v_add_u16_e32 v28, v28, v20
	v_cmp_gt_u32_e64 s[14:15], s0, v21
	v_or_b32_e32 v30, v31, v30
	v_bfe_u32 v31, v21, 16, 1
	v_and_b32_sdwa v32, v20, v53 dst_sel:DWORD dst_unused:UNUSED_PAD src0_sel:WORD_1 src1_sel:DWORD
	v_cndmask_b32_e64 v29, 0, v28, s[14:15]
	v_lshlrev_b16_e32 v31, 3, v31
	v_lshlrev_b16_e32 v32, 2, v32
	v_add_u16_e32 v29, v29, v21
	v_or_b32_e32 v31, v31, v32
	v_cmp_gt_u32_e64 s[16:17], s0, v2
	v_or_b32_e32 v49, v30, v31
	v_cmp_gt_u32_e64 s[18:19], s0, v3
	v_cndmask_b32_e64 v30, 0, v29, s[16:17]
	v_add_u16_e32 v31, v30, v2
	v_cndmask_b32_e64 v30, 0, v31, s[18:19]
	v_add_u16_e32 v30, v30, v3
	v_cmp_gt_u32_e64 s[20:21], s0, v4
	v_cmp_gt_u32_e64 s[22:23], s0, v5
	v_cmp_gt_u32_e64 s[24:25], s0, v6
	v_cndmask_b32_e64 v32, 0, v30, s[20:21]
	v_add_u16_e32 v32, v32, v4
	v_cndmask_b32_e64 v33, 0, v32, s[22:23]
	v_add_u16_e32 v33, v33, v5
	v_cndmask_b32_e64 v35, 0, v33, s[24:25]
	v_add_u16_e32 v35, v35, v6
	v_cmp_gt_u32_e64 s[26:27], s0, v7
	v_cmp_gt_u32_e64 s[28:29], s0, v8
	v_cmp_gt_u32_e64 s[30:31], s0, v9
	v_cndmask_b32_e64 v36, 0, v35, s[26:27]
	v_add_u16_e32 v36, v36, v7
	;; [unrolled: 9-line block ×3, first 2 shown]
	v_cndmask_b32_e64 v41, 0, v42, s[36:37]
	v_add_u16_e32 v41, v41, v11
	v_cndmask_b32_e64 v43, 0, v41, s[38:39]
	v_and_b32_e32 v52, 0x10000, v23
	v_add_u16_e32 v43, v43, v12
	v_cmp_gt_u32_e64 s[40:41], s0, v13
	v_cmp_gt_u32_e64 s[42:43], s0, v14
	v_cmp_gt_u32_e64 s[44:45], s0, v15
	v_cmp_gt_u32_e64 s[46:47], s0, v16
	v_cmp_gt_u32_e64 s[48:49], s0, v17
	v_cmp_gt_u32_e64 s[50:51], s0, v23
	v_cmp_ne_u32_e64 s[0:1], 0, v52
	v_or_b32_e32 v52, v16, v8
	v_or_b32_e32 v55, v17, v9
	;; [unrolled: 1-line block ×3, first 2 shown]
	v_cndmask_b32_e64 v44, 0, v43, s[40:41]
	v_or_b32_e32 v56, v14, v6
	v_or_b32_e32 v58, v12, v4
	;; [unrolled: 1-line block ×4, first 2 shown]
	v_bfe_u32 v57, v57, 16, 1
	v_bfe_u32 v55, v55, 16, 1
	v_and_b32_sdwa v52, v52, v53 dst_sel:DWORD dst_unused:UNUSED_PAD src0_sel:WORD_1 src1_sel:DWORD
	v_add_u16_e32 v44, v44, v13
	v_or_b32_e32 v60, v10, v2
	v_bfe_u32 v61, v61, 16, 1
	v_bfe_u32 v59, v59, 16, 1
	v_and_b32_sdwa v58, v58, v53 dst_sel:DWORD dst_unused:UNUSED_PAD src0_sel:WORD_1 src1_sel:DWORD
	v_lshlrev_b16_e32 v57, 1, v57
	v_and_b32_sdwa v56, v56, v53 dst_sel:DWORD dst_unused:UNUSED_PAD src0_sel:WORD_1 src1_sel:DWORD
	v_lshlrev_b16_e32 v55, 3, v55
	v_lshlrev_b16_e32 v52, 2, v52
	v_cndmask_b32_e64 v45, 0, v44, s[42:43]
	v_lshlrev_b16_e32 v61, 1, v61
	v_and_b32_sdwa v60, v60, v53 dst_sel:DWORD dst_unused:UNUSED_PAD src0_sel:WORD_1 src1_sel:DWORD
	v_lshlrev_b16_e32 v59, 3, v59
	v_lshlrev_b16_e32 v58, 2, v58
	v_or_b32_e32 v56, v56, v57
	v_or_b32_e32 v52, v55, v52
	v_add_u16_e32 v45, v45, v14
	v_or_b32_e32 v60, v60, v61
	v_or_b32_e32 v58, v59, v58
	;; [unrolled: 1-line block ×3, first 2 shown]
	v_cndmask_b32_e64 v46, 0, v45, s[44:45]
	v_or_b32_e32 v58, v60, v58
	v_lshlrev_b16_e32 v52, 4, v52
	v_add_u16_e32 v46, v46, v15
	v_or_b32_e32 v52, v58, v52
	v_cndmask_b32_e64 v47, 0, v46, s[46:47]
	v_or_b32_e32 v49, v52, v49
	v_mov_b32_e32 v52, 0
	v_add_u16_e32 v47, v47, v16
	v_cmp_ne_u16_sdwa s[62:63], v49, v52 src0_sel:BYTE_0 src1_sel:DWORD
	v_cndmask_b32_e64 v48, 0, v47, s[48:49]
	s_or_b64 s[0:1], s[0:1], s[62:63]
	v_add_u16_e32 v48, v48, v17
	s_or_b64 s[0:1], s[0:1], s[54:55]
	v_lshrrev_b32_e32 v50, 16, v38
	v_cndmask_b32_e64 v54, 0, v48, s[50:51]
	s_or_b64 s[0:1], s[0:1], s[52:53]
	v_cndmask_b32_e64 v52, v50, 1, s[0:1]
	v_mbcnt_hi_u32_b32 v34, -1, v34
	v_add_u16_e32 v49, v54, v23
	v_add_u16_e32 v51, v54, v23
	v_and_b32_e32 v55, 15, v34
	v_lshl_or_b32 v54, v52, 16, v49
	v_cmp_ne_u32_e64 s[0:1], 0, v55
	s_nop 0
	v_mov_b32_dpp v56, v54 row_shr:1 row_mask:0xf bank_mask:0xf
	s_and_saveexec_b64 s[52:53], s[0:1]
; %bb.223:
	v_cmp_eq_u32_e64 s[0:1], 0, v52
	v_and_b32_e32 v52, 1, v52
	v_and_b32_sdwa v53, v56, v53 dst_sel:DWORD dst_unused:UNUSED_PAD src0_sel:WORD_1 src1_sel:DWORD
	v_cndmask_b32_e64 v54, 0, v56, s[0:1]
	v_cmp_eq_u32_e64 s[0:1], 1, v52
	v_add_u16_e32 v57, v51, v54
	v_add_u16_e32 v51, v51, v54
	v_cndmask_b32_e64 v52, v53, 1, s[0:1]
	v_lshlrev_b32_e32 v53, 16, v52
	v_or_b32_e32 v54, v53, v51
	v_mov_b32_e32 v51, v57
; %bb.224:
	s_or_b64 exec, exec, s[52:53]
	v_lshrrev_b32_e32 v53, 16, v54
	v_mov_b32_dpp v56, v54 row_shr:2 row_mask:0xf bank_mask:0xf
	v_cmp_lt_u32_e64 s[0:1], 1, v55
	s_and_saveexec_b64 s[52:53], s[0:1]
	s_cbranch_execz .LBB850_226
; %bb.225:
	s_mov_b32 s0, 0x10000
	v_cmp_gt_u32_e64 s[0:1], s0, v54
	v_and_b32_e32 v52, 0x10000, v54
	v_mov_b32_e32 v54, 1
	v_cndmask_b32_e64 v53, 0, v56, s[0:1]
	v_and_b32_sdwa v54, v56, v54 dst_sel:DWORD dst_unused:UNUSED_PAD src0_sel:WORD_1 src1_sel:DWORD
	v_cmp_ne_u32_e64 s[0:1], 0, v52
	v_add_u16_e32 v57, v53, v51
	v_add_u16_e32 v51, v53, v51
	v_cndmask_b32_e64 v52, v54, 1, s[0:1]
	v_lshlrev_b32_e32 v54, 16, v52
	v_or_b32_e32 v54, v54, v51
	v_mov_b32_e32 v53, v52
	v_mov_b32_e32 v51, v57
.LBB850_226:
	s_or_b64 exec, exec, s[52:53]
	v_mov_b32_dpp v56, v54 row_shr:4 row_mask:0xf bank_mask:0xf
	v_cmp_lt_u32_e64 s[0:1], 3, v55
	s_and_saveexec_b64 s[52:53], s[0:1]
	s_cbranch_execz .LBB850_228
; %bb.227:
	v_mov_b32_e32 v52, 0
	v_cmp_eq_u16_sdwa s[0:1], v53, v52 src0_sel:BYTE_0 src1_sel:DWORD
	v_and_b32_e32 v52, 1, v53
	v_mov_b32_e32 v53, 1
	v_cndmask_b32_e64 v54, 0, v56, s[0:1]
	v_and_b32_sdwa v53, v56, v53 dst_sel:DWORD dst_unused:UNUSED_PAD src0_sel:WORD_1 src1_sel:DWORD
	v_cmp_eq_u32_e64 s[0:1], 1, v52
	v_add_u16_e32 v57, v54, v51
	v_add_u16_e32 v51, v54, v51
	v_cndmask_b32_e64 v52, v53, 1, s[0:1]
	v_lshlrev_b32_e32 v53, 16, v52
	v_or_b32_e32 v54, v53, v51
	v_mov_b32_e32 v53, v52
	v_mov_b32_e32 v51, v57
.LBB850_228:
	s_or_b64 exec, exec, s[52:53]
	v_mov_b32_dpp v56, v54 row_shr:8 row_mask:0xf bank_mask:0xf
	v_cmp_lt_u32_e64 s[0:1], 7, v55
	s_and_saveexec_b64 s[52:53], s[0:1]
	s_cbranch_execz .LBB850_230
; %bb.229:
	v_mov_b32_e32 v52, 0
	v_cmp_eq_u16_sdwa s[0:1], v53, v52 src0_sel:BYTE_0 src1_sel:DWORD
	v_and_b32_e32 v52, 1, v53
	v_mov_b32_e32 v53, 1
	v_cndmask_b32_e64 v54, 0, v56, s[0:1]
	v_and_b32_sdwa v53, v56, v53 dst_sel:DWORD dst_unused:UNUSED_PAD src0_sel:WORD_1 src1_sel:DWORD
	v_cmp_eq_u32_e64 s[0:1], 1, v52
	v_add_u16_e32 v55, v54, v51
	v_add_u16_e32 v51, v54, v51
	v_cndmask_b32_e64 v52, v53, 1, s[0:1]
	v_lshlrev_b32_e32 v53, 16, v52
	v_or_b32_e32 v54, v53, v51
	v_mov_b32_e32 v53, v52
	v_mov_b32_e32 v51, v55
.LBB850_230:
	s_or_b64 exec, exec, s[52:53]
	v_and_b32_e32 v56, 16, v34
	v_mov_b32_dpp v55, v54 row_bcast:15 row_mask:0xf bank_mask:0xf
	v_cmp_ne_u32_e64 s[0:1], 0, v56
	s_and_saveexec_b64 s[52:53], s[0:1]
	s_cbranch_execz .LBB850_232
; %bb.231:
	v_mov_b32_e32 v52, 0
	v_cmp_eq_u16_sdwa s[0:1], v53, v52 src0_sel:BYTE_0 src1_sel:DWORD
	v_and_b32_e32 v52, 1, v53
	v_mov_b32_e32 v53, 1
	v_cndmask_b32_e64 v54, 0, v55, s[0:1]
	v_and_b32_sdwa v53, v55, v53 dst_sel:DWORD dst_unused:UNUSED_PAD src0_sel:WORD_1 src1_sel:DWORD
	v_cmp_eq_u32_e64 s[0:1], 1, v52
	v_add_u16_e32 v56, v54, v51
	v_add_u16_e32 v51, v54, v51
	v_cndmask_b32_e64 v52, v53, 1, s[0:1]
	v_lshlrev_b32_e32 v53, 16, v52
	v_or_b32_e32 v54, v53, v51
	v_mov_b32_e32 v51, v56
	v_mov_b32_e32 v53, v52
.LBB850_232:
	s_or_b64 exec, exec, s[52:53]
	v_mov_b32_dpp v54, v54 row_bcast:31 row_mask:0xf bank_mask:0xf
	v_cmp_lt_u32_e64 s[0:1], 31, v34
	s_and_saveexec_b64 s[52:53], s[0:1]
; %bb.233:
	v_mov_b32_e32 v52, 0
	v_cmp_eq_u16_sdwa s[0:1], v53, v52 src0_sel:BYTE_0 src1_sel:DWORD
	s_nop 1
	v_cndmask_b32_e64 v52, 0, v54, s[0:1]
	v_add_u16_e32 v51, v52, v51
	v_and_b32_e32 v52, 1, v53
	v_mov_b32_e32 v53, 1
	v_and_b32_sdwa v53, v54, v53 dst_sel:DWORD dst_unused:UNUSED_PAD src0_sel:WORD_1 src1_sel:DWORD
	v_cmp_eq_u32_e64 s[0:1], 1, v52
	s_nop 1
	v_cndmask_b32_e64 v52, v53, 1, s[0:1]
; %bb.234:
	s_or_b64 exec, exec, s[52:53]
	v_or_b32_e32 v54, 63, v0
	v_lshrrev_b32_e32 v53, 6, v0
	v_cmp_eq_u32_e64 s[0:1], v54, v0
	s_and_saveexec_b64 s[52:53], s[0:1]
	s_cbranch_execz .LBB850_236
; %bb.235:
	v_lshlrev_b32_e32 v54, 2, v53
	ds_write_b16 v54, v51
	ds_write_b8 v54, v52 offset:2
.LBB850_236:
	s_or_b64 exec, exec, s[52:53]
	v_cmp_gt_u32_e64 s[0:1], 4, v0
	s_waitcnt lgkmcnt(0)
	s_barrier
	s_and_saveexec_b64 s[52:53], s[0:1]
	s_cbranch_execz .LBB850_242
; %bb.237:
	v_lshlrev_b32_e32 v54, 2, v0
	ds_read_b32 v55, v54
	v_and_b32_e32 v58, 3, v34
	v_cmp_ne_u32_e64 s[0:1], 0, v58
	s_waitcnt lgkmcnt(0)
	v_lshrrev_b32_e32 v57, 16, v55
	v_mov_b32_dpp v59, v55 row_shr:1 row_mask:0xf bank_mask:0xf
	v_mov_b32_e32 v56, v55
	s_and_saveexec_b64 s[54:55], s[0:1]
	s_cbranch_execz .LBB850_239
; %bb.238:
	v_mov_b32_e32 v56, 0
	v_cmp_eq_u16_sdwa s[0:1], v57, v56 src0_sel:BYTE_0 src1_sel:DWORD
	v_and_b32_e32 v57, 0x10000, v55
	v_mov_b32_e32 v62, 1
	v_cndmask_b32_e64 v61, 0, v59, s[0:1]
	v_and_b32_sdwa v59, v59, v62 dst_sel:DWORD dst_unused:UNUSED_PAD src0_sel:WORD_1 src1_sel:DWORD
	v_cmp_ne_u32_e64 s[0:1], 0, v57
	v_and_b32_e32 v60, 0xff000000, v55
	v_add_u16_e32 v56, v61, v55
	v_cndmask_b32_e64 v57, v59, 1, s[0:1]
	v_lshlrev_b32_e32 v59, 16, v57
	v_add_u16_e32 v55, v61, v55
	v_or3_b32 v55, v59, v60, v55
.LBB850_239:
	s_or_b64 exec, exec, s[54:55]
	s_nop 0
	v_mov_b32_dpp v59, v55 row_shr:2 row_mask:0xf bank_mask:0xf
	v_cmp_lt_u32_e64 s[0:1], 1, v58
	s_and_saveexec_b64 s[54:55], s[0:1]
; %bb.240:
	v_and_b32_e32 v57, 0xff0000, v55
	v_cmp_eq_u32_e64 s[0:1], 0, v57
	v_and_b32_e32 v55, 0x10000, v55
	s_nop 0
	v_cndmask_b32_e64 v57, 0, v59, s[0:1]
	v_add_u16_e32 v56, v57, v56
	v_mov_b32_e32 v57, 1
	v_and_b32_sdwa v57, v59, v57 dst_sel:DWORD dst_unused:UNUSED_PAD src0_sel:WORD_1 src1_sel:DWORD
	v_cmp_eq_u32_e64 s[0:1], 0, v55
	s_nop 1
	v_cndmask_b32_e64 v57, 1, v57, s[0:1]
; %bb.241:
	s_or_b64 exec, exec, s[54:55]
	ds_write_b16 v54, v56
	ds_write_b8 v54, v57 offset:2
.LBB850_242:
	s_or_b64 exec, exec, s[52:53]
	v_cmp_lt_u32_e64 s[0:1], 63, v0
	v_mov_b32_e32 v54, 0
	s_waitcnt lgkmcnt(0)
	s_barrier
	s_and_saveexec_b64 s[52:53], s[0:1]
	s_cbranch_execz .LBB850_244
; %bb.243:
	v_lshl_add_u32 v53, v53, 2, -4
	ds_read_u16 v54, v53
	ds_read_u8 v53, v53 offset:2
	v_mov_b32_e32 v55, 0
	v_and_b32_e32 v56, 1, v52
	v_cmp_eq_u16_sdwa s[0:1], v52, v55 src0_sel:BYTE_0 src1_sel:DWORD
	s_waitcnt lgkmcnt(1)
	s_nop 0
	v_cndmask_b32_e64 v52, 0, v54, s[0:1]
	v_cmp_eq_u32_e64 s[0:1], 1, v56
	v_add_u16_e32 v51, v52, v51
	s_waitcnt lgkmcnt(0)
	v_cndmask_b32_e64 v52, v53, 1, s[0:1]
.LBB850_244:
	s_or_b64 exec, exec, s[52:53]
	v_and_b32_e32 v52, 0xff, v52
	v_and_b32_e32 v51, 0xffff, v51
	v_lshl_or_b32 v51, v52, 16, v51
	v_add_u32_e32 v52, -1, v34
	v_and_b32_e32 v53, 64, v34
	v_cmp_lt_i32_e64 s[0:1], v52, v53
	s_nop 1
	v_cndmask_b32_e64 v52, v52, v34, s[0:1]
	v_lshlrev_b32_e32 v52, 2, v52
	ds_bpermute_b32 v51, v52, v51
	s_and_saveexec_b64 s[52:53], s[4:5]
	s_cbranch_execz .LBB850_246
; %bb.245:
	v_cmp_eq_u32_e64 s[0:1], 0, v34
	v_and_b32_e32 v25, 0xff0000, v38
	v_mov_b32_e32 v50, 0
	s_waitcnt lgkmcnt(0)
	v_cndmask_b32_e64 v24, v51, v54, s[0:1]
	v_and_b32_e32 v24, 0xffff, v24
	v_cmp_eq_u32_e64 s[0:1], 0, v25
	;;#ASMSTART
	;;#ASMEND
	s_nop 1
	v_cndmask_b32_e64 v24, 0, v24, s[0:1]
	v_add_u32_e32 v38, v24, v38
	v_cndmask_b32_e32 v24, 0, v38, vcc
	v_add_u16_e32 v24, v24, v39
	v_cndmask_b32_e64 v25, 0, v24, s[6:7]
	v_add_u16_e32 v25, v25, v1
	v_cndmask_b32_e64 v1, 0, v25, s[8:9]
	;; [unrolled: 2-line block ×22, first 2 shown]
	v_add_u16_e32 v49, v1, v23
.LBB850_246:
	s_or_b64 exec, exec, s[52:53]
	s_and_saveexec_b64 s[0:1], s[56:57]
	s_cbranch_execz .LBB850_248
; %bb.247:
	v_mov_b32_e32 v1, 0
	ds_read_u8 v2, v1 offset:14
	ds_read_u16 v3, v1 offset:12
	s_waitcnt lgkmcnt(1)
	v_lshlrev_b32_e32 v2, 16, v2
	s_waitcnt lgkmcnt(0)
	v_or_b32_e32 v2, v2, v3
	v_mov_b32_e32 v3, 2
	global_store_dwordx2 v1, v[2:3], s[68:69] offset:512 sc1
.LBB850_248:
	s_or_b64 exec, exec, s[0:1]
	v_lshl_or_b32 v50, v50, 16, v38
.LBB850_249:
	s_add_u32 s0, s66, s58
	s_addc_u32 s1, s67, s59
	s_add_u32 s0, s0, s60
	s_addc_u32 s1, s1, s61
	s_and_b64 vcc, exec, s[2:3]
	v_mul_u32_u24_e32 v4, 24, v0
	s_cbranch_vccz .LBB850_299
; %bb.250:
	s_add_i32 s33, s33, s70
	v_cmp_le_u32_e32 vcc, s33, v4
	v_or_b32_e32 v8, 1, v4
	v_or_b32_e32 v7, 2, v4
	;; [unrolled: 1-line block ×7, first 2 shown]
	s_and_saveexec_b64 s[2:3], vcc
	s_xor_b64 s[2:3], exec, s[2:3]
; %bb.251:
	v_or_b32_e32 v8, 1, v4
	v_or_b32_e32 v7, 2, v4
	;; [unrolled: 1-line block ×7, first 2 shown]
; %bb.252:
	s_andn2_saveexec_b64 s[2:3], s[2:3]
	s_or_b64 exec, exec, s[2:3]
	v_lshlrev_b32_e32 v39, 1, v4
	v_lshlrev_b32_e32 v8, 1, v8
	v_lshlrev_b32_e32 v7, 1, v7
	v_lshlrev_b32_e32 v6, 1, v6
	s_mov_b32 s2, 0x5040100
	s_waitcnt lgkmcnt(0)
	s_barrier
	ds_write_b16 v39, v50
	ds_write_b16 v8, v24
	;; [unrolled: 1-line block ×4, first 2 shown]
	v_lshlrev_b32_e32 v5, 1, v5
	v_lshlrev_b32_e32 v3, 1, v3
	;; [unrolled: 1-line block ×4, first 2 shown]
	v_perm_b32 v9, v42, v40, s2
	v_perm_b32 v8, v37, v36, s2
	;; [unrolled: 1-line block ×4, first 2 shown]
	ds_write_b16 v5, v27
	ds_write_b16 v3, v28
	;; [unrolled: 1-line block ×4, first 2 shown]
	ds_write_b128 v39, v[6:9] offset:16
	v_perm_b32 v9, v49, v48, s2
	v_perm_b32 v8, v47, v46, s2
	;; [unrolled: 1-line block ×4, first 2 shown]
	s_movk_i32 s2, 0xffd2
	v_mad_i32_i24 v2, v0, s2, v39
	ds_write_b128 v39, v[6:9] offset:32
	s_waitcnt lgkmcnt(0)
	s_barrier
	ds_read_u16 v53, v2 offset:512
	ds_read_u16 v52, v2 offset:1024
	;; [unrolled: 1-line block ×23, first 2 shown]
	v_mov_b32_e32 v23, 0
	v_lshl_add_u64 v[2:3], s[0:1], 0, v[22:23]
	v_cmp_gt_u32_e32 vcc, s33, v0
	s_and_saveexec_b64 s[2:3], vcc
	s_cbranch_execz .LBB850_254
; %bb.253:
	v_mul_i32_i24_e32 v54, 0xffffffd2, v0
	v_add_u32_e32 v39, v39, v54
	ds_read_u16 v39, v39
	s_waitcnt lgkmcnt(0)
	flat_store_short v[2:3], v39
.LBB850_254:
	s_or_b64 exec, exec, s[2:3]
	v_or_b32_e32 v39, 0x100, v0
	v_cmp_gt_u32_e32 vcc, s33, v39
	s_and_saveexec_b64 s[2:3], vcc
	s_cbranch_execz .LBB850_256
; %bb.255:
	s_waitcnt lgkmcnt(0)
	flat_store_short v[2:3], v53 offset:512
.LBB850_256:
	s_or_b64 exec, exec, s[2:3]
	v_or_b32_e32 v39, 0x200, v0
	v_cmp_gt_u32_e32 vcc, s33, v39
	s_and_saveexec_b64 s[2:3], vcc
	s_cbranch_execz .LBB850_258
; %bb.257:
	s_waitcnt lgkmcnt(0)
	flat_store_short v[2:3], v52 offset:1024
.LBB850_258:
	;; [unrolled: 9-line block ×4, first 2 shown]
	s_or_b64 exec, exec, s[2:3]
	s_waitcnt lgkmcnt(0)
	v_or_b32_e32 v38, 0x500, v0
	v_cmp_gt_u32_e32 vcc, s33, v38
	s_and_saveexec_b64 s[2:3], vcc
	s_cbranch_execz .LBB850_264
; %bb.263:
	flat_store_short v[2:3], v34 offset:2560
.LBB850_264:
	s_or_b64 exec, exec, s[2:3]
	v_or_b32_e32 v34, 0x600, v0
	v_cmp_gt_u32_e32 vcc, s33, v34
	s_and_saveexec_b64 s[2:3], vcc
	s_cbranch_execz .LBB850_266
; %bb.265:
	flat_store_short v[2:3], v21 offset:3072
.LBB850_266:
	s_or_b64 exec, exec, s[2:3]
	;; [unrolled: 8-line block ×3, first 2 shown]
	v_or_b32_e32 v20, 0x800, v0
	v_cmp_gt_u32_e32 vcc, s33, v20
	s_and_saveexec_b64 s[2:3], vcc
	s_cbranch_execz .LBB850_270
; %bb.269:
	v_add_co_u32_e32 v20, vcc, 0x1000, v2
	s_nop 1
	v_addc_co_u32_e32 v21, vcc, 0, v3, vcc
	flat_store_short v[20:21], v19
.LBB850_270:
	s_or_b64 exec, exec, s[2:3]
	v_or_b32_e32 v19, 0x900, v0
	v_cmp_gt_u32_e32 vcc, s33, v19
	s_and_saveexec_b64 s[2:3], vcc
	s_cbranch_execz .LBB850_272
; %bb.271:
	v_add_co_u32_e32 v20, vcc, 0x1000, v2
	s_nop 1
	v_addc_co_u32_e32 v21, vcc, 0, v3, vcc
	flat_store_short v[20:21], v18 offset:512
.LBB850_272:
	s_or_b64 exec, exec, s[2:3]
	v_or_b32_e32 v18, 0xa00, v0
	v_cmp_gt_u32_e32 vcc, s33, v18
	s_and_saveexec_b64 s[2:3], vcc
	s_cbranch_execz .LBB850_274
; %bb.273:
	v_add_co_u32_e32 v18, vcc, 0x1000, v2
	s_nop 1
	v_addc_co_u32_e32 v19, vcc, 0, v3, vcc
	flat_store_short v[18:19], v17 offset:1024
.LBB850_274:
	;; [unrolled: 11-line block ×7, first 2 shown]
	s_or_b64 exec, exec, s[2:3]
	v_or_b32_e32 v12, 0x1000, v0
	v_cmp_gt_u32_e32 vcc, s33, v12
	s_and_saveexec_b64 s[2:3], vcc
	s_cbranch_execz .LBB850_286
; %bb.285:
	v_add_co_u32_e32 v12, vcc, 0x2000, v2
	s_nop 1
	v_addc_co_u32_e32 v13, vcc, 0, v3, vcc
	flat_store_short v[12:13], v11
.LBB850_286:
	s_or_b64 exec, exec, s[2:3]
	v_or_b32_e32 v11, 0x1100, v0
	v_cmp_gt_u32_e32 vcc, s33, v11
	s_and_saveexec_b64 s[2:3], vcc
	s_cbranch_execz .LBB850_288
; %bb.287:
	v_add_co_u32_e32 v12, vcc, 0x2000, v2
	s_nop 1
	v_addc_co_u32_e32 v13, vcc, 0, v3, vcc
	flat_store_short v[12:13], v10 offset:512
.LBB850_288:
	s_or_b64 exec, exec, s[2:3]
	v_or_b32_e32 v10, 0x1200, v0
	v_cmp_gt_u32_e32 vcc, s33, v10
	s_and_saveexec_b64 s[2:3], vcc
	s_cbranch_execz .LBB850_290
; %bb.289:
	v_add_co_u32_e32 v10, vcc, 0x2000, v2
	s_nop 1
	v_addc_co_u32_e32 v11, vcc, 0, v3, vcc
	flat_store_short v[10:11], v9 offset:1024
.LBB850_290:
	;; [unrolled: 11-line block ×6, first 2 shown]
	s_or_b64 exec, exec, s[2:3]
	v_or_b32_e32 v2, 0x1700, v0
	v_mov_b32_e32 v1, v23
	v_cmp_gt_u32_e64 s[2:3], s33, v2
	s_branch .LBB850_301
.LBB850_299:
	s_mov_b64 s[2:3], 0
                                        ; implicit-def: $vgpr5
	s_cbranch_execz .LBB850_301
; %bb.300:
	s_mov_b32 s4, 0x5040100
	v_lshlrev_b32_e32 v6, 1, v4
	v_perm_b32 v5, v31, v29, s4
	v_perm_b32 v4, v28, v27, s4
	;; [unrolled: 1-line block ×4, first 2 shown]
	s_waitcnt lgkmcnt(0)
	s_barrier
	ds_write_b128 v6, v[2:5]
	v_perm_b32 v5, v42, v40, s4
	v_perm_b32 v4, v37, v36, s4
	;; [unrolled: 1-line block ×4, first 2 shown]
	ds_write_b128 v6, v[2:5] offset:16
	v_perm_b32 v4, v47, v46, s4
	v_perm_b32 v3, v45, v44, s4
	;; [unrolled: 1-line block ×4, first 2 shown]
	v_mov_b32_e32 v1, 0
	s_movk_i32 s4, 0xffd2
	ds_write_b128 v6, v[2:5] offset:32
	v_mad_i32_i24 v2, v0, s4, v6
	v_mov_b32_e32 v23, v1
	s_waitcnt lgkmcnt(0)
	s_barrier
	ds_read_u16 v4, v2
	ds_read_u16 v6, v2 offset:512
	ds_read_u16 v7, v2 offset:1024
	;; [unrolled: 1-line block ×23, first 2 shown]
	v_lshl_add_u64 v[2:3], s[0:1], 0, v[22:23]
	s_movk_i32 s4, 0x1000
	s_waitcnt lgkmcnt(0)
	flat_store_short v[2:3], v4
	flat_store_short v[2:3], v6 offset:512
	flat_store_short v[2:3], v7 offset:1024
	;; [unrolled: 1-line block ×7, first 2 shown]
	v_add_co_u32_e32 v6, vcc, s4, v2
	s_or_b64 s[2:3], s[2:3], exec
	s_nop 0
	v_addc_co_u32_e32 v7, vcc, 0, v3, vcc
	v_add_co_u32_e32 v2, vcc, 0x2000, v2
	flat_store_short v[6:7], v13
	flat_store_short v[6:7], v14 offset:512
	flat_store_short v[6:7], v15 offset:1024
	;; [unrolled: 1-line block ×7, first 2 shown]
	v_addc_co_u32_e32 v3, vcc, 0, v3, vcc
	flat_store_short v[2:3], v21
	flat_store_short v[2:3], v24 offset:512
	flat_store_short v[2:3], v25 offset:1024
	;; [unrolled: 1-line block ×6, first 2 shown]
.LBB850_301:
	s_and_saveexec_b64 s[4:5], s[2:3]
	s_cbranch_execz .LBB850_303
; %bb.302:
	v_lshl_add_u64 v[0:1], v[0:1], 1, s[0:1]
	v_add_co_u32_e32 v0, vcc, 0x2000, v0
	s_nop 1
	v_addc_co_u32_e32 v1, vcc, 0, v1, vcc
	flat_store_short v[0:1], v5 offset:3584
	s_endpgm
.LBB850_303:
	s_endpgm
	.section	.rodata,"a",@progbits
	.p2align	6, 0x0
	.amdhsa_kernel _ZN7rocprim17ROCPRIM_400000_NS6detail17trampoline_kernelINS0_14default_configENS1_27scan_by_key_config_selectorIssEEZZNS1_16scan_by_key_implILNS1_25lookback_scan_determinismE0ELb0ES3_N6thrust23THRUST_200600_302600_NS6detail15normal_iteratorINS9_10device_ptrIsEEEESE_SE_sNS9_4plusIsEE19head_flag_predicatesEE10hipError_tPvRmT2_T3_T4_T5_mT6_T7_P12ihipStream_tbENKUlT_T0_E_clISt17integral_constantIbLb0EESX_IbLb1EEEEDaST_SU_EUlST_E_NS1_11comp_targetILNS1_3genE5ELNS1_11target_archE942ELNS1_3gpuE9ELNS1_3repE0EEENS1_30default_config_static_selectorELNS0_4arch9wavefront6targetE1EEEvT1_
		.amdhsa_group_segment_fixed_size 13312
		.amdhsa_private_segment_fixed_size 0
		.amdhsa_kernarg_size 112
		.amdhsa_user_sgpr_count 2
		.amdhsa_user_sgpr_dispatch_ptr 0
		.amdhsa_user_sgpr_queue_ptr 0
		.amdhsa_user_sgpr_kernarg_segment_ptr 1
		.amdhsa_user_sgpr_dispatch_id 0
		.amdhsa_user_sgpr_kernarg_preload_length 0
		.amdhsa_user_sgpr_kernarg_preload_offset 0
		.amdhsa_user_sgpr_private_segment_size 0
		.amdhsa_uses_dynamic_stack 0
		.amdhsa_enable_private_segment 0
		.amdhsa_system_sgpr_workgroup_id_x 1
		.amdhsa_system_sgpr_workgroup_id_y 0
		.amdhsa_system_sgpr_workgroup_id_z 0
		.amdhsa_system_sgpr_workgroup_info 0
		.amdhsa_system_vgpr_workitem_id 0
		.amdhsa_next_free_vgpr 63
		.amdhsa_next_free_sgpr 88
		.amdhsa_accum_offset 64
		.amdhsa_reserve_vcc 1
		.amdhsa_float_round_mode_32 0
		.amdhsa_float_round_mode_16_64 0
		.amdhsa_float_denorm_mode_32 3
		.amdhsa_float_denorm_mode_16_64 3
		.amdhsa_dx10_clamp 1
		.amdhsa_ieee_mode 1
		.amdhsa_fp16_overflow 0
		.amdhsa_tg_split 0
		.amdhsa_exception_fp_ieee_invalid_op 0
		.amdhsa_exception_fp_denorm_src 0
		.amdhsa_exception_fp_ieee_div_zero 0
		.amdhsa_exception_fp_ieee_overflow 0
		.amdhsa_exception_fp_ieee_underflow 0
		.amdhsa_exception_fp_ieee_inexact 0
		.amdhsa_exception_int_div_zero 0
	.end_amdhsa_kernel
	.section	.text._ZN7rocprim17ROCPRIM_400000_NS6detail17trampoline_kernelINS0_14default_configENS1_27scan_by_key_config_selectorIssEEZZNS1_16scan_by_key_implILNS1_25lookback_scan_determinismE0ELb0ES3_N6thrust23THRUST_200600_302600_NS6detail15normal_iteratorINS9_10device_ptrIsEEEESE_SE_sNS9_4plusIsEE19head_flag_predicatesEE10hipError_tPvRmT2_T3_T4_T5_mT6_T7_P12ihipStream_tbENKUlT_T0_E_clISt17integral_constantIbLb0EESX_IbLb1EEEEDaST_SU_EUlST_E_NS1_11comp_targetILNS1_3genE5ELNS1_11target_archE942ELNS1_3gpuE9ELNS1_3repE0EEENS1_30default_config_static_selectorELNS0_4arch9wavefront6targetE1EEEvT1_,"axG",@progbits,_ZN7rocprim17ROCPRIM_400000_NS6detail17trampoline_kernelINS0_14default_configENS1_27scan_by_key_config_selectorIssEEZZNS1_16scan_by_key_implILNS1_25lookback_scan_determinismE0ELb0ES3_N6thrust23THRUST_200600_302600_NS6detail15normal_iteratorINS9_10device_ptrIsEEEESE_SE_sNS9_4plusIsEE19head_flag_predicatesEE10hipError_tPvRmT2_T3_T4_T5_mT6_T7_P12ihipStream_tbENKUlT_T0_E_clISt17integral_constantIbLb0EESX_IbLb1EEEEDaST_SU_EUlST_E_NS1_11comp_targetILNS1_3genE5ELNS1_11target_archE942ELNS1_3gpuE9ELNS1_3repE0EEENS1_30default_config_static_selectorELNS0_4arch9wavefront6targetE1EEEvT1_,comdat
.Lfunc_end850:
	.size	_ZN7rocprim17ROCPRIM_400000_NS6detail17trampoline_kernelINS0_14default_configENS1_27scan_by_key_config_selectorIssEEZZNS1_16scan_by_key_implILNS1_25lookback_scan_determinismE0ELb0ES3_N6thrust23THRUST_200600_302600_NS6detail15normal_iteratorINS9_10device_ptrIsEEEESE_SE_sNS9_4plusIsEE19head_flag_predicatesEE10hipError_tPvRmT2_T3_T4_T5_mT6_T7_P12ihipStream_tbENKUlT_T0_E_clISt17integral_constantIbLb0EESX_IbLb1EEEEDaST_SU_EUlST_E_NS1_11comp_targetILNS1_3genE5ELNS1_11target_archE942ELNS1_3gpuE9ELNS1_3repE0EEENS1_30default_config_static_selectorELNS0_4arch9wavefront6targetE1EEEvT1_, .Lfunc_end850-_ZN7rocprim17ROCPRIM_400000_NS6detail17trampoline_kernelINS0_14default_configENS1_27scan_by_key_config_selectorIssEEZZNS1_16scan_by_key_implILNS1_25lookback_scan_determinismE0ELb0ES3_N6thrust23THRUST_200600_302600_NS6detail15normal_iteratorINS9_10device_ptrIsEEEESE_SE_sNS9_4plusIsEE19head_flag_predicatesEE10hipError_tPvRmT2_T3_T4_T5_mT6_T7_P12ihipStream_tbENKUlT_T0_E_clISt17integral_constantIbLb0EESX_IbLb1EEEEDaST_SU_EUlST_E_NS1_11comp_targetILNS1_3genE5ELNS1_11target_archE942ELNS1_3gpuE9ELNS1_3repE0EEENS1_30default_config_static_selectorELNS0_4arch9wavefront6targetE1EEEvT1_
                                        ; -- End function
	.section	.AMDGPU.csdata,"",@progbits
; Kernel info:
; codeLenInByte = 15724
; NumSgprs: 94
; NumVgprs: 63
; NumAgprs: 0
; TotalNumVgprs: 63
; ScratchSize: 0
; MemoryBound: 0
; FloatMode: 240
; IeeeMode: 1
; LDSByteSize: 13312 bytes/workgroup (compile time only)
; SGPRBlocks: 11
; VGPRBlocks: 7
; NumSGPRsForWavesPerEU: 94
; NumVGPRsForWavesPerEU: 63
; AccumOffset: 64
; Occupancy: 4
; WaveLimiterHint : 1
; COMPUTE_PGM_RSRC2:SCRATCH_EN: 0
; COMPUTE_PGM_RSRC2:USER_SGPR: 2
; COMPUTE_PGM_RSRC2:TRAP_HANDLER: 0
; COMPUTE_PGM_RSRC2:TGID_X_EN: 1
; COMPUTE_PGM_RSRC2:TGID_Y_EN: 0
; COMPUTE_PGM_RSRC2:TGID_Z_EN: 0
; COMPUTE_PGM_RSRC2:TIDIG_COMP_CNT: 0
; COMPUTE_PGM_RSRC3_GFX90A:ACCUM_OFFSET: 15
; COMPUTE_PGM_RSRC3_GFX90A:TG_SPLIT: 0
	.section	.text._ZN7rocprim17ROCPRIM_400000_NS6detail17trampoline_kernelINS0_14default_configENS1_27scan_by_key_config_selectorIssEEZZNS1_16scan_by_key_implILNS1_25lookback_scan_determinismE0ELb0ES3_N6thrust23THRUST_200600_302600_NS6detail15normal_iteratorINS9_10device_ptrIsEEEESE_SE_sNS9_4plusIsEE19head_flag_predicatesEE10hipError_tPvRmT2_T3_T4_T5_mT6_T7_P12ihipStream_tbENKUlT_T0_E_clISt17integral_constantIbLb0EESX_IbLb1EEEEDaST_SU_EUlST_E_NS1_11comp_targetILNS1_3genE4ELNS1_11target_archE910ELNS1_3gpuE8ELNS1_3repE0EEENS1_30default_config_static_selectorELNS0_4arch9wavefront6targetE1EEEvT1_,"axG",@progbits,_ZN7rocprim17ROCPRIM_400000_NS6detail17trampoline_kernelINS0_14default_configENS1_27scan_by_key_config_selectorIssEEZZNS1_16scan_by_key_implILNS1_25lookback_scan_determinismE0ELb0ES3_N6thrust23THRUST_200600_302600_NS6detail15normal_iteratorINS9_10device_ptrIsEEEESE_SE_sNS9_4plusIsEE19head_flag_predicatesEE10hipError_tPvRmT2_T3_T4_T5_mT6_T7_P12ihipStream_tbENKUlT_T0_E_clISt17integral_constantIbLb0EESX_IbLb1EEEEDaST_SU_EUlST_E_NS1_11comp_targetILNS1_3genE4ELNS1_11target_archE910ELNS1_3gpuE8ELNS1_3repE0EEENS1_30default_config_static_selectorELNS0_4arch9wavefront6targetE1EEEvT1_,comdat
	.protected	_ZN7rocprim17ROCPRIM_400000_NS6detail17trampoline_kernelINS0_14default_configENS1_27scan_by_key_config_selectorIssEEZZNS1_16scan_by_key_implILNS1_25lookback_scan_determinismE0ELb0ES3_N6thrust23THRUST_200600_302600_NS6detail15normal_iteratorINS9_10device_ptrIsEEEESE_SE_sNS9_4plusIsEE19head_flag_predicatesEE10hipError_tPvRmT2_T3_T4_T5_mT6_T7_P12ihipStream_tbENKUlT_T0_E_clISt17integral_constantIbLb0EESX_IbLb1EEEEDaST_SU_EUlST_E_NS1_11comp_targetILNS1_3genE4ELNS1_11target_archE910ELNS1_3gpuE8ELNS1_3repE0EEENS1_30default_config_static_selectorELNS0_4arch9wavefront6targetE1EEEvT1_ ; -- Begin function _ZN7rocprim17ROCPRIM_400000_NS6detail17trampoline_kernelINS0_14default_configENS1_27scan_by_key_config_selectorIssEEZZNS1_16scan_by_key_implILNS1_25lookback_scan_determinismE0ELb0ES3_N6thrust23THRUST_200600_302600_NS6detail15normal_iteratorINS9_10device_ptrIsEEEESE_SE_sNS9_4plusIsEE19head_flag_predicatesEE10hipError_tPvRmT2_T3_T4_T5_mT6_T7_P12ihipStream_tbENKUlT_T0_E_clISt17integral_constantIbLb0EESX_IbLb1EEEEDaST_SU_EUlST_E_NS1_11comp_targetILNS1_3genE4ELNS1_11target_archE910ELNS1_3gpuE8ELNS1_3repE0EEENS1_30default_config_static_selectorELNS0_4arch9wavefront6targetE1EEEvT1_
	.globl	_ZN7rocprim17ROCPRIM_400000_NS6detail17trampoline_kernelINS0_14default_configENS1_27scan_by_key_config_selectorIssEEZZNS1_16scan_by_key_implILNS1_25lookback_scan_determinismE0ELb0ES3_N6thrust23THRUST_200600_302600_NS6detail15normal_iteratorINS9_10device_ptrIsEEEESE_SE_sNS9_4plusIsEE19head_flag_predicatesEE10hipError_tPvRmT2_T3_T4_T5_mT6_T7_P12ihipStream_tbENKUlT_T0_E_clISt17integral_constantIbLb0EESX_IbLb1EEEEDaST_SU_EUlST_E_NS1_11comp_targetILNS1_3genE4ELNS1_11target_archE910ELNS1_3gpuE8ELNS1_3repE0EEENS1_30default_config_static_selectorELNS0_4arch9wavefront6targetE1EEEvT1_
	.p2align	8
	.type	_ZN7rocprim17ROCPRIM_400000_NS6detail17trampoline_kernelINS0_14default_configENS1_27scan_by_key_config_selectorIssEEZZNS1_16scan_by_key_implILNS1_25lookback_scan_determinismE0ELb0ES3_N6thrust23THRUST_200600_302600_NS6detail15normal_iteratorINS9_10device_ptrIsEEEESE_SE_sNS9_4plusIsEE19head_flag_predicatesEE10hipError_tPvRmT2_T3_T4_T5_mT6_T7_P12ihipStream_tbENKUlT_T0_E_clISt17integral_constantIbLb0EESX_IbLb1EEEEDaST_SU_EUlST_E_NS1_11comp_targetILNS1_3genE4ELNS1_11target_archE910ELNS1_3gpuE8ELNS1_3repE0EEENS1_30default_config_static_selectorELNS0_4arch9wavefront6targetE1EEEvT1_,@function
_ZN7rocprim17ROCPRIM_400000_NS6detail17trampoline_kernelINS0_14default_configENS1_27scan_by_key_config_selectorIssEEZZNS1_16scan_by_key_implILNS1_25lookback_scan_determinismE0ELb0ES3_N6thrust23THRUST_200600_302600_NS6detail15normal_iteratorINS9_10device_ptrIsEEEESE_SE_sNS9_4plusIsEE19head_flag_predicatesEE10hipError_tPvRmT2_T3_T4_T5_mT6_T7_P12ihipStream_tbENKUlT_T0_E_clISt17integral_constantIbLb0EESX_IbLb1EEEEDaST_SU_EUlST_E_NS1_11comp_targetILNS1_3genE4ELNS1_11target_archE910ELNS1_3gpuE8ELNS1_3repE0EEENS1_30default_config_static_selectorELNS0_4arch9wavefront6targetE1EEEvT1_: ; @_ZN7rocprim17ROCPRIM_400000_NS6detail17trampoline_kernelINS0_14default_configENS1_27scan_by_key_config_selectorIssEEZZNS1_16scan_by_key_implILNS1_25lookback_scan_determinismE0ELb0ES3_N6thrust23THRUST_200600_302600_NS6detail15normal_iteratorINS9_10device_ptrIsEEEESE_SE_sNS9_4plusIsEE19head_flag_predicatesEE10hipError_tPvRmT2_T3_T4_T5_mT6_T7_P12ihipStream_tbENKUlT_T0_E_clISt17integral_constantIbLb0EESX_IbLb1EEEEDaST_SU_EUlST_E_NS1_11comp_targetILNS1_3genE4ELNS1_11target_archE910ELNS1_3gpuE8ELNS1_3repE0EEENS1_30default_config_static_selectorELNS0_4arch9wavefront6targetE1EEEvT1_
; %bb.0:
	.section	.rodata,"a",@progbits
	.p2align	6, 0x0
	.amdhsa_kernel _ZN7rocprim17ROCPRIM_400000_NS6detail17trampoline_kernelINS0_14default_configENS1_27scan_by_key_config_selectorIssEEZZNS1_16scan_by_key_implILNS1_25lookback_scan_determinismE0ELb0ES3_N6thrust23THRUST_200600_302600_NS6detail15normal_iteratorINS9_10device_ptrIsEEEESE_SE_sNS9_4plusIsEE19head_flag_predicatesEE10hipError_tPvRmT2_T3_T4_T5_mT6_T7_P12ihipStream_tbENKUlT_T0_E_clISt17integral_constantIbLb0EESX_IbLb1EEEEDaST_SU_EUlST_E_NS1_11comp_targetILNS1_3genE4ELNS1_11target_archE910ELNS1_3gpuE8ELNS1_3repE0EEENS1_30default_config_static_selectorELNS0_4arch9wavefront6targetE1EEEvT1_
		.amdhsa_group_segment_fixed_size 0
		.amdhsa_private_segment_fixed_size 0
		.amdhsa_kernarg_size 112
		.amdhsa_user_sgpr_count 2
		.amdhsa_user_sgpr_dispatch_ptr 0
		.amdhsa_user_sgpr_queue_ptr 0
		.amdhsa_user_sgpr_kernarg_segment_ptr 1
		.amdhsa_user_sgpr_dispatch_id 0
		.amdhsa_user_sgpr_kernarg_preload_length 0
		.amdhsa_user_sgpr_kernarg_preload_offset 0
		.amdhsa_user_sgpr_private_segment_size 0
		.amdhsa_uses_dynamic_stack 0
		.amdhsa_enable_private_segment 0
		.amdhsa_system_sgpr_workgroup_id_x 1
		.amdhsa_system_sgpr_workgroup_id_y 0
		.amdhsa_system_sgpr_workgroup_id_z 0
		.amdhsa_system_sgpr_workgroup_info 0
		.amdhsa_system_vgpr_workitem_id 0
		.amdhsa_next_free_vgpr 1
		.amdhsa_next_free_sgpr 0
		.amdhsa_accum_offset 4
		.amdhsa_reserve_vcc 0
		.amdhsa_float_round_mode_32 0
		.amdhsa_float_round_mode_16_64 0
		.amdhsa_float_denorm_mode_32 3
		.amdhsa_float_denorm_mode_16_64 3
		.amdhsa_dx10_clamp 1
		.amdhsa_ieee_mode 1
		.amdhsa_fp16_overflow 0
		.amdhsa_tg_split 0
		.amdhsa_exception_fp_ieee_invalid_op 0
		.amdhsa_exception_fp_denorm_src 0
		.amdhsa_exception_fp_ieee_div_zero 0
		.amdhsa_exception_fp_ieee_overflow 0
		.amdhsa_exception_fp_ieee_underflow 0
		.amdhsa_exception_fp_ieee_inexact 0
		.amdhsa_exception_int_div_zero 0
	.end_amdhsa_kernel
	.section	.text._ZN7rocprim17ROCPRIM_400000_NS6detail17trampoline_kernelINS0_14default_configENS1_27scan_by_key_config_selectorIssEEZZNS1_16scan_by_key_implILNS1_25lookback_scan_determinismE0ELb0ES3_N6thrust23THRUST_200600_302600_NS6detail15normal_iteratorINS9_10device_ptrIsEEEESE_SE_sNS9_4plusIsEE19head_flag_predicatesEE10hipError_tPvRmT2_T3_T4_T5_mT6_T7_P12ihipStream_tbENKUlT_T0_E_clISt17integral_constantIbLb0EESX_IbLb1EEEEDaST_SU_EUlST_E_NS1_11comp_targetILNS1_3genE4ELNS1_11target_archE910ELNS1_3gpuE8ELNS1_3repE0EEENS1_30default_config_static_selectorELNS0_4arch9wavefront6targetE1EEEvT1_,"axG",@progbits,_ZN7rocprim17ROCPRIM_400000_NS6detail17trampoline_kernelINS0_14default_configENS1_27scan_by_key_config_selectorIssEEZZNS1_16scan_by_key_implILNS1_25lookback_scan_determinismE0ELb0ES3_N6thrust23THRUST_200600_302600_NS6detail15normal_iteratorINS9_10device_ptrIsEEEESE_SE_sNS9_4plusIsEE19head_flag_predicatesEE10hipError_tPvRmT2_T3_T4_T5_mT6_T7_P12ihipStream_tbENKUlT_T0_E_clISt17integral_constantIbLb0EESX_IbLb1EEEEDaST_SU_EUlST_E_NS1_11comp_targetILNS1_3genE4ELNS1_11target_archE910ELNS1_3gpuE8ELNS1_3repE0EEENS1_30default_config_static_selectorELNS0_4arch9wavefront6targetE1EEEvT1_,comdat
.Lfunc_end851:
	.size	_ZN7rocprim17ROCPRIM_400000_NS6detail17trampoline_kernelINS0_14default_configENS1_27scan_by_key_config_selectorIssEEZZNS1_16scan_by_key_implILNS1_25lookback_scan_determinismE0ELb0ES3_N6thrust23THRUST_200600_302600_NS6detail15normal_iteratorINS9_10device_ptrIsEEEESE_SE_sNS9_4plusIsEE19head_flag_predicatesEE10hipError_tPvRmT2_T3_T4_T5_mT6_T7_P12ihipStream_tbENKUlT_T0_E_clISt17integral_constantIbLb0EESX_IbLb1EEEEDaST_SU_EUlST_E_NS1_11comp_targetILNS1_3genE4ELNS1_11target_archE910ELNS1_3gpuE8ELNS1_3repE0EEENS1_30default_config_static_selectorELNS0_4arch9wavefront6targetE1EEEvT1_, .Lfunc_end851-_ZN7rocprim17ROCPRIM_400000_NS6detail17trampoline_kernelINS0_14default_configENS1_27scan_by_key_config_selectorIssEEZZNS1_16scan_by_key_implILNS1_25lookback_scan_determinismE0ELb0ES3_N6thrust23THRUST_200600_302600_NS6detail15normal_iteratorINS9_10device_ptrIsEEEESE_SE_sNS9_4plusIsEE19head_flag_predicatesEE10hipError_tPvRmT2_T3_T4_T5_mT6_T7_P12ihipStream_tbENKUlT_T0_E_clISt17integral_constantIbLb0EESX_IbLb1EEEEDaST_SU_EUlST_E_NS1_11comp_targetILNS1_3genE4ELNS1_11target_archE910ELNS1_3gpuE8ELNS1_3repE0EEENS1_30default_config_static_selectorELNS0_4arch9wavefront6targetE1EEEvT1_
                                        ; -- End function
	.section	.AMDGPU.csdata,"",@progbits
; Kernel info:
; codeLenInByte = 0
; NumSgprs: 6
; NumVgprs: 0
; NumAgprs: 0
; TotalNumVgprs: 0
; ScratchSize: 0
; MemoryBound: 0
; FloatMode: 240
; IeeeMode: 1
; LDSByteSize: 0 bytes/workgroup (compile time only)
; SGPRBlocks: 0
; VGPRBlocks: 0
; NumSGPRsForWavesPerEU: 6
; NumVGPRsForWavesPerEU: 1
; AccumOffset: 4
; Occupancy: 8
; WaveLimiterHint : 0
; COMPUTE_PGM_RSRC2:SCRATCH_EN: 0
; COMPUTE_PGM_RSRC2:USER_SGPR: 2
; COMPUTE_PGM_RSRC2:TRAP_HANDLER: 0
; COMPUTE_PGM_RSRC2:TGID_X_EN: 1
; COMPUTE_PGM_RSRC2:TGID_Y_EN: 0
; COMPUTE_PGM_RSRC2:TGID_Z_EN: 0
; COMPUTE_PGM_RSRC2:TIDIG_COMP_CNT: 0
; COMPUTE_PGM_RSRC3_GFX90A:ACCUM_OFFSET: 0
; COMPUTE_PGM_RSRC3_GFX90A:TG_SPLIT: 0
	.section	.text._ZN7rocprim17ROCPRIM_400000_NS6detail17trampoline_kernelINS0_14default_configENS1_27scan_by_key_config_selectorIssEEZZNS1_16scan_by_key_implILNS1_25lookback_scan_determinismE0ELb0ES3_N6thrust23THRUST_200600_302600_NS6detail15normal_iteratorINS9_10device_ptrIsEEEESE_SE_sNS9_4plusIsEE19head_flag_predicatesEE10hipError_tPvRmT2_T3_T4_T5_mT6_T7_P12ihipStream_tbENKUlT_T0_E_clISt17integral_constantIbLb0EESX_IbLb1EEEEDaST_SU_EUlST_E_NS1_11comp_targetILNS1_3genE3ELNS1_11target_archE908ELNS1_3gpuE7ELNS1_3repE0EEENS1_30default_config_static_selectorELNS0_4arch9wavefront6targetE1EEEvT1_,"axG",@progbits,_ZN7rocprim17ROCPRIM_400000_NS6detail17trampoline_kernelINS0_14default_configENS1_27scan_by_key_config_selectorIssEEZZNS1_16scan_by_key_implILNS1_25lookback_scan_determinismE0ELb0ES3_N6thrust23THRUST_200600_302600_NS6detail15normal_iteratorINS9_10device_ptrIsEEEESE_SE_sNS9_4plusIsEE19head_flag_predicatesEE10hipError_tPvRmT2_T3_T4_T5_mT6_T7_P12ihipStream_tbENKUlT_T0_E_clISt17integral_constantIbLb0EESX_IbLb1EEEEDaST_SU_EUlST_E_NS1_11comp_targetILNS1_3genE3ELNS1_11target_archE908ELNS1_3gpuE7ELNS1_3repE0EEENS1_30default_config_static_selectorELNS0_4arch9wavefront6targetE1EEEvT1_,comdat
	.protected	_ZN7rocprim17ROCPRIM_400000_NS6detail17trampoline_kernelINS0_14default_configENS1_27scan_by_key_config_selectorIssEEZZNS1_16scan_by_key_implILNS1_25lookback_scan_determinismE0ELb0ES3_N6thrust23THRUST_200600_302600_NS6detail15normal_iteratorINS9_10device_ptrIsEEEESE_SE_sNS9_4plusIsEE19head_flag_predicatesEE10hipError_tPvRmT2_T3_T4_T5_mT6_T7_P12ihipStream_tbENKUlT_T0_E_clISt17integral_constantIbLb0EESX_IbLb1EEEEDaST_SU_EUlST_E_NS1_11comp_targetILNS1_3genE3ELNS1_11target_archE908ELNS1_3gpuE7ELNS1_3repE0EEENS1_30default_config_static_selectorELNS0_4arch9wavefront6targetE1EEEvT1_ ; -- Begin function _ZN7rocprim17ROCPRIM_400000_NS6detail17trampoline_kernelINS0_14default_configENS1_27scan_by_key_config_selectorIssEEZZNS1_16scan_by_key_implILNS1_25lookback_scan_determinismE0ELb0ES3_N6thrust23THRUST_200600_302600_NS6detail15normal_iteratorINS9_10device_ptrIsEEEESE_SE_sNS9_4plusIsEE19head_flag_predicatesEE10hipError_tPvRmT2_T3_T4_T5_mT6_T7_P12ihipStream_tbENKUlT_T0_E_clISt17integral_constantIbLb0EESX_IbLb1EEEEDaST_SU_EUlST_E_NS1_11comp_targetILNS1_3genE3ELNS1_11target_archE908ELNS1_3gpuE7ELNS1_3repE0EEENS1_30default_config_static_selectorELNS0_4arch9wavefront6targetE1EEEvT1_
	.globl	_ZN7rocprim17ROCPRIM_400000_NS6detail17trampoline_kernelINS0_14default_configENS1_27scan_by_key_config_selectorIssEEZZNS1_16scan_by_key_implILNS1_25lookback_scan_determinismE0ELb0ES3_N6thrust23THRUST_200600_302600_NS6detail15normal_iteratorINS9_10device_ptrIsEEEESE_SE_sNS9_4plusIsEE19head_flag_predicatesEE10hipError_tPvRmT2_T3_T4_T5_mT6_T7_P12ihipStream_tbENKUlT_T0_E_clISt17integral_constantIbLb0EESX_IbLb1EEEEDaST_SU_EUlST_E_NS1_11comp_targetILNS1_3genE3ELNS1_11target_archE908ELNS1_3gpuE7ELNS1_3repE0EEENS1_30default_config_static_selectorELNS0_4arch9wavefront6targetE1EEEvT1_
	.p2align	8
	.type	_ZN7rocprim17ROCPRIM_400000_NS6detail17trampoline_kernelINS0_14default_configENS1_27scan_by_key_config_selectorIssEEZZNS1_16scan_by_key_implILNS1_25lookback_scan_determinismE0ELb0ES3_N6thrust23THRUST_200600_302600_NS6detail15normal_iteratorINS9_10device_ptrIsEEEESE_SE_sNS9_4plusIsEE19head_flag_predicatesEE10hipError_tPvRmT2_T3_T4_T5_mT6_T7_P12ihipStream_tbENKUlT_T0_E_clISt17integral_constantIbLb0EESX_IbLb1EEEEDaST_SU_EUlST_E_NS1_11comp_targetILNS1_3genE3ELNS1_11target_archE908ELNS1_3gpuE7ELNS1_3repE0EEENS1_30default_config_static_selectorELNS0_4arch9wavefront6targetE1EEEvT1_,@function
_ZN7rocprim17ROCPRIM_400000_NS6detail17trampoline_kernelINS0_14default_configENS1_27scan_by_key_config_selectorIssEEZZNS1_16scan_by_key_implILNS1_25lookback_scan_determinismE0ELb0ES3_N6thrust23THRUST_200600_302600_NS6detail15normal_iteratorINS9_10device_ptrIsEEEESE_SE_sNS9_4plusIsEE19head_flag_predicatesEE10hipError_tPvRmT2_T3_T4_T5_mT6_T7_P12ihipStream_tbENKUlT_T0_E_clISt17integral_constantIbLb0EESX_IbLb1EEEEDaST_SU_EUlST_E_NS1_11comp_targetILNS1_3genE3ELNS1_11target_archE908ELNS1_3gpuE7ELNS1_3repE0EEENS1_30default_config_static_selectorELNS0_4arch9wavefront6targetE1EEEvT1_: ; @_ZN7rocprim17ROCPRIM_400000_NS6detail17trampoline_kernelINS0_14default_configENS1_27scan_by_key_config_selectorIssEEZZNS1_16scan_by_key_implILNS1_25lookback_scan_determinismE0ELb0ES3_N6thrust23THRUST_200600_302600_NS6detail15normal_iteratorINS9_10device_ptrIsEEEESE_SE_sNS9_4plusIsEE19head_flag_predicatesEE10hipError_tPvRmT2_T3_T4_T5_mT6_T7_P12ihipStream_tbENKUlT_T0_E_clISt17integral_constantIbLb0EESX_IbLb1EEEEDaST_SU_EUlST_E_NS1_11comp_targetILNS1_3genE3ELNS1_11target_archE908ELNS1_3gpuE7ELNS1_3repE0EEENS1_30default_config_static_selectorELNS0_4arch9wavefront6targetE1EEEvT1_
; %bb.0:
	.section	.rodata,"a",@progbits
	.p2align	6, 0x0
	.amdhsa_kernel _ZN7rocprim17ROCPRIM_400000_NS6detail17trampoline_kernelINS0_14default_configENS1_27scan_by_key_config_selectorIssEEZZNS1_16scan_by_key_implILNS1_25lookback_scan_determinismE0ELb0ES3_N6thrust23THRUST_200600_302600_NS6detail15normal_iteratorINS9_10device_ptrIsEEEESE_SE_sNS9_4plusIsEE19head_flag_predicatesEE10hipError_tPvRmT2_T3_T4_T5_mT6_T7_P12ihipStream_tbENKUlT_T0_E_clISt17integral_constantIbLb0EESX_IbLb1EEEEDaST_SU_EUlST_E_NS1_11comp_targetILNS1_3genE3ELNS1_11target_archE908ELNS1_3gpuE7ELNS1_3repE0EEENS1_30default_config_static_selectorELNS0_4arch9wavefront6targetE1EEEvT1_
		.amdhsa_group_segment_fixed_size 0
		.amdhsa_private_segment_fixed_size 0
		.amdhsa_kernarg_size 112
		.amdhsa_user_sgpr_count 2
		.amdhsa_user_sgpr_dispatch_ptr 0
		.amdhsa_user_sgpr_queue_ptr 0
		.amdhsa_user_sgpr_kernarg_segment_ptr 1
		.amdhsa_user_sgpr_dispatch_id 0
		.amdhsa_user_sgpr_kernarg_preload_length 0
		.amdhsa_user_sgpr_kernarg_preload_offset 0
		.amdhsa_user_sgpr_private_segment_size 0
		.amdhsa_uses_dynamic_stack 0
		.amdhsa_enable_private_segment 0
		.amdhsa_system_sgpr_workgroup_id_x 1
		.amdhsa_system_sgpr_workgroup_id_y 0
		.amdhsa_system_sgpr_workgroup_id_z 0
		.amdhsa_system_sgpr_workgroup_info 0
		.amdhsa_system_vgpr_workitem_id 0
		.amdhsa_next_free_vgpr 1
		.amdhsa_next_free_sgpr 0
		.amdhsa_accum_offset 4
		.amdhsa_reserve_vcc 0
		.amdhsa_float_round_mode_32 0
		.amdhsa_float_round_mode_16_64 0
		.amdhsa_float_denorm_mode_32 3
		.amdhsa_float_denorm_mode_16_64 3
		.amdhsa_dx10_clamp 1
		.amdhsa_ieee_mode 1
		.amdhsa_fp16_overflow 0
		.amdhsa_tg_split 0
		.amdhsa_exception_fp_ieee_invalid_op 0
		.amdhsa_exception_fp_denorm_src 0
		.amdhsa_exception_fp_ieee_div_zero 0
		.amdhsa_exception_fp_ieee_overflow 0
		.amdhsa_exception_fp_ieee_underflow 0
		.amdhsa_exception_fp_ieee_inexact 0
		.amdhsa_exception_int_div_zero 0
	.end_amdhsa_kernel
	.section	.text._ZN7rocprim17ROCPRIM_400000_NS6detail17trampoline_kernelINS0_14default_configENS1_27scan_by_key_config_selectorIssEEZZNS1_16scan_by_key_implILNS1_25lookback_scan_determinismE0ELb0ES3_N6thrust23THRUST_200600_302600_NS6detail15normal_iteratorINS9_10device_ptrIsEEEESE_SE_sNS9_4plusIsEE19head_flag_predicatesEE10hipError_tPvRmT2_T3_T4_T5_mT6_T7_P12ihipStream_tbENKUlT_T0_E_clISt17integral_constantIbLb0EESX_IbLb1EEEEDaST_SU_EUlST_E_NS1_11comp_targetILNS1_3genE3ELNS1_11target_archE908ELNS1_3gpuE7ELNS1_3repE0EEENS1_30default_config_static_selectorELNS0_4arch9wavefront6targetE1EEEvT1_,"axG",@progbits,_ZN7rocprim17ROCPRIM_400000_NS6detail17trampoline_kernelINS0_14default_configENS1_27scan_by_key_config_selectorIssEEZZNS1_16scan_by_key_implILNS1_25lookback_scan_determinismE0ELb0ES3_N6thrust23THRUST_200600_302600_NS6detail15normal_iteratorINS9_10device_ptrIsEEEESE_SE_sNS9_4plusIsEE19head_flag_predicatesEE10hipError_tPvRmT2_T3_T4_T5_mT6_T7_P12ihipStream_tbENKUlT_T0_E_clISt17integral_constantIbLb0EESX_IbLb1EEEEDaST_SU_EUlST_E_NS1_11comp_targetILNS1_3genE3ELNS1_11target_archE908ELNS1_3gpuE7ELNS1_3repE0EEENS1_30default_config_static_selectorELNS0_4arch9wavefront6targetE1EEEvT1_,comdat
.Lfunc_end852:
	.size	_ZN7rocprim17ROCPRIM_400000_NS6detail17trampoline_kernelINS0_14default_configENS1_27scan_by_key_config_selectorIssEEZZNS1_16scan_by_key_implILNS1_25lookback_scan_determinismE0ELb0ES3_N6thrust23THRUST_200600_302600_NS6detail15normal_iteratorINS9_10device_ptrIsEEEESE_SE_sNS9_4plusIsEE19head_flag_predicatesEE10hipError_tPvRmT2_T3_T4_T5_mT6_T7_P12ihipStream_tbENKUlT_T0_E_clISt17integral_constantIbLb0EESX_IbLb1EEEEDaST_SU_EUlST_E_NS1_11comp_targetILNS1_3genE3ELNS1_11target_archE908ELNS1_3gpuE7ELNS1_3repE0EEENS1_30default_config_static_selectorELNS0_4arch9wavefront6targetE1EEEvT1_, .Lfunc_end852-_ZN7rocprim17ROCPRIM_400000_NS6detail17trampoline_kernelINS0_14default_configENS1_27scan_by_key_config_selectorIssEEZZNS1_16scan_by_key_implILNS1_25lookback_scan_determinismE0ELb0ES3_N6thrust23THRUST_200600_302600_NS6detail15normal_iteratorINS9_10device_ptrIsEEEESE_SE_sNS9_4plusIsEE19head_flag_predicatesEE10hipError_tPvRmT2_T3_T4_T5_mT6_T7_P12ihipStream_tbENKUlT_T0_E_clISt17integral_constantIbLb0EESX_IbLb1EEEEDaST_SU_EUlST_E_NS1_11comp_targetILNS1_3genE3ELNS1_11target_archE908ELNS1_3gpuE7ELNS1_3repE0EEENS1_30default_config_static_selectorELNS0_4arch9wavefront6targetE1EEEvT1_
                                        ; -- End function
	.section	.AMDGPU.csdata,"",@progbits
; Kernel info:
; codeLenInByte = 0
; NumSgprs: 6
; NumVgprs: 0
; NumAgprs: 0
; TotalNumVgprs: 0
; ScratchSize: 0
; MemoryBound: 0
; FloatMode: 240
; IeeeMode: 1
; LDSByteSize: 0 bytes/workgroup (compile time only)
; SGPRBlocks: 0
; VGPRBlocks: 0
; NumSGPRsForWavesPerEU: 6
; NumVGPRsForWavesPerEU: 1
; AccumOffset: 4
; Occupancy: 8
; WaveLimiterHint : 0
; COMPUTE_PGM_RSRC2:SCRATCH_EN: 0
; COMPUTE_PGM_RSRC2:USER_SGPR: 2
; COMPUTE_PGM_RSRC2:TRAP_HANDLER: 0
; COMPUTE_PGM_RSRC2:TGID_X_EN: 1
; COMPUTE_PGM_RSRC2:TGID_Y_EN: 0
; COMPUTE_PGM_RSRC2:TGID_Z_EN: 0
; COMPUTE_PGM_RSRC2:TIDIG_COMP_CNT: 0
; COMPUTE_PGM_RSRC3_GFX90A:ACCUM_OFFSET: 0
; COMPUTE_PGM_RSRC3_GFX90A:TG_SPLIT: 0
	.section	.text._ZN7rocprim17ROCPRIM_400000_NS6detail17trampoline_kernelINS0_14default_configENS1_27scan_by_key_config_selectorIssEEZZNS1_16scan_by_key_implILNS1_25lookback_scan_determinismE0ELb0ES3_N6thrust23THRUST_200600_302600_NS6detail15normal_iteratorINS9_10device_ptrIsEEEESE_SE_sNS9_4plusIsEE19head_flag_predicatesEE10hipError_tPvRmT2_T3_T4_T5_mT6_T7_P12ihipStream_tbENKUlT_T0_E_clISt17integral_constantIbLb0EESX_IbLb1EEEEDaST_SU_EUlST_E_NS1_11comp_targetILNS1_3genE2ELNS1_11target_archE906ELNS1_3gpuE6ELNS1_3repE0EEENS1_30default_config_static_selectorELNS0_4arch9wavefront6targetE1EEEvT1_,"axG",@progbits,_ZN7rocprim17ROCPRIM_400000_NS6detail17trampoline_kernelINS0_14default_configENS1_27scan_by_key_config_selectorIssEEZZNS1_16scan_by_key_implILNS1_25lookback_scan_determinismE0ELb0ES3_N6thrust23THRUST_200600_302600_NS6detail15normal_iteratorINS9_10device_ptrIsEEEESE_SE_sNS9_4plusIsEE19head_flag_predicatesEE10hipError_tPvRmT2_T3_T4_T5_mT6_T7_P12ihipStream_tbENKUlT_T0_E_clISt17integral_constantIbLb0EESX_IbLb1EEEEDaST_SU_EUlST_E_NS1_11comp_targetILNS1_3genE2ELNS1_11target_archE906ELNS1_3gpuE6ELNS1_3repE0EEENS1_30default_config_static_selectorELNS0_4arch9wavefront6targetE1EEEvT1_,comdat
	.protected	_ZN7rocprim17ROCPRIM_400000_NS6detail17trampoline_kernelINS0_14default_configENS1_27scan_by_key_config_selectorIssEEZZNS1_16scan_by_key_implILNS1_25lookback_scan_determinismE0ELb0ES3_N6thrust23THRUST_200600_302600_NS6detail15normal_iteratorINS9_10device_ptrIsEEEESE_SE_sNS9_4plusIsEE19head_flag_predicatesEE10hipError_tPvRmT2_T3_T4_T5_mT6_T7_P12ihipStream_tbENKUlT_T0_E_clISt17integral_constantIbLb0EESX_IbLb1EEEEDaST_SU_EUlST_E_NS1_11comp_targetILNS1_3genE2ELNS1_11target_archE906ELNS1_3gpuE6ELNS1_3repE0EEENS1_30default_config_static_selectorELNS0_4arch9wavefront6targetE1EEEvT1_ ; -- Begin function _ZN7rocprim17ROCPRIM_400000_NS6detail17trampoline_kernelINS0_14default_configENS1_27scan_by_key_config_selectorIssEEZZNS1_16scan_by_key_implILNS1_25lookback_scan_determinismE0ELb0ES3_N6thrust23THRUST_200600_302600_NS6detail15normal_iteratorINS9_10device_ptrIsEEEESE_SE_sNS9_4plusIsEE19head_flag_predicatesEE10hipError_tPvRmT2_T3_T4_T5_mT6_T7_P12ihipStream_tbENKUlT_T0_E_clISt17integral_constantIbLb0EESX_IbLb1EEEEDaST_SU_EUlST_E_NS1_11comp_targetILNS1_3genE2ELNS1_11target_archE906ELNS1_3gpuE6ELNS1_3repE0EEENS1_30default_config_static_selectorELNS0_4arch9wavefront6targetE1EEEvT1_
	.globl	_ZN7rocprim17ROCPRIM_400000_NS6detail17trampoline_kernelINS0_14default_configENS1_27scan_by_key_config_selectorIssEEZZNS1_16scan_by_key_implILNS1_25lookback_scan_determinismE0ELb0ES3_N6thrust23THRUST_200600_302600_NS6detail15normal_iteratorINS9_10device_ptrIsEEEESE_SE_sNS9_4plusIsEE19head_flag_predicatesEE10hipError_tPvRmT2_T3_T4_T5_mT6_T7_P12ihipStream_tbENKUlT_T0_E_clISt17integral_constantIbLb0EESX_IbLb1EEEEDaST_SU_EUlST_E_NS1_11comp_targetILNS1_3genE2ELNS1_11target_archE906ELNS1_3gpuE6ELNS1_3repE0EEENS1_30default_config_static_selectorELNS0_4arch9wavefront6targetE1EEEvT1_
	.p2align	8
	.type	_ZN7rocprim17ROCPRIM_400000_NS6detail17trampoline_kernelINS0_14default_configENS1_27scan_by_key_config_selectorIssEEZZNS1_16scan_by_key_implILNS1_25lookback_scan_determinismE0ELb0ES3_N6thrust23THRUST_200600_302600_NS6detail15normal_iteratorINS9_10device_ptrIsEEEESE_SE_sNS9_4plusIsEE19head_flag_predicatesEE10hipError_tPvRmT2_T3_T4_T5_mT6_T7_P12ihipStream_tbENKUlT_T0_E_clISt17integral_constantIbLb0EESX_IbLb1EEEEDaST_SU_EUlST_E_NS1_11comp_targetILNS1_3genE2ELNS1_11target_archE906ELNS1_3gpuE6ELNS1_3repE0EEENS1_30default_config_static_selectorELNS0_4arch9wavefront6targetE1EEEvT1_,@function
_ZN7rocprim17ROCPRIM_400000_NS6detail17trampoline_kernelINS0_14default_configENS1_27scan_by_key_config_selectorIssEEZZNS1_16scan_by_key_implILNS1_25lookback_scan_determinismE0ELb0ES3_N6thrust23THRUST_200600_302600_NS6detail15normal_iteratorINS9_10device_ptrIsEEEESE_SE_sNS9_4plusIsEE19head_flag_predicatesEE10hipError_tPvRmT2_T3_T4_T5_mT6_T7_P12ihipStream_tbENKUlT_T0_E_clISt17integral_constantIbLb0EESX_IbLb1EEEEDaST_SU_EUlST_E_NS1_11comp_targetILNS1_3genE2ELNS1_11target_archE906ELNS1_3gpuE6ELNS1_3repE0EEENS1_30default_config_static_selectorELNS0_4arch9wavefront6targetE1EEEvT1_: ; @_ZN7rocprim17ROCPRIM_400000_NS6detail17trampoline_kernelINS0_14default_configENS1_27scan_by_key_config_selectorIssEEZZNS1_16scan_by_key_implILNS1_25lookback_scan_determinismE0ELb0ES3_N6thrust23THRUST_200600_302600_NS6detail15normal_iteratorINS9_10device_ptrIsEEEESE_SE_sNS9_4plusIsEE19head_flag_predicatesEE10hipError_tPvRmT2_T3_T4_T5_mT6_T7_P12ihipStream_tbENKUlT_T0_E_clISt17integral_constantIbLb0EESX_IbLb1EEEEDaST_SU_EUlST_E_NS1_11comp_targetILNS1_3genE2ELNS1_11target_archE906ELNS1_3gpuE6ELNS1_3repE0EEENS1_30default_config_static_selectorELNS0_4arch9wavefront6targetE1EEEvT1_
; %bb.0:
	.section	.rodata,"a",@progbits
	.p2align	6, 0x0
	.amdhsa_kernel _ZN7rocprim17ROCPRIM_400000_NS6detail17trampoline_kernelINS0_14default_configENS1_27scan_by_key_config_selectorIssEEZZNS1_16scan_by_key_implILNS1_25lookback_scan_determinismE0ELb0ES3_N6thrust23THRUST_200600_302600_NS6detail15normal_iteratorINS9_10device_ptrIsEEEESE_SE_sNS9_4plusIsEE19head_flag_predicatesEE10hipError_tPvRmT2_T3_T4_T5_mT6_T7_P12ihipStream_tbENKUlT_T0_E_clISt17integral_constantIbLb0EESX_IbLb1EEEEDaST_SU_EUlST_E_NS1_11comp_targetILNS1_3genE2ELNS1_11target_archE906ELNS1_3gpuE6ELNS1_3repE0EEENS1_30default_config_static_selectorELNS0_4arch9wavefront6targetE1EEEvT1_
		.amdhsa_group_segment_fixed_size 0
		.amdhsa_private_segment_fixed_size 0
		.amdhsa_kernarg_size 112
		.amdhsa_user_sgpr_count 2
		.amdhsa_user_sgpr_dispatch_ptr 0
		.amdhsa_user_sgpr_queue_ptr 0
		.amdhsa_user_sgpr_kernarg_segment_ptr 1
		.amdhsa_user_sgpr_dispatch_id 0
		.amdhsa_user_sgpr_kernarg_preload_length 0
		.amdhsa_user_sgpr_kernarg_preload_offset 0
		.amdhsa_user_sgpr_private_segment_size 0
		.amdhsa_uses_dynamic_stack 0
		.amdhsa_enable_private_segment 0
		.amdhsa_system_sgpr_workgroup_id_x 1
		.amdhsa_system_sgpr_workgroup_id_y 0
		.amdhsa_system_sgpr_workgroup_id_z 0
		.amdhsa_system_sgpr_workgroup_info 0
		.amdhsa_system_vgpr_workitem_id 0
		.amdhsa_next_free_vgpr 1
		.amdhsa_next_free_sgpr 0
		.amdhsa_accum_offset 4
		.amdhsa_reserve_vcc 0
		.amdhsa_float_round_mode_32 0
		.amdhsa_float_round_mode_16_64 0
		.amdhsa_float_denorm_mode_32 3
		.amdhsa_float_denorm_mode_16_64 3
		.amdhsa_dx10_clamp 1
		.amdhsa_ieee_mode 1
		.amdhsa_fp16_overflow 0
		.amdhsa_tg_split 0
		.amdhsa_exception_fp_ieee_invalid_op 0
		.amdhsa_exception_fp_denorm_src 0
		.amdhsa_exception_fp_ieee_div_zero 0
		.amdhsa_exception_fp_ieee_overflow 0
		.amdhsa_exception_fp_ieee_underflow 0
		.amdhsa_exception_fp_ieee_inexact 0
		.amdhsa_exception_int_div_zero 0
	.end_amdhsa_kernel
	.section	.text._ZN7rocprim17ROCPRIM_400000_NS6detail17trampoline_kernelINS0_14default_configENS1_27scan_by_key_config_selectorIssEEZZNS1_16scan_by_key_implILNS1_25lookback_scan_determinismE0ELb0ES3_N6thrust23THRUST_200600_302600_NS6detail15normal_iteratorINS9_10device_ptrIsEEEESE_SE_sNS9_4plusIsEE19head_flag_predicatesEE10hipError_tPvRmT2_T3_T4_T5_mT6_T7_P12ihipStream_tbENKUlT_T0_E_clISt17integral_constantIbLb0EESX_IbLb1EEEEDaST_SU_EUlST_E_NS1_11comp_targetILNS1_3genE2ELNS1_11target_archE906ELNS1_3gpuE6ELNS1_3repE0EEENS1_30default_config_static_selectorELNS0_4arch9wavefront6targetE1EEEvT1_,"axG",@progbits,_ZN7rocprim17ROCPRIM_400000_NS6detail17trampoline_kernelINS0_14default_configENS1_27scan_by_key_config_selectorIssEEZZNS1_16scan_by_key_implILNS1_25lookback_scan_determinismE0ELb0ES3_N6thrust23THRUST_200600_302600_NS6detail15normal_iteratorINS9_10device_ptrIsEEEESE_SE_sNS9_4plusIsEE19head_flag_predicatesEE10hipError_tPvRmT2_T3_T4_T5_mT6_T7_P12ihipStream_tbENKUlT_T0_E_clISt17integral_constantIbLb0EESX_IbLb1EEEEDaST_SU_EUlST_E_NS1_11comp_targetILNS1_3genE2ELNS1_11target_archE906ELNS1_3gpuE6ELNS1_3repE0EEENS1_30default_config_static_selectorELNS0_4arch9wavefront6targetE1EEEvT1_,comdat
.Lfunc_end853:
	.size	_ZN7rocprim17ROCPRIM_400000_NS6detail17trampoline_kernelINS0_14default_configENS1_27scan_by_key_config_selectorIssEEZZNS1_16scan_by_key_implILNS1_25lookback_scan_determinismE0ELb0ES3_N6thrust23THRUST_200600_302600_NS6detail15normal_iteratorINS9_10device_ptrIsEEEESE_SE_sNS9_4plusIsEE19head_flag_predicatesEE10hipError_tPvRmT2_T3_T4_T5_mT6_T7_P12ihipStream_tbENKUlT_T0_E_clISt17integral_constantIbLb0EESX_IbLb1EEEEDaST_SU_EUlST_E_NS1_11comp_targetILNS1_3genE2ELNS1_11target_archE906ELNS1_3gpuE6ELNS1_3repE0EEENS1_30default_config_static_selectorELNS0_4arch9wavefront6targetE1EEEvT1_, .Lfunc_end853-_ZN7rocprim17ROCPRIM_400000_NS6detail17trampoline_kernelINS0_14default_configENS1_27scan_by_key_config_selectorIssEEZZNS1_16scan_by_key_implILNS1_25lookback_scan_determinismE0ELb0ES3_N6thrust23THRUST_200600_302600_NS6detail15normal_iteratorINS9_10device_ptrIsEEEESE_SE_sNS9_4plusIsEE19head_flag_predicatesEE10hipError_tPvRmT2_T3_T4_T5_mT6_T7_P12ihipStream_tbENKUlT_T0_E_clISt17integral_constantIbLb0EESX_IbLb1EEEEDaST_SU_EUlST_E_NS1_11comp_targetILNS1_3genE2ELNS1_11target_archE906ELNS1_3gpuE6ELNS1_3repE0EEENS1_30default_config_static_selectorELNS0_4arch9wavefront6targetE1EEEvT1_
                                        ; -- End function
	.section	.AMDGPU.csdata,"",@progbits
; Kernel info:
; codeLenInByte = 0
; NumSgprs: 6
; NumVgprs: 0
; NumAgprs: 0
; TotalNumVgprs: 0
; ScratchSize: 0
; MemoryBound: 0
; FloatMode: 240
; IeeeMode: 1
; LDSByteSize: 0 bytes/workgroup (compile time only)
; SGPRBlocks: 0
; VGPRBlocks: 0
; NumSGPRsForWavesPerEU: 6
; NumVGPRsForWavesPerEU: 1
; AccumOffset: 4
; Occupancy: 8
; WaveLimiterHint : 0
; COMPUTE_PGM_RSRC2:SCRATCH_EN: 0
; COMPUTE_PGM_RSRC2:USER_SGPR: 2
; COMPUTE_PGM_RSRC2:TRAP_HANDLER: 0
; COMPUTE_PGM_RSRC2:TGID_X_EN: 1
; COMPUTE_PGM_RSRC2:TGID_Y_EN: 0
; COMPUTE_PGM_RSRC2:TGID_Z_EN: 0
; COMPUTE_PGM_RSRC2:TIDIG_COMP_CNT: 0
; COMPUTE_PGM_RSRC3_GFX90A:ACCUM_OFFSET: 0
; COMPUTE_PGM_RSRC3_GFX90A:TG_SPLIT: 0
	.section	.text._ZN7rocprim17ROCPRIM_400000_NS6detail17trampoline_kernelINS0_14default_configENS1_27scan_by_key_config_selectorIssEEZZNS1_16scan_by_key_implILNS1_25lookback_scan_determinismE0ELb0ES3_N6thrust23THRUST_200600_302600_NS6detail15normal_iteratorINS9_10device_ptrIsEEEESE_SE_sNS9_4plusIsEE19head_flag_predicatesEE10hipError_tPvRmT2_T3_T4_T5_mT6_T7_P12ihipStream_tbENKUlT_T0_E_clISt17integral_constantIbLb0EESX_IbLb1EEEEDaST_SU_EUlST_E_NS1_11comp_targetILNS1_3genE10ELNS1_11target_archE1200ELNS1_3gpuE4ELNS1_3repE0EEENS1_30default_config_static_selectorELNS0_4arch9wavefront6targetE1EEEvT1_,"axG",@progbits,_ZN7rocprim17ROCPRIM_400000_NS6detail17trampoline_kernelINS0_14default_configENS1_27scan_by_key_config_selectorIssEEZZNS1_16scan_by_key_implILNS1_25lookback_scan_determinismE0ELb0ES3_N6thrust23THRUST_200600_302600_NS6detail15normal_iteratorINS9_10device_ptrIsEEEESE_SE_sNS9_4plusIsEE19head_flag_predicatesEE10hipError_tPvRmT2_T3_T4_T5_mT6_T7_P12ihipStream_tbENKUlT_T0_E_clISt17integral_constantIbLb0EESX_IbLb1EEEEDaST_SU_EUlST_E_NS1_11comp_targetILNS1_3genE10ELNS1_11target_archE1200ELNS1_3gpuE4ELNS1_3repE0EEENS1_30default_config_static_selectorELNS0_4arch9wavefront6targetE1EEEvT1_,comdat
	.protected	_ZN7rocprim17ROCPRIM_400000_NS6detail17trampoline_kernelINS0_14default_configENS1_27scan_by_key_config_selectorIssEEZZNS1_16scan_by_key_implILNS1_25lookback_scan_determinismE0ELb0ES3_N6thrust23THRUST_200600_302600_NS6detail15normal_iteratorINS9_10device_ptrIsEEEESE_SE_sNS9_4plusIsEE19head_flag_predicatesEE10hipError_tPvRmT2_T3_T4_T5_mT6_T7_P12ihipStream_tbENKUlT_T0_E_clISt17integral_constantIbLb0EESX_IbLb1EEEEDaST_SU_EUlST_E_NS1_11comp_targetILNS1_3genE10ELNS1_11target_archE1200ELNS1_3gpuE4ELNS1_3repE0EEENS1_30default_config_static_selectorELNS0_4arch9wavefront6targetE1EEEvT1_ ; -- Begin function _ZN7rocprim17ROCPRIM_400000_NS6detail17trampoline_kernelINS0_14default_configENS1_27scan_by_key_config_selectorIssEEZZNS1_16scan_by_key_implILNS1_25lookback_scan_determinismE0ELb0ES3_N6thrust23THRUST_200600_302600_NS6detail15normal_iteratorINS9_10device_ptrIsEEEESE_SE_sNS9_4plusIsEE19head_flag_predicatesEE10hipError_tPvRmT2_T3_T4_T5_mT6_T7_P12ihipStream_tbENKUlT_T0_E_clISt17integral_constantIbLb0EESX_IbLb1EEEEDaST_SU_EUlST_E_NS1_11comp_targetILNS1_3genE10ELNS1_11target_archE1200ELNS1_3gpuE4ELNS1_3repE0EEENS1_30default_config_static_selectorELNS0_4arch9wavefront6targetE1EEEvT1_
	.globl	_ZN7rocprim17ROCPRIM_400000_NS6detail17trampoline_kernelINS0_14default_configENS1_27scan_by_key_config_selectorIssEEZZNS1_16scan_by_key_implILNS1_25lookback_scan_determinismE0ELb0ES3_N6thrust23THRUST_200600_302600_NS6detail15normal_iteratorINS9_10device_ptrIsEEEESE_SE_sNS9_4plusIsEE19head_flag_predicatesEE10hipError_tPvRmT2_T3_T4_T5_mT6_T7_P12ihipStream_tbENKUlT_T0_E_clISt17integral_constantIbLb0EESX_IbLb1EEEEDaST_SU_EUlST_E_NS1_11comp_targetILNS1_3genE10ELNS1_11target_archE1200ELNS1_3gpuE4ELNS1_3repE0EEENS1_30default_config_static_selectorELNS0_4arch9wavefront6targetE1EEEvT1_
	.p2align	8
	.type	_ZN7rocprim17ROCPRIM_400000_NS6detail17trampoline_kernelINS0_14default_configENS1_27scan_by_key_config_selectorIssEEZZNS1_16scan_by_key_implILNS1_25lookback_scan_determinismE0ELb0ES3_N6thrust23THRUST_200600_302600_NS6detail15normal_iteratorINS9_10device_ptrIsEEEESE_SE_sNS9_4plusIsEE19head_flag_predicatesEE10hipError_tPvRmT2_T3_T4_T5_mT6_T7_P12ihipStream_tbENKUlT_T0_E_clISt17integral_constantIbLb0EESX_IbLb1EEEEDaST_SU_EUlST_E_NS1_11comp_targetILNS1_3genE10ELNS1_11target_archE1200ELNS1_3gpuE4ELNS1_3repE0EEENS1_30default_config_static_selectorELNS0_4arch9wavefront6targetE1EEEvT1_,@function
_ZN7rocprim17ROCPRIM_400000_NS6detail17trampoline_kernelINS0_14default_configENS1_27scan_by_key_config_selectorIssEEZZNS1_16scan_by_key_implILNS1_25lookback_scan_determinismE0ELb0ES3_N6thrust23THRUST_200600_302600_NS6detail15normal_iteratorINS9_10device_ptrIsEEEESE_SE_sNS9_4plusIsEE19head_flag_predicatesEE10hipError_tPvRmT2_T3_T4_T5_mT6_T7_P12ihipStream_tbENKUlT_T0_E_clISt17integral_constantIbLb0EESX_IbLb1EEEEDaST_SU_EUlST_E_NS1_11comp_targetILNS1_3genE10ELNS1_11target_archE1200ELNS1_3gpuE4ELNS1_3repE0EEENS1_30default_config_static_selectorELNS0_4arch9wavefront6targetE1EEEvT1_: ; @_ZN7rocprim17ROCPRIM_400000_NS6detail17trampoline_kernelINS0_14default_configENS1_27scan_by_key_config_selectorIssEEZZNS1_16scan_by_key_implILNS1_25lookback_scan_determinismE0ELb0ES3_N6thrust23THRUST_200600_302600_NS6detail15normal_iteratorINS9_10device_ptrIsEEEESE_SE_sNS9_4plusIsEE19head_flag_predicatesEE10hipError_tPvRmT2_T3_T4_T5_mT6_T7_P12ihipStream_tbENKUlT_T0_E_clISt17integral_constantIbLb0EESX_IbLb1EEEEDaST_SU_EUlST_E_NS1_11comp_targetILNS1_3genE10ELNS1_11target_archE1200ELNS1_3gpuE4ELNS1_3repE0EEENS1_30default_config_static_selectorELNS0_4arch9wavefront6targetE1EEEvT1_
; %bb.0:
	.section	.rodata,"a",@progbits
	.p2align	6, 0x0
	.amdhsa_kernel _ZN7rocprim17ROCPRIM_400000_NS6detail17trampoline_kernelINS0_14default_configENS1_27scan_by_key_config_selectorIssEEZZNS1_16scan_by_key_implILNS1_25lookback_scan_determinismE0ELb0ES3_N6thrust23THRUST_200600_302600_NS6detail15normal_iteratorINS9_10device_ptrIsEEEESE_SE_sNS9_4plusIsEE19head_flag_predicatesEE10hipError_tPvRmT2_T3_T4_T5_mT6_T7_P12ihipStream_tbENKUlT_T0_E_clISt17integral_constantIbLb0EESX_IbLb1EEEEDaST_SU_EUlST_E_NS1_11comp_targetILNS1_3genE10ELNS1_11target_archE1200ELNS1_3gpuE4ELNS1_3repE0EEENS1_30default_config_static_selectorELNS0_4arch9wavefront6targetE1EEEvT1_
		.amdhsa_group_segment_fixed_size 0
		.amdhsa_private_segment_fixed_size 0
		.amdhsa_kernarg_size 112
		.amdhsa_user_sgpr_count 2
		.amdhsa_user_sgpr_dispatch_ptr 0
		.amdhsa_user_sgpr_queue_ptr 0
		.amdhsa_user_sgpr_kernarg_segment_ptr 1
		.amdhsa_user_sgpr_dispatch_id 0
		.amdhsa_user_sgpr_kernarg_preload_length 0
		.amdhsa_user_sgpr_kernarg_preload_offset 0
		.amdhsa_user_sgpr_private_segment_size 0
		.amdhsa_uses_dynamic_stack 0
		.amdhsa_enable_private_segment 0
		.amdhsa_system_sgpr_workgroup_id_x 1
		.amdhsa_system_sgpr_workgroup_id_y 0
		.amdhsa_system_sgpr_workgroup_id_z 0
		.amdhsa_system_sgpr_workgroup_info 0
		.amdhsa_system_vgpr_workitem_id 0
		.amdhsa_next_free_vgpr 1
		.amdhsa_next_free_sgpr 0
		.amdhsa_accum_offset 4
		.amdhsa_reserve_vcc 0
		.amdhsa_float_round_mode_32 0
		.amdhsa_float_round_mode_16_64 0
		.amdhsa_float_denorm_mode_32 3
		.amdhsa_float_denorm_mode_16_64 3
		.amdhsa_dx10_clamp 1
		.amdhsa_ieee_mode 1
		.amdhsa_fp16_overflow 0
		.amdhsa_tg_split 0
		.amdhsa_exception_fp_ieee_invalid_op 0
		.amdhsa_exception_fp_denorm_src 0
		.amdhsa_exception_fp_ieee_div_zero 0
		.amdhsa_exception_fp_ieee_overflow 0
		.amdhsa_exception_fp_ieee_underflow 0
		.amdhsa_exception_fp_ieee_inexact 0
		.amdhsa_exception_int_div_zero 0
	.end_amdhsa_kernel
	.section	.text._ZN7rocprim17ROCPRIM_400000_NS6detail17trampoline_kernelINS0_14default_configENS1_27scan_by_key_config_selectorIssEEZZNS1_16scan_by_key_implILNS1_25lookback_scan_determinismE0ELb0ES3_N6thrust23THRUST_200600_302600_NS6detail15normal_iteratorINS9_10device_ptrIsEEEESE_SE_sNS9_4plusIsEE19head_flag_predicatesEE10hipError_tPvRmT2_T3_T4_T5_mT6_T7_P12ihipStream_tbENKUlT_T0_E_clISt17integral_constantIbLb0EESX_IbLb1EEEEDaST_SU_EUlST_E_NS1_11comp_targetILNS1_3genE10ELNS1_11target_archE1200ELNS1_3gpuE4ELNS1_3repE0EEENS1_30default_config_static_selectorELNS0_4arch9wavefront6targetE1EEEvT1_,"axG",@progbits,_ZN7rocprim17ROCPRIM_400000_NS6detail17trampoline_kernelINS0_14default_configENS1_27scan_by_key_config_selectorIssEEZZNS1_16scan_by_key_implILNS1_25lookback_scan_determinismE0ELb0ES3_N6thrust23THRUST_200600_302600_NS6detail15normal_iteratorINS9_10device_ptrIsEEEESE_SE_sNS9_4plusIsEE19head_flag_predicatesEE10hipError_tPvRmT2_T3_T4_T5_mT6_T7_P12ihipStream_tbENKUlT_T0_E_clISt17integral_constantIbLb0EESX_IbLb1EEEEDaST_SU_EUlST_E_NS1_11comp_targetILNS1_3genE10ELNS1_11target_archE1200ELNS1_3gpuE4ELNS1_3repE0EEENS1_30default_config_static_selectorELNS0_4arch9wavefront6targetE1EEEvT1_,comdat
.Lfunc_end854:
	.size	_ZN7rocprim17ROCPRIM_400000_NS6detail17trampoline_kernelINS0_14default_configENS1_27scan_by_key_config_selectorIssEEZZNS1_16scan_by_key_implILNS1_25lookback_scan_determinismE0ELb0ES3_N6thrust23THRUST_200600_302600_NS6detail15normal_iteratorINS9_10device_ptrIsEEEESE_SE_sNS9_4plusIsEE19head_flag_predicatesEE10hipError_tPvRmT2_T3_T4_T5_mT6_T7_P12ihipStream_tbENKUlT_T0_E_clISt17integral_constantIbLb0EESX_IbLb1EEEEDaST_SU_EUlST_E_NS1_11comp_targetILNS1_3genE10ELNS1_11target_archE1200ELNS1_3gpuE4ELNS1_3repE0EEENS1_30default_config_static_selectorELNS0_4arch9wavefront6targetE1EEEvT1_, .Lfunc_end854-_ZN7rocprim17ROCPRIM_400000_NS6detail17trampoline_kernelINS0_14default_configENS1_27scan_by_key_config_selectorIssEEZZNS1_16scan_by_key_implILNS1_25lookback_scan_determinismE0ELb0ES3_N6thrust23THRUST_200600_302600_NS6detail15normal_iteratorINS9_10device_ptrIsEEEESE_SE_sNS9_4plusIsEE19head_flag_predicatesEE10hipError_tPvRmT2_T3_T4_T5_mT6_T7_P12ihipStream_tbENKUlT_T0_E_clISt17integral_constantIbLb0EESX_IbLb1EEEEDaST_SU_EUlST_E_NS1_11comp_targetILNS1_3genE10ELNS1_11target_archE1200ELNS1_3gpuE4ELNS1_3repE0EEENS1_30default_config_static_selectorELNS0_4arch9wavefront6targetE1EEEvT1_
                                        ; -- End function
	.section	.AMDGPU.csdata,"",@progbits
; Kernel info:
; codeLenInByte = 0
; NumSgprs: 6
; NumVgprs: 0
; NumAgprs: 0
; TotalNumVgprs: 0
; ScratchSize: 0
; MemoryBound: 0
; FloatMode: 240
; IeeeMode: 1
; LDSByteSize: 0 bytes/workgroup (compile time only)
; SGPRBlocks: 0
; VGPRBlocks: 0
; NumSGPRsForWavesPerEU: 6
; NumVGPRsForWavesPerEU: 1
; AccumOffset: 4
; Occupancy: 8
; WaveLimiterHint : 0
; COMPUTE_PGM_RSRC2:SCRATCH_EN: 0
; COMPUTE_PGM_RSRC2:USER_SGPR: 2
; COMPUTE_PGM_RSRC2:TRAP_HANDLER: 0
; COMPUTE_PGM_RSRC2:TGID_X_EN: 1
; COMPUTE_PGM_RSRC2:TGID_Y_EN: 0
; COMPUTE_PGM_RSRC2:TGID_Z_EN: 0
; COMPUTE_PGM_RSRC2:TIDIG_COMP_CNT: 0
; COMPUTE_PGM_RSRC3_GFX90A:ACCUM_OFFSET: 0
; COMPUTE_PGM_RSRC3_GFX90A:TG_SPLIT: 0
	.section	.text._ZN7rocprim17ROCPRIM_400000_NS6detail17trampoline_kernelINS0_14default_configENS1_27scan_by_key_config_selectorIssEEZZNS1_16scan_by_key_implILNS1_25lookback_scan_determinismE0ELb0ES3_N6thrust23THRUST_200600_302600_NS6detail15normal_iteratorINS9_10device_ptrIsEEEESE_SE_sNS9_4plusIsEE19head_flag_predicatesEE10hipError_tPvRmT2_T3_T4_T5_mT6_T7_P12ihipStream_tbENKUlT_T0_E_clISt17integral_constantIbLb0EESX_IbLb1EEEEDaST_SU_EUlST_E_NS1_11comp_targetILNS1_3genE9ELNS1_11target_archE1100ELNS1_3gpuE3ELNS1_3repE0EEENS1_30default_config_static_selectorELNS0_4arch9wavefront6targetE1EEEvT1_,"axG",@progbits,_ZN7rocprim17ROCPRIM_400000_NS6detail17trampoline_kernelINS0_14default_configENS1_27scan_by_key_config_selectorIssEEZZNS1_16scan_by_key_implILNS1_25lookback_scan_determinismE0ELb0ES3_N6thrust23THRUST_200600_302600_NS6detail15normal_iteratorINS9_10device_ptrIsEEEESE_SE_sNS9_4plusIsEE19head_flag_predicatesEE10hipError_tPvRmT2_T3_T4_T5_mT6_T7_P12ihipStream_tbENKUlT_T0_E_clISt17integral_constantIbLb0EESX_IbLb1EEEEDaST_SU_EUlST_E_NS1_11comp_targetILNS1_3genE9ELNS1_11target_archE1100ELNS1_3gpuE3ELNS1_3repE0EEENS1_30default_config_static_selectorELNS0_4arch9wavefront6targetE1EEEvT1_,comdat
	.protected	_ZN7rocprim17ROCPRIM_400000_NS6detail17trampoline_kernelINS0_14default_configENS1_27scan_by_key_config_selectorIssEEZZNS1_16scan_by_key_implILNS1_25lookback_scan_determinismE0ELb0ES3_N6thrust23THRUST_200600_302600_NS6detail15normal_iteratorINS9_10device_ptrIsEEEESE_SE_sNS9_4plusIsEE19head_flag_predicatesEE10hipError_tPvRmT2_T3_T4_T5_mT6_T7_P12ihipStream_tbENKUlT_T0_E_clISt17integral_constantIbLb0EESX_IbLb1EEEEDaST_SU_EUlST_E_NS1_11comp_targetILNS1_3genE9ELNS1_11target_archE1100ELNS1_3gpuE3ELNS1_3repE0EEENS1_30default_config_static_selectorELNS0_4arch9wavefront6targetE1EEEvT1_ ; -- Begin function _ZN7rocprim17ROCPRIM_400000_NS6detail17trampoline_kernelINS0_14default_configENS1_27scan_by_key_config_selectorIssEEZZNS1_16scan_by_key_implILNS1_25lookback_scan_determinismE0ELb0ES3_N6thrust23THRUST_200600_302600_NS6detail15normal_iteratorINS9_10device_ptrIsEEEESE_SE_sNS9_4plusIsEE19head_flag_predicatesEE10hipError_tPvRmT2_T3_T4_T5_mT6_T7_P12ihipStream_tbENKUlT_T0_E_clISt17integral_constantIbLb0EESX_IbLb1EEEEDaST_SU_EUlST_E_NS1_11comp_targetILNS1_3genE9ELNS1_11target_archE1100ELNS1_3gpuE3ELNS1_3repE0EEENS1_30default_config_static_selectorELNS0_4arch9wavefront6targetE1EEEvT1_
	.globl	_ZN7rocprim17ROCPRIM_400000_NS6detail17trampoline_kernelINS0_14default_configENS1_27scan_by_key_config_selectorIssEEZZNS1_16scan_by_key_implILNS1_25lookback_scan_determinismE0ELb0ES3_N6thrust23THRUST_200600_302600_NS6detail15normal_iteratorINS9_10device_ptrIsEEEESE_SE_sNS9_4plusIsEE19head_flag_predicatesEE10hipError_tPvRmT2_T3_T4_T5_mT6_T7_P12ihipStream_tbENKUlT_T0_E_clISt17integral_constantIbLb0EESX_IbLb1EEEEDaST_SU_EUlST_E_NS1_11comp_targetILNS1_3genE9ELNS1_11target_archE1100ELNS1_3gpuE3ELNS1_3repE0EEENS1_30default_config_static_selectorELNS0_4arch9wavefront6targetE1EEEvT1_
	.p2align	8
	.type	_ZN7rocprim17ROCPRIM_400000_NS6detail17trampoline_kernelINS0_14default_configENS1_27scan_by_key_config_selectorIssEEZZNS1_16scan_by_key_implILNS1_25lookback_scan_determinismE0ELb0ES3_N6thrust23THRUST_200600_302600_NS6detail15normal_iteratorINS9_10device_ptrIsEEEESE_SE_sNS9_4plusIsEE19head_flag_predicatesEE10hipError_tPvRmT2_T3_T4_T5_mT6_T7_P12ihipStream_tbENKUlT_T0_E_clISt17integral_constantIbLb0EESX_IbLb1EEEEDaST_SU_EUlST_E_NS1_11comp_targetILNS1_3genE9ELNS1_11target_archE1100ELNS1_3gpuE3ELNS1_3repE0EEENS1_30default_config_static_selectorELNS0_4arch9wavefront6targetE1EEEvT1_,@function
_ZN7rocprim17ROCPRIM_400000_NS6detail17trampoline_kernelINS0_14default_configENS1_27scan_by_key_config_selectorIssEEZZNS1_16scan_by_key_implILNS1_25lookback_scan_determinismE0ELb0ES3_N6thrust23THRUST_200600_302600_NS6detail15normal_iteratorINS9_10device_ptrIsEEEESE_SE_sNS9_4plusIsEE19head_flag_predicatesEE10hipError_tPvRmT2_T3_T4_T5_mT6_T7_P12ihipStream_tbENKUlT_T0_E_clISt17integral_constantIbLb0EESX_IbLb1EEEEDaST_SU_EUlST_E_NS1_11comp_targetILNS1_3genE9ELNS1_11target_archE1100ELNS1_3gpuE3ELNS1_3repE0EEENS1_30default_config_static_selectorELNS0_4arch9wavefront6targetE1EEEvT1_: ; @_ZN7rocprim17ROCPRIM_400000_NS6detail17trampoline_kernelINS0_14default_configENS1_27scan_by_key_config_selectorIssEEZZNS1_16scan_by_key_implILNS1_25lookback_scan_determinismE0ELb0ES3_N6thrust23THRUST_200600_302600_NS6detail15normal_iteratorINS9_10device_ptrIsEEEESE_SE_sNS9_4plusIsEE19head_flag_predicatesEE10hipError_tPvRmT2_T3_T4_T5_mT6_T7_P12ihipStream_tbENKUlT_T0_E_clISt17integral_constantIbLb0EESX_IbLb1EEEEDaST_SU_EUlST_E_NS1_11comp_targetILNS1_3genE9ELNS1_11target_archE1100ELNS1_3gpuE3ELNS1_3repE0EEENS1_30default_config_static_selectorELNS0_4arch9wavefront6targetE1EEEvT1_
; %bb.0:
	.section	.rodata,"a",@progbits
	.p2align	6, 0x0
	.amdhsa_kernel _ZN7rocprim17ROCPRIM_400000_NS6detail17trampoline_kernelINS0_14default_configENS1_27scan_by_key_config_selectorIssEEZZNS1_16scan_by_key_implILNS1_25lookback_scan_determinismE0ELb0ES3_N6thrust23THRUST_200600_302600_NS6detail15normal_iteratorINS9_10device_ptrIsEEEESE_SE_sNS9_4plusIsEE19head_flag_predicatesEE10hipError_tPvRmT2_T3_T4_T5_mT6_T7_P12ihipStream_tbENKUlT_T0_E_clISt17integral_constantIbLb0EESX_IbLb1EEEEDaST_SU_EUlST_E_NS1_11comp_targetILNS1_3genE9ELNS1_11target_archE1100ELNS1_3gpuE3ELNS1_3repE0EEENS1_30default_config_static_selectorELNS0_4arch9wavefront6targetE1EEEvT1_
		.amdhsa_group_segment_fixed_size 0
		.amdhsa_private_segment_fixed_size 0
		.amdhsa_kernarg_size 112
		.amdhsa_user_sgpr_count 2
		.amdhsa_user_sgpr_dispatch_ptr 0
		.amdhsa_user_sgpr_queue_ptr 0
		.amdhsa_user_sgpr_kernarg_segment_ptr 1
		.amdhsa_user_sgpr_dispatch_id 0
		.amdhsa_user_sgpr_kernarg_preload_length 0
		.amdhsa_user_sgpr_kernarg_preload_offset 0
		.amdhsa_user_sgpr_private_segment_size 0
		.amdhsa_uses_dynamic_stack 0
		.amdhsa_enable_private_segment 0
		.amdhsa_system_sgpr_workgroup_id_x 1
		.amdhsa_system_sgpr_workgroup_id_y 0
		.amdhsa_system_sgpr_workgroup_id_z 0
		.amdhsa_system_sgpr_workgroup_info 0
		.amdhsa_system_vgpr_workitem_id 0
		.amdhsa_next_free_vgpr 1
		.amdhsa_next_free_sgpr 0
		.amdhsa_accum_offset 4
		.amdhsa_reserve_vcc 0
		.amdhsa_float_round_mode_32 0
		.amdhsa_float_round_mode_16_64 0
		.amdhsa_float_denorm_mode_32 3
		.amdhsa_float_denorm_mode_16_64 3
		.amdhsa_dx10_clamp 1
		.amdhsa_ieee_mode 1
		.amdhsa_fp16_overflow 0
		.amdhsa_tg_split 0
		.amdhsa_exception_fp_ieee_invalid_op 0
		.amdhsa_exception_fp_denorm_src 0
		.amdhsa_exception_fp_ieee_div_zero 0
		.amdhsa_exception_fp_ieee_overflow 0
		.amdhsa_exception_fp_ieee_underflow 0
		.amdhsa_exception_fp_ieee_inexact 0
		.amdhsa_exception_int_div_zero 0
	.end_amdhsa_kernel
	.section	.text._ZN7rocprim17ROCPRIM_400000_NS6detail17trampoline_kernelINS0_14default_configENS1_27scan_by_key_config_selectorIssEEZZNS1_16scan_by_key_implILNS1_25lookback_scan_determinismE0ELb0ES3_N6thrust23THRUST_200600_302600_NS6detail15normal_iteratorINS9_10device_ptrIsEEEESE_SE_sNS9_4plusIsEE19head_flag_predicatesEE10hipError_tPvRmT2_T3_T4_T5_mT6_T7_P12ihipStream_tbENKUlT_T0_E_clISt17integral_constantIbLb0EESX_IbLb1EEEEDaST_SU_EUlST_E_NS1_11comp_targetILNS1_3genE9ELNS1_11target_archE1100ELNS1_3gpuE3ELNS1_3repE0EEENS1_30default_config_static_selectorELNS0_4arch9wavefront6targetE1EEEvT1_,"axG",@progbits,_ZN7rocprim17ROCPRIM_400000_NS6detail17trampoline_kernelINS0_14default_configENS1_27scan_by_key_config_selectorIssEEZZNS1_16scan_by_key_implILNS1_25lookback_scan_determinismE0ELb0ES3_N6thrust23THRUST_200600_302600_NS6detail15normal_iteratorINS9_10device_ptrIsEEEESE_SE_sNS9_4plusIsEE19head_flag_predicatesEE10hipError_tPvRmT2_T3_T4_T5_mT6_T7_P12ihipStream_tbENKUlT_T0_E_clISt17integral_constantIbLb0EESX_IbLb1EEEEDaST_SU_EUlST_E_NS1_11comp_targetILNS1_3genE9ELNS1_11target_archE1100ELNS1_3gpuE3ELNS1_3repE0EEENS1_30default_config_static_selectorELNS0_4arch9wavefront6targetE1EEEvT1_,comdat
.Lfunc_end855:
	.size	_ZN7rocprim17ROCPRIM_400000_NS6detail17trampoline_kernelINS0_14default_configENS1_27scan_by_key_config_selectorIssEEZZNS1_16scan_by_key_implILNS1_25lookback_scan_determinismE0ELb0ES3_N6thrust23THRUST_200600_302600_NS6detail15normal_iteratorINS9_10device_ptrIsEEEESE_SE_sNS9_4plusIsEE19head_flag_predicatesEE10hipError_tPvRmT2_T3_T4_T5_mT6_T7_P12ihipStream_tbENKUlT_T0_E_clISt17integral_constantIbLb0EESX_IbLb1EEEEDaST_SU_EUlST_E_NS1_11comp_targetILNS1_3genE9ELNS1_11target_archE1100ELNS1_3gpuE3ELNS1_3repE0EEENS1_30default_config_static_selectorELNS0_4arch9wavefront6targetE1EEEvT1_, .Lfunc_end855-_ZN7rocprim17ROCPRIM_400000_NS6detail17trampoline_kernelINS0_14default_configENS1_27scan_by_key_config_selectorIssEEZZNS1_16scan_by_key_implILNS1_25lookback_scan_determinismE0ELb0ES3_N6thrust23THRUST_200600_302600_NS6detail15normal_iteratorINS9_10device_ptrIsEEEESE_SE_sNS9_4plusIsEE19head_flag_predicatesEE10hipError_tPvRmT2_T3_T4_T5_mT6_T7_P12ihipStream_tbENKUlT_T0_E_clISt17integral_constantIbLb0EESX_IbLb1EEEEDaST_SU_EUlST_E_NS1_11comp_targetILNS1_3genE9ELNS1_11target_archE1100ELNS1_3gpuE3ELNS1_3repE0EEENS1_30default_config_static_selectorELNS0_4arch9wavefront6targetE1EEEvT1_
                                        ; -- End function
	.section	.AMDGPU.csdata,"",@progbits
; Kernel info:
; codeLenInByte = 0
; NumSgprs: 6
; NumVgprs: 0
; NumAgprs: 0
; TotalNumVgprs: 0
; ScratchSize: 0
; MemoryBound: 0
; FloatMode: 240
; IeeeMode: 1
; LDSByteSize: 0 bytes/workgroup (compile time only)
; SGPRBlocks: 0
; VGPRBlocks: 0
; NumSGPRsForWavesPerEU: 6
; NumVGPRsForWavesPerEU: 1
; AccumOffset: 4
; Occupancy: 8
; WaveLimiterHint : 0
; COMPUTE_PGM_RSRC2:SCRATCH_EN: 0
; COMPUTE_PGM_RSRC2:USER_SGPR: 2
; COMPUTE_PGM_RSRC2:TRAP_HANDLER: 0
; COMPUTE_PGM_RSRC2:TGID_X_EN: 1
; COMPUTE_PGM_RSRC2:TGID_Y_EN: 0
; COMPUTE_PGM_RSRC2:TGID_Z_EN: 0
; COMPUTE_PGM_RSRC2:TIDIG_COMP_CNT: 0
; COMPUTE_PGM_RSRC3_GFX90A:ACCUM_OFFSET: 0
; COMPUTE_PGM_RSRC3_GFX90A:TG_SPLIT: 0
	.section	.text._ZN7rocprim17ROCPRIM_400000_NS6detail17trampoline_kernelINS0_14default_configENS1_27scan_by_key_config_selectorIssEEZZNS1_16scan_by_key_implILNS1_25lookback_scan_determinismE0ELb0ES3_N6thrust23THRUST_200600_302600_NS6detail15normal_iteratorINS9_10device_ptrIsEEEESE_SE_sNS9_4plusIsEE19head_flag_predicatesEE10hipError_tPvRmT2_T3_T4_T5_mT6_T7_P12ihipStream_tbENKUlT_T0_E_clISt17integral_constantIbLb0EESX_IbLb1EEEEDaST_SU_EUlST_E_NS1_11comp_targetILNS1_3genE8ELNS1_11target_archE1030ELNS1_3gpuE2ELNS1_3repE0EEENS1_30default_config_static_selectorELNS0_4arch9wavefront6targetE1EEEvT1_,"axG",@progbits,_ZN7rocprim17ROCPRIM_400000_NS6detail17trampoline_kernelINS0_14default_configENS1_27scan_by_key_config_selectorIssEEZZNS1_16scan_by_key_implILNS1_25lookback_scan_determinismE0ELb0ES3_N6thrust23THRUST_200600_302600_NS6detail15normal_iteratorINS9_10device_ptrIsEEEESE_SE_sNS9_4plusIsEE19head_flag_predicatesEE10hipError_tPvRmT2_T3_T4_T5_mT6_T7_P12ihipStream_tbENKUlT_T0_E_clISt17integral_constantIbLb0EESX_IbLb1EEEEDaST_SU_EUlST_E_NS1_11comp_targetILNS1_3genE8ELNS1_11target_archE1030ELNS1_3gpuE2ELNS1_3repE0EEENS1_30default_config_static_selectorELNS0_4arch9wavefront6targetE1EEEvT1_,comdat
	.protected	_ZN7rocprim17ROCPRIM_400000_NS6detail17trampoline_kernelINS0_14default_configENS1_27scan_by_key_config_selectorIssEEZZNS1_16scan_by_key_implILNS1_25lookback_scan_determinismE0ELb0ES3_N6thrust23THRUST_200600_302600_NS6detail15normal_iteratorINS9_10device_ptrIsEEEESE_SE_sNS9_4plusIsEE19head_flag_predicatesEE10hipError_tPvRmT2_T3_T4_T5_mT6_T7_P12ihipStream_tbENKUlT_T0_E_clISt17integral_constantIbLb0EESX_IbLb1EEEEDaST_SU_EUlST_E_NS1_11comp_targetILNS1_3genE8ELNS1_11target_archE1030ELNS1_3gpuE2ELNS1_3repE0EEENS1_30default_config_static_selectorELNS0_4arch9wavefront6targetE1EEEvT1_ ; -- Begin function _ZN7rocprim17ROCPRIM_400000_NS6detail17trampoline_kernelINS0_14default_configENS1_27scan_by_key_config_selectorIssEEZZNS1_16scan_by_key_implILNS1_25lookback_scan_determinismE0ELb0ES3_N6thrust23THRUST_200600_302600_NS6detail15normal_iteratorINS9_10device_ptrIsEEEESE_SE_sNS9_4plusIsEE19head_flag_predicatesEE10hipError_tPvRmT2_T3_T4_T5_mT6_T7_P12ihipStream_tbENKUlT_T0_E_clISt17integral_constantIbLb0EESX_IbLb1EEEEDaST_SU_EUlST_E_NS1_11comp_targetILNS1_3genE8ELNS1_11target_archE1030ELNS1_3gpuE2ELNS1_3repE0EEENS1_30default_config_static_selectorELNS0_4arch9wavefront6targetE1EEEvT1_
	.globl	_ZN7rocprim17ROCPRIM_400000_NS6detail17trampoline_kernelINS0_14default_configENS1_27scan_by_key_config_selectorIssEEZZNS1_16scan_by_key_implILNS1_25lookback_scan_determinismE0ELb0ES3_N6thrust23THRUST_200600_302600_NS6detail15normal_iteratorINS9_10device_ptrIsEEEESE_SE_sNS9_4plusIsEE19head_flag_predicatesEE10hipError_tPvRmT2_T3_T4_T5_mT6_T7_P12ihipStream_tbENKUlT_T0_E_clISt17integral_constantIbLb0EESX_IbLb1EEEEDaST_SU_EUlST_E_NS1_11comp_targetILNS1_3genE8ELNS1_11target_archE1030ELNS1_3gpuE2ELNS1_3repE0EEENS1_30default_config_static_selectorELNS0_4arch9wavefront6targetE1EEEvT1_
	.p2align	8
	.type	_ZN7rocprim17ROCPRIM_400000_NS6detail17trampoline_kernelINS0_14default_configENS1_27scan_by_key_config_selectorIssEEZZNS1_16scan_by_key_implILNS1_25lookback_scan_determinismE0ELb0ES3_N6thrust23THRUST_200600_302600_NS6detail15normal_iteratorINS9_10device_ptrIsEEEESE_SE_sNS9_4plusIsEE19head_flag_predicatesEE10hipError_tPvRmT2_T3_T4_T5_mT6_T7_P12ihipStream_tbENKUlT_T0_E_clISt17integral_constantIbLb0EESX_IbLb1EEEEDaST_SU_EUlST_E_NS1_11comp_targetILNS1_3genE8ELNS1_11target_archE1030ELNS1_3gpuE2ELNS1_3repE0EEENS1_30default_config_static_selectorELNS0_4arch9wavefront6targetE1EEEvT1_,@function
_ZN7rocprim17ROCPRIM_400000_NS6detail17trampoline_kernelINS0_14default_configENS1_27scan_by_key_config_selectorIssEEZZNS1_16scan_by_key_implILNS1_25lookback_scan_determinismE0ELb0ES3_N6thrust23THRUST_200600_302600_NS6detail15normal_iteratorINS9_10device_ptrIsEEEESE_SE_sNS9_4plusIsEE19head_flag_predicatesEE10hipError_tPvRmT2_T3_T4_T5_mT6_T7_P12ihipStream_tbENKUlT_T0_E_clISt17integral_constantIbLb0EESX_IbLb1EEEEDaST_SU_EUlST_E_NS1_11comp_targetILNS1_3genE8ELNS1_11target_archE1030ELNS1_3gpuE2ELNS1_3repE0EEENS1_30default_config_static_selectorELNS0_4arch9wavefront6targetE1EEEvT1_: ; @_ZN7rocprim17ROCPRIM_400000_NS6detail17trampoline_kernelINS0_14default_configENS1_27scan_by_key_config_selectorIssEEZZNS1_16scan_by_key_implILNS1_25lookback_scan_determinismE0ELb0ES3_N6thrust23THRUST_200600_302600_NS6detail15normal_iteratorINS9_10device_ptrIsEEEESE_SE_sNS9_4plusIsEE19head_flag_predicatesEE10hipError_tPvRmT2_T3_T4_T5_mT6_T7_P12ihipStream_tbENKUlT_T0_E_clISt17integral_constantIbLb0EESX_IbLb1EEEEDaST_SU_EUlST_E_NS1_11comp_targetILNS1_3genE8ELNS1_11target_archE1030ELNS1_3gpuE2ELNS1_3repE0EEENS1_30default_config_static_selectorELNS0_4arch9wavefront6targetE1EEEvT1_
; %bb.0:
	.section	.rodata,"a",@progbits
	.p2align	6, 0x0
	.amdhsa_kernel _ZN7rocprim17ROCPRIM_400000_NS6detail17trampoline_kernelINS0_14default_configENS1_27scan_by_key_config_selectorIssEEZZNS1_16scan_by_key_implILNS1_25lookback_scan_determinismE0ELb0ES3_N6thrust23THRUST_200600_302600_NS6detail15normal_iteratorINS9_10device_ptrIsEEEESE_SE_sNS9_4plusIsEE19head_flag_predicatesEE10hipError_tPvRmT2_T3_T4_T5_mT6_T7_P12ihipStream_tbENKUlT_T0_E_clISt17integral_constantIbLb0EESX_IbLb1EEEEDaST_SU_EUlST_E_NS1_11comp_targetILNS1_3genE8ELNS1_11target_archE1030ELNS1_3gpuE2ELNS1_3repE0EEENS1_30default_config_static_selectorELNS0_4arch9wavefront6targetE1EEEvT1_
		.amdhsa_group_segment_fixed_size 0
		.amdhsa_private_segment_fixed_size 0
		.amdhsa_kernarg_size 112
		.amdhsa_user_sgpr_count 2
		.amdhsa_user_sgpr_dispatch_ptr 0
		.amdhsa_user_sgpr_queue_ptr 0
		.amdhsa_user_sgpr_kernarg_segment_ptr 1
		.amdhsa_user_sgpr_dispatch_id 0
		.amdhsa_user_sgpr_kernarg_preload_length 0
		.amdhsa_user_sgpr_kernarg_preload_offset 0
		.amdhsa_user_sgpr_private_segment_size 0
		.amdhsa_uses_dynamic_stack 0
		.amdhsa_enable_private_segment 0
		.amdhsa_system_sgpr_workgroup_id_x 1
		.amdhsa_system_sgpr_workgroup_id_y 0
		.amdhsa_system_sgpr_workgroup_id_z 0
		.amdhsa_system_sgpr_workgroup_info 0
		.amdhsa_system_vgpr_workitem_id 0
		.amdhsa_next_free_vgpr 1
		.amdhsa_next_free_sgpr 0
		.amdhsa_accum_offset 4
		.amdhsa_reserve_vcc 0
		.amdhsa_float_round_mode_32 0
		.amdhsa_float_round_mode_16_64 0
		.amdhsa_float_denorm_mode_32 3
		.amdhsa_float_denorm_mode_16_64 3
		.amdhsa_dx10_clamp 1
		.amdhsa_ieee_mode 1
		.amdhsa_fp16_overflow 0
		.amdhsa_tg_split 0
		.amdhsa_exception_fp_ieee_invalid_op 0
		.amdhsa_exception_fp_denorm_src 0
		.amdhsa_exception_fp_ieee_div_zero 0
		.amdhsa_exception_fp_ieee_overflow 0
		.amdhsa_exception_fp_ieee_underflow 0
		.amdhsa_exception_fp_ieee_inexact 0
		.amdhsa_exception_int_div_zero 0
	.end_amdhsa_kernel
	.section	.text._ZN7rocprim17ROCPRIM_400000_NS6detail17trampoline_kernelINS0_14default_configENS1_27scan_by_key_config_selectorIssEEZZNS1_16scan_by_key_implILNS1_25lookback_scan_determinismE0ELb0ES3_N6thrust23THRUST_200600_302600_NS6detail15normal_iteratorINS9_10device_ptrIsEEEESE_SE_sNS9_4plusIsEE19head_flag_predicatesEE10hipError_tPvRmT2_T3_T4_T5_mT6_T7_P12ihipStream_tbENKUlT_T0_E_clISt17integral_constantIbLb0EESX_IbLb1EEEEDaST_SU_EUlST_E_NS1_11comp_targetILNS1_3genE8ELNS1_11target_archE1030ELNS1_3gpuE2ELNS1_3repE0EEENS1_30default_config_static_selectorELNS0_4arch9wavefront6targetE1EEEvT1_,"axG",@progbits,_ZN7rocprim17ROCPRIM_400000_NS6detail17trampoline_kernelINS0_14default_configENS1_27scan_by_key_config_selectorIssEEZZNS1_16scan_by_key_implILNS1_25lookback_scan_determinismE0ELb0ES3_N6thrust23THRUST_200600_302600_NS6detail15normal_iteratorINS9_10device_ptrIsEEEESE_SE_sNS9_4plusIsEE19head_flag_predicatesEE10hipError_tPvRmT2_T3_T4_T5_mT6_T7_P12ihipStream_tbENKUlT_T0_E_clISt17integral_constantIbLb0EESX_IbLb1EEEEDaST_SU_EUlST_E_NS1_11comp_targetILNS1_3genE8ELNS1_11target_archE1030ELNS1_3gpuE2ELNS1_3repE0EEENS1_30default_config_static_selectorELNS0_4arch9wavefront6targetE1EEEvT1_,comdat
.Lfunc_end856:
	.size	_ZN7rocprim17ROCPRIM_400000_NS6detail17trampoline_kernelINS0_14default_configENS1_27scan_by_key_config_selectorIssEEZZNS1_16scan_by_key_implILNS1_25lookback_scan_determinismE0ELb0ES3_N6thrust23THRUST_200600_302600_NS6detail15normal_iteratorINS9_10device_ptrIsEEEESE_SE_sNS9_4plusIsEE19head_flag_predicatesEE10hipError_tPvRmT2_T3_T4_T5_mT6_T7_P12ihipStream_tbENKUlT_T0_E_clISt17integral_constantIbLb0EESX_IbLb1EEEEDaST_SU_EUlST_E_NS1_11comp_targetILNS1_3genE8ELNS1_11target_archE1030ELNS1_3gpuE2ELNS1_3repE0EEENS1_30default_config_static_selectorELNS0_4arch9wavefront6targetE1EEEvT1_, .Lfunc_end856-_ZN7rocprim17ROCPRIM_400000_NS6detail17trampoline_kernelINS0_14default_configENS1_27scan_by_key_config_selectorIssEEZZNS1_16scan_by_key_implILNS1_25lookback_scan_determinismE0ELb0ES3_N6thrust23THRUST_200600_302600_NS6detail15normal_iteratorINS9_10device_ptrIsEEEESE_SE_sNS9_4plusIsEE19head_flag_predicatesEE10hipError_tPvRmT2_T3_T4_T5_mT6_T7_P12ihipStream_tbENKUlT_T0_E_clISt17integral_constantIbLb0EESX_IbLb1EEEEDaST_SU_EUlST_E_NS1_11comp_targetILNS1_3genE8ELNS1_11target_archE1030ELNS1_3gpuE2ELNS1_3repE0EEENS1_30default_config_static_selectorELNS0_4arch9wavefront6targetE1EEEvT1_
                                        ; -- End function
	.section	.AMDGPU.csdata,"",@progbits
; Kernel info:
; codeLenInByte = 0
; NumSgprs: 6
; NumVgprs: 0
; NumAgprs: 0
; TotalNumVgprs: 0
; ScratchSize: 0
; MemoryBound: 0
; FloatMode: 240
; IeeeMode: 1
; LDSByteSize: 0 bytes/workgroup (compile time only)
; SGPRBlocks: 0
; VGPRBlocks: 0
; NumSGPRsForWavesPerEU: 6
; NumVGPRsForWavesPerEU: 1
; AccumOffset: 4
; Occupancy: 8
; WaveLimiterHint : 0
; COMPUTE_PGM_RSRC2:SCRATCH_EN: 0
; COMPUTE_PGM_RSRC2:USER_SGPR: 2
; COMPUTE_PGM_RSRC2:TRAP_HANDLER: 0
; COMPUTE_PGM_RSRC2:TGID_X_EN: 1
; COMPUTE_PGM_RSRC2:TGID_Y_EN: 0
; COMPUTE_PGM_RSRC2:TGID_Z_EN: 0
; COMPUTE_PGM_RSRC2:TIDIG_COMP_CNT: 0
; COMPUTE_PGM_RSRC3_GFX90A:ACCUM_OFFSET: 0
; COMPUTE_PGM_RSRC3_GFX90A:TG_SPLIT: 0
	.section	.text._ZN7rocprim17ROCPRIM_400000_NS6detail17trampoline_kernelINS0_14default_configENS1_27scan_by_key_config_selectorIssEEZZNS1_16scan_by_key_implILNS1_25lookback_scan_determinismE0ELb1ES3_N6thrust23THRUST_200600_302600_NS6detail15normal_iteratorINS9_10device_ptrIsEEEESE_SE_sNS9_4plusIsEE19head_flag_predicatesEE10hipError_tPvRmT2_T3_T4_T5_mT6_T7_P12ihipStream_tbENKUlT_T0_E_clISt17integral_constantIbLb0EESY_EEDaST_SU_EUlST_E_NS1_11comp_targetILNS1_3genE0ELNS1_11target_archE4294967295ELNS1_3gpuE0ELNS1_3repE0EEENS1_30default_config_static_selectorELNS0_4arch9wavefront6targetE1EEEvT1_,"axG",@progbits,_ZN7rocprim17ROCPRIM_400000_NS6detail17trampoline_kernelINS0_14default_configENS1_27scan_by_key_config_selectorIssEEZZNS1_16scan_by_key_implILNS1_25lookback_scan_determinismE0ELb1ES3_N6thrust23THRUST_200600_302600_NS6detail15normal_iteratorINS9_10device_ptrIsEEEESE_SE_sNS9_4plusIsEE19head_flag_predicatesEE10hipError_tPvRmT2_T3_T4_T5_mT6_T7_P12ihipStream_tbENKUlT_T0_E_clISt17integral_constantIbLb0EESY_EEDaST_SU_EUlST_E_NS1_11comp_targetILNS1_3genE0ELNS1_11target_archE4294967295ELNS1_3gpuE0ELNS1_3repE0EEENS1_30default_config_static_selectorELNS0_4arch9wavefront6targetE1EEEvT1_,comdat
	.protected	_ZN7rocprim17ROCPRIM_400000_NS6detail17trampoline_kernelINS0_14default_configENS1_27scan_by_key_config_selectorIssEEZZNS1_16scan_by_key_implILNS1_25lookback_scan_determinismE0ELb1ES3_N6thrust23THRUST_200600_302600_NS6detail15normal_iteratorINS9_10device_ptrIsEEEESE_SE_sNS9_4plusIsEE19head_flag_predicatesEE10hipError_tPvRmT2_T3_T4_T5_mT6_T7_P12ihipStream_tbENKUlT_T0_E_clISt17integral_constantIbLb0EESY_EEDaST_SU_EUlST_E_NS1_11comp_targetILNS1_3genE0ELNS1_11target_archE4294967295ELNS1_3gpuE0ELNS1_3repE0EEENS1_30default_config_static_selectorELNS0_4arch9wavefront6targetE1EEEvT1_ ; -- Begin function _ZN7rocprim17ROCPRIM_400000_NS6detail17trampoline_kernelINS0_14default_configENS1_27scan_by_key_config_selectorIssEEZZNS1_16scan_by_key_implILNS1_25lookback_scan_determinismE0ELb1ES3_N6thrust23THRUST_200600_302600_NS6detail15normal_iteratorINS9_10device_ptrIsEEEESE_SE_sNS9_4plusIsEE19head_flag_predicatesEE10hipError_tPvRmT2_T3_T4_T5_mT6_T7_P12ihipStream_tbENKUlT_T0_E_clISt17integral_constantIbLb0EESY_EEDaST_SU_EUlST_E_NS1_11comp_targetILNS1_3genE0ELNS1_11target_archE4294967295ELNS1_3gpuE0ELNS1_3repE0EEENS1_30default_config_static_selectorELNS0_4arch9wavefront6targetE1EEEvT1_
	.globl	_ZN7rocprim17ROCPRIM_400000_NS6detail17trampoline_kernelINS0_14default_configENS1_27scan_by_key_config_selectorIssEEZZNS1_16scan_by_key_implILNS1_25lookback_scan_determinismE0ELb1ES3_N6thrust23THRUST_200600_302600_NS6detail15normal_iteratorINS9_10device_ptrIsEEEESE_SE_sNS9_4plusIsEE19head_flag_predicatesEE10hipError_tPvRmT2_T3_T4_T5_mT6_T7_P12ihipStream_tbENKUlT_T0_E_clISt17integral_constantIbLb0EESY_EEDaST_SU_EUlST_E_NS1_11comp_targetILNS1_3genE0ELNS1_11target_archE4294967295ELNS1_3gpuE0ELNS1_3repE0EEENS1_30default_config_static_selectorELNS0_4arch9wavefront6targetE1EEEvT1_
	.p2align	8
	.type	_ZN7rocprim17ROCPRIM_400000_NS6detail17trampoline_kernelINS0_14default_configENS1_27scan_by_key_config_selectorIssEEZZNS1_16scan_by_key_implILNS1_25lookback_scan_determinismE0ELb1ES3_N6thrust23THRUST_200600_302600_NS6detail15normal_iteratorINS9_10device_ptrIsEEEESE_SE_sNS9_4plusIsEE19head_flag_predicatesEE10hipError_tPvRmT2_T3_T4_T5_mT6_T7_P12ihipStream_tbENKUlT_T0_E_clISt17integral_constantIbLb0EESY_EEDaST_SU_EUlST_E_NS1_11comp_targetILNS1_3genE0ELNS1_11target_archE4294967295ELNS1_3gpuE0ELNS1_3repE0EEENS1_30default_config_static_selectorELNS0_4arch9wavefront6targetE1EEEvT1_,@function
_ZN7rocprim17ROCPRIM_400000_NS6detail17trampoline_kernelINS0_14default_configENS1_27scan_by_key_config_selectorIssEEZZNS1_16scan_by_key_implILNS1_25lookback_scan_determinismE0ELb1ES3_N6thrust23THRUST_200600_302600_NS6detail15normal_iteratorINS9_10device_ptrIsEEEESE_SE_sNS9_4plusIsEE19head_flag_predicatesEE10hipError_tPvRmT2_T3_T4_T5_mT6_T7_P12ihipStream_tbENKUlT_T0_E_clISt17integral_constantIbLb0EESY_EEDaST_SU_EUlST_E_NS1_11comp_targetILNS1_3genE0ELNS1_11target_archE4294967295ELNS1_3gpuE0ELNS1_3repE0EEENS1_30default_config_static_selectorELNS0_4arch9wavefront6targetE1EEEvT1_: ; @_ZN7rocprim17ROCPRIM_400000_NS6detail17trampoline_kernelINS0_14default_configENS1_27scan_by_key_config_selectorIssEEZZNS1_16scan_by_key_implILNS1_25lookback_scan_determinismE0ELb1ES3_N6thrust23THRUST_200600_302600_NS6detail15normal_iteratorINS9_10device_ptrIsEEEESE_SE_sNS9_4plusIsEE19head_flag_predicatesEE10hipError_tPvRmT2_T3_T4_T5_mT6_T7_P12ihipStream_tbENKUlT_T0_E_clISt17integral_constantIbLb0EESY_EEDaST_SU_EUlST_E_NS1_11comp_targetILNS1_3genE0ELNS1_11target_archE4294967295ELNS1_3gpuE0ELNS1_3repE0EEENS1_30default_config_static_selectorELNS0_4arch9wavefront6targetE1EEEvT1_
; %bb.0:
	.section	.rodata,"a",@progbits
	.p2align	6, 0x0
	.amdhsa_kernel _ZN7rocprim17ROCPRIM_400000_NS6detail17trampoline_kernelINS0_14default_configENS1_27scan_by_key_config_selectorIssEEZZNS1_16scan_by_key_implILNS1_25lookback_scan_determinismE0ELb1ES3_N6thrust23THRUST_200600_302600_NS6detail15normal_iteratorINS9_10device_ptrIsEEEESE_SE_sNS9_4plusIsEE19head_flag_predicatesEE10hipError_tPvRmT2_T3_T4_T5_mT6_T7_P12ihipStream_tbENKUlT_T0_E_clISt17integral_constantIbLb0EESY_EEDaST_SU_EUlST_E_NS1_11comp_targetILNS1_3genE0ELNS1_11target_archE4294967295ELNS1_3gpuE0ELNS1_3repE0EEENS1_30default_config_static_selectorELNS0_4arch9wavefront6targetE1EEEvT1_
		.amdhsa_group_segment_fixed_size 0
		.amdhsa_private_segment_fixed_size 0
		.amdhsa_kernarg_size 112
		.amdhsa_user_sgpr_count 2
		.amdhsa_user_sgpr_dispatch_ptr 0
		.amdhsa_user_sgpr_queue_ptr 0
		.amdhsa_user_sgpr_kernarg_segment_ptr 1
		.amdhsa_user_sgpr_dispatch_id 0
		.amdhsa_user_sgpr_kernarg_preload_length 0
		.amdhsa_user_sgpr_kernarg_preload_offset 0
		.amdhsa_user_sgpr_private_segment_size 0
		.amdhsa_uses_dynamic_stack 0
		.amdhsa_enable_private_segment 0
		.amdhsa_system_sgpr_workgroup_id_x 1
		.amdhsa_system_sgpr_workgroup_id_y 0
		.amdhsa_system_sgpr_workgroup_id_z 0
		.amdhsa_system_sgpr_workgroup_info 0
		.amdhsa_system_vgpr_workitem_id 0
		.amdhsa_next_free_vgpr 1
		.amdhsa_next_free_sgpr 0
		.amdhsa_accum_offset 4
		.amdhsa_reserve_vcc 0
		.amdhsa_float_round_mode_32 0
		.amdhsa_float_round_mode_16_64 0
		.amdhsa_float_denorm_mode_32 3
		.amdhsa_float_denorm_mode_16_64 3
		.amdhsa_dx10_clamp 1
		.amdhsa_ieee_mode 1
		.amdhsa_fp16_overflow 0
		.amdhsa_tg_split 0
		.amdhsa_exception_fp_ieee_invalid_op 0
		.amdhsa_exception_fp_denorm_src 0
		.amdhsa_exception_fp_ieee_div_zero 0
		.amdhsa_exception_fp_ieee_overflow 0
		.amdhsa_exception_fp_ieee_underflow 0
		.amdhsa_exception_fp_ieee_inexact 0
		.amdhsa_exception_int_div_zero 0
	.end_amdhsa_kernel
	.section	.text._ZN7rocprim17ROCPRIM_400000_NS6detail17trampoline_kernelINS0_14default_configENS1_27scan_by_key_config_selectorIssEEZZNS1_16scan_by_key_implILNS1_25lookback_scan_determinismE0ELb1ES3_N6thrust23THRUST_200600_302600_NS6detail15normal_iteratorINS9_10device_ptrIsEEEESE_SE_sNS9_4plusIsEE19head_flag_predicatesEE10hipError_tPvRmT2_T3_T4_T5_mT6_T7_P12ihipStream_tbENKUlT_T0_E_clISt17integral_constantIbLb0EESY_EEDaST_SU_EUlST_E_NS1_11comp_targetILNS1_3genE0ELNS1_11target_archE4294967295ELNS1_3gpuE0ELNS1_3repE0EEENS1_30default_config_static_selectorELNS0_4arch9wavefront6targetE1EEEvT1_,"axG",@progbits,_ZN7rocprim17ROCPRIM_400000_NS6detail17trampoline_kernelINS0_14default_configENS1_27scan_by_key_config_selectorIssEEZZNS1_16scan_by_key_implILNS1_25lookback_scan_determinismE0ELb1ES3_N6thrust23THRUST_200600_302600_NS6detail15normal_iteratorINS9_10device_ptrIsEEEESE_SE_sNS9_4plusIsEE19head_flag_predicatesEE10hipError_tPvRmT2_T3_T4_T5_mT6_T7_P12ihipStream_tbENKUlT_T0_E_clISt17integral_constantIbLb0EESY_EEDaST_SU_EUlST_E_NS1_11comp_targetILNS1_3genE0ELNS1_11target_archE4294967295ELNS1_3gpuE0ELNS1_3repE0EEENS1_30default_config_static_selectorELNS0_4arch9wavefront6targetE1EEEvT1_,comdat
.Lfunc_end857:
	.size	_ZN7rocprim17ROCPRIM_400000_NS6detail17trampoline_kernelINS0_14default_configENS1_27scan_by_key_config_selectorIssEEZZNS1_16scan_by_key_implILNS1_25lookback_scan_determinismE0ELb1ES3_N6thrust23THRUST_200600_302600_NS6detail15normal_iteratorINS9_10device_ptrIsEEEESE_SE_sNS9_4plusIsEE19head_flag_predicatesEE10hipError_tPvRmT2_T3_T4_T5_mT6_T7_P12ihipStream_tbENKUlT_T0_E_clISt17integral_constantIbLb0EESY_EEDaST_SU_EUlST_E_NS1_11comp_targetILNS1_3genE0ELNS1_11target_archE4294967295ELNS1_3gpuE0ELNS1_3repE0EEENS1_30default_config_static_selectorELNS0_4arch9wavefront6targetE1EEEvT1_, .Lfunc_end857-_ZN7rocprim17ROCPRIM_400000_NS6detail17trampoline_kernelINS0_14default_configENS1_27scan_by_key_config_selectorIssEEZZNS1_16scan_by_key_implILNS1_25lookback_scan_determinismE0ELb1ES3_N6thrust23THRUST_200600_302600_NS6detail15normal_iteratorINS9_10device_ptrIsEEEESE_SE_sNS9_4plusIsEE19head_flag_predicatesEE10hipError_tPvRmT2_T3_T4_T5_mT6_T7_P12ihipStream_tbENKUlT_T0_E_clISt17integral_constantIbLb0EESY_EEDaST_SU_EUlST_E_NS1_11comp_targetILNS1_3genE0ELNS1_11target_archE4294967295ELNS1_3gpuE0ELNS1_3repE0EEENS1_30default_config_static_selectorELNS0_4arch9wavefront6targetE1EEEvT1_
                                        ; -- End function
	.section	.AMDGPU.csdata,"",@progbits
; Kernel info:
; codeLenInByte = 0
; NumSgprs: 6
; NumVgprs: 0
; NumAgprs: 0
; TotalNumVgprs: 0
; ScratchSize: 0
; MemoryBound: 0
; FloatMode: 240
; IeeeMode: 1
; LDSByteSize: 0 bytes/workgroup (compile time only)
; SGPRBlocks: 0
; VGPRBlocks: 0
; NumSGPRsForWavesPerEU: 6
; NumVGPRsForWavesPerEU: 1
; AccumOffset: 4
; Occupancy: 8
; WaveLimiterHint : 0
; COMPUTE_PGM_RSRC2:SCRATCH_EN: 0
; COMPUTE_PGM_RSRC2:USER_SGPR: 2
; COMPUTE_PGM_RSRC2:TRAP_HANDLER: 0
; COMPUTE_PGM_RSRC2:TGID_X_EN: 1
; COMPUTE_PGM_RSRC2:TGID_Y_EN: 0
; COMPUTE_PGM_RSRC2:TGID_Z_EN: 0
; COMPUTE_PGM_RSRC2:TIDIG_COMP_CNT: 0
; COMPUTE_PGM_RSRC3_GFX90A:ACCUM_OFFSET: 0
; COMPUTE_PGM_RSRC3_GFX90A:TG_SPLIT: 0
	.section	.text._ZN7rocprim17ROCPRIM_400000_NS6detail17trampoline_kernelINS0_14default_configENS1_27scan_by_key_config_selectorIssEEZZNS1_16scan_by_key_implILNS1_25lookback_scan_determinismE0ELb1ES3_N6thrust23THRUST_200600_302600_NS6detail15normal_iteratorINS9_10device_ptrIsEEEESE_SE_sNS9_4plusIsEE19head_flag_predicatesEE10hipError_tPvRmT2_T3_T4_T5_mT6_T7_P12ihipStream_tbENKUlT_T0_E_clISt17integral_constantIbLb0EESY_EEDaST_SU_EUlST_E_NS1_11comp_targetILNS1_3genE10ELNS1_11target_archE1201ELNS1_3gpuE5ELNS1_3repE0EEENS1_30default_config_static_selectorELNS0_4arch9wavefront6targetE1EEEvT1_,"axG",@progbits,_ZN7rocprim17ROCPRIM_400000_NS6detail17trampoline_kernelINS0_14default_configENS1_27scan_by_key_config_selectorIssEEZZNS1_16scan_by_key_implILNS1_25lookback_scan_determinismE0ELb1ES3_N6thrust23THRUST_200600_302600_NS6detail15normal_iteratorINS9_10device_ptrIsEEEESE_SE_sNS9_4plusIsEE19head_flag_predicatesEE10hipError_tPvRmT2_T3_T4_T5_mT6_T7_P12ihipStream_tbENKUlT_T0_E_clISt17integral_constantIbLb0EESY_EEDaST_SU_EUlST_E_NS1_11comp_targetILNS1_3genE10ELNS1_11target_archE1201ELNS1_3gpuE5ELNS1_3repE0EEENS1_30default_config_static_selectorELNS0_4arch9wavefront6targetE1EEEvT1_,comdat
	.protected	_ZN7rocprim17ROCPRIM_400000_NS6detail17trampoline_kernelINS0_14default_configENS1_27scan_by_key_config_selectorIssEEZZNS1_16scan_by_key_implILNS1_25lookback_scan_determinismE0ELb1ES3_N6thrust23THRUST_200600_302600_NS6detail15normal_iteratorINS9_10device_ptrIsEEEESE_SE_sNS9_4plusIsEE19head_flag_predicatesEE10hipError_tPvRmT2_T3_T4_T5_mT6_T7_P12ihipStream_tbENKUlT_T0_E_clISt17integral_constantIbLb0EESY_EEDaST_SU_EUlST_E_NS1_11comp_targetILNS1_3genE10ELNS1_11target_archE1201ELNS1_3gpuE5ELNS1_3repE0EEENS1_30default_config_static_selectorELNS0_4arch9wavefront6targetE1EEEvT1_ ; -- Begin function _ZN7rocprim17ROCPRIM_400000_NS6detail17trampoline_kernelINS0_14default_configENS1_27scan_by_key_config_selectorIssEEZZNS1_16scan_by_key_implILNS1_25lookback_scan_determinismE0ELb1ES3_N6thrust23THRUST_200600_302600_NS6detail15normal_iteratorINS9_10device_ptrIsEEEESE_SE_sNS9_4plusIsEE19head_flag_predicatesEE10hipError_tPvRmT2_T3_T4_T5_mT6_T7_P12ihipStream_tbENKUlT_T0_E_clISt17integral_constantIbLb0EESY_EEDaST_SU_EUlST_E_NS1_11comp_targetILNS1_3genE10ELNS1_11target_archE1201ELNS1_3gpuE5ELNS1_3repE0EEENS1_30default_config_static_selectorELNS0_4arch9wavefront6targetE1EEEvT1_
	.globl	_ZN7rocprim17ROCPRIM_400000_NS6detail17trampoline_kernelINS0_14default_configENS1_27scan_by_key_config_selectorIssEEZZNS1_16scan_by_key_implILNS1_25lookback_scan_determinismE0ELb1ES3_N6thrust23THRUST_200600_302600_NS6detail15normal_iteratorINS9_10device_ptrIsEEEESE_SE_sNS9_4plusIsEE19head_flag_predicatesEE10hipError_tPvRmT2_T3_T4_T5_mT6_T7_P12ihipStream_tbENKUlT_T0_E_clISt17integral_constantIbLb0EESY_EEDaST_SU_EUlST_E_NS1_11comp_targetILNS1_3genE10ELNS1_11target_archE1201ELNS1_3gpuE5ELNS1_3repE0EEENS1_30default_config_static_selectorELNS0_4arch9wavefront6targetE1EEEvT1_
	.p2align	8
	.type	_ZN7rocprim17ROCPRIM_400000_NS6detail17trampoline_kernelINS0_14default_configENS1_27scan_by_key_config_selectorIssEEZZNS1_16scan_by_key_implILNS1_25lookback_scan_determinismE0ELb1ES3_N6thrust23THRUST_200600_302600_NS6detail15normal_iteratorINS9_10device_ptrIsEEEESE_SE_sNS9_4plusIsEE19head_flag_predicatesEE10hipError_tPvRmT2_T3_T4_T5_mT6_T7_P12ihipStream_tbENKUlT_T0_E_clISt17integral_constantIbLb0EESY_EEDaST_SU_EUlST_E_NS1_11comp_targetILNS1_3genE10ELNS1_11target_archE1201ELNS1_3gpuE5ELNS1_3repE0EEENS1_30default_config_static_selectorELNS0_4arch9wavefront6targetE1EEEvT1_,@function
_ZN7rocprim17ROCPRIM_400000_NS6detail17trampoline_kernelINS0_14default_configENS1_27scan_by_key_config_selectorIssEEZZNS1_16scan_by_key_implILNS1_25lookback_scan_determinismE0ELb1ES3_N6thrust23THRUST_200600_302600_NS6detail15normal_iteratorINS9_10device_ptrIsEEEESE_SE_sNS9_4plusIsEE19head_flag_predicatesEE10hipError_tPvRmT2_T3_T4_T5_mT6_T7_P12ihipStream_tbENKUlT_T0_E_clISt17integral_constantIbLb0EESY_EEDaST_SU_EUlST_E_NS1_11comp_targetILNS1_3genE10ELNS1_11target_archE1201ELNS1_3gpuE5ELNS1_3repE0EEENS1_30default_config_static_selectorELNS0_4arch9wavefront6targetE1EEEvT1_: ; @_ZN7rocprim17ROCPRIM_400000_NS6detail17trampoline_kernelINS0_14default_configENS1_27scan_by_key_config_selectorIssEEZZNS1_16scan_by_key_implILNS1_25lookback_scan_determinismE0ELb1ES3_N6thrust23THRUST_200600_302600_NS6detail15normal_iteratorINS9_10device_ptrIsEEEESE_SE_sNS9_4plusIsEE19head_flag_predicatesEE10hipError_tPvRmT2_T3_T4_T5_mT6_T7_P12ihipStream_tbENKUlT_T0_E_clISt17integral_constantIbLb0EESY_EEDaST_SU_EUlST_E_NS1_11comp_targetILNS1_3genE10ELNS1_11target_archE1201ELNS1_3gpuE5ELNS1_3repE0EEENS1_30default_config_static_selectorELNS0_4arch9wavefront6targetE1EEEvT1_
; %bb.0:
	.section	.rodata,"a",@progbits
	.p2align	6, 0x0
	.amdhsa_kernel _ZN7rocprim17ROCPRIM_400000_NS6detail17trampoline_kernelINS0_14default_configENS1_27scan_by_key_config_selectorIssEEZZNS1_16scan_by_key_implILNS1_25lookback_scan_determinismE0ELb1ES3_N6thrust23THRUST_200600_302600_NS6detail15normal_iteratorINS9_10device_ptrIsEEEESE_SE_sNS9_4plusIsEE19head_flag_predicatesEE10hipError_tPvRmT2_T3_T4_T5_mT6_T7_P12ihipStream_tbENKUlT_T0_E_clISt17integral_constantIbLb0EESY_EEDaST_SU_EUlST_E_NS1_11comp_targetILNS1_3genE10ELNS1_11target_archE1201ELNS1_3gpuE5ELNS1_3repE0EEENS1_30default_config_static_selectorELNS0_4arch9wavefront6targetE1EEEvT1_
		.amdhsa_group_segment_fixed_size 0
		.amdhsa_private_segment_fixed_size 0
		.amdhsa_kernarg_size 112
		.amdhsa_user_sgpr_count 2
		.amdhsa_user_sgpr_dispatch_ptr 0
		.amdhsa_user_sgpr_queue_ptr 0
		.amdhsa_user_sgpr_kernarg_segment_ptr 1
		.amdhsa_user_sgpr_dispatch_id 0
		.amdhsa_user_sgpr_kernarg_preload_length 0
		.amdhsa_user_sgpr_kernarg_preload_offset 0
		.amdhsa_user_sgpr_private_segment_size 0
		.amdhsa_uses_dynamic_stack 0
		.amdhsa_enable_private_segment 0
		.amdhsa_system_sgpr_workgroup_id_x 1
		.amdhsa_system_sgpr_workgroup_id_y 0
		.amdhsa_system_sgpr_workgroup_id_z 0
		.amdhsa_system_sgpr_workgroup_info 0
		.amdhsa_system_vgpr_workitem_id 0
		.amdhsa_next_free_vgpr 1
		.amdhsa_next_free_sgpr 0
		.amdhsa_accum_offset 4
		.amdhsa_reserve_vcc 0
		.amdhsa_float_round_mode_32 0
		.amdhsa_float_round_mode_16_64 0
		.amdhsa_float_denorm_mode_32 3
		.amdhsa_float_denorm_mode_16_64 3
		.amdhsa_dx10_clamp 1
		.amdhsa_ieee_mode 1
		.amdhsa_fp16_overflow 0
		.amdhsa_tg_split 0
		.amdhsa_exception_fp_ieee_invalid_op 0
		.amdhsa_exception_fp_denorm_src 0
		.amdhsa_exception_fp_ieee_div_zero 0
		.amdhsa_exception_fp_ieee_overflow 0
		.amdhsa_exception_fp_ieee_underflow 0
		.amdhsa_exception_fp_ieee_inexact 0
		.amdhsa_exception_int_div_zero 0
	.end_amdhsa_kernel
	.section	.text._ZN7rocprim17ROCPRIM_400000_NS6detail17trampoline_kernelINS0_14default_configENS1_27scan_by_key_config_selectorIssEEZZNS1_16scan_by_key_implILNS1_25lookback_scan_determinismE0ELb1ES3_N6thrust23THRUST_200600_302600_NS6detail15normal_iteratorINS9_10device_ptrIsEEEESE_SE_sNS9_4plusIsEE19head_flag_predicatesEE10hipError_tPvRmT2_T3_T4_T5_mT6_T7_P12ihipStream_tbENKUlT_T0_E_clISt17integral_constantIbLb0EESY_EEDaST_SU_EUlST_E_NS1_11comp_targetILNS1_3genE10ELNS1_11target_archE1201ELNS1_3gpuE5ELNS1_3repE0EEENS1_30default_config_static_selectorELNS0_4arch9wavefront6targetE1EEEvT1_,"axG",@progbits,_ZN7rocprim17ROCPRIM_400000_NS6detail17trampoline_kernelINS0_14default_configENS1_27scan_by_key_config_selectorIssEEZZNS1_16scan_by_key_implILNS1_25lookback_scan_determinismE0ELb1ES3_N6thrust23THRUST_200600_302600_NS6detail15normal_iteratorINS9_10device_ptrIsEEEESE_SE_sNS9_4plusIsEE19head_flag_predicatesEE10hipError_tPvRmT2_T3_T4_T5_mT6_T7_P12ihipStream_tbENKUlT_T0_E_clISt17integral_constantIbLb0EESY_EEDaST_SU_EUlST_E_NS1_11comp_targetILNS1_3genE10ELNS1_11target_archE1201ELNS1_3gpuE5ELNS1_3repE0EEENS1_30default_config_static_selectorELNS0_4arch9wavefront6targetE1EEEvT1_,comdat
.Lfunc_end858:
	.size	_ZN7rocprim17ROCPRIM_400000_NS6detail17trampoline_kernelINS0_14default_configENS1_27scan_by_key_config_selectorIssEEZZNS1_16scan_by_key_implILNS1_25lookback_scan_determinismE0ELb1ES3_N6thrust23THRUST_200600_302600_NS6detail15normal_iteratorINS9_10device_ptrIsEEEESE_SE_sNS9_4plusIsEE19head_flag_predicatesEE10hipError_tPvRmT2_T3_T4_T5_mT6_T7_P12ihipStream_tbENKUlT_T0_E_clISt17integral_constantIbLb0EESY_EEDaST_SU_EUlST_E_NS1_11comp_targetILNS1_3genE10ELNS1_11target_archE1201ELNS1_3gpuE5ELNS1_3repE0EEENS1_30default_config_static_selectorELNS0_4arch9wavefront6targetE1EEEvT1_, .Lfunc_end858-_ZN7rocprim17ROCPRIM_400000_NS6detail17trampoline_kernelINS0_14default_configENS1_27scan_by_key_config_selectorIssEEZZNS1_16scan_by_key_implILNS1_25lookback_scan_determinismE0ELb1ES3_N6thrust23THRUST_200600_302600_NS6detail15normal_iteratorINS9_10device_ptrIsEEEESE_SE_sNS9_4plusIsEE19head_flag_predicatesEE10hipError_tPvRmT2_T3_T4_T5_mT6_T7_P12ihipStream_tbENKUlT_T0_E_clISt17integral_constantIbLb0EESY_EEDaST_SU_EUlST_E_NS1_11comp_targetILNS1_3genE10ELNS1_11target_archE1201ELNS1_3gpuE5ELNS1_3repE0EEENS1_30default_config_static_selectorELNS0_4arch9wavefront6targetE1EEEvT1_
                                        ; -- End function
	.section	.AMDGPU.csdata,"",@progbits
; Kernel info:
; codeLenInByte = 0
; NumSgprs: 6
; NumVgprs: 0
; NumAgprs: 0
; TotalNumVgprs: 0
; ScratchSize: 0
; MemoryBound: 0
; FloatMode: 240
; IeeeMode: 1
; LDSByteSize: 0 bytes/workgroup (compile time only)
; SGPRBlocks: 0
; VGPRBlocks: 0
; NumSGPRsForWavesPerEU: 6
; NumVGPRsForWavesPerEU: 1
; AccumOffset: 4
; Occupancy: 8
; WaveLimiterHint : 0
; COMPUTE_PGM_RSRC2:SCRATCH_EN: 0
; COMPUTE_PGM_RSRC2:USER_SGPR: 2
; COMPUTE_PGM_RSRC2:TRAP_HANDLER: 0
; COMPUTE_PGM_RSRC2:TGID_X_EN: 1
; COMPUTE_PGM_RSRC2:TGID_Y_EN: 0
; COMPUTE_PGM_RSRC2:TGID_Z_EN: 0
; COMPUTE_PGM_RSRC2:TIDIG_COMP_CNT: 0
; COMPUTE_PGM_RSRC3_GFX90A:ACCUM_OFFSET: 0
; COMPUTE_PGM_RSRC3_GFX90A:TG_SPLIT: 0
	.section	.text._ZN7rocprim17ROCPRIM_400000_NS6detail17trampoline_kernelINS0_14default_configENS1_27scan_by_key_config_selectorIssEEZZNS1_16scan_by_key_implILNS1_25lookback_scan_determinismE0ELb1ES3_N6thrust23THRUST_200600_302600_NS6detail15normal_iteratorINS9_10device_ptrIsEEEESE_SE_sNS9_4plusIsEE19head_flag_predicatesEE10hipError_tPvRmT2_T3_T4_T5_mT6_T7_P12ihipStream_tbENKUlT_T0_E_clISt17integral_constantIbLb0EESY_EEDaST_SU_EUlST_E_NS1_11comp_targetILNS1_3genE5ELNS1_11target_archE942ELNS1_3gpuE9ELNS1_3repE0EEENS1_30default_config_static_selectorELNS0_4arch9wavefront6targetE1EEEvT1_,"axG",@progbits,_ZN7rocprim17ROCPRIM_400000_NS6detail17trampoline_kernelINS0_14default_configENS1_27scan_by_key_config_selectorIssEEZZNS1_16scan_by_key_implILNS1_25lookback_scan_determinismE0ELb1ES3_N6thrust23THRUST_200600_302600_NS6detail15normal_iteratorINS9_10device_ptrIsEEEESE_SE_sNS9_4plusIsEE19head_flag_predicatesEE10hipError_tPvRmT2_T3_T4_T5_mT6_T7_P12ihipStream_tbENKUlT_T0_E_clISt17integral_constantIbLb0EESY_EEDaST_SU_EUlST_E_NS1_11comp_targetILNS1_3genE5ELNS1_11target_archE942ELNS1_3gpuE9ELNS1_3repE0EEENS1_30default_config_static_selectorELNS0_4arch9wavefront6targetE1EEEvT1_,comdat
	.protected	_ZN7rocprim17ROCPRIM_400000_NS6detail17trampoline_kernelINS0_14default_configENS1_27scan_by_key_config_selectorIssEEZZNS1_16scan_by_key_implILNS1_25lookback_scan_determinismE0ELb1ES3_N6thrust23THRUST_200600_302600_NS6detail15normal_iteratorINS9_10device_ptrIsEEEESE_SE_sNS9_4plusIsEE19head_flag_predicatesEE10hipError_tPvRmT2_T3_T4_T5_mT6_T7_P12ihipStream_tbENKUlT_T0_E_clISt17integral_constantIbLb0EESY_EEDaST_SU_EUlST_E_NS1_11comp_targetILNS1_3genE5ELNS1_11target_archE942ELNS1_3gpuE9ELNS1_3repE0EEENS1_30default_config_static_selectorELNS0_4arch9wavefront6targetE1EEEvT1_ ; -- Begin function _ZN7rocprim17ROCPRIM_400000_NS6detail17trampoline_kernelINS0_14default_configENS1_27scan_by_key_config_selectorIssEEZZNS1_16scan_by_key_implILNS1_25lookback_scan_determinismE0ELb1ES3_N6thrust23THRUST_200600_302600_NS6detail15normal_iteratorINS9_10device_ptrIsEEEESE_SE_sNS9_4plusIsEE19head_flag_predicatesEE10hipError_tPvRmT2_T3_T4_T5_mT6_T7_P12ihipStream_tbENKUlT_T0_E_clISt17integral_constantIbLb0EESY_EEDaST_SU_EUlST_E_NS1_11comp_targetILNS1_3genE5ELNS1_11target_archE942ELNS1_3gpuE9ELNS1_3repE0EEENS1_30default_config_static_selectorELNS0_4arch9wavefront6targetE1EEEvT1_
	.globl	_ZN7rocprim17ROCPRIM_400000_NS6detail17trampoline_kernelINS0_14default_configENS1_27scan_by_key_config_selectorIssEEZZNS1_16scan_by_key_implILNS1_25lookback_scan_determinismE0ELb1ES3_N6thrust23THRUST_200600_302600_NS6detail15normal_iteratorINS9_10device_ptrIsEEEESE_SE_sNS9_4plusIsEE19head_flag_predicatesEE10hipError_tPvRmT2_T3_T4_T5_mT6_T7_P12ihipStream_tbENKUlT_T0_E_clISt17integral_constantIbLb0EESY_EEDaST_SU_EUlST_E_NS1_11comp_targetILNS1_3genE5ELNS1_11target_archE942ELNS1_3gpuE9ELNS1_3repE0EEENS1_30default_config_static_selectorELNS0_4arch9wavefront6targetE1EEEvT1_
	.p2align	8
	.type	_ZN7rocprim17ROCPRIM_400000_NS6detail17trampoline_kernelINS0_14default_configENS1_27scan_by_key_config_selectorIssEEZZNS1_16scan_by_key_implILNS1_25lookback_scan_determinismE0ELb1ES3_N6thrust23THRUST_200600_302600_NS6detail15normal_iteratorINS9_10device_ptrIsEEEESE_SE_sNS9_4plusIsEE19head_flag_predicatesEE10hipError_tPvRmT2_T3_T4_T5_mT6_T7_P12ihipStream_tbENKUlT_T0_E_clISt17integral_constantIbLb0EESY_EEDaST_SU_EUlST_E_NS1_11comp_targetILNS1_3genE5ELNS1_11target_archE942ELNS1_3gpuE9ELNS1_3repE0EEENS1_30default_config_static_selectorELNS0_4arch9wavefront6targetE1EEEvT1_,@function
_ZN7rocprim17ROCPRIM_400000_NS6detail17trampoline_kernelINS0_14default_configENS1_27scan_by_key_config_selectorIssEEZZNS1_16scan_by_key_implILNS1_25lookback_scan_determinismE0ELb1ES3_N6thrust23THRUST_200600_302600_NS6detail15normal_iteratorINS9_10device_ptrIsEEEESE_SE_sNS9_4plusIsEE19head_flag_predicatesEE10hipError_tPvRmT2_T3_T4_T5_mT6_T7_P12ihipStream_tbENKUlT_T0_E_clISt17integral_constantIbLb0EESY_EEDaST_SU_EUlST_E_NS1_11comp_targetILNS1_3genE5ELNS1_11target_archE942ELNS1_3gpuE9ELNS1_3repE0EEENS1_30default_config_static_selectorELNS0_4arch9wavefront6targetE1EEEvT1_: ; @_ZN7rocprim17ROCPRIM_400000_NS6detail17trampoline_kernelINS0_14default_configENS1_27scan_by_key_config_selectorIssEEZZNS1_16scan_by_key_implILNS1_25lookback_scan_determinismE0ELb1ES3_N6thrust23THRUST_200600_302600_NS6detail15normal_iteratorINS9_10device_ptrIsEEEESE_SE_sNS9_4plusIsEE19head_flag_predicatesEE10hipError_tPvRmT2_T3_T4_T5_mT6_T7_P12ihipStream_tbENKUlT_T0_E_clISt17integral_constantIbLb0EESY_EEDaST_SU_EUlST_E_NS1_11comp_targetILNS1_3genE5ELNS1_11target_archE942ELNS1_3gpuE9ELNS1_3repE0EEENS1_30default_config_static_selectorELNS0_4arch9wavefront6targetE1EEEvT1_
; %bb.0:
	s_load_dwordx8 s[48:55], s[0:1], 0x0
	s_load_dword s78, s[0:1], 0x20
	s_load_dwordx4 s[56:59], s[0:1], 0x28
	s_load_dwordx2 s[68:69], s[0:1], 0x38
	s_load_dword s3, s[0:1], 0x40
	s_load_dwordx4 s[60:63], s[0:1], 0x48
	s_waitcnt lgkmcnt(0)
	s_lshl_b64 s[64:65], s[50:51], 1
	s_add_u32 s4, s48, s64
	s_addc_u32 s5, s49, s65
	s_add_u32 s6, s52, s64
	s_mul_i32 s0, s69, s3
	s_mul_hi_u32 s1, s68, s3
	s_addc_u32 s7, s53, s65
	s_add_i32 s8, s1, s0
	s_mul_i32 s0, s2, 0x1800
	s_mov_b32 s1, 0
	s_lshl_b64 s[66:67], s[0:1], 1
	s_add_u32 s72, s4, s66
	s_addc_u32 s73, s5, s67
	s_add_u32 s70, s6, s66
	s_mul_i32 s3, s68, s3
	s_addc_u32 s71, s7, s67
	s_add_u32 s0, s3, s2
	s_addc_u32 s1, s8, 0
	s_add_u32 s6, s60, -1
	s_addc_u32 s7, s61, -1
	v_mov_b64_e32 v[2:3], s[6:7]
	v_cmp_ge_u64_e64 s[0:1], s[0:1], v[2:3]
	s_mov_b64 s[4:5], -1
	s_and_b64 vcc, exec, s[0:1]
	s_mul_i32 s33, s6, 0xffffe800
	s_barrier
	s_cbranch_vccz .LBB859_126
; %bb.1:
	v_mov_b64_e32 v[2:3], s[72:73]
	flat_load_ushort v1, v[2:3]
	s_add_i32 s59, s33, s58
	v_cmp_gt_u32_e32 vcc, s59, v0
	s_waitcnt vmcnt(0) lgkmcnt(0)
	v_mov_b32_e32 v2, v1
	s_and_saveexec_b64 s[4:5], vcc
	s_cbranch_execz .LBB859_3
; %bb.2:
	v_lshlrev_b32_e32 v2, 1, v0
	v_mov_b32_e32 v3, 0
	v_lshl_add_u64 v[2:3], s[72:73], 0, v[2:3]
	flat_load_ushort v2, v[2:3]
.LBB859_3:
	s_or_b64 exec, exec, s[4:5]
	v_or_b32_e32 v3, 0x100, v0
	v_cmp_gt_u32_e64 s[50:51], s59, v3
	v_mov_b32_e32 v3, v1
	s_and_saveexec_b64 s[4:5], s[50:51]
	s_cbranch_execz .LBB859_5
; %bb.4:
	v_lshlrev_b32_e32 v4, 1, v0
	v_mov_b32_e32 v5, 0
	v_lshl_add_u64 v[4:5], s[72:73], 0, v[4:5]
	flat_load_ushort v3, v[4:5] offset:512
.LBB859_5:
	s_or_b64 exec, exec, s[4:5]
	v_or_b32_e32 v4, 0x200, v0
	v_cmp_gt_u32_e64 s[4:5], s59, v4
	v_mov_b32_e32 v4, v1
	s_and_saveexec_b64 s[6:7], s[4:5]
	s_cbranch_execz .LBB859_7
; %bb.6:
	v_lshlrev_b32_e32 v4, 1, v0
	v_mov_b32_e32 v5, 0
	v_lshl_add_u64 v[4:5], s[72:73], 0, v[4:5]
	flat_load_ushort v4, v[4:5] offset:1024
.LBB859_7:
	;; [unrolled: 12-line block ×7, first 2 shown]
	s_or_b64 exec, exec, s[16:17]
	v_or_b32_e32 v10, 0x800, v0
	v_cmp_gt_u32_e64 s[16:17], s59, v10
	v_lshlrev_b32_e32 v14, 1, v10
	v_mov_b32_e32 v10, v1
	s_and_saveexec_b64 s[18:19], s[16:17]
	s_cbranch_execz .LBB859_19
; %bb.18:
	v_mov_b32_e32 v15, 0
	v_lshl_add_u64 v[10:11], s[72:73], 0, v[14:15]
	flat_load_ushort v10, v[10:11]
.LBB859_19:
	s_or_b64 exec, exec, s[18:19]
	v_or_b32_e32 v11, 0x900, v0
	v_cmp_gt_u32_e64 s[18:19], s59, v11
	v_lshlrev_b32_e32 v16, 1, v11
	v_mov_b32_e32 v11, v1
	s_and_saveexec_b64 s[20:21], s[18:19]
	s_cbranch_execz .LBB859_21
; %bb.20:
	v_mov_b32_e32 v17, 0
	v_lshl_add_u64 v[12:13], s[72:73], 0, v[16:17]
	flat_load_ushort v11, v[12:13]
.LBB859_21:
	;; [unrolled: 12-line block ×15, first 2 shown]
	s_or_b64 exec, exec, s[48:49]
	v_or_b32_e32 v36, 0x1700, v0
	v_cmp_gt_u32_e64 s[48:49], s59, v36
	v_lshlrev_b32_e32 v46, 1, v36
	s_and_saveexec_b64 s[52:53], s[48:49]
	s_cbranch_execz .LBB859_49
; %bb.48:
	v_mov_b32_e32 v47, 0
	v_lshl_add_u64 v[36:37], s[72:73], 0, v[46:47]
	flat_load_ushort v1, v[36:37]
.LBB859_49:
	s_or_b64 exec, exec, s[52:53]
	v_lshlrev_b32_e32 v36, 1, v0
	s_waitcnt vmcnt(0) lgkmcnt(0)
	ds_write_b16 v36, v2
	ds_write_b16 v36, v3 offset:512
	ds_write_b16 v36, v4 offset:1024
	;; [unrolled: 1-line block ×23, first 2 shown]
	v_mov_b64_e32 v[2:3], s[72:73]
	s_waitcnt lgkmcnt(0)
	s_barrier
	flat_load_ushort v48, v[2:3]
	v_mad_u32_u24 v49, v0, 46, v36
	ds_read_b128 v[10:13], v49
	ds_read_b128 v[6:9], v49 offset:16
	ds_read_b128 v[2:5], v49 offset:32
	s_movk_i32 s3, 0xffd2
	v_mad_i32_i24 v1, v0, s3, v49
	s_movk_i32 s3, 0xff
	v_cmp_ne_u32_e64 s[52:53], s3, v0
	s_waitcnt lgkmcnt(0)
	ds_write_b16 v1, v10 offset:12800
	s_waitcnt lgkmcnt(0)
	s_barrier
	s_and_saveexec_b64 s[60:61], s[52:53]
	s_cbranch_execz .LBB859_51
; %bb.50:
	s_waitcnt vmcnt(0)
	ds_read_u16 v48, v36 offset:12802
.LBB859_51:
	s_or_b64 exec, exec, s[60:61]
	v_mov_b32_e32 v37, 0
	s_waitcnt lgkmcnt(0)
	s_barrier
	s_waitcnt lgkmcnt(0)
                                        ; implicit-def: $vgpr1
	s_and_saveexec_b64 s[52:53], vcc
	s_cbranch_execz .LBB859_201
; %bb.52:
	v_lshl_add_u64 v[50:51], s[70:71], 0, v[36:37]
	flat_load_ushort v1, v[50:51]
	s_or_b64 exec, exec, s[52:53]
                                        ; implicit-def: $vgpr50
	s_and_saveexec_b64 s[52:53], s[50:51]
	s_cbranch_execnz .LBB859_202
.LBB859_53:
	s_or_b64 exec, exec, s[52:53]
                                        ; implicit-def: $vgpr51
	s_and_saveexec_b64 s[50:51], s[4:5]
	s_cbranch_execz .LBB859_203
.LBB859_54:
	v_mov_b32_e32 v37, 0
	v_lshl_add_u64 v[52:53], s[70:71], 0, v[36:37]
	flat_load_ushort v51, v[52:53] offset:1024
	s_or_b64 exec, exec, s[50:51]
                                        ; implicit-def: $vgpr52
	s_and_saveexec_b64 s[4:5], s[6:7]
	s_cbranch_execnz .LBB859_204
.LBB859_55:
	s_or_b64 exec, exec, s[4:5]
                                        ; implicit-def: $vgpr53
	s_and_saveexec_b64 s[4:5], s[8:9]
	s_cbranch_execz .LBB859_205
.LBB859_56:
	v_mov_b32_e32 v37, 0
	v_lshl_add_u64 v[54:55], s[70:71], 0, v[36:37]
	flat_load_ushort v53, v[54:55] offset:2048
	s_or_b64 exec, exec, s[4:5]
                                        ; implicit-def: $vgpr54
	s_and_saveexec_b64 s[4:5], s[10:11]
	s_cbranch_execnz .LBB859_206
.LBB859_57:
	s_or_b64 exec, exec, s[4:5]
                                        ; implicit-def: $vgpr55
	s_and_saveexec_b64 s[4:5], s[12:13]
	s_cbranch_execz .LBB859_207
.LBB859_58:
	v_mov_b32_e32 v37, 0
	v_lshl_add_u64 v[56:57], s[70:71], 0, v[36:37]
	flat_load_ushort v55, v[56:57] offset:3072
	s_or_b64 exec, exec, s[4:5]
                                        ; implicit-def: $vgpr37
	s_and_saveexec_b64 s[4:5], s[14:15]
	s_cbranch_execnz .LBB859_208
.LBB859_59:
	s_or_b64 exec, exec, s[4:5]
                                        ; implicit-def: $vgpr15
	s_and_saveexec_b64 s[4:5], s[16:17]
	s_cbranch_execz .LBB859_209
.LBB859_60:
	v_mov_b32_e32 v15, 0
	v_lshl_add_u64 v[14:15], s[70:71], 0, v[14:15]
	flat_load_ushort v15, v[14:15]
	s_or_b64 exec, exec, s[4:5]
                                        ; implicit-def: $vgpr14
	s_and_saveexec_b64 s[4:5], s[18:19]
	s_cbranch_execnz .LBB859_210
.LBB859_61:
	s_or_b64 exec, exec, s[4:5]
                                        ; implicit-def: $vgpr16
	s_and_saveexec_b64 s[4:5], s[20:21]
	s_cbranch_execz .LBB859_211
.LBB859_62:
	v_mov_b32_e32 v19, 0
	v_lshl_add_u64 v[16:17], s[70:71], 0, v[18:19]
	flat_load_ushort v16, v[16:17]
	s_or_b64 exec, exec, s[4:5]
                                        ; implicit-def: $vgpr17
	s_and_saveexec_b64 s[4:5], s[22:23]
	s_cbranch_execnz .LBB859_212
.LBB859_63:
	s_or_b64 exec, exec, s[4:5]
                                        ; implicit-def: $vgpr18
	s_and_saveexec_b64 s[4:5], s[24:25]
	s_cbranch_execz .LBB859_213
.LBB859_64:
	v_mov_b32_e32 v23, 0
	v_lshl_add_u64 v[18:19], s[70:71], 0, v[22:23]
	flat_load_ushort v18, v[18:19]
	s_or_b64 exec, exec, s[4:5]
                                        ; implicit-def: $vgpr19
	s_and_saveexec_b64 s[4:5], s[26:27]
	s_cbranch_execnz .LBB859_214
.LBB859_65:
	s_or_b64 exec, exec, s[4:5]
                                        ; implicit-def: $vgpr20
	s_and_saveexec_b64 s[4:5], s[28:29]
	s_cbranch_execz .LBB859_215
.LBB859_66:
	v_mov_b32_e32 v27, 0
	v_lshl_add_u64 v[20:21], s[70:71], 0, v[26:27]
	flat_load_ushort v20, v[20:21]
	s_or_b64 exec, exec, s[4:5]
                                        ; implicit-def: $vgpr21
	s_and_saveexec_b64 s[4:5], s[30:31]
	s_cbranch_execnz .LBB859_216
.LBB859_67:
	s_or_b64 exec, exec, s[4:5]
                                        ; implicit-def: $vgpr22
	s_and_saveexec_b64 s[4:5], s[34:35]
	s_cbranch_execz .LBB859_217
.LBB859_68:
	v_mov_b32_e32 v31, 0
	v_lshl_add_u64 v[22:23], s[70:71], 0, v[30:31]
	flat_load_ushort v22, v[22:23]
	s_or_b64 exec, exec, s[4:5]
                                        ; implicit-def: $vgpr23
	s_and_saveexec_b64 s[4:5], s[36:37]
	s_cbranch_execnz .LBB859_218
.LBB859_69:
	s_or_b64 exec, exec, s[4:5]
                                        ; implicit-def: $vgpr24
	s_and_saveexec_b64 s[4:5], s[38:39]
	s_cbranch_execz .LBB859_219
.LBB859_70:
	v_mov_b32_e32 v35, 0
	v_lshl_add_u64 v[24:25], s[70:71], 0, v[34:35]
	flat_load_ushort v24, v[24:25]
	s_or_b64 exec, exec, s[4:5]
                                        ; implicit-def: $vgpr25
	s_and_saveexec_b64 s[4:5], s[40:41]
	s_cbranch_execnz .LBB859_220
.LBB859_71:
	s_or_b64 exec, exec, s[4:5]
                                        ; implicit-def: $vgpr27
	s_and_saveexec_b64 s[4:5], s[42:43]
	s_cbranch_execz .LBB859_221
.LBB859_72:
	v_mov_b32_e32 v41, 0
	v_lshl_add_u64 v[26:27], s[70:71], 0, v[40:41]
	flat_load_ushort v27, v[26:27]
	s_or_b64 exec, exec, s[4:5]
                                        ; implicit-def: $vgpr28
	s_and_saveexec_b64 s[4:5], s[44:45]
	s_cbranch_execnz .LBB859_222
.LBB859_73:
	s_or_b64 exec, exec, s[4:5]
                                        ; implicit-def: $vgpr29
	s_and_saveexec_b64 s[4:5], s[46:47]
	s_cbranch_execz .LBB859_75
.LBB859_74:
	v_mov_b32_e32 v45, 0
	v_lshl_add_u64 v[30:31], s[70:71], 0, v[44:45]
	flat_load_ushort v29, v[30:31]
.LBB859_75:
	s_or_b64 exec, exec, s[4:5]
	v_mul_u32_u24_e32 v26, 24, v0
                                        ; implicit-def: $vgpr30
	s_and_saveexec_b64 s[4:5], s[48:49]
	s_cbranch_execz .LBB859_77
; %bb.76:
	v_mov_b32_e32 v47, 0
	v_lshl_add_u64 v[30:31], s[70:71], 0, v[46:47]
	flat_load_ushort v30, v[30:31]
.LBB859_77:
	s_or_b64 exec, exec, s[4:5]
	s_waitcnt vmcnt(0) lgkmcnt(0)
	ds_write_b16 v36, v1
	ds_write_b16 v36, v50 offset:512
	ds_write_b16 v36, v51 offset:1024
	;; [unrolled: 1-line block ×23, first 2 shown]
	v_cmp_gt_u32_e32 vcc, s59, v26
	s_mov_b64 s[4:5], 0
	s_mov_b32 s3, 0
	v_mov_b32_e32 v1, 0
	s_mov_b64 s[10:11], 0
	v_mov_b32_e32 v18, 0
	v_mov_b32_e32 v25, 0
	;; [unrolled: 1-line block ×22, first 2 shown]
	s_waitcnt lgkmcnt(0)
	s_barrier
	s_waitcnt lgkmcnt(0)
                                        ; implicit-def: $sgpr8_sgpr9
                                        ; implicit-def: $vgpr41
	s_and_saveexec_b64 s[6:7], vcc
	s_cbranch_execz .LBB859_125
; %bb.78:
	ds_read_u16 v1, v49
	v_mov_b32_e32 v18, 0
	v_mov_b32_e32 v15, s78
	v_cmp_eq_u16_sdwa vcc, v10, v18 src0_sel:WORD_1 src1_sel:DWORD
	v_cmp_ne_u16_sdwa s[8:9], v10, v18 src0_sel:WORD_1 src1_sel:DWORD
	v_or_b32_e32 v14, 1, v26
	s_waitcnt lgkmcnt(0)
	v_cndmask_b32_e32 v1, v15, v1, vcc
	v_and_b32_e32 v1, 0xffff, v1
	v_cndmask_b32_e64 v10, 0, 1, s[8:9]
	v_lshl_or_b32 v1, v10, 16, v1
	v_cmp_gt_u32_e32 vcc, s59, v14
	v_mov_b32_e32 v25, 0
	v_mov_b32_e32 v19, 0
	;; [unrolled: 1-line block ×21, first 2 shown]
                                        ; implicit-def: $sgpr12_sgpr13
                                        ; implicit-def: $vgpr41
	s_and_saveexec_b64 s[8:9], vcc
	s_cbranch_execz .LBB859_124
; %bb.79:
	ds_read_b128 v[14:17], v49 offset:2
	v_mov_b32_e32 v18, s78
	v_cmp_eq_u16_e32 vcc, 0, v11
	v_or_b32_e32 v10, 2, v26
	s_mov_b64 s[14:15], 0
	s_waitcnt lgkmcnt(0)
	v_cndmask_b32_e32 v18, v18, v14, vcc
	v_cmp_ne_u16_e32 vcc, 0, v11
	v_and_b32_e32 v18, 0xffff, v18
	v_mov_b32_e32 v25, 0
	v_cndmask_b32_e64 v19, 0, 1, vcc
	v_lshl_or_b32 v18, v19, 16, v18
	v_cmp_gt_u32_e32 vcc, s59, v10
	v_mov_b32_e32 v19, 0
	v_mov_b32_e32 v27, 0
	;; [unrolled: 1-line block ×20, first 2 shown]
                                        ; implicit-def: $sgpr12_sgpr13
                                        ; implicit-def: $vgpr41
	s_and_saveexec_b64 s[10:11], vcc
	s_cbranch_execz .LBB859_123
; %bb.80:
	v_mov_b32_e32 v19, 0
	v_lshrrev_b32_e32 v10, 16, v14
	v_mov_b32_e32 v20, s78
	v_cmp_eq_u16_sdwa vcc, v11, v19 src0_sel:WORD_1 src1_sel:DWORD
	v_cmp_ne_u16_sdwa s[12:13], v11, v19 src0_sel:WORD_1 src1_sel:DWORD
	v_or_b32_e32 v14, 3, v26
	v_cndmask_b32_e32 v10, v20, v10, vcc
	v_and_b32_e32 v10, 0xffff, v10
	v_cndmask_b32_e64 v11, 0, 1, s[12:13]
	v_lshl_or_b32 v25, v11, 16, v10
	v_cmp_gt_u32_e32 vcc, s59, v14
	v_mov_b32_e32 v27, 0
	v_mov_b32_e32 v20, 0
	;; [unrolled: 1-line block ×19, first 2 shown]
                                        ; implicit-def: $sgpr16_sgpr17
                                        ; implicit-def: $vgpr41
	s_and_saveexec_b64 s[12:13], vcc
	s_cbranch_execz .LBB859_122
; %bb.81:
	v_mov_b32_e32 v11, s78
	v_cmp_eq_u16_e32 vcc, 0, v12
	v_or_b32_e32 v10, 4, v26
	s_mov_b64 s[18:19], 0
	v_cndmask_b32_e32 v11, v11, v15, vcc
	v_cmp_ne_u16_e32 vcc, 0, v12
	v_and_b32_e32 v11, 0xffff, v11
	v_mov_b32_e32 v27, 0
	v_cndmask_b32_e64 v14, 0, 1, vcc
	v_lshl_or_b32 v19, v14, 16, v11
	v_cmp_gt_u32_e32 vcc, s59, v10
	v_mov_b32_e32 v20, 0
	v_mov_b32_e32 v28, 0
	v_mov_b32_e32 v21, 0
	v_mov_b32_e32 v29, 0
	v_mov_b32_e32 v30, 0
	v_mov_b32_e32 v31, 0
	v_mov_b32_e32 v32, 0
	v_mov_b32_e32 v33, 0
	v_mov_b32_e32 v34, 0
	v_mov_b32_e32 v35, 0
	v_mov_b32_e32 v36, 0
	v_mov_b32_e32 v37, 0
	v_mov_b32_e32 v22, 0
	v_mov_b32_e32 v38, 0
	v_mov_b32_e32 v23, 0
	v_mov_b32_e32 v39, 0
	v_mov_b32_e32 v24, 0
	v_mov_b32_e32 v40, 0
                                        ; implicit-def: $sgpr16_sgpr17
                                        ; implicit-def: $vgpr41
	s_and_saveexec_b64 s[14:15], vcc
	s_cbranch_execz .LBB859_121
; %bb.82:
	v_mov_b32_e32 v20, 0
	v_lshrrev_b32_e32 v10, 16, v15
	v_mov_b32_e32 v14, s78
	v_cmp_eq_u16_sdwa vcc, v12, v20 src0_sel:WORD_1 src1_sel:DWORD
	v_cmp_ne_u16_sdwa s[16:17], v12, v20 src0_sel:WORD_1 src1_sel:DWORD
	v_or_b32_e32 v11, 5, v26
	v_cndmask_b32_e32 v10, v14, v10, vcc
	v_and_b32_e32 v10, 0xffff, v10
	v_cndmask_b32_e64 v12, 0, 1, s[16:17]
	v_lshl_or_b32 v27, v12, 16, v10
	v_cmp_gt_u32_e32 vcc, s59, v11
	v_mov_b32_e32 v28, 0
	v_mov_b32_e32 v21, 0
	;; [unrolled: 1-line block ×17, first 2 shown]
                                        ; implicit-def: $sgpr20_sgpr21
                                        ; implicit-def: $vgpr41
	s_and_saveexec_b64 s[16:17], vcc
	s_cbranch_execz .LBB859_120
; %bb.83:
	v_mov_b32_e32 v11, s78
	v_cmp_eq_u16_e32 vcc, 0, v13
	v_or_b32_e32 v10, 6, v26
	s_mov_b64 s[22:23], 0
	v_cndmask_b32_e32 v11, v11, v16, vcc
	v_cmp_ne_u16_e32 vcc, 0, v13
	v_and_b32_e32 v11, 0xffff, v11
	v_mov_b32_e32 v28, 0
	v_cndmask_b32_e64 v12, 0, 1, vcc
	v_lshl_or_b32 v20, v12, 16, v11
	v_cmp_gt_u32_e32 vcc, s59, v10
	v_mov_b32_e32 v21, 0
	v_mov_b32_e32 v29, 0
	;; [unrolled: 1-line block ×16, first 2 shown]
                                        ; implicit-def: $sgpr20_sgpr21
                                        ; implicit-def: $vgpr41
	s_and_saveexec_b64 s[18:19], vcc
	s_cbranch_execz .LBB859_119
; %bb.84:
	v_mov_b32_e32 v21, 0
	v_lshrrev_b32_e32 v10, 16, v16
	v_mov_b32_e32 v12, s78
	v_cmp_eq_u16_sdwa vcc, v13, v21 src0_sel:WORD_1 src1_sel:DWORD
	v_cmp_ne_u16_sdwa s[20:21], v13, v21 src0_sel:WORD_1 src1_sel:DWORD
	v_or_b32_e32 v11, 7, v26
	v_cndmask_b32_e32 v10, v12, v10, vcc
	v_and_b32_e32 v10, 0xffff, v10
	v_cndmask_b32_e64 v12, 0, 1, s[20:21]
	v_lshl_or_b32 v28, v12, 16, v10
	v_cmp_gt_u32_e32 vcc, s59, v11
	v_mov_b32_e32 v29, 0
	v_mov_b32_e32 v30, 0
	v_mov_b32_e32 v31, 0
	v_mov_b32_e32 v32, 0
	v_mov_b32_e32 v33, 0
	v_mov_b32_e32 v34, 0
	v_mov_b32_e32 v35, 0
	v_mov_b32_e32 v36, 0
	v_mov_b32_e32 v37, 0
	v_mov_b32_e32 v22, 0
	v_mov_b32_e32 v38, 0
	v_mov_b32_e32 v23, 0
	v_mov_b32_e32 v39, 0
	v_mov_b32_e32 v24, 0
	v_mov_b32_e32 v40, 0
                                        ; implicit-def: $sgpr24_sgpr25
                                        ; implicit-def: $vgpr41
	s_and_saveexec_b64 s[20:21], vcc
	s_cbranch_execz .LBB859_118
; %bb.85:
	v_mov_b32_e32 v11, s78
	v_cmp_eq_u16_e32 vcc, 0, v6
	v_add_u32_e32 v10, 8, v26
	s_mov_b64 s[26:27], 0
	v_cndmask_b32_e32 v11, v11, v17, vcc
	v_cmp_ne_u16_e32 vcc, 0, v6
	v_and_b32_e32 v11, 0xffff, v11
	v_mov_b32_e32 v29, 0
	v_cndmask_b32_e64 v12, 0, 1, vcc
	v_lshl_or_b32 v21, v12, 16, v11
	v_cmp_gt_u32_e32 vcc, s59, v10
	v_mov_b32_e32 v30, 0
	v_mov_b32_e32 v31, 0
	v_mov_b32_e32 v32, 0
	v_mov_b32_e32 v33, 0
	v_mov_b32_e32 v34, 0
	v_mov_b32_e32 v35, 0
	v_mov_b32_e32 v36, 0
	v_mov_b32_e32 v37, 0
	v_mov_b32_e32 v22, 0
	v_mov_b32_e32 v38, 0
	v_mov_b32_e32 v23, 0
	v_mov_b32_e32 v39, 0
	v_mov_b32_e32 v24, 0
	v_mov_b32_e32 v40, 0
                                        ; implicit-def: $sgpr24_sgpr25
                                        ; implicit-def: $vgpr41
	s_and_saveexec_b64 s[22:23], vcc
	s_cbranch_execz .LBB859_117
; %bb.86:
	v_mov_b32_e32 v30, 0
	v_lshrrev_b32_e32 v10, 16, v17
	v_mov_b32_e32 v12, s78
	v_cmp_eq_u16_sdwa vcc, v6, v30 src0_sel:WORD_1 src1_sel:DWORD
	v_cmp_ne_u16_sdwa s[24:25], v6, v30 src0_sel:WORD_1 src1_sel:DWORD
	v_add_u32_e32 v11, 9, v26
	v_cndmask_b32_e32 v10, v12, v10, vcc
	v_and_b32_e32 v10, 0xffff, v10
	v_cndmask_b32_e64 v6, 0, 1, s[24:25]
	v_lshl_or_b32 v29, v6, 16, v10
	v_cmp_gt_u32_e32 vcc, s59, v11
	v_mov_b32_e32 v31, 0
	v_mov_b32_e32 v32, 0
	;; [unrolled: 1-line block ×13, first 2 shown]
                                        ; implicit-def: $sgpr28_sgpr29
                                        ; implicit-def: $vgpr41
	s_and_saveexec_b64 s[24:25], vcc
	s_cbranch_execz .LBB859_116
; %bb.87:
	ds_read_b128 v[10:13], v49 offset:18
	v_mov_b32_e32 v14, s78
	v_cmp_eq_u16_e32 vcc, 0, v7
	v_add_u32_e32 v6, 10, v26
	s_mov_b64 s[30:31], 0
	s_waitcnt lgkmcnt(0)
	v_cndmask_b32_e32 v14, v14, v10, vcc
	v_cmp_ne_u16_e32 vcc, 0, v7
	v_and_b32_e32 v14, 0xffff, v14
	v_mov_b32_e32 v31, 0
	v_cndmask_b32_e64 v15, 0, 1, vcc
	v_lshl_or_b32 v30, v15, 16, v14
	v_cmp_gt_u32_e32 vcc, s59, v6
	v_mov_b32_e32 v32, 0
	v_mov_b32_e32 v33, 0
	;; [unrolled: 1-line block ×12, first 2 shown]
                                        ; implicit-def: $sgpr28_sgpr29
                                        ; implicit-def: $vgpr41
	s_and_saveexec_b64 s[26:27], vcc
	s_cbranch_execz .LBB859_115
; %bb.88:
	v_mov_b32_e32 v32, 0
	v_lshrrev_b32_e32 v6, 16, v10
	v_mov_b32_e32 v14, s78
	v_cmp_eq_u16_sdwa vcc, v7, v32 src0_sel:WORD_1 src1_sel:DWORD
	v_cmp_ne_u16_sdwa s[28:29], v7, v32 src0_sel:WORD_1 src1_sel:DWORD
	v_add_u32_e32 v10, 11, v26
	v_cndmask_b32_e32 v6, v14, v6, vcc
	v_and_b32_e32 v6, 0xffff, v6
	v_cndmask_b32_e64 v7, 0, 1, s[28:29]
	v_lshl_or_b32 v31, v7, 16, v6
	v_cmp_gt_u32_e32 vcc, s59, v10
	v_mov_b32_e32 v33, 0
	v_mov_b32_e32 v34, 0
	;; [unrolled: 1-line block ×11, first 2 shown]
                                        ; implicit-def: $sgpr34_sgpr35
                                        ; implicit-def: $vgpr41
	s_and_saveexec_b64 s[28:29], vcc
	s_cbranch_execz .LBB859_114
; %bb.89:
	v_mov_b32_e32 v7, s78
	v_cmp_eq_u16_e32 vcc, 0, v8
	v_add_u32_e32 v6, 12, v26
	s_mov_b64 s[36:37], 0
	v_cndmask_b32_e32 v7, v7, v11, vcc
	v_cmp_ne_u16_e32 vcc, 0, v8
	v_and_b32_e32 v7, 0xffff, v7
	v_mov_b32_e32 v33, 0
	v_cndmask_b32_e64 v10, 0, 1, vcc
	v_lshl_or_b32 v32, v10, 16, v7
	v_cmp_gt_u32_e32 vcc, s59, v6
	v_mov_b32_e32 v34, 0
	v_mov_b32_e32 v35, 0
	;; [unrolled: 1-line block ×10, first 2 shown]
                                        ; implicit-def: $sgpr34_sgpr35
                                        ; implicit-def: $vgpr41
	s_and_saveexec_b64 s[30:31], vcc
	s_cbranch_execz .LBB859_113
; %bb.90:
	v_mov_b32_e32 v34, 0
	v_lshrrev_b32_e32 v6, 16, v11
	v_mov_b32_e32 v10, s78
	v_cmp_eq_u16_sdwa vcc, v8, v34 src0_sel:WORD_1 src1_sel:DWORD
	v_cmp_ne_u16_sdwa s[34:35], v8, v34 src0_sel:WORD_1 src1_sel:DWORD
	v_add_u32_e32 v7, 13, v26
	v_cndmask_b32_e32 v6, v10, v6, vcc
	v_and_b32_e32 v6, 0xffff, v6
	v_cndmask_b32_e64 v8, 0, 1, s[34:35]
	v_lshl_or_b32 v33, v8, 16, v6
	v_cmp_gt_u32_e32 vcc, s59, v7
	v_mov_b32_e32 v35, 0
	v_mov_b32_e32 v36, 0
	;; [unrolled: 1-line block ×9, first 2 shown]
                                        ; implicit-def: $sgpr38_sgpr39
                                        ; implicit-def: $vgpr41
	s_and_saveexec_b64 s[34:35], vcc
	s_cbranch_execz .LBB859_112
; %bb.91:
	v_mov_b32_e32 v7, s78
	v_cmp_eq_u16_e32 vcc, 0, v9
	v_add_u32_e32 v6, 14, v26
	s_mov_b64 s[40:41], 0
	v_cndmask_b32_e32 v7, v7, v12, vcc
	v_cmp_ne_u16_e32 vcc, 0, v9
	v_and_b32_e32 v7, 0xffff, v7
	v_mov_b32_e32 v35, 0
	v_cndmask_b32_e64 v8, 0, 1, vcc
	v_lshl_or_b32 v34, v8, 16, v7
	v_cmp_gt_u32_e32 vcc, s59, v6
	v_mov_b32_e32 v36, 0
	v_mov_b32_e32 v37, 0
	;; [unrolled: 1-line block ×8, first 2 shown]
                                        ; implicit-def: $sgpr38_sgpr39
                                        ; implicit-def: $vgpr41
	s_and_saveexec_b64 s[36:37], vcc
	s_cbranch_execz .LBB859_111
; %bb.92:
	v_mov_b32_e32 v36, 0
	v_lshrrev_b32_e32 v6, 16, v12
	v_mov_b32_e32 v8, s78
	v_cmp_eq_u16_sdwa vcc, v9, v36 src0_sel:WORD_1 src1_sel:DWORD
	v_cmp_ne_u16_sdwa s[38:39], v9, v36 src0_sel:WORD_1 src1_sel:DWORD
	v_add_u32_e32 v7, 15, v26
	v_cndmask_b32_e32 v6, v8, v6, vcc
	v_and_b32_e32 v6, 0xffff, v6
	v_cndmask_b32_e64 v8, 0, 1, s[38:39]
	v_lshl_or_b32 v35, v8, 16, v6
	v_cmp_gt_u32_e32 vcc, s59, v7
	v_mov_b32_e32 v37, 0
	v_mov_b32_e32 v22, 0
	;; [unrolled: 1-line block ×7, first 2 shown]
                                        ; implicit-def: $sgpr42_sgpr43
                                        ; implicit-def: $vgpr41
	s_and_saveexec_b64 s[38:39], vcc
	s_cbranch_execz .LBB859_110
; %bb.93:
	v_mov_b32_e32 v7, s78
	v_cmp_eq_u16_e32 vcc, 0, v2
	v_add_u32_e32 v6, 16, v26
	s_mov_b64 s[44:45], 0
	v_cndmask_b32_e32 v7, v7, v13, vcc
	v_cmp_ne_u16_e32 vcc, 0, v2
	v_and_b32_e32 v7, 0xffff, v7
	v_mov_b32_e32 v37, 0
	v_cndmask_b32_e64 v8, 0, 1, vcc
	v_lshl_or_b32 v36, v8, 16, v7
	v_cmp_gt_u32_e32 vcc, s59, v6
	v_mov_b32_e32 v22, 0
	v_mov_b32_e32 v38, 0
	;; [unrolled: 1-line block ×6, first 2 shown]
                                        ; implicit-def: $sgpr42_sgpr43
                                        ; implicit-def: $vgpr41
	s_and_saveexec_b64 s[40:41], vcc
	s_cbranch_execz .LBB859_109
; %bb.94:
	v_mov_b32_e32 v22, 0
	v_lshrrev_b32_e32 v6, 16, v13
	v_mov_b32_e32 v8, s78
	v_cmp_eq_u16_sdwa vcc, v2, v22 src0_sel:WORD_1 src1_sel:DWORD
	v_cmp_ne_u16_sdwa s[42:43], v2, v22 src0_sel:WORD_1 src1_sel:DWORD
	v_add_u32_e32 v7, 17, v26
	v_cndmask_b32_e32 v6, v8, v6, vcc
	v_and_b32_e32 v6, 0xffff, v6
	v_cndmask_b32_e64 v2, 0, 1, s[42:43]
	v_lshl_or_b32 v37, v2, 16, v6
	v_cmp_gt_u32_e32 vcc, s59, v7
	v_mov_b32_e32 v38, 0
	v_mov_b32_e32 v23, 0
	;; [unrolled: 1-line block ×5, first 2 shown]
                                        ; implicit-def: $sgpr46_sgpr47
                                        ; implicit-def: $vgpr41
	s_and_saveexec_b64 s[42:43], vcc
	s_cbranch_execz .LBB859_108
; %bb.95:
	ds_read_b96 v[6:8], v49 offset:34
	v_mov_b32_e32 v9, s78
	v_cmp_eq_u16_e32 vcc, 0, v3
	v_add_u32_e32 v2, 18, v26
	s_mov_b64 s[48:49], 0
	s_waitcnt lgkmcnt(0)
	v_cndmask_b32_e32 v9, v9, v6, vcc
	v_cmp_ne_u16_e32 vcc, 0, v3
	v_and_b32_e32 v9, 0xffff, v9
	v_mov_b32_e32 v38, 0
	v_cndmask_b32_e64 v10, 0, 1, vcc
	v_lshl_or_b32 v22, v10, 16, v9
	v_cmp_gt_u32_e32 vcc, s59, v2
	v_mov_b32_e32 v23, 0
	v_mov_b32_e32 v39, 0
	;; [unrolled: 1-line block ×4, first 2 shown]
                                        ; implicit-def: $sgpr46_sgpr47
                                        ; implicit-def: $vgpr41
	s_and_saveexec_b64 s[44:45], vcc
	s_cbranch_execz .LBB859_107
; %bb.96:
	v_mov_b32_e32 v23, 0
	v_lshrrev_b32_e32 v2, 16, v6
	v_mov_b32_e32 v9, s78
	v_cmp_eq_u16_sdwa vcc, v3, v23 src0_sel:WORD_1 src1_sel:DWORD
	v_cmp_ne_u16_sdwa s[46:47], v3, v23 src0_sel:WORD_1 src1_sel:DWORD
	v_add_u32_e32 v6, 19, v26
	v_cndmask_b32_e32 v2, v9, v2, vcc
	v_and_b32_e32 v2, 0xffff, v2
	v_cndmask_b32_e64 v3, 0, 1, s[46:47]
	v_lshl_or_b32 v38, v3, 16, v2
	v_cmp_gt_u32_e32 vcc, s59, v6
	v_mov_b32_e32 v39, 0
	v_mov_b32_e32 v24, 0
	;; [unrolled: 1-line block ×3, first 2 shown]
                                        ; implicit-def: $sgpr50_sgpr51
                                        ; implicit-def: $vgpr41
	s_and_saveexec_b64 s[46:47], vcc
	s_cbranch_execz .LBB859_106
; %bb.97:
	v_mov_b32_e32 v3, s78
	v_cmp_eq_u16_e32 vcc, 0, v4
	v_add_u32_e32 v2, 20, v26
	s_mov_b64 s[52:53], 0
	v_cndmask_b32_e32 v3, v3, v7, vcc
	v_cmp_ne_u16_e32 vcc, 0, v4
	v_and_b32_e32 v3, 0xffff, v3
	v_mov_b32_e32 v39, 0
	v_cndmask_b32_e64 v6, 0, 1, vcc
	v_lshl_or_b32 v23, v6, 16, v3
	v_cmp_gt_u32_e32 vcc, s59, v2
	v_mov_b32_e32 v24, 0
	v_mov_b32_e32 v40, 0
                                        ; implicit-def: $sgpr50_sgpr51
                                        ; implicit-def: $vgpr41
	s_and_saveexec_b64 s[48:49], vcc
	s_cbranch_execz .LBB859_105
; %bb.98:
	v_mov_b32_e32 v24, 0
	v_lshrrev_b32_e32 v2, 16, v7
	v_mov_b32_e32 v6, s78
	v_cmp_eq_u16_sdwa vcc, v4, v24 src0_sel:WORD_1 src1_sel:DWORD
	v_cmp_ne_u16_sdwa s[50:51], v4, v24 src0_sel:WORD_1 src1_sel:DWORD
	v_add_u32_e32 v3, 21, v26
	v_cndmask_b32_e32 v2, v6, v2, vcc
	v_and_b32_e32 v2, 0xffff, v2
	v_cndmask_b32_e64 v4, 0, 1, s[50:51]
	v_lshl_or_b32 v39, v4, 16, v2
	v_cmp_gt_u32_e32 vcc, s59, v3
	v_mov_b32_e32 v40, 0
                                        ; implicit-def: $sgpr60_sgpr61
                                        ; implicit-def: $vgpr41
	s_and_saveexec_b64 s[50:51], vcc
	s_cbranch_execz .LBB859_104
; %bb.99:
	v_mov_b32_e32 v3, s78
	v_cmp_eq_u16_e32 vcc, 0, v5
	v_add_u32_e32 v2, 22, v26
	s_mov_b64 s[74:75], 0
	v_cndmask_b32_e32 v3, v3, v8, vcc
	v_cmp_ne_u16_e32 vcc, 0, v5
	v_and_b32_e32 v3, 0xffff, v3
	v_mov_b32_e32 v40, 0
	v_cndmask_b32_e64 v4, 0, 1, vcc
	v_lshl_or_b32 v24, v4, 16, v3
	v_cmp_gt_u32_e32 vcc, s59, v2
                                        ; implicit-def: $sgpr76_sgpr77
                                        ; implicit-def: $vgpr41
	s_and_saveexec_b64 s[52:53], vcc
	s_cbranch_execz .LBB859_103
; %bb.100:
	v_mov_b32_e32 v3, 0
	v_lshrrev_b32_e32 v2, 16, v8
	v_mov_b32_e32 v6, s78
	v_cmp_eq_u16_sdwa vcc, v5, v3 src0_sel:WORD_1 src1_sel:DWORD
	v_cmp_ne_u16_sdwa s[60:61], v5, v3 src0_sel:WORD_1 src1_sel:DWORD
	v_add_u32_e32 v4, 23, v26
	v_cndmask_b32_e32 v2, v6, v2, vcc
	v_and_b32_e32 v2, 0xffff, v2
	v_cndmask_b32_e64 v3, 0, 1, s[60:61]
	v_lshl_or_b32 v40, v3, 16, v2
	v_cmp_gt_u32_e32 vcc, s59, v4
	s_mov_b64 s[60:61], 0
                                        ; implicit-def: $sgpr74_sgpr75
                                        ; implicit-def: $vgpr41
	s_and_saveexec_b64 s[76:77], vcc
	s_xor_b64 s[76:77], exec, s[76:77]
	s_cbranch_execz .LBB859_102
; %bb.101:
	ds_read_u16 v2, v49 offset:46
	v_mov_b32_e32 v3, s78
	v_cmp_ne_u16_e32 vcc, 0, v48
	s_mov_b64 s[60:61], exec
	s_and_b64 s[74:75], vcc, exec
	s_waitcnt lgkmcnt(0)
	v_cndmask_b32_e32 v41, v2, v3, vcc
.LBB859_102:
	s_or_b64 exec, exec, s[76:77]
	s_and_b64 s[76:77], s[74:75], exec
	s_and_b64 s[74:75], s[60:61], exec
.LBB859_103:
	s_or_b64 exec, exec, s[52:53]
	s_and_b64 s[60:61], s[76:77], exec
	s_and_b64 s[52:53], s[74:75], exec
.LBB859_104:
	s_or_b64 exec, exec, s[50:51]
	s_and_b64 s[50:51], s[60:61], exec
	s_and_b64 s[52:53], s[52:53], exec
.LBB859_105:
	s_or_b64 exec, exec, s[48:49]
	s_and_b64 s[50:51], s[50:51], exec
	s_and_b64 s[48:49], s[52:53], exec
.LBB859_106:
	s_or_b64 exec, exec, s[46:47]
	s_and_b64 s[46:47], s[50:51], exec
	s_and_b64 s[48:49], s[48:49], exec
.LBB859_107:
	s_or_b64 exec, exec, s[44:45]
	s_and_b64 s[46:47], s[46:47], exec
	s_and_b64 s[44:45], s[48:49], exec
.LBB859_108:
	s_or_b64 exec, exec, s[42:43]
	s_and_b64 s[42:43], s[46:47], exec
	s_and_b64 s[44:45], s[44:45], exec
.LBB859_109:
	s_or_b64 exec, exec, s[40:41]
	s_and_b64 s[42:43], s[42:43], exec
	s_and_b64 s[40:41], s[44:45], exec
.LBB859_110:
	s_or_b64 exec, exec, s[38:39]
	s_and_b64 s[38:39], s[42:43], exec
	s_and_b64 s[40:41], s[40:41], exec
.LBB859_111:
	s_or_b64 exec, exec, s[36:37]
	s_and_b64 s[38:39], s[38:39], exec
	s_and_b64 s[36:37], s[40:41], exec
.LBB859_112:
	s_or_b64 exec, exec, s[34:35]
	s_and_b64 s[34:35], s[38:39], exec
	s_and_b64 s[36:37], s[36:37], exec
.LBB859_113:
	s_or_b64 exec, exec, s[30:31]
	s_and_b64 s[34:35], s[34:35], exec
	s_and_b64 s[30:31], s[36:37], exec
.LBB859_114:
	s_or_b64 exec, exec, s[28:29]
	s_and_b64 s[28:29], s[34:35], exec
	s_and_b64 s[30:31], s[30:31], exec
.LBB859_115:
	s_or_b64 exec, exec, s[26:27]
	s_and_b64 s[28:29], s[28:29], exec
	s_and_b64 s[26:27], s[30:31], exec
.LBB859_116:
	s_or_b64 exec, exec, s[24:25]
	s_and_b64 s[24:25], s[28:29], exec
	s_and_b64 s[26:27], s[26:27], exec
.LBB859_117:
	s_or_b64 exec, exec, s[22:23]
	s_and_b64 s[24:25], s[24:25], exec
	s_and_b64 s[22:23], s[26:27], exec
.LBB859_118:
	s_or_b64 exec, exec, s[20:21]
	s_and_b64 s[20:21], s[24:25], exec
	s_and_b64 s[22:23], s[22:23], exec
.LBB859_119:
	s_or_b64 exec, exec, s[18:19]
	s_and_b64 s[20:21], s[20:21], exec
	s_and_b64 s[18:19], s[22:23], exec
.LBB859_120:
	s_or_b64 exec, exec, s[16:17]
	s_and_b64 s[16:17], s[20:21], exec
	s_and_b64 s[18:19], s[18:19], exec
.LBB859_121:
	s_or_b64 exec, exec, s[14:15]
	s_and_b64 s[16:17], s[16:17], exec
	s_and_b64 s[14:15], s[18:19], exec
.LBB859_122:
	s_or_b64 exec, exec, s[12:13]
	s_and_b64 s[12:13], s[16:17], exec
	s_and_b64 s[14:15], s[14:15], exec
.LBB859_123:
	s_or_b64 exec, exec, s[10:11]
	s_and_b64 s[12:13], s[12:13], exec
	s_and_b64 s[10:11], s[14:15], exec
.LBB859_124:
	s_or_b64 exec, exec, s[8:9]
	s_and_b64 s[8:9], s[12:13], exec
	s_and_b64 s[10:11], s[10:11], exec
.LBB859_125:
	s_or_b64 exec, exec, s[6:7]
	s_and_b64 vcc, exec, s[4:5]
	v_lshlrev_b32_e32 v26, 1, v0
	s_cbranch_vccnz .LBB859_127
	s_branch .LBB859_132
.LBB859_126:
	s_mov_b64 s[10:11], 0
                                        ; implicit-def: $sgpr8_sgpr9
                                        ; implicit-def: $vgpr41
                                        ; implicit-def: $vgpr1
                                        ; implicit-def: $vgpr18
                                        ; implicit-def: $vgpr25
                                        ; implicit-def: $vgpr19
                                        ; implicit-def: $vgpr27
                                        ; implicit-def: $vgpr20
                                        ; implicit-def: $vgpr28
                                        ; implicit-def: $vgpr21
                                        ; implicit-def: $vgpr29
                                        ; implicit-def: $vgpr30
                                        ; implicit-def: $vgpr31
                                        ; implicit-def: $vgpr32
                                        ; implicit-def: $vgpr33
                                        ; implicit-def: $vgpr34
                                        ; implicit-def: $vgpr35
                                        ; implicit-def: $vgpr36
                                        ; implicit-def: $vgpr37
                                        ; implicit-def: $vgpr22
                                        ; implicit-def: $vgpr38
                                        ; implicit-def: $vgpr23
                                        ; implicit-def: $vgpr39
                                        ; implicit-def: $vgpr24
                                        ; implicit-def: $vgpr40
                                        ; implicit-def: $sgpr3
	s_and_b64 vcc, exec, s[4:5]
	v_lshlrev_b32_e32 v26, 1, v0
	s_cbranch_vccz .LBB859_132
.LBB859_127:
	v_mov_b32_e32 v27, 0
	v_lshl_add_u64 v[2:3], s[72:73], 0, v[26:27]
	v_add_co_u32_e32 v4, vcc, 0x1000, v2
	flat_load_ushort v1, v[2:3]
	flat_load_ushort v6, v[2:3] offset:512
	flat_load_ushort v7, v[2:3] offset:1024
	;; [unrolled: 1-line block ×7, first 2 shown]
	v_addc_co_u32_e32 v5, vcc, 0, v3, vcc
	v_add_co_u32_e32 v2, vcc, 0x2000, v2
	flat_load_ushort v13, v[4:5]
	flat_load_ushort v14, v[4:5] offset:512
	flat_load_ushort v15, v[4:5] offset:1024
	;; [unrolled: 1-line block ×7, first 2 shown]
	v_addc_co_u32_e32 v3, vcc, 0, v3, vcc
	flat_load_ushort v4, v[2:3]
	flat_load_ushort v5, v[2:3] offset:512
	flat_load_ushort v21, v[2:3] offset:1024
	;; [unrolled: 1-line block ×7, first 2 shown]
	v_mov_b32_e32 v2, s72
	v_mov_b32_e32 v3, s73
	v_add_co_u32_e32 v2, vcc, 0x3000, v2
	s_movk_i32 s4, 0xffd2
	s_nop 0
	v_addc_co_u32_e32 v3, vcc, 0, v3, vcc
	s_movk_i32 s6, 0x1000
	s_movk_i32 s3, 0x2000
	s_waitcnt vmcnt(0) lgkmcnt(0)
	ds_write_b16 v26, v1
	ds_write_b16 v26, v6 offset:512
	ds_write_b16 v26, v7 offset:1024
	;; [unrolled: 1-line block ×23, first 2 shown]
	s_waitcnt lgkmcnt(0)
	s_barrier
	flat_load_ushort v41, v[2:3]
	v_mad_u32_u24 v1, v0, 46, v26
	ds_read_b128 v[10:13], v1
	ds_read_b128 v[6:9], v1 offset:16
	ds_read_b128 v[2:5], v1 offset:32
	v_mad_i32_i24 v14, v0, s4, v1
	s_movk_i32 s4, 0xff
	v_cmp_ne_u32_e32 vcc, s4, v0
	s_waitcnt lgkmcnt(0)
	ds_write_b16 v14, v10 offset:12800
	s_waitcnt lgkmcnt(0)
	s_barrier
	s_and_saveexec_b64 s[4:5], vcc
	s_cbranch_execz .LBB859_129
; %bb.128:
	s_waitcnt vmcnt(0)
	ds_read_u16 v41, v26 offset:12802
.LBB859_129:
	s_or_b64 exec, exec, s[4:5]
	v_lshl_add_u64 v[14:15], s[70:71], 0, v[26:27]
	v_add_co_u32_e32 v16, vcc, s6, v14
	s_waitcnt lgkmcnt(0)
	s_nop 0
	v_addc_co_u32_e32 v17, vcc, 0, v15, vcc
	s_barrier
	flat_load_ushort v18, v[14:15]
	flat_load_ushort v19, v[14:15] offset:512
	flat_load_ushort v20, v[14:15] offset:1024
	;; [unrolled: 1-line block ×7, first 2 shown]
	v_add_co_u32_e32 v14, vcc, s3, v14
	flat_load_ushort v28, v[16:17]
	flat_load_ushort v29, v[16:17] offset:512
	flat_load_ushort v30, v[16:17] offset:1024
	;; [unrolled: 1-line block ×7, first 2 shown]
	v_addc_co_u32_e32 v15, vcc, 0, v15, vcc
	flat_load_ushort v16, v[14:15]
	flat_load_ushort v17, v[14:15] offset:512
	flat_load_ushort v36, v[14:15] offset:1024
	;; [unrolled: 1-line block ×7, first 2 shown]
	v_cmp_eq_u16_sdwa s[6:7], v10, v27 src0_sel:WORD_1 src1_sel:DWORD
	v_mov_b32_e32 v10, 0x10000
	s_waitcnt vmcnt(0) lgkmcnt(0)
	ds_write_b16 v26, v18
	ds_write_b16 v26, v19 offset:512
	ds_write_b16 v26, v20 offset:1024
	;; [unrolled: 1-line block ×23, first 2 shown]
	s_waitcnt lgkmcnt(0)
	s_barrier
	ds_read_b128 v[18:21], v1 offset:2
	ds_read_b128 v[14:17], v1 offset:18
	ds_read_b96 v[22:24], v1 offset:34
	ds_read_u16 v42, v1 offset:46
	v_mov_b32_e32 v25, s78
	s_and_saveexec_b64 s[4:5], s[6:7]
	s_cbranch_execz .LBB859_131
; %bb.130:
	ds_read_u16 v25, v1
	v_mov_b32_e32 v10, v27
.LBB859_131:
	s_or_b64 exec, exec, s[4:5]
	s_waitcnt lgkmcnt(0)
	v_or_b32_sdwa v1, v10, v25 dst_sel:DWORD dst_unused:UNUSED_PAD src0_sel:DWORD src1_sel:WORD_0
	v_mov_b32_e32 v10, s78
	v_cmp_eq_u16_e32 vcc, 0, v11
	v_lshrrev_b32_e32 v27, 16, v18
	v_mov_b32_e32 v43, 0
	v_cndmask_b32_e32 v18, v10, v18, vcc
	v_cmp_ne_u16_e32 vcc, 0, v11
	v_and_b32_e32 v18, 0xffff, v18
	v_cmp_ne_u16_sdwa s[4:5], v11, v43 src0_sel:WORD_1 src1_sel:DWORD
	v_cndmask_b32_e64 v25, 0, 1, vcc
	v_cmp_eq_u16_sdwa vcc, v11, v43 src0_sel:WORD_1 src1_sel:DWORD
	v_lshl_or_b32 v18, v25, 16, v18
	v_cndmask_b32_e64 v11, 0, 1, s[4:5]
	v_cndmask_b32_e32 v25, v10, v27, vcc
	v_and_b32_e32 v25, 0xffff, v25
	v_cmp_eq_u16_e32 vcc, 0, v12
	v_lshl_or_b32 v25, v11, 16, v25
	v_lshrrev_b32_e32 v28, 16, v19
	v_cndmask_b32_e32 v11, v10, v19, vcc
	v_cmp_ne_u16_e32 vcc, 0, v12
	v_and_b32_e32 v11, 0xffff, v11
	v_cmp_ne_u16_sdwa s[4:5], v12, v43 src0_sel:WORD_1 src1_sel:DWORD
	v_cndmask_b32_e64 v19, 0, 1, vcc
	v_cmp_eq_u16_sdwa vcc, v12, v43 src0_sel:WORD_1 src1_sel:DWORD
	v_lshl_or_b32 v19, v19, 16, v11
	v_cndmask_b32_e64 v12, 0, 1, s[4:5]
	v_cndmask_b32_e32 v11, v10, v28, vcc
	v_and_b32_e32 v11, 0xffff, v11
	v_cmp_eq_u16_e32 vcc, 0, v13
	v_lshl_or_b32 v27, v12, 16, v11
	v_lshrrev_b32_e32 v29, 16, v20
	v_cndmask_b32_e32 v11, v10, v20, vcc
	v_cmp_ne_u16_e32 vcc, 0, v13
	v_and_b32_e32 v11, 0xffff, v11
	v_cmp_ne_u16_sdwa s[4:5], v13, v43 src0_sel:WORD_1 src1_sel:DWORD
	v_cndmask_b32_e64 v12, 0, 1, vcc
	v_cmp_eq_u16_sdwa vcc, v13, v43 src0_sel:WORD_1 src1_sel:DWORD
	v_lshl_or_b32 v20, v12, 16, v11
	v_cndmask_b32_e64 v12, 0, 1, s[4:5]
	v_cndmask_b32_e32 v11, v10, v29, vcc
	v_and_b32_e32 v11, 0xffff, v11
	v_cmp_eq_u16_e32 vcc, 0, v6
	v_lshl_or_b32 v28, v12, 16, v11
	v_lshrrev_b32_e32 v30, 16, v21
	v_cndmask_b32_e32 v11, v10, v21, vcc
	v_cmp_ne_u16_e32 vcc, 0, v6
	v_and_b32_e32 v11, 0xffff, v11
	v_cmp_ne_u16_sdwa s[4:5], v6, v43 src0_sel:WORD_1 src1_sel:DWORD
	v_cndmask_b32_e64 v12, 0, 1, vcc
	v_cmp_eq_u16_sdwa vcc, v6, v43 src0_sel:WORD_1 src1_sel:DWORD
	v_lshl_or_b32 v21, v12, 16, v11
	v_cndmask_b32_e64 v6, 0, 1, s[4:5]
	v_cndmask_b32_e32 v11, v10, v30, vcc
	v_and_b32_e32 v11, 0xffff, v11
	v_cmp_eq_u16_e32 vcc, 0, v7
	v_lshl_or_b32 v29, v6, 16, v11
	v_lshrrev_b32_e32 v31, 16, v14
	v_cndmask_b32_e32 v6, v10, v14, vcc
	v_cmp_ne_u16_e32 vcc, 0, v7
	v_and_b32_e32 v6, 0xffff, v6
	v_cmp_ne_u16_sdwa s[4:5], v7, v43 src0_sel:WORD_1 src1_sel:DWORD
	v_cndmask_b32_e64 v11, 0, 1, vcc
	v_cmp_eq_u16_sdwa vcc, v7, v43 src0_sel:WORD_1 src1_sel:DWORD
	v_lshl_or_b32 v30, v11, 16, v6
	v_cndmask_b32_e64 v7, 0, 1, s[4:5]
	v_cndmask_b32_e32 v6, v10, v31, vcc
	v_and_b32_e32 v6, 0xffff, v6
	v_cmp_eq_u16_e32 vcc, 0, v8
	v_lshl_or_b32 v31, v7, 16, v6
	v_lshrrev_b32_e32 v33, 16, v15
	v_cndmask_b32_e32 v6, v10, v15, vcc
	v_cmp_ne_u16_e32 vcc, 0, v8
	v_and_b32_e32 v6, 0xffff, v6
	v_cmp_ne_u16_sdwa s[4:5], v8, v43 src0_sel:WORD_1 src1_sel:DWORD
	v_cndmask_b32_e64 v7, 0, 1, vcc
	v_cmp_eq_u16_sdwa vcc, v8, v43 src0_sel:WORD_1 src1_sel:DWORD
	v_lshl_or_b32 v32, v7, 16, v6
	v_cndmask_b32_e64 v7, 0, 1, s[4:5]
	v_cndmask_b32_e32 v6, v10, v33, vcc
	v_and_b32_e32 v6, 0xffff, v6
	v_cmp_eq_u16_e32 vcc, 0, v9
	v_lshl_or_b32 v33, v7, 16, v6
	v_lshrrev_b32_e32 v35, 16, v16
	v_cndmask_b32_e32 v6, v10, v16, vcc
	v_cmp_ne_u16_e32 vcc, 0, v9
	v_and_b32_e32 v6, 0xffff, v6
	v_cmp_ne_u16_sdwa s[4:5], v9, v43 src0_sel:WORD_1 src1_sel:DWORD
	v_cndmask_b32_e64 v7, 0, 1, vcc
	v_cmp_eq_u16_sdwa vcc, v9, v43 src0_sel:WORD_1 src1_sel:DWORD
	v_lshl_or_b32 v34, v7, 16, v6
	v_cndmask_b32_e64 v7, 0, 1, s[4:5]
	v_cndmask_b32_e32 v6, v10, v35, vcc
	v_and_b32_e32 v6, 0xffff, v6
	v_cmp_eq_u16_e32 vcc, 0, v2
	v_lshl_or_b32 v35, v7, 16, v6
	v_lshrrev_b32_e32 v37, 16, v17
	v_cndmask_b32_e32 v6, v10, v17, vcc
	v_cmp_ne_u16_e32 vcc, 0, v2
	v_and_b32_e32 v6, 0xffff, v6
	v_cmp_ne_u16_sdwa s[4:5], v2, v43 src0_sel:WORD_1 src1_sel:DWORD
	v_cndmask_b32_e64 v7, 0, 1, vcc
	v_cmp_eq_u16_sdwa vcc, v2, v43 src0_sel:WORD_1 src1_sel:DWORD
	v_lshl_or_b32 v36, v7, 16, v6
	v_cndmask_b32_e64 v2, 0, 1, s[4:5]
	v_cndmask_b32_e32 v6, v10, v37, vcc
	v_and_b32_e32 v6, 0xffff, v6
	v_cmp_eq_u16_e32 vcc, 0, v3
	v_lshl_or_b32 v37, v2, 16, v6
	v_lshrrev_b32_e32 v38, 16, v22
	v_cndmask_b32_e32 v2, v10, v22, vcc
	v_cmp_ne_u16_e32 vcc, 0, v3
	v_and_b32_e32 v2, 0xffff, v2
	v_cmp_ne_u16_sdwa s[4:5], v3, v43 src0_sel:WORD_1 src1_sel:DWORD
	v_cndmask_b32_e64 v6, 0, 1, vcc
	v_cmp_eq_u16_sdwa vcc, v3, v43 src0_sel:WORD_1 src1_sel:DWORD
	v_lshl_or_b32 v22, v6, 16, v2
	v_cndmask_b32_e64 v3, 0, 1, s[4:5]
	v_cndmask_b32_e32 v2, v10, v38, vcc
	v_and_b32_e32 v2, 0xffff, v2
	v_cmp_eq_u16_e32 vcc, 0, v4
	v_lshl_or_b32 v38, v3, 16, v2
	v_lshrrev_b32_e32 v39, 16, v23
	v_cndmask_b32_e32 v2, v10, v23, vcc
	v_cmp_ne_u16_e32 vcc, 0, v4
	v_and_b32_e32 v2, 0xffff, v2
	v_cmp_ne_u16_sdwa s[4:5], v4, v43 src0_sel:WORD_1 src1_sel:DWORD
	v_cndmask_b32_e64 v3, 0, 1, vcc
	v_cmp_eq_u16_sdwa vcc, v4, v43 src0_sel:WORD_1 src1_sel:DWORD
	v_lshl_or_b32 v23, v3, 16, v2
	v_cndmask_b32_e64 v3, 0, 1, s[4:5]
	v_cndmask_b32_e32 v2, v10, v39, vcc
	v_and_b32_e32 v2, 0xffff, v2
	v_cmp_eq_u16_e32 vcc, 0, v5
	v_lshl_or_b32 v39, v3, 16, v2
	v_lshrrev_b32_e32 v40, 16, v24
	v_cndmask_b32_e32 v2, v10, v24, vcc
	v_cmp_ne_u16_e32 vcc, 0, v5
	v_and_b32_e32 v2, 0xffff, v2
	v_cmp_ne_u16_sdwa s[4:5], v5, v43 src0_sel:WORD_1 src1_sel:DWORD
	v_cndmask_b32_e64 v3, 0, 1, vcc
	v_cmp_eq_u16_sdwa vcc, v5, v43 src0_sel:WORD_1 src1_sel:DWORD
	v_lshl_or_b32 v24, v3, 16, v2
	v_cndmask_b32_e64 v3, 0, 1, s[4:5]
	v_cndmask_b32_e32 v2, v10, v40, vcc
	v_and_b32_e32 v2, 0xffff, v2
	v_cmp_ne_u16_e64 s[8:9], 0, v41
	v_lshl_or_b32 v40, v3, 16, v2
	s_mov_b64 s[10:11], -1
	v_cndmask_b32_e64 v41, v42, v10, s[8:9]
                                        ; implicit-def: $sgpr3
.LBB859_132:
	v_mov_b32_e32 v12, s3
	s_and_saveexec_b64 s[4:5], s[10:11]
; %bb.133:
	v_mov_b32_e32 v2, 0x10000
	v_cndmask_b32_e64 v2, 0, v2, s[8:9]
	v_or_b32_sdwa v12, v2, v41 dst_sel:DWORD dst_unused:UNUSED_PAD src0_sel:DWORD src1_sel:WORD_0
; %bb.134:
	s_or_b64 exec, exec, s[4:5]
	v_or3_b32 v2, v12, v40, v24
	s_cmp_lg_u32 s2, 0
	v_or3_b32 v14, v2, v39, v23
	v_mbcnt_lo_u32_b32 v13, -1, 0
	s_barrier
	s_cbranch_scc0 .LBB859_223
; %bb.135:
	s_mov_b32 s3, 0x10000
	v_cmp_gt_u32_e64 s[50:51], s3, v18
	v_cmp_gt_u32_e64 s[4:5], s3, v25
	v_cmp_gt_u32_e64 s[6:7], s3, v19
	v_cndmask_b32_e64 v2, 0, v1, s[50:51]
	v_add_u16_e32 v2, v2, v18
	v_cndmask_b32_e64 v2, 0, v2, s[4:5]
	v_add_u16_e32 v2, v2, v25
	v_cndmask_b32_e64 v2, 0, v2, s[6:7]
	v_add_u16_e32 v2, v2, v19
	v_cmp_gt_u32_e64 s[8:9], s3, v27
	v_cmp_gt_u32_e64 s[10:11], s3, v20
	v_cmp_gt_u32_e64 s[12:13], s3, v28
	v_cndmask_b32_e64 v2, 0, v2, s[8:9]
	v_add_u16_e32 v2, v2, v27
	v_cndmask_b32_e64 v2, 0, v2, s[10:11]
	v_add_u16_e32 v2, v2, v20
	v_cndmask_b32_e64 v2, 0, v2, s[12:13]
	v_add_u16_e32 v2, v2, v28
	;; [unrolled: 9-line block ×5, first 2 shown]
	v_cmp_gt_u32_e64 s[34:35], s3, v37
	v_cmp_gt_u32_e64 s[36:37], s3, v22
	;; [unrolled: 1-line block ×3, first 2 shown]
	v_cndmask_b32_e64 v2, 0, v2, s[34:35]
	v_add_u16_e32 v2, v2, v37
	v_cndmask_b32_e64 v2, 0, v2, s[36:37]
	v_add_u16_e32 v2, v2, v22
	v_cndmask_b32_e64 v2, 0, v2, s[38:39]
	v_or3_b32 v5, v14, v38, v22
	v_add_u16_e32 v2, v2, v38
	v_cmp_gt_u32_e64 s[40:41], s3, v23
	v_or3_b32 v5, v5, v37, v36
	v_or3_b32 v5, v5, v35, v34
	v_cndmask_b32_e64 v2, 0, v2, s[40:41]
	v_add_u16_e32 v2, v2, v23
	v_cmp_gt_u32_e64 s[42:43], s3, v39
	v_or3_b32 v5, v5, v33, v32
	v_or3_b32 v5, v5, v31, v30
	v_cndmask_b32_e64 v2, 0, v2, s[42:43]
	;; [unrolled: 5-line block ×4, first 2 shown]
	v_add_u16_e32 v2, v2, v40
	v_cmp_gt_u32_e32 vcc, s3, v12
	v_and_b32_e32 v5, 0x10000, v5
	v_and_b32_e32 v3, 0x10000, v1
	v_cndmask_b32_e32 v4, 0, v2, vcc
	v_mov_b32_e32 v6, 0x10000
	v_cmp_ne_u32_e32 vcc, 0, v5
	v_add_u16_e32 v2, v4, v12
	v_add_u16_e32 v4, v4, v12
	v_cndmask_b32_e32 v6, v3, v6, vcc
	v_mbcnt_hi_u32_b32 v5, -1, v13
	v_and_b32_e32 v7, 15, v5
	v_or_b32_e32 v4, v6, v4
	v_lshrrev_b32_e32 v3, 16, v6
	v_cmp_ne_u32_e32 vcc, 0, v7
	v_mov_b32_dpp v8, v4 row_shr:1 row_mask:0xf bank_mask:0xf
	s_and_saveexec_b64 s[48:49], vcc
	s_cbranch_execz .LBB859_137
; %bb.136:
	v_cmp_eq_u32_e32 vcc, 0, v6
	v_and_b32_e32 v3, 0x10000, v6
	v_mov_b32_e32 v6, 1
	v_cndmask_b32_e32 v4, 0, v8, vcc
	v_and_b32_sdwa v6, v8, v6 dst_sel:DWORD dst_unused:UNUSED_PAD src0_sel:WORD_1 src1_sel:DWORD
	v_cmp_ne_u32_e32 vcc, 0, v3
	v_add_u16_e32 v9, v4, v2
	v_add_u16_e32 v2, v4, v2
	v_cndmask_b32_e64 v3, v6, 1, vcc
	v_lshlrev_b32_e32 v6, 16, v3
	v_or_b32_e32 v4, v6, v2
	v_mov_b32_e32 v2, v9
.LBB859_137:
	s_or_b64 exec, exec, s[48:49]
	v_lshrrev_b32_e32 v6, 16, v4
	v_mov_b32_dpp v8, v4 row_shr:2 row_mask:0xf bank_mask:0xf
	v_cmp_lt_u32_e32 vcc, 1, v7
	s_and_saveexec_b64 s[48:49], vcc
	s_cbranch_execz .LBB859_139
; %bb.138:
	v_cmp_gt_u32_e32 vcc, s3, v4
	v_and_b32_e32 v3, 0x10000, v4
	v_mov_b32_e32 v4, 1
	v_cndmask_b32_e32 v6, 0, v8, vcc
	v_and_b32_sdwa v4, v8, v4 dst_sel:DWORD dst_unused:UNUSED_PAD src0_sel:WORD_1 src1_sel:DWORD
	v_cmp_ne_u32_e32 vcc, 0, v3
	v_add_u16_e32 v9, v6, v2
	v_add_u16_e32 v2, v6, v2
	v_cndmask_b32_e64 v3, v4, 1, vcc
	v_lshlrev_b32_e32 v4, 16, v3
	v_or_b32_e32 v4, v4, v2
	v_mov_b32_e32 v6, v3
	v_mov_b32_e32 v2, v9
.LBB859_139:
	s_or_b64 exec, exec, s[48:49]
	v_mov_b32_dpp v8, v4 row_shr:4 row_mask:0xf bank_mask:0xf
	v_cmp_lt_u32_e32 vcc, 3, v7
	s_and_saveexec_b64 s[48:49], vcc
	s_cbranch_execz .LBB859_141
; %bb.140:
	v_cmp_eq_u16_e32 vcc, 0, v6
	v_and_b32_e32 v3, 1, v6
	v_mov_b32_e32 v6, 1
	v_cndmask_b32_e32 v4, 0, v8, vcc
	v_and_b32_sdwa v6, v8, v6 dst_sel:DWORD dst_unused:UNUSED_PAD src0_sel:WORD_1 src1_sel:DWORD
	v_cmp_eq_u32_e32 vcc, 1, v3
	v_add_u16_e32 v9, v4, v2
	v_add_u16_e32 v2, v4, v2
	v_cndmask_b32_e64 v3, v6, 1, vcc
	v_lshlrev_b32_e32 v6, 16, v3
	v_or_b32_e32 v4, v6, v2
	v_mov_b32_e32 v6, v3
	v_mov_b32_e32 v2, v9
.LBB859_141:
	s_or_b64 exec, exec, s[48:49]
	v_mov_b32_dpp v8, v4 row_shr:8 row_mask:0xf bank_mask:0xf
	v_cmp_lt_u32_e32 vcc, 7, v7
	s_and_saveexec_b64 s[48:49], vcc
	s_cbranch_execz .LBB859_143
; %bb.142:
	v_cmp_eq_u16_e32 vcc, 0, v6
	v_and_b32_e32 v3, 1, v6
	v_mov_b32_e32 v6, 1
	v_cndmask_b32_e32 v4, 0, v8, vcc
	v_and_b32_sdwa v6, v8, v6 dst_sel:DWORD dst_unused:UNUSED_PAD src0_sel:WORD_1 src1_sel:DWORD
	v_cmp_eq_u32_e32 vcc, 1, v3
	v_add_u16_e32 v7, v4, v2
	v_add_u16_e32 v2, v4, v2
	v_cndmask_b32_e64 v3, v6, 1, vcc
	v_lshlrev_b32_e32 v6, 16, v3
	v_or_b32_e32 v4, v6, v2
	v_mov_b32_e32 v6, v3
	v_mov_b32_e32 v2, v7
.LBB859_143:
	s_or_b64 exec, exec, s[48:49]
	v_and_b32_e32 v8, 16, v5
	v_mov_b32_dpp v7, v4 row_bcast:15 row_mask:0xf bank_mask:0xf
	v_cmp_ne_u32_e32 vcc, 0, v8
	s_and_saveexec_b64 s[48:49], vcc
	s_cbranch_execz .LBB859_145
; %bb.144:
	v_cmp_eq_u16_e32 vcc, 0, v6
	v_and_b32_e32 v3, 1, v6
	v_mov_b32_e32 v6, 1
	v_cndmask_b32_e32 v4, 0, v7, vcc
	v_and_b32_sdwa v6, v7, v6 dst_sel:DWORD dst_unused:UNUSED_PAD src0_sel:WORD_1 src1_sel:DWORD
	v_cmp_eq_u32_e32 vcc, 1, v3
	v_add_u16_e32 v8, v4, v2
	v_add_u16_e32 v2, v4, v2
	v_cndmask_b32_e64 v3, v6, 1, vcc
	v_lshlrev_b32_e32 v6, 16, v3
	v_or_b32_e32 v4, v6, v2
	v_mov_b32_e32 v6, v3
	v_mov_b32_e32 v2, v8
.LBB859_145:
	s_or_b64 exec, exec, s[48:49]
	v_mov_b32_dpp v4, v4 row_bcast:31 row_mask:0xf bank_mask:0xf
	v_cmp_lt_u32_e32 vcc, 31, v5
	s_and_saveexec_b64 s[48:49], vcc
; %bb.146:
	v_cmp_eq_u16_e32 vcc, 0, v6
	s_nop 1
	v_cndmask_b32_e32 v3, 0, v4, vcc
	v_add_u16_e32 v2, v3, v2
	v_and_b32_e32 v3, 1, v6
	v_mov_b32_e32 v6, 1
	v_and_b32_sdwa v4, v4, v6 dst_sel:DWORD dst_unused:UNUSED_PAD src0_sel:WORD_1 src1_sel:DWORD
	v_cmp_eq_u32_e32 vcc, 1, v3
	s_nop 1
	v_cndmask_b32_e64 v3, v4, 1, vcc
; %bb.147:
	s_or_b64 exec, exec, s[48:49]
	v_or_b32_e32 v6, 63, v0
	v_lshrrev_b32_e32 v4, 6, v0
	v_cmp_eq_u32_e32 vcc, v6, v0
	s_and_saveexec_b64 s[48:49], vcc
	s_cbranch_execz .LBB859_149
; %bb.148:
	v_lshlrev_b32_e32 v6, 2, v4
	ds_write_b16 v6, v2
	ds_write_b8 v6, v3 offset:2
.LBB859_149:
	s_or_b64 exec, exec, s[48:49]
	v_cmp_gt_u32_e32 vcc, 4, v0
	s_waitcnt lgkmcnt(0)
	s_barrier
	s_and_saveexec_b64 s[48:49], vcc
	s_cbranch_execz .LBB859_155
; %bb.150:
	v_lshlrev_b32_e32 v6, 2, v0
	ds_read_b32 v7, v6
	v_and_b32_e32 v10, 3, v5
	v_cmp_ne_u32_e32 vcc, 0, v10
	s_waitcnt lgkmcnt(0)
	v_lshrrev_b32_e32 v9, 16, v7
	v_mov_b32_dpp v11, v7 row_shr:1 row_mask:0xf bank_mask:0xf
	v_mov_b32_e32 v8, v7
	s_and_saveexec_b64 s[52:53], vcc
	s_cbranch_execz .LBB859_152
; %bb.151:
	v_mov_b32_e32 v8, 0
	v_cmp_eq_u16_sdwa vcc, v9, v8 src0_sel:BYTE_0 src1_sel:DWORD
	v_and_b32_e32 v9, 0x10000, v7
	v_mov_b32_e32 v17, 1
	v_cndmask_b32_e32 v16, 0, v11, vcc
	v_and_b32_sdwa v11, v11, v17 dst_sel:DWORD dst_unused:UNUSED_PAD src0_sel:WORD_1 src1_sel:DWORD
	v_cmp_ne_u32_e32 vcc, 0, v9
	v_and_b32_e32 v15, 0xff000000, v7
	v_add_u16_e32 v8, v16, v7
	v_cndmask_b32_e64 v9, v11, 1, vcc
	v_lshlrev_b32_e32 v11, 16, v9
	v_add_u16_e32 v7, v16, v7
	v_or3_b32 v7, v11, v15, v7
.LBB859_152:
	s_or_b64 exec, exec, s[52:53]
	s_nop 0
	v_mov_b32_dpp v11, v7 row_shr:2 row_mask:0xf bank_mask:0xf
	v_cmp_lt_u32_e32 vcc, 1, v10
	s_and_saveexec_b64 s[52:53], vcc
; %bb.153:
	v_and_b32_e32 v9, 0xff0000, v7
	v_cmp_eq_u32_e32 vcc, 0, v9
	v_and_b32_e32 v7, 0x10000, v7
	s_nop 0
	v_cndmask_b32_e32 v9, 0, v11, vcc
	v_add_u16_e32 v8, v9, v8
	v_mov_b32_e32 v9, 1
	v_and_b32_sdwa v9, v11, v9 dst_sel:DWORD dst_unused:UNUSED_PAD src0_sel:WORD_1 src1_sel:DWORD
	v_cmp_eq_u32_e32 vcc, 0, v7
	s_nop 1
	v_cndmask_b32_e32 v9, 1, v9, vcc
; %bb.154:
	s_or_b64 exec, exec, s[52:53]
	ds_write_b16 v6, v8
	ds_write_b8 v6, v9 offset:2
.LBB859_155:
	s_or_b64 exec, exec, s[48:49]
	v_cmp_gt_u32_e32 vcc, 64, v0
	v_cmp_lt_u32_e64 s[48:49], 63, v0
	v_mov_b32_e32 v15, 0
	v_mov_b32_e32 v16, 0
	s_waitcnt lgkmcnt(0)
	s_barrier
	s_and_saveexec_b64 s[52:53], s[48:49]
	s_cbranch_execz .LBB859_157
; %bb.156:
	v_lshl_add_u32 v4, v4, 2, -4
	ds_read_u16 v15, v4
	ds_read_u8 v16, v4 offset:2
	v_and_b32_e32 v6, 1, v3
	v_cmp_eq_u16_e64 s[48:49], 0, v3
	s_waitcnt lgkmcnt(1)
	s_nop 0
	v_cndmask_b32_e64 v3, 0, v15, s[48:49]
	v_cmp_eq_u32_e64 s[48:49], 1, v6
	v_add_u16_e32 v2, v3, v2
	s_waitcnt lgkmcnt(0)
	v_cndmask_b32_e64 v3, v16, 1, s[48:49]
.LBB859_157:
	s_or_b64 exec, exec, s[52:53]
	v_and_b32_e32 v3, 0xff, v3
	v_and_b32_e32 v2, 0xffff, v2
	v_lshl_or_b32 v2, v3, 16, v2
	v_add_u32_e32 v3, -1, v5
	v_and_b32_e32 v4, 64, v5
	v_cmp_lt_i32_e64 s[48:49], v3, v4
	s_nop 1
	v_cndmask_b32_e64 v3, v3, v5, s[48:49]
	v_lshlrev_b32_e32 v3, 2, v3
	ds_bpermute_b32 v17, v3, v2
	v_cmp_eq_u32_e64 s[48:49], 0, v5
	s_and_saveexec_b64 s[52:53], vcc
	s_cbranch_execz .LBB859_200
; %bb.158:
	v_mov_b32_e32 v9, 0
	ds_read_b32 v2, v9 offset:12
	s_and_saveexec_b64 s[60:61], s[48:49]
	s_cbranch_execz .LBB859_160
; %bb.159:
	s_add_i32 s70, s2, 64
	s_mov_b32 s71, 0
	s_lshl_b64 s[70:71], s[70:71], 3
	s_add_u32 s70, s56, s70
	v_mov_b32_e32 v3, 1
	s_addc_u32 s71, s57, s71
	s_waitcnt lgkmcnt(0)
	global_store_dwordx2 v9, v[2:3], s[70:71] sc1
.LBB859_160:
	s_or_b64 exec, exec, s[60:61]
	v_xad_u32 v4, v5, -1, s2
	v_add_u32_e32 v8, 64, v4
	v_lshl_add_u64 v[10:11], v[8:9], 3, s[56:57]
	global_load_dwordx2 v[6:7], v[10:11], off sc1
	s_waitcnt vmcnt(0)
	v_cmp_eq_u16_sdwa s[70:71], v7, v9 src0_sel:BYTE_0 src1_sel:DWORD
	s_and_saveexec_b64 s[60:61], s[70:71]
	s_cbranch_execz .LBB859_164
; %bb.161:
	s_mov_b64 s[70:71], 0
	v_mov_b32_e32 v3, 0
.LBB859_162:                            ; =>This Inner Loop Header: Depth=1
	global_load_dwordx2 v[6:7], v[10:11], off sc1
	s_waitcnt vmcnt(0)
	v_cmp_ne_u16_sdwa s[72:73], v7, v3 src0_sel:BYTE_0 src1_sel:DWORD
	s_or_b64 s[70:71], s[72:73], s[70:71]
	s_andn2_b64 exec, exec, s[70:71]
	s_cbranch_execnz .LBB859_162
; %bb.163:
	s_or_b64 exec, exec, s[70:71]
.LBB859_164:
	s_or_b64 exec, exec, s[60:61]
	v_mov_b32_e32 v3, 2
	v_cmp_eq_u16_sdwa s[60:61], v7, v3 src0_sel:BYTE_0 src1_sel:DWORD
	v_lshlrev_b64 v[8:9], v5, -1
	v_and_b32_e32 v52, 0xffffff, v6
	v_and_b32_e32 v3, s61, v9
	v_or_b32_e32 v3, 0x80000000, v3
	v_ffbl_b32_e32 v3, v3
	v_add_u32_e32 v11, 32, v3
	v_and_b32_e32 v3, 63, v5
	v_cmp_ne_u32_e32 vcc, 63, v3
	v_and_b32_e32 v10, s60, v8
	v_ffbl_b32_e32 v10, v10
	v_addc_co_u32_e32 v41, vcc, 0, v5, vcc
	v_lshlrev_b32_e32 v41, 2, v41
	ds_bpermute_b32 v42, v41, v52
	v_min_u32_e32 v11, v10, v11
	v_lshrrev_b32_e32 v10, 16, v6
	v_cmp_lt_u32_e32 vcc, v3, v11
	v_bfe_u32 v50, v6, 16, 8
	s_and_saveexec_b64 s[60:61], vcc
	s_cbranch_execz .LBB859_166
; %bb.165:
	v_and_b32_e32 v10, 0xff0000, v6
	v_cmp_eq_u32_e32 vcc, 0, v10
	v_and_b32_e32 v10, 0x10000, v10
	v_mov_b32_e32 v45, 1
	s_waitcnt lgkmcnt(0)
	v_cndmask_b32_e32 v43, 0, v42, vcc
	v_and_b32_sdwa v42, v42, v45 dst_sel:DWORD dst_unused:UNUSED_PAD src0_sel:WORD_1 src1_sel:DWORD
	v_cmp_ne_u32_e32 vcc, 0, v10
	v_add_u16_e32 v44, v43, v6
	v_add_u16_e32 v6, v43, v6
	v_cndmask_b32_e64 v10, v42, 1, vcc
	v_lshlrev_b32_e32 v42, 16, v10
	v_or_b32_e32 v52, v42, v6
	v_mov_b32_e32 v6, v44
	v_mov_b32_e32 v50, v10
.LBB859_166:
	s_or_b64 exec, exec, s[60:61]
	v_cmp_gt_u32_e32 vcc, 62, v3
	v_add_u32_e32 v43, 2, v3
	s_waitcnt lgkmcnt(0)
	v_cndmask_b32_e64 v42, 0, 1, vcc
	v_lshlrev_b32_e32 v42, 1, v42
	v_add_lshl_u32 v42, v42, v5, 2
	ds_bpermute_b32 v44, v42, v52
	v_cmp_le_u32_e32 vcc, v43, v11
	s_and_saveexec_b64 s[60:61], vcc
	s_cbranch_execz .LBB859_168
; %bb.167:
	v_cmp_eq_u16_e32 vcc, 0, v50
	v_and_b32_e32 v10, 1, v50
	v_mov_b32_e32 v47, 1
	s_waitcnt lgkmcnt(0)
	v_cndmask_b32_e32 v45, 0, v44, vcc
	v_and_b32_sdwa v44, v44, v47 dst_sel:DWORD dst_unused:UNUSED_PAD src0_sel:WORD_1 src1_sel:DWORD
	v_cmp_eq_u32_e32 vcc, 1, v10
	v_add_u16_e32 v46, v45, v6
	v_add_u16_e32 v6, v45, v6
	v_cndmask_b32_e64 v10, v44, 1, vcc
	v_lshlrev_b32_e32 v44, 16, v10
	v_or_b32_e32 v52, v44, v6
	v_mov_b32_e32 v6, v46
	v_mov_b32_e32 v50, v10
.LBB859_168:
	s_or_b64 exec, exec, s[60:61]
	v_cmp_gt_u32_e32 vcc, 60, v3
	v_add_u32_e32 v45, 4, v3
	s_waitcnt lgkmcnt(0)
	v_cndmask_b32_e64 v44, 0, 1, vcc
	v_lshlrev_b32_e32 v44, 2, v44
	v_add_lshl_u32 v44, v44, v5, 2
	ds_bpermute_b32 v46, v44, v52
	v_cmp_le_u32_e32 vcc, v45, v11
	s_and_saveexec_b64 s[60:61], vcc
	s_cbranch_execz .LBB859_170
; %bb.169:
	v_cmp_eq_u16_e32 vcc, 0, v50
	v_and_b32_e32 v10, 1, v50
	v_mov_b32_e32 v49, 1
	s_waitcnt lgkmcnt(0)
	v_cndmask_b32_e32 v47, 0, v46, vcc
	v_and_b32_sdwa v46, v46, v49 dst_sel:DWORD dst_unused:UNUSED_PAD src0_sel:WORD_1 src1_sel:DWORD
	v_cmp_eq_u32_e32 vcc, 1, v10
	v_add_u16_e32 v48, v47, v6
	v_add_u16_e32 v6, v47, v6
	v_cndmask_b32_e64 v10, v46, 1, vcc
	v_lshlrev_b32_e32 v46, 16, v10
	v_or_b32_e32 v52, v46, v6
	v_mov_b32_e32 v6, v48
	v_mov_b32_e32 v50, v10
.LBB859_170:
	s_or_b64 exec, exec, s[60:61]
	v_cmp_gt_u32_e32 vcc, 56, v3
	v_add_u32_e32 v47, 8, v3
	s_waitcnt lgkmcnt(0)
	v_cndmask_b32_e64 v46, 0, 1, vcc
	v_lshlrev_b32_e32 v46, 3, v46
	v_add_lshl_u32 v46, v46, v5, 2
	ds_bpermute_b32 v48, v46, v52
	v_cmp_le_u32_e32 vcc, v47, v11
	s_and_saveexec_b64 s[60:61], vcc
	s_cbranch_execz .LBB859_172
; %bb.171:
	v_cmp_eq_u16_e32 vcc, 0, v50
	v_and_b32_e32 v10, 1, v50
	v_mov_b32_e32 v50, 1
	s_waitcnt lgkmcnt(0)
	v_cndmask_b32_e32 v49, 0, v48, vcc
	v_and_b32_sdwa v48, v48, v50 dst_sel:DWORD dst_unused:UNUSED_PAD src0_sel:WORD_1 src1_sel:DWORD
	v_cmp_eq_u32_e32 vcc, 1, v10
	v_add_u16_e32 v51, v49, v6
	v_add_u16_e32 v6, v49, v6
	v_cndmask_b32_e64 v10, v48, 1, vcc
	v_lshlrev_b32_e32 v48, 16, v10
	v_or_b32_e32 v52, v48, v6
	v_mov_b32_e32 v6, v51
	v_mov_b32_e32 v50, v10
.LBB859_172:
	s_or_b64 exec, exec, s[60:61]
	v_cmp_gt_u32_e32 vcc, 48, v3
	v_add_u32_e32 v49, 16, v3
	s_waitcnt lgkmcnt(0)
	v_cndmask_b32_e64 v48, 0, 1, vcc
	v_lshlrev_b32_e32 v48, 4, v48
	v_add_lshl_u32 v48, v48, v5, 2
	ds_bpermute_b32 v51, v48, v52
	v_cmp_le_u32_e32 vcc, v49, v11
	s_and_saveexec_b64 s[60:61], vcc
	s_cbranch_execz .LBB859_174
; %bb.173:
	v_cmp_eq_u16_e32 vcc, 0, v50
	v_and_b32_e32 v10, 1, v50
	v_mov_b32_e32 v50, 1
	s_waitcnt lgkmcnt(0)
	v_cndmask_b32_e32 v52, 0, v51, vcc
	v_and_b32_sdwa v50, v51, v50 dst_sel:DWORD dst_unused:UNUSED_PAD src0_sel:WORD_1 src1_sel:DWORD
	v_cmp_eq_u32_e32 vcc, 1, v10
	v_add_u16_e32 v53, v52, v6
	v_add_u16_e32 v6, v52, v6
	v_cndmask_b32_e64 v10, v50, 1, vcc
	v_lshlrev_b32_e32 v50, 16, v10
	v_or_b32_e32 v52, v50, v6
	v_mov_b32_e32 v6, v53
	v_mov_b32_e32 v50, v10
.LBB859_174:
	s_or_b64 exec, exec, s[60:61]
	v_cmp_gt_u32_e32 vcc, 32, v3
	v_add_u32_e32 v53, 32, v3
	s_waitcnt lgkmcnt(0)
	v_cndmask_b32_e64 v51, 0, 1, vcc
	v_lshlrev_b32_e32 v51, 5, v51
	v_add_lshl_u32 v51, v51, v5, 2
	ds_bpermute_b32 v5, v51, v52
	v_cmp_le_u32_e32 vcc, v53, v11
	s_and_saveexec_b64 s[60:61], vcc
	s_cbranch_execz .LBB859_176
; %bb.175:
	v_cmp_eq_u16_e32 vcc, 0, v50
	v_mov_b32_e32 v11, 1
	s_waitcnt lgkmcnt(0)
	v_cndmask_b32_e32 v10, 0, v5, vcc
	v_add_u16_e32 v6, v10, v6
	v_and_b32_e32 v10, 1, v50
	v_and_b32_sdwa v5, v5, v11 dst_sel:DWORD dst_unused:UNUSED_PAD src0_sel:WORD_1 src1_sel:DWORD
	v_cmp_eq_u32_e32 vcc, 1, v10
	s_nop 1
	v_cndmask_b32_e64 v10, v5, 1, vcc
.LBB859_176:
	s_or_b64 exec, exec, s[60:61]
	s_waitcnt lgkmcnt(0)
	v_mov_b32_e32 v5, 0
	v_mov_b32_e32 v54, 2
	;; [unrolled: 1-line block ×3, first 2 shown]
	s_branch .LBB859_178
.LBB859_177:                            ;   in Loop: Header=BB859_178 Depth=1
	s_or_b64 exec, exec, s[60:61]
	v_cmp_eq_u16_sdwa vcc, v50, v5 src0_sel:BYTE_0 src1_sel:DWORD
	v_and_b32_e32 v10, 1, v50
	v_and_b32_e32 v11, 1, v11
	v_cndmask_b32_e32 v6, 0, v6, vcc
	v_cmp_eq_u32_e32 vcc, 1, v10
	v_subrev_u32_e32 v4, 64, v4
	v_add_u16_e32 v6, v6, v52
	v_cndmask_b32_e64 v10, v11, 1, vcc
.LBB859_178:                            ; =>This Loop Header: Depth=1
                                        ;     Child Loop BB859_181 Depth 2
	v_cmp_ne_u16_sdwa s[60:61], v7, v54 src0_sel:BYTE_0 src1_sel:DWORD
	v_mov_b32_e32 v50, v10
	v_mov_b32_e32 v52, v6
	v_cndmask_b32_e64 v7, 0, 1, s[60:61]
	;;#ASMSTART
	;;#ASMEND
	s_nop 0
	v_cmp_ne_u32_e32 vcc, 0, v7
	s_cmp_lg_u64 vcc, exec
	s_cbranch_scc1 .LBB859_195
; %bb.179:                              ;   in Loop: Header=BB859_178 Depth=1
	v_lshl_add_u64 v[10:11], v[4:5], 3, s[56:57]
	global_load_dwordx2 v[6:7], v[10:11], off sc1
	s_waitcnt vmcnt(0)
	v_cmp_eq_u16_sdwa s[70:71], v7, v5 src0_sel:BYTE_0 src1_sel:DWORD
	s_and_saveexec_b64 s[60:61], s[70:71]
	s_cbranch_execz .LBB859_183
; %bb.180:                              ;   in Loop: Header=BB859_178 Depth=1
	s_mov_b64 s[70:71], 0
.LBB859_181:                            ;   Parent Loop BB859_178 Depth=1
                                        ; =>  This Inner Loop Header: Depth=2
	global_load_dwordx2 v[6:7], v[10:11], off sc1
	s_waitcnt vmcnt(0)
	v_cmp_ne_u16_sdwa s[72:73], v7, v5 src0_sel:BYTE_0 src1_sel:DWORD
	s_or_b64 s[70:71], s[72:73], s[70:71]
	s_andn2_b64 exec, exec, s[70:71]
	s_cbranch_execnz .LBB859_181
; %bb.182:                              ;   in Loop: Header=BB859_178 Depth=1
	s_or_b64 exec, exec, s[70:71]
.LBB859_183:                            ;   in Loop: Header=BB859_178 Depth=1
	s_or_b64 exec, exec, s[60:61]
	v_cmp_eq_u16_sdwa s[60:61], v7, v54 src0_sel:BYTE_0 src1_sel:DWORD
	s_waitcnt lgkmcnt(0)
	v_and_b32_e32 v57, 0xffffff, v6
	ds_bpermute_b32 v58, v41, v57
	v_and_b32_e32 v10, s61, v9
	v_or_b32_e32 v10, 0x80000000, v10
	v_and_b32_e32 v11, s60, v8
	v_ffbl_b32_e32 v10, v10
	v_add_u32_e32 v10, 32, v10
	v_ffbl_b32_e32 v11, v11
	v_min_u32_e32 v10, v11, v10
	v_lshrrev_b32_e32 v11, 16, v6
	v_cmp_lt_u32_e32 vcc, v3, v10
	v_bfe_u32 v56, v6, 16, 8
	s_and_saveexec_b64 s[60:61], vcc
	s_cbranch_execz .LBB859_185
; %bb.184:                              ;   in Loop: Header=BB859_178 Depth=1
	v_and_b32_e32 v11, 0xff0000, v6
	v_cmp_eq_u32_e32 vcc, 0, v11
	v_and_b32_e32 v11, 0x10000, v11
	s_waitcnt lgkmcnt(0)
	v_and_b32_sdwa v57, v58, v55 dst_sel:DWORD dst_unused:UNUSED_PAD src0_sel:WORD_1 src1_sel:DWORD
	v_cndmask_b32_e32 v56, 0, v58, vcc
	v_cmp_ne_u32_e32 vcc, 0, v11
	v_add_u16_e32 v59, v56, v6
	v_add_u16_e32 v6, v56, v6
	v_cndmask_b32_e64 v11, v57, 1, vcc
	v_lshlrev_b32_e32 v57, 16, v11
	v_or_b32_e32 v57, v57, v6
	v_mov_b32_e32 v6, v59
	v_mov_b32_e32 v56, v11
.LBB859_185:                            ;   in Loop: Header=BB859_178 Depth=1
	s_or_b64 exec, exec, s[60:61]
	s_waitcnt lgkmcnt(0)
	ds_bpermute_b32 v58, v42, v57
	v_cmp_le_u32_e32 vcc, v43, v10
	s_and_saveexec_b64 s[60:61], vcc
	s_cbranch_execz .LBB859_187
; %bb.186:                              ;   in Loop: Header=BB859_178 Depth=1
	v_cmp_eq_u16_e32 vcc, 0, v56
	v_and_b32_e32 v11, 1, v56
	s_waitcnt lgkmcnt(0)
	v_and_b32_sdwa v56, v58, v55 dst_sel:DWORD dst_unused:UNUSED_PAD src0_sel:WORD_1 src1_sel:DWORD
	v_cndmask_b32_e32 v57, 0, v58, vcc
	v_cmp_eq_u32_e32 vcc, 1, v11
	v_add_u16_e32 v59, v57, v6
	v_add_u16_e32 v6, v57, v6
	v_cndmask_b32_e64 v11, v56, 1, vcc
	v_lshlrev_b32_e32 v56, 16, v11
	v_or_b32_e32 v57, v56, v6
	v_mov_b32_e32 v6, v59
	v_mov_b32_e32 v56, v11
.LBB859_187:                            ;   in Loop: Header=BB859_178 Depth=1
	s_or_b64 exec, exec, s[60:61]
	s_waitcnt lgkmcnt(0)
	ds_bpermute_b32 v58, v44, v57
	v_cmp_le_u32_e32 vcc, v45, v10
	s_and_saveexec_b64 s[60:61], vcc
	s_cbranch_execz .LBB859_189
; %bb.188:                              ;   in Loop: Header=BB859_178 Depth=1
	v_cmp_eq_u16_e32 vcc, 0, v56
	v_and_b32_e32 v11, 1, v56
	s_waitcnt lgkmcnt(0)
	v_and_b32_sdwa v56, v58, v55 dst_sel:DWORD dst_unused:UNUSED_PAD src0_sel:WORD_1 src1_sel:DWORD
	v_cndmask_b32_e32 v57, 0, v58, vcc
	v_cmp_eq_u32_e32 vcc, 1, v11
	v_add_u16_e32 v59, v57, v6
	v_add_u16_e32 v6, v57, v6
	v_cndmask_b32_e64 v11, v56, 1, vcc
	v_lshlrev_b32_e32 v56, 16, v11
	v_or_b32_e32 v57, v56, v6
	v_mov_b32_e32 v6, v59
	v_mov_b32_e32 v56, v11
.LBB859_189:                            ;   in Loop: Header=BB859_178 Depth=1
	;; [unrolled: 21-line block ×4, first 2 shown]
	s_or_b64 exec, exec, s[60:61]
	ds_bpermute_b32 v57, v51, v57
	v_cmp_le_u32_e32 vcc, v53, v10
	s_and_saveexec_b64 s[60:61], vcc
	s_cbranch_execz .LBB859_177
; %bb.194:                              ;   in Loop: Header=BB859_178 Depth=1
	v_cmp_eq_u16_e32 vcc, 0, v56
	s_waitcnt lgkmcnt(0)
	v_lshrrev_b32_e32 v11, 16, v57
	v_cndmask_b32_e32 v10, 0, v57, vcc
	v_add_u16_e32 v6, v10, v6
	v_and_b32_e32 v10, 1, v56
	v_cmp_eq_u32_e32 vcc, 1, v10
	s_nop 1
	v_cndmask_b32_e64 v11, v11, 1, vcc
	s_branch .LBB859_177
.LBB859_195:                            ;   in Loop: Header=BB859_178 Depth=1
                                        ; implicit-def: $vgpr10
                                        ; implicit-def: $vgpr6
	s_cbranch_execz .LBB859_178
; %bb.196:
	s_and_saveexec_b64 s[60:61], s[48:49]
	s_cbranch_execz .LBB859_198
; %bb.197:
	v_and_b32_e32 v3, 0xff0000, v2
	s_mov_b32 s3, 0
	v_cmp_eq_u32_e32 vcc, 0, v3
	v_and_b32_e32 v4, 0x10000, v2
	v_mov_b32_e32 v5, 1
	s_add_i32 s2, s2, 64
	v_cndmask_b32_e32 v3, 0, v52, vcc
	v_and_b32_sdwa v5, v50, v5 dst_sel:WORD_1 dst_unused:UNUSED_PAD src0_sel:DWORD src1_sel:DWORD
	v_mov_b32_e32 v6, 0x10000
	v_cmp_eq_u32_e32 vcc, 0, v4
	s_lshl_b64 s[2:3], s[2:3], 3
	s_add_u32 s2, s56, s2
	v_cndmask_b32_e32 v4, v6, v5, vcc
	v_add_u16_e32 v2, v3, v2
	s_addc_u32 s3, s57, s3
	v_mov_b32_e32 v5, 0
	v_or_b32_e32 v2, v4, v2
	v_mov_b32_e32 v3, 2
	global_store_dwordx2 v5, v[2:3], s[2:3] sc1
.LBB859_198:
	s_or_b64 exec, exec, s[60:61]
	v_cmp_eq_u32_e32 vcc, 0, v0
	s_and_b64 exec, exec, vcc
	s_cbranch_execz .LBB859_200
; %bb.199:
	v_mov_b32_e32 v2, 0
	ds_write_b16 v2, v52 offset:12
	ds_write_b8 v2, v50 offset:14
.LBB859_200:
	s_or_b64 exec, exec, s[52:53]
	v_mov_b32_e32 v2, 0
	s_waitcnt lgkmcnt(0)
	s_barrier
	ds_read_b32 v3, v2 offset:12
	v_lshrrev_b32_e32 v4, 16, v17
	v_cndmask_b32_e64 v4, v4, v16, s[48:49]
	v_cmp_eq_u16_sdwa vcc, v4, v2 src0_sel:BYTE_0 src1_sel:DWORD
	v_cndmask_b32_e64 v5, v17, v15, s[48:49]
	s_waitcnt lgkmcnt(0)
	v_cndmask_b32_e32 v2, 0, v3, vcc
	v_add_u16_e32 v2, v2, v5
	v_cmp_eq_u32_e32 vcc, 0, v0
	s_nop 1
	v_cndmask_b32_e32 v6, v2, v3, vcc
	v_and_b32_e32 v2, 0xff0000, v1
	v_cmp_eq_u32_e32 vcc, 0, v2
	s_nop 1
	v_cndmask_b32_e32 v2, 0, v6, vcc
	v_add_u16_e32 v4, v2, v1
	v_cndmask_b32_e64 v2, 0, v4, s[50:51]
	v_add_u16_e32 v5, v2, v18
	v_cndmask_b32_e64 v2, 0, v5, s[4:5]
	;; [unrolled: 2-line block ×22, first 2 shown]
	v_add_u16_e32 v53, v2, v40
	s_branch .LBB859_251
.LBB859_201:
	s_or_b64 exec, exec, s[52:53]
                                        ; implicit-def: $vgpr50
	s_and_saveexec_b64 s[52:53], s[50:51]
	s_cbranch_execz .LBB859_53
.LBB859_202:
	v_mov_b32_e32 v37, 0
	v_lshl_add_u64 v[50:51], s[70:71], 0, v[36:37]
	flat_load_ushort v50, v[50:51] offset:512
	s_or_b64 exec, exec, s[52:53]
                                        ; implicit-def: $vgpr51
	s_and_saveexec_b64 s[50:51], s[4:5]
	s_cbranch_execnz .LBB859_54
.LBB859_203:
	s_or_b64 exec, exec, s[50:51]
                                        ; implicit-def: $vgpr52
	s_and_saveexec_b64 s[4:5], s[6:7]
	s_cbranch_execz .LBB859_55
.LBB859_204:
	v_mov_b32_e32 v37, 0
	v_lshl_add_u64 v[52:53], s[70:71], 0, v[36:37]
	flat_load_ushort v52, v[52:53] offset:1536
	s_or_b64 exec, exec, s[4:5]
                                        ; implicit-def: $vgpr53
	s_and_saveexec_b64 s[4:5], s[8:9]
	s_cbranch_execnz .LBB859_56
.LBB859_205:
	s_or_b64 exec, exec, s[4:5]
                                        ; implicit-def: $vgpr54
	s_and_saveexec_b64 s[4:5], s[10:11]
	s_cbranch_execz .LBB859_57
.LBB859_206:
	v_mov_b32_e32 v37, 0
	v_lshl_add_u64 v[54:55], s[70:71], 0, v[36:37]
	flat_load_ushort v54, v[54:55] offset:2560
	s_or_b64 exec, exec, s[4:5]
                                        ; implicit-def: $vgpr55
	s_and_saveexec_b64 s[4:5], s[12:13]
	s_cbranch_execnz .LBB859_58
.LBB859_207:
	s_or_b64 exec, exec, s[4:5]
                                        ; implicit-def: $vgpr37
	s_and_saveexec_b64 s[4:5], s[14:15]
	s_cbranch_execz .LBB859_59
.LBB859_208:
	v_mov_b32_e32 v37, 0
	v_lshl_add_u64 v[56:57], s[70:71], 0, v[36:37]
	flat_load_ushort v37, v[56:57] offset:3584
	s_or_b64 exec, exec, s[4:5]
                                        ; implicit-def: $vgpr15
	s_and_saveexec_b64 s[4:5], s[16:17]
	s_cbranch_execnz .LBB859_60
.LBB859_209:
	s_or_b64 exec, exec, s[4:5]
                                        ; implicit-def: $vgpr14
	s_and_saveexec_b64 s[4:5], s[18:19]
	s_cbranch_execz .LBB859_61
.LBB859_210:
	v_mov_b32_e32 v17, 0
	v_lshl_add_u64 v[16:17], s[70:71], 0, v[16:17]
	flat_load_ushort v14, v[16:17]
	s_or_b64 exec, exec, s[4:5]
                                        ; implicit-def: $vgpr16
	s_and_saveexec_b64 s[4:5], s[20:21]
	s_cbranch_execnz .LBB859_62
.LBB859_211:
	s_or_b64 exec, exec, s[4:5]
                                        ; implicit-def: $vgpr17
	s_and_saveexec_b64 s[4:5], s[22:23]
	s_cbranch_execz .LBB859_63
.LBB859_212:
	v_mov_b32_e32 v21, 0
	v_lshl_add_u64 v[18:19], s[70:71], 0, v[20:21]
	flat_load_ushort v17, v[18:19]
	s_or_b64 exec, exec, s[4:5]
                                        ; implicit-def: $vgpr18
	s_and_saveexec_b64 s[4:5], s[24:25]
	s_cbranch_execnz .LBB859_64
.LBB859_213:
	s_or_b64 exec, exec, s[4:5]
                                        ; implicit-def: $vgpr19
	s_and_saveexec_b64 s[4:5], s[26:27]
	s_cbranch_execz .LBB859_65
.LBB859_214:
	v_mov_b32_e32 v25, 0
	v_lshl_add_u64 v[20:21], s[70:71], 0, v[24:25]
	flat_load_ushort v19, v[20:21]
	s_or_b64 exec, exec, s[4:5]
                                        ; implicit-def: $vgpr20
	s_and_saveexec_b64 s[4:5], s[28:29]
	s_cbranch_execnz .LBB859_66
.LBB859_215:
	s_or_b64 exec, exec, s[4:5]
                                        ; implicit-def: $vgpr21
	s_and_saveexec_b64 s[4:5], s[30:31]
	s_cbranch_execz .LBB859_67
.LBB859_216:
	v_mov_b32_e32 v29, 0
	v_lshl_add_u64 v[22:23], s[70:71], 0, v[28:29]
	flat_load_ushort v21, v[22:23]
	s_or_b64 exec, exec, s[4:5]
                                        ; implicit-def: $vgpr22
	s_and_saveexec_b64 s[4:5], s[34:35]
	s_cbranch_execnz .LBB859_68
.LBB859_217:
	s_or_b64 exec, exec, s[4:5]
                                        ; implicit-def: $vgpr23
	s_and_saveexec_b64 s[4:5], s[36:37]
	s_cbranch_execz .LBB859_69
.LBB859_218:
	v_mov_b32_e32 v33, 0
	v_lshl_add_u64 v[24:25], s[70:71], 0, v[32:33]
	flat_load_ushort v23, v[24:25]
	s_or_b64 exec, exec, s[4:5]
                                        ; implicit-def: $vgpr24
	s_and_saveexec_b64 s[4:5], s[38:39]
	s_cbranch_execnz .LBB859_70
.LBB859_219:
	s_or_b64 exec, exec, s[4:5]
                                        ; implicit-def: $vgpr25
	s_and_saveexec_b64 s[4:5], s[40:41]
	s_cbranch_execz .LBB859_71
.LBB859_220:
	v_mov_b32_e32 v39, 0
	v_lshl_add_u64 v[26:27], s[70:71], 0, v[38:39]
	flat_load_ushort v25, v[26:27]
	s_or_b64 exec, exec, s[4:5]
                                        ; implicit-def: $vgpr27
	s_and_saveexec_b64 s[4:5], s[42:43]
	s_cbranch_execnz .LBB859_72
.LBB859_221:
	s_or_b64 exec, exec, s[4:5]
                                        ; implicit-def: $vgpr28
	s_and_saveexec_b64 s[4:5], s[44:45]
	s_cbranch_execz .LBB859_73
.LBB859_222:
	v_mov_b32_e32 v43, 0
	v_lshl_add_u64 v[28:29], s[70:71], 0, v[42:43]
	flat_load_ushort v28, v[28:29]
	s_or_b64 exec, exec, s[4:5]
                                        ; implicit-def: $vgpr29
	s_and_saveexec_b64 s[4:5], s[46:47]
	s_cbranch_execz .LBB859_75
	s_branch .LBB859_74
.LBB859_223:
                                        ; implicit-def: $vgpr6
                                        ; implicit-def: $vgpr4
                                        ; implicit-def: $vgpr5
                                        ; implicit-def: $vgpr7
                                        ; implicit-def: $vgpr8
                                        ; implicit-def: $vgpr9
                                        ; implicit-def: $vgpr11
                                        ; implicit-def: $vgpr16
                                        ; implicit-def: $vgpr10
                                        ; implicit-def: $vgpr15
                                        ; implicit-def: $vgpr17
                                        ; implicit-def: $vgpr41
                                        ; implicit-def: $vgpr42
                                        ; implicit-def: $vgpr43
                                        ; implicit-def: $vgpr45
                                        ; implicit-def: $vgpr47
                                        ; implicit-def: $vgpr44
                                        ; implicit-def: $vgpr46
                                        ; implicit-def: $vgpr48
                                        ; implicit-def: $vgpr49
                                        ; implicit-def: $vgpr50
                                        ; implicit-def: $vgpr51
                                        ; implicit-def: $vgpr52
                                        ; implicit-def: $vgpr53
	s_cbranch_execz .LBB859_251
; %bb.224:
	s_cmp_lg_u64 s[68:69], 0
	s_cselect_b32 s3, s63, 0
	s_cselect_b32 s2, s62, 0
	s_cmp_eq_u64 s[2:3], 0
	v_mov_b32_e32 v2, s78
	s_cbranch_scc1 .LBB859_226
; %bb.225:
	v_mov_b32_e32 v2, 0
	global_load_ushort v2, v2, s[2:3]
.LBB859_226:
	s_mov_b32 s46, 0x10000
	v_cmp_gt_u32_e32 vcc, s46, v18
	v_cmp_gt_u32_e64 s[2:3], s46, v25
	v_cmp_gt_u32_e64 s[4:5], s46, v19
	v_cndmask_b32_e32 v3, 0, v1, vcc
	v_add_u16_e32 v3, v3, v18
	v_cndmask_b32_e64 v3, 0, v3, s[2:3]
	v_add_u16_e32 v3, v3, v25
	v_cndmask_b32_e64 v3, 0, v3, s[4:5]
	v_add_u16_e32 v3, v3, v19
	v_cmp_gt_u32_e64 s[6:7], s46, v27
	v_cmp_gt_u32_e64 s[8:9], s46, v20
	v_cmp_gt_u32_e64 s[10:11], s46, v28
	v_cndmask_b32_e64 v3, 0, v3, s[6:7]
	v_add_u16_e32 v3, v3, v27
	v_cndmask_b32_e64 v3, 0, v3, s[8:9]
	v_add_u16_e32 v3, v3, v20
	v_cndmask_b32_e64 v3, 0, v3, s[10:11]
	v_add_u16_e32 v3, v3, v28
	v_cmp_gt_u32_e64 s[12:13], s46, v21
	v_cmp_gt_u32_e64 s[14:15], s46, v29
	v_cmp_gt_u32_e64 s[16:17], s46, v30
	v_cndmask_b32_e64 v3, 0, v3, s[12:13]
	;; [unrolled: 9-line block ×5, first 2 shown]
	v_add_u16_e32 v3, v3, v37
	v_cndmask_b32_e64 v3, 0, v3, s[34:35]
	v_add_u16_e32 v3, v3, v22
	v_cndmask_b32_e64 v3, 0, v3, s[36:37]
	v_or3_b32 v6, v14, v38, v22
	v_add_u16_e32 v3, v3, v38
	v_cmp_gt_u32_e64 s[38:39], s46, v23
	v_or3_b32 v6, v6, v37, v36
	v_or3_b32 v6, v6, v35, v34
	v_cndmask_b32_e64 v3, 0, v3, s[38:39]
	v_add_u16_e32 v3, v3, v23
	v_cmp_gt_u32_e64 s[40:41], s46, v39
	v_or3_b32 v6, v6, v33, v32
	v_or3_b32 v6, v6, v31, v30
	v_cndmask_b32_e64 v3, 0, v3, s[40:41]
	;; [unrolled: 5-line block ×4, first 2 shown]
	v_add_u16_e32 v3, v3, v40
	v_cmp_gt_u32_e64 s[46:47], s46, v12
	v_and_b32_e32 v6, 0x10000, v6
	v_and_b32_e32 v5, 0x10000, v1
	v_cndmask_b32_e64 v3, 0, v3, s[46:47]
	v_mov_b32_e32 v7, 0x10000
	v_cmp_ne_u32_e64 s[46:47], 0, v6
	v_add_u16_e32 v4, v3, v12
	v_add_u16_e32 v6, v3, v12
	v_cndmask_b32_e64 v7, v5, v7, s[46:47]
	v_mbcnt_hi_u32_b32 v3, -1, v13
	v_and_b32_e32 v8, 15, v3
	v_or_b32_e32 v6, v7, v6
	v_lshrrev_b32_e32 v5, 16, v7
	v_cmp_ne_u32_e64 s[46:47], 0, v8
	v_mov_b32_dpp v9, v6 row_shr:1 row_mask:0xf bank_mask:0xf
	s_and_saveexec_b64 s[48:49], s[46:47]
	s_cbranch_execz .LBB859_228
; %bb.227:
	v_cmp_eq_u32_e64 s[46:47], 0, v7
	v_and_b32_e32 v5, 0x10000, v7
	v_mov_b32_e32 v7, 1
	v_cndmask_b32_e64 v6, 0, v9, s[46:47]
	v_and_b32_sdwa v7, v9, v7 dst_sel:DWORD dst_unused:UNUSED_PAD src0_sel:WORD_1 src1_sel:DWORD
	v_cmp_ne_u32_e64 s[46:47], 0, v5
	v_add_u16_e32 v10, v6, v4
	v_add_u16_e32 v4, v6, v4
	v_cndmask_b32_e64 v5, v7, 1, s[46:47]
	v_lshlrev_b32_e32 v7, 16, v5
	v_or_b32_e32 v6, v7, v4
	v_mov_b32_e32 v4, v10
.LBB859_228:
	s_or_b64 exec, exec, s[48:49]
	v_lshrrev_b32_e32 v7, 16, v6
	v_mov_b32_dpp v9, v6 row_shr:2 row_mask:0xf bank_mask:0xf
	v_cmp_lt_u32_e64 s[46:47], 1, v8
	s_and_saveexec_b64 s[48:49], s[46:47]
	s_cbranch_execz .LBB859_230
; %bb.229:
	s_mov_b32 s46, 0x10000
	v_cmp_gt_u32_e64 s[46:47], s46, v6
	v_and_b32_e32 v5, 0x10000, v6
	v_mov_b32_e32 v6, 1
	v_cndmask_b32_e64 v7, 0, v9, s[46:47]
	v_and_b32_sdwa v6, v9, v6 dst_sel:DWORD dst_unused:UNUSED_PAD src0_sel:WORD_1 src1_sel:DWORD
	v_cmp_ne_u32_e64 s[46:47], 0, v5
	v_add_u16_e32 v10, v7, v4
	v_add_u16_e32 v4, v7, v4
	v_cndmask_b32_e64 v5, v6, 1, s[46:47]
	v_lshlrev_b32_e32 v6, 16, v5
	v_or_b32_e32 v6, v6, v4
	v_mov_b32_e32 v7, v5
	v_mov_b32_e32 v4, v10
.LBB859_230:
	s_or_b64 exec, exec, s[48:49]
	v_mov_b32_dpp v9, v6 row_shr:4 row_mask:0xf bank_mask:0xf
	v_cmp_lt_u32_e64 s[46:47], 3, v8
	s_and_saveexec_b64 s[48:49], s[46:47]
	s_cbranch_execz .LBB859_232
; %bb.231:
	v_cmp_eq_u16_e64 s[46:47], 0, v7
	v_and_b32_e32 v5, 1, v7
	v_mov_b32_e32 v7, 1
	v_cndmask_b32_e64 v6, 0, v9, s[46:47]
	v_and_b32_sdwa v7, v9, v7 dst_sel:DWORD dst_unused:UNUSED_PAD src0_sel:WORD_1 src1_sel:DWORD
	v_cmp_eq_u32_e64 s[46:47], 1, v5
	v_add_u16_e32 v10, v6, v4
	v_add_u16_e32 v4, v6, v4
	v_cndmask_b32_e64 v5, v7, 1, s[46:47]
	v_lshlrev_b32_e32 v7, 16, v5
	v_or_b32_e32 v6, v7, v4
	v_mov_b32_e32 v7, v5
	v_mov_b32_e32 v4, v10
.LBB859_232:
	s_or_b64 exec, exec, s[48:49]
	v_mov_b32_dpp v9, v6 row_shr:8 row_mask:0xf bank_mask:0xf
	v_cmp_lt_u32_e64 s[46:47], 7, v8
	s_and_saveexec_b64 s[48:49], s[46:47]
	s_cbranch_execz .LBB859_234
; %bb.233:
	v_cmp_eq_u16_e64 s[46:47], 0, v7
	v_and_b32_e32 v5, 1, v7
	v_mov_b32_e32 v7, 1
	v_cndmask_b32_e64 v6, 0, v9, s[46:47]
	v_and_b32_sdwa v7, v9, v7 dst_sel:DWORD dst_unused:UNUSED_PAD src0_sel:WORD_1 src1_sel:DWORD
	v_cmp_eq_u32_e64 s[46:47], 1, v5
	v_add_u16_e32 v8, v6, v4
	v_add_u16_e32 v4, v6, v4
	v_cndmask_b32_e64 v5, v7, 1, s[46:47]
	v_lshlrev_b32_e32 v7, 16, v5
	v_or_b32_e32 v6, v7, v4
	v_mov_b32_e32 v7, v5
	v_mov_b32_e32 v4, v8
.LBB859_234:
	s_or_b64 exec, exec, s[48:49]
	v_and_b32_e32 v9, 16, v3
	v_mov_b32_dpp v8, v6 row_bcast:15 row_mask:0xf bank_mask:0xf
	v_cmp_ne_u32_e64 s[46:47], 0, v9
	s_and_saveexec_b64 s[48:49], s[46:47]
	s_cbranch_execz .LBB859_236
; %bb.235:
	v_cmp_eq_u16_e64 s[46:47], 0, v7
	v_and_b32_e32 v5, 1, v7
	v_mov_b32_e32 v7, 1
	v_cndmask_b32_e64 v6, 0, v8, s[46:47]
	v_and_b32_sdwa v7, v8, v7 dst_sel:DWORD dst_unused:UNUSED_PAD src0_sel:WORD_1 src1_sel:DWORD
	v_cmp_eq_u32_e64 s[46:47], 1, v5
	v_add_u16_e32 v9, v6, v4
	v_add_u16_e32 v4, v6, v4
	v_cndmask_b32_e64 v5, v7, 1, s[46:47]
	v_lshlrev_b32_e32 v7, 16, v5
	v_or_b32_e32 v6, v7, v4
	v_mov_b32_e32 v7, v5
	v_mov_b32_e32 v4, v9
.LBB859_236:
	s_or_b64 exec, exec, s[48:49]
	v_mov_b32_dpp v6, v6 row_bcast:31 row_mask:0xf bank_mask:0xf
	v_cmp_lt_u32_e64 s[46:47], 31, v3
	s_and_saveexec_b64 s[48:49], s[46:47]
; %bb.237:
	v_cmp_eq_u16_e64 s[46:47], 0, v7
	s_nop 1
	v_cndmask_b32_e64 v5, 0, v6, s[46:47]
	v_add_u16_e32 v4, v5, v4
	v_and_b32_e32 v5, 1, v7
	v_mov_b32_e32 v7, 1
	v_and_b32_sdwa v6, v6, v7 dst_sel:DWORD dst_unused:UNUSED_PAD src0_sel:WORD_1 src1_sel:DWORD
	v_cmp_eq_u32_e64 s[46:47], 1, v5
	s_nop 1
	v_cndmask_b32_e64 v5, v6, 1, s[46:47]
; %bb.238:
	s_or_b64 exec, exec, s[48:49]
	v_or_b32_e32 v7, 63, v0
	v_lshrrev_b32_e32 v6, 6, v0
	v_cmp_eq_u32_e64 s[46:47], v7, v0
	s_and_saveexec_b64 s[48:49], s[46:47]
	s_cbranch_execz .LBB859_240
; %bb.239:
	v_lshlrev_b32_e32 v7, 2, v6
	ds_write_b16 v7, v4
	ds_write_b8 v7, v5 offset:2
.LBB859_240:
	s_or_b64 exec, exec, s[48:49]
	v_cmp_gt_u32_e64 s[46:47], 4, v0
	s_waitcnt lgkmcnt(0)
	s_barrier
	s_and_saveexec_b64 s[48:49], s[46:47]
	s_cbranch_execz .LBB859_246
; %bb.241:
	v_lshlrev_b32_e32 v7, 2, v0
	ds_read_b32 v8, v7
	v_and_b32_e32 v11, 3, v3
	v_cmp_ne_u32_e64 s[46:47], 0, v11
	s_waitcnt lgkmcnt(0)
	v_lshrrev_b32_e32 v10, 16, v8
	v_mov_b32_dpp v12, v8 row_shr:1 row_mask:0xf bank_mask:0xf
	v_mov_b32_e32 v9, v8
	s_and_saveexec_b64 s[50:51], s[46:47]
	s_cbranch_execz .LBB859_243
; %bb.242:
	v_mov_b32_e32 v9, 0
	v_cmp_eq_u16_sdwa s[46:47], v10, v9 src0_sel:BYTE_0 src1_sel:DWORD
	v_and_b32_e32 v10, 0x10000, v8
	v_mov_b32_e32 v15, 1
	v_cndmask_b32_e64 v14, 0, v12, s[46:47]
	v_and_b32_sdwa v12, v12, v15 dst_sel:DWORD dst_unused:UNUSED_PAD src0_sel:WORD_1 src1_sel:DWORD
	v_cmp_ne_u32_e64 s[46:47], 0, v10
	v_and_b32_e32 v13, 0xff000000, v8
	v_add_u16_e32 v9, v14, v8
	v_cndmask_b32_e64 v10, v12, 1, s[46:47]
	v_lshlrev_b32_e32 v12, 16, v10
	v_add_u16_e32 v8, v14, v8
	v_or3_b32 v8, v12, v13, v8
.LBB859_243:
	s_or_b64 exec, exec, s[50:51]
	s_nop 0
	v_mov_b32_dpp v12, v8 row_shr:2 row_mask:0xf bank_mask:0xf
	v_cmp_lt_u32_e64 s[46:47], 1, v11
	s_and_saveexec_b64 s[50:51], s[46:47]
; %bb.244:
	v_and_b32_e32 v10, 0xff0000, v8
	v_cmp_eq_u32_e64 s[46:47], 0, v10
	v_and_b32_e32 v8, 0x10000, v8
	s_nop 0
	v_cndmask_b32_e64 v10, 0, v12, s[46:47]
	v_add_u16_e32 v9, v10, v9
	v_mov_b32_e32 v10, 1
	v_and_b32_sdwa v10, v12, v10 dst_sel:DWORD dst_unused:UNUSED_PAD src0_sel:WORD_1 src1_sel:DWORD
	v_cmp_eq_u32_e64 s[46:47], 0, v8
	s_nop 1
	v_cndmask_b32_e64 v10, 1, v10, s[46:47]
; %bb.245:
	s_or_b64 exec, exec, s[50:51]
	ds_write_b16 v7, v9
	ds_write_b8 v7, v10 offset:2
.LBB859_246:
	s_or_b64 exec, exec, s[48:49]
	v_cmp_lt_u32_e64 s[46:47], 63, v0
	v_mov_b32_e32 v8, 0
	s_waitcnt vmcnt(0)
	v_mov_b32_e32 v7, v2
	s_waitcnt lgkmcnt(0)
	s_barrier
	s_and_saveexec_b64 s[48:49], s[46:47]
	s_cbranch_execz .LBB859_248
; %bb.247:
	v_lshl_add_u32 v6, v6, 2, -4
	ds_read_u8 v8, v6 offset:2
	ds_read_u16 v6, v6
	s_waitcnt lgkmcnt(1)
	v_cmp_eq_u16_e64 s[46:47], 0, v8
	s_nop 1
	v_cndmask_b32_e64 v7, 0, v2, s[46:47]
	s_waitcnt lgkmcnt(0)
	v_add_u16_e32 v7, v7, v6
.LBB859_248:
	s_or_b64 exec, exec, s[48:49]
	v_cmp_eq_u16_e64 s[46:47], 0, v5
	v_and_b32_e32 v5, 1, v5
	v_lshlrev_b32_e32 v8, 16, v8
	v_cndmask_b32_e64 v6, 0, v7, s[46:47]
	v_mov_b32_e32 v9, 0x10000
	v_cmp_eq_u32_e64 s[46:47], 1, v5
	v_add_u16_e32 v4, v6, v4
	v_and_b32_e32 v6, 64, v3
	v_cndmask_b32_e64 v5, v8, v9, s[46:47]
	v_or_b32_e32 v4, v5, v4
	v_add_u32_e32 v5, -1, v3
	v_cmp_lt_i32_e64 s[46:47], v5, v6
	s_nop 1
	v_cndmask_b32_e64 v5, v5, v3, s[46:47]
	v_lshlrev_b32_e32 v5, 2, v5
	ds_bpermute_b32 v4, v5, v4
	v_cmp_eq_u32_e64 s[46:47], 0, v3
	s_waitcnt lgkmcnt(0)
	s_nop 0
	v_cndmask_b32_e64 v6, v4, v7, s[46:47]
	v_cmp_eq_u32_e64 s[46:47], 0, v0
	v_and_b32_e32 v4, 0xff0000, v1
	v_cmp_eq_u32_e64 s[48:49], 0, v4
	v_cndmask_b32_e64 v3, v6, v2, s[46:47]
	s_nop 0
	v_cndmask_b32_e64 v3, 0, v3, s[48:49]
	v_add_u16_e32 v4, v3, v1
	v_cndmask_b32_e32 v1, 0, v4, vcc
	v_add_u16_e32 v5, v1, v18
	v_cndmask_b32_e64 v1, 0, v5, s[2:3]
	v_add_u16_e32 v7, v1, v25
	v_cndmask_b32_e64 v1, 0, v7, s[4:5]
	;; [unrolled: 2-line block ×21, first 2 shown]
	s_and_saveexec_b64 s[2:3], s[46:47]
	s_cbranch_execz .LBB859_250
; %bb.249:
	v_mov_b32_e32 v3, 0
	ds_read_u8 v6, v3 offset:14
	ds_read_u16 v12, v3 offset:12
	v_mov_b32_e32 v13, 2
	s_waitcnt lgkmcnt(1)
	v_cmp_eq_u32_e32 vcc, 0, v6
	v_lshlrev_b32_e32 v14, 16, v6
	s_nop 0
	v_cndmask_b32_e32 v6, 0, v2, vcc
	s_waitcnt lgkmcnt(0)
	v_add_u32_e32 v6, v6, v12
	v_or_b32_sdwa v12, v14, v6 dst_sel:DWORD dst_unused:UNUSED_PAD src0_sel:DWORD src1_sel:WORD_0
	v_mov_b32_e32 v6, v2
	global_store_dwordx2 v3, v[12:13], s[56:57] offset:512 sc1
.LBB859_250:
	s_or_b64 exec, exec, s[2:3]
	v_add_u16_e32 v53, v1, v40
.LBB859_251:
	s_add_u32 s2, s54, s64
	s_addc_u32 s3, s55, s65
	s_add_u32 s2, s2, s66
	v_mul_u32_u24_e32 v1, 24, v0
	s_addc_u32 s3, s3, s67
	s_and_b64 vcc, exec, s[0:1]
	v_lshlrev_b32_e32 v12, 1, v1
	s_cbranch_vccz .LBB859_299
; %bb.252:
	s_mov_b32 s0, 0x5040100
	v_perm_b32 v21, v16, v11, s0
	v_perm_b32 v20, v9, v8, s0
	;; [unrolled: 1-line block ×4, first 2 shown]
	s_barrier
	ds_write_b128 v12, v[18:21]
	v_perm_b32 v21, v47, v45, s0
	v_perm_b32 v20, v43, v42, s0
	;; [unrolled: 1-line block ×4, first 2 shown]
	ds_write_b128 v12, v[18:21] offset:16
	v_perm_b32 v21, v53, v52, s0
	v_perm_b32 v20, v51, v50, s0
	v_perm_b32 v19, v49, v48, s0
	v_perm_b32 v18, v46, v44, s0
	s_movk_i32 s0, 0xffd2
	v_mad_i32_i24 v2, v0, s0, v12
	ds_write_b128 v12, v[18:21] offset:32
	s_waitcnt lgkmcnt(0)
	s_barrier
	ds_read_u16 v39, v2 offset:512
	ds_read_u16 v38, v2 offset:1024
	;; [unrolled: 1-line block ×23, first 2 shown]
	s_add_i32 s33, s33, s58
	v_mov_b32_e32 v27, 0
	v_lshl_add_u64 v[2:3], s[2:3], 0, v[26:27]
	v_cmp_gt_u32_e32 vcc, s33, v0
	s_and_saveexec_b64 s[0:1], vcc
	s_cbranch_execz .LBB859_254
; %bb.253:
	v_mul_i32_i24_e32 v40, 0xffffffd2, v0
	v_add_u32_e32 v40, v12, v40
	ds_read_u16 v40, v40
	s_waitcnt lgkmcnt(0)
	flat_store_short v[2:3], v40
.LBB859_254:
	s_or_b64 exec, exec, s[0:1]
	v_or_b32_e32 v40, 0x100, v0
	v_cmp_gt_u32_e32 vcc, s33, v40
	s_and_saveexec_b64 s[0:1], vcc
	s_cbranch_execz .LBB859_256
; %bb.255:
	s_waitcnt lgkmcnt(0)
	flat_store_short v[2:3], v39 offset:512
.LBB859_256:
	s_or_b64 exec, exec, s[0:1]
	s_waitcnt lgkmcnt(0)
	v_or_b32_e32 v39, 0x200, v0
	v_cmp_gt_u32_e32 vcc, s33, v39
	s_and_saveexec_b64 s[0:1], vcc
	s_cbranch_execz .LBB859_258
; %bb.257:
	flat_store_short v[2:3], v38 offset:1024
.LBB859_258:
	s_or_b64 exec, exec, s[0:1]
	v_or_b32_e32 v38, 0x300, v0
	v_cmp_gt_u32_e32 vcc, s33, v38
	s_and_saveexec_b64 s[0:1], vcc
	s_cbranch_execz .LBB859_260
; %bb.259:
	flat_store_short v[2:3], v37 offset:1536
.LBB859_260:
	s_or_b64 exec, exec, s[0:1]
	;; [unrolled: 8-line block ×6, first 2 shown]
	v_or_b32_e32 v33, 0x800, v0
	v_cmp_gt_u32_e32 vcc, s33, v33
	s_and_saveexec_b64 s[0:1], vcc
	s_cbranch_execz .LBB859_270
; %bb.269:
	v_add_co_u32_e32 v34, vcc, 0x1000, v2
	s_nop 1
	v_addc_co_u32_e32 v35, vcc, 0, v3, vcc
	flat_store_short v[34:35], v32
.LBB859_270:
	s_or_b64 exec, exec, s[0:1]
	v_or_b32_e32 v32, 0x900, v0
	v_cmp_gt_u32_e32 vcc, s33, v32
	s_and_saveexec_b64 s[0:1], vcc
	s_cbranch_execz .LBB859_272
; %bb.271:
	v_add_co_u32_e32 v32, vcc, 0x1000, v2
	s_nop 1
	v_addc_co_u32_e32 v33, vcc, 0, v3, vcc
	flat_store_short v[32:33], v31 offset:512
.LBB859_272:
	s_or_b64 exec, exec, s[0:1]
	v_or_b32_e32 v31, 0xa00, v0
	v_cmp_gt_u32_e32 vcc, s33, v31
	s_and_saveexec_b64 s[0:1], vcc
	s_cbranch_execz .LBB859_274
; %bb.273:
	v_add_co_u32_e32 v32, vcc, 0x1000, v2
	s_nop 1
	v_addc_co_u32_e32 v33, vcc, 0, v3, vcc
	flat_store_short v[32:33], v30 offset:1024
.LBB859_274:
	s_or_b64 exec, exec, s[0:1]
	v_or_b32_e32 v30, 0xb00, v0
	v_cmp_gt_u32_e32 vcc, s33, v30
	s_and_saveexec_b64 s[0:1], vcc
	s_cbranch_execz .LBB859_276
; %bb.275:
	v_add_co_u32_e32 v30, vcc, 0x1000, v2
	s_nop 1
	v_addc_co_u32_e32 v31, vcc, 0, v3, vcc
	flat_store_short v[30:31], v29 offset:1536
.LBB859_276:
	s_or_b64 exec, exec, s[0:1]
	v_or_b32_e32 v29, 0xc00, v0
	v_cmp_gt_u32_e32 vcc, s33, v29
	s_and_saveexec_b64 s[0:1], vcc
	s_cbranch_execz .LBB859_278
; %bb.277:
	v_add_co_u32_e32 v30, vcc, 0x1000, v2
	s_nop 1
	v_addc_co_u32_e32 v31, vcc, 0, v3, vcc
	flat_store_short v[30:31], v28 offset:2048
.LBB859_278:
	s_or_b64 exec, exec, s[0:1]
	v_or_b32_e32 v28, 0xd00, v0
	v_cmp_gt_u32_e32 vcc, s33, v28
	s_and_saveexec_b64 s[0:1], vcc
	s_cbranch_execz .LBB859_280
; %bb.279:
	v_add_co_u32_e32 v28, vcc, 0x1000, v2
	s_nop 1
	v_addc_co_u32_e32 v29, vcc, 0, v3, vcc
	flat_store_short v[28:29], v25 offset:2560
.LBB859_280:
	s_or_b64 exec, exec, s[0:1]
	v_or_b32_e32 v25, 0xe00, v0
	v_cmp_gt_u32_e32 vcc, s33, v25
	s_and_saveexec_b64 s[0:1], vcc
	s_cbranch_execz .LBB859_282
; %bb.281:
	v_add_co_u32_e32 v28, vcc, 0x1000, v2
	s_nop 1
	v_addc_co_u32_e32 v29, vcc, 0, v3, vcc
	flat_store_short v[28:29], v24 offset:3072
.LBB859_282:
	s_or_b64 exec, exec, s[0:1]
	v_or_b32_e32 v24, 0xf00, v0
	v_cmp_gt_u32_e32 vcc, s33, v24
	s_and_saveexec_b64 s[0:1], vcc
	s_cbranch_execz .LBB859_284
; %bb.283:
	v_add_co_u32_e32 v24, vcc, 0x1000, v2
	s_nop 1
	v_addc_co_u32_e32 v25, vcc, 0, v3, vcc
	flat_store_short v[24:25], v23 offset:3584
.LBB859_284:
	s_or_b64 exec, exec, s[0:1]
	v_or_b32_e32 v23, 0x1000, v0
	v_cmp_gt_u32_e32 vcc, s33, v23
	s_and_saveexec_b64 s[0:1], vcc
	s_cbranch_execz .LBB859_286
; %bb.285:
	v_add_co_u32_e32 v24, vcc, 0x2000, v2
	s_nop 1
	v_addc_co_u32_e32 v25, vcc, 0, v3, vcc
	flat_store_short v[24:25], v22
.LBB859_286:
	s_or_b64 exec, exec, s[0:1]
	v_or_b32_e32 v22, 0x1100, v0
	v_cmp_gt_u32_e32 vcc, s33, v22
	s_and_saveexec_b64 s[0:1], vcc
	s_cbranch_execz .LBB859_288
; %bb.287:
	v_add_co_u32_e32 v22, vcc, 0x2000, v2
	s_nop 1
	v_addc_co_u32_e32 v23, vcc, 0, v3, vcc
	flat_store_short v[22:23], v21 offset:512
.LBB859_288:
	s_or_b64 exec, exec, s[0:1]
	v_or_b32_e32 v21, 0x1200, v0
	v_cmp_gt_u32_e32 vcc, s33, v21
	s_and_saveexec_b64 s[0:1], vcc
	s_cbranch_execz .LBB859_290
; %bb.289:
	v_add_co_u32_e32 v22, vcc, 0x2000, v2
	s_nop 1
	v_addc_co_u32_e32 v23, vcc, 0, v3, vcc
	flat_store_short v[22:23], v20 offset:1024
.LBB859_290:
	;; [unrolled: 11-line block ×6, first 2 shown]
	s_or_b64 exec, exec, s[0:1]
	v_or_b32_e32 v2, 0x1700, v0
	v_mov_b32_e32 v1, v27
	v_cmp_gt_u32_e64 s[0:1], s33, v2
	s_branch .LBB859_301
.LBB859_299:
	s_mov_b64 s[0:1], 0
                                        ; implicit-def: $vgpr13
	s_cbranch_execz .LBB859_301
; %bb.300:
	s_mov_b32 s4, 0x5040100
	v_perm_b32 v19, v7, v5, s4
	v_perm_b32 v18, v4, v6, s4
	;; [unrolled: 1-line block ×6, first 2 shown]
	s_waitcnt lgkmcnt(0)
	s_barrier
	v_perm_b32 v21, v16, v11, s4
	v_perm_b32 v20, v9, v8, s4
	ds_write_b128 v12, v[2:5] offset:16
	v_perm_b32 v5, v53, v52, s4
	v_perm_b32 v4, v51, v50, s4
	;; [unrolled: 1-line block ×4, first 2 shown]
	v_mov_b32_e32 v1, 0
	s_movk_i32 s4, 0xffd2
	ds_write_b128 v12, v[2:5] offset:32
	v_mad_i32_i24 v2, v0, s4, v12
	v_mov_b32_e32 v27, v1
	ds_write_b128 v12, v[18:21]
	s_waitcnt lgkmcnt(0)
	s_barrier
	ds_read_u16 v4, v2
	ds_read_u16 v5, v2 offset:512
	ds_read_u16 v6, v2 offset:1024
	ds_read_u16 v7, v2 offset:1536
	ds_read_u16 v8, v2 offset:2048
	ds_read_u16 v9, v2 offset:2560
	ds_read_u16 v10, v2 offset:3072
	ds_read_u16 v11, v2 offset:3584
	ds_read_u16 v12, v2 offset:4096
	ds_read_u16 v14, v2 offset:4608
	ds_read_u16 v15, v2 offset:5120
	ds_read_u16 v16, v2 offset:5632
	ds_read_u16 v17, v2 offset:6144
	ds_read_u16 v18, v2 offset:6656
	ds_read_u16 v19, v2 offset:7168
	ds_read_u16 v20, v2 offset:7680
	ds_read_u16 v21, v2 offset:8192
	ds_read_u16 v22, v2 offset:8704
	ds_read_u16 v23, v2 offset:9216
	ds_read_u16 v24, v2 offset:9728
	ds_read_u16 v25, v2 offset:10240
	ds_read_u16 v28, v2 offset:10752
	ds_read_u16 v29, v2 offset:11264
	ds_read_u16 v13, v2 offset:11776
	v_lshl_add_u64 v[2:3], s[2:3], 0, v[26:27]
	s_movk_i32 s4, 0x1000
	s_waitcnt lgkmcnt(0)
	flat_store_short v[2:3], v4
	flat_store_short v[2:3], v5 offset:512
	flat_store_short v[2:3], v6 offset:1024
	flat_store_short v[2:3], v7 offset:1536
	flat_store_short v[2:3], v8 offset:2048
	flat_store_short v[2:3], v9 offset:2560
	flat_store_short v[2:3], v10 offset:3072
	flat_store_short v[2:3], v11 offset:3584
	v_add_co_u32_e32 v4, vcc, s4, v2
	s_or_b64 s[0:1], s[0:1], exec
	s_nop 0
	v_addc_co_u32_e32 v5, vcc, 0, v3, vcc
	v_add_co_u32_e32 v2, vcc, 0x2000, v2
	flat_store_short v[4:5], v12
	flat_store_short v[4:5], v14 offset:512
	flat_store_short v[4:5], v15 offset:1024
	;; [unrolled: 1-line block ×7, first 2 shown]
	v_addc_co_u32_e32 v3, vcc, 0, v3, vcc
	flat_store_short v[2:3], v21
	flat_store_short v[2:3], v22 offset:512
	flat_store_short v[2:3], v23 offset:1024
	;; [unrolled: 1-line block ×6, first 2 shown]
.LBB859_301:
	s_and_saveexec_b64 s[4:5], s[0:1]
	s_cbranch_execz .LBB859_303
; %bb.302:
	v_lshl_add_u64 v[0:1], v[0:1], 1, s[2:3]
	v_add_co_u32_e32 v0, vcc, 0x2000, v0
	s_nop 1
	v_addc_co_u32_e32 v1, vcc, 0, v1, vcc
	flat_store_short v[0:1], v13 offset:3584
	s_endpgm
.LBB859_303:
	s_endpgm
	.section	.rodata,"a",@progbits
	.p2align	6, 0x0
	.amdhsa_kernel _ZN7rocprim17ROCPRIM_400000_NS6detail17trampoline_kernelINS0_14default_configENS1_27scan_by_key_config_selectorIssEEZZNS1_16scan_by_key_implILNS1_25lookback_scan_determinismE0ELb1ES3_N6thrust23THRUST_200600_302600_NS6detail15normal_iteratorINS9_10device_ptrIsEEEESE_SE_sNS9_4plusIsEE19head_flag_predicatesEE10hipError_tPvRmT2_T3_T4_T5_mT6_T7_P12ihipStream_tbENKUlT_T0_E_clISt17integral_constantIbLb0EESY_EEDaST_SU_EUlST_E_NS1_11comp_targetILNS1_3genE5ELNS1_11target_archE942ELNS1_3gpuE9ELNS1_3repE0EEENS1_30default_config_static_selectorELNS0_4arch9wavefront6targetE1EEEvT1_
		.amdhsa_group_segment_fixed_size 13312
		.amdhsa_private_segment_fixed_size 0
		.amdhsa_kernarg_size 112
		.amdhsa_user_sgpr_count 2
		.amdhsa_user_sgpr_dispatch_ptr 0
		.amdhsa_user_sgpr_queue_ptr 0
		.amdhsa_user_sgpr_kernarg_segment_ptr 1
		.amdhsa_user_sgpr_dispatch_id 0
		.amdhsa_user_sgpr_kernarg_preload_length 0
		.amdhsa_user_sgpr_kernarg_preload_offset 0
		.amdhsa_user_sgpr_private_segment_size 0
		.amdhsa_uses_dynamic_stack 0
		.amdhsa_enable_private_segment 0
		.amdhsa_system_sgpr_workgroup_id_x 1
		.amdhsa_system_sgpr_workgroup_id_y 0
		.amdhsa_system_sgpr_workgroup_id_z 0
		.amdhsa_system_sgpr_workgroup_info 0
		.amdhsa_system_vgpr_workitem_id 0
		.amdhsa_next_free_vgpr 60
		.amdhsa_next_free_sgpr 79
		.amdhsa_accum_offset 60
		.amdhsa_reserve_vcc 1
		.amdhsa_float_round_mode_32 0
		.amdhsa_float_round_mode_16_64 0
		.amdhsa_float_denorm_mode_32 3
		.amdhsa_float_denorm_mode_16_64 3
		.amdhsa_dx10_clamp 1
		.amdhsa_ieee_mode 1
		.amdhsa_fp16_overflow 0
		.amdhsa_tg_split 0
		.amdhsa_exception_fp_ieee_invalid_op 0
		.amdhsa_exception_fp_denorm_src 0
		.amdhsa_exception_fp_ieee_div_zero 0
		.amdhsa_exception_fp_ieee_overflow 0
		.amdhsa_exception_fp_ieee_underflow 0
		.amdhsa_exception_fp_ieee_inexact 0
		.amdhsa_exception_int_div_zero 0
	.end_amdhsa_kernel
	.section	.text._ZN7rocprim17ROCPRIM_400000_NS6detail17trampoline_kernelINS0_14default_configENS1_27scan_by_key_config_selectorIssEEZZNS1_16scan_by_key_implILNS1_25lookback_scan_determinismE0ELb1ES3_N6thrust23THRUST_200600_302600_NS6detail15normal_iteratorINS9_10device_ptrIsEEEESE_SE_sNS9_4plusIsEE19head_flag_predicatesEE10hipError_tPvRmT2_T3_T4_T5_mT6_T7_P12ihipStream_tbENKUlT_T0_E_clISt17integral_constantIbLb0EESY_EEDaST_SU_EUlST_E_NS1_11comp_targetILNS1_3genE5ELNS1_11target_archE942ELNS1_3gpuE9ELNS1_3repE0EEENS1_30default_config_static_selectorELNS0_4arch9wavefront6targetE1EEEvT1_,"axG",@progbits,_ZN7rocprim17ROCPRIM_400000_NS6detail17trampoline_kernelINS0_14default_configENS1_27scan_by_key_config_selectorIssEEZZNS1_16scan_by_key_implILNS1_25lookback_scan_determinismE0ELb1ES3_N6thrust23THRUST_200600_302600_NS6detail15normal_iteratorINS9_10device_ptrIsEEEESE_SE_sNS9_4plusIsEE19head_flag_predicatesEE10hipError_tPvRmT2_T3_T4_T5_mT6_T7_P12ihipStream_tbENKUlT_T0_E_clISt17integral_constantIbLb0EESY_EEDaST_SU_EUlST_E_NS1_11comp_targetILNS1_3genE5ELNS1_11target_archE942ELNS1_3gpuE9ELNS1_3repE0EEENS1_30default_config_static_selectorELNS0_4arch9wavefront6targetE1EEEvT1_,comdat
.Lfunc_end859:
	.size	_ZN7rocprim17ROCPRIM_400000_NS6detail17trampoline_kernelINS0_14default_configENS1_27scan_by_key_config_selectorIssEEZZNS1_16scan_by_key_implILNS1_25lookback_scan_determinismE0ELb1ES3_N6thrust23THRUST_200600_302600_NS6detail15normal_iteratorINS9_10device_ptrIsEEEESE_SE_sNS9_4plusIsEE19head_flag_predicatesEE10hipError_tPvRmT2_T3_T4_T5_mT6_T7_P12ihipStream_tbENKUlT_T0_E_clISt17integral_constantIbLb0EESY_EEDaST_SU_EUlST_E_NS1_11comp_targetILNS1_3genE5ELNS1_11target_archE942ELNS1_3gpuE9ELNS1_3repE0EEENS1_30default_config_static_selectorELNS0_4arch9wavefront6targetE1EEEvT1_, .Lfunc_end859-_ZN7rocprim17ROCPRIM_400000_NS6detail17trampoline_kernelINS0_14default_configENS1_27scan_by_key_config_selectorIssEEZZNS1_16scan_by_key_implILNS1_25lookback_scan_determinismE0ELb1ES3_N6thrust23THRUST_200600_302600_NS6detail15normal_iteratorINS9_10device_ptrIsEEEESE_SE_sNS9_4plusIsEE19head_flag_predicatesEE10hipError_tPvRmT2_T3_T4_T5_mT6_T7_P12ihipStream_tbENKUlT_T0_E_clISt17integral_constantIbLb0EESY_EEDaST_SU_EUlST_E_NS1_11comp_targetILNS1_3genE5ELNS1_11target_archE942ELNS1_3gpuE9ELNS1_3repE0EEENS1_30default_config_static_selectorELNS0_4arch9wavefront6targetE1EEEvT1_
                                        ; -- End function
	.section	.AMDGPU.csdata,"",@progbits
; Kernel info:
; codeLenInByte = 16220
; NumSgprs: 85
; NumVgprs: 60
; NumAgprs: 0
; TotalNumVgprs: 60
; ScratchSize: 0
; MemoryBound: 0
; FloatMode: 240
; IeeeMode: 1
; LDSByteSize: 13312 bytes/workgroup (compile time only)
; SGPRBlocks: 10
; VGPRBlocks: 7
; NumSGPRsForWavesPerEU: 85
; NumVGPRsForWavesPerEU: 60
; AccumOffset: 60
; Occupancy: 4
; WaveLimiterHint : 1
; COMPUTE_PGM_RSRC2:SCRATCH_EN: 0
; COMPUTE_PGM_RSRC2:USER_SGPR: 2
; COMPUTE_PGM_RSRC2:TRAP_HANDLER: 0
; COMPUTE_PGM_RSRC2:TGID_X_EN: 1
; COMPUTE_PGM_RSRC2:TGID_Y_EN: 0
; COMPUTE_PGM_RSRC2:TGID_Z_EN: 0
; COMPUTE_PGM_RSRC2:TIDIG_COMP_CNT: 0
; COMPUTE_PGM_RSRC3_GFX90A:ACCUM_OFFSET: 14
; COMPUTE_PGM_RSRC3_GFX90A:TG_SPLIT: 0
	.section	.text._ZN7rocprim17ROCPRIM_400000_NS6detail17trampoline_kernelINS0_14default_configENS1_27scan_by_key_config_selectorIssEEZZNS1_16scan_by_key_implILNS1_25lookback_scan_determinismE0ELb1ES3_N6thrust23THRUST_200600_302600_NS6detail15normal_iteratorINS9_10device_ptrIsEEEESE_SE_sNS9_4plusIsEE19head_flag_predicatesEE10hipError_tPvRmT2_T3_T4_T5_mT6_T7_P12ihipStream_tbENKUlT_T0_E_clISt17integral_constantIbLb0EESY_EEDaST_SU_EUlST_E_NS1_11comp_targetILNS1_3genE4ELNS1_11target_archE910ELNS1_3gpuE8ELNS1_3repE0EEENS1_30default_config_static_selectorELNS0_4arch9wavefront6targetE1EEEvT1_,"axG",@progbits,_ZN7rocprim17ROCPRIM_400000_NS6detail17trampoline_kernelINS0_14default_configENS1_27scan_by_key_config_selectorIssEEZZNS1_16scan_by_key_implILNS1_25lookback_scan_determinismE0ELb1ES3_N6thrust23THRUST_200600_302600_NS6detail15normal_iteratorINS9_10device_ptrIsEEEESE_SE_sNS9_4plusIsEE19head_flag_predicatesEE10hipError_tPvRmT2_T3_T4_T5_mT6_T7_P12ihipStream_tbENKUlT_T0_E_clISt17integral_constantIbLb0EESY_EEDaST_SU_EUlST_E_NS1_11comp_targetILNS1_3genE4ELNS1_11target_archE910ELNS1_3gpuE8ELNS1_3repE0EEENS1_30default_config_static_selectorELNS0_4arch9wavefront6targetE1EEEvT1_,comdat
	.protected	_ZN7rocprim17ROCPRIM_400000_NS6detail17trampoline_kernelINS0_14default_configENS1_27scan_by_key_config_selectorIssEEZZNS1_16scan_by_key_implILNS1_25lookback_scan_determinismE0ELb1ES3_N6thrust23THRUST_200600_302600_NS6detail15normal_iteratorINS9_10device_ptrIsEEEESE_SE_sNS9_4plusIsEE19head_flag_predicatesEE10hipError_tPvRmT2_T3_T4_T5_mT6_T7_P12ihipStream_tbENKUlT_T0_E_clISt17integral_constantIbLb0EESY_EEDaST_SU_EUlST_E_NS1_11comp_targetILNS1_3genE4ELNS1_11target_archE910ELNS1_3gpuE8ELNS1_3repE0EEENS1_30default_config_static_selectorELNS0_4arch9wavefront6targetE1EEEvT1_ ; -- Begin function _ZN7rocprim17ROCPRIM_400000_NS6detail17trampoline_kernelINS0_14default_configENS1_27scan_by_key_config_selectorIssEEZZNS1_16scan_by_key_implILNS1_25lookback_scan_determinismE0ELb1ES3_N6thrust23THRUST_200600_302600_NS6detail15normal_iteratorINS9_10device_ptrIsEEEESE_SE_sNS9_4plusIsEE19head_flag_predicatesEE10hipError_tPvRmT2_T3_T4_T5_mT6_T7_P12ihipStream_tbENKUlT_T0_E_clISt17integral_constantIbLb0EESY_EEDaST_SU_EUlST_E_NS1_11comp_targetILNS1_3genE4ELNS1_11target_archE910ELNS1_3gpuE8ELNS1_3repE0EEENS1_30default_config_static_selectorELNS0_4arch9wavefront6targetE1EEEvT1_
	.globl	_ZN7rocprim17ROCPRIM_400000_NS6detail17trampoline_kernelINS0_14default_configENS1_27scan_by_key_config_selectorIssEEZZNS1_16scan_by_key_implILNS1_25lookback_scan_determinismE0ELb1ES3_N6thrust23THRUST_200600_302600_NS6detail15normal_iteratorINS9_10device_ptrIsEEEESE_SE_sNS9_4plusIsEE19head_flag_predicatesEE10hipError_tPvRmT2_T3_T4_T5_mT6_T7_P12ihipStream_tbENKUlT_T0_E_clISt17integral_constantIbLb0EESY_EEDaST_SU_EUlST_E_NS1_11comp_targetILNS1_3genE4ELNS1_11target_archE910ELNS1_3gpuE8ELNS1_3repE0EEENS1_30default_config_static_selectorELNS0_4arch9wavefront6targetE1EEEvT1_
	.p2align	8
	.type	_ZN7rocprim17ROCPRIM_400000_NS6detail17trampoline_kernelINS0_14default_configENS1_27scan_by_key_config_selectorIssEEZZNS1_16scan_by_key_implILNS1_25lookback_scan_determinismE0ELb1ES3_N6thrust23THRUST_200600_302600_NS6detail15normal_iteratorINS9_10device_ptrIsEEEESE_SE_sNS9_4plusIsEE19head_flag_predicatesEE10hipError_tPvRmT2_T3_T4_T5_mT6_T7_P12ihipStream_tbENKUlT_T0_E_clISt17integral_constantIbLb0EESY_EEDaST_SU_EUlST_E_NS1_11comp_targetILNS1_3genE4ELNS1_11target_archE910ELNS1_3gpuE8ELNS1_3repE0EEENS1_30default_config_static_selectorELNS0_4arch9wavefront6targetE1EEEvT1_,@function
_ZN7rocprim17ROCPRIM_400000_NS6detail17trampoline_kernelINS0_14default_configENS1_27scan_by_key_config_selectorIssEEZZNS1_16scan_by_key_implILNS1_25lookback_scan_determinismE0ELb1ES3_N6thrust23THRUST_200600_302600_NS6detail15normal_iteratorINS9_10device_ptrIsEEEESE_SE_sNS9_4plusIsEE19head_flag_predicatesEE10hipError_tPvRmT2_T3_T4_T5_mT6_T7_P12ihipStream_tbENKUlT_T0_E_clISt17integral_constantIbLb0EESY_EEDaST_SU_EUlST_E_NS1_11comp_targetILNS1_3genE4ELNS1_11target_archE910ELNS1_3gpuE8ELNS1_3repE0EEENS1_30default_config_static_selectorELNS0_4arch9wavefront6targetE1EEEvT1_: ; @_ZN7rocprim17ROCPRIM_400000_NS6detail17trampoline_kernelINS0_14default_configENS1_27scan_by_key_config_selectorIssEEZZNS1_16scan_by_key_implILNS1_25lookback_scan_determinismE0ELb1ES3_N6thrust23THRUST_200600_302600_NS6detail15normal_iteratorINS9_10device_ptrIsEEEESE_SE_sNS9_4plusIsEE19head_flag_predicatesEE10hipError_tPvRmT2_T3_T4_T5_mT6_T7_P12ihipStream_tbENKUlT_T0_E_clISt17integral_constantIbLb0EESY_EEDaST_SU_EUlST_E_NS1_11comp_targetILNS1_3genE4ELNS1_11target_archE910ELNS1_3gpuE8ELNS1_3repE0EEENS1_30default_config_static_selectorELNS0_4arch9wavefront6targetE1EEEvT1_
; %bb.0:
	.section	.rodata,"a",@progbits
	.p2align	6, 0x0
	.amdhsa_kernel _ZN7rocprim17ROCPRIM_400000_NS6detail17trampoline_kernelINS0_14default_configENS1_27scan_by_key_config_selectorIssEEZZNS1_16scan_by_key_implILNS1_25lookback_scan_determinismE0ELb1ES3_N6thrust23THRUST_200600_302600_NS6detail15normal_iteratorINS9_10device_ptrIsEEEESE_SE_sNS9_4plusIsEE19head_flag_predicatesEE10hipError_tPvRmT2_T3_T4_T5_mT6_T7_P12ihipStream_tbENKUlT_T0_E_clISt17integral_constantIbLb0EESY_EEDaST_SU_EUlST_E_NS1_11comp_targetILNS1_3genE4ELNS1_11target_archE910ELNS1_3gpuE8ELNS1_3repE0EEENS1_30default_config_static_selectorELNS0_4arch9wavefront6targetE1EEEvT1_
		.amdhsa_group_segment_fixed_size 0
		.amdhsa_private_segment_fixed_size 0
		.amdhsa_kernarg_size 112
		.amdhsa_user_sgpr_count 2
		.amdhsa_user_sgpr_dispatch_ptr 0
		.amdhsa_user_sgpr_queue_ptr 0
		.amdhsa_user_sgpr_kernarg_segment_ptr 1
		.amdhsa_user_sgpr_dispatch_id 0
		.amdhsa_user_sgpr_kernarg_preload_length 0
		.amdhsa_user_sgpr_kernarg_preload_offset 0
		.amdhsa_user_sgpr_private_segment_size 0
		.amdhsa_uses_dynamic_stack 0
		.amdhsa_enable_private_segment 0
		.amdhsa_system_sgpr_workgroup_id_x 1
		.amdhsa_system_sgpr_workgroup_id_y 0
		.amdhsa_system_sgpr_workgroup_id_z 0
		.amdhsa_system_sgpr_workgroup_info 0
		.amdhsa_system_vgpr_workitem_id 0
		.amdhsa_next_free_vgpr 1
		.amdhsa_next_free_sgpr 0
		.amdhsa_accum_offset 4
		.amdhsa_reserve_vcc 0
		.amdhsa_float_round_mode_32 0
		.amdhsa_float_round_mode_16_64 0
		.amdhsa_float_denorm_mode_32 3
		.amdhsa_float_denorm_mode_16_64 3
		.amdhsa_dx10_clamp 1
		.amdhsa_ieee_mode 1
		.amdhsa_fp16_overflow 0
		.amdhsa_tg_split 0
		.amdhsa_exception_fp_ieee_invalid_op 0
		.amdhsa_exception_fp_denorm_src 0
		.amdhsa_exception_fp_ieee_div_zero 0
		.amdhsa_exception_fp_ieee_overflow 0
		.amdhsa_exception_fp_ieee_underflow 0
		.amdhsa_exception_fp_ieee_inexact 0
		.amdhsa_exception_int_div_zero 0
	.end_amdhsa_kernel
	.section	.text._ZN7rocprim17ROCPRIM_400000_NS6detail17trampoline_kernelINS0_14default_configENS1_27scan_by_key_config_selectorIssEEZZNS1_16scan_by_key_implILNS1_25lookback_scan_determinismE0ELb1ES3_N6thrust23THRUST_200600_302600_NS6detail15normal_iteratorINS9_10device_ptrIsEEEESE_SE_sNS9_4plusIsEE19head_flag_predicatesEE10hipError_tPvRmT2_T3_T4_T5_mT6_T7_P12ihipStream_tbENKUlT_T0_E_clISt17integral_constantIbLb0EESY_EEDaST_SU_EUlST_E_NS1_11comp_targetILNS1_3genE4ELNS1_11target_archE910ELNS1_3gpuE8ELNS1_3repE0EEENS1_30default_config_static_selectorELNS0_4arch9wavefront6targetE1EEEvT1_,"axG",@progbits,_ZN7rocprim17ROCPRIM_400000_NS6detail17trampoline_kernelINS0_14default_configENS1_27scan_by_key_config_selectorIssEEZZNS1_16scan_by_key_implILNS1_25lookback_scan_determinismE0ELb1ES3_N6thrust23THRUST_200600_302600_NS6detail15normal_iteratorINS9_10device_ptrIsEEEESE_SE_sNS9_4plusIsEE19head_flag_predicatesEE10hipError_tPvRmT2_T3_T4_T5_mT6_T7_P12ihipStream_tbENKUlT_T0_E_clISt17integral_constantIbLb0EESY_EEDaST_SU_EUlST_E_NS1_11comp_targetILNS1_3genE4ELNS1_11target_archE910ELNS1_3gpuE8ELNS1_3repE0EEENS1_30default_config_static_selectorELNS0_4arch9wavefront6targetE1EEEvT1_,comdat
.Lfunc_end860:
	.size	_ZN7rocprim17ROCPRIM_400000_NS6detail17trampoline_kernelINS0_14default_configENS1_27scan_by_key_config_selectorIssEEZZNS1_16scan_by_key_implILNS1_25lookback_scan_determinismE0ELb1ES3_N6thrust23THRUST_200600_302600_NS6detail15normal_iteratorINS9_10device_ptrIsEEEESE_SE_sNS9_4plusIsEE19head_flag_predicatesEE10hipError_tPvRmT2_T3_T4_T5_mT6_T7_P12ihipStream_tbENKUlT_T0_E_clISt17integral_constantIbLb0EESY_EEDaST_SU_EUlST_E_NS1_11comp_targetILNS1_3genE4ELNS1_11target_archE910ELNS1_3gpuE8ELNS1_3repE0EEENS1_30default_config_static_selectorELNS0_4arch9wavefront6targetE1EEEvT1_, .Lfunc_end860-_ZN7rocprim17ROCPRIM_400000_NS6detail17trampoline_kernelINS0_14default_configENS1_27scan_by_key_config_selectorIssEEZZNS1_16scan_by_key_implILNS1_25lookback_scan_determinismE0ELb1ES3_N6thrust23THRUST_200600_302600_NS6detail15normal_iteratorINS9_10device_ptrIsEEEESE_SE_sNS9_4plusIsEE19head_flag_predicatesEE10hipError_tPvRmT2_T3_T4_T5_mT6_T7_P12ihipStream_tbENKUlT_T0_E_clISt17integral_constantIbLb0EESY_EEDaST_SU_EUlST_E_NS1_11comp_targetILNS1_3genE4ELNS1_11target_archE910ELNS1_3gpuE8ELNS1_3repE0EEENS1_30default_config_static_selectorELNS0_4arch9wavefront6targetE1EEEvT1_
                                        ; -- End function
	.section	.AMDGPU.csdata,"",@progbits
; Kernel info:
; codeLenInByte = 0
; NumSgprs: 6
; NumVgprs: 0
; NumAgprs: 0
; TotalNumVgprs: 0
; ScratchSize: 0
; MemoryBound: 0
; FloatMode: 240
; IeeeMode: 1
; LDSByteSize: 0 bytes/workgroup (compile time only)
; SGPRBlocks: 0
; VGPRBlocks: 0
; NumSGPRsForWavesPerEU: 6
; NumVGPRsForWavesPerEU: 1
; AccumOffset: 4
; Occupancy: 8
; WaveLimiterHint : 0
; COMPUTE_PGM_RSRC2:SCRATCH_EN: 0
; COMPUTE_PGM_RSRC2:USER_SGPR: 2
; COMPUTE_PGM_RSRC2:TRAP_HANDLER: 0
; COMPUTE_PGM_RSRC2:TGID_X_EN: 1
; COMPUTE_PGM_RSRC2:TGID_Y_EN: 0
; COMPUTE_PGM_RSRC2:TGID_Z_EN: 0
; COMPUTE_PGM_RSRC2:TIDIG_COMP_CNT: 0
; COMPUTE_PGM_RSRC3_GFX90A:ACCUM_OFFSET: 0
; COMPUTE_PGM_RSRC3_GFX90A:TG_SPLIT: 0
	.section	.text._ZN7rocprim17ROCPRIM_400000_NS6detail17trampoline_kernelINS0_14default_configENS1_27scan_by_key_config_selectorIssEEZZNS1_16scan_by_key_implILNS1_25lookback_scan_determinismE0ELb1ES3_N6thrust23THRUST_200600_302600_NS6detail15normal_iteratorINS9_10device_ptrIsEEEESE_SE_sNS9_4plusIsEE19head_flag_predicatesEE10hipError_tPvRmT2_T3_T4_T5_mT6_T7_P12ihipStream_tbENKUlT_T0_E_clISt17integral_constantIbLb0EESY_EEDaST_SU_EUlST_E_NS1_11comp_targetILNS1_3genE3ELNS1_11target_archE908ELNS1_3gpuE7ELNS1_3repE0EEENS1_30default_config_static_selectorELNS0_4arch9wavefront6targetE1EEEvT1_,"axG",@progbits,_ZN7rocprim17ROCPRIM_400000_NS6detail17trampoline_kernelINS0_14default_configENS1_27scan_by_key_config_selectorIssEEZZNS1_16scan_by_key_implILNS1_25lookback_scan_determinismE0ELb1ES3_N6thrust23THRUST_200600_302600_NS6detail15normal_iteratorINS9_10device_ptrIsEEEESE_SE_sNS9_4plusIsEE19head_flag_predicatesEE10hipError_tPvRmT2_T3_T4_T5_mT6_T7_P12ihipStream_tbENKUlT_T0_E_clISt17integral_constantIbLb0EESY_EEDaST_SU_EUlST_E_NS1_11comp_targetILNS1_3genE3ELNS1_11target_archE908ELNS1_3gpuE7ELNS1_3repE0EEENS1_30default_config_static_selectorELNS0_4arch9wavefront6targetE1EEEvT1_,comdat
	.protected	_ZN7rocprim17ROCPRIM_400000_NS6detail17trampoline_kernelINS0_14default_configENS1_27scan_by_key_config_selectorIssEEZZNS1_16scan_by_key_implILNS1_25lookback_scan_determinismE0ELb1ES3_N6thrust23THRUST_200600_302600_NS6detail15normal_iteratorINS9_10device_ptrIsEEEESE_SE_sNS9_4plusIsEE19head_flag_predicatesEE10hipError_tPvRmT2_T3_T4_T5_mT6_T7_P12ihipStream_tbENKUlT_T0_E_clISt17integral_constantIbLb0EESY_EEDaST_SU_EUlST_E_NS1_11comp_targetILNS1_3genE3ELNS1_11target_archE908ELNS1_3gpuE7ELNS1_3repE0EEENS1_30default_config_static_selectorELNS0_4arch9wavefront6targetE1EEEvT1_ ; -- Begin function _ZN7rocprim17ROCPRIM_400000_NS6detail17trampoline_kernelINS0_14default_configENS1_27scan_by_key_config_selectorIssEEZZNS1_16scan_by_key_implILNS1_25lookback_scan_determinismE0ELb1ES3_N6thrust23THRUST_200600_302600_NS6detail15normal_iteratorINS9_10device_ptrIsEEEESE_SE_sNS9_4plusIsEE19head_flag_predicatesEE10hipError_tPvRmT2_T3_T4_T5_mT6_T7_P12ihipStream_tbENKUlT_T0_E_clISt17integral_constantIbLb0EESY_EEDaST_SU_EUlST_E_NS1_11comp_targetILNS1_3genE3ELNS1_11target_archE908ELNS1_3gpuE7ELNS1_3repE0EEENS1_30default_config_static_selectorELNS0_4arch9wavefront6targetE1EEEvT1_
	.globl	_ZN7rocprim17ROCPRIM_400000_NS6detail17trampoline_kernelINS0_14default_configENS1_27scan_by_key_config_selectorIssEEZZNS1_16scan_by_key_implILNS1_25lookback_scan_determinismE0ELb1ES3_N6thrust23THRUST_200600_302600_NS6detail15normal_iteratorINS9_10device_ptrIsEEEESE_SE_sNS9_4plusIsEE19head_flag_predicatesEE10hipError_tPvRmT2_T3_T4_T5_mT6_T7_P12ihipStream_tbENKUlT_T0_E_clISt17integral_constantIbLb0EESY_EEDaST_SU_EUlST_E_NS1_11comp_targetILNS1_3genE3ELNS1_11target_archE908ELNS1_3gpuE7ELNS1_3repE0EEENS1_30default_config_static_selectorELNS0_4arch9wavefront6targetE1EEEvT1_
	.p2align	8
	.type	_ZN7rocprim17ROCPRIM_400000_NS6detail17trampoline_kernelINS0_14default_configENS1_27scan_by_key_config_selectorIssEEZZNS1_16scan_by_key_implILNS1_25lookback_scan_determinismE0ELb1ES3_N6thrust23THRUST_200600_302600_NS6detail15normal_iteratorINS9_10device_ptrIsEEEESE_SE_sNS9_4plusIsEE19head_flag_predicatesEE10hipError_tPvRmT2_T3_T4_T5_mT6_T7_P12ihipStream_tbENKUlT_T0_E_clISt17integral_constantIbLb0EESY_EEDaST_SU_EUlST_E_NS1_11comp_targetILNS1_3genE3ELNS1_11target_archE908ELNS1_3gpuE7ELNS1_3repE0EEENS1_30default_config_static_selectorELNS0_4arch9wavefront6targetE1EEEvT1_,@function
_ZN7rocprim17ROCPRIM_400000_NS6detail17trampoline_kernelINS0_14default_configENS1_27scan_by_key_config_selectorIssEEZZNS1_16scan_by_key_implILNS1_25lookback_scan_determinismE0ELb1ES3_N6thrust23THRUST_200600_302600_NS6detail15normal_iteratorINS9_10device_ptrIsEEEESE_SE_sNS9_4plusIsEE19head_flag_predicatesEE10hipError_tPvRmT2_T3_T4_T5_mT6_T7_P12ihipStream_tbENKUlT_T0_E_clISt17integral_constantIbLb0EESY_EEDaST_SU_EUlST_E_NS1_11comp_targetILNS1_3genE3ELNS1_11target_archE908ELNS1_3gpuE7ELNS1_3repE0EEENS1_30default_config_static_selectorELNS0_4arch9wavefront6targetE1EEEvT1_: ; @_ZN7rocprim17ROCPRIM_400000_NS6detail17trampoline_kernelINS0_14default_configENS1_27scan_by_key_config_selectorIssEEZZNS1_16scan_by_key_implILNS1_25lookback_scan_determinismE0ELb1ES3_N6thrust23THRUST_200600_302600_NS6detail15normal_iteratorINS9_10device_ptrIsEEEESE_SE_sNS9_4plusIsEE19head_flag_predicatesEE10hipError_tPvRmT2_T3_T4_T5_mT6_T7_P12ihipStream_tbENKUlT_T0_E_clISt17integral_constantIbLb0EESY_EEDaST_SU_EUlST_E_NS1_11comp_targetILNS1_3genE3ELNS1_11target_archE908ELNS1_3gpuE7ELNS1_3repE0EEENS1_30default_config_static_selectorELNS0_4arch9wavefront6targetE1EEEvT1_
; %bb.0:
	.section	.rodata,"a",@progbits
	.p2align	6, 0x0
	.amdhsa_kernel _ZN7rocprim17ROCPRIM_400000_NS6detail17trampoline_kernelINS0_14default_configENS1_27scan_by_key_config_selectorIssEEZZNS1_16scan_by_key_implILNS1_25lookback_scan_determinismE0ELb1ES3_N6thrust23THRUST_200600_302600_NS6detail15normal_iteratorINS9_10device_ptrIsEEEESE_SE_sNS9_4plusIsEE19head_flag_predicatesEE10hipError_tPvRmT2_T3_T4_T5_mT6_T7_P12ihipStream_tbENKUlT_T0_E_clISt17integral_constantIbLb0EESY_EEDaST_SU_EUlST_E_NS1_11comp_targetILNS1_3genE3ELNS1_11target_archE908ELNS1_3gpuE7ELNS1_3repE0EEENS1_30default_config_static_selectorELNS0_4arch9wavefront6targetE1EEEvT1_
		.amdhsa_group_segment_fixed_size 0
		.amdhsa_private_segment_fixed_size 0
		.amdhsa_kernarg_size 112
		.amdhsa_user_sgpr_count 2
		.amdhsa_user_sgpr_dispatch_ptr 0
		.amdhsa_user_sgpr_queue_ptr 0
		.amdhsa_user_sgpr_kernarg_segment_ptr 1
		.amdhsa_user_sgpr_dispatch_id 0
		.amdhsa_user_sgpr_kernarg_preload_length 0
		.amdhsa_user_sgpr_kernarg_preload_offset 0
		.amdhsa_user_sgpr_private_segment_size 0
		.amdhsa_uses_dynamic_stack 0
		.amdhsa_enable_private_segment 0
		.amdhsa_system_sgpr_workgroup_id_x 1
		.amdhsa_system_sgpr_workgroup_id_y 0
		.amdhsa_system_sgpr_workgroup_id_z 0
		.amdhsa_system_sgpr_workgroup_info 0
		.amdhsa_system_vgpr_workitem_id 0
		.amdhsa_next_free_vgpr 1
		.amdhsa_next_free_sgpr 0
		.amdhsa_accum_offset 4
		.amdhsa_reserve_vcc 0
		.amdhsa_float_round_mode_32 0
		.amdhsa_float_round_mode_16_64 0
		.amdhsa_float_denorm_mode_32 3
		.amdhsa_float_denorm_mode_16_64 3
		.amdhsa_dx10_clamp 1
		.amdhsa_ieee_mode 1
		.amdhsa_fp16_overflow 0
		.amdhsa_tg_split 0
		.amdhsa_exception_fp_ieee_invalid_op 0
		.amdhsa_exception_fp_denorm_src 0
		.amdhsa_exception_fp_ieee_div_zero 0
		.amdhsa_exception_fp_ieee_overflow 0
		.amdhsa_exception_fp_ieee_underflow 0
		.amdhsa_exception_fp_ieee_inexact 0
		.amdhsa_exception_int_div_zero 0
	.end_amdhsa_kernel
	.section	.text._ZN7rocprim17ROCPRIM_400000_NS6detail17trampoline_kernelINS0_14default_configENS1_27scan_by_key_config_selectorIssEEZZNS1_16scan_by_key_implILNS1_25lookback_scan_determinismE0ELb1ES3_N6thrust23THRUST_200600_302600_NS6detail15normal_iteratorINS9_10device_ptrIsEEEESE_SE_sNS9_4plusIsEE19head_flag_predicatesEE10hipError_tPvRmT2_T3_T4_T5_mT6_T7_P12ihipStream_tbENKUlT_T0_E_clISt17integral_constantIbLb0EESY_EEDaST_SU_EUlST_E_NS1_11comp_targetILNS1_3genE3ELNS1_11target_archE908ELNS1_3gpuE7ELNS1_3repE0EEENS1_30default_config_static_selectorELNS0_4arch9wavefront6targetE1EEEvT1_,"axG",@progbits,_ZN7rocprim17ROCPRIM_400000_NS6detail17trampoline_kernelINS0_14default_configENS1_27scan_by_key_config_selectorIssEEZZNS1_16scan_by_key_implILNS1_25lookback_scan_determinismE0ELb1ES3_N6thrust23THRUST_200600_302600_NS6detail15normal_iteratorINS9_10device_ptrIsEEEESE_SE_sNS9_4plusIsEE19head_flag_predicatesEE10hipError_tPvRmT2_T3_T4_T5_mT6_T7_P12ihipStream_tbENKUlT_T0_E_clISt17integral_constantIbLb0EESY_EEDaST_SU_EUlST_E_NS1_11comp_targetILNS1_3genE3ELNS1_11target_archE908ELNS1_3gpuE7ELNS1_3repE0EEENS1_30default_config_static_selectorELNS0_4arch9wavefront6targetE1EEEvT1_,comdat
.Lfunc_end861:
	.size	_ZN7rocprim17ROCPRIM_400000_NS6detail17trampoline_kernelINS0_14default_configENS1_27scan_by_key_config_selectorIssEEZZNS1_16scan_by_key_implILNS1_25lookback_scan_determinismE0ELb1ES3_N6thrust23THRUST_200600_302600_NS6detail15normal_iteratorINS9_10device_ptrIsEEEESE_SE_sNS9_4plusIsEE19head_flag_predicatesEE10hipError_tPvRmT2_T3_T4_T5_mT6_T7_P12ihipStream_tbENKUlT_T0_E_clISt17integral_constantIbLb0EESY_EEDaST_SU_EUlST_E_NS1_11comp_targetILNS1_3genE3ELNS1_11target_archE908ELNS1_3gpuE7ELNS1_3repE0EEENS1_30default_config_static_selectorELNS0_4arch9wavefront6targetE1EEEvT1_, .Lfunc_end861-_ZN7rocprim17ROCPRIM_400000_NS6detail17trampoline_kernelINS0_14default_configENS1_27scan_by_key_config_selectorIssEEZZNS1_16scan_by_key_implILNS1_25lookback_scan_determinismE0ELb1ES3_N6thrust23THRUST_200600_302600_NS6detail15normal_iteratorINS9_10device_ptrIsEEEESE_SE_sNS9_4plusIsEE19head_flag_predicatesEE10hipError_tPvRmT2_T3_T4_T5_mT6_T7_P12ihipStream_tbENKUlT_T0_E_clISt17integral_constantIbLb0EESY_EEDaST_SU_EUlST_E_NS1_11comp_targetILNS1_3genE3ELNS1_11target_archE908ELNS1_3gpuE7ELNS1_3repE0EEENS1_30default_config_static_selectorELNS0_4arch9wavefront6targetE1EEEvT1_
                                        ; -- End function
	.section	.AMDGPU.csdata,"",@progbits
; Kernel info:
; codeLenInByte = 0
; NumSgprs: 6
; NumVgprs: 0
; NumAgprs: 0
; TotalNumVgprs: 0
; ScratchSize: 0
; MemoryBound: 0
; FloatMode: 240
; IeeeMode: 1
; LDSByteSize: 0 bytes/workgroup (compile time only)
; SGPRBlocks: 0
; VGPRBlocks: 0
; NumSGPRsForWavesPerEU: 6
; NumVGPRsForWavesPerEU: 1
; AccumOffset: 4
; Occupancy: 8
; WaveLimiterHint : 0
; COMPUTE_PGM_RSRC2:SCRATCH_EN: 0
; COMPUTE_PGM_RSRC2:USER_SGPR: 2
; COMPUTE_PGM_RSRC2:TRAP_HANDLER: 0
; COMPUTE_PGM_RSRC2:TGID_X_EN: 1
; COMPUTE_PGM_RSRC2:TGID_Y_EN: 0
; COMPUTE_PGM_RSRC2:TGID_Z_EN: 0
; COMPUTE_PGM_RSRC2:TIDIG_COMP_CNT: 0
; COMPUTE_PGM_RSRC3_GFX90A:ACCUM_OFFSET: 0
; COMPUTE_PGM_RSRC3_GFX90A:TG_SPLIT: 0
	.section	.text._ZN7rocprim17ROCPRIM_400000_NS6detail17trampoline_kernelINS0_14default_configENS1_27scan_by_key_config_selectorIssEEZZNS1_16scan_by_key_implILNS1_25lookback_scan_determinismE0ELb1ES3_N6thrust23THRUST_200600_302600_NS6detail15normal_iteratorINS9_10device_ptrIsEEEESE_SE_sNS9_4plusIsEE19head_flag_predicatesEE10hipError_tPvRmT2_T3_T4_T5_mT6_T7_P12ihipStream_tbENKUlT_T0_E_clISt17integral_constantIbLb0EESY_EEDaST_SU_EUlST_E_NS1_11comp_targetILNS1_3genE2ELNS1_11target_archE906ELNS1_3gpuE6ELNS1_3repE0EEENS1_30default_config_static_selectorELNS0_4arch9wavefront6targetE1EEEvT1_,"axG",@progbits,_ZN7rocprim17ROCPRIM_400000_NS6detail17trampoline_kernelINS0_14default_configENS1_27scan_by_key_config_selectorIssEEZZNS1_16scan_by_key_implILNS1_25lookback_scan_determinismE0ELb1ES3_N6thrust23THRUST_200600_302600_NS6detail15normal_iteratorINS9_10device_ptrIsEEEESE_SE_sNS9_4plusIsEE19head_flag_predicatesEE10hipError_tPvRmT2_T3_T4_T5_mT6_T7_P12ihipStream_tbENKUlT_T0_E_clISt17integral_constantIbLb0EESY_EEDaST_SU_EUlST_E_NS1_11comp_targetILNS1_3genE2ELNS1_11target_archE906ELNS1_3gpuE6ELNS1_3repE0EEENS1_30default_config_static_selectorELNS0_4arch9wavefront6targetE1EEEvT1_,comdat
	.protected	_ZN7rocprim17ROCPRIM_400000_NS6detail17trampoline_kernelINS0_14default_configENS1_27scan_by_key_config_selectorIssEEZZNS1_16scan_by_key_implILNS1_25lookback_scan_determinismE0ELb1ES3_N6thrust23THRUST_200600_302600_NS6detail15normal_iteratorINS9_10device_ptrIsEEEESE_SE_sNS9_4plusIsEE19head_flag_predicatesEE10hipError_tPvRmT2_T3_T4_T5_mT6_T7_P12ihipStream_tbENKUlT_T0_E_clISt17integral_constantIbLb0EESY_EEDaST_SU_EUlST_E_NS1_11comp_targetILNS1_3genE2ELNS1_11target_archE906ELNS1_3gpuE6ELNS1_3repE0EEENS1_30default_config_static_selectorELNS0_4arch9wavefront6targetE1EEEvT1_ ; -- Begin function _ZN7rocprim17ROCPRIM_400000_NS6detail17trampoline_kernelINS0_14default_configENS1_27scan_by_key_config_selectorIssEEZZNS1_16scan_by_key_implILNS1_25lookback_scan_determinismE0ELb1ES3_N6thrust23THRUST_200600_302600_NS6detail15normal_iteratorINS9_10device_ptrIsEEEESE_SE_sNS9_4plusIsEE19head_flag_predicatesEE10hipError_tPvRmT2_T3_T4_T5_mT6_T7_P12ihipStream_tbENKUlT_T0_E_clISt17integral_constantIbLb0EESY_EEDaST_SU_EUlST_E_NS1_11comp_targetILNS1_3genE2ELNS1_11target_archE906ELNS1_3gpuE6ELNS1_3repE0EEENS1_30default_config_static_selectorELNS0_4arch9wavefront6targetE1EEEvT1_
	.globl	_ZN7rocprim17ROCPRIM_400000_NS6detail17trampoline_kernelINS0_14default_configENS1_27scan_by_key_config_selectorIssEEZZNS1_16scan_by_key_implILNS1_25lookback_scan_determinismE0ELb1ES3_N6thrust23THRUST_200600_302600_NS6detail15normal_iteratorINS9_10device_ptrIsEEEESE_SE_sNS9_4plusIsEE19head_flag_predicatesEE10hipError_tPvRmT2_T3_T4_T5_mT6_T7_P12ihipStream_tbENKUlT_T0_E_clISt17integral_constantIbLb0EESY_EEDaST_SU_EUlST_E_NS1_11comp_targetILNS1_3genE2ELNS1_11target_archE906ELNS1_3gpuE6ELNS1_3repE0EEENS1_30default_config_static_selectorELNS0_4arch9wavefront6targetE1EEEvT1_
	.p2align	8
	.type	_ZN7rocprim17ROCPRIM_400000_NS6detail17trampoline_kernelINS0_14default_configENS1_27scan_by_key_config_selectorIssEEZZNS1_16scan_by_key_implILNS1_25lookback_scan_determinismE0ELb1ES3_N6thrust23THRUST_200600_302600_NS6detail15normal_iteratorINS9_10device_ptrIsEEEESE_SE_sNS9_4plusIsEE19head_flag_predicatesEE10hipError_tPvRmT2_T3_T4_T5_mT6_T7_P12ihipStream_tbENKUlT_T0_E_clISt17integral_constantIbLb0EESY_EEDaST_SU_EUlST_E_NS1_11comp_targetILNS1_3genE2ELNS1_11target_archE906ELNS1_3gpuE6ELNS1_3repE0EEENS1_30default_config_static_selectorELNS0_4arch9wavefront6targetE1EEEvT1_,@function
_ZN7rocprim17ROCPRIM_400000_NS6detail17trampoline_kernelINS0_14default_configENS1_27scan_by_key_config_selectorIssEEZZNS1_16scan_by_key_implILNS1_25lookback_scan_determinismE0ELb1ES3_N6thrust23THRUST_200600_302600_NS6detail15normal_iteratorINS9_10device_ptrIsEEEESE_SE_sNS9_4plusIsEE19head_flag_predicatesEE10hipError_tPvRmT2_T3_T4_T5_mT6_T7_P12ihipStream_tbENKUlT_T0_E_clISt17integral_constantIbLb0EESY_EEDaST_SU_EUlST_E_NS1_11comp_targetILNS1_3genE2ELNS1_11target_archE906ELNS1_3gpuE6ELNS1_3repE0EEENS1_30default_config_static_selectorELNS0_4arch9wavefront6targetE1EEEvT1_: ; @_ZN7rocprim17ROCPRIM_400000_NS6detail17trampoline_kernelINS0_14default_configENS1_27scan_by_key_config_selectorIssEEZZNS1_16scan_by_key_implILNS1_25lookback_scan_determinismE0ELb1ES3_N6thrust23THRUST_200600_302600_NS6detail15normal_iteratorINS9_10device_ptrIsEEEESE_SE_sNS9_4plusIsEE19head_flag_predicatesEE10hipError_tPvRmT2_T3_T4_T5_mT6_T7_P12ihipStream_tbENKUlT_T0_E_clISt17integral_constantIbLb0EESY_EEDaST_SU_EUlST_E_NS1_11comp_targetILNS1_3genE2ELNS1_11target_archE906ELNS1_3gpuE6ELNS1_3repE0EEENS1_30default_config_static_selectorELNS0_4arch9wavefront6targetE1EEEvT1_
; %bb.0:
	.section	.rodata,"a",@progbits
	.p2align	6, 0x0
	.amdhsa_kernel _ZN7rocprim17ROCPRIM_400000_NS6detail17trampoline_kernelINS0_14default_configENS1_27scan_by_key_config_selectorIssEEZZNS1_16scan_by_key_implILNS1_25lookback_scan_determinismE0ELb1ES3_N6thrust23THRUST_200600_302600_NS6detail15normal_iteratorINS9_10device_ptrIsEEEESE_SE_sNS9_4plusIsEE19head_flag_predicatesEE10hipError_tPvRmT2_T3_T4_T5_mT6_T7_P12ihipStream_tbENKUlT_T0_E_clISt17integral_constantIbLb0EESY_EEDaST_SU_EUlST_E_NS1_11comp_targetILNS1_3genE2ELNS1_11target_archE906ELNS1_3gpuE6ELNS1_3repE0EEENS1_30default_config_static_selectorELNS0_4arch9wavefront6targetE1EEEvT1_
		.amdhsa_group_segment_fixed_size 0
		.amdhsa_private_segment_fixed_size 0
		.amdhsa_kernarg_size 112
		.amdhsa_user_sgpr_count 2
		.amdhsa_user_sgpr_dispatch_ptr 0
		.amdhsa_user_sgpr_queue_ptr 0
		.amdhsa_user_sgpr_kernarg_segment_ptr 1
		.amdhsa_user_sgpr_dispatch_id 0
		.amdhsa_user_sgpr_kernarg_preload_length 0
		.amdhsa_user_sgpr_kernarg_preload_offset 0
		.amdhsa_user_sgpr_private_segment_size 0
		.amdhsa_uses_dynamic_stack 0
		.amdhsa_enable_private_segment 0
		.amdhsa_system_sgpr_workgroup_id_x 1
		.amdhsa_system_sgpr_workgroup_id_y 0
		.amdhsa_system_sgpr_workgroup_id_z 0
		.amdhsa_system_sgpr_workgroup_info 0
		.amdhsa_system_vgpr_workitem_id 0
		.amdhsa_next_free_vgpr 1
		.amdhsa_next_free_sgpr 0
		.amdhsa_accum_offset 4
		.amdhsa_reserve_vcc 0
		.amdhsa_float_round_mode_32 0
		.amdhsa_float_round_mode_16_64 0
		.amdhsa_float_denorm_mode_32 3
		.amdhsa_float_denorm_mode_16_64 3
		.amdhsa_dx10_clamp 1
		.amdhsa_ieee_mode 1
		.amdhsa_fp16_overflow 0
		.amdhsa_tg_split 0
		.amdhsa_exception_fp_ieee_invalid_op 0
		.amdhsa_exception_fp_denorm_src 0
		.amdhsa_exception_fp_ieee_div_zero 0
		.amdhsa_exception_fp_ieee_overflow 0
		.amdhsa_exception_fp_ieee_underflow 0
		.amdhsa_exception_fp_ieee_inexact 0
		.amdhsa_exception_int_div_zero 0
	.end_amdhsa_kernel
	.section	.text._ZN7rocprim17ROCPRIM_400000_NS6detail17trampoline_kernelINS0_14default_configENS1_27scan_by_key_config_selectorIssEEZZNS1_16scan_by_key_implILNS1_25lookback_scan_determinismE0ELb1ES3_N6thrust23THRUST_200600_302600_NS6detail15normal_iteratorINS9_10device_ptrIsEEEESE_SE_sNS9_4plusIsEE19head_flag_predicatesEE10hipError_tPvRmT2_T3_T4_T5_mT6_T7_P12ihipStream_tbENKUlT_T0_E_clISt17integral_constantIbLb0EESY_EEDaST_SU_EUlST_E_NS1_11comp_targetILNS1_3genE2ELNS1_11target_archE906ELNS1_3gpuE6ELNS1_3repE0EEENS1_30default_config_static_selectorELNS0_4arch9wavefront6targetE1EEEvT1_,"axG",@progbits,_ZN7rocprim17ROCPRIM_400000_NS6detail17trampoline_kernelINS0_14default_configENS1_27scan_by_key_config_selectorIssEEZZNS1_16scan_by_key_implILNS1_25lookback_scan_determinismE0ELb1ES3_N6thrust23THRUST_200600_302600_NS6detail15normal_iteratorINS9_10device_ptrIsEEEESE_SE_sNS9_4plusIsEE19head_flag_predicatesEE10hipError_tPvRmT2_T3_T4_T5_mT6_T7_P12ihipStream_tbENKUlT_T0_E_clISt17integral_constantIbLb0EESY_EEDaST_SU_EUlST_E_NS1_11comp_targetILNS1_3genE2ELNS1_11target_archE906ELNS1_3gpuE6ELNS1_3repE0EEENS1_30default_config_static_selectorELNS0_4arch9wavefront6targetE1EEEvT1_,comdat
.Lfunc_end862:
	.size	_ZN7rocprim17ROCPRIM_400000_NS6detail17trampoline_kernelINS0_14default_configENS1_27scan_by_key_config_selectorIssEEZZNS1_16scan_by_key_implILNS1_25lookback_scan_determinismE0ELb1ES3_N6thrust23THRUST_200600_302600_NS6detail15normal_iteratorINS9_10device_ptrIsEEEESE_SE_sNS9_4plusIsEE19head_flag_predicatesEE10hipError_tPvRmT2_T3_T4_T5_mT6_T7_P12ihipStream_tbENKUlT_T0_E_clISt17integral_constantIbLb0EESY_EEDaST_SU_EUlST_E_NS1_11comp_targetILNS1_3genE2ELNS1_11target_archE906ELNS1_3gpuE6ELNS1_3repE0EEENS1_30default_config_static_selectorELNS0_4arch9wavefront6targetE1EEEvT1_, .Lfunc_end862-_ZN7rocprim17ROCPRIM_400000_NS6detail17trampoline_kernelINS0_14default_configENS1_27scan_by_key_config_selectorIssEEZZNS1_16scan_by_key_implILNS1_25lookback_scan_determinismE0ELb1ES3_N6thrust23THRUST_200600_302600_NS6detail15normal_iteratorINS9_10device_ptrIsEEEESE_SE_sNS9_4plusIsEE19head_flag_predicatesEE10hipError_tPvRmT2_T3_T4_T5_mT6_T7_P12ihipStream_tbENKUlT_T0_E_clISt17integral_constantIbLb0EESY_EEDaST_SU_EUlST_E_NS1_11comp_targetILNS1_3genE2ELNS1_11target_archE906ELNS1_3gpuE6ELNS1_3repE0EEENS1_30default_config_static_selectorELNS0_4arch9wavefront6targetE1EEEvT1_
                                        ; -- End function
	.section	.AMDGPU.csdata,"",@progbits
; Kernel info:
; codeLenInByte = 0
; NumSgprs: 6
; NumVgprs: 0
; NumAgprs: 0
; TotalNumVgprs: 0
; ScratchSize: 0
; MemoryBound: 0
; FloatMode: 240
; IeeeMode: 1
; LDSByteSize: 0 bytes/workgroup (compile time only)
; SGPRBlocks: 0
; VGPRBlocks: 0
; NumSGPRsForWavesPerEU: 6
; NumVGPRsForWavesPerEU: 1
; AccumOffset: 4
; Occupancy: 8
; WaveLimiterHint : 0
; COMPUTE_PGM_RSRC2:SCRATCH_EN: 0
; COMPUTE_PGM_RSRC2:USER_SGPR: 2
; COMPUTE_PGM_RSRC2:TRAP_HANDLER: 0
; COMPUTE_PGM_RSRC2:TGID_X_EN: 1
; COMPUTE_PGM_RSRC2:TGID_Y_EN: 0
; COMPUTE_PGM_RSRC2:TGID_Z_EN: 0
; COMPUTE_PGM_RSRC2:TIDIG_COMP_CNT: 0
; COMPUTE_PGM_RSRC3_GFX90A:ACCUM_OFFSET: 0
; COMPUTE_PGM_RSRC3_GFX90A:TG_SPLIT: 0
	.section	.text._ZN7rocprim17ROCPRIM_400000_NS6detail17trampoline_kernelINS0_14default_configENS1_27scan_by_key_config_selectorIssEEZZNS1_16scan_by_key_implILNS1_25lookback_scan_determinismE0ELb1ES3_N6thrust23THRUST_200600_302600_NS6detail15normal_iteratorINS9_10device_ptrIsEEEESE_SE_sNS9_4plusIsEE19head_flag_predicatesEE10hipError_tPvRmT2_T3_T4_T5_mT6_T7_P12ihipStream_tbENKUlT_T0_E_clISt17integral_constantIbLb0EESY_EEDaST_SU_EUlST_E_NS1_11comp_targetILNS1_3genE10ELNS1_11target_archE1200ELNS1_3gpuE4ELNS1_3repE0EEENS1_30default_config_static_selectorELNS0_4arch9wavefront6targetE1EEEvT1_,"axG",@progbits,_ZN7rocprim17ROCPRIM_400000_NS6detail17trampoline_kernelINS0_14default_configENS1_27scan_by_key_config_selectorIssEEZZNS1_16scan_by_key_implILNS1_25lookback_scan_determinismE0ELb1ES3_N6thrust23THRUST_200600_302600_NS6detail15normal_iteratorINS9_10device_ptrIsEEEESE_SE_sNS9_4plusIsEE19head_flag_predicatesEE10hipError_tPvRmT2_T3_T4_T5_mT6_T7_P12ihipStream_tbENKUlT_T0_E_clISt17integral_constantIbLb0EESY_EEDaST_SU_EUlST_E_NS1_11comp_targetILNS1_3genE10ELNS1_11target_archE1200ELNS1_3gpuE4ELNS1_3repE0EEENS1_30default_config_static_selectorELNS0_4arch9wavefront6targetE1EEEvT1_,comdat
	.protected	_ZN7rocprim17ROCPRIM_400000_NS6detail17trampoline_kernelINS0_14default_configENS1_27scan_by_key_config_selectorIssEEZZNS1_16scan_by_key_implILNS1_25lookback_scan_determinismE0ELb1ES3_N6thrust23THRUST_200600_302600_NS6detail15normal_iteratorINS9_10device_ptrIsEEEESE_SE_sNS9_4plusIsEE19head_flag_predicatesEE10hipError_tPvRmT2_T3_T4_T5_mT6_T7_P12ihipStream_tbENKUlT_T0_E_clISt17integral_constantIbLb0EESY_EEDaST_SU_EUlST_E_NS1_11comp_targetILNS1_3genE10ELNS1_11target_archE1200ELNS1_3gpuE4ELNS1_3repE0EEENS1_30default_config_static_selectorELNS0_4arch9wavefront6targetE1EEEvT1_ ; -- Begin function _ZN7rocprim17ROCPRIM_400000_NS6detail17trampoline_kernelINS0_14default_configENS1_27scan_by_key_config_selectorIssEEZZNS1_16scan_by_key_implILNS1_25lookback_scan_determinismE0ELb1ES3_N6thrust23THRUST_200600_302600_NS6detail15normal_iteratorINS9_10device_ptrIsEEEESE_SE_sNS9_4plusIsEE19head_flag_predicatesEE10hipError_tPvRmT2_T3_T4_T5_mT6_T7_P12ihipStream_tbENKUlT_T0_E_clISt17integral_constantIbLb0EESY_EEDaST_SU_EUlST_E_NS1_11comp_targetILNS1_3genE10ELNS1_11target_archE1200ELNS1_3gpuE4ELNS1_3repE0EEENS1_30default_config_static_selectorELNS0_4arch9wavefront6targetE1EEEvT1_
	.globl	_ZN7rocprim17ROCPRIM_400000_NS6detail17trampoline_kernelINS0_14default_configENS1_27scan_by_key_config_selectorIssEEZZNS1_16scan_by_key_implILNS1_25lookback_scan_determinismE0ELb1ES3_N6thrust23THRUST_200600_302600_NS6detail15normal_iteratorINS9_10device_ptrIsEEEESE_SE_sNS9_4plusIsEE19head_flag_predicatesEE10hipError_tPvRmT2_T3_T4_T5_mT6_T7_P12ihipStream_tbENKUlT_T0_E_clISt17integral_constantIbLb0EESY_EEDaST_SU_EUlST_E_NS1_11comp_targetILNS1_3genE10ELNS1_11target_archE1200ELNS1_3gpuE4ELNS1_3repE0EEENS1_30default_config_static_selectorELNS0_4arch9wavefront6targetE1EEEvT1_
	.p2align	8
	.type	_ZN7rocprim17ROCPRIM_400000_NS6detail17trampoline_kernelINS0_14default_configENS1_27scan_by_key_config_selectorIssEEZZNS1_16scan_by_key_implILNS1_25lookback_scan_determinismE0ELb1ES3_N6thrust23THRUST_200600_302600_NS6detail15normal_iteratorINS9_10device_ptrIsEEEESE_SE_sNS9_4plusIsEE19head_flag_predicatesEE10hipError_tPvRmT2_T3_T4_T5_mT6_T7_P12ihipStream_tbENKUlT_T0_E_clISt17integral_constantIbLb0EESY_EEDaST_SU_EUlST_E_NS1_11comp_targetILNS1_3genE10ELNS1_11target_archE1200ELNS1_3gpuE4ELNS1_3repE0EEENS1_30default_config_static_selectorELNS0_4arch9wavefront6targetE1EEEvT1_,@function
_ZN7rocprim17ROCPRIM_400000_NS6detail17trampoline_kernelINS0_14default_configENS1_27scan_by_key_config_selectorIssEEZZNS1_16scan_by_key_implILNS1_25lookback_scan_determinismE0ELb1ES3_N6thrust23THRUST_200600_302600_NS6detail15normal_iteratorINS9_10device_ptrIsEEEESE_SE_sNS9_4plusIsEE19head_flag_predicatesEE10hipError_tPvRmT2_T3_T4_T5_mT6_T7_P12ihipStream_tbENKUlT_T0_E_clISt17integral_constantIbLb0EESY_EEDaST_SU_EUlST_E_NS1_11comp_targetILNS1_3genE10ELNS1_11target_archE1200ELNS1_3gpuE4ELNS1_3repE0EEENS1_30default_config_static_selectorELNS0_4arch9wavefront6targetE1EEEvT1_: ; @_ZN7rocprim17ROCPRIM_400000_NS6detail17trampoline_kernelINS0_14default_configENS1_27scan_by_key_config_selectorIssEEZZNS1_16scan_by_key_implILNS1_25lookback_scan_determinismE0ELb1ES3_N6thrust23THRUST_200600_302600_NS6detail15normal_iteratorINS9_10device_ptrIsEEEESE_SE_sNS9_4plusIsEE19head_flag_predicatesEE10hipError_tPvRmT2_T3_T4_T5_mT6_T7_P12ihipStream_tbENKUlT_T0_E_clISt17integral_constantIbLb0EESY_EEDaST_SU_EUlST_E_NS1_11comp_targetILNS1_3genE10ELNS1_11target_archE1200ELNS1_3gpuE4ELNS1_3repE0EEENS1_30default_config_static_selectorELNS0_4arch9wavefront6targetE1EEEvT1_
; %bb.0:
	.section	.rodata,"a",@progbits
	.p2align	6, 0x0
	.amdhsa_kernel _ZN7rocprim17ROCPRIM_400000_NS6detail17trampoline_kernelINS0_14default_configENS1_27scan_by_key_config_selectorIssEEZZNS1_16scan_by_key_implILNS1_25lookback_scan_determinismE0ELb1ES3_N6thrust23THRUST_200600_302600_NS6detail15normal_iteratorINS9_10device_ptrIsEEEESE_SE_sNS9_4plusIsEE19head_flag_predicatesEE10hipError_tPvRmT2_T3_T4_T5_mT6_T7_P12ihipStream_tbENKUlT_T0_E_clISt17integral_constantIbLb0EESY_EEDaST_SU_EUlST_E_NS1_11comp_targetILNS1_3genE10ELNS1_11target_archE1200ELNS1_3gpuE4ELNS1_3repE0EEENS1_30default_config_static_selectorELNS0_4arch9wavefront6targetE1EEEvT1_
		.amdhsa_group_segment_fixed_size 0
		.amdhsa_private_segment_fixed_size 0
		.amdhsa_kernarg_size 112
		.amdhsa_user_sgpr_count 2
		.amdhsa_user_sgpr_dispatch_ptr 0
		.amdhsa_user_sgpr_queue_ptr 0
		.amdhsa_user_sgpr_kernarg_segment_ptr 1
		.amdhsa_user_sgpr_dispatch_id 0
		.amdhsa_user_sgpr_kernarg_preload_length 0
		.amdhsa_user_sgpr_kernarg_preload_offset 0
		.amdhsa_user_sgpr_private_segment_size 0
		.amdhsa_uses_dynamic_stack 0
		.amdhsa_enable_private_segment 0
		.amdhsa_system_sgpr_workgroup_id_x 1
		.amdhsa_system_sgpr_workgroup_id_y 0
		.amdhsa_system_sgpr_workgroup_id_z 0
		.amdhsa_system_sgpr_workgroup_info 0
		.amdhsa_system_vgpr_workitem_id 0
		.amdhsa_next_free_vgpr 1
		.amdhsa_next_free_sgpr 0
		.amdhsa_accum_offset 4
		.amdhsa_reserve_vcc 0
		.amdhsa_float_round_mode_32 0
		.amdhsa_float_round_mode_16_64 0
		.amdhsa_float_denorm_mode_32 3
		.amdhsa_float_denorm_mode_16_64 3
		.amdhsa_dx10_clamp 1
		.amdhsa_ieee_mode 1
		.amdhsa_fp16_overflow 0
		.amdhsa_tg_split 0
		.amdhsa_exception_fp_ieee_invalid_op 0
		.amdhsa_exception_fp_denorm_src 0
		.amdhsa_exception_fp_ieee_div_zero 0
		.amdhsa_exception_fp_ieee_overflow 0
		.amdhsa_exception_fp_ieee_underflow 0
		.amdhsa_exception_fp_ieee_inexact 0
		.amdhsa_exception_int_div_zero 0
	.end_amdhsa_kernel
	.section	.text._ZN7rocprim17ROCPRIM_400000_NS6detail17trampoline_kernelINS0_14default_configENS1_27scan_by_key_config_selectorIssEEZZNS1_16scan_by_key_implILNS1_25lookback_scan_determinismE0ELb1ES3_N6thrust23THRUST_200600_302600_NS6detail15normal_iteratorINS9_10device_ptrIsEEEESE_SE_sNS9_4plusIsEE19head_flag_predicatesEE10hipError_tPvRmT2_T3_T4_T5_mT6_T7_P12ihipStream_tbENKUlT_T0_E_clISt17integral_constantIbLb0EESY_EEDaST_SU_EUlST_E_NS1_11comp_targetILNS1_3genE10ELNS1_11target_archE1200ELNS1_3gpuE4ELNS1_3repE0EEENS1_30default_config_static_selectorELNS0_4arch9wavefront6targetE1EEEvT1_,"axG",@progbits,_ZN7rocprim17ROCPRIM_400000_NS6detail17trampoline_kernelINS0_14default_configENS1_27scan_by_key_config_selectorIssEEZZNS1_16scan_by_key_implILNS1_25lookback_scan_determinismE0ELb1ES3_N6thrust23THRUST_200600_302600_NS6detail15normal_iteratorINS9_10device_ptrIsEEEESE_SE_sNS9_4plusIsEE19head_flag_predicatesEE10hipError_tPvRmT2_T3_T4_T5_mT6_T7_P12ihipStream_tbENKUlT_T0_E_clISt17integral_constantIbLb0EESY_EEDaST_SU_EUlST_E_NS1_11comp_targetILNS1_3genE10ELNS1_11target_archE1200ELNS1_3gpuE4ELNS1_3repE0EEENS1_30default_config_static_selectorELNS0_4arch9wavefront6targetE1EEEvT1_,comdat
.Lfunc_end863:
	.size	_ZN7rocprim17ROCPRIM_400000_NS6detail17trampoline_kernelINS0_14default_configENS1_27scan_by_key_config_selectorIssEEZZNS1_16scan_by_key_implILNS1_25lookback_scan_determinismE0ELb1ES3_N6thrust23THRUST_200600_302600_NS6detail15normal_iteratorINS9_10device_ptrIsEEEESE_SE_sNS9_4plusIsEE19head_flag_predicatesEE10hipError_tPvRmT2_T3_T4_T5_mT6_T7_P12ihipStream_tbENKUlT_T0_E_clISt17integral_constantIbLb0EESY_EEDaST_SU_EUlST_E_NS1_11comp_targetILNS1_3genE10ELNS1_11target_archE1200ELNS1_3gpuE4ELNS1_3repE0EEENS1_30default_config_static_selectorELNS0_4arch9wavefront6targetE1EEEvT1_, .Lfunc_end863-_ZN7rocprim17ROCPRIM_400000_NS6detail17trampoline_kernelINS0_14default_configENS1_27scan_by_key_config_selectorIssEEZZNS1_16scan_by_key_implILNS1_25lookback_scan_determinismE0ELb1ES3_N6thrust23THRUST_200600_302600_NS6detail15normal_iteratorINS9_10device_ptrIsEEEESE_SE_sNS9_4plusIsEE19head_flag_predicatesEE10hipError_tPvRmT2_T3_T4_T5_mT6_T7_P12ihipStream_tbENKUlT_T0_E_clISt17integral_constantIbLb0EESY_EEDaST_SU_EUlST_E_NS1_11comp_targetILNS1_3genE10ELNS1_11target_archE1200ELNS1_3gpuE4ELNS1_3repE0EEENS1_30default_config_static_selectorELNS0_4arch9wavefront6targetE1EEEvT1_
                                        ; -- End function
	.section	.AMDGPU.csdata,"",@progbits
; Kernel info:
; codeLenInByte = 0
; NumSgprs: 6
; NumVgprs: 0
; NumAgprs: 0
; TotalNumVgprs: 0
; ScratchSize: 0
; MemoryBound: 0
; FloatMode: 240
; IeeeMode: 1
; LDSByteSize: 0 bytes/workgroup (compile time only)
; SGPRBlocks: 0
; VGPRBlocks: 0
; NumSGPRsForWavesPerEU: 6
; NumVGPRsForWavesPerEU: 1
; AccumOffset: 4
; Occupancy: 8
; WaveLimiterHint : 0
; COMPUTE_PGM_RSRC2:SCRATCH_EN: 0
; COMPUTE_PGM_RSRC2:USER_SGPR: 2
; COMPUTE_PGM_RSRC2:TRAP_HANDLER: 0
; COMPUTE_PGM_RSRC2:TGID_X_EN: 1
; COMPUTE_PGM_RSRC2:TGID_Y_EN: 0
; COMPUTE_PGM_RSRC2:TGID_Z_EN: 0
; COMPUTE_PGM_RSRC2:TIDIG_COMP_CNT: 0
; COMPUTE_PGM_RSRC3_GFX90A:ACCUM_OFFSET: 0
; COMPUTE_PGM_RSRC3_GFX90A:TG_SPLIT: 0
	.section	.text._ZN7rocprim17ROCPRIM_400000_NS6detail17trampoline_kernelINS0_14default_configENS1_27scan_by_key_config_selectorIssEEZZNS1_16scan_by_key_implILNS1_25lookback_scan_determinismE0ELb1ES3_N6thrust23THRUST_200600_302600_NS6detail15normal_iteratorINS9_10device_ptrIsEEEESE_SE_sNS9_4plusIsEE19head_flag_predicatesEE10hipError_tPvRmT2_T3_T4_T5_mT6_T7_P12ihipStream_tbENKUlT_T0_E_clISt17integral_constantIbLb0EESY_EEDaST_SU_EUlST_E_NS1_11comp_targetILNS1_3genE9ELNS1_11target_archE1100ELNS1_3gpuE3ELNS1_3repE0EEENS1_30default_config_static_selectorELNS0_4arch9wavefront6targetE1EEEvT1_,"axG",@progbits,_ZN7rocprim17ROCPRIM_400000_NS6detail17trampoline_kernelINS0_14default_configENS1_27scan_by_key_config_selectorIssEEZZNS1_16scan_by_key_implILNS1_25lookback_scan_determinismE0ELb1ES3_N6thrust23THRUST_200600_302600_NS6detail15normal_iteratorINS9_10device_ptrIsEEEESE_SE_sNS9_4plusIsEE19head_flag_predicatesEE10hipError_tPvRmT2_T3_T4_T5_mT6_T7_P12ihipStream_tbENKUlT_T0_E_clISt17integral_constantIbLb0EESY_EEDaST_SU_EUlST_E_NS1_11comp_targetILNS1_3genE9ELNS1_11target_archE1100ELNS1_3gpuE3ELNS1_3repE0EEENS1_30default_config_static_selectorELNS0_4arch9wavefront6targetE1EEEvT1_,comdat
	.protected	_ZN7rocprim17ROCPRIM_400000_NS6detail17trampoline_kernelINS0_14default_configENS1_27scan_by_key_config_selectorIssEEZZNS1_16scan_by_key_implILNS1_25lookback_scan_determinismE0ELb1ES3_N6thrust23THRUST_200600_302600_NS6detail15normal_iteratorINS9_10device_ptrIsEEEESE_SE_sNS9_4plusIsEE19head_flag_predicatesEE10hipError_tPvRmT2_T3_T4_T5_mT6_T7_P12ihipStream_tbENKUlT_T0_E_clISt17integral_constantIbLb0EESY_EEDaST_SU_EUlST_E_NS1_11comp_targetILNS1_3genE9ELNS1_11target_archE1100ELNS1_3gpuE3ELNS1_3repE0EEENS1_30default_config_static_selectorELNS0_4arch9wavefront6targetE1EEEvT1_ ; -- Begin function _ZN7rocprim17ROCPRIM_400000_NS6detail17trampoline_kernelINS0_14default_configENS1_27scan_by_key_config_selectorIssEEZZNS1_16scan_by_key_implILNS1_25lookback_scan_determinismE0ELb1ES3_N6thrust23THRUST_200600_302600_NS6detail15normal_iteratorINS9_10device_ptrIsEEEESE_SE_sNS9_4plusIsEE19head_flag_predicatesEE10hipError_tPvRmT2_T3_T4_T5_mT6_T7_P12ihipStream_tbENKUlT_T0_E_clISt17integral_constantIbLb0EESY_EEDaST_SU_EUlST_E_NS1_11comp_targetILNS1_3genE9ELNS1_11target_archE1100ELNS1_3gpuE3ELNS1_3repE0EEENS1_30default_config_static_selectorELNS0_4arch9wavefront6targetE1EEEvT1_
	.globl	_ZN7rocprim17ROCPRIM_400000_NS6detail17trampoline_kernelINS0_14default_configENS1_27scan_by_key_config_selectorIssEEZZNS1_16scan_by_key_implILNS1_25lookback_scan_determinismE0ELb1ES3_N6thrust23THRUST_200600_302600_NS6detail15normal_iteratorINS9_10device_ptrIsEEEESE_SE_sNS9_4plusIsEE19head_flag_predicatesEE10hipError_tPvRmT2_T3_T4_T5_mT6_T7_P12ihipStream_tbENKUlT_T0_E_clISt17integral_constantIbLb0EESY_EEDaST_SU_EUlST_E_NS1_11comp_targetILNS1_3genE9ELNS1_11target_archE1100ELNS1_3gpuE3ELNS1_3repE0EEENS1_30default_config_static_selectorELNS0_4arch9wavefront6targetE1EEEvT1_
	.p2align	8
	.type	_ZN7rocprim17ROCPRIM_400000_NS6detail17trampoline_kernelINS0_14default_configENS1_27scan_by_key_config_selectorIssEEZZNS1_16scan_by_key_implILNS1_25lookback_scan_determinismE0ELb1ES3_N6thrust23THRUST_200600_302600_NS6detail15normal_iteratorINS9_10device_ptrIsEEEESE_SE_sNS9_4plusIsEE19head_flag_predicatesEE10hipError_tPvRmT2_T3_T4_T5_mT6_T7_P12ihipStream_tbENKUlT_T0_E_clISt17integral_constantIbLb0EESY_EEDaST_SU_EUlST_E_NS1_11comp_targetILNS1_3genE9ELNS1_11target_archE1100ELNS1_3gpuE3ELNS1_3repE0EEENS1_30default_config_static_selectorELNS0_4arch9wavefront6targetE1EEEvT1_,@function
_ZN7rocprim17ROCPRIM_400000_NS6detail17trampoline_kernelINS0_14default_configENS1_27scan_by_key_config_selectorIssEEZZNS1_16scan_by_key_implILNS1_25lookback_scan_determinismE0ELb1ES3_N6thrust23THRUST_200600_302600_NS6detail15normal_iteratorINS9_10device_ptrIsEEEESE_SE_sNS9_4plusIsEE19head_flag_predicatesEE10hipError_tPvRmT2_T3_T4_T5_mT6_T7_P12ihipStream_tbENKUlT_T0_E_clISt17integral_constantIbLb0EESY_EEDaST_SU_EUlST_E_NS1_11comp_targetILNS1_3genE9ELNS1_11target_archE1100ELNS1_3gpuE3ELNS1_3repE0EEENS1_30default_config_static_selectorELNS0_4arch9wavefront6targetE1EEEvT1_: ; @_ZN7rocprim17ROCPRIM_400000_NS6detail17trampoline_kernelINS0_14default_configENS1_27scan_by_key_config_selectorIssEEZZNS1_16scan_by_key_implILNS1_25lookback_scan_determinismE0ELb1ES3_N6thrust23THRUST_200600_302600_NS6detail15normal_iteratorINS9_10device_ptrIsEEEESE_SE_sNS9_4plusIsEE19head_flag_predicatesEE10hipError_tPvRmT2_T3_T4_T5_mT6_T7_P12ihipStream_tbENKUlT_T0_E_clISt17integral_constantIbLb0EESY_EEDaST_SU_EUlST_E_NS1_11comp_targetILNS1_3genE9ELNS1_11target_archE1100ELNS1_3gpuE3ELNS1_3repE0EEENS1_30default_config_static_selectorELNS0_4arch9wavefront6targetE1EEEvT1_
; %bb.0:
	.section	.rodata,"a",@progbits
	.p2align	6, 0x0
	.amdhsa_kernel _ZN7rocprim17ROCPRIM_400000_NS6detail17trampoline_kernelINS0_14default_configENS1_27scan_by_key_config_selectorIssEEZZNS1_16scan_by_key_implILNS1_25lookback_scan_determinismE0ELb1ES3_N6thrust23THRUST_200600_302600_NS6detail15normal_iteratorINS9_10device_ptrIsEEEESE_SE_sNS9_4plusIsEE19head_flag_predicatesEE10hipError_tPvRmT2_T3_T4_T5_mT6_T7_P12ihipStream_tbENKUlT_T0_E_clISt17integral_constantIbLb0EESY_EEDaST_SU_EUlST_E_NS1_11comp_targetILNS1_3genE9ELNS1_11target_archE1100ELNS1_3gpuE3ELNS1_3repE0EEENS1_30default_config_static_selectorELNS0_4arch9wavefront6targetE1EEEvT1_
		.amdhsa_group_segment_fixed_size 0
		.amdhsa_private_segment_fixed_size 0
		.amdhsa_kernarg_size 112
		.amdhsa_user_sgpr_count 2
		.amdhsa_user_sgpr_dispatch_ptr 0
		.amdhsa_user_sgpr_queue_ptr 0
		.amdhsa_user_sgpr_kernarg_segment_ptr 1
		.amdhsa_user_sgpr_dispatch_id 0
		.amdhsa_user_sgpr_kernarg_preload_length 0
		.amdhsa_user_sgpr_kernarg_preload_offset 0
		.amdhsa_user_sgpr_private_segment_size 0
		.amdhsa_uses_dynamic_stack 0
		.amdhsa_enable_private_segment 0
		.amdhsa_system_sgpr_workgroup_id_x 1
		.amdhsa_system_sgpr_workgroup_id_y 0
		.amdhsa_system_sgpr_workgroup_id_z 0
		.amdhsa_system_sgpr_workgroup_info 0
		.amdhsa_system_vgpr_workitem_id 0
		.amdhsa_next_free_vgpr 1
		.amdhsa_next_free_sgpr 0
		.amdhsa_accum_offset 4
		.amdhsa_reserve_vcc 0
		.amdhsa_float_round_mode_32 0
		.amdhsa_float_round_mode_16_64 0
		.amdhsa_float_denorm_mode_32 3
		.amdhsa_float_denorm_mode_16_64 3
		.amdhsa_dx10_clamp 1
		.amdhsa_ieee_mode 1
		.amdhsa_fp16_overflow 0
		.amdhsa_tg_split 0
		.amdhsa_exception_fp_ieee_invalid_op 0
		.amdhsa_exception_fp_denorm_src 0
		.amdhsa_exception_fp_ieee_div_zero 0
		.amdhsa_exception_fp_ieee_overflow 0
		.amdhsa_exception_fp_ieee_underflow 0
		.amdhsa_exception_fp_ieee_inexact 0
		.amdhsa_exception_int_div_zero 0
	.end_amdhsa_kernel
	.section	.text._ZN7rocprim17ROCPRIM_400000_NS6detail17trampoline_kernelINS0_14default_configENS1_27scan_by_key_config_selectorIssEEZZNS1_16scan_by_key_implILNS1_25lookback_scan_determinismE0ELb1ES3_N6thrust23THRUST_200600_302600_NS6detail15normal_iteratorINS9_10device_ptrIsEEEESE_SE_sNS9_4plusIsEE19head_flag_predicatesEE10hipError_tPvRmT2_T3_T4_T5_mT6_T7_P12ihipStream_tbENKUlT_T0_E_clISt17integral_constantIbLb0EESY_EEDaST_SU_EUlST_E_NS1_11comp_targetILNS1_3genE9ELNS1_11target_archE1100ELNS1_3gpuE3ELNS1_3repE0EEENS1_30default_config_static_selectorELNS0_4arch9wavefront6targetE1EEEvT1_,"axG",@progbits,_ZN7rocprim17ROCPRIM_400000_NS6detail17trampoline_kernelINS0_14default_configENS1_27scan_by_key_config_selectorIssEEZZNS1_16scan_by_key_implILNS1_25lookback_scan_determinismE0ELb1ES3_N6thrust23THRUST_200600_302600_NS6detail15normal_iteratorINS9_10device_ptrIsEEEESE_SE_sNS9_4plusIsEE19head_flag_predicatesEE10hipError_tPvRmT2_T3_T4_T5_mT6_T7_P12ihipStream_tbENKUlT_T0_E_clISt17integral_constantIbLb0EESY_EEDaST_SU_EUlST_E_NS1_11comp_targetILNS1_3genE9ELNS1_11target_archE1100ELNS1_3gpuE3ELNS1_3repE0EEENS1_30default_config_static_selectorELNS0_4arch9wavefront6targetE1EEEvT1_,comdat
.Lfunc_end864:
	.size	_ZN7rocprim17ROCPRIM_400000_NS6detail17trampoline_kernelINS0_14default_configENS1_27scan_by_key_config_selectorIssEEZZNS1_16scan_by_key_implILNS1_25lookback_scan_determinismE0ELb1ES3_N6thrust23THRUST_200600_302600_NS6detail15normal_iteratorINS9_10device_ptrIsEEEESE_SE_sNS9_4plusIsEE19head_flag_predicatesEE10hipError_tPvRmT2_T3_T4_T5_mT6_T7_P12ihipStream_tbENKUlT_T0_E_clISt17integral_constantIbLb0EESY_EEDaST_SU_EUlST_E_NS1_11comp_targetILNS1_3genE9ELNS1_11target_archE1100ELNS1_3gpuE3ELNS1_3repE0EEENS1_30default_config_static_selectorELNS0_4arch9wavefront6targetE1EEEvT1_, .Lfunc_end864-_ZN7rocprim17ROCPRIM_400000_NS6detail17trampoline_kernelINS0_14default_configENS1_27scan_by_key_config_selectorIssEEZZNS1_16scan_by_key_implILNS1_25lookback_scan_determinismE0ELb1ES3_N6thrust23THRUST_200600_302600_NS6detail15normal_iteratorINS9_10device_ptrIsEEEESE_SE_sNS9_4plusIsEE19head_flag_predicatesEE10hipError_tPvRmT2_T3_T4_T5_mT6_T7_P12ihipStream_tbENKUlT_T0_E_clISt17integral_constantIbLb0EESY_EEDaST_SU_EUlST_E_NS1_11comp_targetILNS1_3genE9ELNS1_11target_archE1100ELNS1_3gpuE3ELNS1_3repE0EEENS1_30default_config_static_selectorELNS0_4arch9wavefront6targetE1EEEvT1_
                                        ; -- End function
	.section	.AMDGPU.csdata,"",@progbits
; Kernel info:
; codeLenInByte = 0
; NumSgprs: 6
; NumVgprs: 0
; NumAgprs: 0
; TotalNumVgprs: 0
; ScratchSize: 0
; MemoryBound: 0
; FloatMode: 240
; IeeeMode: 1
; LDSByteSize: 0 bytes/workgroup (compile time only)
; SGPRBlocks: 0
; VGPRBlocks: 0
; NumSGPRsForWavesPerEU: 6
; NumVGPRsForWavesPerEU: 1
; AccumOffset: 4
; Occupancy: 8
; WaveLimiterHint : 0
; COMPUTE_PGM_RSRC2:SCRATCH_EN: 0
; COMPUTE_PGM_RSRC2:USER_SGPR: 2
; COMPUTE_PGM_RSRC2:TRAP_HANDLER: 0
; COMPUTE_PGM_RSRC2:TGID_X_EN: 1
; COMPUTE_PGM_RSRC2:TGID_Y_EN: 0
; COMPUTE_PGM_RSRC2:TGID_Z_EN: 0
; COMPUTE_PGM_RSRC2:TIDIG_COMP_CNT: 0
; COMPUTE_PGM_RSRC3_GFX90A:ACCUM_OFFSET: 0
; COMPUTE_PGM_RSRC3_GFX90A:TG_SPLIT: 0
	.section	.text._ZN7rocprim17ROCPRIM_400000_NS6detail17trampoline_kernelINS0_14default_configENS1_27scan_by_key_config_selectorIssEEZZNS1_16scan_by_key_implILNS1_25lookback_scan_determinismE0ELb1ES3_N6thrust23THRUST_200600_302600_NS6detail15normal_iteratorINS9_10device_ptrIsEEEESE_SE_sNS9_4plusIsEE19head_flag_predicatesEE10hipError_tPvRmT2_T3_T4_T5_mT6_T7_P12ihipStream_tbENKUlT_T0_E_clISt17integral_constantIbLb0EESY_EEDaST_SU_EUlST_E_NS1_11comp_targetILNS1_3genE8ELNS1_11target_archE1030ELNS1_3gpuE2ELNS1_3repE0EEENS1_30default_config_static_selectorELNS0_4arch9wavefront6targetE1EEEvT1_,"axG",@progbits,_ZN7rocprim17ROCPRIM_400000_NS6detail17trampoline_kernelINS0_14default_configENS1_27scan_by_key_config_selectorIssEEZZNS1_16scan_by_key_implILNS1_25lookback_scan_determinismE0ELb1ES3_N6thrust23THRUST_200600_302600_NS6detail15normal_iteratorINS9_10device_ptrIsEEEESE_SE_sNS9_4plusIsEE19head_flag_predicatesEE10hipError_tPvRmT2_T3_T4_T5_mT6_T7_P12ihipStream_tbENKUlT_T0_E_clISt17integral_constantIbLb0EESY_EEDaST_SU_EUlST_E_NS1_11comp_targetILNS1_3genE8ELNS1_11target_archE1030ELNS1_3gpuE2ELNS1_3repE0EEENS1_30default_config_static_selectorELNS0_4arch9wavefront6targetE1EEEvT1_,comdat
	.protected	_ZN7rocprim17ROCPRIM_400000_NS6detail17trampoline_kernelINS0_14default_configENS1_27scan_by_key_config_selectorIssEEZZNS1_16scan_by_key_implILNS1_25lookback_scan_determinismE0ELb1ES3_N6thrust23THRUST_200600_302600_NS6detail15normal_iteratorINS9_10device_ptrIsEEEESE_SE_sNS9_4plusIsEE19head_flag_predicatesEE10hipError_tPvRmT2_T3_T4_T5_mT6_T7_P12ihipStream_tbENKUlT_T0_E_clISt17integral_constantIbLb0EESY_EEDaST_SU_EUlST_E_NS1_11comp_targetILNS1_3genE8ELNS1_11target_archE1030ELNS1_3gpuE2ELNS1_3repE0EEENS1_30default_config_static_selectorELNS0_4arch9wavefront6targetE1EEEvT1_ ; -- Begin function _ZN7rocprim17ROCPRIM_400000_NS6detail17trampoline_kernelINS0_14default_configENS1_27scan_by_key_config_selectorIssEEZZNS1_16scan_by_key_implILNS1_25lookback_scan_determinismE0ELb1ES3_N6thrust23THRUST_200600_302600_NS6detail15normal_iteratorINS9_10device_ptrIsEEEESE_SE_sNS9_4plusIsEE19head_flag_predicatesEE10hipError_tPvRmT2_T3_T4_T5_mT6_T7_P12ihipStream_tbENKUlT_T0_E_clISt17integral_constantIbLb0EESY_EEDaST_SU_EUlST_E_NS1_11comp_targetILNS1_3genE8ELNS1_11target_archE1030ELNS1_3gpuE2ELNS1_3repE0EEENS1_30default_config_static_selectorELNS0_4arch9wavefront6targetE1EEEvT1_
	.globl	_ZN7rocprim17ROCPRIM_400000_NS6detail17trampoline_kernelINS0_14default_configENS1_27scan_by_key_config_selectorIssEEZZNS1_16scan_by_key_implILNS1_25lookback_scan_determinismE0ELb1ES3_N6thrust23THRUST_200600_302600_NS6detail15normal_iteratorINS9_10device_ptrIsEEEESE_SE_sNS9_4plusIsEE19head_flag_predicatesEE10hipError_tPvRmT2_T3_T4_T5_mT6_T7_P12ihipStream_tbENKUlT_T0_E_clISt17integral_constantIbLb0EESY_EEDaST_SU_EUlST_E_NS1_11comp_targetILNS1_3genE8ELNS1_11target_archE1030ELNS1_3gpuE2ELNS1_3repE0EEENS1_30default_config_static_selectorELNS0_4arch9wavefront6targetE1EEEvT1_
	.p2align	8
	.type	_ZN7rocprim17ROCPRIM_400000_NS6detail17trampoline_kernelINS0_14default_configENS1_27scan_by_key_config_selectorIssEEZZNS1_16scan_by_key_implILNS1_25lookback_scan_determinismE0ELb1ES3_N6thrust23THRUST_200600_302600_NS6detail15normal_iteratorINS9_10device_ptrIsEEEESE_SE_sNS9_4plusIsEE19head_flag_predicatesEE10hipError_tPvRmT2_T3_T4_T5_mT6_T7_P12ihipStream_tbENKUlT_T0_E_clISt17integral_constantIbLb0EESY_EEDaST_SU_EUlST_E_NS1_11comp_targetILNS1_3genE8ELNS1_11target_archE1030ELNS1_3gpuE2ELNS1_3repE0EEENS1_30default_config_static_selectorELNS0_4arch9wavefront6targetE1EEEvT1_,@function
_ZN7rocprim17ROCPRIM_400000_NS6detail17trampoline_kernelINS0_14default_configENS1_27scan_by_key_config_selectorIssEEZZNS1_16scan_by_key_implILNS1_25lookback_scan_determinismE0ELb1ES3_N6thrust23THRUST_200600_302600_NS6detail15normal_iteratorINS9_10device_ptrIsEEEESE_SE_sNS9_4plusIsEE19head_flag_predicatesEE10hipError_tPvRmT2_T3_T4_T5_mT6_T7_P12ihipStream_tbENKUlT_T0_E_clISt17integral_constantIbLb0EESY_EEDaST_SU_EUlST_E_NS1_11comp_targetILNS1_3genE8ELNS1_11target_archE1030ELNS1_3gpuE2ELNS1_3repE0EEENS1_30default_config_static_selectorELNS0_4arch9wavefront6targetE1EEEvT1_: ; @_ZN7rocprim17ROCPRIM_400000_NS6detail17trampoline_kernelINS0_14default_configENS1_27scan_by_key_config_selectorIssEEZZNS1_16scan_by_key_implILNS1_25lookback_scan_determinismE0ELb1ES3_N6thrust23THRUST_200600_302600_NS6detail15normal_iteratorINS9_10device_ptrIsEEEESE_SE_sNS9_4plusIsEE19head_flag_predicatesEE10hipError_tPvRmT2_T3_T4_T5_mT6_T7_P12ihipStream_tbENKUlT_T0_E_clISt17integral_constantIbLb0EESY_EEDaST_SU_EUlST_E_NS1_11comp_targetILNS1_3genE8ELNS1_11target_archE1030ELNS1_3gpuE2ELNS1_3repE0EEENS1_30default_config_static_selectorELNS0_4arch9wavefront6targetE1EEEvT1_
; %bb.0:
	.section	.rodata,"a",@progbits
	.p2align	6, 0x0
	.amdhsa_kernel _ZN7rocprim17ROCPRIM_400000_NS6detail17trampoline_kernelINS0_14default_configENS1_27scan_by_key_config_selectorIssEEZZNS1_16scan_by_key_implILNS1_25lookback_scan_determinismE0ELb1ES3_N6thrust23THRUST_200600_302600_NS6detail15normal_iteratorINS9_10device_ptrIsEEEESE_SE_sNS9_4plusIsEE19head_flag_predicatesEE10hipError_tPvRmT2_T3_T4_T5_mT6_T7_P12ihipStream_tbENKUlT_T0_E_clISt17integral_constantIbLb0EESY_EEDaST_SU_EUlST_E_NS1_11comp_targetILNS1_3genE8ELNS1_11target_archE1030ELNS1_3gpuE2ELNS1_3repE0EEENS1_30default_config_static_selectorELNS0_4arch9wavefront6targetE1EEEvT1_
		.amdhsa_group_segment_fixed_size 0
		.amdhsa_private_segment_fixed_size 0
		.amdhsa_kernarg_size 112
		.amdhsa_user_sgpr_count 2
		.amdhsa_user_sgpr_dispatch_ptr 0
		.amdhsa_user_sgpr_queue_ptr 0
		.amdhsa_user_sgpr_kernarg_segment_ptr 1
		.amdhsa_user_sgpr_dispatch_id 0
		.amdhsa_user_sgpr_kernarg_preload_length 0
		.amdhsa_user_sgpr_kernarg_preload_offset 0
		.amdhsa_user_sgpr_private_segment_size 0
		.amdhsa_uses_dynamic_stack 0
		.amdhsa_enable_private_segment 0
		.amdhsa_system_sgpr_workgroup_id_x 1
		.amdhsa_system_sgpr_workgroup_id_y 0
		.amdhsa_system_sgpr_workgroup_id_z 0
		.amdhsa_system_sgpr_workgroup_info 0
		.amdhsa_system_vgpr_workitem_id 0
		.amdhsa_next_free_vgpr 1
		.amdhsa_next_free_sgpr 0
		.amdhsa_accum_offset 4
		.amdhsa_reserve_vcc 0
		.amdhsa_float_round_mode_32 0
		.amdhsa_float_round_mode_16_64 0
		.amdhsa_float_denorm_mode_32 3
		.amdhsa_float_denorm_mode_16_64 3
		.amdhsa_dx10_clamp 1
		.amdhsa_ieee_mode 1
		.amdhsa_fp16_overflow 0
		.amdhsa_tg_split 0
		.amdhsa_exception_fp_ieee_invalid_op 0
		.amdhsa_exception_fp_denorm_src 0
		.amdhsa_exception_fp_ieee_div_zero 0
		.amdhsa_exception_fp_ieee_overflow 0
		.amdhsa_exception_fp_ieee_underflow 0
		.amdhsa_exception_fp_ieee_inexact 0
		.amdhsa_exception_int_div_zero 0
	.end_amdhsa_kernel
	.section	.text._ZN7rocprim17ROCPRIM_400000_NS6detail17trampoline_kernelINS0_14default_configENS1_27scan_by_key_config_selectorIssEEZZNS1_16scan_by_key_implILNS1_25lookback_scan_determinismE0ELb1ES3_N6thrust23THRUST_200600_302600_NS6detail15normal_iteratorINS9_10device_ptrIsEEEESE_SE_sNS9_4plusIsEE19head_flag_predicatesEE10hipError_tPvRmT2_T3_T4_T5_mT6_T7_P12ihipStream_tbENKUlT_T0_E_clISt17integral_constantIbLb0EESY_EEDaST_SU_EUlST_E_NS1_11comp_targetILNS1_3genE8ELNS1_11target_archE1030ELNS1_3gpuE2ELNS1_3repE0EEENS1_30default_config_static_selectorELNS0_4arch9wavefront6targetE1EEEvT1_,"axG",@progbits,_ZN7rocprim17ROCPRIM_400000_NS6detail17trampoline_kernelINS0_14default_configENS1_27scan_by_key_config_selectorIssEEZZNS1_16scan_by_key_implILNS1_25lookback_scan_determinismE0ELb1ES3_N6thrust23THRUST_200600_302600_NS6detail15normal_iteratorINS9_10device_ptrIsEEEESE_SE_sNS9_4plusIsEE19head_flag_predicatesEE10hipError_tPvRmT2_T3_T4_T5_mT6_T7_P12ihipStream_tbENKUlT_T0_E_clISt17integral_constantIbLb0EESY_EEDaST_SU_EUlST_E_NS1_11comp_targetILNS1_3genE8ELNS1_11target_archE1030ELNS1_3gpuE2ELNS1_3repE0EEENS1_30default_config_static_selectorELNS0_4arch9wavefront6targetE1EEEvT1_,comdat
.Lfunc_end865:
	.size	_ZN7rocprim17ROCPRIM_400000_NS6detail17trampoline_kernelINS0_14default_configENS1_27scan_by_key_config_selectorIssEEZZNS1_16scan_by_key_implILNS1_25lookback_scan_determinismE0ELb1ES3_N6thrust23THRUST_200600_302600_NS6detail15normal_iteratorINS9_10device_ptrIsEEEESE_SE_sNS9_4plusIsEE19head_flag_predicatesEE10hipError_tPvRmT2_T3_T4_T5_mT6_T7_P12ihipStream_tbENKUlT_T0_E_clISt17integral_constantIbLb0EESY_EEDaST_SU_EUlST_E_NS1_11comp_targetILNS1_3genE8ELNS1_11target_archE1030ELNS1_3gpuE2ELNS1_3repE0EEENS1_30default_config_static_selectorELNS0_4arch9wavefront6targetE1EEEvT1_, .Lfunc_end865-_ZN7rocprim17ROCPRIM_400000_NS6detail17trampoline_kernelINS0_14default_configENS1_27scan_by_key_config_selectorIssEEZZNS1_16scan_by_key_implILNS1_25lookback_scan_determinismE0ELb1ES3_N6thrust23THRUST_200600_302600_NS6detail15normal_iteratorINS9_10device_ptrIsEEEESE_SE_sNS9_4plusIsEE19head_flag_predicatesEE10hipError_tPvRmT2_T3_T4_T5_mT6_T7_P12ihipStream_tbENKUlT_T0_E_clISt17integral_constantIbLb0EESY_EEDaST_SU_EUlST_E_NS1_11comp_targetILNS1_3genE8ELNS1_11target_archE1030ELNS1_3gpuE2ELNS1_3repE0EEENS1_30default_config_static_selectorELNS0_4arch9wavefront6targetE1EEEvT1_
                                        ; -- End function
	.section	.AMDGPU.csdata,"",@progbits
; Kernel info:
; codeLenInByte = 0
; NumSgprs: 6
; NumVgprs: 0
; NumAgprs: 0
; TotalNumVgprs: 0
; ScratchSize: 0
; MemoryBound: 0
; FloatMode: 240
; IeeeMode: 1
; LDSByteSize: 0 bytes/workgroup (compile time only)
; SGPRBlocks: 0
; VGPRBlocks: 0
; NumSGPRsForWavesPerEU: 6
; NumVGPRsForWavesPerEU: 1
; AccumOffset: 4
; Occupancy: 8
; WaveLimiterHint : 0
; COMPUTE_PGM_RSRC2:SCRATCH_EN: 0
; COMPUTE_PGM_RSRC2:USER_SGPR: 2
; COMPUTE_PGM_RSRC2:TRAP_HANDLER: 0
; COMPUTE_PGM_RSRC2:TGID_X_EN: 1
; COMPUTE_PGM_RSRC2:TGID_Y_EN: 0
; COMPUTE_PGM_RSRC2:TGID_Z_EN: 0
; COMPUTE_PGM_RSRC2:TIDIG_COMP_CNT: 0
; COMPUTE_PGM_RSRC3_GFX90A:ACCUM_OFFSET: 0
; COMPUTE_PGM_RSRC3_GFX90A:TG_SPLIT: 0
	.section	.text._ZN7rocprim17ROCPRIM_400000_NS6detail17trampoline_kernelINS0_14default_configENS1_27scan_by_key_config_selectorIssEEZZNS1_16scan_by_key_implILNS1_25lookback_scan_determinismE0ELb1ES3_N6thrust23THRUST_200600_302600_NS6detail15normal_iteratorINS9_10device_ptrIsEEEESE_SE_sNS9_4plusIsEE19head_flag_predicatesEE10hipError_tPvRmT2_T3_T4_T5_mT6_T7_P12ihipStream_tbENKUlT_T0_E_clISt17integral_constantIbLb1EESY_EEDaST_SU_EUlST_E_NS1_11comp_targetILNS1_3genE0ELNS1_11target_archE4294967295ELNS1_3gpuE0ELNS1_3repE0EEENS1_30default_config_static_selectorELNS0_4arch9wavefront6targetE1EEEvT1_,"axG",@progbits,_ZN7rocprim17ROCPRIM_400000_NS6detail17trampoline_kernelINS0_14default_configENS1_27scan_by_key_config_selectorIssEEZZNS1_16scan_by_key_implILNS1_25lookback_scan_determinismE0ELb1ES3_N6thrust23THRUST_200600_302600_NS6detail15normal_iteratorINS9_10device_ptrIsEEEESE_SE_sNS9_4plusIsEE19head_flag_predicatesEE10hipError_tPvRmT2_T3_T4_T5_mT6_T7_P12ihipStream_tbENKUlT_T0_E_clISt17integral_constantIbLb1EESY_EEDaST_SU_EUlST_E_NS1_11comp_targetILNS1_3genE0ELNS1_11target_archE4294967295ELNS1_3gpuE0ELNS1_3repE0EEENS1_30default_config_static_selectorELNS0_4arch9wavefront6targetE1EEEvT1_,comdat
	.protected	_ZN7rocprim17ROCPRIM_400000_NS6detail17trampoline_kernelINS0_14default_configENS1_27scan_by_key_config_selectorIssEEZZNS1_16scan_by_key_implILNS1_25lookback_scan_determinismE0ELb1ES3_N6thrust23THRUST_200600_302600_NS6detail15normal_iteratorINS9_10device_ptrIsEEEESE_SE_sNS9_4plusIsEE19head_flag_predicatesEE10hipError_tPvRmT2_T3_T4_T5_mT6_T7_P12ihipStream_tbENKUlT_T0_E_clISt17integral_constantIbLb1EESY_EEDaST_SU_EUlST_E_NS1_11comp_targetILNS1_3genE0ELNS1_11target_archE4294967295ELNS1_3gpuE0ELNS1_3repE0EEENS1_30default_config_static_selectorELNS0_4arch9wavefront6targetE1EEEvT1_ ; -- Begin function _ZN7rocprim17ROCPRIM_400000_NS6detail17trampoline_kernelINS0_14default_configENS1_27scan_by_key_config_selectorIssEEZZNS1_16scan_by_key_implILNS1_25lookback_scan_determinismE0ELb1ES3_N6thrust23THRUST_200600_302600_NS6detail15normal_iteratorINS9_10device_ptrIsEEEESE_SE_sNS9_4plusIsEE19head_flag_predicatesEE10hipError_tPvRmT2_T3_T4_T5_mT6_T7_P12ihipStream_tbENKUlT_T0_E_clISt17integral_constantIbLb1EESY_EEDaST_SU_EUlST_E_NS1_11comp_targetILNS1_3genE0ELNS1_11target_archE4294967295ELNS1_3gpuE0ELNS1_3repE0EEENS1_30default_config_static_selectorELNS0_4arch9wavefront6targetE1EEEvT1_
	.globl	_ZN7rocprim17ROCPRIM_400000_NS6detail17trampoline_kernelINS0_14default_configENS1_27scan_by_key_config_selectorIssEEZZNS1_16scan_by_key_implILNS1_25lookback_scan_determinismE0ELb1ES3_N6thrust23THRUST_200600_302600_NS6detail15normal_iteratorINS9_10device_ptrIsEEEESE_SE_sNS9_4plusIsEE19head_flag_predicatesEE10hipError_tPvRmT2_T3_T4_T5_mT6_T7_P12ihipStream_tbENKUlT_T0_E_clISt17integral_constantIbLb1EESY_EEDaST_SU_EUlST_E_NS1_11comp_targetILNS1_3genE0ELNS1_11target_archE4294967295ELNS1_3gpuE0ELNS1_3repE0EEENS1_30default_config_static_selectorELNS0_4arch9wavefront6targetE1EEEvT1_
	.p2align	8
	.type	_ZN7rocprim17ROCPRIM_400000_NS6detail17trampoline_kernelINS0_14default_configENS1_27scan_by_key_config_selectorIssEEZZNS1_16scan_by_key_implILNS1_25lookback_scan_determinismE0ELb1ES3_N6thrust23THRUST_200600_302600_NS6detail15normal_iteratorINS9_10device_ptrIsEEEESE_SE_sNS9_4plusIsEE19head_flag_predicatesEE10hipError_tPvRmT2_T3_T4_T5_mT6_T7_P12ihipStream_tbENKUlT_T0_E_clISt17integral_constantIbLb1EESY_EEDaST_SU_EUlST_E_NS1_11comp_targetILNS1_3genE0ELNS1_11target_archE4294967295ELNS1_3gpuE0ELNS1_3repE0EEENS1_30default_config_static_selectorELNS0_4arch9wavefront6targetE1EEEvT1_,@function
_ZN7rocprim17ROCPRIM_400000_NS6detail17trampoline_kernelINS0_14default_configENS1_27scan_by_key_config_selectorIssEEZZNS1_16scan_by_key_implILNS1_25lookback_scan_determinismE0ELb1ES3_N6thrust23THRUST_200600_302600_NS6detail15normal_iteratorINS9_10device_ptrIsEEEESE_SE_sNS9_4plusIsEE19head_flag_predicatesEE10hipError_tPvRmT2_T3_T4_T5_mT6_T7_P12ihipStream_tbENKUlT_T0_E_clISt17integral_constantIbLb1EESY_EEDaST_SU_EUlST_E_NS1_11comp_targetILNS1_3genE0ELNS1_11target_archE4294967295ELNS1_3gpuE0ELNS1_3repE0EEENS1_30default_config_static_selectorELNS0_4arch9wavefront6targetE1EEEvT1_: ; @_ZN7rocprim17ROCPRIM_400000_NS6detail17trampoline_kernelINS0_14default_configENS1_27scan_by_key_config_selectorIssEEZZNS1_16scan_by_key_implILNS1_25lookback_scan_determinismE0ELb1ES3_N6thrust23THRUST_200600_302600_NS6detail15normal_iteratorINS9_10device_ptrIsEEEESE_SE_sNS9_4plusIsEE19head_flag_predicatesEE10hipError_tPvRmT2_T3_T4_T5_mT6_T7_P12ihipStream_tbENKUlT_T0_E_clISt17integral_constantIbLb1EESY_EEDaST_SU_EUlST_E_NS1_11comp_targetILNS1_3genE0ELNS1_11target_archE4294967295ELNS1_3gpuE0ELNS1_3repE0EEENS1_30default_config_static_selectorELNS0_4arch9wavefront6targetE1EEEvT1_
; %bb.0:
	.section	.rodata,"a",@progbits
	.p2align	6, 0x0
	.amdhsa_kernel _ZN7rocprim17ROCPRIM_400000_NS6detail17trampoline_kernelINS0_14default_configENS1_27scan_by_key_config_selectorIssEEZZNS1_16scan_by_key_implILNS1_25lookback_scan_determinismE0ELb1ES3_N6thrust23THRUST_200600_302600_NS6detail15normal_iteratorINS9_10device_ptrIsEEEESE_SE_sNS9_4plusIsEE19head_flag_predicatesEE10hipError_tPvRmT2_T3_T4_T5_mT6_T7_P12ihipStream_tbENKUlT_T0_E_clISt17integral_constantIbLb1EESY_EEDaST_SU_EUlST_E_NS1_11comp_targetILNS1_3genE0ELNS1_11target_archE4294967295ELNS1_3gpuE0ELNS1_3repE0EEENS1_30default_config_static_selectorELNS0_4arch9wavefront6targetE1EEEvT1_
		.amdhsa_group_segment_fixed_size 0
		.amdhsa_private_segment_fixed_size 0
		.amdhsa_kernarg_size 112
		.amdhsa_user_sgpr_count 2
		.amdhsa_user_sgpr_dispatch_ptr 0
		.amdhsa_user_sgpr_queue_ptr 0
		.amdhsa_user_sgpr_kernarg_segment_ptr 1
		.amdhsa_user_sgpr_dispatch_id 0
		.amdhsa_user_sgpr_kernarg_preload_length 0
		.amdhsa_user_sgpr_kernarg_preload_offset 0
		.amdhsa_user_sgpr_private_segment_size 0
		.amdhsa_uses_dynamic_stack 0
		.amdhsa_enable_private_segment 0
		.amdhsa_system_sgpr_workgroup_id_x 1
		.amdhsa_system_sgpr_workgroup_id_y 0
		.amdhsa_system_sgpr_workgroup_id_z 0
		.amdhsa_system_sgpr_workgroup_info 0
		.amdhsa_system_vgpr_workitem_id 0
		.amdhsa_next_free_vgpr 1
		.amdhsa_next_free_sgpr 0
		.amdhsa_accum_offset 4
		.amdhsa_reserve_vcc 0
		.amdhsa_float_round_mode_32 0
		.amdhsa_float_round_mode_16_64 0
		.amdhsa_float_denorm_mode_32 3
		.amdhsa_float_denorm_mode_16_64 3
		.amdhsa_dx10_clamp 1
		.amdhsa_ieee_mode 1
		.amdhsa_fp16_overflow 0
		.amdhsa_tg_split 0
		.amdhsa_exception_fp_ieee_invalid_op 0
		.amdhsa_exception_fp_denorm_src 0
		.amdhsa_exception_fp_ieee_div_zero 0
		.amdhsa_exception_fp_ieee_overflow 0
		.amdhsa_exception_fp_ieee_underflow 0
		.amdhsa_exception_fp_ieee_inexact 0
		.amdhsa_exception_int_div_zero 0
	.end_amdhsa_kernel
	.section	.text._ZN7rocprim17ROCPRIM_400000_NS6detail17trampoline_kernelINS0_14default_configENS1_27scan_by_key_config_selectorIssEEZZNS1_16scan_by_key_implILNS1_25lookback_scan_determinismE0ELb1ES3_N6thrust23THRUST_200600_302600_NS6detail15normal_iteratorINS9_10device_ptrIsEEEESE_SE_sNS9_4plusIsEE19head_flag_predicatesEE10hipError_tPvRmT2_T3_T4_T5_mT6_T7_P12ihipStream_tbENKUlT_T0_E_clISt17integral_constantIbLb1EESY_EEDaST_SU_EUlST_E_NS1_11comp_targetILNS1_3genE0ELNS1_11target_archE4294967295ELNS1_3gpuE0ELNS1_3repE0EEENS1_30default_config_static_selectorELNS0_4arch9wavefront6targetE1EEEvT1_,"axG",@progbits,_ZN7rocprim17ROCPRIM_400000_NS6detail17trampoline_kernelINS0_14default_configENS1_27scan_by_key_config_selectorIssEEZZNS1_16scan_by_key_implILNS1_25lookback_scan_determinismE0ELb1ES3_N6thrust23THRUST_200600_302600_NS6detail15normal_iteratorINS9_10device_ptrIsEEEESE_SE_sNS9_4plusIsEE19head_flag_predicatesEE10hipError_tPvRmT2_T3_T4_T5_mT6_T7_P12ihipStream_tbENKUlT_T0_E_clISt17integral_constantIbLb1EESY_EEDaST_SU_EUlST_E_NS1_11comp_targetILNS1_3genE0ELNS1_11target_archE4294967295ELNS1_3gpuE0ELNS1_3repE0EEENS1_30default_config_static_selectorELNS0_4arch9wavefront6targetE1EEEvT1_,comdat
.Lfunc_end866:
	.size	_ZN7rocprim17ROCPRIM_400000_NS6detail17trampoline_kernelINS0_14default_configENS1_27scan_by_key_config_selectorIssEEZZNS1_16scan_by_key_implILNS1_25lookback_scan_determinismE0ELb1ES3_N6thrust23THRUST_200600_302600_NS6detail15normal_iteratorINS9_10device_ptrIsEEEESE_SE_sNS9_4plusIsEE19head_flag_predicatesEE10hipError_tPvRmT2_T3_T4_T5_mT6_T7_P12ihipStream_tbENKUlT_T0_E_clISt17integral_constantIbLb1EESY_EEDaST_SU_EUlST_E_NS1_11comp_targetILNS1_3genE0ELNS1_11target_archE4294967295ELNS1_3gpuE0ELNS1_3repE0EEENS1_30default_config_static_selectorELNS0_4arch9wavefront6targetE1EEEvT1_, .Lfunc_end866-_ZN7rocprim17ROCPRIM_400000_NS6detail17trampoline_kernelINS0_14default_configENS1_27scan_by_key_config_selectorIssEEZZNS1_16scan_by_key_implILNS1_25lookback_scan_determinismE0ELb1ES3_N6thrust23THRUST_200600_302600_NS6detail15normal_iteratorINS9_10device_ptrIsEEEESE_SE_sNS9_4plusIsEE19head_flag_predicatesEE10hipError_tPvRmT2_T3_T4_T5_mT6_T7_P12ihipStream_tbENKUlT_T0_E_clISt17integral_constantIbLb1EESY_EEDaST_SU_EUlST_E_NS1_11comp_targetILNS1_3genE0ELNS1_11target_archE4294967295ELNS1_3gpuE0ELNS1_3repE0EEENS1_30default_config_static_selectorELNS0_4arch9wavefront6targetE1EEEvT1_
                                        ; -- End function
	.section	.AMDGPU.csdata,"",@progbits
; Kernel info:
; codeLenInByte = 0
; NumSgprs: 6
; NumVgprs: 0
; NumAgprs: 0
; TotalNumVgprs: 0
; ScratchSize: 0
; MemoryBound: 0
; FloatMode: 240
; IeeeMode: 1
; LDSByteSize: 0 bytes/workgroup (compile time only)
; SGPRBlocks: 0
; VGPRBlocks: 0
; NumSGPRsForWavesPerEU: 6
; NumVGPRsForWavesPerEU: 1
; AccumOffset: 4
; Occupancy: 8
; WaveLimiterHint : 0
; COMPUTE_PGM_RSRC2:SCRATCH_EN: 0
; COMPUTE_PGM_RSRC2:USER_SGPR: 2
; COMPUTE_PGM_RSRC2:TRAP_HANDLER: 0
; COMPUTE_PGM_RSRC2:TGID_X_EN: 1
; COMPUTE_PGM_RSRC2:TGID_Y_EN: 0
; COMPUTE_PGM_RSRC2:TGID_Z_EN: 0
; COMPUTE_PGM_RSRC2:TIDIG_COMP_CNT: 0
; COMPUTE_PGM_RSRC3_GFX90A:ACCUM_OFFSET: 0
; COMPUTE_PGM_RSRC3_GFX90A:TG_SPLIT: 0
	.section	.text._ZN7rocprim17ROCPRIM_400000_NS6detail17trampoline_kernelINS0_14default_configENS1_27scan_by_key_config_selectorIssEEZZNS1_16scan_by_key_implILNS1_25lookback_scan_determinismE0ELb1ES3_N6thrust23THRUST_200600_302600_NS6detail15normal_iteratorINS9_10device_ptrIsEEEESE_SE_sNS9_4plusIsEE19head_flag_predicatesEE10hipError_tPvRmT2_T3_T4_T5_mT6_T7_P12ihipStream_tbENKUlT_T0_E_clISt17integral_constantIbLb1EESY_EEDaST_SU_EUlST_E_NS1_11comp_targetILNS1_3genE10ELNS1_11target_archE1201ELNS1_3gpuE5ELNS1_3repE0EEENS1_30default_config_static_selectorELNS0_4arch9wavefront6targetE1EEEvT1_,"axG",@progbits,_ZN7rocprim17ROCPRIM_400000_NS6detail17trampoline_kernelINS0_14default_configENS1_27scan_by_key_config_selectorIssEEZZNS1_16scan_by_key_implILNS1_25lookback_scan_determinismE0ELb1ES3_N6thrust23THRUST_200600_302600_NS6detail15normal_iteratorINS9_10device_ptrIsEEEESE_SE_sNS9_4plusIsEE19head_flag_predicatesEE10hipError_tPvRmT2_T3_T4_T5_mT6_T7_P12ihipStream_tbENKUlT_T0_E_clISt17integral_constantIbLb1EESY_EEDaST_SU_EUlST_E_NS1_11comp_targetILNS1_3genE10ELNS1_11target_archE1201ELNS1_3gpuE5ELNS1_3repE0EEENS1_30default_config_static_selectorELNS0_4arch9wavefront6targetE1EEEvT1_,comdat
	.protected	_ZN7rocprim17ROCPRIM_400000_NS6detail17trampoline_kernelINS0_14default_configENS1_27scan_by_key_config_selectorIssEEZZNS1_16scan_by_key_implILNS1_25lookback_scan_determinismE0ELb1ES3_N6thrust23THRUST_200600_302600_NS6detail15normal_iteratorINS9_10device_ptrIsEEEESE_SE_sNS9_4plusIsEE19head_flag_predicatesEE10hipError_tPvRmT2_T3_T4_T5_mT6_T7_P12ihipStream_tbENKUlT_T0_E_clISt17integral_constantIbLb1EESY_EEDaST_SU_EUlST_E_NS1_11comp_targetILNS1_3genE10ELNS1_11target_archE1201ELNS1_3gpuE5ELNS1_3repE0EEENS1_30default_config_static_selectorELNS0_4arch9wavefront6targetE1EEEvT1_ ; -- Begin function _ZN7rocprim17ROCPRIM_400000_NS6detail17trampoline_kernelINS0_14default_configENS1_27scan_by_key_config_selectorIssEEZZNS1_16scan_by_key_implILNS1_25lookback_scan_determinismE0ELb1ES3_N6thrust23THRUST_200600_302600_NS6detail15normal_iteratorINS9_10device_ptrIsEEEESE_SE_sNS9_4plusIsEE19head_flag_predicatesEE10hipError_tPvRmT2_T3_T4_T5_mT6_T7_P12ihipStream_tbENKUlT_T0_E_clISt17integral_constantIbLb1EESY_EEDaST_SU_EUlST_E_NS1_11comp_targetILNS1_3genE10ELNS1_11target_archE1201ELNS1_3gpuE5ELNS1_3repE0EEENS1_30default_config_static_selectorELNS0_4arch9wavefront6targetE1EEEvT1_
	.globl	_ZN7rocprim17ROCPRIM_400000_NS6detail17trampoline_kernelINS0_14default_configENS1_27scan_by_key_config_selectorIssEEZZNS1_16scan_by_key_implILNS1_25lookback_scan_determinismE0ELb1ES3_N6thrust23THRUST_200600_302600_NS6detail15normal_iteratorINS9_10device_ptrIsEEEESE_SE_sNS9_4plusIsEE19head_flag_predicatesEE10hipError_tPvRmT2_T3_T4_T5_mT6_T7_P12ihipStream_tbENKUlT_T0_E_clISt17integral_constantIbLb1EESY_EEDaST_SU_EUlST_E_NS1_11comp_targetILNS1_3genE10ELNS1_11target_archE1201ELNS1_3gpuE5ELNS1_3repE0EEENS1_30default_config_static_selectorELNS0_4arch9wavefront6targetE1EEEvT1_
	.p2align	8
	.type	_ZN7rocprim17ROCPRIM_400000_NS6detail17trampoline_kernelINS0_14default_configENS1_27scan_by_key_config_selectorIssEEZZNS1_16scan_by_key_implILNS1_25lookback_scan_determinismE0ELb1ES3_N6thrust23THRUST_200600_302600_NS6detail15normal_iteratorINS9_10device_ptrIsEEEESE_SE_sNS9_4plusIsEE19head_flag_predicatesEE10hipError_tPvRmT2_T3_T4_T5_mT6_T7_P12ihipStream_tbENKUlT_T0_E_clISt17integral_constantIbLb1EESY_EEDaST_SU_EUlST_E_NS1_11comp_targetILNS1_3genE10ELNS1_11target_archE1201ELNS1_3gpuE5ELNS1_3repE0EEENS1_30default_config_static_selectorELNS0_4arch9wavefront6targetE1EEEvT1_,@function
_ZN7rocprim17ROCPRIM_400000_NS6detail17trampoline_kernelINS0_14default_configENS1_27scan_by_key_config_selectorIssEEZZNS1_16scan_by_key_implILNS1_25lookback_scan_determinismE0ELb1ES3_N6thrust23THRUST_200600_302600_NS6detail15normal_iteratorINS9_10device_ptrIsEEEESE_SE_sNS9_4plusIsEE19head_flag_predicatesEE10hipError_tPvRmT2_T3_T4_T5_mT6_T7_P12ihipStream_tbENKUlT_T0_E_clISt17integral_constantIbLb1EESY_EEDaST_SU_EUlST_E_NS1_11comp_targetILNS1_3genE10ELNS1_11target_archE1201ELNS1_3gpuE5ELNS1_3repE0EEENS1_30default_config_static_selectorELNS0_4arch9wavefront6targetE1EEEvT1_: ; @_ZN7rocprim17ROCPRIM_400000_NS6detail17trampoline_kernelINS0_14default_configENS1_27scan_by_key_config_selectorIssEEZZNS1_16scan_by_key_implILNS1_25lookback_scan_determinismE0ELb1ES3_N6thrust23THRUST_200600_302600_NS6detail15normal_iteratorINS9_10device_ptrIsEEEESE_SE_sNS9_4plusIsEE19head_flag_predicatesEE10hipError_tPvRmT2_T3_T4_T5_mT6_T7_P12ihipStream_tbENKUlT_T0_E_clISt17integral_constantIbLb1EESY_EEDaST_SU_EUlST_E_NS1_11comp_targetILNS1_3genE10ELNS1_11target_archE1201ELNS1_3gpuE5ELNS1_3repE0EEENS1_30default_config_static_selectorELNS0_4arch9wavefront6targetE1EEEvT1_
; %bb.0:
	.section	.rodata,"a",@progbits
	.p2align	6, 0x0
	.amdhsa_kernel _ZN7rocprim17ROCPRIM_400000_NS6detail17trampoline_kernelINS0_14default_configENS1_27scan_by_key_config_selectorIssEEZZNS1_16scan_by_key_implILNS1_25lookback_scan_determinismE0ELb1ES3_N6thrust23THRUST_200600_302600_NS6detail15normal_iteratorINS9_10device_ptrIsEEEESE_SE_sNS9_4plusIsEE19head_flag_predicatesEE10hipError_tPvRmT2_T3_T4_T5_mT6_T7_P12ihipStream_tbENKUlT_T0_E_clISt17integral_constantIbLb1EESY_EEDaST_SU_EUlST_E_NS1_11comp_targetILNS1_3genE10ELNS1_11target_archE1201ELNS1_3gpuE5ELNS1_3repE0EEENS1_30default_config_static_selectorELNS0_4arch9wavefront6targetE1EEEvT1_
		.amdhsa_group_segment_fixed_size 0
		.amdhsa_private_segment_fixed_size 0
		.amdhsa_kernarg_size 112
		.amdhsa_user_sgpr_count 2
		.amdhsa_user_sgpr_dispatch_ptr 0
		.amdhsa_user_sgpr_queue_ptr 0
		.amdhsa_user_sgpr_kernarg_segment_ptr 1
		.amdhsa_user_sgpr_dispatch_id 0
		.amdhsa_user_sgpr_kernarg_preload_length 0
		.amdhsa_user_sgpr_kernarg_preload_offset 0
		.amdhsa_user_sgpr_private_segment_size 0
		.amdhsa_uses_dynamic_stack 0
		.amdhsa_enable_private_segment 0
		.amdhsa_system_sgpr_workgroup_id_x 1
		.amdhsa_system_sgpr_workgroup_id_y 0
		.amdhsa_system_sgpr_workgroup_id_z 0
		.amdhsa_system_sgpr_workgroup_info 0
		.amdhsa_system_vgpr_workitem_id 0
		.amdhsa_next_free_vgpr 1
		.amdhsa_next_free_sgpr 0
		.amdhsa_accum_offset 4
		.amdhsa_reserve_vcc 0
		.amdhsa_float_round_mode_32 0
		.amdhsa_float_round_mode_16_64 0
		.amdhsa_float_denorm_mode_32 3
		.amdhsa_float_denorm_mode_16_64 3
		.amdhsa_dx10_clamp 1
		.amdhsa_ieee_mode 1
		.amdhsa_fp16_overflow 0
		.amdhsa_tg_split 0
		.amdhsa_exception_fp_ieee_invalid_op 0
		.amdhsa_exception_fp_denorm_src 0
		.amdhsa_exception_fp_ieee_div_zero 0
		.amdhsa_exception_fp_ieee_overflow 0
		.amdhsa_exception_fp_ieee_underflow 0
		.amdhsa_exception_fp_ieee_inexact 0
		.amdhsa_exception_int_div_zero 0
	.end_amdhsa_kernel
	.section	.text._ZN7rocprim17ROCPRIM_400000_NS6detail17trampoline_kernelINS0_14default_configENS1_27scan_by_key_config_selectorIssEEZZNS1_16scan_by_key_implILNS1_25lookback_scan_determinismE0ELb1ES3_N6thrust23THRUST_200600_302600_NS6detail15normal_iteratorINS9_10device_ptrIsEEEESE_SE_sNS9_4plusIsEE19head_flag_predicatesEE10hipError_tPvRmT2_T3_T4_T5_mT6_T7_P12ihipStream_tbENKUlT_T0_E_clISt17integral_constantIbLb1EESY_EEDaST_SU_EUlST_E_NS1_11comp_targetILNS1_3genE10ELNS1_11target_archE1201ELNS1_3gpuE5ELNS1_3repE0EEENS1_30default_config_static_selectorELNS0_4arch9wavefront6targetE1EEEvT1_,"axG",@progbits,_ZN7rocprim17ROCPRIM_400000_NS6detail17trampoline_kernelINS0_14default_configENS1_27scan_by_key_config_selectorIssEEZZNS1_16scan_by_key_implILNS1_25lookback_scan_determinismE0ELb1ES3_N6thrust23THRUST_200600_302600_NS6detail15normal_iteratorINS9_10device_ptrIsEEEESE_SE_sNS9_4plusIsEE19head_flag_predicatesEE10hipError_tPvRmT2_T3_T4_T5_mT6_T7_P12ihipStream_tbENKUlT_T0_E_clISt17integral_constantIbLb1EESY_EEDaST_SU_EUlST_E_NS1_11comp_targetILNS1_3genE10ELNS1_11target_archE1201ELNS1_3gpuE5ELNS1_3repE0EEENS1_30default_config_static_selectorELNS0_4arch9wavefront6targetE1EEEvT1_,comdat
.Lfunc_end867:
	.size	_ZN7rocprim17ROCPRIM_400000_NS6detail17trampoline_kernelINS0_14default_configENS1_27scan_by_key_config_selectorIssEEZZNS1_16scan_by_key_implILNS1_25lookback_scan_determinismE0ELb1ES3_N6thrust23THRUST_200600_302600_NS6detail15normal_iteratorINS9_10device_ptrIsEEEESE_SE_sNS9_4plusIsEE19head_flag_predicatesEE10hipError_tPvRmT2_T3_T4_T5_mT6_T7_P12ihipStream_tbENKUlT_T0_E_clISt17integral_constantIbLb1EESY_EEDaST_SU_EUlST_E_NS1_11comp_targetILNS1_3genE10ELNS1_11target_archE1201ELNS1_3gpuE5ELNS1_3repE0EEENS1_30default_config_static_selectorELNS0_4arch9wavefront6targetE1EEEvT1_, .Lfunc_end867-_ZN7rocprim17ROCPRIM_400000_NS6detail17trampoline_kernelINS0_14default_configENS1_27scan_by_key_config_selectorIssEEZZNS1_16scan_by_key_implILNS1_25lookback_scan_determinismE0ELb1ES3_N6thrust23THRUST_200600_302600_NS6detail15normal_iteratorINS9_10device_ptrIsEEEESE_SE_sNS9_4plusIsEE19head_flag_predicatesEE10hipError_tPvRmT2_T3_T4_T5_mT6_T7_P12ihipStream_tbENKUlT_T0_E_clISt17integral_constantIbLb1EESY_EEDaST_SU_EUlST_E_NS1_11comp_targetILNS1_3genE10ELNS1_11target_archE1201ELNS1_3gpuE5ELNS1_3repE0EEENS1_30default_config_static_selectorELNS0_4arch9wavefront6targetE1EEEvT1_
                                        ; -- End function
	.section	.AMDGPU.csdata,"",@progbits
; Kernel info:
; codeLenInByte = 0
; NumSgprs: 6
; NumVgprs: 0
; NumAgprs: 0
; TotalNumVgprs: 0
; ScratchSize: 0
; MemoryBound: 0
; FloatMode: 240
; IeeeMode: 1
; LDSByteSize: 0 bytes/workgroup (compile time only)
; SGPRBlocks: 0
; VGPRBlocks: 0
; NumSGPRsForWavesPerEU: 6
; NumVGPRsForWavesPerEU: 1
; AccumOffset: 4
; Occupancy: 8
; WaveLimiterHint : 0
; COMPUTE_PGM_RSRC2:SCRATCH_EN: 0
; COMPUTE_PGM_RSRC2:USER_SGPR: 2
; COMPUTE_PGM_RSRC2:TRAP_HANDLER: 0
; COMPUTE_PGM_RSRC2:TGID_X_EN: 1
; COMPUTE_PGM_RSRC2:TGID_Y_EN: 0
; COMPUTE_PGM_RSRC2:TGID_Z_EN: 0
; COMPUTE_PGM_RSRC2:TIDIG_COMP_CNT: 0
; COMPUTE_PGM_RSRC3_GFX90A:ACCUM_OFFSET: 0
; COMPUTE_PGM_RSRC3_GFX90A:TG_SPLIT: 0
	.section	.text._ZN7rocprim17ROCPRIM_400000_NS6detail17trampoline_kernelINS0_14default_configENS1_27scan_by_key_config_selectorIssEEZZNS1_16scan_by_key_implILNS1_25lookback_scan_determinismE0ELb1ES3_N6thrust23THRUST_200600_302600_NS6detail15normal_iteratorINS9_10device_ptrIsEEEESE_SE_sNS9_4plusIsEE19head_flag_predicatesEE10hipError_tPvRmT2_T3_T4_T5_mT6_T7_P12ihipStream_tbENKUlT_T0_E_clISt17integral_constantIbLb1EESY_EEDaST_SU_EUlST_E_NS1_11comp_targetILNS1_3genE5ELNS1_11target_archE942ELNS1_3gpuE9ELNS1_3repE0EEENS1_30default_config_static_selectorELNS0_4arch9wavefront6targetE1EEEvT1_,"axG",@progbits,_ZN7rocprim17ROCPRIM_400000_NS6detail17trampoline_kernelINS0_14default_configENS1_27scan_by_key_config_selectorIssEEZZNS1_16scan_by_key_implILNS1_25lookback_scan_determinismE0ELb1ES3_N6thrust23THRUST_200600_302600_NS6detail15normal_iteratorINS9_10device_ptrIsEEEESE_SE_sNS9_4plusIsEE19head_flag_predicatesEE10hipError_tPvRmT2_T3_T4_T5_mT6_T7_P12ihipStream_tbENKUlT_T0_E_clISt17integral_constantIbLb1EESY_EEDaST_SU_EUlST_E_NS1_11comp_targetILNS1_3genE5ELNS1_11target_archE942ELNS1_3gpuE9ELNS1_3repE0EEENS1_30default_config_static_selectorELNS0_4arch9wavefront6targetE1EEEvT1_,comdat
	.protected	_ZN7rocprim17ROCPRIM_400000_NS6detail17trampoline_kernelINS0_14default_configENS1_27scan_by_key_config_selectorIssEEZZNS1_16scan_by_key_implILNS1_25lookback_scan_determinismE0ELb1ES3_N6thrust23THRUST_200600_302600_NS6detail15normal_iteratorINS9_10device_ptrIsEEEESE_SE_sNS9_4plusIsEE19head_flag_predicatesEE10hipError_tPvRmT2_T3_T4_T5_mT6_T7_P12ihipStream_tbENKUlT_T0_E_clISt17integral_constantIbLb1EESY_EEDaST_SU_EUlST_E_NS1_11comp_targetILNS1_3genE5ELNS1_11target_archE942ELNS1_3gpuE9ELNS1_3repE0EEENS1_30default_config_static_selectorELNS0_4arch9wavefront6targetE1EEEvT1_ ; -- Begin function _ZN7rocprim17ROCPRIM_400000_NS6detail17trampoline_kernelINS0_14default_configENS1_27scan_by_key_config_selectorIssEEZZNS1_16scan_by_key_implILNS1_25lookback_scan_determinismE0ELb1ES3_N6thrust23THRUST_200600_302600_NS6detail15normal_iteratorINS9_10device_ptrIsEEEESE_SE_sNS9_4plusIsEE19head_flag_predicatesEE10hipError_tPvRmT2_T3_T4_T5_mT6_T7_P12ihipStream_tbENKUlT_T0_E_clISt17integral_constantIbLb1EESY_EEDaST_SU_EUlST_E_NS1_11comp_targetILNS1_3genE5ELNS1_11target_archE942ELNS1_3gpuE9ELNS1_3repE0EEENS1_30default_config_static_selectorELNS0_4arch9wavefront6targetE1EEEvT1_
	.globl	_ZN7rocprim17ROCPRIM_400000_NS6detail17trampoline_kernelINS0_14default_configENS1_27scan_by_key_config_selectorIssEEZZNS1_16scan_by_key_implILNS1_25lookback_scan_determinismE0ELb1ES3_N6thrust23THRUST_200600_302600_NS6detail15normal_iteratorINS9_10device_ptrIsEEEESE_SE_sNS9_4plusIsEE19head_flag_predicatesEE10hipError_tPvRmT2_T3_T4_T5_mT6_T7_P12ihipStream_tbENKUlT_T0_E_clISt17integral_constantIbLb1EESY_EEDaST_SU_EUlST_E_NS1_11comp_targetILNS1_3genE5ELNS1_11target_archE942ELNS1_3gpuE9ELNS1_3repE0EEENS1_30default_config_static_selectorELNS0_4arch9wavefront6targetE1EEEvT1_
	.p2align	8
	.type	_ZN7rocprim17ROCPRIM_400000_NS6detail17trampoline_kernelINS0_14default_configENS1_27scan_by_key_config_selectorIssEEZZNS1_16scan_by_key_implILNS1_25lookback_scan_determinismE0ELb1ES3_N6thrust23THRUST_200600_302600_NS6detail15normal_iteratorINS9_10device_ptrIsEEEESE_SE_sNS9_4plusIsEE19head_flag_predicatesEE10hipError_tPvRmT2_T3_T4_T5_mT6_T7_P12ihipStream_tbENKUlT_T0_E_clISt17integral_constantIbLb1EESY_EEDaST_SU_EUlST_E_NS1_11comp_targetILNS1_3genE5ELNS1_11target_archE942ELNS1_3gpuE9ELNS1_3repE0EEENS1_30default_config_static_selectorELNS0_4arch9wavefront6targetE1EEEvT1_,@function
_ZN7rocprim17ROCPRIM_400000_NS6detail17trampoline_kernelINS0_14default_configENS1_27scan_by_key_config_selectorIssEEZZNS1_16scan_by_key_implILNS1_25lookback_scan_determinismE0ELb1ES3_N6thrust23THRUST_200600_302600_NS6detail15normal_iteratorINS9_10device_ptrIsEEEESE_SE_sNS9_4plusIsEE19head_flag_predicatesEE10hipError_tPvRmT2_T3_T4_T5_mT6_T7_P12ihipStream_tbENKUlT_T0_E_clISt17integral_constantIbLb1EESY_EEDaST_SU_EUlST_E_NS1_11comp_targetILNS1_3genE5ELNS1_11target_archE942ELNS1_3gpuE9ELNS1_3repE0EEENS1_30default_config_static_selectorELNS0_4arch9wavefront6targetE1EEEvT1_: ; @_ZN7rocprim17ROCPRIM_400000_NS6detail17trampoline_kernelINS0_14default_configENS1_27scan_by_key_config_selectorIssEEZZNS1_16scan_by_key_implILNS1_25lookback_scan_determinismE0ELb1ES3_N6thrust23THRUST_200600_302600_NS6detail15normal_iteratorINS9_10device_ptrIsEEEESE_SE_sNS9_4plusIsEE19head_flag_predicatesEE10hipError_tPvRmT2_T3_T4_T5_mT6_T7_P12ihipStream_tbENKUlT_T0_E_clISt17integral_constantIbLb1EESY_EEDaST_SU_EUlST_E_NS1_11comp_targetILNS1_3genE5ELNS1_11target_archE942ELNS1_3gpuE9ELNS1_3repE0EEENS1_30default_config_static_selectorELNS0_4arch9wavefront6targetE1EEEvT1_
; %bb.0:
	s_load_dword s74, s[0:1], 0x20
	s_load_dwordx4 s[64:67], s[0:1], 0x28
	s_load_dwordx2 s[72:73], s[0:1], 0x38
	v_cmp_eq_u32_e64 s[52:53], 0, v0
	s_and_saveexec_b64 s[2:3], s[52:53]
	s_cbranch_execz .LBB868_4
; %bb.1:
	s_mov_b64 s[6:7], exec
	v_mbcnt_lo_u32_b32 v1, s6, 0
	v_mbcnt_hi_u32_b32 v1, s7, v1
	v_cmp_eq_u32_e32 vcc, 0, v1
                                        ; implicit-def: $vgpr2
	s_and_saveexec_b64 s[4:5], vcc
	s_cbranch_execz .LBB868_3
; %bb.2:
	s_load_dwordx2 s[8:9], s[0:1], 0x68
	s_bcnt1_i32_b64 s6, s[6:7]
	v_mov_b32_e32 v2, 0
	v_mov_b32_e32 v3, s6
	s_waitcnt lgkmcnt(0)
	global_atomic_add v2, v2, v3, s[8:9] sc0
.LBB868_3:
	s_or_b64 exec, exec, s[4:5]
	s_waitcnt vmcnt(0)
	v_readfirstlane_b32 s4, v2
	v_mov_b32_e32 v2, 0
	s_nop 0
	v_add_u32_e32 v1, s4, v1
	ds_write_b32 v2, v1
.LBB868_4:
	s_or_b64 exec, exec, s[2:3]
	s_load_dwordx8 s[56:63], s[0:1], 0x0
	s_load_dword s2, s[0:1], 0x40
	s_load_dwordx4 s[68:71], s[0:1], 0x48
	v_mov_b32_e32 v3, 0
	s_waitcnt lgkmcnt(0)
	s_lshl_b64 s[54:55], s[58:59], 1
	s_barrier
	ds_read_b32 v2, v3
	s_add_u32 s0, s56, s54
	s_addc_u32 s1, s57, s55
	s_add_u32 s4, s60, s54
	s_mul_i32 s3, s73, s2
	s_mul_hi_u32 s6, s72, s2
	s_addc_u32 s5, s61, s55
	s_add_i32 s3, s6, s3
	s_movk_i32 s6, 0x1800
	s_waitcnt lgkmcnt(0)
	v_mul_lo_u32 v4, v2, s6
	v_mov_b32_e32 v5, v3
	v_lshlrev_b64 v[26:27], 1, v[4:5]
	s_mul_i32 s2, s72, s2
	v_lshl_add_u64 v[18:19], s[4:5], 0, v[26:27]
	s_add_u32 s4, s68, -1
	v_readfirstlane_b32 s67, v2
	v_lshl_add_u64 v[2:3], s[2:3], 0, v[2:3]
	s_addc_u32 s5, s69, -1
	v_cmp_le_u64_e64 s[2:3], s[4:5], v[2:3]
	v_lshl_add_u64 v[20:21], s[0:1], 0, v[26:27]
	s_mov_b64 s[0:1], -1
	s_and_b64 vcc, exec, s[2:3]
	s_mul_i32 s33, s4, 0xffffe800
	s_barrier
	s_barrier
	s_cbranch_vccz .LBB868_130
; %bb.5:
	flat_load_ushort v2, v[20:21]
	s_add_i32 s69, s33, s66
	v_cmp_gt_u32_e32 vcc, s69, v0
	s_waitcnt vmcnt(0) lgkmcnt(0)
	v_mov_b32_e32 v3, v2
	s_and_saveexec_b64 s[0:1], vcc
	s_cbranch_execz .LBB868_7
; %bb.6:
	v_lshlrev_b32_e32 v4, 1, v0
	v_mov_b32_e32 v5, 0
	v_lshl_add_u64 v[4:5], v[20:21], 0, v[4:5]
	flat_load_ushort v3, v[4:5]
.LBB868_7:
	s_or_b64 exec, exec, s[0:1]
	v_or_b32_e32 v1, 0x100, v0
	v_cmp_gt_u32_e64 s[4:5], s69, v1
	v_mov_b32_e32 v4, v2
	s_and_saveexec_b64 s[0:1], s[4:5]
	s_cbranch_execz .LBB868_9
; %bb.8:
	v_lshlrev_b32_e32 v4, 1, v0
	v_mov_b32_e32 v5, 0
	v_lshl_add_u64 v[4:5], v[20:21], 0, v[4:5]
	flat_load_ushort v4, v[4:5] offset:512
.LBB868_9:
	s_or_b64 exec, exec, s[0:1]
	v_or_b32_e32 v1, 0x200, v0
	v_cmp_gt_u32_e64 s[6:7], s69, v1
	v_mov_b32_e32 v5, v2
	s_and_saveexec_b64 s[0:1], s[6:7]
	s_cbranch_execz .LBB868_11
; %bb.10:
	v_lshlrev_b32_e32 v6, 1, v0
	v_mov_b32_e32 v7, 0
	v_lshl_add_u64 v[6:7], v[20:21], 0, v[6:7]
	flat_load_ushort v5, v[6:7] offset:1024
.LBB868_11:
	;; [unrolled: 12-line block ×7, first 2 shown]
	s_or_b64 exec, exec, s[0:1]
	v_or_b32_e32 v1, 0x800, v0
	v_cmp_gt_u32_e64 s[18:19], s69, v1
	v_mov_b32_e32 v11, v2
	s_and_saveexec_b64 s[0:1], s[18:19]
	s_cbranch_execz .LBB868_23
; %bb.22:
	v_lshlrev_b32_e32 v12, 1, v1
	v_mov_b32_e32 v13, 0
	v_lshl_add_u64 v[12:13], v[20:21], 0, v[12:13]
	flat_load_ushort v11, v[12:13]
.LBB868_23:
	s_or_b64 exec, exec, s[0:1]
	v_or_b32_e32 v16, 0x900, v0
	v_cmp_gt_u32_e64 s[20:21], s69, v16
	v_mov_b32_e32 v12, v2
	s_and_saveexec_b64 s[0:1], s[20:21]
	s_cbranch_execz .LBB868_25
; %bb.24:
	v_lshlrev_b32_e32 v12, 1, v16
	v_mov_b32_e32 v13, 0
	v_lshl_add_u64 v[12:13], v[20:21], 0, v[12:13]
	flat_load_ushort v12, v[12:13]
.LBB868_25:
	;; [unrolled: 12-line block ×15, first 2 shown]
	s_or_b64 exec, exec, s[0:1]
	v_or_b32_e32 v37, 0x1700, v0
	v_cmp_gt_u32_e64 s[50:51], s69, v37
	s_and_saveexec_b64 s[0:1], s[50:51]
	s_cbranch_execz .LBB868_53
; %bb.52:
	v_lshlrev_b32_e32 v48, 1, v37
	v_mov_b32_e32 v49, 0
	v_lshl_add_u64 v[48:49], v[20:21], 0, v[48:49]
	flat_load_ushort v2, v[48:49]
.LBB868_53:
	s_or_b64 exec, exec, s[0:1]
	v_lshlrev_b32_e32 v14, 1, v0
	s_waitcnt vmcnt(0) lgkmcnt(0)
	ds_write_b16 v14, v3
	ds_write_b16 v14, v4 offset:512
	ds_write_b16 v14, v5 offset:1024
	;; [unrolled: 1-line block ×23, first 2 shown]
	s_waitcnt lgkmcnt(0)
	s_barrier
	flat_load_ushort v28, v[20:21]
	v_mad_u32_u24 v48, v0, 46, v14
	ds_read_b128 v[10:13], v48
	ds_read_b128 v[6:9], v48 offset:16
	ds_read_b128 v[2:5], v48 offset:32
	s_movk_i32 s0, 0xffd2
	v_mad_i32_i24 v15, v0, s0, v48
	s_movk_i32 s0, 0xff
	v_cmp_ne_u32_e64 s[0:1], s0, v0
	s_waitcnt lgkmcnt(0)
	ds_write_b16 v15, v10 offset:12800
	s_waitcnt lgkmcnt(0)
	s_barrier
	s_and_saveexec_b64 s[56:57], s[0:1]
	s_cbranch_execz .LBB868_55
; %bb.54:
	s_waitcnt vmcnt(0)
	ds_read_u16 v28, v14 offset:12802
.LBB868_55:
	s_or_b64 exec, exec, s[56:57]
	v_mov_b32_e32 v15, 0
	s_waitcnt lgkmcnt(0)
	s_barrier
	s_waitcnt lgkmcnt(0)
                                        ; implicit-def: $vgpr38
	s_and_saveexec_b64 s[0:1], vcc
	s_cbranch_execz .LBB868_209
; %bb.56:
	v_lshl_add_u64 v[38:39], v[18:19], 0, v[14:15]
	flat_load_ushort v38, v[38:39]
	s_or_b64 exec, exec, s[0:1]
                                        ; implicit-def: $vgpr39
	s_and_saveexec_b64 s[0:1], s[4:5]
	s_cbranch_execnz .LBB868_210
.LBB868_57:
	s_or_b64 exec, exec, s[0:1]
                                        ; implicit-def: $vgpr40
	s_and_saveexec_b64 s[0:1], s[6:7]
	s_cbranch_execz .LBB868_211
.LBB868_58:
	v_mov_b32_e32 v15, 0
	v_lshl_add_u64 v[40:41], v[18:19], 0, v[14:15]
	flat_load_ushort v40, v[40:41] offset:1024
	s_or_b64 exec, exec, s[0:1]
                                        ; implicit-def: $vgpr41
	s_and_saveexec_b64 s[0:1], s[8:9]
	s_cbranch_execnz .LBB868_212
.LBB868_59:
	s_or_b64 exec, exec, s[0:1]
                                        ; implicit-def: $vgpr42
	s_and_saveexec_b64 s[0:1], s[10:11]
	s_cbranch_execz .LBB868_213
.LBB868_60:
	v_mov_b32_e32 v15, 0
	v_lshl_add_u64 v[42:43], v[18:19], 0, v[14:15]
	flat_load_ushort v42, v[42:43] offset:2048
	s_or_b64 exec, exec, s[0:1]
                                        ; implicit-def: $vgpr43
	s_and_saveexec_b64 s[0:1], s[12:13]
	s_cbranch_execnz .LBB868_214
.LBB868_61:
	s_or_b64 exec, exec, s[0:1]
                                        ; implicit-def: $vgpr44
	s_and_saveexec_b64 s[0:1], s[14:15]
	s_cbranch_execz .LBB868_215
.LBB868_62:
	v_mov_b32_e32 v15, 0
	v_lshl_add_u64 v[44:45], v[18:19], 0, v[14:15]
	flat_load_ushort v44, v[44:45] offset:3072
	s_or_b64 exec, exec, s[0:1]
                                        ; implicit-def: $vgpr15
	s_and_saveexec_b64 s[0:1], s[16:17]
	s_cbranch_execnz .LBB868_216
.LBB868_63:
	s_or_b64 exec, exec, s[0:1]
                                        ; implicit-def: $vgpr45
	s_and_saveexec_b64 s[0:1], s[18:19]
	s_cbranch_execz .LBB868_217
.LBB868_64:
	v_lshlrev_b32_e32 v46, 1, v1
	v_mov_b32_e32 v47, 0
	v_lshl_add_u64 v[46:47], v[18:19], 0, v[46:47]
	flat_load_ushort v45, v[46:47]
	s_or_b64 exec, exec, s[0:1]
                                        ; implicit-def: $vgpr1
	s_and_saveexec_b64 s[0:1], s[20:21]
	s_cbranch_execnz .LBB868_218
.LBB868_65:
	s_or_b64 exec, exec, s[0:1]
                                        ; implicit-def: $vgpr16
	s_and_saveexec_b64 s[0:1], s[22:23]
	s_cbranch_execz .LBB868_219
.LBB868_66:
	v_lshlrev_b32_e32 v16, 1, v17
	v_mov_b32_e32 v17, 0
	v_lshl_add_u64 v[16:17], v[18:19], 0, v[16:17]
	flat_load_ushort v16, v[16:17]
	s_or_b64 exec, exec, s[0:1]
                                        ; implicit-def: $vgpr17
	s_and_saveexec_b64 s[0:1], s[24:25]
	s_cbranch_execnz .LBB868_220
.LBB868_67:
	s_or_b64 exec, exec, s[0:1]
                                        ; implicit-def: $vgpr22
	s_and_saveexec_b64 s[0:1], s[26:27]
	s_cbranch_execz .LBB868_221
.LBB868_68:
	v_lshlrev_b32_e32 v22, 1, v23
	v_mov_b32_e32 v23, 0
	v_lshl_add_u64 v[22:23], v[18:19], 0, v[22:23]
	flat_load_ushort v22, v[22:23]
	s_or_b64 exec, exec, s[0:1]
                                        ; implicit-def: $vgpr23
	s_and_saveexec_b64 s[0:1], s[28:29]
	s_cbranch_execnz .LBB868_222
.LBB868_69:
	s_or_b64 exec, exec, s[0:1]
                                        ; implicit-def: $vgpr24
	s_and_saveexec_b64 s[0:1], s[30:31]
	s_cbranch_execz .LBB868_223
.LBB868_70:
	v_lshlrev_b32_e32 v24, 1, v25
	v_mov_b32_e32 v25, 0
	v_lshl_add_u64 v[24:25], v[18:19], 0, v[24:25]
	flat_load_ushort v24, v[24:25]
	s_or_b64 exec, exec, s[0:1]
                                        ; implicit-def: $vgpr25
	s_and_saveexec_b64 s[0:1], s[34:35]
	s_cbranch_execnz .LBB868_224
.LBB868_71:
	s_or_b64 exec, exec, s[0:1]
                                        ; implicit-def: $vgpr29
	s_and_saveexec_b64 s[0:1], s[36:37]
	s_cbranch_execz .LBB868_225
.LBB868_72:
	v_lshlrev_b32_e32 v46, 1, v30
	v_mov_b32_e32 v47, 0
	v_lshl_add_u64 v[46:47], v[18:19], 0, v[46:47]
	flat_load_ushort v29, v[46:47]
	s_or_b64 exec, exec, s[0:1]
                                        ; implicit-def: $vgpr30
	s_and_saveexec_b64 s[0:1], s[38:39]
	s_cbranch_execnz .LBB868_226
.LBB868_73:
	s_or_b64 exec, exec, s[0:1]
                                        ; implicit-def: $vgpr31
	s_and_saveexec_b64 s[0:1], s[40:41]
	s_cbranch_execz .LBB868_227
.LBB868_74:
	v_lshlrev_b32_e32 v46, 1, v32
	v_mov_b32_e32 v47, 0
	v_lshl_add_u64 v[46:47], v[18:19], 0, v[46:47]
	flat_load_ushort v31, v[46:47]
	s_or_b64 exec, exec, s[0:1]
                                        ; implicit-def: $vgpr32
	s_and_saveexec_b64 s[0:1], s[42:43]
	s_cbranch_execnz .LBB868_228
.LBB868_75:
	s_or_b64 exec, exec, s[0:1]
                                        ; implicit-def: $vgpr33
	s_and_saveexec_b64 s[0:1], s[44:45]
	s_cbranch_execz .LBB868_229
.LBB868_76:
	v_lshlrev_b32_e32 v46, 1, v34
	v_mov_b32_e32 v47, 0
	v_lshl_add_u64 v[46:47], v[18:19], 0, v[46:47]
	flat_load_ushort v33, v[46:47]
	s_or_b64 exec, exec, s[0:1]
                                        ; implicit-def: $vgpr34
	s_and_saveexec_b64 s[0:1], s[46:47]
	s_cbranch_execnz .LBB868_230
.LBB868_77:
	s_or_b64 exec, exec, s[0:1]
                                        ; implicit-def: $vgpr35
	s_and_saveexec_b64 s[0:1], s[48:49]
	s_cbranch_execz .LBB868_79
.LBB868_78:
	v_lshlrev_b32_e32 v46, 1, v36
	v_mov_b32_e32 v47, 0
	v_lshl_add_u64 v[46:47], v[18:19], 0, v[46:47]
	flat_load_ushort v35, v[46:47]
.LBB868_79:
	s_or_b64 exec, exec, s[0:1]
	v_mul_u32_u24_e32 v49, 24, v0
                                        ; implicit-def: $vgpr36
	s_and_saveexec_b64 s[0:1], s[50:51]
	s_cbranch_execz .LBB868_81
; %bb.80:
	v_lshlrev_b32_e32 v36, 1, v37
	v_mov_b32_e32 v37, 0
	v_lshl_add_u64 v[36:37], v[18:19], 0, v[36:37]
	flat_load_ushort v36, v[36:37]
.LBB868_81:
	s_or_b64 exec, exec, s[0:1]
	s_waitcnt vmcnt(0) lgkmcnt(0)
	ds_write_b16 v14, v38
	ds_write_b16 v14, v39 offset:512
	ds_write_b16 v14, v40 offset:1024
	;; [unrolled: 1-line block ×23, first 2 shown]
	v_cmp_gt_u32_e32 vcc, s69, v49
	s_mov_b64 s[0:1], 0
	s_mov_b32 s68, 0
	v_mov_b32_e32 v1, 0
	s_mov_b64 s[8:9], 0
	v_mov_b32_e32 v25, 0
	v_mov_b32_e32 v29, 0
	;; [unrolled: 1-line block ×22, first 2 shown]
	s_waitcnt lgkmcnt(0)
	s_barrier
	s_waitcnt lgkmcnt(0)
                                        ; implicit-def: $sgpr6_sgpr7
                                        ; implicit-def: $vgpr47
	s_and_saveexec_b64 s[4:5], vcc
	s_cbranch_execz .LBB868_129
; %bb.82:
	ds_read_u16 v1, v48
	v_mov_b32_e32 v25, 0
	v_mov_b32_e32 v15, s74
	v_cmp_eq_u16_sdwa vcc, v10, v25 src0_sel:WORD_1 src1_sel:DWORD
	v_cmp_ne_u16_sdwa s[6:7], v10, v25 src0_sel:WORD_1 src1_sel:DWORD
	v_or_b32_e32 v14, 1, v49
	s_waitcnt lgkmcnt(0)
	v_cndmask_b32_e32 v1, v15, v1, vcc
	v_and_b32_e32 v1, 0xffff, v1
	v_cndmask_b32_e64 v10, 0, 1, s[6:7]
	v_lshl_or_b32 v1, v10, 16, v1
	v_cmp_gt_u32_e32 vcc, s69, v14
	v_mov_b32_e32 v29, 0
	v_mov_b32_e32 v30, 0
	;; [unrolled: 1-line block ×21, first 2 shown]
                                        ; implicit-def: $sgpr10_sgpr11
                                        ; implicit-def: $vgpr47
	s_and_saveexec_b64 s[6:7], vcc
	s_cbranch_execz .LBB868_128
; %bb.83:
	ds_read_b128 v[14:17], v48 offset:2
	v_mov_b32_e32 v22, s74
	v_cmp_eq_u16_e32 vcc, 0, v11
	v_or_b32_e32 v10, 2, v49
	s_mov_b64 s[12:13], 0
	s_waitcnt lgkmcnt(0)
	v_cndmask_b32_e32 v22, v22, v14, vcc
	v_cmp_ne_u16_e32 vcc, 0, v11
	v_and_b32_e32 v22, 0xffff, v22
	v_mov_b32_e32 v29, 0
	v_cndmask_b32_e64 v23, 0, 1, vcc
	v_lshl_or_b32 v25, v23, 16, v22
	v_cmp_gt_u32_e32 vcc, s69, v10
	v_mov_b32_e32 v30, 0
	v_mov_b32_e32 v31, 0
	;; [unrolled: 1-line block ×20, first 2 shown]
                                        ; implicit-def: $sgpr10_sgpr11
                                        ; implicit-def: $vgpr47
	s_and_saveexec_b64 s[8:9], vcc
	s_cbranch_execz .LBB868_127
; %bb.84:
	v_mov_b32_e32 v30, 0
	v_lshrrev_b32_e32 v10, 16, v14
	v_mov_b32_e32 v22, s74
	v_cmp_eq_u16_sdwa vcc, v11, v30 src0_sel:WORD_1 src1_sel:DWORD
	v_cmp_ne_u16_sdwa s[10:11], v11, v30 src0_sel:WORD_1 src1_sel:DWORD
	v_or_b32_e32 v14, 3, v49
	v_cndmask_b32_e32 v10, v22, v10, vcc
	v_and_b32_e32 v10, 0xffff, v10
	v_cndmask_b32_e64 v11, 0, 1, s[10:11]
	v_lshl_or_b32 v29, v11, 16, v10
	v_cmp_gt_u32_e32 vcc, s69, v14
	v_mov_b32_e32 v31, 0
	v_mov_b32_e32 v32, 0
	;; [unrolled: 1-line block ×19, first 2 shown]
                                        ; implicit-def: $sgpr14_sgpr15
                                        ; implicit-def: $vgpr47
	s_and_saveexec_b64 s[10:11], vcc
	s_cbranch_execz .LBB868_126
; %bb.85:
	v_mov_b32_e32 v11, s74
	v_cmp_eq_u16_e32 vcc, 0, v12
	v_or_b32_e32 v10, 4, v49
	s_mov_b64 s[16:17], 0
	v_cndmask_b32_e32 v11, v11, v15, vcc
	v_cmp_ne_u16_e32 vcc, 0, v12
	v_and_b32_e32 v11, 0xffff, v11
	v_mov_b32_e32 v31, 0
	v_cndmask_b32_e64 v14, 0, 1, vcc
	v_lshl_or_b32 v30, v14, 16, v11
	v_cmp_gt_u32_e32 vcc, s69, v10
	v_mov_b32_e32 v32, 0
	v_mov_b32_e32 v33, 0
	v_mov_b32_e32 v34, 0
	v_mov_b32_e32 v35, 0
	v_mov_b32_e32 v36, 0
	v_mov_b32_e32 v37, 0
	v_mov_b32_e32 v38, 0
	v_mov_b32_e32 v39, 0
	v_mov_b32_e32 v40, 0
	v_mov_b32_e32 v41, 0
	v_mov_b32_e32 v42, 0
	v_mov_b32_e32 v43, 0
	v_mov_b32_e32 v22, 0
	v_mov_b32_e32 v44, 0
	v_mov_b32_e32 v23, 0
	v_mov_b32_e32 v45, 0
	v_mov_b32_e32 v24, 0
	v_mov_b32_e32 v46, 0
                                        ; implicit-def: $sgpr14_sgpr15
                                        ; implicit-def: $vgpr47
	s_and_saveexec_b64 s[12:13], vcc
	s_cbranch_execz .LBB868_125
; %bb.86:
	v_mov_b32_e32 v32, 0
	v_lshrrev_b32_e32 v10, 16, v15
	v_mov_b32_e32 v14, s74
	v_cmp_eq_u16_sdwa vcc, v12, v32 src0_sel:WORD_1 src1_sel:DWORD
	v_cmp_ne_u16_sdwa s[14:15], v12, v32 src0_sel:WORD_1 src1_sel:DWORD
	v_or_b32_e32 v11, 5, v49
	v_cndmask_b32_e32 v10, v14, v10, vcc
	v_and_b32_e32 v10, 0xffff, v10
	v_cndmask_b32_e64 v12, 0, 1, s[14:15]
	v_lshl_or_b32 v31, v12, 16, v10
	v_cmp_gt_u32_e32 vcc, s69, v11
	v_mov_b32_e32 v33, 0
	v_mov_b32_e32 v34, 0
	;; [unrolled: 1-line block ×17, first 2 shown]
                                        ; implicit-def: $sgpr18_sgpr19
                                        ; implicit-def: $vgpr47
	s_and_saveexec_b64 s[14:15], vcc
	s_cbranch_execz .LBB868_124
; %bb.87:
	v_mov_b32_e32 v11, s74
	v_cmp_eq_u16_e32 vcc, 0, v13
	v_or_b32_e32 v10, 6, v49
	s_mov_b64 s[20:21], 0
	v_cndmask_b32_e32 v11, v11, v16, vcc
	v_cmp_ne_u16_e32 vcc, 0, v13
	v_and_b32_e32 v11, 0xffff, v11
	v_mov_b32_e32 v33, 0
	v_cndmask_b32_e64 v12, 0, 1, vcc
	v_lshl_or_b32 v32, v12, 16, v11
	v_cmp_gt_u32_e32 vcc, s69, v10
	v_mov_b32_e32 v34, 0
	v_mov_b32_e32 v35, 0
	;; [unrolled: 1-line block ×16, first 2 shown]
                                        ; implicit-def: $sgpr18_sgpr19
                                        ; implicit-def: $vgpr47
	s_and_saveexec_b64 s[16:17], vcc
	s_cbranch_execz .LBB868_123
; %bb.88:
	v_mov_b32_e32 v34, 0
	v_lshrrev_b32_e32 v10, 16, v16
	v_mov_b32_e32 v12, s74
	v_cmp_eq_u16_sdwa vcc, v13, v34 src0_sel:WORD_1 src1_sel:DWORD
	v_cmp_ne_u16_sdwa s[18:19], v13, v34 src0_sel:WORD_1 src1_sel:DWORD
	v_or_b32_e32 v11, 7, v49
	v_cndmask_b32_e32 v10, v12, v10, vcc
	v_and_b32_e32 v10, 0xffff, v10
	v_cndmask_b32_e64 v12, 0, 1, s[18:19]
	v_lshl_or_b32 v33, v12, 16, v10
	v_cmp_gt_u32_e32 vcc, s69, v11
	v_mov_b32_e32 v35, 0
	v_mov_b32_e32 v36, 0
	;; [unrolled: 1-line block ×15, first 2 shown]
                                        ; implicit-def: $sgpr22_sgpr23
                                        ; implicit-def: $vgpr47
	s_and_saveexec_b64 s[18:19], vcc
	s_cbranch_execz .LBB868_122
; %bb.89:
	v_mov_b32_e32 v11, s74
	v_cmp_eq_u16_e32 vcc, 0, v6
	v_add_u32_e32 v10, 8, v49
	s_mov_b64 s[24:25], 0
	v_cndmask_b32_e32 v11, v11, v17, vcc
	v_cmp_ne_u16_e32 vcc, 0, v6
	v_and_b32_e32 v11, 0xffff, v11
	v_mov_b32_e32 v35, 0
	v_cndmask_b32_e64 v12, 0, 1, vcc
	v_lshl_or_b32 v34, v12, 16, v11
	v_cmp_gt_u32_e32 vcc, s69, v10
	v_mov_b32_e32 v36, 0
	v_mov_b32_e32 v37, 0
	;; [unrolled: 1-line block ×14, first 2 shown]
                                        ; implicit-def: $sgpr22_sgpr23
                                        ; implicit-def: $vgpr47
	s_and_saveexec_b64 s[20:21], vcc
	s_cbranch_execz .LBB868_121
; %bb.90:
	v_mov_b32_e32 v36, 0
	v_lshrrev_b32_e32 v10, 16, v17
	v_mov_b32_e32 v12, s74
	v_cmp_eq_u16_sdwa vcc, v6, v36 src0_sel:WORD_1 src1_sel:DWORD
	v_cmp_ne_u16_sdwa s[22:23], v6, v36 src0_sel:WORD_1 src1_sel:DWORD
	v_add_u32_e32 v11, 9, v49
	v_cndmask_b32_e32 v10, v12, v10, vcc
	v_and_b32_e32 v10, 0xffff, v10
	v_cndmask_b32_e64 v6, 0, 1, s[22:23]
	v_lshl_or_b32 v35, v6, 16, v10
	v_cmp_gt_u32_e32 vcc, s69, v11
	v_mov_b32_e32 v37, 0
	v_mov_b32_e32 v38, 0
	;; [unrolled: 1-line block ×13, first 2 shown]
                                        ; implicit-def: $sgpr26_sgpr27
                                        ; implicit-def: $vgpr47
	s_and_saveexec_b64 s[22:23], vcc
	s_cbranch_execz .LBB868_120
; %bb.91:
	ds_read_b128 v[10:13], v48 offset:18
	v_mov_b32_e32 v14, s74
	v_cmp_eq_u16_e32 vcc, 0, v7
	v_add_u32_e32 v6, 10, v49
	s_mov_b64 s[28:29], 0
	s_waitcnt lgkmcnt(0)
	v_cndmask_b32_e32 v14, v14, v10, vcc
	v_cmp_ne_u16_e32 vcc, 0, v7
	v_and_b32_e32 v14, 0xffff, v14
	v_mov_b32_e32 v37, 0
	v_cndmask_b32_e64 v15, 0, 1, vcc
	v_lshl_or_b32 v36, v15, 16, v14
	v_cmp_gt_u32_e32 vcc, s69, v6
	v_mov_b32_e32 v38, 0
	v_mov_b32_e32 v39, 0
	;; [unrolled: 1-line block ×12, first 2 shown]
                                        ; implicit-def: $sgpr26_sgpr27
                                        ; implicit-def: $vgpr47
	s_and_saveexec_b64 s[24:25], vcc
	s_cbranch_execz .LBB868_119
; %bb.92:
	v_mov_b32_e32 v38, 0
	v_lshrrev_b32_e32 v6, 16, v10
	v_mov_b32_e32 v14, s74
	v_cmp_eq_u16_sdwa vcc, v7, v38 src0_sel:WORD_1 src1_sel:DWORD
	v_cmp_ne_u16_sdwa s[26:27], v7, v38 src0_sel:WORD_1 src1_sel:DWORD
	v_add_u32_e32 v10, 11, v49
	v_cndmask_b32_e32 v6, v14, v6, vcc
	v_and_b32_e32 v6, 0xffff, v6
	v_cndmask_b32_e64 v7, 0, 1, s[26:27]
	v_lshl_or_b32 v37, v7, 16, v6
	v_cmp_gt_u32_e32 vcc, s69, v10
	v_mov_b32_e32 v39, 0
	v_mov_b32_e32 v40, 0
	;; [unrolled: 1-line block ×11, first 2 shown]
                                        ; implicit-def: $sgpr30_sgpr31
                                        ; implicit-def: $vgpr47
	s_and_saveexec_b64 s[26:27], vcc
	s_cbranch_execz .LBB868_118
; %bb.93:
	v_mov_b32_e32 v7, s74
	v_cmp_eq_u16_e32 vcc, 0, v8
	v_add_u32_e32 v6, 12, v49
	s_mov_b64 s[34:35], 0
	v_cndmask_b32_e32 v7, v7, v11, vcc
	v_cmp_ne_u16_e32 vcc, 0, v8
	v_and_b32_e32 v7, 0xffff, v7
	v_mov_b32_e32 v39, 0
	v_cndmask_b32_e64 v10, 0, 1, vcc
	v_lshl_or_b32 v38, v10, 16, v7
	v_cmp_gt_u32_e32 vcc, s69, v6
	v_mov_b32_e32 v40, 0
	v_mov_b32_e32 v41, 0
	;; [unrolled: 1-line block ×10, first 2 shown]
                                        ; implicit-def: $sgpr30_sgpr31
                                        ; implicit-def: $vgpr47
	s_and_saveexec_b64 s[28:29], vcc
	s_cbranch_execz .LBB868_117
; %bb.94:
	v_mov_b32_e32 v40, 0
	v_lshrrev_b32_e32 v6, 16, v11
	v_mov_b32_e32 v10, s74
	v_cmp_eq_u16_sdwa vcc, v8, v40 src0_sel:WORD_1 src1_sel:DWORD
	v_cmp_ne_u16_sdwa s[30:31], v8, v40 src0_sel:WORD_1 src1_sel:DWORD
	v_add_u32_e32 v7, 13, v49
	v_cndmask_b32_e32 v6, v10, v6, vcc
	v_and_b32_e32 v6, 0xffff, v6
	v_cndmask_b32_e64 v8, 0, 1, s[30:31]
	v_lshl_or_b32 v39, v8, 16, v6
	v_cmp_gt_u32_e32 vcc, s69, v7
	v_mov_b32_e32 v41, 0
	v_mov_b32_e32 v42, 0
	;; [unrolled: 1-line block ×9, first 2 shown]
                                        ; implicit-def: $sgpr36_sgpr37
                                        ; implicit-def: $vgpr47
	s_and_saveexec_b64 s[30:31], vcc
	s_cbranch_execz .LBB868_116
; %bb.95:
	v_mov_b32_e32 v7, s74
	v_cmp_eq_u16_e32 vcc, 0, v9
	v_add_u32_e32 v6, 14, v49
	s_mov_b64 s[38:39], 0
	v_cndmask_b32_e32 v7, v7, v12, vcc
	v_cmp_ne_u16_e32 vcc, 0, v9
	v_and_b32_e32 v7, 0xffff, v7
	v_mov_b32_e32 v41, 0
	v_cndmask_b32_e64 v8, 0, 1, vcc
	v_lshl_or_b32 v40, v8, 16, v7
	v_cmp_gt_u32_e32 vcc, s69, v6
	v_mov_b32_e32 v42, 0
	v_mov_b32_e32 v43, 0
	;; [unrolled: 1-line block ×8, first 2 shown]
                                        ; implicit-def: $sgpr36_sgpr37
                                        ; implicit-def: $vgpr47
	s_and_saveexec_b64 s[34:35], vcc
	s_cbranch_execz .LBB868_115
; %bb.96:
	v_mov_b32_e32 v42, 0
	v_lshrrev_b32_e32 v6, 16, v12
	v_mov_b32_e32 v8, s74
	v_cmp_eq_u16_sdwa vcc, v9, v42 src0_sel:WORD_1 src1_sel:DWORD
	v_cmp_ne_u16_sdwa s[36:37], v9, v42 src0_sel:WORD_1 src1_sel:DWORD
	v_add_u32_e32 v7, 15, v49
	v_cndmask_b32_e32 v6, v8, v6, vcc
	v_and_b32_e32 v6, 0xffff, v6
	v_cndmask_b32_e64 v8, 0, 1, s[36:37]
	v_lshl_or_b32 v41, v8, 16, v6
	v_cmp_gt_u32_e32 vcc, s69, v7
	v_mov_b32_e32 v43, 0
	v_mov_b32_e32 v22, 0
	;; [unrolled: 1-line block ×7, first 2 shown]
                                        ; implicit-def: $sgpr40_sgpr41
                                        ; implicit-def: $vgpr47
	s_and_saveexec_b64 s[36:37], vcc
	s_cbranch_execz .LBB868_114
; %bb.97:
	v_mov_b32_e32 v7, s74
	v_cmp_eq_u16_e32 vcc, 0, v2
	v_add_u32_e32 v6, 16, v49
	s_mov_b64 s[42:43], 0
	v_cndmask_b32_e32 v7, v7, v13, vcc
	v_cmp_ne_u16_e32 vcc, 0, v2
	v_and_b32_e32 v7, 0xffff, v7
	v_mov_b32_e32 v43, 0
	v_cndmask_b32_e64 v8, 0, 1, vcc
	v_lshl_or_b32 v42, v8, 16, v7
	v_cmp_gt_u32_e32 vcc, s69, v6
	v_mov_b32_e32 v22, 0
	v_mov_b32_e32 v44, 0
	;; [unrolled: 1-line block ×6, first 2 shown]
                                        ; implicit-def: $sgpr40_sgpr41
                                        ; implicit-def: $vgpr47
	s_and_saveexec_b64 s[38:39], vcc
	s_cbranch_execz .LBB868_113
; %bb.98:
	v_mov_b32_e32 v22, 0
	v_lshrrev_b32_e32 v6, 16, v13
	v_mov_b32_e32 v8, s74
	v_cmp_eq_u16_sdwa vcc, v2, v22 src0_sel:WORD_1 src1_sel:DWORD
	v_cmp_ne_u16_sdwa s[40:41], v2, v22 src0_sel:WORD_1 src1_sel:DWORD
	v_add_u32_e32 v7, 17, v49
	v_cndmask_b32_e32 v6, v8, v6, vcc
	v_and_b32_e32 v6, 0xffff, v6
	v_cndmask_b32_e64 v2, 0, 1, s[40:41]
	v_lshl_or_b32 v43, v2, 16, v6
	v_cmp_gt_u32_e32 vcc, s69, v7
	v_mov_b32_e32 v44, 0
	v_mov_b32_e32 v23, 0
	;; [unrolled: 1-line block ×5, first 2 shown]
                                        ; implicit-def: $sgpr44_sgpr45
                                        ; implicit-def: $vgpr47
	s_and_saveexec_b64 s[40:41], vcc
	s_cbranch_execz .LBB868_112
; %bb.99:
	ds_read_b96 v[6:8], v48 offset:34
	v_mov_b32_e32 v9, s74
	v_cmp_eq_u16_e32 vcc, 0, v3
	v_add_u32_e32 v2, 18, v49
	s_mov_b64 s[46:47], 0
	s_waitcnt lgkmcnt(0)
	v_cndmask_b32_e32 v9, v9, v6, vcc
	v_cmp_ne_u16_e32 vcc, 0, v3
	v_and_b32_e32 v9, 0xffff, v9
	v_mov_b32_e32 v44, 0
	v_cndmask_b32_e64 v10, 0, 1, vcc
	v_lshl_or_b32 v22, v10, 16, v9
	v_cmp_gt_u32_e32 vcc, s69, v2
	v_mov_b32_e32 v23, 0
	v_mov_b32_e32 v45, 0
	;; [unrolled: 1-line block ×4, first 2 shown]
                                        ; implicit-def: $sgpr44_sgpr45
                                        ; implicit-def: $vgpr47
	s_and_saveexec_b64 s[42:43], vcc
	s_cbranch_execz .LBB868_111
; %bb.100:
	v_mov_b32_e32 v23, 0
	v_lshrrev_b32_e32 v2, 16, v6
	v_mov_b32_e32 v9, s74
	v_cmp_eq_u16_sdwa vcc, v3, v23 src0_sel:WORD_1 src1_sel:DWORD
	v_cmp_ne_u16_sdwa s[44:45], v3, v23 src0_sel:WORD_1 src1_sel:DWORD
	v_add_u32_e32 v6, 19, v49
	v_cndmask_b32_e32 v2, v9, v2, vcc
	v_and_b32_e32 v2, 0xffff, v2
	v_cndmask_b32_e64 v3, 0, 1, s[44:45]
	v_lshl_or_b32 v44, v3, 16, v2
	v_cmp_gt_u32_e32 vcc, s69, v6
	v_mov_b32_e32 v45, 0
	v_mov_b32_e32 v24, 0
	;; [unrolled: 1-line block ×3, first 2 shown]
                                        ; implicit-def: $sgpr48_sgpr49
                                        ; implicit-def: $vgpr47
	s_and_saveexec_b64 s[44:45], vcc
	s_cbranch_execz .LBB868_110
; %bb.101:
	v_mov_b32_e32 v3, s74
	v_cmp_eq_u16_e32 vcc, 0, v4
	v_add_u32_e32 v2, 20, v49
	s_mov_b64 s[50:51], 0
	v_cndmask_b32_e32 v3, v3, v7, vcc
	v_cmp_ne_u16_e32 vcc, 0, v4
	v_and_b32_e32 v3, 0xffff, v3
	v_mov_b32_e32 v45, 0
	v_cndmask_b32_e64 v6, 0, 1, vcc
	v_lshl_or_b32 v23, v6, 16, v3
	v_cmp_gt_u32_e32 vcc, s69, v2
	v_mov_b32_e32 v24, 0
	v_mov_b32_e32 v46, 0
                                        ; implicit-def: $sgpr48_sgpr49
                                        ; implicit-def: $vgpr47
	s_and_saveexec_b64 s[46:47], vcc
	s_cbranch_execz .LBB868_109
; %bb.102:
	v_mov_b32_e32 v24, 0
	v_lshrrev_b32_e32 v2, 16, v7
	v_mov_b32_e32 v6, s74
	v_cmp_eq_u16_sdwa vcc, v4, v24 src0_sel:WORD_1 src1_sel:DWORD
	v_cmp_ne_u16_sdwa s[48:49], v4, v24 src0_sel:WORD_1 src1_sel:DWORD
	v_add_u32_e32 v3, 21, v49
	v_cndmask_b32_e32 v2, v6, v2, vcc
	v_and_b32_e32 v2, 0xffff, v2
	v_cndmask_b32_e64 v4, 0, 1, s[48:49]
	v_lshl_or_b32 v45, v4, 16, v2
	v_cmp_gt_u32_e32 vcc, s69, v3
	v_mov_b32_e32 v46, 0
                                        ; implicit-def: $sgpr56_sgpr57
                                        ; implicit-def: $vgpr47
	s_and_saveexec_b64 s[48:49], vcc
	s_cbranch_execz .LBB868_108
; %bb.103:
	v_mov_b32_e32 v3, s74
	v_cmp_eq_u16_e32 vcc, 0, v5
	v_add_u32_e32 v2, 22, v49
	s_mov_b64 s[58:59], 0
	v_cndmask_b32_e32 v3, v3, v8, vcc
	v_cmp_ne_u16_e32 vcc, 0, v5
	v_and_b32_e32 v3, 0xffff, v3
	v_mov_b32_e32 v46, 0
	v_cndmask_b32_e64 v4, 0, 1, vcc
	v_lshl_or_b32 v24, v4, 16, v3
	v_cmp_gt_u32_e32 vcc, s69, v2
                                        ; implicit-def: $sgpr60_sgpr61
                                        ; implicit-def: $vgpr47
	s_and_saveexec_b64 s[50:51], vcc
	s_cbranch_execz .LBB868_107
; %bb.104:
	v_mov_b32_e32 v3, 0
	v_lshrrev_b32_e32 v2, 16, v8
	v_mov_b32_e32 v6, s74
	v_cmp_eq_u16_sdwa vcc, v5, v3 src0_sel:WORD_1 src1_sel:DWORD
	v_cmp_ne_u16_sdwa s[56:57], v5, v3 src0_sel:WORD_1 src1_sel:DWORD
	v_add_u32_e32 v4, 23, v49
	v_cndmask_b32_e32 v2, v6, v2, vcc
	v_and_b32_e32 v2, 0xffff, v2
	v_cndmask_b32_e64 v3, 0, 1, s[56:57]
	v_lshl_or_b32 v46, v3, 16, v2
	v_cmp_gt_u32_e32 vcc, s69, v4
	s_mov_b64 s[56:57], 0
                                        ; implicit-def: $sgpr58_sgpr59
                                        ; implicit-def: $vgpr47
	s_and_saveexec_b64 s[60:61], vcc
	s_xor_b64 s[60:61], exec, s[60:61]
	s_cbranch_execz .LBB868_106
; %bb.105:
	ds_read_u16 v2, v48 offset:46
	v_mov_b32_e32 v3, s74
	v_cmp_ne_u16_e32 vcc, 0, v28
	s_mov_b64 s[56:57], exec
	s_and_b64 s[58:59], vcc, exec
	s_waitcnt lgkmcnt(0)
	v_cndmask_b32_e32 v47, v2, v3, vcc
.LBB868_106:
	s_or_b64 exec, exec, s[60:61]
	s_and_b64 s[60:61], s[58:59], exec
	s_and_b64 s[58:59], s[56:57], exec
.LBB868_107:
	s_or_b64 exec, exec, s[50:51]
	s_and_b64 s[56:57], s[60:61], exec
	s_and_b64 s[50:51], s[58:59], exec
.LBB868_108:
	s_or_b64 exec, exec, s[48:49]
	s_and_b64 s[48:49], s[56:57], exec
	s_and_b64 s[50:51], s[50:51], exec
.LBB868_109:
	s_or_b64 exec, exec, s[46:47]
	s_and_b64 s[48:49], s[48:49], exec
	s_and_b64 s[46:47], s[50:51], exec
.LBB868_110:
	s_or_b64 exec, exec, s[44:45]
	s_and_b64 s[44:45], s[48:49], exec
	s_and_b64 s[46:47], s[46:47], exec
.LBB868_111:
	s_or_b64 exec, exec, s[42:43]
	s_and_b64 s[44:45], s[44:45], exec
	s_and_b64 s[42:43], s[46:47], exec
.LBB868_112:
	s_or_b64 exec, exec, s[40:41]
	s_and_b64 s[40:41], s[44:45], exec
	s_and_b64 s[42:43], s[42:43], exec
.LBB868_113:
	s_or_b64 exec, exec, s[38:39]
	s_and_b64 s[40:41], s[40:41], exec
	s_and_b64 s[38:39], s[42:43], exec
.LBB868_114:
	s_or_b64 exec, exec, s[36:37]
	s_and_b64 s[36:37], s[40:41], exec
	s_and_b64 s[38:39], s[38:39], exec
.LBB868_115:
	s_or_b64 exec, exec, s[34:35]
	s_and_b64 s[36:37], s[36:37], exec
	s_and_b64 s[34:35], s[38:39], exec
.LBB868_116:
	s_or_b64 exec, exec, s[30:31]
	s_and_b64 s[30:31], s[36:37], exec
	s_and_b64 s[34:35], s[34:35], exec
.LBB868_117:
	s_or_b64 exec, exec, s[28:29]
	s_and_b64 s[30:31], s[30:31], exec
	s_and_b64 s[28:29], s[34:35], exec
.LBB868_118:
	s_or_b64 exec, exec, s[26:27]
	s_and_b64 s[26:27], s[30:31], exec
	s_and_b64 s[28:29], s[28:29], exec
.LBB868_119:
	s_or_b64 exec, exec, s[24:25]
	s_and_b64 s[26:27], s[26:27], exec
	s_and_b64 s[24:25], s[28:29], exec
.LBB868_120:
	s_or_b64 exec, exec, s[22:23]
	s_and_b64 s[22:23], s[26:27], exec
	s_and_b64 s[24:25], s[24:25], exec
.LBB868_121:
	s_or_b64 exec, exec, s[20:21]
	s_and_b64 s[22:23], s[22:23], exec
	s_and_b64 s[20:21], s[24:25], exec
.LBB868_122:
	s_or_b64 exec, exec, s[18:19]
	s_and_b64 s[18:19], s[22:23], exec
	s_and_b64 s[20:21], s[20:21], exec
.LBB868_123:
	s_or_b64 exec, exec, s[16:17]
	s_and_b64 s[18:19], s[18:19], exec
	s_and_b64 s[16:17], s[20:21], exec
.LBB868_124:
	s_or_b64 exec, exec, s[14:15]
	s_and_b64 s[14:15], s[18:19], exec
	s_and_b64 s[16:17], s[16:17], exec
.LBB868_125:
	s_or_b64 exec, exec, s[12:13]
	s_and_b64 s[14:15], s[14:15], exec
	s_and_b64 s[12:13], s[16:17], exec
.LBB868_126:
	s_or_b64 exec, exec, s[10:11]
	s_and_b64 s[10:11], s[14:15], exec
	s_and_b64 s[12:13], s[12:13], exec
.LBB868_127:
	s_or_b64 exec, exec, s[8:9]
	s_and_b64 s[10:11], s[10:11], exec
	s_and_b64 s[8:9], s[12:13], exec
.LBB868_128:
	s_or_b64 exec, exec, s[6:7]
	s_and_b64 s[6:7], s[10:11], exec
	s_and_b64 s[8:9], s[8:9], exec
.LBB868_129:
	s_or_b64 exec, exec, s[4:5]
	s_and_b64 vcc, exec, s[0:1]
	v_lshlrev_b32_e32 v28, 1, v0
	s_cbranch_vccnz .LBB868_131
	s_branch .LBB868_136
.LBB868_130:
	s_mov_b64 s[8:9], 0
                                        ; implicit-def: $sgpr6_sgpr7
                                        ; implicit-def: $vgpr47
                                        ; implicit-def: $vgpr1
                                        ; implicit-def: $vgpr25
                                        ; implicit-def: $vgpr29
                                        ; implicit-def: $vgpr30
                                        ; implicit-def: $vgpr31
                                        ; implicit-def: $vgpr32
                                        ; implicit-def: $vgpr33
                                        ; implicit-def: $vgpr34
                                        ; implicit-def: $vgpr35
                                        ; implicit-def: $vgpr36
                                        ; implicit-def: $vgpr37
                                        ; implicit-def: $vgpr38
                                        ; implicit-def: $vgpr39
                                        ; implicit-def: $vgpr40
                                        ; implicit-def: $vgpr41
                                        ; implicit-def: $vgpr42
                                        ; implicit-def: $vgpr43
                                        ; implicit-def: $vgpr22
                                        ; implicit-def: $vgpr44
                                        ; implicit-def: $vgpr23
                                        ; implicit-def: $vgpr45
                                        ; implicit-def: $vgpr24
                                        ; implicit-def: $vgpr46
                                        ; implicit-def: $sgpr68
	s_and_b64 vcc, exec, s[0:1]
	v_lshlrev_b32_e32 v28, 1, v0
	s_cbranch_vccz .LBB868_136
.LBB868_131:
	v_mov_b32_e32 v29, 0
	v_lshl_add_u64 v[2:3], v[20:21], 0, v[28:29]
	v_add_co_u32_e32 v4, vcc, 0x1000, v2
	flat_load_ushort v1, v[2:3]
	flat_load_ushort v6, v[2:3] offset:512
	flat_load_ushort v7, v[2:3] offset:1024
	;; [unrolled: 1-line block ×7, first 2 shown]
	v_addc_co_u32_e32 v5, vcc, 0, v3, vcc
	v_add_co_u32_e32 v2, vcc, 0x2000, v2
	flat_load_ushort v13, v[4:5]
	flat_load_ushort v14, v[4:5] offset:512
	flat_load_ushort v15, v[4:5] offset:1024
	;; [unrolled: 1-line block ×7, first 2 shown]
	v_addc_co_u32_e32 v3, vcc, 0, v3, vcc
	flat_load_ushort v4, v[2:3]
	flat_load_ushort v5, v[2:3] offset:512
	flat_load_ushort v25, v[2:3] offset:1024
	;; [unrolled: 1-line block ×7, first 2 shown]
	v_add_co_u32_e32 v2, vcc, 0x3000, v20
	s_movk_i32 s0, 0xffd2
	s_nop 0
	v_addc_co_u32_e32 v3, vcc, 0, v21, vcc
	s_movk_i32 s5, 0x1000
	s_movk_i32 s4, 0x2000
	s_waitcnt vmcnt(0) lgkmcnt(0)
	ds_write_b16 v28, v1
	ds_write_b16 v28, v6 offset:512
	ds_write_b16 v28, v7 offset:1024
	;; [unrolled: 1-line block ×23, first 2 shown]
	s_waitcnt lgkmcnt(0)
	s_barrier
	flat_load_ushort v47, v[2:3]
	v_mad_u32_u24 v1, v0, 46, v28
	ds_read_b128 v[10:13], v1
	ds_read_b128 v[6:9], v1 offset:16
	ds_read_b128 v[2:5], v1 offset:32
	v_mad_i32_i24 v14, v0, s0, v1
	s_movk_i32 s0, 0xff
	v_cmp_ne_u32_e32 vcc, s0, v0
	s_waitcnt lgkmcnt(0)
	ds_write_b16 v14, v10 offset:12800
	s_waitcnt lgkmcnt(0)
	s_barrier
	s_and_saveexec_b64 s[0:1], vcc
	s_cbranch_execz .LBB868_133
; %bb.132:
	s_waitcnt vmcnt(0)
	ds_read_u16 v47, v28 offset:12802
.LBB868_133:
	s_or_b64 exec, exec, s[0:1]
	v_lshl_add_u64 v[14:15], v[18:19], 0, v[28:29]
	v_add_co_u32_e32 v16, vcc, s5, v14
	s_waitcnt lgkmcnt(0)
	s_nop 0
	v_addc_co_u32_e32 v17, vcc, 0, v15, vcc
	s_barrier
	flat_load_ushort v18, v[14:15]
	flat_load_ushort v19, v[14:15] offset:512
	flat_load_ushort v20, v[14:15] offset:1024
	;; [unrolled: 1-line block ×7, first 2 shown]
	v_add_co_u32_e32 v14, vcc, s4, v14
	flat_load_ushort v30, v[16:17]
	flat_load_ushort v31, v[16:17] offset:512
	flat_load_ushort v32, v[16:17] offset:1024
	;; [unrolled: 1-line block ×7, first 2 shown]
	v_addc_co_u32_e32 v15, vcc, 0, v15, vcc
	flat_load_ushort v16, v[14:15]
	flat_load_ushort v17, v[14:15] offset:512
	flat_load_ushort v38, v[14:15] offset:1024
	;; [unrolled: 1-line block ×7, first 2 shown]
	v_cmp_eq_u16_sdwa s[4:5], v10, v29 src0_sel:WORD_1 src1_sel:DWORD
	v_mov_b32_e32 v10, 0x10000
	s_waitcnt vmcnt(0) lgkmcnt(0)
	ds_write_b16 v28, v18
	ds_write_b16 v28, v19 offset:512
	ds_write_b16 v28, v20 offset:1024
	;; [unrolled: 1-line block ×23, first 2 shown]
	s_waitcnt lgkmcnt(0)
	s_barrier
	ds_read_b128 v[18:21], v1 offset:2
	ds_read_b128 v[14:17], v1 offset:18
	ds_read_b96 v[22:24], v1 offset:34
	ds_read_u16 v48, v1 offset:46
	v_mov_b32_e32 v25, s74
	s_and_saveexec_b64 s[0:1], s[4:5]
	s_cbranch_execz .LBB868_135
; %bb.134:
	ds_read_u16 v25, v1
	v_mov_b32_e32 v10, v29
.LBB868_135:
	s_or_b64 exec, exec, s[0:1]
	s_waitcnt lgkmcnt(0)
	v_or_b32_sdwa v1, v10, v25 dst_sel:DWORD dst_unused:UNUSED_PAD src0_sel:DWORD src1_sel:WORD_0
	v_mov_b32_e32 v10, s74
	v_cmp_eq_u16_e32 vcc, 0, v11
	v_lshrrev_b32_e32 v29, 16, v18
	v_mov_b32_e32 v49, 0
	v_cndmask_b32_e32 v18, v10, v18, vcc
	v_cmp_ne_u16_e32 vcc, 0, v11
	v_and_b32_e32 v18, 0xffff, v18
	v_cmp_ne_u16_sdwa s[0:1], v11, v49 src0_sel:WORD_1 src1_sel:DWORD
	v_cndmask_b32_e64 v25, 0, 1, vcc
	v_cmp_eq_u16_sdwa vcc, v11, v49 src0_sel:WORD_1 src1_sel:DWORD
	v_lshl_or_b32 v25, v25, 16, v18
	v_cndmask_b32_e64 v11, 0, 1, s[0:1]
	v_cndmask_b32_e32 v18, v10, v29, vcc
	v_and_b32_e32 v18, 0xffff, v18
	v_cmp_eq_u16_e32 vcc, 0, v12
	v_lshl_or_b32 v29, v11, 16, v18
	v_lshrrev_b32_e32 v31, 16, v19
	v_cndmask_b32_e32 v11, v10, v19, vcc
	v_cmp_ne_u16_e32 vcc, 0, v12
	v_and_b32_e32 v11, 0xffff, v11
	v_cmp_ne_u16_sdwa s[0:1], v12, v49 src0_sel:WORD_1 src1_sel:DWORD
	v_cndmask_b32_e64 v18, 0, 1, vcc
	v_cmp_eq_u16_sdwa vcc, v12, v49 src0_sel:WORD_1 src1_sel:DWORD
	v_lshl_or_b32 v30, v18, 16, v11
	v_cndmask_b32_e64 v12, 0, 1, s[0:1]
	v_cndmask_b32_e32 v11, v10, v31, vcc
	v_and_b32_e32 v11, 0xffff, v11
	v_cmp_eq_u16_e32 vcc, 0, v13
	v_lshl_or_b32 v31, v12, 16, v11
	v_lshrrev_b32_e32 v33, 16, v20
	;; [unrolled: 13-line block ×10, first 2 shown]
	v_cndmask_b32_e32 v2, v10, v24, vcc
	v_cmp_ne_u16_e32 vcc, 0, v5
	v_and_b32_e32 v2, 0xffff, v2
	v_cmp_ne_u16_sdwa s[0:1], v5, v49 src0_sel:WORD_1 src1_sel:DWORD
	v_cndmask_b32_e64 v3, 0, 1, vcc
	v_cmp_eq_u16_sdwa vcc, v5, v49 src0_sel:WORD_1 src1_sel:DWORD
	v_lshl_or_b32 v24, v3, 16, v2
	v_cndmask_b32_e64 v3, 0, 1, s[0:1]
	v_cndmask_b32_e32 v2, v10, v46, vcc
	v_and_b32_e32 v2, 0xffff, v2
	v_cmp_ne_u16_e64 s[6:7], 0, v47
	v_lshl_or_b32 v46, v3, 16, v2
	s_mov_b64 s[8:9], -1
	v_cndmask_b32_e64 v47, v48, v10, s[6:7]
                                        ; implicit-def: $sgpr68
.LBB868_136:
	v_mov_b32_e32 v12, s68
	s_and_saveexec_b64 s[0:1], s[8:9]
; %bb.137:
	v_mov_b32_e32 v2, 0x10000
	v_cndmask_b32_e64 v2, 0, v2, s[6:7]
	v_or_b32_sdwa v12, v2, v47 dst_sel:DWORD dst_unused:UNUSED_PAD src0_sel:DWORD src1_sel:WORD_0
; %bb.138:
	s_or_b64 exec, exec, s[0:1]
	v_or3_b32 v2, v12, v46, v24
	s_cmp_lg_u32 s67, 0
	v_or3_b32 v14, v2, v45, v23
	v_mbcnt_lo_u32_b32 v13, -1, 0
	s_barrier
	s_cbranch_scc0 .LBB868_231
; %bb.139:
	s_mov_b32 s0, 0x10000
	v_cmp_gt_u32_e64 s[4:5], s0, v25
	v_cmp_gt_u32_e64 s[6:7], s0, v29
	v_cmp_gt_u32_e64 s[8:9], s0, v30
	v_cndmask_b32_e64 v2, 0, v1, s[4:5]
	v_add_u16_e32 v2, v2, v25
	v_cndmask_b32_e64 v2, 0, v2, s[6:7]
	v_add_u16_e32 v2, v2, v29
	v_cndmask_b32_e64 v2, 0, v2, s[8:9]
	v_add_u16_e32 v2, v2, v30
	v_cmp_gt_u32_e64 s[10:11], s0, v31
	v_cmp_gt_u32_e64 s[12:13], s0, v32
	v_cmp_gt_u32_e64 s[14:15], s0, v33
	v_cndmask_b32_e64 v2, 0, v2, s[10:11]
	v_add_u16_e32 v2, v2, v31
	v_cndmask_b32_e64 v2, 0, v2, s[12:13]
	v_add_u16_e32 v2, v2, v32
	v_cndmask_b32_e64 v2, 0, v2, s[14:15]
	v_add_u16_e32 v2, v2, v33
	;; [unrolled: 9-line block ×5, first 2 shown]
	v_cmp_gt_u32_e64 s[36:37], s0, v43
	v_cmp_gt_u32_e64 s[38:39], s0, v22
	;; [unrolled: 1-line block ×3, first 2 shown]
	v_cndmask_b32_e64 v2, 0, v2, s[36:37]
	v_add_u16_e32 v2, v2, v43
	v_cndmask_b32_e64 v2, 0, v2, s[38:39]
	v_add_u16_e32 v2, v2, v22
	v_cndmask_b32_e64 v2, 0, v2, s[40:41]
	v_or3_b32 v5, v14, v44, v22
	v_add_u16_e32 v2, v2, v44
	v_cmp_gt_u32_e64 s[42:43], s0, v23
	v_or3_b32 v5, v5, v43, v42
	v_or3_b32 v5, v5, v41, v40
	v_cndmask_b32_e64 v2, 0, v2, s[42:43]
	v_add_u16_e32 v2, v2, v23
	v_cmp_gt_u32_e64 s[44:45], s0, v45
	v_or3_b32 v5, v5, v39, v38
	v_or3_b32 v5, v5, v37, v36
	v_cndmask_b32_e64 v2, 0, v2, s[44:45]
	;; [unrolled: 5-line block ×4, first 2 shown]
	v_add_u16_e32 v2, v2, v46
	v_cmp_gt_u32_e32 vcc, s0, v12
	v_and_b32_e32 v5, 0x10000, v5
	v_and_b32_e32 v3, 0x10000, v1
	v_cndmask_b32_e32 v4, 0, v2, vcc
	v_mov_b32_e32 v6, 0x10000
	v_cmp_ne_u32_e32 vcc, 0, v5
	v_add_u16_e32 v2, v4, v12
	v_add_u16_e32 v4, v4, v12
	v_cndmask_b32_e32 v6, v3, v6, vcc
	v_mbcnt_hi_u32_b32 v5, -1, v13
	v_and_b32_e32 v7, 15, v5
	v_or_b32_e32 v4, v6, v4
	v_lshrrev_b32_e32 v3, 16, v6
	v_cmp_ne_u32_e32 vcc, 0, v7
	v_mov_b32_dpp v8, v4 row_shr:1 row_mask:0xf bank_mask:0xf
	s_and_saveexec_b64 s[0:1], vcc
	s_cbranch_execz .LBB868_141
; %bb.140:
	v_cmp_eq_u32_e32 vcc, 0, v6
	v_and_b32_e32 v3, 0x10000, v6
	v_mov_b32_e32 v6, 1
	v_cndmask_b32_e32 v4, 0, v8, vcc
	v_and_b32_sdwa v6, v8, v6 dst_sel:DWORD dst_unused:UNUSED_PAD src0_sel:WORD_1 src1_sel:DWORD
	v_cmp_ne_u32_e32 vcc, 0, v3
	v_add_u16_e32 v9, v4, v2
	v_add_u16_e32 v2, v4, v2
	v_cndmask_b32_e64 v3, v6, 1, vcc
	v_lshlrev_b32_e32 v6, 16, v3
	v_or_b32_e32 v4, v6, v2
	v_mov_b32_e32 v2, v9
.LBB868_141:
	s_or_b64 exec, exec, s[0:1]
	v_lshrrev_b32_e32 v6, 16, v4
	v_mov_b32_dpp v8, v4 row_shr:2 row_mask:0xf bank_mask:0xf
	v_cmp_lt_u32_e32 vcc, 1, v7
	s_and_saveexec_b64 s[0:1], vcc
	s_cbranch_execz .LBB868_143
; %bb.142:
	s_mov_b32 s50, 0x10000
	v_cmp_gt_u32_e32 vcc, s50, v4
	v_and_b32_e32 v3, 0x10000, v4
	v_mov_b32_e32 v4, 1
	v_cndmask_b32_e32 v6, 0, v8, vcc
	v_and_b32_sdwa v4, v8, v4 dst_sel:DWORD dst_unused:UNUSED_PAD src0_sel:WORD_1 src1_sel:DWORD
	v_cmp_ne_u32_e32 vcc, 0, v3
	v_add_u16_e32 v9, v6, v2
	v_add_u16_e32 v2, v6, v2
	v_cndmask_b32_e64 v3, v4, 1, vcc
	v_lshlrev_b32_e32 v4, 16, v3
	v_or_b32_e32 v4, v4, v2
	v_mov_b32_e32 v6, v3
	v_mov_b32_e32 v2, v9
.LBB868_143:
	s_or_b64 exec, exec, s[0:1]
	v_mov_b32_dpp v8, v4 row_shr:4 row_mask:0xf bank_mask:0xf
	v_cmp_lt_u32_e32 vcc, 3, v7
	s_and_saveexec_b64 s[0:1], vcc
	s_cbranch_execz .LBB868_145
; %bb.144:
	v_cmp_eq_u16_e32 vcc, 0, v6
	v_and_b32_e32 v3, 1, v6
	v_mov_b32_e32 v6, 1
	v_cndmask_b32_e32 v4, 0, v8, vcc
	v_and_b32_sdwa v6, v8, v6 dst_sel:DWORD dst_unused:UNUSED_PAD src0_sel:WORD_1 src1_sel:DWORD
	v_cmp_eq_u32_e32 vcc, 1, v3
	v_add_u16_e32 v9, v4, v2
	v_add_u16_e32 v2, v4, v2
	v_cndmask_b32_e64 v3, v6, 1, vcc
	v_lshlrev_b32_e32 v6, 16, v3
	v_or_b32_e32 v4, v6, v2
	v_mov_b32_e32 v6, v3
	v_mov_b32_e32 v2, v9
.LBB868_145:
	s_or_b64 exec, exec, s[0:1]
	v_mov_b32_dpp v8, v4 row_shr:8 row_mask:0xf bank_mask:0xf
	v_cmp_lt_u32_e32 vcc, 7, v7
	s_and_saveexec_b64 s[0:1], vcc
	s_cbranch_execz .LBB868_147
; %bb.146:
	v_cmp_eq_u16_e32 vcc, 0, v6
	v_and_b32_e32 v3, 1, v6
	v_mov_b32_e32 v6, 1
	v_cndmask_b32_e32 v4, 0, v8, vcc
	v_and_b32_sdwa v6, v8, v6 dst_sel:DWORD dst_unused:UNUSED_PAD src0_sel:WORD_1 src1_sel:DWORD
	v_cmp_eq_u32_e32 vcc, 1, v3
	v_add_u16_e32 v7, v4, v2
	v_add_u16_e32 v2, v4, v2
	v_cndmask_b32_e64 v3, v6, 1, vcc
	v_lshlrev_b32_e32 v6, 16, v3
	v_or_b32_e32 v4, v6, v2
	v_mov_b32_e32 v6, v3
	v_mov_b32_e32 v2, v7
.LBB868_147:
	s_or_b64 exec, exec, s[0:1]
	v_and_b32_e32 v8, 16, v5
	v_mov_b32_dpp v7, v4 row_bcast:15 row_mask:0xf bank_mask:0xf
	v_cmp_ne_u32_e32 vcc, 0, v8
	s_and_saveexec_b64 s[0:1], vcc
	s_cbranch_execz .LBB868_149
; %bb.148:
	v_cmp_eq_u16_e32 vcc, 0, v6
	v_and_b32_e32 v3, 1, v6
	v_mov_b32_e32 v6, 1
	v_cndmask_b32_e32 v4, 0, v7, vcc
	v_and_b32_sdwa v6, v7, v6 dst_sel:DWORD dst_unused:UNUSED_PAD src0_sel:WORD_1 src1_sel:DWORD
	v_cmp_eq_u32_e32 vcc, 1, v3
	v_add_u16_e32 v8, v4, v2
	v_add_u16_e32 v2, v4, v2
	v_cndmask_b32_e64 v3, v6, 1, vcc
	v_lshlrev_b32_e32 v6, 16, v3
	v_or_b32_e32 v4, v6, v2
	v_mov_b32_e32 v6, v3
	v_mov_b32_e32 v2, v8
.LBB868_149:
	s_or_b64 exec, exec, s[0:1]
	v_mov_b32_dpp v4, v4 row_bcast:31 row_mask:0xf bank_mask:0xf
	v_cmp_lt_u32_e32 vcc, 31, v5
	s_and_saveexec_b64 s[0:1], vcc
; %bb.150:
	v_cmp_eq_u16_e32 vcc, 0, v6
	s_nop 1
	v_cndmask_b32_e32 v3, 0, v4, vcc
	v_add_u16_e32 v2, v3, v2
	v_and_b32_e32 v3, 1, v6
	v_mov_b32_e32 v6, 1
	v_and_b32_sdwa v4, v4, v6 dst_sel:DWORD dst_unused:UNUSED_PAD src0_sel:WORD_1 src1_sel:DWORD
	v_cmp_eq_u32_e32 vcc, 1, v3
	s_nop 1
	v_cndmask_b32_e64 v3, v4, 1, vcc
; %bb.151:
	s_or_b64 exec, exec, s[0:1]
	v_or_b32_e32 v6, 63, v0
	v_lshrrev_b32_e32 v4, 6, v0
	v_cmp_eq_u32_e32 vcc, v6, v0
	s_and_saveexec_b64 s[0:1], vcc
	s_cbranch_execz .LBB868_153
; %bb.152:
	v_lshlrev_b32_e32 v6, 2, v4
	ds_write_b16 v6, v2
	ds_write_b8 v6, v3 offset:2
.LBB868_153:
	s_or_b64 exec, exec, s[0:1]
	v_cmp_gt_u32_e32 vcc, 4, v0
	s_waitcnt lgkmcnt(0)
	s_barrier
	s_and_saveexec_b64 s[0:1], vcc
	s_cbranch_execz .LBB868_159
; %bb.154:
	v_lshlrev_b32_e32 v6, 2, v0
	ds_read_b32 v7, v6
	v_and_b32_e32 v10, 3, v5
	v_cmp_ne_u32_e32 vcc, 0, v10
	s_waitcnt lgkmcnt(0)
	v_lshrrev_b32_e32 v9, 16, v7
	v_mov_b32_dpp v11, v7 row_shr:1 row_mask:0xf bank_mask:0xf
	v_mov_b32_e32 v8, v7
	s_and_saveexec_b64 s[50:51], vcc
	s_cbranch_execz .LBB868_156
; %bb.155:
	v_mov_b32_e32 v8, 0
	v_cmp_eq_u16_sdwa vcc, v9, v8 src0_sel:BYTE_0 src1_sel:DWORD
	v_and_b32_e32 v9, 0x10000, v7
	v_mov_b32_e32 v17, 1
	v_cndmask_b32_e32 v16, 0, v11, vcc
	v_and_b32_sdwa v11, v11, v17 dst_sel:DWORD dst_unused:UNUSED_PAD src0_sel:WORD_1 src1_sel:DWORD
	v_cmp_ne_u32_e32 vcc, 0, v9
	v_and_b32_e32 v15, 0xff000000, v7
	v_add_u16_e32 v8, v16, v7
	v_cndmask_b32_e64 v9, v11, 1, vcc
	v_lshlrev_b32_e32 v11, 16, v9
	v_add_u16_e32 v7, v16, v7
	v_or3_b32 v7, v11, v15, v7
.LBB868_156:
	s_or_b64 exec, exec, s[50:51]
	s_nop 0
	v_mov_b32_dpp v11, v7 row_shr:2 row_mask:0xf bank_mask:0xf
	v_cmp_lt_u32_e32 vcc, 1, v10
	s_and_saveexec_b64 s[50:51], vcc
; %bb.157:
	v_and_b32_e32 v9, 0xff0000, v7
	v_cmp_eq_u32_e32 vcc, 0, v9
	v_and_b32_e32 v7, 0x10000, v7
	s_nop 0
	v_cndmask_b32_e32 v9, 0, v11, vcc
	v_add_u16_e32 v8, v9, v8
	v_mov_b32_e32 v9, 1
	v_and_b32_sdwa v9, v11, v9 dst_sel:DWORD dst_unused:UNUSED_PAD src0_sel:WORD_1 src1_sel:DWORD
	v_cmp_eq_u32_e32 vcc, 0, v7
	s_nop 1
	v_cndmask_b32_e32 v9, 1, v9, vcc
; %bb.158:
	s_or_b64 exec, exec, s[50:51]
	ds_write_b16 v6, v8
	ds_write_b8 v6, v9 offset:2
.LBB868_159:
	s_or_b64 exec, exec, s[0:1]
	v_cmp_gt_u32_e32 vcc, 64, v0
	v_cmp_lt_u32_e64 s[0:1], 63, v0
	v_mov_b32_e32 v15, 0
	v_mov_b32_e32 v16, 0
	s_waitcnt lgkmcnt(0)
	s_barrier
	s_and_saveexec_b64 s[50:51], s[0:1]
	s_cbranch_execz .LBB868_161
; %bb.160:
	v_lshl_add_u32 v4, v4, 2, -4
	ds_read_u16 v15, v4
	ds_read_u8 v16, v4 offset:2
	v_and_b32_e32 v6, 1, v3
	v_cmp_eq_u16_e64 s[0:1], 0, v3
	s_waitcnt lgkmcnt(1)
	s_nop 0
	v_cndmask_b32_e64 v3, 0, v15, s[0:1]
	v_cmp_eq_u32_e64 s[0:1], 1, v6
	v_add_u16_e32 v2, v3, v2
	s_waitcnt lgkmcnt(0)
	v_cndmask_b32_e64 v3, v16, 1, s[0:1]
.LBB868_161:
	s_or_b64 exec, exec, s[50:51]
	v_and_b32_e32 v3, 0xff, v3
	v_and_b32_e32 v2, 0xffff, v2
	v_lshl_or_b32 v2, v3, 16, v2
	v_add_u32_e32 v3, -1, v5
	v_and_b32_e32 v4, 64, v5
	v_cmp_lt_i32_e64 s[0:1], v3, v4
	v_cmp_eq_u32_e64 s[50:51], 0, v5
	s_nop 0
	v_cndmask_b32_e64 v3, v3, v5, s[0:1]
	v_lshlrev_b32_e32 v3, 2, v3
	ds_bpermute_b32 v17, v3, v2
	s_and_saveexec_b64 s[0:1], vcc
	s_cbranch_execz .LBB868_208
; %bb.162:
	v_mov_b32_e32 v11, 0
	ds_read_b32 v2, v11 offset:12
	s_and_saveexec_b64 s[56:57], s[50:51]
	s_cbranch_execz .LBB868_164
; %bb.163:
	s_add_i32 s58, s67, 64
	s_mov_b32 s59, 0
	s_lshl_b64 s[58:59], s[58:59], 3
	s_add_u32 s58, s64, s58
	v_mov_b32_e32 v3, 1
	s_addc_u32 s59, s65, s59
	s_waitcnt lgkmcnt(0)
	global_store_dwordx2 v11, v[2:3], s[58:59] sc1
.LBB868_164:
	s_or_b64 exec, exec, s[56:57]
	v_xad_u32 v4, v5, -1, s67
	v_add_u32_e32 v10, 64, v4
	v_lshl_add_u64 v[8:9], v[10:11], 3, s[64:65]
	global_load_dwordx2 v[6:7], v[8:9], off sc1
	s_waitcnt vmcnt(0)
	v_cmp_eq_u16_sdwa s[58:59], v7, v11 src0_sel:BYTE_0 src1_sel:DWORD
	s_and_saveexec_b64 s[56:57], s[58:59]
	s_cbranch_execz .LBB868_170
; %bb.165:
	s_mov_b32 s60, 1
	s_mov_b64 s[58:59], 0
	v_mov_b32_e32 v3, 0
.LBB868_166:                            ; =>This Loop Header: Depth=1
                                        ;     Child Loop BB868_167 Depth 2
	s_max_u32 s61, s60, 1
.LBB868_167:                            ;   Parent Loop BB868_166 Depth=1
                                        ; =>  This Inner Loop Header: Depth=2
	s_add_i32 s61, s61, -1
	s_cmp_eq_u32 s61, 0
	s_sleep 1
	s_cbranch_scc0 .LBB868_167
; %bb.168:                              ;   in Loop: Header=BB868_166 Depth=1
	global_load_dwordx2 v[6:7], v[8:9], off sc1
	s_cmp_lt_u32 s60, 32
	s_cselect_b64 s[68:69], -1, 0
	s_cmp_lg_u64 s[68:69], 0
	s_addc_u32 s60, s60, 0
	s_waitcnt vmcnt(0)
	v_cmp_ne_u16_sdwa s[68:69], v7, v3 src0_sel:BYTE_0 src1_sel:DWORD
	s_or_b64 s[58:59], s[68:69], s[58:59]
	s_andn2_b64 exec, exec, s[58:59]
	s_cbranch_execnz .LBB868_166
; %bb.169:
	s_or_b64 exec, exec, s[58:59]
.LBB868_170:
	s_or_b64 exec, exec, s[56:57]
	v_mov_b32_e32 v3, 2
	v_cmp_eq_u16_sdwa s[56:57], v7, v3 src0_sel:BYTE_0 src1_sel:DWORD
	v_lshlrev_b64 v[8:9], v5, -1
	v_and_b32_e32 v54, 0xffffff, v6
	v_and_b32_e32 v3, s57, v9
	v_or_b32_e32 v3, 0x80000000, v3
	v_ffbl_b32_e32 v3, v3
	v_add_u32_e32 v11, 32, v3
	v_and_b32_e32 v3, 63, v5
	v_cmp_ne_u32_e32 vcc, 63, v3
	v_and_b32_e32 v10, s56, v8
	v_ffbl_b32_e32 v10, v10
	v_addc_co_u32_e32 v18, vcc, 0, v5, vcc
	v_lshlrev_b32_e32 v18, 2, v18
	ds_bpermute_b32 v19, v18, v54
	v_min_u32_e32 v11, v10, v11
	v_lshrrev_b32_e32 v10, 16, v6
	v_cmp_lt_u32_e32 vcc, v3, v11
	v_bfe_u32 v52, v6, 16, 8
	s_and_saveexec_b64 s[56:57], vcc
	s_cbranch_execz .LBB868_172
; %bb.171:
	v_and_b32_e32 v10, 0xff0000, v6
	v_cmp_eq_u32_e32 vcc, 0, v10
	v_and_b32_e32 v10, 0x10000, v10
	v_mov_b32_e32 v47, 1
	s_waitcnt lgkmcnt(0)
	v_cndmask_b32_e32 v20, 0, v19, vcc
	v_and_b32_sdwa v19, v19, v47 dst_sel:DWORD dst_unused:UNUSED_PAD src0_sel:WORD_1 src1_sel:DWORD
	v_cmp_ne_u32_e32 vcc, 0, v10
	v_add_u16_e32 v21, v20, v6
	v_add_u16_e32 v6, v20, v6
	v_cndmask_b32_e64 v10, v19, 1, vcc
	v_lshlrev_b32_e32 v19, 16, v10
	v_or_b32_e32 v54, v19, v6
	v_mov_b32_e32 v6, v21
	v_mov_b32_e32 v52, v10
.LBB868_172:
	s_or_b64 exec, exec, s[56:57]
	v_cmp_gt_u32_e32 vcc, 62, v3
	v_add_u32_e32 v20, 2, v3
	s_waitcnt lgkmcnt(0)
	v_cndmask_b32_e64 v19, 0, 1, vcc
	v_lshlrev_b32_e32 v19, 1, v19
	v_add_lshl_u32 v19, v19, v5, 2
	ds_bpermute_b32 v21, v19, v54
	v_cmp_le_u32_e32 vcc, v20, v11
	s_and_saveexec_b64 s[56:57], vcc
	s_cbranch_execz .LBB868_174
; %bb.173:
	v_cmp_eq_u16_e32 vcc, 0, v52
	v_and_b32_e32 v10, 1, v52
	v_mov_b32_e32 v49, 1
	s_waitcnt lgkmcnt(0)
	v_cndmask_b32_e32 v47, 0, v21, vcc
	v_and_b32_sdwa v21, v21, v49 dst_sel:DWORD dst_unused:UNUSED_PAD src0_sel:WORD_1 src1_sel:DWORD
	v_cmp_eq_u32_e32 vcc, 1, v10
	v_add_u16_e32 v48, v47, v6
	v_add_u16_e32 v6, v47, v6
	v_cndmask_b32_e64 v10, v21, 1, vcc
	v_lshlrev_b32_e32 v21, 16, v10
	v_or_b32_e32 v54, v21, v6
	v_mov_b32_e32 v6, v48
	v_mov_b32_e32 v52, v10
.LBB868_174:
	s_or_b64 exec, exec, s[56:57]
	v_cmp_gt_u32_e32 vcc, 60, v3
	v_add_u32_e32 v47, 4, v3
	s_waitcnt lgkmcnt(0)
	v_cndmask_b32_e64 v21, 0, 1, vcc
	v_lshlrev_b32_e32 v21, 2, v21
	v_add_lshl_u32 v21, v21, v5, 2
	ds_bpermute_b32 v48, v21, v54
	v_cmp_le_u32_e32 vcc, v47, v11
	s_and_saveexec_b64 s[56:57], vcc
	s_cbranch_execz .LBB868_176
; %bb.175:
	v_cmp_eq_u16_e32 vcc, 0, v52
	v_and_b32_e32 v10, 1, v52
	v_mov_b32_e32 v51, 1
	s_waitcnt lgkmcnt(0)
	v_cndmask_b32_e32 v49, 0, v48, vcc
	v_and_b32_sdwa v48, v48, v51 dst_sel:DWORD dst_unused:UNUSED_PAD src0_sel:WORD_1 src1_sel:DWORD
	v_cmp_eq_u32_e32 vcc, 1, v10
	v_add_u16_e32 v50, v49, v6
	v_add_u16_e32 v6, v49, v6
	v_cndmask_b32_e64 v10, v48, 1, vcc
	v_lshlrev_b32_e32 v48, 16, v10
	v_or_b32_e32 v54, v48, v6
	v_mov_b32_e32 v6, v50
	v_mov_b32_e32 v52, v10
.LBB868_176:
	;; [unrolled: 27-line block ×4, first 2 shown]
	s_or_b64 exec, exec, s[56:57]
	v_cmp_gt_u32_e32 vcc, 32, v3
	s_waitcnt lgkmcnt(0)
	s_nop 0
	v_cndmask_b32_e64 v53, 0, 1, vcc
	v_lshlrev_b32_e32 v53, 5, v53
	v_add_lshl_u32 v53, v53, v5, 2
	ds_bpermute_b32 v5, v53, v54
	v_add_u32_e32 v54, 32, v3
	v_cmp_le_u32_e32 vcc, v54, v11
	s_and_saveexec_b64 s[56:57], vcc
	s_cbranch_execz .LBB868_182
; %bb.181:
	v_cmp_eq_u16_e32 vcc, 0, v52
	v_mov_b32_e32 v11, 1
	s_waitcnt lgkmcnt(0)
	v_cndmask_b32_e32 v10, 0, v5, vcc
	v_add_u16_e32 v6, v10, v6
	v_and_b32_e32 v10, 1, v52
	v_and_b32_sdwa v5, v5, v11 dst_sel:DWORD dst_unused:UNUSED_PAD src0_sel:WORD_1 src1_sel:DWORD
	v_cmp_eq_u32_e32 vcc, 1, v10
	s_nop 1
	v_cndmask_b32_e64 v10, v5, 1, vcc
.LBB868_182:
	s_or_b64 exec, exec, s[56:57]
	s_waitcnt lgkmcnt(0)
	v_mov_b32_e32 v5, 0
	v_mov_b32_e32 v56, 2
	;; [unrolled: 1-line block ×3, first 2 shown]
	s_branch .LBB868_184
.LBB868_183:                            ;   in Loop: Header=BB868_184 Depth=1
	s_or_b64 exec, exec, s[56:57]
	v_cmp_eq_u16_sdwa vcc, v52, v5 src0_sel:BYTE_0 src1_sel:DWORD
	v_and_b32_e32 v10, 1, v52
	v_and_b32_e32 v11, 1, v11
	v_cndmask_b32_e32 v6, 0, v6, vcc
	v_cmp_eq_u32_e32 vcc, 1, v10
	v_subrev_u32_e32 v4, 64, v4
	v_add_u16_e32 v6, v6, v55
	v_cndmask_b32_e64 v10, v11, 1, vcc
.LBB868_184:                            ; =>This Loop Header: Depth=1
                                        ;     Child Loop BB868_187 Depth 2
                                        ;       Child Loop BB868_188 Depth 3
	v_cmp_ne_u16_sdwa s[56:57], v7, v56 src0_sel:BYTE_0 src1_sel:DWORD
	v_mov_b32_e32 v52, v10
	v_mov_b32_e32 v55, v6
	v_cndmask_b32_e64 v7, 0, 1, s[56:57]
	;;#ASMSTART
	;;#ASMEND
	s_nop 0
	v_cmp_ne_u32_e32 vcc, 0, v7
	s_cmp_lg_u64 vcc, exec
	s_cbranch_scc1 .LBB868_203
; %bb.185:                              ;   in Loop: Header=BB868_184 Depth=1
	v_lshl_add_u64 v[10:11], v[4:5], 3, s[64:65]
	global_load_dwordx2 v[6:7], v[10:11], off sc1
	s_waitcnt vmcnt(0)
	v_cmp_eq_u16_sdwa s[58:59], v7, v5 src0_sel:BYTE_0 src1_sel:DWORD
	s_and_saveexec_b64 s[56:57], s[58:59]
	s_cbranch_execz .LBB868_191
; %bb.186:                              ;   in Loop: Header=BB868_184 Depth=1
	s_mov_b32 s60, 1
	s_mov_b64 s[58:59], 0
.LBB868_187:                            ;   Parent Loop BB868_184 Depth=1
                                        ; =>  This Loop Header: Depth=2
                                        ;       Child Loop BB868_188 Depth 3
	s_max_u32 s61, s60, 1
.LBB868_188:                            ;   Parent Loop BB868_184 Depth=1
                                        ;     Parent Loop BB868_187 Depth=2
                                        ; =>    This Inner Loop Header: Depth=3
	s_add_i32 s61, s61, -1
	s_cmp_eq_u32 s61, 0
	s_sleep 1
	s_cbranch_scc0 .LBB868_188
; %bb.189:                              ;   in Loop: Header=BB868_187 Depth=2
	global_load_dwordx2 v[6:7], v[10:11], off sc1
	s_cmp_lt_u32 s60, 32
	s_cselect_b64 s[68:69], -1, 0
	s_cmp_lg_u64 s[68:69], 0
	s_addc_u32 s60, s60, 0
	s_waitcnt vmcnt(0)
	v_cmp_ne_u16_sdwa s[68:69], v7, v5 src0_sel:BYTE_0 src1_sel:DWORD
	s_or_b64 s[58:59], s[68:69], s[58:59]
	s_andn2_b64 exec, exec, s[58:59]
	s_cbranch_execnz .LBB868_187
; %bb.190:                              ;   in Loop: Header=BB868_184 Depth=1
	s_or_b64 exec, exec, s[58:59]
.LBB868_191:                            ;   in Loop: Header=BB868_184 Depth=1
	s_or_b64 exec, exec, s[56:57]
	v_cmp_eq_u16_sdwa s[56:57], v7, v56 src0_sel:BYTE_0 src1_sel:DWORD
	s_waitcnt lgkmcnt(0)
	v_and_b32_e32 v59, 0xffffff, v6
	ds_bpermute_b32 v60, v18, v59
	v_and_b32_e32 v10, s57, v9
	v_or_b32_e32 v10, 0x80000000, v10
	v_and_b32_e32 v11, s56, v8
	v_ffbl_b32_e32 v10, v10
	v_add_u32_e32 v10, 32, v10
	v_ffbl_b32_e32 v11, v11
	v_min_u32_e32 v10, v11, v10
	v_lshrrev_b32_e32 v11, 16, v6
	v_cmp_lt_u32_e32 vcc, v3, v10
	v_bfe_u32 v58, v6, 16, 8
	s_and_saveexec_b64 s[56:57], vcc
	s_cbranch_execz .LBB868_193
; %bb.192:                              ;   in Loop: Header=BB868_184 Depth=1
	v_and_b32_e32 v11, 0xff0000, v6
	v_cmp_eq_u32_e32 vcc, 0, v11
	v_and_b32_e32 v11, 0x10000, v11
	s_waitcnt lgkmcnt(0)
	v_and_b32_sdwa v59, v60, v57 dst_sel:DWORD dst_unused:UNUSED_PAD src0_sel:WORD_1 src1_sel:DWORD
	v_cndmask_b32_e32 v58, 0, v60, vcc
	v_cmp_ne_u32_e32 vcc, 0, v11
	v_add_u16_e32 v61, v58, v6
	v_add_u16_e32 v6, v58, v6
	v_cndmask_b32_e64 v11, v59, 1, vcc
	v_lshlrev_b32_e32 v59, 16, v11
	v_or_b32_e32 v59, v59, v6
	v_mov_b32_e32 v6, v61
	v_mov_b32_e32 v58, v11
.LBB868_193:                            ;   in Loop: Header=BB868_184 Depth=1
	s_or_b64 exec, exec, s[56:57]
	s_waitcnt lgkmcnt(0)
	ds_bpermute_b32 v60, v19, v59
	v_cmp_le_u32_e32 vcc, v20, v10
	s_and_saveexec_b64 s[56:57], vcc
	s_cbranch_execz .LBB868_195
; %bb.194:                              ;   in Loop: Header=BB868_184 Depth=1
	v_cmp_eq_u16_e32 vcc, 0, v58
	v_and_b32_e32 v11, 1, v58
	s_waitcnt lgkmcnt(0)
	v_and_b32_sdwa v58, v60, v57 dst_sel:DWORD dst_unused:UNUSED_PAD src0_sel:WORD_1 src1_sel:DWORD
	v_cndmask_b32_e32 v59, 0, v60, vcc
	v_cmp_eq_u32_e32 vcc, 1, v11
	v_add_u16_e32 v61, v59, v6
	v_add_u16_e32 v6, v59, v6
	v_cndmask_b32_e64 v11, v58, 1, vcc
	v_lshlrev_b32_e32 v58, 16, v11
	v_or_b32_e32 v59, v58, v6
	v_mov_b32_e32 v6, v61
	v_mov_b32_e32 v58, v11
.LBB868_195:                            ;   in Loop: Header=BB868_184 Depth=1
	s_or_b64 exec, exec, s[56:57]
	s_waitcnt lgkmcnt(0)
	ds_bpermute_b32 v60, v21, v59
	v_cmp_le_u32_e32 vcc, v47, v10
	s_and_saveexec_b64 s[56:57], vcc
	s_cbranch_execz .LBB868_197
; %bb.196:                              ;   in Loop: Header=BB868_184 Depth=1
	v_cmp_eq_u16_e32 vcc, 0, v58
	v_and_b32_e32 v11, 1, v58
	s_waitcnt lgkmcnt(0)
	v_and_b32_sdwa v58, v60, v57 dst_sel:DWORD dst_unused:UNUSED_PAD src0_sel:WORD_1 src1_sel:DWORD
	v_cndmask_b32_e32 v59, 0, v60, vcc
	v_cmp_eq_u32_e32 vcc, 1, v11
	v_add_u16_e32 v61, v59, v6
	v_add_u16_e32 v6, v59, v6
	v_cndmask_b32_e64 v11, v58, 1, vcc
	v_lshlrev_b32_e32 v58, 16, v11
	v_or_b32_e32 v59, v58, v6
	v_mov_b32_e32 v6, v61
	v_mov_b32_e32 v58, v11
.LBB868_197:                            ;   in Loop: Header=BB868_184 Depth=1
	;; [unrolled: 21-line block ×4, first 2 shown]
	s_or_b64 exec, exec, s[56:57]
	ds_bpermute_b32 v59, v53, v59
	v_cmp_le_u32_e32 vcc, v54, v10
	s_and_saveexec_b64 s[56:57], vcc
	s_cbranch_execz .LBB868_183
; %bb.202:                              ;   in Loop: Header=BB868_184 Depth=1
	v_cmp_eq_u16_e32 vcc, 0, v58
	s_waitcnt lgkmcnt(0)
	v_lshrrev_b32_e32 v11, 16, v59
	v_cndmask_b32_e32 v10, 0, v59, vcc
	v_add_u16_e32 v6, v10, v6
	v_and_b32_e32 v10, 1, v58
	v_cmp_eq_u32_e32 vcc, 1, v10
	s_nop 1
	v_cndmask_b32_e64 v11, v11, 1, vcc
	s_branch .LBB868_183
.LBB868_203:                            ;   in Loop: Header=BB868_184 Depth=1
                                        ; implicit-def: $vgpr10
                                        ; implicit-def: $vgpr6
	s_cbranch_execz .LBB868_184
; %bb.204:
	s_and_saveexec_b64 s[56:57], s[50:51]
	s_cbranch_execz .LBB868_206
; %bb.205:
	v_and_b32_e32 v3, 0xff0000, v2
	s_mov_b32 s59, 0
	v_cmp_eq_u32_e32 vcc, 0, v3
	v_and_b32_e32 v4, 0x10000, v2
	v_mov_b32_e32 v5, 1
	s_add_i32 s58, s67, 64
	v_cndmask_b32_e32 v3, 0, v55, vcc
	v_and_b32_sdwa v5, v52, v5 dst_sel:WORD_1 dst_unused:UNUSED_PAD src0_sel:DWORD src1_sel:DWORD
	v_mov_b32_e32 v6, 0x10000
	v_cmp_eq_u32_e32 vcc, 0, v4
	s_lshl_b64 s[58:59], s[58:59], 3
	s_add_u32 s58, s64, s58
	v_cndmask_b32_e32 v4, v6, v5, vcc
	v_add_u16_e32 v2, v3, v2
	s_addc_u32 s59, s65, s59
	v_mov_b32_e32 v5, 0
	v_or_b32_e32 v2, v4, v2
	v_mov_b32_e32 v3, 2
	global_store_dwordx2 v5, v[2:3], s[58:59] sc1
.LBB868_206:
	s_or_b64 exec, exec, s[56:57]
	s_and_b64 exec, exec, s[52:53]
	s_cbranch_execz .LBB868_208
; %bb.207:
	v_mov_b32_e32 v2, 0
	ds_write_b16 v2, v55 offset:12
	ds_write_b8 v2, v52 offset:14
.LBB868_208:
	s_or_b64 exec, exec, s[0:1]
	v_mov_b32_e32 v2, 0
	s_waitcnt lgkmcnt(0)
	s_barrier
	ds_read_b32 v3, v2 offset:12
	v_lshrrev_b32_e32 v4, 16, v17
	v_cndmask_b32_e64 v4, v4, v16, s[50:51]
	v_cmp_eq_u16_sdwa vcc, v4, v2 src0_sel:BYTE_0 src1_sel:DWORD
	v_cndmask_b32_e64 v5, v17, v15, s[50:51]
	s_waitcnt lgkmcnt(0)
	v_cndmask_b32_e32 v2, 0, v3, vcc
	v_add_u16_e32 v2, v2, v5
	v_cndmask_b32_e64 v8, v2, v3, s[52:53]
	v_and_b32_e32 v2, 0xff0000, v1
	v_cmp_eq_u32_e32 vcc, 0, v2
	s_nop 1
	v_cndmask_b32_e32 v2, 0, v8, vcc
	v_add_u16_e32 v6, v2, v1
	v_cndmask_b32_e64 v2, 0, v6, s[4:5]
	v_add_u16_e32 v7, v2, v25
	v_cndmask_b32_e64 v2, 0, v7, s[6:7]
	v_add_u16_e32 v9, v2, v29
	v_cndmask_b32_e64 v2, 0, v9, s[8:9]
	v_add_u16_e32 v10, v2, v30
	v_cndmask_b32_e64 v2, 0, v10, s[10:11]
	v_add_u16_e32 v11, v2, v31
	v_cndmask_b32_e64 v2, 0, v11, s[12:13]
	v_add_u16_e32 v16, v2, v32
	v_cndmask_b32_e64 v2, 0, v16, s[14:15]
	v_add_u16_e32 v18, v2, v33
	v_cndmask_b32_e64 v2, 0, v18, s[16:17]
	v_add_u16_e32 v15, v2, v34
	v_cndmask_b32_e64 v2, 0, v15, s[18:19]
	v_add_u16_e32 v17, v2, v35
	v_cndmask_b32_e64 v2, 0, v17, s[20:21]
	v_add_u16_e32 v19, v2, v36
	v_cndmask_b32_e64 v2, 0, v19, s[22:23]
	v_add_u16_e32 v20, v2, v37
	v_cndmask_b32_e64 v2, 0, v20, s[24:25]
	v_add_u16_e32 v21, v2, v38
	v_cndmask_b32_e64 v2, 0, v21, s[26:27]
	v_add_u16_e32 v47, v2, v39
	v_cndmask_b32_e64 v2, 0, v47, s[28:29]
	v_add_u16_e32 v49, v2, v40
	v_cndmask_b32_e64 v2, 0, v49, s[30:31]
	v_add_u16_e32 v51, v2, v41
	v_cndmask_b32_e64 v2, 0, v51, s[34:35]
	v_add_u16_e32 v48, v2, v42
	v_cndmask_b32_e64 v2, 0, v48, s[36:37]
	v_add_u16_e32 v50, v2, v43
	v_cndmask_b32_e64 v2, 0, v50, s[38:39]
	v_add_u16_e32 v52, v2, v22
	v_cndmask_b32_e64 v2, 0, v52, s[40:41]
	v_add_u16_e32 v53, v2, v44
	v_cndmask_b32_e64 v2, 0, v53, s[42:43]
	v_add_u16_e32 v54, v2, v23
	v_cndmask_b32_e64 v2, 0, v54, s[44:45]
	v_add_u16_e32 v55, v2, v45
	v_cndmask_b32_e64 v2, 0, v55, s[46:47]
	v_add_u16_e32 v56, v2, v24
	v_cndmask_b32_e64 v2, 0, v56, s[48:49]
	v_add_u16_e32 v57, v2, v46
	s_branch .LBB868_259
.LBB868_209:
	s_or_b64 exec, exec, s[0:1]
                                        ; implicit-def: $vgpr39
	s_and_saveexec_b64 s[0:1], s[4:5]
	s_cbranch_execz .LBB868_57
.LBB868_210:
	v_mov_b32_e32 v15, 0
	v_lshl_add_u64 v[40:41], v[18:19], 0, v[14:15]
	flat_load_ushort v39, v[40:41] offset:512
	s_or_b64 exec, exec, s[0:1]
                                        ; implicit-def: $vgpr40
	s_and_saveexec_b64 s[0:1], s[6:7]
	s_cbranch_execnz .LBB868_58
.LBB868_211:
	s_or_b64 exec, exec, s[0:1]
                                        ; implicit-def: $vgpr41
	s_and_saveexec_b64 s[0:1], s[8:9]
	s_cbranch_execz .LBB868_59
.LBB868_212:
	v_mov_b32_e32 v15, 0
	v_lshl_add_u64 v[42:43], v[18:19], 0, v[14:15]
	flat_load_ushort v41, v[42:43] offset:1536
	s_or_b64 exec, exec, s[0:1]
                                        ; implicit-def: $vgpr42
	s_and_saveexec_b64 s[0:1], s[10:11]
	s_cbranch_execnz .LBB868_60
.LBB868_213:
	s_or_b64 exec, exec, s[0:1]
                                        ; implicit-def: $vgpr43
	s_and_saveexec_b64 s[0:1], s[12:13]
	s_cbranch_execz .LBB868_61
.LBB868_214:
	v_mov_b32_e32 v15, 0
	v_lshl_add_u64 v[44:45], v[18:19], 0, v[14:15]
	flat_load_ushort v43, v[44:45] offset:2560
	s_or_b64 exec, exec, s[0:1]
                                        ; implicit-def: $vgpr44
	s_and_saveexec_b64 s[0:1], s[14:15]
	s_cbranch_execnz .LBB868_62
.LBB868_215:
	s_or_b64 exec, exec, s[0:1]
                                        ; implicit-def: $vgpr15
	s_and_saveexec_b64 s[0:1], s[16:17]
	s_cbranch_execz .LBB868_63
.LBB868_216:
	v_mov_b32_e32 v15, 0
	v_lshl_add_u64 v[46:47], v[18:19], 0, v[14:15]
	flat_load_ushort v15, v[46:47] offset:3584
	s_or_b64 exec, exec, s[0:1]
                                        ; implicit-def: $vgpr45
	s_and_saveexec_b64 s[0:1], s[18:19]
	s_cbranch_execnz .LBB868_64
.LBB868_217:
	s_or_b64 exec, exec, s[0:1]
                                        ; implicit-def: $vgpr1
	s_and_saveexec_b64 s[0:1], s[20:21]
	s_cbranch_execz .LBB868_65
.LBB868_218:
	v_lshlrev_b32_e32 v46, 1, v16
	v_mov_b32_e32 v47, 0
	v_lshl_add_u64 v[46:47], v[18:19], 0, v[46:47]
	flat_load_ushort v1, v[46:47]
	s_or_b64 exec, exec, s[0:1]
                                        ; implicit-def: $vgpr16
	s_and_saveexec_b64 s[0:1], s[22:23]
	s_cbranch_execnz .LBB868_66
.LBB868_219:
	s_or_b64 exec, exec, s[0:1]
                                        ; implicit-def: $vgpr17
	s_and_saveexec_b64 s[0:1], s[24:25]
	s_cbranch_execz .LBB868_67
.LBB868_220:
	v_lshlrev_b32_e32 v46, 1, v22
	v_mov_b32_e32 v47, 0
	v_lshl_add_u64 v[46:47], v[18:19], 0, v[46:47]
	flat_load_ushort v17, v[46:47]
	s_or_b64 exec, exec, s[0:1]
                                        ; implicit-def: $vgpr22
	s_and_saveexec_b64 s[0:1], s[26:27]
	s_cbranch_execnz .LBB868_68
.LBB868_221:
	s_or_b64 exec, exec, s[0:1]
                                        ; implicit-def: $vgpr23
	s_and_saveexec_b64 s[0:1], s[28:29]
	s_cbranch_execz .LBB868_69
.LBB868_222:
	v_lshlrev_b32_e32 v46, 1, v24
	v_mov_b32_e32 v47, 0
	v_lshl_add_u64 v[46:47], v[18:19], 0, v[46:47]
	flat_load_ushort v23, v[46:47]
	s_or_b64 exec, exec, s[0:1]
                                        ; implicit-def: $vgpr24
	s_and_saveexec_b64 s[0:1], s[30:31]
	s_cbranch_execnz .LBB868_70
.LBB868_223:
	s_or_b64 exec, exec, s[0:1]
                                        ; implicit-def: $vgpr25
	s_and_saveexec_b64 s[0:1], s[34:35]
	s_cbranch_execz .LBB868_71
.LBB868_224:
	v_lshlrev_b32_e32 v46, 1, v29
	v_mov_b32_e32 v47, 0
	v_lshl_add_u64 v[46:47], v[18:19], 0, v[46:47]
	flat_load_ushort v25, v[46:47]
	s_or_b64 exec, exec, s[0:1]
                                        ; implicit-def: $vgpr29
	s_and_saveexec_b64 s[0:1], s[36:37]
	s_cbranch_execnz .LBB868_72
.LBB868_225:
	s_or_b64 exec, exec, s[0:1]
                                        ; implicit-def: $vgpr30
	s_and_saveexec_b64 s[0:1], s[38:39]
	s_cbranch_execz .LBB868_73
.LBB868_226:
	v_lshlrev_b32_e32 v30, 1, v31
	v_mov_b32_e32 v31, 0
	v_lshl_add_u64 v[30:31], v[18:19], 0, v[30:31]
	flat_load_ushort v30, v[30:31]
	s_or_b64 exec, exec, s[0:1]
                                        ; implicit-def: $vgpr31
	s_and_saveexec_b64 s[0:1], s[40:41]
	s_cbranch_execnz .LBB868_74
.LBB868_227:
	s_or_b64 exec, exec, s[0:1]
                                        ; implicit-def: $vgpr32
	s_and_saveexec_b64 s[0:1], s[42:43]
	s_cbranch_execz .LBB868_75
.LBB868_228:
	v_lshlrev_b32_e32 v32, 1, v33
	v_mov_b32_e32 v33, 0
	v_lshl_add_u64 v[32:33], v[18:19], 0, v[32:33]
	flat_load_ushort v32, v[32:33]
	s_or_b64 exec, exec, s[0:1]
                                        ; implicit-def: $vgpr33
	s_and_saveexec_b64 s[0:1], s[44:45]
	s_cbranch_execnz .LBB868_76
.LBB868_229:
	s_or_b64 exec, exec, s[0:1]
                                        ; implicit-def: $vgpr34
	s_and_saveexec_b64 s[0:1], s[46:47]
	s_cbranch_execz .LBB868_77
.LBB868_230:
	v_lshlrev_b32_e32 v34, 1, v35
	v_mov_b32_e32 v35, 0
	v_lshl_add_u64 v[34:35], v[18:19], 0, v[34:35]
	flat_load_ushort v34, v[34:35]
	s_or_b64 exec, exec, s[0:1]
                                        ; implicit-def: $vgpr35
	s_and_saveexec_b64 s[0:1], s[48:49]
	s_cbranch_execz .LBB868_79
	s_branch .LBB868_78
.LBB868_231:
                                        ; implicit-def: $vgpr8
                                        ; implicit-def: $vgpr6
                                        ; implicit-def: $vgpr7
                                        ; implicit-def: $vgpr9
                                        ; implicit-def: $vgpr10
                                        ; implicit-def: $vgpr11
                                        ; implicit-def: $vgpr16
                                        ; implicit-def: $vgpr18
                                        ; implicit-def: $vgpr15
                                        ; implicit-def: $vgpr17
                                        ; implicit-def: $vgpr19
                                        ; implicit-def: $vgpr20
                                        ; implicit-def: $vgpr21
                                        ; implicit-def: $vgpr47
                                        ; implicit-def: $vgpr49
                                        ; implicit-def: $vgpr51
                                        ; implicit-def: $vgpr48
                                        ; implicit-def: $vgpr50
                                        ; implicit-def: $vgpr52
                                        ; implicit-def: $vgpr53
                                        ; implicit-def: $vgpr54
                                        ; implicit-def: $vgpr55
                                        ; implicit-def: $vgpr56
                                        ; implicit-def: $vgpr57
	s_cbranch_execz .LBB868_259
; %bb.232:
	s_cmp_lg_u64 s[72:73], 0
	s_cselect_b32 s1, s71, 0
	s_cselect_b32 s0, s70, 0
	s_cmp_eq_u64 s[0:1], 0
	v_mov_b32_e32 v2, s74
	s_cbranch_scc1 .LBB868_234
; %bb.233:
	v_mov_b32_e32 v2, 0
	global_load_ushort v2, v2, s[0:1]
.LBB868_234:
	s_mov_b32 s0, 0x10000
	v_cmp_gt_u32_e32 vcc, s0, v25
	v_cmp_gt_u32_e64 s[4:5], s0, v29
	v_cmp_gt_u32_e64 s[6:7], s0, v30
	v_cndmask_b32_e32 v3, 0, v1, vcc
	v_add_u16_e32 v3, v3, v25
	v_cndmask_b32_e64 v3, 0, v3, s[4:5]
	v_add_u16_e32 v3, v3, v29
	v_cndmask_b32_e64 v3, 0, v3, s[6:7]
	v_add_u16_e32 v3, v3, v30
	v_cmp_gt_u32_e64 s[8:9], s0, v31
	v_cmp_gt_u32_e64 s[10:11], s0, v32
	v_cmp_gt_u32_e64 s[12:13], s0, v33
	v_cndmask_b32_e64 v3, 0, v3, s[8:9]
	v_add_u16_e32 v3, v3, v31
	v_cndmask_b32_e64 v3, 0, v3, s[10:11]
	v_add_u16_e32 v3, v3, v32
	v_cndmask_b32_e64 v3, 0, v3, s[12:13]
	v_add_u16_e32 v3, v3, v33
	v_cmp_gt_u32_e64 s[14:15], s0, v34
	v_cmp_gt_u32_e64 s[16:17], s0, v35
	v_cmp_gt_u32_e64 s[18:19], s0, v36
	v_cndmask_b32_e64 v3, 0, v3, s[14:15]
	;; [unrolled: 9-line block ×5, first 2 shown]
	v_add_u16_e32 v3, v3, v43
	v_cndmask_b32_e64 v3, 0, v3, s[36:37]
	v_add_u16_e32 v3, v3, v22
	v_cndmask_b32_e64 v3, 0, v3, s[38:39]
	v_or3_b32 v6, v14, v44, v22
	v_add_u16_e32 v3, v3, v44
	v_cmp_gt_u32_e64 s[40:41], s0, v23
	v_or3_b32 v6, v6, v43, v42
	v_or3_b32 v6, v6, v41, v40
	v_cndmask_b32_e64 v3, 0, v3, s[40:41]
	v_add_u16_e32 v3, v3, v23
	v_cmp_gt_u32_e64 s[42:43], s0, v45
	v_or3_b32 v6, v6, v39, v38
	v_or3_b32 v6, v6, v37, v36
	v_cndmask_b32_e64 v3, 0, v3, s[42:43]
	;; [unrolled: 5-line block ×4, first 2 shown]
	v_add_u16_e32 v3, v3, v46
	v_cmp_gt_u32_e64 s[0:1], s0, v12
	v_and_b32_e32 v6, 0x10000, v6
	v_and_b32_e32 v5, 0x10000, v1
	v_cndmask_b32_e64 v3, 0, v3, s[0:1]
	v_mov_b32_e32 v7, 0x10000
	v_cmp_ne_u32_e64 s[0:1], 0, v6
	v_add_u16_e32 v4, v3, v12
	v_add_u16_e32 v6, v3, v12
	v_cndmask_b32_e64 v7, v5, v7, s[0:1]
	v_mbcnt_hi_u32_b32 v3, -1, v13
	v_and_b32_e32 v8, 15, v3
	v_or_b32_e32 v6, v7, v6
	v_lshrrev_b32_e32 v5, 16, v7
	v_cmp_ne_u32_e64 s[0:1], 0, v8
	v_mov_b32_dpp v9, v6 row_shr:1 row_mask:0xf bank_mask:0xf
	s_and_saveexec_b64 s[48:49], s[0:1]
	s_cbranch_execz .LBB868_236
; %bb.235:
	v_cmp_eq_u32_e64 s[0:1], 0, v7
	v_and_b32_e32 v5, 0x10000, v7
	v_mov_b32_e32 v7, 1
	v_cndmask_b32_e64 v6, 0, v9, s[0:1]
	v_and_b32_sdwa v7, v9, v7 dst_sel:DWORD dst_unused:UNUSED_PAD src0_sel:WORD_1 src1_sel:DWORD
	v_cmp_ne_u32_e64 s[0:1], 0, v5
	v_add_u16_e32 v10, v6, v4
	v_add_u16_e32 v4, v6, v4
	v_cndmask_b32_e64 v5, v7, 1, s[0:1]
	v_lshlrev_b32_e32 v7, 16, v5
	v_or_b32_e32 v6, v7, v4
	v_mov_b32_e32 v4, v10
.LBB868_236:
	s_or_b64 exec, exec, s[48:49]
	v_lshrrev_b32_e32 v7, 16, v6
	v_mov_b32_dpp v9, v6 row_shr:2 row_mask:0xf bank_mask:0xf
	v_cmp_lt_u32_e64 s[0:1], 1, v8
	s_and_saveexec_b64 s[48:49], s[0:1]
	s_cbranch_execz .LBB868_238
; %bb.237:
	s_mov_b32 s0, 0x10000
	v_cmp_gt_u32_e64 s[0:1], s0, v6
	v_and_b32_e32 v5, 0x10000, v6
	v_mov_b32_e32 v6, 1
	v_cndmask_b32_e64 v7, 0, v9, s[0:1]
	v_and_b32_sdwa v6, v9, v6 dst_sel:DWORD dst_unused:UNUSED_PAD src0_sel:WORD_1 src1_sel:DWORD
	v_cmp_ne_u32_e64 s[0:1], 0, v5
	v_add_u16_e32 v10, v7, v4
	v_add_u16_e32 v4, v7, v4
	v_cndmask_b32_e64 v5, v6, 1, s[0:1]
	v_lshlrev_b32_e32 v6, 16, v5
	v_or_b32_e32 v6, v6, v4
	v_mov_b32_e32 v7, v5
	v_mov_b32_e32 v4, v10
.LBB868_238:
	s_or_b64 exec, exec, s[48:49]
	v_mov_b32_dpp v9, v6 row_shr:4 row_mask:0xf bank_mask:0xf
	v_cmp_lt_u32_e64 s[0:1], 3, v8
	s_and_saveexec_b64 s[48:49], s[0:1]
	s_cbranch_execz .LBB868_240
; %bb.239:
	v_cmp_eq_u16_e64 s[0:1], 0, v7
	v_and_b32_e32 v5, 1, v7
	v_mov_b32_e32 v7, 1
	v_cndmask_b32_e64 v6, 0, v9, s[0:1]
	v_and_b32_sdwa v7, v9, v7 dst_sel:DWORD dst_unused:UNUSED_PAD src0_sel:WORD_1 src1_sel:DWORD
	v_cmp_eq_u32_e64 s[0:1], 1, v5
	v_add_u16_e32 v10, v6, v4
	v_add_u16_e32 v4, v6, v4
	v_cndmask_b32_e64 v5, v7, 1, s[0:1]
	v_lshlrev_b32_e32 v7, 16, v5
	v_or_b32_e32 v6, v7, v4
	v_mov_b32_e32 v7, v5
	v_mov_b32_e32 v4, v10
.LBB868_240:
	s_or_b64 exec, exec, s[48:49]
	v_mov_b32_dpp v9, v6 row_shr:8 row_mask:0xf bank_mask:0xf
	v_cmp_lt_u32_e64 s[0:1], 7, v8
	s_and_saveexec_b64 s[48:49], s[0:1]
	s_cbranch_execz .LBB868_242
; %bb.241:
	v_cmp_eq_u16_e64 s[0:1], 0, v7
	v_and_b32_e32 v5, 1, v7
	v_mov_b32_e32 v7, 1
	v_cndmask_b32_e64 v6, 0, v9, s[0:1]
	v_and_b32_sdwa v7, v9, v7 dst_sel:DWORD dst_unused:UNUSED_PAD src0_sel:WORD_1 src1_sel:DWORD
	v_cmp_eq_u32_e64 s[0:1], 1, v5
	v_add_u16_e32 v8, v6, v4
	v_add_u16_e32 v4, v6, v4
	v_cndmask_b32_e64 v5, v7, 1, s[0:1]
	v_lshlrev_b32_e32 v7, 16, v5
	v_or_b32_e32 v6, v7, v4
	v_mov_b32_e32 v7, v5
	v_mov_b32_e32 v4, v8
.LBB868_242:
	s_or_b64 exec, exec, s[48:49]
	v_and_b32_e32 v9, 16, v3
	v_mov_b32_dpp v8, v6 row_bcast:15 row_mask:0xf bank_mask:0xf
	v_cmp_ne_u32_e64 s[0:1], 0, v9
	s_and_saveexec_b64 s[48:49], s[0:1]
	s_cbranch_execz .LBB868_244
; %bb.243:
	v_cmp_eq_u16_e64 s[0:1], 0, v7
	v_and_b32_e32 v5, 1, v7
	v_mov_b32_e32 v7, 1
	v_cndmask_b32_e64 v6, 0, v8, s[0:1]
	v_and_b32_sdwa v7, v8, v7 dst_sel:DWORD dst_unused:UNUSED_PAD src0_sel:WORD_1 src1_sel:DWORD
	v_cmp_eq_u32_e64 s[0:1], 1, v5
	v_add_u16_e32 v9, v6, v4
	v_add_u16_e32 v4, v6, v4
	v_cndmask_b32_e64 v5, v7, 1, s[0:1]
	v_lshlrev_b32_e32 v7, 16, v5
	v_or_b32_e32 v6, v7, v4
	v_mov_b32_e32 v7, v5
	v_mov_b32_e32 v4, v9
.LBB868_244:
	s_or_b64 exec, exec, s[48:49]
	v_mov_b32_dpp v6, v6 row_bcast:31 row_mask:0xf bank_mask:0xf
	v_cmp_lt_u32_e64 s[0:1], 31, v3
	s_and_saveexec_b64 s[48:49], s[0:1]
; %bb.245:
	v_cmp_eq_u16_e64 s[0:1], 0, v7
	s_nop 1
	v_cndmask_b32_e64 v5, 0, v6, s[0:1]
	v_add_u16_e32 v4, v5, v4
	v_and_b32_e32 v5, 1, v7
	v_mov_b32_e32 v7, 1
	v_and_b32_sdwa v6, v6, v7 dst_sel:DWORD dst_unused:UNUSED_PAD src0_sel:WORD_1 src1_sel:DWORD
	v_cmp_eq_u32_e64 s[0:1], 1, v5
	s_nop 1
	v_cndmask_b32_e64 v5, v6, 1, s[0:1]
; %bb.246:
	s_or_b64 exec, exec, s[48:49]
	v_or_b32_e32 v7, 63, v0
	v_lshrrev_b32_e32 v6, 6, v0
	v_cmp_eq_u32_e64 s[0:1], v7, v0
	s_and_saveexec_b64 s[48:49], s[0:1]
	s_cbranch_execz .LBB868_248
; %bb.247:
	v_lshlrev_b32_e32 v7, 2, v6
	ds_write_b16 v7, v4
	ds_write_b8 v7, v5 offset:2
.LBB868_248:
	s_or_b64 exec, exec, s[48:49]
	v_cmp_gt_u32_e64 s[0:1], 4, v0
	s_waitcnt lgkmcnt(0)
	s_barrier
	s_and_saveexec_b64 s[48:49], s[0:1]
	s_cbranch_execz .LBB868_254
; %bb.249:
	v_lshlrev_b32_e32 v7, 2, v0
	ds_read_b32 v8, v7
	v_and_b32_e32 v11, 3, v3
	v_cmp_ne_u32_e64 s[0:1], 0, v11
	s_waitcnt lgkmcnt(0)
	v_lshrrev_b32_e32 v10, 16, v8
	v_mov_b32_dpp v12, v8 row_shr:1 row_mask:0xf bank_mask:0xf
	v_mov_b32_e32 v9, v8
	s_and_saveexec_b64 s[50:51], s[0:1]
	s_cbranch_execz .LBB868_251
; %bb.250:
	v_mov_b32_e32 v9, 0
	v_cmp_eq_u16_sdwa s[0:1], v10, v9 src0_sel:BYTE_0 src1_sel:DWORD
	v_and_b32_e32 v10, 0x10000, v8
	v_mov_b32_e32 v15, 1
	v_cndmask_b32_e64 v14, 0, v12, s[0:1]
	v_and_b32_sdwa v12, v12, v15 dst_sel:DWORD dst_unused:UNUSED_PAD src0_sel:WORD_1 src1_sel:DWORD
	v_cmp_ne_u32_e64 s[0:1], 0, v10
	v_and_b32_e32 v13, 0xff000000, v8
	v_add_u16_e32 v9, v14, v8
	v_cndmask_b32_e64 v10, v12, 1, s[0:1]
	v_lshlrev_b32_e32 v12, 16, v10
	v_add_u16_e32 v8, v14, v8
	v_or3_b32 v8, v12, v13, v8
.LBB868_251:
	s_or_b64 exec, exec, s[50:51]
	s_nop 0
	v_mov_b32_dpp v12, v8 row_shr:2 row_mask:0xf bank_mask:0xf
	v_cmp_lt_u32_e64 s[0:1], 1, v11
	s_and_saveexec_b64 s[50:51], s[0:1]
; %bb.252:
	v_and_b32_e32 v10, 0xff0000, v8
	v_cmp_eq_u32_e64 s[0:1], 0, v10
	v_and_b32_e32 v8, 0x10000, v8
	s_nop 0
	v_cndmask_b32_e64 v10, 0, v12, s[0:1]
	v_add_u16_e32 v9, v10, v9
	v_mov_b32_e32 v10, 1
	v_and_b32_sdwa v10, v12, v10 dst_sel:DWORD dst_unused:UNUSED_PAD src0_sel:WORD_1 src1_sel:DWORD
	v_cmp_eq_u32_e64 s[0:1], 0, v8
	s_nop 1
	v_cndmask_b32_e64 v10, 1, v10, s[0:1]
; %bb.253:
	s_or_b64 exec, exec, s[50:51]
	ds_write_b16 v7, v9
	ds_write_b8 v7, v10 offset:2
.LBB868_254:
	s_or_b64 exec, exec, s[48:49]
	v_cmp_lt_u32_e64 s[0:1], 63, v0
	v_mov_b32_e32 v8, 0
	s_waitcnt vmcnt(0)
	v_mov_b32_e32 v7, v2
	s_waitcnt lgkmcnt(0)
	s_barrier
	s_and_saveexec_b64 s[48:49], s[0:1]
	s_cbranch_execz .LBB868_256
; %bb.255:
	v_lshl_add_u32 v6, v6, 2, -4
	ds_read_u8 v8, v6 offset:2
	ds_read_u16 v6, v6
	s_waitcnt lgkmcnt(1)
	v_cmp_eq_u16_e64 s[0:1], 0, v8
	s_nop 1
	v_cndmask_b32_e64 v7, 0, v2, s[0:1]
	s_waitcnt lgkmcnt(0)
	v_add_u16_e32 v7, v7, v6
.LBB868_256:
	s_or_b64 exec, exec, s[48:49]
	v_cmp_eq_u16_e64 s[0:1], 0, v5
	v_and_b32_e32 v5, 1, v5
	v_lshlrev_b32_e32 v8, 16, v8
	v_cndmask_b32_e64 v6, 0, v7, s[0:1]
	v_mov_b32_e32 v9, 0x10000
	v_cmp_eq_u32_e64 s[0:1], 1, v5
	v_add_u16_e32 v4, v6, v4
	v_and_b32_e32 v6, 64, v3
	v_cndmask_b32_e64 v5, v8, v9, s[0:1]
	v_or_b32_e32 v4, v5, v4
	v_add_u32_e32 v5, -1, v3
	v_cmp_lt_i32_e64 s[0:1], v5, v6
	s_nop 1
	v_cndmask_b32_e64 v5, v5, v3, s[0:1]
	v_lshlrev_b32_e32 v5, 2, v5
	ds_bpermute_b32 v4, v5, v4
	v_cmp_eq_u32_e64 s[0:1], 0, v3
	s_waitcnt lgkmcnt(0)
	s_nop 0
	v_cndmask_b32_e64 v8, v4, v7, s[0:1]
	v_and_b32_e32 v4, 0xff0000, v1
	v_cndmask_b32_e64 v3, v8, v2, s[52:53]
	v_cmp_eq_u32_e64 s[0:1], 0, v4
	s_nop 1
	v_cndmask_b32_e64 v3, 0, v3, s[0:1]
	v_add_u16_e32 v6, v3, v1
	v_cndmask_b32_e32 v1, 0, v6, vcc
	v_add_u16_e32 v7, v1, v25
	v_cndmask_b32_e64 v1, 0, v7, s[4:5]
	v_add_u16_e32 v9, v1, v29
	v_cndmask_b32_e64 v1, 0, v9, s[6:7]
	;; [unrolled: 2-line block ×21, first 2 shown]
	s_and_saveexec_b64 s[0:1], s[52:53]
	s_cbranch_execz .LBB868_258
; %bb.257:
	v_mov_b32_e32 v3, 0
	ds_read_u8 v4, v3 offset:14
	ds_read_u16 v8, v3 offset:12
	v_mov_b32_e32 v5, 2
	s_waitcnt lgkmcnt(1)
	v_cmp_eq_u32_e32 vcc, 0, v4
	v_lshlrev_b32_e32 v12, 16, v4
	s_nop 0
	v_cndmask_b32_e32 v4, 0, v2, vcc
	s_waitcnt lgkmcnt(0)
	v_add_u32_e32 v4, v4, v8
	v_or_b32_sdwa v4, v12, v4 dst_sel:DWORD dst_unused:UNUSED_PAD src0_sel:DWORD src1_sel:WORD_0
	v_mov_b32_e32 v8, v2
	global_store_dwordx2 v3, v[4:5], s[64:65] offset:512 sc1
.LBB868_258:
	s_or_b64 exec, exec, s[0:1]
	v_add_u16_e32 v57, v1, v46
.LBB868_259:
	s_add_u32 s0, s62, s54
	s_addc_u32 s1, s63, s55
	v_mul_u32_u24_e32 v1, 24, v0
	v_lshl_add_u64 v[2:3], s[0:1], 0, v[26:27]
	s_and_b64 vcc, exec, s[2:3]
	v_lshlrev_b32_e32 v12, 1, v1
	s_cbranch_vccz .LBB868_307
; %bb.260:
	s_mov_b32 s0, 0x5040100
	v_perm_b32 v25, v18, v16, s0
	v_perm_b32 v24, v11, v10, s0
	;; [unrolled: 1-line block ×4, first 2 shown]
	s_barrier
	ds_write_b128 v12, v[22:25]
	v_perm_b32 v25, v51, v49, s0
	v_perm_b32 v24, v47, v21, s0
	;; [unrolled: 1-line block ×4, first 2 shown]
	ds_write_b128 v12, v[22:25] offset:16
	v_perm_b32 v25, v57, v56, s0
	v_perm_b32 v24, v55, v54, s0
	;; [unrolled: 1-line block ×4, first 2 shown]
	s_movk_i32 s0, 0xffd2
	v_mad_i32_i24 v4, v0, s0, v12
	ds_write_b128 v12, v[22:25] offset:32
	s_waitcnt lgkmcnt(0)
	s_barrier
	ds_read_u16 v43, v4 offset:512
	ds_read_u16 v42, v4 offset:1024
	;; [unrolled: 1-line block ×23, first 2 shown]
	s_add_i32 s33, s33, s66
	v_mov_b32_e32 v29, 0
	v_lshl_add_u64 v[4:5], v[2:3], 0, v[28:29]
	v_cmp_gt_u32_e32 vcc, s33, v0
	s_and_saveexec_b64 s[0:1], vcc
	s_cbranch_execz .LBB868_262
; %bb.261:
	v_mul_i32_i24_e32 v44, 0xffffffd2, v0
	v_add_u32_e32 v44, v12, v44
	ds_read_u16 v44, v44
	s_waitcnt lgkmcnt(0)
	flat_store_short v[4:5], v44
.LBB868_262:
	s_or_b64 exec, exec, s[0:1]
	v_or_b32_e32 v44, 0x100, v0
	v_cmp_gt_u32_e32 vcc, s33, v44
	s_and_saveexec_b64 s[0:1], vcc
	s_cbranch_execz .LBB868_264
; %bb.263:
	s_waitcnt lgkmcnt(0)
	flat_store_short v[4:5], v43 offset:512
.LBB868_264:
	s_or_b64 exec, exec, s[0:1]
	s_waitcnt lgkmcnt(0)
	v_or_b32_e32 v43, 0x200, v0
	v_cmp_gt_u32_e32 vcc, s33, v43
	s_and_saveexec_b64 s[0:1], vcc
	s_cbranch_execz .LBB868_266
; %bb.265:
	flat_store_short v[4:5], v42 offset:1024
.LBB868_266:
	s_or_b64 exec, exec, s[0:1]
	v_or_b32_e32 v42, 0x300, v0
	v_cmp_gt_u32_e32 vcc, s33, v42
	s_and_saveexec_b64 s[0:1], vcc
	s_cbranch_execz .LBB868_268
; %bb.267:
	flat_store_short v[4:5], v41 offset:1536
.LBB868_268:
	s_or_b64 exec, exec, s[0:1]
	;; [unrolled: 8-line block ×6, first 2 shown]
	v_or_b32_e32 v37, 0x800, v0
	v_cmp_gt_u32_e32 vcc, s33, v37
	s_and_saveexec_b64 s[0:1], vcc
	s_cbranch_execz .LBB868_278
; %bb.277:
	v_add_co_u32_e32 v38, vcc, 0x1000, v4
	s_nop 1
	v_addc_co_u32_e32 v39, vcc, 0, v5, vcc
	flat_store_short v[38:39], v36
.LBB868_278:
	s_or_b64 exec, exec, s[0:1]
	v_or_b32_e32 v36, 0x900, v0
	v_cmp_gt_u32_e32 vcc, s33, v36
	s_and_saveexec_b64 s[0:1], vcc
	s_cbranch_execz .LBB868_280
; %bb.279:
	v_add_co_u32_e32 v36, vcc, 0x1000, v4
	s_nop 1
	v_addc_co_u32_e32 v37, vcc, 0, v5, vcc
	flat_store_short v[36:37], v35 offset:512
.LBB868_280:
	s_or_b64 exec, exec, s[0:1]
	v_or_b32_e32 v35, 0xa00, v0
	v_cmp_gt_u32_e32 vcc, s33, v35
	s_and_saveexec_b64 s[0:1], vcc
	s_cbranch_execz .LBB868_282
; %bb.281:
	v_add_co_u32_e32 v36, vcc, 0x1000, v4
	s_nop 1
	v_addc_co_u32_e32 v37, vcc, 0, v5, vcc
	flat_store_short v[36:37], v34 offset:1024
.LBB868_282:
	;; [unrolled: 11-line block ×7, first 2 shown]
	s_or_b64 exec, exec, s[0:1]
	v_or_b32_e32 v27, 0x1000, v0
	v_cmp_gt_u32_e32 vcc, s33, v27
	s_and_saveexec_b64 s[0:1], vcc
	s_cbranch_execz .LBB868_294
; %bb.293:
	v_add_co_u32_e32 v30, vcc, 0x2000, v4
	s_nop 1
	v_addc_co_u32_e32 v31, vcc, 0, v5, vcc
	flat_store_short v[30:31], v26
.LBB868_294:
	s_or_b64 exec, exec, s[0:1]
	v_or_b32_e32 v26, 0x1100, v0
	v_cmp_gt_u32_e32 vcc, s33, v26
	s_and_saveexec_b64 s[0:1], vcc
	s_cbranch_execz .LBB868_296
; %bb.295:
	v_add_co_u32_e32 v26, vcc, 0x2000, v4
	s_nop 1
	v_addc_co_u32_e32 v27, vcc, 0, v5, vcc
	flat_store_short v[26:27], v25 offset:512
.LBB868_296:
	s_or_b64 exec, exec, s[0:1]
	v_or_b32_e32 v25, 0x1200, v0
	v_cmp_gt_u32_e32 vcc, s33, v25
	s_and_saveexec_b64 s[0:1], vcc
	s_cbranch_execz .LBB868_298
; %bb.297:
	v_add_co_u32_e32 v26, vcc, 0x2000, v4
	s_nop 1
	v_addc_co_u32_e32 v27, vcc, 0, v5, vcc
	flat_store_short v[26:27], v24 offset:1024
.LBB868_298:
	;; [unrolled: 11-line block ×6, first 2 shown]
	s_or_b64 exec, exec, s[0:1]
	v_or_b32_e32 v4, 0x1700, v0
	v_mov_b32_e32 v1, v29
	v_cmp_gt_u32_e64 s[0:1], s33, v4
	s_branch .LBB868_309
.LBB868_307:
	s_mov_b64 s[0:1], 0
                                        ; implicit-def: $vgpr13
	s_cbranch_execz .LBB868_309
; %bb.308:
	s_mov_b32 s2, 0x5040100
	v_perm_b32 v23, v9, v7, s2
	v_perm_b32 v22, v6, v8, s2
	;; [unrolled: 1-line block ×6, first 2 shown]
	s_waitcnt lgkmcnt(0)
	s_barrier
	v_perm_b32 v25, v18, v16, s2
	v_perm_b32 v24, v11, v10, s2
	ds_write_b128 v12, v[4:7] offset:16
	v_perm_b32 v7, v57, v56, s2
	v_perm_b32 v6, v55, v54, s2
	;; [unrolled: 1-line block ×4, first 2 shown]
	v_mov_b32_e32 v1, 0
	s_movk_i32 s2, 0xffd2
	ds_write_b128 v12, v[4:7] offset:32
	v_mad_i32_i24 v4, v0, s2, v12
	v_mov_b32_e32 v29, v1
	ds_write_b128 v12, v[22:25]
	s_waitcnt lgkmcnt(0)
	s_barrier
	ds_read_u16 v6, v4
	ds_read_u16 v7, v4 offset:512
	ds_read_u16 v8, v4 offset:1024
	;; [unrolled: 1-line block ×23, first 2 shown]
	v_lshl_add_u64 v[4:5], v[2:3], 0, v[28:29]
	s_movk_i32 s2, 0x1000
	s_waitcnt lgkmcnt(0)
	flat_store_short v[4:5], v6
	flat_store_short v[4:5], v7 offset:512
	flat_store_short v[4:5], v8 offset:1024
	;; [unrolled: 1-line block ×7, first 2 shown]
	v_add_co_u32_e32 v6, vcc, s2, v4
	s_or_b64 s[0:1], s[0:1], exec
	s_nop 0
	v_addc_co_u32_e32 v7, vcc, 0, v5, vcc
	v_add_co_u32_e32 v4, vcc, 0x2000, v4
	flat_store_short v[6:7], v15
	flat_store_short v[6:7], v16 offset:512
	flat_store_short v[6:7], v17 offset:1024
	;; [unrolled: 1-line block ×7, first 2 shown]
	v_addc_co_u32_e32 v5, vcc, 0, v5, vcc
	flat_store_short v[4:5], v23
	flat_store_short v[4:5], v24 offset:512
	flat_store_short v[4:5], v25 offset:1024
	;; [unrolled: 1-line block ×6, first 2 shown]
.LBB868_309:
	s_and_saveexec_b64 s[2:3], s[0:1]
	s_cbranch_execz .LBB868_311
; %bb.310:
	v_lshl_add_u64 v[0:1], v[0:1], 1, v[2:3]
	v_add_co_u32_e32 v0, vcc, 0x2000, v0
	s_nop 1
	v_addc_co_u32_e32 v1, vcc, 0, v1, vcc
	flat_store_short v[0:1], v13 offset:3584
	s_endpgm
.LBB868_311:
	s_endpgm
	.section	.rodata,"a",@progbits
	.p2align	6, 0x0
	.amdhsa_kernel _ZN7rocprim17ROCPRIM_400000_NS6detail17trampoline_kernelINS0_14default_configENS1_27scan_by_key_config_selectorIssEEZZNS1_16scan_by_key_implILNS1_25lookback_scan_determinismE0ELb1ES3_N6thrust23THRUST_200600_302600_NS6detail15normal_iteratorINS9_10device_ptrIsEEEESE_SE_sNS9_4plusIsEE19head_flag_predicatesEE10hipError_tPvRmT2_T3_T4_T5_mT6_T7_P12ihipStream_tbENKUlT_T0_E_clISt17integral_constantIbLb1EESY_EEDaST_SU_EUlST_E_NS1_11comp_targetILNS1_3genE5ELNS1_11target_archE942ELNS1_3gpuE9ELNS1_3repE0EEENS1_30default_config_static_selectorELNS0_4arch9wavefront6targetE1EEEvT1_
		.amdhsa_group_segment_fixed_size 13312
		.amdhsa_private_segment_fixed_size 0
		.amdhsa_kernarg_size 112
		.amdhsa_user_sgpr_count 2
		.amdhsa_user_sgpr_dispatch_ptr 0
		.amdhsa_user_sgpr_queue_ptr 0
		.amdhsa_user_sgpr_kernarg_segment_ptr 1
		.amdhsa_user_sgpr_dispatch_id 0
		.amdhsa_user_sgpr_kernarg_preload_length 0
		.amdhsa_user_sgpr_kernarg_preload_offset 0
		.amdhsa_user_sgpr_private_segment_size 0
		.amdhsa_uses_dynamic_stack 0
		.amdhsa_enable_private_segment 0
		.amdhsa_system_sgpr_workgroup_id_x 1
		.amdhsa_system_sgpr_workgroup_id_y 0
		.amdhsa_system_sgpr_workgroup_id_z 0
		.amdhsa_system_sgpr_workgroup_info 0
		.amdhsa_system_vgpr_workitem_id 0
		.amdhsa_next_free_vgpr 62
		.amdhsa_next_free_sgpr 75
		.amdhsa_accum_offset 64
		.amdhsa_reserve_vcc 1
		.amdhsa_float_round_mode_32 0
		.amdhsa_float_round_mode_16_64 0
		.amdhsa_float_denorm_mode_32 3
		.amdhsa_float_denorm_mode_16_64 3
		.amdhsa_dx10_clamp 1
		.amdhsa_ieee_mode 1
		.amdhsa_fp16_overflow 0
		.amdhsa_tg_split 0
		.amdhsa_exception_fp_ieee_invalid_op 0
		.amdhsa_exception_fp_denorm_src 0
		.amdhsa_exception_fp_ieee_div_zero 0
		.amdhsa_exception_fp_ieee_overflow 0
		.amdhsa_exception_fp_ieee_underflow 0
		.amdhsa_exception_fp_ieee_inexact 0
		.amdhsa_exception_int_div_zero 0
	.end_amdhsa_kernel
	.section	.text._ZN7rocprim17ROCPRIM_400000_NS6detail17trampoline_kernelINS0_14default_configENS1_27scan_by_key_config_selectorIssEEZZNS1_16scan_by_key_implILNS1_25lookback_scan_determinismE0ELb1ES3_N6thrust23THRUST_200600_302600_NS6detail15normal_iteratorINS9_10device_ptrIsEEEESE_SE_sNS9_4plusIsEE19head_flag_predicatesEE10hipError_tPvRmT2_T3_T4_T5_mT6_T7_P12ihipStream_tbENKUlT_T0_E_clISt17integral_constantIbLb1EESY_EEDaST_SU_EUlST_E_NS1_11comp_targetILNS1_3genE5ELNS1_11target_archE942ELNS1_3gpuE9ELNS1_3repE0EEENS1_30default_config_static_selectorELNS0_4arch9wavefront6targetE1EEEvT1_,"axG",@progbits,_ZN7rocprim17ROCPRIM_400000_NS6detail17trampoline_kernelINS0_14default_configENS1_27scan_by_key_config_selectorIssEEZZNS1_16scan_by_key_implILNS1_25lookback_scan_determinismE0ELb1ES3_N6thrust23THRUST_200600_302600_NS6detail15normal_iteratorINS9_10device_ptrIsEEEESE_SE_sNS9_4plusIsEE19head_flag_predicatesEE10hipError_tPvRmT2_T3_T4_T5_mT6_T7_P12ihipStream_tbENKUlT_T0_E_clISt17integral_constantIbLb1EESY_EEDaST_SU_EUlST_E_NS1_11comp_targetILNS1_3genE5ELNS1_11target_archE942ELNS1_3gpuE9ELNS1_3repE0EEENS1_30default_config_static_selectorELNS0_4arch9wavefront6targetE1EEEvT1_,comdat
.Lfunc_end868:
	.size	_ZN7rocprim17ROCPRIM_400000_NS6detail17trampoline_kernelINS0_14default_configENS1_27scan_by_key_config_selectorIssEEZZNS1_16scan_by_key_implILNS1_25lookback_scan_determinismE0ELb1ES3_N6thrust23THRUST_200600_302600_NS6detail15normal_iteratorINS9_10device_ptrIsEEEESE_SE_sNS9_4plusIsEE19head_flag_predicatesEE10hipError_tPvRmT2_T3_T4_T5_mT6_T7_P12ihipStream_tbENKUlT_T0_E_clISt17integral_constantIbLb1EESY_EEDaST_SU_EUlST_E_NS1_11comp_targetILNS1_3genE5ELNS1_11target_archE942ELNS1_3gpuE9ELNS1_3repE0EEENS1_30default_config_static_selectorELNS0_4arch9wavefront6targetE1EEEvT1_, .Lfunc_end868-_ZN7rocprim17ROCPRIM_400000_NS6detail17trampoline_kernelINS0_14default_configENS1_27scan_by_key_config_selectorIssEEZZNS1_16scan_by_key_implILNS1_25lookback_scan_determinismE0ELb1ES3_N6thrust23THRUST_200600_302600_NS6detail15normal_iteratorINS9_10device_ptrIsEEEESE_SE_sNS9_4plusIsEE19head_flag_predicatesEE10hipError_tPvRmT2_T3_T4_T5_mT6_T7_P12ihipStream_tbENKUlT_T0_E_clISt17integral_constantIbLb1EESY_EEDaST_SU_EUlST_E_NS1_11comp_targetILNS1_3genE5ELNS1_11target_archE942ELNS1_3gpuE9ELNS1_3repE0EEENS1_30default_config_static_selectorELNS0_4arch9wavefront6targetE1EEEvT1_
                                        ; -- End function
	.section	.AMDGPU.csdata,"",@progbits
; Kernel info:
; codeLenInByte = 16492
; NumSgprs: 81
; NumVgprs: 62
; NumAgprs: 0
; TotalNumVgprs: 62
; ScratchSize: 0
; MemoryBound: 0
; FloatMode: 240
; IeeeMode: 1
; LDSByteSize: 13312 bytes/workgroup (compile time only)
; SGPRBlocks: 10
; VGPRBlocks: 7
; NumSGPRsForWavesPerEU: 81
; NumVGPRsForWavesPerEU: 62
; AccumOffset: 64
; Occupancy: 4
; WaveLimiterHint : 1
; COMPUTE_PGM_RSRC2:SCRATCH_EN: 0
; COMPUTE_PGM_RSRC2:USER_SGPR: 2
; COMPUTE_PGM_RSRC2:TRAP_HANDLER: 0
; COMPUTE_PGM_RSRC2:TGID_X_EN: 1
; COMPUTE_PGM_RSRC2:TGID_Y_EN: 0
; COMPUTE_PGM_RSRC2:TGID_Z_EN: 0
; COMPUTE_PGM_RSRC2:TIDIG_COMP_CNT: 0
; COMPUTE_PGM_RSRC3_GFX90A:ACCUM_OFFSET: 15
; COMPUTE_PGM_RSRC3_GFX90A:TG_SPLIT: 0
	.section	.text._ZN7rocprim17ROCPRIM_400000_NS6detail17trampoline_kernelINS0_14default_configENS1_27scan_by_key_config_selectorIssEEZZNS1_16scan_by_key_implILNS1_25lookback_scan_determinismE0ELb1ES3_N6thrust23THRUST_200600_302600_NS6detail15normal_iteratorINS9_10device_ptrIsEEEESE_SE_sNS9_4plusIsEE19head_flag_predicatesEE10hipError_tPvRmT2_T3_T4_T5_mT6_T7_P12ihipStream_tbENKUlT_T0_E_clISt17integral_constantIbLb1EESY_EEDaST_SU_EUlST_E_NS1_11comp_targetILNS1_3genE4ELNS1_11target_archE910ELNS1_3gpuE8ELNS1_3repE0EEENS1_30default_config_static_selectorELNS0_4arch9wavefront6targetE1EEEvT1_,"axG",@progbits,_ZN7rocprim17ROCPRIM_400000_NS6detail17trampoline_kernelINS0_14default_configENS1_27scan_by_key_config_selectorIssEEZZNS1_16scan_by_key_implILNS1_25lookback_scan_determinismE0ELb1ES3_N6thrust23THRUST_200600_302600_NS6detail15normal_iteratorINS9_10device_ptrIsEEEESE_SE_sNS9_4plusIsEE19head_flag_predicatesEE10hipError_tPvRmT2_T3_T4_T5_mT6_T7_P12ihipStream_tbENKUlT_T0_E_clISt17integral_constantIbLb1EESY_EEDaST_SU_EUlST_E_NS1_11comp_targetILNS1_3genE4ELNS1_11target_archE910ELNS1_3gpuE8ELNS1_3repE0EEENS1_30default_config_static_selectorELNS0_4arch9wavefront6targetE1EEEvT1_,comdat
	.protected	_ZN7rocprim17ROCPRIM_400000_NS6detail17trampoline_kernelINS0_14default_configENS1_27scan_by_key_config_selectorIssEEZZNS1_16scan_by_key_implILNS1_25lookback_scan_determinismE0ELb1ES3_N6thrust23THRUST_200600_302600_NS6detail15normal_iteratorINS9_10device_ptrIsEEEESE_SE_sNS9_4plusIsEE19head_flag_predicatesEE10hipError_tPvRmT2_T3_T4_T5_mT6_T7_P12ihipStream_tbENKUlT_T0_E_clISt17integral_constantIbLb1EESY_EEDaST_SU_EUlST_E_NS1_11comp_targetILNS1_3genE4ELNS1_11target_archE910ELNS1_3gpuE8ELNS1_3repE0EEENS1_30default_config_static_selectorELNS0_4arch9wavefront6targetE1EEEvT1_ ; -- Begin function _ZN7rocprim17ROCPRIM_400000_NS6detail17trampoline_kernelINS0_14default_configENS1_27scan_by_key_config_selectorIssEEZZNS1_16scan_by_key_implILNS1_25lookback_scan_determinismE0ELb1ES3_N6thrust23THRUST_200600_302600_NS6detail15normal_iteratorINS9_10device_ptrIsEEEESE_SE_sNS9_4plusIsEE19head_flag_predicatesEE10hipError_tPvRmT2_T3_T4_T5_mT6_T7_P12ihipStream_tbENKUlT_T0_E_clISt17integral_constantIbLb1EESY_EEDaST_SU_EUlST_E_NS1_11comp_targetILNS1_3genE4ELNS1_11target_archE910ELNS1_3gpuE8ELNS1_3repE0EEENS1_30default_config_static_selectorELNS0_4arch9wavefront6targetE1EEEvT1_
	.globl	_ZN7rocprim17ROCPRIM_400000_NS6detail17trampoline_kernelINS0_14default_configENS1_27scan_by_key_config_selectorIssEEZZNS1_16scan_by_key_implILNS1_25lookback_scan_determinismE0ELb1ES3_N6thrust23THRUST_200600_302600_NS6detail15normal_iteratorINS9_10device_ptrIsEEEESE_SE_sNS9_4plusIsEE19head_flag_predicatesEE10hipError_tPvRmT2_T3_T4_T5_mT6_T7_P12ihipStream_tbENKUlT_T0_E_clISt17integral_constantIbLb1EESY_EEDaST_SU_EUlST_E_NS1_11comp_targetILNS1_3genE4ELNS1_11target_archE910ELNS1_3gpuE8ELNS1_3repE0EEENS1_30default_config_static_selectorELNS0_4arch9wavefront6targetE1EEEvT1_
	.p2align	8
	.type	_ZN7rocprim17ROCPRIM_400000_NS6detail17trampoline_kernelINS0_14default_configENS1_27scan_by_key_config_selectorIssEEZZNS1_16scan_by_key_implILNS1_25lookback_scan_determinismE0ELb1ES3_N6thrust23THRUST_200600_302600_NS6detail15normal_iteratorINS9_10device_ptrIsEEEESE_SE_sNS9_4plusIsEE19head_flag_predicatesEE10hipError_tPvRmT2_T3_T4_T5_mT6_T7_P12ihipStream_tbENKUlT_T0_E_clISt17integral_constantIbLb1EESY_EEDaST_SU_EUlST_E_NS1_11comp_targetILNS1_3genE4ELNS1_11target_archE910ELNS1_3gpuE8ELNS1_3repE0EEENS1_30default_config_static_selectorELNS0_4arch9wavefront6targetE1EEEvT1_,@function
_ZN7rocprim17ROCPRIM_400000_NS6detail17trampoline_kernelINS0_14default_configENS1_27scan_by_key_config_selectorIssEEZZNS1_16scan_by_key_implILNS1_25lookback_scan_determinismE0ELb1ES3_N6thrust23THRUST_200600_302600_NS6detail15normal_iteratorINS9_10device_ptrIsEEEESE_SE_sNS9_4plusIsEE19head_flag_predicatesEE10hipError_tPvRmT2_T3_T4_T5_mT6_T7_P12ihipStream_tbENKUlT_T0_E_clISt17integral_constantIbLb1EESY_EEDaST_SU_EUlST_E_NS1_11comp_targetILNS1_3genE4ELNS1_11target_archE910ELNS1_3gpuE8ELNS1_3repE0EEENS1_30default_config_static_selectorELNS0_4arch9wavefront6targetE1EEEvT1_: ; @_ZN7rocprim17ROCPRIM_400000_NS6detail17trampoline_kernelINS0_14default_configENS1_27scan_by_key_config_selectorIssEEZZNS1_16scan_by_key_implILNS1_25lookback_scan_determinismE0ELb1ES3_N6thrust23THRUST_200600_302600_NS6detail15normal_iteratorINS9_10device_ptrIsEEEESE_SE_sNS9_4plusIsEE19head_flag_predicatesEE10hipError_tPvRmT2_T3_T4_T5_mT6_T7_P12ihipStream_tbENKUlT_T0_E_clISt17integral_constantIbLb1EESY_EEDaST_SU_EUlST_E_NS1_11comp_targetILNS1_3genE4ELNS1_11target_archE910ELNS1_3gpuE8ELNS1_3repE0EEENS1_30default_config_static_selectorELNS0_4arch9wavefront6targetE1EEEvT1_
; %bb.0:
	.section	.rodata,"a",@progbits
	.p2align	6, 0x0
	.amdhsa_kernel _ZN7rocprim17ROCPRIM_400000_NS6detail17trampoline_kernelINS0_14default_configENS1_27scan_by_key_config_selectorIssEEZZNS1_16scan_by_key_implILNS1_25lookback_scan_determinismE0ELb1ES3_N6thrust23THRUST_200600_302600_NS6detail15normal_iteratorINS9_10device_ptrIsEEEESE_SE_sNS9_4plusIsEE19head_flag_predicatesEE10hipError_tPvRmT2_T3_T4_T5_mT6_T7_P12ihipStream_tbENKUlT_T0_E_clISt17integral_constantIbLb1EESY_EEDaST_SU_EUlST_E_NS1_11comp_targetILNS1_3genE4ELNS1_11target_archE910ELNS1_3gpuE8ELNS1_3repE0EEENS1_30default_config_static_selectorELNS0_4arch9wavefront6targetE1EEEvT1_
		.amdhsa_group_segment_fixed_size 0
		.amdhsa_private_segment_fixed_size 0
		.amdhsa_kernarg_size 112
		.amdhsa_user_sgpr_count 2
		.amdhsa_user_sgpr_dispatch_ptr 0
		.amdhsa_user_sgpr_queue_ptr 0
		.amdhsa_user_sgpr_kernarg_segment_ptr 1
		.amdhsa_user_sgpr_dispatch_id 0
		.amdhsa_user_sgpr_kernarg_preload_length 0
		.amdhsa_user_sgpr_kernarg_preload_offset 0
		.amdhsa_user_sgpr_private_segment_size 0
		.amdhsa_uses_dynamic_stack 0
		.amdhsa_enable_private_segment 0
		.amdhsa_system_sgpr_workgroup_id_x 1
		.amdhsa_system_sgpr_workgroup_id_y 0
		.amdhsa_system_sgpr_workgroup_id_z 0
		.amdhsa_system_sgpr_workgroup_info 0
		.amdhsa_system_vgpr_workitem_id 0
		.amdhsa_next_free_vgpr 1
		.amdhsa_next_free_sgpr 0
		.amdhsa_accum_offset 4
		.amdhsa_reserve_vcc 0
		.amdhsa_float_round_mode_32 0
		.amdhsa_float_round_mode_16_64 0
		.amdhsa_float_denorm_mode_32 3
		.amdhsa_float_denorm_mode_16_64 3
		.amdhsa_dx10_clamp 1
		.amdhsa_ieee_mode 1
		.amdhsa_fp16_overflow 0
		.amdhsa_tg_split 0
		.amdhsa_exception_fp_ieee_invalid_op 0
		.amdhsa_exception_fp_denorm_src 0
		.amdhsa_exception_fp_ieee_div_zero 0
		.amdhsa_exception_fp_ieee_overflow 0
		.amdhsa_exception_fp_ieee_underflow 0
		.amdhsa_exception_fp_ieee_inexact 0
		.amdhsa_exception_int_div_zero 0
	.end_amdhsa_kernel
	.section	.text._ZN7rocprim17ROCPRIM_400000_NS6detail17trampoline_kernelINS0_14default_configENS1_27scan_by_key_config_selectorIssEEZZNS1_16scan_by_key_implILNS1_25lookback_scan_determinismE0ELb1ES3_N6thrust23THRUST_200600_302600_NS6detail15normal_iteratorINS9_10device_ptrIsEEEESE_SE_sNS9_4plusIsEE19head_flag_predicatesEE10hipError_tPvRmT2_T3_T4_T5_mT6_T7_P12ihipStream_tbENKUlT_T0_E_clISt17integral_constantIbLb1EESY_EEDaST_SU_EUlST_E_NS1_11comp_targetILNS1_3genE4ELNS1_11target_archE910ELNS1_3gpuE8ELNS1_3repE0EEENS1_30default_config_static_selectorELNS0_4arch9wavefront6targetE1EEEvT1_,"axG",@progbits,_ZN7rocprim17ROCPRIM_400000_NS6detail17trampoline_kernelINS0_14default_configENS1_27scan_by_key_config_selectorIssEEZZNS1_16scan_by_key_implILNS1_25lookback_scan_determinismE0ELb1ES3_N6thrust23THRUST_200600_302600_NS6detail15normal_iteratorINS9_10device_ptrIsEEEESE_SE_sNS9_4plusIsEE19head_flag_predicatesEE10hipError_tPvRmT2_T3_T4_T5_mT6_T7_P12ihipStream_tbENKUlT_T0_E_clISt17integral_constantIbLb1EESY_EEDaST_SU_EUlST_E_NS1_11comp_targetILNS1_3genE4ELNS1_11target_archE910ELNS1_3gpuE8ELNS1_3repE0EEENS1_30default_config_static_selectorELNS0_4arch9wavefront6targetE1EEEvT1_,comdat
.Lfunc_end869:
	.size	_ZN7rocprim17ROCPRIM_400000_NS6detail17trampoline_kernelINS0_14default_configENS1_27scan_by_key_config_selectorIssEEZZNS1_16scan_by_key_implILNS1_25lookback_scan_determinismE0ELb1ES3_N6thrust23THRUST_200600_302600_NS6detail15normal_iteratorINS9_10device_ptrIsEEEESE_SE_sNS9_4plusIsEE19head_flag_predicatesEE10hipError_tPvRmT2_T3_T4_T5_mT6_T7_P12ihipStream_tbENKUlT_T0_E_clISt17integral_constantIbLb1EESY_EEDaST_SU_EUlST_E_NS1_11comp_targetILNS1_3genE4ELNS1_11target_archE910ELNS1_3gpuE8ELNS1_3repE0EEENS1_30default_config_static_selectorELNS0_4arch9wavefront6targetE1EEEvT1_, .Lfunc_end869-_ZN7rocprim17ROCPRIM_400000_NS6detail17trampoline_kernelINS0_14default_configENS1_27scan_by_key_config_selectorIssEEZZNS1_16scan_by_key_implILNS1_25lookback_scan_determinismE0ELb1ES3_N6thrust23THRUST_200600_302600_NS6detail15normal_iteratorINS9_10device_ptrIsEEEESE_SE_sNS9_4plusIsEE19head_flag_predicatesEE10hipError_tPvRmT2_T3_T4_T5_mT6_T7_P12ihipStream_tbENKUlT_T0_E_clISt17integral_constantIbLb1EESY_EEDaST_SU_EUlST_E_NS1_11comp_targetILNS1_3genE4ELNS1_11target_archE910ELNS1_3gpuE8ELNS1_3repE0EEENS1_30default_config_static_selectorELNS0_4arch9wavefront6targetE1EEEvT1_
                                        ; -- End function
	.section	.AMDGPU.csdata,"",@progbits
; Kernel info:
; codeLenInByte = 0
; NumSgprs: 6
; NumVgprs: 0
; NumAgprs: 0
; TotalNumVgprs: 0
; ScratchSize: 0
; MemoryBound: 0
; FloatMode: 240
; IeeeMode: 1
; LDSByteSize: 0 bytes/workgroup (compile time only)
; SGPRBlocks: 0
; VGPRBlocks: 0
; NumSGPRsForWavesPerEU: 6
; NumVGPRsForWavesPerEU: 1
; AccumOffset: 4
; Occupancy: 8
; WaveLimiterHint : 0
; COMPUTE_PGM_RSRC2:SCRATCH_EN: 0
; COMPUTE_PGM_RSRC2:USER_SGPR: 2
; COMPUTE_PGM_RSRC2:TRAP_HANDLER: 0
; COMPUTE_PGM_RSRC2:TGID_X_EN: 1
; COMPUTE_PGM_RSRC2:TGID_Y_EN: 0
; COMPUTE_PGM_RSRC2:TGID_Z_EN: 0
; COMPUTE_PGM_RSRC2:TIDIG_COMP_CNT: 0
; COMPUTE_PGM_RSRC3_GFX90A:ACCUM_OFFSET: 0
; COMPUTE_PGM_RSRC3_GFX90A:TG_SPLIT: 0
	.section	.text._ZN7rocprim17ROCPRIM_400000_NS6detail17trampoline_kernelINS0_14default_configENS1_27scan_by_key_config_selectorIssEEZZNS1_16scan_by_key_implILNS1_25lookback_scan_determinismE0ELb1ES3_N6thrust23THRUST_200600_302600_NS6detail15normal_iteratorINS9_10device_ptrIsEEEESE_SE_sNS9_4plusIsEE19head_flag_predicatesEE10hipError_tPvRmT2_T3_T4_T5_mT6_T7_P12ihipStream_tbENKUlT_T0_E_clISt17integral_constantIbLb1EESY_EEDaST_SU_EUlST_E_NS1_11comp_targetILNS1_3genE3ELNS1_11target_archE908ELNS1_3gpuE7ELNS1_3repE0EEENS1_30default_config_static_selectorELNS0_4arch9wavefront6targetE1EEEvT1_,"axG",@progbits,_ZN7rocprim17ROCPRIM_400000_NS6detail17trampoline_kernelINS0_14default_configENS1_27scan_by_key_config_selectorIssEEZZNS1_16scan_by_key_implILNS1_25lookback_scan_determinismE0ELb1ES3_N6thrust23THRUST_200600_302600_NS6detail15normal_iteratorINS9_10device_ptrIsEEEESE_SE_sNS9_4plusIsEE19head_flag_predicatesEE10hipError_tPvRmT2_T3_T4_T5_mT6_T7_P12ihipStream_tbENKUlT_T0_E_clISt17integral_constantIbLb1EESY_EEDaST_SU_EUlST_E_NS1_11comp_targetILNS1_3genE3ELNS1_11target_archE908ELNS1_3gpuE7ELNS1_3repE0EEENS1_30default_config_static_selectorELNS0_4arch9wavefront6targetE1EEEvT1_,comdat
	.protected	_ZN7rocprim17ROCPRIM_400000_NS6detail17trampoline_kernelINS0_14default_configENS1_27scan_by_key_config_selectorIssEEZZNS1_16scan_by_key_implILNS1_25lookback_scan_determinismE0ELb1ES3_N6thrust23THRUST_200600_302600_NS6detail15normal_iteratorINS9_10device_ptrIsEEEESE_SE_sNS9_4plusIsEE19head_flag_predicatesEE10hipError_tPvRmT2_T3_T4_T5_mT6_T7_P12ihipStream_tbENKUlT_T0_E_clISt17integral_constantIbLb1EESY_EEDaST_SU_EUlST_E_NS1_11comp_targetILNS1_3genE3ELNS1_11target_archE908ELNS1_3gpuE7ELNS1_3repE0EEENS1_30default_config_static_selectorELNS0_4arch9wavefront6targetE1EEEvT1_ ; -- Begin function _ZN7rocprim17ROCPRIM_400000_NS6detail17trampoline_kernelINS0_14default_configENS1_27scan_by_key_config_selectorIssEEZZNS1_16scan_by_key_implILNS1_25lookback_scan_determinismE0ELb1ES3_N6thrust23THRUST_200600_302600_NS6detail15normal_iteratorINS9_10device_ptrIsEEEESE_SE_sNS9_4plusIsEE19head_flag_predicatesEE10hipError_tPvRmT2_T3_T4_T5_mT6_T7_P12ihipStream_tbENKUlT_T0_E_clISt17integral_constantIbLb1EESY_EEDaST_SU_EUlST_E_NS1_11comp_targetILNS1_3genE3ELNS1_11target_archE908ELNS1_3gpuE7ELNS1_3repE0EEENS1_30default_config_static_selectorELNS0_4arch9wavefront6targetE1EEEvT1_
	.globl	_ZN7rocprim17ROCPRIM_400000_NS6detail17trampoline_kernelINS0_14default_configENS1_27scan_by_key_config_selectorIssEEZZNS1_16scan_by_key_implILNS1_25lookback_scan_determinismE0ELb1ES3_N6thrust23THRUST_200600_302600_NS6detail15normal_iteratorINS9_10device_ptrIsEEEESE_SE_sNS9_4plusIsEE19head_flag_predicatesEE10hipError_tPvRmT2_T3_T4_T5_mT6_T7_P12ihipStream_tbENKUlT_T0_E_clISt17integral_constantIbLb1EESY_EEDaST_SU_EUlST_E_NS1_11comp_targetILNS1_3genE3ELNS1_11target_archE908ELNS1_3gpuE7ELNS1_3repE0EEENS1_30default_config_static_selectorELNS0_4arch9wavefront6targetE1EEEvT1_
	.p2align	8
	.type	_ZN7rocprim17ROCPRIM_400000_NS6detail17trampoline_kernelINS0_14default_configENS1_27scan_by_key_config_selectorIssEEZZNS1_16scan_by_key_implILNS1_25lookback_scan_determinismE0ELb1ES3_N6thrust23THRUST_200600_302600_NS6detail15normal_iteratorINS9_10device_ptrIsEEEESE_SE_sNS9_4plusIsEE19head_flag_predicatesEE10hipError_tPvRmT2_T3_T4_T5_mT6_T7_P12ihipStream_tbENKUlT_T0_E_clISt17integral_constantIbLb1EESY_EEDaST_SU_EUlST_E_NS1_11comp_targetILNS1_3genE3ELNS1_11target_archE908ELNS1_3gpuE7ELNS1_3repE0EEENS1_30default_config_static_selectorELNS0_4arch9wavefront6targetE1EEEvT1_,@function
_ZN7rocprim17ROCPRIM_400000_NS6detail17trampoline_kernelINS0_14default_configENS1_27scan_by_key_config_selectorIssEEZZNS1_16scan_by_key_implILNS1_25lookback_scan_determinismE0ELb1ES3_N6thrust23THRUST_200600_302600_NS6detail15normal_iteratorINS9_10device_ptrIsEEEESE_SE_sNS9_4plusIsEE19head_flag_predicatesEE10hipError_tPvRmT2_T3_T4_T5_mT6_T7_P12ihipStream_tbENKUlT_T0_E_clISt17integral_constantIbLb1EESY_EEDaST_SU_EUlST_E_NS1_11comp_targetILNS1_3genE3ELNS1_11target_archE908ELNS1_3gpuE7ELNS1_3repE0EEENS1_30default_config_static_selectorELNS0_4arch9wavefront6targetE1EEEvT1_: ; @_ZN7rocprim17ROCPRIM_400000_NS6detail17trampoline_kernelINS0_14default_configENS1_27scan_by_key_config_selectorIssEEZZNS1_16scan_by_key_implILNS1_25lookback_scan_determinismE0ELb1ES3_N6thrust23THRUST_200600_302600_NS6detail15normal_iteratorINS9_10device_ptrIsEEEESE_SE_sNS9_4plusIsEE19head_flag_predicatesEE10hipError_tPvRmT2_T3_T4_T5_mT6_T7_P12ihipStream_tbENKUlT_T0_E_clISt17integral_constantIbLb1EESY_EEDaST_SU_EUlST_E_NS1_11comp_targetILNS1_3genE3ELNS1_11target_archE908ELNS1_3gpuE7ELNS1_3repE0EEENS1_30default_config_static_selectorELNS0_4arch9wavefront6targetE1EEEvT1_
; %bb.0:
	.section	.rodata,"a",@progbits
	.p2align	6, 0x0
	.amdhsa_kernel _ZN7rocprim17ROCPRIM_400000_NS6detail17trampoline_kernelINS0_14default_configENS1_27scan_by_key_config_selectorIssEEZZNS1_16scan_by_key_implILNS1_25lookback_scan_determinismE0ELb1ES3_N6thrust23THRUST_200600_302600_NS6detail15normal_iteratorINS9_10device_ptrIsEEEESE_SE_sNS9_4plusIsEE19head_flag_predicatesEE10hipError_tPvRmT2_T3_T4_T5_mT6_T7_P12ihipStream_tbENKUlT_T0_E_clISt17integral_constantIbLb1EESY_EEDaST_SU_EUlST_E_NS1_11comp_targetILNS1_3genE3ELNS1_11target_archE908ELNS1_3gpuE7ELNS1_3repE0EEENS1_30default_config_static_selectorELNS0_4arch9wavefront6targetE1EEEvT1_
		.amdhsa_group_segment_fixed_size 0
		.amdhsa_private_segment_fixed_size 0
		.amdhsa_kernarg_size 112
		.amdhsa_user_sgpr_count 2
		.amdhsa_user_sgpr_dispatch_ptr 0
		.amdhsa_user_sgpr_queue_ptr 0
		.amdhsa_user_sgpr_kernarg_segment_ptr 1
		.amdhsa_user_sgpr_dispatch_id 0
		.amdhsa_user_sgpr_kernarg_preload_length 0
		.amdhsa_user_sgpr_kernarg_preload_offset 0
		.amdhsa_user_sgpr_private_segment_size 0
		.amdhsa_uses_dynamic_stack 0
		.amdhsa_enable_private_segment 0
		.amdhsa_system_sgpr_workgroup_id_x 1
		.amdhsa_system_sgpr_workgroup_id_y 0
		.amdhsa_system_sgpr_workgroup_id_z 0
		.amdhsa_system_sgpr_workgroup_info 0
		.amdhsa_system_vgpr_workitem_id 0
		.amdhsa_next_free_vgpr 1
		.amdhsa_next_free_sgpr 0
		.amdhsa_accum_offset 4
		.amdhsa_reserve_vcc 0
		.amdhsa_float_round_mode_32 0
		.amdhsa_float_round_mode_16_64 0
		.amdhsa_float_denorm_mode_32 3
		.amdhsa_float_denorm_mode_16_64 3
		.amdhsa_dx10_clamp 1
		.amdhsa_ieee_mode 1
		.amdhsa_fp16_overflow 0
		.amdhsa_tg_split 0
		.amdhsa_exception_fp_ieee_invalid_op 0
		.amdhsa_exception_fp_denorm_src 0
		.amdhsa_exception_fp_ieee_div_zero 0
		.amdhsa_exception_fp_ieee_overflow 0
		.amdhsa_exception_fp_ieee_underflow 0
		.amdhsa_exception_fp_ieee_inexact 0
		.amdhsa_exception_int_div_zero 0
	.end_amdhsa_kernel
	.section	.text._ZN7rocprim17ROCPRIM_400000_NS6detail17trampoline_kernelINS0_14default_configENS1_27scan_by_key_config_selectorIssEEZZNS1_16scan_by_key_implILNS1_25lookback_scan_determinismE0ELb1ES3_N6thrust23THRUST_200600_302600_NS6detail15normal_iteratorINS9_10device_ptrIsEEEESE_SE_sNS9_4plusIsEE19head_flag_predicatesEE10hipError_tPvRmT2_T3_T4_T5_mT6_T7_P12ihipStream_tbENKUlT_T0_E_clISt17integral_constantIbLb1EESY_EEDaST_SU_EUlST_E_NS1_11comp_targetILNS1_3genE3ELNS1_11target_archE908ELNS1_3gpuE7ELNS1_3repE0EEENS1_30default_config_static_selectorELNS0_4arch9wavefront6targetE1EEEvT1_,"axG",@progbits,_ZN7rocprim17ROCPRIM_400000_NS6detail17trampoline_kernelINS0_14default_configENS1_27scan_by_key_config_selectorIssEEZZNS1_16scan_by_key_implILNS1_25lookback_scan_determinismE0ELb1ES3_N6thrust23THRUST_200600_302600_NS6detail15normal_iteratorINS9_10device_ptrIsEEEESE_SE_sNS9_4plusIsEE19head_flag_predicatesEE10hipError_tPvRmT2_T3_T4_T5_mT6_T7_P12ihipStream_tbENKUlT_T0_E_clISt17integral_constantIbLb1EESY_EEDaST_SU_EUlST_E_NS1_11comp_targetILNS1_3genE3ELNS1_11target_archE908ELNS1_3gpuE7ELNS1_3repE0EEENS1_30default_config_static_selectorELNS0_4arch9wavefront6targetE1EEEvT1_,comdat
.Lfunc_end870:
	.size	_ZN7rocprim17ROCPRIM_400000_NS6detail17trampoline_kernelINS0_14default_configENS1_27scan_by_key_config_selectorIssEEZZNS1_16scan_by_key_implILNS1_25lookback_scan_determinismE0ELb1ES3_N6thrust23THRUST_200600_302600_NS6detail15normal_iteratorINS9_10device_ptrIsEEEESE_SE_sNS9_4plusIsEE19head_flag_predicatesEE10hipError_tPvRmT2_T3_T4_T5_mT6_T7_P12ihipStream_tbENKUlT_T0_E_clISt17integral_constantIbLb1EESY_EEDaST_SU_EUlST_E_NS1_11comp_targetILNS1_3genE3ELNS1_11target_archE908ELNS1_3gpuE7ELNS1_3repE0EEENS1_30default_config_static_selectorELNS0_4arch9wavefront6targetE1EEEvT1_, .Lfunc_end870-_ZN7rocprim17ROCPRIM_400000_NS6detail17trampoline_kernelINS0_14default_configENS1_27scan_by_key_config_selectorIssEEZZNS1_16scan_by_key_implILNS1_25lookback_scan_determinismE0ELb1ES3_N6thrust23THRUST_200600_302600_NS6detail15normal_iteratorINS9_10device_ptrIsEEEESE_SE_sNS9_4plusIsEE19head_flag_predicatesEE10hipError_tPvRmT2_T3_T4_T5_mT6_T7_P12ihipStream_tbENKUlT_T0_E_clISt17integral_constantIbLb1EESY_EEDaST_SU_EUlST_E_NS1_11comp_targetILNS1_3genE3ELNS1_11target_archE908ELNS1_3gpuE7ELNS1_3repE0EEENS1_30default_config_static_selectorELNS0_4arch9wavefront6targetE1EEEvT1_
                                        ; -- End function
	.section	.AMDGPU.csdata,"",@progbits
; Kernel info:
; codeLenInByte = 0
; NumSgprs: 6
; NumVgprs: 0
; NumAgprs: 0
; TotalNumVgprs: 0
; ScratchSize: 0
; MemoryBound: 0
; FloatMode: 240
; IeeeMode: 1
; LDSByteSize: 0 bytes/workgroup (compile time only)
; SGPRBlocks: 0
; VGPRBlocks: 0
; NumSGPRsForWavesPerEU: 6
; NumVGPRsForWavesPerEU: 1
; AccumOffset: 4
; Occupancy: 8
; WaveLimiterHint : 0
; COMPUTE_PGM_RSRC2:SCRATCH_EN: 0
; COMPUTE_PGM_RSRC2:USER_SGPR: 2
; COMPUTE_PGM_RSRC2:TRAP_HANDLER: 0
; COMPUTE_PGM_RSRC2:TGID_X_EN: 1
; COMPUTE_PGM_RSRC2:TGID_Y_EN: 0
; COMPUTE_PGM_RSRC2:TGID_Z_EN: 0
; COMPUTE_PGM_RSRC2:TIDIG_COMP_CNT: 0
; COMPUTE_PGM_RSRC3_GFX90A:ACCUM_OFFSET: 0
; COMPUTE_PGM_RSRC3_GFX90A:TG_SPLIT: 0
	.section	.text._ZN7rocprim17ROCPRIM_400000_NS6detail17trampoline_kernelINS0_14default_configENS1_27scan_by_key_config_selectorIssEEZZNS1_16scan_by_key_implILNS1_25lookback_scan_determinismE0ELb1ES3_N6thrust23THRUST_200600_302600_NS6detail15normal_iteratorINS9_10device_ptrIsEEEESE_SE_sNS9_4plusIsEE19head_flag_predicatesEE10hipError_tPvRmT2_T3_T4_T5_mT6_T7_P12ihipStream_tbENKUlT_T0_E_clISt17integral_constantIbLb1EESY_EEDaST_SU_EUlST_E_NS1_11comp_targetILNS1_3genE2ELNS1_11target_archE906ELNS1_3gpuE6ELNS1_3repE0EEENS1_30default_config_static_selectorELNS0_4arch9wavefront6targetE1EEEvT1_,"axG",@progbits,_ZN7rocprim17ROCPRIM_400000_NS6detail17trampoline_kernelINS0_14default_configENS1_27scan_by_key_config_selectorIssEEZZNS1_16scan_by_key_implILNS1_25lookback_scan_determinismE0ELb1ES3_N6thrust23THRUST_200600_302600_NS6detail15normal_iteratorINS9_10device_ptrIsEEEESE_SE_sNS9_4plusIsEE19head_flag_predicatesEE10hipError_tPvRmT2_T3_T4_T5_mT6_T7_P12ihipStream_tbENKUlT_T0_E_clISt17integral_constantIbLb1EESY_EEDaST_SU_EUlST_E_NS1_11comp_targetILNS1_3genE2ELNS1_11target_archE906ELNS1_3gpuE6ELNS1_3repE0EEENS1_30default_config_static_selectorELNS0_4arch9wavefront6targetE1EEEvT1_,comdat
	.protected	_ZN7rocprim17ROCPRIM_400000_NS6detail17trampoline_kernelINS0_14default_configENS1_27scan_by_key_config_selectorIssEEZZNS1_16scan_by_key_implILNS1_25lookback_scan_determinismE0ELb1ES3_N6thrust23THRUST_200600_302600_NS6detail15normal_iteratorINS9_10device_ptrIsEEEESE_SE_sNS9_4plusIsEE19head_flag_predicatesEE10hipError_tPvRmT2_T3_T4_T5_mT6_T7_P12ihipStream_tbENKUlT_T0_E_clISt17integral_constantIbLb1EESY_EEDaST_SU_EUlST_E_NS1_11comp_targetILNS1_3genE2ELNS1_11target_archE906ELNS1_3gpuE6ELNS1_3repE0EEENS1_30default_config_static_selectorELNS0_4arch9wavefront6targetE1EEEvT1_ ; -- Begin function _ZN7rocprim17ROCPRIM_400000_NS6detail17trampoline_kernelINS0_14default_configENS1_27scan_by_key_config_selectorIssEEZZNS1_16scan_by_key_implILNS1_25lookback_scan_determinismE0ELb1ES3_N6thrust23THRUST_200600_302600_NS6detail15normal_iteratorINS9_10device_ptrIsEEEESE_SE_sNS9_4plusIsEE19head_flag_predicatesEE10hipError_tPvRmT2_T3_T4_T5_mT6_T7_P12ihipStream_tbENKUlT_T0_E_clISt17integral_constantIbLb1EESY_EEDaST_SU_EUlST_E_NS1_11comp_targetILNS1_3genE2ELNS1_11target_archE906ELNS1_3gpuE6ELNS1_3repE0EEENS1_30default_config_static_selectorELNS0_4arch9wavefront6targetE1EEEvT1_
	.globl	_ZN7rocprim17ROCPRIM_400000_NS6detail17trampoline_kernelINS0_14default_configENS1_27scan_by_key_config_selectorIssEEZZNS1_16scan_by_key_implILNS1_25lookback_scan_determinismE0ELb1ES3_N6thrust23THRUST_200600_302600_NS6detail15normal_iteratorINS9_10device_ptrIsEEEESE_SE_sNS9_4plusIsEE19head_flag_predicatesEE10hipError_tPvRmT2_T3_T4_T5_mT6_T7_P12ihipStream_tbENKUlT_T0_E_clISt17integral_constantIbLb1EESY_EEDaST_SU_EUlST_E_NS1_11comp_targetILNS1_3genE2ELNS1_11target_archE906ELNS1_3gpuE6ELNS1_3repE0EEENS1_30default_config_static_selectorELNS0_4arch9wavefront6targetE1EEEvT1_
	.p2align	8
	.type	_ZN7rocprim17ROCPRIM_400000_NS6detail17trampoline_kernelINS0_14default_configENS1_27scan_by_key_config_selectorIssEEZZNS1_16scan_by_key_implILNS1_25lookback_scan_determinismE0ELb1ES3_N6thrust23THRUST_200600_302600_NS6detail15normal_iteratorINS9_10device_ptrIsEEEESE_SE_sNS9_4plusIsEE19head_flag_predicatesEE10hipError_tPvRmT2_T3_T4_T5_mT6_T7_P12ihipStream_tbENKUlT_T0_E_clISt17integral_constantIbLb1EESY_EEDaST_SU_EUlST_E_NS1_11comp_targetILNS1_3genE2ELNS1_11target_archE906ELNS1_3gpuE6ELNS1_3repE0EEENS1_30default_config_static_selectorELNS0_4arch9wavefront6targetE1EEEvT1_,@function
_ZN7rocprim17ROCPRIM_400000_NS6detail17trampoline_kernelINS0_14default_configENS1_27scan_by_key_config_selectorIssEEZZNS1_16scan_by_key_implILNS1_25lookback_scan_determinismE0ELb1ES3_N6thrust23THRUST_200600_302600_NS6detail15normal_iteratorINS9_10device_ptrIsEEEESE_SE_sNS9_4plusIsEE19head_flag_predicatesEE10hipError_tPvRmT2_T3_T4_T5_mT6_T7_P12ihipStream_tbENKUlT_T0_E_clISt17integral_constantIbLb1EESY_EEDaST_SU_EUlST_E_NS1_11comp_targetILNS1_3genE2ELNS1_11target_archE906ELNS1_3gpuE6ELNS1_3repE0EEENS1_30default_config_static_selectorELNS0_4arch9wavefront6targetE1EEEvT1_: ; @_ZN7rocprim17ROCPRIM_400000_NS6detail17trampoline_kernelINS0_14default_configENS1_27scan_by_key_config_selectorIssEEZZNS1_16scan_by_key_implILNS1_25lookback_scan_determinismE0ELb1ES3_N6thrust23THRUST_200600_302600_NS6detail15normal_iteratorINS9_10device_ptrIsEEEESE_SE_sNS9_4plusIsEE19head_flag_predicatesEE10hipError_tPvRmT2_T3_T4_T5_mT6_T7_P12ihipStream_tbENKUlT_T0_E_clISt17integral_constantIbLb1EESY_EEDaST_SU_EUlST_E_NS1_11comp_targetILNS1_3genE2ELNS1_11target_archE906ELNS1_3gpuE6ELNS1_3repE0EEENS1_30default_config_static_selectorELNS0_4arch9wavefront6targetE1EEEvT1_
; %bb.0:
	.section	.rodata,"a",@progbits
	.p2align	6, 0x0
	.amdhsa_kernel _ZN7rocprim17ROCPRIM_400000_NS6detail17trampoline_kernelINS0_14default_configENS1_27scan_by_key_config_selectorIssEEZZNS1_16scan_by_key_implILNS1_25lookback_scan_determinismE0ELb1ES3_N6thrust23THRUST_200600_302600_NS6detail15normal_iteratorINS9_10device_ptrIsEEEESE_SE_sNS9_4plusIsEE19head_flag_predicatesEE10hipError_tPvRmT2_T3_T4_T5_mT6_T7_P12ihipStream_tbENKUlT_T0_E_clISt17integral_constantIbLb1EESY_EEDaST_SU_EUlST_E_NS1_11comp_targetILNS1_3genE2ELNS1_11target_archE906ELNS1_3gpuE6ELNS1_3repE0EEENS1_30default_config_static_selectorELNS0_4arch9wavefront6targetE1EEEvT1_
		.amdhsa_group_segment_fixed_size 0
		.amdhsa_private_segment_fixed_size 0
		.amdhsa_kernarg_size 112
		.amdhsa_user_sgpr_count 2
		.amdhsa_user_sgpr_dispatch_ptr 0
		.amdhsa_user_sgpr_queue_ptr 0
		.amdhsa_user_sgpr_kernarg_segment_ptr 1
		.amdhsa_user_sgpr_dispatch_id 0
		.amdhsa_user_sgpr_kernarg_preload_length 0
		.amdhsa_user_sgpr_kernarg_preload_offset 0
		.amdhsa_user_sgpr_private_segment_size 0
		.amdhsa_uses_dynamic_stack 0
		.amdhsa_enable_private_segment 0
		.amdhsa_system_sgpr_workgroup_id_x 1
		.amdhsa_system_sgpr_workgroup_id_y 0
		.amdhsa_system_sgpr_workgroup_id_z 0
		.amdhsa_system_sgpr_workgroup_info 0
		.amdhsa_system_vgpr_workitem_id 0
		.amdhsa_next_free_vgpr 1
		.amdhsa_next_free_sgpr 0
		.amdhsa_accum_offset 4
		.amdhsa_reserve_vcc 0
		.amdhsa_float_round_mode_32 0
		.amdhsa_float_round_mode_16_64 0
		.amdhsa_float_denorm_mode_32 3
		.amdhsa_float_denorm_mode_16_64 3
		.amdhsa_dx10_clamp 1
		.amdhsa_ieee_mode 1
		.amdhsa_fp16_overflow 0
		.amdhsa_tg_split 0
		.amdhsa_exception_fp_ieee_invalid_op 0
		.amdhsa_exception_fp_denorm_src 0
		.amdhsa_exception_fp_ieee_div_zero 0
		.amdhsa_exception_fp_ieee_overflow 0
		.amdhsa_exception_fp_ieee_underflow 0
		.amdhsa_exception_fp_ieee_inexact 0
		.amdhsa_exception_int_div_zero 0
	.end_amdhsa_kernel
	.section	.text._ZN7rocprim17ROCPRIM_400000_NS6detail17trampoline_kernelINS0_14default_configENS1_27scan_by_key_config_selectorIssEEZZNS1_16scan_by_key_implILNS1_25lookback_scan_determinismE0ELb1ES3_N6thrust23THRUST_200600_302600_NS6detail15normal_iteratorINS9_10device_ptrIsEEEESE_SE_sNS9_4plusIsEE19head_flag_predicatesEE10hipError_tPvRmT2_T3_T4_T5_mT6_T7_P12ihipStream_tbENKUlT_T0_E_clISt17integral_constantIbLb1EESY_EEDaST_SU_EUlST_E_NS1_11comp_targetILNS1_3genE2ELNS1_11target_archE906ELNS1_3gpuE6ELNS1_3repE0EEENS1_30default_config_static_selectorELNS0_4arch9wavefront6targetE1EEEvT1_,"axG",@progbits,_ZN7rocprim17ROCPRIM_400000_NS6detail17trampoline_kernelINS0_14default_configENS1_27scan_by_key_config_selectorIssEEZZNS1_16scan_by_key_implILNS1_25lookback_scan_determinismE0ELb1ES3_N6thrust23THRUST_200600_302600_NS6detail15normal_iteratorINS9_10device_ptrIsEEEESE_SE_sNS9_4plusIsEE19head_flag_predicatesEE10hipError_tPvRmT2_T3_T4_T5_mT6_T7_P12ihipStream_tbENKUlT_T0_E_clISt17integral_constantIbLb1EESY_EEDaST_SU_EUlST_E_NS1_11comp_targetILNS1_3genE2ELNS1_11target_archE906ELNS1_3gpuE6ELNS1_3repE0EEENS1_30default_config_static_selectorELNS0_4arch9wavefront6targetE1EEEvT1_,comdat
.Lfunc_end871:
	.size	_ZN7rocprim17ROCPRIM_400000_NS6detail17trampoline_kernelINS0_14default_configENS1_27scan_by_key_config_selectorIssEEZZNS1_16scan_by_key_implILNS1_25lookback_scan_determinismE0ELb1ES3_N6thrust23THRUST_200600_302600_NS6detail15normal_iteratorINS9_10device_ptrIsEEEESE_SE_sNS9_4plusIsEE19head_flag_predicatesEE10hipError_tPvRmT2_T3_T4_T5_mT6_T7_P12ihipStream_tbENKUlT_T0_E_clISt17integral_constantIbLb1EESY_EEDaST_SU_EUlST_E_NS1_11comp_targetILNS1_3genE2ELNS1_11target_archE906ELNS1_3gpuE6ELNS1_3repE0EEENS1_30default_config_static_selectorELNS0_4arch9wavefront6targetE1EEEvT1_, .Lfunc_end871-_ZN7rocprim17ROCPRIM_400000_NS6detail17trampoline_kernelINS0_14default_configENS1_27scan_by_key_config_selectorIssEEZZNS1_16scan_by_key_implILNS1_25lookback_scan_determinismE0ELb1ES3_N6thrust23THRUST_200600_302600_NS6detail15normal_iteratorINS9_10device_ptrIsEEEESE_SE_sNS9_4plusIsEE19head_flag_predicatesEE10hipError_tPvRmT2_T3_T4_T5_mT6_T7_P12ihipStream_tbENKUlT_T0_E_clISt17integral_constantIbLb1EESY_EEDaST_SU_EUlST_E_NS1_11comp_targetILNS1_3genE2ELNS1_11target_archE906ELNS1_3gpuE6ELNS1_3repE0EEENS1_30default_config_static_selectorELNS0_4arch9wavefront6targetE1EEEvT1_
                                        ; -- End function
	.section	.AMDGPU.csdata,"",@progbits
; Kernel info:
; codeLenInByte = 0
; NumSgprs: 6
; NumVgprs: 0
; NumAgprs: 0
; TotalNumVgprs: 0
; ScratchSize: 0
; MemoryBound: 0
; FloatMode: 240
; IeeeMode: 1
; LDSByteSize: 0 bytes/workgroup (compile time only)
; SGPRBlocks: 0
; VGPRBlocks: 0
; NumSGPRsForWavesPerEU: 6
; NumVGPRsForWavesPerEU: 1
; AccumOffset: 4
; Occupancy: 8
; WaveLimiterHint : 0
; COMPUTE_PGM_RSRC2:SCRATCH_EN: 0
; COMPUTE_PGM_RSRC2:USER_SGPR: 2
; COMPUTE_PGM_RSRC2:TRAP_HANDLER: 0
; COMPUTE_PGM_RSRC2:TGID_X_EN: 1
; COMPUTE_PGM_RSRC2:TGID_Y_EN: 0
; COMPUTE_PGM_RSRC2:TGID_Z_EN: 0
; COMPUTE_PGM_RSRC2:TIDIG_COMP_CNT: 0
; COMPUTE_PGM_RSRC3_GFX90A:ACCUM_OFFSET: 0
; COMPUTE_PGM_RSRC3_GFX90A:TG_SPLIT: 0
	.section	.text._ZN7rocprim17ROCPRIM_400000_NS6detail17trampoline_kernelINS0_14default_configENS1_27scan_by_key_config_selectorIssEEZZNS1_16scan_by_key_implILNS1_25lookback_scan_determinismE0ELb1ES3_N6thrust23THRUST_200600_302600_NS6detail15normal_iteratorINS9_10device_ptrIsEEEESE_SE_sNS9_4plusIsEE19head_flag_predicatesEE10hipError_tPvRmT2_T3_T4_T5_mT6_T7_P12ihipStream_tbENKUlT_T0_E_clISt17integral_constantIbLb1EESY_EEDaST_SU_EUlST_E_NS1_11comp_targetILNS1_3genE10ELNS1_11target_archE1200ELNS1_3gpuE4ELNS1_3repE0EEENS1_30default_config_static_selectorELNS0_4arch9wavefront6targetE1EEEvT1_,"axG",@progbits,_ZN7rocprim17ROCPRIM_400000_NS6detail17trampoline_kernelINS0_14default_configENS1_27scan_by_key_config_selectorIssEEZZNS1_16scan_by_key_implILNS1_25lookback_scan_determinismE0ELb1ES3_N6thrust23THRUST_200600_302600_NS6detail15normal_iteratorINS9_10device_ptrIsEEEESE_SE_sNS9_4plusIsEE19head_flag_predicatesEE10hipError_tPvRmT2_T3_T4_T5_mT6_T7_P12ihipStream_tbENKUlT_T0_E_clISt17integral_constantIbLb1EESY_EEDaST_SU_EUlST_E_NS1_11comp_targetILNS1_3genE10ELNS1_11target_archE1200ELNS1_3gpuE4ELNS1_3repE0EEENS1_30default_config_static_selectorELNS0_4arch9wavefront6targetE1EEEvT1_,comdat
	.protected	_ZN7rocprim17ROCPRIM_400000_NS6detail17trampoline_kernelINS0_14default_configENS1_27scan_by_key_config_selectorIssEEZZNS1_16scan_by_key_implILNS1_25lookback_scan_determinismE0ELb1ES3_N6thrust23THRUST_200600_302600_NS6detail15normal_iteratorINS9_10device_ptrIsEEEESE_SE_sNS9_4plusIsEE19head_flag_predicatesEE10hipError_tPvRmT2_T3_T4_T5_mT6_T7_P12ihipStream_tbENKUlT_T0_E_clISt17integral_constantIbLb1EESY_EEDaST_SU_EUlST_E_NS1_11comp_targetILNS1_3genE10ELNS1_11target_archE1200ELNS1_3gpuE4ELNS1_3repE0EEENS1_30default_config_static_selectorELNS0_4arch9wavefront6targetE1EEEvT1_ ; -- Begin function _ZN7rocprim17ROCPRIM_400000_NS6detail17trampoline_kernelINS0_14default_configENS1_27scan_by_key_config_selectorIssEEZZNS1_16scan_by_key_implILNS1_25lookback_scan_determinismE0ELb1ES3_N6thrust23THRUST_200600_302600_NS6detail15normal_iteratorINS9_10device_ptrIsEEEESE_SE_sNS9_4plusIsEE19head_flag_predicatesEE10hipError_tPvRmT2_T3_T4_T5_mT6_T7_P12ihipStream_tbENKUlT_T0_E_clISt17integral_constantIbLb1EESY_EEDaST_SU_EUlST_E_NS1_11comp_targetILNS1_3genE10ELNS1_11target_archE1200ELNS1_3gpuE4ELNS1_3repE0EEENS1_30default_config_static_selectorELNS0_4arch9wavefront6targetE1EEEvT1_
	.globl	_ZN7rocprim17ROCPRIM_400000_NS6detail17trampoline_kernelINS0_14default_configENS1_27scan_by_key_config_selectorIssEEZZNS1_16scan_by_key_implILNS1_25lookback_scan_determinismE0ELb1ES3_N6thrust23THRUST_200600_302600_NS6detail15normal_iteratorINS9_10device_ptrIsEEEESE_SE_sNS9_4plusIsEE19head_flag_predicatesEE10hipError_tPvRmT2_T3_T4_T5_mT6_T7_P12ihipStream_tbENKUlT_T0_E_clISt17integral_constantIbLb1EESY_EEDaST_SU_EUlST_E_NS1_11comp_targetILNS1_3genE10ELNS1_11target_archE1200ELNS1_3gpuE4ELNS1_3repE0EEENS1_30default_config_static_selectorELNS0_4arch9wavefront6targetE1EEEvT1_
	.p2align	8
	.type	_ZN7rocprim17ROCPRIM_400000_NS6detail17trampoline_kernelINS0_14default_configENS1_27scan_by_key_config_selectorIssEEZZNS1_16scan_by_key_implILNS1_25lookback_scan_determinismE0ELb1ES3_N6thrust23THRUST_200600_302600_NS6detail15normal_iteratorINS9_10device_ptrIsEEEESE_SE_sNS9_4plusIsEE19head_flag_predicatesEE10hipError_tPvRmT2_T3_T4_T5_mT6_T7_P12ihipStream_tbENKUlT_T0_E_clISt17integral_constantIbLb1EESY_EEDaST_SU_EUlST_E_NS1_11comp_targetILNS1_3genE10ELNS1_11target_archE1200ELNS1_3gpuE4ELNS1_3repE0EEENS1_30default_config_static_selectorELNS0_4arch9wavefront6targetE1EEEvT1_,@function
_ZN7rocprim17ROCPRIM_400000_NS6detail17trampoline_kernelINS0_14default_configENS1_27scan_by_key_config_selectorIssEEZZNS1_16scan_by_key_implILNS1_25lookback_scan_determinismE0ELb1ES3_N6thrust23THRUST_200600_302600_NS6detail15normal_iteratorINS9_10device_ptrIsEEEESE_SE_sNS9_4plusIsEE19head_flag_predicatesEE10hipError_tPvRmT2_T3_T4_T5_mT6_T7_P12ihipStream_tbENKUlT_T0_E_clISt17integral_constantIbLb1EESY_EEDaST_SU_EUlST_E_NS1_11comp_targetILNS1_3genE10ELNS1_11target_archE1200ELNS1_3gpuE4ELNS1_3repE0EEENS1_30default_config_static_selectorELNS0_4arch9wavefront6targetE1EEEvT1_: ; @_ZN7rocprim17ROCPRIM_400000_NS6detail17trampoline_kernelINS0_14default_configENS1_27scan_by_key_config_selectorIssEEZZNS1_16scan_by_key_implILNS1_25lookback_scan_determinismE0ELb1ES3_N6thrust23THRUST_200600_302600_NS6detail15normal_iteratorINS9_10device_ptrIsEEEESE_SE_sNS9_4plusIsEE19head_flag_predicatesEE10hipError_tPvRmT2_T3_T4_T5_mT6_T7_P12ihipStream_tbENKUlT_T0_E_clISt17integral_constantIbLb1EESY_EEDaST_SU_EUlST_E_NS1_11comp_targetILNS1_3genE10ELNS1_11target_archE1200ELNS1_3gpuE4ELNS1_3repE0EEENS1_30default_config_static_selectorELNS0_4arch9wavefront6targetE1EEEvT1_
; %bb.0:
	.section	.rodata,"a",@progbits
	.p2align	6, 0x0
	.amdhsa_kernel _ZN7rocprim17ROCPRIM_400000_NS6detail17trampoline_kernelINS0_14default_configENS1_27scan_by_key_config_selectorIssEEZZNS1_16scan_by_key_implILNS1_25lookback_scan_determinismE0ELb1ES3_N6thrust23THRUST_200600_302600_NS6detail15normal_iteratorINS9_10device_ptrIsEEEESE_SE_sNS9_4plusIsEE19head_flag_predicatesEE10hipError_tPvRmT2_T3_T4_T5_mT6_T7_P12ihipStream_tbENKUlT_T0_E_clISt17integral_constantIbLb1EESY_EEDaST_SU_EUlST_E_NS1_11comp_targetILNS1_3genE10ELNS1_11target_archE1200ELNS1_3gpuE4ELNS1_3repE0EEENS1_30default_config_static_selectorELNS0_4arch9wavefront6targetE1EEEvT1_
		.amdhsa_group_segment_fixed_size 0
		.amdhsa_private_segment_fixed_size 0
		.amdhsa_kernarg_size 112
		.amdhsa_user_sgpr_count 2
		.amdhsa_user_sgpr_dispatch_ptr 0
		.amdhsa_user_sgpr_queue_ptr 0
		.amdhsa_user_sgpr_kernarg_segment_ptr 1
		.amdhsa_user_sgpr_dispatch_id 0
		.amdhsa_user_sgpr_kernarg_preload_length 0
		.amdhsa_user_sgpr_kernarg_preload_offset 0
		.amdhsa_user_sgpr_private_segment_size 0
		.amdhsa_uses_dynamic_stack 0
		.amdhsa_enable_private_segment 0
		.amdhsa_system_sgpr_workgroup_id_x 1
		.amdhsa_system_sgpr_workgroup_id_y 0
		.amdhsa_system_sgpr_workgroup_id_z 0
		.amdhsa_system_sgpr_workgroup_info 0
		.amdhsa_system_vgpr_workitem_id 0
		.amdhsa_next_free_vgpr 1
		.amdhsa_next_free_sgpr 0
		.amdhsa_accum_offset 4
		.amdhsa_reserve_vcc 0
		.amdhsa_float_round_mode_32 0
		.amdhsa_float_round_mode_16_64 0
		.amdhsa_float_denorm_mode_32 3
		.amdhsa_float_denorm_mode_16_64 3
		.amdhsa_dx10_clamp 1
		.amdhsa_ieee_mode 1
		.amdhsa_fp16_overflow 0
		.amdhsa_tg_split 0
		.amdhsa_exception_fp_ieee_invalid_op 0
		.amdhsa_exception_fp_denorm_src 0
		.amdhsa_exception_fp_ieee_div_zero 0
		.amdhsa_exception_fp_ieee_overflow 0
		.amdhsa_exception_fp_ieee_underflow 0
		.amdhsa_exception_fp_ieee_inexact 0
		.amdhsa_exception_int_div_zero 0
	.end_amdhsa_kernel
	.section	.text._ZN7rocprim17ROCPRIM_400000_NS6detail17trampoline_kernelINS0_14default_configENS1_27scan_by_key_config_selectorIssEEZZNS1_16scan_by_key_implILNS1_25lookback_scan_determinismE0ELb1ES3_N6thrust23THRUST_200600_302600_NS6detail15normal_iteratorINS9_10device_ptrIsEEEESE_SE_sNS9_4plusIsEE19head_flag_predicatesEE10hipError_tPvRmT2_T3_T4_T5_mT6_T7_P12ihipStream_tbENKUlT_T0_E_clISt17integral_constantIbLb1EESY_EEDaST_SU_EUlST_E_NS1_11comp_targetILNS1_3genE10ELNS1_11target_archE1200ELNS1_3gpuE4ELNS1_3repE0EEENS1_30default_config_static_selectorELNS0_4arch9wavefront6targetE1EEEvT1_,"axG",@progbits,_ZN7rocprim17ROCPRIM_400000_NS6detail17trampoline_kernelINS0_14default_configENS1_27scan_by_key_config_selectorIssEEZZNS1_16scan_by_key_implILNS1_25lookback_scan_determinismE0ELb1ES3_N6thrust23THRUST_200600_302600_NS6detail15normal_iteratorINS9_10device_ptrIsEEEESE_SE_sNS9_4plusIsEE19head_flag_predicatesEE10hipError_tPvRmT2_T3_T4_T5_mT6_T7_P12ihipStream_tbENKUlT_T0_E_clISt17integral_constantIbLb1EESY_EEDaST_SU_EUlST_E_NS1_11comp_targetILNS1_3genE10ELNS1_11target_archE1200ELNS1_3gpuE4ELNS1_3repE0EEENS1_30default_config_static_selectorELNS0_4arch9wavefront6targetE1EEEvT1_,comdat
.Lfunc_end872:
	.size	_ZN7rocprim17ROCPRIM_400000_NS6detail17trampoline_kernelINS0_14default_configENS1_27scan_by_key_config_selectorIssEEZZNS1_16scan_by_key_implILNS1_25lookback_scan_determinismE0ELb1ES3_N6thrust23THRUST_200600_302600_NS6detail15normal_iteratorINS9_10device_ptrIsEEEESE_SE_sNS9_4plusIsEE19head_flag_predicatesEE10hipError_tPvRmT2_T3_T4_T5_mT6_T7_P12ihipStream_tbENKUlT_T0_E_clISt17integral_constantIbLb1EESY_EEDaST_SU_EUlST_E_NS1_11comp_targetILNS1_3genE10ELNS1_11target_archE1200ELNS1_3gpuE4ELNS1_3repE0EEENS1_30default_config_static_selectorELNS0_4arch9wavefront6targetE1EEEvT1_, .Lfunc_end872-_ZN7rocprim17ROCPRIM_400000_NS6detail17trampoline_kernelINS0_14default_configENS1_27scan_by_key_config_selectorIssEEZZNS1_16scan_by_key_implILNS1_25lookback_scan_determinismE0ELb1ES3_N6thrust23THRUST_200600_302600_NS6detail15normal_iteratorINS9_10device_ptrIsEEEESE_SE_sNS9_4plusIsEE19head_flag_predicatesEE10hipError_tPvRmT2_T3_T4_T5_mT6_T7_P12ihipStream_tbENKUlT_T0_E_clISt17integral_constantIbLb1EESY_EEDaST_SU_EUlST_E_NS1_11comp_targetILNS1_3genE10ELNS1_11target_archE1200ELNS1_3gpuE4ELNS1_3repE0EEENS1_30default_config_static_selectorELNS0_4arch9wavefront6targetE1EEEvT1_
                                        ; -- End function
	.section	.AMDGPU.csdata,"",@progbits
; Kernel info:
; codeLenInByte = 0
; NumSgprs: 6
; NumVgprs: 0
; NumAgprs: 0
; TotalNumVgprs: 0
; ScratchSize: 0
; MemoryBound: 0
; FloatMode: 240
; IeeeMode: 1
; LDSByteSize: 0 bytes/workgroup (compile time only)
; SGPRBlocks: 0
; VGPRBlocks: 0
; NumSGPRsForWavesPerEU: 6
; NumVGPRsForWavesPerEU: 1
; AccumOffset: 4
; Occupancy: 8
; WaveLimiterHint : 0
; COMPUTE_PGM_RSRC2:SCRATCH_EN: 0
; COMPUTE_PGM_RSRC2:USER_SGPR: 2
; COMPUTE_PGM_RSRC2:TRAP_HANDLER: 0
; COMPUTE_PGM_RSRC2:TGID_X_EN: 1
; COMPUTE_PGM_RSRC2:TGID_Y_EN: 0
; COMPUTE_PGM_RSRC2:TGID_Z_EN: 0
; COMPUTE_PGM_RSRC2:TIDIG_COMP_CNT: 0
; COMPUTE_PGM_RSRC3_GFX90A:ACCUM_OFFSET: 0
; COMPUTE_PGM_RSRC3_GFX90A:TG_SPLIT: 0
	.section	.text._ZN7rocprim17ROCPRIM_400000_NS6detail17trampoline_kernelINS0_14default_configENS1_27scan_by_key_config_selectorIssEEZZNS1_16scan_by_key_implILNS1_25lookback_scan_determinismE0ELb1ES3_N6thrust23THRUST_200600_302600_NS6detail15normal_iteratorINS9_10device_ptrIsEEEESE_SE_sNS9_4plusIsEE19head_flag_predicatesEE10hipError_tPvRmT2_T3_T4_T5_mT6_T7_P12ihipStream_tbENKUlT_T0_E_clISt17integral_constantIbLb1EESY_EEDaST_SU_EUlST_E_NS1_11comp_targetILNS1_3genE9ELNS1_11target_archE1100ELNS1_3gpuE3ELNS1_3repE0EEENS1_30default_config_static_selectorELNS0_4arch9wavefront6targetE1EEEvT1_,"axG",@progbits,_ZN7rocprim17ROCPRIM_400000_NS6detail17trampoline_kernelINS0_14default_configENS1_27scan_by_key_config_selectorIssEEZZNS1_16scan_by_key_implILNS1_25lookback_scan_determinismE0ELb1ES3_N6thrust23THRUST_200600_302600_NS6detail15normal_iteratorINS9_10device_ptrIsEEEESE_SE_sNS9_4plusIsEE19head_flag_predicatesEE10hipError_tPvRmT2_T3_T4_T5_mT6_T7_P12ihipStream_tbENKUlT_T0_E_clISt17integral_constantIbLb1EESY_EEDaST_SU_EUlST_E_NS1_11comp_targetILNS1_3genE9ELNS1_11target_archE1100ELNS1_3gpuE3ELNS1_3repE0EEENS1_30default_config_static_selectorELNS0_4arch9wavefront6targetE1EEEvT1_,comdat
	.protected	_ZN7rocprim17ROCPRIM_400000_NS6detail17trampoline_kernelINS0_14default_configENS1_27scan_by_key_config_selectorIssEEZZNS1_16scan_by_key_implILNS1_25lookback_scan_determinismE0ELb1ES3_N6thrust23THRUST_200600_302600_NS6detail15normal_iteratorINS9_10device_ptrIsEEEESE_SE_sNS9_4plusIsEE19head_flag_predicatesEE10hipError_tPvRmT2_T3_T4_T5_mT6_T7_P12ihipStream_tbENKUlT_T0_E_clISt17integral_constantIbLb1EESY_EEDaST_SU_EUlST_E_NS1_11comp_targetILNS1_3genE9ELNS1_11target_archE1100ELNS1_3gpuE3ELNS1_3repE0EEENS1_30default_config_static_selectorELNS0_4arch9wavefront6targetE1EEEvT1_ ; -- Begin function _ZN7rocprim17ROCPRIM_400000_NS6detail17trampoline_kernelINS0_14default_configENS1_27scan_by_key_config_selectorIssEEZZNS1_16scan_by_key_implILNS1_25lookback_scan_determinismE0ELb1ES3_N6thrust23THRUST_200600_302600_NS6detail15normal_iteratorINS9_10device_ptrIsEEEESE_SE_sNS9_4plusIsEE19head_flag_predicatesEE10hipError_tPvRmT2_T3_T4_T5_mT6_T7_P12ihipStream_tbENKUlT_T0_E_clISt17integral_constantIbLb1EESY_EEDaST_SU_EUlST_E_NS1_11comp_targetILNS1_3genE9ELNS1_11target_archE1100ELNS1_3gpuE3ELNS1_3repE0EEENS1_30default_config_static_selectorELNS0_4arch9wavefront6targetE1EEEvT1_
	.globl	_ZN7rocprim17ROCPRIM_400000_NS6detail17trampoline_kernelINS0_14default_configENS1_27scan_by_key_config_selectorIssEEZZNS1_16scan_by_key_implILNS1_25lookback_scan_determinismE0ELb1ES3_N6thrust23THRUST_200600_302600_NS6detail15normal_iteratorINS9_10device_ptrIsEEEESE_SE_sNS9_4plusIsEE19head_flag_predicatesEE10hipError_tPvRmT2_T3_T4_T5_mT6_T7_P12ihipStream_tbENKUlT_T0_E_clISt17integral_constantIbLb1EESY_EEDaST_SU_EUlST_E_NS1_11comp_targetILNS1_3genE9ELNS1_11target_archE1100ELNS1_3gpuE3ELNS1_3repE0EEENS1_30default_config_static_selectorELNS0_4arch9wavefront6targetE1EEEvT1_
	.p2align	8
	.type	_ZN7rocprim17ROCPRIM_400000_NS6detail17trampoline_kernelINS0_14default_configENS1_27scan_by_key_config_selectorIssEEZZNS1_16scan_by_key_implILNS1_25lookback_scan_determinismE0ELb1ES3_N6thrust23THRUST_200600_302600_NS6detail15normal_iteratorINS9_10device_ptrIsEEEESE_SE_sNS9_4plusIsEE19head_flag_predicatesEE10hipError_tPvRmT2_T3_T4_T5_mT6_T7_P12ihipStream_tbENKUlT_T0_E_clISt17integral_constantIbLb1EESY_EEDaST_SU_EUlST_E_NS1_11comp_targetILNS1_3genE9ELNS1_11target_archE1100ELNS1_3gpuE3ELNS1_3repE0EEENS1_30default_config_static_selectorELNS0_4arch9wavefront6targetE1EEEvT1_,@function
_ZN7rocprim17ROCPRIM_400000_NS6detail17trampoline_kernelINS0_14default_configENS1_27scan_by_key_config_selectorIssEEZZNS1_16scan_by_key_implILNS1_25lookback_scan_determinismE0ELb1ES3_N6thrust23THRUST_200600_302600_NS6detail15normal_iteratorINS9_10device_ptrIsEEEESE_SE_sNS9_4plusIsEE19head_flag_predicatesEE10hipError_tPvRmT2_T3_T4_T5_mT6_T7_P12ihipStream_tbENKUlT_T0_E_clISt17integral_constantIbLb1EESY_EEDaST_SU_EUlST_E_NS1_11comp_targetILNS1_3genE9ELNS1_11target_archE1100ELNS1_3gpuE3ELNS1_3repE0EEENS1_30default_config_static_selectorELNS0_4arch9wavefront6targetE1EEEvT1_: ; @_ZN7rocprim17ROCPRIM_400000_NS6detail17trampoline_kernelINS0_14default_configENS1_27scan_by_key_config_selectorIssEEZZNS1_16scan_by_key_implILNS1_25lookback_scan_determinismE0ELb1ES3_N6thrust23THRUST_200600_302600_NS6detail15normal_iteratorINS9_10device_ptrIsEEEESE_SE_sNS9_4plusIsEE19head_flag_predicatesEE10hipError_tPvRmT2_T3_T4_T5_mT6_T7_P12ihipStream_tbENKUlT_T0_E_clISt17integral_constantIbLb1EESY_EEDaST_SU_EUlST_E_NS1_11comp_targetILNS1_3genE9ELNS1_11target_archE1100ELNS1_3gpuE3ELNS1_3repE0EEENS1_30default_config_static_selectorELNS0_4arch9wavefront6targetE1EEEvT1_
; %bb.0:
	.section	.rodata,"a",@progbits
	.p2align	6, 0x0
	.amdhsa_kernel _ZN7rocprim17ROCPRIM_400000_NS6detail17trampoline_kernelINS0_14default_configENS1_27scan_by_key_config_selectorIssEEZZNS1_16scan_by_key_implILNS1_25lookback_scan_determinismE0ELb1ES3_N6thrust23THRUST_200600_302600_NS6detail15normal_iteratorINS9_10device_ptrIsEEEESE_SE_sNS9_4plusIsEE19head_flag_predicatesEE10hipError_tPvRmT2_T3_T4_T5_mT6_T7_P12ihipStream_tbENKUlT_T0_E_clISt17integral_constantIbLb1EESY_EEDaST_SU_EUlST_E_NS1_11comp_targetILNS1_3genE9ELNS1_11target_archE1100ELNS1_3gpuE3ELNS1_3repE0EEENS1_30default_config_static_selectorELNS0_4arch9wavefront6targetE1EEEvT1_
		.amdhsa_group_segment_fixed_size 0
		.amdhsa_private_segment_fixed_size 0
		.amdhsa_kernarg_size 112
		.amdhsa_user_sgpr_count 2
		.amdhsa_user_sgpr_dispatch_ptr 0
		.amdhsa_user_sgpr_queue_ptr 0
		.amdhsa_user_sgpr_kernarg_segment_ptr 1
		.amdhsa_user_sgpr_dispatch_id 0
		.amdhsa_user_sgpr_kernarg_preload_length 0
		.amdhsa_user_sgpr_kernarg_preload_offset 0
		.amdhsa_user_sgpr_private_segment_size 0
		.amdhsa_uses_dynamic_stack 0
		.amdhsa_enable_private_segment 0
		.amdhsa_system_sgpr_workgroup_id_x 1
		.amdhsa_system_sgpr_workgroup_id_y 0
		.amdhsa_system_sgpr_workgroup_id_z 0
		.amdhsa_system_sgpr_workgroup_info 0
		.amdhsa_system_vgpr_workitem_id 0
		.amdhsa_next_free_vgpr 1
		.amdhsa_next_free_sgpr 0
		.amdhsa_accum_offset 4
		.amdhsa_reserve_vcc 0
		.amdhsa_float_round_mode_32 0
		.amdhsa_float_round_mode_16_64 0
		.amdhsa_float_denorm_mode_32 3
		.amdhsa_float_denorm_mode_16_64 3
		.amdhsa_dx10_clamp 1
		.amdhsa_ieee_mode 1
		.amdhsa_fp16_overflow 0
		.amdhsa_tg_split 0
		.amdhsa_exception_fp_ieee_invalid_op 0
		.amdhsa_exception_fp_denorm_src 0
		.amdhsa_exception_fp_ieee_div_zero 0
		.amdhsa_exception_fp_ieee_overflow 0
		.amdhsa_exception_fp_ieee_underflow 0
		.amdhsa_exception_fp_ieee_inexact 0
		.amdhsa_exception_int_div_zero 0
	.end_amdhsa_kernel
	.section	.text._ZN7rocprim17ROCPRIM_400000_NS6detail17trampoline_kernelINS0_14default_configENS1_27scan_by_key_config_selectorIssEEZZNS1_16scan_by_key_implILNS1_25lookback_scan_determinismE0ELb1ES3_N6thrust23THRUST_200600_302600_NS6detail15normal_iteratorINS9_10device_ptrIsEEEESE_SE_sNS9_4plusIsEE19head_flag_predicatesEE10hipError_tPvRmT2_T3_T4_T5_mT6_T7_P12ihipStream_tbENKUlT_T0_E_clISt17integral_constantIbLb1EESY_EEDaST_SU_EUlST_E_NS1_11comp_targetILNS1_3genE9ELNS1_11target_archE1100ELNS1_3gpuE3ELNS1_3repE0EEENS1_30default_config_static_selectorELNS0_4arch9wavefront6targetE1EEEvT1_,"axG",@progbits,_ZN7rocprim17ROCPRIM_400000_NS6detail17trampoline_kernelINS0_14default_configENS1_27scan_by_key_config_selectorIssEEZZNS1_16scan_by_key_implILNS1_25lookback_scan_determinismE0ELb1ES3_N6thrust23THRUST_200600_302600_NS6detail15normal_iteratorINS9_10device_ptrIsEEEESE_SE_sNS9_4plusIsEE19head_flag_predicatesEE10hipError_tPvRmT2_T3_T4_T5_mT6_T7_P12ihipStream_tbENKUlT_T0_E_clISt17integral_constantIbLb1EESY_EEDaST_SU_EUlST_E_NS1_11comp_targetILNS1_3genE9ELNS1_11target_archE1100ELNS1_3gpuE3ELNS1_3repE0EEENS1_30default_config_static_selectorELNS0_4arch9wavefront6targetE1EEEvT1_,comdat
.Lfunc_end873:
	.size	_ZN7rocprim17ROCPRIM_400000_NS6detail17trampoline_kernelINS0_14default_configENS1_27scan_by_key_config_selectorIssEEZZNS1_16scan_by_key_implILNS1_25lookback_scan_determinismE0ELb1ES3_N6thrust23THRUST_200600_302600_NS6detail15normal_iteratorINS9_10device_ptrIsEEEESE_SE_sNS9_4plusIsEE19head_flag_predicatesEE10hipError_tPvRmT2_T3_T4_T5_mT6_T7_P12ihipStream_tbENKUlT_T0_E_clISt17integral_constantIbLb1EESY_EEDaST_SU_EUlST_E_NS1_11comp_targetILNS1_3genE9ELNS1_11target_archE1100ELNS1_3gpuE3ELNS1_3repE0EEENS1_30default_config_static_selectorELNS0_4arch9wavefront6targetE1EEEvT1_, .Lfunc_end873-_ZN7rocprim17ROCPRIM_400000_NS6detail17trampoline_kernelINS0_14default_configENS1_27scan_by_key_config_selectorIssEEZZNS1_16scan_by_key_implILNS1_25lookback_scan_determinismE0ELb1ES3_N6thrust23THRUST_200600_302600_NS6detail15normal_iteratorINS9_10device_ptrIsEEEESE_SE_sNS9_4plusIsEE19head_flag_predicatesEE10hipError_tPvRmT2_T3_T4_T5_mT6_T7_P12ihipStream_tbENKUlT_T0_E_clISt17integral_constantIbLb1EESY_EEDaST_SU_EUlST_E_NS1_11comp_targetILNS1_3genE9ELNS1_11target_archE1100ELNS1_3gpuE3ELNS1_3repE0EEENS1_30default_config_static_selectorELNS0_4arch9wavefront6targetE1EEEvT1_
                                        ; -- End function
	.section	.AMDGPU.csdata,"",@progbits
; Kernel info:
; codeLenInByte = 0
; NumSgprs: 6
; NumVgprs: 0
; NumAgprs: 0
; TotalNumVgprs: 0
; ScratchSize: 0
; MemoryBound: 0
; FloatMode: 240
; IeeeMode: 1
; LDSByteSize: 0 bytes/workgroup (compile time only)
; SGPRBlocks: 0
; VGPRBlocks: 0
; NumSGPRsForWavesPerEU: 6
; NumVGPRsForWavesPerEU: 1
; AccumOffset: 4
; Occupancy: 8
; WaveLimiterHint : 0
; COMPUTE_PGM_RSRC2:SCRATCH_EN: 0
; COMPUTE_PGM_RSRC2:USER_SGPR: 2
; COMPUTE_PGM_RSRC2:TRAP_HANDLER: 0
; COMPUTE_PGM_RSRC2:TGID_X_EN: 1
; COMPUTE_PGM_RSRC2:TGID_Y_EN: 0
; COMPUTE_PGM_RSRC2:TGID_Z_EN: 0
; COMPUTE_PGM_RSRC2:TIDIG_COMP_CNT: 0
; COMPUTE_PGM_RSRC3_GFX90A:ACCUM_OFFSET: 0
; COMPUTE_PGM_RSRC3_GFX90A:TG_SPLIT: 0
	.section	.text._ZN7rocprim17ROCPRIM_400000_NS6detail17trampoline_kernelINS0_14default_configENS1_27scan_by_key_config_selectorIssEEZZNS1_16scan_by_key_implILNS1_25lookback_scan_determinismE0ELb1ES3_N6thrust23THRUST_200600_302600_NS6detail15normal_iteratorINS9_10device_ptrIsEEEESE_SE_sNS9_4plusIsEE19head_flag_predicatesEE10hipError_tPvRmT2_T3_T4_T5_mT6_T7_P12ihipStream_tbENKUlT_T0_E_clISt17integral_constantIbLb1EESY_EEDaST_SU_EUlST_E_NS1_11comp_targetILNS1_3genE8ELNS1_11target_archE1030ELNS1_3gpuE2ELNS1_3repE0EEENS1_30default_config_static_selectorELNS0_4arch9wavefront6targetE1EEEvT1_,"axG",@progbits,_ZN7rocprim17ROCPRIM_400000_NS6detail17trampoline_kernelINS0_14default_configENS1_27scan_by_key_config_selectorIssEEZZNS1_16scan_by_key_implILNS1_25lookback_scan_determinismE0ELb1ES3_N6thrust23THRUST_200600_302600_NS6detail15normal_iteratorINS9_10device_ptrIsEEEESE_SE_sNS9_4plusIsEE19head_flag_predicatesEE10hipError_tPvRmT2_T3_T4_T5_mT6_T7_P12ihipStream_tbENKUlT_T0_E_clISt17integral_constantIbLb1EESY_EEDaST_SU_EUlST_E_NS1_11comp_targetILNS1_3genE8ELNS1_11target_archE1030ELNS1_3gpuE2ELNS1_3repE0EEENS1_30default_config_static_selectorELNS0_4arch9wavefront6targetE1EEEvT1_,comdat
	.protected	_ZN7rocprim17ROCPRIM_400000_NS6detail17trampoline_kernelINS0_14default_configENS1_27scan_by_key_config_selectorIssEEZZNS1_16scan_by_key_implILNS1_25lookback_scan_determinismE0ELb1ES3_N6thrust23THRUST_200600_302600_NS6detail15normal_iteratorINS9_10device_ptrIsEEEESE_SE_sNS9_4plusIsEE19head_flag_predicatesEE10hipError_tPvRmT2_T3_T4_T5_mT6_T7_P12ihipStream_tbENKUlT_T0_E_clISt17integral_constantIbLb1EESY_EEDaST_SU_EUlST_E_NS1_11comp_targetILNS1_3genE8ELNS1_11target_archE1030ELNS1_3gpuE2ELNS1_3repE0EEENS1_30default_config_static_selectorELNS0_4arch9wavefront6targetE1EEEvT1_ ; -- Begin function _ZN7rocprim17ROCPRIM_400000_NS6detail17trampoline_kernelINS0_14default_configENS1_27scan_by_key_config_selectorIssEEZZNS1_16scan_by_key_implILNS1_25lookback_scan_determinismE0ELb1ES3_N6thrust23THRUST_200600_302600_NS6detail15normal_iteratorINS9_10device_ptrIsEEEESE_SE_sNS9_4plusIsEE19head_flag_predicatesEE10hipError_tPvRmT2_T3_T4_T5_mT6_T7_P12ihipStream_tbENKUlT_T0_E_clISt17integral_constantIbLb1EESY_EEDaST_SU_EUlST_E_NS1_11comp_targetILNS1_3genE8ELNS1_11target_archE1030ELNS1_3gpuE2ELNS1_3repE0EEENS1_30default_config_static_selectorELNS0_4arch9wavefront6targetE1EEEvT1_
	.globl	_ZN7rocprim17ROCPRIM_400000_NS6detail17trampoline_kernelINS0_14default_configENS1_27scan_by_key_config_selectorIssEEZZNS1_16scan_by_key_implILNS1_25lookback_scan_determinismE0ELb1ES3_N6thrust23THRUST_200600_302600_NS6detail15normal_iteratorINS9_10device_ptrIsEEEESE_SE_sNS9_4plusIsEE19head_flag_predicatesEE10hipError_tPvRmT2_T3_T4_T5_mT6_T7_P12ihipStream_tbENKUlT_T0_E_clISt17integral_constantIbLb1EESY_EEDaST_SU_EUlST_E_NS1_11comp_targetILNS1_3genE8ELNS1_11target_archE1030ELNS1_3gpuE2ELNS1_3repE0EEENS1_30default_config_static_selectorELNS0_4arch9wavefront6targetE1EEEvT1_
	.p2align	8
	.type	_ZN7rocprim17ROCPRIM_400000_NS6detail17trampoline_kernelINS0_14default_configENS1_27scan_by_key_config_selectorIssEEZZNS1_16scan_by_key_implILNS1_25lookback_scan_determinismE0ELb1ES3_N6thrust23THRUST_200600_302600_NS6detail15normal_iteratorINS9_10device_ptrIsEEEESE_SE_sNS9_4plusIsEE19head_flag_predicatesEE10hipError_tPvRmT2_T3_T4_T5_mT6_T7_P12ihipStream_tbENKUlT_T0_E_clISt17integral_constantIbLb1EESY_EEDaST_SU_EUlST_E_NS1_11comp_targetILNS1_3genE8ELNS1_11target_archE1030ELNS1_3gpuE2ELNS1_3repE0EEENS1_30default_config_static_selectorELNS0_4arch9wavefront6targetE1EEEvT1_,@function
_ZN7rocprim17ROCPRIM_400000_NS6detail17trampoline_kernelINS0_14default_configENS1_27scan_by_key_config_selectorIssEEZZNS1_16scan_by_key_implILNS1_25lookback_scan_determinismE0ELb1ES3_N6thrust23THRUST_200600_302600_NS6detail15normal_iteratorINS9_10device_ptrIsEEEESE_SE_sNS9_4plusIsEE19head_flag_predicatesEE10hipError_tPvRmT2_T3_T4_T5_mT6_T7_P12ihipStream_tbENKUlT_T0_E_clISt17integral_constantIbLb1EESY_EEDaST_SU_EUlST_E_NS1_11comp_targetILNS1_3genE8ELNS1_11target_archE1030ELNS1_3gpuE2ELNS1_3repE0EEENS1_30default_config_static_selectorELNS0_4arch9wavefront6targetE1EEEvT1_: ; @_ZN7rocprim17ROCPRIM_400000_NS6detail17trampoline_kernelINS0_14default_configENS1_27scan_by_key_config_selectorIssEEZZNS1_16scan_by_key_implILNS1_25lookback_scan_determinismE0ELb1ES3_N6thrust23THRUST_200600_302600_NS6detail15normal_iteratorINS9_10device_ptrIsEEEESE_SE_sNS9_4plusIsEE19head_flag_predicatesEE10hipError_tPvRmT2_T3_T4_T5_mT6_T7_P12ihipStream_tbENKUlT_T0_E_clISt17integral_constantIbLb1EESY_EEDaST_SU_EUlST_E_NS1_11comp_targetILNS1_3genE8ELNS1_11target_archE1030ELNS1_3gpuE2ELNS1_3repE0EEENS1_30default_config_static_selectorELNS0_4arch9wavefront6targetE1EEEvT1_
; %bb.0:
	.section	.rodata,"a",@progbits
	.p2align	6, 0x0
	.amdhsa_kernel _ZN7rocprim17ROCPRIM_400000_NS6detail17trampoline_kernelINS0_14default_configENS1_27scan_by_key_config_selectorIssEEZZNS1_16scan_by_key_implILNS1_25lookback_scan_determinismE0ELb1ES3_N6thrust23THRUST_200600_302600_NS6detail15normal_iteratorINS9_10device_ptrIsEEEESE_SE_sNS9_4plusIsEE19head_flag_predicatesEE10hipError_tPvRmT2_T3_T4_T5_mT6_T7_P12ihipStream_tbENKUlT_T0_E_clISt17integral_constantIbLb1EESY_EEDaST_SU_EUlST_E_NS1_11comp_targetILNS1_3genE8ELNS1_11target_archE1030ELNS1_3gpuE2ELNS1_3repE0EEENS1_30default_config_static_selectorELNS0_4arch9wavefront6targetE1EEEvT1_
		.amdhsa_group_segment_fixed_size 0
		.amdhsa_private_segment_fixed_size 0
		.amdhsa_kernarg_size 112
		.amdhsa_user_sgpr_count 2
		.amdhsa_user_sgpr_dispatch_ptr 0
		.amdhsa_user_sgpr_queue_ptr 0
		.amdhsa_user_sgpr_kernarg_segment_ptr 1
		.amdhsa_user_sgpr_dispatch_id 0
		.amdhsa_user_sgpr_kernarg_preload_length 0
		.amdhsa_user_sgpr_kernarg_preload_offset 0
		.amdhsa_user_sgpr_private_segment_size 0
		.amdhsa_uses_dynamic_stack 0
		.amdhsa_enable_private_segment 0
		.amdhsa_system_sgpr_workgroup_id_x 1
		.amdhsa_system_sgpr_workgroup_id_y 0
		.amdhsa_system_sgpr_workgroup_id_z 0
		.amdhsa_system_sgpr_workgroup_info 0
		.amdhsa_system_vgpr_workitem_id 0
		.amdhsa_next_free_vgpr 1
		.amdhsa_next_free_sgpr 0
		.amdhsa_accum_offset 4
		.amdhsa_reserve_vcc 0
		.amdhsa_float_round_mode_32 0
		.amdhsa_float_round_mode_16_64 0
		.amdhsa_float_denorm_mode_32 3
		.amdhsa_float_denorm_mode_16_64 3
		.amdhsa_dx10_clamp 1
		.amdhsa_ieee_mode 1
		.amdhsa_fp16_overflow 0
		.amdhsa_tg_split 0
		.amdhsa_exception_fp_ieee_invalid_op 0
		.amdhsa_exception_fp_denorm_src 0
		.amdhsa_exception_fp_ieee_div_zero 0
		.amdhsa_exception_fp_ieee_overflow 0
		.amdhsa_exception_fp_ieee_underflow 0
		.amdhsa_exception_fp_ieee_inexact 0
		.amdhsa_exception_int_div_zero 0
	.end_amdhsa_kernel
	.section	.text._ZN7rocprim17ROCPRIM_400000_NS6detail17trampoline_kernelINS0_14default_configENS1_27scan_by_key_config_selectorIssEEZZNS1_16scan_by_key_implILNS1_25lookback_scan_determinismE0ELb1ES3_N6thrust23THRUST_200600_302600_NS6detail15normal_iteratorINS9_10device_ptrIsEEEESE_SE_sNS9_4plusIsEE19head_flag_predicatesEE10hipError_tPvRmT2_T3_T4_T5_mT6_T7_P12ihipStream_tbENKUlT_T0_E_clISt17integral_constantIbLb1EESY_EEDaST_SU_EUlST_E_NS1_11comp_targetILNS1_3genE8ELNS1_11target_archE1030ELNS1_3gpuE2ELNS1_3repE0EEENS1_30default_config_static_selectorELNS0_4arch9wavefront6targetE1EEEvT1_,"axG",@progbits,_ZN7rocprim17ROCPRIM_400000_NS6detail17trampoline_kernelINS0_14default_configENS1_27scan_by_key_config_selectorIssEEZZNS1_16scan_by_key_implILNS1_25lookback_scan_determinismE0ELb1ES3_N6thrust23THRUST_200600_302600_NS6detail15normal_iteratorINS9_10device_ptrIsEEEESE_SE_sNS9_4plusIsEE19head_flag_predicatesEE10hipError_tPvRmT2_T3_T4_T5_mT6_T7_P12ihipStream_tbENKUlT_T0_E_clISt17integral_constantIbLb1EESY_EEDaST_SU_EUlST_E_NS1_11comp_targetILNS1_3genE8ELNS1_11target_archE1030ELNS1_3gpuE2ELNS1_3repE0EEENS1_30default_config_static_selectorELNS0_4arch9wavefront6targetE1EEEvT1_,comdat
.Lfunc_end874:
	.size	_ZN7rocprim17ROCPRIM_400000_NS6detail17trampoline_kernelINS0_14default_configENS1_27scan_by_key_config_selectorIssEEZZNS1_16scan_by_key_implILNS1_25lookback_scan_determinismE0ELb1ES3_N6thrust23THRUST_200600_302600_NS6detail15normal_iteratorINS9_10device_ptrIsEEEESE_SE_sNS9_4plusIsEE19head_flag_predicatesEE10hipError_tPvRmT2_T3_T4_T5_mT6_T7_P12ihipStream_tbENKUlT_T0_E_clISt17integral_constantIbLb1EESY_EEDaST_SU_EUlST_E_NS1_11comp_targetILNS1_3genE8ELNS1_11target_archE1030ELNS1_3gpuE2ELNS1_3repE0EEENS1_30default_config_static_selectorELNS0_4arch9wavefront6targetE1EEEvT1_, .Lfunc_end874-_ZN7rocprim17ROCPRIM_400000_NS6detail17trampoline_kernelINS0_14default_configENS1_27scan_by_key_config_selectorIssEEZZNS1_16scan_by_key_implILNS1_25lookback_scan_determinismE0ELb1ES3_N6thrust23THRUST_200600_302600_NS6detail15normal_iteratorINS9_10device_ptrIsEEEESE_SE_sNS9_4plusIsEE19head_flag_predicatesEE10hipError_tPvRmT2_T3_T4_T5_mT6_T7_P12ihipStream_tbENKUlT_T0_E_clISt17integral_constantIbLb1EESY_EEDaST_SU_EUlST_E_NS1_11comp_targetILNS1_3genE8ELNS1_11target_archE1030ELNS1_3gpuE2ELNS1_3repE0EEENS1_30default_config_static_selectorELNS0_4arch9wavefront6targetE1EEEvT1_
                                        ; -- End function
	.section	.AMDGPU.csdata,"",@progbits
; Kernel info:
; codeLenInByte = 0
; NumSgprs: 6
; NumVgprs: 0
; NumAgprs: 0
; TotalNumVgprs: 0
; ScratchSize: 0
; MemoryBound: 0
; FloatMode: 240
; IeeeMode: 1
; LDSByteSize: 0 bytes/workgroup (compile time only)
; SGPRBlocks: 0
; VGPRBlocks: 0
; NumSGPRsForWavesPerEU: 6
; NumVGPRsForWavesPerEU: 1
; AccumOffset: 4
; Occupancy: 8
; WaveLimiterHint : 0
; COMPUTE_PGM_RSRC2:SCRATCH_EN: 0
; COMPUTE_PGM_RSRC2:USER_SGPR: 2
; COMPUTE_PGM_RSRC2:TRAP_HANDLER: 0
; COMPUTE_PGM_RSRC2:TGID_X_EN: 1
; COMPUTE_PGM_RSRC2:TGID_Y_EN: 0
; COMPUTE_PGM_RSRC2:TGID_Z_EN: 0
; COMPUTE_PGM_RSRC2:TIDIG_COMP_CNT: 0
; COMPUTE_PGM_RSRC3_GFX90A:ACCUM_OFFSET: 0
; COMPUTE_PGM_RSRC3_GFX90A:TG_SPLIT: 0
	.section	.text._ZN7rocprim17ROCPRIM_400000_NS6detail17trampoline_kernelINS0_14default_configENS1_27scan_by_key_config_selectorIssEEZZNS1_16scan_by_key_implILNS1_25lookback_scan_determinismE0ELb1ES3_N6thrust23THRUST_200600_302600_NS6detail15normal_iteratorINS9_10device_ptrIsEEEESE_SE_sNS9_4plusIsEE19head_flag_predicatesEE10hipError_tPvRmT2_T3_T4_T5_mT6_T7_P12ihipStream_tbENKUlT_T0_E_clISt17integral_constantIbLb1EESX_IbLb0EEEEDaST_SU_EUlST_E_NS1_11comp_targetILNS1_3genE0ELNS1_11target_archE4294967295ELNS1_3gpuE0ELNS1_3repE0EEENS1_30default_config_static_selectorELNS0_4arch9wavefront6targetE1EEEvT1_,"axG",@progbits,_ZN7rocprim17ROCPRIM_400000_NS6detail17trampoline_kernelINS0_14default_configENS1_27scan_by_key_config_selectorIssEEZZNS1_16scan_by_key_implILNS1_25lookback_scan_determinismE0ELb1ES3_N6thrust23THRUST_200600_302600_NS6detail15normal_iteratorINS9_10device_ptrIsEEEESE_SE_sNS9_4plusIsEE19head_flag_predicatesEE10hipError_tPvRmT2_T3_T4_T5_mT6_T7_P12ihipStream_tbENKUlT_T0_E_clISt17integral_constantIbLb1EESX_IbLb0EEEEDaST_SU_EUlST_E_NS1_11comp_targetILNS1_3genE0ELNS1_11target_archE4294967295ELNS1_3gpuE0ELNS1_3repE0EEENS1_30default_config_static_selectorELNS0_4arch9wavefront6targetE1EEEvT1_,comdat
	.protected	_ZN7rocprim17ROCPRIM_400000_NS6detail17trampoline_kernelINS0_14default_configENS1_27scan_by_key_config_selectorIssEEZZNS1_16scan_by_key_implILNS1_25lookback_scan_determinismE0ELb1ES3_N6thrust23THRUST_200600_302600_NS6detail15normal_iteratorINS9_10device_ptrIsEEEESE_SE_sNS9_4plusIsEE19head_flag_predicatesEE10hipError_tPvRmT2_T3_T4_T5_mT6_T7_P12ihipStream_tbENKUlT_T0_E_clISt17integral_constantIbLb1EESX_IbLb0EEEEDaST_SU_EUlST_E_NS1_11comp_targetILNS1_3genE0ELNS1_11target_archE4294967295ELNS1_3gpuE0ELNS1_3repE0EEENS1_30default_config_static_selectorELNS0_4arch9wavefront6targetE1EEEvT1_ ; -- Begin function _ZN7rocprim17ROCPRIM_400000_NS6detail17trampoline_kernelINS0_14default_configENS1_27scan_by_key_config_selectorIssEEZZNS1_16scan_by_key_implILNS1_25lookback_scan_determinismE0ELb1ES3_N6thrust23THRUST_200600_302600_NS6detail15normal_iteratorINS9_10device_ptrIsEEEESE_SE_sNS9_4plusIsEE19head_flag_predicatesEE10hipError_tPvRmT2_T3_T4_T5_mT6_T7_P12ihipStream_tbENKUlT_T0_E_clISt17integral_constantIbLb1EESX_IbLb0EEEEDaST_SU_EUlST_E_NS1_11comp_targetILNS1_3genE0ELNS1_11target_archE4294967295ELNS1_3gpuE0ELNS1_3repE0EEENS1_30default_config_static_selectorELNS0_4arch9wavefront6targetE1EEEvT1_
	.globl	_ZN7rocprim17ROCPRIM_400000_NS6detail17trampoline_kernelINS0_14default_configENS1_27scan_by_key_config_selectorIssEEZZNS1_16scan_by_key_implILNS1_25lookback_scan_determinismE0ELb1ES3_N6thrust23THRUST_200600_302600_NS6detail15normal_iteratorINS9_10device_ptrIsEEEESE_SE_sNS9_4plusIsEE19head_flag_predicatesEE10hipError_tPvRmT2_T3_T4_T5_mT6_T7_P12ihipStream_tbENKUlT_T0_E_clISt17integral_constantIbLb1EESX_IbLb0EEEEDaST_SU_EUlST_E_NS1_11comp_targetILNS1_3genE0ELNS1_11target_archE4294967295ELNS1_3gpuE0ELNS1_3repE0EEENS1_30default_config_static_selectorELNS0_4arch9wavefront6targetE1EEEvT1_
	.p2align	8
	.type	_ZN7rocprim17ROCPRIM_400000_NS6detail17trampoline_kernelINS0_14default_configENS1_27scan_by_key_config_selectorIssEEZZNS1_16scan_by_key_implILNS1_25lookback_scan_determinismE0ELb1ES3_N6thrust23THRUST_200600_302600_NS6detail15normal_iteratorINS9_10device_ptrIsEEEESE_SE_sNS9_4plusIsEE19head_flag_predicatesEE10hipError_tPvRmT2_T3_T4_T5_mT6_T7_P12ihipStream_tbENKUlT_T0_E_clISt17integral_constantIbLb1EESX_IbLb0EEEEDaST_SU_EUlST_E_NS1_11comp_targetILNS1_3genE0ELNS1_11target_archE4294967295ELNS1_3gpuE0ELNS1_3repE0EEENS1_30default_config_static_selectorELNS0_4arch9wavefront6targetE1EEEvT1_,@function
_ZN7rocprim17ROCPRIM_400000_NS6detail17trampoline_kernelINS0_14default_configENS1_27scan_by_key_config_selectorIssEEZZNS1_16scan_by_key_implILNS1_25lookback_scan_determinismE0ELb1ES3_N6thrust23THRUST_200600_302600_NS6detail15normal_iteratorINS9_10device_ptrIsEEEESE_SE_sNS9_4plusIsEE19head_flag_predicatesEE10hipError_tPvRmT2_T3_T4_T5_mT6_T7_P12ihipStream_tbENKUlT_T0_E_clISt17integral_constantIbLb1EESX_IbLb0EEEEDaST_SU_EUlST_E_NS1_11comp_targetILNS1_3genE0ELNS1_11target_archE4294967295ELNS1_3gpuE0ELNS1_3repE0EEENS1_30default_config_static_selectorELNS0_4arch9wavefront6targetE1EEEvT1_: ; @_ZN7rocprim17ROCPRIM_400000_NS6detail17trampoline_kernelINS0_14default_configENS1_27scan_by_key_config_selectorIssEEZZNS1_16scan_by_key_implILNS1_25lookback_scan_determinismE0ELb1ES3_N6thrust23THRUST_200600_302600_NS6detail15normal_iteratorINS9_10device_ptrIsEEEESE_SE_sNS9_4plusIsEE19head_flag_predicatesEE10hipError_tPvRmT2_T3_T4_T5_mT6_T7_P12ihipStream_tbENKUlT_T0_E_clISt17integral_constantIbLb1EESX_IbLb0EEEEDaST_SU_EUlST_E_NS1_11comp_targetILNS1_3genE0ELNS1_11target_archE4294967295ELNS1_3gpuE0ELNS1_3repE0EEENS1_30default_config_static_selectorELNS0_4arch9wavefront6targetE1EEEvT1_
; %bb.0:
	.section	.rodata,"a",@progbits
	.p2align	6, 0x0
	.amdhsa_kernel _ZN7rocprim17ROCPRIM_400000_NS6detail17trampoline_kernelINS0_14default_configENS1_27scan_by_key_config_selectorIssEEZZNS1_16scan_by_key_implILNS1_25lookback_scan_determinismE0ELb1ES3_N6thrust23THRUST_200600_302600_NS6detail15normal_iteratorINS9_10device_ptrIsEEEESE_SE_sNS9_4plusIsEE19head_flag_predicatesEE10hipError_tPvRmT2_T3_T4_T5_mT6_T7_P12ihipStream_tbENKUlT_T0_E_clISt17integral_constantIbLb1EESX_IbLb0EEEEDaST_SU_EUlST_E_NS1_11comp_targetILNS1_3genE0ELNS1_11target_archE4294967295ELNS1_3gpuE0ELNS1_3repE0EEENS1_30default_config_static_selectorELNS0_4arch9wavefront6targetE1EEEvT1_
		.amdhsa_group_segment_fixed_size 0
		.amdhsa_private_segment_fixed_size 0
		.amdhsa_kernarg_size 112
		.amdhsa_user_sgpr_count 2
		.amdhsa_user_sgpr_dispatch_ptr 0
		.amdhsa_user_sgpr_queue_ptr 0
		.amdhsa_user_sgpr_kernarg_segment_ptr 1
		.amdhsa_user_sgpr_dispatch_id 0
		.amdhsa_user_sgpr_kernarg_preload_length 0
		.amdhsa_user_sgpr_kernarg_preload_offset 0
		.amdhsa_user_sgpr_private_segment_size 0
		.amdhsa_uses_dynamic_stack 0
		.amdhsa_enable_private_segment 0
		.amdhsa_system_sgpr_workgroup_id_x 1
		.amdhsa_system_sgpr_workgroup_id_y 0
		.amdhsa_system_sgpr_workgroup_id_z 0
		.amdhsa_system_sgpr_workgroup_info 0
		.amdhsa_system_vgpr_workitem_id 0
		.amdhsa_next_free_vgpr 1
		.amdhsa_next_free_sgpr 0
		.amdhsa_accum_offset 4
		.amdhsa_reserve_vcc 0
		.amdhsa_float_round_mode_32 0
		.amdhsa_float_round_mode_16_64 0
		.amdhsa_float_denorm_mode_32 3
		.amdhsa_float_denorm_mode_16_64 3
		.amdhsa_dx10_clamp 1
		.amdhsa_ieee_mode 1
		.amdhsa_fp16_overflow 0
		.amdhsa_tg_split 0
		.amdhsa_exception_fp_ieee_invalid_op 0
		.amdhsa_exception_fp_denorm_src 0
		.amdhsa_exception_fp_ieee_div_zero 0
		.amdhsa_exception_fp_ieee_overflow 0
		.amdhsa_exception_fp_ieee_underflow 0
		.amdhsa_exception_fp_ieee_inexact 0
		.amdhsa_exception_int_div_zero 0
	.end_amdhsa_kernel
	.section	.text._ZN7rocprim17ROCPRIM_400000_NS6detail17trampoline_kernelINS0_14default_configENS1_27scan_by_key_config_selectorIssEEZZNS1_16scan_by_key_implILNS1_25lookback_scan_determinismE0ELb1ES3_N6thrust23THRUST_200600_302600_NS6detail15normal_iteratorINS9_10device_ptrIsEEEESE_SE_sNS9_4plusIsEE19head_flag_predicatesEE10hipError_tPvRmT2_T3_T4_T5_mT6_T7_P12ihipStream_tbENKUlT_T0_E_clISt17integral_constantIbLb1EESX_IbLb0EEEEDaST_SU_EUlST_E_NS1_11comp_targetILNS1_3genE0ELNS1_11target_archE4294967295ELNS1_3gpuE0ELNS1_3repE0EEENS1_30default_config_static_selectorELNS0_4arch9wavefront6targetE1EEEvT1_,"axG",@progbits,_ZN7rocprim17ROCPRIM_400000_NS6detail17trampoline_kernelINS0_14default_configENS1_27scan_by_key_config_selectorIssEEZZNS1_16scan_by_key_implILNS1_25lookback_scan_determinismE0ELb1ES3_N6thrust23THRUST_200600_302600_NS6detail15normal_iteratorINS9_10device_ptrIsEEEESE_SE_sNS9_4plusIsEE19head_flag_predicatesEE10hipError_tPvRmT2_T3_T4_T5_mT6_T7_P12ihipStream_tbENKUlT_T0_E_clISt17integral_constantIbLb1EESX_IbLb0EEEEDaST_SU_EUlST_E_NS1_11comp_targetILNS1_3genE0ELNS1_11target_archE4294967295ELNS1_3gpuE0ELNS1_3repE0EEENS1_30default_config_static_selectorELNS0_4arch9wavefront6targetE1EEEvT1_,comdat
.Lfunc_end875:
	.size	_ZN7rocprim17ROCPRIM_400000_NS6detail17trampoline_kernelINS0_14default_configENS1_27scan_by_key_config_selectorIssEEZZNS1_16scan_by_key_implILNS1_25lookback_scan_determinismE0ELb1ES3_N6thrust23THRUST_200600_302600_NS6detail15normal_iteratorINS9_10device_ptrIsEEEESE_SE_sNS9_4plusIsEE19head_flag_predicatesEE10hipError_tPvRmT2_T3_T4_T5_mT6_T7_P12ihipStream_tbENKUlT_T0_E_clISt17integral_constantIbLb1EESX_IbLb0EEEEDaST_SU_EUlST_E_NS1_11comp_targetILNS1_3genE0ELNS1_11target_archE4294967295ELNS1_3gpuE0ELNS1_3repE0EEENS1_30default_config_static_selectorELNS0_4arch9wavefront6targetE1EEEvT1_, .Lfunc_end875-_ZN7rocprim17ROCPRIM_400000_NS6detail17trampoline_kernelINS0_14default_configENS1_27scan_by_key_config_selectorIssEEZZNS1_16scan_by_key_implILNS1_25lookback_scan_determinismE0ELb1ES3_N6thrust23THRUST_200600_302600_NS6detail15normal_iteratorINS9_10device_ptrIsEEEESE_SE_sNS9_4plusIsEE19head_flag_predicatesEE10hipError_tPvRmT2_T3_T4_T5_mT6_T7_P12ihipStream_tbENKUlT_T0_E_clISt17integral_constantIbLb1EESX_IbLb0EEEEDaST_SU_EUlST_E_NS1_11comp_targetILNS1_3genE0ELNS1_11target_archE4294967295ELNS1_3gpuE0ELNS1_3repE0EEENS1_30default_config_static_selectorELNS0_4arch9wavefront6targetE1EEEvT1_
                                        ; -- End function
	.section	.AMDGPU.csdata,"",@progbits
; Kernel info:
; codeLenInByte = 0
; NumSgprs: 6
; NumVgprs: 0
; NumAgprs: 0
; TotalNumVgprs: 0
; ScratchSize: 0
; MemoryBound: 0
; FloatMode: 240
; IeeeMode: 1
; LDSByteSize: 0 bytes/workgroup (compile time only)
; SGPRBlocks: 0
; VGPRBlocks: 0
; NumSGPRsForWavesPerEU: 6
; NumVGPRsForWavesPerEU: 1
; AccumOffset: 4
; Occupancy: 8
; WaveLimiterHint : 0
; COMPUTE_PGM_RSRC2:SCRATCH_EN: 0
; COMPUTE_PGM_RSRC2:USER_SGPR: 2
; COMPUTE_PGM_RSRC2:TRAP_HANDLER: 0
; COMPUTE_PGM_RSRC2:TGID_X_EN: 1
; COMPUTE_PGM_RSRC2:TGID_Y_EN: 0
; COMPUTE_PGM_RSRC2:TGID_Z_EN: 0
; COMPUTE_PGM_RSRC2:TIDIG_COMP_CNT: 0
; COMPUTE_PGM_RSRC3_GFX90A:ACCUM_OFFSET: 0
; COMPUTE_PGM_RSRC3_GFX90A:TG_SPLIT: 0
	.section	.text._ZN7rocprim17ROCPRIM_400000_NS6detail17trampoline_kernelINS0_14default_configENS1_27scan_by_key_config_selectorIssEEZZNS1_16scan_by_key_implILNS1_25lookback_scan_determinismE0ELb1ES3_N6thrust23THRUST_200600_302600_NS6detail15normal_iteratorINS9_10device_ptrIsEEEESE_SE_sNS9_4plusIsEE19head_flag_predicatesEE10hipError_tPvRmT2_T3_T4_T5_mT6_T7_P12ihipStream_tbENKUlT_T0_E_clISt17integral_constantIbLb1EESX_IbLb0EEEEDaST_SU_EUlST_E_NS1_11comp_targetILNS1_3genE10ELNS1_11target_archE1201ELNS1_3gpuE5ELNS1_3repE0EEENS1_30default_config_static_selectorELNS0_4arch9wavefront6targetE1EEEvT1_,"axG",@progbits,_ZN7rocprim17ROCPRIM_400000_NS6detail17trampoline_kernelINS0_14default_configENS1_27scan_by_key_config_selectorIssEEZZNS1_16scan_by_key_implILNS1_25lookback_scan_determinismE0ELb1ES3_N6thrust23THRUST_200600_302600_NS6detail15normal_iteratorINS9_10device_ptrIsEEEESE_SE_sNS9_4plusIsEE19head_flag_predicatesEE10hipError_tPvRmT2_T3_T4_T5_mT6_T7_P12ihipStream_tbENKUlT_T0_E_clISt17integral_constantIbLb1EESX_IbLb0EEEEDaST_SU_EUlST_E_NS1_11comp_targetILNS1_3genE10ELNS1_11target_archE1201ELNS1_3gpuE5ELNS1_3repE0EEENS1_30default_config_static_selectorELNS0_4arch9wavefront6targetE1EEEvT1_,comdat
	.protected	_ZN7rocprim17ROCPRIM_400000_NS6detail17trampoline_kernelINS0_14default_configENS1_27scan_by_key_config_selectorIssEEZZNS1_16scan_by_key_implILNS1_25lookback_scan_determinismE0ELb1ES3_N6thrust23THRUST_200600_302600_NS6detail15normal_iteratorINS9_10device_ptrIsEEEESE_SE_sNS9_4plusIsEE19head_flag_predicatesEE10hipError_tPvRmT2_T3_T4_T5_mT6_T7_P12ihipStream_tbENKUlT_T0_E_clISt17integral_constantIbLb1EESX_IbLb0EEEEDaST_SU_EUlST_E_NS1_11comp_targetILNS1_3genE10ELNS1_11target_archE1201ELNS1_3gpuE5ELNS1_3repE0EEENS1_30default_config_static_selectorELNS0_4arch9wavefront6targetE1EEEvT1_ ; -- Begin function _ZN7rocprim17ROCPRIM_400000_NS6detail17trampoline_kernelINS0_14default_configENS1_27scan_by_key_config_selectorIssEEZZNS1_16scan_by_key_implILNS1_25lookback_scan_determinismE0ELb1ES3_N6thrust23THRUST_200600_302600_NS6detail15normal_iteratorINS9_10device_ptrIsEEEESE_SE_sNS9_4plusIsEE19head_flag_predicatesEE10hipError_tPvRmT2_T3_T4_T5_mT6_T7_P12ihipStream_tbENKUlT_T0_E_clISt17integral_constantIbLb1EESX_IbLb0EEEEDaST_SU_EUlST_E_NS1_11comp_targetILNS1_3genE10ELNS1_11target_archE1201ELNS1_3gpuE5ELNS1_3repE0EEENS1_30default_config_static_selectorELNS0_4arch9wavefront6targetE1EEEvT1_
	.globl	_ZN7rocprim17ROCPRIM_400000_NS6detail17trampoline_kernelINS0_14default_configENS1_27scan_by_key_config_selectorIssEEZZNS1_16scan_by_key_implILNS1_25lookback_scan_determinismE0ELb1ES3_N6thrust23THRUST_200600_302600_NS6detail15normal_iteratorINS9_10device_ptrIsEEEESE_SE_sNS9_4plusIsEE19head_flag_predicatesEE10hipError_tPvRmT2_T3_T4_T5_mT6_T7_P12ihipStream_tbENKUlT_T0_E_clISt17integral_constantIbLb1EESX_IbLb0EEEEDaST_SU_EUlST_E_NS1_11comp_targetILNS1_3genE10ELNS1_11target_archE1201ELNS1_3gpuE5ELNS1_3repE0EEENS1_30default_config_static_selectorELNS0_4arch9wavefront6targetE1EEEvT1_
	.p2align	8
	.type	_ZN7rocprim17ROCPRIM_400000_NS6detail17trampoline_kernelINS0_14default_configENS1_27scan_by_key_config_selectorIssEEZZNS1_16scan_by_key_implILNS1_25lookback_scan_determinismE0ELb1ES3_N6thrust23THRUST_200600_302600_NS6detail15normal_iteratorINS9_10device_ptrIsEEEESE_SE_sNS9_4plusIsEE19head_flag_predicatesEE10hipError_tPvRmT2_T3_T4_T5_mT6_T7_P12ihipStream_tbENKUlT_T0_E_clISt17integral_constantIbLb1EESX_IbLb0EEEEDaST_SU_EUlST_E_NS1_11comp_targetILNS1_3genE10ELNS1_11target_archE1201ELNS1_3gpuE5ELNS1_3repE0EEENS1_30default_config_static_selectorELNS0_4arch9wavefront6targetE1EEEvT1_,@function
_ZN7rocprim17ROCPRIM_400000_NS6detail17trampoline_kernelINS0_14default_configENS1_27scan_by_key_config_selectorIssEEZZNS1_16scan_by_key_implILNS1_25lookback_scan_determinismE0ELb1ES3_N6thrust23THRUST_200600_302600_NS6detail15normal_iteratorINS9_10device_ptrIsEEEESE_SE_sNS9_4plusIsEE19head_flag_predicatesEE10hipError_tPvRmT2_T3_T4_T5_mT6_T7_P12ihipStream_tbENKUlT_T0_E_clISt17integral_constantIbLb1EESX_IbLb0EEEEDaST_SU_EUlST_E_NS1_11comp_targetILNS1_3genE10ELNS1_11target_archE1201ELNS1_3gpuE5ELNS1_3repE0EEENS1_30default_config_static_selectorELNS0_4arch9wavefront6targetE1EEEvT1_: ; @_ZN7rocprim17ROCPRIM_400000_NS6detail17trampoline_kernelINS0_14default_configENS1_27scan_by_key_config_selectorIssEEZZNS1_16scan_by_key_implILNS1_25lookback_scan_determinismE0ELb1ES3_N6thrust23THRUST_200600_302600_NS6detail15normal_iteratorINS9_10device_ptrIsEEEESE_SE_sNS9_4plusIsEE19head_flag_predicatesEE10hipError_tPvRmT2_T3_T4_T5_mT6_T7_P12ihipStream_tbENKUlT_T0_E_clISt17integral_constantIbLb1EESX_IbLb0EEEEDaST_SU_EUlST_E_NS1_11comp_targetILNS1_3genE10ELNS1_11target_archE1201ELNS1_3gpuE5ELNS1_3repE0EEENS1_30default_config_static_selectorELNS0_4arch9wavefront6targetE1EEEvT1_
; %bb.0:
	.section	.rodata,"a",@progbits
	.p2align	6, 0x0
	.amdhsa_kernel _ZN7rocprim17ROCPRIM_400000_NS6detail17trampoline_kernelINS0_14default_configENS1_27scan_by_key_config_selectorIssEEZZNS1_16scan_by_key_implILNS1_25lookback_scan_determinismE0ELb1ES3_N6thrust23THRUST_200600_302600_NS6detail15normal_iteratorINS9_10device_ptrIsEEEESE_SE_sNS9_4plusIsEE19head_flag_predicatesEE10hipError_tPvRmT2_T3_T4_T5_mT6_T7_P12ihipStream_tbENKUlT_T0_E_clISt17integral_constantIbLb1EESX_IbLb0EEEEDaST_SU_EUlST_E_NS1_11comp_targetILNS1_3genE10ELNS1_11target_archE1201ELNS1_3gpuE5ELNS1_3repE0EEENS1_30default_config_static_selectorELNS0_4arch9wavefront6targetE1EEEvT1_
		.amdhsa_group_segment_fixed_size 0
		.amdhsa_private_segment_fixed_size 0
		.amdhsa_kernarg_size 112
		.amdhsa_user_sgpr_count 2
		.amdhsa_user_sgpr_dispatch_ptr 0
		.amdhsa_user_sgpr_queue_ptr 0
		.amdhsa_user_sgpr_kernarg_segment_ptr 1
		.amdhsa_user_sgpr_dispatch_id 0
		.amdhsa_user_sgpr_kernarg_preload_length 0
		.amdhsa_user_sgpr_kernarg_preload_offset 0
		.amdhsa_user_sgpr_private_segment_size 0
		.amdhsa_uses_dynamic_stack 0
		.amdhsa_enable_private_segment 0
		.amdhsa_system_sgpr_workgroup_id_x 1
		.amdhsa_system_sgpr_workgroup_id_y 0
		.amdhsa_system_sgpr_workgroup_id_z 0
		.amdhsa_system_sgpr_workgroup_info 0
		.amdhsa_system_vgpr_workitem_id 0
		.amdhsa_next_free_vgpr 1
		.amdhsa_next_free_sgpr 0
		.amdhsa_accum_offset 4
		.amdhsa_reserve_vcc 0
		.amdhsa_float_round_mode_32 0
		.amdhsa_float_round_mode_16_64 0
		.amdhsa_float_denorm_mode_32 3
		.amdhsa_float_denorm_mode_16_64 3
		.amdhsa_dx10_clamp 1
		.amdhsa_ieee_mode 1
		.amdhsa_fp16_overflow 0
		.amdhsa_tg_split 0
		.amdhsa_exception_fp_ieee_invalid_op 0
		.amdhsa_exception_fp_denorm_src 0
		.amdhsa_exception_fp_ieee_div_zero 0
		.amdhsa_exception_fp_ieee_overflow 0
		.amdhsa_exception_fp_ieee_underflow 0
		.amdhsa_exception_fp_ieee_inexact 0
		.amdhsa_exception_int_div_zero 0
	.end_amdhsa_kernel
	.section	.text._ZN7rocprim17ROCPRIM_400000_NS6detail17trampoline_kernelINS0_14default_configENS1_27scan_by_key_config_selectorIssEEZZNS1_16scan_by_key_implILNS1_25lookback_scan_determinismE0ELb1ES3_N6thrust23THRUST_200600_302600_NS6detail15normal_iteratorINS9_10device_ptrIsEEEESE_SE_sNS9_4plusIsEE19head_flag_predicatesEE10hipError_tPvRmT2_T3_T4_T5_mT6_T7_P12ihipStream_tbENKUlT_T0_E_clISt17integral_constantIbLb1EESX_IbLb0EEEEDaST_SU_EUlST_E_NS1_11comp_targetILNS1_3genE10ELNS1_11target_archE1201ELNS1_3gpuE5ELNS1_3repE0EEENS1_30default_config_static_selectorELNS0_4arch9wavefront6targetE1EEEvT1_,"axG",@progbits,_ZN7rocprim17ROCPRIM_400000_NS6detail17trampoline_kernelINS0_14default_configENS1_27scan_by_key_config_selectorIssEEZZNS1_16scan_by_key_implILNS1_25lookback_scan_determinismE0ELb1ES3_N6thrust23THRUST_200600_302600_NS6detail15normal_iteratorINS9_10device_ptrIsEEEESE_SE_sNS9_4plusIsEE19head_flag_predicatesEE10hipError_tPvRmT2_T3_T4_T5_mT6_T7_P12ihipStream_tbENKUlT_T0_E_clISt17integral_constantIbLb1EESX_IbLb0EEEEDaST_SU_EUlST_E_NS1_11comp_targetILNS1_3genE10ELNS1_11target_archE1201ELNS1_3gpuE5ELNS1_3repE0EEENS1_30default_config_static_selectorELNS0_4arch9wavefront6targetE1EEEvT1_,comdat
.Lfunc_end876:
	.size	_ZN7rocprim17ROCPRIM_400000_NS6detail17trampoline_kernelINS0_14default_configENS1_27scan_by_key_config_selectorIssEEZZNS1_16scan_by_key_implILNS1_25lookback_scan_determinismE0ELb1ES3_N6thrust23THRUST_200600_302600_NS6detail15normal_iteratorINS9_10device_ptrIsEEEESE_SE_sNS9_4plusIsEE19head_flag_predicatesEE10hipError_tPvRmT2_T3_T4_T5_mT6_T7_P12ihipStream_tbENKUlT_T0_E_clISt17integral_constantIbLb1EESX_IbLb0EEEEDaST_SU_EUlST_E_NS1_11comp_targetILNS1_3genE10ELNS1_11target_archE1201ELNS1_3gpuE5ELNS1_3repE0EEENS1_30default_config_static_selectorELNS0_4arch9wavefront6targetE1EEEvT1_, .Lfunc_end876-_ZN7rocprim17ROCPRIM_400000_NS6detail17trampoline_kernelINS0_14default_configENS1_27scan_by_key_config_selectorIssEEZZNS1_16scan_by_key_implILNS1_25lookback_scan_determinismE0ELb1ES3_N6thrust23THRUST_200600_302600_NS6detail15normal_iteratorINS9_10device_ptrIsEEEESE_SE_sNS9_4plusIsEE19head_flag_predicatesEE10hipError_tPvRmT2_T3_T4_T5_mT6_T7_P12ihipStream_tbENKUlT_T0_E_clISt17integral_constantIbLb1EESX_IbLb0EEEEDaST_SU_EUlST_E_NS1_11comp_targetILNS1_3genE10ELNS1_11target_archE1201ELNS1_3gpuE5ELNS1_3repE0EEENS1_30default_config_static_selectorELNS0_4arch9wavefront6targetE1EEEvT1_
                                        ; -- End function
	.section	.AMDGPU.csdata,"",@progbits
; Kernel info:
; codeLenInByte = 0
; NumSgprs: 6
; NumVgprs: 0
; NumAgprs: 0
; TotalNumVgprs: 0
; ScratchSize: 0
; MemoryBound: 0
; FloatMode: 240
; IeeeMode: 1
; LDSByteSize: 0 bytes/workgroup (compile time only)
; SGPRBlocks: 0
; VGPRBlocks: 0
; NumSGPRsForWavesPerEU: 6
; NumVGPRsForWavesPerEU: 1
; AccumOffset: 4
; Occupancy: 8
; WaveLimiterHint : 0
; COMPUTE_PGM_RSRC2:SCRATCH_EN: 0
; COMPUTE_PGM_RSRC2:USER_SGPR: 2
; COMPUTE_PGM_RSRC2:TRAP_HANDLER: 0
; COMPUTE_PGM_RSRC2:TGID_X_EN: 1
; COMPUTE_PGM_RSRC2:TGID_Y_EN: 0
; COMPUTE_PGM_RSRC2:TGID_Z_EN: 0
; COMPUTE_PGM_RSRC2:TIDIG_COMP_CNT: 0
; COMPUTE_PGM_RSRC3_GFX90A:ACCUM_OFFSET: 0
; COMPUTE_PGM_RSRC3_GFX90A:TG_SPLIT: 0
	.section	.text._ZN7rocprim17ROCPRIM_400000_NS6detail17trampoline_kernelINS0_14default_configENS1_27scan_by_key_config_selectorIssEEZZNS1_16scan_by_key_implILNS1_25lookback_scan_determinismE0ELb1ES3_N6thrust23THRUST_200600_302600_NS6detail15normal_iteratorINS9_10device_ptrIsEEEESE_SE_sNS9_4plusIsEE19head_flag_predicatesEE10hipError_tPvRmT2_T3_T4_T5_mT6_T7_P12ihipStream_tbENKUlT_T0_E_clISt17integral_constantIbLb1EESX_IbLb0EEEEDaST_SU_EUlST_E_NS1_11comp_targetILNS1_3genE5ELNS1_11target_archE942ELNS1_3gpuE9ELNS1_3repE0EEENS1_30default_config_static_selectorELNS0_4arch9wavefront6targetE1EEEvT1_,"axG",@progbits,_ZN7rocprim17ROCPRIM_400000_NS6detail17trampoline_kernelINS0_14default_configENS1_27scan_by_key_config_selectorIssEEZZNS1_16scan_by_key_implILNS1_25lookback_scan_determinismE0ELb1ES3_N6thrust23THRUST_200600_302600_NS6detail15normal_iteratorINS9_10device_ptrIsEEEESE_SE_sNS9_4plusIsEE19head_flag_predicatesEE10hipError_tPvRmT2_T3_T4_T5_mT6_T7_P12ihipStream_tbENKUlT_T0_E_clISt17integral_constantIbLb1EESX_IbLb0EEEEDaST_SU_EUlST_E_NS1_11comp_targetILNS1_3genE5ELNS1_11target_archE942ELNS1_3gpuE9ELNS1_3repE0EEENS1_30default_config_static_selectorELNS0_4arch9wavefront6targetE1EEEvT1_,comdat
	.protected	_ZN7rocprim17ROCPRIM_400000_NS6detail17trampoline_kernelINS0_14default_configENS1_27scan_by_key_config_selectorIssEEZZNS1_16scan_by_key_implILNS1_25lookback_scan_determinismE0ELb1ES3_N6thrust23THRUST_200600_302600_NS6detail15normal_iteratorINS9_10device_ptrIsEEEESE_SE_sNS9_4plusIsEE19head_flag_predicatesEE10hipError_tPvRmT2_T3_T4_T5_mT6_T7_P12ihipStream_tbENKUlT_T0_E_clISt17integral_constantIbLb1EESX_IbLb0EEEEDaST_SU_EUlST_E_NS1_11comp_targetILNS1_3genE5ELNS1_11target_archE942ELNS1_3gpuE9ELNS1_3repE0EEENS1_30default_config_static_selectorELNS0_4arch9wavefront6targetE1EEEvT1_ ; -- Begin function _ZN7rocprim17ROCPRIM_400000_NS6detail17trampoline_kernelINS0_14default_configENS1_27scan_by_key_config_selectorIssEEZZNS1_16scan_by_key_implILNS1_25lookback_scan_determinismE0ELb1ES3_N6thrust23THRUST_200600_302600_NS6detail15normal_iteratorINS9_10device_ptrIsEEEESE_SE_sNS9_4plusIsEE19head_flag_predicatesEE10hipError_tPvRmT2_T3_T4_T5_mT6_T7_P12ihipStream_tbENKUlT_T0_E_clISt17integral_constantIbLb1EESX_IbLb0EEEEDaST_SU_EUlST_E_NS1_11comp_targetILNS1_3genE5ELNS1_11target_archE942ELNS1_3gpuE9ELNS1_3repE0EEENS1_30default_config_static_selectorELNS0_4arch9wavefront6targetE1EEEvT1_
	.globl	_ZN7rocprim17ROCPRIM_400000_NS6detail17trampoline_kernelINS0_14default_configENS1_27scan_by_key_config_selectorIssEEZZNS1_16scan_by_key_implILNS1_25lookback_scan_determinismE0ELb1ES3_N6thrust23THRUST_200600_302600_NS6detail15normal_iteratorINS9_10device_ptrIsEEEESE_SE_sNS9_4plusIsEE19head_flag_predicatesEE10hipError_tPvRmT2_T3_T4_T5_mT6_T7_P12ihipStream_tbENKUlT_T0_E_clISt17integral_constantIbLb1EESX_IbLb0EEEEDaST_SU_EUlST_E_NS1_11comp_targetILNS1_3genE5ELNS1_11target_archE942ELNS1_3gpuE9ELNS1_3repE0EEENS1_30default_config_static_selectorELNS0_4arch9wavefront6targetE1EEEvT1_
	.p2align	8
	.type	_ZN7rocprim17ROCPRIM_400000_NS6detail17trampoline_kernelINS0_14default_configENS1_27scan_by_key_config_selectorIssEEZZNS1_16scan_by_key_implILNS1_25lookback_scan_determinismE0ELb1ES3_N6thrust23THRUST_200600_302600_NS6detail15normal_iteratorINS9_10device_ptrIsEEEESE_SE_sNS9_4plusIsEE19head_flag_predicatesEE10hipError_tPvRmT2_T3_T4_T5_mT6_T7_P12ihipStream_tbENKUlT_T0_E_clISt17integral_constantIbLb1EESX_IbLb0EEEEDaST_SU_EUlST_E_NS1_11comp_targetILNS1_3genE5ELNS1_11target_archE942ELNS1_3gpuE9ELNS1_3repE0EEENS1_30default_config_static_selectorELNS0_4arch9wavefront6targetE1EEEvT1_,@function
_ZN7rocprim17ROCPRIM_400000_NS6detail17trampoline_kernelINS0_14default_configENS1_27scan_by_key_config_selectorIssEEZZNS1_16scan_by_key_implILNS1_25lookback_scan_determinismE0ELb1ES3_N6thrust23THRUST_200600_302600_NS6detail15normal_iteratorINS9_10device_ptrIsEEEESE_SE_sNS9_4plusIsEE19head_flag_predicatesEE10hipError_tPvRmT2_T3_T4_T5_mT6_T7_P12ihipStream_tbENKUlT_T0_E_clISt17integral_constantIbLb1EESX_IbLb0EEEEDaST_SU_EUlST_E_NS1_11comp_targetILNS1_3genE5ELNS1_11target_archE942ELNS1_3gpuE9ELNS1_3repE0EEENS1_30default_config_static_selectorELNS0_4arch9wavefront6targetE1EEEvT1_: ; @_ZN7rocprim17ROCPRIM_400000_NS6detail17trampoline_kernelINS0_14default_configENS1_27scan_by_key_config_selectorIssEEZZNS1_16scan_by_key_implILNS1_25lookback_scan_determinismE0ELb1ES3_N6thrust23THRUST_200600_302600_NS6detail15normal_iteratorINS9_10device_ptrIsEEEESE_SE_sNS9_4plusIsEE19head_flag_predicatesEE10hipError_tPvRmT2_T3_T4_T5_mT6_T7_P12ihipStream_tbENKUlT_T0_E_clISt17integral_constantIbLb1EESX_IbLb0EEEEDaST_SU_EUlST_E_NS1_11comp_targetILNS1_3genE5ELNS1_11target_archE942ELNS1_3gpuE9ELNS1_3repE0EEENS1_30default_config_static_selectorELNS0_4arch9wavefront6targetE1EEEvT1_
; %bb.0:
	s_load_dwordx8 s[48:55], s[0:1], 0x0
	s_load_dword s78, s[0:1], 0x20
	s_load_dwordx4 s[56:59], s[0:1], 0x28
	s_load_dwordx2 s[68:69], s[0:1], 0x38
	s_load_dword s3, s[0:1], 0x40
	s_load_dwordx4 s[60:63], s[0:1], 0x48
	s_waitcnt lgkmcnt(0)
	s_lshl_b64 s[64:65], s[50:51], 1
	s_add_u32 s4, s48, s64
	s_addc_u32 s5, s49, s65
	s_add_u32 s6, s52, s64
	s_mul_i32 s0, s69, s3
	s_mul_hi_u32 s1, s68, s3
	s_addc_u32 s7, s53, s65
	s_add_i32 s8, s1, s0
	s_mul_i32 s0, s2, 0x1800
	s_mov_b32 s1, 0
	s_lshl_b64 s[66:67], s[0:1], 1
	s_add_u32 s72, s4, s66
	s_addc_u32 s73, s5, s67
	s_add_u32 s70, s6, s66
	s_mul_i32 s3, s68, s3
	s_addc_u32 s71, s7, s67
	s_add_u32 s0, s3, s2
	s_addc_u32 s1, s8, 0
	s_add_u32 s6, s60, -1
	s_addc_u32 s7, s61, -1
	v_mov_b64_e32 v[2:3], s[6:7]
	v_cmp_ge_u64_e64 s[0:1], s[0:1], v[2:3]
	s_mov_b64 s[4:5], -1
	s_and_b64 vcc, exec, s[0:1]
	s_mul_i32 s33, s6, 0xffffe800
	s_barrier
	s_cbranch_vccz .LBB877_126
; %bb.1:
	v_mov_b64_e32 v[2:3], s[72:73]
	flat_load_ushort v2, v[2:3]
	s_add_i32 s59, s33, s58
	v_cmp_gt_u32_e32 vcc, s59, v0
	s_waitcnt vmcnt(0) lgkmcnt(0)
	v_mov_b32_e32 v3, v2
	s_and_saveexec_b64 s[4:5], vcc
	s_cbranch_execz .LBB877_3
; %bb.2:
	v_lshlrev_b32_e32 v4, 1, v0
	v_mov_b32_e32 v5, 0
	v_lshl_add_u64 v[4:5], s[72:73], 0, v[4:5]
	flat_load_ushort v3, v[4:5]
.LBB877_3:
	s_or_b64 exec, exec, s[4:5]
	v_or_b32_e32 v1, 0x100, v0
	v_cmp_gt_u32_e64 s[50:51], s59, v1
	v_mov_b32_e32 v4, v2
	s_and_saveexec_b64 s[4:5], s[50:51]
	s_cbranch_execz .LBB877_5
; %bb.4:
	v_lshlrev_b32_e32 v4, 1, v0
	v_mov_b32_e32 v5, 0
	v_lshl_add_u64 v[4:5], s[72:73], 0, v[4:5]
	flat_load_ushort v4, v[4:5] offset:512
.LBB877_5:
	s_or_b64 exec, exec, s[4:5]
	v_or_b32_e32 v1, 0x200, v0
	v_cmp_gt_u32_e64 s[4:5], s59, v1
	v_mov_b32_e32 v5, v2
	s_and_saveexec_b64 s[6:7], s[4:5]
	s_cbranch_execz .LBB877_7
; %bb.6:
	v_lshlrev_b32_e32 v6, 1, v0
	v_mov_b32_e32 v7, 0
	v_lshl_add_u64 v[6:7], s[72:73], 0, v[6:7]
	flat_load_ushort v5, v[6:7] offset:1024
.LBB877_7:
	;; [unrolled: 12-line block ×7, first 2 shown]
	s_or_b64 exec, exec, s[16:17]
	v_or_b32_e32 v1, 0x800, v0
	v_cmp_gt_u32_e64 s[16:17], s59, v1
	v_mov_b32_e32 v11, v2
	s_and_saveexec_b64 s[18:19], s[16:17]
	s_cbranch_execz .LBB877_19
; %bb.18:
	v_lshlrev_b32_e32 v12, 1, v1
	v_mov_b32_e32 v13, 0
	v_lshl_add_u64 v[12:13], s[72:73], 0, v[12:13]
	flat_load_ushort v11, v[12:13]
.LBB877_19:
	s_or_b64 exec, exec, s[18:19]
	v_or_b32_e32 v16, 0x900, v0
	v_cmp_gt_u32_e64 s[18:19], s59, v16
	v_mov_b32_e32 v12, v2
	s_and_saveexec_b64 s[20:21], s[18:19]
	s_cbranch_execz .LBB877_21
; %bb.20:
	v_lshlrev_b32_e32 v12, 1, v16
	v_mov_b32_e32 v13, 0
	v_lshl_add_u64 v[12:13], s[72:73], 0, v[12:13]
	flat_load_ushort v12, v[12:13]
.LBB877_21:
	;; [unrolled: 12-line block ×15, first 2 shown]
	s_or_b64 exec, exec, s[48:49]
	v_or_b32_e32 v31, 0x1700, v0
	v_cmp_gt_u32_e64 s[48:49], s59, v31
	s_and_saveexec_b64 s[52:53], s[48:49]
	s_cbranch_execz .LBB877_49
; %bb.48:
	v_lshlrev_b32_e32 v42, 1, v31
	v_mov_b32_e32 v43, 0
	v_lshl_add_u64 v[42:43], s[72:73], 0, v[42:43]
	flat_load_ushort v2, v[42:43]
.LBB877_49:
	s_or_b64 exec, exec, s[52:53]
	v_lshlrev_b32_e32 v14, 1, v0
	s_waitcnt vmcnt(0) lgkmcnt(0)
	ds_write_b16 v14, v3
	ds_write_b16 v14, v4 offset:512
	ds_write_b16 v14, v5 offset:1024
	;; [unrolled: 1-line block ×23, first 2 shown]
	v_mov_b64_e32 v[2:3], s[72:73]
	s_waitcnt lgkmcnt(0)
	s_barrier
	flat_load_ushort v26, v[2:3]
	v_mad_u32_u24 v42, v0, 46, v14
	ds_read_b128 v[10:13], v42
	ds_read_b128 v[6:9], v42 offset:16
	ds_read_b128 v[2:5], v42 offset:32
	s_movk_i32 s3, 0xffd2
	v_mad_i32_i24 v15, v0, s3, v42
	s_movk_i32 s3, 0xff
	v_cmp_ne_u32_e64 s[52:53], s3, v0
	s_waitcnt lgkmcnt(0)
	ds_write_b16 v15, v10 offset:12800
	s_waitcnt lgkmcnt(0)
	s_barrier
	s_and_saveexec_b64 s[60:61], s[52:53]
	s_cbranch_execz .LBB877_51
; %bb.50:
	s_waitcnt vmcnt(0)
	ds_read_u16 v26, v14 offset:12802
.LBB877_51:
	s_or_b64 exec, exec, s[60:61]
	v_mov_b32_e32 v15, 0
	s_waitcnt lgkmcnt(0)
	s_barrier
	s_waitcnt lgkmcnt(0)
                                        ; implicit-def: $vgpr32
	s_and_saveexec_b64 s[52:53], vcc
	s_cbranch_execz .LBB877_205
; %bb.52:
	v_lshl_add_u64 v[32:33], s[70:71], 0, v[14:15]
	flat_load_ushort v32, v[32:33]
	s_or_b64 exec, exec, s[52:53]
                                        ; implicit-def: $vgpr33
	s_and_saveexec_b64 s[52:53], s[50:51]
	s_cbranch_execnz .LBB877_206
.LBB877_53:
	s_or_b64 exec, exec, s[52:53]
                                        ; implicit-def: $vgpr34
	s_and_saveexec_b64 s[50:51], s[4:5]
	s_cbranch_execz .LBB877_207
.LBB877_54:
	v_mov_b32_e32 v15, 0
	v_lshl_add_u64 v[34:35], s[70:71], 0, v[14:15]
	flat_load_ushort v34, v[34:35] offset:1024
	s_or_b64 exec, exec, s[50:51]
                                        ; implicit-def: $vgpr35
	s_and_saveexec_b64 s[4:5], s[6:7]
	s_cbranch_execnz .LBB877_208
.LBB877_55:
	s_or_b64 exec, exec, s[4:5]
                                        ; implicit-def: $vgpr36
	s_and_saveexec_b64 s[4:5], s[8:9]
	s_cbranch_execz .LBB877_209
.LBB877_56:
	v_mov_b32_e32 v15, 0
	v_lshl_add_u64 v[36:37], s[70:71], 0, v[14:15]
	flat_load_ushort v36, v[36:37] offset:2048
	s_or_b64 exec, exec, s[4:5]
                                        ; implicit-def: $vgpr37
	s_and_saveexec_b64 s[4:5], s[10:11]
	s_cbranch_execnz .LBB877_210
.LBB877_57:
	s_or_b64 exec, exec, s[4:5]
                                        ; implicit-def: $vgpr38
	s_and_saveexec_b64 s[4:5], s[12:13]
	s_cbranch_execz .LBB877_211
.LBB877_58:
	v_mov_b32_e32 v15, 0
	v_lshl_add_u64 v[38:39], s[70:71], 0, v[14:15]
	flat_load_ushort v38, v[38:39] offset:3072
	s_or_b64 exec, exec, s[4:5]
                                        ; implicit-def: $vgpr15
	s_and_saveexec_b64 s[4:5], s[14:15]
	s_cbranch_execnz .LBB877_212
.LBB877_59:
	s_or_b64 exec, exec, s[4:5]
                                        ; implicit-def: $vgpr39
	s_and_saveexec_b64 s[4:5], s[16:17]
	s_cbranch_execz .LBB877_213
.LBB877_60:
	v_lshlrev_b32_e32 v40, 1, v1
	v_mov_b32_e32 v41, 0
	v_lshl_add_u64 v[40:41], s[70:71], 0, v[40:41]
	flat_load_ushort v39, v[40:41]
	s_or_b64 exec, exec, s[4:5]
                                        ; implicit-def: $vgpr1
	s_and_saveexec_b64 s[4:5], s[18:19]
	s_cbranch_execnz .LBB877_214
.LBB877_61:
	s_or_b64 exec, exec, s[4:5]
                                        ; implicit-def: $vgpr16
	s_and_saveexec_b64 s[4:5], s[20:21]
	s_cbranch_execz .LBB877_215
.LBB877_62:
	v_lshlrev_b32_e32 v16, 1, v17
	v_mov_b32_e32 v17, 0
	v_lshl_add_u64 v[16:17], s[70:71], 0, v[16:17]
	flat_load_ushort v16, v[16:17]
	s_or_b64 exec, exec, s[4:5]
                                        ; implicit-def: $vgpr17
	s_and_saveexec_b64 s[4:5], s[22:23]
	s_cbranch_execnz .LBB877_216
.LBB877_63:
	s_or_b64 exec, exec, s[4:5]
                                        ; implicit-def: $vgpr18
	s_and_saveexec_b64 s[4:5], s[24:25]
	s_cbranch_execz .LBB877_217
.LBB877_64:
	v_lshlrev_b32_e32 v18, 1, v19
	v_mov_b32_e32 v19, 0
	v_lshl_add_u64 v[18:19], s[70:71], 0, v[18:19]
	flat_load_ushort v18, v[18:19]
	s_or_b64 exec, exec, s[4:5]
                                        ; implicit-def: $vgpr19
	s_and_saveexec_b64 s[4:5], s[26:27]
	s_cbranch_execnz .LBB877_218
.LBB877_65:
	s_or_b64 exec, exec, s[4:5]
                                        ; implicit-def: $vgpr20
	s_and_saveexec_b64 s[4:5], s[28:29]
	s_cbranch_execz .LBB877_219
.LBB877_66:
	v_lshlrev_b32_e32 v20, 1, v21
	v_mov_b32_e32 v21, 0
	v_lshl_add_u64 v[20:21], s[70:71], 0, v[20:21]
	flat_load_ushort v20, v[20:21]
	s_or_b64 exec, exec, s[4:5]
                                        ; implicit-def: $vgpr21
	s_and_saveexec_b64 s[4:5], s[30:31]
	s_cbranch_execnz .LBB877_220
.LBB877_67:
	s_or_b64 exec, exec, s[4:5]
                                        ; implicit-def: $vgpr22
	s_and_saveexec_b64 s[4:5], s[34:35]
	s_cbranch_execz .LBB877_221
.LBB877_68:
	v_lshlrev_b32_e32 v22, 1, v23
	v_mov_b32_e32 v23, 0
	v_lshl_add_u64 v[22:23], s[70:71], 0, v[22:23]
	flat_load_ushort v22, v[22:23]
	s_or_b64 exec, exec, s[4:5]
                                        ; implicit-def: $vgpr23
	s_and_saveexec_b64 s[4:5], s[36:37]
	s_cbranch_execnz .LBB877_222
.LBB877_69:
	s_or_b64 exec, exec, s[4:5]
                                        ; implicit-def: $vgpr24
	s_and_saveexec_b64 s[4:5], s[38:39]
	s_cbranch_execz .LBB877_223
.LBB877_70:
	v_lshlrev_b32_e32 v24, 1, v25
	v_mov_b32_e32 v25, 0
	v_lshl_add_u64 v[24:25], s[70:71], 0, v[24:25]
	flat_load_ushort v24, v[24:25]
	s_or_b64 exec, exec, s[4:5]
                                        ; implicit-def: $vgpr25
	s_and_saveexec_b64 s[4:5], s[40:41]
	s_cbranch_execnz .LBB877_224
.LBB877_71:
	s_or_b64 exec, exec, s[4:5]
                                        ; implicit-def: $vgpr27
	s_and_saveexec_b64 s[4:5], s[42:43]
	s_cbranch_execz .LBB877_225
.LBB877_72:
	v_lshlrev_b32_e32 v40, 1, v28
	v_mov_b32_e32 v41, 0
	v_lshl_add_u64 v[40:41], s[70:71], 0, v[40:41]
	flat_load_ushort v27, v[40:41]
	s_or_b64 exec, exec, s[4:5]
                                        ; implicit-def: $vgpr28
	s_and_saveexec_b64 s[4:5], s[44:45]
	s_cbranch_execnz .LBB877_226
.LBB877_73:
	s_or_b64 exec, exec, s[4:5]
                                        ; implicit-def: $vgpr29
	s_and_saveexec_b64 s[4:5], s[46:47]
	s_cbranch_execz .LBB877_75
.LBB877_74:
	v_lshlrev_b32_e32 v40, 1, v30
	v_mov_b32_e32 v41, 0
	v_lshl_add_u64 v[40:41], s[70:71], 0, v[40:41]
	flat_load_ushort v29, v[40:41]
.LBB877_75:
	s_or_b64 exec, exec, s[4:5]
	v_mul_u32_u24_e32 v43, 24, v0
                                        ; implicit-def: $vgpr30
	s_and_saveexec_b64 s[4:5], s[48:49]
	s_cbranch_execz .LBB877_77
; %bb.76:
	v_lshlrev_b32_e32 v30, 1, v31
	v_mov_b32_e32 v31, 0
	v_lshl_add_u64 v[30:31], s[70:71], 0, v[30:31]
	flat_load_ushort v30, v[30:31]
.LBB877_77:
	s_or_b64 exec, exec, s[4:5]
	s_waitcnt vmcnt(0) lgkmcnt(0)
	ds_write_b16 v14, v32
	ds_write_b16 v14, v33 offset:512
	ds_write_b16 v14, v34 offset:1024
	;; [unrolled: 1-line block ×23, first 2 shown]
	v_cmp_gt_u32_e32 vcc, s59, v43
	s_mov_b64 s[4:5], 0
	s_mov_b32 s3, 0
	v_mov_b32_e32 v1, 0
	s_mov_b64 s[10:11], 0
	v_mov_b32_e32 v18, 0
	v_mov_b32_e32 v25, 0
	;; [unrolled: 1-line block ×22, first 2 shown]
	s_waitcnt lgkmcnt(0)
	s_barrier
	s_waitcnt lgkmcnt(0)
                                        ; implicit-def: $sgpr8_sgpr9
                                        ; implicit-def: $vgpr41
	s_and_saveexec_b64 s[6:7], vcc
	s_cbranch_execz .LBB877_125
; %bb.78:
	ds_read_u16 v1, v42
	v_mov_b32_e32 v18, 0
	v_mov_b32_e32 v15, s78
	v_cmp_eq_u16_sdwa vcc, v10, v18 src0_sel:WORD_1 src1_sel:DWORD
	v_cmp_ne_u16_sdwa s[8:9], v10, v18 src0_sel:WORD_1 src1_sel:DWORD
	v_or_b32_e32 v14, 1, v43
	s_waitcnt lgkmcnt(0)
	v_cndmask_b32_e32 v1, v15, v1, vcc
	v_and_b32_e32 v1, 0xffff, v1
	v_cndmask_b32_e64 v10, 0, 1, s[8:9]
	v_lshl_or_b32 v1, v10, 16, v1
	v_cmp_gt_u32_e32 vcc, s59, v14
	v_mov_b32_e32 v25, 0
	v_mov_b32_e32 v19, 0
	;; [unrolled: 1-line block ×21, first 2 shown]
                                        ; implicit-def: $sgpr12_sgpr13
                                        ; implicit-def: $vgpr41
	s_and_saveexec_b64 s[8:9], vcc
	s_cbranch_execz .LBB877_124
; %bb.79:
	ds_read_b128 v[14:17], v42 offset:2
	v_mov_b32_e32 v18, s78
	v_cmp_eq_u16_e32 vcc, 0, v11
	v_or_b32_e32 v10, 2, v43
	s_mov_b64 s[14:15], 0
	s_waitcnt lgkmcnt(0)
	v_cndmask_b32_e32 v18, v18, v14, vcc
	v_cmp_ne_u16_e32 vcc, 0, v11
	v_and_b32_e32 v18, 0xffff, v18
	v_mov_b32_e32 v25, 0
	v_cndmask_b32_e64 v19, 0, 1, vcc
	v_lshl_or_b32 v18, v19, 16, v18
	v_cmp_gt_u32_e32 vcc, s59, v10
	v_mov_b32_e32 v19, 0
	v_mov_b32_e32 v27, 0
	;; [unrolled: 1-line block ×20, first 2 shown]
                                        ; implicit-def: $sgpr12_sgpr13
                                        ; implicit-def: $vgpr41
	s_and_saveexec_b64 s[10:11], vcc
	s_cbranch_execz .LBB877_123
; %bb.80:
	v_mov_b32_e32 v19, 0
	v_lshrrev_b32_e32 v10, 16, v14
	v_mov_b32_e32 v20, s78
	v_cmp_eq_u16_sdwa vcc, v11, v19 src0_sel:WORD_1 src1_sel:DWORD
	v_cmp_ne_u16_sdwa s[12:13], v11, v19 src0_sel:WORD_1 src1_sel:DWORD
	v_or_b32_e32 v14, 3, v43
	v_cndmask_b32_e32 v10, v20, v10, vcc
	v_and_b32_e32 v10, 0xffff, v10
	v_cndmask_b32_e64 v11, 0, 1, s[12:13]
	v_lshl_or_b32 v25, v11, 16, v10
	v_cmp_gt_u32_e32 vcc, s59, v14
	v_mov_b32_e32 v27, 0
	v_mov_b32_e32 v20, 0
	;; [unrolled: 1-line block ×19, first 2 shown]
                                        ; implicit-def: $sgpr16_sgpr17
                                        ; implicit-def: $vgpr41
	s_and_saveexec_b64 s[12:13], vcc
	s_cbranch_execz .LBB877_122
; %bb.81:
	v_mov_b32_e32 v11, s78
	v_cmp_eq_u16_e32 vcc, 0, v12
	v_or_b32_e32 v10, 4, v43
	s_mov_b64 s[18:19], 0
	v_cndmask_b32_e32 v11, v11, v15, vcc
	v_cmp_ne_u16_e32 vcc, 0, v12
	v_and_b32_e32 v11, 0xffff, v11
	v_mov_b32_e32 v27, 0
	v_cndmask_b32_e64 v14, 0, 1, vcc
	v_lshl_or_b32 v19, v14, 16, v11
	v_cmp_gt_u32_e32 vcc, s59, v10
	v_mov_b32_e32 v20, 0
	v_mov_b32_e32 v28, 0
	;; [unrolled: 1-line block ×18, first 2 shown]
                                        ; implicit-def: $sgpr16_sgpr17
                                        ; implicit-def: $vgpr41
	s_and_saveexec_b64 s[14:15], vcc
	s_cbranch_execz .LBB877_121
; %bb.82:
	v_mov_b32_e32 v20, 0
	v_lshrrev_b32_e32 v10, 16, v15
	v_mov_b32_e32 v14, s78
	v_cmp_eq_u16_sdwa vcc, v12, v20 src0_sel:WORD_1 src1_sel:DWORD
	v_cmp_ne_u16_sdwa s[16:17], v12, v20 src0_sel:WORD_1 src1_sel:DWORD
	v_or_b32_e32 v11, 5, v43
	v_cndmask_b32_e32 v10, v14, v10, vcc
	v_and_b32_e32 v10, 0xffff, v10
	v_cndmask_b32_e64 v12, 0, 1, s[16:17]
	v_lshl_or_b32 v27, v12, 16, v10
	v_cmp_gt_u32_e32 vcc, s59, v11
	v_mov_b32_e32 v28, 0
	v_mov_b32_e32 v21, 0
	;; [unrolled: 1-line block ×17, first 2 shown]
                                        ; implicit-def: $sgpr20_sgpr21
                                        ; implicit-def: $vgpr41
	s_and_saveexec_b64 s[16:17], vcc
	s_cbranch_execz .LBB877_120
; %bb.83:
	v_mov_b32_e32 v11, s78
	v_cmp_eq_u16_e32 vcc, 0, v13
	v_or_b32_e32 v10, 6, v43
	s_mov_b64 s[22:23], 0
	v_cndmask_b32_e32 v11, v11, v16, vcc
	v_cmp_ne_u16_e32 vcc, 0, v13
	v_and_b32_e32 v11, 0xffff, v11
	v_mov_b32_e32 v28, 0
	v_cndmask_b32_e64 v12, 0, 1, vcc
	v_lshl_or_b32 v20, v12, 16, v11
	v_cmp_gt_u32_e32 vcc, s59, v10
	v_mov_b32_e32 v21, 0
	v_mov_b32_e32 v29, 0
	;; [unrolled: 1-line block ×16, first 2 shown]
                                        ; implicit-def: $sgpr20_sgpr21
                                        ; implicit-def: $vgpr41
	s_and_saveexec_b64 s[18:19], vcc
	s_cbranch_execz .LBB877_119
; %bb.84:
	v_mov_b32_e32 v21, 0
	v_lshrrev_b32_e32 v10, 16, v16
	v_mov_b32_e32 v12, s78
	v_cmp_eq_u16_sdwa vcc, v13, v21 src0_sel:WORD_1 src1_sel:DWORD
	v_cmp_ne_u16_sdwa s[20:21], v13, v21 src0_sel:WORD_1 src1_sel:DWORD
	v_or_b32_e32 v11, 7, v43
	v_cndmask_b32_e32 v10, v12, v10, vcc
	v_and_b32_e32 v10, 0xffff, v10
	v_cndmask_b32_e64 v12, 0, 1, s[20:21]
	v_lshl_or_b32 v28, v12, 16, v10
	v_cmp_gt_u32_e32 vcc, s59, v11
	v_mov_b32_e32 v29, 0
	v_mov_b32_e32 v30, 0
	v_mov_b32_e32 v31, 0
	v_mov_b32_e32 v32, 0
	v_mov_b32_e32 v33, 0
	v_mov_b32_e32 v34, 0
	v_mov_b32_e32 v35, 0
	v_mov_b32_e32 v36, 0
	v_mov_b32_e32 v37, 0
	v_mov_b32_e32 v22, 0
	v_mov_b32_e32 v38, 0
	v_mov_b32_e32 v23, 0
	v_mov_b32_e32 v39, 0
	v_mov_b32_e32 v24, 0
	v_mov_b32_e32 v40, 0
                                        ; implicit-def: $sgpr24_sgpr25
                                        ; implicit-def: $vgpr41
	s_and_saveexec_b64 s[20:21], vcc
	s_cbranch_execz .LBB877_118
; %bb.85:
	v_mov_b32_e32 v11, s78
	v_cmp_eq_u16_e32 vcc, 0, v6
	v_add_u32_e32 v10, 8, v43
	s_mov_b64 s[26:27], 0
	v_cndmask_b32_e32 v11, v11, v17, vcc
	v_cmp_ne_u16_e32 vcc, 0, v6
	v_and_b32_e32 v11, 0xffff, v11
	v_mov_b32_e32 v29, 0
	v_cndmask_b32_e64 v12, 0, 1, vcc
	v_lshl_or_b32 v21, v12, 16, v11
	v_cmp_gt_u32_e32 vcc, s59, v10
	v_mov_b32_e32 v30, 0
	v_mov_b32_e32 v31, 0
	;; [unrolled: 1-line block ×14, first 2 shown]
                                        ; implicit-def: $sgpr24_sgpr25
                                        ; implicit-def: $vgpr41
	s_and_saveexec_b64 s[22:23], vcc
	s_cbranch_execz .LBB877_117
; %bb.86:
	v_mov_b32_e32 v30, 0
	v_lshrrev_b32_e32 v10, 16, v17
	v_mov_b32_e32 v12, s78
	v_cmp_eq_u16_sdwa vcc, v6, v30 src0_sel:WORD_1 src1_sel:DWORD
	v_cmp_ne_u16_sdwa s[24:25], v6, v30 src0_sel:WORD_1 src1_sel:DWORD
	v_add_u32_e32 v11, 9, v43
	v_cndmask_b32_e32 v10, v12, v10, vcc
	v_and_b32_e32 v10, 0xffff, v10
	v_cndmask_b32_e64 v6, 0, 1, s[24:25]
	v_lshl_or_b32 v29, v6, 16, v10
	v_cmp_gt_u32_e32 vcc, s59, v11
	v_mov_b32_e32 v31, 0
	v_mov_b32_e32 v32, 0
	;; [unrolled: 1-line block ×13, first 2 shown]
                                        ; implicit-def: $sgpr28_sgpr29
                                        ; implicit-def: $vgpr41
	s_and_saveexec_b64 s[24:25], vcc
	s_cbranch_execz .LBB877_116
; %bb.87:
	ds_read_b128 v[10:13], v42 offset:18
	v_mov_b32_e32 v14, s78
	v_cmp_eq_u16_e32 vcc, 0, v7
	v_add_u32_e32 v6, 10, v43
	s_mov_b64 s[30:31], 0
	s_waitcnt lgkmcnt(0)
	v_cndmask_b32_e32 v14, v14, v10, vcc
	v_cmp_ne_u16_e32 vcc, 0, v7
	v_and_b32_e32 v14, 0xffff, v14
	v_mov_b32_e32 v31, 0
	v_cndmask_b32_e64 v15, 0, 1, vcc
	v_lshl_or_b32 v30, v15, 16, v14
	v_cmp_gt_u32_e32 vcc, s59, v6
	v_mov_b32_e32 v32, 0
	v_mov_b32_e32 v33, 0
	;; [unrolled: 1-line block ×12, first 2 shown]
                                        ; implicit-def: $sgpr28_sgpr29
                                        ; implicit-def: $vgpr41
	s_and_saveexec_b64 s[26:27], vcc
	s_cbranch_execz .LBB877_115
; %bb.88:
	v_mov_b32_e32 v32, 0
	v_lshrrev_b32_e32 v6, 16, v10
	v_mov_b32_e32 v14, s78
	v_cmp_eq_u16_sdwa vcc, v7, v32 src0_sel:WORD_1 src1_sel:DWORD
	v_cmp_ne_u16_sdwa s[28:29], v7, v32 src0_sel:WORD_1 src1_sel:DWORD
	v_add_u32_e32 v10, 11, v43
	v_cndmask_b32_e32 v6, v14, v6, vcc
	v_and_b32_e32 v6, 0xffff, v6
	v_cndmask_b32_e64 v7, 0, 1, s[28:29]
	v_lshl_or_b32 v31, v7, 16, v6
	v_cmp_gt_u32_e32 vcc, s59, v10
	v_mov_b32_e32 v33, 0
	v_mov_b32_e32 v34, 0
	;; [unrolled: 1-line block ×11, first 2 shown]
                                        ; implicit-def: $sgpr34_sgpr35
                                        ; implicit-def: $vgpr41
	s_and_saveexec_b64 s[28:29], vcc
	s_cbranch_execz .LBB877_114
; %bb.89:
	v_mov_b32_e32 v7, s78
	v_cmp_eq_u16_e32 vcc, 0, v8
	v_add_u32_e32 v6, 12, v43
	s_mov_b64 s[36:37], 0
	v_cndmask_b32_e32 v7, v7, v11, vcc
	v_cmp_ne_u16_e32 vcc, 0, v8
	v_and_b32_e32 v7, 0xffff, v7
	v_mov_b32_e32 v33, 0
	v_cndmask_b32_e64 v10, 0, 1, vcc
	v_lshl_or_b32 v32, v10, 16, v7
	v_cmp_gt_u32_e32 vcc, s59, v6
	v_mov_b32_e32 v34, 0
	v_mov_b32_e32 v35, 0
	;; [unrolled: 1-line block ×10, first 2 shown]
                                        ; implicit-def: $sgpr34_sgpr35
                                        ; implicit-def: $vgpr41
	s_and_saveexec_b64 s[30:31], vcc
	s_cbranch_execz .LBB877_113
; %bb.90:
	v_mov_b32_e32 v34, 0
	v_lshrrev_b32_e32 v6, 16, v11
	v_mov_b32_e32 v10, s78
	v_cmp_eq_u16_sdwa vcc, v8, v34 src0_sel:WORD_1 src1_sel:DWORD
	v_cmp_ne_u16_sdwa s[34:35], v8, v34 src0_sel:WORD_1 src1_sel:DWORD
	v_add_u32_e32 v7, 13, v43
	v_cndmask_b32_e32 v6, v10, v6, vcc
	v_and_b32_e32 v6, 0xffff, v6
	v_cndmask_b32_e64 v8, 0, 1, s[34:35]
	v_lshl_or_b32 v33, v8, 16, v6
	v_cmp_gt_u32_e32 vcc, s59, v7
	v_mov_b32_e32 v35, 0
	v_mov_b32_e32 v36, 0
	;; [unrolled: 1-line block ×9, first 2 shown]
                                        ; implicit-def: $sgpr38_sgpr39
                                        ; implicit-def: $vgpr41
	s_and_saveexec_b64 s[34:35], vcc
	s_cbranch_execz .LBB877_112
; %bb.91:
	v_mov_b32_e32 v7, s78
	v_cmp_eq_u16_e32 vcc, 0, v9
	v_add_u32_e32 v6, 14, v43
	s_mov_b64 s[40:41], 0
	v_cndmask_b32_e32 v7, v7, v12, vcc
	v_cmp_ne_u16_e32 vcc, 0, v9
	v_and_b32_e32 v7, 0xffff, v7
	v_mov_b32_e32 v35, 0
	v_cndmask_b32_e64 v8, 0, 1, vcc
	v_lshl_or_b32 v34, v8, 16, v7
	v_cmp_gt_u32_e32 vcc, s59, v6
	v_mov_b32_e32 v36, 0
	v_mov_b32_e32 v37, 0
	;; [unrolled: 1-line block ×8, first 2 shown]
                                        ; implicit-def: $sgpr38_sgpr39
                                        ; implicit-def: $vgpr41
	s_and_saveexec_b64 s[36:37], vcc
	s_cbranch_execz .LBB877_111
; %bb.92:
	v_mov_b32_e32 v36, 0
	v_lshrrev_b32_e32 v6, 16, v12
	v_mov_b32_e32 v8, s78
	v_cmp_eq_u16_sdwa vcc, v9, v36 src0_sel:WORD_1 src1_sel:DWORD
	v_cmp_ne_u16_sdwa s[38:39], v9, v36 src0_sel:WORD_1 src1_sel:DWORD
	v_add_u32_e32 v7, 15, v43
	v_cndmask_b32_e32 v6, v8, v6, vcc
	v_and_b32_e32 v6, 0xffff, v6
	v_cndmask_b32_e64 v8, 0, 1, s[38:39]
	v_lshl_or_b32 v35, v8, 16, v6
	v_cmp_gt_u32_e32 vcc, s59, v7
	v_mov_b32_e32 v37, 0
	v_mov_b32_e32 v22, 0
	;; [unrolled: 1-line block ×7, first 2 shown]
                                        ; implicit-def: $sgpr42_sgpr43
                                        ; implicit-def: $vgpr41
	s_and_saveexec_b64 s[38:39], vcc
	s_cbranch_execz .LBB877_110
; %bb.93:
	v_mov_b32_e32 v7, s78
	v_cmp_eq_u16_e32 vcc, 0, v2
	v_add_u32_e32 v6, 16, v43
	s_mov_b64 s[44:45], 0
	v_cndmask_b32_e32 v7, v7, v13, vcc
	v_cmp_ne_u16_e32 vcc, 0, v2
	v_and_b32_e32 v7, 0xffff, v7
	v_mov_b32_e32 v37, 0
	v_cndmask_b32_e64 v8, 0, 1, vcc
	v_lshl_or_b32 v36, v8, 16, v7
	v_cmp_gt_u32_e32 vcc, s59, v6
	v_mov_b32_e32 v22, 0
	v_mov_b32_e32 v38, 0
	;; [unrolled: 1-line block ×6, first 2 shown]
                                        ; implicit-def: $sgpr42_sgpr43
                                        ; implicit-def: $vgpr41
	s_and_saveexec_b64 s[40:41], vcc
	s_cbranch_execz .LBB877_109
; %bb.94:
	v_mov_b32_e32 v22, 0
	v_lshrrev_b32_e32 v6, 16, v13
	v_mov_b32_e32 v8, s78
	v_cmp_eq_u16_sdwa vcc, v2, v22 src0_sel:WORD_1 src1_sel:DWORD
	v_cmp_ne_u16_sdwa s[42:43], v2, v22 src0_sel:WORD_1 src1_sel:DWORD
	v_add_u32_e32 v7, 17, v43
	v_cndmask_b32_e32 v6, v8, v6, vcc
	v_and_b32_e32 v6, 0xffff, v6
	v_cndmask_b32_e64 v2, 0, 1, s[42:43]
	v_lshl_or_b32 v37, v2, 16, v6
	v_cmp_gt_u32_e32 vcc, s59, v7
	v_mov_b32_e32 v38, 0
	v_mov_b32_e32 v23, 0
	;; [unrolled: 1-line block ×5, first 2 shown]
                                        ; implicit-def: $sgpr46_sgpr47
                                        ; implicit-def: $vgpr41
	s_and_saveexec_b64 s[42:43], vcc
	s_cbranch_execz .LBB877_108
; %bb.95:
	ds_read_b96 v[6:8], v42 offset:34
	v_mov_b32_e32 v9, s78
	v_cmp_eq_u16_e32 vcc, 0, v3
	v_add_u32_e32 v2, 18, v43
	s_mov_b64 s[48:49], 0
	s_waitcnt lgkmcnt(0)
	v_cndmask_b32_e32 v9, v9, v6, vcc
	v_cmp_ne_u16_e32 vcc, 0, v3
	v_and_b32_e32 v9, 0xffff, v9
	v_mov_b32_e32 v38, 0
	v_cndmask_b32_e64 v10, 0, 1, vcc
	v_lshl_or_b32 v22, v10, 16, v9
	v_cmp_gt_u32_e32 vcc, s59, v2
	v_mov_b32_e32 v23, 0
	v_mov_b32_e32 v39, 0
	;; [unrolled: 1-line block ×4, first 2 shown]
                                        ; implicit-def: $sgpr46_sgpr47
                                        ; implicit-def: $vgpr41
	s_and_saveexec_b64 s[44:45], vcc
	s_cbranch_execz .LBB877_107
; %bb.96:
	v_mov_b32_e32 v23, 0
	v_lshrrev_b32_e32 v2, 16, v6
	v_mov_b32_e32 v9, s78
	v_cmp_eq_u16_sdwa vcc, v3, v23 src0_sel:WORD_1 src1_sel:DWORD
	v_cmp_ne_u16_sdwa s[46:47], v3, v23 src0_sel:WORD_1 src1_sel:DWORD
	v_add_u32_e32 v6, 19, v43
	v_cndmask_b32_e32 v2, v9, v2, vcc
	v_and_b32_e32 v2, 0xffff, v2
	v_cndmask_b32_e64 v3, 0, 1, s[46:47]
	v_lshl_or_b32 v38, v3, 16, v2
	v_cmp_gt_u32_e32 vcc, s59, v6
	v_mov_b32_e32 v39, 0
	v_mov_b32_e32 v24, 0
	;; [unrolled: 1-line block ×3, first 2 shown]
                                        ; implicit-def: $sgpr50_sgpr51
                                        ; implicit-def: $vgpr41
	s_and_saveexec_b64 s[46:47], vcc
	s_cbranch_execz .LBB877_106
; %bb.97:
	v_mov_b32_e32 v3, s78
	v_cmp_eq_u16_e32 vcc, 0, v4
	v_add_u32_e32 v2, 20, v43
	s_mov_b64 s[52:53], 0
	v_cndmask_b32_e32 v3, v3, v7, vcc
	v_cmp_ne_u16_e32 vcc, 0, v4
	v_and_b32_e32 v3, 0xffff, v3
	v_mov_b32_e32 v39, 0
	v_cndmask_b32_e64 v6, 0, 1, vcc
	v_lshl_or_b32 v23, v6, 16, v3
	v_cmp_gt_u32_e32 vcc, s59, v2
	v_mov_b32_e32 v24, 0
	v_mov_b32_e32 v40, 0
                                        ; implicit-def: $sgpr50_sgpr51
                                        ; implicit-def: $vgpr41
	s_and_saveexec_b64 s[48:49], vcc
	s_cbranch_execz .LBB877_105
; %bb.98:
	v_mov_b32_e32 v24, 0
	v_lshrrev_b32_e32 v2, 16, v7
	v_mov_b32_e32 v6, s78
	v_cmp_eq_u16_sdwa vcc, v4, v24 src0_sel:WORD_1 src1_sel:DWORD
	v_cmp_ne_u16_sdwa s[50:51], v4, v24 src0_sel:WORD_1 src1_sel:DWORD
	v_add_u32_e32 v3, 21, v43
	v_cndmask_b32_e32 v2, v6, v2, vcc
	v_and_b32_e32 v2, 0xffff, v2
	v_cndmask_b32_e64 v4, 0, 1, s[50:51]
	v_lshl_or_b32 v39, v4, 16, v2
	v_cmp_gt_u32_e32 vcc, s59, v3
	v_mov_b32_e32 v40, 0
                                        ; implicit-def: $sgpr60_sgpr61
                                        ; implicit-def: $vgpr41
	s_and_saveexec_b64 s[50:51], vcc
	s_cbranch_execz .LBB877_104
; %bb.99:
	v_mov_b32_e32 v3, s78
	v_cmp_eq_u16_e32 vcc, 0, v5
	v_add_u32_e32 v2, 22, v43
	s_mov_b64 s[74:75], 0
	v_cndmask_b32_e32 v3, v3, v8, vcc
	v_cmp_ne_u16_e32 vcc, 0, v5
	v_and_b32_e32 v3, 0xffff, v3
	v_mov_b32_e32 v40, 0
	v_cndmask_b32_e64 v4, 0, 1, vcc
	v_lshl_or_b32 v24, v4, 16, v3
	v_cmp_gt_u32_e32 vcc, s59, v2
                                        ; implicit-def: $sgpr76_sgpr77
                                        ; implicit-def: $vgpr41
	s_and_saveexec_b64 s[52:53], vcc
	s_cbranch_execz .LBB877_103
; %bb.100:
	v_mov_b32_e32 v3, 0
	v_lshrrev_b32_e32 v2, 16, v8
	v_mov_b32_e32 v6, s78
	v_cmp_eq_u16_sdwa vcc, v5, v3 src0_sel:WORD_1 src1_sel:DWORD
	v_cmp_ne_u16_sdwa s[60:61], v5, v3 src0_sel:WORD_1 src1_sel:DWORD
	v_add_u32_e32 v4, 23, v43
	v_cndmask_b32_e32 v2, v6, v2, vcc
	v_and_b32_e32 v2, 0xffff, v2
	v_cndmask_b32_e64 v3, 0, 1, s[60:61]
	v_lshl_or_b32 v40, v3, 16, v2
	v_cmp_gt_u32_e32 vcc, s59, v4
	s_mov_b64 s[60:61], 0
                                        ; implicit-def: $sgpr74_sgpr75
                                        ; implicit-def: $vgpr41
	s_and_saveexec_b64 s[76:77], vcc
	s_xor_b64 s[76:77], exec, s[76:77]
	s_cbranch_execz .LBB877_102
; %bb.101:
	ds_read_u16 v2, v42 offset:46
	v_mov_b32_e32 v3, s78
	v_cmp_ne_u16_e32 vcc, 0, v26
	s_mov_b64 s[60:61], exec
	s_and_b64 s[74:75], vcc, exec
	s_waitcnt lgkmcnt(0)
	v_cndmask_b32_e32 v41, v2, v3, vcc
.LBB877_102:
	s_or_b64 exec, exec, s[76:77]
	s_and_b64 s[76:77], s[74:75], exec
	s_and_b64 s[74:75], s[60:61], exec
.LBB877_103:
	s_or_b64 exec, exec, s[52:53]
	s_and_b64 s[60:61], s[76:77], exec
	s_and_b64 s[52:53], s[74:75], exec
.LBB877_104:
	s_or_b64 exec, exec, s[50:51]
	s_and_b64 s[50:51], s[60:61], exec
	s_and_b64 s[52:53], s[52:53], exec
.LBB877_105:
	s_or_b64 exec, exec, s[48:49]
	s_and_b64 s[50:51], s[50:51], exec
	s_and_b64 s[48:49], s[52:53], exec
.LBB877_106:
	s_or_b64 exec, exec, s[46:47]
	s_and_b64 s[46:47], s[50:51], exec
	s_and_b64 s[48:49], s[48:49], exec
.LBB877_107:
	s_or_b64 exec, exec, s[44:45]
	s_and_b64 s[46:47], s[46:47], exec
	s_and_b64 s[44:45], s[48:49], exec
.LBB877_108:
	s_or_b64 exec, exec, s[42:43]
	s_and_b64 s[42:43], s[46:47], exec
	s_and_b64 s[44:45], s[44:45], exec
.LBB877_109:
	s_or_b64 exec, exec, s[40:41]
	s_and_b64 s[42:43], s[42:43], exec
	s_and_b64 s[40:41], s[44:45], exec
.LBB877_110:
	s_or_b64 exec, exec, s[38:39]
	s_and_b64 s[38:39], s[42:43], exec
	s_and_b64 s[40:41], s[40:41], exec
.LBB877_111:
	s_or_b64 exec, exec, s[36:37]
	s_and_b64 s[38:39], s[38:39], exec
	s_and_b64 s[36:37], s[40:41], exec
.LBB877_112:
	s_or_b64 exec, exec, s[34:35]
	s_and_b64 s[34:35], s[38:39], exec
	s_and_b64 s[36:37], s[36:37], exec
.LBB877_113:
	s_or_b64 exec, exec, s[30:31]
	s_and_b64 s[34:35], s[34:35], exec
	s_and_b64 s[30:31], s[36:37], exec
.LBB877_114:
	s_or_b64 exec, exec, s[28:29]
	s_and_b64 s[28:29], s[34:35], exec
	s_and_b64 s[30:31], s[30:31], exec
.LBB877_115:
	s_or_b64 exec, exec, s[26:27]
	s_and_b64 s[28:29], s[28:29], exec
	s_and_b64 s[26:27], s[30:31], exec
.LBB877_116:
	s_or_b64 exec, exec, s[24:25]
	s_and_b64 s[24:25], s[28:29], exec
	s_and_b64 s[26:27], s[26:27], exec
.LBB877_117:
	s_or_b64 exec, exec, s[22:23]
	s_and_b64 s[24:25], s[24:25], exec
	s_and_b64 s[22:23], s[26:27], exec
.LBB877_118:
	s_or_b64 exec, exec, s[20:21]
	s_and_b64 s[20:21], s[24:25], exec
	s_and_b64 s[22:23], s[22:23], exec
.LBB877_119:
	s_or_b64 exec, exec, s[18:19]
	s_and_b64 s[20:21], s[20:21], exec
	s_and_b64 s[18:19], s[22:23], exec
.LBB877_120:
	s_or_b64 exec, exec, s[16:17]
	s_and_b64 s[16:17], s[20:21], exec
	s_and_b64 s[18:19], s[18:19], exec
.LBB877_121:
	s_or_b64 exec, exec, s[14:15]
	s_and_b64 s[16:17], s[16:17], exec
	s_and_b64 s[14:15], s[18:19], exec
.LBB877_122:
	s_or_b64 exec, exec, s[12:13]
	s_and_b64 s[12:13], s[16:17], exec
	s_and_b64 s[14:15], s[14:15], exec
.LBB877_123:
	s_or_b64 exec, exec, s[10:11]
	s_and_b64 s[12:13], s[12:13], exec
	s_and_b64 s[10:11], s[14:15], exec
.LBB877_124:
	s_or_b64 exec, exec, s[8:9]
	s_and_b64 s[8:9], s[12:13], exec
	s_and_b64 s[10:11], s[10:11], exec
.LBB877_125:
	s_or_b64 exec, exec, s[6:7]
	s_and_b64 vcc, exec, s[4:5]
	v_lshlrev_b32_e32 v26, 1, v0
	s_cbranch_vccnz .LBB877_127
	s_branch .LBB877_132
.LBB877_126:
	s_mov_b64 s[10:11], 0
                                        ; implicit-def: $sgpr8_sgpr9
                                        ; implicit-def: $vgpr41
                                        ; implicit-def: $vgpr1
                                        ; implicit-def: $vgpr18
                                        ; implicit-def: $vgpr25
                                        ; implicit-def: $vgpr19
                                        ; implicit-def: $vgpr27
                                        ; implicit-def: $vgpr20
                                        ; implicit-def: $vgpr28
                                        ; implicit-def: $vgpr21
                                        ; implicit-def: $vgpr29
                                        ; implicit-def: $vgpr30
                                        ; implicit-def: $vgpr31
                                        ; implicit-def: $vgpr32
                                        ; implicit-def: $vgpr33
                                        ; implicit-def: $vgpr34
                                        ; implicit-def: $vgpr35
                                        ; implicit-def: $vgpr36
                                        ; implicit-def: $vgpr37
                                        ; implicit-def: $vgpr22
                                        ; implicit-def: $vgpr38
                                        ; implicit-def: $vgpr23
                                        ; implicit-def: $vgpr39
                                        ; implicit-def: $vgpr24
                                        ; implicit-def: $vgpr40
                                        ; implicit-def: $sgpr3
	s_and_b64 vcc, exec, s[4:5]
	v_lshlrev_b32_e32 v26, 1, v0
	s_cbranch_vccz .LBB877_132
.LBB877_127:
	v_mov_b32_e32 v27, 0
	v_lshl_add_u64 v[2:3], s[72:73], 0, v[26:27]
	v_add_co_u32_e32 v4, vcc, 0x1000, v2
	flat_load_ushort v1, v[2:3]
	flat_load_ushort v6, v[2:3] offset:512
	flat_load_ushort v7, v[2:3] offset:1024
	;; [unrolled: 1-line block ×7, first 2 shown]
	v_addc_co_u32_e32 v5, vcc, 0, v3, vcc
	v_add_co_u32_e32 v2, vcc, 0x2000, v2
	flat_load_ushort v13, v[4:5]
	flat_load_ushort v14, v[4:5] offset:512
	flat_load_ushort v15, v[4:5] offset:1024
	;; [unrolled: 1-line block ×7, first 2 shown]
	v_addc_co_u32_e32 v3, vcc, 0, v3, vcc
	flat_load_ushort v4, v[2:3]
	flat_load_ushort v5, v[2:3] offset:512
	flat_load_ushort v21, v[2:3] offset:1024
	;; [unrolled: 1-line block ×7, first 2 shown]
	v_mov_b32_e32 v2, s72
	v_mov_b32_e32 v3, s73
	v_add_co_u32_e32 v2, vcc, 0x3000, v2
	s_movk_i32 s4, 0xffd2
	s_nop 0
	v_addc_co_u32_e32 v3, vcc, 0, v3, vcc
	s_movk_i32 s6, 0x1000
	s_movk_i32 s3, 0x2000
	s_waitcnt vmcnt(0) lgkmcnt(0)
	ds_write_b16 v26, v1
	ds_write_b16 v26, v6 offset:512
	ds_write_b16 v26, v7 offset:1024
	;; [unrolled: 1-line block ×23, first 2 shown]
	s_waitcnt lgkmcnt(0)
	s_barrier
	flat_load_ushort v41, v[2:3]
	v_mad_u32_u24 v1, v0, 46, v26
	ds_read_b128 v[10:13], v1
	ds_read_b128 v[6:9], v1 offset:16
	ds_read_b128 v[2:5], v1 offset:32
	v_mad_i32_i24 v14, v0, s4, v1
	s_movk_i32 s4, 0xff
	v_cmp_ne_u32_e32 vcc, s4, v0
	s_waitcnt lgkmcnt(0)
	ds_write_b16 v14, v10 offset:12800
	s_waitcnt lgkmcnt(0)
	s_barrier
	s_and_saveexec_b64 s[4:5], vcc
	s_cbranch_execz .LBB877_129
; %bb.128:
	s_waitcnt vmcnt(0)
	ds_read_u16 v41, v26 offset:12802
.LBB877_129:
	s_or_b64 exec, exec, s[4:5]
	v_lshl_add_u64 v[14:15], s[70:71], 0, v[26:27]
	v_add_co_u32_e32 v16, vcc, s6, v14
	s_waitcnt lgkmcnt(0)
	s_nop 0
	v_addc_co_u32_e32 v17, vcc, 0, v15, vcc
	s_barrier
	flat_load_ushort v18, v[14:15]
	flat_load_ushort v19, v[14:15] offset:512
	flat_load_ushort v20, v[14:15] offset:1024
	;; [unrolled: 1-line block ×7, first 2 shown]
	v_add_co_u32_e32 v14, vcc, s3, v14
	flat_load_ushort v28, v[16:17]
	flat_load_ushort v29, v[16:17] offset:512
	flat_load_ushort v30, v[16:17] offset:1024
	;; [unrolled: 1-line block ×7, first 2 shown]
	v_addc_co_u32_e32 v15, vcc, 0, v15, vcc
	flat_load_ushort v16, v[14:15]
	flat_load_ushort v17, v[14:15] offset:512
	flat_load_ushort v36, v[14:15] offset:1024
	;; [unrolled: 1-line block ×7, first 2 shown]
	v_cmp_eq_u16_sdwa s[6:7], v10, v27 src0_sel:WORD_1 src1_sel:DWORD
	v_mov_b32_e32 v10, 0x10000
	s_waitcnt vmcnt(0) lgkmcnt(0)
	ds_write_b16 v26, v18
	ds_write_b16 v26, v19 offset:512
	ds_write_b16 v26, v20 offset:1024
	;; [unrolled: 1-line block ×23, first 2 shown]
	s_waitcnt lgkmcnt(0)
	s_barrier
	ds_read_b128 v[18:21], v1 offset:2
	ds_read_b128 v[14:17], v1 offset:18
	ds_read_b96 v[22:24], v1 offset:34
	ds_read_u16 v42, v1 offset:46
	v_mov_b32_e32 v25, s78
	s_and_saveexec_b64 s[4:5], s[6:7]
	s_cbranch_execz .LBB877_131
; %bb.130:
	ds_read_u16 v25, v1
	v_mov_b32_e32 v10, v27
.LBB877_131:
	s_or_b64 exec, exec, s[4:5]
	s_waitcnt lgkmcnt(0)
	v_or_b32_sdwa v1, v10, v25 dst_sel:DWORD dst_unused:UNUSED_PAD src0_sel:DWORD src1_sel:WORD_0
	v_mov_b32_e32 v10, s78
	v_cmp_eq_u16_e32 vcc, 0, v11
	v_lshrrev_b32_e32 v27, 16, v18
	v_mov_b32_e32 v43, 0
	v_cndmask_b32_e32 v18, v10, v18, vcc
	v_cmp_ne_u16_e32 vcc, 0, v11
	v_and_b32_e32 v18, 0xffff, v18
	v_cmp_ne_u16_sdwa s[4:5], v11, v43 src0_sel:WORD_1 src1_sel:DWORD
	v_cndmask_b32_e64 v25, 0, 1, vcc
	v_cmp_eq_u16_sdwa vcc, v11, v43 src0_sel:WORD_1 src1_sel:DWORD
	v_lshl_or_b32 v18, v25, 16, v18
	v_cndmask_b32_e64 v11, 0, 1, s[4:5]
	v_cndmask_b32_e32 v25, v10, v27, vcc
	v_and_b32_e32 v25, 0xffff, v25
	v_cmp_eq_u16_e32 vcc, 0, v12
	v_lshl_or_b32 v25, v11, 16, v25
	v_lshrrev_b32_e32 v28, 16, v19
	v_cndmask_b32_e32 v11, v10, v19, vcc
	v_cmp_ne_u16_e32 vcc, 0, v12
	v_and_b32_e32 v11, 0xffff, v11
	v_cmp_ne_u16_sdwa s[4:5], v12, v43 src0_sel:WORD_1 src1_sel:DWORD
	v_cndmask_b32_e64 v19, 0, 1, vcc
	v_cmp_eq_u16_sdwa vcc, v12, v43 src0_sel:WORD_1 src1_sel:DWORD
	v_lshl_or_b32 v19, v19, 16, v11
	v_cndmask_b32_e64 v12, 0, 1, s[4:5]
	v_cndmask_b32_e32 v11, v10, v28, vcc
	v_and_b32_e32 v11, 0xffff, v11
	v_cmp_eq_u16_e32 vcc, 0, v13
	v_lshl_or_b32 v27, v12, 16, v11
	v_lshrrev_b32_e32 v29, 16, v20
	;; [unrolled: 13-line block ×10, first 2 shown]
	v_cndmask_b32_e32 v2, v10, v24, vcc
	v_cmp_ne_u16_e32 vcc, 0, v5
	v_and_b32_e32 v2, 0xffff, v2
	v_cmp_ne_u16_sdwa s[4:5], v5, v43 src0_sel:WORD_1 src1_sel:DWORD
	v_cndmask_b32_e64 v3, 0, 1, vcc
	v_cmp_eq_u16_sdwa vcc, v5, v43 src0_sel:WORD_1 src1_sel:DWORD
	v_lshl_or_b32 v24, v3, 16, v2
	v_cndmask_b32_e64 v3, 0, 1, s[4:5]
	v_cndmask_b32_e32 v2, v10, v40, vcc
	v_and_b32_e32 v2, 0xffff, v2
	v_cmp_ne_u16_e64 s[8:9], 0, v41
	v_lshl_or_b32 v40, v3, 16, v2
	s_mov_b64 s[10:11], -1
	v_cndmask_b32_e64 v41, v42, v10, s[8:9]
                                        ; implicit-def: $sgpr3
.LBB877_132:
	v_mov_b32_e32 v12, s3
	s_and_saveexec_b64 s[4:5], s[10:11]
; %bb.133:
	v_mov_b32_e32 v2, 0x10000
	v_cndmask_b32_e64 v2, 0, v2, s[8:9]
	v_or_b32_sdwa v12, v2, v41 dst_sel:DWORD dst_unused:UNUSED_PAD src0_sel:DWORD src1_sel:WORD_0
; %bb.134:
	s_or_b64 exec, exec, s[4:5]
	v_or3_b32 v2, v12, v40, v24
	s_cmp_lg_u32 s2, 0
	v_or3_b32 v14, v2, v39, v23
	v_mbcnt_lo_u32_b32 v13, -1, 0
	s_barrier
	s_cbranch_scc0 .LBB877_227
; %bb.135:
	s_mov_b32 s3, 0x10000
	v_cmp_gt_u32_e64 s[50:51], s3, v18
	v_cmp_gt_u32_e64 s[4:5], s3, v25
	v_cmp_gt_u32_e64 s[6:7], s3, v19
	v_cndmask_b32_e64 v2, 0, v1, s[50:51]
	v_add_u16_e32 v2, v2, v18
	v_cndmask_b32_e64 v2, 0, v2, s[4:5]
	v_add_u16_e32 v2, v2, v25
	v_cndmask_b32_e64 v2, 0, v2, s[6:7]
	v_add_u16_e32 v2, v2, v19
	v_cmp_gt_u32_e64 s[8:9], s3, v27
	v_cmp_gt_u32_e64 s[10:11], s3, v20
	v_cmp_gt_u32_e64 s[12:13], s3, v28
	v_cndmask_b32_e64 v2, 0, v2, s[8:9]
	v_add_u16_e32 v2, v2, v27
	v_cndmask_b32_e64 v2, 0, v2, s[10:11]
	v_add_u16_e32 v2, v2, v20
	v_cndmask_b32_e64 v2, 0, v2, s[12:13]
	v_add_u16_e32 v2, v2, v28
	;; [unrolled: 9-line block ×5, first 2 shown]
	v_cmp_gt_u32_e64 s[34:35], s3, v37
	v_cmp_gt_u32_e64 s[36:37], s3, v22
	;; [unrolled: 1-line block ×3, first 2 shown]
	v_cndmask_b32_e64 v2, 0, v2, s[34:35]
	v_add_u16_e32 v2, v2, v37
	v_cndmask_b32_e64 v2, 0, v2, s[36:37]
	v_add_u16_e32 v2, v2, v22
	v_cndmask_b32_e64 v2, 0, v2, s[38:39]
	v_or3_b32 v5, v14, v38, v22
	v_add_u16_e32 v2, v2, v38
	v_cmp_gt_u32_e64 s[40:41], s3, v23
	v_or3_b32 v5, v5, v37, v36
	v_or3_b32 v5, v5, v35, v34
	v_cndmask_b32_e64 v2, 0, v2, s[40:41]
	v_add_u16_e32 v2, v2, v23
	v_cmp_gt_u32_e64 s[42:43], s3, v39
	v_or3_b32 v5, v5, v33, v32
	v_or3_b32 v5, v5, v31, v30
	v_cndmask_b32_e64 v2, 0, v2, s[42:43]
	;; [unrolled: 5-line block ×4, first 2 shown]
	v_add_u16_e32 v2, v2, v40
	v_cmp_gt_u32_e32 vcc, s3, v12
	v_and_b32_e32 v5, 0x10000, v5
	v_and_b32_e32 v3, 0x10000, v1
	v_cndmask_b32_e32 v4, 0, v2, vcc
	v_mov_b32_e32 v6, 0x10000
	v_cmp_ne_u32_e32 vcc, 0, v5
	v_add_u16_e32 v2, v4, v12
	v_add_u16_e32 v4, v4, v12
	v_cndmask_b32_e32 v6, v3, v6, vcc
	v_mbcnt_hi_u32_b32 v5, -1, v13
	v_and_b32_e32 v7, 15, v5
	v_or_b32_e32 v4, v6, v4
	v_lshrrev_b32_e32 v3, 16, v6
	v_cmp_ne_u32_e32 vcc, 0, v7
	v_mov_b32_dpp v8, v4 row_shr:1 row_mask:0xf bank_mask:0xf
	s_and_saveexec_b64 s[48:49], vcc
	s_cbranch_execz .LBB877_137
; %bb.136:
	v_cmp_eq_u32_e32 vcc, 0, v6
	v_and_b32_e32 v3, 0x10000, v6
	v_mov_b32_e32 v6, 1
	v_cndmask_b32_e32 v4, 0, v8, vcc
	v_and_b32_sdwa v6, v8, v6 dst_sel:DWORD dst_unused:UNUSED_PAD src0_sel:WORD_1 src1_sel:DWORD
	v_cmp_ne_u32_e32 vcc, 0, v3
	v_add_u16_e32 v9, v4, v2
	v_add_u16_e32 v2, v4, v2
	v_cndmask_b32_e64 v3, v6, 1, vcc
	v_lshlrev_b32_e32 v6, 16, v3
	v_or_b32_e32 v4, v6, v2
	v_mov_b32_e32 v2, v9
.LBB877_137:
	s_or_b64 exec, exec, s[48:49]
	v_lshrrev_b32_e32 v6, 16, v4
	v_mov_b32_dpp v8, v4 row_shr:2 row_mask:0xf bank_mask:0xf
	v_cmp_lt_u32_e32 vcc, 1, v7
	s_and_saveexec_b64 s[48:49], vcc
	s_cbranch_execz .LBB877_139
; %bb.138:
	v_cmp_gt_u32_e32 vcc, s3, v4
	v_and_b32_e32 v3, 0x10000, v4
	v_mov_b32_e32 v4, 1
	v_cndmask_b32_e32 v6, 0, v8, vcc
	v_and_b32_sdwa v4, v8, v4 dst_sel:DWORD dst_unused:UNUSED_PAD src0_sel:WORD_1 src1_sel:DWORD
	v_cmp_ne_u32_e32 vcc, 0, v3
	v_add_u16_e32 v9, v6, v2
	v_add_u16_e32 v2, v6, v2
	v_cndmask_b32_e64 v3, v4, 1, vcc
	v_lshlrev_b32_e32 v4, 16, v3
	v_or_b32_e32 v4, v4, v2
	v_mov_b32_e32 v6, v3
	v_mov_b32_e32 v2, v9
.LBB877_139:
	s_or_b64 exec, exec, s[48:49]
	v_mov_b32_dpp v8, v4 row_shr:4 row_mask:0xf bank_mask:0xf
	v_cmp_lt_u32_e32 vcc, 3, v7
	s_and_saveexec_b64 s[48:49], vcc
	s_cbranch_execz .LBB877_141
; %bb.140:
	v_cmp_eq_u16_e32 vcc, 0, v6
	v_and_b32_e32 v3, 1, v6
	v_mov_b32_e32 v6, 1
	v_cndmask_b32_e32 v4, 0, v8, vcc
	v_and_b32_sdwa v6, v8, v6 dst_sel:DWORD dst_unused:UNUSED_PAD src0_sel:WORD_1 src1_sel:DWORD
	v_cmp_eq_u32_e32 vcc, 1, v3
	v_add_u16_e32 v9, v4, v2
	v_add_u16_e32 v2, v4, v2
	v_cndmask_b32_e64 v3, v6, 1, vcc
	v_lshlrev_b32_e32 v6, 16, v3
	v_or_b32_e32 v4, v6, v2
	v_mov_b32_e32 v6, v3
	v_mov_b32_e32 v2, v9
.LBB877_141:
	s_or_b64 exec, exec, s[48:49]
	v_mov_b32_dpp v8, v4 row_shr:8 row_mask:0xf bank_mask:0xf
	v_cmp_lt_u32_e32 vcc, 7, v7
	s_and_saveexec_b64 s[48:49], vcc
	s_cbranch_execz .LBB877_143
; %bb.142:
	v_cmp_eq_u16_e32 vcc, 0, v6
	v_and_b32_e32 v3, 1, v6
	v_mov_b32_e32 v6, 1
	v_cndmask_b32_e32 v4, 0, v8, vcc
	v_and_b32_sdwa v6, v8, v6 dst_sel:DWORD dst_unused:UNUSED_PAD src0_sel:WORD_1 src1_sel:DWORD
	v_cmp_eq_u32_e32 vcc, 1, v3
	v_add_u16_e32 v7, v4, v2
	v_add_u16_e32 v2, v4, v2
	v_cndmask_b32_e64 v3, v6, 1, vcc
	v_lshlrev_b32_e32 v6, 16, v3
	v_or_b32_e32 v4, v6, v2
	v_mov_b32_e32 v6, v3
	v_mov_b32_e32 v2, v7
.LBB877_143:
	s_or_b64 exec, exec, s[48:49]
	v_and_b32_e32 v8, 16, v5
	v_mov_b32_dpp v7, v4 row_bcast:15 row_mask:0xf bank_mask:0xf
	v_cmp_ne_u32_e32 vcc, 0, v8
	s_and_saveexec_b64 s[48:49], vcc
	s_cbranch_execz .LBB877_145
; %bb.144:
	v_cmp_eq_u16_e32 vcc, 0, v6
	v_and_b32_e32 v3, 1, v6
	v_mov_b32_e32 v6, 1
	v_cndmask_b32_e32 v4, 0, v7, vcc
	v_and_b32_sdwa v6, v7, v6 dst_sel:DWORD dst_unused:UNUSED_PAD src0_sel:WORD_1 src1_sel:DWORD
	v_cmp_eq_u32_e32 vcc, 1, v3
	v_add_u16_e32 v8, v4, v2
	v_add_u16_e32 v2, v4, v2
	v_cndmask_b32_e64 v3, v6, 1, vcc
	v_lshlrev_b32_e32 v6, 16, v3
	v_or_b32_e32 v4, v6, v2
	v_mov_b32_e32 v6, v3
	v_mov_b32_e32 v2, v8
.LBB877_145:
	s_or_b64 exec, exec, s[48:49]
	v_mov_b32_dpp v4, v4 row_bcast:31 row_mask:0xf bank_mask:0xf
	v_cmp_lt_u32_e32 vcc, 31, v5
	s_and_saveexec_b64 s[48:49], vcc
; %bb.146:
	v_cmp_eq_u16_e32 vcc, 0, v6
	s_nop 1
	v_cndmask_b32_e32 v3, 0, v4, vcc
	v_add_u16_e32 v2, v3, v2
	v_and_b32_e32 v3, 1, v6
	v_mov_b32_e32 v6, 1
	v_and_b32_sdwa v4, v4, v6 dst_sel:DWORD dst_unused:UNUSED_PAD src0_sel:WORD_1 src1_sel:DWORD
	v_cmp_eq_u32_e32 vcc, 1, v3
	s_nop 1
	v_cndmask_b32_e64 v3, v4, 1, vcc
; %bb.147:
	s_or_b64 exec, exec, s[48:49]
	v_or_b32_e32 v6, 63, v0
	v_lshrrev_b32_e32 v4, 6, v0
	v_cmp_eq_u32_e32 vcc, v6, v0
	s_and_saveexec_b64 s[48:49], vcc
	s_cbranch_execz .LBB877_149
; %bb.148:
	v_lshlrev_b32_e32 v6, 2, v4
	ds_write_b16 v6, v2
	ds_write_b8 v6, v3 offset:2
.LBB877_149:
	s_or_b64 exec, exec, s[48:49]
	v_cmp_gt_u32_e32 vcc, 4, v0
	s_waitcnt lgkmcnt(0)
	s_barrier
	s_and_saveexec_b64 s[48:49], vcc
	s_cbranch_execz .LBB877_155
; %bb.150:
	v_lshlrev_b32_e32 v6, 2, v0
	ds_read_b32 v7, v6
	v_and_b32_e32 v10, 3, v5
	v_cmp_ne_u32_e32 vcc, 0, v10
	s_waitcnt lgkmcnt(0)
	v_lshrrev_b32_e32 v9, 16, v7
	v_mov_b32_dpp v11, v7 row_shr:1 row_mask:0xf bank_mask:0xf
	v_mov_b32_e32 v8, v7
	s_and_saveexec_b64 s[52:53], vcc
	s_cbranch_execz .LBB877_152
; %bb.151:
	v_mov_b32_e32 v8, 0
	v_cmp_eq_u16_sdwa vcc, v9, v8 src0_sel:BYTE_0 src1_sel:DWORD
	v_and_b32_e32 v9, 0x10000, v7
	v_mov_b32_e32 v17, 1
	v_cndmask_b32_e32 v16, 0, v11, vcc
	v_and_b32_sdwa v11, v11, v17 dst_sel:DWORD dst_unused:UNUSED_PAD src0_sel:WORD_1 src1_sel:DWORD
	v_cmp_ne_u32_e32 vcc, 0, v9
	v_and_b32_e32 v15, 0xff000000, v7
	v_add_u16_e32 v8, v16, v7
	v_cndmask_b32_e64 v9, v11, 1, vcc
	v_lshlrev_b32_e32 v11, 16, v9
	v_add_u16_e32 v7, v16, v7
	v_or3_b32 v7, v11, v15, v7
.LBB877_152:
	s_or_b64 exec, exec, s[52:53]
	s_nop 0
	v_mov_b32_dpp v11, v7 row_shr:2 row_mask:0xf bank_mask:0xf
	v_cmp_lt_u32_e32 vcc, 1, v10
	s_and_saveexec_b64 s[52:53], vcc
; %bb.153:
	v_and_b32_e32 v9, 0xff0000, v7
	v_cmp_eq_u32_e32 vcc, 0, v9
	v_and_b32_e32 v7, 0x10000, v7
	s_nop 0
	v_cndmask_b32_e32 v9, 0, v11, vcc
	v_add_u16_e32 v8, v9, v8
	v_mov_b32_e32 v9, 1
	v_and_b32_sdwa v9, v11, v9 dst_sel:DWORD dst_unused:UNUSED_PAD src0_sel:WORD_1 src1_sel:DWORD
	v_cmp_eq_u32_e32 vcc, 0, v7
	s_nop 1
	v_cndmask_b32_e32 v9, 1, v9, vcc
; %bb.154:
	s_or_b64 exec, exec, s[52:53]
	ds_write_b16 v6, v8
	ds_write_b8 v6, v9 offset:2
.LBB877_155:
	s_or_b64 exec, exec, s[48:49]
	v_cmp_gt_u32_e32 vcc, 64, v0
	v_cmp_lt_u32_e64 s[48:49], 63, v0
	v_mov_b32_e32 v15, 0
	v_mov_b32_e32 v16, 0
	s_waitcnt lgkmcnt(0)
	s_barrier
	s_and_saveexec_b64 s[52:53], s[48:49]
	s_cbranch_execz .LBB877_157
; %bb.156:
	v_lshl_add_u32 v4, v4, 2, -4
	ds_read_u16 v15, v4
	ds_read_u8 v16, v4 offset:2
	v_and_b32_e32 v6, 1, v3
	v_cmp_eq_u16_e64 s[48:49], 0, v3
	s_waitcnt lgkmcnt(1)
	s_nop 0
	v_cndmask_b32_e64 v3, 0, v15, s[48:49]
	v_cmp_eq_u32_e64 s[48:49], 1, v6
	v_add_u16_e32 v2, v3, v2
	s_waitcnt lgkmcnt(0)
	v_cndmask_b32_e64 v3, v16, 1, s[48:49]
.LBB877_157:
	s_or_b64 exec, exec, s[52:53]
	v_and_b32_e32 v3, 0xff, v3
	v_and_b32_e32 v2, 0xffff, v2
	v_lshl_or_b32 v2, v3, 16, v2
	v_add_u32_e32 v3, -1, v5
	v_and_b32_e32 v4, 64, v5
	v_cmp_lt_i32_e64 s[48:49], v3, v4
	s_nop 1
	v_cndmask_b32_e64 v3, v3, v5, s[48:49]
	v_lshlrev_b32_e32 v3, 2, v3
	ds_bpermute_b32 v17, v3, v2
	v_cmp_eq_u32_e64 s[48:49], 0, v5
	s_and_saveexec_b64 s[52:53], vcc
	s_cbranch_execz .LBB877_204
; %bb.158:
	v_mov_b32_e32 v11, 0
	ds_read_b32 v2, v11 offset:12
	s_and_saveexec_b64 s[60:61], s[48:49]
	s_cbranch_execz .LBB877_160
; %bb.159:
	s_add_i32 s70, s2, 64
	s_mov_b32 s71, 0
	s_lshl_b64 s[70:71], s[70:71], 3
	s_add_u32 s70, s56, s70
	v_mov_b32_e32 v3, 1
	s_addc_u32 s71, s57, s71
	s_waitcnt lgkmcnt(0)
	global_store_dwordx2 v11, v[2:3], s[70:71] sc1
.LBB877_160:
	s_or_b64 exec, exec, s[60:61]
	v_xad_u32 v4, v5, -1, s2
	v_add_u32_e32 v10, 64, v4
	v_lshl_add_u64 v[8:9], v[10:11], 3, s[56:57]
	global_load_dwordx2 v[6:7], v[8:9], off sc1
	s_waitcnt vmcnt(0)
	v_cmp_eq_u16_sdwa s[70:71], v7, v11 src0_sel:BYTE_0 src1_sel:DWORD
	s_and_saveexec_b64 s[60:61], s[70:71]
	s_cbranch_execz .LBB877_166
; %bb.161:
	s_mov_b32 s3, 1
	s_mov_b64 s[70:71], 0
	v_mov_b32_e32 v3, 0
.LBB877_162:                            ; =>This Loop Header: Depth=1
                                        ;     Child Loop BB877_163 Depth 2
	s_max_u32 s59, s3, 1
.LBB877_163:                            ;   Parent Loop BB877_162 Depth=1
                                        ; =>  This Inner Loop Header: Depth=2
	s_add_i32 s59, s59, -1
	s_cmp_eq_u32 s59, 0
	s_sleep 1
	s_cbranch_scc0 .LBB877_163
; %bb.164:                              ;   in Loop: Header=BB877_162 Depth=1
	global_load_dwordx2 v[6:7], v[8:9], off sc1
	s_cmp_lt_u32 s3, 32
	s_cselect_b64 s[72:73], -1, 0
	s_cmp_lg_u64 s[72:73], 0
	s_addc_u32 s3, s3, 0
	s_waitcnt vmcnt(0)
	v_cmp_ne_u16_sdwa s[72:73], v7, v3 src0_sel:BYTE_0 src1_sel:DWORD
	s_or_b64 s[70:71], s[72:73], s[70:71]
	s_andn2_b64 exec, exec, s[70:71]
	s_cbranch_execnz .LBB877_162
; %bb.165:
	s_or_b64 exec, exec, s[70:71]
.LBB877_166:
	s_or_b64 exec, exec, s[60:61]
	v_mov_b32_e32 v3, 2
	v_cmp_eq_u16_sdwa s[60:61], v7, v3 src0_sel:BYTE_0 src1_sel:DWORD
	v_lshlrev_b64 v[8:9], v5, -1
	v_and_b32_e32 v52, 0xffffff, v6
	v_and_b32_e32 v3, s61, v9
	v_or_b32_e32 v3, 0x80000000, v3
	v_ffbl_b32_e32 v3, v3
	v_add_u32_e32 v11, 32, v3
	v_and_b32_e32 v3, 63, v5
	v_cmp_ne_u32_e32 vcc, 63, v3
	v_and_b32_e32 v10, s60, v8
	v_ffbl_b32_e32 v10, v10
	v_addc_co_u32_e32 v41, vcc, 0, v5, vcc
	v_lshlrev_b32_e32 v41, 2, v41
	ds_bpermute_b32 v42, v41, v52
	v_min_u32_e32 v11, v10, v11
	v_lshrrev_b32_e32 v10, 16, v6
	v_cmp_lt_u32_e32 vcc, v3, v11
	v_bfe_u32 v50, v6, 16, 8
	s_and_saveexec_b64 s[60:61], vcc
	s_cbranch_execz .LBB877_168
; %bb.167:
	v_and_b32_e32 v10, 0xff0000, v6
	v_cmp_eq_u32_e32 vcc, 0, v10
	v_and_b32_e32 v10, 0x10000, v10
	v_mov_b32_e32 v45, 1
	s_waitcnt lgkmcnt(0)
	v_cndmask_b32_e32 v43, 0, v42, vcc
	v_and_b32_sdwa v42, v42, v45 dst_sel:DWORD dst_unused:UNUSED_PAD src0_sel:WORD_1 src1_sel:DWORD
	v_cmp_ne_u32_e32 vcc, 0, v10
	v_add_u16_e32 v44, v43, v6
	v_add_u16_e32 v6, v43, v6
	v_cndmask_b32_e64 v10, v42, 1, vcc
	v_lshlrev_b32_e32 v42, 16, v10
	v_or_b32_e32 v52, v42, v6
	v_mov_b32_e32 v6, v44
	v_mov_b32_e32 v50, v10
.LBB877_168:
	s_or_b64 exec, exec, s[60:61]
	v_cmp_gt_u32_e32 vcc, 62, v3
	v_add_u32_e32 v43, 2, v3
	s_waitcnt lgkmcnt(0)
	v_cndmask_b32_e64 v42, 0, 1, vcc
	v_lshlrev_b32_e32 v42, 1, v42
	v_add_lshl_u32 v42, v42, v5, 2
	ds_bpermute_b32 v44, v42, v52
	v_cmp_le_u32_e32 vcc, v43, v11
	s_and_saveexec_b64 s[60:61], vcc
	s_cbranch_execz .LBB877_170
; %bb.169:
	v_cmp_eq_u16_e32 vcc, 0, v50
	v_and_b32_e32 v10, 1, v50
	v_mov_b32_e32 v47, 1
	s_waitcnt lgkmcnt(0)
	v_cndmask_b32_e32 v45, 0, v44, vcc
	v_and_b32_sdwa v44, v44, v47 dst_sel:DWORD dst_unused:UNUSED_PAD src0_sel:WORD_1 src1_sel:DWORD
	v_cmp_eq_u32_e32 vcc, 1, v10
	v_add_u16_e32 v46, v45, v6
	v_add_u16_e32 v6, v45, v6
	v_cndmask_b32_e64 v10, v44, 1, vcc
	v_lshlrev_b32_e32 v44, 16, v10
	v_or_b32_e32 v52, v44, v6
	v_mov_b32_e32 v6, v46
	v_mov_b32_e32 v50, v10
.LBB877_170:
	s_or_b64 exec, exec, s[60:61]
	v_cmp_gt_u32_e32 vcc, 60, v3
	v_add_u32_e32 v45, 4, v3
	s_waitcnt lgkmcnt(0)
	v_cndmask_b32_e64 v44, 0, 1, vcc
	v_lshlrev_b32_e32 v44, 2, v44
	v_add_lshl_u32 v44, v44, v5, 2
	ds_bpermute_b32 v46, v44, v52
	v_cmp_le_u32_e32 vcc, v45, v11
	s_and_saveexec_b64 s[60:61], vcc
	s_cbranch_execz .LBB877_172
; %bb.171:
	v_cmp_eq_u16_e32 vcc, 0, v50
	v_and_b32_e32 v10, 1, v50
	v_mov_b32_e32 v49, 1
	s_waitcnt lgkmcnt(0)
	v_cndmask_b32_e32 v47, 0, v46, vcc
	v_and_b32_sdwa v46, v46, v49 dst_sel:DWORD dst_unused:UNUSED_PAD src0_sel:WORD_1 src1_sel:DWORD
	v_cmp_eq_u32_e32 vcc, 1, v10
	v_add_u16_e32 v48, v47, v6
	v_add_u16_e32 v6, v47, v6
	v_cndmask_b32_e64 v10, v46, 1, vcc
	v_lshlrev_b32_e32 v46, 16, v10
	v_or_b32_e32 v52, v46, v6
	v_mov_b32_e32 v6, v48
	v_mov_b32_e32 v50, v10
.LBB877_172:
	;; [unrolled: 27-line block ×4, first 2 shown]
	s_or_b64 exec, exec, s[60:61]
	v_cmp_gt_u32_e32 vcc, 32, v3
	v_add_u32_e32 v53, 32, v3
	s_waitcnt lgkmcnt(0)
	v_cndmask_b32_e64 v51, 0, 1, vcc
	v_lshlrev_b32_e32 v51, 5, v51
	v_add_lshl_u32 v51, v51, v5, 2
	ds_bpermute_b32 v5, v51, v52
	v_cmp_le_u32_e32 vcc, v53, v11
	s_and_saveexec_b64 s[60:61], vcc
	s_cbranch_execz .LBB877_178
; %bb.177:
	v_cmp_eq_u16_e32 vcc, 0, v50
	v_mov_b32_e32 v11, 1
	s_waitcnt lgkmcnt(0)
	v_cndmask_b32_e32 v10, 0, v5, vcc
	v_add_u16_e32 v6, v10, v6
	v_and_b32_e32 v10, 1, v50
	v_and_b32_sdwa v5, v5, v11 dst_sel:DWORD dst_unused:UNUSED_PAD src0_sel:WORD_1 src1_sel:DWORD
	v_cmp_eq_u32_e32 vcc, 1, v10
	s_nop 1
	v_cndmask_b32_e64 v10, v5, 1, vcc
.LBB877_178:
	s_or_b64 exec, exec, s[60:61]
	s_waitcnt lgkmcnt(0)
	v_mov_b32_e32 v5, 0
	v_mov_b32_e32 v54, 2
	v_mov_b32_e32 v55, 1
	s_branch .LBB877_180
.LBB877_179:                            ;   in Loop: Header=BB877_180 Depth=1
	s_or_b64 exec, exec, s[60:61]
	v_cmp_eq_u16_sdwa vcc, v50, v5 src0_sel:BYTE_0 src1_sel:DWORD
	v_and_b32_e32 v10, 1, v50
	v_and_b32_e32 v11, 1, v11
	v_cndmask_b32_e32 v6, 0, v6, vcc
	v_cmp_eq_u32_e32 vcc, 1, v10
	v_subrev_u32_e32 v4, 64, v4
	v_add_u16_e32 v6, v6, v52
	v_cndmask_b32_e64 v10, v11, 1, vcc
.LBB877_180:                            ; =>This Loop Header: Depth=1
                                        ;     Child Loop BB877_183 Depth 2
                                        ;       Child Loop BB877_184 Depth 3
	v_cmp_ne_u16_sdwa s[60:61], v7, v54 src0_sel:BYTE_0 src1_sel:DWORD
	v_mov_b32_e32 v50, v10
	v_mov_b32_e32 v52, v6
	v_cndmask_b32_e64 v7, 0, 1, s[60:61]
	;;#ASMSTART
	;;#ASMEND
	s_nop 0
	v_cmp_ne_u32_e32 vcc, 0, v7
	s_cmp_lg_u64 vcc, exec
	s_cbranch_scc1 .LBB877_199
; %bb.181:                              ;   in Loop: Header=BB877_180 Depth=1
	v_lshl_add_u64 v[10:11], v[4:5], 3, s[56:57]
	global_load_dwordx2 v[6:7], v[10:11], off sc1
	s_waitcnt vmcnt(0)
	v_cmp_eq_u16_sdwa s[70:71], v7, v5 src0_sel:BYTE_0 src1_sel:DWORD
	s_and_saveexec_b64 s[60:61], s[70:71]
	s_cbranch_execz .LBB877_187
; %bb.182:                              ;   in Loop: Header=BB877_180 Depth=1
	s_mov_b32 s3, 1
	s_mov_b64 s[70:71], 0
.LBB877_183:                            ;   Parent Loop BB877_180 Depth=1
                                        ; =>  This Loop Header: Depth=2
                                        ;       Child Loop BB877_184 Depth 3
	s_max_u32 s59, s3, 1
.LBB877_184:                            ;   Parent Loop BB877_180 Depth=1
                                        ;     Parent Loop BB877_183 Depth=2
                                        ; =>    This Inner Loop Header: Depth=3
	s_add_i32 s59, s59, -1
	s_cmp_eq_u32 s59, 0
	s_sleep 1
	s_cbranch_scc0 .LBB877_184
; %bb.185:                              ;   in Loop: Header=BB877_183 Depth=2
	global_load_dwordx2 v[6:7], v[10:11], off sc1
	s_cmp_lt_u32 s3, 32
	s_cselect_b64 s[72:73], -1, 0
	s_cmp_lg_u64 s[72:73], 0
	s_addc_u32 s3, s3, 0
	s_waitcnt vmcnt(0)
	v_cmp_ne_u16_sdwa s[72:73], v7, v5 src0_sel:BYTE_0 src1_sel:DWORD
	s_or_b64 s[70:71], s[72:73], s[70:71]
	s_andn2_b64 exec, exec, s[70:71]
	s_cbranch_execnz .LBB877_183
; %bb.186:                              ;   in Loop: Header=BB877_180 Depth=1
	s_or_b64 exec, exec, s[70:71]
.LBB877_187:                            ;   in Loop: Header=BB877_180 Depth=1
	s_or_b64 exec, exec, s[60:61]
	v_cmp_eq_u16_sdwa s[60:61], v7, v54 src0_sel:BYTE_0 src1_sel:DWORD
	s_waitcnt lgkmcnt(0)
	v_and_b32_e32 v57, 0xffffff, v6
	ds_bpermute_b32 v58, v41, v57
	v_and_b32_e32 v10, s61, v9
	v_or_b32_e32 v10, 0x80000000, v10
	v_and_b32_e32 v11, s60, v8
	v_ffbl_b32_e32 v10, v10
	v_add_u32_e32 v10, 32, v10
	v_ffbl_b32_e32 v11, v11
	v_min_u32_e32 v10, v11, v10
	v_lshrrev_b32_e32 v11, 16, v6
	v_cmp_lt_u32_e32 vcc, v3, v10
	v_bfe_u32 v56, v6, 16, 8
	s_and_saveexec_b64 s[60:61], vcc
	s_cbranch_execz .LBB877_189
; %bb.188:                              ;   in Loop: Header=BB877_180 Depth=1
	v_and_b32_e32 v11, 0xff0000, v6
	v_cmp_eq_u32_e32 vcc, 0, v11
	v_and_b32_e32 v11, 0x10000, v11
	s_waitcnt lgkmcnt(0)
	v_and_b32_sdwa v57, v58, v55 dst_sel:DWORD dst_unused:UNUSED_PAD src0_sel:WORD_1 src1_sel:DWORD
	v_cndmask_b32_e32 v56, 0, v58, vcc
	v_cmp_ne_u32_e32 vcc, 0, v11
	v_add_u16_e32 v59, v56, v6
	v_add_u16_e32 v6, v56, v6
	v_cndmask_b32_e64 v11, v57, 1, vcc
	v_lshlrev_b32_e32 v57, 16, v11
	v_or_b32_e32 v57, v57, v6
	v_mov_b32_e32 v6, v59
	v_mov_b32_e32 v56, v11
.LBB877_189:                            ;   in Loop: Header=BB877_180 Depth=1
	s_or_b64 exec, exec, s[60:61]
	s_waitcnt lgkmcnt(0)
	ds_bpermute_b32 v58, v42, v57
	v_cmp_le_u32_e32 vcc, v43, v10
	s_and_saveexec_b64 s[60:61], vcc
	s_cbranch_execz .LBB877_191
; %bb.190:                              ;   in Loop: Header=BB877_180 Depth=1
	v_cmp_eq_u16_e32 vcc, 0, v56
	v_and_b32_e32 v11, 1, v56
	s_waitcnt lgkmcnt(0)
	v_and_b32_sdwa v56, v58, v55 dst_sel:DWORD dst_unused:UNUSED_PAD src0_sel:WORD_1 src1_sel:DWORD
	v_cndmask_b32_e32 v57, 0, v58, vcc
	v_cmp_eq_u32_e32 vcc, 1, v11
	v_add_u16_e32 v59, v57, v6
	v_add_u16_e32 v6, v57, v6
	v_cndmask_b32_e64 v11, v56, 1, vcc
	v_lshlrev_b32_e32 v56, 16, v11
	v_or_b32_e32 v57, v56, v6
	v_mov_b32_e32 v6, v59
	v_mov_b32_e32 v56, v11
.LBB877_191:                            ;   in Loop: Header=BB877_180 Depth=1
	s_or_b64 exec, exec, s[60:61]
	s_waitcnt lgkmcnt(0)
	ds_bpermute_b32 v58, v44, v57
	v_cmp_le_u32_e32 vcc, v45, v10
	s_and_saveexec_b64 s[60:61], vcc
	s_cbranch_execz .LBB877_193
; %bb.192:                              ;   in Loop: Header=BB877_180 Depth=1
	v_cmp_eq_u16_e32 vcc, 0, v56
	v_and_b32_e32 v11, 1, v56
	s_waitcnt lgkmcnt(0)
	v_and_b32_sdwa v56, v58, v55 dst_sel:DWORD dst_unused:UNUSED_PAD src0_sel:WORD_1 src1_sel:DWORD
	v_cndmask_b32_e32 v57, 0, v58, vcc
	v_cmp_eq_u32_e32 vcc, 1, v11
	v_add_u16_e32 v59, v57, v6
	v_add_u16_e32 v6, v57, v6
	v_cndmask_b32_e64 v11, v56, 1, vcc
	v_lshlrev_b32_e32 v56, 16, v11
	v_or_b32_e32 v57, v56, v6
	v_mov_b32_e32 v6, v59
	v_mov_b32_e32 v56, v11
.LBB877_193:                            ;   in Loop: Header=BB877_180 Depth=1
	;; [unrolled: 21-line block ×4, first 2 shown]
	s_or_b64 exec, exec, s[60:61]
	ds_bpermute_b32 v57, v51, v57
	v_cmp_le_u32_e32 vcc, v53, v10
	s_and_saveexec_b64 s[60:61], vcc
	s_cbranch_execz .LBB877_179
; %bb.198:                              ;   in Loop: Header=BB877_180 Depth=1
	v_cmp_eq_u16_e32 vcc, 0, v56
	s_waitcnt lgkmcnt(0)
	v_lshrrev_b32_e32 v11, 16, v57
	v_cndmask_b32_e32 v10, 0, v57, vcc
	v_add_u16_e32 v6, v10, v6
	v_and_b32_e32 v10, 1, v56
	v_cmp_eq_u32_e32 vcc, 1, v10
	s_nop 1
	v_cndmask_b32_e64 v11, v11, 1, vcc
	s_branch .LBB877_179
.LBB877_199:                            ;   in Loop: Header=BB877_180 Depth=1
                                        ; implicit-def: $vgpr10
                                        ; implicit-def: $vgpr6
	s_cbranch_execz .LBB877_180
; %bb.200:
	s_and_saveexec_b64 s[60:61], s[48:49]
	s_cbranch_execz .LBB877_202
; %bb.201:
	v_and_b32_e32 v3, 0xff0000, v2
	s_mov_b32 s3, 0
	v_cmp_eq_u32_e32 vcc, 0, v3
	v_and_b32_e32 v4, 0x10000, v2
	v_mov_b32_e32 v5, 1
	s_add_i32 s2, s2, 64
	v_cndmask_b32_e32 v3, 0, v52, vcc
	v_and_b32_sdwa v5, v50, v5 dst_sel:WORD_1 dst_unused:UNUSED_PAD src0_sel:DWORD src1_sel:DWORD
	v_mov_b32_e32 v6, 0x10000
	v_cmp_eq_u32_e32 vcc, 0, v4
	s_lshl_b64 s[2:3], s[2:3], 3
	s_add_u32 s2, s56, s2
	v_cndmask_b32_e32 v4, v6, v5, vcc
	v_add_u16_e32 v2, v3, v2
	s_addc_u32 s3, s57, s3
	v_mov_b32_e32 v5, 0
	v_or_b32_e32 v2, v4, v2
	v_mov_b32_e32 v3, 2
	global_store_dwordx2 v5, v[2:3], s[2:3] sc1
.LBB877_202:
	s_or_b64 exec, exec, s[60:61]
	v_cmp_eq_u32_e32 vcc, 0, v0
	s_and_b64 exec, exec, vcc
	s_cbranch_execz .LBB877_204
; %bb.203:
	v_mov_b32_e32 v2, 0
	ds_write_b16 v2, v52 offset:12
	ds_write_b8 v2, v50 offset:14
.LBB877_204:
	s_or_b64 exec, exec, s[52:53]
	v_mov_b32_e32 v2, 0
	s_waitcnt lgkmcnt(0)
	s_barrier
	ds_read_b32 v3, v2 offset:12
	v_lshrrev_b32_e32 v4, 16, v17
	v_cndmask_b32_e64 v4, v4, v16, s[48:49]
	v_cmp_eq_u16_sdwa vcc, v4, v2 src0_sel:BYTE_0 src1_sel:DWORD
	v_cndmask_b32_e64 v5, v17, v15, s[48:49]
	s_waitcnt lgkmcnt(0)
	v_cndmask_b32_e32 v2, 0, v3, vcc
	v_add_u16_e32 v2, v2, v5
	v_cmp_eq_u32_e32 vcc, 0, v0
	s_nop 1
	v_cndmask_b32_e32 v6, v2, v3, vcc
	v_and_b32_e32 v2, 0xff0000, v1
	v_cmp_eq_u32_e32 vcc, 0, v2
	s_nop 1
	v_cndmask_b32_e32 v2, 0, v6, vcc
	v_add_u16_e32 v4, v2, v1
	v_cndmask_b32_e64 v2, 0, v4, s[50:51]
	v_add_u16_e32 v5, v2, v18
	v_cndmask_b32_e64 v2, 0, v5, s[4:5]
	;; [unrolled: 2-line block ×22, first 2 shown]
	v_add_u16_e32 v53, v2, v40
	s_branch .LBB877_255
.LBB877_205:
	s_or_b64 exec, exec, s[52:53]
                                        ; implicit-def: $vgpr33
	s_and_saveexec_b64 s[52:53], s[50:51]
	s_cbranch_execz .LBB877_53
.LBB877_206:
	v_mov_b32_e32 v15, 0
	v_lshl_add_u64 v[34:35], s[70:71], 0, v[14:15]
	flat_load_ushort v33, v[34:35] offset:512
	s_or_b64 exec, exec, s[52:53]
                                        ; implicit-def: $vgpr34
	s_and_saveexec_b64 s[50:51], s[4:5]
	s_cbranch_execnz .LBB877_54
.LBB877_207:
	s_or_b64 exec, exec, s[50:51]
                                        ; implicit-def: $vgpr35
	s_and_saveexec_b64 s[4:5], s[6:7]
	s_cbranch_execz .LBB877_55
.LBB877_208:
	v_mov_b32_e32 v15, 0
	v_lshl_add_u64 v[36:37], s[70:71], 0, v[14:15]
	flat_load_ushort v35, v[36:37] offset:1536
	s_or_b64 exec, exec, s[4:5]
                                        ; implicit-def: $vgpr36
	s_and_saveexec_b64 s[4:5], s[8:9]
	s_cbranch_execnz .LBB877_56
.LBB877_209:
	s_or_b64 exec, exec, s[4:5]
                                        ; implicit-def: $vgpr37
	s_and_saveexec_b64 s[4:5], s[10:11]
	s_cbranch_execz .LBB877_57
.LBB877_210:
	v_mov_b32_e32 v15, 0
	v_lshl_add_u64 v[38:39], s[70:71], 0, v[14:15]
	flat_load_ushort v37, v[38:39] offset:2560
	s_or_b64 exec, exec, s[4:5]
                                        ; implicit-def: $vgpr38
	s_and_saveexec_b64 s[4:5], s[12:13]
	s_cbranch_execnz .LBB877_58
.LBB877_211:
	s_or_b64 exec, exec, s[4:5]
                                        ; implicit-def: $vgpr15
	s_and_saveexec_b64 s[4:5], s[14:15]
	s_cbranch_execz .LBB877_59
.LBB877_212:
	v_mov_b32_e32 v15, 0
	v_lshl_add_u64 v[40:41], s[70:71], 0, v[14:15]
	flat_load_ushort v15, v[40:41] offset:3584
	s_or_b64 exec, exec, s[4:5]
                                        ; implicit-def: $vgpr39
	s_and_saveexec_b64 s[4:5], s[16:17]
	s_cbranch_execnz .LBB877_60
.LBB877_213:
	s_or_b64 exec, exec, s[4:5]
                                        ; implicit-def: $vgpr1
	s_and_saveexec_b64 s[4:5], s[18:19]
	s_cbranch_execz .LBB877_61
.LBB877_214:
	v_lshlrev_b32_e32 v40, 1, v16
	v_mov_b32_e32 v41, 0
	v_lshl_add_u64 v[40:41], s[70:71], 0, v[40:41]
	flat_load_ushort v1, v[40:41]
	s_or_b64 exec, exec, s[4:5]
                                        ; implicit-def: $vgpr16
	s_and_saveexec_b64 s[4:5], s[20:21]
	s_cbranch_execnz .LBB877_62
.LBB877_215:
	s_or_b64 exec, exec, s[4:5]
                                        ; implicit-def: $vgpr17
	s_and_saveexec_b64 s[4:5], s[22:23]
	s_cbranch_execz .LBB877_63
.LBB877_216:
	v_lshlrev_b32_e32 v40, 1, v18
	v_mov_b32_e32 v41, 0
	v_lshl_add_u64 v[40:41], s[70:71], 0, v[40:41]
	flat_load_ushort v17, v[40:41]
	s_or_b64 exec, exec, s[4:5]
                                        ; implicit-def: $vgpr18
	s_and_saveexec_b64 s[4:5], s[24:25]
	s_cbranch_execnz .LBB877_64
.LBB877_217:
	s_or_b64 exec, exec, s[4:5]
                                        ; implicit-def: $vgpr19
	s_and_saveexec_b64 s[4:5], s[26:27]
	s_cbranch_execz .LBB877_65
.LBB877_218:
	v_lshlrev_b32_e32 v40, 1, v20
	v_mov_b32_e32 v41, 0
	v_lshl_add_u64 v[40:41], s[70:71], 0, v[40:41]
	flat_load_ushort v19, v[40:41]
	s_or_b64 exec, exec, s[4:5]
                                        ; implicit-def: $vgpr20
	s_and_saveexec_b64 s[4:5], s[28:29]
	s_cbranch_execnz .LBB877_66
.LBB877_219:
	s_or_b64 exec, exec, s[4:5]
                                        ; implicit-def: $vgpr21
	s_and_saveexec_b64 s[4:5], s[30:31]
	s_cbranch_execz .LBB877_67
.LBB877_220:
	v_lshlrev_b32_e32 v40, 1, v22
	v_mov_b32_e32 v41, 0
	v_lshl_add_u64 v[40:41], s[70:71], 0, v[40:41]
	flat_load_ushort v21, v[40:41]
	s_or_b64 exec, exec, s[4:5]
                                        ; implicit-def: $vgpr22
	s_and_saveexec_b64 s[4:5], s[34:35]
	s_cbranch_execnz .LBB877_68
.LBB877_221:
	s_or_b64 exec, exec, s[4:5]
                                        ; implicit-def: $vgpr23
	s_and_saveexec_b64 s[4:5], s[36:37]
	s_cbranch_execz .LBB877_69
.LBB877_222:
	v_lshlrev_b32_e32 v40, 1, v24
	v_mov_b32_e32 v41, 0
	v_lshl_add_u64 v[40:41], s[70:71], 0, v[40:41]
	flat_load_ushort v23, v[40:41]
	s_or_b64 exec, exec, s[4:5]
                                        ; implicit-def: $vgpr24
	s_and_saveexec_b64 s[4:5], s[38:39]
	s_cbranch_execnz .LBB877_70
.LBB877_223:
	s_or_b64 exec, exec, s[4:5]
                                        ; implicit-def: $vgpr25
	s_and_saveexec_b64 s[4:5], s[40:41]
	s_cbranch_execz .LBB877_71
.LBB877_224:
	v_lshlrev_b32_e32 v40, 1, v27
	v_mov_b32_e32 v41, 0
	v_lshl_add_u64 v[40:41], s[70:71], 0, v[40:41]
	flat_load_ushort v25, v[40:41]
	s_or_b64 exec, exec, s[4:5]
                                        ; implicit-def: $vgpr27
	s_and_saveexec_b64 s[4:5], s[42:43]
	s_cbranch_execnz .LBB877_72
.LBB877_225:
	s_or_b64 exec, exec, s[4:5]
                                        ; implicit-def: $vgpr28
	s_and_saveexec_b64 s[4:5], s[44:45]
	s_cbranch_execz .LBB877_73
.LBB877_226:
	v_lshlrev_b32_e32 v28, 1, v29
	v_mov_b32_e32 v29, 0
	v_lshl_add_u64 v[28:29], s[70:71], 0, v[28:29]
	flat_load_ushort v28, v[28:29]
	s_or_b64 exec, exec, s[4:5]
                                        ; implicit-def: $vgpr29
	s_and_saveexec_b64 s[4:5], s[46:47]
	s_cbranch_execz .LBB877_75
	s_branch .LBB877_74
.LBB877_227:
                                        ; implicit-def: $vgpr6
                                        ; implicit-def: $vgpr4
                                        ; implicit-def: $vgpr5
                                        ; implicit-def: $vgpr7
                                        ; implicit-def: $vgpr8
                                        ; implicit-def: $vgpr9
                                        ; implicit-def: $vgpr11
                                        ; implicit-def: $vgpr16
                                        ; implicit-def: $vgpr10
                                        ; implicit-def: $vgpr15
                                        ; implicit-def: $vgpr17
                                        ; implicit-def: $vgpr41
                                        ; implicit-def: $vgpr42
                                        ; implicit-def: $vgpr43
                                        ; implicit-def: $vgpr45
                                        ; implicit-def: $vgpr47
                                        ; implicit-def: $vgpr44
                                        ; implicit-def: $vgpr46
                                        ; implicit-def: $vgpr48
                                        ; implicit-def: $vgpr49
                                        ; implicit-def: $vgpr50
                                        ; implicit-def: $vgpr51
                                        ; implicit-def: $vgpr52
                                        ; implicit-def: $vgpr53
	s_cbranch_execz .LBB877_255
; %bb.228:
	s_cmp_lg_u64 s[68:69], 0
	s_cselect_b32 s3, s63, 0
	s_cselect_b32 s2, s62, 0
	s_cmp_eq_u64 s[2:3], 0
	v_mov_b32_e32 v2, s78
	s_cbranch_scc1 .LBB877_230
; %bb.229:
	v_mov_b32_e32 v2, 0
	global_load_ushort v2, v2, s[2:3]
.LBB877_230:
	s_mov_b32 s46, 0x10000
	v_cmp_gt_u32_e32 vcc, s46, v18
	v_cmp_gt_u32_e64 s[2:3], s46, v25
	v_cmp_gt_u32_e64 s[4:5], s46, v19
	v_cndmask_b32_e32 v3, 0, v1, vcc
	v_add_u16_e32 v3, v3, v18
	v_cndmask_b32_e64 v3, 0, v3, s[2:3]
	v_add_u16_e32 v3, v3, v25
	v_cndmask_b32_e64 v3, 0, v3, s[4:5]
	v_add_u16_e32 v3, v3, v19
	v_cmp_gt_u32_e64 s[6:7], s46, v27
	v_cmp_gt_u32_e64 s[8:9], s46, v20
	v_cmp_gt_u32_e64 s[10:11], s46, v28
	v_cndmask_b32_e64 v3, 0, v3, s[6:7]
	v_add_u16_e32 v3, v3, v27
	v_cndmask_b32_e64 v3, 0, v3, s[8:9]
	v_add_u16_e32 v3, v3, v20
	v_cndmask_b32_e64 v3, 0, v3, s[10:11]
	v_add_u16_e32 v3, v3, v28
	v_cmp_gt_u32_e64 s[12:13], s46, v21
	v_cmp_gt_u32_e64 s[14:15], s46, v29
	v_cmp_gt_u32_e64 s[16:17], s46, v30
	v_cndmask_b32_e64 v3, 0, v3, s[12:13]
	;; [unrolled: 9-line block ×5, first 2 shown]
	v_add_u16_e32 v3, v3, v37
	v_cndmask_b32_e64 v3, 0, v3, s[34:35]
	v_add_u16_e32 v3, v3, v22
	v_cndmask_b32_e64 v3, 0, v3, s[36:37]
	v_or3_b32 v6, v14, v38, v22
	v_add_u16_e32 v3, v3, v38
	v_cmp_gt_u32_e64 s[38:39], s46, v23
	v_or3_b32 v6, v6, v37, v36
	v_or3_b32 v6, v6, v35, v34
	v_cndmask_b32_e64 v3, 0, v3, s[38:39]
	v_add_u16_e32 v3, v3, v23
	v_cmp_gt_u32_e64 s[40:41], s46, v39
	v_or3_b32 v6, v6, v33, v32
	v_or3_b32 v6, v6, v31, v30
	v_cndmask_b32_e64 v3, 0, v3, s[40:41]
	;; [unrolled: 5-line block ×4, first 2 shown]
	v_add_u16_e32 v3, v3, v40
	v_cmp_gt_u32_e64 s[46:47], s46, v12
	v_and_b32_e32 v6, 0x10000, v6
	v_and_b32_e32 v5, 0x10000, v1
	v_cndmask_b32_e64 v3, 0, v3, s[46:47]
	v_mov_b32_e32 v7, 0x10000
	v_cmp_ne_u32_e64 s[46:47], 0, v6
	v_add_u16_e32 v4, v3, v12
	v_add_u16_e32 v6, v3, v12
	v_cndmask_b32_e64 v7, v5, v7, s[46:47]
	v_mbcnt_hi_u32_b32 v3, -1, v13
	v_and_b32_e32 v8, 15, v3
	v_or_b32_e32 v6, v7, v6
	v_lshrrev_b32_e32 v5, 16, v7
	v_cmp_ne_u32_e64 s[46:47], 0, v8
	v_mov_b32_dpp v9, v6 row_shr:1 row_mask:0xf bank_mask:0xf
	s_and_saveexec_b64 s[48:49], s[46:47]
	s_cbranch_execz .LBB877_232
; %bb.231:
	v_cmp_eq_u32_e64 s[46:47], 0, v7
	v_and_b32_e32 v5, 0x10000, v7
	v_mov_b32_e32 v7, 1
	v_cndmask_b32_e64 v6, 0, v9, s[46:47]
	v_and_b32_sdwa v7, v9, v7 dst_sel:DWORD dst_unused:UNUSED_PAD src0_sel:WORD_1 src1_sel:DWORD
	v_cmp_ne_u32_e64 s[46:47], 0, v5
	v_add_u16_e32 v10, v6, v4
	v_add_u16_e32 v4, v6, v4
	v_cndmask_b32_e64 v5, v7, 1, s[46:47]
	v_lshlrev_b32_e32 v7, 16, v5
	v_or_b32_e32 v6, v7, v4
	v_mov_b32_e32 v4, v10
.LBB877_232:
	s_or_b64 exec, exec, s[48:49]
	v_lshrrev_b32_e32 v7, 16, v6
	v_mov_b32_dpp v9, v6 row_shr:2 row_mask:0xf bank_mask:0xf
	v_cmp_lt_u32_e64 s[46:47], 1, v8
	s_and_saveexec_b64 s[48:49], s[46:47]
	s_cbranch_execz .LBB877_234
; %bb.233:
	s_mov_b32 s46, 0x10000
	v_cmp_gt_u32_e64 s[46:47], s46, v6
	v_and_b32_e32 v5, 0x10000, v6
	v_mov_b32_e32 v6, 1
	v_cndmask_b32_e64 v7, 0, v9, s[46:47]
	v_and_b32_sdwa v6, v9, v6 dst_sel:DWORD dst_unused:UNUSED_PAD src0_sel:WORD_1 src1_sel:DWORD
	v_cmp_ne_u32_e64 s[46:47], 0, v5
	v_add_u16_e32 v10, v7, v4
	v_add_u16_e32 v4, v7, v4
	v_cndmask_b32_e64 v5, v6, 1, s[46:47]
	v_lshlrev_b32_e32 v6, 16, v5
	v_or_b32_e32 v6, v6, v4
	v_mov_b32_e32 v7, v5
	v_mov_b32_e32 v4, v10
.LBB877_234:
	s_or_b64 exec, exec, s[48:49]
	v_mov_b32_dpp v9, v6 row_shr:4 row_mask:0xf bank_mask:0xf
	v_cmp_lt_u32_e64 s[46:47], 3, v8
	s_and_saveexec_b64 s[48:49], s[46:47]
	s_cbranch_execz .LBB877_236
; %bb.235:
	v_cmp_eq_u16_e64 s[46:47], 0, v7
	v_and_b32_e32 v5, 1, v7
	v_mov_b32_e32 v7, 1
	v_cndmask_b32_e64 v6, 0, v9, s[46:47]
	v_and_b32_sdwa v7, v9, v7 dst_sel:DWORD dst_unused:UNUSED_PAD src0_sel:WORD_1 src1_sel:DWORD
	v_cmp_eq_u32_e64 s[46:47], 1, v5
	v_add_u16_e32 v10, v6, v4
	v_add_u16_e32 v4, v6, v4
	v_cndmask_b32_e64 v5, v7, 1, s[46:47]
	v_lshlrev_b32_e32 v7, 16, v5
	v_or_b32_e32 v6, v7, v4
	v_mov_b32_e32 v7, v5
	v_mov_b32_e32 v4, v10
.LBB877_236:
	s_or_b64 exec, exec, s[48:49]
	v_mov_b32_dpp v9, v6 row_shr:8 row_mask:0xf bank_mask:0xf
	v_cmp_lt_u32_e64 s[46:47], 7, v8
	s_and_saveexec_b64 s[48:49], s[46:47]
	s_cbranch_execz .LBB877_238
; %bb.237:
	v_cmp_eq_u16_e64 s[46:47], 0, v7
	v_and_b32_e32 v5, 1, v7
	v_mov_b32_e32 v7, 1
	v_cndmask_b32_e64 v6, 0, v9, s[46:47]
	v_and_b32_sdwa v7, v9, v7 dst_sel:DWORD dst_unused:UNUSED_PAD src0_sel:WORD_1 src1_sel:DWORD
	v_cmp_eq_u32_e64 s[46:47], 1, v5
	v_add_u16_e32 v8, v6, v4
	v_add_u16_e32 v4, v6, v4
	v_cndmask_b32_e64 v5, v7, 1, s[46:47]
	v_lshlrev_b32_e32 v7, 16, v5
	v_or_b32_e32 v6, v7, v4
	v_mov_b32_e32 v7, v5
	v_mov_b32_e32 v4, v8
.LBB877_238:
	s_or_b64 exec, exec, s[48:49]
	v_and_b32_e32 v9, 16, v3
	v_mov_b32_dpp v8, v6 row_bcast:15 row_mask:0xf bank_mask:0xf
	v_cmp_ne_u32_e64 s[46:47], 0, v9
	s_and_saveexec_b64 s[48:49], s[46:47]
	s_cbranch_execz .LBB877_240
; %bb.239:
	v_cmp_eq_u16_e64 s[46:47], 0, v7
	v_and_b32_e32 v5, 1, v7
	v_mov_b32_e32 v7, 1
	v_cndmask_b32_e64 v6, 0, v8, s[46:47]
	v_and_b32_sdwa v7, v8, v7 dst_sel:DWORD dst_unused:UNUSED_PAD src0_sel:WORD_1 src1_sel:DWORD
	v_cmp_eq_u32_e64 s[46:47], 1, v5
	v_add_u16_e32 v9, v6, v4
	v_add_u16_e32 v4, v6, v4
	v_cndmask_b32_e64 v5, v7, 1, s[46:47]
	v_lshlrev_b32_e32 v7, 16, v5
	v_or_b32_e32 v6, v7, v4
	v_mov_b32_e32 v7, v5
	v_mov_b32_e32 v4, v9
.LBB877_240:
	s_or_b64 exec, exec, s[48:49]
	v_mov_b32_dpp v6, v6 row_bcast:31 row_mask:0xf bank_mask:0xf
	v_cmp_lt_u32_e64 s[46:47], 31, v3
	s_and_saveexec_b64 s[48:49], s[46:47]
; %bb.241:
	v_cmp_eq_u16_e64 s[46:47], 0, v7
	s_nop 1
	v_cndmask_b32_e64 v5, 0, v6, s[46:47]
	v_add_u16_e32 v4, v5, v4
	v_and_b32_e32 v5, 1, v7
	v_mov_b32_e32 v7, 1
	v_and_b32_sdwa v6, v6, v7 dst_sel:DWORD dst_unused:UNUSED_PAD src0_sel:WORD_1 src1_sel:DWORD
	v_cmp_eq_u32_e64 s[46:47], 1, v5
	s_nop 1
	v_cndmask_b32_e64 v5, v6, 1, s[46:47]
; %bb.242:
	s_or_b64 exec, exec, s[48:49]
	v_or_b32_e32 v7, 63, v0
	v_lshrrev_b32_e32 v6, 6, v0
	v_cmp_eq_u32_e64 s[46:47], v7, v0
	s_and_saveexec_b64 s[48:49], s[46:47]
	s_cbranch_execz .LBB877_244
; %bb.243:
	v_lshlrev_b32_e32 v7, 2, v6
	ds_write_b16 v7, v4
	ds_write_b8 v7, v5 offset:2
.LBB877_244:
	s_or_b64 exec, exec, s[48:49]
	v_cmp_gt_u32_e64 s[46:47], 4, v0
	s_waitcnt lgkmcnt(0)
	s_barrier
	s_and_saveexec_b64 s[48:49], s[46:47]
	s_cbranch_execz .LBB877_250
; %bb.245:
	v_lshlrev_b32_e32 v7, 2, v0
	ds_read_b32 v8, v7
	v_and_b32_e32 v11, 3, v3
	v_cmp_ne_u32_e64 s[46:47], 0, v11
	s_waitcnt lgkmcnt(0)
	v_lshrrev_b32_e32 v10, 16, v8
	v_mov_b32_dpp v12, v8 row_shr:1 row_mask:0xf bank_mask:0xf
	v_mov_b32_e32 v9, v8
	s_and_saveexec_b64 s[50:51], s[46:47]
	s_cbranch_execz .LBB877_247
; %bb.246:
	v_mov_b32_e32 v9, 0
	v_cmp_eq_u16_sdwa s[46:47], v10, v9 src0_sel:BYTE_0 src1_sel:DWORD
	v_and_b32_e32 v10, 0x10000, v8
	v_mov_b32_e32 v15, 1
	v_cndmask_b32_e64 v14, 0, v12, s[46:47]
	v_and_b32_sdwa v12, v12, v15 dst_sel:DWORD dst_unused:UNUSED_PAD src0_sel:WORD_1 src1_sel:DWORD
	v_cmp_ne_u32_e64 s[46:47], 0, v10
	v_and_b32_e32 v13, 0xff000000, v8
	v_add_u16_e32 v9, v14, v8
	v_cndmask_b32_e64 v10, v12, 1, s[46:47]
	v_lshlrev_b32_e32 v12, 16, v10
	v_add_u16_e32 v8, v14, v8
	v_or3_b32 v8, v12, v13, v8
.LBB877_247:
	s_or_b64 exec, exec, s[50:51]
	s_nop 0
	v_mov_b32_dpp v12, v8 row_shr:2 row_mask:0xf bank_mask:0xf
	v_cmp_lt_u32_e64 s[46:47], 1, v11
	s_and_saveexec_b64 s[50:51], s[46:47]
; %bb.248:
	v_and_b32_e32 v10, 0xff0000, v8
	v_cmp_eq_u32_e64 s[46:47], 0, v10
	v_and_b32_e32 v8, 0x10000, v8
	s_nop 0
	v_cndmask_b32_e64 v10, 0, v12, s[46:47]
	v_add_u16_e32 v9, v10, v9
	v_mov_b32_e32 v10, 1
	v_and_b32_sdwa v10, v12, v10 dst_sel:DWORD dst_unused:UNUSED_PAD src0_sel:WORD_1 src1_sel:DWORD
	v_cmp_eq_u32_e64 s[46:47], 0, v8
	s_nop 1
	v_cndmask_b32_e64 v10, 1, v10, s[46:47]
; %bb.249:
	s_or_b64 exec, exec, s[50:51]
	ds_write_b16 v7, v9
	ds_write_b8 v7, v10 offset:2
.LBB877_250:
	s_or_b64 exec, exec, s[48:49]
	v_cmp_lt_u32_e64 s[46:47], 63, v0
	v_mov_b32_e32 v8, 0
	s_waitcnt vmcnt(0)
	v_mov_b32_e32 v7, v2
	s_waitcnt lgkmcnt(0)
	s_barrier
	s_and_saveexec_b64 s[48:49], s[46:47]
	s_cbranch_execz .LBB877_252
; %bb.251:
	v_lshl_add_u32 v6, v6, 2, -4
	ds_read_u8 v8, v6 offset:2
	ds_read_u16 v6, v6
	s_waitcnt lgkmcnt(1)
	v_cmp_eq_u16_e64 s[46:47], 0, v8
	s_nop 1
	v_cndmask_b32_e64 v7, 0, v2, s[46:47]
	s_waitcnt lgkmcnt(0)
	v_add_u16_e32 v7, v7, v6
.LBB877_252:
	s_or_b64 exec, exec, s[48:49]
	v_cmp_eq_u16_e64 s[46:47], 0, v5
	v_and_b32_e32 v5, 1, v5
	v_lshlrev_b32_e32 v8, 16, v8
	v_cndmask_b32_e64 v6, 0, v7, s[46:47]
	v_mov_b32_e32 v9, 0x10000
	v_cmp_eq_u32_e64 s[46:47], 1, v5
	v_add_u16_e32 v4, v6, v4
	v_and_b32_e32 v6, 64, v3
	v_cndmask_b32_e64 v5, v8, v9, s[46:47]
	v_or_b32_e32 v4, v5, v4
	v_add_u32_e32 v5, -1, v3
	v_cmp_lt_i32_e64 s[46:47], v5, v6
	s_nop 1
	v_cndmask_b32_e64 v5, v5, v3, s[46:47]
	v_lshlrev_b32_e32 v5, 2, v5
	ds_bpermute_b32 v4, v5, v4
	v_cmp_eq_u32_e64 s[46:47], 0, v3
	s_waitcnt lgkmcnt(0)
	s_nop 0
	v_cndmask_b32_e64 v6, v4, v7, s[46:47]
	v_cmp_eq_u32_e64 s[46:47], 0, v0
	v_and_b32_e32 v4, 0xff0000, v1
	v_cmp_eq_u32_e64 s[48:49], 0, v4
	v_cndmask_b32_e64 v3, v6, v2, s[46:47]
	s_nop 0
	v_cndmask_b32_e64 v3, 0, v3, s[48:49]
	v_add_u16_e32 v4, v3, v1
	v_cndmask_b32_e32 v1, 0, v4, vcc
	v_add_u16_e32 v5, v1, v18
	v_cndmask_b32_e64 v1, 0, v5, s[2:3]
	v_add_u16_e32 v7, v1, v25
	v_cndmask_b32_e64 v1, 0, v7, s[4:5]
	;; [unrolled: 2-line block ×21, first 2 shown]
	s_and_saveexec_b64 s[2:3], s[46:47]
	s_cbranch_execz .LBB877_254
; %bb.253:
	v_mov_b32_e32 v3, 0
	ds_read_u8 v6, v3 offset:14
	ds_read_u16 v12, v3 offset:12
	v_mov_b32_e32 v13, 2
	s_waitcnt lgkmcnt(1)
	v_cmp_eq_u32_e32 vcc, 0, v6
	v_lshlrev_b32_e32 v14, 16, v6
	s_nop 0
	v_cndmask_b32_e32 v6, 0, v2, vcc
	s_waitcnt lgkmcnt(0)
	v_add_u32_e32 v6, v6, v12
	v_or_b32_sdwa v12, v14, v6 dst_sel:DWORD dst_unused:UNUSED_PAD src0_sel:DWORD src1_sel:WORD_0
	v_mov_b32_e32 v6, v2
	global_store_dwordx2 v3, v[12:13], s[56:57] offset:512 sc1
.LBB877_254:
	s_or_b64 exec, exec, s[2:3]
	v_add_u16_e32 v53, v1, v40
.LBB877_255:
	s_add_u32 s2, s54, s64
	s_addc_u32 s3, s55, s65
	s_add_u32 s2, s2, s66
	v_mul_u32_u24_e32 v1, 24, v0
	s_addc_u32 s3, s3, s67
	s_and_b64 vcc, exec, s[0:1]
	v_lshlrev_b32_e32 v12, 1, v1
	s_cbranch_vccz .LBB877_303
; %bb.256:
	s_mov_b32 s0, 0x5040100
	v_perm_b32 v21, v16, v11, s0
	v_perm_b32 v20, v9, v8, s0
	;; [unrolled: 1-line block ×4, first 2 shown]
	s_barrier
	ds_write_b128 v12, v[18:21]
	v_perm_b32 v21, v47, v45, s0
	v_perm_b32 v20, v43, v42, s0
	;; [unrolled: 1-line block ×4, first 2 shown]
	ds_write_b128 v12, v[18:21] offset:16
	v_perm_b32 v21, v53, v52, s0
	v_perm_b32 v20, v51, v50, s0
	;; [unrolled: 1-line block ×4, first 2 shown]
	s_movk_i32 s0, 0xffd2
	v_mad_i32_i24 v2, v0, s0, v12
	ds_write_b128 v12, v[18:21] offset:32
	s_waitcnt lgkmcnt(0)
	s_barrier
	ds_read_u16 v39, v2 offset:512
	ds_read_u16 v38, v2 offset:1024
	;; [unrolled: 1-line block ×23, first 2 shown]
	s_add_i32 s33, s33, s58
	v_mov_b32_e32 v27, 0
	v_lshl_add_u64 v[2:3], s[2:3], 0, v[26:27]
	v_cmp_gt_u32_e32 vcc, s33, v0
	s_and_saveexec_b64 s[0:1], vcc
	s_cbranch_execz .LBB877_258
; %bb.257:
	v_mul_i32_i24_e32 v40, 0xffffffd2, v0
	v_add_u32_e32 v40, v12, v40
	ds_read_u16 v40, v40
	s_waitcnt lgkmcnt(0)
	flat_store_short v[2:3], v40
.LBB877_258:
	s_or_b64 exec, exec, s[0:1]
	v_or_b32_e32 v40, 0x100, v0
	v_cmp_gt_u32_e32 vcc, s33, v40
	s_and_saveexec_b64 s[0:1], vcc
	s_cbranch_execz .LBB877_260
; %bb.259:
	s_waitcnt lgkmcnt(0)
	flat_store_short v[2:3], v39 offset:512
.LBB877_260:
	s_or_b64 exec, exec, s[0:1]
	s_waitcnt lgkmcnt(0)
	v_or_b32_e32 v39, 0x200, v0
	v_cmp_gt_u32_e32 vcc, s33, v39
	s_and_saveexec_b64 s[0:1], vcc
	s_cbranch_execz .LBB877_262
; %bb.261:
	flat_store_short v[2:3], v38 offset:1024
.LBB877_262:
	s_or_b64 exec, exec, s[0:1]
	v_or_b32_e32 v38, 0x300, v0
	v_cmp_gt_u32_e32 vcc, s33, v38
	s_and_saveexec_b64 s[0:1], vcc
	s_cbranch_execz .LBB877_264
; %bb.263:
	flat_store_short v[2:3], v37 offset:1536
.LBB877_264:
	s_or_b64 exec, exec, s[0:1]
	;; [unrolled: 8-line block ×6, first 2 shown]
	v_or_b32_e32 v33, 0x800, v0
	v_cmp_gt_u32_e32 vcc, s33, v33
	s_and_saveexec_b64 s[0:1], vcc
	s_cbranch_execz .LBB877_274
; %bb.273:
	v_add_co_u32_e32 v34, vcc, 0x1000, v2
	s_nop 1
	v_addc_co_u32_e32 v35, vcc, 0, v3, vcc
	flat_store_short v[34:35], v32
.LBB877_274:
	s_or_b64 exec, exec, s[0:1]
	v_or_b32_e32 v32, 0x900, v0
	v_cmp_gt_u32_e32 vcc, s33, v32
	s_and_saveexec_b64 s[0:1], vcc
	s_cbranch_execz .LBB877_276
; %bb.275:
	v_add_co_u32_e32 v32, vcc, 0x1000, v2
	s_nop 1
	v_addc_co_u32_e32 v33, vcc, 0, v3, vcc
	flat_store_short v[32:33], v31 offset:512
.LBB877_276:
	s_or_b64 exec, exec, s[0:1]
	v_or_b32_e32 v31, 0xa00, v0
	v_cmp_gt_u32_e32 vcc, s33, v31
	s_and_saveexec_b64 s[0:1], vcc
	s_cbranch_execz .LBB877_278
; %bb.277:
	v_add_co_u32_e32 v32, vcc, 0x1000, v2
	s_nop 1
	v_addc_co_u32_e32 v33, vcc, 0, v3, vcc
	flat_store_short v[32:33], v30 offset:1024
.LBB877_278:
	;; [unrolled: 11-line block ×7, first 2 shown]
	s_or_b64 exec, exec, s[0:1]
	v_or_b32_e32 v23, 0x1000, v0
	v_cmp_gt_u32_e32 vcc, s33, v23
	s_and_saveexec_b64 s[0:1], vcc
	s_cbranch_execz .LBB877_290
; %bb.289:
	v_add_co_u32_e32 v24, vcc, 0x2000, v2
	s_nop 1
	v_addc_co_u32_e32 v25, vcc, 0, v3, vcc
	flat_store_short v[24:25], v22
.LBB877_290:
	s_or_b64 exec, exec, s[0:1]
	v_or_b32_e32 v22, 0x1100, v0
	v_cmp_gt_u32_e32 vcc, s33, v22
	s_and_saveexec_b64 s[0:1], vcc
	s_cbranch_execz .LBB877_292
; %bb.291:
	v_add_co_u32_e32 v22, vcc, 0x2000, v2
	s_nop 1
	v_addc_co_u32_e32 v23, vcc, 0, v3, vcc
	flat_store_short v[22:23], v21 offset:512
.LBB877_292:
	s_or_b64 exec, exec, s[0:1]
	v_or_b32_e32 v21, 0x1200, v0
	v_cmp_gt_u32_e32 vcc, s33, v21
	s_and_saveexec_b64 s[0:1], vcc
	s_cbranch_execz .LBB877_294
; %bb.293:
	v_add_co_u32_e32 v22, vcc, 0x2000, v2
	s_nop 1
	v_addc_co_u32_e32 v23, vcc, 0, v3, vcc
	flat_store_short v[22:23], v20 offset:1024
.LBB877_294:
	;; [unrolled: 11-line block ×6, first 2 shown]
	s_or_b64 exec, exec, s[0:1]
	v_or_b32_e32 v2, 0x1700, v0
	v_mov_b32_e32 v1, v27
	v_cmp_gt_u32_e64 s[0:1], s33, v2
	s_branch .LBB877_305
.LBB877_303:
	s_mov_b64 s[0:1], 0
                                        ; implicit-def: $vgpr13
	s_cbranch_execz .LBB877_305
; %bb.304:
	s_mov_b32 s4, 0x5040100
	v_perm_b32 v19, v7, v5, s4
	v_perm_b32 v18, v4, v6, s4
	;; [unrolled: 1-line block ×6, first 2 shown]
	s_waitcnt lgkmcnt(0)
	s_barrier
	v_perm_b32 v21, v16, v11, s4
	v_perm_b32 v20, v9, v8, s4
	ds_write_b128 v12, v[2:5] offset:16
	v_perm_b32 v5, v53, v52, s4
	v_perm_b32 v4, v51, v50, s4
	;; [unrolled: 1-line block ×4, first 2 shown]
	v_mov_b32_e32 v1, 0
	s_movk_i32 s4, 0xffd2
	ds_write_b128 v12, v[2:5] offset:32
	v_mad_i32_i24 v2, v0, s4, v12
	v_mov_b32_e32 v27, v1
	ds_write_b128 v12, v[18:21]
	s_waitcnt lgkmcnt(0)
	s_barrier
	ds_read_u16 v4, v2
	ds_read_u16 v5, v2 offset:512
	ds_read_u16 v6, v2 offset:1024
	;; [unrolled: 1-line block ×23, first 2 shown]
	v_lshl_add_u64 v[2:3], s[2:3], 0, v[26:27]
	s_movk_i32 s4, 0x1000
	s_waitcnt lgkmcnt(0)
	flat_store_short v[2:3], v4
	flat_store_short v[2:3], v5 offset:512
	flat_store_short v[2:3], v6 offset:1024
	;; [unrolled: 1-line block ×7, first 2 shown]
	v_add_co_u32_e32 v4, vcc, s4, v2
	s_or_b64 s[0:1], s[0:1], exec
	s_nop 0
	v_addc_co_u32_e32 v5, vcc, 0, v3, vcc
	v_add_co_u32_e32 v2, vcc, 0x2000, v2
	flat_store_short v[4:5], v12
	flat_store_short v[4:5], v14 offset:512
	flat_store_short v[4:5], v15 offset:1024
	;; [unrolled: 1-line block ×7, first 2 shown]
	v_addc_co_u32_e32 v3, vcc, 0, v3, vcc
	flat_store_short v[2:3], v21
	flat_store_short v[2:3], v22 offset:512
	flat_store_short v[2:3], v23 offset:1024
	;; [unrolled: 1-line block ×6, first 2 shown]
.LBB877_305:
	s_and_saveexec_b64 s[4:5], s[0:1]
	s_cbranch_execz .LBB877_307
; %bb.306:
	v_lshl_add_u64 v[0:1], v[0:1], 1, s[2:3]
	v_add_co_u32_e32 v0, vcc, 0x2000, v0
	s_nop 1
	v_addc_co_u32_e32 v1, vcc, 0, v1, vcc
	flat_store_short v[0:1], v13 offset:3584
	s_endpgm
.LBB877_307:
	s_endpgm
	.section	.rodata,"a",@progbits
	.p2align	6, 0x0
	.amdhsa_kernel _ZN7rocprim17ROCPRIM_400000_NS6detail17trampoline_kernelINS0_14default_configENS1_27scan_by_key_config_selectorIssEEZZNS1_16scan_by_key_implILNS1_25lookback_scan_determinismE0ELb1ES3_N6thrust23THRUST_200600_302600_NS6detail15normal_iteratorINS9_10device_ptrIsEEEESE_SE_sNS9_4plusIsEE19head_flag_predicatesEE10hipError_tPvRmT2_T3_T4_T5_mT6_T7_P12ihipStream_tbENKUlT_T0_E_clISt17integral_constantIbLb1EESX_IbLb0EEEEDaST_SU_EUlST_E_NS1_11comp_targetILNS1_3genE5ELNS1_11target_archE942ELNS1_3gpuE9ELNS1_3repE0EEENS1_30default_config_static_selectorELNS0_4arch9wavefront6targetE1EEEvT1_
		.amdhsa_group_segment_fixed_size 13312
		.amdhsa_private_segment_fixed_size 0
		.amdhsa_kernarg_size 112
		.amdhsa_user_sgpr_count 2
		.amdhsa_user_sgpr_dispatch_ptr 0
		.amdhsa_user_sgpr_queue_ptr 0
		.amdhsa_user_sgpr_kernarg_segment_ptr 1
		.amdhsa_user_sgpr_dispatch_id 0
		.amdhsa_user_sgpr_kernarg_preload_length 0
		.amdhsa_user_sgpr_kernarg_preload_offset 0
		.amdhsa_user_sgpr_private_segment_size 0
		.amdhsa_uses_dynamic_stack 0
		.amdhsa_enable_private_segment 0
		.amdhsa_system_sgpr_workgroup_id_x 1
		.amdhsa_system_sgpr_workgroup_id_y 0
		.amdhsa_system_sgpr_workgroup_id_z 0
		.amdhsa_system_sgpr_workgroup_info 0
		.amdhsa_system_vgpr_workitem_id 0
		.amdhsa_next_free_vgpr 60
		.amdhsa_next_free_sgpr 79
		.amdhsa_accum_offset 60
		.amdhsa_reserve_vcc 1
		.amdhsa_float_round_mode_32 0
		.amdhsa_float_round_mode_16_64 0
		.amdhsa_float_denorm_mode_32 3
		.amdhsa_float_denorm_mode_16_64 3
		.amdhsa_dx10_clamp 1
		.amdhsa_ieee_mode 1
		.amdhsa_fp16_overflow 0
		.amdhsa_tg_split 0
		.amdhsa_exception_fp_ieee_invalid_op 0
		.amdhsa_exception_fp_denorm_src 0
		.amdhsa_exception_fp_ieee_div_zero 0
		.amdhsa_exception_fp_ieee_overflow 0
		.amdhsa_exception_fp_ieee_underflow 0
		.amdhsa_exception_fp_ieee_inexact 0
		.amdhsa_exception_int_div_zero 0
	.end_amdhsa_kernel
	.section	.text._ZN7rocprim17ROCPRIM_400000_NS6detail17trampoline_kernelINS0_14default_configENS1_27scan_by_key_config_selectorIssEEZZNS1_16scan_by_key_implILNS1_25lookback_scan_determinismE0ELb1ES3_N6thrust23THRUST_200600_302600_NS6detail15normal_iteratorINS9_10device_ptrIsEEEESE_SE_sNS9_4plusIsEE19head_flag_predicatesEE10hipError_tPvRmT2_T3_T4_T5_mT6_T7_P12ihipStream_tbENKUlT_T0_E_clISt17integral_constantIbLb1EESX_IbLb0EEEEDaST_SU_EUlST_E_NS1_11comp_targetILNS1_3genE5ELNS1_11target_archE942ELNS1_3gpuE9ELNS1_3repE0EEENS1_30default_config_static_selectorELNS0_4arch9wavefront6targetE1EEEvT1_,"axG",@progbits,_ZN7rocprim17ROCPRIM_400000_NS6detail17trampoline_kernelINS0_14default_configENS1_27scan_by_key_config_selectorIssEEZZNS1_16scan_by_key_implILNS1_25lookback_scan_determinismE0ELb1ES3_N6thrust23THRUST_200600_302600_NS6detail15normal_iteratorINS9_10device_ptrIsEEEESE_SE_sNS9_4plusIsEE19head_flag_predicatesEE10hipError_tPvRmT2_T3_T4_T5_mT6_T7_P12ihipStream_tbENKUlT_T0_E_clISt17integral_constantIbLb1EESX_IbLb0EEEEDaST_SU_EUlST_E_NS1_11comp_targetILNS1_3genE5ELNS1_11target_archE942ELNS1_3gpuE9ELNS1_3repE0EEENS1_30default_config_static_selectorELNS0_4arch9wavefront6targetE1EEEvT1_,comdat
.Lfunc_end877:
	.size	_ZN7rocprim17ROCPRIM_400000_NS6detail17trampoline_kernelINS0_14default_configENS1_27scan_by_key_config_selectorIssEEZZNS1_16scan_by_key_implILNS1_25lookback_scan_determinismE0ELb1ES3_N6thrust23THRUST_200600_302600_NS6detail15normal_iteratorINS9_10device_ptrIsEEEESE_SE_sNS9_4plusIsEE19head_flag_predicatesEE10hipError_tPvRmT2_T3_T4_T5_mT6_T7_P12ihipStream_tbENKUlT_T0_E_clISt17integral_constantIbLb1EESX_IbLb0EEEEDaST_SU_EUlST_E_NS1_11comp_targetILNS1_3genE5ELNS1_11target_archE942ELNS1_3gpuE9ELNS1_3repE0EEENS1_30default_config_static_selectorELNS0_4arch9wavefront6targetE1EEEvT1_, .Lfunc_end877-_ZN7rocprim17ROCPRIM_400000_NS6detail17trampoline_kernelINS0_14default_configENS1_27scan_by_key_config_selectorIssEEZZNS1_16scan_by_key_implILNS1_25lookback_scan_determinismE0ELb1ES3_N6thrust23THRUST_200600_302600_NS6detail15normal_iteratorINS9_10device_ptrIsEEEESE_SE_sNS9_4plusIsEE19head_flag_predicatesEE10hipError_tPvRmT2_T3_T4_T5_mT6_T7_P12ihipStream_tbENKUlT_T0_E_clISt17integral_constantIbLb1EESX_IbLb0EEEEDaST_SU_EUlST_E_NS1_11comp_targetILNS1_3genE5ELNS1_11target_archE942ELNS1_3gpuE9ELNS1_3repE0EEENS1_30default_config_static_selectorELNS0_4arch9wavefront6targetE1EEEvT1_
                                        ; -- End function
	.section	.AMDGPU.csdata,"",@progbits
; Kernel info:
; codeLenInByte = 16364
; NumSgprs: 85
; NumVgprs: 60
; NumAgprs: 0
; TotalNumVgprs: 60
; ScratchSize: 0
; MemoryBound: 0
; FloatMode: 240
; IeeeMode: 1
; LDSByteSize: 13312 bytes/workgroup (compile time only)
; SGPRBlocks: 10
; VGPRBlocks: 7
; NumSGPRsForWavesPerEU: 85
; NumVGPRsForWavesPerEU: 60
; AccumOffset: 60
; Occupancy: 4
; WaveLimiterHint : 1
; COMPUTE_PGM_RSRC2:SCRATCH_EN: 0
; COMPUTE_PGM_RSRC2:USER_SGPR: 2
; COMPUTE_PGM_RSRC2:TRAP_HANDLER: 0
; COMPUTE_PGM_RSRC2:TGID_X_EN: 1
; COMPUTE_PGM_RSRC2:TGID_Y_EN: 0
; COMPUTE_PGM_RSRC2:TGID_Z_EN: 0
; COMPUTE_PGM_RSRC2:TIDIG_COMP_CNT: 0
; COMPUTE_PGM_RSRC3_GFX90A:ACCUM_OFFSET: 14
; COMPUTE_PGM_RSRC3_GFX90A:TG_SPLIT: 0
	.section	.text._ZN7rocprim17ROCPRIM_400000_NS6detail17trampoline_kernelINS0_14default_configENS1_27scan_by_key_config_selectorIssEEZZNS1_16scan_by_key_implILNS1_25lookback_scan_determinismE0ELb1ES3_N6thrust23THRUST_200600_302600_NS6detail15normal_iteratorINS9_10device_ptrIsEEEESE_SE_sNS9_4plusIsEE19head_flag_predicatesEE10hipError_tPvRmT2_T3_T4_T5_mT6_T7_P12ihipStream_tbENKUlT_T0_E_clISt17integral_constantIbLb1EESX_IbLb0EEEEDaST_SU_EUlST_E_NS1_11comp_targetILNS1_3genE4ELNS1_11target_archE910ELNS1_3gpuE8ELNS1_3repE0EEENS1_30default_config_static_selectorELNS0_4arch9wavefront6targetE1EEEvT1_,"axG",@progbits,_ZN7rocprim17ROCPRIM_400000_NS6detail17trampoline_kernelINS0_14default_configENS1_27scan_by_key_config_selectorIssEEZZNS1_16scan_by_key_implILNS1_25lookback_scan_determinismE0ELb1ES3_N6thrust23THRUST_200600_302600_NS6detail15normal_iteratorINS9_10device_ptrIsEEEESE_SE_sNS9_4plusIsEE19head_flag_predicatesEE10hipError_tPvRmT2_T3_T4_T5_mT6_T7_P12ihipStream_tbENKUlT_T0_E_clISt17integral_constantIbLb1EESX_IbLb0EEEEDaST_SU_EUlST_E_NS1_11comp_targetILNS1_3genE4ELNS1_11target_archE910ELNS1_3gpuE8ELNS1_3repE0EEENS1_30default_config_static_selectorELNS0_4arch9wavefront6targetE1EEEvT1_,comdat
	.protected	_ZN7rocprim17ROCPRIM_400000_NS6detail17trampoline_kernelINS0_14default_configENS1_27scan_by_key_config_selectorIssEEZZNS1_16scan_by_key_implILNS1_25lookback_scan_determinismE0ELb1ES3_N6thrust23THRUST_200600_302600_NS6detail15normal_iteratorINS9_10device_ptrIsEEEESE_SE_sNS9_4plusIsEE19head_flag_predicatesEE10hipError_tPvRmT2_T3_T4_T5_mT6_T7_P12ihipStream_tbENKUlT_T0_E_clISt17integral_constantIbLb1EESX_IbLb0EEEEDaST_SU_EUlST_E_NS1_11comp_targetILNS1_3genE4ELNS1_11target_archE910ELNS1_3gpuE8ELNS1_3repE0EEENS1_30default_config_static_selectorELNS0_4arch9wavefront6targetE1EEEvT1_ ; -- Begin function _ZN7rocprim17ROCPRIM_400000_NS6detail17trampoline_kernelINS0_14default_configENS1_27scan_by_key_config_selectorIssEEZZNS1_16scan_by_key_implILNS1_25lookback_scan_determinismE0ELb1ES3_N6thrust23THRUST_200600_302600_NS6detail15normal_iteratorINS9_10device_ptrIsEEEESE_SE_sNS9_4plusIsEE19head_flag_predicatesEE10hipError_tPvRmT2_T3_T4_T5_mT6_T7_P12ihipStream_tbENKUlT_T0_E_clISt17integral_constantIbLb1EESX_IbLb0EEEEDaST_SU_EUlST_E_NS1_11comp_targetILNS1_3genE4ELNS1_11target_archE910ELNS1_3gpuE8ELNS1_3repE0EEENS1_30default_config_static_selectorELNS0_4arch9wavefront6targetE1EEEvT1_
	.globl	_ZN7rocprim17ROCPRIM_400000_NS6detail17trampoline_kernelINS0_14default_configENS1_27scan_by_key_config_selectorIssEEZZNS1_16scan_by_key_implILNS1_25lookback_scan_determinismE0ELb1ES3_N6thrust23THRUST_200600_302600_NS6detail15normal_iteratorINS9_10device_ptrIsEEEESE_SE_sNS9_4plusIsEE19head_flag_predicatesEE10hipError_tPvRmT2_T3_T4_T5_mT6_T7_P12ihipStream_tbENKUlT_T0_E_clISt17integral_constantIbLb1EESX_IbLb0EEEEDaST_SU_EUlST_E_NS1_11comp_targetILNS1_3genE4ELNS1_11target_archE910ELNS1_3gpuE8ELNS1_3repE0EEENS1_30default_config_static_selectorELNS0_4arch9wavefront6targetE1EEEvT1_
	.p2align	8
	.type	_ZN7rocprim17ROCPRIM_400000_NS6detail17trampoline_kernelINS0_14default_configENS1_27scan_by_key_config_selectorIssEEZZNS1_16scan_by_key_implILNS1_25lookback_scan_determinismE0ELb1ES3_N6thrust23THRUST_200600_302600_NS6detail15normal_iteratorINS9_10device_ptrIsEEEESE_SE_sNS9_4plusIsEE19head_flag_predicatesEE10hipError_tPvRmT2_T3_T4_T5_mT6_T7_P12ihipStream_tbENKUlT_T0_E_clISt17integral_constantIbLb1EESX_IbLb0EEEEDaST_SU_EUlST_E_NS1_11comp_targetILNS1_3genE4ELNS1_11target_archE910ELNS1_3gpuE8ELNS1_3repE0EEENS1_30default_config_static_selectorELNS0_4arch9wavefront6targetE1EEEvT1_,@function
_ZN7rocprim17ROCPRIM_400000_NS6detail17trampoline_kernelINS0_14default_configENS1_27scan_by_key_config_selectorIssEEZZNS1_16scan_by_key_implILNS1_25lookback_scan_determinismE0ELb1ES3_N6thrust23THRUST_200600_302600_NS6detail15normal_iteratorINS9_10device_ptrIsEEEESE_SE_sNS9_4plusIsEE19head_flag_predicatesEE10hipError_tPvRmT2_T3_T4_T5_mT6_T7_P12ihipStream_tbENKUlT_T0_E_clISt17integral_constantIbLb1EESX_IbLb0EEEEDaST_SU_EUlST_E_NS1_11comp_targetILNS1_3genE4ELNS1_11target_archE910ELNS1_3gpuE8ELNS1_3repE0EEENS1_30default_config_static_selectorELNS0_4arch9wavefront6targetE1EEEvT1_: ; @_ZN7rocprim17ROCPRIM_400000_NS6detail17trampoline_kernelINS0_14default_configENS1_27scan_by_key_config_selectorIssEEZZNS1_16scan_by_key_implILNS1_25lookback_scan_determinismE0ELb1ES3_N6thrust23THRUST_200600_302600_NS6detail15normal_iteratorINS9_10device_ptrIsEEEESE_SE_sNS9_4plusIsEE19head_flag_predicatesEE10hipError_tPvRmT2_T3_T4_T5_mT6_T7_P12ihipStream_tbENKUlT_T0_E_clISt17integral_constantIbLb1EESX_IbLb0EEEEDaST_SU_EUlST_E_NS1_11comp_targetILNS1_3genE4ELNS1_11target_archE910ELNS1_3gpuE8ELNS1_3repE0EEENS1_30default_config_static_selectorELNS0_4arch9wavefront6targetE1EEEvT1_
; %bb.0:
	.section	.rodata,"a",@progbits
	.p2align	6, 0x0
	.amdhsa_kernel _ZN7rocprim17ROCPRIM_400000_NS6detail17trampoline_kernelINS0_14default_configENS1_27scan_by_key_config_selectorIssEEZZNS1_16scan_by_key_implILNS1_25lookback_scan_determinismE0ELb1ES3_N6thrust23THRUST_200600_302600_NS6detail15normal_iteratorINS9_10device_ptrIsEEEESE_SE_sNS9_4plusIsEE19head_flag_predicatesEE10hipError_tPvRmT2_T3_T4_T5_mT6_T7_P12ihipStream_tbENKUlT_T0_E_clISt17integral_constantIbLb1EESX_IbLb0EEEEDaST_SU_EUlST_E_NS1_11comp_targetILNS1_3genE4ELNS1_11target_archE910ELNS1_3gpuE8ELNS1_3repE0EEENS1_30default_config_static_selectorELNS0_4arch9wavefront6targetE1EEEvT1_
		.amdhsa_group_segment_fixed_size 0
		.amdhsa_private_segment_fixed_size 0
		.amdhsa_kernarg_size 112
		.amdhsa_user_sgpr_count 2
		.amdhsa_user_sgpr_dispatch_ptr 0
		.amdhsa_user_sgpr_queue_ptr 0
		.amdhsa_user_sgpr_kernarg_segment_ptr 1
		.amdhsa_user_sgpr_dispatch_id 0
		.amdhsa_user_sgpr_kernarg_preload_length 0
		.amdhsa_user_sgpr_kernarg_preload_offset 0
		.amdhsa_user_sgpr_private_segment_size 0
		.amdhsa_uses_dynamic_stack 0
		.amdhsa_enable_private_segment 0
		.amdhsa_system_sgpr_workgroup_id_x 1
		.amdhsa_system_sgpr_workgroup_id_y 0
		.amdhsa_system_sgpr_workgroup_id_z 0
		.amdhsa_system_sgpr_workgroup_info 0
		.amdhsa_system_vgpr_workitem_id 0
		.amdhsa_next_free_vgpr 1
		.amdhsa_next_free_sgpr 0
		.amdhsa_accum_offset 4
		.amdhsa_reserve_vcc 0
		.amdhsa_float_round_mode_32 0
		.amdhsa_float_round_mode_16_64 0
		.amdhsa_float_denorm_mode_32 3
		.amdhsa_float_denorm_mode_16_64 3
		.amdhsa_dx10_clamp 1
		.amdhsa_ieee_mode 1
		.amdhsa_fp16_overflow 0
		.amdhsa_tg_split 0
		.amdhsa_exception_fp_ieee_invalid_op 0
		.amdhsa_exception_fp_denorm_src 0
		.amdhsa_exception_fp_ieee_div_zero 0
		.amdhsa_exception_fp_ieee_overflow 0
		.amdhsa_exception_fp_ieee_underflow 0
		.amdhsa_exception_fp_ieee_inexact 0
		.amdhsa_exception_int_div_zero 0
	.end_amdhsa_kernel
	.section	.text._ZN7rocprim17ROCPRIM_400000_NS6detail17trampoline_kernelINS0_14default_configENS1_27scan_by_key_config_selectorIssEEZZNS1_16scan_by_key_implILNS1_25lookback_scan_determinismE0ELb1ES3_N6thrust23THRUST_200600_302600_NS6detail15normal_iteratorINS9_10device_ptrIsEEEESE_SE_sNS9_4plusIsEE19head_flag_predicatesEE10hipError_tPvRmT2_T3_T4_T5_mT6_T7_P12ihipStream_tbENKUlT_T0_E_clISt17integral_constantIbLb1EESX_IbLb0EEEEDaST_SU_EUlST_E_NS1_11comp_targetILNS1_3genE4ELNS1_11target_archE910ELNS1_3gpuE8ELNS1_3repE0EEENS1_30default_config_static_selectorELNS0_4arch9wavefront6targetE1EEEvT1_,"axG",@progbits,_ZN7rocprim17ROCPRIM_400000_NS6detail17trampoline_kernelINS0_14default_configENS1_27scan_by_key_config_selectorIssEEZZNS1_16scan_by_key_implILNS1_25lookback_scan_determinismE0ELb1ES3_N6thrust23THRUST_200600_302600_NS6detail15normal_iteratorINS9_10device_ptrIsEEEESE_SE_sNS9_4plusIsEE19head_flag_predicatesEE10hipError_tPvRmT2_T3_T4_T5_mT6_T7_P12ihipStream_tbENKUlT_T0_E_clISt17integral_constantIbLb1EESX_IbLb0EEEEDaST_SU_EUlST_E_NS1_11comp_targetILNS1_3genE4ELNS1_11target_archE910ELNS1_3gpuE8ELNS1_3repE0EEENS1_30default_config_static_selectorELNS0_4arch9wavefront6targetE1EEEvT1_,comdat
.Lfunc_end878:
	.size	_ZN7rocprim17ROCPRIM_400000_NS6detail17trampoline_kernelINS0_14default_configENS1_27scan_by_key_config_selectorIssEEZZNS1_16scan_by_key_implILNS1_25lookback_scan_determinismE0ELb1ES3_N6thrust23THRUST_200600_302600_NS6detail15normal_iteratorINS9_10device_ptrIsEEEESE_SE_sNS9_4plusIsEE19head_flag_predicatesEE10hipError_tPvRmT2_T3_T4_T5_mT6_T7_P12ihipStream_tbENKUlT_T0_E_clISt17integral_constantIbLb1EESX_IbLb0EEEEDaST_SU_EUlST_E_NS1_11comp_targetILNS1_3genE4ELNS1_11target_archE910ELNS1_3gpuE8ELNS1_3repE0EEENS1_30default_config_static_selectorELNS0_4arch9wavefront6targetE1EEEvT1_, .Lfunc_end878-_ZN7rocprim17ROCPRIM_400000_NS6detail17trampoline_kernelINS0_14default_configENS1_27scan_by_key_config_selectorIssEEZZNS1_16scan_by_key_implILNS1_25lookback_scan_determinismE0ELb1ES3_N6thrust23THRUST_200600_302600_NS6detail15normal_iteratorINS9_10device_ptrIsEEEESE_SE_sNS9_4plusIsEE19head_flag_predicatesEE10hipError_tPvRmT2_T3_T4_T5_mT6_T7_P12ihipStream_tbENKUlT_T0_E_clISt17integral_constantIbLb1EESX_IbLb0EEEEDaST_SU_EUlST_E_NS1_11comp_targetILNS1_3genE4ELNS1_11target_archE910ELNS1_3gpuE8ELNS1_3repE0EEENS1_30default_config_static_selectorELNS0_4arch9wavefront6targetE1EEEvT1_
                                        ; -- End function
	.section	.AMDGPU.csdata,"",@progbits
; Kernel info:
; codeLenInByte = 0
; NumSgprs: 6
; NumVgprs: 0
; NumAgprs: 0
; TotalNumVgprs: 0
; ScratchSize: 0
; MemoryBound: 0
; FloatMode: 240
; IeeeMode: 1
; LDSByteSize: 0 bytes/workgroup (compile time only)
; SGPRBlocks: 0
; VGPRBlocks: 0
; NumSGPRsForWavesPerEU: 6
; NumVGPRsForWavesPerEU: 1
; AccumOffset: 4
; Occupancy: 8
; WaveLimiterHint : 0
; COMPUTE_PGM_RSRC2:SCRATCH_EN: 0
; COMPUTE_PGM_RSRC2:USER_SGPR: 2
; COMPUTE_PGM_RSRC2:TRAP_HANDLER: 0
; COMPUTE_PGM_RSRC2:TGID_X_EN: 1
; COMPUTE_PGM_RSRC2:TGID_Y_EN: 0
; COMPUTE_PGM_RSRC2:TGID_Z_EN: 0
; COMPUTE_PGM_RSRC2:TIDIG_COMP_CNT: 0
; COMPUTE_PGM_RSRC3_GFX90A:ACCUM_OFFSET: 0
; COMPUTE_PGM_RSRC3_GFX90A:TG_SPLIT: 0
	.section	.text._ZN7rocprim17ROCPRIM_400000_NS6detail17trampoline_kernelINS0_14default_configENS1_27scan_by_key_config_selectorIssEEZZNS1_16scan_by_key_implILNS1_25lookback_scan_determinismE0ELb1ES3_N6thrust23THRUST_200600_302600_NS6detail15normal_iteratorINS9_10device_ptrIsEEEESE_SE_sNS9_4plusIsEE19head_flag_predicatesEE10hipError_tPvRmT2_T3_T4_T5_mT6_T7_P12ihipStream_tbENKUlT_T0_E_clISt17integral_constantIbLb1EESX_IbLb0EEEEDaST_SU_EUlST_E_NS1_11comp_targetILNS1_3genE3ELNS1_11target_archE908ELNS1_3gpuE7ELNS1_3repE0EEENS1_30default_config_static_selectorELNS0_4arch9wavefront6targetE1EEEvT1_,"axG",@progbits,_ZN7rocprim17ROCPRIM_400000_NS6detail17trampoline_kernelINS0_14default_configENS1_27scan_by_key_config_selectorIssEEZZNS1_16scan_by_key_implILNS1_25lookback_scan_determinismE0ELb1ES3_N6thrust23THRUST_200600_302600_NS6detail15normal_iteratorINS9_10device_ptrIsEEEESE_SE_sNS9_4plusIsEE19head_flag_predicatesEE10hipError_tPvRmT2_T3_T4_T5_mT6_T7_P12ihipStream_tbENKUlT_T0_E_clISt17integral_constantIbLb1EESX_IbLb0EEEEDaST_SU_EUlST_E_NS1_11comp_targetILNS1_3genE3ELNS1_11target_archE908ELNS1_3gpuE7ELNS1_3repE0EEENS1_30default_config_static_selectorELNS0_4arch9wavefront6targetE1EEEvT1_,comdat
	.protected	_ZN7rocprim17ROCPRIM_400000_NS6detail17trampoline_kernelINS0_14default_configENS1_27scan_by_key_config_selectorIssEEZZNS1_16scan_by_key_implILNS1_25lookback_scan_determinismE0ELb1ES3_N6thrust23THRUST_200600_302600_NS6detail15normal_iteratorINS9_10device_ptrIsEEEESE_SE_sNS9_4plusIsEE19head_flag_predicatesEE10hipError_tPvRmT2_T3_T4_T5_mT6_T7_P12ihipStream_tbENKUlT_T0_E_clISt17integral_constantIbLb1EESX_IbLb0EEEEDaST_SU_EUlST_E_NS1_11comp_targetILNS1_3genE3ELNS1_11target_archE908ELNS1_3gpuE7ELNS1_3repE0EEENS1_30default_config_static_selectorELNS0_4arch9wavefront6targetE1EEEvT1_ ; -- Begin function _ZN7rocprim17ROCPRIM_400000_NS6detail17trampoline_kernelINS0_14default_configENS1_27scan_by_key_config_selectorIssEEZZNS1_16scan_by_key_implILNS1_25lookback_scan_determinismE0ELb1ES3_N6thrust23THRUST_200600_302600_NS6detail15normal_iteratorINS9_10device_ptrIsEEEESE_SE_sNS9_4plusIsEE19head_flag_predicatesEE10hipError_tPvRmT2_T3_T4_T5_mT6_T7_P12ihipStream_tbENKUlT_T0_E_clISt17integral_constantIbLb1EESX_IbLb0EEEEDaST_SU_EUlST_E_NS1_11comp_targetILNS1_3genE3ELNS1_11target_archE908ELNS1_3gpuE7ELNS1_3repE0EEENS1_30default_config_static_selectorELNS0_4arch9wavefront6targetE1EEEvT1_
	.globl	_ZN7rocprim17ROCPRIM_400000_NS6detail17trampoline_kernelINS0_14default_configENS1_27scan_by_key_config_selectorIssEEZZNS1_16scan_by_key_implILNS1_25lookback_scan_determinismE0ELb1ES3_N6thrust23THRUST_200600_302600_NS6detail15normal_iteratorINS9_10device_ptrIsEEEESE_SE_sNS9_4plusIsEE19head_flag_predicatesEE10hipError_tPvRmT2_T3_T4_T5_mT6_T7_P12ihipStream_tbENKUlT_T0_E_clISt17integral_constantIbLb1EESX_IbLb0EEEEDaST_SU_EUlST_E_NS1_11comp_targetILNS1_3genE3ELNS1_11target_archE908ELNS1_3gpuE7ELNS1_3repE0EEENS1_30default_config_static_selectorELNS0_4arch9wavefront6targetE1EEEvT1_
	.p2align	8
	.type	_ZN7rocprim17ROCPRIM_400000_NS6detail17trampoline_kernelINS0_14default_configENS1_27scan_by_key_config_selectorIssEEZZNS1_16scan_by_key_implILNS1_25lookback_scan_determinismE0ELb1ES3_N6thrust23THRUST_200600_302600_NS6detail15normal_iteratorINS9_10device_ptrIsEEEESE_SE_sNS9_4plusIsEE19head_flag_predicatesEE10hipError_tPvRmT2_T3_T4_T5_mT6_T7_P12ihipStream_tbENKUlT_T0_E_clISt17integral_constantIbLb1EESX_IbLb0EEEEDaST_SU_EUlST_E_NS1_11comp_targetILNS1_3genE3ELNS1_11target_archE908ELNS1_3gpuE7ELNS1_3repE0EEENS1_30default_config_static_selectorELNS0_4arch9wavefront6targetE1EEEvT1_,@function
_ZN7rocprim17ROCPRIM_400000_NS6detail17trampoline_kernelINS0_14default_configENS1_27scan_by_key_config_selectorIssEEZZNS1_16scan_by_key_implILNS1_25lookback_scan_determinismE0ELb1ES3_N6thrust23THRUST_200600_302600_NS6detail15normal_iteratorINS9_10device_ptrIsEEEESE_SE_sNS9_4plusIsEE19head_flag_predicatesEE10hipError_tPvRmT2_T3_T4_T5_mT6_T7_P12ihipStream_tbENKUlT_T0_E_clISt17integral_constantIbLb1EESX_IbLb0EEEEDaST_SU_EUlST_E_NS1_11comp_targetILNS1_3genE3ELNS1_11target_archE908ELNS1_3gpuE7ELNS1_3repE0EEENS1_30default_config_static_selectorELNS0_4arch9wavefront6targetE1EEEvT1_: ; @_ZN7rocprim17ROCPRIM_400000_NS6detail17trampoline_kernelINS0_14default_configENS1_27scan_by_key_config_selectorIssEEZZNS1_16scan_by_key_implILNS1_25lookback_scan_determinismE0ELb1ES3_N6thrust23THRUST_200600_302600_NS6detail15normal_iteratorINS9_10device_ptrIsEEEESE_SE_sNS9_4plusIsEE19head_flag_predicatesEE10hipError_tPvRmT2_T3_T4_T5_mT6_T7_P12ihipStream_tbENKUlT_T0_E_clISt17integral_constantIbLb1EESX_IbLb0EEEEDaST_SU_EUlST_E_NS1_11comp_targetILNS1_3genE3ELNS1_11target_archE908ELNS1_3gpuE7ELNS1_3repE0EEENS1_30default_config_static_selectorELNS0_4arch9wavefront6targetE1EEEvT1_
; %bb.0:
	.section	.rodata,"a",@progbits
	.p2align	6, 0x0
	.amdhsa_kernel _ZN7rocprim17ROCPRIM_400000_NS6detail17trampoline_kernelINS0_14default_configENS1_27scan_by_key_config_selectorIssEEZZNS1_16scan_by_key_implILNS1_25lookback_scan_determinismE0ELb1ES3_N6thrust23THRUST_200600_302600_NS6detail15normal_iteratorINS9_10device_ptrIsEEEESE_SE_sNS9_4plusIsEE19head_flag_predicatesEE10hipError_tPvRmT2_T3_T4_T5_mT6_T7_P12ihipStream_tbENKUlT_T0_E_clISt17integral_constantIbLb1EESX_IbLb0EEEEDaST_SU_EUlST_E_NS1_11comp_targetILNS1_3genE3ELNS1_11target_archE908ELNS1_3gpuE7ELNS1_3repE0EEENS1_30default_config_static_selectorELNS0_4arch9wavefront6targetE1EEEvT1_
		.amdhsa_group_segment_fixed_size 0
		.amdhsa_private_segment_fixed_size 0
		.amdhsa_kernarg_size 112
		.amdhsa_user_sgpr_count 2
		.amdhsa_user_sgpr_dispatch_ptr 0
		.amdhsa_user_sgpr_queue_ptr 0
		.amdhsa_user_sgpr_kernarg_segment_ptr 1
		.amdhsa_user_sgpr_dispatch_id 0
		.amdhsa_user_sgpr_kernarg_preload_length 0
		.amdhsa_user_sgpr_kernarg_preload_offset 0
		.amdhsa_user_sgpr_private_segment_size 0
		.amdhsa_uses_dynamic_stack 0
		.amdhsa_enable_private_segment 0
		.amdhsa_system_sgpr_workgroup_id_x 1
		.amdhsa_system_sgpr_workgroup_id_y 0
		.amdhsa_system_sgpr_workgroup_id_z 0
		.amdhsa_system_sgpr_workgroup_info 0
		.amdhsa_system_vgpr_workitem_id 0
		.amdhsa_next_free_vgpr 1
		.amdhsa_next_free_sgpr 0
		.amdhsa_accum_offset 4
		.amdhsa_reserve_vcc 0
		.amdhsa_float_round_mode_32 0
		.amdhsa_float_round_mode_16_64 0
		.amdhsa_float_denorm_mode_32 3
		.amdhsa_float_denorm_mode_16_64 3
		.amdhsa_dx10_clamp 1
		.amdhsa_ieee_mode 1
		.amdhsa_fp16_overflow 0
		.amdhsa_tg_split 0
		.amdhsa_exception_fp_ieee_invalid_op 0
		.amdhsa_exception_fp_denorm_src 0
		.amdhsa_exception_fp_ieee_div_zero 0
		.amdhsa_exception_fp_ieee_overflow 0
		.amdhsa_exception_fp_ieee_underflow 0
		.amdhsa_exception_fp_ieee_inexact 0
		.amdhsa_exception_int_div_zero 0
	.end_amdhsa_kernel
	.section	.text._ZN7rocprim17ROCPRIM_400000_NS6detail17trampoline_kernelINS0_14default_configENS1_27scan_by_key_config_selectorIssEEZZNS1_16scan_by_key_implILNS1_25lookback_scan_determinismE0ELb1ES3_N6thrust23THRUST_200600_302600_NS6detail15normal_iteratorINS9_10device_ptrIsEEEESE_SE_sNS9_4plusIsEE19head_flag_predicatesEE10hipError_tPvRmT2_T3_T4_T5_mT6_T7_P12ihipStream_tbENKUlT_T0_E_clISt17integral_constantIbLb1EESX_IbLb0EEEEDaST_SU_EUlST_E_NS1_11comp_targetILNS1_3genE3ELNS1_11target_archE908ELNS1_3gpuE7ELNS1_3repE0EEENS1_30default_config_static_selectorELNS0_4arch9wavefront6targetE1EEEvT1_,"axG",@progbits,_ZN7rocprim17ROCPRIM_400000_NS6detail17trampoline_kernelINS0_14default_configENS1_27scan_by_key_config_selectorIssEEZZNS1_16scan_by_key_implILNS1_25lookback_scan_determinismE0ELb1ES3_N6thrust23THRUST_200600_302600_NS6detail15normal_iteratorINS9_10device_ptrIsEEEESE_SE_sNS9_4plusIsEE19head_flag_predicatesEE10hipError_tPvRmT2_T3_T4_T5_mT6_T7_P12ihipStream_tbENKUlT_T0_E_clISt17integral_constantIbLb1EESX_IbLb0EEEEDaST_SU_EUlST_E_NS1_11comp_targetILNS1_3genE3ELNS1_11target_archE908ELNS1_3gpuE7ELNS1_3repE0EEENS1_30default_config_static_selectorELNS0_4arch9wavefront6targetE1EEEvT1_,comdat
.Lfunc_end879:
	.size	_ZN7rocprim17ROCPRIM_400000_NS6detail17trampoline_kernelINS0_14default_configENS1_27scan_by_key_config_selectorIssEEZZNS1_16scan_by_key_implILNS1_25lookback_scan_determinismE0ELb1ES3_N6thrust23THRUST_200600_302600_NS6detail15normal_iteratorINS9_10device_ptrIsEEEESE_SE_sNS9_4plusIsEE19head_flag_predicatesEE10hipError_tPvRmT2_T3_T4_T5_mT6_T7_P12ihipStream_tbENKUlT_T0_E_clISt17integral_constantIbLb1EESX_IbLb0EEEEDaST_SU_EUlST_E_NS1_11comp_targetILNS1_3genE3ELNS1_11target_archE908ELNS1_3gpuE7ELNS1_3repE0EEENS1_30default_config_static_selectorELNS0_4arch9wavefront6targetE1EEEvT1_, .Lfunc_end879-_ZN7rocprim17ROCPRIM_400000_NS6detail17trampoline_kernelINS0_14default_configENS1_27scan_by_key_config_selectorIssEEZZNS1_16scan_by_key_implILNS1_25lookback_scan_determinismE0ELb1ES3_N6thrust23THRUST_200600_302600_NS6detail15normal_iteratorINS9_10device_ptrIsEEEESE_SE_sNS9_4plusIsEE19head_flag_predicatesEE10hipError_tPvRmT2_T3_T4_T5_mT6_T7_P12ihipStream_tbENKUlT_T0_E_clISt17integral_constantIbLb1EESX_IbLb0EEEEDaST_SU_EUlST_E_NS1_11comp_targetILNS1_3genE3ELNS1_11target_archE908ELNS1_3gpuE7ELNS1_3repE0EEENS1_30default_config_static_selectorELNS0_4arch9wavefront6targetE1EEEvT1_
                                        ; -- End function
	.section	.AMDGPU.csdata,"",@progbits
; Kernel info:
; codeLenInByte = 0
; NumSgprs: 6
; NumVgprs: 0
; NumAgprs: 0
; TotalNumVgprs: 0
; ScratchSize: 0
; MemoryBound: 0
; FloatMode: 240
; IeeeMode: 1
; LDSByteSize: 0 bytes/workgroup (compile time only)
; SGPRBlocks: 0
; VGPRBlocks: 0
; NumSGPRsForWavesPerEU: 6
; NumVGPRsForWavesPerEU: 1
; AccumOffset: 4
; Occupancy: 8
; WaveLimiterHint : 0
; COMPUTE_PGM_RSRC2:SCRATCH_EN: 0
; COMPUTE_PGM_RSRC2:USER_SGPR: 2
; COMPUTE_PGM_RSRC2:TRAP_HANDLER: 0
; COMPUTE_PGM_RSRC2:TGID_X_EN: 1
; COMPUTE_PGM_RSRC2:TGID_Y_EN: 0
; COMPUTE_PGM_RSRC2:TGID_Z_EN: 0
; COMPUTE_PGM_RSRC2:TIDIG_COMP_CNT: 0
; COMPUTE_PGM_RSRC3_GFX90A:ACCUM_OFFSET: 0
; COMPUTE_PGM_RSRC3_GFX90A:TG_SPLIT: 0
	.section	.text._ZN7rocprim17ROCPRIM_400000_NS6detail17trampoline_kernelINS0_14default_configENS1_27scan_by_key_config_selectorIssEEZZNS1_16scan_by_key_implILNS1_25lookback_scan_determinismE0ELb1ES3_N6thrust23THRUST_200600_302600_NS6detail15normal_iteratorINS9_10device_ptrIsEEEESE_SE_sNS9_4plusIsEE19head_flag_predicatesEE10hipError_tPvRmT2_T3_T4_T5_mT6_T7_P12ihipStream_tbENKUlT_T0_E_clISt17integral_constantIbLb1EESX_IbLb0EEEEDaST_SU_EUlST_E_NS1_11comp_targetILNS1_3genE2ELNS1_11target_archE906ELNS1_3gpuE6ELNS1_3repE0EEENS1_30default_config_static_selectorELNS0_4arch9wavefront6targetE1EEEvT1_,"axG",@progbits,_ZN7rocprim17ROCPRIM_400000_NS6detail17trampoline_kernelINS0_14default_configENS1_27scan_by_key_config_selectorIssEEZZNS1_16scan_by_key_implILNS1_25lookback_scan_determinismE0ELb1ES3_N6thrust23THRUST_200600_302600_NS6detail15normal_iteratorINS9_10device_ptrIsEEEESE_SE_sNS9_4plusIsEE19head_flag_predicatesEE10hipError_tPvRmT2_T3_T4_T5_mT6_T7_P12ihipStream_tbENKUlT_T0_E_clISt17integral_constantIbLb1EESX_IbLb0EEEEDaST_SU_EUlST_E_NS1_11comp_targetILNS1_3genE2ELNS1_11target_archE906ELNS1_3gpuE6ELNS1_3repE0EEENS1_30default_config_static_selectorELNS0_4arch9wavefront6targetE1EEEvT1_,comdat
	.protected	_ZN7rocprim17ROCPRIM_400000_NS6detail17trampoline_kernelINS0_14default_configENS1_27scan_by_key_config_selectorIssEEZZNS1_16scan_by_key_implILNS1_25lookback_scan_determinismE0ELb1ES3_N6thrust23THRUST_200600_302600_NS6detail15normal_iteratorINS9_10device_ptrIsEEEESE_SE_sNS9_4plusIsEE19head_flag_predicatesEE10hipError_tPvRmT2_T3_T4_T5_mT6_T7_P12ihipStream_tbENKUlT_T0_E_clISt17integral_constantIbLb1EESX_IbLb0EEEEDaST_SU_EUlST_E_NS1_11comp_targetILNS1_3genE2ELNS1_11target_archE906ELNS1_3gpuE6ELNS1_3repE0EEENS1_30default_config_static_selectorELNS0_4arch9wavefront6targetE1EEEvT1_ ; -- Begin function _ZN7rocprim17ROCPRIM_400000_NS6detail17trampoline_kernelINS0_14default_configENS1_27scan_by_key_config_selectorIssEEZZNS1_16scan_by_key_implILNS1_25lookback_scan_determinismE0ELb1ES3_N6thrust23THRUST_200600_302600_NS6detail15normal_iteratorINS9_10device_ptrIsEEEESE_SE_sNS9_4plusIsEE19head_flag_predicatesEE10hipError_tPvRmT2_T3_T4_T5_mT6_T7_P12ihipStream_tbENKUlT_T0_E_clISt17integral_constantIbLb1EESX_IbLb0EEEEDaST_SU_EUlST_E_NS1_11comp_targetILNS1_3genE2ELNS1_11target_archE906ELNS1_3gpuE6ELNS1_3repE0EEENS1_30default_config_static_selectorELNS0_4arch9wavefront6targetE1EEEvT1_
	.globl	_ZN7rocprim17ROCPRIM_400000_NS6detail17trampoline_kernelINS0_14default_configENS1_27scan_by_key_config_selectorIssEEZZNS1_16scan_by_key_implILNS1_25lookback_scan_determinismE0ELb1ES3_N6thrust23THRUST_200600_302600_NS6detail15normal_iteratorINS9_10device_ptrIsEEEESE_SE_sNS9_4plusIsEE19head_flag_predicatesEE10hipError_tPvRmT2_T3_T4_T5_mT6_T7_P12ihipStream_tbENKUlT_T0_E_clISt17integral_constantIbLb1EESX_IbLb0EEEEDaST_SU_EUlST_E_NS1_11comp_targetILNS1_3genE2ELNS1_11target_archE906ELNS1_3gpuE6ELNS1_3repE0EEENS1_30default_config_static_selectorELNS0_4arch9wavefront6targetE1EEEvT1_
	.p2align	8
	.type	_ZN7rocprim17ROCPRIM_400000_NS6detail17trampoline_kernelINS0_14default_configENS1_27scan_by_key_config_selectorIssEEZZNS1_16scan_by_key_implILNS1_25lookback_scan_determinismE0ELb1ES3_N6thrust23THRUST_200600_302600_NS6detail15normal_iteratorINS9_10device_ptrIsEEEESE_SE_sNS9_4plusIsEE19head_flag_predicatesEE10hipError_tPvRmT2_T3_T4_T5_mT6_T7_P12ihipStream_tbENKUlT_T0_E_clISt17integral_constantIbLb1EESX_IbLb0EEEEDaST_SU_EUlST_E_NS1_11comp_targetILNS1_3genE2ELNS1_11target_archE906ELNS1_3gpuE6ELNS1_3repE0EEENS1_30default_config_static_selectorELNS0_4arch9wavefront6targetE1EEEvT1_,@function
_ZN7rocprim17ROCPRIM_400000_NS6detail17trampoline_kernelINS0_14default_configENS1_27scan_by_key_config_selectorIssEEZZNS1_16scan_by_key_implILNS1_25lookback_scan_determinismE0ELb1ES3_N6thrust23THRUST_200600_302600_NS6detail15normal_iteratorINS9_10device_ptrIsEEEESE_SE_sNS9_4plusIsEE19head_flag_predicatesEE10hipError_tPvRmT2_T3_T4_T5_mT6_T7_P12ihipStream_tbENKUlT_T0_E_clISt17integral_constantIbLb1EESX_IbLb0EEEEDaST_SU_EUlST_E_NS1_11comp_targetILNS1_3genE2ELNS1_11target_archE906ELNS1_3gpuE6ELNS1_3repE0EEENS1_30default_config_static_selectorELNS0_4arch9wavefront6targetE1EEEvT1_: ; @_ZN7rocprim17ROCPRIM_400000_NS6detail17trampoline_kernelINS0_14default_configENS1_27scan_by_key_config_selectorIssEEZZNS1_16scan_by_key_implILNS1_25lookback_scan_determinismE0ELb1ES3_N6thrust23THRUST_200600_302600_NS6detail15normal_iteratorINS9_10device_ptrIsEEEESE_SE_sNS9_4plusIsEE19head_flag_predicatesEE10hipError_tPvRmT2_T3_T4_T5_mT6_T7_P12ihipStream_tbENKUlT_T0_E_clISt17integral_constantIbLb1EESX_IbLb0EEEEDaST_SU_EUlST_E_NS1_11comp_targetILNS1_3genE2ELNS1_11target_archE906ELNS1_3gpuE6ELNS1_3repE0EEENS1_30default_config_static_selectorELNS0_4arch9wavefront6targetE1EEEvT1_
; %bb.0:
	.section	.rodata,"a",@progbits
	.p2align	6, 0x0
	.amdhsa_kernel _ZN7rocprim17ROCPRIM_400000_NS6detail17trampoline_kernelINS0_14default_configENS1_27scan_by_key_config_selectorIssEEZZNS1_16scan_by_key_implILNS1_25lookback_scan_determinismE0ELb1ES3_N6thrust23THRUST_200600_302600_NS6detail15normal_iteratorINS9_10device_ptrIsEEEESE_SE_sNS9_4plusIsEE19head_flag_predicatesEE10hipError_tPvRmT2_T3_T4_T5_mT6_T7_P12ihipStream_tbENKUlT_T0_E_clISt17integral_constantIbLb1EESX_IbLb0EEEEDaST_SU_EUlST_E_NS1_11comp_targetILNS1_3genE2ELNS1_11target_archE906ELNS1_3gpuE6ELNS1_3repE0EEENS1_30default_config_static_selectorELNS0_4arch9wavefront6targetE1EEEvT1_
		.amdhsa_group_segment_fixed_size 0
		.amdhsa_private_segment_fixed_size 0
		.amdhsa_kernarg_size 112
		.amdhsa_user_sgpr_count 2
		.amdhsa_user_sgpr_dispatch_ptr 0
		.amdhsa_user_sgpr_queue_ptr 0
		.amdhsa_user_sgpr_kernarg_segment_ptr 1
		.amdhsa_user_sgpr_dispatch_id 0
		.amdhsa_user_sgpr_kernarg_preload_length 0
		.amdhsa_user_sgpr_kernarg_preload_offset 0
		.amdhsa_user_sgpr_private_segment_size 0
		.amdhsa_uses_dynamic_stack 0
		.amdhsa_enable_private_segment 0
		.amdhsa_system_sgpr_workgroup_id_x 1
		.amdhsa_system_sgpr_workgroup_id_y 0
		.amdhsa_system_sgpr_workgroup_id_z 0
		.amdhsa_system_sgpr_workgroup_info 0
		.amdhsa_system_vgpr_workitem_id 0
		.amdhsa_next_free_vgpr 1
		.amdhsa_next_free_sgpr 0
		.amdhsa_accum_offset 4
		.amdhsa_reserve_vcc 0
		.amdhsa_float_round_mode_32 0
		.amdhsa_float_round_mode_16_64 0
		.amdhsa_float_denorm_mode_32 3
		.amdhsa_float_denorm_mode_16_64 3
		.amdhsa_dx10_clamp 1
		.amdhsa_ieee_mode 1
		.amdhsa_fp16_overflow 0
		.amdhsa_tg_split 0
		.amdhsa_exception_fp_ieee_invalid_op 0
		.amdhsa_exception_fp_denorm_src 0
		.amdhsa_exception_fp_ieee_div_zero 0
		.amdhsa_exception_fp_ieee_overflow 0
		.amdhsa_exception_fp_ieee_underflow 0
		.amdhsa_exception_fp_ieee_inexact 0
		.amdhsa_exception_int_div_zero 0
	.end_amdhsa_kernel
	.section	.text._ZN7rocprim17ROCPRIM_400000_NS6detail17trampoline_kernelINS0_14default_configENS1_27scan_by_key_config_selectorIssEEZZNS1_16scan_by_key_implILNS1_25lookback_scan_determinismE0ELb1ES3_N6thrust23THRUST_200600_302600_NS6detail15normal_iteratorINS9_10device_ptrIsEEEESE_SE_sNS9_4plusIsEE19head_flag_predicatesEE10hipError_tPvRmT2_T3_T4_T5_mT6_T7_P12ihipStream_tbENKUlT_T0_E_clISt17integral_constantIbLb1EESX_IbLb0EEEEDaST_SU_EUlST_E_NS1_11comp_targetILNS1_3genE2ELNS1_11target_archE906ELNS1_3gpuE6ELNS1_3repE0EEENS1_30default_config_static_selectorELNS0_4arch9wavefront6targetE1EEEvT1_,"axG",@progbits,_ZN7rocprim17ROCPRIM_400000_NS6detail17trampoline_kernelINS0_14default_configENS1_27scan_by_key_config_selectorIssEEZZNS1_16scan_by_key_implILNS1_25lookback_scan_determinismE0ELb1ES3_N6thrust23THRUST_200600_302600_NS6detail15normal_iteratorINS9_10device_ptrIsEEEESE_SE_sNS9_4plusIsEE19head_flag_predicatesEE10hipError_tPvRmT2_T3_T4_T5_mT6_T7_P12ihipStream_tbENKUlT_T0_E_clISt17integral_constantIbLb1EESX_IbLb0EEEEDaST_SU_EUlST_E_NS1_11comp_targetILNS1_3genE2ELNS1_11target_archE906ELNS1_3gpuE6ELNS1_3repE0EEENS1_30default_config_static_selectorELNS0_4arch9wavefront6targetE1EEEvT1_,comdat
.Lfunc_end880:
	.size	_ZN7rocprim17ROCPRIM_400000_NS6detail17trampoline_kernelINS0_14default_configENS1_27scan_by_key_config_selectorIssEEZZNS1_16scan_by_key_implILNS1_25lookback_scan_determinismE0ELb1ES3_N6thrust23THRUST_200600_302600_NS6detail15normal_iteratorINS9_10device_ptrIsEEEESE_SE_sNS9_4plusIsEE19head_flag_predicatesEE10hipError_tPvRmT2_T3_T4_T5_mT6_T7_P12ihipStream_tbENKUlT_T0_E_clISt17integral_constantIbLb1EESX_IbLb0EEEEDaST_SU_EUlST_E_NS1_11comp_targetILNS1_3genE2ELNS1_11target_archE906ELNS1_3gpuE6ELNS1_3repE0EEENS1_30default_config_static_selectorELNS0_4arch9wavefront6targetE1EEEvT1_, .Lfunc_end880-_ZN7rocprim17ROCPRIM_400000_NS6detail17trampoline_kernelINS0_14default_configENS1_27scan_by_key_config_selectorIssEEZZNS1_16scan_by_key_implILNS1_25lookback_scan_determinismE0ELb1ES3_N6thrust23THRUST_200600_302600_NS6detail15normal_iteratorINS9_10device_ptrIsEEEESE_SE_sNS9_4plusIsEE19head_flag_predicatesEE10hipError_tPvRmT2_T3_T4_T5_mT6_T7_P12ihipStream_tbENKUlT_T0_E_clISt17integral_constantIbLb1EESX_IbLb0EEEEDaST_SU_EUlST_E_NS1_11comp_targetILNS1_3genE2ELNS1_11target_archE906ELNS1_3gpuE6ELNS1_3repE0EEENS1_30default_config_static_selectorELNS0_4arch9wavefront6targetE1EEEvT1_
                                        ; -- End function
	.section	.AMDGPU.csdata,"",@progbits
; Kernel info:
; codeLenInByte = 0
; NumSgprs: 6
; NumVgprs: 0
; NumAgprs: 0
; TotalNumVgprs: 0
; ScratchSize: 0
; MemoryBound: 0
; FloatMode: 240
; IeeeMode: 1
; LDSByteSize: 0 bytes/workgroup (compile time only)
; SGPRBlocks: 0
; VGPRBlocks: 0
; NumSGPRsForWavesPerEU: 6
; NumVGPRsForWavesPerEU: 1
; AccumOffset: 4
; Occupancy: 8
; WaveLimiterHint : 0
; COMPUTE_PGM_RSRC2:SCRATCH_EN: 0
; COMPUTE_PGM_RSRC2:USER_SGPR: 2
; COMPUTE_PGM_RSRC2:TRAP_HANDLER: 0
; COMPUTE_PGM_RSRC2:TGID_X_EN: 1
; COMPUTE_PGM_RSRC2:TGID_Y_EN: 0
; COMPUTE_PGM_RSRC2:TGID_Z_EN: 0
; COMPUTE_PGM_RSRC2:TIDIG_COMP_CNT: 0
; COMPUTE_PGM_RSRC3_GFX90A:ACCUM_OFFSET: 0
; COMPUTE_PGM_RSRC3_GFX90A:TG_SPLIT: 0
	.section	.text._ZN7rocprim17ROCPRIM_400000_NS6detail17trampoline_kernelINS0_14default_configENS1_27scan_by_key_config_selectorIssEEZZNS1_16scan_by_key_implILNS1_25lookback_scan_determinismE0ELb1ES3_N6thrust23THRUST_200600_302600_NS6detail15normal_iteratorINS9_10device_ptrIsEEEESE_SE_sNS9_4plusIsEE19head_flag_predicatesEE10hipError_tPvRmT2_T3_T4_T5_mT6_T7_P12ihipStream_tbENKUlT_T0_E_clISt17integral_constantIbLb1EESX_IbLb0EEEEDaST_SU_EUlST_E_NS1_11comp_targetILNS1_3genE10ELNS1_11target_archE1200ELNS1_3gpuE4ELNS1_3repE0EEENS1_30default_config_static_selectorELNS0_4arch9wavefront6targetE1EEEvT1_,"axG",@progbits,_ZN7rocprim17ROCPRIM_400000_NS6detail17trampoline_kernelINS0_14default_configENS1_27scan_by_key_config_selectorIssEEZZNS1_16scan_by_key_implILNS1_25lookback_scan_determinismE0ELb1ES3_N6thrust23THRUST_200600_302600_NS6detail15normal_iteratorINS9_10device_ptrIsEEEESE_SE_sNS9_4plusIsEE19head_flag_predicatesEE10hipError_tPvRmT2_T3_T4_T5_mT6_T7_P12ihipStream_tbENKUlT_T0_E_clISt17integral_constantIbLb1EESX_IbLb0EEEEDaST_SU_EUlST_E_NS1_11comp_targetILNS1_3genE10ELNS1_11target_archE1200ELNS1_3gpuE4ELNS1_3repE0EEENS1_30default_config_static_selectorELNS0_4arch9wavefront6targetE1EEEvT1_,comdat
	.protected	_ZN7rocprim17ROCPRIM_400000_NS6detail17trampoline_kernelINS0_14default_configENS1_27scan_by_key_config_selectorIssEEZZNS1_16scan_by_key_implILNS1_25lookback_scan_determinismE0ELb1ES3_N6thrust23THRUST_200600_302600_NS6detail15normal_iteratorINS9_10device_ptrIsEEEESE_SE_sNS9_4plusIsEE19head_flag_predicatesEE10hipError_tPvRmT2_T3_T4_T5_mT6_T7_P12ihipStream_tbENKUlT_T0_E_clISt17integral_constantIbLb1EESX_IbLb0EEEEDaST_SU_EUlST_E_NS1_11comp_targetILNS1_3genE10ELNS1_11target_archE1200ELNS1_3gpuE4ELNS1_3repE0EEENS1_30default_config_static_selectorELNS0_4arch9wavefront6targetE1EEEvT1_ ; -- Begin function _ZN7rocprim17ROCPRIM_400000_NS6detail17trampoline_kernelINS0_14default_configENS1_27scan_by_key_config_selectorIssEEZZNS1_16scan_by_key_implILNS1_25lookback_scan_determinismE0ELb1ES3_N6thrust23THRUST_200600_302600_NS6detail15normal_iteratorINS9_10device_ptrIsEEEESE_SE_sNS9_4plusIsEE19head_flag_predicatesEE10hipError_tPvRmT2_T3_T4_T5_mT6_T7_P12ihipStream_tbENKUlT_T0_E_clISt17integral_constantIbLb1EESX_IbLb0EEEEDaST_SU_EUlST_E_NS1_11comp_targetILNS1_3genE10ELNS1_11target_archE1200ELNS1_3gpuE4ELNS1_3repE0EEENS1_30default_config_static_selectorELNS0_4arch9wavefront6targetE1EEEvT1_
	.globl	_ZN7rocprim17ROCPRIM_400000_NS6detail17trampoline_kernelINS0_14default_configENS1_27scan_by_key_config_selectorIssEEZZNS1_16scan_by_key_implILNS1_25lookback_scan_determinismE0ELb1ES3_N6thrust23THRUST_200600_302600_NS6detail15normal_iteratorINS9_10device_ptrIsEEEESE_SE_sNS9_4plusIsEE19head_flag_predicatesEE10hipError_tPvRmT2_T3_T4_T5_mT6_T7_P12ihipStream_tbENKUlT_T0_E_clISt17integral_constantIbLb1EESX_IbLb0EEEEDaST_SU_EUlST_E_NS1_11comp_targetILNS1_3genE10ELNS1_11target_archE1200ELNS1_3gpuE4ELNS1_3repE0EEENS1_30default_config_static_selectorELNS0_4arch9wavefront6targetE1EEEvT1_
	.p2align	8
	.type	_ZN7rocprim17ROCPRIM_400000_NS6detail17trampoline_kernelINS0_14default_configENS1_27scan_by_key_config_selectorIssEEZZNS1_16scan_by_key_implILNS1_25lookback_scan_determinismE0ELb1ES3_N6thrust23THRUST_200600_302600_NS6detail15normal_iteratorINS9_10device_ptrIsEEEESE_SE_sNS9_4plusIsEE19head_flag_predicatesEE10hipError_tPvRmT2_T3_T4_T5_mT6_T7_P12ihipStream_tbENKUlT_T0_E_clISt17integral_constantIbLb1EESX_IbLb0EEEEDaST_SU_EUlST_E_NS1_11comp_targetILNS1_3genE10ELNS1_11target_archE1200ELNS1_3gpuE4ELNS1_3repE0EEENS1_30default_config_static_selectorELNS0_4arch9wavefront6targetE1EEEvT1_,@function
_ZN7rocprim17ROCPRIM_400000_NS6detail17trampoline_kernelINS0_14default_configENS1_27scan_by_key_config_selectorIssEEZZNS1_16scan_by_key_implILNS1_25lookback_scan_determinismE0ELb1ES3_N6thrust23THRUST_200600_302600_NS6detail15normal_iteratorINS9_10device_ptrIsEEEESE_SE_sNS9_4plusIsEE19head_flag_predicatesEE10hipError_tPvRmT2_T3_T4_T5_mT6_T7_P12ihipStream_tbENKUlT_T0_E_clISt17integral_constantIbLb1EESX_IbLb0EEEEDaST_SU_EUlST_E_NS1_11comp_targetILNS1_3genE10ELNS1_11target_archE1200ELNS1_3gpuE4ELNS1_3repE0EEENS1_30default_config_static_selectorELNS0_4arch9wavefront6targetE1EEEvT1_: ; @_ZN7rocprim17ROCPRIM_400000_NS6detail17trampoline_kernelINS0_14default_configENS1_27scan_by_key_config_selectorIssEEZZNS1_16scan_by_key_implILNS1_25lookback_scan_determinismE0ELb1ES3_N6thrust23THRUST_200600_302600_NS6detail15normal_iteratorINS9_10device_ptrIsEEEESE_SE_sNS9_4plusIsEE19head_flag_predicatesEE10hipError_tPvRmT2_T3_T4_T5_mT6_T7_P12ihipStream_tbENKUlT_T0_E_clISt17integral_constantIbLb1EESX_IbLb0EEEEDaST_SU_EUlST_E_NS1_11comp_targetILNS1_3genE10ELNS1_11target_archE1200ELNS1_3gpuE4ELNS1_3repE0EEENS1_30default_config_static_selectorELNS0_4arch9wavefront6targetE1EEEvT1_
; %bb.0:
	.section	.rodata,"a",@progbits
	.p2align	6, 0x0
	.amdhsa_kernel _ZN7rocprim17ROCPRIM_400000_NS6detail17trampoline_kernelINS0_14default_configENS1_27scan_by_key_config_selectorIssEEZZNS1_16scan_by_key_implILNS1_25lookback_scan_determinismE0ELb1ES3_N6thrust23THRUST_200600_302600_NS6detail15normal_iteratorINS9_10device_ptrIsEEEESE_SE_sNS9_4plusIsEE19head_flag_predicatesEE10hipError_tPvRmT2_T3_T4_T5_mT6_T7_P12ihipStream_tbENKUlT_T0_E_clISt17integral_constantIbLb1EESX_IbLb0EEEEDaST_SU_EUlST_E_NS1_11comp_targetILNS1_3genE10ELNS1_11target_archE1200ELNS1_3gpuE4ELNS1_3repE0EEENS1_30default_config_static_selectorELNS0_4arch9wavefront6targetE1EEEvT1_
		.amdhsa_group_segment_fixed_size 0
		.amdhsa_private_segment_fixed_size 0
		.amdhsa_kernarg_size 112
		.amdhsa_user_sgpr_count 2
		.amdhsa_user_sgpr_dispatch_ptr 0
		.amdhsa_user_sgpr_queue_ptr 0
		.amdhsa_user_sgpr_kernarg_segment_ptr 1
		.amdhsa_user_sgpr_dispatch_id 0
		.amdhsa_user_sgpr_kernarg_preload_length 0
		.amdhsa_user_sgpr_kernarg_preload_offset 0
		.amdhsa_user_sgpr_private_segment_size 0
		.amdhsa_uses_dynamic_stack 0
		.amdhsa_enable_private_segment 0
		.amdhsa_system_sgpr_workgroup_id_x 1
		.amdhsa_system_sgpr_workgroup_id_y 0
		.amdhsa_system_sgpr_workgroup_id_z 0
		.amdhsa_system_sgpr_workgroup_info 0
		.amdhsa_system_vgpr_workitem_id 0
		.amdhsa_next_free_vgpr 1
		.amdhsa_next_free_sgpr 0
		.amdhsa_accum_offset 4
		.amdhsa_reserve_vcc 0
		.amdhsa_float_round_mode_32 0
		.amdhsa_float_round_mode_16_64 0
		.amdhsa_float_denorm_mode_32 3
		.amdhsa_float_denorm_mode_16_64 3
		.amdhsa_dx10_clamp 1
		.amdhsa_ieee_mode 1
		.amdhsa_fp16_overflow 0
		.amdhsa_tg_split 0
		.amdhsa_exception_fp_ieee_invalid_op 0
		.amdhsa_exception_fp_denorm_src 0
		.amdhsa_exception_fp_ieee_div_zero 0
		.amdhsa_exception_fp_ieee_overflow 0
		.amdhsa_exception_fp_ieee_underflow 0
		.amdhsa_exception_fp_ieee_inexact 0
		.amdhsa_exception_int_div_zero 0
	.end_amdhsa_kernel
	.section	.text._ZN7rocprim17ROCPRIM_400000_NS6detail17trampoline_kernelINS0_14default_configENS1_27scan_by_key_config_selectorIssEEZZNS1_16scan_by_key_implILNS1_25lookback_scan_determinismE0ELb1ES3_N6thrust23THRUST_200600_302600_NS6detail15normal_iteratorINS9_10device_ptrIsEEEESE_SE_sNS9_4plusIsEE19head_flag_predicatesEE10hipError_tPvRmT2_T3_T4_T5_mT6_T7_P12ihipStream_tbENKUlT_T0_E_clISt17integral_constantIbLb1EESX_IbLb0EEEEDaST_SU_EUlST_E_NS1_11comp_targetILNS1_3genE10ELNS1_11target_archE1200ELNS1_3gpuE4ELNS1_3repE0EEENS1_30default_config_static_selectorELNS0_4arch9wavefront6targetE1EEEvT1_,"axG",@progbits,_ZN7rocprim17ROCPRIM_400000_NS6detail17trampoline_kernelINS0_14default_configENS1_27scan_by_key_config_selectorIssEEZZNS1_16scan_by_key_implILNS1_25lookback_scan_determinismE0ELb1ES3_N6thrust23THRUST_200600_302600_NS6detail15normal_iteratorINS9_10device_ptrIsEEEESE_SE_sNS9_4plusIsEE19head_flag_predicatesEE10hipError_tPvRmT2_T3_T4_T5_mT6_T7_P12ihipStream_tbENKUlT_T0_E_clISt17integral_constantIbLb1EESX_IbLb0EEEEDaST_SU_EUlST_E_NS1_11comp_targetILNS1_3genE10ELNS1_11target_archE1200ELNS1_3gpuE4ELNS1_3repE0EEENS1_30default_config_static_selectorELNS0_4arch9wavefront6targetE1EEEvT1_,comdat
.Lfunc_end881:
	.size	_ZN7rocprim17ROCPRIM_400000_NS6detail17trampoline_kernelINS0_14default_configENS1_27scan_by_key_config_selectorIssEEZZNS1_16scan_by_key_implILNS1_25lookback_scan_determinismE0ELb1ES3_N6thrust23THRUST_200600_302600_NS6detail15normal_iteratorINS9_10device_ptrIsEEEESE_SE_sNS9_4plusIsEE19head_flag_predicatesEE10hipError_tPvRmT2_T3_T4_T5_mT6_T7_P12ihipStream_tbENKUlT_T0_E_clISt17integral_constantIbLb1EESX_IbLb0EEEEDaST_SU_EUlST_E_NS1_11comp_targetILNS1_3genE10ELNS1_11target_archE1200ELNS1_3gpuE4ELNS1_3repE0EEENS1_30default_config_static_selectorELNS0_4arch9wavefront6targetE1EEEvT1_, .Lfunc_end881-_ZN7rocprim17ROCPRIM_400000_NS6detail17trampoline_kernelINS0_14default_configENS1_27scan_by_key_config_selectorIssEEZZNS1_16scan_by_key_implILNS1_25lookback_scan_determinismE0ELb1ES3_N6thrust23THRUST_200600_302600_NS6detail15normal_iteratorINS9_10device_ptrIsEEEESE_SE_sNS9_4plusIsEE19head_flag_predicatesEE10hipError_tPvRmT2_T3_T4_T5_mT6_T7_P12ihipStream_tbENKUlT_T0_E_clISt17integral_constantIbLb1EESX_IbLb0EEEEDaST_SU_EUlST_E_NS1_11comp_targetILNS1_3genE10ELNS1_11target_archE1200ELNS1_3gpuE4ELNS1_3repE0EEENS1_30default_config_static_selectorELNS0_4arch9wavefront6targetE1EEEvT1_
                                        ; -- End function
	.section	.AMDGPU.csdata,"",@progbits
; Kernel info:
; codeLenInByte = 0
; NumSgprs: 6
; NumVgprs: 0
; NumAgprs: 0
; TotalNumVgprs: 0
; ScratchSize: 0
; MemoryBound: 0
; FloatMode: 240
; IeeeMode: 1
; LDSByteSize: 0 bytes/workgroup (compile time only)
; SGPRBlocks: 0
; VGPRBlocks: 0
; NumSGPRsForWavesPerEU: 6
; NumVGPRsForWavesPerEU: 1
; AccumOffset: 4
; Occupancy: 8
; WaveLimiterHint : 0
; COMPUTE_PGM_RSRC2:SCRATCH_EN: 0
; COMPUTE_PGM_RSRC2:USER_SGPR: 2
; COMPUTE_PGM_RSRC2:TRAP_HANDLER: 0
; COMPUTE_PGM_RSRC2:TGID_X_EN: 1
; COMPUTE_PGM_RSRC2:TGID_Y_EN: 0
; COMPUTE_PGM_RSRC2:TGID_Z_EN: 0
; COMPUTE_PGM_RSRC2:TIDIG_COMP_CNT: 0
; COMPUTE_PGM_RSRC3_GFX90A:ACCUM_OFFSET: 0
; COMPUTE_PGM_RSRC3_GFX90A:TG_SPLIT: 0
	.section	.text._ZN7rocprim17ROCPRIM_400000_NS6detail17trampoline_kernelINS0_14default_configENS1_27scan_by_key_config_selectorIssEEZZNS1_16scan_by_key_implILNS1_25lookback_scan_determinismE0ELb1ES3_N6thrust23THRUST_200600_302600_NS6detail15normal_iteratorINS9_10device_ptrIsEEEESE_SE_sNS9_4plusIsEE19head_flag_predicatesEE10hipError_tPvRmT2_T3_T4_T5_mT6_T7_P12ihipStream_tbENKUlT_T0_E_clISt17integral_constantIbLb1EESX_IbLb0EEEEDaST_SU_EUlST_E_NS1_11comp_targetILNS1_3genE9ELNS1_11target_archE1100ELNS1_3gpuE3ELNS1_3repE0EEENS1_30default_config_static_selectorELNS0_4arch9wavefront6targetE1EEEvT1_,"axG",@progbits,_ZN7rocprim17ROCPRIM_400000_NS6detail17trampoline_kernelINS0_14default_configENS1_27scan_by_key_config_selectorIssEEZZNS1_16scan_by_key_implILNS1_25lookback_scan_determinismE0ELb1ES3_N6thrust23THRUST_200600_302600_NS6detail15normal_iteratorINS9_10device_ptrIsEEEESE_SE_sNS9_4plusIsEE19head_flag_predicatesEE10hipError_tPvRmT2_T3_T4_T5_mT6_T7_P12ihipStream_tbENKUlT_T0_E_clISt17integral_constantIbLb1EESX_IbLb0EEEEDaST_SU_EUlST_E_NS1_11comp_targetILNS1_3genE9ELNS1_11target_archE1100ELNS1_3gpuE3ELNS1_3repE0EEENS1_30default_config_static_selectorELNS0_4arch9wavefront6targetE1EEEvT1_,comdat
	.protected	_ZN7rocprim17ROCPRIM_400000_NS6detail17trampoline_kernelINS0_14default_configENS1_27scan_by_key_config_selectorIssEEZZNS1_16scan_by_key_implILNS1_25lookback_scan_determinismE0ELb1ES3_N6thrust23THRUST_200600_302600_NS6detail15normal_iteratorINS9_10device_ptrIsEEEESE_SE_sNS9_4plusIsEE19head_flag_predicatesEE10hipError_tPvRmT2_T3_T4_T5_mT6_T7_P12ihipStream_tbENKUlT_T0_E_clISt17integral_constantIbLb1EESX_IbLb0EEEEDaST_SU_EUlST_E_NS1_11comp_targetILNS1_3genE9ELNS1_11target_archE1100ELNS1_3gpuE3ELNS1_3repE0EEENS1_30default_config_static_selectorELNS0_4arch9wavefront6targetE1EEEvT1_ ; -- Begin function _ZN7rocprim17ROCPRIM_400000_NS6detail17trampoline_kernelINS0_14default_configENS1_27scan_by_key_config_selectorIssEEZZNS1_16scan_by_key_implILNS1_25lookback_scan_determinismE0ELb1ES3_N6thrust23THRUST_200600_302600_NS6detail15normal_iteratorINS9_10device_ptrIsEEEESE_SE_sNS9_4plusIsEE19head_flag_predicatesEE10hipError_tPvRmT2_T3_T4_T5_mT6_T7_P12ihipStream_tbENKUlT_T0_E_clISt17integral_constantIbLb1EESX_IbLb0EEEEDaST_SU_EUlST_E_NS1_11comp_targetILNS1_3genE9ELNS1_11target_archE1100ELNS1_3gpuE3ELNS1_3repE0EEENS1_30default_config_static_selectorELNS0_4arch9wavefront6targetE1EEEvT1_
	.globl	_ZN7rocprim17ROCPRIM_400000_NS6detail17trampoline_kernelINS0_14default_configENS1_27scan_by_key_config_selectorIssEEZZNS1_16scan_by_key_implILNS1_25lookback_scan_determinismE0ELb1ES3_N6thrust23THRUST_200600_302600_NS6detail15normal_iteratorINS9_10device_ptrIsEEEESE_SE_sNS9_4plusIsEE19head_flag_predicatesEE10hipError_tPvRmT2_T3_T4_T5_mT6_T7_P12ihipStream_tbENKUlT_T0_E_clISt17integral_constantIbLb1EESX_IbLb0EEEEDaST_SU_EUlST_E_NS1_11comp_targetILNS1_3genE9ELNS1_11target_archE1100ELNS1_3gpuE3ELNS1_3repE0EEENS1_30default_config_static_selectorELNS0_4arch9wavefront6targetE1EEEvT1_
	.p2align	8
	.type	_ZN7rocprim17ROCPRIM_400000_NS6detail17trampoline_kernelINS0_14default_configENS1_27scan_by_key_config_selectorIssEEZZNS1_16scan_by_key_implILNS1_25lookback_scan_determinismE0ELb1ES3_N6thrust23THRUST_200600_302600_NS6detail15normal_iteratorINS9_10device_ptrIsEEEESE_SE_sNS9_4plusIsEE19head_flag_predicatesEE10hipError_tPvRmT2_T3_T4_T5_mT6_T7_P12ihipStream_tbENKUlT_T0_E_clISt17integral_constantIbLb1EESX_IbLb0EEEEDaST_SU_EUlST_E_NS1_11comp_targetILNS1_3genE9ELNS1_11target_archE1100ELNS1_3gpuE3ELNS1_3repE0EEENS1_30default_config_static_selectorELNS0_4arch9wavefront6targetE1EEEvT1_,@function
_ZN7rocprim17ROCPRIM_400000_NS6detail17trampoline_kernelINS0_14default_configENS1_27scan_by_key_config_selectorIssEEZZNS1_16scan_by_key_implILNS1_25lookback_scan_determinismE0ELb1ES3_N6thrust23THRUST_200600_302600_NS6detail15normal_iteratorINS9_10device_ptrIsEEEESE_SE_sNS9_4plusIsEE19head_flag_predicatesEE10hipError_tPvRmT2_T3_T4_T5_mT6_T7_P12ihipStream_tbENKUlT_T0_E_clISt17integral_constantIbLb1EESX_IbLb0EEEEDaST_SU_EUlST_E_NS1_11comp_targetILNS1_3genE9ELNS1_11target_archE1100ELNS1_3gpuE3ELNS1_3repE0EEENS1_30default_config_static_selectorELNS0_4arch9wavefront6targetE1EEEvT1_: ; @_ZN7rocprim17ROCPRIM_400000_NS6detail17trampoline_kernelINS0_14default_configENS1_27scan_by_key_config_selectorIssEEZZNS1_16scan_by_key_implILNS1_25lookback_scan_determinismE0ELb1ES3_N6thrust23THRUST_200600_302600_NS6detail15normal_iteratorINS9_10device_ptrIsEEEESE_SE_sNS9_4plusIsEE19head_flag_predicatesEE10hipError_tPvRmT2_T3_T4_T5_mT6_T7_P12ihipStream_tbENKUlT_T0_E_clISt17integral_constantIbLb1EESX_IbLb0EEEEDaST_SU_EUlST_E_NS1_11comp_targetILNS1_3genE9ELNS1_11target_archE1100ELNS1_3gpuE3ELNS1_3repE0EEENS1_30default_config_static_selectorELNS0_4arch9wavefront6targetE1EEEvT1_
; %bb.0:
	.section	.rodata,"a",@progbits
	.p2align	6, 0x0
	.amdhsa_kernel _ZN7rocprim17ROCPRIM_400000_NS6detail17trampoline_kernelINS0_14default_configENS1_27scan_by_key_config_selectorIssEEZZNS1_16scan_by_key_implILNS1_25lookback_scan_determinismE0ELb1ES3_N6thrust23THRUST_200600_302600_NS6detail15normal_iteratorINS9_10device_ptrIsEEEESE_SE_sNS9_4plusIsEE19head_flag_predicatesEE10hipError_tPvRmT2_T3_T4_T5_mT6_T7_P12ihipStream_tbENKUlT_T0_E_clISt17integral_constantIbLb1EESX_IbLb0EEEEDaST_SU_EUlST_E_NS1_11comp_targetILNS1_3genE9ELNS1_11target_archE1100ELNS1_3gpuE3ELNS1_3repE0EEENS1_30default_config_static_selectorELNS0_4arch9wavefront6targetE1EEEvT1_
		.amdhsa_group_segment_fixed_size 0
		.amdhsa_private_segment_fixed_size 0
		.amdhsa_kernarg_size 112
		.amdhsa_user_sgpr_count 2
		.amdhsa_user_sgpr_dispatch_ptr 0
		.amdhsa_user_sgpr_queue_ptr 0
		.amdhsa_user_sgpr_kernarg_segment_ptr 1
		.amdhsa_user_sgpr_dispatch_id 0
		.amdhsa_user_sgpr_kernarg_preload_length 0
		.amdhsa_user_sgpr_kernarg_preload_offset 0
		.amdhsa_user_sgpr_private_segment_size 0
		.amdhsa_uses_dynamic_stack 0
		.amdhsa_enable_private_segment 0
		.amdhsa_system_sgpr_workgroup_id_x 1
		.amdhsa_system_sgpr_workgroup_id_y 0
		.amdhsa_system_sgpr_workgroup_id_z 0
		.amdhsa_system_sgpr_workgroup_info 0
		.amdhsa_system_vgpr_workitem_id 0
		.amdhsa_next_free_vgpr 1
		.amdhsa_next_free_sgpr 0
		.amdhsa_accum_offset 4
		.amdhsa_reserve_vcc 0
		.amdhsa_float_round_mode_32 0
		.amdhsa_float_round_mode_16_64 0
		.amdhsa_float_denorm_mode_32 3
		.amdhsa_float_denorm_mode_16_64 3
		.amdhsa_dx10_clamp 1
		.amdhsa_ieee_mode 1
		.amdhsa_fp16_overflow 0
		.amdhsa_tg_split 0
		.amdhsa_exception_fp_ieee_invalid_op 0
		.amdhsa_exception_fp_denorm_src 0
		.amdhsa_exception_fp_ieee_div_zero 0
		.amdhsa_exception_fp_ieee_overflow 0
		.amdhsa_exception_fp_ieee_underflow 0
		.amdhsa_exception_fp_ieee_inexact 0
		.amdhsa_exception_int_div_zero 0
	.end_amdhsa_kernel
	.section	.text._ZN7rocprim17ROCPRIM_400000_NS6detail17trampoline_kernelINS0_14default_configENS1_27scan_by_key_config_selectorIssEEZZNS1_16scan_by_key_implILNS1_25lookback_scan_determinismE0ELb1ES3_N6thrust23THRUST_200600_302600_NS6detail15normal_iteratorINS9_10device_ptrIsEEEESE_SE_sNS9_4plusIsEE19head_flag_predicatesEE10hipError_tPvRmT2_T3_T4_T5_mT6_T7_P12ihipStream_tbENKUlT_T0_E_clISt17integral_constantIbLb1EESX_IbLb0EEEEDaST_SU_EUlST_E_NS1_11comp_targetILNS1_3genE9ELNS1_11target_archE1100ELNS1_3gpuE3ELNS1_3repE0EEENS1_30default_config_static_selectorELNS0_4arch9wavefront6targetE1EEEvT1_,"axG",@progbits,_ZN7rocprim17ROCPRIM_400000_NS6detail17trampoline_kernelINS0_14default_configENS1_27scan_by_key_config_selectorIssEEZZNS1_16scan_by_key_implILNS1_25lookback_scan_determinismE0ELb1ES3_N6thrust23THRUST_200600_302600_NS6detail15normal_iteratorINS9_10device_ptrIsEEEESE_SE_sNS9_4plusIsEE19head_flag_predicatesEE10hipError_tPvRmT2_T3_T4_T5_mT6_T7_P12ihipStream_tbENKUlT_T0_E_clISt17integral_constantIbLb1EESX_IbLb0EEEEDaST_SU_EUlST_E_NS1_11comp_targetILNS1_3genE9ELNS1_11target_archE1100ELNS1_3gpuE3ELNS1_3repE0EEENS1_30default_config_static_selectorELNS0_4arch9wavefront6targetE1EEEvT1_,comdat
.Lfunc_end882:
	.size	_ZN7rocprim17ROCPRIM_400000_NS6detail17trampoline_kernelINS0_14default_configENS1_27scan_by_key_config_selectorIssEEZZNS1_16scan_by_key_implILNS1_25lookback_scan_determinismE0ELb1ES3_N6thrust23THRUST_200600_302600_NS6detail15normal_iteratorINS9_10device_ptrIsEEEESE_SE_sNS9_4plusIsEE19head_flag_predicatesEE10hipError_tPvRmT2_T3_T4_T5_mT6_T7_P12ihipStream_tbENKUlT_T0_E_clISt17integral_constantIbLb1EESX_IbLb0EEEEDaST_SU_EUlST_E_NS1_11comp_targetILNS1_3genE9ELNS1_11target_archE1100ELNS1_3gpuE3ELNS1_3repE0EEENS1_30default_config_static_selectorELNS0_4arch9wavefront6targetE1EEEvT1_, .Lfunc_end882-_ZN7rocprim17ROCPRIM_400000_NS6detail17trampoline_kernelINS0_14default_configENS1_27scan_by_key_config_selectorIssEEZZNS1_16scan_by_key_implILNS1_25lookback_scan_determinismE0ELb1ES3_N6thrust23THRUST_200600_302600_NS6detail15normal_iteratorINS9_10device_ptrIsEEEESE_SE_sNS9_4plusIsEE19head_flag_predicatesEE10hipError_tPvRmT2_T3_T4_T5_mT6_T7_P12ihipStream_tbENKUlT_T0_E_clISt17integral_constantIbLb1EESX_IbLb0EEEEDaST_SU_EUlST_E_NS1_11comp_targetILNS1_3genE9ELNS1_11target_archE1100ELNS1_3gpuE3ELNS1_3repE0EEENS1_30default_config_static_selectorELNS0_4arch9wavefront6targetE1EEEvT1_
                                        ; -- End function
	.section	.AMDGPU.csdata,"",@progbits
; Kernel info:
; codeLenInByte = 0
; NumSgprs: 6
; NumVgprs: 0
; NumAgprs: 0
; TotalNumVgprs: 0
; ScratchSize: 0
; MemoryBound: 0
; FloatMode: 240
; IeeeMode: 1
; LDSByteSize: 0 bytes/workgroup (compile time only)
; SGPRBlocks: 0
; VGPRBlocks: 0
; NumSGPRsForWavesPerEU: 6
; NumVGPRsForWavesPerEU: 1
; AccumOffset: 4
; Occupancy: 8
; WaveLimiterHint : 0
; COMPUTE_PGM_RSRC2:SCRATCH_EN: 0
; COMPUTE_PGM_RSRC2:USER_SGPR: 2
; COMPUTE_PGM_RSRC2:TRAP_HANDLER: 0
; COMPUTE_PGM_RSRC2:TGID_X_EN: 1
; COMPUTE_PGM_RSRC2:TGID_Y_EN: 0
; COMPUTE_PGM_RSRC2:TGID_Z_EN: 0
; COMPUTE_PGM_RSRC2:TIDIG_COMP_CNT: 0
; COMPUTE_PGM_RSRC3_GFX90A:ACCUM_OFFSET: 0
; COMPUTE_PGM_RSRC3_GFX90A:TG_SPLIT: 0
	.section	.text._ZN7rocprim17ROCPRIM_400000_NS6detail17trampoline_kernelINS0_14default_configENS1_27scan_by_key_config_selectorIssEEZZNS1_16scan_by_key_implILNS1_25lookback_scan_determinismE0ELb1ES3_N6thrust23THRUST_200600_302600_NS6detail15normal_iteratorINS9_10device_ptrIsEEEESE_SE_sNS9_4plusIsEE19head_flag_predicatesEE10hipError_tPvRmT2_T3_T4_T5_mT6_T7_P12ihipStream_tbENKUlT_T0_E_clISt17integral_constantIbLb1EESX_IbLb0EEEEDaST_SU_EUlST_E_NS1_11comp_targetILNS1_3genE8ELNS1_11target_archE1030ELNS1_3gpuE2ELNS1_3repE0EEENS1_30default_config_static_selectorELNS0_4arch9wavefront6targetE1EEEvT1_,"axG",@progbits,_ZN7rocprim17ROCPRIM_400000_NS6detail17trampoline_kernelINS0_14default_configENS1_27scan_by_key_config_selectorIssEEZZNS1_16scan_by_key_implILNS1_25lookback_scan_determinismE0ELb1ES3_N6thrust23THRUST_200600_302600_NS6detail15normal_iteratorINS9_10device_ptrIsEEEESE_SE_sNS9_4plusIsEE19head_flag_predicatesEE10hipError_tPvRmT2_T3_T4_T5_mT6_T7_P12ihipStream_tbENKUlT_T0_E_clISt17integral_constantIbLb1EESX_IbLb0EEEEDaST_SU_EUlST_E_NS1_11comp_targetILNS1_3genE8ELNS1_11target_archE1030ELNS1_3gpuE2ELNS1_3repE0EEENS1_30default_config_static_selectorELNS0_4arch9wavefront6targetE1EEEvT1_,comdat
	.protected	_ZN7rocprim17ROCPRIM_400000_NS6detail17trampoline_kernelINS0_14default_configENS1_27scan_by_key_config_selectorIssEEZZNS1_16scan_by_key_implILNS1_25lookback_scan_determinismE0ELb1ES3_N6thrust23THRUST_200600_302600_NS6detail15normal_iteratorINS9_10device_ptrIsEEEESE_SE_sNS9_4plusIsEE19head_flag_predicatesEE10hipError_tPvRmT2_T3_T4_T5_mT6_T7_P12ihipStream_tbENKUlT_T0_E_clISt17integral_constantIbLb1EESX_IbLb0EEEEDaST_SU_EUlST_E_NS1_11comp_targetILNS1_3genE8ELNS1_11target_archE1030ELNS1_3gpuE2ELNS1_3repE0EEENS1_30default_config_static_selectorELNS0_4arch9wavefront6targetE1EEEvT1_ ; -- Begin function _ZN7rocprim17ROCPRIM_400000_NS6detail17trampoline_kernelINS0_14default_configENS1_27scan_by_key_config_selectorIssEEZZNS1_16scan_by_key_implILNS1_25lookback_scan_determinismE0ELb1ES3_N6thrust23THRUST_200600_302600_NS6detail15normal_iteratorINS9_10device_ptrIsEEEESE_SE_sNS9_4plusIsEE19head_flag_predicatesEE10hipError_tPvRmT2_T3_T4_T5_mT6_T7_P12ihipStream_tbENKUlT_T0_E_clISt17integral_constantIbLb1EESX_IbLb0EEEEDaST_SU_EUlST_E_NS1_11comp_targetILNS1_3genE8ELNS1_11target_archE1030ELNS1_3gpuE2ELNS1_3repE0EEENS1_30default_config_static_selectorELNS0_4arch9wavefront6targetE1EEEvT1_
	.globl	_ZN7rocprim17ROCPRIM_400000_NS6detail17trampoline_kernelINS0_14default_configENS1_27scan_by_key_config_selectorIssEEZZNS1_16scan_by_key_implILNS1_25lookback_scan_determinismE0ELb1ES3_N6thrust23THRUST_200600_302600_NS6detail15normal_iteratorINS9_10device_ptrIsEEEESE_SE_sNS9_4plusIsEE19head_flag_predicatesEE10hipError_tPvRmT2_T3_T4_T5_mT6_T7_P12ihipStream_tbENKUlT_T0_E_clISt17integral_constantIbLb1EESX_IbLb0EEEEDaST_SU_EUlST_E_NS1_11comp_targetILNS1_3genE8ELNS1_11target_archE1030ELNS1_3gpuE2ELNS1_3repE0EEENS1_30default_config_static_selectorELNS0_4arch9wavefront6targetE1EEEvT1_
	.p2align	8
	.type	_ZN7rocprim17ROCPRIM_400000_NS6detail17trampoline_kernelINS0_14default_configENS1_27scan_by_key_config_selectorIssEEZZNS1_16scan_by_key_implILNS1_25lookback_scan_determinismE0ELb1ES3_N6thrust23THRUST_200600_302600_NS6detail15normal_iteratorINS9_10device_ptrIsEEEESE_SE_sNS9_4plusIsEE19head_flag_predicatesEE10hipError_tPvRmT2_T3_T4_T5_mT6_T7_P12ihipStream_tbENKUlT_T0_E_clISt17integral_constantIbLb1EESX_IbLb0EEEEDaST_SU_EUlST_E_NS1_11comp_targetILNS1_3genE8ELNS1_11target_archE1030ELNS1_3gpuE2ELNS1_3repE0EEENS1_30default_config_static_selectorELNS0_4arch9wavefront6targetE1EEEvT1_,@function
_ZN7rocprim17ROCPRIM_400000_NS6detail17trampoline_kernelINS0_14default_configENS1_27scan_by_key_config_selectorIssEEZZNS1_16scan_by_key_implILNS1_25lookback_scan_determinismE0ELb1ES3_N6thrust23THRUST_200600_302600_NS6detail15normal_iteratorINS9_10device_ptrIsEEEESE_SE_sNS9_4plusIsEE19head_flag_predicatesEE10hipError_tPvRmT2_T3_T4_T5_mT6_T7_P12ihipStream_tbENKUlT_T0_E_clISt17integral_constantIbLb1EESX_IbLb0EEEEDaST_SU_EUlST_E_NS1_11comp_targetILNS1_3genE8ELNS1_11target_archE1030ELNS1_3gpuE2ELNS1_3repE0EEENS1_30default_config_static_selectorELNS0_4arch9wavefront6targetE1EEEvT1_: ; @_ZN7rocprim17ROCPRIM_400000_NS6detail17trampoline_kernelINS0_14default_configENS1_27scan_by_key_config_selectorIssEEZZNS1_16scan_by_key_implILNS1_25lookback_scan_determinismE0ELb1ES3_N6thrust23THRUST_200600_302600_NS6detail15normal_iteratorINS9_10device_ptrIsEEEESE_SE_sNS9_4plusIsEE19head_flag_predicatesEE10hipError_tPvRmT2_T3_T4_T5_mT6_T7_P12ihipStream_tbENKUlT_T0_E_clISt17integral_constantIbLb1EESX_IbLb0EEEEDaST_SU_EUlST_E_NS1_11comp_targetILNS1_3genE8ELNS1_11target_archE1030ELNS1_3gpuE2ELNS1_3repE0EEENS1_30default_config_static_selectorELNS0_4arch9wavefront6targetE1EEEvT1_
; %bb.0:
	.section	.rodata,"a",@progbits
	.p2align	6, 0x0
	.amdhsa_kernel _ZN7rocprim17ROCPRIM_400000_NS6detail17trampoline_kernelINS0_14default_configENS1_27scan_by_key_config_selectorIssEEZZNS1_16scan_by_key_implILNS1_25lookback_scan_determinismE0ELb1ES3_N6thrust23THRUST_200600_302600_NS6detail15normal_iteratorINS9_10device_ptrIsEEEESE_SE_sNS9_4plusIsEE19head_flag_predicatesEE10hipError_tPvRmT2_T3_T4_T5_mT6_T7_P12ihipStream_tbENKUlT_T0_E_clISt17integral_constantIbLb1EESX_IbLb0EEEEDaST_SU_EUlST_E_NS1_11comp_targetILNS1_3genE8ELNS1_11target_archE1030ELNS1_3gpuE2ELNS1_3repE0EEENS1_30default_config_static_selectorELNS0_4arch9wavefront6targetE1EEEvT1_
		.amdhsa_group_segment_fixed_size 0
		.amdhsa_private_segment_fixed_size 0
		.amdhsa_kernarg_size 112
		.amdhsa_user_sgpr_count 2
		.amdhsa_user_sgpr_dispatch_ptr 0
		.amdhsa_user_sgpr_queue_ptr 0
		.amdhsa_user_sgpr_kernarg_segment_ptr 1
		.amdhsa_user_sgpr_dispatch_id 0
		.amdhsa_user_sgpr_kernarg_preload_length 0
		.amdhsa_user_sgpr_kernarg_preload_offset 0
		.amdhsa_user_sgpr_private_segment_size 0
		.amdhsa_uses_dynamic_stack 0
		.amdhsa_enable_private_segment 0
		.amdhsa_system_sgpr_workgroup_id_x 1
		.amdhsa_system_sgpr_workgroup_id_y 0
		.amdhsa_system_sgpr_workgroup_id_z 0
		.amdhsa_system_sgpr_workgroup_info 0
		.amdhsa_system_vgpr_workitem_id 0
		.amdhsa_next_free_vgpr 1
		.amdhsa_next_free_sgpr 0
		.amdhsa_accum_offset 4
		.amdhsa_reserve_vcc 0
		.amdhsa_float_round_mode_32 0
		.amdhsa_float_round_mode_16_64 0
		.amdhsa_float_denorm_mode_32 3
		.amdhsa_float_denorm_mode_16_64 3
		.amdhsa_dx10_clamp 1
		.amdhsa_ieee_mode 1
		.amdhsa_fp16_overflow 0
		.amdhsa_tg_split 0
		.amdhsa_exception_fp_ieee_invalid_op 0
		.amdhsa_exception_fp_denorm_src 0
		.amdhsa_exception_fp_ieee_div_zero 0
		.amdhsa_exception_fp_ieee_overflow 0
		.amdhsa_exception_fp_ieee_underflow 0
		.amdhsa_exception_fp_ieee_inexact 0
		.amdhsa_exception_int_div_zero 0
	.end_amdhsa_kernel
	.section	.text._ZN7rocprim17ROCPRIM_400000_NS6detail17trampoline_kernelINS0_14default_configENS1_27scan_by_key_config_selectorIssEEZZNS1_16scan_by_key_implILNS1_25lookback_scan_determinismE0ELb1ES3_N6thrust23THRUST_200600_302600_NS6detail15normal_iteratorINS9_10device_ptrIsEEEESE_SE_sNS9_4plusIsEE19head_flag_predicatesEE10hipError_tPvRmT2_T3_T4_T5_mT6_T7_P12ihipStream_tbENKUlT_T0_E_clISt17integral_constantIbLb1EESX_IbLb0EEEEDaST_SU_EUlST_E_NS1_11comp_targetILNS1_3genE8ELNS1_11target_archE1030ELNS1_3gpuE2ELNS1_3repE0EEENS1_30default_config_static_selectorELNS0_4arch9wavefront6targetE1EEEvT1_,"axG",@progbits,_ZN7rocprim17ROCPRIM_400000_NS6detail17trampoline_kernelINS0_14default_configENS1_27scan_by_key_config_selectorIssEEZZNS1_16scan_by_key_implILNS1_25lookback_scan_determinismE0ELb1ES3_N6thrust23THRUST_200600_302600_NS6detail15normal_iteratorINS9_10device_ptrIsEEEESE_SE_sNS9_4plusIsEE19head_flag_predicatesEE10hipError_tPvRmT2_T3_T4_T5_mT6_T7_P12ihipStream_tbENKUlT_T0_E_clISt17integral_constantIbLb1EESX_IbLb0EEEEDaST_SU_EUlST_E_NS1_11comp_targetILNS1_3genE8ELNS1_11target_archE1030ELNS1_3gpuE2ELNS1_3repE0EEENS1_30default_config_static_selectorELNS0_4arch9wavefront6targetE1EEEvT1_,comdat
.Lfunc_end883:
	.size	_ZN7rocprim17ROCPRIM_400000_NS6detail17trampoline_kernelINS0_14default_configENS1_27scan_by_key_config_selectorIssEEZZNS1_16scan_by_key_implILNS1_25lookback_scan_determinismE0ELb1ES3_N6thrust23THRUST_200600_302600_NS6detail15normal_iteratorINS9_10device_ptrIsEEEESE_SE_sNS9_4plusIsEE19head_flag_predicatesEE10hipError_tPvRmT2_T3_T4_T5_mT6_T7_P12ihipStream_tbENKUlT_T0_E_clISt17integral_constantIbLb1EESX_IbLb0EEEEDaST_SU_EUlST_E_NS1_11comp_targetILNS1_3genE8ELNS1_11target_archE1030ELNS1_3gpuE2ELNS1_3repE0EEENS1_30default_config_static_selectorELNS0_4arch9wavefront6targetE1EEEvT1_, .Lfunc_end883-_ZN7rocprim17ROCPRIM_400000_NS6detail17trampoline_kernelINS0_14default_configENS1_27scan_by_key_config_selectorIssEEZZNS1_16scan_by_key_implILNS1_25lookback_scan_determinismE0ELb1ES3_N6thrust23THRUST_200600_302600_NS6detail15normal_iteratorINS9_10device_ptrIsEEEESE_SE_sNS9_4plusIsEE19head_flag_predicatesEE10hipError_tPvRmT2_T3_T4_T5_mT6_T7_P12ihipStream_tbENKUlT_T0_E_clISt17integral_constantIbLb1EESX_IbLb0EEEEDaST_SU_EUlST_E_NS1_11comp_targetILNS1_3genE8ELNS1_11target_archE1030ELNS1_3gpuE2ELNS1_3repE0EEENS1_30default_config_static_selectorELNS0_4arch9wavefront6targetE1EEEvT1_
                                        ; -- End function
	.section	.AMDGPU.csdata,"",@progbits
; Kernel info:
; codeLenInByte = 0
; NumSgprs: 6
; NumVgprs: 0
; NumAgprs: 0
; TotalNumVgprs: 0
; ScratchSize: 0
; MemoryBound: 0
; FloatMode: 240
; IeeeMode: 1
; LDSByteSize: 0 bytes/workgroup (compile time only)
; SGPRBlocks: 0
; VGPRBlocks: 0
; NumSGPRsForWavesPerEU: 6
; NumVGPRsForWavesPerEU: 1
; AccumOffset: 4
; Occupancy: 8
; WaveLimiterHint : 0
; COMPUTE_PGM_RSRC2:SCRATCH_EN: 0
; COMPUTE_PGM_RSRC2:USER_SGPR: 2
; COMPUTE_PGM_RSRC2:TRAP_HANDLER: 0
; COMPUTE_PGM_RSRC2:TGID_X_EN: 1
; COMPUTE_PGM_RSRC2:TGID_Y_EN: 0
; COMPUTE_PGM_RSRC2:TGID_Z_EN: 0
; COMPUTE_PGM_RSRC2:TIDIG_COMP_CNT: 0
; COMPUTE_PGM_RSRC3_GFX90A:ACCUM_OFFSET: 0
; COMPUTE_PGM_RSRC3_GFX90A:TG_SPLIT: 0
	.section	.text._ZN7rocprim17ROCPRIM_400000_NS6detail17trampoline_kernelINS0_14default_configENS1_27scan_by_key_config_selectorIssEEZZNS1_16scan_by_key_implILNS1_25lookback_scan_determinismE0ELb1ES3_N6thrust23THRUST_200600_302600_NS6detail15normal_iteratorINS9_10device_ptrIsEEEESE_SE_sNS9_4plusIsEE19head_flag_predicatesEE10hipError_tPvRmT2_T3_T4_T5_mT6_T7_P12ihipStream_tbENKUlT_T0_E_clISt17integral_constantIbLb0EESX_IbLb1EEEEDaST_SU_EUlST_E_NS1_11comp_targetILNS1_3genE0ELNS1_11target_archE4294967295ELNS1_3gpuE0ELNS1_3repE0EEENS1_30default_config_static_selectorELNS0_4arch9wavefront6targetE1EEEvT1_,"axG",@progbits,_ZN7rocprim17ROCPRIM_400000_NS6detail17trampoline_kernelINS0_14default_configENS1_27scan_by_key_config_selectorIssEEZZNS1_16scan_by_key_implILNS1_25lookback_scan_determinismE0ELb1ES3_N6thrust23THRUST_200600_302600_NS6detail15normal_iteratorINS9_10device_ptrIsEEEESE_SE_sNS9_4plusIsEE19head_flag_predicatesEE10hipError_tPvRmT2_T3_T4_T5_mT6_T7_P12ihipStream_tbENKUlT_T0_E_clISt17integral_constantIbLb0EESX_IbLb1EEEEDaST_SU_EUlST_E_NS1_11comp_targetILNS1_3genE0ELNS1_11target_archE4294967295ELNS1_3gpuE0ELNS1_3repE0EEENS1_30default_config_static_selectorELNS0_4arch9wavefront6targetE1EEEvT1_,comdat
	.protected	_ZN7rocprim17ROCPRIM_400000_NS6detail17trampoline_kernelINS0_14default_configENS1_27scan_by_key_config_selectorIssEEZZNS1_16scan_by_key_implILNS1_25lookback_scan_determinismE0ELb1ES3_N6thrust23THRUST_200600_302600_NS6detail15normal_iteratorINS9_10device_ptrIsEEEESE_SE_sNS9_4plusIsEE19head_flag_predicatesEE10hipError_tPvRmT2_T3_T4_T5_mT6_T7_P12ihipStream_tbENKUlT_T0_E_clISt17integral_constantIbLb0EESX_IbLb1EEEEDaST_SU_EUlST_E_NS1_11comp_targetILNS1_3genE0ELNS1_11target_archE4294967295ELNS1_3gpuE0ELNS1_3repE0EEENS1_30default_config_static_selectorELNS0_4arch9wavefront6targetE1EEEvT1_ ; -- Begin function _ZN7rocprim17ROCPRIM_400000_NS6detail17trampoline_kernelINS0_14default_configENS1_27scan_by_key_config_selectorIssEEZZNS1_16scan_by_key_implILNS1_25lookback_scan_determinismE0ELb1ES3_N6thrust23THRUST_200600_302600_NS6detail15normal_iteratorINS9_10device_ptrIsEEEESE_SE_sNS9_4plusIsEE19head_flag_predicatesEE10hipError_tPvRmT2_T3_T4_T5_mT6_T7_P12ihipStream_tbENKUlT_T0_E_clISt17integral_constantIbLb0EESX_IbLb1EEEEDaST_SU_EUlST_E_NS1_11comp_targetILNS1_3genE0ELNS1_11target_archE4294967295ELNS1_3gpuE0ELNS1_3repE0EEENS1_30default_config_static_selectorELNS0_4arch9wavefront6targetE1EEEvT1_
	.globl	_ZN7rocprim17ROCPRIM_400000_NS6detail17trampoline_kernelINS0_14default_configENS1_27scan_by_key_config_selectorIssEEZZNS1_16scan_by_key_implILNS1_25lookback_scan_determinismE0ELb1ES3_N6thrust23THRUST_200600_302600_NS6detail15normal_iteratorINS9_10device_ptrIsEEEESE_SE_sNS9_4plusIsEE19head_flag_predicatesEE10hipError_tPvRmT2_T3_T4_T5_mT6_T7_P12ihipStream_tbENKUlT_T0_E_clISt17integral_constantIbLb0EESX_IbLb1EEEEDaST_SU_EUlST_E_NS1_11comp_targetILNS1_3genE0ELNS1_11target_archE4294967295ELNS1_3gpuE0ELNS1_3repE0EEENS1_30default_config_static_selectorELNS0_4arch9wavefront6targetE1EEEvT1_
	.p2align	8
	.type	_ZN7rocprim17ROCPRIM_400000_NS6detail17trampoline_kernelINS0_14default_configENS1_27scan_by_key_config_selectorIssEEZZNS1_16scan_by_key_implILNS1_25lookback_scan_determinismE0ELb1ES3_N6thrust23THRUST_200600_302600_NS6detail15normal_iteratorINS9_10device_ptrIsEEEESE_SE_sNS9_4plusIsEE19head_flag_predicatesEE10hipError_tPvRmT2_T3_T4_T5_mT6_T7_P12ihipStream_tbENKUlT_T0_E_clISt17integral_constantIbLb0EESX_IbLb1EEEEDaST_SU_EUlST_E_NS1_11comp_targetILNS1_3genE0ELNS1_11target_archE4294967295ELNS1_3gpuE0ELNS1_3repE0EEENS1_30default_config_static_selectorELNS0_4arch9wavefront6targetE1EEEvT1_,@function
_ZN7rocprim17ROCPRIM_400000_NS6detail17trampoline_kernelINS0_14default_configENS1_27scan_by_key_config_selectorIssEEZZNS1_16scan_by_key_implILNS1_25lookback_scan_determinismE0ELb1ES3_N6thrust23THRUST_200600_302600_NS6detail15normal_iteratorINS9_10device_ptrIsEEEESE_SE_sNS9_4plusIsEE19head_flag_predicatesEE10hipError_tPvRmT2_T3_T4_T5_mT6_T7_P12ihipStream_tbENKUlT_T0_E_clISt17integral_constantIbLb0EESX_IbLb1EEEEDaST_SU_EUlST_E_NS1_11comp_targetILNS1_3genE0ELNS1_11target_archE4294967295ELNS1_3gpuE0ELNS1_3repE0EEENS1_30default_config_static_selectorELNS0_4arch9wavefront6targetE1EEEvT1_: ; @_ZN7rocprim17ROCPRIM_400000_NS6detail17trampoline_kernelINS0_14default_configENS1_27scan_by_key_config_selectorIssEEZZNS1_16scan_by_key_implILNS1_25lookback_scan_determinismE0ELb1ES3_N6thrust23THRUST_200600_302600_NS6detail15normal_iteratorINS9_10device_ptrIsEEEESE_SE_sNS9_4plusIsEE19head_flag_predicatesEE10hipError_tPvRmT2_T3_T4_T5_mT6_T7_P12ihipStream_tbENKUlT_T0_E_clISt17integral_constantIbLb0EESX_IbLb1EEEEDaST_SU_EUlST_E_NS1_11comp_targetILNS1_3genE0ELNS1_11target_archE4294967295ELNS1_3gpuE0ELNS1_3repE0EEENS1_30default_config_static_selectorELNS0_4arch9wavefront6targetE1EEEvT1_
; %bb.0:
	.section	.rodata,"a",@progbits
	.p2align	6, 0x0
	.amdhsa_kernel _ZN7rocprim17ROCPRIM_400000_NS6detail17trampoline_kernelINS0_14default_configENS1_27scan_by_key_config_selectorIssEEZZNS1_16scan_by_key_implILNS1_25lookback_scan_determinismE0ELb1ES3_N6thrust23THRUST_200600_302600_NS6detail15normal_iteratorINS9_10device_ptrIsEEEESE_SE_sNS9_4plusIsEE19head_flag_predicatesEE10hipError_tPvRmT2_T3_T4_T5_mT6_T7_P12ihipStream_tbENKUlT_T0_E_clISt17integral_constantIbLb0EESX_IbLb1EEEEDaST_SU_EUlST_E_NS1_11comp_targetILNS1_3genE0ELNS1_11target_archE4294967295ELNS1_3gpuE0ELNS1_3repE0EEENS1_30default_config_static_selectorELNS0_4arch9wavefront6targetE1EEEvT1_
		.amdhsa_group_segment_fixed_size 0
		.amdhsa_private_segment_fixed_size 0
		.amdhsa_kernarg_size 112
		.amdhsa_user_sgpr_count 2
		.amdhsa_user_sgpr_dispatch_ptr 0
		.amdhsa_user_sgpr_queue_ptr 0
		.amdhsa_user_sgpr_kernarg_segment_ptr 1
		.amdhsa_user_sgpr_dispatch_id 0
		.amdhsa_user_sgpr_kernarg_preload_length 0
		.amdhsa_user_sgpr_kernarg_preload_offset 0
		.amdhsa_user_sgpr_private_segment_size 0
		.amdhsa_uses_dynamic_stack 0
		.amdhsa_enable_private_segment 0
		.amdhsa_system_sgpr_workgroup_id_x 1
		.amdhsa_system_sgpr_workgroup_id_y 0
		.amdhsa_system_sgpr_workgroup_id_z 0
		.amdhsa_system_sgpr_workgroup_info 0
		.amdhsa_system_vgpr_workitem_id 0
		.amdhsa_next_free_vgpr 1
		.amdhsa_next_free_sgpr 0
		.amdhsa_accum_offset 4
		.amdhsa_reserve_vcc 0
		.amdhsa_float_round_mode_32 0
		.amdhsa_float_round_mode_16_64 0
		.amdhsa_float_denorm_mode_32 3
		.amdhsa_float_denorm_mode_16_64 3
		.amdhsa_dx10_clamp 1
		.amdhsa_ieee_mode 1
		.amdhsa_fp16_overflow 0
		.amdhsa_tg_split 0
		.amdhsa_exception_fp_ieee_invalid_op 0
		.amdhsa_exception_fp_denorm_src 0
		.amdhsa_exception_fp_ieee_div_zero 0
		.amdhsa_exception_fp_ieee_overflow 0
		.amdhsa_exception_fp_ieee_underflow 0
		.amdhsa_exception_fp_ieee_inexact 0
		.amdhsa_exception_int_div_zero 0
	.end_amdhsa_kernel
	.section	.text._ZN7rocprim17ROCPRIM_400000_NS6detail17trampoline_kernelINS0_14default_configENS1_27scan_by_key_config_selectorIssEEZZNS1_16scan_by_key_implILNS1_25lookback_scan_determinismE0ELb1ES3_N6thrust23THRUST_200600_302600_NS6detail15normal_iteratorINS9_10device_ptrIsEEEESE_SE_sNS9_4plusIsEE19head_flag_predicatesEE10hipError_tPvRmT2_T3_T4_T5_mT6_T7_P12ihipStream_tbENKUlT_T0_E_clISt17integral_constantIbLb0EESX_IbLb1EEEEDaST_SU_EUlST_E_NS1_11comp_targetILNS1_3genE0ELNS1_11target_archE4294967295ELNS1_3gpuE0ELNS1_3repE0EEENS1_30default_config_static_selectorELNS0_4arch9wavefront6targetE1EEEvT1_,"axG",@progbits,_ZN7rocprim17ROCPRIM_400000_NS6detail17trampoline_kernelINS0_14default_configENS1_27scan_by_key_config_selectorIssEEZZNS1_16scan_by_key_implILNS1_25lookback_scan_determinismE0ELb1ES3_N6thrust23THRUST_200600_302600_NS6detail15normal_iteratorINS9_10device_ptrIsEEEESE_SE_sNS9_4plusIsEE19head_flag_predicatesEE10hipError_tPvRmT2_T3_T4_T5_mT6_T7_P12ihipStream_tbENKUlT_T0_E_clISt17integral_constantIbLb0EESX_IbLb1EEEEDaST_SU_EUlST_E_NS1_11comp_targetILNS1_3genE0ELNS1_11target_archE4294967295ELNS1_3gpuE0ELNS1_3repE0EEENS1_30default_config_static_selectorELNS0_4arch9wavefront6targetE1EEEvT1_,comdat
.Lfunc_end884:
	.size	_ZN7rocprim17ROCPRIM_400000_NS6detail17trampoline_kernelINS0_14default_configENS1_27scan_by_key_config_selectorIssEEZZNS1_16scan_by_key_implILNS1_25lookback_scan_determinismE0ELb1ES3_N6thrust23THRUST_200600_302600_NS6detail15normal_iteratorINS9_10device_ptrIsEEEESE_SE_sNS9_4plusIsEE19head_flag_predicatesEE10hipError_tPvRmT2_T3_T4_T5_mT6_T7_P12ihipStream_tbENKUlT_T0_E_clISt17integral_constantIbLb0EESX_IbLb1EEEEDaST_SU_EUlST_E_NS1_11comp_targetILNS1_3genE0ELNS1_11target_archE4294967295ELNS1_3gpuE0ELNS1_3repE0EEENS1_30default_config_static_selectorELNS0_4arch9wavefront6targetE1EEEvT1_, .Lfunc_end884-_ZN7rocprim17ROCPRIM_400000_NS6detail17trampoline_kernelINS0_14default_configENS1_27scan_by_key_config_selectorIssEEZZNS1_16scan_by_key_implILNS1_25lookback_scan_determinismE0ELb1ES3_N6thrust23THRUST_200600_302600_NS6detail15normal_iteratorINS9_10device_ptrIsEEEESE_SE_sNS9_4plusIsEE19head_flag_predicatesEE10hipError_tPvRmT2_T3_T4_T5_mT6_T7_P12ihipStream_tbENKUlT_T0_E_clISt17integral_constantIbLb0EESX_IbLb1EEEEDaST_SU_EUlST_E_NS1_11comp_targetILNS1_3genE0ELNS1_11target_archE4294967295ELNS1_3gpuE0ELNS1_3repE0EEENS1_30default_config_static_selectorELNS0_4arch9wavefront6targetE1EEEvT1_
                                        ; -- End function
	.section	.AMDGPU.csdata,"",@progbits
; Kernel info:
; codeLenInByte = 0
; NumSgprs: 6
; NumVgprs: 0
; NumAgprs: 0
; TotalNumVgprs: 0
; ScratchSize: 0
; MemoryBound: 0
; FloatMode: 240
; IeeeMode: 1
; LDSByteSize: 0 bytes/workgroup (compile time only)
; SGPRBlocks: 0
; VGPRBlocks: 0
; NumSGPRsForWavesPerEU: 6
; NumVGPRsForWavesPerEU: 1
; AccumOffset: 4
; Occupancy: 8
; WaveLimiterHint : 0
; COMPUTE_PGM_RSRC2:SCRATCH_EN: 0
; COMPUTE_PGM_RSRC2:USER_SGPR: 2
; COMPUTE_PGM_RSRC2:TRAP_HANDLER: 0
; COMPUTE_PGM_RSRC2:TGID_X_EN: 1
; COMPUTE_PGM_RSRC2:TGID_Y_EN: 0
; COMPUTE_PGM_RSRC2:TGID_Z_EN: 0
; COMPUTE_PGM_RSRC2:TIDIG_COMP_CNT: 0
; COMPUTE_PGM_RSRC3_GFX90A:ACCUM_OFFSET: 0
; COMPUTE_PGM_RSRC3_GFX90A:TG_SPLIT: 0
	.section	.text._ZN7rocprim17ROCPRIM_400000_NS6detail17trampoline_kernelINS0_14default_configENS1_27scan_by_key_config_selectorIssEEZZNS1_16scan_by_key_implILNS1_25lookback_scan_determinismE0ELb1ES3_N6thrust23THRUST_200600_302600_NS6detail15normal_iteratorINS9_10device_ptrIsEEEESE_SE_sNS9_4plusIsEE19head_flag_predicatesEE10hipError_tPvRmT2_T3_T4_T5_mT6_T7_P12ihipStream_tbENKUlT_T0_E_clISt17integral_constantIbLb0EESX_IbLb1EEEEDaST_SU_EUlST_E_NS1_11comp_targetILNS1_3genE10ELNS1_11target_archE1201ELNS1_3gpuE5ELNS1_3repE0EEENS1_30default_config_static_selectorELNS0_4arch9wavefront6targetE1EEEvT1_,"axG",@progbits,_ZN7rocprim17ROCPRIM_400000_NS6detail17trampoline_kernelINS0_14default_configENS1_27scan_by_key_config_selectorIssEEZZNS1_16scan_by_key_implILNS1_25lookback_scan_determinismE0ELb1ES3_N6thrust23THRUST_200600_302600_NS6detail15normal_iteratorINS9_10device_ptrIsEEEESE_SE_sNS9_4plusIsEE19head_flag_predicatesEE10hipError_tPvRmT2_T3_T4_T5_mT6_T7_P12ihipStream_tbENKUlT_T0_E_clISt17integral_constantIbLb0EESX_IbLb1EEEEDaST_SU_EUlST_E_NS1_11comp_targetILNS1_3genE10ELNS1_11target_archE1201ELNS1_3gpuE5ELNS1_3repE0EEENS1_30default_config_static_selectorELNS0_4arch9wavefront6targetE1EEEvT1_,comdat
	.protected	_ZN7rocprim17ROCPRIM_400000_NS6detail17trampoline_kernelINS0_14default_configENS1_27scan_by_key_config_selectorIssEEZZNS1_16scan_by_key_implILNS1_25lookback_scan_determinismE0ELb1ES3_N6thrust23THRUST_200600_302600_NS6detail15normal_iteratorINS9_10device_ptrIsEEEESE_SE_sNS9_4plusIsEE19head_flag_predicatesEE10hipError_tPvRmT2_T3_T4_T5_mT6_T7_P12ihipStream_tbENKUlT_T0_E_clISt17integral_constantIbLb0EESX_IbLb1EEEEDaST_SU_EUlST_E_NS1_11comp_targetILNS1_3genE10ELNS1_11target_archE1201ELNS1_3gpuE5ELNS1_3repE0EEENS1_30default_config_static_selectorELNS0_4arch9wavefront6targetE1EEEvT1_ ; -- Begin function _ZN7rocprim17ROCPRIM_400000_NS6detail17trampoline_kernelINS0_14default_configENS1_27scan_by_key_config_selectorIssEEZZNS1_16scan_by_key_implILNS1_25lookback_scan_determinismE0ELb1ES3_N6thrust23THRUST_200600_302600_NS6detail15normal_iteratorINS9_10device_ptrIsEEEESE_SE_sNS9_4plusIsEE19head_flag_predicatesEE10hipError_tPvRmT2_T3_T4_T5_mT6_T7_P12ihipStream_tbENKUlT_T0_E_clISt17integral_constantIbLb0EESX_IbLb1EEEEDaST_SU_EUlST_E_NS1_11comp_targetILNS1_3genE10ELNS1_11target_archE1201ELNS1_3gpuE5ELNS1_3repE0EEENS1_30default_config_static_selectorELNS0_4arch9wavefront6targetE1EEEvT1_
	.globl	_ZN7rocprim17ROCPRIM_400000_NS6detail17trampoline_kernelINS0_14default_configENS1_27scan_by_key_config_selectorIssEEZZNS1_16scan_by_key_implILNS1_25lookback_scan_determinismE0ELb1ES3_N6thrust23THRUST_200600_302600_NS6detail15normal_iteratorINS9_10device_ptrIsEEEESE_SE_sNS9_4plusIsEE19head_flag_predicatesEE10hipError_tPvRmT2_T3_T4_T5_mT6_T7_P12ihipStream_tbENKUlT_T0_E_clISt17integral_constantIbLb0EESX_IbLb1EEEEDaST_SU_EUlST_E_NS1_11comp_targetILNS1_3genE10ELNS1_11target_archE1201ELNS1_3gpuE5ELNS1_3repE0EEENS1_30default_config_static_selectorELNS0_4arch9wavefront6targetE1EEEvT1_
	.p2align	8
	.type	_ZN7rocprim17ROCPRIM_400000_NS6detail17trampoline_kernelINS0_14default_configENS1_27scan_by_key_config_selectorIssEEZZNS1_16scan_by_key_implILNS1_25lookback_scan_determinismE0ELb1ES3_N6thrust23THRUST_200600_302600_NS6detail15normal_iteratorINS9_10device_ptrIsEEEESE_SE_sNS9_4plusIsEE19head_flag_predicatesEE10hipError_tPvRmT2_T3_T4_T5_mT6_T7_P12ihipStream_tbENKUlT_T0_E_clISt17integral_constantIbLb0EESX_IbLb1EEEEDaST_SU_EUlST_E_NS1_11comp_targetILNS1_3genE10ELNS1_11target_archE1201ELNS1_3gpuE5ELNS1_3repE0EEENS1_30default_config_static_selectorELNS0_4arch9wavefront6targetE1EEEvT1_,@function
_ZN7rocprim17ROCPRIM_400000_NS6detail17trampoline_kernelINS0_14default_configENS1_27scan_by_key_config_selectorIssEEZZNS1_16scan_by_key_implILNS1_25lookback_scan_determinismE0ELb1ES3_N6thrust23THRUST_200600_302600_NS6detail15normal_iteratorINS9_10device_ptrIsEEEESE_SE_sNS9_4plusIsEE19head_flag_predicatesEE10hipError_tPvRmT2_T3_T4_T5_mT6_T7_P12ihipStream_tbENKUlT_T0_E_clISt17integral_constantIbLb0EESX_IbLb1EEEEDaST_SU_EUlST_E_NS1_11comp_targetILNS1_3genE10ELNS1_11target_archE1201ELNS1_3gpuE5ELNS1_3repE0EEENS1_30default_config_static_selectorELNS0_4arch9wavefront6targetE1EEEvT1_: ; @_ZN7rocprim17ROCPRIM_400000_NS6detail17trampoline_kernelINS0_14default_configENS1_27scan_by_key_config_selectorIssEEZZNS1_16scan_by_key_implILNS1_25lookback_scan_determinismE0ELb1ES3_N6thrust23THRUST_200600_302600_NS6detail15normal_iteratorINS9_10device_ptrIsEEEESE_SE_sNS9_4plusIsEE19head_flag_predicatesEE10hipError_tPvRmT2_T3_T4_T5_mT6_T7_P12ihipStream_tbENKUlT_T0_E_clISt17integral_constantIbLb0EESX_IbLb1EEEEDaST_SU_EUlST_E_NS1_11comp_targetILNS1_3genE10ELNS1_11target_archE1201ELNS1_3gpuE5ELNS1_3repE0EEENS1_30default_config_static_selectorELNS0_4arch9wavefront6targetE1EEEvT1_
; %bb.0:
	.section	.rodata,"a",@progbits
	.p2align	6, 0x0
	.amdhsa_kernel _ZN7rocprim17ROCPRIM_400000_NS6detail17trampoline_kernelINS0_14default_configENS1_27scan_by_key_config_selectorIssEEZZNS1_16scan_by_key_implILNS1_25lookback_scan_determinismE0ELb1ES3_N6thrust23THRUST_200600_302600_NS6detail15normal_iteratorINS9_10device_ptrIsEEEESE_SE_sNS9_4plusIsEE19head_flag_predicatesEE10hipError_tPvRmT2_T3_T4_T5_mT6_T7_P12ihipStream_tbENKUlT_T0_E_clISt17integral_constantIbLb0EESX_IbLb1EEEEDaST_SU_EUlST_E_NS1_11comp_targetILNS1_3genE10ELNS1_11target_archE1201ELNS1_3gpuE5ELNS1_3repE0EEENS1_30default_config_static_selectorELNS0_4arch9wavefront6targetE1EEEvT1_
		.amdhsa_group_segment_fixed_size 0
		.amdhsa_private_segment_fixed_size 0
		.amdhsa_kernarg_size 112
		.amdhsa_user_sgpr_count 2
		.amdhsa_user_sgpr_dispatch_ptr 0
		.amdhsa_user_sgpr_queue_ptr 0
		.amdhsa_user_sgpr_kernarg_segment_ptr 1
		.amdhsa_user_sgpr_dispatch_id 0
		.amdhsa_user_sgpr_kernarg_preload_length 0
		.amdhsa_user_sgpr_kernarg_preload_offset 0
		.amdhsa_user_sgpr_private_segment_size 0
		.amdhsa_uses_dynamic_stack 0
		.amdhsa_enable_private_segment 0
		.amdhsa_system_sgpr_workgroup_id_x 1
		.amdhsa_system_sgpr_workgroup_id_y 0
		.amdhsa_system_sgpr_workgroup_id_z 0
		.amdhsa_system_sgpr_workgroup_info 0
		.amdhsa_system_vgpr_workitem_id 0
		.amdhsa_next_free_vgpr 1
		.amdhsa_next_free_sgpr 0
		.amdhsa_accum_offset 4
		.amdhsa_reserve_vcc 0
		.amdhsa_float_round_mode_32 0
		.amdhsa_float_round_mode_16_64 0
		.amdhsa_float_denorm_mode_32 3
		.amdhsa_float_denorm_mode_16_64 3
		.amdhsa_dx10_clamp 1
		.amdhsa_ieee_mode 1
		.amdhsa_fp16_overflow 0
		.amdhsa_tg_split 0
		.amdhsa_exception_fp_ieee_invalid_op 0
		.amdhsa_exception_fp_denorm_src 0
		.amdhsa_exception_fp_ieee_div_zero 0
		.amdhsa_exception_fp_ieee_overflow 0
		.amdhsa_exception_fp_ieee_underflow 0
		.amdhsa_exception_fp_ieee_inexact 0
		.amdhsa_exception_int_div_zero 0
	.end_amdhsa_kernel
	.section	.text._ZN7rocprim17ROCPRIM_400000_NS6detail17trampoline_kernelINS0_14default_configENS1_27scan_by_key_config_selectorIssEEZZNS1_16scan_by_key_implILNS1_25lookback_scan_determinismE0ELb1ES3_N6thrust23THRUST_200600_302600_NS6detail15normal_iteratorINS9_10device_ptrIsEEEESE_SE_sNS9_4plusIsEE19head_flag_predicatesEE10hipError_tPvRmT2_T3_T4_T5_mT6_T7_P12ihipStream_tbENKUlT_T0_E_clISt17integral_constantIbLb0EESX_IbLb1EEEEDaST_SU_EUlST_E_NS1_11comp_targetILNS1_3genE10ELNS1_11target_archE1201ELNS1_3gpuE5ELNS1_3repE0EEENS1_30default_config_static_selectorELNS0_4arch9wavefront6targetE1EEEvT1_,"axG",@progbits,_ZN7rocprim17ROCPRIM_400000_NS6detail17trampoline_kernelINS0_14default_configENS1_27scan_by_key_config_selectorIssEEZZNS1_16scan_by_key_implILNS1_25lookback_scan_determinismE0ELb1ES3_N6thrust23THRUST_200600_302600_NS6detail15normal_iteratorINS9_10device_ptrIsEEEESE_SE_sNS9_4plusIsEE19head_flag_predicatesEE10hipError_tPvRmT2_T3_T4_T5_mT6_T7_P12ihipStream_tbENKUlT_T0_E_clISt17integral_constantIbLb0EESX_IbLb1EEEEDaST_SU_EUlST_E_NS1_11comp_targetILNS1_3genE10ELNS1_11target_archE1201ELNS1_3gpuE5ELNS1_3repE0EEENS1_30default_config_static_selectorELNS0_4arch9wavefront6targetE1EEEvT1_,comdat
.Lfunc_end885:
	.size	_ZN7rocprim17ROCPRIM_400000_NS6detail17trampoline_kernelINS0_14default_configENS1_27scan_by_key_config_selectorIssEEZZNS1_16scan_by_key_implILNS1_25lookback_scan_determinismE0ELb1ES3_N6thrust23THRUST_200600_302600_NS6detail15normal_iteratorINS9_10device_ptrIsEEEESE_SE_sNS9_4plusIsEE19head_flag_predicatesEE10hipError_tPvRmT2_T3_T4_T5_mT6_T7_P12ihipStream_tbENKUlT_T0_E_clISt17integral_constantIbLb0EESX_IbLb1EEEEDaST_SU_EUlST_E_NS1_11comp_targetILNS1_3genE10ELNS1_11target_archE1201ELNS1_3gpuE5ELNS1_3repE0EEENS1_30default_config_static_selectorELNS0_4arch9wavefront6targetE1EEEvT1_, .Lfunc_end885-_ZN7rocprim17ROCPRIM_400000_NS6detail17trampoline_kernelINS0_14default_configENS1_27scan_by_key_config_selectorIssEEZZNS1_16scan_by_key_implILNS1_25lookback_scan_determinismE0ELb1ES3_N6thrust23THRUST_200600_302600_NS6detail15normal_iteratorINS9_10device_ptrIsEEEESE_SE_sNS9_4plusIsEE19head_flag_predicatesEE10hipError_tPvRmT2_T3_T4_T5_mT6_T7_P12ihipStream_tbENKUlT_T0_E_clISt17integral_constantIbLb0EESX_IbLb1EEEEDaST_SU_EUlST_E_NS1_11comp_targetILNS1_3genE10ELNS1_11target_archE1201ELNS1_3gpuE5ELNS1_3repE0EEENS1_30default_config_static_selectorELNS0_4arch9wavefront6targetE1EEEvT1_
                                        ; -- End function
	.section	.AMDGPU.csdata,"",@progbits
; Kernel info:
; codeLenInByte = 0
; NumSgprs: 6
; NumVgprs: 0
; NumAgprs: 0
; TotalNumVgprs: 0
; ScratchSize: 0
; MemoryBound: 0
; FloatMode: 240
; IeeeMode: 1
; LDSByteSize: 0 bytes/workgroup (compile time only)
; SGPRBlocks: 0
; VGPRBlocks: 0
; NumSGPRsForWavesPerEU: 6
; NumVGPRsForWavesPerEU: 1
; AccumOffset: 4
; Occupancy: 8
; WaveLimiterHint : 0
; COMPUTE_PGM_RSRC2:SCRATCH_EN: 0
; COMPUTE_PGM_RSRC2:USER_SGPR: 2
; COMPUTE_PGM_RSRC2:TRAP_HANDLER: 0
; COMPUTE_PGM_RSRC2:TGID_X_EN: 1
; COMPUTE_PGM_RSRC2:TGID_Y_EN: 0
; COMPUTE_PGM_RSRC2:TGID_Z_EN: 0
; COMPUTE_PGM_RSRC2:TIDIG_COMP_CNT: 0
; COMPUTE_PGM_RSRC3_GFX90A:ACCUM_OFFSET: 0
; COMPUTE_PGM_RSRC3_GFX90A:TG_SPLIT: 0
	.section	.text._ZN7rocprim17ROCPRIM_400000_NS6detail17trampoline_kernelINS0_14default_configENS1_27scan_by_key_config_selectorIssEEZZNS1_16scan_by_key_implILNS1_25lookback_scan_determinismE0ELb1ES3_N6thrust23THRUST_200600_302600_NS6detail15normal_iteratorINS9_10device_ptrIsEEEESE_SE_sNS9_4plusIsEE19head_flag_predicatesEE10hipError_tPvRmT2_T3_T4_T5_mT6_T7_P12ihipStream_tbENKUlT_T0_E_clISt17integral_constantIbLb0EESX_IbLb1EEEEDaST_SU_EUlST_E_NS1_11comp_targetILNS1_3genE5ELNS1_11target_archE942ELNS1_3gpuE9ELNS1_3repE0EEENS1_30default_config_static_selectorELNS0_4arch9wavefront6targetE1EEEvT1_,"axG",@progbits,_ZN7rocprim17ROCPRIM_400000_NS6detail17trampoline_kernelINS0_14default_configENS1_27scan_by_key_config_selectorIssEEZZNS1_16scan_by_key_implILNS1_25lookback_scan_determinismE0ELb1ES3_N6thrust23THRUST_200600_302600_NS6detail15normal_iteratorINS9_10device_ptrIsEEEESE_SE_sNS9_4plusIsEE19head_flag_predicatesEE10hipError_tPvRmT2_T3_T4_T5_mT6_T7_P12ihipStream_tbENKUlT_T0_E_clISt17integral_constantIbLb0EESX_IbLb1EEEEDaST_SU_EUlST_E_NS1_11comp_targetILNS1_3genE5ELNS1_11target_archE942ELNS1_3gpuE9ELNS1_3repE0EEENS1_30default_config_static_selectorELNS0_4arch9wavefront6targetE1EEEvT1_,comdat
	.protected	_ZN7rocprim17ROCPRIM_400000_NS6detail17trampoline_kernelINS0_14default_configENS1_27scan_by_key_config_selectorIssEEZZNS1_16scan_by_key_implILNS1_25lookback_scan_determinismE0ELb1ES3_N6thrust23THRUST_200600_302600_NS6detail15normal_iteratorINS9_10device_ptrIsEEEESE_SE_sNS9_4plusIsEE19head_flag_predicatesEE10hipError_tPvRmT2_T3_T4_T5_mT6_T7_P12ihipStream_tbENKUlT_T0_E_clISt17integral_constantIbLb0EESX_IbLb1EEEEDaST_SU_EUlST_E_NS1_11comp_targetILNS1_3genE5ELNS1_11target_archE942ELNS1_3gpuE9ELNS1_3repE0EEENS1_30default_config_static_selectorELNS0_4arch9wavefront6targetE1EEEvT1_ ; -- Begin function _ZN7rocprim17ROCPRIM_400000_NS6detail17trampoline_kernelINS0_14default_configENS1_27scan_by_key_config_selectorIssEEZZNS1_16scan_by_key_implILNS1_25lookback_scan_determinismE0ELb1ES3_N6thrust23THRUST_200600_302600_NS6detail15normal_iteratorINS9_10device_ptrIsEEEESE_SE_sNS9_4plusIsEE19head_flag_predicatesEE10hipError_tPvRmT2_T3_T4_T5_mT6_T7_P12ihipStream_tbENKUlT_T0_E_clISt17integral_constantIbLb0EESX_IbLb1EEEEDaST_SU_EUlST_E_NS1_11comp_targetILNS1_3genE5ELNS1_11target_archE942ELNS1_3gpuE9ELNS1_3repE0EEENS1_30default_config_static_selectorELNS0_4arch9wavefront6targetE1EEEvT1_
	.globl	_ZN7rocprim17ROCPRIM_400000_NS6detail17trampoline_kernelINS0_14default_configENS1_27scan_by_key_config_selectorIssEEZZNS1_16scan_by_key_implILNS1_25lookback_scan_determinismE0ELb1ES3_N6thrust23THRUST_200600_302600_NS6detail15normal_iteratorINS9_10device_ptrIsEEEESE_SE_sNS9_4plusIsEE19head_flag_predicatesEE10hipError_tPvRmT2_T3_T4_T5_mT6_T7_P12ihipStream_tbENKUlT_T0_E_clISt17integral_constantIbLb0EESX_IbLb1EEEEDaST_SU_EUlST_E_NS1_11comp_targetILNS1_3genE5ELNS1_11target_archE942ELNS1_3gpuE9ELNS1_3repE0EEENS1_30default_config_static_selectorELNS0_4arch9wavefront6targetE1EEEvT1_
	.p2align	8
	.type	_ZN7rocprim17ROCPRIM_400000_NS6detail17trampoline_kernelINS0_14default_configENS1_27scan_by_key_config_selectorIssEEZZNS1_16scan_by_key_implILNS1_25lookback_scan_determinismE0ELb1ES3_N6thrust23THRUST_200600_302600_NS6detail15normal_iteratorINS9_10device_ptrIsEEEESE_SE_sNS9_4plusIsEE19head_flag_predicatesEE10hipError_tPvRmT2_T3_T4_T5_mT6_T7_P12ihipStream_tbENKUlT_T0_E_clISt17integral_constantIbLb0EESX_IbLb1EEEEDaST_SU_EUlST_E_NS1_11comp_targetILNS1_3genE5ELNS1_11target_archE942ELNS1_3gpuE9ELNS1_3repE0EEENS1_30default_config_static_selectorELNS0_4arch9wavefront6targetE1EEEvT1_,@function
_ZN7rocprim17ROCPRIM_400000_NS6detail17trampoline_kernelINS0_14default_configENS1_27scan_by_key_config_selectorIssEEZZNS1_16scan_by_key_implILNS1_25lookback_scan_determinismE0ELb1ES3_N6thrust23THRUST_200600_302600_NS6detail15normal_iteratorINS9_10device_ptrIsEEEESE_SE_sNS9_4plusIsEE19head_flag_predicatesEE10hipError_tPvRmT2_T3_T4_T5_mT6_T7_P12ihipStream_tbENKUlT_T0_E_clISt17integral_constantIbLb0EESX_IbLb1EEEEDaST_SU_EUlST_E_NS1_11comp_targetILNS1_3genE5ELNS1_11target_archE942ELNS1_3gpuE9ELNS1_3repE0EEENS1_30default_config_static_selectorELNS0_4arch9wavefront6targetE1EEEvT1_: ; @_ZN7rocprim17ROCPRIM_400000_NS6detail17trampoline_kernelINS0_14default_configENS1_27scan_by_key_config_selectorIssEEZZNS1_16scan_by_key_implILNS1_25lookback_scan_determinismE0ELb1ES3_N6thrust23THRUST_200600_302600_NS6detail15normal_iteratorINS9_10device_ptrIsEEEESE_SE_sNS9_4plusIsEE19head_flag_predicatesEE10hipError_tPvRmT2_T3_T4_T5_mT6_T7_P12ihipStream_tbENKUlT_T0_E_clISt17integral_constantIbLb0EESX_IbLb1EEEEDaST_SU_EUlST_E_NS1_11comp_targetILNS1_3genE5ELNS1_11target_archE942ELNS1_3gpuE9ELNS1_3repE0EEENS1_30default_config_static_selectorELNS0_4arch9wavefront6targetE1EEEvT1_
; %bb.0:
	s_load_dword s74, s[0:1], 0x20
	s_load_dwordx4 s[64:67], s[0:1], 0x28
	s_load_dwordx2 s[72:73], s[0:1], 0x38
	v_cmp_eq_u32_e64 s[52:53], 0, v0
	s_and_saveexec_b64 s[2:3], s[52:53]
	s_cbranch_execz .LBB886_4
; %bb.1:
	s_mov_b64 s[6:7], exec
	v_mbcnt_lo_u32_b32 v1, s6, 0
	v_mbcnt_hi_u32_b32 v1, s7, v1
	v_cmp_eq_u32_e32 vcc, 0, v1
                                        ; implicit-def: $vgpr2
	s_and_saveexec_b64 s[4:5], vcc
	s_cbranch_execz .LBB886_3
; %bb.2:
	s_load_dwordx2 s[8:9], s[0:1], 0x68
	s_bcnt1_i32_b64 s6, s[6:7]
	v_mov_b32_e32 v2, 0
	v_mov_b32_e32 v3, s6
	s_waitcnt lgkmcnt(0)
	global_atomic_add v2, v2, v3, s[8:9] sc0
.LBB886_3:
	s_or_b64 exec, exec, s[4:5]
	s_waitcnt vmcnt(0)
	v_readfirstlane_b32 s4, v2
	v_mov_b32_e32 v2, 0
	s_nop 0
	v_add_u32_e32 v1, s4, v1
	ds_write_b32 v2, v1
.LBB886_4:
	s_or_b64 exec, exec, s[2:3]
	s_load_dwordx8 s[56:63], s[0:1], 0x0
	s_load_dword s2, s[0:1], 0x40
	s_load_dwordx4 s[68:71], s[0:1], 0x48
	v_mov_b32_e32 v3, 0
	s_waitcnt lgkmcnt(0)
	s_lshl_b64 s[54:55], s[58:59], 1
	s_barrier
	ds_read_b32 v2, v3
	s_add_u32 s0, s56, s54
	s_addc_u32 s1, s57, s55
	s_add_u32 s4, s60, s54
	s_mul_i32 s3, s73, s2
	s_mul_hi_u32 s6, s72, s2
	s_addc_u32 s5, s61, s55
	s_add_i32 s3, s6, s3
	s_movk_i32 s6, 0x1800
	s_waitcnt lgkmcnt(0)
	v_mul_lo_u32 v4, v2, s6
	v_mov_b32_e32 v5, v3
	v_lshlrev_b64 v[26:27], 1, v[4:5]
	s_mul_i32 s2, s72, s2
	v_lshl_add_u64 v[18:19], s[4:5], 0, v[26:27]
	s_add_u32 s4, s68, -1
	v_readfirstlane_b32 s67, v2
	v_lshl_add_u64 v[2:3], s[2:3], 0, v[2:3]
	s_addc_u32 s5, s69, -1
	v_cmp_le_u64_e64 s[2:3], s[4:5], v[2:3]
	v_lshl_add_u64 v[20:21], s[0:1], 0, v[26:27]
	s_mov_b64 s[0:1], -1
	s_and_b64 vcc, exec, s[2:3]
	s_mul_i32 s33, s4, 0xffffe800
	s_barrier
	s_barrier
	s_cbranch_vccz .LBB886_130
; %bb.5:
	flat_load_ushort v1, v[20:21]
	s_add_i32 s69, s33, s66
	v_cmp_gt_u32_e32 vcc, s69, v0
	s_waitcnt vmcnt(0) lgkmcnt(0)
	v_mov_b32_e32 v2, v1
	s_and_saveexec_b64 s[0:1], vcc
	s_cbranch_execz .LBB886_7
; %bb.6:
	v_lshlrev_b32_e32 v2, 1, v0
	v_mov_b32_e32 v3, 0
	v_lshl_add_u64 v[2:3], v[20:21], 0, v[2:3]
	flat_load_ushort v2, v[2:3]
.LBB886_7:
	s_or_b64 exec, exec, s[0:1]
	v_or_b32_e32 v3, 0x100, v0
	v_cmp_gt_u32_e64 s[4:5], s69, v3
	v_mov_b32_e32 v3, v1
	s_and_saveexec_b64 s[0:1], s[4:5]
	s_cbranch_execz .LBB886_9
; %bb.8:
	v_lshlrev_b32_e32 v4, 1, v0
	v_mov_b32_e32 v5, 0
	v_lshl_add_u64 v[4:5], v[20:21], 0, v[4:5]
	flat_load_ushort v3, v[4:5] offset:512
.LBB886_9:
	s_or_b64 exec, exec, s[0:1]
	v_or_b32_e32 v4, 0x200, v0
	v_cmp_gt_u32_e64 s[6:7], s69, v4
	v_mov_b32_e32 v4, v1
	s_and_saveexec_b64 s[0:1], s[6:7]
	s_cbranch_execz .LBB886_11
; %bb.10:
	v_lshlrev_b32_e32 v4, 1, v0
	v_mov_b32_e32 v5, 0
	v_lshl_add_u64 v[4:5], v[20:21], 0, v[4:5]
	flat_load_ushort v4, v[4:5] offset:1024
.LBB886_11:
	;; [unrolled: 12-line block ×7, first 2 shown]
	s_or_b64 exec, exec, s[0:1]
	v_or_b32_e32 v10, 0x800, v0
	v_cmp_gt_u32_e64 s[18:19], s69, v10
	v_lshlrev_b32_e32 v14, 1, v10
	v_mov_b32_e32 v10, v1
	s_and_saveexec_b64 s[0:1], s[18:19]
	s_cbranch_execz .LBB886_23
; %bb.22:
	v_mov_b32_e32 v15, 0
	v_lshl_add_u64 v[10:11], v[20:21], 0, v[14:15]
	flat_load_ushort v10, v[10:11]
.LBB886_23:
	s_or_b64 exec, exec, s[0:1]
	v_or_b32_e32 v11, 0x900, v0
	v_cmp_gt_u32_e64 s[20:21], s69, v11
	v_lshlrev_b32_e32 v16, 1, v11
	v_mov_b32_e32 v11, v1
	s_and_saveexec_b64 s[0:1], s[20:21]
	s_cbranch_execz .LBB886_25
; %bb.24:
	v_mov_b32_e32 v17, 0
	v_lshl_add_u64 v[12:13], v[20:21], 0, v[16:17]
	flat_load_ushort v11, v[12:13]
.LBB886_25:
	;; [unrolled: 12-line block ×15, first 2 shown]
	s_or_b64 exec, exec, s[0:1]
	v_or_b32_e32 v42, 0x1700, v0
	v_cmp_gt_u32_e64 s[50:51], s69, v42
	v_lshlrev_b32_e32 v52, 1, v42
	s_and_saveexec_b64 s[0:1], s[50:51]
	s_cbranch_execz .LBB886_53
; %bb.52:
	v_mov_b32_e32 v53, 0
	v_lshl_add_u64 v[42:43], v[20:21], 0, v[52:53]
	flat_load_ushort v1, v[42:43]
.LBB886_53:
	s_or_b64 exec, exec, s[0:1]
	v_lshlrev_b32_e32 v42, 1, v0
	s_waitcnt vmcnt(0) lgkmcnt(0)
	ds_write_b16 v42, v2
	ds_write_b16 v42, v3 offset:512
	ds_write_b16 v42, v4 offset:1024
	;; [unrolled: 1-line block ×23, first 2 shown]
	s_waitcnt lgkmcnt(0)
	s_barrier
	flat_load_ushort v54, v[20:21]
	v_mad_u32_u24 v55, v0, 46, v42
	ds_read_b128 v[10:13], v55
	ds_read_b128 v[6:9], v55 offset:16
	ds_read_b128 v[2:5], v55 offset:32
	s_movk_i32 s0, 0xffd2
	v_mad_i32_i24 v1, v0, s0, v55
	s_movk_i32 s0, 0xff
	v_cmp_ne_u32_e64 s[0:1], s0, v0
	s_waitcnt lgkmcnt(0)
	ds_write_b16 v1, v10 offset:12800
	s_waitcnt lgkmcnt(0)
	s_barrier
	s_and_saveexec_b64 s[56:57], s[0:1]
	s_cbranch_execz .LBB886_55
; %bb.54:
	s_waitcnt vmcnt(0)
	ds_read_u16 v54, v42 offset:12802
.LBB886_55:
	s_or_b64 exec, exec, s[56:57]
	v_mov_b32_e32 v43, 0
	s_waitcnt lgkmcnt(0)
	s_barrier
	s_waitcnt lgkmcnt(0)
                                        ; implicit-def: $vgpr1
	s_and_saveexec_b64 s[0:1], vcc
	s_cbranch_execz .LBB886_205
; %bb.56:
	v_lshl_add_u64 v[56:57], v[18:19], 0, v[42:43]
	flat_load_ushort v1, v[56:57]
	s_or_b64 exec, exec, s[0:1]
                                        ; implicit-def: $vgpr56
	s_and_saveexec_b64 s[0:1], s[4:5]
	s_cbranch_execnz .LBB886_206
.LBB886_57:
	s_or_b64 exec, exec, s[0:1]
                                        ; implicit-def: $vgpr57
	s_and_saveexec_b64 s[0:1], s[6:7]
	s_cbranch_execz .LBB886_207
.LBB886_58:
	v_mov_b32_e32 v43, 0
	v_lshl_add_u64 v[58:59], v[18:19], 0, v[42:43]
	flat_load_ushort v57, v[58:59] offset:1024
	s_or_b64 exec, exec, s[0:1]
                                        ; implicit-def: $vgpr58
	s_and_saveexec_b64 s[0:1], s[8:9]
	s_cbranch_execnz .LBB886_208
.LBB886_59:
	s_or_b64 exec, exec, s[0:1]
                                        ; implicit-def: $vgpr59
	s_and_saveexec_b64 s[0:1], s[10:11]
	s_cbranch_execz .LBB886_209
.LBB886_60:
	v_mov_b32_e32 v43, 0
	v_lshl_add_u64 v[60:61], v[18:19], 0, v[42:43]
	flat_load_ushort v59, v[60:61] offset:2048
	s_or_b64 exec, exec, s[0:1]
                                        ; implicit-def: $vgpr60
	s_and_saveexec_b64 s[0:1], s[12:13]
	s_cbranch_execnz .LBB886_210
.LBB886_61:
	s_or_b64 exec, exec, s[0:1]
                                        ; implicit-def: $vgpr61
	s_and_saveexec_b64 s[0:1], s[14:15]
	s_cbranch_execz .LBB886_211
.LBB886_62:
	v_mov_b32_e32 v43, 0
	v_lshl_add_u64 v[62:63], v[18:19], 0, v[42:43]
	flat_load_ushort v61, v[62:63] offset:3072
	s_or_b64 exec, exec, s[0:1]
                                        ; implicit-def: $vgpr43
	s_and_saveexec_b64 s[0:1], s[16:17]
	s_cbranch_execnz .LBB886_212
.LBB886_63:
	s_or_b64 exec, exec, s[0:1]
                                        ; implicit-def: $vgpr15
	s_and_saveexec_b64 s[0:1], s[18:19]
	s_cbranch_execz .LBB886_213
.LBB886_64:
	v_mov_b32_e32 v15, 0
	v_lshl_add_u64 v[14:15], v[18:19], 0, v[14:15]
	flat_load_ushort v15, v[14:15]
	s_or_b64 exec, exec, s[0:1]
                                        ; implicit-def: $vgpr14
	s_and_saveexec_b64 s[0:1], s[20:21]
	s_cbranch_execnz .LBB886_214
.LBB886_65:
	s_or_b64 exec, exec, s[0:1]
                                        ; implicit-def: $vgpr16
	s_and_saveexec_b64 s[0:1], s[22:23]
	s_cbranch_execz .LBB886_215
.LBB886_66:
	v_mov_b32_e32 v23, 0
	v_lshl_add_u64 v[16:17], v[18:19], 0, v[22:23]
	flat_load_ushort v16, v[16:17]
	s_or_b64 exec, exec, s[0:1]
                                        ; implicit-def: $vgpr17
	s_and_saveexec_b64 s[0:1], s[24:25]
	s_cbranch_execnz .LBB886_216
.LBB886_67:
	s_or_b64 exec, exec, s[0:1]
                                        ; implicit-def: $vgpr22
	s_and_saveexec_b64 s[0:1], s[26:27]
	s_cbranch_execz .LBB886_217
.LBB886_68:
	v_mov_b32_e32 v29, 0
	v_lshl_add_u64 v[22:23], v[18:19], 0, v[28:29]
	flat_load_ushort v22, v[22:23]
	s_or_b64 exec, exec, s[0:1]
                                        ; implicit-def: $vgpr23
	s_and_saveexec_b64 s[0:1], s[28:29]
	s_cbranch_execnz .LBB886_218
.LBB886_69:
	s_or_b64 exec, exec, s[0:1]
                                        ; implicit-def: $vgpr24
	s_and_saveexec_b64 s[0:1], s[30:31]
	s_cbranch_execz .LBB886_219
.LBB886_70:
	v_mov_b32_e32 v33, 0
	v_lshl_add_u64 v[24:25], v[18:19], 0, v[32:33]
	flat_load_ushort v24, v[24:25]
	s_or_b64 exec, exec, s[0:1]
                                        ; implicit-def: $vgpr25
	s_and_saveexec_b64 s[0:1], s[34:35]
	s_cbranch_execnz .LBB886_220
.LBB886_71:
	s_or_b64 exec, exec, s[0:1]
                                        ; implicit-def: $vgpr29
	s_and_saveexec_b64 s[0:1], s[36:37]
	s_cbranch_execz .LBB886_221
.LBB886_72:
	v_mov_b32_e32 v37, 0
	v_lshl_add_u64 v[28:29], v[18:19], 0, v[36:37]
	flat_load_ushort v29, v[28:29]
	s_or_b64 exec, exec, s[0:1]
                                        ; implicit-def: $vgpr30
	s_and_saveexec_b64 s[0:1], s[38:39]
	s_cbranch_execnz .LBB886_222
.LBB886_73:
	s_or_b64 exec, exec, s[0:1]
                                        ; implicit-def: $vgpr31
	s_and_saveexec_b64 s[0:1], s[40:41]
	s_cbranch_execz .LBB886_223
.LBB886_74:
	v_mov_b32_e32 v41, 0
	v_lshl_add_u64 v[32:33], v[18:19], 0, v[40:41]
	flat_load_ushort v31, v[32:33]
	s_or_b64 exec, exec, s[0:1]
                                        ; implicit-def: $vgpr32
	s_and_saveexec_b64 s[0:1], s[42:43]
	s_cbranch_execnz .LBB886_224
.LBB886_75:
	s_or_b64 exec, exec, s[0:1]
                                        ; implicit-def: $vgpr33
	s_and_saveexec_b64 s[0:1], s[44:45]
	s_cbranch_execz .LBB886_225
.LBB886_76:
	v_mov_b32_e32 v47, 0
	v_lshl_add_u64 v[34:35], v[18:19], 0, v[46:47]
	flat_load_ushort v33, v[34:35]
	s_or_b64 exec, exec, s[0:1]
                                        ; implicit-def: $vgpr34
	s_and_saveexec_b64 s[0:1], s[46:47]
	s_cbranch_execnz .LBB886_226
.LBB886_77:
	s_or_b64 exec, exec, s[0:1]
                                        ; implicit-def: $vgpr35
	s_and_saveexec_b64 s[0:1], s[48:49]
	s_cbranch_execz .LBB886_79
.LBB886_78:
	v_mov_b32_e32 v51, 0
	v_lshl_add_u64 v[36:37], v[18:19], 0, v[50:51]
	flat_load_ushort v35, v[36:37]
.LBB886_79:
	s_or_b64 exec, exec, s[0:1]
	v_mul_u32_u24_e32 v28, 24, v0
                                        ; implicit-def: $vgpr36
	s_and_saveexec_b64 s[0:1], s[50:51]
	s_cbranch_execz .LBB886_81
; %bb.80:
	v_mov_b32_e32 v53, 0
	v_lshl_add_u64 v[36:37], v[18:19], 0, v[52:53]
	flat_load_ushort v36, v[36:37]
.LBB886_81:
	s_or_b64 exec, exec, s[0:1]
	s_waitcnt vmcnt(0) lgkmcnt(0)
	ds_write_b16 v42, v1
	ds_write_b16 v42, v56 offset:512
	ds_write_b16 v42, v57 offset:1024
	ds_write_b16 v42, v58 offset:1536
	ds_write_b16 v42, v59 offset:2048
	ds_write_b16 v42, v60 offset:2560
	ds_write_b16 v42, v61 offset:3072
	ds_write_b16 v42, v43 offset:3584
	ds_write_b16 v42, v15 offset:4096
	ds_write_b16 v42, v14 offset:4608
	ds_write_b16 v42, v16 offset:5120
	ds_write_b16 v42, v17 offset:5632
	ds_write_b16 v42, v22 offset:6144
	ds_write_b16 v42, v23 offset:6656
	ds_write_b16 v42, v24 offset:7168
	ds_write_b16 v42, v25 offset:7680
	ds_write_b16 v42, v29 offset:8192
	ds_write_b16 v42, v30 offset:8704
	ds_write_b16 v42, v31 offset:9216
	ds_write_b16 v42, v32 offset:9728
	ds_write_b16 v42, v33 offset:10240
	ds_write_b16 v42, v34 offset:10752
	ds_write_b16 v42, v35 offset:11264
	ds_write_b16 v42, v36 offset:11776
	v_cmp_gt_u32_e32 vcc, s69, v28
	s_mov_b64 s[0:1], 0
	s_mov_b32 s68, 0
	v_mov_b32_e32 v1, 0
	s_mov_b64 s[8:9], 0
	v_mov_b32_e32 v25, 0
	v_mov_b32_e32 v29, 0
	;; [unrolled: 1-line block ×22, first 2 shown]
	s_waitcnt lgkmcnt(0)
	s_barrier
	s_waitcnt lgkmcnt(0)
                                        ; implicit-def: $sgpr6_sgpr7
                                        ; implicit-def: $vgpr47
	s_and_saveexec_b64 s[4:5], vcc
	s_cbranch_execz .LBB886_129
; %bb.82:
	ds_read_u16 v1, v55
	v_mov_b32_e32 v25, 0
	v_mov_b32_e32 v15, s74
	v_cmp_eq_u16_sdwa vcc, v10, v25 src0_sel:WORD_1 src1_sel:DWORD
	v_cmp_ne_u16_sdwa s[6:7], v10, v25 src0_sel:WORD_1 src1_sel:DWORD
	v_or_b32_e32 v14, 1, v28
	s_waitcnt lgkmcnt(0)
	v_cndmask_b32_e32 v1, v15, v1, vcc
	v_and_b32_e32 v1, 0xffff, v1
	v_cndmask_b32_e64 v10, 0, 1, s[6:7]
	v_lshl_or_b32 v1, v10, 16, v1
	v_cmp_gt_u32_e32 vcc, s69, v14
	v_mov_b32_e32 v29, 0
	v_mov_b32_e32 v30, 0
	v_mov_b32_e32 v31, 0
	v_mov_b32_e32 v32, 0
	v_mov_b32_e32 v33, 0
	v_mov_b32_e32 v34, 0
	v_mov_b32_e32 v35, 0
	v_mov_b32_e32 v36, 0
	v_mov_b32_e32 v37, 0
	v_mov_b32_e32 v38, 0
	v_mov_b32_e32 v39, 0
	v_mov_b32_e32 v40, 0
	v_mov_b32_e32 v41, 0
	v_mov_b32_e32 v42, 0
	v_mov_b32_e32 v43, 0
	v_mov_b32_e32 v22, 0
	v_mov_b32_e32 v44, 0
	v_mov_b32_e32 v23, 0
	v_mov_b32_e32 v45, 0
	v_mov_b32_e32 v24, 0
	v_mov_b32_e32 v46, 0
                                        ; implicit-def: $sgpr10_sgpr11
                                        ; implicit-def: $vgpr47
	s_and_saveexec_b64 s[6:7], vcc
	s_cbranch_execz .LBB886_128
; %bb.83:
	ds_read_b128 v[14:17], v55 offset:2
	v_mov_b32_e32 v22, s74
	v_cmp_eq_u16_e32 vcc, 0, v11
	v_or_b32_e32 v10, 2, v28
	s_mov_b64 s[12:13], 0
	s_waitcnt lgkmcnt(0)
	v_cndmask_b32_e32 v22, v22, v14, vcc
	v_cmp_ne_u16_e32 vcc, 0, v11
	v_and_b32_e32 v22, 0xffff, v22
	v_mov_b32_e32 v29, 0
	v_cndmask_b32_e64 v23, 0, 1, vcc
	v_lshl_or_b32 v25, v23, 16, v22
	v_cmp_gt_u32_e32 vcc, s69, v10
	v_mov_b32_e32 v30, 0
	v_mov_b32_e32 v31, 0
	;; [unrolled: 1-line block ×20, first 2 shown]
                                        ; implicit-def: $sgpr10_sgpr11
                                        ; implicit-def: $vgpr47
	s_and_saveexec_b64 s[8:9], vcc
	s_cbranch_execz .LBB886_127
; %bb.84:
	v_mov_b32_e32 v30, 0
	v_lshrrev_b32_e32 v10, 16, v14
	v_mov_b32_e32 v22, s74
	v_cmp_eq_u16_sdwa vcc, v11, v30 src0_sel:WORD_1 src1_sel:DWORD
	v_cmp_ne_u16_sdwa s[10:11], v11, v30 src0_sel:WORD_1 src1_sel:DWORD
	v_or_b32_e32 v14, 3, v28
	v_cndmask_b32_e32 v10, v22, v10, vcc
	v_and_b32_e32 v10, 0xffff, v10
	v_cndmask_b32_e64 v11, 0, 1, s[10:11]
	v_lshl_or_b32 v29, v11, 16, v10
	v_cmp_gt_u32_e32 vcc, s69, v14
	v_mov_b32_e32 v31, 0
	v_mov_b32_e32 v32, 0
	;; [unrolled: 1-line block ×19, first 2 shown]
                                        ; implicit-def: $sgpr14_sgpr15
                                        ; implicit-def: $vgpr47
	s_and_saveexec_b64 s[10:11], vcc
	s_cbranch_execz .LBB886_126
; %bb.85:
	v_mov_b32_e32 v11, s74
	v_cmp_eq_u16_e32 vcc, 0, v12
	v_or_b32_e32 v10, 4, v28
	s_mov_b64 s[16:17], 0
	v_cndmask_b32_e32 v11, v11, v15, vcc
	v_cmp_ne_u16_e32 vcc, 0, v12
	v_and_b32_e32 v11, 0xffff, v11
	v_mov_b32_e32 v31, 0
	v_cndmask_b32_e64 v14, 0, 1, vcc
	v_lshl_or_b32 v30, v14, 16, v11
	v_cmp_gt_u32_e32 vcc, s69, v10
	v_mov_b32_e32 v32, 0
	v_mov_b32_e32 v33, 0
	;; [unrolled: 1-line block ×18, first 2 shown]
                                        ; implicit-def: $sgpr14_sgpr15
                                        ; implicit-def: $vgpr47
	s_and_saveexec_b64 s[12:13], vcc
	s_cbranch_execz .LBB886_125
; %bb.86:
	v_mov_b32_e32 v32, 0
	v_lshrrev_b32_e32 v10, 16, v15
	v_mov_b32_e32 v14, s74
	v_cmp_eq_u16_sdwa vcc, v12, v32 src0_sel:WORD_1 src1_sel:DWORD
	v_cmp_ne_u16_sdwa s[14:15], v12, v32 src0_sel:WORD_1 src1_sel:DWORD
	v_or_b32_e32 v11, 5, v28
	v_cndmask_b32_e32 v10, v14, v10, vcc
	v_and_b32_e32 v10, 0xffff, v10
	v_cndmask_b32_e64 v12, 0, 1, s[14:15]
	v_lshl_or_b32 v31, v12, 16, v10
	v_cmp_gt_u32_e32 vcc, s69, v11
	v_mov_b32_e32 v33, 0
	v_mov_b32_e32 v34, 0
	v_mov_b32_e32 v35, 0
	v_mov_b32_e32 v36, 0
	v_mov_b32_e32 v37, 0
	v_mov_b32_e32 v38, 0
	v_mov_b32_e32 v39, 0
	v_mov_b32_e32 v40, 0
	v_mov_b32_e32 v41, 0
	v_mov_b32_e32 v42, 0
	v_mov_b32_e32 v43, 0
	v_mov_b32_e32 v22, 0
	v_mov_b32_e32 v44, 0
	v_mov_b32_e32 v23, 0
	v_mov_b32_e32 v45, 0
	v_mov_b32_e32 v24, 0
	v_mov_b32_e32 v46, 0
                                        ; implicit-def: $sgpr18_sgpr19
                                        ; implicit-def: $vgpr47
	s_and_saveexec_b64 s[14:15], vcc
	s_cbranch_execz .LBB886_124
; %bb.87:
	v_mov_b32_e32 v11, s74
	v_cmp_eq_u16_e32 vcc, 0, v13
	v_or_b32_e32 v10, 6, v28
	s_mov_b64 s[20:21], 0
	v_cndmask_b32_e32 v11, v11, v16, vcc
	v_cmp_ne_u16_e32 vcc, 0, v13
	v_and_b32_e32 v11, 0xffff, v11
	v_mov_b32_e32 v33, 0
	v_cndmask_b32_e64 v12, 0, 1, vcc
	v_lshl_or_b32 v32, v12, 16, v11
	v_cmp_gt_u32_e32 vcc, s69, v10
	v_mov_b32_e32 v34, 0
	v_mov_b32_e32 v35, 0
	;; [unrolled: 1-line block ×16, first 2 shown]
                                        ; implicit-def: $sgpr18_sgpr19
                                        ; implicit-def: $vgpr47
	s_and_saveexec_b64 s[16:17], vcc
	s_cbranch_execz .LBB886_123
; %bb.88:
	v_mov_b32_e32 v34, 0
	v_lshrrev_b32_e32 v10, 16, v16
	v_mov_b32_e32 v12, s74
	v_cmp_eq_u16_sdwa vcc, v13, v34 src0_sel:WORD_1 src1_sel:DWORD
	v_cmp_ne_u16_sdwa s[18:19], v13, v34 src0_sel:WORD_1 src1_sel:DWORD
	v_or_b32_e32 v11, 7, v28
	v_cndmask_b32_e32 v10, v12, v10, vcc
	v_and_b32_e32 v10, 0xffff, v10
	v_cndmask_b32_e64 v12, 0, 1, s[18:19]
	v_lshl_or_b32 v33, v12, 16, v10
	v_cmp_gt_u32_e32 vcc, s69, v11
	v_mov_b32_e32 v35, 0
	v_mov_b32_e32 v36, 0
	;; [unrolled: 1-line block ×15, first 2 shown]
                                        ; implicit-def: $sgpr22_sgpr23
                                        ; implicit-def: $vgpr47
	s_and_saveexec_b64 s[18:19], vcc
	s_cbranch_execz .LBB886_122
; %bb.89:
	v_mov_b32_e32 v11, s74
	v_cmp_eq_u16_e32 vcc, 0, v6
	v_add_u32_e32 v10, 8, v28
	s_mov_b64 s[24:25], 0
	v_cndmask_b32_e32 v11, v11, v17, vcc
	v_cmp_ne_u16_e32 vcc, 0, v6
	v_and_b32_e32 v11, 0xffff, v11
	v_mov_b32_e32 v35, 0
	v_cndmask_b32_e64 v12, 0, 1, vcc
	v_lshl_or_b32 v34, v12, 16, v11
	v_cmp_gt_u32_e32 vcc, s69, v10
	v_mov_b32_e32 v36, 0
	v_mov_b32_e32 v37, 0
	;; [unrolled: 1-line block ×14, first 2 shown]
                                        ; implicit-def: $sgpr22_sgpr23
                                        ; implicit-def: $vgpr47
	s_and_saveexec_b64 s[20:21], vcc
	s_cbranch_execz .LBB886_121
; %bb.90:
	v_mov_b32_e32 v36, 0
	v_lshrrev_b32_e32 v10, 16, v17
	v_mov_b32_e32 v12, s74
	v_cmp_eq_u16_sdwa vcc, v6, v36 src0_sel:WORD_1 src1_sel:DWORD
	v_cmp_ne_u16_sdwa s[22:23], v6, v36 src0_sel:WORD_1 src1_sel:DWORD
	v_add_u32_e32 v11, 9, v28
	v_cndmask_b32_e32 v10, v12, v10, vcc
	v_and_b32_e32 v10, 0xffff, v10
	v_cndmask_b32_e64 v6, 0, 1, s[22:23]
	v_lshl_or_b32 v35, v6, 16, v10
	v_cmp_gt_u32_e32 vcc, s69, v11
	v_mov_b32_e32 v37, 0
	v_mov_b32_e32 v38, 0
	v_mov_b32_e32 v39, 0
	v_mov_b32_e32 v40, 0
	v_mov_b32_e32 v41, 0
	v_mov_b32_e32 v42, 0
	v_mov_b32_e32 v43, 0
	v_mov_b32_e32 v22, 0
	v_mov_b32_e32 v44, 0
	v_mov_b32_e32 v23, 0
	v_mov_b32_e32 v45, 0
	v_mov_b32_e32 v24, 0
	v_mov_b32_e32 v46, 0
                                        ; implicit-def: $sgpr26_sgpr27
                                        ; implicit-def: $vgpr47
	s_and_saveexec_b64 s[22:23], vcc
	s_cbranch_execz .LBB886_120
; %bb.91:
	ds_read_b128 v[10:13], v55 offset:18
	v_mov_b32_e32 v14, s74
	v_cmp_eq_u16_e32 vcc, 0, v7
	v_add_u32_e32 v6, 10, v28
	s_mov_b64 s[28:29], 0
	s_waitcnt lgkmcnt(0)
	v_cndmask_b32_e32 v14, v14, v10, vcc
	v_cmp_ne_u16_e32 vcc, 0, v7
	v_and_b32_e32 v14, 0xffff, v14
	v_mov_b32_e32 v37, 0
	v_cndmask_b32_e64 v15, 0, 1, vcc
	v_lshl_or_b32 v36, v15, 16, v14
	v_cmp_gt_u32_e32 vcc, s69, v6
	v_mov_b32_e32 v38, 0
	v_mov_b32_e32 v39, 0
	;; [unrolled: 1-line block ×12, first 2 shown]
                                        ; implicit-def: $sgpr26_sgpr27
                                        ; implicit-def: $vgpr47
	s_and_saveexec_b64 s[24:25], vcc
	s_cbranch_execz .LBB886_119
; %bb.92:
	v_mov_b32_e32 v38, 0
	v_lshrrev_b32_e32 v6, 16, v10
	v_mov_b32_e32 v14, s74
	v_cmp_eq_u16_sdwa vcc, v7, v38 src0_sel:WORD_1 src1_sel:DWORD
	v_cmp_ne_u16_sdwa s[26:27], v7, v38 src0_sel:WORD_1 src1_sel:DWORD
	v_add_u32_e32 v10, 11, v28
	v_cndmask_b32_e32 v6, v14, v6, vcc
	v_and_b32_e32 v6, 0xffff, v6
	v_cndmask_b32_e64 v7, 0, 1, s[26:27]
	v_lshl_or_b32 v37, v7, 16, v6
	v_cmp_gt_u32_e32 vcc, s69, v10
	v_mov_b32_e32 v39, 0
	v_mov_b32_e32 v40, 0
	;; [unrolled: 1-line block ×11, first 2 shown]
                                        ; implicit-def: $sgpr30_sgpr31
                                        ; implicit-def: $vgpr47
	s_and_saveexec_b64 s[26:27], vcc
	s_cbranch_execz .LBB886_118
; %bb.93:
	v_mov_b32_e32 v7, s74
	v_cmp_eq_u16_e32 vcc, 0, v8
	v_add_u32_e32 v6, 12, v28
	s_mov_b64 s[34:35], 0
	v_cndmask_b32_e32 v7, v7, v11, vcc
	v_cmp_ne_u16_e32 vcc, 0, v8
	v_and_b32_e32 v7, 0xffff, v7
	v_mov_b32_e32 v39, 0
	v_cndmask_b32_e64 v10, 0, 1, vcc
	v_lshl_or_b32 v38, v10, 16, v7
	v_cmp_gt_u32_e32 vcc, s69, v6
	v_mov_b32_e32 v40, 0
	v_mov_b32_e32 v41, 0
	;; [unrolled: 1-line block ×10, first 2 shown]
                                        ; implicit-def: $sgpr30_sgpr31
                                        ; implicit-def: $vgpr47
	s_and_saveexec_b64 s[28:29], vcc
	s_cbranch_execz .LBB886_117
; %bb.94:
	v_mov_b32_e32 v40, 0
	v_lshrrev_b32_e32 v6, 16, v11
	v_mov_b32_e32 v10, s74
	v_cmp_eq_u16_sdwa vcc, v8, v40 src0_sel:WORD_1 src1_sel:DWORD
	v_cmp_ne_u16_sdwa s[30:31], v8, v40 src0_sel:WORD_1 src1_sel:DWORD
	v_add_u32_e32 v7, 13, v28
	v_cndmask_b32_e32 v6, v10, v6, vcc
	v_and_b32_e32 v6, 0xffff, v6
	v_cndmask_b32_e64 v8, 0, 1, s[30:31]
	v_lshl_or_b32 v39, v8, 16, v6
	v_cmp_gt_u32_e32 vcc, s69, v7
	v_mov_b32_e32 v41, 0
	v_mov_b32_e32 v42, 0
	v_mov_b32_e32 v43, 0
	v_mov_b32_e32 v22, 0
	v_mov_b32_e32 v44, 0
	v_mov_b32_e32 v23, 0
	v_mov_b32_e32 v45, 0
	v_mov_b32_e32 v24, 0
	v_mov_b32_e32 v46, 0
                                        ; implicit-def: $sgpr36_sgpr37
                                        ; implicit-def: $vgpr47
	s_and_saveexec_b64 s[30:31], vcc
	s_cbranch_execz .LBB886_116
; %bb.95:
	v_mov_b32_e32 v7, s74
	v_cmp_eq_u16_e32 vcc, 0, v9
	v_add_u32_e32 v6, 14, v28
	s_mov_b64 s[38:39], 0
	v_cndmask_b32_e32 v7, v7, v12, vcc
	v_cmp_ne_u16_e32 vcc, 0, v9
	v_and_b32_e32 v7, 0xffff, v7
	v_mov_b32_e32 v41, 0
	v_cndmask_b32_e64 v8, 0, 1, vcc
	v_lshl_or_b32 v40, v8, 16, v7
	v_cmp_gt_u32_e32 vcc, s69, v6
	v_mov_b32_e32 v42, 0
	v_mov_b32_e32 v43, 0
	;; [unrolled: 1-line block ×8, first 2 shown]
                                        ; implicit-def: $sgpr36_sgpr37
                                        ; implicit-def: $vgpr47
	s_and_saveexec_b64 s[34:35], vcc
	s_cbranch_execz .LBB886_115
; %bb.96:
	v_mov_b32_e32 v42, 0
	v_lshrrev_b32_e32 v6, 16, v12
	v_mov_b32_e32 v8, s74
	v_cmp_eq_u16_sdwa vcc, v9, v42 src0_sel:WORD_1 src1_sel:DWORD
	v_cmp_ne_u16_sdwa s[36:37], v9, v42 src0_sel:WORD_1 src1_sel:DWORD
	v_add_u32_e32 v7, 15, v28
	v_cndmask_b32_e32 v6, v8, v6, vcc
	v_and_b32_e32 v6, 0xffff, v6
	v_cndmask_b32_e64 v8, 0, 1, s[36:37]
	v_lshl_or_b32 v41, v8, 16, v6
	v_cmp_gt_u32_e32 vcc, s69, v7
	v_mov_b32_e32 v43, 0
	v_mov_b32_e32 v22, 0
	;; [unrolled: 1-line block ×7, first 2 shown]
                                        ; implicit-def: $sgpr40_sgpr41
                                        ; implicit-def: $vgpr47
	s_and_saveexec_b64 s[36:37], vcc
	s_cbranch_execz .LBB886_114
; %bb.97:
	v_mov_b32_e32 v7, s74
	v_cmp_eq_u16_e32 vcc, 0, v2
	v_add_u32_e32 v6, 16, v28
	s_mov_b64 s[42:43], 0
	v_cndmask_b32_e32 v7, v7, v13, vcc
	v_cmp_ne_u16_e32 vcc, 0, v2
	v_and_b32_e32 v7, 0xffff, v7
	v_mov_b32_e32 v43, 0
	v_cndmask_b32_e64 v8, 0, 1, vcc
	v_lshl_or_b32 v42, v8, 16, v7
	v_cmp_gt_u32_e32 vcc, s69, v6
	v_mov_b32_e32 v22, 0
	v_mov_b32_e32 v44, 0
	v_mov_b32_e32 v23, 0
	v_mov_b32_e32 v45, 0
	v_mov_b32_e32 v24, 0
	v_mov_b32_e32 v46, 0
                                        ; implicit-def: $sgpr40_sgpr41
                                        ; implicit-def: $vgpr47
	s_and_saveexec_b64 s[38:39], vcc
	s_cbranch_execz .LBB886_113
; %bb.98:
	v_mov_b32_e32 v22, 0
	v_lshrrev_b32_e32 v6, 16, v13
	v_mov_b32_e32 v8, s74
	v_cmp_eq_u16_sdwa vcc, v2, v22 src0_sel:WORD_1 src1_sel:DWORD
	v_cmp_ne_u16_sdwa s[40:41], v2, v22 src0_sel:WORD_1 src1_sel:DWORD
	v_add_u32_e32 v7, 17, v28
	v_cndmask_b32_e32 v6, v8, v6, vcc
	v_and_b32_e32 v6, 0xffff, v6
	v_cndmask_b32_e64 v2, 0, 1, s[40:41]
	v_lshl_or_b32 v43, v2, 16, v6
	v_cmp_gt_u32_e32 vcc, s69, v7
	v_mov_b32_e32 v44, 0
	v_mov_b32_e32 v23, 0
	v_mov_b32_e32 v45, 0
	v_mov_b32_e32 v24, 0
	v_mov_b32_e32 v46, 0
                                        ; implicit-def: $sgpr44_sgpr45
                                        ; implicit-def: $vgpr47
	s_and_saveexec_b64 s[40:41], vcc
	s_cbranch_execz .LBB886_112
; %bb.99:
	ds_read_b96 v[6:8], v55 offset:34
	v_mov_b32_e32 v9, s74
	v_cmp_eq_u16_e32 vcc, 0, v3
	v_add_u32_e32 v2, 18, v28
	s_mov_b64 s[46:47], 0
	s_waitcnt lgkmcnt(0)
	v_cndmask_b32_e32 v9, v9, v6, vcc
	v_cmp_ne_u16_e32 vcc, 0, v3
	v_and_b32_e32 v9, 0xffff, v9
	v_mov_b32_e32 v44, 0
	v_cndmask_b32_e64 v10, 0, 1, vcc
	v_lshl_or_b32 v22, v10, 16, v9
	v_cmp_gt_u32_e32 vcc, s69, v2
	v_mov_b32_e32 v23, 0
	v_mov_b32_e32 v45, 0
	;; [unrolled: 1-line block ×4, first 2 shown]
                                        ; implicit-def: $sgpr44_sgpr45
                                        ; implicit-def: $vgpr47
	s_and_saveexec_b64 s[42:43], vcc
	s_cbranch_execz .LBB886_111
; %bb.100:
	v_mov_b32_e32 v23, 0
	v_lshrrev_b32_e32 v2, 16, v6
	v_mov_b32_e32 v9, s74
	v_cmp_eq_u16_sdwa vcc, v3, v23 src0_sel:WORD_1 src1_sel:DWORD
	v_cmp_ne_u16_sdwa s[44:45], v3, v23 src0_sel:WORD_1 src1_sel:DWORD
	v_add_u32_e32 v6, 19, v28
	v_cndmask_b32_e32 v2, v9, v2, vcc
	v_and_b32_e32 v2, 0xffff, v2
	v_cndmask_b32_e64 v3, 0, 1, s[44:45]
	v_lshl_or_b32 v44, v3, 16, v2
	v_cmp_gt_u32_e32 vcc, s69, v6
	v_mov_b32_e32 v45, 0
	v_mov_b32_e32 v24, 0
	;; [unrolled: 1-line block ×3, first 2 shown]
                                        ; implicit-def: $sgpr48_sgpr49
                                        ; implicit-def: $vgpr47
	s_and_saveexec_b64 s[44:45], vcc
	s_cbranch_execz .LBB886_110
; %bb.101:
	v_mov_b32_e32 v3, s74
	v_cmp_eq_u16_e32 vcc, 0, v4
	v_add_u32_e32 v2, 20, v28
	s_mov_b64 s[50:51], 0
	v_cndmask_b32_e32 v3, v3, v7, vcc
	v_cmp_ne_u16_e32 vcc, 0, v4
	v_and_b32_e32 v3, 0xffff, v3
	v_mov_b32_e32 v45, 0
	v_cndmask_b32_e64 v6, 0, 1, vcc
	v_lshl_or_b32 v23, v6, 16, v3
	v_cmp_gt_u32_e32 vcc, s69, v2
	v_mov_b32_e32 v24, 0
	v_mov_b32_e32 v46, 0
                                        ; implicit-def: $sgpr48_sgpr49
                                        ; implicit-def: $vgpr47
	s_and_saveexec_b64 s[46:47], vcc
	s_cbranch_execz .LBB886_109
; %bb.102:
	v_mov_b32_e32 v24, 0
	v_lshrrev_b32_e32 v2, 16, v7
	v_mov_b32_e32 v6, s74
	v_cmp_eq_u16_sdwa vcc, v4, v24 src0_sel:WORD_1 src1_sel:DWORD
	v_cmp_ne_u16_sdwa s[48:49], v4, v24 src0_sel:WORD_1 src1_sel:DWORD
	v_add_u32_e32 v3, 21, v28
	v_cndmask_b32_e32 v2, v6, v2, vcc
	v_and_b32_e32 v2, 0xffff, v2
	v_cndmask_b32_e64 v4, 0, 1, s[48:49]
	v_lshl_or_b32 v45, v4, 16, v2
	v_cmp_gt_u32_e32 vcc, s69, v3
	v_mov_b32_e32 v46, 0
                                        ; implicit-def: $sgpr56_sgpr57
                                        ; implicit-def: $vgpr47
	s_and_saveexec_b64 s[48:49], vcc
	s_cbranch_execz .LBB886_108
; %bb.103:
	v_mov_b32_e32 v3, s74
	v_cmp_eq_u16_e32 vcc, 0, v5
	v_add_u32_e32 v2, 22, v28
	s_mov_b64 s[58:59], 0
	v_cndmask_b32_e32 v3, v3, v8, vcc
	v_cmp_ne_u16_e32 vcc, 0, v5
	v_and_b32_e32 v3, 0xffff, v3
	v_mov_b32_e32 v46, 0
	v_cndmask_b32_e64 v4, 0, 1, vcc
	v_lshl_or_b32 v24, v4, 16, v3
	v_cmp_gt_u32_e32 vcc, s69, v2
                                        ; implicit-def: $sgpr60_sgpr61
                                        ; implicit-def: $vgpr47
	s_and_saveexec_b64 s[50:51], vcc
	s_cbranch_execz .LBB886_107
; %bb.104:
	v_mov_b32_e32 v3, 0
	v_lshrrev_b32_e32 v2, 16, v8
	v_mov_b32_e32 v6, s74
	v_cmp_eq_u16_sdwa vcc, v5, v3 src0_sel:WORD_1 src1_sel:DWORD
	v_cmp_ne_u16_sdwa s[56:57], v5, v3 src0_sel:WORD_1 src1_sel:DWORD
	v_add_u32_e32 v4, 23, v28
	v_cndmask_b32_e32 v2, v6, v2, vcc
	v_and_b32_e32 v2, 0xffff, v2
	v_cndmask_b32_e64 v3, 0, 1, s[56:57]
	v_lshl_or_b32 v46, v3, 16, v2
	v_cmp_gt_u32_e32 vcc, s69, v4
	s_mov_b64 s[56:57], 0
                                        ; implicit-def: $sgpr58_sgpr59
                                        ; implicit-def: $vgpr47
	s_and_saveexec_b64 s[60:61], vcc
	s_xor_b64 s[60:61], exec, s[60:61]
	s_cbranch_execz .LBB886_106
; %bb.105:
	ds_read_u16 v2, v55 offset:46
	v_mov_b32_e32 v3, s74
	v_cmp_ne_u16_e32 vcc, 0, v54
	s_mov_b64 s[56:57], exec
	s_and_b64 s[58:59], vcc, exec
	s_waitcnt lgkmcnt(0)
	v_cndmask_b32_e32 v47, v2, v3, vcc
.LBB886_106:
	s_or_b64 exec, exec, s[60:61]
	s_and_b64 s[60:61], s[58:59], exec
	s_and_b64 s[58:59], s[56:57], exec
.LBB886_107:
	s_or_b64 exec, exec, s[50:51]
	s_and_b64 s[56:57], s[60:61], exec
	s_and_b64 s[50:51], s[58:59], exec
.LBB886_108:
	s_or_b64 exec, exec, s[48:49]
	s_and_b64 s[48:49], s[56:57], exec
	s_and_b64 s[50:51], s[50:51], exec
.LBB886_109:
	s_or_b64 exec, exec, s[46:47]
	s_and_b64 s[48:49], s[48:49], exec
	s_and_b64 s[46:47], s[50:51], exec
.LBB886_110:
	s_or_b64 exec, exec, s[44:45]
	s_and_b64 s[44:45], s[48:49], exec
	s_and_b64 s[46:47], s[46:47], exec
.LBB886_111:
	s_or_b64 exec, exec, s[42:43]
	s_and_b64 s[44:45], s[44:45], exec
	s_and_b64 s[42:43], s[46:47], exec
.LBB886_112:
	s_or_b64 exec, exec, s[40:41]
	s_and_b64 s[40:41], s[44:45], exec
	s_and_b64 s[42:43], s[42:43], exec
.LBB886_113:
	s_or_b64 exec, exec, s[38:39]
	s_and_b64 s[40:41], s[40:41], exec
	s_and_b64 s[38:39], s[42:43], exec
.LBB886_114:
	s_or_b64 exec, exec, s[36:37]
	s_and_b64 s[36:37], s[40:41], exec
	s_and_b64 s[38:39], s[38:39], exec
.LBB886_115:
	s_or_b64 exec, exec, s[34:35]
	s_and_b64 s[36:37], s[36:37], exec
	s_and_b64 s[34:35], s[38:39], exec
.LBB886_116:
	s_or_b64 exec, exec, s[30:31]
	s_and_b64 s[30:31], s[36:37], exec
	s_and_b64 s[34:35], s[34:35], exec
.LBB886_117:
	s_or_b64 exec, exec, s[28:29]
	s_and_b64 s[30:31], s[30:31], exec
	s_and_b64 s[28:29], s[34:35], exec
.LBB886_118:
	s_or_b64 exec, exec, s[26:27]
	s_and_b64 s[26:27], s[30:31], exec
	s_and_b64 s[28:29], s[28:29], exec
.LBB886_119:
	s_or_b64 exec, exec, s[24:25]
	s_and_b64 s[26:27], s[26:27], exec
	s_and_b64 s[24:25], s[28:29], exec
.LBB886_120:
	s_or_b64 exec, exec, s[22:23]
	s_and_b64 s[22:23], s[26:27], exec
	s_and_b64 s[24:25], s[24:25], exec
.LBB886_121:
	s_or_b64 exec, exec, s[20:21]
	s_and_b64 s[22:23], s[22:23], exec
	s_and_b64 s[20:21], s[24:25], exec
.LBB886_122:
	s_or_b64 exec, exec, s[18:19]
	s_and_b64 s[18:19], s[22:23], exec
	s_and_b64 s[20:21], s[20:21], exec
.LBB886_123:
	s_or_b64 exec, exec, s[16:17]
	s_and_b64 s[18:19], s[18:19], exec
	s_and_b64 s[16:17], s[20:21], exec
.LBB886_124:
	s_or_b64 exec, exec, s[14:15]
	s_and_b64 s[14:15], s[18:19], exec
	s_and_b64 s[16:17], s[16:17], exec
.LBB886_125:
	s_or_b64 exec, exec, s[12:13]
	s_and_b64 s[14:15], s[14:15], exec
	s_and_b64 s[12:13], s[16:17], exec
.LBB886_126:
	s_or_b64 exec, exec, s[10:11]
	s_and_b64 s[10:11], s[14:15], exec
	s_and_b64 s[12:13], s[12:13], exec
.LBB886_127:
	s_or_b64 exec, exec, s[8:9]
	s_and_b64 s[10:11], s[10:11], exec
	s_and_b64 s[8:9], s[12:13], exec
.LBB886_128:
	s_or_b64 exec, exec, s[6:7]
	s_and_b64 s[6:7], s[10:11], exec
	s_and_b64 s[8:9], s[8:9], exec
.LBB886_129:
	s_or_b64 exec, exec, s[4:5]
	s_and_b64 vcc, exec, s[0:1]
	v_lshlrev_b32_e32 v28, 1, v0
	s_cbranch_vccnz .LBB886_131
	s_branch .LBB886_136
.LBB886_130:
	s_mov_b64 s[8:9], 0
                                        ; implicit-def: $sgpr6_sgpr7
                                        ; implicit-def: $vgpr47
                                        ; implicit-def: $vgpr1
                                        ; implicit-def: $vgpr25
                                        ; implicit-def: $vgpr29
                                        ; implicit-def: $vgpr30
                                        ; implicit-def: $vgpr31
                                        ; implicit-def: $vgpr32
                                        ; implicit-def: $vgpr33
                                        ; implicit-def: $vgpr34
                                        ; implicit-def: $vgpr35
                                        ; implicit-def: $vgpr36
                                        ; implicit-def: $vgpr37
                                        ; implicit-def: $vgpr38
                                        ; implicit-def: $vgpr39
                                        ; implicit-def: $vgpr40
                                        ; implicit-def: $vgpr41
                                        ; implicit-def: $vgpr42
                                        ; implicit-def: $vgpr43
                                        ; implicit-def: $vgpr22
                                        ; implicit-def: $vgpr44
                                        ; implicit-def: $vgpr23
                                        ; implicit-def: $vgpr45
                                        ; implicit-def: $vgpr24
                                        ; implicit-def: $vgpr46
                                        ; implicit-def: $sgpr68
	s_and_b64 vcc, exec, s[0:1]
	v_lshlrev_b32_e32 v28, 1, v0
	s_cbranch_vccz .LBB886_136
.LBB886_131:
	v_mov_b32_e32 v29, 0
	v_lshl_add_u64 v[2:3], v[20:21], 0, v[28:29]
	v_add_co_u32_e32 v4, vcc, 0x1000, v2
	flat_load_ushort v1, v[2:3]
	flat_load_ushort v6, v[2:3] offset:512
	flat_load_ushort v7, v[2:3] offset:1024
	;; [unrolled: 1-line block ×7, first 2 shown]
	v_addc_co_u32_e32 v5, vcc, 0, v3, vcc
	v_add_co_u32_e32 v2, vcc, 0x2000, v2
	flat_load_ushort v13, v[4:5]
	flat_load_ushort v14, v[4:5] offset:512
	flat_load_ushort v15, v[4:5] offset:1024
	;; [unrolled: 1-line block ×7, first 2 shown]
	v_addc_co_u32_e32 v3, vcc, 0, v3, vcc
	flat_load_ushort v4, v[2:3]
	flat_load_ushort v5, v[2:3] offset:512
	flat_load_ushort v25, v[2:3] offset:1024
	flat_load_ushort v30, v[2:3] offset:1536
	flat_load_ushort v31, v[2:3] offset:2048
	flat_load_ushort v32, v[2:3] offset:2560
	flat_load_ushort v33, v[2:3] offset:3072
	flat_load_ushort v34, v[2:3] offset:3584
	v_add_co_u32_e32 v2, vcc, 0x3000, v20
	s_movk_i32 s0, 0xffd2
	s_nop 0
	v_addc_co_u32_e32 v3, vcc, 0, v21, vcc
	s_movk_i32 s5, 0x1000
	s_movk_i32 s4, 0x2000
	s_waitcnt vmcnt(0) lgkmcnt(0)
	ds_write_b16 v28, v1
	ds_write_b16 v28, v6 offset:512
	ds_write_b16 v28, v7 offset:1024
	;; [unrolled: 1-line block ×23, first 2 shown]
	s_waitcnt lgkmcnt(0)
	s_barrier
	flat_load_ushort v47, v[2:3]
	v_mad_u32_u24 v1, v0, 46, v28
	ds_read_b128 v[10:13], v1
	ds_read_b128 v[6:9], v1 offset:16
	ds_read_b128 v[2:5], v1 offset:32
	v_mad_i32_i24 v14, v0, s0, v1
	s_movk_i32 s0, 0xff
	v_cmp_ne_u32_e32 vcc, s0, v0
	s_waitcnt lgkmcnt(0)
	ds_write_b16 v14, v10 offset:12800
	s_waitcnt lgkmcnt(0)
	s_barrier
	s_and_saveexec_b64 s[0:1], vcc
	s_cbranch_execz .LBB886_133
; %bb.132:
	s_waitcnt vmcnt(0)
	ds_read_u16 v47, v28 offset:12802
.LBB886_133:
	s_or_b64 exec, exec, s[0:1]
	v_lshl_add_u64 v[14:15], v[18:19], 0, v[28:29]
	v_add_co_u32_e32 v16, vcc, s5, v14
	s_waitcnt lgkmcnt(0)
	s_nop 0
	v_addc_co_u32_e32 v17, vcc, 0, v15, vcc
	s_barrier
	flat_load_ushort v18, v[14:15]
	flat_load_ushort v19, v[14:15] offset:512
	flat_load_ushort v20, v[14:15] offset:1024
	;; [unrolled: 1-line block ×7, first 2 shown]
	v_add_co_u32_e32 v14, vcc, s4, v14
	flat_load_ushort v30, v[16:17]
	flat_load_ushort v31, v[16:17] offset:512
	flat_load_ushort v32, v[16:17] offset:1024
	;; [unrolled: 1-line block ×7, first 2 shown]
	v_addc_co_u32_e32 v15, vcc, 0, v15, vcc
	flat_load_ushort v16, v[14:15]
	flat_load_ushort v17, v[14:15] offset:512
	flat_load_ushort v38, v[14:15] offset:1024
	;; [unrolled: 1-line block ×7, first 2 shown]
	v_cmp_eq_u16_sdwa s[4:5], v10, v29 src0_sel:WORD_1 src1_sel:DWORD
	v_mov_b32_e32 v10, 0x10000
	s_waitcnt vmcnt(0) lgkmcnt(0)
	ds_write_b16 v28, v18
	ds_write_b16 v28, v19 offset:512
	ds_write_b16 v28, v20 offset:1024
	;; [unrolled: 1-line block ×23, first 2 shown]
	s_waitcnt lgkmcnt(0)
	s_barrier
	ds_read_b128 v[18:21], v1 offset:2
	ds_read_b128 v[14:17], v1 offset:18
	ds_read_b96 v[22:24], v1 offset:34
	ds_read_u16 v48, v1 offset:46
	v_mov_b32_e32 v25, s74
	s_and_saveexec_b64 s[0:1], s[4:5]
	s_cbranch_execz .LBB886_135
; %bb.134:
	ds_read_u16 v25, v1
	v_mov_b32_e32 v10, v29
.LBB886_135:
	s_or_b64 exec, exec, s[0:1]
	s_waitcnt lgkmcnt(0)
	v_or_b32_sdwa v1, v10, v25 dst_sel:DWORD dst_unused:UNUSED_PAD src0_sel:DWORD src1_sel:WORD_0
	v_mov_b32_e32 v10, s74
	v_cmp_eq_u16_e32 vcc, 0, v11
	v_lshrrev_b32_e32 v29, 16, v18
	v_mov_b32_e32 v49, 0
	v_cndmask_b32_e32 v18, v10, v18, vcc
	v_cmp_ne_u16_e32 vcc, 0, v11
	v_and_b32_e32 v18, 0xffff, v18
	v_cmp_ne_u16_sdwa s[0:1], v11, v49 src0_sel:WORD_1 src1_sel:DWORD
	v_cndmask_b32_e64 v25, 0, 1, vcc
	v_cmp_eq_u16_sdwa vcc, v11, v49 src0_sel:WORD_1 src1_sel:DWORD
	v_lshl_or_b32 v25, v25, 16, v18
	v_cndmask_b32_e64 v11, 0, 1, s[0:1]
	v_cndmask_b32_e32 v18, v10, v29, vcc
	v_and_b32_e32 v18, 0xffff, v18
	v_cmp_eq_u16_e32 vcc, 0, v12
	v_lshl_or_b32 v29, v11, 16, v18
	v_lshrrev_b32_e32 v31, 16, v19
	v_cndmask_b32_e32 v11, v10, v19, vcc
	v_cmp_ne_u16_e32 vcc, 0, v12
	v_and_b32_e32 v11, 0xffff, v11
	v_cmp_ne_u16_sdwa s[0:1], v12, v49 src0_sel:WORD_1 src1_sel:DWORD
	v_cndmask_b32_e64 v18, 0, 1, vcc
	v_cmp_eq_u16_sdwa vcc, v12, v49 src0_sel:WORD_1 src1_sel:DWORD
	v_lshl_or_b32 v30, v18, 16, v11
	v_cndmask_b32_e64 v12, 0, 1, s[0:1]
	v_cndmask_b32_e32 v11, v10, v31, vcc
	v_and_b32_e32 v11, 0xffff, v11
	v_cmp_eq_u16_e32 vcc, 0, v13
	v_lshl_or_b32 v31, v12, 16, v11
	v_lshrrev_b32_e32 v33, 16, v20
	;; [unrolled: 13-line block ×10, first 2 shown]
	v_cndmask_b32_e32 v2, v10, v24, vcc
	v_cmp_ne_u16_e32 vcc, 0, v5
	v_and_b32_e32 v2, 0xffff, v2
	v_cmp_ne_u16_sdwa s[0:1], v5, v49 src0_sel:WORD_1 src1_sel:DWORD
	v_cndmask_b32_e64 v3, 0, 1, vcc
	v_cmp_eq_u16_sdwa vcc, v5, v49 src0_sel:WORD_1 src1_sel:DWORD
	v_lshl_or_b32 v24, v3, 16, v2
	v_cndmask_b32_e64 v3, 0, 1, s[0:1]
	v_cndmask_b32_e32 v2, v10, v46, vcc
	v_and_b32_e32 v2, 0xffff, v2
	v_cmp_ne_u16_e64 s[6:7], 0, v47
	v_lshl_or_b32 v46, v3, 16, v2
	s_mov_b64 s[8:9], -1
	v_cndmask_b32_e64 v47, v48, v10, s[6:7]
                                        ; implicit-def: $sgpr68
.LBB886_136:
	v_mov_b32_e32 v12, s68
	s_and_saveexec_b64 s[0:1], s[8:9]
; %bb.137:
	v_mov_b32_e32 v2, 0x10000
	v_cndmask_b32_e64 v2, 0, v2, s[6:7]
	v_or_b32_sdwa v12, v2, v47 dst_sel:DWORD dst_unused:UNUSED_PAD src0_sel:DWORD src1_sel:WORD_0
; %bb.138:
	s_or_b64 exec, exec, s[0:1]
	v_or3_b32 v2, v12, v46, v24
	s_cmp_lg_u32 s67, 0
	v_or3_b32 v14, v2, v45, v23
	v_mbcnt_lo_u32_b32 v13, -1, 0
	s_barrier
	s_cbranch_scc0 .LBB886_227
; %bb.139:
	s_mov_b32 s0, 0x10000
	v_cmp_gt_u32_e64 s[4:5], s0, v25
	v_cmp_gt_u32_e64 s[6:7], s0, v29
	v_cmp_gt_u32_e64 s[8:9], s0, v30
	v_cndmask_b32_e64 v2, 0, v1, s[4:5]
	v_add_u16_e32 v2, v2, v25
	v_cndmask_b32_e64 v2, 0, v2, s[6:7]
	v_add_u16_e32 v2, v2, v29
	v_cndmask_b32_e64 v2, 0, v2, s[8:9]
	v_add_u16_e32 v2, v2, v30
	v_cmp_gt_u32_e64 s[10:11], s0, v31
	v_cmp_gt_u32_e64 s[12:13], s0, v32
	v_cmp_gt_u32_e64 s[14:15], s0, v33
	v_cndmask_b32_e64 v2, 0, v2, s[10:11]
	v_add_u16_e32 v2, v2, v31
	v_cndmask_b32_e64 v2, 0, v2, s[12:13]
	v_add_u16_e32 v2, v2, v32
	v_cndmask_b32_e64 v2, 0, v2, s[14:15]
	v_add_u16_e32 v2, v2, v33
	;; [unrolled: 9-line block ×5, first 2 shown]
	v_cmp_gt_u32_e64 s[36:37], s0, v43
	v_cmp_gt_u32_e64 s[38:39], s0, v22
	;; [unrolled: 1-line block ×3, first 2 shown]
	v_cndmask_b32_e64 v2, 0, v2, s[36:37]
	v_add_u16_e32 v2, v2, v43
	v_cndmask_b32_e64 v2, 0, v2, s[38:39]
	v_add_u16_e32 v2, v2, v22
	v_cndmask_b32_e64 v2, 0, v2, s[40:41]
	v_or3_b32 v5, v14, v44, v22
	v_add_u16_e32 v2, v2, v44
	v_cmp_gt_u32_e64 s[42:43], s0, v23
	v_or3_b32 v5, v5, v43, v42
	v_or3_b32 v5, v5, v41, v40
	v_cndmask_b32_e64 v2, 0, v2, s[42:43]
	v_add_u16_e32 v2, v2, v23
	v_cmp_gt_u32_e64 s[44:45], s0, v45
	v_or3_b32 v5, v5, v39, v38
	v_or3_b32 v5, v5, v37, v36
	v_cndmask_b32_e64 v2, 0, v2, s[44:45]
	;; [unrolled: 5-line block ×4, first 2 shown]
	v_add_u16_e32 v2, v2, v46
	v_cmp_gt_u32_e32 vcc, s0, v12
	v_and_b32_e32 v5, 0x10000, v5
	v_and_b32_e32 v3, 0x10000, v1
	v_cndmask_b32_e32 v4, 0, v2, vcc
	v_mov_b32_e32 v6, 0x10000
	v_cmp_ne_u32_e32 vcc, 0, v5
	v_add_u16_e32 v2, v4, v12
	v_add_u16_e32 v4, v4, v12
	v_cndmask_b32_e32 v6, v3, v6, vcc
	v_mbcnt_hi_u32_b32 v5, -1, v13
	v_and_b32_e32 v7, 15, v5
	v_or_b32_e32 v4, v6, v4
	v_lshrrev_b32_e32 v3, 16, v6
	v_cmp_ne_u32_e32 vcc, 0, v7
	v_mov_b32_dpp v8, v4 row_shr:1 row_mask:0xf bank_mask:0xf
	s_and_saveexec_b64 s[0:1], vcc
	s_cbranch_execz .LBB886_141
; %bb.140:
	v_cmp_eq_u32_e32 vcc, 0, v6
	v_and_b32_e32 v3, 0x10000, v6
	v_mov_b32_e32 v6, 1
	v_cndmask_b32_e32 v4, 0, v8, vcc
	v_and_b32_sdwa v6, v8, v6 dst_sel:DWORD dst_unused:UNUSED_PAD src0_sel:WORD_1 src1_sel:DWORD
	v_cmp_ne_u32_e32 vcc, 0, v3
	v_add_u16_e32 v9, v4, v2
	v_add_u16_e32 v2, v4, v2
	v_cndmask_b32_e64 v3, v6, 1, vcc
	v_lshlrev_b32_e32 v6, 16, v3
	v_or_b32_e32 v4, v6, v2
	v_mov_b32_e32 v2, v9
.LBB886_141:
	s_or_b64 exec, exec, s[0:1]
	v_lshrrev_b32_e32 v6, 16, v4
	v_mov_b32_dpp v8, v4 row_shr:2 row_mask:0xf bank_mask:0xf
	v_cmp_lt_u32_e32 vcc, 1, v7
	s_and_saveexec_b64 s[0:1], vcc
	s_cbranch_execz .LBB886_143
; %bb.142:
	s_mov_b32 s50, 0x10000
	v_cmp_gt_u32_e32 vcc, s50, v4
	v_and_b32_e32 v3, 0x10000, v4
	v_mov_b32_e32 v4, 1
	v_cndmask_b32_e32 v6, 0, v8, vcc
	v_and_b32_sdwa v4, v8, v4 dst_sel:DWORD dst_unused:UNUSED_PAD src0_sel:WORD_1 src1_sel:DWORD
	v_cmp_ne_u32_e32 vcc, 0, v3
	v_add_u16_e32 v9, v6, v2
	v_add_u16_e32 v2, v6, v2
	v_cndmask_b32_e64 v3, v4, 1, vcc
	v_lshlrev_b32_e32 v4, 16, v3
	v_or_b32_e32 v4, v4, v2
	v_mov_b32_e32 v6, v3
	v_mov_b32_e32 v2, v9
.LBB886_143:
	s_or_b64 exec, exec, s[0:1]
	v_mov_b32_dpp v8, v4 row_shr:4 row_mask:0xf bank_mask:0xf
	v_cmp_lt_u32_e32 vcc, 3, v7
	s_and_saveexec_b64 s[0:1], vcc
	s_cbranch_execz .LBB886_145
; %bb.144:
	v_cmp_eq_u16_e32 vcc, 0, v6
	v_and_b32_e32 v3, 1, v6
	v_mov_b32_e32 v6, 1
	v_cndmask_b32_e32 v4, 0, v8, vcc
	v_and_b32_sdwa v6, v8, v6 dst_sel:DWORD dst_unused:UNUSED_PAD src0_sel:WORD_1 src1_sel:DWORD
	v_cmp_eq_u32_e32 vcc, 1, v3
	v_add_u16_e32 v9, v4, v2
	v_add_u16_e32 v2, v4, v2
	v_cndmask_b32_e64 v3, v6, 1, vcc
	v_lshlrev_b32_e32 v6, 16, v3
	v_or_b32_e32 v4, v6, v2
	v_mov_b32_e32 v6, v3
	v_mov_b32_e32 v2, v9
.LBB886_145:
	s_or_b64 exec, exec, s[0:1]
	v_mov_b32_dpp v8, v4 row_shr:8 row_mask:0xf bank_mask:0xf
	v_cmp_lt_u32_e32 vcc, 7, v7
	s_and_saveexec_b64 s[0:1], vcc
	s_cbranch_execz .LBB886_147
; %bb.146:
	v_cmp_eq_u16_e32 vcc, 0, v6
	v_and_b32_e32 v3, 1, v6
	v_mov_b32_e32 v6, 1
	v_cndmask_b32_e32 v4, 0, v8, vcc
	v_and_b32_sdwa v6, v8, v6 dst_sel:DWORD dst_unused:UNUSED_PAD src0_sel:WORD_1 src1_sel:DWORD
	v_cmp_eq_u32_e32 vcc, 1, v3
	v_add_u16_e32 v7, v4, v2
	v_add_u16_e32 v2, v4, v2
	v_cndmask_b32_e64 v3, v6, 1, vcc
	v_lshlrev_b32_e32 v6, 16, v3
	v_or_b32_e32 v4, v6, v2
	v_mov_b32_e32 v6, v3
	v_mov_b32_e32 v2, v7
.LBB886_147:
	s_or_b64 exec, exec, s[0:1]
	v_and_b32_e32 v8, 16, v5
	v_mov_b32_dpp v7, v4 row_bcast:15 row_mask:0xf bank_mask:0xf
	v_cmp_ne_u32_e32 vcc, 0, v8
	s_and_saveexec_b64 s[0:1], vcc
	s_cbranch_execz .LBB886_149
; %bb.148:
	v_cmp_eq_u16_e32 vcc, 0, v6
	v_and_b32_e32 v3, 1, v6
	v_mov_b32_e32 v6, 1
	v_cndmask_b32_e32 v4, 0, v7, vcc
	v_and_b32_sdwa v6, v7, v6 dst_sel:DWORD dst_unused:UNUSED_PAD src0_sel:WORD_1 src1_sel:DWORD
	v_cmp_eq_u32_e32 vcc, 1, v3
	v_add_u16_e32 v8, v4, v2
	v_add_u16_e32 v2, v4, v2
	v_cndmask_b32_e64 v3, v6, 1, vcc
	v_lshlrev_b32_e32 v6, 16, v3
	v_or_b32_e32 v4, v6, v2
	v_mov_b32_e32 v6, v3
	v_mov_b32_e32 v2, v8
.LBB886_149:
	s_or_b64 exec, exec, s[0:1]
	v_mov_b32_dpp v4, v4 row_bcast:31 row_mask:0xf bank_mask:0xf
	v_cmp_lt_u32_e32 vcc, 31, v5
	s_and_saveexec_b64 s[0:1], vcc
; %bb.150:
	v_cmp_eq_u16_e32 vcc, 0, v6
	s_nop 1
	v_cndmask_b32_e32 v3, 0, v4, vcc
	v_add_u16_e32 v2, v3, v2
	v_and_b32_e32 v3, 1, v6
	v_mov_b32_e32 v6, 1
	v_and_b32_sdwa v4, v4, v6 dst_sel:DWORD dst_unused:UNUSED_PAD src0_sel:WORD_1 src1_sel:DWORD
	v_cmp_eq_u32_e32 vcc, 1, v3
	s_nop 1
	v_cndmask_b32_e64 v3, v4, 1, vcc
; %bb.151:
	s_or_b64 exec, exec, s[0:1]
	v_or_b32_e32 v6, 63, v0
	v_lshrrev_b32_e32 v4, 6, v0
	v_cmp_eq_u32_e32 vcc, v6, v0
	s_and_saveexec_b64 s[0:1], vcc
	s_cbranch_execz .LBB886_153
; %bb.152:
	v_lshlrev_b32_e32 v6, 2, v4
	ds_write_b16 v6, v2
	ds_write_b8 v6, v3 offset:2
.LBB886_153:
	s_or_b64 exec, exec, s[0:1]
	v_cmp_gt_u32_e32 vcc, 4, v0
	s_waitcnt lgkmcnt(0)
	s_barrier
	s_and_saveexec_b64 s[0:1], vcc
	s_cbranch_execz .LBB886_159
; %bb.154:
	v_lshlrev_b32_e32 v6, 2, v0
	ds_read_b32 v7, v6
	v_and_b32_e32 v10, 3, v5
	v_cmp_ne_u32_e32 vcc, 0, v10
	s_waitcnt lgkmcnt(0)
	v_lshrrev_b32_e32 v9, 16, v7
	v_mov_b32_dpp v11, v7 row_shr:1 row_mask:0xf bank_mask:0xf
	v_mov_b32_e32 v8, v7
	s_and_saveexec_b64 s[50:51], vcc
	s_cbranch_execz .LBB886_156
; %bb.155:
	v_mov_b32_e32 v8, 0
	v_cmp_eq_u16_sdwa vcc, v9, v8 src0_sel:BYTE_0 src1_sel:DWORD
	v_and_b32_e32 v9, 0x10000, v7
	v_mov_b32_e32 v17, 1
	v_cndmask_b32_e32 v16, 0, v11, vcc
	v_and_b32_sdwa v11, v11, v17 dst_sel:DWORD dst_unused:UNUSED_PAD src0_sel:WORD_1 src1_sel:DWORD
	v_cmp_ne_u32_e32 vcc, 0, v9
	v_and_b32_e32 v15, 0xff000000, v7
	v_add_u16_e32 v8, v16, v7
	v_cndmask_b32_e64 v9, v11, 1, vcc
	v_lshlrev_b32_e32 v11, 16, v9
	v_add_u16_e32 v7, v16, v7
	v_or3_b32 v7, v11, v15, v7
.LBB886_156:
	s_or_b64 exec, exec, s[50:51]
	s_nop 0
	v_mov_b32_dpp v11, v7 row_shr:2 row_mask:0xf bank_mask:0xf
	v_cmp_lt_u32_e32 vcc, 1, v10
	s_and_saveexec_b64 s[50:51], vcc
; %bb.157:
	v_and_b32_e32 v9, 0xff0000, v7
	v_cmp_eq_u32_e32 vcc, 0, v9
	v_and_b32_e32 v7, 0x10000, v7
	s_nop 0
	v_cndmask_b32_e32 v9, 0, v11, vcc
	v_add_u16_e32 v8, v9, v8
	v_mov_b32_e32 v9, 1
	v_and_b32_sdwa v9, v11, v9 dst_sel:DWORD dst_unused:UNUSED_PAD src0_sel:WORD_1 src1_sel:DWORD
	v_cmp_eq_u32_e32 vcc, 0, v7
	s_nop 1
	v_cndmask_b32_e32 v9, 1, v9, vcc
; %bb.158:
	s_or_b64 exec, exec, s[50:51]
	ds_write_b16 v6, v8
	ds_write_b8 v6, v9 offset:2
.LBB886_159:
	s_or_b64 exec, exec, s[0:1]
	v_cmp_gt_u32_e32 vcc, 64, v0
	v_cmp_lt_u32_e64 s[0:1], 63, v0
	v_mov_b32_e32 v15, 0
	v_mov_b32_e32 v16, 0
	s_waitcnt lgkmcnt(0)
	s_barrier
	s_and_saveexec_b64 s[50:51], s[0:1]
	s_cbranch_execz .LBB886_161
; %bb.160:
	v_lshl_add_u32 v4, v4, 2, -4
	ds_read_u16 v15, v4
	ds_read_u8 v16, v4 offset:2
	v_and_b32_e32 v6, 1, v3
	v_cmp_eq_u16_e64 s[0:1], 0, v3
	s_waitcnt lgkmcnt(1)
	s_nop 0
	v_cndmask_b32_e64 v3, 0, v15, s[0:1]
	v_cmp_eq_u32_e64 s[0:1], 1, v6
	v_add_u16_e32 v2, v3, v2
	s_waitcnt lgkmcnt(0)
	v_cndmask_b32_e64 v3, v16, 1, s[0:1]
.LBB886_161:
	s_or_b64 exec, exec, s[50:51]
	v_and_b32_e32 v3, 0xff, v3
	v_and_b32_e32 v2, 0xffff, v2
	v_lshl_or_b32 v2, v3, 16, v2
	v_add_u32_e32 v3, -1, v5
	v_and_b32_e32 v4, 64, v5
	v_cmp_lt_i32_e64 s[0:1], v3, v4
	v_cmp_eq_u32_e64 s[50:51], 0, v5
	s_nop 0
	v_cndmask_b32_e64 v3, v3, v5, s[0:1]
	v_lshlrev_b32_e32 v3, 2, v3
	ds_bpermute_b32 v17, v3, v2
	s_and_saveexec_b64 s[0:1], vcc
	s_cbranch_execz .LBB886_204
; %bb.162:
	v_mov_b32_e32 v9, 0
	ds_read_b32 v2, v9 offset:12
	s_and_saveexec_b64 s[56:57], s[50:51]
	s_cbranch_execz .LBB886_164
; %bb.163:
	s_add_i32 s58, s67, 64
	s_mov_b32 s59, 0
	s_lshl_b64 s[58:59], s[58:59], 3
	s_add_u32 s58, s64, s58
	v_mov_b32_e32 v3, 1
	s_addc_u32 s59, s65, s59
	s_waitcnt lgkmcnt(0)
	global_store_dwordx2 v9, v[2:3], s[58:59] sc1
.LBB886_164:
	s_or_b64 exec, exec, s[56:57]
	v_xad_u32 v4, v5, -1, s67
	v_add_u32_e32 v8, 64, v4
	v_lshl_add_u64 v[10:11], v[8:9], 3, s[64:65]
	global_load_dwordx2 v[6:7], v[10:11], off sc1
	s_waitcnt vmcnt(0)
	v_cmp_eq_u16_sdwa s[58:59], v7, v9 src0_sel:BYTE_0 src1_sel:DWORD
	s_and_saveexec_b64 s[56:57], s[58:59]
	s_cbranch_execz .LBB886_168
; %bb.165:
	s_mov_b64 s[58:59], 0
	v_mov_b32_e32 v3, 0
.LBB886_166:                            ; =>This Inner Loop Header: Depth=1
	global_load_dwordx2 v[6:7], v[10:11], off sc1
	s_waitcnt vmcnt(0)
	v_cmp_ne_u16_sdwa s[60:61], v7, v3 src0_sel:BYTE_0 src1_sel:DWORD
	s_or_b64 s[58:59], s[60:61], s[58:59]
	s_andn2_b64 exec, exec, s[58:59]
	s_cbranch_execnz .LBB886_166
; %bb.167:
	s_or_b64 exec, exec, s[58:59]
.LBB886_168:
	s_or_b64 exec, exec, s[56:57]
	v_mov_b32_e32 v3, 2
	v_cmp_eq_u16_sdwa s[56:57], v7, v3 src0_sel:BYTE_0 src1_sel:DWORD
	v_lshlrev_b64 v[8:9], v5, -1
	v_and_b32_e32 v54, 0xffffff, v6
	v_and_b32_e32 v3, s57, v9
	v_or_b32_e32 v3, 0x80000000, v3
	v_ffbl_b32_e32 v3, v3
	v_add_u32_e32 v11, 32, v3
	v_and_b32_e32 v3, 63, v5
	v_cmp_ne_u32_e32 vcc, 63, v3
	v_and_b32_e32 v10, s56, v8
	v_ffbl_b32_e32 v10, v10
	v_addc_co_u32_e32 v18, vcc, 0, v5, vcc
	v_lshlrev_b32_e32 v18, 2, v18
	ds_bpermute_b32 v19, v18, v54
	v_min_u32_e32 v11, v10, v11
	v_lshrrev_b32_e32 v10, 16, v6
	v_cmp_lt_u32_e32 vcc, v3, v11
	v_bfe_u32 v52, v6, 16, 8
	s_and_saveexec_b64 s[56:57], vcc
	s_cbranch_execz .LBB886_170
; %bb.169:
	v_and_b32_e32 v10, 0xff0000, v6
	v_cmp_eq_u32_e32 vcc, 0, v10
	v_and_b32_e32 v10, 0x10000, v10
	v_mov_b32_e32 v47, 1
	s_waitcnt lgkmcnt(0)
	v_cndmask_b32_e32 v20, 0, v19, vcc
	v_and_b32_sdwa v19, v19, v47 dst_sel:DWORD dst_unused:UNUSED_PAD src0_sel:WORD_1 src1_sel:DWORD
	v_cmp_ne_u32_e32 vcc, 0, v10
	v_add_u16_e32 v21, v20, v6
	v_add_u16_e32 v6, v20, v6
	v_cndmask_b32_e64 v10, v19, 1, vcc
	v_lshlrev_b32_e32 v19, 16, v10
	v_or_b32_e32 v54, v19, v6
	v_mov_b32_e32 v6, v21
	v_mov_b32_e32 v52, v10
.LBB886_170:
	s_or_b64 exec, exec, s[56:57]
	v_cmp_gt_u32_e32 vcc, 62, v3
	v_add_u32_e32 v20, 2, v3
	s_waitcnt lgkmcnt(0)
	v_cndmask_b32_e64 v19, 0, 1, vcc
	v_lshlrev_b32_e32 v19, 1, v19
	v_add_lshl_u32 v19, v19, v5, 2
	ds_bpermute_b32 v21, v19, v54
	v_cmp_le_u32_e32 vcc, v20, v11
	s_and_saveexec_b64 s[56:57], vcc
	s_cbranch_execz .LBB886_172
; %bb.171:
	v_cmp_eq_u16_e32 vcc, 0, v52
	v_and_b32_e32 v10, 1, v52
	v_mov_b32_e32 v49, 1
	s_waitcnt lgkmcnt(0)
	v_cndmask_b32_e32 v47, 0, v21, vcc
	v_and_b32_sdwa v21, v21, v49 dst_sel:DWORD dst_unused:UNUSED_PAD src0_sel:WORD_1 src1_sel:DWORD
	v_cmp_eq_u32_e32 vcc, 1, v10
	v_add_u16_e32 v48, v47, v6
	v_add_u16_e32 v6, v47, v6
	v_cndmask_b32_e64 v10, v21, 1, vcc
	v_lshlrev_b32_e32 v21, 16, v10
	v_or_b32_e32 v54, v21, v6
	v_mov_b32_e32 v6, v48
	v_mov_b32_e32 v52, v10
.LBB886_172:
	s_or_b64 exec, exec, s[56:57]
	v_cmp_gt_u32_e32 vcc, 60, v3
	v_add_u32_e32 v47, 4, v3
	s_waitcnt lgkmcnt(0)
	v_cndmask_b32_e64 v21, 0, 1, vcc
	v_lshlrev_b32_e32 v21, 2, v21
	v_add_lshl_u32 v21, v21, v5, 2
	ds_bpermute_b32 v48, v21, v54
	v_cmp_le_u32_e32 vcc, v47, v11
	s_and_saveexec_b64 s[56:57], vcc
	s_cbranch_execz .LBB886_174
; %bb.173:
	v_cmp_eq_u16_e32 vcc, 0, v52
	v_and_b32_e32 v10, 1, v52
	v_mov_b32_e32 v51, 1
	s_waitcnt lgkmcnt(0)
	v_cndmask_b32_e32 v49, 0, v48, vcc
	v_and_b32_sdwa v48, v48, v51 dst_sel:DWORD dst_unused:UNUSED_PAD src0_sel:WORD_1 src1_sel:DWORD
	v_cmp_eq_u32_e32 vcc, 1, v10
	v_add_u16_e32 v50, v49, v6
	v_add_u16_e32 v6, v49, v6
	v_cndmask_b32_e64 v10, v48, 1, vcc
	v_lshlrev_b32_e32 v48, 16, v10
	v_or_b32_e32 v54, v48, v6
	v_mov_b32_e32 v6, v50
	v_mov_b32_e32 v52, v10
.LBB886_174:
	;; [unrolled: 27-line block ×4, first 2 shown]
	s_or_b64 exec, exec, s[56:57]
	v_cmp_gt_u32_e32 vcc, 32, v3
	s_waitcnt lgkmcnt(0)
	s_nop 0
	v_cndmask_b32_e64 v53, 0, 1, vcc
	v_lshlrev_b32_e32 v53, 5, v53
	v_add_lshl_u32 v53, v53, v5, 2
	ds_bpermute_b32 v5, v53, v54
	v_add_u32_e32 v54, 32, v3
	v_cmp_le_u32_e32 vcc, v54, v11
	s_and_saveexec_b64 s[56:57], vcc
	s_cbranch_execz .LBB886_180
; %bb.179:
	v_cmp_eq_u16_e32 vcc, 0, v52
	v_mov_b32_e32 v11, 1
	s_waitcnt lgkmcnt(0)
	v_cndmask_b32_e32 v10, 0, v5, vcc
	v_add_u16_e32 v6, v10, v6
	v_and_b32_e32 v10, 1, v52
	v_and_b32_sdwa v5, v5, v11 dst_sel:DWORD dst_unused:UNUSED_PAD src0_sel:WORD_1 src1_sel:DWORD
	v_cmp_eq_u32_e32 vcc, 1, v10
	s_nop 1
	v_cndmask_b32_e64 v10, v5, 1, vcc
.LBB886_180:
	s_or_b64 exec, exec, s[56:57]
	s_waitcnt lgkmcnt(0)
	v_mov_b32_e32 v5, 0
	v_mov_b32_e32 v56, 2
	;; [unrolled: 1-line block ×3, first 2 shown]
	s_branch .LBB886_182
.LBB886_181:                            ;   in Loop: Header=BB886_182 Depth=1
	s_or_b64 exec, exec, s[56:57]
	v_cmp_eq_u16_sdwa vcc, v52, v5 src0_sel:BYTE_0 src1_sel:DWORD
	v_and_b32_e32 v10, 1, v52
	v_and_b32_e32 v11, 1, v11
	v_cndmask_b32_e32 v6, 0, v6, vcc
	v_cmp_eq_u32_e32 vcc, 1, v10
	v_subrev_u32_e32 v4, 64, v4
	v_add_u16_e32 v6, v6, v55
	v_cndmask_b32_e64 v10, v11, 1, vcc
.LBB886_182:                            ; =>This Loop Header: Depth=1
                                        ;     Child Loop BB886_185 Depth 2
	v_cmp_ne_u16_sdwa s[56:57], v7, v56 src0_sel:BYTE_0 src1_sel:DWORD
	v_mov_b32_e32 v52, v10
	v_mov_b32_e32 v55, v6
	v_cndmask_b32_e64 v7, 0, 1, s[56:57]
	;;#ASMSTART
	;;#ASMEND
	s_nop 0
	v_cmp_ne_u32_e32 vcc, 0, v7
	s_cmp_lg_u64 vcc, exec
	s_cbranch_scc1 .LBB886_199
; %bb.183:                              ;   in Loop: Header=BB886_182 Depth=1
	v_lshl_add_u64 v[10:11], v[4:5], 3, s[64:65]
	global_load_dwordx2 v[6:7], v[10:11], off sc1
	s_waitcnt vmcnt(0)
	v_cmp_eq_u16_sdwa s[58:59], v7, v5 src0_sel:BYTE_0 src1_sel:DWORD
	s_and_saveexec_b64 s[56:57], s[58:59]
	s_cbranch_execz .LBB886_187
; %bb.184:                              ;   in Loop: Header=BB886_182 Depth=1
	s_mov_b64 s[58:59], 0
.LBB886_185:                            ;   Parent Loop BB886_182 Depth=1
                                        ; =>  This Inner Loop Header: Depth=2
	global_load_dwordx2 v[6:7], v[10:11], off sc1
	s_waitcnt vmcnt(0)
	v_cmp_ne_u16_sdwa s[60:61], v7, v5 src0_sel:BYTE_0 src1_sel:DWORD
	s_or_b64 s[58:59], s[60:61], s[58:59]
	s_andn2_b64 exec, exec, s[58:59]
	s_cbranch_execnz .LBB886_185
; %bb.186:                              ;   in Loop: Header=BB886_182 Depth=1
	s_or_b64 exec, exec, s[58:59]
.LBB886_187:                            ;   in Loop: Header=BB886_182 Depth=1
	s_or_b64 exec, exec, s[56:57]
	v_cmp_eq_u16_sdwa s[56:57], v7, v56 src0_sel:BYTE_0 src1_sel:DWORD
	s_waitcnt lgkmcnt(0)
	v_and_b32_e32 v59, 0xffffff, v6
	ds_bpermute_b32 v60, v18, v59
	v_and_b32_e32 v10, s57, v9
	v_or_b32_e32 v10, 0x80000000, v10
	v_and_b32_e32 v11, s56, v8
	v_ffbl_b32_e32 v10, v10
	v_add_u32_e32 v10, 32, v10
	v_ffbl_b32_e32 v11, v11
	v_min_u32_e32 v10, v11, v10
	v_lshrrev_b32_e32 v11, 16, v6
	v_cmp_lt_u32_e32 vcc, v3, v10
	v_bfe_u32 v58, v6, 16, 8
	s_and_saveexec_b64 s[56:57], vcc
	s_cbranch_execz .LBB886_189
; %bb.188:                              ;   in Loop: Header=BB886_182 Depth=1
	v_and_b32_e32 v11, 0xff0000, v6
	v_cmp_eq_u32_e32 vcc, 0, v11
	v_and_b32_e32 v11, 0x10000, v11
	s_waitcnt lgkmcnt(0)
	v_and_b32_sdwa v59, v60, v57 dst_sel:DWORD dst_unused:UNUSED_PAD src0_sel:WORD_1 src1_sel:DWORD
	v_cndmask_b32_e32 v58, 0, v60, vcc
	v_cmp_ne_u32_e32 vcc, 0, v11
	v_add_u16_e32 v61, v58, v6
	v_add_u16_e32 v6, v58, v6
	v_cndmask_b32_e64 v11, v59, 1, vcc
	v_lshlrev_b32_e32 v59, 16, v11
	v_or_b32_e32 v59, v59, v6
	v_mov_b32_e32 v6, v61
	v_mov_b32_e32 v58, v11
.LBB886_189:                            ;   in Loop: Header=BB886_182 Depth=1
	s_or_b64 exec, exec, s[56:57]
	s_waitcnt lgkmcnt(0)
	ds_bpermute_b32 v60, v19, v59
	v_cmp_le_u32_e32 vcc, v20, v10
	s_and_saveexec_b64 s[56:57], vcc
	s_cbranch_execz .LBB886_191
; %bb.190:                              ;   in Loop: Header=BB886_182 Depth=1
	v_cmp_eq_u16_e32 vcc, 0, v58
	v_and_b32_e32 v11, 1, v58
	s_waitcnt lgkmcnt(0)
	v_and_b32_sdwa v58, v60, v57 dst_sel:DWORD dst_unused:UNUSED_PAD src0_sel:WORD_1 src1_sel:DWORD
	v_cndmask_b32_e32 v59, 0, v60, vcc
	v_cmp_eq_u32_e32 vcc, 1, v11
	v_add_u16_e32 v61, v59, v6
	v_add_u16_e32 v6, v59, v6
	v_cndmask_b32_e64 v11, v58, 1, vcc
	v_lshlrev_b32_e32 v58, 16, v11
	v_or_b32_e32 v59, v58, v6
	v_mov_b32_e32 v6, v61
	v_mov_b32_e32 v58, v11
.LBB886_191:                            ;   in Loop: Header=BB886_182 Depth=1
	s_or_b64 exec, exec, s[56:57]
	s_waitcnt lgkmcnt(0)
	ds_bpermute_b32 v60, v21, v59
	v_cmp_le_u32_e32 vcc, v47, v10
	s_and_saveexec_b64 s[56:57], vcc
	s_cbranch_execz .LBB886_193
; %bb.192:                              ;   in Loop: Header=BB886_182 Depth=1
	v_cmp_eq_u16_e32 vcc, 0, v58
	v_and_b32_e32 v11, 1, v58
	s_waitcnt lgkmcnt(0)
	v_and_b32_sdwa v58, v60, v57 dst_sel:DWORD dst_unused:UNUSED_PAD src0_sel:WORD_1 src1_sel:DWORD
	v_cndmask_b32_e32 v59, 0, v60, vcc
	v_cmp_eq_u32_e32 vcc, 1, v11
	v_add_u16_e32 v61, v59, v6
	v_add_u16_e32 v6, v59, v6
	v_cndmask_b32_e64 v11, v58, 1, vcc
	v_lshlrev_b32_e32 v58, 16, v11
	v_or_b32_e32 v59, v58, v6
	v_mov_b32_e32 v6, v61
	v_mov_b32_e32 v58, v11
.LBB886_193:                            ;   in Loop: Header=BB886_182 Depth=1
	;; [unrolled: 21-line block ×4, first 2 shown]
	s_or_b64 exec, exec, s[56:57]
	ds_bpermute_b32 v59, v53, v59
	v_cmp_le_u32_e32 vcc, v54, v10
	s_and_saveexec_b64 s[56:57], vcc
	s_cbranch_execz .LBB886_181
; %bb.198:                              ;   in Loop: Header=BB886_182 Depth=1
	v_cmp_eq_u16_e32 vcc, 0, v58
	s_waitcnt lgkmcnt(0)
	v_lshrrev_b32_e32 v11, 16, v59
	v_cndmask_b32_e32 v10, 0, v59, vcc
	v_add_u16_e32 v6, v10, v6
	v_and_b32_e32 v10, 1, v58
	v_cmp_eq_u32_e32 vcc, 1, v10
	s_nop 1
	v_cndmask_b32_e64 v11, v11, 1, vcc
	s_branch .LBB886_181
.LBB886_199:                            ;   in Loop: Header=BB886_182 Depth=1
                                        ; implicit-def: $vgpr10
                                        ; implicit-def: $vgpr6
	s_cbranch_execz .LBB886_182
; %bb.200:
	s_and_saveexec_b64 s[56:57], s[50:51]
	s_cbranch_execz .LBB886_202
; %bb.201:
	v_and_b32_e32 v3, 0xff0000, v2
	s_mov_b32 s59, 0
	v_cmp_eq_u32_e32 vcc, 0, v3
	v_and_b32_e32 v4, 0x10000, v2
	v_mov_b32_e32 v5, 1
	s_add_i32 s58, s67, 64
	v_cndmask_b32_e32 v3, 0, v55, vcc
	v_and_b32_sdwa v5, v52, v5 dst_sel:WORD_1 dst_unused:UNUSED_PAD src0_sel:DWORD src1_sel:DWORD
	v_mov_b32_e32 v6, 0x10000
	v_cmp_eq_u32_e32 vcc, 0, v4
	s_lshl_b64 s[58:59], s[58:59], 3
	s_add_u32 s58, s64, s58
	v_cndmask_b32_e32 v4, v6, v5, vcc
	v_add_u16_e32 v2, v3, v2
	s_addc_u32 s59, s65, s59
	v_mov_b32_e32 v5, 0
	v_or_b32_e32 v2, v4, v2
	v_mov_b32_e32 v3, 2
	global_store_dwordx2 v5, v[2:3], s[58:59] sc1
.LBB886_202:
	s_or_b64 exec, exec, s[56:57]
	s_and_b64 exec, exec, s[52:53]
	s_cbranch_execz .LBB886_204
; %bb.203:
	v_mov_b32_e32 v2, 0
	ds_write_b16 v2, v55 offset:12
	ds_write_b8 v2, v52 offset:14
.LBB886_204:
	s_or_b64 exec, exec, s[0:1]
	v_mov_b32_e32 v2, 0
	s_waitcnt lgkmcnt(0)
	s_barrier
	ds_read_b32 v3, v2 offset:12
	v_lshrrev_b32_e32 v4, 16, v17
	v_cndmask_b32_e64 v4, v4, v16, s[50:51]
	v_cmp_eq_u16_sdwa vcc, v4, v2 src0_sel:BYTE_0 src1_sel:DWORD
	v_cndmask_b32_e64 v5, v17, v15, s[50:51]
	s_waitcnt lgkmcnt(0)
	v_cndmask_b32_e32 v2, 0, v3, vcc
	v_add_u16_e32 v2, v2, v5
	v_cndmask_b32_e64 v8, v2, v3, s[52:53]
	v_and_b32_e32 v2, 0xff0000, v1
	v_cmp_eq_u32_e32 vcc, 0, v2
	s_nop 1
	v_cndmask_b32_e32 v2, 0, v8, vcc
	v_add_u16_e32 v6, v2, v1
	v_cndmask_b32_e64 v2, 0, v6, s[4:5]
	v_add_u16_e32 v7, v2, v25
	v_cndmask_b32_e64 v2, 0, v7, s[6:7]
	;; [unrolled: 2-line block ×22, first 2 shown]
	v_add_u16_e32 v57, v2, v46
	s_branch .LBB886_255
.LBB886_205:
	s_or_b64 exec, exec, s[0:1]
                                        ; implicit-def: $vgpr56
	s_and_saveexec_b64 s[0:1], s[4:5]
	s_cbranch_execz .LBB886_57
.LBB886_206:
	v_mov_b32_e32 v43, 0
	v_lshl_add_u64 v[56:57], v[18:19], 0, v[42:43]
	flat_load_ushort v56, v[56:57] offset:512
	s_or_b64 exec, exec, s[0:1]
                                        ; implicit-def: $vgpr57
	s_and_saveexec_b64 s[0:1], s[6:7]
	s_cbranch_execnz .LBB886_58
.LBB886_207:
	s_or_b64 exec, exec, s[0:1]
                                        ; implicit-def: $vgpr58
	s_and_saveexec_b64 s[0:1], s[8:9]
	s_cbranch_execz .LBB886_59
.LBB886_208:
	v_mov_b32_e32 v43, 0
	v_lshl_add_u64 v[58:59], v[18:19], 0, v[42:43]
	flat_load_ushort v58, v[58:59] offset:1536
	s_or_b64 exec, exec, s[0:1]
                                        ; implicit-def: $vgpr59
	s_and_saveexec_b64 s[0:1], s[10:11]
	s_cbranch_execnz .LBB886_60
.LBB886_209:
	s_or_b64 exec, exec, s[0:1]
                                        ; implicit-def: $vgpr60
	s_and_saveexec_b64 s[0:1], s[12:13]
	s_cbranch_execz .LBB886_61
.LBB886_210:
	v_mov_b32_e32 v43, 0
	v_lshl_add_u64 v[60:61], v[18:19], 0, v[42:43]
	flat_load_ushort v60, v[60:61] offset:2560
	s_or_b64 exec, exec, s[0:1]
                                        ; implicit-def: $vgpr61
	s_and_saveexec_b64 s[0:1], s[14:15]
	s_cbranch_execnz .LBB886_62
.LBB886_211:
	s_or_b64 exec, exec, s[0:1]
                                        ; implicit-def: $vgpr43
	s_and_saveexec_b64 s[0:1], s[16:17]
	s_cbranch_execz .LBB886_63
.LBB886_212:
	v_mov_b32_e32 v43, 0
	v_lshl_add_u64 v[62:63], v[18:19], 0, v[42:43]
	flat_load_ushort v43, v[62:63] offset:3584
	s_or_b64 exec, exec, s[0:1]
                                        ; implicit-def: $vgpr15
	s_and_saveexec_b64 s[0:1], s[18:19]
	s_cbranch_execnz .LBB886_64
.LBB886_213:
	s_or_b64 exec, exec, s[0:1]
                                        ; implicit-def: $vgpr14
	s_and_saveexec_b64 s[0:1], s[20:21]
	s_cbranch_execz .LBB886_65
.LBB886_214:
	v_mov_b32_e32 v17, 0
	v_lshl_add_u64 v[16:17], v[18:19], 0, v[16:17]
	flat_load_ushort v14, v[16:17]
	s_or_b64 exec, exec, s[0:1]
                                        ; implicit-def: $vgpr16
	s_and_saveexec_b64 s[0:1], s[22:23]
	s_cbranch_execnz .LBB886_66
.LBB886_215:
	s_or_b64 exec, exec, s[0:1]
                                        ; implicit-def: $vgpr17
	s_and_saveexec_b64 s[0:1], s[24:25]
	s_cbranch_execz .LBB886_67
.LBB886_216:
	v_mov_b32_e32 v25, 0
	v_lshl_add_u64 v[22:23], v[18:19], 0, v[24:25]
	flat_load_ushort v17, v[22:23]
	s_or_b64 exec, exec, s[0:1]
                                        ; implicit-def: $vgpr22
	s_and_saveexec_b64 s[0:1], s[26:27]
	s_cbranch_execnz .LBB886_68
.LBB886_217:
	s_or_b64 exec, exec, s[0:1]
                                        ; implicit-def: $vgpr23
	s_and_saveexec_b64 s[0:1], s[28:29]
	s_cbranch_execz .LBB886_69
.LBB886_218:
	v_mov_b32_e32 v31, 0
	v_lshl_add_u64 v[24:25], v[18:19], 0, v[30:31]
	flat_load_ushort v23, v[24:25]
	s_or_b64 exec, exec, s[0:1]
                                        ; implicit-def: $vgpr24
	s_and_saveexec_b64 s[0:1], s[30:31]
	s_cbranch_execnz .LBB886_70
.LBB886_219:
	s_or_b64 exec, exec, s[0:1]
                                        ; implicit-def: $vgpr25
	s_and_saveexec_b64 s[0:1], s[34:35]
	s_cbranch_execz .LBB886_71
.LBB886_220:
	v_mov_b32_e32 v35, 0
	v_lshl_add_u64 v[28:29], v[18:19], 0, v[34:35]
	flat_load_ushort v25, v[28:29]
	s_or_b64 exec, exec, s[0:1]
                                        ; implicit-def: $vgpr29
	s_and_saveexec_b64 s[0:1], s[36:37]
	s_cbranch_execnz .LBB886_72
.LBB886_221:
	s_or_b64 exec, exec, s[0:1]
                                        ; implicit-def: $vgpr30
	s_and_saveexec_b64 s[0:1], s[38:39]
	s_cbranch_execz .LBB886_73
.LBB886_222:
	v_mov_b32_e32 v39, 0
	v_lshl_add_u64 v[30:31], v[18:19], 0, v[38:39]
	flat_load_ushort v30, v[30:31]
	s_or_b64 exec, exec, s[0:1]
                                        ; implicit-def: $vgpr31
	s_and_saveexec_b64 s[0:1], s[40:41]
	s_cbranch_execnz .LBB886_74
.LBB886_223:
	s_or_b64 exec, exec, s[0:1]
                                        ; implicit-def: $vgpr32
	s_and_saveexec_b64 s[0:1], s[42:43]
	s_cbranch_execz .LBB886_75
.LBB886_224:
	v_mov_b32_e32 v45, 0
	v_lshl_add_u64 v[32:33], v[18:19], 0, v[44:45]
	flat_load_ushort v32, v[32:33]
	s_or_b64 exec, exec, s[0:1]
                                        ; implicit-def: $vgpr33
	s_and_saveexec_b64 s[0:1], s[44:45]
	s_cbranch_execnz .LBB886_76
.LBB886_225:
	s_or_b64 exec, exec, s[0:1]
                                        ; implicit-def: $vgpr34
	s_and_saveexec_b64 s[0:1], s[46:47]
	s_cbranch_execz .LBB886_77
.LBB886_226:
	v_mov_b32_e32 v49, 0
	v_lshl_add_u64 v[34:35], v[18:19], 0, v[48:49]
	flat_load_ushort v34, v[34:35]
	s_or_b64 exec, exec, s[0:1]
                                        ; implicit-def: $vgpr35
	s_and_saveexec_b64 s[0:1], s[48:49]
	s_cbranch_execz .LBB886_79
	s_branch .LBB886_78
.LBB886_227:
                                        ; implicit-def: $vgpr8
                                        ; implicit-def: $vgpr6
                                        ; implicit-def: $vgpr7
                                        ; implicit-def: $vgpr9
                                        ; implicit-def: $vgpr10
                                        ; implicit-def: $vgpr11
                                        ; implicit-def: $vgpr16
                                        ; implicit-def: $vgpr18
                                        ; implicit-def: $vgpr15
                                        ; implicit-def: $vgpr17
                                        ; implicit-def: $vgpr19
                                        ; implicit-def: $vgpr20
                                        ; implicit-def: $vgpr21
                                        ; implicit-def: $vgpr47
                                        ; implicit-def: $vgpr49
                                        ; implicit-def: $vgpr51
                                        ; implicit-def: $vgpr48
                                        ; implicit-def: $vgpr50
                                        ; implicit-def: $vgpr52
                                        ; implicit-def: $vgpr53
                                        ; implicit-def: $vgpr54
                                        ; implicit-def: $vgpr55
                                        ; implicit-def: $vgpr56
                                        ; implicit-def: $vgpr57
	s_cbranch_execz .LBB886_255
; %bb.228:
	s_cmp_lg_u64 s[72:73], 0
	s_cselect_b32 s1, s71, 0
	s_cselect_b32 s0, s70, 0
	s_cmp_eq_u64 s[0:1], 0
	v_mov_b32_e32 v2, s74
	s_cbranch_scc1 .LBB886_230
; %bb.229:
	v_mov_b32_e32 v2, 0
	global_load_ushort v2, v2, s[0:1]
.LBB886_230:
	s_mov_b32 s0, 0x10000
	v_cmp_gt_u32_e32 vcc, s0, v25
	v_cmp_gt_u32_e64 s[4:5], s0, v29
	v_cmp_gt_u32_e64 s[6:7], s0, v30
	v_cndmask_b32_e32 v3, 0, v1, vcc
	v_add_u16_e32 v3, v3, v25
	v_cndmask_b32_e64 v3, 0, v3, s[4:5]
	v_add_u16_e32 v3, v3, v29
	v_cndmask_b32_e64 v3, 0, v3, s[6:7]
	v_add_u16_e32 v3, v3, v30
	v_cmp_gt_u32_e64 s[8:9], s0, v31
	v_cmp_gt_u32_e64 s[10:11], s0, v32
	v_cmp_gt_u32_e64 s[12:13], s0, v33
	v_cndmask_b32_e64 v3, 0, v3, s[8:9]
	v_add_u16_e32 v3, v3, v31
	v_cndmask_b32_e64 v3, 0, v3, s[10:11]
	v_add_u16_e32 v3, v3, v32
	v_cndmask_b32_e64 v3, 0, v3, s[12:13]
	v_add_u16_e32 v3, v3, v33
	v_cmp_gt_u32_e64 s[14:15], s0, v34
	v_cmp_gt_u32_e64 s[16:17], s0, v35
	v_cmp_gt_u32_e64 s[18:19], s0, v36
	v_cndmask_b32_e64 v3, 0, v3, s[14:15]
	;; [unrolled: 9-line block ×5, first 2 shown]
	v_add_u16_e32 v3, v3, v43
	v_cndmask_b32_e64 v3, 0, v3, s[36:37]
	v_add_u16_e32 v3, v3, v22
	v_cndmask_b32_e64 v3, 0, v3, s[38:39]
	v_or3_b32 v6, v14, v44, v22
	v_add_u16_e32 v3, v3, v44
	v_cmp_gt_u32_e64 s[40:41], s0, v23
	v_or3_b32 v6, v6, v43, v42
	v_or3_b32 v6, v6, v41, v40
	v_cndmask_b32_e64 v3, 0, v3, s[40:41]
	v_add_u16_e32 v3, v3, v23
	v_cmp_gt_u32_e64 s[42:43], s0, v45
	v_or3_b32 v6, v6, v39, v38
	v_or3_b32 v6, v6, v37, v36
	v_cndmask_b32_e64 v3, 0, v3, s[42:43]
	;; [unrolled: 5-line block ×4, first 2 shown]
	v_add_u16_e32 v3, v3, v46
	v_cmp_gt_u32_e64 s[0:1], s0, v12
	v_and_b32_e32 v6, 0x10000, v6
	v_and_b32_e32 v5, 0x10000, v1
	v_cndmask_b32_e64 v3, 0, v3, s[0:1]
	v_mov_b32_e32 v7, 0x10000
	v_cmp_ne_u32_e64 s[0:1], 0, v6
	v_add_u16_e32 v4, v3, v12
	v_add_u16_e32 v6, v3, v12
	v_cndmask_b32_e64 v7, v5, v7, s[0:1]
	v_mbcnt_hi_u32_b32 v3, -1, v13
	v_and_b32_e32 v8, 15, v3
	v_or_b32_e32 v6, v7, v6
	v_lshrrev_b32_e32 v5, 16, v7
	v_cmp_ne_u32_e64 s[0:1], 0, v8
	v_mov_b32_dpp v9, v6 row_shr:1 row_mask:0xf bank_mask:0xf
	s_and_saveexec_b64 s[48:49], s[0:1]
	s_cbranch_execz .LBB886_232
; %bb.231:
	v_cmp_eq_u32_e64 s[0:1], 0, v7
	v_and_b32_e32 v5, 0x10000, v7
	v_mov_b32_e32 v7, 1
	v_cndmask_b32_e64 v6, 0, v9, s[0:1]
	v_and_b32_sdwa v7, v9, v7 dst_sel:DWORD dst_unused:UNUSED_PAD src0_sel:WORD_1 src1_sel:DWORD
	v_cmp_ne_u32_e64 s[0:1], 0, v5
	v_add_u16_e32 v10, v6, v4
	v_add_u16_e32 v4, v6, v4
	v_cndmask_b32_e64 v5, v7, 1, s[0:1]
	v_lshlrev_b32_e32 v7, 16, v5
	v_or_b32_e32 v6, v7, v4
	v_mov_b32_e32 v4, v10
.LBB886_232:
	s_or_b64 exec, exec, s[48:49]
	v_lshrrev_b32_e32 v7, 16, v6
	v_mov_b32_dpp v9, v6 row_shr:2 row_mask:0xf bank_mask:0xf
	v_cmp_lt_u32_e64 s[0:1], 1, v8
	s_and_saveexec_b64 s[48:49], s[0:1]
	s_cbranch_execz .LBB886_234
; %bb.233:
	s_mov_b32 s0, 0x10000
	v_cmp_gt_u32_e64 s[0:1], s0, v6
	v_and_b32_e32 v5, 0x10000, v6
	v_mov_b32_e32 v6, 1
	v_cndmask_b32_e64 v7, 0, v9, s[0:1]
	v_and_b32_sdwa v6, v9, v6 dst_sel:DWORD dst_unused:UNUSED_PAD src0_sel:WORD_1 src1_sel:DWORD
	v_cmp_ne_u32_e64 s[0:1], 0, v5
	v_add_u16_e32 v10, v7, v4
	v_add_u16_e32 v4, v7, v4
	v_cndmask_b32_e64 v5, v6, 1, s[0:1]
	v_lshlrev_b32_e32 v6, 16, v5
	v_or_b32_e32 v6, v6, v4
	v_mov_b32_e32 v7, v5
	v_mov_b32_e32 v4, v10
.LBB886_234:
	s_or_b64 exec, exec, s[48:49]
	v_mov_b32_dpp v9, v6 row_shr:4 row_mask:0xf bank_mask:0xf
	v_cmp_lt_u32_e64 s[0:1], 3, v8
	s_and_saveexec_b64 s[48:49], s[0:1]
	s_cbranch_execz .LBB886_236
; %bb.235:
	v_cmp_eq_u16_e64 s[0:1], 0, v7
	v_and_b32_e32 v5, 1, v7
	v_mov_b32_e32 v7, 1
	v_cndmask_b32_e64 v6, 0, v9, s[0:1]
	v_and_b32_sdwa v7, v9, v7 dst_sel:DWORD dst_unused:UNUSED_PAD src0_sel:WORD_1 src1_sel:DWORD
	v_cmp_eq_u32_e64 s[0:1], 1, v5
	v_add_u16_e32 v10, v6, v4
	v_add_u16_e32 v4, v6, v4
	v_cndmask_b32_e64 v5, v7, 1, s[0:1]
	v_lshlrev_b32_e32 v7, 16, v5
	v_or_b32_e32 v6, v7, v4
	v_mov_b32_e32 v7, v5
	v_mov_b32_e32 v4, v10
.LBB886_236:
	s_or_b64 exec, exec, s[48:49]
	v_mov_b32_dpp v9, v6 row_shr:8 row_mask:0xf bank_mask:0xf
	v_cmp_lt_u32_e64 s[0:1], 7, v8
	s_and_saveexec_b64 s[48:49], s[0:1]
	s_cbranch_execz .LBB886_238
; %bb.237:
	v_cmp_eq_u16_e64 s[0:1], 0, v7
	v_and_b32_e32 v5, 1, v7
	v_mov_b32_e32 v7, 1
	v_cndmask_b32_e64 v6, 0, v9, s[0:1]
	v_and_b32_sdwa v7, v9, v7 dst_sel:DWORD dst_unused:UNUSED_PAD src0_sel:WORD_1 src1_sel:DWORD
	v_cmp_eq_u32_e64 s[0:1], 1, v5
	v_add_u16_e32 v8, v6, v4
	v_add_u16_e32 v4, v6, v4
	v_cndmask_b32_e64 v5, v7, 1, s[0:1]
	v_lshlrev_b32_e32 v7, 16, v5
	v_or_b32_e32 v6, v7, v4
	v_mov_b32_e32 v7, v5
	v_mov_b32_e32 v4, v8
.LBB886_238:
	s_or_b64 exec, exec, s[48:49]
	v_and_b32_e32 v9, 16, v3
	v_mov_b32_dpp v8, v6 row_bcast:15 row_mask:0xf bank_mask:0xf
	v_cmp_ne_u32_e64 s[0:1], 0, v9
	s_and_saveexec_b64 s[48:49], s[0:1]
	s_cbranch_execz .LBB886_240
; %bb.239:
	v_cmp_eq_u16_e64 s[0:1], 0, v7
	v_and_b32_e32 v5, 1, v7
	v_mov_b32_e32 v7, 1
	v_cndmask_b32_e64 v6, 0, v8, s[0:1]
	v_and_b32_sdwa v7, v8, v7 dst_sel:DWORD dst_unused:UNUSED_PAD src0_sel:WORD_1 src1_sel:DWORD
	v_cmp_eq_u32_e64 s[0:1], 1, v5
	v_add_u16_e32 v9, v6, v4
	v_add_u16_e32 v4, v6, v4
	v_cndmask_b32_e64 v5, v7, 1, s[0:1]
	v_lshlrev_b32_e32 v7, 16, v5
	v_or_b32_e32 v6, v7, v4
	v_mov_b32_e32 v7, v5
	v_mov_b32_e32 v4, v9
.LBB886_240:
	s_or_b64 exec, exec, s[48:49]
	v_mov_b32_dpp v6, v6 row_bcast:31 row_mask:0xf bank_mask:0xf
	v_cmp_lt_u32_e64 s[0:1], 31, v3
	s_and_saveexec_b64 s[48:49], s[0:1]
; %bb.241:
	v_cmp_eq_u16_e64 s[0:1], 0, v7
	s_nop 1
	v_cndmask_b32_e64 v5, 0, v6, s[0:1]
	v_add_u16_e32 v4, v5, v4
	v_and_b32_e32 v5, 1, v7
	v_mov_b32_e32 v7, 1
	v_and_b32_sdwa v6, v6, v7 dst_sel:DWORD dst_unused:UNUSED_PAD src0_sel:WORD_1 src1_sel:DWORD
	v_cmp_eq_u32_e64 s[0:1], 1, v5
	s_nop 1
	v_cndmask_b32_e64 v5, v6, 1, s[0:1]
; %bb.242:
	s_or_b64 exec, exec, s[48:49]
	v_or_b32_e32 v7, 63, v0
	v_lshrrev_b32_e32 v6, 6, v0
	v_cmp_eq_u32_e64 s[0:1], v7, v0
	s_and_saveexec_b64 s[48:49], s[0:1]
	s_cbranch_execz .LBB886_244
; %bb.243:
	v_lshlrev_b32_e32 v7, 2, v6
	ds_write_b16 v7, v4
	ds_write_b8 v7, v5 offset:2
.LBB886_244:
	s_or_b64 exec, exec, s[48:49]
	v_cmp_gt_u32_e64 s[0:1], 4, v0
	s_waitcnt lgkmcnt(0)
	s_barrier
	s_and_saveexec_b64 s[48:49], s[0:1]
	s_cbranch_execz .LBB886_250
; %bb.245:
	v_lshlrev_b32_e32 v7, 2, v0
	ds_read_b32 v8, v7
	v_and_b32_e32 v11, 3, v3
	v_cmp_ne_u32_e64 s[0:1], 0, v11
	s_waitcnt lgkmcnt(0)
	v_lshrrev_b32_e32 v10, 16, v8
	v_mov_b32_dpp v12, v8 row_shr:1 row_mask:0xf bank_mask:0xf
	v_mov_b32_e32 v9, v8
	s_and_saveexec_b64 s[50:51], s[0:1]
	s_cbranch_execz .LBB886_247
; %bb.246:
	v_mov_b32_e32 v9, 0
	v_cmp_eq_u16_sdwa s[0:1], v10, v9 src0_sel:BYTE_0 src1_sel:DWORD
	v_and_b32_e32 v10, 0x10000, v8
	v_mov_b32_e32 v15, 1
	v_cndmask_b32_e64 v14, 0, v12, s[0:1]
	v_and_b32_sdwa v12, v12, v15 dst_sel:DWORD dst_unused:UNUSED_PAD src0_sel:WORD_1 src1_sel:DWORD
	v_cmp_ne_u32_e64 s[0:1], 0, v10
	v_and_b32_e32 v13, 0xff000000, v8
	v_add_u16_e32 v9, v14, v8
	v_cndmask_b32_e64 v10, v12, 1, s[0:1]
	v_lshlrev_b32_e32 v12, 16, v10
	v_add_u16_e32 v8, v14, v8
	v_or3_b32 v8, v12, v13, v8
.LBB886_247:
	s_or_b64 exec, exec, s[50:51]
	s_nop 0
	v_mov_b32_dpp v12, v8 row_shr:2 row_mask:0xf bank_mask:0xf
	v_cmp_lt_u32_e64 s[0:1], 1, v11
	s_and_saveexec_b64 s[50:51], s[0:1]
; %bb.248:
	v_and_b32_e32 v10, 0xff0000, v8
	v_cmp_eq_u32_e64 s[0:1], 0, v10
	v_and_b32_e32 v8, 0x10000, v8
	s_nop 0
	v_cndmask_b32_e64 v10, 0, v12, s[0:1]
	v_add_u16_e32 v9, v10, v9
	v_mov_b32_e32 v10, 1
	v_and_b32_sdwa v10, v12, v10 dst_sel:DWORD dst_unused:UNUSED_PAD src0_sel:WORD_1 src1_sel:DWORD
	v_cmp_eq_u32_e64 s[0:1], 0, v8
	s_nop 1
	v_cndmask_b32_e64 v10, 1, v10, s[0:1]
; %bb.249:
	s_or_b64 exec, exec, s[50:51]
	ds_write_b16 v7, v9
	ds_write_b8 v7, v10 offset:2
.LBB886_250:
	s_or_b64 exec, exec, s[48:49]
	v_cmp_lt_u32_e64 s[0:1], 63, v0
	v_mov_b32_e32 v8, 0
	s_waitcnt vmcnt(0)
	v_mov_b32_e32 v7, v2
	s_waitcnt lgkmcnt(0)
	s_barrier
	s_and_saveexec_b64 s[48:49], s[0:1]
	s_cbranch_execz .LBB886_252
; %bb.251:
	v_lshl_add_u32 v6, v6, 2, -4
	ds_read_u8 v8, v6 offset:2
	ds_read_u16 v6, v6
	s_waitcnt lgkmcnt(1)
	v_cmp_eq_u16_e64 s[0:1], 0, v8
	s_nop 1
	v_cndmask_b32_e64 v7, 0, v2, s[0:1]
	s_waitcnt lgkmcnt(0)
	v_add_u16_e32 v7, v7, v6
.LBB886_252:
	s_or_b64 exec, exec, s[48:49]
	v_cmp_eq_u16_e64 s[0:1], 0, v5
	v_and_b32_e32 v5, 1, v5
	v_lshlrev_b32_e32 v8, 16, v8
	v_cndmask_b32_e64 v6, 0, v7, s[0:1]
	v_mov_b32_e32 v9, 0x10000
	v_cmp_eq_u32_e64 s[0:1], 1, v5
	v_add_u16_e32 v4, v6, v4
	v_and_b32_e32 v6, 64, v3
	v_cndmask_b32_e64 v5, v8, v9, s[0:1]
	v_or_b32_e32 v4, v5, v4
	v_add_u32_e32 v5, -1, v3
	v_cmp_lt_i32_e64 s[0:1], v5, v6
	s_nop 1
	v_cndmask_b32_e64 v5, v5, v3, s[0:1]
	v_lshlrev_b32_e32 v5, 2, v5
	ds_bpermute_b32 v4, v5, v4
	v_cmp_eq_u32_e64 s[0:1], 0, v3
	s_waitcnt lgkmcnt(0)
	s_nop 0
	v_cndmask_b32_e64 v8, v4, v7, s[0:1]
	v_and_b32_e32 v4, 0xff0000, v1
	v_cndmask_b32_e64 v3, v8, v2, s[52:53]
	v_cmp_eq_u32_e64 s[0:1], 0, v4
	s_nop 1
	v_cndmask_b32_e64 v3, 0, v3, s[0:1]
	v_add_u16_e32 v6, v3, v1
	v_cndmask_b32_e32 v1, 0, v6, vcc
	v_add_u16_e32 v7, v1, v25
	v_cndmask_b32_e64 v1, 0, v7, s[4:5]
	v_add_u16_e32 v9, v1, v29
	v_cndmask_b32_e64 v1, 0, v9, s[6:7]
	;; [unrolled: 2-line block ×21, first 2 shown]
	s_and_saveexec_b64 s[0:1], s[52:53]
	s_cbranch_execz .LBB886_254
; %bb.253:
	v_mov_b32_e32 v3, 0
	ds_read_u8 v4, v3 offset:14
	ds_read_u16 v8, v3 offset:12
	v_mov_b32_e32 v5, 2
	s_waitcnt lgkmcnt(1)
	v_cmp_eq_u32_e32 vcc, 0, v4
	v_lshlrev_b32_e32 v12, 16, v4
	s_nop 0
	v_cndmask_b32_e32 v4, 0, v2, vcc
	s_waitcnt lgkmcnt(0)
	v_add_u32_e32 v4, v4, v8
	v_or_b32_sdwa v4, v12, v4 dst_sel:DWORD dst_unused:UNUSED_PAD src0_sel:DWORD src1_sel:WORD_0
	v_mov_b32_e32 v8, v2
	global_store_dwordx2 v3, v[4:5], s[64:65] offset:512 sc1
.LBB886_254:
	s_or_b64 exec, exec, s[0:1]
	v_add_u16_e32 v57, v1, v46
.LBB886_255:
	s_add_u32 s0, s62, s54
	s_addc_u32 s1, s63, s55
	v_mul_u32_u24_e32 v1, 24, v0
	v_lshl_add_u64 v[2:3], s[0:1], 0, v[26:27]
	s_and_b64 vcc, exec, s[2:3]
	v_lshlrev_b32_e32 v12, 1, v1
	s_cbranch_vccz .LBB886_303
; %bb.256:
	s_mov_b32 s0, 0x5040100
	v_perm_b32 v25, v18, v16, s0
	v_perm_b32 v24, v11, v10, s0
	;; [unrolled: 1-line block ×4, first 2 shown]
	s_barrier
	ds_write_b128 v12, v[22:25]
	v_perm_b32 v25, v51, v49, s0
	v_perm_b32 v24, v47, v21, s0
	v_perm_b32 v23, v20, v19, s0
	v_perm_b32 v22, v17, v15, s0
	ds_write_b128 v12, v[22:25] offset:16
	v_perm_b32 v25, v57, v56, s0
	v_perm_b32 v24, v55, v54, s0
	v_perm_b32 v23, v53, v52, s0
	v_perm_b32 v22, v50, v48, s0
	s_movk_i32 s0, 0xffd2
	v_mad_i32_i24 v4, v0, s0, v12
	ds_write_b128 v12, v[22:25] offset:32
	s_waitcnt lgkmcnt(0)
	s_barrier
	ds_read_u16 v43, v4 offset:512
	ds_read_u16 v42, v4 offset:1024
	;; [unrolled: 1-line block ×23, first 2 shown]
	s_add_i32 s33, s33, s66
	v_mov_b32_e32 v29, 0
	v_lshl_add_u64 v[4:5], v[2:3], 0, v[28:29]
	v_cmp_gt_u32_e32 vcc, s33, v0
	s_and_saveexec_b64 s[0:1], vcc
	s_cbranch_execz .LBB886_258
; %bb.257:
	v_mul_i32_i24_e32 v44, 0xffffffd2, v0
	v_add_u32_e32 v44, v12, v44
	ds_read_u16 v44, v44
	s_waitcnt lgkmcnt(0)
	flat_store_short v[4:5], v44
.LBB886_258:
	s_or_b64 exec, exec, s[0:1]
	v_or_b32_e32 v44, 0x100, v0
	v_cmp_gt_u32_e32 vcc, s33, v44
	s_and_saveexec_b64 s[0:1], vcc
	s_cbranch_execz .LBB886_260
; %bb.259:
	s_waitcnt lgkmcnt(0)
	flat_store_short v[4:5], v43 offset:512
.LBB886_260:
	s_or_b64 exec, exec, s[0:1]
	s_waitcnt lgkmcnt(0)
	v_or_b32_e32 v43, 0x200, v0
	v_cmp_gt_u32_e32 vcc, s33, v43
	s_and_saveexec_b64 s[0:1], vcc
	s_cbranch_execz .LBB886_262
; %bb.261:
	flat_store_short v[4:5], v42 offset:1024
.LBB886_262:
	s_or_b64 exec, exec, s[0:1]
	v_or_b32_e32 v42, 0x300, v0
	v_cmp_gt_u32_e32 vcc, s33, v42
	s_and_saveexec_b64 s[0:1], vcc
	s_cbranch_execz .LBB886_264
; %bb.263:
	flat_store_short v[4:5], v41 offset:1536
.LBB886_264:
	s_or_b64 exec, exec, s[0:1]
	;; [unrolled: 8-line block ×6, first 2 shown]
	v_or_b32_e32 v37, 0x800, v0
	v_cmp_gt_u32_e32 vcc, s33, v37
	s_and_saveexec_b64 s[0:1], vcc
	s_cbranch_execz .LBB886_274
; %bb.273:
	v_add_co_u32_e32 v38, vcc, 0x1000, v4
	s_nop 1
	v_addc_co_u32_e32 v39, vcc, 0, v5, vcc
	flat_store_short v[38:39], v36
.LBB886_274:
	s_or_b64 exec, exec, s[0:1]
	v_or_b32_e32 v36, 0x900, v0
	v_cmp_gt_u32_e32 vcc, s33, v36
	s_and_saveexec_b64 s[0:1], vcc
	s_cbranch_execz .LBB886_276
; %bb.275:
	v_add_co_u32_e32 v36, vcc, 0x1000, v4
	s_nop 1
	v_addc_co_u32_e32 v37, vcc, 0, v5, vcc
	flat_store_short v[36:37], v35 offset:512
.LBB886_276:
	s_or_b64 exec, exec, s[0:1]
	v_or_b32_e32 v35, 0xa00, v0
	v_cmp_gt_u32_e32 vcc, s33, v35
	s_and_saveexec_b64 s[0:1], vcc
	s_cbranch_execz .LBB886_278
; %bb.277:
	v_add_co_u32_e32 v36, vcc, 0x1000, v4
	s_nop 1
	v_addc_co_u32_e32 v37, vcc, 0, v5, vcc
	flat_store_short v[36:37], v34 offset:1024
.LBB886_278:
	;; [unrolled: 11-line block ×7, first 2 shown]
	s_or_b64 exec, exec, s[0:1]
	v_or_b32_e32 v27, 0x1000, v0
	v_cmp_gt_u32_e32 vcc, s33, v27
	s_and_saveexec_b64 s[0:1], vcc
	s_cbranch_execz .LBB886_290
; %bb.289:
	v_add_co_u32_e32 v30, vcc, 0x2000, v4
	s_nop 1
	v_addc_co_u32_e32 v31, vcc, 0, v5, vcc
	flat_store_short v[30:31], v26
.LBB886_290:
	s_or_b64 exec, exec, s[0:1]
	v_or_b32_e32 v26, 0x1100, v0
	v_cmp_gt_u32_e32 vcc, s33, v26
	s_and_saveexec_b64 s[0:1], vcc
	s_cbranch_execz .LBB886_292
; %bb.291:
	v_add_co_u32_e32 v26, vcc, 0x2000, v4
	s_nop 1
	v_addc_co_u32_e32 v27, vcc, 0, v5, vcc
	flat_store_short v[26:27], v25 offset:512
.LBB886_292:
	s_or_b64 exec, exec, s[0:1]
	v_or_b32_e32 v25, 0x1200, v0
	v_cmp_gt_u32_e32 vcc, s33, v25
	s_and_saveexec_b64 s[0:1], vcc
	s_cbranch_execz .LBB886_294
; %bb.293:
	v_add_co_u32_e32 v26, vcc, 0x2000, v4
	s_nop 1
	v_addc_co_u32_e32 v27, vcc, 0, v5, vcc
	flat_store_short v[26:27], v24 offset:1024
.LBB886_294:
	;; [unrolled: 11-line block ×6, first 2 shown]
	s_or_b64 exec, exec, s[0:1]
	v_or_b32_e32 v4, 0x1700, v0
	v_mov_b32_e32 v1, v29
	v_cmp_gt_u32_e64 s[0:1], s33, v4
	s_branch .LBB886_305
.LBB886_303:
	s_mov_b64 s[0:1], 0
                                        ; implicit-def: $vgpr13
	s_cbranch_execz .LBB886_305
; %bb.304:
	s_mov_b32 s2, 0x5040100
	v_perm_b32 v23, v9, v7, s2
	v_perm_b32 v22, v6, v8, s2
	v_perm_b32 v7, v51, v49, s2
	v_perm_b32 v6, v47, v21, s2
	v_perm_b32 v5, v20, v19, s2
	v_perm_b32 v4, v17, v15, s2
	s_waitcnt lgkmcnt(0)
	s_barrier
	v_perm_b32 v25, v18, v16, s2
	v_perm_b32 v24, v11, v10, s2
	ds_write_b128 v12, v[4:7] offset:16
	v_perm_b32 v7, v57, v56, s2
	v_perm_b32 v6, v55, v54, s2
	;; [unrolled: 1-line block ×4, first 2 shown]
	v_mov_b32_e32 v1, 0
	s_movk_i32 s2, 0xffd2
	ds_write_b128 v12, v[4:7] offset:32
	v_mad_i32_i24 v4, v0, s2, v12
	v_mov_b32_e32 v29, v1
	ds_write_b128 v12, v[22:25]
	s_waitcnt lgkmcnt(0)
	s_barrier
	ds_read_u16 v6, v4
	ds_read_u16 v7, v4 offset:512
	ds_read_u16 v8, v4 offset:1024
	;; [unrolled: 1-line block ×23, first 2 shown]
	v_lshl_add_u64 v[4:5], v[2:3], 0, v[28:29]
	s_movk_i32 s2, 0x1000
	s_waitcnt lgkmcnt(0)
	flat_store_short v[4:5], v6
	flat_store_short v[4:5], v7 offset:512
	flat_store_short v[4:5], v8 offset:1024
	flat_store_short v[4:5], v9 offset:1536
	flat_store_short v[4:5], v10 offset:2048
	flat_store_short v[4:5], v11 offset:2560
	flat_store_short v[4:5], v12 offset:3072
	flat_store_short v[4:5], v14 offset:3584
	v_add_co_u32_e32 v6, vcc, s2, v4
	s_or_b64 s[0:1], s[0:1], exec
	s_nop 0
	v_addc_co_u32_e32 v7, vcc, 0, v5, vcc
	v_add_co_u32_e32 v4, vcc, 0x2000, v4
	flat_store_short v[6:7], v15
	flat_store_short v[6:7], v16 offset:512
	flat_store_short v[6:7], v17 offset:1024
	;; [unrolled: 1-line block ×7, first 2 shown]
	v_addc_co_u32_e32 v5, vcc, 0, v5, vcc
	flat_store_short v[4:5], v23
	flat_store_short v[4:5], v24 offset:512
	flat_store_short v[4:5], v25 offset:1024
	;; [unrolled: 1-line block ×6, first 2 shown]
.LBB886_305:
	s_and_saveexec_b64 s[2:3], s[0:1]
	s_cbranch_execz .LBB886_307
; %bb.306:
	v_lshl_add_u64 v[0:1], v[0:1], 1, v[2:3]
	v_add_co_u32_e32 v0, vcc, 0x2000, v0
	s_nop 1
	v_addc_co_u32_e32 v1, vcc, 0, v1, vcc
	flat_store_short v[0:1], v13 offset:3584
	s_endpgm
.LBB886_307:
	s_endpgm
	.section	.rodata,"a",@progbits
	.p2align	6, 0x0
	.amdhsa_kernel _ZN7rocprim17ROCPRIM_400000_NS6detail17trampoline_kernelINS0_14default_configENS1_27scan_by_key_config_selectorIssEEZZNS1_16scan_by_key_implILNS1_25lookback_scan_determinismE0ELb1ES3_N6thrust23THRUST_200600_302600_NS6detail15normal_iteratorINS9_10device_ptrIsEEEESE_SE_sNS9_4plusIsEE19head_flag_predicatesEE10hipError_tPvRmT2_T3_T4_T5_mT6_T7_P12ihipStream_tbENKUlT_T0_E_clISt17integral_constantIbLb0EESX_IbLb1EEEEDaST_SU_EUlST_E_NS1_11comp_targetILNS1_3genE5ELNS1_11target_archE942ELNS1_3gpuE9ELNS1_3repE0EEENS1_30default_config_static_selectorELNS0_4arch9wavefront6targetE1EEEvT1_
		.amdhsa_group_segment_fixed_size 13312
		.amdhsa_private_segment_fixed_size 0
		.amdhsa_kernarg_size 112
		.amdhsa_user_sgpr_count 2
		.amdhsa_user_sgpr_dispatch_ptr 0
		.amdhsa_user_sgpr_queue_ptr 0
		.amdhsa_user_sgpr_kernarg_segment_ptr 1
		.amdhsa_user_sgpr_dispatch_id 0
		.amdhsa_user_sgpr_kernarg_preload_length 0
		.amdhsa_user_sgpr_kernarg_preload_offset 0
		.amdhsa_user_sgpr_private_segment_size 0
		.amdhsa_uses_dynamic_stack 0
		.amdhsa_enable_private_segment 0
		.amdhsa_system_sgpr_workgroup_id_x 1
		.amdhsa_system_sgpr_workgroup_id_y 0
		.amdhsa_system_sgpr_workgroup_id_z 0
		.amdhsa_system_sgpr_workgroup_info 0
		.amdhsa_system_vgpr_workitem_id 0
		.amdhsa_next_free_vgpr 64
		.amdhsa_next_free_sgpr 75
		.amdhsa_accum_offset 64
		.amdhsa_reserve_vcc 1
		.amdhsa_float_round_mode_32 0
		.amdhsa_float_round_mode_16_64 0
		.amdhsa_float_denorm_mode_32 3
		.amdhsa_float_denorm_mode_16_64 3
		.amdhsa_dx10_clamp 1
		.amdhsa_ieee_mode 1
		.amdhsa_fp16_overflow 0
		.amdhsa_tg_split 0
		.amdhsa_exception_fp_ieee_invalid_op 0
		.amdhsa_exception_fp_denorm_src 0
		.amdhsa_exception_fp_ieee_div_zero 0
		.amdhsa_exception_fp_ieee_overflow 0
		.amdhsa_exception_fp_ieee_underflow 0
		.amdhsa_exception_fp_ieee_inexact 0
		.amdhsa_exception_int_div_zero 0
	.end_amdhsa_kernel
	.section	.text._ZN7rocprim17ROCPRIM_400000_NS6detail17trampoline_kernelINS0_14default_configENS1_27scan_by_key_config_selectorIssEEZZNS1_16scan_by_key_implILNS1_25lookback_scan_determinismE0ELb1ES3_N6thrust23THRUST_200600_302600_NS6detail15normal_iteratorINS9_10device_ptrIsEEEESE_SE_sNS9_4plusIsEE19head_flag_predicatesEE10hipError_tPvRmT2_T3_T4_T5_mT6_T7_P12ihipStream_tbENKUlT_T0_E_clISt17integral_constantIbLb0EESX_IbLb1EEEEDaST_SU_EUlST_E_NS1_11comp_targetILNS1_3genE5ELNS1_11target_archE942ELNS1_3gpuE9ELNS1_3repE0EEENS1_30default_config_static_selectorELNS0_4arch9wavefront6targetE1EEEvT1_,"axG",@progbits,_ZN7rocprim17ROCPRIM_400000_NS6detail17trampoline_kernelINS0_14default_configENS1_27scan_by_key_config_selectorIssEEZZNS1_16scan_by_key_implILNS1_25lookback_scan_determinismE0ELb1ES3_N6thrust23THRUST_200600_302600_NS6detail15normal_iteratorINS9_10device_ptrIsEEEESE_SE_sNS9_4plusIsEE19head_flag_predicatesEE10hipError_tPvRmT2_T3_T4_T5_mT6_T7_P12ihipStream_tbENKUlT_T0_E_clISt17integral_constantIbLb0EESX_IbLb1EEEEDaST_SU_EUlST_E_NS1_11comp_targetILNS1_3genE5ELNS1_11target_archE942ELNS1_3gpuE9ELNS1_3repE0EEENS1_30default_config_static_selectorELNS0_4arch9wavefront6targetE1EEEvT1_,comdat
.Lfunc_end886:
	.size	_ZN7rocprim17ROCPRIM_400000_NS6detail17trampoline_kernelINS0_14default_configENS1_27scan_by_key_config_selectorIssEEZZNS1_16scan_by_key_implILNS1_25lookback_scan_determinismE0ELb1ES3_N6thrust23THRUST_200600_302600_NS6detail15normal_iteratorINS9_10device_ptrIsEEEESE_SE_sNS9_4plusIsEE19head_flag_predicatesEE10hipError_tPvRmT2_T3_T4_T5_mT6_T7_P12ihipStream_tbENKUlT_T0_E_clISt17integral_constantIbLb0EESX_IbLb1EEEEDaST_SU_EUlST_E_NS1_11comp_targetILNS1_3genE5ELNS1_11target_archE942ELNS1_3gpuE9ELNS1_3repE0EEENS1_30default_config_static_selectorELNS0_4arch9wavefront6targetE1EEEvT1_, .Lfunc_end886-_ZN7rocprim17ROCPRIM_400000_NS6detail17trampoline_kernelINS0_14default_configENS1_27scan_by_key_config_selectorIssEEZZNS1_16scan_by_key_implILNS1_25lookback_scan_determinismE0ELb1ES3_N6thrust23THRUST_200600_302600_NS6detail15normal_iteratorINS9_10device_ptrIsEEEESE_SE_sNS9_4plusIsEE19head_flag_predicatesEE10hipError_tPvRmT2_T3_T4_T5_mT6_T7_P12ihipStream_tbENKUlT_T0_E_clISt17integral_constantIbLb0EESX_IbLb1EEEEDaST_SU_EUlST_E_NS1_11comp_targetILNS1_3genE5ELNS1_11target_archE942ELNS1_3gpuE9ELNS1_3repE0EEENS1_30default_config_static_selectorELNS0_4arch9wavefront6targetE1EEEvT1_
                                        ; -- End function
	.section	.AMDGPU.csdata,"",@progbits
; Kernel info:
; codeLenInByte = 16348
; NumSgprs: 81
; NumVgprs: 64
; NumAgprs: 0
; TotalNumVgprs: 64
; ScratchSize: 0
; MemoryBound: 0
; FloatMode: 240
; IeeeMode: 1
; LDSByteSize: 13312 bytes/workgroup (compile time only)
; SGPRBlocks: 10
; VGPRBlocks: 7
; NumSGPRsForWavesPerEU: 81
; NumVGPRsForWavesPerEU: 64
; AccumOffset: 64
; Occupancy: 4
; WaveLimiterHint : 1
; COMPUTE_PGM_RSRC2:SCRATCH_EN: 0
; COMPUTE_PGM_RSRC2:USER_SGPR: 2
; COMPUTE_PGM_RSRC2:TRAP_HANDLER: 0
; COMPUTE_PGM_RSRC2:TGID_X_EN: 1
; COMPUTE_PGM_RSRC2:TGID_Y_EN: 0
; COMPUTE_PGM_RSRC2:TGID_Z_EN: 0
; COMPUTE_PGM_RSRC2:TIDIG_COMP_CNT: 0
; COMPUTE_PGM_RSRC3_GFX90A:ACCUM_OFFSET: 15
; COMPUTE_PGM_RSRC3_GFX90A:TG_SPLIT: 0
	.section	.text._ZN7rocprim17ROCPRIM_400000_NS6detail17trampoline_kernelINS0_14default_configENS1_27scan_by_key_config_selectorIssEEZZNS1_16scan_by_key_implILNS1_25lookback_scan_determinismE0ELb1ES3_N6thrust23THRUST_200600_302600_NS6detail15normal_iteratorINS9_10device_ptrIsEEEESE_SE_sNS9_4plusIsEE19head_flag_predicatesEE10hipError_tPvRmT2_T3_T4_T5_mT6_T7_P12ihipStream_tbENKUlT_T0_E_clISt17integral_constantIbLb0EESX_IbLb1EEEEDaST_SU_EUlST_E_NS1_11comp_targetILNS1_3genE4ELNS1_11target_archE910ELNS1_3gpuE8ELNS1_3repE0EEENS1_30default_config_static_selectorELNS0_4arch9wavefront6targetE1EEEvT1_,"axG",@progbits,_ZN7rocprim17ROCPRIM_400000_NS6detail17trampoline_kernelINS0_14default_configENS1_27scan_by_key_config_selectorIssEEZZNS1_16scan_by_key_implILNS1_25lookback_scan_determinismE0ELb1ES3_N6thrust23THRUST_200600_302600_NS6detail15normal_iteratorINS9_10device_ptrIsEEEESE_SE_sNS9_4plusIsEE19head_flag_predicatesEE10hipError_tPvRmT2_T3_T4_T5_mT6_T7_P12ihipStream_tbENKUlT_T0_E_clISt17integral_constantIbLb0EESX_IbLb1EEEEDaST_SU_EUlST_E_NS1_11comp_targetILNS1_3genE4ELNS1_11target_archE910ELNS1_3gpuE8ELNS1_3repE0EEENS1_30default_config_static_selectorELNS0_4arch9wavefront6targetE1EEEvT1_,comdat
	.protected	_ZN7rocprim17ROCPRIM_400000_NS6detail17trampoline_kernelINS0_14default_configENS1_27scan_by_key_config_selectorIssEEZZNS1_16scan_by_key_implILNS1_25lookback_scan_determinismE0ELb1ES3_N6thrust23THRUST_200600_302600_NS6detail15normal_iteratorINS9_10device_ptrIsEEEESE_SE_sNS9_4plusIsEE19head_flag_predicatesEE10hipError_tPvRmT2_T3_T4_T5_mT6_T7_P12ihipStream_tbENKUlT_T0_E_clISt17integral_constantIbLb0EESX_IbLb1EEEEDaST_SU_EUlST_E_NS1_11comp_targetILNS1_3genE4ELNS1_11target_archE910ELNS1_3gpuE8ELNS1_3repE0EEENS1_30default_config_static_selectorELNS0_4arch9wavefront6targetE1EEEvT1_ ; -- Begin function _ZN7rocprim17ROCPRIM_400000_NS6detail17trampoline_kernelINS0_14default_configENS1_27scan_by_key_config_selectorIssEEZZNS1_16scan_by_key_implILNS1_25lookback_scan_determinismE0ELb1ES3_N6thrust23THRUST_200600_302600_NS6detail15normal_iteratorINS9_10device_ptrIsEEEESE_SE_sNS9_4plusIsEE19head_flag_predicatesEE10hipError_tPvRmT2_T3_T4_T5_mT6_T7_P12ihipStream_tbENKUlT_T0_E_clISt17integral_constantIbLb0EESX_IbLb1EEEEDaST_SU_EUlST_E_NS1_11comp_targetILNS1_3genE4ELNS1_11target_archE910ELNS1_3gpuE8ELNS1_3repE0EEENS1_30default_config_static_selectorELNS0_4arch9wavefront6targetE1EEEvT1_
	.globl	_ZN7rocprim17ROCPRIM_400000_NS6detail17trampoline_kernelINS0_14default_configENS1_27scan_by_key_config_selectorIssEEZZNS1_16scan_by_key_implILNS1_25lookback_scan_determinismE0ELb1ES3_N6thrust23THRUST_200600_302600_NS6detail15normal_iteratorINS9_10device_ptrIsEEEESE_SE_sNS9_4plusIsEE19head_flag_predicatesEE10hipError_tPvRmT2_T3_T4_T5_mT6_T7_P12ihipStream_tbENKUlT_T0_E_clISt17integral_constantIbLb0EESX_IbLb1EEEEDaST_SU_EUlST_E_NS1_11comp_targetILNS1_3genE4ELNS1_11target_archE910ELNS1_3gpuE8ELNS1_3repE0EEENS1_30default_config_static_selectorELNS0_4arch9wavefront6targetE1EEEvT1_
	.p2align	8
	.type	_ZN7rocprim17ROCPRIM_400000_NS6detail17trampoline_kernelINS0_14default_configENS1_27scan_by_key_config_selectorIssEEZZNS1_16scan_by_key_implILNS1_25lookback_scan_determinismE0ELb1ES3_N6thrust23THRUST_200600_302600_NS6detail15normal_iteratorINS9_10device_ptrIsEEEESE_SE_sNS9_4plusIsEE19head_flag_predicatesEE10hipError_tPvRmT2_T3_T4_T5_mT6_T7_P12ihipStream_tbENKUlT_T0_E_clISt17integral_constantIbLb0EESX_IbLb1EEEEDaST_SU_EUlST_E_NS1_11comp_targetILNS1_3genE4ELNS1_11target_archE910ELNS1_3gpuE8ELNS1_3repE0EEENS1_30default_config_static_selectorELNS0_4arch9wavefront6targetE1EEEvT1_,@function
_ZN7rocprim17ROCPRIM_400000_NS6detail17trampoline_kernelINS0_14default_configENS1_27scan_by_key_config_selectorIssEEZZNS1_16scan_by_key_implILNS1_25lookback_scan_determinismE0ELb1ES3_N6thrust23THRUST_200600_302600_NS6detail15normal_iteratorINS9_10device_ptrIsEEEESE_SE_sNS9_4plusIsEE19head_flag_predicatesEE10hipError_tPvRmT2_T3_T4_T5_mT6_T7_P12ihipStream_tbENKUlT_T0_E_clISt17integral_constantIbLb0EESX_IbLb1EEEEDaST_SU_EUlST_E_NS1_11comp_targetILNS1_3genE4ELNS1_11target_archE910ELNS1_3gpuE8ELNS1_3repE0EEENS1_30default_config_static_selectorELNS0_4arch9wavefront6targetE1EEEvT1_: ; @_ZN7rocprim17ROCPRIM_400000_NS6detail17trampoline_kernelINS0_14default_configENS1_27scan_by_key_config_selectorIssEEZZNS1_16scan_by_key_implILNS1_25lookback_scan_determinismE0ELb1ES3_N6thrust23THRUST_200600_302600_NS6detail15normal_iteratorINS9_10device_ptrIsEEEESE_SE_sNS9_4plusIsEE19head_flag_predicatesEE10hipError_tPvRmT2_T3_T4_T5_mT6_T7_P12ihipStream_tbENKUlT_T0_E_clISt17integral_constantIbLb0EESX_IbLb1EEEEDaST_SU_EUlST_E_NS1_11comp_targetILNS1_3genE4ELNS1_11target_archE910ELNS1_3gpuE8ELNS1_3repE0EEENS1_30default_config_static_selectorELNS0_4arch9wavefront6targetE1EEEvT1_
; %bb.0:
	.section	.rodata,"a",@progbits
	.p2align	6, 0x0
	.amdhsa_kernel _ZN7rocprim17ROCPRIM_400000_NS6detail17trampoline_kernelINS0_14default_configENS1_27scan_by_key_config_selectorIssEEZZNS1_16scan_by_key_implILNS1_25lookback_scan_determinismE0ELb1ES3_N6thrust23THRUST_200600_302600_NS6detail15normal_iteratorINS9_10device_ptrIsEEEESE_SE_sNS9_4plusIsEE19head_flag_predicatesEE10hipError_tPvRmT2_T3_T4_T5_mT6_T7_P12ihipStream_tbENKUlT_T0_E_clISt17integral_constantIbLb0EESX_IbLb1EEEEDaST_SU_EUlST_E_NS1_11comp_targetILNS1_3genE4ELNS1_11target_archE910ELNS1_3gpuE8ELNS1_3repE0EEENS1_30default_config_static_selectorELNS0_4arch9wavefront6targetE1EEEvT1_
		.amdhsa_group_segment_fixed_size 0
		.amdhsa_private_segment_fixed_size 0
		.amdhsa_kernarg_size 112
		.amdhsa_user_sgpr_count 2
		.amdhsa_user_sgpr_dispatch_ptr 0
		.amdhsa_user_sgpr_queue_ptr 0
		.amdhsa_user_sgpr_kernarg_segment_ptr 1
		.amdhsa_user_sgpr_dispatch_id 0
		.amdhsa_user_sgpr_kernarg_preload_length 0
		.amdhsa_user_sgpr_kernarg_preload_offset 0
		.amdhsa_user_sgpr_private_segment_size 0
		.amdhsa_uses_dynamic_stack 0
		.amdhsa_enable_private_segment 0
		.amdhsa_system_sgpr_workgroup_id_x 1
		.amdhsa_system_sgpr_workgroup_id_y 0
		.amdhsa_system_sgpr_workgroup_id_z 0
		.amdhsa_system_sgpr_workgroup_info 0
		.amdhsa_system_vgpr_workitem_id 0
		.amdhsa_next_free_vgpr 1
		.amdhsa_next_free_sgpr 0
		.amdhsa_accum_offset 4
		.amdhsa_reserve_vcc 0
		.amdhsa_float_round_mode_32 0
		.amdhsa_float_round_mode_16_64 0
		.amdhsa_float_denorm_mode_32 3
		.amdhsa_float_denorm_mode_16_64 3
		.amdhsa_dx10_clamp 1
		.amdhsa_ieee_mode 1
		.amdhsa_fp16_overflow 0
		.amdhsa_tg_split 0
		.amdhsa_exception_fp_ieee_invalid_op 0
		.amdhsa_exception_fp_denorm_src 0
		.amdhsa_exception_fp_ieee_div_zero 0
		.amdhsa_exception_fp_ieee_overflow 0
		.amdhsa_exception_fp_ieee_underflow 0
		.amdhsa_exception_fp_ieee_inexact 0
		.amdhsa_exception_int_div_zero 0
	.end_amdhsa_kernel
	.section	.text._ZN7rocprim17ROCPRIM_400000_NS6detail17trampoline_kernelINS0_14default_configENS1_27scan_by_key_config_selectorIssEEZZNS1_16scan_by_key_implILNS1_25lookback_scan_determinismE0ELb1ES3_N6thrust23THRUST_200600_302600_NS6detail15normal_iteratorINS9_10device_ptrIsEEEESE_SE_sNS9_4plusIsEE19head_flag_predicatesEE10hipError_tPvRmT2_T3_T4_T5_mT6_T7_P12ihipStream_tbENKUlT_T0_E_clISt17integral_constantIbLb0EESX_IbLb1EEEEDaST_SU_EUlST_E_NS1_11comp_targetILNS1_3genE4ELNS1_11target_archE910ELNS1_3gpuE8ELNS1_3repE0EEENS1_30default_config_static_selectorELNS0_4arch9wavefront6targetE1EEEvT1_,"axG",@progbits,_ZN7rocprim17ROCPRIM_400000_NS6detail17trampoline_kernelINS0_14default_configENS1_27scan_by_key_config_selectorIssEEZZNS1_16scan_by_key_implILNS1_25lookback_scan_determinismE0ELb1ES3_N6thrust23THRUST_200600_302600_NS6detail15normal_iteratorINS9_10device_ptrIsEEEESE_SE_sNS9_4plusIsEE19head_flag_predicatesEE10hipError_tPvRmT2_T3_T4_T5_mT6_T7_P12ihipStream_tbENKUlT_T0_E_clISt17integral_constantIbLb0EESX_IbLb1EEEEDaST_SU_EUlST_E_NS1_11comp_targetILNS1_3genE4ELNS1_11target_archE910ELNS1_3gpuE8ELNS1_3repE0EEENS1_30default_config_static_selectorELNS0_4arch9wavefront6targetE1EEEvT1_,comdat
.Lfunc_end887:
	.size	_ZN7rocprim17ROCPRIM_400000_NS6detail17trampoline_kernelINS0_14default_configENS1_27scan_by_key_config_selectorIssEEZZNS1_16scan_by_key_implILNS1_25lookback_scan_determinismE0ELb1ES3_N6thrust23THRUST_200600_302600_NS6detail15normal_iteratorINS9_10device_ptrIsEEEESE_SE_sNS9_4plusIsEE19head_flag_predicatesEE10hipError_tPvRmT2_T3_T4_T5_mT6_T7_P12ihipStream_tbENKUlT_T0_E_clISt17integral_constantIbLb0EESX_IbLb1EEEEDaST_SU_EUlST_E_NS1_11comp_targetILNS1_3genE4ELNS1_11target_archE910ELNS1_3gpuE8ELNS1_3repE0EEENS1_30default_config_static_selectorELNS0_4arch9wavefront6targetE1EEEvT1_, .Lfunc_end887-_ZN7rocprim17ROCPRIM_400000_NS6detail17trampoline_kernelINS0_14default_configENS1_27scan_by_key_config_selectorIssEEZZNS1_16scan_by_key_implILNS1_25lookback_scan_determinismE0ELb1ES3_N6thrust23THRUST_200600_302600_NS6detail15normal_iteratorINS9_10device_ptrIsEEEESE_SE_sNS9_4plusIsEE19head_flag_predicatesEE10hipError_tPvRmT2_T3_T4_T5_mT6_T7_P12ihipStream_tbENKUlT_T0_E_clISt17integral_constantIbLb0EESX_IbLb1EEEEDaST_SU_EUlST_E_NS1_11comp_targetILNS1_3genE4ELNS1_11target_archE910ELNS1_3gpuE8ELNS1_3repE0EEENS1_30default_config_static_selectorELNS0_4arch9wavefront6targetE1EEEvT1_
                                        ; -- End function
	.section	.AMDGPU.csdata,"",@progbits
; Kernel info:
; codeLenInByte = 0
; NumSgprs: 6
; NumVgprs: 0
; NumAgprs: 0
; TotalNumVgprs: 0
; ScratchSize: 0
; MemoryBound: 0
; FloatMode: 240
; IeeeMode: 1
; LDSByteSize: 0 bytes/workgroup (compile time only)
; SGPRBlocks: 0
; VGPRBlocks: 0
; NumSGPRsForWavesPerEU: 6
; NumVGPRsForWavesPerEU: 1
; AccumOffset: 4
; Occupancy: 8
; WaveLimiterHint : 0
; COMPUTE_PGM_RSRC2:SCRATCH_EN: 0
; COMPUTE_PGM_RSRC2:USER_SGPR: 2
; COMPUTE_PGM_RSRC2:TRAP_HANDLER: 0
; COMPUTE_PGM_RSRC2:TGID_X_EN: 1
; COMPUTE_PGM_RSRC2:TGID_Y_EN: 0
; COMPUTE_PGM_RSRC2:TGID_Z_EN: 0
; COMPUTE_PGM_RSRC2:TIDIG_COMP_CNT: 0
; COMPUTE_PGM_RSRC3_GFX90A:ACCUM_OFFSET: 0
; COMPUTE_PGM_RSRC3_GFX90A:TG_SPLIT: 0
	.section	.text._ZN7rocprim17ROCPRIM_400000_NS6detail17trampoline_kernelINS0_14default_configENS1_27scan_by_key_config_selectorIssEEZZNS1_16scan_by_key_implILNS1_25lookback_scan_determinismE0ELb1ES3_N6thrust23THRUST_200600_302600_NS6detail15normal_iteratorINS9_10device_ptrIsEEEESE_SE_sNS9_4plusIsEE19head_flag_predicatesEE10hipError_tPvRmT2_T3_T4_T5_mT6_T7_P12ihipStream_tbENKUlT_T0_E_clISt17integral_constantIbLb0EESX_IbLb1EEEEDaST_SU_EUlST_E_NS1_11comp_targetILNS1_3genE3ELNS1_11target_archE908ELNS1_3gpuE7ELNS1_3repE0EEENS1_30default_config_static_selectorELNS0_4arch9wavefront6targetE1EEEvT1_,"axG",@progbits,_ZN7rocprim17ROCPRIM_400000_NS6detail17trampoline_kernelINS0_14default_configENS1_27scan_by_key_config_selectorIssEEZZNS1_16scan_by_key_implILNS1_25lookback_scan_determinismE0ELb1ES3_N6thrust23THRUST_200600_302600_NS6detail15normal_iteratorINS9_10device_ptrIsEEEESE_SE_sNS9_4plusIsEE19head_flag_predicatesEE10hipError_tPvRmT2_T3_T4_T5_mT6_T7_P12ihipStream_tbENKUlT_T0_E_clISt17integral_constantIbLb0EESX_IbLb1EEEEDaST_SU_EUlST_E_NS1_11comp_targetILNS1_3genE3ELNS1_11target_archE908ELNS1_3gpuE7ELNS1_3repE0EEENS1_30default_config_static_selectorELNS0_4arch9wavefront6targetE1EEEvT1_,comdat
	.protected	_ZN7rocprim17ROCPRIM_400000_NS6detail17trampoline_kernelINS0_14default_configENS1_27scan_by_key_config_selectorIssEEZZNS1_16scan_by_key_implILNS1_25lookback_scan_determinismE0ELb1ES3_N6thrust23THRUST_200600_302600_NS6detail15normal_iteratorINS9_10device_ptrIsEEEESE_SE_sNS9_4plusIsEE19head_flag_predicatesEE10hipError_tPvRmT2_T3_T4_T5_mT6_T7_P12ihipStream_tbENKUlT_T0_E_clISt17integral_constantIbLb0EESX_IbLb1EEEEDaST_SU_EUlST_E_NS1_11comp_targetILNS1_3genE3ELNS1_11target_archE908ELNS1_3gpuE7ELNS1_3repE0EEENS1_30default_config_static_selectorELNS0_4arch9wavefront6targetE1EEEvT1_ ; -- Begin function _ZN7rocprim17ROCPRIM_400000_NS6detail17trampoline_kernelINS0_14default_configENS1_27scan_by_key_config_selectorIssEEZZNS1_16scan_by_key_implILNS1_25lookback_scan_determinismE0ELb1ES3_N6thrust23THRUST_200600_302600_NS6detail15normal_iteratorINS9_10device_ptrIsEEEESE_SE_sNS9_4plusIsEE19head_flag_predicatesEE10hipError_tPvRmT2_T3_T4_T5_mT6_T7_P12ihipStream_tbENKUlT_T0_E_clISt17integral_constantIbLb0EESX_IbLb1EEEEDaST_SU_EUlST_E_NS1_11comp_targetILNS1_3genE3ELNS1_11target_archE908ELNS1_3gpuE7ELNS1_3repE0EEENS1_30default_config_static_selectorELNS0_4arch9wavefront6targetE1EEEvT1_
	.globl	_ZN7rocprim17ROCPRIM_400000_NS6detail17trampoline_kernelINS0_14default_configENS1_27scan_by_key_config_selectorIssEEZZNS1_16scan_by_key_implILNS1_25lookback_scan_determinismE0ELb1ES3_N6thrust23THRUST_200600_302600_NS6detail15normal_iteratorINS9_10device_ptrIsEEEESE_SE_sNS9_4plusIsEE19head_flag_predicatesEE10hipError_tPvRmT2_T3_T4_T5_mT6_T7_P12ihipStream_tbENKUlT_T0_E_clISt17integral_constantIbLb0EESX_IbLb1EEEEDaST_SU_EUlST_E_NS1_11comp_targetILNS1_3genE3ELNS1_11target_archE908ELNS1_3gpuE7ELNS1_3repE0EEENS1_30default_config_static_selectorELNS0_4arch9wavefront6targetE1EEEvT1_
	.p2align	8
	.type	_ZN7rocprim17ROCPRIM_400000_NS6detail17trampoline_kernelINS0_14default_configENS1_27scan_by_key_config_selectorIssEEZZNS1_16scan_by_key_implILNS1_25lookback_scan_determinismE0ELb1ES3_N6thrust23THRUST_200600_302600_NS6detail15normal_iteratorINS9_10device_ptrIsEEEESE_SE_sNS9_4plusIsEE19head_flag_predicatesEE10hipError_tPvRmT2_T3_T4_T5_mT6_T7_P12ihipStream_tbENKUlT_T0_E_clISt17integral_constantIbLb0EESX_IbLb1EEEEDaST_SU_EUlST_E_NS1_11comp_targetILNS1_3genE3ELNS1_11target_archE908ELNS1_3gpuE7ELNS1_3repE0EEENS1_30default_config_static_selectorELNS0_4arch9wavefront6targetE1EEEvT1_,@function
_ZN7rocprim17ROCPRIM_400000_NS6detail17trampoline_kernelINS0_14default_configENS1_27scan_by_key_config_selectorIssEEZZNS1_16scan_by_key_implILNS1_25lookback_scan_determinismE0ELb1ES3_N6thrust23THRUST_200600_302600_NS6detail15normal_iteratorINS9_10device_ptrIsEEEESE_SE_sNS9_4plusIsEE19head_flag_predicatesEE10hipError_tPvRmT2_T3_T4_T5_mT6_T7_P12ihipStream_tbENKUlT_T0_E_clISt17integral_constantIbLb0EESX_IbLb1EEEEDaST_SU_EUlST_E_NS1_11comp_targetILNS1_3genE3ELNS1_11target_archE908ELNS1_3gpuE7ELNS1_3repE0EEENS1_30default_config_static_selectorELNS0_4arch9wavefront6targetE1EEEvT1_: ; @_ZN7rocprim17ROCPRIM_400000_NS6detail17trampoline_kernelINS0_14default_configENS1_27scan_by_key_config_selectorIssEEZZNS1_16scan_by_key_implILNS1_25lookback_scan_determinismE0ELb1ES3_N6thrust23THRUST_200600_302600_NS6detail15normal_iteratorINS9_10device_ptrIsEEEESE_SE_sNS9_4plusIsEE19head_flag_predicatesEE10hipError_tPvRmT2_T3_T4_T5_mT6_T7_P12ihipStream_tbENKUlT_T0_E_clISt17integral_constantIbLb0EESX_IbLb1EEEEDaST_SU_EUlST_E_NS1_11comp_targetILNS1_3genE3ELNS1_11target_archE908ELNS1_3gpuE7ELNS1_3repE0EEENS1_30default_config_static_selectorELNS0_4arch9wavefront6targetE1EEEvT1_
; %bb.0:
	.section	.rodata,"a",@progbits
	.p2align	6, 0x0
	.amdhsa_kernel _ZN7rocprim17ROCPRIM_400000_NS6detail17trampoline_kernelINS0_14default_configENS1_27scan_by_key_config_selectorIssEEZZNS1_16scan_by_key_implILNS1_25lookback_scan_determinismE0ELb1ES3_N6thrust23THRUST_200600_302600_NS6detail15normal_iteratorINS9_10device_ptrIsEEEESE_SE_sNS9_4plusIsEE19head_flag_predicatesEE10hipError_tPvRmT2_T3_T4_T5_mT6_T7_P12ihipStream_tbENKUlT_T0_E_clISt17integral_constantIbLb0EESX_IbLb1EEEEDaST_SU_EUlST_E_NS1_11comp_targetILNS1_3genE3ELNS1_11target_archE908ELNS1_3gpuE7ELNS1_3repE0EEENS1_30default_config_static_selectorELNS0_4arch9wavefront6targetE1EEEvT1_
		.amdhsa_group_segment_fixed_size 0
		.amdhsa_private_segment_fixed_size 0
		.amdhsa_kernarg_size 112
		.amdhsa_user_sgpr_count 2
		.amdhsa_user_sgpr_dispatch_ptr 0
		.amdhsa_user_sgpr_queue_ptr 0
		.amdhsa_user_sgpr_kernarg_segment_ptr 1
		.amdhsa_user_sgpr_dispatch_id 0
		.amdhsa_user_sgpr_kernarg_preload_length 0
		.amdhsa_user_sgpr_kernarg_preload_offset 0
		.amdhsa_user_sgpr_private_segment_size 0
		.amdhsa_uses_dynamic_stack 0
		.amdhsa_enable_private_segment 0
		.amdhsa_system_sgpr_workgroup_id_x 1
		.amdhsa_system_sgpr_workgroup_id_y 0
		.amdhsa_system_sgpr_workgroup_id_z 0
		.amdhsa_system_sgpr_workgroup_info 0
		.amdhsa_system_vgpr_workitem_id 0
		.amdhsa_next_free_vgpr 1
		.amdhsa_next_free_sgpr 0
		.amdhsa_accum_offset 4
		.amdhsa_reserve_vcc 0
		.amdhsa_float_round_mode_32 0
		.amdhsa_float_round_mode_16_64 0
		.amdhsa_float_denorm_mode_32 3
		.amdhsa_float_denorm_mode_16_64 3
		.amdhsa_dx10_clamp 1
		.amdhsa_ieee_mode 1
		.amdhsa_fp16_overflow 0
		.amdhsa_tg_split 0
		.amdhsa_exception_fp_ieee_invalid_op 0
		.amdhsa_exception_fp_denorm_src 0
		.amdhsa_exception_fp_ieee_div_zero 0
		.amdhsa_exception_fp_ieee_overflow 0
		.amdhsa_exception_fp_ieee_underflow 0
		.amdhsa_exception_fp_ieee_inexact 0
		.amdhsa_exception_int_div_zero 0
	.end_amdhsa_kernel
	.section	.text._ZN7rocprim17ROCPRIM_400000_NS6detail17trampoline_kernelINS0_14default_configENS1_27scan_by_key_config_selectorIssEEZZNS1_16scan_by_key_implILNS1_25lookback_scan_determinismE0ELb1ES3_N6thrust23THRUST_200600_302600_NS6detail15normal_iteratorINS9_10device_ptrIsEEEESE_SE_sNS9_4plusIsEE19head_flag_predicatesEE10hipError_tPvRmT2_T3_T4_T5_mT6_T7_P12ihipStream_tbENKUlT_T0_E_clISt17integral_constantIbLb0EESX_IbLb1EEEEDaST_SU_EUlST_E_NS1_11comp_targetILNS1_3genE3ELNS1_11target_archE908ELNS1_3gpuE7ELNS1_3repE0EEENS1_30default_config_static_selectorELNS0_4arch9wavefront6targetE1EEEvT1_,"axG",@progbits,_ZN7rocprim17ROCPRIM_400000_NS6detail17trampoline_kernelINS0_14default_configENS1_27scan_by_key_config_selectorIssEEZZNS1_16scan_by_key_implILNS1_25lookback_scan_determinismE0ELb1ES3_N6thrust23THRUST_200600_302600_NS6detail15normal_iteratorINS9_10device_ptrIsEEEESE_SE_sNS9_4plusIsEE19head_flag_predicatesEE10hipError_tPvRmT2_T3_T4_T5_mT6_T7_P12ihipStream_tbENKUlT_T0_E_clISt17integral_constantIbLb0EESX_IbLb1EEEEDaST_SU_EUlST_E_NS1_11comp_targetILNS1_3genE3ELNS1_11target_archE908ELNS1_3gpuE7ELNS1_3repE0EEENS1_30default_config_static_selectorELNS0_4arch9wavefront6targetE1EEEvT1_,comdat
.Lfunc_end888:
	.size	_ZN7rocprim17ROCPRIM_400000_NS6detail17trampoline_kernelINS0_14default_configENS1_27scan_by_key_config_selectorIssEEZZNS1_16scan_by_key_implILNS1_25lookback_scan_determinismE0ELb1ES3_N6thrust23THRUST_200600_302600_NS6detail15normal_iteratorINS9_10device_ptrIsEEEESE_SE_sNS9_4plusIsEE19head_flag_predicatesEE10hipError_tPvRmT2_T3_T4_T5_mT6_T7_P12ihipStream_tbENKUlT_T0_E_clISt17integral_constantIbLb0EESX_IbLb1EEEEDaST_SU_EUlST_E_NS1_11comp_targetILNS1_3genE3ELNS1_11target_archE908ELNS1_3gpuE7ELNS1_3repE0EEENS1_30default_config_static_selectorELNS0_4arch9wavefront6targetE1EEEvT1_, .Lfunc_end888-_ZN7rocprim17ROCPRIM_400000_NS6detail17trampoline_kernelINS0_14default_configENS1_27scan_by_key_config_selectorIssEEZZNS1_16scan_by_key_implILNS1_25lookback_scan_determinismE0ELb1ES3_N6thrust23THRUST_200600_302600_NS6detail15normal_iteratorINS9_10device_ptrIsEEEESE_SE_sNS9_4plusIsEE19head_flag_predicatesEE10hipError_tPvRmT2_T3_T4_T5_mT6_T7_P12ihipStream_tbENKUlT_T0_E_clISt17integral_constantIbLb0EESX_IbLb1EEEEDaST_SU_EUlST_E_NS1_11comp_targetILNS1_3genE3ELNS1_11target_archE908ELNS1_3gpuE7ELNS1_3repE0EEENS1_30default_config_static_selectorELNS0_4arch9wavefront6targetE1EEEvT1_
                                        ; -- End function
	.section	.AMDGPU.csdata,"",@progbits
; Kernel info:
; codeLenInByte = 0
; NumSgprs: 6
; NumVgprs: 0
; NumAgprs: 0
; TotalNumVgprs: 0
; ScratchSize: 0
; MemoryBound: 0
; FloatMode: 240
; IeeeMode: 1
; LDSByteSize: 0 bytes/workgroup (compile time only)
; SGPRBlocks: 0
; VGPRBlocks: 0
; NumSGPRsForWavesPerEU: 6
; NumVGPRsForWavesPerEU: 1
; AccumOffset: 4
; Occupancy: 8
; WaveLimiterHint : 0
; COMPUTE_PGM_RSRC2:SCRATCH_EN: 0
; COMPUTE_PGM_RSRC2:USER_SGPR: 2
; COMPUTE_PGM_RSRC2:TRAP_HANDLER: 0
; COMPUTE_PGM_RSRC2:TGID_X_EN: 1
; COMPUTE_PGM_RSRC2:TGID_Y_EN: 0
; COMPUTE_PGM_RSRC2:TGID_Z_EN: 0
; COMPUTE_PGM_RSRC2:TIDIG_COMP_CNT: 0
; COMPUTE_PGM_RSRC3_GFX90A:ACCUM_OFFSET: 0
; COMPUTE_PGM_RSRC3_GFX90A:TG_SPLIT: 0
	.section	.text._ZN7rocprim17ROCPRIM_400000_NS6detail17trampoline_kernelINS0_14default_configENS1_27scan_by_key_config_selectorIssEEZZNS1_16scan_by_key_implILNS1_25lookback_scan_determinismE0ELb1ES3_N6thrust23THRUST_200600_302600_NS6detail15normal_iteratorINS9_10device_ptrIsEEEESE_SE_sNS9_4plusIsEE19head_flag_predicatesEE10hipError_tPvRmT2_T3_T4_T5_mT6_T7_P12ihipStream_tbENKUlT_T0_E_clISt17integral_constantIbLb0EESX_IbLb1EEEEDaST_SU_EUlST_E_NS1_11comp_targetILNS1_3genE2ELNS1_11target_archE906ELNS1_3gpuE6ELNS1_3repE0EEENS1_30default_config_static_selectorELNS0_4arch9wavefront6targetE1EEEvT1_,"axG",@progbits,_ZN7rocprim17ROCPRIM_400000_NS6detail17trampoline_kernelINS0_14default_configENS1_27scan_by_key_config_selectorIssEEZZNS1_16scan_by_key_implILNS1_25lookback_scan_determinismE0ELb1ES3_N6thrust23THRUST_200600_302600_NS6detail15normal_iteratorINS9_10device_ptrIsEEEESE_SE_sNS9_4plusIsEE19head_flag_predicatesEE10hipError_tPvRmT2_T3_T4_T5_mT6_T7_P12ihipStream_tbENKUlT_T0_E_clISt17integral_constantIbLb0EESX_IbLb1EEEEDaST_SU_EUlST_E_NS1_11comp_targetILNS1_3genE2ELNS1_11target_archE906ELNS1_3gpuE6ELNS1_3repE0EEENS1_30default_config_static_selectorELNS0_4arch9wavefront6targetE1EEEvT1_,comdat
	.protected	_ZN7rocprim17ROCPRIM_400000_NS6detail17trampoline_kernelINS0_14default_configENS1_27scan_by_key_config_selectorIssEEZZNS1_16scan_by_key_implILNS1_25lookback_scan_determinismE0ELb1ES3_N6thrust23THRUST_200600_302600_NS6detail15normal_iteratorINS9_10device_ptrIsEEEESE_SE_sNS9_4plusIsEE19head_flag_predicatesEE10hipError_tPvRmT2_T3_T4_T5_mT6_T7_P12ihipStream_tbENKUlT_T0_E_clISt17integral_constantIbLb0EESX_IbLb1EEEEDaST_SU_EUlST_E_NS1_11comp_targetILNS1_3genE2ELNS1_11target_archE906ELNS1_3gpuE6ELNS1_3repE0EEENS1_30default_config_static_selectorELNS0_4arch9wavefront6targetE1EEEvT1_ ; -- Begin function _ZN7rocprim17ROCPRIM_400000_NS6detail17trampoline_kernelINS0_14default_configENS1_27scan_by_key_config_selectorIssEEZZNS1_16scan_by_key_implILNS1_25lookback_scan_determinismE0ELb1ES3_N6thrust23THRUST_200600_302600_NS6detail15normal_iteratorINS9_10device_ptrIsEEEESE_SE_sNS9_4plusIsEE19head_flag_predicatesEE10hipError_tPvRmT2_T3_T4_T5_mT6_T7_P12ihipStream_tbENKUlT_T0_E_clISt17integral_constantIbLb0EESX_IbLb1EEEEDaST_SU_EUlST_E_NS1_11comp_targetILNS1_3genE2ELNS1_11target_archE906ELNS1_3gpuE6ELNS1_3repE0EEENS1_30default_config_static_selectorELNS0_4arch9wavefront6targetE1EEEvT1_
	.globl	_ZN7rocprim17ROCPRIM_400000_NS6detail17trampoline_kernelINS0_14default_configENS1_27scan_by_key_config_selectorIssEEZZNS1_16scan_by_key_implILNS1_25lookback_scan_determinismE0ELb1ES3_N6thrust23THRUST_200600_302600_NS6detail15normal_iteratorINS9_10device_ptrIsEEEESE_SE_sNS9_4plusIsEE19head_flag_predicatesEE10hipError_tPvRmT2_T3_T4_T5_mT6_T7_P12ihipStream_tbENKUlT_T0_E_clISt17integral_constantIbLb0EESX_IbLb1EEEEDaST_SU_EUlST_E_NS1_11comp_targetILNS1_3genE2ELNS1_11target_archE906ELNS1_3gpuE6ELNS1_3repE0EEENS1_30default_config_static_selectorELNS0_4arch9wavefront6targetE1EEEvT1_
	.p2align	8
	.type	_ZN7rocprim17ROCPRIM_400000_NS6detail17trampoline_kernelINS0_14default_configENS1_27scan_by_key_config_selectorIssEEZZNS1_16scan_by_key_implILNS1_25lookback_scan_determinismE0ELb1ES3_N6thrust23THRUST_200600_302600_NS6detail15normal_iteratorINS9_10device_ptrIsEEEESE_SE_sNS9_4plusIsEE19head_flag_predicatesEE10hipError_tPvRmT2_T3_T4_T5_mT6_T7_P12ihipStream_tbENKUlT_T0_E_clISt17integral_constantIbLb0EESX_IbLb1EEEEDaST_SU_EUlST_E_NS1_11comp_targetILNS1_3genE2ELNS1_11target_archE906ELNS1_3gpuE6ELNS1_3repE0EEENS1_30default_config_static_selectorELNS0_4arch9wavefront6targetE1EEEvT1_,@function
_ZN7rocprim17ROCPRIM_400000_NS6detail17trampoline_kernelINS0_14default_configENS1_27scan_by_key_config_selectorIssEEZZNS1_16scan_by_key_implILNS1_25lookback_scan_determinismE0ELb1ES3_N6thrust23THRUST_200600_302600_NS6detail15normal_iteratorINS9_10device_ptrIsEEEESE_SE_sNS9_4plusIsEE19head_flag_predicatesEE10hipError_tPvRmT2_T3_T4_T5_mT6_T7_P12ihipStream_tbENKUlT_T0_E_clISt17integral_constantIbLb0EESX_IbLb1EEEEDaST_SU_EUlST_E_NS1_11comp_targetILNS1_3genE2ELNS1_11target_archE906ELNS1_3gpuE6ELNS1_3repE0EEENS1_30default_config_static_selectorELNS0_4arch9wavefront6targetE1EEEvT1_: ; @_ZN7rocprim17ROCPRIM_400000_NS6detail17trampoline_kernelINS0_14default_configENS1_27scan_by_key_config_selectorIssEEZZNS1_16scan_by_key_implILNS1_25lookback_scan_determinismE0ELb1ES3_N6thrust23THRUST_200600_302600_NS6detail15normal_iteratorINS9_10device_ptrIsEEEESE_SE_sNS9_4plusIsEE19head_flag_predicatesEE10hipError_tPvRmT2_T3_T4_T5_mT6_T7_P12ihipStream_tbENKUlT_T0_E_clISt17integral_constantIbLb0EESX_IbLb1EEEEDaST_SU_EUlST_E_NS1_11comp_targetILNS1_3genE2ELNS1_11target_archE906ELNS1_3gpuE6ELNS1_3repE0EEENS1_30default_config_static_selectorELNS0_4arch9wavefront6targetE1EEEvT1_
; %bb.0:
	.section	.rodata,"a",@progbits
	.p2align	6, 0x0
	.amdhsa_kernel _ZN7rocprim17ROCPRIM_400000_NS6detail17trampoline_kernelINS0_14default_configENS1_27scan_by_key_config_selectorIssEEZZNS1_16scan_by_key_implILNS1_25lookback_scan_determinismE0ELb1ES3_N6thrust23THRUST_200600_302600_NS6detail15normal_iteratorINS9_10device_ptrIsEEEESE_SE_sNS9_4plusIsEE19head_flag_predicatesEE10hipError_tPvRmT2_T3_T4_T5_mT6_T7_P12ihipStream_tbENKUlT_T0_E_clISt17integral_constantIbLb0EESX_IbLb1EEEEDaST_SU_EUlST_E_NS1_11comp_targetILNS1_3genE2ELNS1_11target_archE906ELNS1_3gpuE6ELNS1_3repE0EEENS1_30default_config_static_selectorELNS0_4arch9wavefront6targetE1EEEvT1_
		.amdhsa_group_segment_fixed_size 0
		.amdhsa_private_segment_fixed_size 0
		.amdhsa_kernarg_size 112
		.amdhsa_user_sgpr_count 2
		.amdhsa_user_sgpr_dispatch_ptr 0
		.amdhsa_user_sgpr_queue_ptr 0
		.amdhsa_user_sgpr_kernarg_segment_ptr 1
		.amdhsa_user_sgpr_dispatch_id 0
		.amdhsa_user_sgpr_kernarg_preload_length 0
		.amdhsa_user_sgpr_kernarg_preload_offset 0
		.amdhsa_user_sgpr_private_segment_size 0
		.amdhsa_uses_dynamic_stack 0
		.amdhsa_enable_private_segment 0
		.amdhsa_system_sgpr_workgroup_id_x 1
		.amdhsa_system_sgpr_workgroup_id_y 0
		.amdhsa_system_sgpr_workgroup_id_z 0
		.amdhsa_system_sgpr_workgroup_info 0
		.amdhsa_system_vgpr_workitem_id 0
		.amdhsa_next_free_vgpr 1
		.amdhsa_next_free_sgpr 0
		.amdhsa_accum_offset 4
		.amdhsa_reserve_vcc 0
		.amdhsa_float_round_mode_32 0
		.amdhsa_float_round_mode_16_64 0
		.amdhsa_float_denorm_mode_32 3
		.amdhsa_float_denorm_mode_16_64 3
		.amdhsa_dx10_clamp 1
		.amdhsa_ieee_mode 1
		.amdhsa_fp16_overflow 0
		.amdhsa_tg_split 0
		.amdhsa_exception_fp_ieee_invalid_op 0
		.amdhsa_exception_fp_denorm_src 0
		.amdhsa_exception_fp_ieee_div_zero 0
		.amdhsa_exception_fp_ieee_overflow 0
		.amdhsa_exception_fp_ieee_underflow 0
		.amdhsa_exception_fp_ieee_inexact 0
		.amdhsa_exception_int_div_zero 0
	.end_amdhsa_kernel
	.section	.text._ZN7rocprim17ROCPRIM_400000_NS6detail17trampoline_kernelINS0_14default_configENS1_27scan_by_key_config_selectorIssEEZZNS1_16scan_by_key_implILNS1_25lookback_scan_determinismE0ELb1ES3_N6thrust23THRUST_200600_302600_NS6detail15normal_iteratorINS9_10device_ptrIsEEEESE_SE_sNS9_4plusIsEE19head_flag_predicatesEE10hipError_tPvRmT2_T3_T4_T5_mT6_T7_P12ihipStream_tbENKUlT_T0_E_clISt17integral_constantIbLb0EESX_IbLb1EEEEDaST_SU_EUlST_E_NS1_11comp_targetILNS1_3genE2ELNS1_11target_archE906ELNS1_3gpuE6ELNS1_3repE0EEENS1_30default_config_static_selectorELNS0_4arch9wavefront6targetE1EEEvT1_,"axG",@progbits,_ZN7rocprim17ROCPRIM_400000_NS6detail17trampoline_kernelINS0_14default_configENS1_27scan_by_key_config_selectorIssEEZZNS1_16scan_by_key_implILNS1_25lookback_scan_determinismE0ELb1ES3_N6thrust23THRUST_200600_302600_NS6detail15normal_iteratorINS9_10device_ptrIsEEEESE_SE_sNS9_4plusIsEE19head_flag_predicatesEE10hipError_tPvRmT2_T3_T4_T5_mT6_T7_P12ihipStream_tbENKUlT_T0_E_clISt17integral_constantIbLb0EESX_IbLb1EEEEDaST_SU_EUlST_E_NS1_11comp_targetILNS1_3genE2ELNS1_11target_archE906ELNS1_3gpuE6ELNS1_3repE0EEENS1_30default_config_static_selectorELNS0_4arch9wavefront6targetE1EEEvT1_,comdat
.Lfunc_end889:
	.size	_ZN7rocprim17ROCPRIM_400000_NS6detail17trampoline_kernelINS0_14default_configENS1_27scan_by_key_config_selectorIssEEZZNS1_16scan_by_key_implILNS1_25lookback_scan_determinismE0ELb1ES3_N6thrust23THRUST_200600_302600_NS6detail15normal_iteratorINS9_10device_ptrIsEEEESE_SE_sNS9_4plusIsEE19head_flag_predicatesEE10hipError_tPvRmT2_T3_T4_T5_mT6_T7_P12ihipStream_tbENKUlT_T0_E_clISt17integral_constantIbLb0EESX_IbLb1EEEEDaST_SU_EUlST_E_NS1_11comp_targetILNS1_3genE2ELNS1_11target_archE906ELNS1_3gpuE6ELNS1_3repE0EEENS1_30default_config_static_selectorELNS0_4arch9wavefront6targetE1EEEvT1_, .Lfunc_end889-_ZN7rocprim17ROCPRIM_400000_NS6detail17trampoline_kernelINS0_14default_configENS1_27scan_by_key_config_selectorIssEEZZNS1_16scan_by_key_implILNS1_25lookback_scan_determinismE0ELb1ES3_N6thrust23THRUST_200600_302600_NS6detail15normal_iteratorINS9_10device_ptrIsEEEESE_SE_sNS9_4plusIsEE19head_flag_predicatesEE10hipError_tPvRmT2_T3_T4_T5_mT6_T7_P12ihipStream_tbENKUlT_T0_E_clISt17integral_constantIbLb0EESX_IbLb1EEEEDaST_SU_EUlST_E_NS1_11comp_targetILNS1_3genE2ELNS1_11target_archE906ELNS1_3gpuE6ELNS1_3repE0EEENS1_30default_config_static_selectorELNS0_4arch9wavefront6targetE1EEEvT1_
                                        ; -- End function
	.section	.AMDGPU.csdata,"",@progbits
; Kernel info:
; codeLenInByte = 0
; NumSgprs: 6
; NumVgprs: 0
; NumAgprs: 0
; TotalNumVgprs: 0
; ScratchSize: 0
; MemoryBound: 0
; FloatMode: 240
; IeeeMode: 1
; LDSByteSize: 0 bytes/workgroup (compile time only)
; SGPRBlocks: 0
; VGPRBlocks: 0
; NumSGPRsForWavesPerEU: 6
; NumVGPRsForWavesPerEU: 1
; AccumOffset: 4
; Occupancy: 8
; WaveLimiterHint : 0
; COMPUTE_PGM_RSRC2:SCRATCH_EN: 0
; COMPUTE_PGM_RSRC2:USER_SGPR: 2
; COMPUTE_PGM_RSRC2:TRAP_HANDLER: 0
; COMPUTE_PGM_RSRC2:TGID_X_EN: 1
; COMPUTE_PGM_RSRC2:TGID_Y_EN: 0
; COMPUTE_PGM_RSRC2:TGID_Z_EN: 0
; COMPUTE_PGM_RSRC2:TIDIG_COMP_CNT: 0
; COMPUTE_PGM_RSRC3_GFX90A:ACCUM_OFFSET: 0
; COMPUTE_PGM_RSRC3_GFX90A:TG_SPLIT: 0
	.section	.text._ZN7rocprim17ROCPRIM_400000_NS6detail17trampoline_kernelINS0_14default_configENS1_27scan_by_key_config_selectorIssEEZZNS1_16scan_by_key_implILNS1_25lookback_scan_determinismE0ELb1ES3_N6thrust23THRUST_200600_302600_NS6detail15normal_iteratorINS9_10device_ptrIsEEEESE_SE_sNS9_4plusIsEE19head_flag_predicatesEE10hipError_tPvRmT2_T3_T4_T5_mT6_T7_P12ihipStream_tbENKUlT_T0_E_clISt17integral_constantIbLb0EESX_IbLb1EEEEDaST_SU_EUlST_E_NS1_11comp_targetILNS1_3genE10ELNS1_11target_archE1200ELNS1_3gpuE4ELNS1_3repE0EEENS1_30default_config_static_selectorELNS0_4arch9wavefront6targetE1EEEvT1_,"axG",@progbits,_ZN7rocprim17ROCPRIM_400000_NS6detail17trampoline_kernelINS0_14default_configENS1_27scan_by_key_config_selectorIssEEZZNS1_16scan_by_key_implILNS1_25lookback_scan_determinismE0ELb1ES3_N6thrust23THRUST_200600_302600_NS6detail15normal_iteratorINS9_10device_ptrIsEEEESE_SE_sNS9_4plusIsEE19head_flag_predicatesEE10hipError_tPvRmT2_T3_T4_T5_mT6_T7_P12ihipStream_tbENKUlT_T0_E_clISt17integral_constantIbLb0EESX_IbLb1EEEEDaST_SU_EUlST_E_NS1_11comp_targetILNS1_3genE10ELNS1_11target_archE1200ELNS1_3gpuE4ELNS1_3repE0EEENS1_30default_config_static_selectorELNS0_4arch9wavefront6targetE1EEEvT1_,comdat
	.protected	_ZN7rocprim17ROCPRIM_400000_NS6detail17trampoline_kernelINS0_14default_configENS1_27scan_by_key_config_selectorIssEEZZNS1_16scan_by_key_implILNS1_25lookback_scan_determinismE0ELb1ES3_N6thrust23THRUST_200600_302600_NS6detail15normal_iteratorINS9_10device_ptrIsEEEESE_SE_sNS9_4plusIsEE19head_flag_predicatesEE10hipError_tPvRmT2_T3_T4_T5_mT6_T7_P12ihipStream_tbENKUlT_T0_E_clISt17integral_constantIbLb0EESX_IbLb1EEEEDaST_SU_EUlST_E_NS1_11comp_targetILNS1_3genE10ELNS1_11target_archE1200ELNS1_3gpuE4ELNS1_3repE0EEENS1_30default_config_static_selectorELNS0_4arch9wavefront6targetE1EEEvT1_ ; -- Begin function _ZN7rocprim17ROCPRIM_400000_NS6detail17trampoline_kernelINS0_14default_configENS1_27scan_by_key_config_selectorIssEEZZNS1_16scan_by_key_implILNS1_25lookback_scan_determinismE0ELb1ES3_N6thrust23THRUST_200600_302600_NS6detail15normal_iteratorINS9_10device_ptrIsEEEESE_SE_sNS9_4plusIsEE19head_flag_predicatesEE10hipError_tPvRmT2_T3_T4_T5_mT6_T7_P12ihipStream_tbENKUlT_T0_E_clISt17integral_constantIbLb0EESX_IbLb1EEEEDaST_SU_EUlST_E_NS1_11comp_targetILNS1_3genE10ELNS1_11target_archE1200ELNS1_3gpuE4ELNS1_3repE0EEENS1_30default_config_static_selectorELNS0_4arch9wavefront6targetE1EEEvT1_
	.globl	_ZN7rocprim17ROCPRIM_400000_NS6detail17trampoline_kernelINS0_14default_configENS1_27scan_by_key_config_selectorIssEEZZNS1_16scan_by_key_implILNS1_25lookback_scan_determinismE0ELb1ES3_N6thrust23THRUST_200600_302600_NS6detail15normal_iteratorINS9_10device_ptrIsEEEESE_SE_sNS9_4plusIsEE19head_flag_predicatesEE10hipError_tPvRmT2_T3_T4_T5_mT6_T7_P12ihipStream_tbENKUlT_T0_E_clISt17integral_constantIbLb0EESX_IbLb1EEEEDaST_SU_EUlST_E_NS1_11comp_targetILNS1_3genE10ELNS1_11target_archE1200ELNS1_3gpuE4ELNS1_3repE0EEENS1_30default_config_static_selectorELNS0_4arch9wavefront6targetE1EEEvT1_
	.p2align	8
	.type	_ZN7rocprim17ROCPRIM_400000_NS6detail17trampoline_kernelINS0_14default_configENS1_27scan_by_key_config_selectorIssEEZZNS1_16scan_by_key_implILNS1_25lookback_scan_determinismE0ELb1ES3_N6thrust23THRUST_200600_302600_NS6detail15normal_iteratorINS9_10device_ptrIsEEEESE_SE_sNS9_4plusIsEE19head_flag_predicatesEE10hipError_tPvRmT2_T3_T4_T5_mT6_T7_P12ihipStream_tbENKUlT_T0_E_clISt17integral_constantIbLb0EESX_IbLb1EEEEDaST_SU_EUlST_E_NS1_11comp_targetILNS1_3genE10ELNS1_11target_archE1200ELNS1_3gpuE4ELNS1_3repE0EEENS1_30default_config_static_selectorELNS0_4arch9wavefront6targetE1EEEvT1_,@function
_ZN7rocprim17ROCPRIM_400000_NS6detail17trampoline_kernelINS0_14default_configENS1_27scan_by_key_config_selectorIssEEZZNS1_16scan_by_key_implILNS1_25lookback_scan_determinismE0ELb1ES3_N6thrust23THRUST_200600_302600_NS6detail15normal_iteratorINS9_10device_ptrIsEEEESE_SE_sNS9_4plusIsEE19head_flag_predicatesEE10hipError_tPvRmT2_T3_T4_T5_mT6_T7_P12ihipStream_tbENKUlT_T0_E_clISt17integral_constantIbLb0EESX_IbLb1EEEEDaST_SU_EUlST_E_NS1_11comp_targetILNS1_3genE10ELNS1_11target_archE1200ELNS1_3gpuE4ELNS1_3repE0EEENS1_30default_config_static_selectorELNS0_4arch9wavefront6targetE1EEEvT1_: ; @_ZN7rocprim17ROCPRIM_400000_NS6detail17trampoline_kernelINS0_14default_configENS1_27scan_by_key_config_selectorIssEEZZNS1_16scan_by_key_implILNS1_25lookback_scan_determinismE0ELb1ES3_N6thrust23THRUST_200600_302600_NS6detail15normal_iteratorINS9_10device_ptrIsEEEESE_SE_sNS9_4plusIsEE19head_flag_predicatesEE10hipError_tPvRmT2_T3_T4_T5_mT6_T7_P12ihipStream_tbENKUlT_T0_E_clISt17integral_constantIbLb0EESX_IbLb1EEEEDaST_SU_EUlST_E_NS1_11comp_targetILNS1_3genE10ELNS1_11target_archE1200ELNS1_3gpuE4ELNS1_3repE0EEENS1_30default_config_static_selectorELNS0_4arch9wavefront6targetE1EEEvT1_
; %bb.0:
	.section	.rodata,"a",@progbits
	.p2align	6, 0x0
	.amdhsa_kernel _ZN7rocprim17ROCPRIM_400000_NS6detail17trampoline_kernelINS0_14default_configENS1_27scan_by_key_config_selectorIssEEZZNS1_16scan_by_key_implILNS1_25lookback_scan_determinismE0ELb1ES3_N6thrust23THRUST_200600_302600_NS6detail15normal_iteratorINS9_10device_ptrIsEEEESE_SE_sNS9_4plusIsEE19head_flag_predicatesEE10hipError_tPvRmT2_T3_T4_T5_mT6_T7_P12ihipStream_tbENKUlT_T0_E_clISt17integral_constantIbLb0EESX_IbLb1EEEEDaST_SU_EUlST_E_NS1_11comp_targetILNS1_3genE10ELNS1_11target_archE1200ELNS1_3gpuE4ELNS1_3repE0EEENS1_30default_config_static_selectorELNS0_4arch9wavefront6targetE1EEEvT1_
		.amdhsa_group_segment_fixed_size 0
		.amdhsa_private_segment_fixed_size 0
		.amdhsa_kernarg_size 112
		.amdhsa_user_sgpr_count 2
		.amdhsa_user_sgpr_dispatch_ptr 0
		.amdhsa_user_sgpr_queue_ptr 0
		.amdhsa_user_sgpr_kernarg_segment_ptr 1
		.amdhsa_user_sgpr_dispatch_id 0
		.amdhsa_user_sgpr_kernarg_preload_length 0
		.amdhsa_user_sgpr_kernarg_preload_offset 0
		.amdhsa_user_sgpr_private_segment_size 0
		.amdhsa_uses_dynamic_stack 0
		.amdhsa_enable_private_segment 0
		.amdhsa_system_sgpr_workgroup_id_x 1
		.amdhsa_system_sgpr_workgroup_id_y 0
		.amdhsa_system_sgpr_workgroup_id_z 0
		.amdhsa_system_sgpr_workgroup_info 0
		.amdhsa_system_vgpr_workitem_id 0
		.amdhsa_next_free_vgpr 1
		.amdhsa_next_free_sgpr 0
		.amdhsa_accum_offset 4
		.amdhsa_reserve_vcc 0
		.amdhsa_float_round_mode_32 0
		.amdhsa_float_round_mode_16_64 0
		.amdhsa_float_denorm_mode_32 3
		.amdhsa_float_denorm_mode_16_64 3
		.amdhsa_dx10_clamp 1
		.amdhsa_ieee_mode 1
		.amdhsa_fp16_overflow 0
		.amdhsa_tg_split 0
		.amdhsa_exception_fp_ieee_invalid_op 0
		.amdhsa_exception_fp_denorm_src 0
		.amdhsa_exception_fp_ieee_div_zero 0
		.amdhsa_exception_fp_ieee_overflow 0
		.amdhsa_exception_fp_ieee_underflow 0
		.amdhsa_exception_fp_ieee_inexact 0
		.amdhsa_exception_int_div_zero 0
	.end_amdhsa_kernel
	.section	.text._ZN7rocprim17ROCPRIM_400000_NS6detail17trampoline_kernelINS0_14default_configENS1_27scan_by_key_config_selectorIssEEZZNS1_16scan_by_key_implILNS1_25lookback_scan_determinismE0ELb1ES3_N6thrust23THRUST_200600_302600_NS6detail15normal_iteratorINS9_10device_ptrIsEEEESE_SE_sNS9_4plusIsEE19head_flag_predicatesEE10hipError_tPvRmT2_T3_T4_T5_mT6_T7_P12ihipStream_tbENKUlT_T0_E_clISt17integral_constantIbLb0EESX_IbLb1EEEEDaST_SU_EUlST_E_NS1_11comp_targetILNS1_3genE10ELNS1_11target_archE1200ELNS1_3gpuE4ELNS1_3repE0EEENS1_30default_config_static_selectorELNS0_4arch9wavefront6targetE1EEEvT1_,"axG",@progbits,_ZN7rocprim17ROCPRIM_400000_NS6detail17trampoline_kernelINS0_14default_configENS1_27scan_by_key_config_selectorIssEEZZNS1_16scan_by_key_implILNS1_25lookback_scan_determinismE0ELb1ES3_N6thrust23THRUST_200600_302600_NS6detail15normal_iteratorINS9_10device_ptrIsEEEESE_SE_sNS9_4plusIsEE19head_flag_predicatesEE10hipError_tPvRmT2_T3_T4_T5_mT6_T7_P12ihipStream_tbENKUlT_T0_E_clISt17integral_constantIbLb0EESX_IbLb1EEEEDaST_SU_EUlST_E_NS1_11comp_targetILNS1_3genE10ELNS1_11target_archE1200ELNS1_3gpuE4ELNS1_3repE0EEENS1_30default_config_static_selectorELNS0_4arch9wavefront6targetE1EEEvT1_,comdat
.Lfunc_end890:
	.size	_ZN7rocprim17ROCPRIM_400000_NS6detail17trampoline_kernelINS0_14default_configENS1_27scan_by_key_config_selectorIssEEZZNS1_16scan_by_key_implILNS1_25lookback_scan_determinismE0ELb1ES3_N6thrust23THRUST_200600_302600_NS6detail15normal_iteratorINS9_10device_ptrIsEEEESE_SE_sNS9_4plusIsEE19head_flag_predicatesEE10hipError_tPvRmT2_T3_T4_T5_mT6_T7_P12ihipStream_tbENKUlT_T0_E_clISt17integral_constantIbLb0EESX_IbLb1EEEEDaST_SU_EUlST_E_NS1_11comp_targetILNS1_3genE10ELNS1_11target_archE1200ELNS1_3gpuE4ELNS1_3repE0EEENS1_30default_config_static_selectorELNS0_4arch9wavefront6targetE1EEEvT1_, .Lfunc_end890-_ZN7rocprim17ROCPRIM_400000_NS6detail17trampoline_kernelINS0_14default_configENS1_27scan_by_key_config_selectorIssEEZZNS1_16scan_by_key_implILNS1_25lookback_scan_determinismE0ELb1ES3_N6thrust23THRUST_200600_302600_NS6detail15normal_iteratorINS9_10device_ptrIsEEEESE_SE_sNS9_4plusIsEE19head_flag_predicatesEE10hipError_tPvRmT2_T3_T4_T5_mT6_T7_P12ihipStream_tbENKUlT_T0_E_clISt17integral_constantIbLb0EESX_IbLb1EEEEDaST_SU_EUlST_E_NS1_11comp_targetILNS1_3genE10ELNS1_11target_archE1200ELNS1_3gpuE4ELNS1_3repE0EEENS1_30default_config_static_selectorELNS0_4arch9wavefront6targetE1EEEvT1_
                                        ; -- End function
	.section	.AMDGPU.csdata,"",@progbits
; Kernel info:
; codeLenInByte = 0
; NumSgprs: 6
; NumVgprs: 0
; NumAgprs: 0
; TotalNumVgprs: 0
; ScratchSize: 0
; MemoryBound: 0
; FloatMode: 240
; IeeeMode: 1
; LDSByteSize: 0 bytes/workgroup (compile time only)
; SGPRBlocks: 0
; VGPRBlocks: 0
; NumSGPRsForWavesPerEU: 6
; NumVGPRsForWavesPerEU: 1
; AccumOffset: 4
; Occupancy: 8
; WaveLimiterHint : 0
; COMPUTE_PGM_RSRC2:SCRATCH_EN: 0
; COMPUTE_PGM_RSRC2:USER_SGPR: 2
; COMPUTE_PGM_RSRC2:TRAP_HANDLER: 0
; COMPUTE_PGM_RSRC2:TGID_X_EN: 1
; COMPUTE_PGM_RSRC2:TGID_Y_EN: 0
; COMPUTE_PGM_RSRC2:TGID_Z_EN: 0
; COMPUTE_PGM_RSRC2:TIDIG_COMP_CNT: 0
; COMPUTE_PGM_RSRC3_GFX90A:ACCUM_OFFSET: 0
; COMPUTE_PGM_RSRC3_GFX90A:TG_SPLIT: 0
	.section	.text._ZN7rocprim17ROCPRIM_400000_NS6detail17trampoline_kernelINS0_14default_configENS1_27scan_by_key_config_selectorIssEEZZNS1_16scan_by_key_implILNS1_25lookback_scan_determinismE0ELb1ES3_N6thrust23THRUST_200600_302600_NS6detail15normal_iteratorINS9_10device_ptrIsEEEESE_SE_sNS9_4plusIsEE19head_flag_predicatesEE10hipError_tPvRmT2_T3_T4_T5_mT6_T7_P12ihipStream_tbENKUlT_T0_E_clISt17integral_constantIbLb0EESX_IbLb1EEEEDaST_SU_EUlST_E_NS1_11comp_targetILNS1_3genE9ELNS1_11target_archE1100ELNS1_3gpuE3ELNS1_3repE0EEENS1_30default_config_static_selectorELNS0_4arch9wavefront6targetE1EEEvT1_,"axG",@progbits,_ZN7rocprim17ROCPRIM_400000_NS6detail17trampoline_kernelINS0_14default_configENS1_27scan_by_key_config_selectorIssEEZZNS1_16scan_by_key_implILNS1_25lookback_scan_determinismE0ELb1ES3_N6thrust23THRUST_200600_302600_NS6detail15normal_iteratorINS9_10device_ptrIsEEEESE_SE_sNS9_4plusIsEE19head_flag_predicatesEE10hipError_tPvRmT2_T3_T4_T5_mT6_T7_P12ihipStream_tbENKUlT_T0_E_clISt17integral_constantIbLb0EESX_IbLb1EEEEDaST_SU_EUlST_E_NS1_11comp_targetILNS1_3genE9ELNS1_11target_archE1100ELNS1_3gpuE3ELNS1_3repE0EEENS1_30default_config_static_selectorELNS0_4arch9wavefront6targetE1EEEvT1_,comdat
	.protected	_ZN7rocprim17ROCPRIM_400000_NS6detail17trampoline_kernelINS0_14default_configENS1_27scan_by_key_config_selectorIssEEZZNS1_16scan_by_key_implILNS1_25lookback_scan_determinismE0ELb1ES3_N6thrust23THRUST_200600_302600_NS6detail15normal_iteratorINS9_10device_ptrIsEEEESE_SE_sNS9_4plusIsEE19head_flag_predicatesEE10hipError_tPvRmT2_T3_T4_T5_mT6_T7_P12ihipStream_tbENKUlT_T0_E_clISt17integral_constantIbLb0EESX_IbLb1EEEEDaST_SU_EUlST_E_NS1_11comp_targetILNS1_3genE9ELNS1_11target_archE1100ELNS1_3gpuE3ELNS1_3repE0EEENS1_30default_config_static_selectorELNS0_4arch9wavefront6targetE1EEEvT1_ ; -- Begin function _ZN7rocprim17ROCPRIM_400000_NS6detail17trampoline_kernelINS0_14default_configENS1_27scan_by_key_config_selectorIssEEZZNS1_16scan_by_key_implILNS1_25lookback_scan_determinismE0ELb1ES3_N6thrust23THRUST_200600_302600_NS6detail15normal_iteratorINS9_10device_ptrIsEEEESE_SE_sNS9_4plusIsEE19head_flag_predicatesEE10hipError_tPvRmT2_T3_T4_T5_mT6_T7_P12ihipStream_tbENKUlT_T0_E_clISt17integral_constantIbLb0EESX_IbLb1EEEEDaST_SU_EUlST_E_NS1_11comp_targetILNS1_3genE9ELNS1_11target_archE1100ELNS1_3gpuE3ELNS1_3repE0EEENS1_30default_config_static_selectorELNS0_4arch9wavefront6targetE1EEEvT1_
	.globl	_ZN7rocprim17ROCPRIM_400000_NS6detail17trampoline_kernelINS0_14default_configENS1_27scan_by_key_config_selectorIssEEZZNS1_16scan_by_key_implILNS1_25lookback_scan_determinismE0ELb1ES3_N6thrust23THRUST_200600_302600_NS6detail15normal_iteratorINS9_10device_ptrIsEEEESE_SE_sNS9_4plusIsEE19head_flag_predicatesEE10hipError_tPvRmT2_T3_T4_T5_mT6_T7_P12ihipStream_tbENKUlT_T0_E_clISt17integral_constantIbLb0EESX_IbLb1EEEEDaST_SU_EUlST_E_NS1_11comp_targetILNS1_3genE9ELNS1_11target_archE1100ELNS1_3gpuE3ELNS1_3repE0EEENS1_30default_config_static_selectorELNS0_4arch9wavefront6targetE1EEEvT1_
	.p2align	8
	.type	_ZN7rocprim17ROCPRIM_400000_NS6detail17trampoline_kernelINS0_14default_configENS1_27scan_by_key_config_selectorIssEEZZNS1_16scan_by_key_implILNS1_25lookback_scan_determinismE0ELb1ES3_N6thrust23THRUST_200600_302600_NS6detail15normal_iteratorINS9_10device_ptrIsEEEESE_SE_sNS9_4plusIsEE19head_flag_predicatesEE10hipError_tPvRmT2_T3_T4_T5_mT6_T7_P12ihipStream_tbENKUlT_T0_E_clISt17integral_constantIbLb0EESX_IbLb1EEEEDaST_SU_EUlST_E_NS1_11comp_targetILNS1_3genE9ELNS1_11target_archE1100ELNS1_3gpuE3ELNS1_3repE0EEENS1_30default_config_static_selectorELNS0_4arch9wavefront6targetE1EEEvT1_,@function
_ZN7rocprim17ROCPRIM_400000_NS6detail17trampoline_kernelINS0_14default_configENS1_27scan_by_key_config_selectorIssEEZZNS1_16scan_by_key_implILNS1_25lookback_scan_determinismE0ELb1ES3_N6thrust23THRUST_200600_302600_NS6detail15normal_iteratorINS9_10device_ptrIsEEEESE_SE_sNS9_4plusIsEE19head_flag_predicatesEE10hipError_tPvRmT2_T3_T4_T5_mT6_T7_P12ihipStream_tbENKUlT_T0_E_clISt17integral_constantIbLb0EESX_IbLb1EEEEDaST_SU_EUlST_E_NS1_11comp_targetILNS1_3genE9ELNS1_11target_archE1100ELNS1_3gpuE3ELNS1_3repE0EEENS1_30default_config_static_selectorELNS0_4arch9wavefront6targetE1EEEvT1_: ; @_ZN7rocprim17ROCPRIM_400000_NS6detail17trampoline_kernelINS0_14default_configENS1_27scan_by_key_config_selectorIssEEZZNS1_16scan_by_key_implILNS1_25lookback_scan_determinismE0ELb1ES3_N6thrust23THRUST_200600_302600_NS6detail15normal_iteratorINS9_10device_ptrIsEEEESE_SE_sNS9_4plusIsEE19head_flag_predicatesEE10hipError_tPvRmT2_T3_T4_T5_mT6_T7_P12ihipStream_tbENKUlT_T0_E_clISt17integral_constantIbLb0EESX_IbLb1EEEEDaST_SU_EUlST_E_NS1_11comp_targetILNS1_3genE9ELNS1_11target_archE1100ELNS1_3gpuE3ELNS1_3repE0EEENS1_30default_config_static_selectorELNS0_4arch9wavefront6targetE1EEEvT1_
; %bb.0:
	.section	.rodata,"a",@progbits
	.p2align	6, 0x0
	.amdhsa_kernel _ZN7rocprim17ROCPRIM_400000_NS6detail17trampoline_kernelINS0_14default_configENS1_27scan_by_key_config_selectorIssEEZZNS1_16scan_by_key_implILNS1_25lookback_scan_determinismE0ELb1ES3_N6thrust23THRUST_200600_302600_NS6detail15normal_iteratorINS9_10device_ptrIsEEEESE_SE_sNS9_4plusIsEE19head_flag_predicatesEE10hipError_tPvRmT2_T3_T4_T5_mT6_T7_P12ihipStream_tbENKUlT_T0_E_clISt17integral_constantIbLb0EESX_IbLb1EEEEDaST_SU_EUlST_E_NS1_11comp_targetILNS1_3genE9ELNS1_11target_archE1100ELNS1_3gpuE3ELNS1_3repE0EEENS1_30default_config_static_selectorELNS0_4arch9wavefront6targetE1EEEvT1_
		.amdhsa_group_segment_fixed_size 0
		.amdhsa_private_segment_fixed_size 0
		.amdhsa_kernarg_size 112
		.amdhsa_user_sgpr_count 2
		.amdhsa_user_sgpr_dispatch_ptr 0
		.amdhsa_user_sgpr_queue_ptr 0
		.amdhsa_user_sgpr_kernarg_segment_ptr 1
		.amdhsa_user_sgpr_dispatch_id 0
		.amdhsa_user_sgpr_kernarg_preload_length 0
		.amdhsa_user_sgpr_kernarg_preload_offset 0
		.amdhsa_user_sgpr_private_segment_size 0
		.amdhsa_uses_dynamic_stack 0
		.amdhsa_enable_private_segment 0
		.amdhsa_system_sgpr_workgroup_id_x 1
		.amdhsa_system_sgpr_workgroup_id_y 0
		.amdhsa_system_sgpr_workgroup_id_z 0
		.amdhsa_system_sgpr_workgroup_info 0
		.amdhsa_system_vgpr_workitem_id 0
		.amdhsa_next_free_vgpr 1
		.amdhsa_next_free_sgpr 0
		.amdhsa_accum_offset 4
		.amdhsa_reserve_vcc 0
		.amdhsa_float_round_mode_32 0
		.amdhsa_float_round_mode_16_64 0
		.amdhsa_float_denorm_mode_32 3
		.amdhsa_float_denorm_mode_16_64 3
		.amdhsa_dx10_clamp 1
		.amdhsa_ieee_mode 1
		.amdhsa_fp16_overflow 0
		.amdhsa_tg_split 0
		.amdhsa_exception_fp_ieee_invalid_op 0
		.amdhsa_exception_fp_denorm_src 0
		.amdhsa_exception_fp_ieee_div_zero 0
		.amdhsa_exception_fp_ieee_overflow 0
		.amdhsa_exception_fp_ieee_underflow 0
		.amdhsa_exception_fp_ieee_inexact 0
		.amdhsa_exception_int_div_zero 0
	.end_amdhsa_kernel
	.section	.text._ZN7rocprim17ROCPRIM_400000_NS6detail17trampoline_kernelINS0_14default_configENS1_27scan_by_key_config_selectorIssEEZZNS1_16scan_by_key_implILNS1_25lookback_scan_determinismE0ELb1ES3_N6thrust23THRUST_200600_302600_NS6detail15normal_iteratorINS9_10device_ptrIsEEEESE_SE_sNS9_4plusIsEE19head_flag_predicatesEE10hipError_tPvRmT2_T3_T4_T5_mT6_T7_P12ihipStream_tbENKUlT_T0_E_clISt17integral_constantIbLb0EESX_IbLb1EEEEDaST_SU_EUlST_E_NS1_11comp_targetILNS1_3genE9ELNS1_11target_archE1100ELNS1_3gpuE3ELNS1_3repE0EEENS1_30default_config_static_selectorELNS0_4arch9wavefront6targetE1EEEvT1_,"axG",@progbits,_ZN7rocprim17ROCPRIM_400000_NS6detail17trampoline_kernelINS0_14default_configENS1_27scan_by_key_config_selectorIssEEZZNS1_16scan_by_key_implILNS1_25lookback_scan_determinismE0ELb1ES3_N6thrust23THRUST_200600_302600_NS6detail15normal_iteratorINS9_10device_ptrIsEEEESE_SE_sNS9_4plusIsEE19head_flag_predicatesEE10hipError_tPvRmT2_T3_T4_T5_mT6_T7_P12ihipStream_tbENKUlT_T0_E_clISt17integral_constantIbLb0EESX_IbLb1EEEEDaST_SU_EUlST_E_NS1_11comp_targetILNS1_3genE9ELNS1_11target_archE1100ELNS1_3gpuE3ELNS1_3repE0EEENS1_30default_config_static_selectorELNS0_4arch9wavefront6targetE1EEEvT1_,comdat
.Lfunc_end891:
	.size	_ZN7rocprim17ROCPRIM_400000_NS6detail17trampoline_kernelINS0_14default_configENS1_27scan_by_key_config_selectorIssEEZZNS1_16scan_by_key_implILNS1_25lookback_scan_determinismE0ELb1ES3_N6thrust23THRUST_200600_302600_NS6detail15normal_iteratorINS9_10device_ptrIsEEEESE_SE_sNS9_4plusIsEE19head_flag_predicatesEE10hipError_tPvRmT2_T3_T4_T5_mT6_T7_P12ihipStream_tbENKUlT_T0_E_clISt17integral_constantIbLb0EESX_IbLb1EEEEDaST_SU_EUlST_E_NS1_11comp_targetILNS1_3genE9ELNS1_11target_archE1100ELNS1_3gpuE3ELNS1_3repE0EEENS1_30default_config_static_selectorELNS0_4arch9wavefront6targetE1EEEvT1_, .Lfunc_end891-_ZN7rocprim17ROCPRIM_400000_NS6detail17trampoline_kernelINS0_14default_configENS1_27scan_by_key_config_selectorIssEEZZNS1_16scan_by_key_implILNS1_25lookback_scan_determinismE0ELb1ES3_N6thrust23THRUST_200600_302600_NS6detail15normal_iteratorINS9_10device_ptrIsEEEESE_SE_sNS9_4plusIsEE19head_flag_predicatesEE10hipError_tPvRmT2_T3_T4_T5_mT6_T7_P12ihipStream_tbENKUlT_T0_E_clISt17integral_constantIbLb0EESX_IbLb1EEEEDaST_SU_EUlST_E_NS1_11comp_targetILNS1_3genE9ELNS1_11target_archE1100ELNS1_3gpuE3ELNS1_3repE0EEENS1_30default_config_static_selectorELNS0_4arch9wavefront6targetE1EEEvT1_
                                        ; -- End function
	.section	.AMDGPU.csdata,"",@progbits
; Kernel info:
; codeLenInByte = 0
; NumSgprs: 6
; NumVgprs: 0
; NumAgprs: 0
; TotalNumVgprs: 0
; ScratchSize: 0
; MemoryBound: 0
; FloatMode: 240
; IeeeMode: 1
; LDSByteSize: 0 bytes/workgroup (compile time only)
; SGPRBlocks: 0
; VGPRBlocks: 0
; NumSGPRsForWavesPerEU: 6
; NumVGPRsForWavesPerEU: 1
; AccumOffset: 4
; Occupancy: 8
; WaveLimiterHint : 0
; COMPUTE_PGM_RSRC2:SCRATCH_EN: 0
; COMPUTE_PGM_RSRC2:USER_SGPR: 2
; COMPUTE_PGM_RSRC2:TRAP_HANDLER: 0
; COMPUTE_PGM_RSRC2:TGID_X_EN: 1
; COMPUTE_PGM_RSRC2:TGID_Y_EN: 0
; COMPUTE_PGM_RSRC2:TGID_Z_EN: 0
; COMPUTE_PGM_RSRC2:TIDIG_COMP_CNT: 0
; COMPUTE_PGM_RSRC3_GFX90A:ACCUM_OFFSET: 0
; COMPUTE_PGM_RSRC3_GFX90A:TG_SPLIT: 0
	.section	.text._ZN7rocprim17ROCPRIM_400000_NS6detail17trampoline_kernelINS0_14default_configENS1_27scan_by_key_config_selectorIssEEZZNS1_16scan_by_key_implILNS1_25lookback_scan_determinismE0ELb1ES3_N6thrust23THRUST_200600_302600_NS6detail15normal_iteratorINS9_10device_ptrIsEEEESE_SE_sNS9_4plusIsEE19head_flag_predicatesEE10hipError_tPvRmT2_T3_T4_T5_mT6_T7_P12ihipStream_tbENKUlT_T0_E_clISt17integral_constantIbLb0EESX_IbLb1EEEEDaST_SU_EUlST_E_NS1_11comp_targetILNS1_3genE8ELNS1_11target_archE1030ELNS1_3gpuE2ELNS1_3repE0EEENS1_30default_config_static_selectorELNS0_4arch9wavefront6targetE1EEEvT1_,"axG",@progbits,_ZN7rocprim17ROCPRIM_400000_NS6detail17trampoline_kernelINS0_14default_configENS1_27scan_by_key_config_selectorIssEEZZNS1_16scan_by_key_implILNS1_25lookback_scan_determinismE0ELb1ES3_N6thrust23THRUST_200600_302600_NS6detail15normal_iteratorINS9_10device_ptrIsEEEESE_SE_sNS9_4plusIsEE19head_flag_predicatesEE10hipError_tPvRmT2_T3_T4_T5_mT6_T7_P12ihipStream_tbENKUlT_T0_E_clISt17integral_constantIbLb0EESX_IbLb1EEEEDaST_SU_EUlST_E_NS1_11comp_targetILNS1_3genE8ELNS1_11target_archE1030ELNS1_3gpuE2ELNS1_3repE0EEENS1_30default_config_static_selectorELNS0_4arch9wavefront6targetE1EEEvT1_,comdat
	.protected	_ZN7rocprim17ROCPRIM_400000_NS6detail17trampoline_kernelINS0_14default_configENS1_27scan_by_key_config_selectorIssEEZZNS1_16scan_by_key_implILNS1_25lookback_scan_determinismE0ELb1ES3_N6thrust23THRUST_200600_302600_NS6detail15normal_iteratorINS9_10device_ptrIsEEEESE_SE_sNS9_4plusIsEE19head_flag_predicatesEE10hipError_tPvRmT2_T3_T4_T5_mT6_T7_P12ihipStream_tbENKUlT_T0_E_clISt17integral_constantIbLb0EESX_IbLb1EEEEDaST_SU_EUlST_E_NS1_11comp_targetILNS1_3genE8ELNS1_11target_archE1030ELNS1_3gpuE2ELNS1_3repE0EEENS1_30default_config_static_selectorELNS0_4arch9wavefront6targetE1EEEvT1_ ; -- Begin function _ZN7rocprim17ROCPRIM_400000_NS6detail17trampoline_kernelINS0_14default_configENS1_27scan_by_key_config_selectorIssEEZZNS1_16scan_by_key_implILNS1_25lookback_scan_determinismE0ELb1ES3_N6thrust23THRUST_200600_302600_NS6detail15normal_iteratorINS9_10device_ptrIsEEEESE_SE_sNS9_4plusIsEE19head_flag_predicatesEE10hipError_tPvRmT2_T3_T4_T5_mT6_T7_P12ihipStream_tbENKUlT_T0_E_clISt17integral_constantIbLb0EESX_IbLb1EEEEDaST_SU_EUlST_E_NS1_11comp_targetILNS1_3genE8ELNS1_11target_archE1030ELNS1_3gpuE2ELNS1_3repE0EEENS1_30default_config_static_selectorELNS0_4arch9wavefront6targetE1EEEvT1_
	.globl	_ZN7rocprim17ROCPRIM_400000_NS6detail17trampoline_kernelINS0_14default_configENS1_27scan_by_key_config_selectorIssEEZZNS1_16scan_by_key_implILNS1_25lookback_scan_determinismE0ELb1ES3_N6thrust23THRUST_200600_302600_NS6detail15normal_iteratorINS9_10device_ptrIsEEEESE_SE_sNS9_4plusIsEE19head_flag_predicatesEE10hipError_tPvRmT2_T3_T4_T5_mT6_T7_P12ihipStream_tbENKUlT_T0_E_clISt17integral_constantIbLb0EESX_IbLb1EEEEDaST_SU_EUlST_E_NS1_11comp_targetILNS1_3genE8ELNS1_11target_archE1030ELNS1_3gpuE2ELNS1_3repE0EEENS1_30default_config_static_selectorELNS0_4arch9wavefront6targetE1EEEvT1_
	.p2align	8
	.type	_ZN7rocprim17ROCPRIM_400000_NS6detail17trampoline_kernelINS0_14default_configENS1_27scan_by_key_config_selectorIssEEZZNS1_16scan_by_key_implILNS1_25lookback_scan_determinismE0ELb1ES3_N6thrust23THRUST_200600_302600_NS6detail15normal_iteratorINS9_10device_ptrIsEEEESE_SE_sNS9_4plusIsEE19head_flag_predicatesEE10hipError_tPvRmT2_T3_T4_T5_mT6_T7_P12ihipStream_tbENKUlT_T0_E_clISt17integral_constantIbLb0EESX_IbLb1EEEEDaST_SU_EUlST_E_NS1_11comp_targetILNS1_3genE8ELNS1_11target_archE1030ELNS1_3gpuE2ELNS1_3repE0EEENS1_30default_config_static_selectorELNS0_4arch9wavefront6targetE1EEEvT1_,@function
_ZN7rocprim17ROCPRIM_400000_NS6detail17trampoline_kernelINS0_14default_configENS1_27scan_by_key_config_selectorIssEEZZNS1_16scan_by_key_implILNS1_25lookback_scan_determinismE0ELb1ES3_N6thrust23THRUST_200600_302600_NS6detail15normal_iteratorINS9_10device_ptrIsEEEESE_SE_sNS9_4plusIsEE19head_flag_predicatesEE10hipError_tPvRmT2_T3_T4_T5_mT6_T7_P12ihipStream_tbENKUlT_T0_E_clISt17integral_constantIbLb0EESX_IbLb1EEEEDaST_SU_EUlST_E_NS1_11comp_targetILNS1_3genE8ELNS1_11target_archE1030ELNS1_3gpuE2ELNS1_3repE0EEENS1_30default_config_static_selectorELNS0_4arch9wavefront6targetE1EEEvT1_: ; @_ZN7rocprim17ROCPRIM_400000_NS6detail17trampoline_kernelINS0_14default_configENS1_27scan_by_key_config_selectorIssEEZZNS1_16scan_by_key_implILNS1_25lookback_scan_determinismE0ELb1ES3_N6thrust23THRUST_200600_302600_NS6detail15normal_iteratorINS9_10device_ptrIsEEEESE_SE_sNS9_4plusIsEE19head_flag_predicatesEE10hipError_tPvRmT2_T3_T4_T5_mT6_T7_P12ihipStream_tbENKUlT_T0_E_clISt17integral_constantIbLb0EESX_IbLb1EEEEDaST_SU_EUlST_E_NS1_11comp_targetILNS1_3genE8ELNS1_11target_archE1030ELNS1_3gpuE2ELNS1_3repE0EEENS1_30default_config_static_selectorELNS0_4arch9wavefront6targetE1EEEvT1_
; %bb.0:
	.section	.rodata,"a",@progbits
	.p2align	6, 0x0
	.amdhsa_kernel _ZN7rocprim17ROCPRIM_400000_NS6detail17trampoline_kernelINS0_14default_configENS1_27scan_by_key_config_selectorIssEEZZNS1_16scan_by_key_implILNS1_25lookback_scan_determinismE0ELb1ES3_N6thrust23THRUST_200600_302600_NS6detail15normal_iteratorINS9_10device_ptrIsEEEESE_SE_sNS9_4plusIsEE19head_flag_predicatesEE10hipError_tPvRmT2_T3_T4_T5_mT6_T7_P12ihipStream_tbENKUlT_T0_E_clISt17integral_constantIbLb0EESX_IbLb1EEEEDaST_SU_EUlST_E_NS1_11comp_targetILNS1_3genE8ELNS1_11target_archE1030ELNS1_3gpuE2ELNS1_3repE0EEENS1_30default_config_static_selectorELNS0_4arch9wavefront6targetE1EEEvT1_
		.amdhsa_group_segment_fixed_size 0
		.amdhsa_private_segment_fixed_size 0
		.amdhsa_kernarg_size 112
		.amdhsa_user_sgpr_count 2
		.amdhsa_user_sgpr_dispatch_ptr 0
		.amdhsa_user_sgpr_queue_ptr 0
		.amdhsa_user_sgpr_kernarg_segment_ptr 1
		.amdhsa_user_sgpr_dispatch_id 0
		.amdhsa_user_sgpr_kernarg_preload_length 0
		.amdhsa_user_sgpr_kernarg_preload_offset 0
		.amdhsa_user_sgpr_private_segment_size 0
		.amdhsa_uses_dynamic_stack 0
		.amdhsa_enable_private_segment 0
		.amdhsa_system_sgpr_workgroup_id_x 1
		.amdhsa_system_sgpr_workgroup_id_y 0
		.amdhsa_system_sgpr_workgroup_id_z 0
		.amdhsa_system_sgpr_workgroup_info 0
		.amdhsa_system_vgpr_workitem_id 0
		.amdhsa_next_free_vgpr 1
		.amdhsa_next_free_sgpr 0
		.amdhsa_accum_offset 4
		.amdhsa_reserve_vcc 0
		.amdhsa_float_round_mode_32 0
		.amdhsa_float_round_mode_16_64 0
		.amdhsa_float_denorm_mode_32 3
		.amdhsa_float_denorm_mode_16_64 3
		.amdhsa_dx10_clamp 1
		.amdhsa_ieee_mode 1
		.amdhsa_fp16_overflow 0
		.amdhsa_tg_split 0
		.amdhsa_exception_fp_ieee_invalid_op 0
		.amdhsa_exception_fp_denorm_src 0
		.amdhsa_exception_fp_ieee_div_zero 0
		.amdhsa_exception_fp_ieee_overflow 0
		.amdhsa_exception_fp_ieee_underflow 0
		.amdhsa_exception_fp_ieee_inexact 0
		.amdhsa_exception_int_div_zero 0
	.end_amdhsa_kernel
	.section	.text._ZN7rocprim17ROCPRIM_400000_NS6detail17trampoline_kernelINS0_14default_configENS1_27scan_by_key_config_selectorIssEEZZNS1_16scan_by_key_implILNS1_25lookback_scan_determinismE0ELb1ES3_N6thrust23THRUST_200600_302600_NS6detail15normal_iteratorINS9_10device_ptrIsEEEESE_SE_sNS9_4plusIsEE19head_flag_predicatesEE10hipError_tPvRmT2_T3_T4_T5_mT6_T7_P12ihipStream_tbENKUlT_T0_E_clISt17integral_constantIbLb0EESX_IbLb1EEEEDaST_SU_EUlST_E_NS1_11comp_targetILNS1_3genE8ELNS1_11target_archE1030ELNS1_3gpuE2ELNS1_3repE0EEENS1_30default_config_static_selectorELNS0_4arch9wavefront6targetE1EEEvT1_,"axG",@progbits,_ZN7rocprim17ROCPRIM_400000_NS6detail17trampoline_kernelINS0_14default_configENS1_27scan_by_key_config_selectorIssEEZZNS1_16scan_by_key_implILNS1_25lookback_scan_determinismE0ELb1ES3_N6thrust23THRUST_200600_302600_NS6detail15normal_iteratorINS9_10device_ptrIsEEEESE_SE_sNS9_4plusIsEE19head_flag_predicatesEE10hipError_tPvRmT2_T3_T4_T5_mT6_T7_P12ihipStream_tbENKUlT_T0_E_clISt17integral_constantIbLb0EESX_IbLb1EEEEDaST_SU_EUlST_E_NS1_11comp_targetILNS1_3genE8ELNS1_11target_archE1030ELNS1_3gpuE2ELNS1_3repE0EEENS1_30default_config_static_selectorELNS0_4arch9wavefront6targetE1EEEvT1_,comdat
.Lfunc_end892:
	.size	_ZN7rocprim17ROCPRIM_400000_NS6detail17trampoline_kernelINS0_14default_configENS1_27scan_by_key_config_selectorIssEEZZNS1_16scan_by_key_implILNS1_25lookback_scan_determinismE0ELb1ES3_N6thrust23THRUST_200600_302600_NS6detail15normal_iteratorINS9_10device_ptrIsEEEESE_SE_sNS9_4plusIsEE19head_flag_predicatesEE10hipError_tPvRmT2_T3_T4_T5_mT6_T7_P12ihipStream_tbENKUlT_T0_E_clISt17integral_constantIbLb0EESX_IbLb1EEEEDaST_SU_EUlST_E_NS1_11comp_targetILNS1_3genE8ELNS1_11target_archE1030ELNS1_3gpuE2ELNS1_3repE0EEENS1_30default_config_static_selectorELNS0_4arch9wavefront6targetE1EEEvT1_, .Lfunc_end892-_ZN7rocprim17ROCPRIM_400000_NS6detail17trampoline_kernelINS0_14default_configENS1_27scan_by_key_config_selectorIssEEZZNS1_16scan_by_key_implILNS1_25lookback_scan_determinismE0ELb1ES3_N6thrust23THRUST_200600_302600_NS6detail15normal_iteratorINS9_10device_ptrIsEEEESE_SE_sNS9_4plusIsEE19head_flag_predicatesEE10hipError_tPvRmT2_T3_T4_T5_mT6_T7_P12ihipStream_tbENKUlT_T0_E_clISt17integral_constantIbLb0EESX_IbLb1EEEEDaST_SU_EUlST_E_NS1_11comp_targetILNS1_3genE8ELNS1_11target_archE1030ELNS1_3gpuE2ELNS1_3repE0EEENS1_30default_config_static_selectorELNS0_4arch9wavefront6targetE1EEEvT1_
                                        ; -- End function
	.section	.AMDGPU.csdata,"",@progbits
; Kernel info:
; codeLenInByte = 0
; NumSgprs: 6
; NumVgprs: 0
; NumAgprs: 0
; TotalNumVgprs: 0
; ScratchSize: 0
; MemoryBound: 0
; FloatMode: 240
; IeeeMode: 1
; LDSByteSize: 0 bytes/workgroup (compile time only)
; SGPRBlocks: 0
; VGPRBlocks: 0
; NumSGPRsForWavesPerEU: 6
; NumVGPRsForWavesPerEU: 1
; AccumOffset: 4
; Occupancy: 8
; WaveLimiterHint : 0
; COMPUTE_PGM_RSRC2:SCRATCH_EN: 0
; COMPUTE_PGM_RSRC2:USER_SGPR: 2
; COMPUTE_PGM_RSRC2:TRAP_HANDLER: 0
; COMPUTE_PGM_RSRC2:TGID_X_EN: 1
; COMPUTE_PGM_RSRC2:TGID_Y_EN: 0
; COMPUTE_PGM_RSRC2:TGID_Z_EN: 0
; COMPUTE_PGM_RSRC2:TIDIG_COMP_CNT: 0
; COMPUTE_PGM_RSRC3_GFX90A:ACCUM_OFFSET: 0
; COMPUTE_PGM_RSRC3_GFX90A:TG_SPLIT: 0
	.section	.text._ZN7rocprim17ROCPRIM_400000_NS6detail17trampoline_kernelINS0_14default_configENS1_27scan_by_key_config_selectorIxxEEZZNS1_16scan_by_key_implILNS1_25lookback_scan_determinismE0ELb0ES3_N6thrust23THRUST_200600_302600_NS6detail15normal_iteratorINS9_10device_ptrIxEEEENS9_18transform_iteratorINS9_6negateIxEESE_NS9_11use_defaultESI_EESE_xNS9_4plusIvEENS9_8equal_toIvEExEE10hipError_tPvRmT2_T3_T4_T5_mT6_T7_P12ihipStream_tbENKUlT_T0_E_clISt17integral_constantIbLb0EES14_EEDaSZ_S10_EUlSZ_E_NS1_11comp_targetILNS1_3genE0ELNS1_11target_archE4294967295ELNS1_3gpuE0ELNS1_3repE0EEENS1_30default_config_static_selectorELNS0_4arch9wavefront6targetE1EEEvT1_,"axG",@progbits,_ZN7rocprim17ROCPRIM_400000_NS6detail17trampoline_kernelINS0_14default_configENS1_27scan_by_key_config_selectorIxxEEZZNS1_16scan_by_key_implILNS1_25lookback_scan_determinismE0ELb0ES3_N6thrust23THRUST_200600_302600_NS6detail15normal_iteratorINS9_10device_ptrIxEEEENS9_18transform_iteratorINS9_6negateIxEESE_NS9_11use_defaultESI_EESE_xNS9_4plusIvEENS9_8equal_toIvEExEE10hipError_tPvRmT2_T3_T4_T5_mT6_T7_P12ihipStream_tbENKUlT_T0_E_clISt17integral_constantIbLb0EES14_EEDaSZ_S10_EUlSZ_E_NS1_11comp_targetILNS1_3genE0ELNS1_11target_archE4294967295ELNS1_3gpuE0ELNS1_3repE0EEENS1_30default_config_static_selectorELNS0_4arch9wavefront6targetE1EEEvT1_,comdat
	.protected	_ZN7rocprim17ROCPRIM_400000_NS6detail17trampoline_kernelINS0_14default_configENS1_27scan_by_key_config_selectorIxxEEZZNS1_16scan_by_key_implILNS1_25lookback_scan_determinismE0ELb0ES3_N6thrust23THRUST_200600_302600_NS6detail15normal_iteratorINS9_10device_ptrIxEEEENS9_18transform_iteratorINS9_6negateIxEESE_NS9_11use_defaultESI_EESE_xNS9_4plusIvEENS9_8equal_toIvEExEE10hipError_tPvRmT2_T3_T4_T5_mT6_T7_P12ihipStream_tbENKUlT_T0_E_clISt17integral_constantIbLb0EES14_EEDaSZ_S10_EUlSZ_E_NS1_11comp_targetILNS1_3genE0ELNS1_11target_archE4294967295ELNS1_3gpuE0ELNS1_3repE0EEENS1_30default_config_static_selectorELNS0_4arch9wavefront6targetE1EEEvT1_ ; -- Begin function _ZN7rocprim17ROCPRIM_400000_NS6detail17trampoline_kernelINS0_14default_configENS1_27scan_by_key_config_selectorIxxEEZZNS1_16scan_by_key_implILNS1_25lookback_scan_determinismE0ELb0ES3_N6thrust23THRUST_200600_302600_NS6detail15normal_iteratorINS9_10device_ptrIxEEEENS9_18transform_iteratorINS9_6negateIxEESE_NS9_11use_defaultESI_EESE_xNS9_4plusIvEENS9_8equal_toIvEExEE10hipError_tPvRmT2_T3_T4_T5_mT6_T7_P12ihipStream_tbENKUlT_T0_E_clISt17integral_constantIbLb0EES14_EEDaSZ_S10_EUlSZ_E_NS1_11comp_targetILNS1_3genE0ELNS1_11target_archE4294967295ELNS1_3gpuE0ELNS1_3repE0EEENS1_30default_config_static_selectorELNS0_4arch9wavefront6targetE1EEEvT1_
	.globl	_ZN7rocprim17ROCPRIM_400000_NS6detail17trampoline_kernelINS0_14default_configENS1_27scan_by_key_config_selectorIxxEEZZNS1_16scan_by_key_implILNS1_25lookback_scan_determinismE0ELb0ES3_N6thrust23THRUST_200600_302600_NS6detail15normal_iteratorINS9_10device_ptrIxEEEENS9_18transform_iteratorINS9_6negateIxEESE_NS9_11use_defaultESI_EESE_xNS9_4plusIvEENS9_8equal_toIvEExEE10hipError_tPvRmT2_T3_T4_T5_mT6_T7_P12ihipStream_tbENKUlT_T0_E_clISt17integral_constantIbLb0EES14_EEDaSZ_S10_EUlSZ_E_NS1_11comp_targetILNS1_3genE0ELNS1_11target_archE4294967295ELNS1_3gpuE0ELNS1_3repE0EEENS1_30default_config_static_selectorELNS0_4arch9wavefront6targetE1EEEvT1_
	.p2align	8
	.type	_ZN7rocprim17ROCPRIM_400000_NS6detail17trampoline_kernelINS0_14default_configENS1_27scan_by_key_config_selectorIxxEEZZNS1_16scan_by_key_implILNS1_25lookback_scan_determinismE0ELb0ES3_N6thrust23THRUST_200600_302600_NS6detail15normal_iteratorINS9_10device_ptrIxEEEENS9_18transform_iteratorINS9_6negateIxEESE_NS9_11use_defaultESI_EESE_xNS9_4plusIvEENS9_8equal_toIvEExEE10hipError_tPvRmT2_T3_T4_T5_mT6_T7_P12ihipStream_tbENKUlT_T0_E_clISt17integral_constantIbLb0EES14_EEDaSZ_S10_EUlSZ_E_NS1_11comp_targetILNS1_3genE0ELNS1_11target_archE4294967295ELNS1_3gpuE0ELNS1_3repE0EEENS1_30default_config_static_selectorELNS0_4arch9wavefront6targetE1EEEvT1_,@function
_ZN7rocprim17ROCPRIM_400000_NS6detail17trampoline_kernelINS0_14default_configENS1_27scan_by_key_config_selectorIxxEEZZNS1_16scan_by_key_implILNS1_25lookback_scan_determinismE0ELb0ES3_N6thrust23THRUST_200600_302600_NS6detail15normal_iteratorINS9_10device_ptrIxEEEENS9_18transform_iteratorINS9_6negateIxEESE_NS9_11use_defaultESI_EESE_xNS9_4plusIvEENS9_8equal_toIvEExEE10hipError_tPvRmT2_T3_T4_T5_mT6_T7_P12ihipStream_tbENKUlT_T0_E_clISt17integral_constantIbLb0EES14_EEDaSZ_S10_EUlSZ_E_NS1_11comp_targetILNS1_3genE0ELNS1_11target_archE4294967295ELNS1_3gpuE0ELNS1_3repE0EEENS1_30default_config_static_selectorELNS0_4arch9wavefront6targetE1EEEvT1_: ; @_ZN7rocprim17ROCPRIM_400000_NS6detail17trampoline_kernelINS0_14default_configENS1_27scan_by_key_config_selectorIxxEEZZNS1_16scan_by_key_implILNS1_25lookback_scan_determinismE0ELb0ES3_N6thrust23THRUST_200600_302600_NS6detail15normal_iteratorINS9_10device_ptrIxEEEENS9_18transform_iteratorINS9_6negateIxEESE_NS9_11use_defaultESI_EESE_xNS9_4plusIvEENS9_8equal_toIvEExEE10hipError_tPvRmT2_T3_T4_T5_mT6_T7_P12ihipStream_tbENKUlT_T0_E_clISt17integral_constantIbLb0EES14_EEDaSZ_S10_EUlSZ_E_NS1_11comp_targetILNS1_3genE0ELNS1_11target_archE4294967295ELNS1_3gpuE0ELNS1_3repE0EEENS1_30default_config_static_selectorELNS0_4arch9wavefront6targetE1EEEvT1_
; %bb.0:
	.section	.rodata,"a",@progbits
	.p2align	6, 0x0
	.amdhsa_kernel _ZN7rocprim17ROCPRIM_400000_NS6detail17trampoline_kernelINS0_14default_configENS1_27scan_by_key_config_selectorIxxEEZZNS1_16scan_by_key_implILNS1_25lookback_scan_determinismE0ELb0ES3_N6thrust23THRUST_200600_302600_NS6detail15normal_iteratorINS9_10device_ptrIxEEEENS9_18transform_iteratorINS9_6negateIxEESE_NS9_11use_defaultESI_EESE_xNS9_4plusIvEENS9_8equal_toIvEExEE10hipError_tPvRmT2_T3_T4_T5_mT6_T7_P12ihipStream_tbENKUlT_T0_E_clISt17integral_constantIbLb0EES14_EEDaSZ_S10_EUlSZ_E_NS1_11comp_targetILNS1_3genE0ELNS1_11target_archE4294967295ELNS1_3gpuE0ELNS1_3repE0EEENS1_30default_config_static_selectorELNS0_4arch9wavefront6targetE1EEEvT1_
		.amdhsa_group_segment_fixed_size 0
		.amdhsa_private_segment_fixed_size 0
		.amdhsa_kernarg_size 144
		.amdhsa_user_sgpr_count 2
		.amdhsa_user_sgpr_dispatch_ptr 0
		.amdhsa_user_sgpr_queue_ptr 0
		.amdhsa_user_sgpr_kernarg_segment_ptr 1
		.amdhsa_user_sgpr_dispatch_id 0
		.amdhsa_user_sgpr_kernarg_preload_length 0
		.amdhsa_user_sgpr_kernarg_preload_offset 0
		.amdhsa_user_sgpr_private_segment_size 0
		.amdhsa_uses_dynamic_stack 0
		.amdhsa_enable_private_segment 0
		.amdhsa_system_sgpr_workgroup_id_x 1
		.amdhsa_system_sgpr_workgroup_id_y 0
		.amdhsa_system_sgpr_workgroup_id_z 0
		.amdhsa_system_sgpr_workgroup_info 0
		.amdhsa_system_vgpr_workitem_id 0
		.amdhsa_next_free_vgpr 1
		.amdhsa_next_free_sgpr 0
		.amdhsa_accum_offset 4
		.amdhsa_reserve_vcc 0
		.amdhsa_float_round_mode_32 0
		.amdhsa_float_round_mode_16_64 0
		.amdhsa_float_denorm_mode_32 3
		.amdhsa_float_denorm_mode_16_64 3
		.amdhsa_dx10_clamp 1
		.amdhsa_ieee_mode 1
		.amdhsa_fp16_overflow 0
		.amdhsa_tg_split 0
		.amdhsa_exception_fp_ieee_invalid_op 0
		.amdhsa_exception_fp_denorm_src 0
		.amdhsa_exception_fp_ieee_div_zero 0
		.amdhsa_exception_fp_ieee_overflow 0
		.amdhsa_exception_fp_ieee_underflow 0
		.amdhsa_exception_fp_ieee_inexact 0
		.amdhsa_exception_int_div_zero 0
	.end_amdhsa_kernel
	.section	.text._ZN7rocprim17ROCPRIM_400000_NS6detail17trampoline_kernelINS0_14default_configENS1_27scan_by_key_config_selectorIxxEEZZNS1_16scan_by_key_implILNS1_25lookback_scan_determinismE0ELb0ES3_N6thrust23THRUST_200600_302600_NS6detail15normal_iteratorINS9_10device_ptrIxEEEENS9_18transform_iteratorINS9_6negateIxEESE_NS9_11use_defaultESI_EESE_xNS9_4plusIvEENS9_8equal_toIvEExEE10hipError_tPvRmT2_T3_T4_T5_mT6_T7_P12ihipStream_tbENKUlT_T0_E_clISt17integral_constantIbLb0EES14_EEDaSZ_S10_EUlSZ_E_NS1_11comp_targetILNS1_3genE0ELNS1_11target_archE4294967295ELNS1_3gpuE0ELNS1_3repE0EEENS1_30default_config_static_selectorELNS0_4arch9wavefront6targetE1EEEvT1_,"axG",@progbits,_ZN7rocprim17ROCPRIM_400000_NS6detail17trampoline_kernelINS0_14default_configENS1_27scan_by_key_config_selectorIxxEEZZNS1_16scan_by_key_implILNS1_25lookback_scan_determinismE0ELb0ES3_N6thrust23THRUST_200600_302600_NS6detail15normal_iteratorINS9_10device_ptrIxEEEENS9_18transform_iteratorINS9_6negateIxEESE_NS9_11use_defaultESI_EESE_xNS9_4plusIvEENS9_8equal_toIvEExEE10hipError_tPvRmT2_T3_T4_T5_mT6_T7_P12ihipStream_tbENKUlT_T0_E_clISt17integral_constantIbLb0EES14_EEDaSZ_S10_EUlSZ_E_NS1_11comp_targetILNS1_3genE0ELNS1_11target_archE4294967295ELNS1_3gpuE0ELNS1_3repE0EEENS1_30default_config_static_selectorELNS0_4arch9wavefront6targetE1EEEvT1_,comdat
.Lfunc_end893:
	.size	_ZN7rocprim17ROCPRIM_400000_NS6detail17trampoline_kernelINS0_14default_configENS1_27scan_by_key_config_selectorIxxEEZZNS1_16scan_by_key_implILNS1_25lookback_scan_determinismE0ELb0ES3_N6thrust23THRUST_200600_302600_NS6detail15normal_iteratorINS9_10device_ptrIxEEEENS9_18transform_iteratorINS9_6negateIxEESE_NS9_11use_defaultESI_EESE_xNS9_4plusIvEENS9_8equal_toIvEExEE10hipError_tPvRmT2_T3_T4_T5_mT6_T7_P12ihipStream_tbENKUlT_T0_E_clISt17integral_constantIbLb0EES14_EEDaSZ_S10_EUlSZ_E_NS1_11comp_targetILNS1_3genE0ELNS1_11target_archE4294967295ELNS1_3gpuE0ELNS1_3repE0EEENS1_30default_config_static_selectorELNS0_4arch9wavefront6targetE1EEEvT1_, .Lfunc_end893-_ZN7rocprim17ROCPRIM_400000_NS6detail17trampoline_kernelINS0_14default_configENS1_27scan_by_key_config_selectorIxxEEZZNS1_16scan_by_key_implILNS1_25lookback_scan_determinismE0ELb0ES3_N6thrust23THRUST_200600_302600_NS6detail15normal_iteratorINS9_10device_ptrIxEEEENS9_18transform_iteratorINS9_6negateIxEESE_NS9_11use_defaultESI_EESE_xNS9_4plusIvEENS9_8equal_toIvEExEE10hipError_tPvRmT2_T3_T4_T5_mT6_T7_P12ihipStream_tbENKUlT_T0_E_clISt17integral_constantIbLb0EES14_EEDaSZ_S10_EUlSZ_E_NS1_11comp_targetILNS1_3genE0ELNS1_11target_archE4294967295ELNS1_3gpuE0ELNS1_3repE0EEENS1_30default_config_static_selectorELNS0_4arch9wavefront6targetE1EEEvT1_
                                        ; -- End function
	.section	.AMDGPU.csdata,"",@progbits
; Kernel info:
; codeLenInByte = 0
; NumSgprs: 6
; NumVgprs: 0
; NumAgprs: 0
; TotalNumVgprs: 0
; ScratchSize: 0
; MemoryBound: 0
; FloatMode: 240
; IeeeMode: 1
; LDSByteSize: 0 bytes/workgroup (compile time only)
; SGPRBlocks: 0
; VGPRBlocks: 0
; NumSGPRsForWavesPerEU: 6
; NumVGPRsForWavesPerEU: 1
; AccumOffset: 4
; Occupancy: 8
; WaveLimiterHint : 0
; COMPUTE_PGM_RSRC2:SCRATCH_EN: 0
; COMPUTE_PGM_RSRC2:USER_SGPR: 2
; COMPUTE_PGM_RSRC2:TRAP_HANDLER: 0
; COMPUTE_PGM_RSRC2:TGID_X_EN: 1
; COMPUTE_PGM_RSRC2:TGID_Y_EN: 0
; COMPUTE_PGM_RSRC2:TGID_Z_EN: 0
; COMPUTE_PGM_RSRC2:TIDIG_COMP_CNT: 0
; COMPUTE_PGM_RSRC3_GFX90A:ACCUM_OFFSET: 0
; COMPUTE_PGM_RSRC3_GFX90A:TG_SPLIT: 0
	.section	.text._ZN7rocprim17ROCPRIM_400000_NS6detail17trampoline_kernelINS0_14default_configENS1_27scan_by_key_config_selectorIxxEEZZNS1_16scan_by_key_implILNS1_25lookback_scan_determinismE0ELb0ES3_N6thrust23THRUST_200600_302600_NS6detail15normal_iteratorINS9_10device_ptrIxEEEENS9_18transform_iteratorINS9_6negateIxEESE_NS9_11use_defaultESI_EESE_xNS9_4plusIvEENS9_8equal_toIvEExEE10hipError_tPvRmT2_T3_T4_T5_mT6_T7_P12ihipStream_tbENKUlT_T0_E_clISt17integral_constantIbLb0EES14_EEDaSZ_S10_EUlSZ_E_NS1_11comp_targetILNS1_3genE10ELNS1_11target_archE1201ELNS1_3gpuE5ELNS1_3repE0EEENS1_30default_config_static_selectorELNS0_4arch9wavefront6targetE1EEEvT1_,"axG",@progbits,_ZN7rocprim17ROCPRIM_400000_NS6detail17trampoline_kernelINS0_14default_configENS1_27scan_by_key_config_selectorIxxEEZZNS1_16scan_by_key_implILNS1_25lookback_scan_determinismE0ELb0ES3_N6thrust23THRUST_200600_302600_NS6detail15normal_iteratorINS9_10device_ptrIxEEEENS9_18transform_iteratorINS9_6negateIxEESE_NS9_11use_defaultESI_EESE_xNS9_4plusIvEENS9_8equal_toIvEExEE10hipError_tPvRmT2_T3_T4_T5_mT6_T7_P12ihipStream_tbENKUlT_T0_E_clISt17integral_constantIbLb0EES14_EEDaSZ_S10_EUlSZ_E_NS1_11comp_targetILNS1_3genE10ELNS1_11target_archE1201ELNS1_3gpuE5ELNS1_3repE0EEENS1_30default_config_static_selectorELNS0_4arch9wavefront6targetE1EEEvT1_,comdat
	.protected	_ZN7rocprim17ROCPRIM_400000_NS6detail17trampoline_kernelINS0_14default_configENS1_27scan_by_key_config_selectorIxxEEZZNS1_16scan_by_key_implILNS1_25lookback_scan_determinismE0ELb0ES3_N6thrust23THRUST_200600_302600_NS6detail15normal_iteratorINS9_10device_ptrIxEEEENS9_18transform_iteratorINS9_6negateIxEESE_NS9_11use_defaultESI_EESE_xNS9_4plusIvEENS9_8equal_toIvEExEE10hipError_tPvRmT2_T3_T4_T5_mT6_T7_P12ihipStream_tbENKUlT_T0_E_clISt17integral_constantIbLb0EES14_EEDaSZ_S10_EUlSZ_E_NS1_11comp_targetILNS1_3genE10ELNS1_11target_archE1201ELNS1_3gpuE5ELNS1_3repE0EEENS1_30default_config_static_selectorELNS0_4arch9wavefront6targetE1EEEvT1_ ; -- Begin function _ZN7rocprim17ROCPRIM_400000_NS6detail17trampoline_kernelINS0_14default_configENS1_27scan_by_key_config_selectorIxxEEZZNS1_16scan_by_key_implILNS1_25lookback_scan_determinismE0ELb0ES3_N6thrust23THRUST_200600_302600_NS6detail15normal_iteratorINS9_10device_ptrIxEEEENS9_18transform_iteratorINS9_6negateIxEESE_NS9_11use_defaultESI_EESE_xNS9_4plusIvEENS9_8equal_toIvEExEE10hipError_tPvRmT2_T3_T4_T5_mT6_T7_P12ihipStream_tbENKUlT_T0_E_clISt17integral_constantIbLb0EES14_EEDaSZ_S10_EUlSZ_E_NS1_11comp_targetILNS1_3genE10ELNS1_11target_archE1201ELNS1_3gpuE5ELNS1_3repE0EEENS1_30default_config_static_selectorELNS0_4arch9wavefront6targetE1EEEvT1_
	.globl	_ZN7rocprim17ROCPRIM_400000_NS6detail17trampoline_kernelINS0_14default_configENS1_27scan_by_key_config_selectorIxxEEZZNS1_16scan_by_key_implILNS1_25lookback_scan_determinismE0ELb0ES3_N6thrust23THRUST_200600_302600_NS6detail15normal_iteratorINS9_10device_ptrIxEEEENS9_18transform_iteratorINS9_6negateIxEESE_NS9_11use_defaultESI_EESE_xNS9_4plusIvEENS9_8equal_toIvEExEE10hipError_tPvRmT2_T3_T4_T5_mT6_T7_P12ihipStream_tbENKUlT_T0_E_clISt17integral_constantIbLb0EES14_EEDaSZ_S10_EUlSZ_E_NS1_11comp_targetILNS1_3genE10ELNS1_11target_archE1201ELNS1_3gpuE5ELNS1_3repE0EEENS1_30default_config_static_selectorELNS0_4arch9wavefront6targetE1EEEvT1_
	.p2align	8
	.type	_ZN7rocprim17ROCPRIM_400000_NS6detail17trampoline_kernelINS0_14default_configENS1_27scan_by_key_config_selectorIxxEEZZNS1_16scan_by_key_implILNS1_25lookback_scan_determinismE0ELb0ES3_N6thrust23THRUST_200600_302600_NS6detail15normal_iteratorINS9_10device_ptrIxEEEENS9_18transform_iteratorINS9_6negateIxEESE_NS9_11use_defaultESI_EESE_xNS9_4plusIvEENS9_8equal_toIvEExEE10hipError_tPvRmT2_T3_T4_T5_mT6_T7_P12ihipStream_tbENKUlT_T0_E_clISt17integral_constantIbLb0EES14_EEDaSZ_S10_EUlSZ_E_NS1_11comp_targetILNS1_3genE10ELNS1_11target_archE1201ELNS1_3gpuE5ELNS1_3repE0EEENS1_30default_config_static_selectorELNS0_4arch9wavefront6targetE1EEEvT1_,@function
_ZN7rocprim17ROCPRIM_400000_NS6detail17trampoline_kernelINS0_14default_configENS1_27scan_by_key_config_selectorIxxEEZZNS1_16scan_by_key_implILNS1_25lookback_scan_determinismE0ELb0ES3_N6thrust23THRUST_200600_302600_NS6detail15normal_iteratorINS9_10device_ptrIxEEEENS9_18transform_iteratorINS9_6negateIxEESE_NS9_11use_defaultESI_EESE_xNS9_4plusIvEENS9_8equal_toIvEExEE10hipError_tPvRmT2_T3_T4_T5_mT6_T7_P12ihipStream_tbENKUlT_T0_E_clISt17integral_constantIbLb0EES14_EEDaSZ_S10_EUlSZ_E_NS1_11comp_targetILNS1_3genE10ELNS1_11target_archE1201ELNS1_3gpuE5ELNS1_3repE0EEENS1_30default_config_static_selectorELNS0_4arch9wavefront6targetE1EEEvT1_: ; @_ZN7rocprim17ROCPRIM_400000_NS6detail17trampoline_kernelINS0_14default_configENS1_27scan_by_key_config_selectorIxxEEZZNS1_16scan_by_key_implILNS1_25lookback_scan_determinismE0ELb0ES3_N6thrust23THRUST_200600_302600_NS6detail15normal_iteratorINS9_10device_ptrIxEEEENS9_18transform_iteratorINS9_6negateIxEESE_NS9_11use_defaultESI_EESE_xNS9_4plusIvEENS9_8equal_toIvEExEE10hipError_tPvRmT2_T3_T4_T5_mT6_T7_P12ihipStream_tbENKUlT_T0_E_clISt17integral_constantIbLb0EES14_EEDaSZ_S10_EUlSZ_E_NS1_11comp_targetILNS1_3genE10ELNS1_11target_archE1201ELNS1_3gpuE5ELNS1_3repE0EEENS1_30default_config_static_selectorELNS0_4arch9wavefront6targetE1EEEvT1_
; %bb.0:
	.section	.rodata,"a",@progbits
	.p2align	6, 0x0
	.amdhsa_kernel _ZN7rocprim17ROCPRIM_400000_NS6detail17trampoline_kernelINS0_14default_configENS1_27scan_by_key_config_selectorIxxEEZZNS1_16scan_by_key_implILNS1_25lookback_scan_determinismE0ELb0ES3_N6thrust23THRUST_200600_302600_NS6detail15normal_iteratorINS9_10device_ptrIxEEEENS9_18transform_iteratorINS9_6negateIxEESE_NS9_11use_defaultESI_EESE_xNS9_4plusIvEENS9_8equal_toIvEExEE10hipError_tPvRmT2_T3_T4_T5_mT6_T7_P12ihipStream_tbENKUlT_T0_E_clISt17integral_constantIbLb0EES14_EEDaSZ_S10_EUlSZ_E_NS1_11comp_targetILNS1_3genE10ELNS1_11target_archE1201ELNS1_3gpuE5ELNS1_3repE0EEENS1_30default_config_static_selectorELNS0_4arch9wavefront6targetE1EEEvT1_
		.amdhsa_group_segment_fixed_size 0
		.amdhsa_private_segment_fixed_size 0
		.amdhsa_kernarg_size 144
		.amdhsa_user_sgpr_count 2
		.amdhsa_user_sgpr_dispatch_ptr 0
		.amdhsa_user_sgpr_queue_ptr 0
		.amdhsa_user_sgpr_kernarg_segment_ptr 1
		.amdhsa_user_sgpr_dispatch_id 0
		.amdhsa_user_sgpr_kernarg_preload_length 0
		.amdhsa_user_sgpr_kernarg_preload_offset 0
		.amdhsa_user_sgpr_private_segment_size 0
		.amdhsa_uses_dynamic_stack 0
		.amdhsa_enable_private_segment 0
		.amdhsa_system_sgpr_workgroup_id_x 1
		.amdhsa_system_sgpr_workgroup_id_y 0
		.amdhsa_system_sgpr_workgroup_id_z 0
		.amdhsa_system_sgpr_workgroup_info 0
		.amdhsa_system_vgpr_workitem_id 0
		.amdhsa_next_free_vgpr 1
		.amdhsa_next_free_sgpr 0
		.amdhsa_accum_offset 4
		.amdhsa_reserve_vcc 0
		.amdhsa_float_round_mode_32 0
		.amdhsa_float_round_mode_16_64 0
		.amdhsa_float_denorm_mode_32 3
		.amdhsa_float_denorm_mode_16_64 3
		.amdhsa_dx10_clamp 1
		.amdhsa_ieee_mode 1
		.amdhsa_fp16_overflow 0
		.amdhsa_tg_split 0
		.amdhsa_exception_fp_ieee_invalid_op 0
		.amdhsa_exception_fp_denorm_src 0
		.amdhsa_exception_fp_ieee_div_zero 0
		.amdhsa_exception_fp_ieee_overflow 0
		.amdhsa_exception_fp_ieee_underflow 0
		.amdhsa_exception_fp_ieee_inexact 0
		.amdhsa_exception_int_div_zero 0
	.end_amdhsa_kernel
	.section	.text._ZN7rocprim17ROCPRIM_400000_NS6detail17trampoline_kernelINS0_14default_configENS1_27scan_by_key_config_selectorIxxEEZZNS1_16scan_by_key_implILNS1_25lookback_scan_determinismE0ELb0ES3_N6thrust23THRUST_200600_302600_NS6detail15normal_iteratorINS9_10device_ptrIxEEEENS9_18transform_iteratorINS9_6negateIxEESE_NS9_11use_defaultESI_EESE_xNS9_4plusIvEENS9_8equal_toIvEExEE10hipError_tPvRmT2_T3_T4_T5_mT6_T7_P12ihipStream_tbENKUlT_T0_E_clISt17integral_constantIbLb0EES14_EEDaSZ_S10_EUlSZ_E_NS1_11comp_targetILNS1_3genE10ELNS1_11target_archE1201ELNS1_3gpuE5ELNS1_3repE0EEENS1_30default_config_static_selectorELNS0_4arch9wavefront6targetE1EEEvT1_,"axG",@progbits,_ZN7rocprim17ROCPRIM_400000_NS6detail17trampoline_kernelINS0_14default_configENS1_27scan_by_key_config_selectorIxxEEZZNS1_16scan_by_key_implILNS1_25lookback_scan_determinismE0ELb0ES3_N6thrust23THRUST_200600_302600_NS6detail15normal_iteratorINS9_10device_ptrIxEEEENS9_18transform_iteratorINS9_6negateIxEESE_NS9_11use_defaultESI_EESE_xNS9_4plusIvEENS9_8equal_toIvEExEE10hipError_tPvRmT2_T3_T4_T5_mT6_T7_P12ihipStream_tbENKUlT_T0_E_clISt17integral_constantIbLb0EES14_EEDaSZ_S10_EUlSZ_E_NS1_11comp_targetILNS1_3genE10ELNS1_11target_archE1201ELNS1_3gpuE5ELNS1_3repE0EEENS1_30default_config_static_selectorELNS0_4arch9wavefront6targetE1EEEvT1_,comdat
.Lfunc_end894:
	.size	_ZN7rocprim17ROCPRIM_400000_NS6detail17trampoline_kernelINS0_14default_configENS1_27scan_by_key_config_selectorIxxEEZZNS1_16scan_by_key_implILNS1_25lookback_scan_determinismE0ELb0ES3_N6thrust23THRUST_200600_302600_NS6detail15normal_iteratorINS9_10device_ptrIxEEEENS9_18transform_iteratorINS9_6negateIxEESE_NS9_11use_defaultESI_EESE_xNS9_4plusIvEENS9_8equal_toIvEExEE10hipError_tPvRmT2_T3_T4_T5_mT6_T7_P12ihipStream_tbENKUlT_T0_E_clISt17integral_constantIbLb0EES14_EEDaSZ_S10_EUlSZ_E_NS1_11comp_targetILNS1_3genE10ELNS1_11target_archE1201ELNS1_3gpuE5ELNS1_3repE0EEENS1_30default_config_static_selectorELNS0_4arch9wavefront6targetE1EEEvT1_, .Lfunc_end894-_ZN7rocprim17ROCPRIM_400000_NS6detail17trampoline_kernelINS0_14default_configENS1_27scan_by_key_config_selectorIxxEEZZNS1_16scan_by_key_implILNS1_25lookback_scan_determinismE0ELb0ES3_N6thrust23THRUST_200600_302600_NS6detail15normal_iteratorINS9_10device_ptrIxEEEENS9_18transform_iteratorINS9_6negateIxEESE_NS9_11use_defaultESI_EESE_xNS9_4plusIvEENS9_8equal_toIvEExEE10hipError_tPvRmT2_T3_T4_T5_mT6_T7_P12ihipStream_tbENKUlT_T0_E_clISt17integral_constantIbLb0EES14_EEDaSZ_S10_EUlSZ_E_NS1_11comp_targetILNS1_3genE10ELNS1_11target_archE1201ELNS1_3gpuE5ELNS1_3repE0EEENS1_30default_config_static_selectorELNS0_4arch9wavefront6targetE1EEEvT1_
                                        ; -- End function
	.section	.AMDGPU.csdata,"",@progbits
; Kernel info:
; codeLenInByte = 0
; NumSgprs: 6
; NumVgprs: 0
; NumAgprs: 0
; TotalNumVgprs: 0
; ScratchSize: 0
; MemoryBound: 0
; FloatMode: 240
; IeeeMode: 1
; LDSByteSize: 0 bytes/workgroup (compile time only)
; SGPRBlocks: 0
; VGPRBlocks: 0
; NumSGPRsForWavesPerEU: 6
; NumVGPRsForWavesPerEU: 1
; AccumOffset: 4
; Occupancy: 8
; WaveLimiterHint : 0
; COMPUTE_PGM_RSRC2:SCRATCH_EN: 0
; COMPUTE_PGM_RSRC2:USER_SGPR: 2
; COMPUTE_PGM_RSRC2:TRAP_HANDLER: 0
; COMPUTE_PGM_RSRC2:TGID_X_EN: 1
; COMPUTE_PGM_RSRC2:TGID_Y_EN: 0
; COMPUTE_PGM_RSRC2:TGID_Z_EN: 0
; COMPUTE_PGM_RSRC2:TIDIG_COMP_CNT: 0
; COMPUTE_PGM_RSRC3_GFX90A:ACCUM_OFFSET: 0
; COMPUTE_PGM_RSRC3_GFX90A:TG_SPLIT: 0
	.section	.text._ZN7rocprim17ROCPRIM_400000_NS6detail17trampoline_kernelINS0_14default_configENS1_27scan_by_key_config_selectorIxxEEZZNS1_16scan_by_key_implILNS1_25lookback_scan_determinismE0ELb0ES3_N6thrust23THRUST_200600_302600_NS6detail15normal_iteratorINS9_10device_ptrIxEEEENS9_18transform_iteratorINS9_6negateIxEESE_NS9_11use_defaultESI_EESE_xNS9_4plusIvEENS9_8equal_toIvEExEE10hipError_tPvRmT2_T3_T4_T5_mT6_T7_P12ihipStream_tbENKUlT_T0_E_clISt17integral_constantIbLb0EES14_EEDaSZ_S10_EUlSZ_E_NS1_11comp_targetILNS1_3genE5ELNS1_11target_archE942ELNS1_3gpuE9ELNS1_3repE0EEENS1_30default_config_static_selectorELNS0_4arch9wavefront6targetE1EEEvT1_,"axG",@progbits,_ZN7rocprim17ROCPRIM_400000_NS6detail17trampoline_kernelINS0_14default_configENS1_27scan_by_key_config_selectorIxxEEZZNS1_16scan_by_key_implILNS1_25lookback_scan_determinismE0ELb0ES3_N6thrust23THRUST_200600_302600_NS6detail15normal_iteratorINS9_10device_ptrIxEEEENS9_18transform_iteratorINS9_6negateIxEESE_NS9_11use_defaultESI_EESE_xNS9_4plusIvEENS9_8equal_toIvEExEE10hipError_tPvRmT2_T3_T4_T5_mT6_T7_P12ihipStream_tbENKUlT_T0_E_clISt17integral_constantIbLb0EES14_EEDaSZ_S10_EUlSZ_E_NS1_11comp_targetILNS1_3genE5ELNS1_11target_archE942ELNS1_3gpuE9ELNS1_3repE0EEENS1_30default_config_static_selectorELNS0_4arch9wavefront6targetE1EEEvT1_,comdat
	.protected	_ZN7rocprim17ROCPRIM_400000_NS6detail17trampoline_kernelINS0_14default_configENS1_27scan_by_key_config_selectorIxxEEZZNS1_16scan_by_key_implILNS1_25lookback_scan_determinismE0ELb0ES3_N6thrust23THRUST_200600_302600_NS6detail15normal_iteratorINS9_10device_ptrIxEEEENS9_18transform_iteratorINS9_6negateIxEESE_NS9_11use_defaultESI_EESE_xNS9_4plusIvEENS9_8equal_toIvEExEE10hipError_tPvRmT2_T3_T4_T5_mT6_T7_P12ihipStream_tbENKUlT_T0_E_clISt17integral_constantIbLb0EES14_EEDaSZ_S10_EUlSZ_E_NS1_11comp_targetILNS1_3genE5ELNS1_11target_archE942ELNS1_3gpuE9ELNS1_3repE0EEENS1_30default_config_static_selectorELNS0_4arch9wavefront6targetE1EEEvT1_ ; -- Begin function _ZN7rocprim17ROCPRIM_400000_NS6detail17trampoline_kernelINS0_14default_configENS1_27scan_by_key_config_selectorIxxEEZZNS1_16scan_by_key_implILNS1_25lookback_scan_determinismE0ELb0ES3_N6thrust23THRUST_200600_302600_NS6detail15normal_iteratorINS9_10device_ptrIxEEEENS9_18transform_iteratorINS9_6negateIxEESE_NS9_11use_defaultESI_EESE_xNS9_4plusIvEENS9_8equal_toIvEExEE10hipError_tPvRmT2_T3_T4_T5_mT6_T7_P12ihipStream_tbENKUlT_T0_E_clISt17integral_constantIbLb0EES14_EEDaSZ_S10_EUlSZ_E_NS1_11comp_targetILNS1_3genE5ELNS1_11target_archE942ELNS1_3gpuE9ELNS1_3repE0EEENS1_30default_config_static_selectorELNS0_4arch9wavefront6targetE1EEEvT1_
	.globl	_ZN7rocprim17ROCPRIM_400000_NS6detail17trampoline_kernelINS0_14default_configENS1_27scan_by_key_config_selectorIxxEEZZNS1_16scan_by_key_implILNS1_25lookback_scan_determinismE0ELb0ES3_N6thrust23THRUST_200600_302600_NS6detail15normal_iteratorINS9_10device_ptrIxEEEENS9_18transform_iteratorINS9_6negateIxEESE_NS9_11use_defaultESI_EESE_xNS9_4plusIvEENS9_8equal_toIvEExEE10hipError_tPvRmT2_T3_T4_T5_mT6_T7_P12ihipStream_tbENKUlT_T0_E_clISt17integral_constantIbLb0EES14_EEDaSZ_S10_EUlSZ_E_NS1_11comp_targetILNS1_3genE5ELNS1_11target_archE942ELNS1_3gpuE9ELNS1_3repE0EEENS1_30default_config_static_selectorELNS0_4arch9wavefront6targetE1EEEvT1_
	.p2align	8
	.type	_ZN7rocprim17ROCPRIM_400000_NS6detail17trampoline_kernelINS0_14default_configENS1_27scan_by_key_config_selectorIxxEEZZNS1_16scan_by_key_implILNS1_25lookback_scan_determinismE0ELb0ES3_N6thrust23THRUST_200600_302600_NS6detail15normal_iteratorINS9_10device_ptrIxEEEENS9_18transform_iteratorINS9_6negateIxEESE_NS9_11use_defaultESI_EESE_xNS9_4plusIvEENS9_8equal_toIvEExEE10hipError_tPvRmT2_T3_T4_T5_mT6_T7_P12ihipStream_tbENKUlT_T0_E_clISt17integral_constantIbLb0EES14_EEDaSZ_S10_EUlSZ_E_NS1_11comp_targetILNS1_3genE5ELNS1_11target_archE942ELNS1_3gpuE9ELNS1_3repE0EEENS1_30default_config_static_selectorELNS0_4arch9wavefront6targetE1EEEvT1_,@function
_ZN7rocprim17ROCPRIM_400000_NS6detail17trampoline_kernelINS0_14default_configENS1_27scan_by_key_config_selectorIxxEEZZNS1_16scan_by_key_implILNS1_25lookback_scan_determinismE0ELb0ES3_N6thrust23THRUST_200600_302600_NS6detail15normal_iteratorINS9_10device_ptrIxEEEENS9_18transform_iteratorINS9_6negateIxEESE_NS9_11use_defaultESI_EESE_xNS9_4plusIvEENS9_8equal_toIvEExEE10hipError_tPvRmT2_T3_T4_T5_mT6_T7_P12ihipStream_tbENKUlT_T0_E_clISt17integral_constantIbLb0EES14_EEDaSZ_S10_EUlSZ_E_NS1_11comp_targetILNS1_3genE5ELNS1_11target_archE942ELNS1_3gpuE9ELNS1_3repE0EEENS1_30default_config_static_selectorELNS0_4arch9wavefront6targetE1EEEvT1_: ; @_ZN7rocprim17ROCPRIM_400000_NS6detail17trampoline_kernelINS0_14default_configENS1_27scan_by_key_config_selectorIxxEEZZNS1_16scan_by_key_implILNS1_25lookback_scan_determinismE0ELb0ES3_N6thrust23THRUST_200600_302600_NS6detail15normal_iteratorINS9_10device_ptrIxEEEENS9_18transform_iteratorINS9_6negateIxEESE_NS9_11use_defaultESI_EESE_xNS9_4plusIvEENS9_8equal_toIvEExEE10hipError_tPvRmT2_T3_T4_T5_mT6_T7_P12ihipStream_tbENKUlT_T0_E_clISt17integral_constantIbLb0EES14_EEDaSZ_S10_EUlSZ_E_NS1_11comp_targetILNS1_3genE5ELNS1_11target_archE942ELNS1_3gpuE9ELNS1_3repE0EEENS1_30default_config_static_selectorELNS0_4arch9wavefront6targetE1EEEvT1_
; %bb.0:
	s_load_dwordx4 s[4:7], s[0:1], 0x0
	s_load_dwordx2 s[8:9], s[0:1], 0x10
	s_load_dwordx8 s[40:47], s[0:1], 0x38
	s_load_dwordx2 s[56:57], s[0:1], 0x58
	s_load_dword s3, s[0:1], 0x60
	s_load_dwordx8 s[48:55], s[0:1], 0x68
	s_waitcnt lgkmcnt(0)
	s_lshl_b64 s[38:39], s[6:7], 3
	s_add_u32 s6, s4, s38
	s_addc_u32 s7, s5, s39
	s_add_u32 s8, s8, s38
	s_mul_i32 s4, s57, s3
	s_mul_hi_u32 s5, s56, s3
	s_addc_u32 s9, s9, s39
	s_add_i32 s12, s5, s4
	s_cmp_lg_u64 s[52:53], 0
	s_mul_i32 s4, s2, 0xe00
	s_mov_b32 s5, 0
	s_cselect_b64 s[60:61], -1, 0
	s_lshl_b64 s[52:53], s[4:5], 3
	s_add_u32 s58, s6, s52
	s_addc_u32 s59, s7, s53
	s_add_u32 s36, s8, s52
	s_mul_i32 s3, s56, s3
	s_addc_u32 s37, s9, s53
	s_add_u32 s62, s3, s2
	s_addc_u32 s63, s12, 0
	s_add_u32 s4, s48, -1
	s_addc_u32 s5, s49, -1
	v_mov_b64_e32 v[2:3], s[4:5]
	v_cmp_ge_u64_e64 s[34:35], s[62:63], v[2:3]
	s_mov_b64 s[10:11], 0
	s_mov_b64 s[6:7], -1
	s_and_b64 vcc, exec, s[34:35]
	s_mul_i32 s33, s4, 0xfffff200
	s_barrier
	s_cbranch_vccz .LBB895_77
; %bb.1:
	v_mov_b64_e32 v[2:3], s[58:59]
	flat_load_dwordx2 v[24:25], v[2:3]
	s_add_i32 s47, s33, s46
	v_cmp_gt_u32_e64 s[4:5], s47, v0
	s_waitcnt vmcnt(0) lgkmcnt(0)
	v_mov_b64_e32 v[28:29], v[24:25]
	s_and_saveexec_b64 s[6:7], s[4:5]
	s_cbranch_execz .LBB895_3
; %bb.2:
	v_lshlrev_b32_e32 v2, 3, v0
	v_mov_b32_e32 v3, 0
	v_lshl_add_u64 v[2:3], s[58:59], 0, v[2:3]
	flat_load_dwordx2 v[28:29], v[2:3]
.LBB895_3:
	s_or_b64 exec, exec, s[6:7]
	v_or_b32_e32 v1, 0x100, v0
	v_cmp_gt_u32_e64 s[6:7], s47, v1
	v_mov_b64_e32 v[30:31], v[24:25]
	s_and_saveexec_b64 s[8:9], s[6:7]
	s_cbranch_execz .LBB895_5
; %bb.4:
	v_lshlrev_b32_e32 v2, 3, v0
	v_mov_b32_e32 v3, 0
	v_lshl_add_u64 v[2:3], s[58:59], 0, v[2:3]
	flat_load_dwordx2 v[30:31], v[2:3] offset:2048
.LBB895_5:
	s_or_b64 exec, exec, s[8:9]
	v_or_b32_e32 v1, 0x200, v0
	v_cmp_gt_u32_e64 s[8:9], s47, v1
	v_lshlrev_b32_e32 v2, 3, v1
	v_mov_b64_e32 v[32:33], v[24:25]
	s_and_saveexec_b64 s[10:11], s[8:9]
	s_cbranch_execz .LBB895_7
; %bb.6:
	v_mov_b32_e32 v3, 0
	v_lshl_add_u64 v[4:5], s[58:59], 0, v[2:3]
	flat_load_dwordx2 v[32:33], v[4:5]
.LBB895_7:
	s_or_b64 exec, exec, s[10:11]
	v_or_b32_e32 v1, 0x300, v0
	v_cmp_gt_u32_e64 s[10:11], s47, v1
	v_lshlrev_b32_e32 v4, 3, v1
	v_mov_b64_e32 v[34:35], v[24:25]
	s_and_saveexec_b64 s[12:13], s[10:11]
	s_cbranch_execz .LBB895_9
; %bb.8:
	v_mov_b32_e32 v5, 0
	v_lshl_add_u64 v[6:7], s[58:59], 0, v[4:5]
	flat_load_dwordx2 v[34:35], v[6:7]
.LBB895_9:
	;; [unrolled: 12-line block ×11, first 2 shown]
	s_or_b64 exec, exec, s[30:31]
	v_or_b32_e32 v1, 0xd00, v0
	v_cmp_gt_u32_e64 s[30:31], s47, v1
	v_lshlrev_b32_e32 v26, 3, v1
	s_and_saveexec_b64 s[48:49], s[30:31]
	s_cbranch_execz .LBB895_29
; %bb.28:
	v_mov_b32_e32 v27, 0
	v_lshl_add_u64 v[24:25], s[58:59], 0, v[26:27]
	flat_load_dwordx2 v[24:25], v[24:25]
.LBB895_29:
	s_or_b64 exec, exec, s[48:49]
	v_lshlrev_b32_e32 v1, 3, v0
	s_movk_i32 s3, 0x68
	s_waitcnt vmcnt(0) lgkmcnt(0)
	ds_write2st64_b64 v1, v[28:29], v[30:31] offset1:4
	ds_write2st64_b64 v1, v[32:33], v[34:35] offset0:8 offset1:12
	ds_write2st64_b64 v1, v[36:37], v[38:39] offset0:16 offset1:20
	ds_write2st64_b64 v1, v[40:41], v[42:43] offset0:24 offset1:28
	ds_write2st64_b64 v1, v[44:45], v[46:47] offset0:32 offset1:36
	ds_write2st64_b64 v1, v[48:49], v[50:51] offset0:40 offset1:44
	ds_write2st64_b64 v1, v[52:53], v[24:25] offset0:48 offset1:52
	v_mad_u32_u24 v36, v0, s3, v1
	s_waitcnt lgkmcnt(0)
	s_barrier
	ds_read_b128 v[74:77], v36
	ds_read_b128 v[70:73], v36 offset:16
	ds_read_b128 v[66:69], v36 offset:32
	;; [unrolled: 1-line block ×6, first 2 shown]
	s_cmp_eq_u64 s[62:63], 0
	s_mov_b64 s[48:49], s[58:59]
	s_cbranch_scc1 .LBB895_33
; %bb.30:
	s_andn2_b64 vcc, exec, s[60:61]
	s_cbranch_vccnz .LBB895_231
; %bb.31:
	s_lshl_b64 s[48:49], s[62:63], 3
	s_add_u32 s3, s54, s48
	s_addc_u32 s49, s55, s49
	s_add_u32 s48, s3, -8
	s_addc_u32 s49, s49, -1
	s_cbranch_execnz .LBB895_33
.LBB895_32:
	s_add_u32 s48, s58, -8
	s_addc_u32 s49, s59, -1
.LBB895_33:
	v_mov_b64_e32 v[24:25], s[48:49]
	flat_load_dwordx2 v[24:25], v[24:25]
	s_movk_i32 s3, 0xff98
	v_mad_i32_i24 v3, v0, s3, v36
	v_cmp_ne_u32_e32 vcc, 0, v0
	s_waitcnt lgkmcnt(0)
	ds_write_b64 v3, v[60:61] offset:28672
	s_waitcnt lgkmcnt(0)
	s_barrier
	s_and_saveexec_b64 s[48:49], vcc
	s_cbranch_execz .LBB895_35
; %bb.34:
	v_mul_i32_i24_e32 v3, 0xffffff98, v0
	v_add_u32_e32 v3, v36, v3
	s_waitcnt vmcnt(0)
	ds_read_b64 v[24:25], v3 offset:28664
.LBB895_35:
	s_or_b64 exec, exec, s[48:49]
	s_waitcnt lgkmcnt(0)
	s_barrier
	s_waitcnt lgkmcnt(0)
                                        ; implicit-def: $vgpr28_vgpr29
	s_and_saveexec_b64 s[48:49], s[4:5]
	s_cbranch_execnz .LBB895_218
; %bb.36:
	s_or_b64 exec, exec, s[48:49]
                                        ; implicit-def: $vgpr30_vgpr31
	s_and_saveexec_b64 s[4:5], s[6:7]
	s_cbranch_execnz .LBB895_219
.LBB895_37:
	s_or_b64 exec, exec, s[4:5]
                                        ; implicit-def: $vgpr32_vgpr33
	s_and_saveexec_b64 s[4:5], s[8:9]
	s_cbranch_execnz .LBB895_220
.LBB895_38:
	s_or_b64 exec, exec, s[4:5]
                                        ; implicit-def: $vgpr2_vgpr3
	s_and_saveexec_b64 s[4:5], s[10:11]
	s_cbranch_execnz .LBB895_221
.LBB895_39:
	s_or_b64 exec, exec, s[4:5]
                                        ; implicit-def: $vgpr4_vgpr5
	s_and_saveexec_b64 s[4:5], s[12:13]
	s_cbranch_execnz .LBB895_222
.LBB895_40:
	s_or_b64 exec, exec, s[4:5]
                                        ; implicit-def: $vgpr6_vgpr7
	s_and_saveexec_b64 s[4:5], s[14:15]
	s_cbranch_execnz .LBB895_223
.LBB895_41:
	s_or_b64 exec, exec, s[4:5]
                                        ; implicit-def: $vgpr8_vgpr9
	s_and_saveexec_b64 s[4:5], s[16:17]
	s_cbranch_execnz .LBB895_224
.LBB895_42:
	s_or_b64 exec, exec, s[4:5]
                                        ; implicit-def: $vgpr10_vgpr11
	s_and_saveexec_b64 s[4:5], s[18:19]
	s_cbranch_execnz .LBB895_225
.LBB895_43:
	s_or_b64 exec, exec, s[4:5]
                                        ; implicit-def: $vgpr12_vgpr13
	s_and_saveexec_b64 s[4:5], s[20:21]
	s_cbranch_execnz .LBB895_226
.LBB895_44:
	s_or_b64 exec, exec, s[4:5]
                                        ; implicit-def: $vgpr14_vgpr15
	s_and_saveexec_b64 s[4:5], s[22:23]
	s_cbranch_execnz .LBB895_227
.LBB895_45:
	s_or_b64 exec, exec, s[4:5]
                                        ; implicit-def: $vgpr16_vgpr17
	s_and_saveexec_b64 s[4:5], s[24:25]
	s_cbranch_execnz .LBB895_228
.LBB895_46:
	s_or_b64 exec, exec, s[4:5]
                                        ; implicit-def: $vgpr18_vgpr19
	s_and_saveexec_b64 s[4:5], s[26:27]
	s_cbranch_execnz .LBB895_229
.LBB895_47:
	s_or_b64 exec, exec, s[4:5]
                                        ; implicit-def: $vgpr20_vgpr21
	s_and_saveexec_b64 s[4:5], s[28:29]
	s_cbranch_execnz .LBB895_230
.LBB895_48:
	s_or_b64 exec, exec, s[4:5]
                                        ; implicit-def: $vgpr22_vgpr23
	s_and_saveexec_b64 s[4:5], s[30:31]
	s_cbranch_execz .LBB895_50
.LBB895_49:
	global_load_dwordx2 v[22:23], v26, s[36:37]
	s_waitcnt vmcnt(0)
	v_sub_co_u32_e32 v22, vcc, 0, v22
	s_nop 1
	v_subb_co_u32_e32 v23, vcc, 0, v23, vcc
.LBB895_50:
	s_or_b64 exec, exec, s[4:5]
	v_mul_u32_u24_e32 v37, 14, v0
	v_mov_b64_e32 v[78:79], 0
	ds_write2st64_b64 v1, v[28:29], v[30:31] offset1:4
	ds_write2st64_b64 v1, v[32:33], v[2:3] offset0:8 offset1:12
	ds_write2st64_b64 v1, v[4:5], v[6:7] offset0:16 offset1:20
	;; [unrolled: 1-line block ×6, first 2 shown]
	v_cmp_gt_u32_e32 vcc, s47, v37
	s_mov_b64 s[10:11], 0
	s_mov_b64 s[6:7], 0
	s_mov_b32 s3, 0
	v_mov_b32_e32 v80, 0
	v_mov_b32_e32 v91, 0
	v_mov_b64_e32 v[46:47], v[78:79]
	v_mov_b32_e32 v90, 0
	v_mov_b64_e32 v[34:35], v[78:79]
	;; [unrolled: 2-line block ×12, first 2 shown]
	s_waitcnt lgkmcnt(0)
	s_barrier
	s_waitcnt lgkmcnt(0)
                                        ; implicit-def: $sgpr4_sgpr5
                                        ; implicit-def: $vgpr52_vgpr53
	s_and_saveexec_b64 s[8:9], vcc
	s_cbranch_execz .LBB895_76
; %bb.51:
	ds_read_b64 v[2:3], v36
	s_waitcnt vmcnt(0)
	v_cmp_ne_u64_e32 vcc, v[24:25], v[74:75]
	v_or_b32_e32 v4, 1, v37
	v_mov_b64_e32 v[78:79], 0
	v_cndmask_b32_e64 v1, 0, 1, vcc
	v_cmp_gt_u32_e32 vcc, s47, v4
	s_mov_b64 s[12:13], 0
	s_mov_b64 s[4:5], 0
	v_mov_b32_e32 v80, 0
	v_mov_b32_e32 v91, 0
	v_mov_b64_e32 v[46:47], v[78:79]
	v_mov_b32_e32 v90, 0
	v_mov_b64_e32 v[34:35], v[78:79]
	;; [unrolled: 2-line block ×11, first 2 shown]
                                        ; implicit-def: $sgpr14_sgpr15
                                        ; implicit-def: $vgpr52_vgpr53
	s_and_saveexec_b64 s[10:11], vcc
	s_cbranch_execz .LBB895_75
; %bb.52:
	ds_read2_b64 v[14:17], v36 offset0:1 offset1:2
	v_cmp_ne_u64_e32 vcc, v[74:75], v[76:77]
	v_add_u32_e32 v4, 2, v37
	v_mov_b64_e32 v[78:79], 0
	v_cndmask_b32_e64 v82, 0, 1, vcc
	v_cmp_gt_u32_e32 vcc, s47, v4
	s_mov_b64 s[16:17], 0
	v_mov_b32_e32 v80, 0
	v_mov_b32_e32 v91, 0
	v_mov_b64_e32 v[46:47], v[78:79]
	v_mov_b32_e32 v90, 0
	v_mov_b64_e32 v[34:35], v[78:79]
	;; [unrolled: 2-line block ×10, first 2 shown]
                                        ; implicit-def: $sgpr14_sgpr15
                                        ; implicit-def: $vgpr52_vgpr53
	s_and_saveexec_b64 s[12:13], vcc
	s_cbranch_execz .LBB895_74
; %bb.53:
	v_cmp_ne_u64_e32 vcc, v[76:77], v[70:71]
	v_add_u32_e32 v4, 3, v37
	v_mov_b64_e32 v[78:79], 0
	s_waitcnt lgkmcnt(0)
	v_mov_b32_e32 v6, v16
	v_mov_b32_e32 v7, v17
	v_cndmask_b32_e64 v81, 0, 1, vcc
	v_cmp_gt_u32_e32 vcc, s47, v4
	v_mov_b32_e32 v80, 0
	v_mov_b32_e32 v91, 0
	v_mov_b64_e32 v[46:47], v[78:79]
	v_mov_b32_e32 v90, 0
	v_mov_b64_e32 v[34:35], v[78:79]
	;; [unrolled: 2-line block ×9, first 2 shown]
                                        ; implicit-def: $sgpr18_sgpr19
                                        ; implicit-def: $vgpr52_vgpr53
	s_and_saveexec_b64 s[14:15], vcc
	s_cbranch_execz .LBB895_73
; %bb.54:
	ds_read2_b64 v[22:25], v36 offset0:3 offset1:4
	v_cmp_ne_u64_e32 vcc, v[70:71], v[72:73]
	v_add_u32_e32 v4, 4, v37
	v_mov_b64_e32 v[78:79], 0
	v_cndmask_b32_e64 v83, 0, 1, vcc
	v_cmp_gt_u32_e32 vcc, s47, v4
	s_mov_b64 s[20:21], 0
	v_mov_b32_e32 v80, 0
	v_mov_b32_e32 v91, 0
	v_mov_b64_e32 v[46:47], v[78:79]
	v_mov_b32_e32 v90, 0
	v_mov_b64_e32 v[34:35], v[78:79]
	v_mov_b32_e32 v89, 0
	v_mov_b64_e32 v[42:43], v[78:79]
	v_mov_b32_e32 v88, 0
	v_mov_b64_e32 v[26:27], v[78:79]
	v_mov_b32_e32 v87, 0
	v_mov_b64_e32 v[38:39], v[78:79]
	v_mov_b32_e32 v86, 0
	v_mov_b64_e32 v[18:19], v[78:79]
	v_mov_b32_e32 v85, 0
	v_mov_b64_e32 v[30:31], v[78:79]
	v_mov_b32_e32 v84, 0
	v_mov_b64_e32 v[10:11], v[78:79]
                                        ; implicit-def: $sgpr18_sgpr19
                                        ; implicit-def: $vgpr52_vgpr53
	s_and_saveexec_b64 s[16:17], vcc
	s_cbranch_execz .LBB895_72
; %bb.55:
	v_cmp_ne_u64_e32 vcc, v[72:73], v[66:67]
	v_add_u32_e32 v4, 5, v37
	v_mov_b64_e32 v[78:79], 0
	s_waitcnt lgkmcnt(0)
	v_mov_b32_e32 v10, v24
	v_mov_b32_e32 v11, v25
	v_cndmask_b32_e64 v84, 0, 1, vcc
	v_cmp_gt_u32_e32 vcc, s47, v4
	v_mov_b32_e32 v80, 0
	v_mov_b32_e32 v91, 0
	v_mov_b64_e32 v[46:47], v[78:79]
	v_mov_b32_e32 v90, 0
	v_mov_b64_e32 v[34:35], v[78:79]
	;; [unrolled: 2-line block ×7, first 2 shown]
                                        ; implicit-def: $sgpr22_sgpr23
                                        ; implicit-def: $vgpr52_vgpr53
	s_and_saveexec_b64 s[18:19], vcc
	s_cbranch_execz .LBB895_71
; %bb.56:
	ds_read2_b64 v[30:33], v36 offset0:5 offset1:6
	v_cmp_ne_u64_e32 vcc, v[66:67], v[68:69]
	v_add_u32_e32 v4, 6, v37
	v_mov_b64_e32 v[78:79], 0
	v_cndmask_b32_e64 v85, 0, 1, vcc
	v_cmp_gt_u32_e32 vcc, s47, v4
	s_mov_b64 s[24:25], 0
	v_mov_b32_e32 v80, 0
	v_mov_b32_e32 v91, 0
	v_mov_b64_e32 v[46:47], v[78:79]
	v_mov_b32_e32 v90, 0
	v_mov_b64_e32 v[34:35], v[78:79]
	;; [unrolled: 2-line block ×6, first 2 shown]
                                        ; implicit-def: $sgpr22_sgpr23
                                        ; implicit-def: $vgpr52_vgpr53
	s_and_saveexec_b64 s[20:21], vcc
	s_cbranch_execz .LBB895_70
; %bb.57:
	v_cmp_ne_u64_e32 vcc, v[68:69], v[62:63]
	v_add_u32_e32 v4, 7, v37
	v_mov_b64_e32 v[78:79], 0
	s_waitcnt lgkmcnt(0)
	v_mov_b32_e32 v18, v32
	v_mov_b32_e32 v19, v33
	v_cndmask_b32_e64 v86, 0, 1, vcc
	v_cmp_gt_u32_e32 vcc, s47, v4
	v_mov_b32_e32 v80, 0
	v_mov_b32_e32 v91, 0
	v_mov_b64_e32 v[46:47], v[78:79]
	v_mov_b32_e32 v90, 0
	v_mov_b64_e32 v[34:35], v[78:79]
	;; [unrolled: 2-line block ×5, first 2 shown]
                                        ; implicit-def: $sgpr26_sgpr27
                                        ; implicit-def: $vgpr52_vgpr53
	s_and_saveexec_b64 s[22:23], vcc
	s_cbranch_execz .LBB895_69
; %bb.58:
	ds_read2_b64 v[38:41], v36 offset0:7 offset1:8
	v_cmp_ne_u64_e32 vcc, v[62:63], v[64:65]
	v_add_u32_e32 v4, 8, v37
	v_mov_b64_e32 v[78:79], 0
	v_cndmask_b32_e64 v87, 0, 1, vcc
	v_cmp_gt_u32_e32 vcc, s47, v4
	s_mov_b64 s[28:29], 0
	v_mov_b32_e32 v80, 0
	v_mov_b32_e32 v91, 0
	v_mov_b64_e32 v[46:47], v[78:79]
	v_mov_b32_e32 v90, 0
	v_mov_b64_e32 v[34:35], v[78:79]
	;; [unrolled: 2-line block ×4, first 2 shown]
                                        ; implicit-def: $sgpr26_sgpr27
                                        ; implicit-def: $vgpr52_vgpr53
	s_and_saveexec_b64 s[24:25], vcc
	s_cbranch_execz .LBB895_68
; %bb.59:
	v_cmp_ne_u64_e32 vcc, v[64:65], v[48:49]
	v_add_u32_e32 v4, 9, v37
	v_mov_b64_e32 v[78:79], 0
	s_waitcnt lgkmcnt(0)
	v_mov_b32_e32 v26, v40
	v_mov_b32_e32 v27, v41
	v_cndmask_b32_e64 v88, 0, 1, vcc
	v_cmp_gt_u32_e32 vcc, s47, v4
	v_mov_b32_e32 v80, 0
	v_mov_b32_e32 v91, 0
	v_mov_b64_e32 v[46:47], v[78:79]
	v_mov_b32_e32 v90, 0
	v_mov_b64_e32 v[34:35], v[78:79]
	;; [unrolled: 2-line block ×3, first 2 shown]
                                        ; implicit-def: $sgpr30_sgpr31
                                        ; implicit-def: $vgpr52_vgpr53
	s_and_saveexec_b64 s[26:27], vcc
	s_cbranch_execz .LBB895_67
; %bb.60:
	ds_read2_b64 v[42:45], v36 offset0:9 offset1:10
	v_cmp_ne_u64_e32 vcc, v[48:49], v[50:51]
	v_add_u32_e32 v4, 10, v37
	v_mov_b64_e32 v[78:79], 0
	v_cndmask_b32_e64 v89, 0, 1, vcc
	v_cmp_gt_u32_e32 vcc, s47, v4
	s_mov_b64 s[48:49], 0
	v_mov_b32_e32 v80, 0
	v_mov_b32_e32 v91, 0
	v_mov_b64_e32 v[46:47], v[78:79]
	v_mov_b32_e32 v90, 0
	v_mov_b64_e32 v[34:35], v[78:79]
                                        ; implicit-def: $sgpr30_sgpr31
                                        ; implicit-def: $vgpr52_vgpr53
	s_and_saveexec_b64 s[28:29], vcc
	s_cbranch_execz .LBB895_66
; %bb.61:
	v_cmp_ne_u64_e32 vcc, v[50:51], v[54:55]
	v_add_u32_e32 v4, 11, v37
	v_mov_b64_e32 v[78:79], 0
	s_waitcnt lgkmcnt(0)
	v_mov_b32_e32 v34, v44
	v_mov_b32_e32 v35, v45
	v_cndmask_b32_e64 v90, 0, 1, vcc
	v_cmp_gt_u32_e32 vcc, s47, v4
	v_mov_b32_e32 v80, 0
	v_mov_b32_e32 v91, 0
	v_mov_b64_e32 v[46:47], v[78:79]
                                        ; implicit-def: $sgpr64_sgpr65
                                        ; implicit-def: $vgpr52_vgpr53
	s_and_saveexec_b64 s[30:31], vcc
	s_cbranch_execz .LBB895_65
; %bb.62:
	ds_read2_b64 v[46:49], v36 offset0:11 offset1:12
	v_cmp_ne_u64_e32 vcc, v[54:55], v[56:57]
	v_add_u32_e32 v4, 12, v37
	v_mov_b32_e32 v80, 0
	v_cndmask_b32_e64 v91, 0, 1, vcc
	v_cmp_gt_u32_e32 vcc, s47, v4
	v_mov_b64_e32 v[78:79], 0
                                        ; implicit-def: $sgpr48_sgpr49
                                        ; implicit-def: $vgpr52_vgpr53
	s_and_saveexec_b64 s[64:65], vcc
	s_xor_b64 s[64:65], exec, s[64:65]
	s_cbranch_execz .LBB895_64
; %bb.63:
	ds_read_b64 v[52:53], v36 offset:104
	v_cmp_ne_u64_e64 s[4:5], v[56:57], v[58:59]
	v_add_u32_e32 v4, 13, v37
	v_cmp_ne_u64_e32 vcc, v[58:59], v[60:61]
	v_cndmask_b32_e64 v80, 0, 1, s[4:5]
	v_cmp_gt_u32_e64 s[4:5], s47, v4
	s_and_b64 s[48:49], vcc, exec
	s_and_b64 s[4:5], s[4:5], exec
	s_waitcnt lgkmcnt(1)
	v_mov_b64_e32 v[50:51], v[48:49]
	v_mov_b64_e32 v[78:79], v[48:49]
.LBB895_64:
	s_or_b64 exec, exec, s[64:65]
	s_and_b64 s[64:65], s[48:49], exec
	s_and_b64 s[48:49], s[4:5], exec
.LBB895_65:
	s_or_b64 exec, exec, s[30:31]
	s_and_b64 s[30:31], s[64:65], exec
	s_and_b64 s[4:5], s[48:49], exec
	s_waitcnt lgkmcnt(0)
	v_mov_b64_e32 v[36:37], v[46:47]
	v_mov_b64_e32 v[28:29], v[42:43]
	;; [unrolled: 1-line block ×6, first 2 shown]
.LBB895_66:
	s_or_b64 exec, exec, s[28:29]
	s_and_b64 s[30:31], s[30:31], exec
	s_and_b64 s[28:29], s[4:5], exec
.LBB895_67:
	s_or_b64 exec, exec, s[26:27]
	s_and_b64 s[26:27], s[30:31], exec
	s_and_b64 s[4:5], s[28:29], exec
.LBB895_68:
	s_or_b64 exec, exec, s[24:25]
	s_and_b64 s[26:27], s[26:27], exec
	s_and_b64 s[24:25], s[4:5], exec
.LBB895_69:
	s_or_b64 exec, exec, s[22:23]
	s_and_b64 s[22:23], s[26:27], exec
	s_and_b64 s[4:5], s[24:25], exec
.LBB895_70:
	s_or_b64 exec, exec, s[20:21]
	s_and_b64 s[22:23], s[22:23], exec
	s_and_b64 s[20:21], s[4:5], exec
.LBB895_71:
	s_or_b64 exec, exec, s[18:19]
	s_and_b64 s[18:19], s[22:23], exec
	s_and_b64 s[4:5], s[20:21], exec
.LBB895_72:
	s_or_b64 exec, exec, s[16:17]
	s_and_b64 s[18:19], s[18:19], exec
	s_and_b64 s[16:17], s[4:5], exec
.LBB895_73:
	s_or_b64 exec, exec, s[14:15]
	s_and_b64 s[14:15], s[18:19], exec
	s_and_b64 s[4:5], s[16:17], exec
.LBB895_74:
	s_or_b64 exec, exec, s[12:13]
	s_and_b64 s[14:15], s[14:15], exec
	s_and_b64 s[12:13], s[4:5], exec
.LBB895_75:
	s_or_b64 exec, exec, s[10:11]
	s_and_b64 s[4:5], s[14:15], exec
	s_and_b64 s[10:11], s[12:13], exec
.LBB895_76:
	s_or_b64 exec, exec, s[8:9]
	s_mov_b64 s[8:9], 0
	s_and_b64 vcc, exec, s[6:7]
	s_waitcnt lgkmcnt(0)
	v_lshlrev_b32_e32 v32, 3, v0
	s_cbranch_vccnz .LBB895_78
	s_branch .LBB895_86
.LBB895_77:
                                        ; implicit-def: $sgpr4_sgpr5
                                        ; implicit-def: $vgpr52_vgpr53
                                        ; implicit-def: $vgpr80
                                        ; implicit-def: $vgpr91
                                        ; implicit-def: $vgpr36_vgpr37
                                        ; implicit-def: $vgpr90
                                        ; implicit-def: $vgpr89
                                        ; implicit-def: $vgpr28_vgpr29
                                        ; implicit-def: $vgpr88
                                        ; implicit-def: $vgpr87
                                        ; implicit-def: $vgpr20_vgpr21
                                        ; implicit-def: $vgpr86
                                        ; implicit-def: $vgpr85
                                        ; implicit-def: $vgpr12_vgpr13
                                        ; implicit-def: $vgpr84
                                        ; implicit-def: $vgpr83
                                        ; implicit-def: $vgpr8_vgpr9
                                        ; implicit-def: $vgpr81
                                        ; implicit-def: $vgpr82
                                        ; implicit-def: $vgpr4_vgpr5
                                        ; implicit-def: $vgpr1
                                        ; implicit-def: $sgpr3
                                        ; implicit-def: $sgpr8_sgpr9
                                        ; implicit-def: $vgpr78_vgpr79
                                        ; implicit-def: $vgpr46_vgpr47
                                        ; implicit-def: $vgpr42_vgpr43
                                        ; implicit-def: $vgpr38_vgpr39
                                        ; implicit-def: $vgpr30_vgpr31
                                        ; implicit-def: $vgpr22_vgpr23
                                        ; implicit-def: $vgpr14_vgpr15
	s_and_b64 vcc, exec, s[6:7]
	v_lshlrev_b32_e32 v32, 3, v0
	s_cbranch_vccz .LBB895_86
.LBB895_78:
	v_mov_b32_e32 v33, 0
	v_lshl_add_u64 v[2:3], s[58:59], 0, v[32:33]
	v_add_co_u32_e32 v4, vcc, 0x1000, v2
	s_movk_i32 s3, 0x68
	s_nop 0
	v_addc_co_u32_e32 v5, vcc, 0, v3, vcc
	flat_load_dwordx2 v[6:7], v[2:3]
	flat_load_dwordx2 v[8:9], v[2:3] offset:2048
	flat_load_dwordx2 v[10:11], v[4:5]
	flat_load_dwordx2 v[12:13], v[4:5] offset:2048
	v_add_co_u32_e32 v4, vcc, 0x2000, v2
	v_mad_u32_u24 v1, v0, s3, v32
	s_nop 0
	v_addc_co_u32_e32 v5, vcc, 0, v3, vcc
	v_add_co_u32_e32 v14, vcc, 0x3000, v2
	s_cmp_eq_u64 s[62:63], 0
	s_nop 0
	v_addc_co_u32_e32 v15, vcc, 0, v3, vcc
	flat_load_dwordx2 v[16:17], v[4:5]
	flat_load_dwordx2 v[18:19], v[4:5] offset:2048
	flat_load_dwordx2 v[20:21], v[14:15]
	flat_load_dwordx2 v[22:23], v[14:15] offset:2048
	v_add_co_u32_e32 v4, vcc, 0x4000, v2
	s_nop 1
	v_addc_co_u32_e32 v5, vcc, 0, v3, vcc
	v_add_co_u32_e32 v14, vcc, 0x5000, v2
	s_nop 1
	v_addc_co_u32_e32 v15, vcc, 0, v3, vcc
	v_add_co_u32_e32 v2, vcc, 0x6000, v2
	s_waitcnt vmcnt(0)
	flat_load_dwordx2 v[24:25], v[4:5]
	flat_load_dwordx2 v[26:27], v[4:5] offset:2048
	flat_load_dwordx2 v[28:29], v[14:15]
	flat_load_dwordx2 v[30:31], v[14:15] offset:2048
	v_addc_co_u32_e32 v3, vcc, 0, v3, vcc
	flat_load_dwordx2 v[4:5], v[2:3]
	flat_load_dwordx2 v[14:15], v[2:3] offset:2048
	s_waitcnt lgkmcnt(0)
	ds_write2st64_b64 v32, v[6:7], v[8:9] offset1:4
	ds_write2st64_b64 v32, v[10:11], v[12:13] offset0:8 offset1:12
	ds_write2st64_b64 v32, v[16:17], v[18:19] offset0:16 offset1:20
	;; [unrolled: 1-line block ×3, first 2 shown]
	s_waitcnt vmcnt(0)
	ds_write2st64_b64 v32, v[24:25], v[26:27] offset0:32 offset1:36
	ds_write2st64_b64 v32, v[28:29], v[30:31] offset0:40 offset1:44
	;; [unrolled: 1-line block ×3, first 2 shown]
	s_waitcnt lgkmcnt(0)
	s_barrier
	ds_read_b128 v[14:17], v1
	ds_read_b128 v[2:5], v1 offset:16
	ds_read_b128 v[6:9], v1 offset:32
	;; [unrolled: 1-line block ×6, first 2 shown]
	s_cbranch_scc1 .LBB895_83
; %bb.79:
	s_andn2_b64 vcc, exec, s[60:61]
	s_cbranch_vccnz .LBB895_232
; %bb.80:
	s_lshl_b64 s[4:5], s[62:63], 3
	s_add_u32 s3, s54, s4
	s_addc_u32 s5, s55, s5
	s_add_u32 s4, s3, -8
	s_addc_u32 s5, s5, -1
	s_cbranch_execnz .LBB895_82
.LBB895_81:
	s_add_u32 s4, s58, -8
	s_addc_u32 s5, s59, -1
.LBB895_82:
	s_mov_b64 s[58:59], s[4:5]
.LBB895_83:
	v_mov_b64_e32 v[30:31], s[58:59]
	flat_load_dwordx2 v[30:31], v[30:31]
	s_movk_i32 s3, 0xff98
	v_mad_i32_i24 v33, v0, s3, v1
	v_cmp_ne_u32_e32 vcc, 0, v0
	s_waitcnt lgkmcnt(0)
	ds_write_b64 v33, v[28:29] offset:28672
	s_waitcnt lgkmcnt(0)
	s_barrier
	s_and_saveexec_b64 s[4:5], vcc
	s_cbranch_execz .LBB895_85
; %bb.84:
	s_waitcnt vmcnt(0)
	v_mul_i32_i24_e32 v30, 0xffffff98, v0
	v_add_u32_e32 v30, v1, v30
	ds_read_b64 v[30:31], v30 offset:28664
.LBB895_85:
	s_or_b64 exec, exec, s[4:5]
	v_mov_b32_e32 v33, 0
	s_waitcnt lgkmcnt(0)
	s_barrier
	v_lshl_add_u64 v[34:35], s[36:37], 0, v[32:33]
	global_load_dwordx2 v[36:37], v32, s[36:37]
	global_load_dwordx2 v[38:39], v32, s[36:37] offset:2048
	s_movk_i32 s4, 0x2000
	v_add_co_u32_e32 v40, vcc, s4, v34
	s_movk_i32 s3, 0x1000
	s_nop 0
	v_addc_co_u32_e32 v41, vcc, 0, v35, vcc
	global_load_dwordx2 v[42:43], v[40:41], off offset:-4096
	v_add_co_u32_e32 v44, vcc, s3, v34
	s_movk_i32 s4, 0x4000
	s_nop 0
	v_addc_co_u32_e32 v45, vcc, 0, v35, vcc
	global_load_dwordx2 v[46:47], v[44:45], off offset:2048
	global_load_dwordx2 v[48:49], v[40:41], off
	global_load_dwordx2 v[50:51], v[40:41], off offset:2048
	v_add_co_u32_e32 v40, vcc, s4, v34
	s_movk_i32 s3, 0x3000
	s_nop 0
	v_addc_co_u32_e32 v41, vcc, 0, v35, vcc
	global_load_dwordx2 v[44:45], v[40:41], off offset:-4096
	v_add_co_u32_e32 v52, vcc, s3, v34
	s_movk_i32 s4, 0x6000
	s_nop 0
	v_addc_co_u32_e32 v53, vcc, 0, v35, vcc
	global_load_dwordx2 v[54:55], v[52:53], off offset:2048
	global_load_dwordx2 v[56:57], v[40:41], off
	global_load_dwordx2 v[58:59], v[40:41], off offset:2048
	v_add_co_u32_e32 v40, vcc, s4, v34
	s_movk_i32 s3, 0x5000
	s_nop 0
	v_addc_co_u32_e32 v41, vcc, 0, v35, vcc
	global_load_dwordx2 v[52:53], v[40:41], off offset:-4096
	v_add_co_u32_e32 v34, vcc, s3, v34
	v_cmp_ne_u64_e64 s[4:5], v[26:27], v[28:29]
	s_nop 0
	v_addc_co_u32_e32 v35, vcc, 0, v35, vcc
	global_load_dwordx2 v[60:61], v[34:35], off offset:2048
	global_load_dwordx2 v[62:63], v[40:41], off
	global_load_dwordx2 v[64:65], v[40:41], off offset:2048
	v_cmp_ne_u64_e32 vcc, v[24:25], v[26:27]
	s_mov_b64 s[10:11], -1
                                        ; implicit-def: $sgpr3
                                        ; implicit-def: $sgpr8_sgpr9
                                        ; implicit-def: $vgpr78_vgpr79
	s_nop 0
	v_cndmask_b32_e64 v80, 0, 1, vcc
	v_cmp_ne_u64_e32 vcc, v[22:23], v[24:25]
	s_nop 1
	v_cndmask_b32_e64 v91, 0, 1, vcc
	v_cmp_ne_u64_e32 vcc, v[20:21], v[22:23]
	;; [unrolled: 3-line block ×10, first 2 shown]
	s_nop 1
	v_cndmask_b32_e64 v81, 0, 1, vcc
	s_waitcnt vmcnt(0)
	v_sub_co_u32_e32 v2, vcc, 0, v36
	s_nop 1
	v_subb_co_u32_e32 v3, vcc, 0, v37, vcc
	v_sub_co_u32_e32 v4, vcc, 0, v38
	s_nop 1
	v_subb_co_u32_e32 v5, vcc, 0, v39, vcc
	v_sub_co_u32_e32 v6, vcc, 0, v42
                                        ; implicit-def: $vgpr38_vgpr39
	s_nop 1
	v_subb_co_u32_e32 v7, vcc, 0, v43, vcc
	v_sub_co_u32_e32 v8, vcc, 0, v46
                                        ; implicit-def: $vgpr42_vgpr43
	s_nop 1
	v_subb_co_u32_e32 v9, vcc, 0, v47, vcc
	v_sub_co_u32_e32 v10, vcc, 0, v48
                                        ; implicit-def: $vgpr46_vgpr47
	s_nop 1
	v_subb_co_u32_e32 v11, vcc, 0, v49, vcc
	v_sub_co_u32_e32 v12, vcc, 0, v50
	s_nop 1
	v_subb_co_u32_e32 v13, vcc, 0, v51, vcc
	v_sub_co_u32_e32 v18, vcc, 0, v44
	;; [unrolled: 3-line block ×9, first 2 shown]
	s_nop 1
	v_subb_co_u32_e32 v37, vcc, 0, v65, vcc
	ds_write2st64_b64 v32, v[2:3], v[4:5] offset1:4
	ds_write2st64_b64 v32, v[6:7], v[8:9] offset0:8 offset1:12
	ds_write2st64_b64 v32, v[10:11], v[12:13] offset0:16 offset1:20
	;; [unrolled: 1-line block ×6, first 2 shown]
	s_waitcnt lgkmcnt(0)
	s_barrier
	ds_read_b128 v[2:5], v1
	ds_read_b128 v[6:9], v1 offset:16
	ds_read_b128 v[10:13], v1 offset:32
	;; [unrolled: 1-line block ×6, first 2 shown]
	v_cmp_ne_u64_e32 vcc, v[14:15], v[16:17]
                                        ; implicit-def: $vgpr22_vgpr23
	s_nop 1
	v_cndmask_b32_e64 v82, 0, 1, vcc
	v_cmp_ne_u64_e32 vcc, v[30:31], v[14:15]
                                        ; implicit-def: $vgpr30_vgpr31
                                        ; implicit-def: $vgpr14_vgpr15
	s_nop 1
	v_cndmask_b32_e64 v1, 0, 1, vcc
.LBB895_86:
	v_mov_b64_e32 v[16:17], s[8:9]
	v_mov_b32_e32 v33, s3
	s_and_saveexec_b64 s[6:7], s[10:11]
	s_cbranch_execz .LBB895_88
; %bb.87:
	v_cndmask_b32_e64 v33, 0, 1, s[4:5]
	s_waitcnt lgkmcnt(0)
	v_mov_b64_e32 v[14:15], v[4:5]
	v_mov_b64_e32 v[22:23], v[8:9]
	;; [unrolled: 1-line block ×8, first 2 shown]
.LBB895_88:
	s_or_b64 exec, exec, s[6:7]
	s_waitcnt lgkmcnt(0)
	v_or_b32_e32 v4, v33, v80
	s_cmp_lg_u32 s2, 0
	v_or_b32_e32 v29, v4, v91
	v_mbcnt_lo_u32_b32 v28, -1, 0
	s_barrier
	s_cbranch_scc0 .LBB895_155
; %bb.89:
	v_mov_b32_e32 v8, 0
	v_cmp_eq_u16_sdwa s[4:5], v82, v8 src0_sel:BYTE_0 src1_sel:DWORD
	v_cmp_eq_u16_sdwa s[6:7], v81, v8 src0_sel:BYTE_0 src1_sel:DWORD
	v_cmp_eq_u16_sdwa s[8:9], v83, v8 src0_sel:BYTE_0 src1_sel:DWORD
	v_cndmask_b32_e64 v5, 0, v3, s[4:5]
	v_cndmask_b32_e64 v4, 0, v2, s[4:5]
	v_lshl_add_u64 v[4:5], v[4:5], 0, v[14:15]
	v_cndmask_b32_e64 v5, 0, v5, s[6:7]
	v_cndmask_b32_e64 v4, 0, v4, s[6:7]
	v_lshl_add_u64 v[4:5], v[4:5], 0, v[6:7]
	v_cndmask_b32_e64 v5, 0, v5, s[8:9]
	v_cndmask_b32_e64 v4, 0, v4, s[8:9]
	v_lshl_add_u64 v[4:5], v[4:5], 0, v[22:23]
	v_cmp_eq_u16_sdwa s[10:11], v84, v8 src0_sel:BYTE_0 src1_sel:DWORD
	v_cmp_eq_u16_sdwa s[12:13], v85, v8 src0_sel:BYTE_0 src1_sel:DWORD
	v_cmp_eq_u16_sdwa s[14:15], v86, v8 src0_sel:BYTE_0 src1_sel:DWORD
	v_cndmask_b32_e64 v5, 0, v5, s[10:11]
	v_cndmask_b32_e64 v4, 0, v4, s[10:11]
	v_lshl_add_u64 v[4:5], v[4:5], 0, v[10:11]
	v_cndmask_b32_e64 v5, 0, v5, s[12:13]
	v_cndmask_b32_e64 v4, 0, v4, s[12:13]
	v_lshl_add_u64 v[4:5], v[4:5], 0, v[30:31]
	v_cndmask_b32_e64 v5, 0, v5, s[14:15]
	v_cndmask_b32_e64 v4, 0, v4, s[14:15]
	v_lshl_add_u64 v[4:5], v[4:5], 0, v[18:19]
	;; [unrolled: 12-line block ×4, first 2 shown]
	v_cmp_eq_u16_sdwa s[28:29], v33, v8 src0_sel:BYTE_0 src1_sel:DWORD
	v_and_b32_e32 v12, 0xff, v1
	v_mbcnt_hi_u32_b32 v44, -1, v28
	v_cndmask_b32_e64 v5, 0, v5, s[28:29]
	v_cndmask_b32_e64 v4, 0, v4, s[28:29]
	v_lshl_add_u64 v[8:9], v[4:5], 0, v[16:17]
	v_or_b32_e32 v4, v29, v90
	v_or_b32_e32 v4, v4, v89
	;; [unrolled: 1-line block ×10, first 2 shown]
	v_and_b32_e32 v4, 1, v4
	v_cmp_eq_u32_e32 vcc, 1, v4
	v_and_b32_e32 v4, 15, v44
	v_mov_b32_dpp v13, v8 row_shr:1 row_mask:0xf bank_mask:0xf
	v_cndmask_b32_e64 v12, v12, 1, vcc
	v_mov_b32_dpp v20, v9 row_shr:1 row_mask:0xf bank_mask:0xf
	v_cmp_ne_u32_e32 vcc, 0, v4
	v_mov_b32_dpp v5, v12 row_shr:1 row_mask:0xf bank_mask:0xf
	s_and_saveexec_b64 s[30:31], vcc
; %bb.90:
	v_cmp_eq_u32_e32 vcc, 0, v12
	v_and_or_b32 v12, v5, 1, v12
	s_nop 0
	v_cndmask_b32_e32 v21, 0, v20, vcc
	v_cndmask_b32_e32 v20, 0, v13, vcc
	v_lshl_add_u64 v[8:9], v[20:21], 0, v[8:9]
; %bb.91:
	s_or_b64 exec, exec, s[30:31]
	s_nop 0
	v_mov_b32_dpp v13, v8 row_shr:2 row_mask:0xf bank_mask:0xf
	v_mov_b32_dpp v20, v9 row_shr:2 row_mask:0xf bank_mask:0xf
	v_mov_b32_dpp v5, v12 row_shr:2 row_mask:0xf bank_mask:0xf
	v_cmp_lt_u32_e32 vcc, 1, v4
	s_and_saveexec_b64 s[30:31], vcc
; %bb.92:
	v_cmp_eq_u32_e32 vcc, 0, v12
	v_or_b32_e32 v5, v5, v12
	v_and_b32_e32 v12, 1, v5
	v_cndmask_b32_e32 v21, 0, v20, vcc
	v_cndmask_b32_e32 v20, 0, v13, vcc
	v_lshl_add_u64 v[8:9], v[20:21], 0, v[8:9]
; %bb.93:
	s_or_b64 exec, exec, s[30:31]
	s_nop 0
	v_mov_b32_dpp v13, v8 row_shr:4 row_mask:0xf bank_mask:0xf
	v_mov_b32_dpp v20, v9 row_shr:4 row_mask:0xf bank_mask:0xf
	v_mov_b32_dpp v5, v12 row_shr:4 row_mask:0xf bank_mask:0xf
	v_cmp_lt_u32_e32 vcc, 3, v4
	s_and_saveexec_b64 s[30:31], vcc
; %bb.94:
	v_cmp_eq_u32_e32 vcc, 0, v12
	v_or_b32_e32 v5, v5, v12
	v_and_b32_e32 v12, 1, v5
	;; [unrolled: 15-line block ×3, first 2 shown]
	v_cndmask_b32_e32 v21, 0, v20, vcc
	v_cndmask_b32_e32 v20, 0, v13, vcc
	v_lshl_add_u64 v[8:9], v[20:21], 0, v[8:9]
; %bb.97:
	s_or_b64 exec, exec, s[30:31]
	v_and_b32_e32 v20, 16, v44
	v_mov_b32_dpp v5, v8 row_bcast:15 row_mask:0xf bank_mask:0xf
	v_mov_b32_dpp v13, v9 row_bcast:15 row_mask:0xf bank_mask:0xf
	;; [unrolled: 1-line block ×3, first 2 shown]
	v_cmp_ne_u32_e32 vcc, 0, v20
	s_and_saveexec_b64 s[30:31], vcc
; %bb.98:
	v_cmp_eq_u32_e32 vcc, 0, v12
	v_or_b32_e32 v4, v4, v12
	v_and_b32_e32 v12, 1, v4
	v_cndmask_b32_e32 v21, 0, v13, vcc
	v_cndmask_b32_e32 v20, 0, v5, vcc
	v_lshl_add_u64 v[8:9], v[20:21], 0, v[8:9]
; %bb.99:
	s_or_b64 exec, exec, s[30:31]
	s_nop 0
	v_mov_b32_dpp v13, v8 row_bcast:31 row_mask:0xf bank_mask:0xf
	v_mov_b32_dpp v20, v9 row_bcast:31 row_mask:0xf bank_mask:0xf
	;; [unrolled: 1-line block ×3, first 2 shown]
	v_cmp_lt_u32_e32 vcc, 31, v44
	v_mov_b32_e32 v4, v12
	s_and_saveexec_b64 s[30:31], vcc
; %bb.100:
	v_cmp_eq_u32_e32 vcc, 0, v12
	v_or_b32_e32 v5, v5, v12
	v_and_b32_e32 v4, 1, v5
	v_cndmask_b32_e32 v21, 0, v20, vcc
	v_cndmask_b32_e32 v20, 0, v13, vcc
	v_lshl_add_u64 v[8:9], v[20:21], 0, v[8:9]
	v_and_b32_e32 v12, 1, v5
; %bb.101:
	s_or_b64 exec, exec, s[30:31]
	v_or_b32_e32 v5, 63, v0
	v_lshrrev_b32_e32 v13, 6, v0
	v_cmp_eq_u32_e32 vcc, v5, v0
	s_and_saveexec_b64 s[30:31], vcc
	s_cbranch_execz .LBB895_103
; %bb.102:
	v_lshlrev_b32_e32 v5, 4, v13
	ds_write_b64 v5, v[8:9]
	ds_write_b8 v5, v4 offset:8
.LBB895_103:
	s_or_b64 exec, exec, s[30:31]
	v_cmp_gt_u32_e32 vcc, 4, v0
	s_waitcnt lgkmcnt(0)
	s_barrier
	s_and_saveexec_b64 s[36:37], vcc
	s_cbranch_execz .LBB895_109
; %bb.104:
	v_lshlrev_b32_e32 v20, 4, v0
	ds_read_b64 v[4:5], v20
	ds_read_b32 v21, v20 offset:8
	s_waitcnt vmcnt(0)
	v_and_b32_e32 v24, 3, v44
	v_cmp_ne_u32_e32 vcc, 0, v24
	s_waitcnt lgkmcnt(1)
	v_mov_b32_dpp v40, v4 row_shr:1 row_mask:0xf bank_mask:0xf
	v_mov_b32_dpp v41, v5 row_shr:1 row_mask:0xf bank_mask:0xf
	s_waitcnt lgkmcnt(0)
	v_mov_b32_dpp v37, v21 row_shr:1 row_mask:0xf bank_mask:0xf
	v_mov_b32_e32 v25, v21
	v_mov_b32_e32 v36, v21
	s_and_saveexec_b64 s[30:31], vcc
; %bb.105:
	v_mov_b32_e32 v25, 0
	v_cmp_eq_u16_sdwa vcc, v21, v25 src0_sel:BYTE_0 src1_sel:DWORD
	v_or_b32_e32 v36, v37, v21
	v_and_b32_e32 v25, 1, v36
	v_cndmask_b32_e32 v41, 0, v41, vcc
	v_cndmask_b32_e32 v40, 0, v40, vcc
	v_and_b32_e32 v36, 1, v36
	s_movk_i32 s3, 0xff00
	v_lshl_add_u64 v[4:5], v[40:41], 0, v[4:5]
	v_and_or_b32 v21, v21, s3, v36
; %bb.106:
	s_or_b64 exec, exec, s[30:31]
	v_mov_b32_dpp v37, v4 row_shr:2 row_mask:0xf bank_mask:0xf
	v_mov_b32_dpp v40, v5 row_shr:2 row_mask:0xf bank_mask:0xf
	;; [unrolled: 1-line block ×3, first 2 shown]
	v_cmp_lt_u32_e32 vcc, 1, v24
	s_and_saveexec_b64 s[48:49], vcc
; %bb.107:
	v_mov_b32_e32 v24, 0
	v_cmp_eq_u16_sdwa vcc, v36, v24 src0_sel:BYTE_0 src1_sel:DWORD
	v_and_b32_e32 v21, 1, v21
	v_cmp_eq_u32_e64 s[30:31], 1, v21
	v_cndmask_b32_e32 v25, 0, v40, vcc
	v_cndmask_b32_e32 v24, 0, v37, vcc
	v_lshl_add_u64 v[4:5], v[24:25], 0, v[4:5]
	v_and_b32_e32 v24, 1, v36
	v_cmp_eq_u32_e32 vcc, 1, v24
	s_or_b64 s[30:31], vcc, s[30:31]
	v_cndmask_b32_e64 v25, 0, 1, s[30:31]
; %bb.108:
	s_or_b64 exec, exec, s[48:49]
	ds_write_b64 v20, v[4:5]
	ds_write_b8 v20, v25 offset:8
.LBB895_109:
	s_or_b64 exec, exec, s[36:37]
	v_cmp_gt_u32_e32 vcc, 64, v0
	v_cmp_lt_u32_e64 s[30:31], 63, v0
	v_mov_b32_e32 v36, 0
	v_mov_b64_e32 v[4:5], 0
	s_waitcnt lgkmcnt(0)
	s_barrier
	s_and_saveexec_b64 s[36:37], s[30:31]
	s_cbranch_execz .LBB895_111
; %bb.110:
	v_lshl_add_u32 v13, v13, 4, -16
	ds_read_b64 v[4:5], v13
	ds_read_u8 v36, v13 offset:8
	v_and_b32_e32 v20, 1, v12
	v_cmp_eq_u32_e64 s[30:31], 0, v12
	s_waitcnt lgkmcnt(0)
	s_nop 0
	v_cndmask_b32_e64 v13, 0, v5, s[30:31]
	v_cndmask_b32_e64 v12, 0, v4, s[30:31]
	v_cmp_eq_u32_e64 s[30:31], 1, v20
	v_lshl_add_u64 v[8:9], v[12:13], 0, v[8:9]
	s_nop 0
	v_cndmask_b32_e64 v12, v36, 1, s[30:31]
.LBB895_111:
	s_or_b64 exec, exec, s[36:37]
	v_add_u32_e32 v13, -1, v44
	v_and_b32_e32 v20, 64, v44
	v_cmp_lt_i32_e64 s[30:31], v13, v20
	s_nop 1
	v_cndmask_b32_e64 v13, v13, v44, s[30:31]
	v_lshlrev_b32_e32 v13, 2, v13
	ds_bpermute_b32 v37, v13, v8
	ds_bpermute_b32 v40, v13, v9
	;; [unrolled: 1-line block ×3, first 2 shown]
	v_cmp_eq_u32_e64 s[30:31], 0, v44
	s_and_saveexec_b64 s[48:49], vcc
	s_cbranch_execz .LBB895_154
; %bb.112:
	v_mov_b32_e32 v13, 0
	ds_read2_b64 v[48:51], v13 offset0:6 offset1:7
	s_and_saveexec_b64 s[36:37], s[30:31]
	s_cbranch_execz .LBB895_114
; %bb.113:
	s_add_i32 s54, s2, 64
	s_mov_b32 s55, 0
	s_lshl_b64 s[58:59], s[54:55], 4
	s_add_u32 s58, s40, s58
	s_addc_u32 s59, s41, s59
	v_mov_b32_e32 v8, s54
	v_mov_b32_e32 v9, 1
	s_waitcnt lgkmcnt(0)
	global_store_dword v13, v48, s[58:59] sc1
	global_store_dword v13, v49, s[58:59] offset:4 sc1
	global_store_dword v13, v50, s[58:59] offset:8 sc1
	;; [unrolled: 1-line block ×3, first 2 shown]
	s_waitcnt vmcnt(0)
	global_store_byte v8, v9, s[44:45] sc1
.LBB895_114:
	s_or_b64 exec, exec, s[36:37]
	v_xad_u32 v8, v44, -1, s2
	v_add_u32_e32 v12, 64, v8
	global_load_ubyte v45, v12, s[44:45] sc1
	s_waitcnt vmcnt(0)
	v_cmp_eq_u16_e32 vcc, 0, v45
	s_and_saveexec_b64 s[36:37], vcc
	s_cbranch_execz .LBB895_118
; %bb.115:
	v_lshl_add_u64 v[20:21], s[44:45], 0, v[12:13]
	s_mov_b64 s[54:55], 0
.LBB895_116:                            ; =>This Inner Loop Header: Depth=1
	global_load_ubyte v45, v[20:21], off sc1
	s_waitcnt vmcnt(0)
	v_cmp_ne_u16_e32 vcc, 0, v45
	s_or_b64 s[54:55], vcc, s[54:55]
	s_andn2_b64 exec, exec, s[54:55]
	s_cbranch_execnz .LBB895_116
; %bb.117:
	s_or_b64 exec, exec, s[54:55]
.LBB895_118:
	s_or_b64 exec, exec, s[36:37]
	v_mov_b32_e32 v9, s43
	v_mov_b32_e32 v20, s41
	v_cmp_eq_u16_e32 vcc, 1, v45
	s_waitcnt vmcnt(0) lgkmcnt(0)
	s_nop 0
	v_cndmask_b32_e32 v21, v9, v20, vcc
	v_mov_b32_e32 v9, s42
	v_mov_b32_e32 v20, s40
	v_cndmask_b32_e32 v20, v9, v20, vcc
	v_lshl_add_u64 v[12:13], v[12:13], 4, v[20:21]
	global_load_dword v24, v[12:13], off sc1
	global_load_dword v25, v[12:13], off offset:4 sc1
	global_load_dword v64, v[12:13], off offset:8 sc1
	;; [unrolled: 1-line block ×3, first 2 shown]
	v_cmp_eq_u16_e32 vcc, 2, v45
	v_lshlrev_b64 v[12:13], v44, -1
	v_and_b32_e32 v51, 63, v44
	s_waitcnt vmcnt(0)
	v_and_b32_e32 v9, vcc_hi, v13
	v_and_b32_e32 v55, vcc_lo, v12
	v_cmp_ne_u32_e32 vcc, 63, v51
	v_or_b32_e32 v9, 0x80000000, v9
	v_ffbl_b32_e32 v9, v9
	v_addc_co_u32_e32 v20, vcc, 0, v44, vcc
	v_lshlrev_b32_e32 v52, 2, v20
	v_add_u32_e32 v9, 32, v9
	v_ffbl_b32_e32 v55, v55
	v_min_u32_e32 v9, v55, v9
	v_cmp_lt_u32_e32 vcc, v51, v9
	ds_bpermute_b32 v53, v52, v24
	ds_bpermute_b32 v54, v52, v25
	v_and_b32_e32 v20, 0xff, v64
	ds_bpermute_b32 v21, v52, v20
	s_and_saveexec_b64 s[36:37], vcc
	s_cbranch_execz .LBB895_120
; %bb.119:
	v_mov_b32_e32 v20, 0
	v_cmp_eq_u16_sdwa vcc, v64, v20 src0_sel:BYTE_0 src1_sel:DWORD
	s_waitcnt lgkmcnt(0)
	v_or_b32_e32 v20, v21, v64
	v_and_b32_e32 v64, 1, v20
	v_cndmask_b32_e32 v55, 0, v54, vcc
	v_cndmask_b32_e32 v54, 0, v53, vcc
	v_lshl_add_u64 v[24:25], v[54:55], 0, v[24:25]
	v_and_b32_e32 v20, 1, v20
.LBB895_120:
	s_or_b64 exec, exec, s[36:37]
	v_cmp_gt_u32_e32 vcc, 62, v51
	s_waitcnt lgkmcnt(1)
	v_add_u32_e32 v54, 2, v51
	s_waitcnt lgkmcnt(0)
	v_cndmask_b32_e64 v21, 0, 1, vcc
	v_lshlrev_b32_e32 v21, 1, v21
	v_add_lshl_u32 v53, v21, v44, 2
	ds_bpermute_b32 v55, v53, v24
	ds_bpermute_b32 v56, v53, v25
	ds_bpermute_b32 v21, v53, v20
	v_cmp_le_u32_e32 vcc, v54, v9
	s_and_saveexec_b64 s[54:55], vcc
	s_cbranch_execz .LBB895_122
; %bb.121:
	v_mov_b32_e32 v20, 0
	v_cmp_eq_u16_sdwa vcc, v64, v20 src0_sel:BYTE_0 src1_sel:DWORD
	v_and_b32_e32 v20, 1, v64
	s_waitcnt lgkmcnt(1)
	v_cndmask_b32_e32 v57, 0, v56, vcc
	v_cndmask_b32_e32 v56, 0, v55, vcc
	v_cmp_eq_u32_e32 vcc, 1, v20
	s_waitcnt lgkmcnt(0)
	v_and_b32_e32 v20, 1, v21
	v_cmp_eq_u32_e64 s[36:37], 1, v20
	s_or_b64 s[36:37], vcc, s[36:37]
	v_lshl_add_u64 v[24:25], v[56:57], 0, v[24:25]
	v_cndmask_b32_e64 v64, 0, 1, s[36:37]
	v_cndmask_b32_e64 v20, 0, 1, s[36:37]
.LBB895_122:
	s_or_b64 exec, exec, s[54:55]
	v_cmp_gt_u32_e32 vcc, 60, v51
	s_waitcnt lgkmcnt(1)
	v_add_u32_e32 v56, 4, v51
	s_waitcnt lgkmcnt(0)
	v_cndmask_b32_e64 v21, 0, 1, vcc
	v_lshlrev_b32_e32 v21, 2, v21
	v_add_lshl_u32 v55, v21, v44, 2
	ds_bpermute_b32 v57, v55, v24
	ds_bpermute_b32 v58, v55, v25
	ds_bpermute_b32 v21, v55, v20
	v_cmp_le_u32_e32 vcc, v56, v9
	s_and_saveexec_b64 s[54:55], vcc
	s_cbranch_execz .LBB895_124
; %bb.123:
	v_mov_b32_e32 v20, 0
	v_cmp_eq_u16_sdwa vcc, v64, v20 src0_sel:BYTE_0 src1_sel:DWORD
	v_and_b32_e32 v20, 1, v64
	s_waitcnt lgkmcnt(1)
	v_cndmask_b32_e32 v59, 0, v58, vcc
	v_cndmask_b32_e32 v58, 0, v57, vcc
	v_cmp_eq_u32_e32 vcc, 1, v20
	s_waitcnt lgkmcnt(0)
	v_and_b32_e32 v20, 1, v21
	v_cmp_eq_u32_e64 s[36:37], 1, v20
	s_or_b64 s[36:37], vcc, s[36:37]
	v_lshl_add_u64 v[24:25], v[58:59], 0, v[24:25]
	v_cndmask_b32_e64 v64, 0, 1, s[36:37]
	v_cndmask_b32_e64 v20, 0, 1, s[36:37]
.LBB895_124:
	;; [unrolled: 30-line block ×4, first 2 shown]
	s_or_b64 exec, exec, s[54:55]
	v_cmp_gt_u32_e32 vcc, 32, v51
	s_waitcnt lgkmcnt(1)
	v_add_u32_e32 v62, 32, v51
	s_waitcnt lgkmcnt(0)
	v_cndmask_b32_e64 v21, 0, 1, vcc
	v_lshlrev_b32_e32 v21, 5, v21
	v_add_lshl_u32 v61, v21, v44, 2
	ds_bpermute_b32 v21, v61, v24
	ds_bpermute_b32 v44, v61, v25
	;; [unrolled: 1-line block ×3, first 2 shown]
	v_cmp_le_u32_e32 vcc, v62, v9
	s_and_saveexec_b64 s[54:55], vcc
	s_cbranch_execz .LBB895_130
; %bb.129:
	v_mov_b32_e32 v9, 0
	v_cmp_eq_u16_sdwa vcc, v64, v9 src0_sel:BYTE_0 src1_sel:DWORD
	v_and_b32_e32 v9, 1, v64
	s_waitcnt lgkmcnt(1)
	v_cndmask_b32_e32 v67, 0, v44, vcc
	v_cndmask_b32_e32 v66, 0, v21, vcc
	v_cmp_eq_u32_e32 vcc, 1, v9
	s_waitcnt lgkmcnt(0)
	v_and_b32_e32 v9, 1, v20
	v_cmp_eq_u32_e64 s[36:37], 1, v9
	s_or_b64 s[36:37], vcc, s[36:37]
	v_lshl_add_u64 v[24:25], v[66:67], 0, v[24:25]
	v_cndmask_b32_e64 v64, 0, 1, s[36:37]
.LBB895_130:
	s_or_b64 exec, exec, s[54:55]
	v_mov_b32_e32 v9, 0
	v_mov_b32_e32 v63, 2
	s_branch .LBB895_132
.LBB895_131:                            ;   in Loop: Header=BB895_132 Depth=1
	s_or_b64 exec, exec, s[58:59]
	v_cmp_eq_u16_sdwa vcc, v44, v9 src0_sel:BYTE_0 src1_sel:DWORD
	v_and_b32_e32 v64, 1, v44
	v_subrev_u32_e32 v8, 64, v8
	v_cndmask_b32_e32 v25, 0, v25, vcc
	v_cndmask_b32_e32 v24, 0, v24, vcc
	v_cmp_eq_u32_e32 vcc, 1, v64
	s_or_b64 s[36:37], vcc, s[54:55]
	v_lshl_add_u64 v[24:25], v[24:25], 0, v[20:21]
	v_cndmask_b32_e64 v64, 0, 1, s[36:37]
.LBB895_132:                            ; =>This Loop Header: Depth=1
                                        ;     Child Loop BB895_135 Depth 2
	v_cmp_ne_u16_sdwa s[36:37], v45, v63 src0_sel:BYTE_0 src1_sel:DWORD
	s_waitcnt lgkmcnt(1)
	v_mov_b32_e32 v44, v64
	s_waitcnt lgkmcnt(0)
	v_cndmask_b32_e64 v20, 0, 1, s[36:37]
	;;#ASMSTART
	;;#ASMEND
	s_nop 0
	v_cmp_ne_u32_e32 vcc, 0, v20
	s_cmp_lg_u64 vcc, exec
	v_mov_b64_e32 v[20:21], v[24:25]
	s_cbranch_scc1 .LBB895_149
; %bb.133:                              ;   in Loop: Header=BB895_132 Depth=1
	global_load_ubyte v45, v8, s[44:45] sc1
	s_waitcnt vmcnt(0)
	v_cmp_eq_u16_e32 vcc, 0, v45
	s_and_saveexec_b64 s[36:37], vcc
	s_cbranch_execz .LBB895_137
; %bb.134:                              ;   in Loop: Header=BB895_132 Depth=1
	v_lshl_add_u64 v[24:25], s[44:45], 0, v[8:9]
	s_mov_b64 s[54:55], 0
.LBB895_135:                            ;   Parent Loop BB895_132 Depth=1
                                        ; =>  This Inner Loop Header: Depth=2
	global_load_ubyte v45, v[24:25], off sc1
	s_waitcnt vmcnt(0)
	v_cmp_ne_u16_e32 vcc, 0, v45
	s_or_b64 s[54:55], vcc, s[54:55]
	s_andn2_b64 exec, exec, s[54:55]
	s_cbranch_execnz .LBB895_135
; %bb.136:                              ;   in Loop: Header=BB895_132 Depth=1
	s_or_b64 exec, exec, s[54:55]
.LBB895_137:                            ;   in Loop: Header=BB895_132 Depth=1
	s_or_b64 exec, exec, s[36:37]
	v_mov_b32_e32 v24, s43
	v_mov_b32_e32 v25, s41
	v_cmp_eq_u16_e32 vcc, 1, v45
	v_mov_b32_e32 v64, s40
	s_waitcnt vmcnt(0)
	v_cndmask_b32_e32 v25, v24, v25, vcc
	v_mov_b32_e32 v24, s42
	v_cndmask_b32_e32 v24, v24, v64, vcc
	v_lshl_add_u64 v[66:67], v[8:9], 4, v[24:25]
	global_load_dword v24, v[66:67], off sc1
	global_load_dword v25, v[66:67], off offset:4 sc1
	global_load_dword v64, v[66:67], off offset:8 sc1
	;; [unrolled: 1-line block ×3, first 2 shown]
	v_cmp_eq_u16_e32 vcc, 2, v45
	s_waitcnt vmcnt(3)
	ds_bpermute_b32 v68, v52, v24
	s_waitcnt vmcnt(0)
	v_and_b32_e32 v65, vcc_hi, v13
	v_and_b32_e32 v66, 0xff, v64
	v_or_b32_e32 v65, 0x80000000, v65
	ds_bpermute_b32 v69, v52, v25
	ds_bpermute_b32 v67, v52, v66
	v_and_b32_e32 v70, vcc_lo, v12
	v_ffbl_b32_e32 v65, v65
	v_add_u32_e32 v65, 32, v65
	v_ffbl_b32_e32 v70, v70
	v_min_u32_e32 v65, v70, v65
	v_cmp_lt_u32_e32 vcc, v51, v65
	s_and_saveexec_b64 s[36:37], vcc
	s_cbranch_execz .LBB895_139
; %bb.138:                              ;   in Loop: Header=BB895_132 Depth=1
	v_cmp_eq_u16_sdwa vcc, v64, v9 src0_sel:BYTE_0 src1_sel:DWORD
	s_waitcnt lgkmcnt(0)
	v_or_b32_e32 v66, v67, v64
	v_and_b32_e32 v64, 1, v66
	v_cndmask_b32_e32 v69, 0, v69, vcc
	v_cndmask_b32_e32 v68, 0, v68, vcc
	v_lshl_add_u64 v[24:25], v[68:69], 0, v[24:25]
	v_and_b32_e32 v66, 1, v66
.LBB895_139:                            ;   in Loop: Header=BB895_132 Depth=1
	s_or_b64 exec, exec, s[36:37]
	s_waitcnt lgkmcnt(2)
	ds_bpermute_b32 v68, v53, v24
	s_waitcnt lgkmcnt(2)
	ds_bpermute_b32 v69, v53, v25
	;; [unrolled: 2-line block ×3, first 2 shown]
	v_and_b32_e32 v70, 1, v64
	v_cmp_le_u32_e32 vcc, v54, v65
	v_cmp_eq_u32_e64 s[54:55], 1, v70
	s_and_saveexec_b64 s[36:37], vcc
	s_cbranch_execz .LBB895_141
; %bb.140:                              ;   in Loop: Header=BB895_132 Depth=1
	v_cmp_eq_u16_sdwa vcc, v64, v9 src0_sel:BYTE_0 src1_sel:DWORD
	s_waitcnt lgkmcnt(0)
	v_and_b32_e32 v64, 1, v67
	v_cndmask_b32_e32 v69, 0, v69, vcc
	v_cndmask_b32_e32 v68, 0, v68, vcc
	v_cmp_eq_u32_e32 vcc, 1, v64
	s_or_b64 s[58:59], s[54:55], vcc
	v_cndmask_b32_e64 v64, 0, 1, s[58:59]
	v_cndmask_b32_e64 v66, 0, 1, s[58:59]
	s_andn2_b64 s[54:55], s[54:55], exec
	s_and_b64 s[58:59], s[58:59], exec
	v_lshl_add_u64 v[24:25], v[68:69], 0, v[24:25]
	s_or_b64 s[54:55], s[54:55], s[58:59]
.LBB895_141:                            ;   in Loop: Header=BB895_132 Depth=1
	s_or_b64 exec, exec, s[36:37]
	s_waitcnt lgkmcnt(2)
	ds_bpermute_b32 v68, v55, v24
	s_waitcnt lgkmcnt(2)
	ds_bpermute_b32 v69, v55, v25
	s_waitcnt lgkmcnt(2)
	ds_bpermute_b32 v67, v55, v66
	v_cmp_le_u32_e32 vcc, v56, v65
	s_and_saveexec_b64 s[58:59], vcc
	s_cbranch_execz .LBB895_143
; %bb.142:                              ;   in Loop: Header=BB895_132 Depth=1
	v_cmp_eq_u16_sdwa vcc, v64, v9 src0_sel:BYTE_0 src1_sel:DWORD
	v_and_b32_e32 v64, 1, v64
	s_andn2_b64 s[54:55], s[54:55], exec
	s_waitcnt lgkmcnt(1)
	v_cndmask_b32_e32 v69, 0, v69, vcc
	v_cndmask_b32_e32 v68, 0, v68, vcc
	v_cmp_eq_u32_e32 vcc, 1, v64
	s_waitcnt lgkmcnt(0)
	v_and_b32_e32 v64, 1, v67
	v_cmp_eq_u32_e64 s[36:37], 1, v64
	s_or_b64 s[36:37], vcc, s[36:37]
	v_lshl_add_u64 v[24:25], v[68:69], 0, v[24:25]
	v_cndmask_b32_e64 v64, 0, 1, s[36:37]
	v_cndmask_b32_e64 v66, 0, 1, s[36:37]
	s_and_b64 s[36:37], s[36:37], exec
	s_or_b64 s[54:55], s[54:55], s[36:37]
.LBB895_143:                            ;   in Loop: Header=BB895_132 Depth=1
	s_or_b64 exec, exec, s[58:59]
	s_waitcnt lgkmcnt(2)
	ds_bpermute_b32 v68, v57, v24
	s_waitcnt lgkmcnt(2)
	ds_bpermute_b32 v69, v57, v25
	s_waitcnt lgkmcnt(2)
	ds_bpermute_b32 v67, v57, v66
	v_cmp_le_u32_e32 vcc, v58, v65
	s_and_saveexec_b64 s[58:59], vcc
	s_cbranch_execz .LBB895_145
; %bb.144:                              ;   in Loop: Header=BB895_132 Depth=1
	v_cmp_eq_u16_sdwa vcc, v64, v9 src0_sel:BYTE_0 src1_sel:DWORD
	v_and_b32_e32 v64, 1, v64
	s_andn2_b64 s[54:55], s[54:55], exec
	s_waitcnt lgkmcnt(1)
	v_cndmask_b32_e32 v69, 0, v69, vcc
	v_cndmask_b32_e32 v68, 0, v68, vcc
	v_cmp_eq_u32_e32 vcc, 1, v64
	s_waitcnt lgkmcnt(0)
	v_and_b32_e32 v64, 1, v67
	v_cmp_eq_u32_e64 s[36:37], 1, v64
	s_or_b64 s[36:37], vcc, s[36:37]
	v_lshl_add_u64 v[24:25], v[68:69], 0, v[24:25]
	v_cndmask_b32_e64 v64, 0, 1, s[36:37]
	v_cndmask_b32_e64 v66, 0, 1, s[36:37]
	s_and_b64 s[36:37], s[36:37], exec
	s_or_b64 s[54:55], s[54:55], s[36:37]
.LBB895_145:                            ;   in Loop: Header=BB895_132 Depth=1
	;; [unrolled: 28-line block ×3, first 2 shown]
	s_or_b64 exec, exec, s[58:59]
	s_waitcnt lgkmcnt(0)
	ds_bpermute_b32 v67, v61, v24
	ds_bpermute_b32 v68, v61, v25
	ds_bpermute_b32 v66, v61, v66
	v_cmp_le_u32_e32 vcc, v62, v65
	s_and_saveexec_b64 s[58:59], vcc
	s_cbranch_execz .LBB895_131
; %bb.148:                              ;   in Loop: Header=BB895_132 Depth=1
	v_cmp_eq_u16_sdwa vcc, v64, v9 src0_sel:BYTE_0 src1_sel:DWORD
	v_and_b32_e32 v64, 1, v64
	s_andn2_b64 s[54:55], s[54:55], exec
	s_waitcnt lgkmcnt(1)
	v_cndmask_b32_e32 v69, 0, v68, vcc
	v_cndmask_b32_e32 v68, 0, v67, vcc
	v_cmp_eq_u32_e32 vcc, 1, v64
	s_waitcnt lgkmcnt(0)
	v_and_b32_e32 v64, 1, v66
	v_cmp_eq_u32_e64 s[36:37], 1, v64
	s_or_b64 s[36:37], vcc, s[36:37]
	s_and_b64 s[36:37], s[36:37], exec
	v_lshl_add_u64 v[24:25], v[68:69], 0, v[24:25]
	s_or_b64 s[54:55], s[54:55], s[36:37]
	s_branch .LBB895_131
.LBB895_149:                            ;   in Loop: Header=BB895_132 Depth=1
                                        ; implicit-def: $vgpr64
                                        ; implicit-def: $vgpr24_vgpr25
                                        ; implicit-def: $vgpr45
	s_cbranch_execz .LBB895_132
; %bb.150:
	s_and_saveexec_b64 s[36:37], s[30:31]
	s_cbranch_execz .LBB895_152
; %bb.151:
	s_mov_b32 s3, 0
	v_mov_b32_e32 v12, 0
	s_add_i32 s2, s2, 64
	v_cmp_eq_u32_sdwa vcc, v50, v12 src0_sel:BYTE_0 src1_sel:DWORD
	s_lshl_b64 s[40:41], s[2:3], 4
	v_and_b32_e32 v13, 1, v50
	v_cndmask_b32_e32 v9, 0, v21, vcc
	v_cndmask_b32_e32 v8, 0, v20, vcc
	s_add_u32 s40, s42, s40
	v_lshl_add_u64 v[8:9], v[8:9], 0, v[48:49]
	v_and_b32_e32 v24, 1, v44
	v_cmp_eq_u32_e32 vcc, 1, v13
	s_addc_u32 s41, s43, s41
	s_nop 0
	v_cndmask_b32_e64 v13, v24, 1, vcc
	global_store_dword v12, v8, s[40:41] sc1
	global_store_dword v12, v9, s[40:41] offset:4 sc1
	global_store_dword v12, v13, s[40:41] offset:8 sc1
	;; [unrolled: 1-line block ×3, first 2 shown]
	v_mov_b32_e32 v8, s2
	v_mov_b32_e32 v9, 2
	s_waitcnt vmcnt(0) lgkmcnt(0)
	global_store_byte v8, v9, s[44:45] sc1
.LBB895_152:
	s_or_b64 exec, exec, s[36:37]
	v_cmp_eq_u32_e32 vcc, 0, v0
	s_and_b64 exec, exec, vcc
	s_cbranch_execz .LBB895_154
; %bb.153:
	v_mov_b32_e32 v8, 0
	ds_write_b64 v8, v[20:21] offset:48
	ds_write_b8 v8, v44 offset:56
.LBB895_154:
	s_or_b64 exec, exec, s[48:49]
	s_waitcnt lgkmcnt(0)
	v_cndmask_b32_e64 v8, v41, v36, s[30:31]
	v_mov_b32_e32 v13, 0
	v_cndmask_b32_e64 v9, v40, v5, s[30:31]
	v_cndmask_b32_e64 v12, v37, v4, s[30:31]
	v_cmp_eq_u16_sdwa vcc, v1, v13 src0_sel:BYTE_0 src1_sel:DWORD
	v_and_b32_e32 v20, 1, v1
	v_and_b32_e32 v8, 1, v8
	s_barrier
	ds_read_b64 v[4:5], v13 offset:48
	v_cndmask_b32_e32 v12, 0, v12, vcc
	v_cndmask_b32_e32 v9, 0, v9, vcc
	v_cmp_eq_u32_e32 vcc, 1, v20
	v_cmp_eq_u32_e64 s[2:3], 1, v8
	s_or_b64 s[2:3], vcc, s[2:3]
	v_cmp_eq_u32_e32 vcc, 0, v0
	v_cndmask_b32_e64 v8, 0, 1, s[2:3]
	s_nop 0
	v_cndmask_b32_e32 v20, v8, v1, vcc
	v_cndmask_b32_e64 v9, v9, 0, vcc
	v_cndmask_b32_e64 v8, v12, 0, vcc
	v_cmp_eq_u16_sdwa vcc, v20, v13 src0_sel:BYTE_0 src1_sel:DWORD
	v_lshl_add_u64 v[8:9], v[8:9], 0, v[2:3]
	s_waitcnt lgkmcnt(0)
	v_cndmask_b32_e32 v5, 0, v5, vcc
	v_cndmask_b32_e32 v4, 0, v4, vcc
	v_lshl_add_u64 v[48:49], v[8:9], 0, v[4:5]
	v_cndmask_b32_e64 v5, 0, v49, s[4:5]
	v_cndmask_b32_e64 v4, 0, v48, s[4:5]
	v_lshl_add_u64 v[50:51], v[4:5], 0, v[14:15]
	v_cndmask_b32_e64 v5, 0, v51, s[6:7]
	v_cndmask_b32_e64 v4, 0, v50, s[6:7]
	;; [unrolled: 3-line block ×13, first 2 shown]
	v_lshl_add_u64 v[74:75], v[4:5], 0, v[16:17]
	s_load_dwordx2 s[36:37], s[0:1], 0x20
	s_branch .LBB895_185
.LBB895_155:
                                        ; implicit-def: $vgpr74_vgpr75
                                        ; implicit-def: $vgpr70_vgpr71
                                        ; implicit-def: $vgpr66_vgpr67
                                        ; implicit-def: $vgpr62_vgpr63
                                        ; implicit-def: $vgpr58_vgpr59
                                        ; implicit-def: $vgpr54_vgpr55
                                        ; implicit-def: $vgpr50_vgpr51
	s_load_dwordx2 s[36:37], s[0:1], 0x20
	s_cbranch_execz .LBB895_185
; %bb.156:
	s_cmp_lg_u64 s[56:57], 0
	s_cselect_b32 s3, s51, 0
	s_cselect_b32 s2, s50, 0
	s_cmp_lg_u64 s[2:3], 0
	s_cselect_b64 s[4:5], -1, 0
	v_cmp_eq_u32_e32 vcc, 0, v0
	v_cmp_ne_u32_e64 s[0:1], 0, v0
	s_and_b64 s[6:7], vcc, s[4:5]
	s_and_saveexec_b64 s[4:5], s[6:7]
	s_cbranch_execz .LBB895_158
; %bb.157:
	v_mov_b32_e32 v8, 0
	global_load_dwordx2 v[4:5], v8, s[2:3]
	global_load_ubyte v9, v8, s[2:3] offset:8
	v_cmp_eq_u16_sdwa s[2:3], v1, v8 src0_sel:BYTE_0 src1_sel:DWORD
	s_waitcnt vmcnt(0)
	v_or_b32_e32 v1, v1, v9
	v_cndmask_b32_e64 v5, 0, v5, s[2:3]
	v_cndmask_b32_e64 v4, 0, v4, s[2:3]
	v_lshl_add_u64 v[2:3], v[4:5], 0, v[2:3]
	v_and_b32_e32 v1, 1, v1
.LBB895_158:
	s_or_b64 exec, exec, s[4:5]
	v_mov_b32_e32 v9, 0
	v_cmp_eq_u16_sdwa s[4:5], v82, v9 src0_sel:BYTE_0 src1_sel:DWORD
	v_cmp_eq_u16_sdwa s[6:7], v81, v9 src0_sel:BYTE_0 src1_sel:DWORD
	v_cmp_eq_u16_sdwa s[8:9], v83, v9 src0_sel:BYTE_0 src1_sel:DWORD
	v_cndmask_b32_e64 v5, 0, v3, s[4:5]
	v_cndmask_b32_e64 v4, 0, v2, s[4:5]
	v_lshl_add_u64 v[50:51], v[4:5], 0, v[14:15]
	v_cndmask_b32_e64 v5, 0, v51, s[6:7]
	v_cndmask_b32_e64 v4, 0, v50, s[6:7]
	v_lshl_add_u64 v[52:53], v[4:5], 0, v[6:7]
	v_cndmask_b32_e64 v5, 0, v53, s[8:9]
	v_cndmask_b32_e64 v4, 0, v52, s[8:9]
	v_lshl_add_u64 v[54:55], v[4:5], 0, v[22:23]
	v_cmp_eq_u16_sdwa s[10:11], v84, v9 src0_sel:BYTE_0 src1_sel:DWORD
	v_cmp_eq_u16_sdwa s[12:13], v85, v9 src0_sel:BYTE_0 src1_sel:DWORD
	v_cmp_eq_u16_sdwa s[14:15], v86, v9 src0_sel:BYTE_0 src1_sel:DWORD
	v_cndmask_b32_e64 v5, 0, v55, s[10:11]
	v_cndmask_b32_e64 v4, 0, v54, s[10:11]
	v_lshl_add_u64 v[56:57], v[4:5], 0, v[10:11]
	v_cndmask_b32_e64 v5, 0, v57, s[12:13]
	v_cndmask_b32_e64 v4, 0, v56, s[12:13]
	v_lshl_add_u64 v[58:59], v[4:5], 0, v[30:31]
	v_cndmask_b32_e64 v5, 0, v59, s[14:15]
	v_cndmask_b32_e64 v4, 0, v58, s[14:15]
	v_lshl_add_u64 v[60:61], v[4:5], 0, v[18:19]
	v_cmp_eq_u16_sdwa s[16:17], v87, v9 src0_sel:BYTE_0 src1_sel:DWORD
	v_cmp_eq_u16_sdwa s[18:19], v88, v9 src0_sel:BYTE_0 src1_sel:DWORD
	v_cmp_eq_u16_sdwa s[20:21], v89, v9 src0_sel:BYTE_0 src1_sel:DWORD
	v_cndmask_b32_e64 v5, 0, v61, s[16:17]
	v_cndmask_b32_e64 v4, 0, v60, s[16:17]
	v_lshl_add_u64 v[62:63], v[4:5], 0, v[38:39]
	v_cndmask_b32_e64 v5, 0, v63, s[18:19]
	v_cndmask_b32_e64 v4, 0, v62, s[18:19]
	v_lshl_add_u64 v[64:65], v[4:5], 0, v[26:27]
	v_cndmask_b32_e64 v5, 0, v65, s[20:21]
	v_cndmask_b32_e64 v4, 0, v64, s[20:21]
	v_lshl_add_u64 v[66:67], v[4:5], 0, v[42:43]
	v_cmp_eq_u16_sdwa s[22:23], v90, v9 src0_sel:BYTE_0 src1_sel:DWORD
	v_cmp_eq_u16_sdwa s[24:25], v91, v9 src0_sel:BYTE_0 src1_sel:DWORD
	v_cmp_eq_u16_sdwa s[26:27], v80, v9 src0_sel:BYTE_0 src1_sel:DWORD
	v_cndmask_b32_e64 v5, 0, v67, s[22:23]
	v_cndmask_b32_e64 v4, 0, v66, s[22:23]
	v_lshl_add_u64 v[68:69], v[4:5], 0, v[34:35]
	v_cndmask_b32_e64 v5, 0, v69, s[24:25]
	v_cndmask_b32_e64 v4, 0, v68, s[24:25]
	v_lshl_add_u64 v[70:71], v[4:5], 0, v[46:47]
	v_cndmask_b32_e64 v5, 0, v71, s[26:27]
	v_cndmask_b32_e64 v4, 0, v70, s[26:27]
	v_lshl_add_u64 v[72:73], v[4:5], 0, v[78:79]
	v_cmp_eq_u16_sdwa s[28:29], v33, v9 src0_sel:BYTE_0 src1_sel:DWORD
	v_and_b32_e32 v8, 0xff, v1
	v_mbcnt_hi_u32_b32 v12, -1, v28
	v_cndmask_b32_e64 v5, 0, v73, s[28:29]
	v_cndmask_b32_e64 v4, 0, v72, s[28:29]
	v_lshl_add_u64 v[74:75], v[4:5], 0, v[16:17]
	v_or_b32_e32 v4, v29, v90
	v_or_b32_e32 v4, v4, v89
	;; [unrolled: 1-line block ×10, first 2 shown]
	v_and_b32_e32 v4, 1, v4
	v_cmp_eq_u32_e64 s[2:3], 1, v4
	v_and_b32_e32 v20, 15, v12
	s_waitcnt vmcnt(0)
	v_mov_b32_dpp v24, v74 row_shr:1 row_mask:0xf bank_mask:0xf
	v_cndmask_b32_e64 v13, v8, 1, s[2:3]
	v_mov_b32_dpp v25, v75 row_shr:1 row_mask:0xf bank_mask:0xf
	v_cmp_ne_u32_e64 s[2:3], 0, v20
	v_mov_b32_dpp v21, v13 row_shr:1 row_mask:0xf bank_mask:0xf
	v_mov_b64_e32 v[4:5], v[74:75]
	v_mov_b32_e32 v9, v75
	v_mov_b32_e32 v8, v74
	s_and_saveexec_b64 s[30:31], s[2:3]
; %bb.159:
	v_cmp_eq_u32_e64 s[2:3], 0, v13
	v_and_or_b32 v13, v21, 1, v13
	s_nop 0
	v_cndmask_b32_e64 v5, 0, v25, s[2:3]
	v_cndmask_b32_e64 v4, 0, v24, s[2:3]
	v_lshl_add_u64 v[4:5], v[74:75], 0, v[4:5]
	v_mov_b32_e32 v9, v5
	v_mov_b32_e32 v8, v4
; %bb.160:
	s_or_b64 exec, exec, s[30:31]
	s_nop 0
	v_mov_b32_dpp v24, v8 row_shr:2 row_mask:0xf bank_mask:0xf
	v_mov_b32_dpp v25, v9 row_shr:2 row_mask:0xf bank_mask:0xf
	v_mov_b32_dpp v21, v13 row_shr:2 row_mask:0xf bank_mask:0xf
	v_cmp_lt_u32_e64 s[2:3], 1, v20
	s_and_saveexec_b64 s[30:31], s[2:3]
; %bb.161:
	v_cmp_eq_u32_e64 s[2:3], 0, v13
	s_nop 1
	v_cndmask_b32_e64 v9, 0, v25, s[2:3]
	v_cndmask_b32_e64 v8, 0, v24, s[2:3]
	v_lshl_add_u64 v[8:9], v[8:9], 0, v[4:5]
	v_or_b32_e32 v4, v21, v13
	v_and_b32_e32 v13, 1, v4
	v_mov_b64_e32 v[4:5], v[8:9]
; %bb.162:
	s_or_b64 exec, exec, s[30:31]
	v_mov_b32_dpp v24, v8 row_shr:4 row_mask:0xf bank_mask:0xf
	v_mov_b32_dpp v25, v9 row_shr:4 row_mask:0xf bank_mask:0xf
	v_mov_b32_dpp v21, v13 row_shr:4 row_mask:0xf bank_mask:0xf
	v_cmp_lt_u32_e64 s[2:3], 3, v20
	s_and_saveexec_b64 s[30:31], s[2:3]
; %bb.163:
	v_cmp_eq_u32_e64 s[2:3], 0, v13
	s_nop 1
	v_cndmask_b32_e64 v9, 0, v25, s[2:3]
	v_cndmask_b32_e64 v8, 0, v24, s[2:3]
	v_lshl_add_u64 v[8:9], v[8:9], 0, v[4:5]
	v_or_b32_e32 v4, v21, v13
	v_and_b32_e32 v13, 1, v4
	v_mov_b64_e32 v[4:5], v[8:9]
; %bb.164:
	s_or_b64 exec, exec, s[30:31]
	;; [unrolled: 16-line block ×3, first 2 shown]
	v_and_b32_e32 v25, 16, v12
	v_mov_b32_dpp v21, v8 row_bcast:15 row_mask:0xf bank_mask:0xf
	v_mov_b32_dpp v24, v9 row_bcast:15 row_mask:0xf bank_mask:0xf
	;; [unrolled: 1-line block ×3, first 2 shown]
	v_cmp_ne_u32_e64 s[2:3], 0, v25
	s_and_saveexec_b64 s[30:31], s[2:3]
; %bb.167:
	v_cmp_eq_u32_e64 s[2:3], 0, v13
	s_nop 1
	v_cndmask_b32_e64 v9, 0, v24, s[2:3]
	v_cndmask_b32_e64 v8, 0, v21, s[2:3]
	v_lshl_add_u64 v[4:5], v[8:9], 0, v[4:5]
	v_or_b32_e32 v8, v20, v13
	v_and_b32_e32 v13, 1, v8
	v_mov_b32_e32 v9, v5
	v_mov_b32_e32 v8, v4
; %bb.168:
	s_or_b64 exec, exec, s[30:31]
	s_nop 0
	v_mov_b32_dpp v20, v8 row_bcast:31 row_mask:0xf bank_mask:0xf
	v_mov_b32_dpp v21, v9 row_bcast:31 row_mask:0xf bank_mask:0xf
	v_mov_b32_dpp v9, v13 row_bcast:31 row_mask:0xf bank_mask:0xf
	v_cmp_lt_u32_e64 s[2:3], 31, v12
	v_mov_b32_e32 v8, v13
	s_and_saveexec_b64 s[30:31], s[2:3]
; %bb.169:
	v_cmp_eq_u32_e64 s[2:3], 0, v13
	v_or_b32_e32 v9, v9, v13
	v_and_b32_e32 v8, 1, v9
	v_cndmask_b32_e64 v21, 0, v21, s[2:3]
	v_cndmask_b32_e64 v20, 0, v20, s[2:3]
	v_lshl_add_u64 v[4:5], v[20:21], 0, v[4:5]
	v_and_b32_e32 v13, 1, v9
; %bb.170:
	s_or_b64 exec, exec, s[30:31]
	v_or_b32_e32 v9, 63, v0
	v_lshrrev_b32_e32 v20, 6, v0
	v_cmp_eq_u32_e64 s[2:3], v9, v0
	s_and_saveexec_b64 s[30:31], s[2:3]
	s_cbranch_execz .LBB895_172
; %bb.171:
	v_lshlrev_b32_e32 v9, 4, v20
	ds_write_b64 v9, v[4:5]
	ds_write_b8 v9, v8 offset:8
.LBB895_172:
	s_or_b64 exec, exec, s[30:31]
	v_cmp_gt_u32_e64 s[2:3], 4, v0
	s_waitcnt lgkmcnt(0)
	s_barrier
	s_and_saveexec_b64 s[40:41], s[2:3]
	s_cbranch_execz .LBB895_178
; %bb.173:
	v_lshlrev_b32_e32 v21, 4, v0
	ds_read_b64 v[8:9], v21
	ds_read_b32 v24, v21 offset:8
	v_and_b32_e32 v25, 3, v12
	v_cmp_ne_u32_e64 s[2:3], 0, v25
	s_waitcnt lgkmcnt(1)
	v_mov_b32_dpp v36, v8 row_shr:1 row_mask:0xf bank_mask:0xf
	v_mov_b32_dpp v37, v9 row_shr:1 row_mask:0xf bank_mask:0xf
	s_waitcnt lgkmcnt(0)
	v_mov_b32_dpp v33, v24 row_shr:1 row_mask:0xf bank_mask:0xf
	v_mov_b32_e32 v28, v24
	v_mov_b32_e32 v29, v24
	s_and_saveexec_b64 s[30:31], s[2:3]
; %bb.174:
	v_mov_b32_e32 v28, 0
	v_cmp_eq_u16_sdwa s[2:3], v24, v28 src0_sel:BYTE_0 src1_sel:DWORD
	s_nop 1
	v_cndmask_b32_e64 v29, 0, v37, s[2:3]
	v_cndmask_b32_e64 v28, 0, v36, s[2:3]
	v_lshl_add_u64 v[8:9], v[28:29], 0, v[8:9]
	v_or_b32_e32 v29, v33, v24
	v_and_b32_e32 v28, 1, v29
	v_and_b32_e32 v29, 1, v29
	s_movk_i32 s2, 0xff00
	v_and_or_b32 v24, v24, s2, v29
; %bb.175:
	s_or_b64 exec, exec, s[30:31]
	v_mov_b32_dpp v33, v8 row_shr:2 row_mask:0xf bank_mask:0xf
	v_mov_b32_dpp v36, v9 row_shr:2 row_mask:0xf bank_mask:0xf
	;; [unrolled: 1-line block ×3, first 2 shown]
	v_cmp_lt_u32_e64 s[2:3], 1, v25
	s_and_saveexec_b64 s[48:49], s[2:3]
; %bb.176:
	v_mov_b32_e32 v25, 0
	v_cmp_eq_u16_sdwa s[2:3], v29, v25 src0_sel:BYTE_0 src1_sel:DWORD
	v_and_b32_e32 v25, 1, v29
	v_and_b32_e32 v24, 1, v24
	v_cndmask_b32_e64 v37, 0, v36, s[2:3]
	v_cndmask_b32_e64 v36, 0, v33, s[2:3]
	v_cmp_eq_u32_e64 s[2:3], 1, v25
	v_cmp_eq_u32_e64 s[30:31], 1, v24
	s_or_b64 s[2:3], s[2:3], s[30:31]
	v_lshl_add_u64 v[8:9], v[36:37], 0, v[8:9]
	v_cndmask_b32_e64 v28, 0, 1, s[2:3]
; %bb.177:
	s_or_b64 exec, exec, s[48:49]
	ds_write_b64 v21, v[8:9]
	ds_write_b8 v21, v28 offset:8
.LBB895_178:
	s_or_b64 exec, exec, s[40:41]
	v_cmp_lt_u32_e64 s[2:3], 63, v0
	v_mov_b64_e32 v[8:9], 0
	s_waitcnt lgkmcnt(0)
	s_barrier
	s_and_saveexec_b64 s[30:31], s[2:3]
	s_cbranch_execz .LBB895_180
; %bb.179:
	v_lshl_add_u32 v8, v20, 4, -16
	ds_read_b64 v[8:9], v8
	v_cmp_eq_u32_e64 s[2:3], 0, v13
	s_waitcnt lgkmcnt(0)
	s_nop 0
	v_cndmask_b32_e64 v21, 0, v9, s[2:3]
	v_cndmask_b32_e64 v20, 0, v8, s[2:3]
	v_lshl_add_u64 v[4:5], v[20:21], 0, v[4:5]
.LBB895_180:
	s_or_b64 exec, exec, s[30:31]
	v_add_u32_e32 v13, -1, v12
	v_and_b32_e32 v20, 64, v12
	v_cmp_lt_i32_e64 s[2:3], v13, v20
	s_nop 1
	v_cndmask_b32_e64 v13, v13, v12, s[2:3]
	v_lshlrev_b32_e32 v13, 2, v13
	ds_bpermute_b32 v4, v13, v4
	ds_bpermute_b32 v5, v13, v5
	s_and_saveexec_b64 s[2:3], s[0:1]
	s_cbranch_execz .LBB895_182
; %bb.181:
	v_cmp_eq_u32_e64 s[0:1], 0, v12
	;;#ASMSTART
	;;#ASMEND
	s_waitcnt lgkmcnt(1)
	s_nop 0
	v_cndmask_b32_e64 v4, v4, v8, s[0:1]
	v_mov_b32_e32 v8, 0
	s_waitcnt lgkmcnt(0)
	v_cndmask_b32_e64 v5, v5, v9, s[0:1]
	v_cmp_eq_u16_sdwa s[0:1], v1, v8 src0_sel:BYTE_0 src1_sel:DWORD
	s_nop 1
	v_cndmask_b32_e64 v5, 0, v5, s[0:1]
	v_cndmask_b32_e64 v4, 0, v4, s[0:1]
	v_lshl_add_u64 v[2:3], v[4:5], 0, v[2:3]
	v_cndmask_b32_e64 v5, 0, v3, s[4:5]
	v_cndmask_b32_e64 v4, 0, v2, s[4:5]
	v_lshl_add_u64 v[50:51], v[4:5], 0, v[14:15]
	;; [unrolled: 3-line block ×14, first 2 shown]
.LBB895_182:
	s_or_b64 exec, exec, s[2:3]
	s_and_saveexec_b64 s[0:1], vcc
	s_cbranch_execz .LBB895_184
; %bb.183:
	v_mov_b32_e32 v1, 0
	s_waitcnt lgkmcnt(0)
	ds_read_b64 v[4:5], v1 offset:48
	ds_read_u8 v6, v1 offset:56
	s_waitcnt lgkmcnt(1)
	global_store_dword v1, v4, s[42:43] offset:1024 sc1
	global_store_dword v1, v5, s[42:43] offset:1028 sc1
	s_waitcnt lgkmcnt(0)
	global_store_dword v1, v6, s[42:43] offset:1032 sc1
	global_store_dword v1, v1, s[42:43] offset:1036 sc1
	v_mov_b32_e32 v4, 2
	s_waitcnt vmcnt(0)
	global_store_byte v1, v4, s[44:45] offset:64 sc1
.LBB895_184:
	s_or_b64 exec, exec, s[0:1]
	v_mov_b64_e32 v[48:49], v[2:3]
.LBB895_185:
	s_waitcnt lgkmcnt(0)
	s_add_u32 s0, s36, s38
	s_addc_u32 s1, s37, s39
	s_add_u32 s0, s0, s52
	v_mul_u32_u24_e32 v1, 14, v0
	s_addc_u32 s1, s1, s53
	s_and_b64 vcc, exec, s[34:35]
	v_lshlrev_b32_e32 v30, 3, v1
	s_cbranch_vccz .LBB895_213
; %bb.186:
	s_movk_i32 s2, 0xff98
	v_mad_i32_i24 v1, v0, s2, v30
	s_barrier
	ds_write_b128 v30, v[48:51]
	ds_write_b128 v30, v[52:55] offset:16
	ds_write_b128 v30, v[56:59] offset:32
	;; [unrolled: 1-line block ×6, first 2 shown]
	s_waitcnt lgkmcnt(0)
	s_barrier
	ds_read2st64_b64 v[26:29], v1 offset0:4 offset1:8
	s_waitcnt vmcnt(0)
	ds_read2st64_b64 v[22:25], v1 offset0:12 offset1:16
	ds_read2st64_b64 v[18:21], v1 offset0:20 offset1:24
	;; [unrolled: 1-line block ×5, first 2 shown]
	ds_read_b64 v[4:5], v1 offset:26624
	s_add_i32 s33, s33, s46
	v_mov_b32_e32 v33, 0
	v_lshl_add_u64 v[2:3], s[0:1], 0, v[32:33]
	v_cmp_gt_u32_e32 vcc, s33, v0
	s_and_saveexec_b64 s[2:3], vcc
	s_cbranch_execz .LBB895_188
; %bb.187:
	v_mul_i32_i24_e32 v1, 0xffffff98, v0
	v_add_u32_e32 v1, v30, v1
	ds_read_b64 v[34:35], v1
	s_waitcnt lgkmcnt(0)
	flat_store_dwordx2 v[2:3], v[34:35]
.LBB895_188:
	s_or_b64 exec, exec, s[2:3]
	v_or_b32_e32 v1, 0x100, v0
	v_cmp_gt_u32_e32 vcc, s33, v1
	s_and_saveexec_b64 s[2:3], vcc
	s_cbranch_execz .LBB895_190
; %bb.189:
	s_waitcnt lgkmcnt(0)
	flat_store_dwordx2 v[2:3], v[26:27] offset:2048
.LBB895_190:
	s_or_b64 exec, exec, s[2:3]
	v_or_b32_e32 v1, 0x200, v0
	v_cmp_gt_u32_e32 vcc, s33, v1
	s_and_saveexec_b64 s[2:3], vcc
	s_cbranch_execz .LBB895_192
; %bb.191:
	s_waitcnt lgkmcnt(0)
	v_add_co_u32_e32 v26, vcc, 0x1000, v2
	s_nop 1
	v_addc_co_u32_e32 v27, vcc, 0, v3, vcc
	flat_store_dwordx2 v[26:27], v[28:29]
.LBB895_192:
	s_or_b64 exec, exec, s[2:3]
	v_or_b32_e32 v1, 0x300, v0
	v_cmp_gt_u32_e32 vcc, s33, v1
	s_and_saveexec_b64 s[2:3], vcc
	s_cbranch_execz .LBB895_194
; %bb.193:
	s_waitcnt lgkmcnt(0)
	v_add_co_u32_e32 v26, vcc, 0x1000, v2
	s_nop 1
	v_addc_co_u32_e32 v27, vcc, 0, v3, vcc
	flat_store_dwordx2 v[26:27], v[22:23] offset:2048
.LBB895_194:
	s_or_b64 exec, exec, s[2:3]
	v_or_b32_e32 v1, 0x400, v0
	v_cmp_gt_u32_e32 vcc, s33, v1
	s_and_saveexec_b64 s[2:3], vcc
	s_cbranch_execz .LBB895_196
; %bb.195:
	s_waitcnt lgkmcnt(0)
	v_add_co_u32_e32 v22, vcc, 0x2000, v2
	s_nop 1
	v_addc_co_u32_e32 v23, vcc, 0, v3, vcc
	flat_store_dwordx2 v[22:23], v[24:25]
.LBB895_196:
	s_or_b64 exec, exec, s[2:3]
	v_or_b32_e32 v1, 0x500, v0
	v_cmp_gt_u32_e32 vcc, s33, v1
	s_and_saveexec_b64 s[2:3], vcc
	s_cbranch_execz .LBB895_198
; %bb.197:
	s_waitcnt lgkmcnt(0)
	v_add_co_u32_e32 v22, vcc, 0x2000, v2
	s_nop 1
	v_addc_co_u32_e32 v23, vcc, 0, v3, vcc
	flat_store_dwordx2 v[22:23], v[18:19] offset:2048
.LBB895_198:
	;; [unrolled: 24-line block ×5, first 2 shown]
	s_or_b64 exec, exec, s[2:3]
	v_or_b32_e32 v1, 0xc00, v0
	v_cmp_gt_u32_e32 vcc, s33, v1
	s_and_saveexec_b64 s[2:3], vcc
	s_cbranch_execz .LBB895_212
; %bb.211:
	v_add_co_u32_e32 v2, vcc, 0x6000, v2
	s_nop 1
	v_addc_co_u32_e32 v3, vcc, 0, v3, vcc
	s_waitcnt lgkmcnt(0)
	flat_store_dwordx2 v[2:3], v[8:9]
.LBB895_212:
	s_or_b64 exec, exec, s[2:3]
	v_or_b32_e32 v2, 0xd00, v0
	v_mov_b32_e32 v1, v33
	v_cmp_gt_u32_e64 s[2:3], s33, v2
	s_branch .LBB895_215
.LBB895_213:
	s_mov_b64 s[2:3], 0
                                        ; implicit-def: $vgpr4_vgpr5
	s_cbranch_execz .LBB895_215
; %bb.214:
	v_mov_b32_e32 v1, 0
	s_movk_i32 s4, 0xff98
	v_mad_i32_i24 v2, v0, s4, v30
	v_mov_b32_e32 v33, v1
	s_waitcnt lgkmcnt(0)
	s_barrier
	ds_write_b128 v30, v[48:51]
	ds_write_b128 v30, v[52:55] offset:16
	ds_write_b128 v30, v[56:59] offset:32
	ds_write_b128 v30, v[60:63] offset:48
	ds_write_b128 v30, v[64:67] offset:64
	ds_write_b128 v30, v[68:71] offset:80
	ds_write_b128 v30, v[72:75] offset:96
	s_waitcnt lgkmcnt(0)
	s_barrier
	ds_read2st64_b64 v[6:9], v2 offset1:4
	ds_read2st64_b64 v[10:13], v2 offset0:8 offset1:12
	ds_read2st64_b64 v[14:17], v2 offset0:16 offset1:20
	;; [unrolled: 1-line block ×3, first 2 shown]
	s_waitcnt vmcnt(0)
	ds_read2st64_b64 v[22:25], v2 offset0:32 offset1:36
	ds_read2st64_b64 v[26:29], v2 offset0:40 offset1:44
	;; [unrolled: 1-line block ×3, first 2 shown]
	v_lshl_add_u64 v[30:31], s[0:1], 0, v[32:33]
	s_movk_i32 s4, 0x1000
	s_waitcnt lgkmcnt(6)
	flat_store_dwordx2 v[30:31], v[6:7]
	flat_store_dwordx2 v[30:31], v[8:9] offset:2048
	v_add_co_u32_e32 v6, vcc, s4, v30
	s_movk_i32 s4, 0x2000
	s_nop 0
	v_addc_co_u32_e32 v7, vcc, 0, v31, vcc
	s_waitcnt lgkmcnt(0)
	flat_store_dwordx2 v[6:7], v[10:11]
	flat_store_dwordx2 v[6:7], v[12:13] offset:2048
	v_add_co_u32_e32 v6, vcc, s4, v30
	s_movk_i32 s4, 0x3000
	s_nop 0
	v_addc_co_u32_e32 v7, vcc, 0, v31, vcc
	flat_store_dwordx2 v[6:7], v[14:15]
	flat_store_dwordx2 v[6:7], v[16:17] offset:2048
	v_add_co_u32_e32 v6, vcc, s4, v30
	s_movk_i32 s4, 0x4000
	s_nop 0
	v_addc_co_u32_e32 v7, vcc, 0, v31, vcc
	flat_store_dwordx2 v[6:7], v[18:19]
	flat_store_dwordx2 v[6:7], v[20:21] offset:2048
	v_add_co_u32_e32 v6, vcc, s4, v30
	s_or_b64 s[2:3], s[2:3], exec
	s_nop 0
	v_addc_co_u32_e32 v7, vcc, 0, v31, vcc
	flat_store_dwordx2 v[6:7], v[22:23]
	flat_store_dwordx2 v[6:7], v[24:25] offset:2048
	v_add_co_u32_e32 v6, vcc, 0x5000, v30
	s_nop 1
	v_addc_co_u32_e32 v7, vcc, 0, v31, vcc
	flat_store_dwordx2 v[6:7], v[26:27]
	flat_store_dwordx2 v[6:7], v[28:29] offset:2048
	v_add_co_u32_e32 v6, vcc, 0x6000, v30
	s_nop 1
	v_addc_co_u32_e32 v7, vcc, 0, v31, vcc
	flat_store_dwordx2 v[6:7], v[2:3]
.LBB895_215:
	s_and_saveexec_b64 s[4:5], s[2:3]
	s_cbranch_execnz .LBB895_217
; %bb.216:
	s_endpgm
.LBB895_217:
	v_lshl_add_u64 v[0:1], v[0:1], 3, s[0:1]
	v_add_co_u32_e32 v0, vcc, 0x6000, v0
	s_nop 1
	v_addc_co_u32_e32 v1, vcc, 0, v1, vcc
	s_waitcnt lgkmcnt(0)
	flat_store_dwordx2 v[0:1], v[4:5] offset:2048
	s_endpgm
.LBB895_218:
	global_load_dwordx2 v[28:29], v1, s[36:37]
	s_waitcnt vmcnt(0)
	v_sub_co_u32_e32 v28, vcc, 0, v28
	s_nop 1
	v_subb_co_u32_e32 v29, vcc, 0, v29, vcc
	s_or_b64 exec, exec, s[48:49]
                                        ; implicit-def: $vgpr30_vgpr31
	s_and_saveexec_b64 s[4:5], s[6:7]
	s_cbranch_execz .LBB895_37
.LBB895_219:
	global_load_dwordx2 v[30:31], v1, s[36:37] offset:2048
	s_waitcnt vmcnt(0)
	v_sub_co_u32_e32 v30, vcc, 0, v30
	s_nop 1
	v_subb_co_u32_e32 v31, vcc, 0, v31, vcc
	s_or_b64 exec, exec, s[4:5]
                                        ; implicit-def: $vgpr32_vgpr33
	s_and_saveexec_b64 s[4:5], s[8:9]
	s_cbranch_execz .LBB895_38
.LBB895_220:
	global_load_dwordx2 v[2:3], v2, s[36:37]
	s_waitcnt vmcnt(0)
	v_sub_co_u32_e32 v32, vcc, 0, v2
	s_nop 1
	v_subb_co_u32_e32 v33, vcc, 0, v3, vcc
	s_or_b64 exec, exec, s[4:5]
                                        ; implicit-def: $vgpr2_vgpr3
	s_and_saveexec_b64 s[4:5], s[10:11]
	s_cbranch_execz .LBB895_39
.LBB895_221:
	global_load_dwordx2 v[2:3], v4, s[36:37]
	s_waitcnt vmcnt(0)
	v_sub_co_u32_e32 v2, vcc, 0, v2
	s_nop 1
	v_subb_co_u32_e32 v3, vcc, 0, v3, vcc
	s_or_b64 exec, exec, s[4:5]
                                        ; implicit-def: $vgpr4_vgpr5
	s_and_saveexec_b64 s[4:5], s[12:13]
	s_cbranch_execz .LBB895_40
.LBB895_222:
	global_load_dwordx2 v[4:5], v6, s[36:37]
	s_waitcnt vmcnt(0)
	v_sub_co_u32_e32 v4, vcc, 0, v4
	s_nop 1
	v_subb_co_u32_e32 v5, vcc, 0, v5, vcc
	s_or_b64 exec, exec, s[4:5]
                                        ; implicit-def: $vgpr6_vgpr7
	s_and_saveexec_b64 s[4:5], s[14:15]
	s_cbranch_execz .LBB895_41
.LBB895_223:
	global_load_dwordx2 v[6:7], v8, s[36:37]
	s_waitcnt vmcnt(0)
	v_sub_co_u32_e32 v6, vcc, 0, v6
	s_nop 1
	v_subb_co_u32_e32 v7, vcc, 0, v7, vcc
	s_or_b64 exec, exec, s[4:5]
                                        ; implicit-def: $vgpr8_vgpr9
	s_and_saveexec_b64 s[4:5], s[16:17]
	s_cbranch_execz .LBB895_42
.LBB895_224:
	global_load_dwordx2 v[8:9], v10, s[36:37]
	s_waitcnt vmcnt(0)
	v_sub_co_u32_e32 v8, vcc, 0, v8
	s_nop 1
	v_subb_co_u32_e32 v9, vcc, 0, v9, vcc
	s_or_b64 exec, exec, s[4:5]
                                        ; implicit-def: $vgpr10_vgpr11
	s_and_saveexec_b64 s[4:5], s[18:19]
	s_cbranch_execz .LBB895_43
.LBB895_225:
	global_load_dwordx2 v[10:11], v12, s[36:37]
	s_waitcnt vmcnt(0)
	v_sub_co_u32_e32 v10, vcc, 0, v10
	s_nop 1
	v_subb_co_u32_e32 v11, vcc, 0, v11, vcc
	s_or_b64 exec, exec, s[4:5]
                                        ; implicit-def: $vgpr12_vgpr13
	s_and_saveexec_b64 s[4:5], s[20:21]
	s_cbranch_execz .LBB895_44
.LBB895_226:
	global_load_dwordx2 v[12:13], v14, s[36:37]
	s_waitcnt vmcnt(0)
	v_sub_co_u32_e32 v12, vcc, 0, v12
	s_nop 1
	v_subb_co_u32_e32 v13, vcc, 0, v13, vcc
	s_or_b64 exec, exec, s[4:5]
                                        ; implicit-def: $vgpr14_vgpr15
	s_and_saveexec_b64 s[4:5], s[22:23]
	s_cbranch_execz .LBB895_45
.LBB895_227:
	global_load_dwordx2 v[14:15], v16, s[36:37]
	s_waitcnt vmcnt(0)
	v_sub_co_u32_e32 v14, vcc, 0, v14
	s_nop 1
	v_subb_co_u32_e32 v15, vcc, 0, v15, vcc
	s_or_b64 exec, exec, s[4:5]
                                        ; implicit-def: $vgpr16_vgpr17
	s_and_saveexec_b64 s[4:5], s[24:25]
	s_cbranch_execz .LBB895_46
.LBB895_228:
	global_load_dwordx2 v[16:17], v18, s[36:37]
	s_waitcnt vmcnt(0)
	v_sub_co_u32_e32 v16, vcc, 0, v16
	s_nop 1
	v_subb_co_u32_e32 v17, vcc, 0, v17, vcc
	s_or_b64 exec, exec, s[4:5]
                                        ; implicit-def: $vgpr18_vgpr19
	s_and_saveexec_b64 s[4:5], s[26:27]
	s_cbranch_execz .LBB895_47
.LBB895_229:
	global_load_dwordx2 v[18:19], v20, s[36:37]
	s_waitcnt vmcnt(0)
	v_sub_co_u32_e32 v18, vcc, 0, v18
	s_nop 1
	v_subb_co_u32_e32 v19, vcc, 0, v19, vcc
	s_or_b64 exec, exec, s[4:5]
                                        ; implicit-def: $vgpr20_vgpr21
	s_and_saveexec_b64 s[4:5], s[28:29]
	s_cbranch_execz .LBB895_48
.LBB895_230:
	global_load_dwordx2 v[20:21], v22, s[36:37]
	s_waitcnt vmcnt(0)
	v_sub_co_u32_e32 v20, vcc, 0, v20
	s_nop 1
	v_subb_co_u32_e32 v21, vcc, 0, v21, vcc
	s_or_b64 exec, exec, s[4:5]
                                        ; implicit-def: $vgpr22_vgpr23
	s_and_saveexec_b64 s[4:5], s[30:31]
	s_cbranch_execnz .LBB895_49
	s_branch .LBB895_50
.LBB895_231:
                                        ; implicit-def: $sgpr48_sgpr49
	s_branch .LBB895_32
.LBB895_232:
                                        ; implicit-def: $sgpr4_sgpr5
	s_branch .LBB895_81
	.section	.rodata,"a",@progbits
	.p2align	6, 0x0
	.amdhsa_kernel _ZN7rocprim17ROCPRIM_400000_NS6detail17trampoline_kernelINS0_14default_configENS1_27scan_by_key_config_selectorIxxEEZZNS1_16scan_by_key_implILNS1_25lookback_scan_determinismE0ELb0ES3_N6thrust23THRUST_200600_302600_NS6detail15normal_iteratorINS9_10device_ptrIxEEEENS9_18transform_iteratorINS9_6negateIxEESE_NS9_11use_defaultESI_EESE_xNS9_4plusIvEENS9_8equal_toIvEExEE10hipError_tPvRmT2_T3_T4_T5_mT6_T7_P12ihipStream_tbENKUlT_T0_E_clISt17integral_constantIbLb0EES14_EEDaSZ_S10_EUlSZ_E_NS1_11comp_targetILNS1_3genE5ELNS1_11target_archE942ELNS1_3gpuE9ELNS1_3repE0EEENS1_30default_config_static_selectorELNS0_4arch9wavefront6targetE1EEEvT1_
		.amdhsa_group_segment_fixed_size 32768
		.amdhsa_private_segment_fixed_size 0
		.amdhsa_kernarg_size 144
		.amdhsa_user_sgpr_count 2
		.amdhsa_user_sgpr_dispatch_ptr 0
		.amdhsa_user_sgpr_queue_ptr 0
		.amdhsa_user_sgpr_kernarg_segment_ptr 1
		.amdhsa_user_sgpr_dispatch_id 0
		.amdhsa_user_sgpr_kernarg_preload_length 0
		.amdhsa_user_sgpr_kernarg_preload_offset 0
		.amdhsa_user_sgpr_private_segment_size 0
		.amdhsa_uses_dynamic_stack 0
		.amdhsa_enable_private_segment 0
		.amdhsa_system_sgpr_workgroup_id_x 1
		.amdhsa_system_sgpr_workgroup_id_y 0
		.amdhsa_system_sgpr_workgroup_id_z 0
		.amdhsa_system_sgpr_workgroup_info 0
		.amdhsa_system_vgpr_workitem_id 0
		.amdhsa_next_free_vgpr 92
		.amdhsa_next_free_sgpr 66
		.amdhsa_accum_offset 92
		.amdhsa_reserve_vcc 1
		.amdhsa_float_round_mode_32 0
		.amdhsa_float_round_mode_16_64 0
		.amdhsa_float_denorm_mode_32 3
		.amdhsa_float_denorm_mode_16_64 3
		.amdhsa_dx10_clamp 1
		.amdhsa_ieee_mode 1
		.amdhsa_fp16_overflow 0
		.amdhsa_tg_split 0
		.amdhsa_exception_fp_ieee_invalid_op 0
		.amdhsa_exception_fp_denorm_src 0
		.amdhsa_exception_fp_ieee_div_zero 0
		.amdhsa_exception_fp_ieee_overflow 0
		.amdhsa_exception_fp_ieee_underflow 0
		.amdhsa_exception_fp_ieee_inexact 0
		.amdhsa_exception_int_div_zero 0
	.end_amdhsa_kernel
	.section	.text._ZN7rocprim17ROCPRIM_400000_NS6detail17trampoline_kernelINS0_14default_configENS1_27scan_by_key_config_selectorIxxEEZZNS1_16scan_by_key_implILNS1_25lookback_scan_determinismE0ELb0ES3_N6thrust23THRUST_200600_302600_NS6detail15normal_iteratorINS9_10device_ptrIxEEEENS9_18transform_iteratorINS9_6negateIxEESE_NS9_11use_defaultESI_EESE_xNS9_4plusIvEENS9_8equal_toIvEExEE10hipError_tPvRmT2_T3_T4_T5_mT6_T7_P12ihipStream_tbENKUlT_T0_E_clISt17integral_constantIbLb0EES14_EEDaSZ_S10_EUlSZ_E_NS1_11comp_targetILNS1_3genE5ELNS1_11target_archE942ELNS1_3gpuE9ELNS1_3repE0EEENS1_30default_config_static_selectorELNS0_4arch9wavefront6targetE1EEEvT1_,"axG",@progbits,_ZN7rocprim17ROCPRIM_400000_NS6detail17trampoline_kernelINS0_14default_configENS1_27scan_by_key_config_selectorIxxEEZZNS1_16scan_by_key_implILNS1_25lookback_scan_determinismE0ELb0ES3_N6thrust23THRUST_200600_302600_NS6detail15normal_iteratorINS9_10device_ptrIxEEEENS9_18transform_iteratorINS9_6negateIxEESE_NS9_11use_defaultESI_EESE_xNS9_4plusIvEENS9_8equal_toIvEExEE10hipError_tPvRmT2_T3_T4_T5_mT6_T7_P12ihipStream_tbENKUlT_T0_E_clISt17integral_constantIbLb0EES14_EEDaSZ_S10_EUlSZ_E_NS1_11comp_targetILNS1_3genE5ELNS1_11target_archE942ELNS1_3gpuE9ELNS1_3repE0EEENS1_30default_config_static_selectorELNS0_4arch9wavefront6targetE1EEEvT1_,comdat
.Lfunc_end895:
	.size	_ZN7rocprim17ROCPRIM_400000_NS6detail17trampoline_kernelINS0_14default_configENS1_27scan_by_key_config_selectorIxxEEZZNS1_16scan_by_key_implILNS1_25lookback_scan_determinismE0ELb0ES3_N6thrust23THRUST_200600_302600_NS6detail15normal_iteratorINS9_10device_ptrIxEEEENS9_18transform_iteratorINS9_6negateIxEESE_NS9_11use_defaultESI_EESE_xNS9_4plusIvEENS9_8equal_toIvEExEE10hipError_tPvRmT2_T3_T4_T5_mT6_T7_P12ihipStream_tbENKUlT_T0_E_clISt17integral_constantIbLb0EES14_EEDaSZ_S10_EUlSZ_E_NS1_11comp_targetILNS1_3genE5ELNS1_11target_archE942ELNS1_3gpuE9ELNS1_3repE0EEENS1_30default_config_static_selectorELNS0_4arch9wavefront6targetE1EEEvT1_, .Lfunc_end895-_ZN7rocprim17ROCPRIM_400000_NS6detail17trampoline_kernelINS0_14default_configENS1_27scan_by_key_config_selectorIxxEEZZNS1_16scan_by_key_implILNS1_25lookback_scan_determinismE0ELb0ES3_N6thrust23THRUST_200600_302600_NS6detail15normal_iteratorINS9_10device_ptrIxEEEENS9_18transform_iteratorINS9_6negateIxEESE_NS9_11use_defaultESI_EESE_xNS9_4plusIvEENS9_8equal_toIvEExEE10hipError_tPvRmT2_T3_T4_T5_mT6_T7_P12ihipStream_tbENKUlT_T0_E_clISt17integral_constantIbLb0EES14_EEDaSZ_S10_EUlSZ_E_NS1_11comp_targetILNS1_3genE5ELNS1_11target_archE942ELNS1_3gpuE9ELNS1_3repE0EEENS1_30default_config_static_selectorELNS0_4arch9wavefront6targetE1EEEvT1_
                                        ; -- End function
	.section	.AMDGPU.csdata,"",@progbits
; Kernel info:
; codeLenInByte = 12612
; NumSgprs: 72
; NumVgprs: 92
; NumAgprs: 0
; TotalNumVgprs: 92
; ScratchSize: 0
; MemoryBound: 0
; FloatMode: 240
; IeeeMode: 1
; LDSByteSize: 32768 bytes/workgroup (compile time only)
; SGPRBlocks: 8
; VGPRBlocks: 11
; NumSGPRsForWavesPerEU: 72
; NumVGPRsForWavesPerEU: 92
; AccumOffset: 92
; Occupancy: 2
; WaveLimiterHint : 1
; COMPUTE_PGM_RSRC2:SCRATCH_EN: 0
; COMPUTE_PGM_RSRC2:USER_SGPR: 2
; COMPUTE_PGM_RSRC2:TRAP_HANDLER: 0
; COMPUTE_PGM_RSRC2:TGID_X_EN: 1
; COMPUTE_PGM_RSRC2:TGID_Y_EN: 0
; COMPUTE_PGM_RSRC2:TGID_Z_EN: 0
; COMPUTE_PGM_RSRC2:TIDIG_COMP_CNT: 0
; COMPUTE_PGM_RSRC3_GFX90A:ACCUM_OFFSET: 22
; COMPUTE_PGM_RSRC3_GFX90A:TG_SPLIT: 0
	.section	.text._ZN7rocprim17ROCPRIM_400000_NS6detail17trampoline_kernelINS0_14default_configENS1_27scan_by_key_config_selectorIxxEEZZNS1_16scan_by_key_implILNS1_25lookback_scan_determinismE0ELb0ES3_N6thrust23THRUST_200600_302600_NS6detail15normal_iteratorINS9_10device_ptrIxEEEENS9_18transform_iteratorINS9_6negateIxEESE_NS9_11use_defaultESI_EESE_xNS9_4plusIvEENS9_8equal_toIvEExEE10hipError_tPvRmT2_T3_T4_T5_mT6_T7_P12ihipStream_tbENKUlT_T0_E_clISt17integral_constantIbLb0EES14_EEDaSZ_S10_EUlSZ_E_NS1_11comp_targetILNS1_3genE4ELNS1_11target_archE910ELNS1_3gpuE8ELNS1_3repE0EEENS1_30default_config_static_selectorELNS0_4arch9wavefront6targetE1EEEvT1_,"axG",@progbits,_ZN7rocprim17ROCPRIM_400000_NS6detail17trampoline_kernelINS0_14default_configENS1_27scan_by_key_config_selectorIxxEEZZNS1_16scan_by_key_implILNS1_25lookback_scan_determinismE0ELb0ES3_N6thrust23THRUST_200600_302600_NS6detail15normal_iteratorINS9_10device_ptrIxEEEENS9_18transform_iteratorINS9_6negateIxEESE_NS9_11use_defaultESI_EESE_xNS9_4plusIvEENS9_8equal_toIvEExEE10hipError_tPvRmT2_T3_T4_T5_mT6_T7_P12ihipStream_tbENKUlT_T0_E_clISt17integral_constantIbLb0EES14_EEDaSZ_S10_EUlSZ_E_NS1_11comp_targetILNS1_3genE4ELNS1_11target_archE910ELNS1_3gpuE8ELNS1_3repE0EEENS1_30default_config_static_selectorELNS0_4arch9wavefront6targetE1EEEvT1_,comdat
	.protected	_ZN7rocprim17ROCPRIM_400000_NS6detail17trampoline_kernelINS0_14default_configENS1_27scan_by_key_config_selectorIxxEEZZNS1_16scan_by_key_implILNS1_25lookback_scan_determinismE0ELb0ES3_N6thrust23THRUST_200600_302600_NS6detail15normal_iteratorINS9_10device_ptrIxEEEENS9_18transform_iteratorINS9_6negateIxEESE_NS9_11use_defaultESI_EESE_xNS9_4plusIvEENS9_8equal_toIvEExEE10hipError_tPvRmT2_T3_T4_T5_mT6_T7_P12ihipStream_tbENKUlT_T0_E_clISt17integral_constantIbLb0EES14_EEDaSZ_S10_EUlSZ_E_NS1_11comp_targetILNS1_3genE4ELNS1_11target_archE910ELNS1_3gpuE8ELNS1_3repE0EEENS1_30default_config_static_selectorELNS0_4arch9wavefront6targetE1EEEvT1_ ; -- Begin function _ZN7rocprim17ROCPRIM_400000_NS6detail17trampoline_kernelINS0_14default_configENS1_27scan_by_key_config_selectorIxxEEZZNS1_16scan_by_key_implILNS1_25lookback_scan_determinismE0ELb0ES3_N6thrust23THRUST_200600_302600_NS6detail15normal_iteratorINS9_10device_ptrIxEEEENS9_18transform_iteratorINS9_6negateIxEESE_NS9_11use_defaultESI_EESE_xNS9_4plusIvEENS9_8equal_toIvEExEE10hipError_tPvRmT2_T3_T4_T5_mT6_T7_P12ihipStream_tbENKUlT_T0_E_clISt17integral_constantIbLb0EES14_EEDaSZ_S10_EUlSZ_E_NS1_11comp_targetILNS1_3genE4ELNS1_11target_archE910ELNS1_3gpuE8ELNS1_3repE0EEENS1_30default_config_static_selectorELNS0_4arch9wavefront6targetE1EEEvT1_
	.globl	_ZN7rocprim17ROCPRIM_400000_NS6detail17trampoline_kernelINS0_14default_configENS1_27scan_by_key_config_selectorIxxEEZZNS1_16scan_by_key_implILNS1_25lookback_scan_determinismE0ELb0ES3_N6thrust23THRUST_200600_302600_NS6detail15normal_iteratorINS9_10device_ptrIxEEEENS9_18transform_iteratorINS9_6negateIxEESE_NS9_11use_defaultESI_EESE_xNS9_4plusIvEENS9_8equal_toIvEExEE10hipError_tPvRmT2_T3_T4_T5_mT6_T7_P12ihipStream_tbENKUlT_T0_E_clISt17integral_constantIbLb0EES14_EEDaSZ_S10_EUlSZ_E_NS1_11comp_targetILNS1_3genE4ELNS1_11target_archE910ELNS1_3gpuE8ELNS1_3repE0EEENS1_30default_config_static_selectorELNS0_4arch9wavefront6targetE1EEEvT1_
	.p2align	8
	.type	_ZN7rocprim17ROCPRIM_400000_NS6detail17trampoline_kernelINS0_14default_configENS1_27scan_by_key_config_selectorIxxEEZZNS1_16scan_by_key_implILNS1_25lookback_scan_determinismE0ELb0ES3_N6thrust23THRUST_200600_302600_NS6detail15normal_iteratorINS9_10device_ptrIxEEEENS9_18transform_iteratorINS9_6negateIxEESE_NS9_11use_defaultESI_EESE_xNS9_4plusIvEENS9_8equal_toIvEExEE10hipError_tPvRmT2_T3_T4_T5_mT6_T7_P12ihipStream_tbENKUlT_T0_E_clISt17integral_constantIbLb0EES14_EEDaSZ_S10_EUlSZ_E_NS1_11comp_targetILNS1_3genE4ELNS1_11target_archE910ELNS1_3gpuE8ELNS1_3repE0EEENS1_30default_config_static_selectorELNS0_4arch9wavefront6targetE1EEEvT1_,@function
_ZN7rocprim17ROCPRIM_400000_NS6detail17trampoline_kernelINS0_14default_configENS1_27scan_by_key_config_selectorIxxEEZZNS1_16scan_by_key_implILNS1_25lookback_scan_determinismE0ELb0ES3_N6thrust23THRUST_200600_302600_NS6detail15normal_iteratorINS9_10device_ptrIxEEEENS9_18transform_iteratorINS9_6negateIxEESE_NS9_11use_defaultESI_EESE_xNS9_4plusIvEENS9_8equal_toIvEExEE10hipError_tPvRmT2_T3_T4_T5_mT6_T7_P12ihipStream_tbENKUlT_T0_E_clISt17integral_constantIbLb0EES14_EEDaSZ_S10_EUlSZ_E_NS1_11comp_targetILNS1_3genE4ELNS1_11target_archE910ELNS1_3gpuE8ELNS1_3repE0EEENS1_30default_config_static_selectorELNS0_4arch9wavefront6targetE1EEEvT1_: ; @_ZN7rocprim17ROCPRIM_400000_NS6detail17trampoline_kernelINS0_14default_configENS1_27scan_by_key_config_selectorIxxEEZZNS1_16scan_by_key_implILNS1_25lookback_scan_determinismE0ELb0ES3_N6thrust23THRUST_200600_302600_NS6detail15normal_iteratorINS9_10device_ptrIxEEEENS9_18transform_iteratorINS9_6negateIxEESE_NS9_11use_defaultESI_EESE_xNS9_4plusIvEENS9_8equal_toIvEExEE10hipError_tPvRmT2_T3_T4_T5_mT6_T7_P12ihipStream_tbENKUlT_T0_E_clISt17integral_constantIbLb0EES14_EEDaSZ_S10_EUlSZ_E_NS1_11comp_targetILNS1_3genE4ELNS1_11target_archE910ELNS1_3gpuE8ELNS1_3repE0EEENS1_30default_config_static_selectorELNS0_4arch9wavefront6targetE1EEEvT1_
; %bb.0:
	.section	.rodata,"a",@progbits
	.p2align	6, 0x0
	.amdhsa_kernel _ZN7rocprim17ROCPRIM_400000_NS6detail17trampoline_kernelINS0_14default_configENS1_27scan_by_key_config_selectorIxxEEZZNS1_16scan_by_key_implILNS1_25lookback_scan_determinismE0ELb0ES3_N6thrust23THRUST_200600_302600_NS6detail15normal_iteratorINS9_10device_ptrIxEEEENS9_18transform_iteratorINS9_6negateIxEESE_NS9_11use_defaultESI_EESE_xNS9_4plusIvEENS9_8equal_toIvEExEE10hipError_tPvRmT2_T3_T4_T5_mT6_T7_P12ihipStream_tbENKUlT_T0_E_clISt17integral_constantIbLb0EES14_EEDaSZ_S10_EUlSZ_E_NS1_11comp_targetILNS1_3genE4ELNS1_11target_archE910ELNS1_3gpuE8ELNS1_3repE0EEENS1_30default_config_static_selectorELNS0_4arch9wavefront6targetE1EEEvT1_
		.amdhsa_group_segment_fixed_size 0
		.amdhsa_private_segment_fixed_size 0
		.amdhsa_kernarg_size 144
		.amdhsa_user_sgpr_count 2
		.amdhsa_user_sgpr_dispatch_ptr 0
		.amdhsa_user_sgpr_queue_ptr 0
		.amdhsa_user_sgpr_kernarg_segment_ptr 1
		.amdhsa_user_sgpr_dispatch_id 0
		.amdhsa_user_sgpr_kernarg_preload_length 0
		.amdhsa_user_sgpr_kernarg_preload_offset 0
		.amdhsa_user_sgpr_private_segment_size 0
		.amdhsa_uses_dynamic_stack 0
		.amdhsa_enable_private_segment 0
		.amdhsa_system_sgpr_workgroup_id_x 1
		.amdhsa_system_sgpr_workgroup_id_y 0
		.amdhsa_system_sgpr_workgroup_id_z 0
		.amdhsa_system_sgpr_workgroup_info 0
		.amdhsa_system_vgpr_workitem_id 0
		.amdhsa_next_free_vgpr 1
		.amdhsa_next_free_sgpr 0
		.amdhsa_accum_offset 4
		.amdhsa_reserve_vcc 0
		.amdhsa_float_round_mode_32 0
		.amdhsa_float_round_mode_16_64 0
		.amdhsa_float_denorm_mode_32 3
		.amdhsa_float_denorm_mode_16_64 3
		.amdhsa_dx10_clamp 1
		.amdhsa_ieee_mode 1
		.amdhsa_fp16_overflow 0
		.amdhsa_tg_split 0
		.amdhsa_exception_fp_ieee_invalid_op 0
		.amdhsa_exception_fp_denorm_src 0
		.amdhsa_exception_fp_ieee_div_zero 0
		.amdhsa_exception_fp_ieee_overflow 0
		.amdhsa_exception_fp_ieee_underflow 0
		.amdhsa_exception_fp_ieee_inexact 0
		.amdhsa_exception_int_div_zero 0
	.end_amdhsa_kernel
	.section	.text._ZN7rocprim17ROCPRIM_400000_NS6detail17trampoline_kernelINS0_14default_configENS1_27scan_by_key_config_selectorIxxEEZZNS1_16scan_by_key_implILNS1_25lookback_scan_determinismE0ELb0ES3_N6thrust23THRUST_200600_302600_NS6detail15normal_iteratorINS9_10device_ptrIxEEEENS9_18transform_iteratorINS9_6negateIxEESE_NS9_11use_defaultESI_EESE_xNS9_4plusIvEENS9_8equal_toIvEExEE10hipError_tPvRmT2_T3_T4_T5_mT6_T7_P12ihipStream_tbENKUlT_T0_E_clISt17integral_constantIbLb0EES14_EEDaSZ_S10_EUlSZ_E_NS1_11comp_targetILNS1_3genE4ELNS1_11target_archE910ELNS1_3gpuE8ELNS1_3repE0EEENS1_30default_config_static_selectorELNS0_4arch9wavefront6targetE1EEEvT1_,"axG",@progbits,_ZN7rocprim17ROCPRIM_400000_NS6detail17trampoline_kernelINS0_14default_configENS1_27scan_by_key_config_selectorIxxEEZZNS1_16scan_by_key_implILNS1_25lookback_scan_determinismE0ELb0ES3_N6thrust23THRUST_200600_302600_NS6detail15normal_iteratorINS9_10device_ptrIxEEEENS9_18transform_iteratorINS9_6negateIxEESE_NS9_11use_defaultESI_EESE_xNS9_4plusIvEENS9_8equal_toIvEExEE10hipError_tPvRmT2_T3_T4_T5_mT6_T7_P12ihipStream_tbENKUlT_T0_E_clISt17integral_constantIbLb0EES14_EEDaSZ_S10_EUlSZ_E_NS1_11comp_targetILNS1_3genE4ELNS1_11target_archE910ELNS1_3gpuE8ELNS1_3repE0EEENS1_30default_config_static_selectorELNS0_4arch9wavefront6targetE1EEEvT1_,comdat
.Lfunc_end896:
	.size	_ZN7rocprim17ROCPRIM_400000_NS6detail17trampoline_kernelINS0_14default_configENS1_27scan_by_key_config_selectorIxxEEZZNS1_16scan_by_key_implILNS1_25lookback_scan_determinismE0ELb0ES3_N6thrust23THRUST_200600_302600_NS6detail15normal_iteratorINS9_10device_ptrIxEEEENS9_18transform_iteratorINS9_6negateIxEESE_NS9_11use_defaultESI_EESE_xNS9_4plusIvEENS9_8equal_toIvEExEE10hipError_tPvRmT2_T3_T4_T5_mT6_T7_P12ihipStream_tbENKUlT_T0_E_clISt17integral_constantIbLb0EES14_EEDaSZ_S10_EUlSZ_E_NS1_11comp_targetILNS1_3genE4ELNS1_11target_archE910ELNS1_3gpuE8ELNS1_3repE0EEENS1_30default_config_static_selectorELNS0_4arch9wavefront6targetE1EEEvT1_, .Lfunc_end896-_ZN7rocprim17ROCPRIM_400000_NS6detail17trampoline_kernelINS0_14default_configENS1_27scan_by_key_config_selectorIxxEEZZNS1_16scan_by_key_implILNS1_25lookback_scan_determinismE0ELb0ES3_N6thrust23THRUST_200600_302600_NS6detail15normal_iteratorINS9_10device_ptrIxEEEENS9_18transform_iteratorINS9_6negateIxEESE_NS9_11use_defaultESI_EESE_xNS9_4plusIvEENS9_8equal_toIvEExEE10hipError_tPvRmT2_T3_T4_T5_mT6_T7_P12ihipStream_tbENKUlT_T0_E_clISt17integral_constantIbLb0EES14_EEDaSZ_S10_EUlSZ_E_NS1_11comp_targetILNS1_3genE4ELNS1_11target_archE910ELNS1_3gpuE8ELNS1_3repE0EEENS1_30default_config_static_selectorELNS0_4arch9wavefront6targetE1EEEvT1_
                                        ; -- End function
	.section	.AMDGPU.csdata,"",@progbits
; Kernel info:
; codeLenInByte = 0
; NumSgprs: 6
; NumVgprs: 0
; NumAgprs: 0
; TotalNumVgprs: 0
; ScratchSize: 0
; MemoryBound: 0
; FloatMode: 240
; IeeeMode: 1
; LDSByteSize: 0 bytes/workgroup (compile time only)
; SGPRBlocks: 0
; VGPRBlocks: 0
; NumSGPRsForWavesPerEU: 6
; NumVGPRsForWavesPerEU: 1
; AccumOffset: 4
; Occupancy: 8
; WaveLimiterHint : 0
; COMPUTE_PGM_RSRC2:SCRATCH_EN: 0
; COMPUTE_PGM_RSRC2:USER_SGPR: 2
; COMPUTE_PGM_RSRC2:TRAP_HANDLER: 0
; COMPUTE_PGM_RSRC2:TGID_X_EN: 1
; COMPUTE_PGM_RSRC2:TGID_Y_EN: 0
; COMPUTE_PGM_RSRC2:TGID_Z_EN: 0
; COMPUTE_PGM_RSRC2:TIDIG_COMP_CNT: 0
; COMPUTE_PGM_RSRC3_GFX90A:ACCUM_OFFSET: 0
; COMPUTE_PGM_RSRC3_GFX90A:TG_SPLIT: 0
	.section	.text._ZN7rocprim17ROCPRIM_400000_NS6detail17trampoline_kernelINS0_14default_configENS1_27scan_by_key_config_selectorIxxEEZZNS1_16scan_by_key_implILNS1_25lookback_scan_determinismE0ELb0ES3_N6thrust23THRUST_200600_302600_NS6detail15normal_iteratorINS9_10device_ptrIxEEEENS9_18transform_iteratorINS9_6negateIxEESE_NS9_11use_defaultESI_EESE_xNS9_4plusIvEENS9_8equal_toIvEExEE10hipError_tPvRmT2_T3_T4_T5_mT6_T7_P12ihipStream_tbENKUlT_T0_E_clISt17integral_constantIbLb0EES14_EEDaSZ_S10_EUlSZ_E_NS1_11comp_targetILNS1_3genE3ELNS1_11target_archE908ELNS1_3gpuE7ELNS1_3repE0EEENS1_30default_config_static_selectorELNS0_4arch9wavefront6targetE1EEEvT1_,"axG",@progbits,_ZN7rocprim17ROCPRIM_400000_NS6detail17trampoline_kernelINS0_14default_configENS1_27scan_by_key_config_selectorIxxEEZZNS1_16scan_by_key_implILNS1_25lookback_scan_determinismE0ELb0ES3_N6thrust23THRUST_200600_302600_NS6detail15normal_iteratorINS9_10device_ptrIxEEEENS9_18transform_iteratorINS9_6negateIxEESE_NS9_11use_defaultESI_EESE_xNS9_4plusIvEENS9_8equal_toIvEExEE10hipError_tPvRmT2_T3_T4_T5_mT6_T7_P12ihipStream_tbENKUlT_T0_E_clISt17integral_constantIbLb0EES14_EEDaSZ_S10_EUlSZ_E_NS1_11comp_targetILNS1_3genE3ELNS1_11target_archE908ELNS1_3gpuE7ELNS1_3repE0EEENS1_30default_config_static_selectorELNS0_4arch9wavefront6targetE1EEEvT1_,comdat
	.protected	_ZN7rocprim17ROCPRIM_400000_NS6detail17trampoline_kernelINS0_14default_configENS1_27scan_by_key_config_selectorIxxEEZZNS1_16scan_by_key_implILNS1_25lookback_scan_determinismE0ELb0ES3_N6thrust23THRUST_200600_302600_NS6detail15normal_iteratorINS9_10device_ptrIxEEEENS9_18transform_iteratorINS9_6negateIxEESE_NS9_11use_defaultESI_EESE_xNS9_4plusIvEENS9_8equal_toIvEExEE10hipError_tPvRmT2_T3_T4_T5_mT6_T7_P12ihipStream_tbENKUlT_T0_E_clISt17integral_constantIbLb0EES14_EEDaSZ_S10_EUlSZ_E_NS1_11comp_targetILNS1_3genE3ELNS1_11target_archE908ELNS1_3gpuE7ELNS1_3repE0EEENS1_30default_config_static_selectorELNS0_4arch9wavefront6targetE1EEEvT1_ ; -- Begin function _ZN7rocprim17ROCPRIM_400000_NS6detail17trampoline_kernelINS0_14default_configENS1_27scan_by_key_config_selectorIxxEEZZNS1_16scan_by_key_implILNS1_25lookback_scan_determinismE0ELb0ES3_N6thrust23THRUST_200600_302600_NS6detail15normal_iteratorINS9_10device_ptrIxEEEENS9_18transform_iteratorINS9_6negateIxEESE_NS9_11use_defaultESI_EESE_xNS9_4plusIvEENS9_8equal_toIvEExEE10hipError_tPvRmT2_T3_T4_T5_mT6_T7_P12ihipStream_tbENKUlT_T0_E_clISt17integral_constantIbLb0EES14_EEDaSZ_S10_EUlSZ_E_NS1_11comp_targetILNS1_3genE3ELNS1_11target_archE908ELNS1_3gpuE7ELNS1_3repE0EEENS1_30default_config_static_selectorELNS0_4arch9wavefront6targetE1EEEvT1_
	.globl	_ZN7rocprim17ROCPRIM_400000_NS6detail17trampoline_kernelINS0_14default_configENS1_27scan_by_key_config_selectorIxxEEZZNS1_16scan_by_key_implILNS1_25lookback_scan_determinismE0ELb0ES3_N6thrust23THRUST_200600_302600_NS6detail15normal_iteratorINS9_10device_ptrIxEEEENS9_18transform_iteratorINS9_6negateIxEESE_NS9_11use_defaultESI_EESE_xNS9_4plusIvEENS9_8equal_toIvEExEE10hipError_tPvRmT2_T3_T4_T5_mT6_T7_P12ihipStream_tbENKUlT_T0_E_clISt17integral_constantIbLb0EES14_EEDaSZ_S10_EUlSZ_E_NS1_11comp_targetILNS1_3genE3ELNS1_11target_archE908ELNS1_3gpuE7ELNS1_3repE0EEENS1_30default_config_static_selectorELNS0_4arch9wavefront6targetE1EEEvT1_
	.p2align	8
	.type	_ZN7rocprim17ROCPRIM_400000_NS6detail17trampoline_kernelINS0_14default_configENS1_27scan_by_key_config_selectorIxxEEZZNS1_16scan_by_key_implILNS1_25lookback_scan_determinismE0ELb0ES3_N6thrust23THRUST_200600_302600_NS6detail15normal_iteratorINS9_10device_ptrIxEEEENS9_18transform_iteratorINS9_6negateIxEESE_NS9_11use_defaultESI_EESE_xNS9_4plusIvEENS9_8equal_toIvEExEE10hipError_tPvRmT2_T3_T4_T5_mT6_T7_P12ihipStream_tbENKUlT_T0_E_clISt17integral_constantIbLb0EES14_EEDaSZ_S10_EUlSZ_E_NS1_11comp_targetILNS1_3genE3ELNS1_11target_archE908ELNS1_3gpuE7ELNS1_3repE0EEENS1_30default_config_static_selectorELNS0_4arch9wavefront6targetE1EEEvT1_,@function
_ZN7rocprim17ROCPRIM_400000_NS6detail17trampoline_kernelINS0_14default_configENS1_27scan_by_key_config_selectorIxxEEZZNS1_16scan_by_key_implILNS1_25lookback_scan_determinismE0ELb0ES3_N6thrust23THRUST_200600_302600_NS6detail15normal_iteratorINS9_10device_ptrIxEEEENS9_18transform_iteratorINS9_6negateIxEESE_NS9_11use_defaultESI_EESE_xNS9_4plusIvEENS9_8equal_toIvEExEE10hipError_tPvRmT2_T3_T4_T5_mT6_T7_P12ihipStream_tbENKUlT_T0_E_clISt17integral_constantIbLb0EES14_EEDaSZ_S10_EUlSZ_E_NS1_11comp_targetILNS1_3genE3ELNS1_11target_archE908ELNS1_3gpuE7ELNS1_3repE0EEENS1_30default_config_static_selectorELNS0_4arch9wavefront6targetE1EEEvT1_: ; @_ZN7rocprim17ROCPRIM_400000_NS6detail17trampoline_kernelINS0_14default_configENS1_27scan_by_key_config_selectorIxxEEZZNS1_16scan_by_key_implILNS1_25lookback_scan_determinismE0ELb0ES3_N6thrust23THRUST_200600_302600_NS6detail15normal_iteratorINS9_10device_ptrIxEEEENS9_18transform_iteratorINS9_6negateIxEESE_NS9_11use_defaultESI_EESE_xNS9_4plusIvEENS9_8equal_toIvEExEE10hipError_tPvRmT2_T3_T4_T5_mT6_T7_P12ihipStream_tbENKUlT_T0_E_clISt17integral_constantIbLb0EES14_EEDaSZ_S10_EUlSZ_E_NS1_11comp_targetILNS1_3genE3ELNS1_11target_archE908ELNS1_3gpuE7ELNS1_3repE0EEENS1_30default_config_static_selectorELNS0_4arch9wavefront6targetE1EEEvT1_
; %bb.0:
	.section	.rodata,"a",@progbits
	.p2align	6, 0x0
	.amdhsa_kernel _ZN7rocprim17ROCPRIM_400000_NS6detail17trampoline_kernelINS0_14default_configENS1_27scan_by_key_config_selectorIxxEEZZNS1_16scan_by_key_implILNS1_25lookback_scan_determinismE0ELb0ES3_N6thrust23THRUST_200600_302600_NS6detail15normal_iteratorINS9_10device_ptrIxEEEENS9_18transform_iteratorINS9_6negateIxEESE_NS9_11use_defaultESI_EESE_xNS9_4plusIvEENS9_8equal_toIvEExEE10hipError_tPvRmT2_T3_T4_T5_mT6_T7_P12ihipStream_tbENKUlT_T0_E_clISt17integral_constantIbLb0EES14_EEDaSZ_S10_EUlSZ_E_NS1_11comp_targetILNS1_3genE3ELNS1_11target_archE908ELNS1_3gpuE7ELNS1_3repE0EEENS1_30default_config_static_selectorELNS0_4arch9wavefront6targetE1EEEvT1_
		.amdhsa_group_segment_fixed_size 0
		.amdhsa_private_segment_fixed_size 0
		.amdhsa_kernarg_size 144
		.amdhsa_user_sgpr_count 2
		.amdhsa_user_sgpr_dispatch_ptr 0
		.amdhsa_user_sgpr_queue_ptr 0
		.amdhsa_user_sgpr_kernarg_segment_ptr 1
		.amdhsa_user_sgpr_dispatch_id 0
		.amdhsa_user_sgpr_kernarg_preload_length 0
		.amdhsa_user_sgpr_kernarg_preload_offset 0
		.amdhsa_user_sgpr_private_segment_size 0
		.amdhsa_uses_dynamic_stack 0
		.amdhsa_enable_private_segment 0
		.amdhsa_system_sgpr_workgroup_id_x 1
		.amdhsa_system_sgpr_workgroup_id_y 0
		.amdhsa_system_sgpr_workgroup_id_z 0
		.amdhsa_system_sgpr_workgroup_info 0
		.amdhsa_system_vgpr_workitem_id 0
		.amdhsa_next_free_vgpr 1
		.amdhsa_next_free_sgpr 0
		.amdhsa_accum_offset 4
		.amdhsa_reserve_vcc 0
		.amdhsa_float_round_mode_32 0
		.amdhsa_float_round_mode_16_64 0
		.amdhsa_float_denorm_mode_32 3
		.amdhsa_float_denorm_mode_16_64 3
		.amdhsa_dx10_clamp 1
		.amdhsa_ieee_mode 1
		.amdhsa_fp16_overflow 0
		.amdhsa_tg_split 0
		.amdhsa_exception_fp_ieee_invalid_op 0
		.amdhsa_exception_fp_denorm_src 0
		.amdhsa_exception_fp_ieee_div_zero 0
		.amdhsa_exception_fp_ieee_overflow 0
		.amdhsa_exception_fp_ieee_underflow 0
		.amdhsa_exception_fp_ieee_inexact 0
		.amdhsa_exception_int_div_zero 0
	.end_amdhsa_kernel
	.section	.text._ZN7rocprim17ROCPRIM_400000_NS6detail17trampoline_kernelINS0_14default_configENS1_27scan_by_key_config_selectorIxxEEZZNS1_16scan_by_key_implILNS1_25lookback_scan_determinismE0ELb0ES3_N6thrust23THRUST_200600_302600_NS6detail15normal_iteratorINS9_10device_ptrIxEEEENS9_18transform_iteratorINS9_6negateIxEESE_NS9_11use_defaultESI_EESE_xNS9_4plusIvEENS9_8equal_toIvEExEE10hipError_tPvRmT2_T3_T4_T5_mT6_T7_P12ihipStream_tbENKUlT_T0_E_clISt17integral_constantIbLb0EES14_EEDaSZ_S10_EUlSZ_E_NS1_11comp_targetILNS1_3genE3ELNS1_11target_archE908ELNS1_3gpuE7ELNS1_3repE0EEENS1_30default_config_static_selectorELNS0_4arch9wavefront6targetE1EEEvT1_,"axG",@progbits,_ZN7rocprim17ROCPRIM_400000_NS6detail17trampoline_kernelINS0_14default_configENS1_27scan_by_key_config_selectorIxxEEZZNS1_16scan_by_key_implILNS1_25lookback_scan_determinismE0ELb0ES3_N6thrust23THRUST_200600_302600_NS6detail15normal_iteratorINS9_10device_ptrIxEEEENS9_18transform_iteratorINS9_6negateIxEESE_NS9_11use_defaultESI_EESE_xNS9_4plusIvEENS9_8equal_toIvEExEE10hipError_tPvRmT2_T3_T4_T5_mT6_T7_P12ihipStream_tbENKUlT_T0_E_clISt17integral_constantIbLb0EES14_EEDaSZ_S10_EUlSZ_E_NS1_11comp_targetILNS1_3genE3ELNS1_11target_archE908ELNS1_3gpuE7ELNS1_3repE0EEENS1_30default_config_static_selectorELNS0_4arch9wavefront6targetE1EEEvT1_,comdat
.Lfunc_end897:
	.size	_ZN7rocprim17ROCPRIM_400000_NS6detail17trampoline_kernelINS0_14default_configENS1_27scan_by_key_config_selectorIxxEEZZNS1_16scan_by_key_implILNS1_25lookback_scan_determinismE0ELb0ES3_N6thrust23THRUST_200600_302600_NS6detail15normal_iteratorINS9_10device_ptrIxEEEENS9_18transform_iteratorINS9_6negateIxEESE_NS9_11use_defaultESI_EESE_xNS9_4plusIvEENS9_8equal_toIvEExEE10hipError_tPvRmT2_T3_T4_T5_mT6_T7_P12ihipStream_tbENKUlT_T0_E_clISt17integral_constantIbLb0EES14_EEDaSZ_S10_EUlSZ_E_NS1_11comp_targetILNS1_3genE3ELNS1_11target_archE908ELNS1_3gpuE7ELNS1_3repE0EEENS1_30default_config_static_selectorELNS0_4arch9wavefront6targetE1EEEvT1_, .Lfunc_end897-_ZN7rocprim17ROCPRIM_400000_NS6detail17trampoline_kernelINS0_14default_configENS1_27scan_by_key_config_selectorIxxEEZZNS1_16scan_by_key_implILNS1_25lookback_scan_determinismE0ELb0ES3_N6thrust23THRUST_200600_302600_NS6detail15normal_iteratorINS9_10device_ptrIxEEEENS9_18transform_iteratorINS9_6negateIxEESE_NS9_11use_defaultESI_EESE_xNS9_4plusIvEENS9_8equal_toIvEExEE10hipError_tPvRmT2_T3_T4_T5_mT6_T7_P12ihipStream_tbENKUlT_T0_E_clISt17integral_constantIbLb0EES14_EEDaSZ_S10_EUlSZ_E_NS1_11comp_targetILNS1_3genE3ELNS1_11target_archE908ELNS1_3gpuE7ELNS1_3repE0EEENS1_30default_config_static_selectorELNS0_4arch9wavefront6targetE1EEEvT1_
                                        ; -- End function
	.section	.AMDGPU.csdata,"",@progbits
; Kernel info:
; codeLenInByte = 0
; NumSgprs: 6
; NumVgprs: 0
; NumAgprs: 0
; TotalNumVgprs: 0
; ScratchSize: 0
; MemoryBound: 0
; FloatMode: 240
; IeeeMode: 1
; LDSByteSize: 0 bytes/workgroup (compile time only)
; SGPRBlocks: 0
; VGPRBlocks: 0
; NumSGPRsForWavesPerEU: 6
; NumVGPRsForWavesPerEU: 1
; AccumOffset: 4
; Occupancy: 8
; WaveLimiterHint : 0
; COMPUTE_PGM_RSRC2:SCRATCH_EN: 0
; COMPUTE_PGM_RSRC2:USER_SGPR: 2
; COMPUTE_PGM_RSRC2:TRAP_HANDLER: 0
; COMPUTE_PGM_RSRC2:TGID_X_EN: 1
; COMPUTE_PGM_RSRC2:TGID_Y_EN: 0
; COMPUTE_PGM_RSRC2:TGID_Z_EN: 0
; COMPUTE_PGM_RSRC2:TIDIG_COMP_CNT: 0
; COMPUTE_PGM_RSRC3_GFX90A:ACCUM_OFFSET: 0
; COMPUTE_PGM_RSRC3_GFX90A:TG_SPLIT: 0
	.section	.text._ZN7rocprim17ROCPRIM_400000_NS6detail17trampoline_kernelINS0_14default_configENS1_27scan_by_key_config_selectorIxxEEZZNS1_16scan_by_key_implILNS1_25lookback_scan_determinismE0ELb0ES3_N6thrust23THRUST_200600_302600_NS6detail15normal_iteratorINS9_10device_ptrIxEEEENS9_18transform_iteratorINS9_6negateIxEESE_NS9_11use_defaultESI_EESE_xNS9_4plusIvEENS9_8equal_toIvEExEE10hipError_tPvRmT2_T3_T4_T5_mT6_T7_P12ihipStream_tbENKUlT_T0_E_clISt17integral_constantIbLb0EES14_EEDaSZ_S10_EUlSZ_E_NS1_11comp_targetILNS1_3genE2ELNS1_11target_archE906ELNS1_3gpuE6ELNS1_3repE0EEENS1_30default_config_static_selectorELNS0_4arch9wavefront6targetE1EEEvT1_,"axG",@progbits,_ZN7rocprim17ROCPRIM_400000_NS6detail17trampoline_kernelINS0_14default_configENS1_27scan_by_key_config_selectorIxxEEZZNS1_16scan_by_key_implILNS1_25lookback_scan_determinismE0ELb0ES3_N6thrust23THRUST_200600_302600_NS6detail15normal_iteratorINS9_10device_ptrIxEEEENS9_18transform_iteratorINS9_6negateIxEESE_NS9_11use_defaultESI_EESE_xNS9_4plusIvEENS9_8equal_toIvEExEE10hipError_tPvRmT2_T3_T4_T5_mT6_T7_P12ihipStream_tbENKUlT_T0_E_clISt17integral_constantIbLb0EES14_EEDaSZ_S10_EUlSZ_E_NS1_11comp_targetILNS1_3genE2ELNS1_11target_archE906ELNS1_3gpuE6ELNS1_3repE0EEENS1_30default_config_static_selectorELNS0_4arch9wavefront6targetE1EEEvT1_,comdat
	.protected	_ZN7rocprim17ROCPRIM_400000_NS6detail17trampoline_kernelINS0_14default_configENS1_27scan_by_key_config_selectorIxxEEZZNS1_16scan_by_key_implILNS1_25lookback_scan_determinismE0ELb0ES3_N6thrust23THRUST_200600_302600_NS6detail15normal_iteratorINS9_10device_ptrIxEEEENS9_18transform_iteratorINS9_6negateIxEESE_NS9_11use_defaultESI_EESE_xNS9_4plusIvEENS9_8equal_toIvEExEE10hipError_tPvRmT2_T3_T4_T5_mT6_T7_P12ihipStream_tbENKUlT_T0_E_clISt17integral_constantIbLb0EES14_EEDaSZ_S10_EUlSZ_E_NS1_11comp_targetILNS1_3genE2ELNS1_11target_archE906ELNS1_3gpuE6ELNS1_3repE0EEENS1_30default_config_static_selectorELNS0_4arch9wavefront6targetE1EEEvT1_ ; -- Begin function _ZN7rocprim17ROCPRIM_400000_NS6detail17trampoline_kernelINS0_14default_configENS1_27scan_by_key_config_selectorIxxEEZZNS1_16scan_by_key_implILNS1_25lookback_scan_determinismE0ELb0ES3_N6thrust23THRUST_200600_302600_NS6detail15normal_iteratorINS9_10device_ptrIxEEEENS9_18transform_iteratorINS9_6negateIxEESE_NS9_11use_defaultESI_EESE_xNS9_4plusIvEENS9_8equal_toIvEExEE10hipError_tPvRmT2_T3_T4_T5_mT6_T7_P12ihipStream_tbENKUlT_T0_E_clISt17integral_constantIbLb0EES14_EEDaSZ_S10_EUlSZ_E_NS1_11comp_targetILNS1_3genE2ELNS1_11target_archE906ELNS1_3gpuE6ELNS1_3repE0EEENS1_30default_config_static_selectorELNS0_4arch9wavefront6targetE1EEEvT1_
	.globl	_ZN7rocprim17ROCPRIM_400000_NS6detail17trampoline_kernelINS0_14default_configENS1_27scan_by_key_config_selectorIxxEEZZNS1_16scan_by_key_implILNS1_25lookback_scan_determinismE0ELb0ES3_N6thrust23THRUST_200600_302600_NS6detail15normal_iteratorINS9_10device_ptrIxEEEENS9_18transform_iteratorINS9_6negateIxEESE_NS9_11use_defaultESI_EESE_xNS9_4plusIvEENS9_8equal_toIvEExEE10hipError_tPvRmT2_T3_T4_T5_mT6_T7_P12ihipStream_tbENKUlT_T0_E_clISt17integral_constantIbLb0EES14_EEDaSZ_S10_EUlSZ_E_NS1_11comp_targetILNS1_3genE2ELNS1_11target_archE906ELNS1_3gpuE6ELNS1_3repE0EEENS1_30default_config_static_selectorELNS0_4arch9wavefront6targetE1EEEvT1_
	.p2align	8
	.type	_ZN7rocprim17ROCPRIM_400000_NS6detail17trampoline_kernelINS0_14default_configENS1_27scan_by_key_config_selectorIxxEEZZNS1_16scan_by_key_implILNS1_25lookback_scan_determinismE0ELb0ES3_N6thrust23THRUST_200600_302600_NS6detail15normal_iteratorINS9_10device_ptrIxEEEENS9_18transform_iteratorINS9_6negateIxEESE_NS9_11use_defaultESI_EESE_xNS9_4plusIvEENS9_8equal_toIvEExEE10hipError_tPvRmT2_T3_T4_T5_mT6_T7_P12ihipStream_tbENKUlT_T0_E_clISt17integral_constantIbLb0EES14_EEDaSZ_S10_EUlSZ_E_NS1_11comp_targetILNS1_3genE2ELNS1_11target_archE906ELNS1_3gpuE6ELNS1_3repE0EEENS1_30default_config_static_selectorELNS0_4arch9wavefront6targetE1EEEvT1_,@function
_ZN7rocprim17ROCPRIM_400000_NS6detail17trampoline_kernelINS0_14default_configENS1_27scan_by_key_config_selectorIxxEEZZNS1_16scan_by_key_implILNS1_25lookback_scan_determinismE0ELb0ES3_N6thrust23THRUST_200600_302600_NS6detail15normal_iteratorINS9_10device_ptrIxEEEENS9_18transform_iteratorINS9_6negateIxEESE_NS9_11use_defaultESI_EESE_xNS9_4plusIvEENS9_8equal_toIvEExEE10hipError_tPvRmT2_T3_T4_T5_mT6_T7_P12ihipStream_tbENKUlT_T0_E_clISt17integral_constantIbLb0EES14_EEDaSZ_S10_EUlSZ_E_NS1_11comp_targetILNS1_3genE2ELNS1_11target_archE906ELNS1_3gpuE6ELNS1_3repE0EEENS1_30default_config_static_selectorELNS0_4arch9wavefront6targetE1EEEvT1_: ; @_ZN7rocprim17ROCPRIM_400000_NS6detail17trampoline_kernelINS0_14default_configENS1_27scan_by_key_config_selectorIxxEEZZNS1_16scan_by_key_implILNS1_25lookback_scan_determinismE0ELb0ES3_N6thrust23THRUST_200600_302600_NS6detail15normal_iteratorINS9_10device_ptrIxEEEENS9_18transform_iteratorINS9_6negateIxEESE_NS9_11use_defaultESI_EESE_xNS9_4plusIvEENS9_8equal_toIvEExEE10hipError_tPvRmT2_T3_T4_T5_mT6_T7_P12ihipStream_tbENKUlT_T0_E_clISt17integral_constantIbLb0EES14_EEDaSZ_S10_EUlSZ_E_NS1_11comp_targetILNS1_3genE2ELNS1_11target_archE906ELNS1_3gpuE6ELNS1_3repE0EEENS1_30default_config_static_selectorELNS0_4arch9wavefront6targetE1EEEvT1_
; %bb.0:
	.section	.rodata,"a",@progbits
	.p2align	6, 0x0
	.amdhsa_kernel _ZN7rocprim17ROCPRIM_400000_NS6detail17trampoline_kernelINS0_14default_configENS1_27scan_by_key_config_selectorIxxEEZZNS1_16scan_by_key_implILNS1_25lookback_scan_determinismE0ELb0ES3_N6thrust23THRUST_200600_302600_NS6detail15normal_iteratorINS9_10device_ptrIxEEEENS9_18transform_iteratorINS9_6negateIxEESE_NS9_11use_defaultESI_EESE_xNS9_4plusIvEENS9_8equal_toIvEExEE10hipError_tPvRmT2_T3_T4_T5_mT6_T7_P12ihipStream_tbENKUlT_T0_E_clISt17integral_constantIbLb0EES14_EEDaSZ_S10_EUlSZ_E_NS1_11comp_targetILNS1_3genE2ELNS1_11target_archE906ELNS1_3gpuE6ELNS1_3repE0EEENS1_30default_config_static_selectorELNS0_4arch9wavefront6targetE1EEEvT1_
		.amdhsa_group_segment_fixed_size 0
		.amdhsa_private_segment_fixed_size 0
		.amdhsa_kernarg_size 144
		.amdhsa_user_sgpr_count 2
		.amdhsa_user_sgpr_dispatch_ptr 0
		.amdhsa_user_sgpr_queue_ptr 0
		.amdhsa_user_sgpr_kernarg_segment_ptr 1
		.amdhsa_user_sgpr_dispatch_id 0
		.amdhsa_user_sgpr_kernarg_preload_length 0
		.amdhsa_user_sgpr_kernarg_preload_offset 0
		.amdhsa_user_sgpr_private_segment_size 0
		.amdhsa_uses_dynamic_stack 0
		.amdhsa_enable_private_segment 0
		.amdhsa_system_sgpr_workgroup_id_x 1
		.amdhsa_system_sgpr_workgroup_id_y 0
		.amdhsa_system_sgpr_workgroup_id_z 0
		.amdhsa_system_sgpr_workgroup_info 0
		.amdhsa_system_vgpr_workitem_id 0
		.amdhsa_next_free_vgpr 1
		.amdhsa_next_free_sgpr 0
		.amdhsa_accum_offset 4
		.amdhsa_reserve_vcc 0
		.amdhsa_float_round_mode_32 0
		.amdhsa_float_round_mode_16_64 0
		.amdhsa_float_denorm_mode_32 3
		.amdhsa_float_denorm_mode_16_64 3
		.amdhsa_dx10_clamp 1
		.amdhsa_ieee_mode 1
		.amdhsa_fp16_overflow 0
		.amdhsa_tg_split 0
		.amdhsa_exception_fp_ieee_invalid_op 0
		.amdhsa_exception_fp_denorm_src 0
		.amdhsa_exception_fp_ieee_div_zero 0
		.amdhsa_exception_fp_ieee_overflow 0
		.amdhsa_exception_fp_ieee_underflow 0
		.amdhsa_exception_fp_ieee_inexact 0
		.amdhsa_exception_int_div_zero 0
	.end_amdhsa_kernel
	.section	.text._ZN7rocprim17ROCPRIM_400000_NS6detail17trampoline_kernelINS0_14default_configENS1_27scan_by_key_config_selectorIxxEEZZNS1_16scan_by_key_implILNS1_25lookback_scan_determinismE0ELb0ES3_N6thrust23THRUST_200600_302600_NS6detail15normal_iteratorINS9_10device_ptrIxEEEENS9_18transform_iteratorINS9_6negateIxEESE_NS9_11use_defaultESI_EESE_xNS9_4plusIvEENS9_8equal_toIvEExEE10hipError_tPvRmT2_T3_T4_T5_mT6_T7_P12ihipStream_tbENKUlT_T0_E_clISt17integral_constantIbLb0EES14_EEDaSZ_S10_EUlSZ_E_NS1_11comp_targetILNS1_3genE2ELNS1_11target_archE906ELNS1_3gpuE6ELNS1_3repE0EEENS1_30default_config_static_selectorELNS0_4arch9wavefront6targetE1EEEvT1_,"axG",@progbits,_ZN7rocprim17ROCPRIM_400000_NS6detail17trampoline_kernelINS0_14default_configENS1_27scan_by_key_config_selectorIxxEEZZNS1_16scan_by_key_implILNS1_25lookback_scan_determinismE0ELb0ES3_N6thrust23THRUST_200600_302600_NS6detail15normal_iteratorINS9_10device_ptrIxEEEENS9_18transform_iteratorINS9_6negateIxEESE_NS9_11use_defaultESI_EESE_xNS9_4plusIvEENS9_8equal_toIvEExEE10hipError_tPvRmT2_T3_T4_T5_mT6_T7_P12ihipStream_tbENKUlT_T0_E_clISt17integral_constantIbLb0EES14_EEDaSZ_S10_EUlSZ_E_NS1_11comp_targetILNS1_3genE2ELNS1_11target_archE906ELNS1_3gpuE6ELNS1_3repE0EEENS1_30default_config_static_selectorELNS0_4arch9wavefront6targetE1EEEvT1_,comdat
.Lfunc_end898:
	.size	_ZN7rocprim17ROCPRIM_400000_NS6detail17trampoline_kernelINS0_14default_configENS1_27scan_by_key_config_selectorIxxEEZZNS1_16scan_by_key_implILNS1_25lookback_scan_determinismE0ELb0ES3_N6thrust23THRUST_200600_302600_NS6detail15normal_iteratorINS9_10device_ptrIxEEEENS9_18transform_iteratorINS9_6negateIxEESE_NS9_11use_defaultESI_EESE_xNS9_4plusIvEENS9_8equal_toIvEExEE10hipError_tPvRmT2_T3_T4_T5_mT6_T7_P12ihipStream_tbENKUlT_T0_E_clISt17integral_constantIbLb0EES14_EEDaSZ_S10_EUlSZ_E_NS1_11comp_targetILNS1_3genE2ELNS1_11target_archE906ELNS1_3gpuE6ELNS1_3repE0EEENS1_30default_config_static_selectorELNS0_4arch9wavefront6targetE1EEEvT1_, .Lfunc_end898-_ZN7rocprim17ROCPRIM_400000_NS6detail17trampoline_kernelINS0_14default_configENS1_27scan_by_key_config_selectorIxxEEZZNS1_16scan_by_key_implILNS1_25lookback_scan_determinismE0ELb0ES3_N6thrust23THRUST_200600_302600_NS6detail15normal_iteratorINS9_10device_ptrIxEEEENS9_18transform_iteratorINS9_6negateIxEESE_NS9_11use_defaultESI_EESE_xNS9_4plusIvEENS9_8equal_toIvEExEE10hipError_tPvRmT2_T3_T4_T5_mT6_T7_P12ihipStream_tbENKUlT_T0_E_clISt17integral_constantIbLb0EES14_EEDaSZ_S10_EUlSZ_E_NS1_11comp_targetILNS1_3genE2ELNS1_11target_archE906ELNS1_3gpuE6ELNS1_3repE0EEENS1_30default_config_static_selectorELNS0_4arch9wavefront6targetE1EEEvT1_
                                        ; -- End function
	.section	.AMDGPU.csdata,"",@progbits
; Kernel info:
; codeLenInByte = 0
; NumSgprs: 6
; NumVgprs: 0
; NumAgprs: 0
; TotalNumVgprs: 0
; ScratchSize: 0
; MemoryBound: 0
; FloatMode: 240
; IeeeMode: 1
; LDSByteSize: 0 bytes/workgroup (compile time only)
; SGPRBlocks: 0
; VGPRBlocks: 0
; NumSGPRsForWavesPerEU: 6
; NumVGPRsForWavesPerEU: 1
; AccumOffset: 4
; Occupancy: 8
; WaveLimiterHint : 0
; COMPUTE_PGM_RSRC2:SCRATCH_EN: 0
; COMPUTE_PGM_RSRC2:USER_SGPR: 2
; COMPUTE_PGM_RSRC2:TRAP_HANDLER: 0
; COMPUTE_PGM_RSRC2:TGID_X_EN: 1
; COMPUTE_PGM_RSRC2:TGID_Y_EN: 0
; COMPUTE_PGM_RSRC2:TGID_Z_EN: 0
; COMPUTE_PGM_RSRC2:TIDIG_COMP_CNT: 0
; COMPUTE_PGM_RSRC3_GFX90A:ACCUM_OFFSET: 0
; COMPUTE_PGM_RSRC3_GFX90A:TG_SPLIT: 0
	.section	.text._ZN7rocprim17ROCPRIM_400000_NS6detail17trampoline_kernelINS0_14default_configENS1_27scan_by_key_config_selectorIxxEEZZNS1_16scan_by_key_implILNS1_25lookback_scan_determinismE0ELb0ES3_N6thrust23THRUST_200600_302600_NS6detail15normal_iteratorINS9_10device_ptrIxEEEENS9_18transform_iteratorINS9_6negateIxEESE_NS9_11use_defaultESI_EESE_xNS9_4plusIvEENS9_8equal_toIvEExEE10hipError_tPvRmT2_T3_T4_T5_mT6_T7_P12ihipStream_tbENKUlT_T0_E_clISt17integral_constantIbLb0EES14_EEDaSZ_S10_EUlSZ_E_NS1_11comp_targetILNS1_3genE10ELNS1_11target_archE1200ELNS1_3gpuE4ELNS1_3repE0EEENS1_30default_config_static_selectorELNS0_4arch9wavefront6targetE1EEEvT1_,"axG",@progbits,_ZN7rocprim17ROCPRIM_400000_NS6detail17trampoline_kernelINS0_14default_configENS1_27scan_by_key_config_selectorIxxEEZZNS1_16scan_by_key_implILNS1_25lookback_scan_determinismE0ELb0ES3_N6thrust23THRUST_200600_302600_NS6detail15normal_iteratorINS9_10device_ptrIxEEEENS9_18transform_iteratorINS9_6negateIxEESE_NS9_11use_defaultESI_EESE_xNS9_4plusIvEENS9_8equal_toIvEExEE10hipError_tPvRmT2_T3_T4_T5_mT6_T7_P12ihipStream_tbENKUlT_T0_E_clISt17integral_constantIbLb0EES14_EEDaSZ_S10_EUlSZ_E_NS1_11comp_targetILNS1_3genE10ELNS1_11target_archE1200ELNS1_3gpuE4ELNS1_3repE0EEENS1_30default_config_static_selectorELNS0_4arch9wavefront6targetE1EEEvT1_,comdat
	.protected	_ZN7rocprim17ROCPRIM_400000_NS6detail17trampoline_kernelINS0_14default_configENS1_27scan_by_key_config_selectorIxxEEZZNS1_16scan_by_key_implILNS1_25lookback_scan_determinismE0ELb0ES3_N6thrust23THRUST_200600_302600_NS6detail15normal_iteratorINS9_10device_ptrIxEEEENS9_18transform_iteratorINS9_6negateIxEESE_NS9_11use_defaultESI_EESE_xNS9_4plusIvEENS9_8equal_toIvEExEE10hipError_tPvRmT2_T3_T4_T5_mT6_T7_P12ihipStream_tbENKUlT_T0_E_clISt17integral_constantIbLb0EES14_EEDaSZ_S10_EUlSZ_E_NS1_11comp_targetILNS1_3genE10ELNS1_11target_archE1200ELNS1_3gpuE4ELNS1_3repE0EEENS1_30default_config_static_selectorELNS0_4arch9wavefront6targetE1EEEvT1_ ; -- Begin function _ZN7rocprim17ROCPRIM_400000_NS6detail17trampoline_kernelINS0_14default_configENS1_27scan_by_key_config_selectorIxxEEZZNS1_16scan_by_key_implILNS1_25lookback_scan_determinismE0ELb0ES3_N6thrust23THRUST_200600_302600_NS6detail15normal_iteratorINS9_10device_ptrIxEEEENS9_18transform_iteratorINS9_6negateIxEESE_NS9_11use_defaultESI_EESE_xNS9_4plusIvEENS9_8equal_toIvEExEE10hipError_tPvRmT2_T3_T4_T5_mT6_T7_P12ihipStream_tbENKUlT_T0_E_clISt17integral_constantIbLb0EES14_EEDaSZ_S10_EUlSZ_E_NS1_11comp_targetILNS1_3genE10ELNS1_11target_archE1200ELNS1_3gpuE4ELNS1_3repE0EEENS1_30default_config_static_selectorELNS0_4arch9wavefront6targetE1EEEvT1_
	.globl	_ZN7rocprim17ROCPRIM_400000_NS6detail17trampoline_kernelINS0_14default_configENS1_27scan_by_key_config_selectorIxxEEZZNS1_16scan_by_key_implILNS1_25lookback_scan_determinismE0ELb0ES3_N6thrust23THRUST_200600_302600_NS6detail15normal_iteratorINS9_10device_ptrIxEEEENS9_18transform_iteratorINS9_6negateIxEESE_NS9_11use_defaultESI_EESE_xNS9_4plusIvEENS9_8equal_toIvEExEE10hipError_tPvRmT2_T3_T4_T5_mT6_T7_P12ihipStream_tbENKUlT_T0_E_clISt17integral_constantIbLb0EES14_EEDaSZ_S10_EUlSZ_E_NS1_11comp_targetILNS1_3genE10ELNS1_11target_archE1200ELNS1_3gpuE4ELNS1_3repE0EEENS1_30default_config_static_selectorELNS0_4arch9wavefront6targetE1EEEvT1_
	.p2align	8
	.type	_ZN7rocprim17ROCPRIM_400000_NS6detail17trampoline_kernelINS0_14default_configENS1_27scan_by_key_config_selectorIxxEEZZNS1_16scan_by_key_implILNS1_25lookback_scan_determinismE0ELb0ES3_N6thrust23THRUST_200600_302600_NS6detail15normal_iteratorINS9_10device_ptrIxEEEENS9_18transform_iteratorINS9_6negateIxEESE_NS9_11use_defaultESI_EESE_xNS9_4plusIvEENS9_8equal_toIvEExEE10hipError_tPvRmT2_T3_T4_T5_mT6_T7_P12ihipStream_tbENKUlT_T0_E_clISt17integral_constantIbLb0EES14_EEDaSZ_S10_EUlSZ_E_NS1_11comp_targetILNS1_3genE10ELNS1_11target_archE1200ELNS1_3gpuE4ELNS1_3repE0EEENS1_30default_config_static_selectorELNS0_4arch9wavefront6targetE1EEEvT1_,@function
_ZN7rocprim17ROCPRIM_400000_NS6detail17trampoline_kernelINS0_14default_configENS1_27scan_by_key_config_selectorIxxEEZZNS1_16scan_by_key_implILNS1_25lookback_scan_determinismE0ELb0ES3_N6thrust23THRUST_200600_302600_NS6detail15normal_iteratorINS9_10device_ptrIxEEEENS9_18transform_iteratorINS9_6negateIxEESE_NS9_11use_defaultESI_EESE_xNS9_4plusIvEENS9_8equal_toIvEExEE10hipError_tPvRmT2_T3_T4_T5_mT6_T7_P12ihipStream_tbENKUlT_T0_E_clISt17integral_constantIbLb0EES14_EEDaSZ_S10_EUlSZ_E_NS1_11comp_targetILNS1_3genE10ELNS1_11target_archE1200ELNS1_3gpuE4ELNS1_3repE0EEENS1_30default_config_static_selectorELNS0_4arch9wavefront6targetE1EEEvT1_: ; @_ZN7rocprim17ROCPRIM_400000_NS6detail17trampoline_kernelINS0_14default_configENS1_27scan_by_key_config_selectorIxxEEZZNS1_16scan_by_key_implILNS1_25lookback_scan_determinismE0ELb0ES3_N6thrust23THRUST_200600_302600_NS6detail15normal_iteratorINS9_10device_ptrIxEEEENS9_18transform_iteratorINS9_6negateIxEESE_NS9_11use_defaultESI_EESE_xNS9_4plusIvEENS9_8equal_toIvEExEE10hipError_tPvRmT2_T3_T4_T5_mT6_T7_P12ihipStream_tbENKUlT_T0_E_clISt17integral_constantIbLb0EES14_EEDaSZ_S10_EUlSZ_E_NS1_11comp_targetILNS1_3genE10ELNS1_11target_archE1200ELNS1_3gpuE4ELNS1_3repE0EEENS1_30default_config_static_selectorELNS0_4arch9wavefront6targetE1EEEvT1_
; %bb.0:
	.section	.rodata,"a",@progbits
	.p2align	6, 0x0
	.amdhsa_kernel _ZN7rocprim17ROCPRIM_400000_NS6detail17trampoline_kernelINS0_14default_configENS1_27scan_by_key_config_selectorIxxEEZZNS1_16scan_by_key_implILNS1_25lookback_scan_determinismE0ELb0ES3_N6thrust23THRUST_200600_302600_NS6detail15normal_iteratorINS9_10device_ptrIxEEEENS9_18transform_iteratorINS9_6negateIxEESE_NS9_11use_defaultESI_EESE_xNS9_4plusIvEENS9_8equal_toIvEExEE10hipError_tPvRmT2_T3_T4_T5_mT6_T7_P12ihipStream_tbENKUlT_T0_E_clISt17integral_constantIbLb0EES14_EEDaSZ_S10_EUlSZ_E_NS1_11comp_targetILNS1_3genE10ELNS1_11target_archE1200ELNS1_3gpuE4ELNS1_3repE0EEENS1_30default_config_static_selectorELNS0_4arch9wavefront6targetE1EEEvT1_
		.amdhsa_group_segment_fixed_size 0
		.amdhsa_private_segment_fixed_size 0
		.amdhsa_kernarg_size 144
		.amdhsa_user_sgpr_count 2
		.amdhsa_user_sgpr_dispatch_ptr 0
		.amdhsa_user_sgpr_queue_ptr 0
		.amdhsa_user_sgpr_kernarg_segment_ptr 1
		.amdhsa_user_sgpr_dispatch_id 0
		.amdhsa_user_sgpr_kernarg_preload_length 0
		.amdhsa_user_sgpr_kernarg_preload_offset 0
		.amdhsa_user_sgpr_private_segment_size 0
		.amdhsa_uses_dynamic_stack 0
		.amdhsa_enable_private_segment 0
		.amdhsa_system_sgpr_workgroup_id_x 1
		.amdhsa_system_sgpr_workgroup_id_y 0
		.amdhsa_system_sgpr_workgroup_id_z 0
		.amdhsa_system_sgpr_workgroup_info 0
		.amdhsa_system_vgpr_workitem_id 0
		.amdhsa_next_free_vgpr 1
		.amdhsa_next_free_sgpr 0
		.amdhsa_accum_offset 4
		.amdhsa_reserve_vcc 0
		.amdhsa_float_round_mode_32 0
		.amdhsa_float_round_mode_16_64 0
		.amdhsa_float_denorm_mode_32 3
		.amdhsa_float_denorm_mode_16_64 3
		.amdhsa_dx10_clamp 1
		.amdhsa_ieee_mode 1
		.amdhsa_fp16_overflow 0
		.amdhsa_tg_split 0
		.amdhsa_exception_fp_ieee_invalid_op 0
		.amdhsa_exception_fp_denorm_src 0
		.amdhsa_exception_fp_ieee_div_zero 0
		.amdhsa_exception_fp_ieee_overflow 0
		.amdhsa_exception_fp_ieee_underflow 0
		.amdhsa_exception_fp_ieee_inexact 0
		.amdhsa_exception_int_div_zero 0
	.end_amdhsa_kernel
	.section	.text._ZN7rocprim17ROCPRIM_400000_NS6detail17trampoline_kernelINS0_14default_configENS1_27scan_by_key_config_selectorIxxEEZZNS1_16scan_by_key_implILNS1_25lookback_scan_determinismE0ELb0ES3_N6thrust23THRUST_200600_302600_NS6detail15normal_iteratorINS9_10device_ptrIxEEEENS9_18transform_iteratorINS9_6negateIxEESE_NS9_11use_defaultESI_EESE_xNS9_4plusIvEENS9_8equal_toIvEExEE10hipError_tPvRmT2_T3_T4_T5_mT6_T7_P12ihipStream_tbENKUlT_T0_E_clISt17integral_constantIbLb0EES14_EEDaSZ_S10_EUlSZ_E_NS1_11comp_targetILNS1_3genE10ELNS1_11target_archE1200ELNS1_3gpuE4ELNS1_3repE0EEENS1_30default_config_static_selectorELNS0_4arch9wavefront6targetE1EEEvT1_,"axG",@progbits,_ZN7rocprim17ROCPRIM_400000_NS6detail17trampoline_kernelINS0_14default_configENS1_27scan_by_key_config_selectorIxxEEZZNS1_16scan_by_key_implILNS1_25lookback_scan_determinismE0ELb0ES3_N6thrust23THRUST_200600_302600_NS6detail15normal_iteratorINS9_10device_ptrIxEEEENS9_18transform_iteratorINS9_6negateIxEESE_NS9_11use_defaultESI_EESE_xNS9_4plusIvEENS9_8equal_toIvEExEE10hipError_tPvRmT2_T3_T4_T5_mT6_T7_P12ihipStream_tbENKUlT_T0_E_clISt17integral_constantIbLb0EES14_EEDaSZ_S10_EUlSZ_E_NS1_11comp_targetILNS1_3genE10ELNS1_11target_archE1200ELNS1_3gpuE4ELNS1_3repE0EEENS1_30default_config_static_selectorELNS0_4arch9wavefront6targetE1EEEvT1_,comdat
.Lfunc_end899:
	.size	_ZN7rocprim17ROCPRIM_400000_NS6detail17trampoline_kernelINS0_14default_configENS1_27scan_by_key_config_selectorIxxEEZZNS1_16scan_by_key_implILNS1_25lookback_scan_determinismE0ELb0ES3_N6thrust23THRUST_200600_302600_NS6detail15normal_iteratorINS9_10device_ptrIxEEEENS9_18transform_iteratorINS9_6negateIxEESE_NS9_11use_defaultESI_EESE_xNS9_4plusIvEENS9_8equal_toIvEExEE10hipError_tPvRmT2_T3_T4_T5_mT6_T7_P12ihipStream_tbENKUlT_T0_E_clISt17integral_constantIbLb0EES14_EEDaSZ_S10_EUlSZ_E_NS1_11comp_targetILNS1_3genE10ELNS1_11target_archE1200ELNS1_3gpuE4ELNS1_3repE0EEENS1_30default_config_static_selectorELNS0_4arch9wavefront6targetE1EEEvT1_, .Lfunc_end899-_ZN7rocprim17ROCPRIM_400000_NS6detail17trampoline_kernelINS0_14default_configENS1_27scan_by_key_config_selectorIxxEEZZNS1_16scan_by_key_implILNS1_25lookback_scan_determinismE0ELb0ES3_N6thrust23THRUST_200600_302600_NS6detail15normal_iteratorINS9_10device_ptrIxEEEENS9_18transform_iteratorINS9_6negateIxEESE_NS9_11use_defaultESI_EESE_xNS9_4plusIvEENS9_8equal_toIvEExEE10hipError_tPvRmT2_T3_T4_T5_mT6_T7_P12ihipStream_tbENKUlT_T0_E_clISt17integral_constantIbLb0EES14_EEDaSZ_S10_EUlSZ_E_NS1_11comp_targetILNS1_3genE10ELNS1_11target_archE1200ELNS1_3gpuE4ELNS1_3repE0EEENS1_30default_config_static_selectorELNS0_4arch9wavefront6targetE1EEEvT1_
                                        ; -- End function
	.section	.AMDGPU.csdata,"",@progbits
; Kernel info:
; codeLenInByte = 0
; NumSgprs: 6
; NumVgprs: 0
; NumAgprs: 0
; TotalNumVgprs: 0
; ScratchSize: 0
; MemoryBound: 0
; FloatMode: 240
; IeeeMode: 1
; LDSByteSize: 0 bytes/workgroup (compile time only)
; SGPRBlocks: 0
; VGPRBlocks: 0
; NumSGPRsForWavesPerEU: 6
; NumVGPRsForWavesPerEU: 1
; AccumOffset: 4
; Occupancy: 8
; WaveLimiterHint : 0
; COMPUTE_PGM_RSRC2:SCRATCH_EN: 0
; COMPUTE_PGM_RSRC2:USER_SGPR: 2
; COMPUTE_PGM_RSRC2:TRAP_HANDLER: 0
; COMPUTE_PGM_RSRC2:TGID_X_EN: 1
; COMPUTE_PGM_RSRC2:TGID_Y_EN: 0
; COMPUTE_PGM_RSRC2:TGID_Z_EN: 0
; COMPUTE_PGM_RSRC2:TIDIG_COMP_CNT: 0
; COMPUTE_PGM_RSRC3_GFX90A:ACCUM_OFFSET: 0
; COMPUTE_PGM_RSRC3_GFX90A:TG_SPLIT: 0
	.section	.text._ZN7rocprim17ROCPRIM_400000_NS6detail17trampoline_kernelINS0_14default_configENS1_27scan_by_key_config_selectorIxxEEZZNS1_16scan_by_key_implILNS1_25lookback_scan_determinismE0ELb0ES3_N6thrust23THRUST_200600_302600_NS6detail15normal_iteratorINS9_10device_ptrIxEEEENS9_18transform_iteratorINS9_6negateIxEESE_NS9_11use_defaultESI_EESE_xNS9_4plusIvEENS9_8equal_toIvEExEE10hipError_tPvRmT2_T3_T4_T5_mT6_T7_P12ihipStream_tbENKUlT_T0_E_clISt17integral_constantIbLb0EES14_EEDaSZ_S10_EUlSZ_E_NS1_11comp_targetILNS1_3genE9ELNS1_11target_archE1100ELNS1_3gpuE3ELNS1_3repE0EEENS1_30default_config_static_selectorELNS0_4arch9wavefront6targetE1EEEvT1_,"axG",@progbits,_ZN7rocprim17ROCPRIM_400000_NS6detail17trampoline_kernelINS0_14default_configENS1_27scan_by_key_config_selectorIxxEEZZNS1_16scan_by_key_implILNS1_25lookback_scan_determinismE0ELb0ES3_N6thrust23THRUST_200600_302600_NS6detail15normal_iteratorINS9_10device_ptrIxEEEENS9_18transform_iteratorINS9_6negateIxEESE_NS9_11use_defaultESI_EESE_xNS9_4plusIvEENS9_8equal_toIvEExEE10hipError_tPvRmT2_T3_T4_T5_mT6_T7_P12ihipStream_tbENKUlT_T0_E_clISt17integral_constantIbLb0EES14_EEDaSZ_S10_EUlSZ_E_NS1_11comp_targetILNS1_3genE9ELNS1_11target_archE1100ELNS1_3gpuE3ELNS1_3repE0EEENS1_30default_config_static_selectorELNS0_4arch9wavefront6targetE1EEEvT1_,comdat
	.protected	_ZN7rocprim17ROCPRIM_400000_NS6detail17trampoline_kernelINS0_14default_configENS1_27scan_by_key_config_selectorIxxEEZZNS1_16scan_by_key_implILNS1_25lookback_scan_determinismE0ELb0ES3_N6thrust23THRUST_200600_302600_NS6detail15normal_iteratorINS9_10device_ptrIxEEEENS9_18transform_iteratorINS9_6negateIxEESE_NS9_11use_defaultESI_EESE_xNS9_4plusIvEENS9_8equal_toIvEExEE10hipError_tPvRmT2_T3_T4_T5_mT6_T7_P12ihipStream_tbENKUlT_T0_E_clISt17integral_constantIbLb0EES14_EEDaSZ_S10_EUlSZ_E_NS1_11comp_targetILNS1_3genE9ELNS1_11target_archE1100ELNS1_3gpuE3ELNS1_3repE0EEENS1_30default_config_static_selectorELNS0_4arch9wavefront6targetE1EEEvT1_ ; -- Begin function _ZN7rocprim17ROCPRIM_400000_NS6detail17trampoline_kernelINS0_14default_configENS1_27scan_by_key_config_selectorIxxEEZZNS1_16scan_by_key_implILNS1_25lookback_scan_determinismE0ELb0ES3_N6thrust23THRUST_200600_302600_NS6detail15normal_iteratorINS9_10device_ptrIxEEEENS9_18transform_iteratorINS9_6negateIxEESE_NS9_11use_defaultESI_EESE_xNS9_4plusIvEENS9_8equal_toIvEExEE10hipError_tPvRmT2_T3_T4_T5_mT6_T7_P12ihipStream_tbENKUlT_T0_E_clISt17integral_constantIbLb0EES14_EEDaSZ_S10_EUlSZ_E_NS1_11comp_targetILNS1_3genE9ELNS1_11target_archE1100ELNS1_3gpuE3ELNS1_3repE0EEENS1_30default_config_static_selectorELNS0_4arch9wavefront6targetE1EEEvT1_
	.globl	_ZN7rocprim17ROCPRIM_400000_NS6detail17trampoline_kernelINS0_14default_configENS1_27scan_by_key_config_selectorIxxEEZZNS1_16scan_by_key_implILNS1_25lookback_scan_determinismE0ELb0ES3_N6thrust23THRUST_200600_302600_NS6detail15normal_iteratorINS9_10device_ptrIxEEEENS9_18transform_iteratorINS9_6negateIxEESE_NS9_11use_defaultESI_EESE_xNS9_4plusIvEENS9_8equal_toIvEExEE10hipError_tPvRmT2_T3_T4_T5_mT6_T7_P12ihipStream_tbENKUlT_T0_E_clISt17integral_constantIbLb0EES14_EEDaSZ_S10_EUlSZ_E_NS1_11comp_targetILNS1_3genE9ELNS1_11target_archE1100ELNS1_3gpuE3ELNS1_3repE0EEENS1_30default_config_static_selectorELNS0_4arch9wavefront6targetE1EEEvT1_
	.p2align	8
	.type	_ZN7rocprim17ROCPRIM_400000_NS6detail17trampoline_kernelINS0_14default_configENS1_27scan_by_key_config_selectorIxxEEZZNS1_16scan_by_key_implILNS1_25lookback_scan_determinismE0ELb0ES3_N6thrust23THRUST_200600_302600_NS6detail15normal_iteratorINS9_10device_ptrIxEEEENS9_18transform_iteratorINS9_6negateIxEESE_NS9_11use_defaultESI_EESE_xNS9_4plusIvEENS9_8equal_toIvEExEE10hipError_tPvRmT2_T3_T4_T5_mT6_T7_P12ihipStream_tbENKUlT_T0_E_clISt17integral_constantIbLb0EES14_EEDaSZ_S10_EUlSZ_E_NS1_11comp_targetILNS1_3genE9ELNS1_11target_archE1100ELNS1_3gpuE3ELNS1_3repE0EEENS1_30default_config_static_selectorELNS0_4arch9wavefront6targetE1EEEvT1_,@function
_ZN7rocprim17ROCPRIM_400000_NS6detail17trampoline_kernelINS0_14default_configENS1_27scan_by_key_config_selectorIxxEEZZNS1_16scan_by_key_implILNS1_25lookback_scan_determinismE0ELb0ES3_N6thrust23THRUST_200600_302600_NS6detail15normal_iteratorINS9_10device_ptrIxEEEENS9_18transform_iteratorINS9_6negateIxEESE_NS9_11use_defaultESI_EESE_xNS9_4plusIvEENS9_8equal_toIvEExEE10hipError_tPvRmT2_T3_T4_T5_mT6_T7_P12ihipStream_tbENKUlT_T0_E_clISt17integral_constantIbLb0EES14_EEDaSZ_S10_EUlSZ_E_NS1_11comp_targetILNS1_3genE9ELNS1_11target_archE1100ELNS1_3gpuE3ELNS1_3repE0EEENS1_30default_config_static_selectorELNS0_4arch9wavefront6targetE1EEEvT1_: ; @_ZN7rocprim17ROCPRIM_400000_NS6detail17trampoline_kernelINS0_14default_configENS1_27scan_by_key_config_selectorIxxEEZZNS1_16scan_by_key_implILNS1_25lookback_scan_determinismE0ELb0ES3_N6thrust23THRUST_200600_302600_NS6detail15normal_iteratorINS9_10device_ptrIxEEEENS9_18transform_iteratorINS9_6negateIxEESE_NS9_11use_defaultESI_EESE_xNS9_4plusIvEENS9_8equal_toIvEExEE10hipError_tPvRmT2_T3_T4_T5_mT6_T7_P12ihipStream_tbENKUlT_T0_E_clISt17integral_constantIbLb0EES14_EEDaSZ_S10_EUlSZ_E_NS1_11comp_targetILNS1_3genE9ELNS1_11target_archE1100ELNS1_3gpuE3ELNS1_3repE0EEENS1_30default_config_static_selectorELNS0_4arch9wavefront6targetE1EEEvT1_
; %bb.0:
	.section	.rodata,"a",@progbits
	.p2align	6, 0x0
	.amdhsa_kernel _ZN7rocprim17ROCPRIM_400000_NS6detail17trampoline_kernelINS0_14default_configENS1_27scan_by_key_config_selectorIxxEEZZNS1_16scan_by_key_implILNS1_25lookback_scan_determinismE0ELb0ES3_N6thrust23THRUST_200600_302600_NS6detail15normal_iteratorINS9_10device_ptrIxEEEENS9_18transform_iteratorINS9_6negateIxEESE_NS9_11use_defaultESI_EESE_xNS9_4plusIvEENS9_8equal_toIvEExEE10hipError_tPvRmT2_T3_T4_T5_mT6_T7_P12ihipStream_tbENKUlT_T0_E_clISt17integral_constantIbLb0EES14_EEDaSZ_S10_EUlSZ_E_NS1_11comp_targetILNS1_3genE9ELNS1_11target_archE1100ELNS1_3gpuE3ELNS1_3repE0EEENS1_30default_config_static_selectorELNS0_4arch9wavefront6targetE1EEEvT1_
		.amdhsa_group_segment_fixed_size 0
		.amdhsa_private_segment_fixed_size 0
		.amdhsa_kernarg_size 144
		.amdhsa_user_sgpr_count 2
		.amdhsa_user_sgpr_dispatch_ptr 0
		.amdhsa_user_sgpr_queue_ptr 0
		.amdhsa_user_sgpr_kernarg_segment_ptr 1
		.amdhsa_user_sgpr_dispatch_id 0
		.amdhsa_user_sgpr_kernarg_preload_length 0
		.amdhsa_user_sgpr_kernarg_preload_offset 0
		.amdhsa_user_sgpr_private_segment_size 0
		.amdhsa_uses_dynamic_stack 0
		.amdhsa_enable_private_segment 0
		.amdhsa_system_sgpr_workgroup_id_x 1
		.amdhsa_system_sgpr_workgroup_id_y 0
		.amdhsa_system_sgpr_workgroup_id_z 0
		.amdhsa_system_sgpr_workgroup_info 0
		.amdhsa_system_vgpr_workitem_id 0
		.amdhsa_next_free_vgpr 1
		.amdhsa_next_free_sgpr 0
		.amdhsa_accum_offset 4
		.amdhsa_reserve_vcc 0
		.amdhsa_float_round_mode_32 0
		.amdhsa_float_round_mode_16_64 0
		.amdhsa_float_denorm_mode_32 3
		.amdhsa_float_denorm_mode_16_64 3
		.amdhsa_dx10_clamp 1
		.amdhsa_ieee_mode 1
		.amdhsa_fp16_overflow 0
		.amdhsa_tg_split 0
		.amdhsa_exception_fp_ieee_invalid_op 0
		.amdhsa_exception_fp_denorm_src 0
		.amdhsa_exception_fp_ieee_div_zero 0
		.amdhsa_exception_fp_ieee_overflow 0
		.amdhsa_exception_fp_ieee_underflow 0
		.amdhsa_exception_fp_ieee_inexact 0
		.amdhsa_exception_int_div_zero 0
	.end_amdhsa_kernel
	.section	.text._ZN7rocprim17ROCPRIM_400000_NS6detail17trampoline_kernelINS0_14default_configENS1_27scan_by_key_config_selectorIxxEEZZNS1_16scan_by_key_implILNS1_25lookback_scan_determinismE0ELb0ES3_N6thrust23THRUST_200600_302600_NS6detail15normal_iteratorINS9_10device_ptrIxEEEENS9_18transform_iteratorINS9_6negateIxEESE_NS9_11use_defaultESI_EESE_xNS9_4plusIvEENS9_8equal_toIvEExEE10hipError_tPvRmT2_T3_T4_T5_mT6_T7_P12ihipStream_tbENKUlT_T0_E_clISt17integral_constantIbLb0EES14_EEDaSZ_S10_EUlSZ_E_NS1_11comp_targetILNS1_3genE9ELNS1_11target_archE1100ELNS1_3gpuE3ELNS1_3repE0EEENS1_30default_config_static_selectorELNS0_4arch9wavefront6targetE1EEEvT1_,"axG",@progbits,_ZN7rocprim17ROCPRIM_400000_NS6detail17trampoline_kernelINS0_14default_configENS1_27scan_by_key_config_selectorIxxEEZZNS1_16scan_by_key_implILNS1_25lookback_scan_determinismE0ELb0ES3_N6thrust23THRUST_200600_302600_NS6detail15normal_iteratorINS9_10device_ptrIxEEEENS9_18transform_iteratorINS9_6negateIxEESE_NS9_11use_defaultESI_EESE_xNS9_4plusIvEENS9_8equal_toIvEExEE10hipError_tPvRmT2_T3_T4_T5_mT6_T7_P12ihipStream_tbENKUlT_T0_E_clISt17integral_constantIbLb0EES14_EEDaSZ_S10_EUlSZ_E_NS1_11comp_targetILNS1_3genE9ELNS1_11target_archE1100ELNS1_3gpuE3ELNS1_3repE0EEENS1_30default_config_static_selectorELNS0_4arch9wavefront6targetE1EEEvT1_,comdat
.Lfunc_end900:
	.size	_ZN7rocprim17ROCPRIM_400000_NS6detail17trampoline_kernelINS0_14default_configENS1_27scan_by_key_config_selectorIxxEEZZNS1_16scan_by_key_implILNS1_25lookback_scan_determinismE0ELb0ES3_N6thrust23THRUST_200600_302600_NS6detail15normal_iteratorINS9_10device_ptrIxEEEENS9_18transform_iteratorINS9_6negateIxEESE_NS9_11use_defaultESI_EESE_xNS9_4plusIvEENS9_8equal_toIvEExEE10hipError_tPvRmT2_T3_T4_T5_mT6_T7_P12ihipStream_tbENKUlT_T0_E_clISt17integral_constantIbLb0EES14_EEDaSZ_S10_EUlSZ_E_NS1_11comp_targetILNS1_3genE9ELNS1_11target_archE1100ELNS1_3gpuE3ELNS1_3repE0EEENS1_30default_config_static_selectorELNS0_4arch9wavefront6targetE1EEEvT1_, .Lfunc_end900-_ZN7rocprim17ROCPRIM_400000_NS6detail17trampoline_kernelINS0_14default_configENS1_27scan_by_key_config_selectorIxxEEZZNS1_16scan_by_key_implILNS1_25lookback_scan_determinismE0ELb0ES3_N6thrust23THRUST_200600_302600_NS6detail15normal_iteratorINS9_10device_ptrIxEEEENS9_18transform_iteratorINS9_6negateIxEESE_NS9_11use_defaultESI_EESE_xNS9_4plusIvEENS9_8equal_toIvEExEE10hipError_tPvRmT2_T3_T4_T5_mT6_T7_P12ihipStream_tbENKUlT_T0_E_clISt17integral_constantIbLb0EES14_EEDaSZ_S10_EUlSZ_E_NS1_11comp_targetILNS1_3genE9ELNS1_11target_archE1100ELNS1_3gpuE3ELNS1_3repE0EEENS1_30default_config_static_selectorELNS0_4arch9wavefront6targetE1EEEvT1_
                                        ; -- End function
	.section	.AMDGPU.csdata,"",@progbits
; Kernel info:
; codeLenInByte = 0
; NumSgprs: 6
; NumVgprs: 0
; NumAgprs: 0
; TotalNumVgprs: 0
; ScratchSize: 0
; MemoryBound: 0
; FloatMode: 240
; IeeeMode: 1
; LDSByteSize: 0 bytes/workgroup (compile time only)
; SGPRBlocks: 0
; VGPRBlocks: 0
; NumSGPRsForWavesPerEU: 6
; NumVGPRsForWavesPerEU: 1
; AccumOffset: 4
; Occupancy: 8
; WaveLimiterHint : 0
; COMPUTE_PGM_RSRC2:SCRATCH_EN: 0
; COMPUTE_PGM_RSRC2:USER_SGPR: 2
; COMPUTE_PGM_RSRC2:TRAP_HANDLER: 0
; COMPUTE_PGM_RSRC2:TGID_X_EN: 1
; COMPUTE_PGM_RSRC2:TGID_Y_EN: 0
; COMPUTE_PGM_RSRC2:TGID_Z_EN: 0
; COMPUTE_PGM_RSRC2:TIDIG_COMP_CNT: 0
; COMPUTE_PGM_RSRC3_GFX90A:ACCUM_OFFSET: 0
; COMPUTE_PGM_RSRC3_GFX90A:TG_SPLIT: 0
	.section	.text._ZN7rocprim17ROCPRIM_400000_NS6detail17trampoline_kernelINS0_14default_configENS1_27scan_by_key_config_selectorIxxEEZZNS1_16scan_by_key_implILNS1_25lookback_scan_determinismE0ELb0ES3_N6thrust23THRUST_200600_302600_NS6detail15normal_iteratorINS9_10device_ptrIxEEEENS9_18transform_iteratorINS9_6negateIxEESE_NS9_11use_defaultESI_EESE_xNS9_4plusIvEENS9_8equal_toIvEExEE10hipError_tPvRmT2_T3_T4_T5_mT6_T7_P12ihipStream_tbENKUlT_T0_E_clISt17integral_constantIbLb0EES14_EEDaSZ_S10_EUlSZ_E_NS1_11comp_targetILNS1_3genE8ELNS1_11target_archE1030ELNS1_3gpuE2ELNS1_3repE0EEENS1_30default_config_static_selectorELNS0_4arch9wavefront6targetE1EEEvT1_,"axG",@progbits,_ZN7rocprim17ROCPRIM_400000_NS6detail17trampoline_kernelINS0_14default_configENS1_27scan_by_key_config_selectorIxxEEZZNS1_16scan_by_key_implILNS1_25lookback_scan_determinismE0ELb0ES3_N6thrust23THRUST_200600_302600_NS6detail15normal_iteratorINS9_10device_ptrIxEEEENS9_18transform_iteratorINS9_6negateIxEESE_NS9_11use_defaultESI_EESE_xNS9_4plusIvEENS9_8equal_toIvEExEE10hipError_tPvRmT2_T3_T4_T5_mT6_T7_P12ihipStream_tbENKUlT_T0_E_clISt17integral_constantIbLb0EES14_EEDaSZ_S10_EUlSZ_E_NS1_11comp_targetILNS1_3genE8ELNS1_11target_archE1030ELNS1_3gpuE2ELNS1_3repE0EEENS1_30default_config_static_selectorELNS0_4arch9wavefront6targetE1EEEvT1_,comdat
	.protected	_ZN7rocprim17ROCPRIM_400000_NS6detail17trampoline_kernelINS0_14default_configENS1_27scan_by_key_config_selectorIxxEEZZNS1_16scan_by_key_implILNS1_25lookback_scan_determinismE0ELb0ES3_N6thrust23THRUST_200600_302600_NS6detail15normal_iteratorINS9_10device_ptrIxEEEENS9_18transform_iteratorINS9_6negateIxEESE_NS9_11use_defaultESI_EESE_xNS9_4plusIvEENS9_8equal_toIvEExEE10hipError_tPvRmT2_T3_T4_T5_mT6_T7_P12ihipStream_tbENKUlT_T0_E_clISt17integral_constantIbLb0EES14_EEDaSZ_S10_EUlSZ_E_NS1_11comp_targetILNS1_3genE8ELNS1_11target_archE1030ELNS1_3gpuE2ELNS1_3repE0EEENS1_30default_config_static_selectorELNS0_4arch9wavefront6targetE1EEEvT1_ ; -- Begin function _ZN7rocprim17ROCPRIM_400000_NS6detail17trampoline_kernelINS0_14default_configENS1_27scan_by_key_config_selectorIxxEEZZNS1_16scan_by_key_implILNS1_25lookback_scan_determinismE0ELb0ES3_N6thrust23THRUST_200600_302600_NS6detail15normal_iteratorINS9_10device_ptrIxEEEENS9_18transform_iteratorINS9_6negateIxEESE_NS9_11use_defaultESI_EESE_xNS9_4plusIvEENS9_8equal_toIvEExEE10hipError_tPvRmT2_T3_T4_T5_mT6_T7_P12ihipStream_tbENKUlT_T0_E_clISt17integral_constantIbLb0EES14_EEDaSZ_S10_EUlSZ_E_NS1_11comp_targetILNS1_3genE8ELNS1_11target_archE1030ELNS1_3gpuE2ELNS1_3repE0EEENS1_30default_config_static_selectorELNS0_4arch9wavefront6targetE1EEEvT1_
	.globl	_ZN7rocprim17ROCPRIM_400000_NS6detail17trampoline_kernelINS0_14default_configENS1_27scan_by_key_config_selectorIxxEEZZNS1_16scan_by_key_implILNS1_25lookback_scan_determinismE0ELb0ES3_N6thrust23THRUST_200600_302600_NS6detail15normal_iteratorINS9_10device_ptrIxEEEENS9_18transform_iteratorINS9_6negateIxEESE_NS9_11use_defaultESI_EESE_xNS9_4plusIvEENS9_8equal_toIvEExEE10hipError_tPvRmT2_T3_T4_T5_mT6_T7_P12ihipStream_tbENKUlT_T0_E_clISt17integral_constantIbLb0EES14_EEDaSZ_S10_EUlSZ_E_NS1_11comp_targetILNS1_3genE8ELNS1_11target_archE1030ELNS1_3gpuE2ELNS1_3repE0EEENS1_30default_config_static_selectorELNS0_4arch9wavefront6targetE1EEEvT1_
	.p2align	8
	.type	_ZN7rocprim17ROCPRIM_400000_NS6detail17trampoline_kernelINS0_14default_configENS1_27scan_by_key_config_selectorIxxEEZZNS1_16scan_by_key_implILNS1_25lookback_scan_determinismE0ELb0ES3_N6thrust23THRUST_200600_302600_NS6detail15normal_iteratorINS9_10device_ptrIxEEEENS9_18transform_iteratorINS9_6negateIxEESE_NS9_11use_defaultESI_EESE_xNS9_4plusIvEENS9_8equal_toIvEExEE10hipError_tPvRmT2_T3_T4_T5_mT6_T7_P12ihipStream_tbENKUlT_T0_E_clISt17integral_constantIbLb0EES14_EEDaSZ_S10_EUlSZ_E_NS1_11comp_targetILNS1_3genE8ELNS1_11target_archE1030ELNS1_3gpuE2ELNS1_3repE0EEENS1_30default_config_static_selectorELNS0_4arch9wavefront6targetE1EEEvT1_,@function
_ZN7rocprim17ROCPRIM_400000_NS6detail17trampoline_kernelINS0_14default_configENS1_27scan_by_key_config_selectorIxxEEZZNS1_16scan_by_key_implILNS1_25lookback_scan_determinismE0ELb0ES3_N6thrust23THRUST_200600_302600_NS6detail15normal_iteratorINS9_10device_ptrIxEEEENS9_18transform_iteratorINS9_6negateIxEESE_NS9_11use_defaultESI_EESE_xNS9_4plusIvEENS9_8equal_toIvEExEE10hipError_tPvRmT2_T3_T4_T5_mT6_T7_P12ihipStream_tbENKUlT_T0_E_clISt17integral_constantIbLb0EES14_EEDaSZ_S10_EUlSZ_E_NS1_11comp_targetILNS1_3genE8ELNS1_11target_archE1030ELNS1_3gpuE2ELNS1_3repE0EEENS1_30default_config_static_selectorELNS0_4arch9wavefront6targetE1EEEvT1_: ; @_ZN7rocprim17ROCPRIM_400000_NS6detail17trampoline_kernelINS0_14default_configENS1_27scan_by_key_config_selectorIxxEEZZNS1_16scan_by_key_implILNS1_25lookback_scan_determinismE0ELb0ES3_N6thrust23THRUST_200600_302600_NS6detail15normal_iteratorINS9_10device_ptrIxEEEENS9_18transform_iteratorINS9_6negateIxEESE_NS9_11use_defaultESI_EESE_xNS9_4plusIvEENS9_8equal_toIvEExEE10hipError_tPvRmT2_T3_T4_T5_mT6_T7_P12ihipStream_tbENKUlT_T0_E_clISt17integral_constantIbLb0EES14_EEDaSZ_S10_EUlSZ_E_NS1_11comp_targetILNS1_3genE8ELNS1_11target_archE1030ELNS1_3gpuE2ELNS1_3repE0EEENS1_30default_config_static_selectorELNS0_4arch9wavefront6targetE1EEEvT1_
; %bb.0:
	.section	.rodata,"a",@progbits
	.p2align	6, 0x0
	.amdhsa_kernel _ZN7rocprim17ROCPRIM_400000_NS6detail17trampoline_kernelINS0_14default_configENS1_27scan_by_key_config_selectorIxxEEZZNS1_16scan_by_key_implILNS1_25lookback_scan_determinismE0ELb0ES3_N6thrust23THRUST_200600_302600_NS6detail15normal_iteratorINS9_10device_ptrIxEEEENS9_18transform_iteratorINS9_6negateIxEESE_NS9_11use_defaultESI_EESE_xNS9_4plusIvEENS9_8equal_toIvEExEE10hipError_tPvRmT2_T3_T4_T5_mT6_T7_P12ihipStream_tbENKUlT_T0_E_clISt17integral_constantIbLb0EES14_EEDaSZ_S10_EUlSZ_E_NS1_11comp_targetILNS1_3genE8ELNS1_11target_archE1030ELNS1_3gpuE2ELNS1_3repE0EEENS1_30default_config_static_selectorELNS0_4arch9wavefront6targetE1EEEvT1_
		.amdhsa_group_segment_fixed_size 0
		.amdhsa_private_segment_fixed_size 0
		.amdhsa_kernarg_size 144
		.amdhsa_user_sgpr_count 2
		.amdhsa_user_sgpr_dispatch_ptr 0
		.amdhsa_user_sgpr_queue_ptr 0
		.amdhsa_user_sgpr_kernarg_segment_ptr 1
		.amdhsa_user_sgpr_dispatch_id 0
		.amdhsa_user_sgpr_kernarg_preload_length 0
		.amdhsa_user_sgpr_kernarg_preload_offset 0
		.amdhsa_user_sgpr_private_segment_size 0
		.amdhsa_uses_dynamic_stack 0
		.amdhsa_enable_private_segment 0
		.amdhsa_system_sgpr_workgroup_id_x 1
		.amdhsa_system_sgpr_workgroup_id_y 0
		.amdhsa_system_sgpr_workgroup_id_z 0
		.amdhsa_system_sgpr_workgroup_info 0
		.amdhsa_system_vgpr_workitem_id 0
		.amdhsa_next_free_vgpr 1
		.amdhsa_next_free_sgpr 0
		.amdhsa_accum_offset 4
		.amdhsa_reserve_vcc 0
		.amdhsa_float_round_mode_32 0
		.amdhsa_float_round_mode_16_64 0
		.amdhsa_float_denorm_mode_32 3
		.amdhsa_float_denorm_mode_16_64 3
		.amdhsa_dx10_clamp 1
		.amdhsa_ieee_mode 1
		.amdhsa_fp16_overflow 0
		.amdhsa_tg_split 0
		.amdhsa_exception_fp_ieee_invalid_op 0
		.amdhsa_exception_fp_denorm_src 0
		.amdhsa_exception_fp_ieee_div_zero 0
		.amdhsa_exception_fp_ieee_overflow 0
		.amdhsa_exception_fp_ieee_underflow 0
		.amdhsa_exception_fp_ieee_inexact 0
		.amdhsa_exception_int_div_zero 0
	.end_amdhsa_kernel
	.section	.text._ZN7rocprim17ROCPRIM_400000_NS6detail17trampoline_kernelINS0_14default_configENS1_27scan_by_key_config_selectorIxxEEZZNS1_16scan_by_key_implILNS1_25lookback_scan_determinismE0ELb0ES3_N6thrust23THRUST_200600_302600_NS6detail15normal_iteratorINS9_10device_ptrIxEEEENS9_18transform_iteratorINS9_6negateIxEESE_NS9_11use_defaultESI_EESE_xNS9_4plusIvEENS9_8equal_toIvEExEE10hipError_tPvRmT2_T3_T4_T5_mT6_T7_P12ihipStream_tbENKUlT_T0_E_clISt17integral_constantIbLb0EES14_EEDaSZ_S10_EUlSZ_E_NS1_11comp_targetILNS1_3genE8ELNS1_11target_archE1030ELNS1_3gpuE2ELNS1_3repE0EEENS1_30default_config_static_selectorELNS0_4arch9wavefront6targetE1EEEvT1_,"axG",@progbits,_ZN7rocprim17ROCPRIM_400000_NS6detail17trampoline_kernelINS0_14default_configENS1_27scan_by_key_config_selectorIxxEEZZNS1_16scan_by_key_implILNS1_25lookback_scan_determinismE0ELb0ES3_N6thrust23THRUST_200600_302600_NS6detail15normal_iteratorINS9_10device_ptrIxEEEENS9_18transform_iteratorINS9_6negateIxEESE_NS9_11use_defaultESI_EESE_xNS9_4plusIvEENS9_8equal_toIvEExEE10hipError_tPvRmT2_T3_T4_T5_mT6_T7_P12ihipStream_tbENKUlT_T0_E_clISt17integral_constantIbLb0EES14_EEDaSZ_S10_EUlSZ_E_NS1_11comp_targetILNS1_3genE8ELNS1_11target_archE1030ELNS1_3gpuE2ELNS1_3repE0EEENS1_30default_config_static_selectorELNS0_4arch9wavefront6targetE1EEEvT1_,comdat
.Lfunc_end901:
	.size	_ZN7rocprim17ROCPRIM_400000_NS6detail17trampoline_kernelINS0_14default_configENS1_27scan_by_key_config_selectorIxxEEZZNS1_16scan_by_key_implILNS1_25lookback_scan_determinismE0ELb0ES3_N6thrust23THRUST_200600_302600_NS6detail15normal_iteratorINS9_10device_ptrIxEEEENS9_18transform_iteratorINS9_6negateIxEESE_NS9_11use_defaultESI_EESE_xNS9_4plusIvEENS9_8equal_toIvEExEE10hipError_tPvRmT2_T3_T4_T5_mT6_T7_P12ihipStream_tbENKUlT_T0_E_clISt17integral_constantIbLb0EES14_EEDaSZ_S10_EUlSZ_E_NS1_11comp_targetILNS1_3genE8ELNS1_11target_archE1030ELNS1_3gpuE2ELNS1_3repE0EEENS1_30default_config_static_selectorELNS0_4arch9wavefront6targetE1EEEvT1_, .Lfunc_end901-_ZN7rocprim17ROCPRIM_400000_NS6detail17trampoline_kernelINS0_14default_configENS1_27scan_by_key_config_selectorIxxEEZZNS1_16scan_by_key_implILNS1_25lookback_scan_determinismE0ELb0ES3_N6thrust23THRUST_200600_302600_NS6detail15normal_iteratorINS9_10device_ptrIxEEEENS9_18transform_iteratorINS9_6negateIxEESE_NS9_11use_defaultESI_EESE_xNS9_4plusIvEENS9_8equal_toIvEExEE10hipError_tPvRmT2_T3_T4_T5_mT6_T7_P12ihipStream_tbENKUlT_T0_E_clISt17integral_constantIbLb0EES14_EEDaSZ_S10_EUlSZ_E_NS1_11comp_targetILNS1_3genE8ELNS1_11target_archE1030ELNS1_3gpuE2ELNS1_3repE0EEENS1_30default_config_static_selectorELNS0_4arch9wavefront6targetE1EEEvT1_
                                        ; -- End function
	.section	.AMDGPU.csdata,"",@progbits
; Kernel info:
; codeLenInByte = 0
; NumSgprs: 6
; NumVgprs: 0
; NumAgprs: 0
; TotalNumVgprs: 0
; ScratchSize: 0
; MemoryBound: 0
; FloatMode: 240
; IeeeMode: 1
; LDSByteSize: 0 bytes/workgroup (compile time only)
; SGPRBlocks: 0
; VGPRBlocks: 0
; NumSGPRsForWavesPerEU: 6
; NumVGPRsForWavesPerEU: 1
; AccumOffset: 4
; Occupancy: 8
; WaveLimiterHint : 0
; COMPUTE_PGM_RSRC2:SCRATCH_EN: 0
; COMPUTE_PGM_RSRC2:USER_SGPR: 2
; COMPUTE_PGM_RSRC2:TRAP_HANDLER: 0
; COMPUTE_PGM_RSRC2:TGID_X_EN: 1
; COMPUTE_PGM_RSRC2:TGID_Y_EN: 0
; COMPUTE_PGM_RSRC2:TGID_Z_EN: 0
; COMPUTE_PGM_RSRC2:TIDIG_COMP_CNT: 0
; COMPUTE_PGM_RSRC3_GFX90A:ACCUM_OFFSET: 0
; COMPUTE_PGM_RSRC3_GFX90A:TG_SPLIT: 0
	.section	.text._ZN7rocprim17ROCPRIM_400000_NS6detail17trampoline_kernelINS0_14default_configENS1_27scan_by_key_config_selectorIxxEEZZNS1_16scan_by_key_implILNS1_25lookback_scan_determinismE0ELb0ES3_N6thrust23THRUST_200600_302600_NS6detail15normal_iteratorINS9_10device_ptrIxEEEENS9_18transform_iteratorINS9_6negateIxEESE_NS9_11use_defaultESI_EESE_xNS9_4plusIvEENS9_8equal_toIvEExEE10hipError_tPvRmT2_T3_T4_T5_mT6_T7_P12ihipStream_tbENKUlT_T0_E_clISt17integral_constantIbLb1EES14_EEDaSZ_S10_EUlSZ_E_NS1_11comp_targetILNS1_3genE0ELNS1_11target_archE4294967295ELNS1_3gpuE0ELNS1_3repE0EEENS1_30default_config_static_selectorELNS0_4arch9wavefront6targetE1EEEvT1_,"axG",@progbits,_ZN7rocprim17ROCPRIM_400000_NS6detail17trampoline_kernelINS0_14default_configENS1_27scan_by_key_config_selectorIxxEEZZNS1_16scan_by_key_implILNS1_25lookback_scan_determinismE0ELb0ES3_N6thrust23THRUST_200600_302600_NS6detail15normal_iteratorINS9_10device_ptrIxEEEENS9_18transform_iteratorINS9_6negateIxEESE_NS9_11use_defaultESI_EESE_xNS9_4plusIvEENS9_8equal_toIvEExEE10hipError_tPvRmT2_T3_T4_T5_mT6_T7_P12ihipStream_tbENKUlT_T0_E_clISt17integral_constantIbLb1EES14_EEDaSZ_S10_EUlSZ_E_NS1_11comp_targetILNS1_3genE0ELNS1_11target_archE4294967295ELNS1_3gpuE0ELNS1_3repE0EEENS1_30default_config_static_selectorELNS0_4arch9wavefront6targetE1EEEvT1_,comdat
	.protected	_ZN7rocprim17ROCPRIM_400000_NS6detail17trampoline_kernelINS0_14default_configENS1_27scan_by_key_config_selectorIxxEEZZNS1_16scan_by_key_implILNS1_25lookback_scan_determinismE0ELb0ES3_N6thrust23THRUST_200600_302600_NS6detail15normal_iteratorINS9_10device_ptrIxEEEENS9_18transform_iteratorINS9_6negateIxEESE_NS9_11use_defaultESI_EESE_xNS9_4plusIvEENS9_8equal_toIvEExEE10hipError_tPvRmT2_T3_T4_T5_mT6_T7_P12ihipStream_tbENKUlT_T0_E_clISt17integral_constantIbLb1EES14_EEDaSZ_S10_EUlSZ_E_NS1_11comp_targetILNS1_3genE0ELNS1_11target_archE4294967295ELNS1_3gpuE0ELNS1_3repE0EEENS1_30default_config_static_selectorELNS0_4arch9wavefront6targetE1EEEvT1_ ; -- Begin function _ZN7rocprim17ROCPRIM_400000_NS6detail17trampoline_kernelINS0_14default_configENS1_27scan_by_key_config_selectorIxxEEZZNS1_16scan_by_key_implILNS1_25lookback_scan_determinismE0ELb0ES3_N6thrust23THRUST_200600_302600_NS6detail15normal_iteratorINS9_10device_ptrIxEEEENS9_18transform_iteratorINS9_6negateIxEESE_NS9_11use_defaultESI_EESE_xNS9_4plusIvEENS9_8equal_toIvEExEE10hipError_tPvRmT2_T3_T4_T5_mT6_T7_P12ihipStream_tbENKUlT_T0_E_clISt17integral_constantIbLb1EES14_EEDaSZ_S10_EUlSZ_E_NS1_11comp_targetILNS1_3genE0ELNS1_11target_archE4294967295ELNS1_3gpuE0ELNS1_3repE0EEENS1_30default_config_static_selectorELNS0_4arch9wavefront6targetE1EEEvT1_
	.globl	_ZN7rocprim17ROCPRIM_400000_NS6detail17trampoline_kernelINS0_14default_configENS1_27scan_by_key_config_selectorIxxEEZZNS1_16scan_by_key_implILNS1_25lookback_scan_determinismE0ELb0ES3_N6thrust23THRUST_200600_302600_NS6detail15normal_iteratorINS9_10device_ptrIxEEEENS9_18transform_iteratorINS9_6negateIxEESE_NS9_11use_defaultESI_EESE_xNS9_4plusIvEENS9_8equal_toIvEExEE10hipError_tPvRmT2_T3_T4_T5_mT6_T7_P12ihipStream_tbENKUlT_T0_E_clISt17integral_constantIbLb1EES14_EEDaSZ_S10_EUlSZ_E_NS1_11comp_targetILNS1_3genE0ELNS1_11target_archE4294967295ELNS1_3gpuE0ELNS1_3repE0EEENS1_30default_config_static_selectorELNS0_4arch9wavefront6targetE1EEEvT1_
	.p2align	8
	.type	_ZN7rocprim17ROCPRIM_400000_NS6detail17trampoline_kernelINS0_14default_configENS1_27scan_by_key_config_selectorIxxEEZZNS1_16scan_by_key_implILNS1_25lookback_scan_determinismE0ELb0ES3_N6thrust23THRUST_200600_302600_NS6detail15normal_iteratorINS9_10device_ptrIxEEEENS9_18transform_iteratorINS9_6negateIxEESE_NS9_11use_defaultESI_EESE_xNS9_4plusIvEENS9_8equal_toIvEExEE10hipError_tPvRmT2_T3_T4_T5_mT6_T7_P12ihipStream_tbENKUlT_T0_E_clISt17integral_constantIbLb1EES14_EEDaSZ_S10_EUlSZ_E_NS1_11comp_targetILNS1_3genE0ELNS1_11target_archE4294967295ELNS1_3gpuE0ELNS1_3repE0EEENS1_30default_config_static_selectorELNS0_4arch9wavefront6targetE1EEEvT1_,@function
_ZN7rocprim17ROCPRIM_400000_NS6detail17trampoline_kernelINS0_14default_configENS1_27scan_by_key_config_selectorIxxEEZZNS1_16scan_by_key_implILNS1_25lookback_scan_determinismE0ELb0ES3_N6thrust23THRUST_200600_302600_NS6detail15normal_iteratorINS9_10device_ptrIxEEEENS9_18transform_iteratorINS9_6negateIxEESE_NS9_11use_defaultESI_EESE_xNS9_4plusIvEENS9_8equal_toIvEExEE10hipError_tPvRmT2_T3_T4_T5_mT6_T7_P12ihipStream_tbENKUlT_T0_E_clISt17integral_constantIbLb1EES14_EEDaSZ_S10_EUlSZ_E_NS1_11comp_targetILNS1_3genE0ELNS1_11target_archE4294967295ELNS1_3gpuE0ELNS1_3repE0EEENS1_30default_config_static_selectorELNS0_4arch9wavefront6targetE1EEEvT1_: ; @_ZN7rocprim17ROCPRIM_400000_NS6detail17trampoline_kernelINS0_14default_configENS1_27scan_by_key_config_selectorIxxEEZZNS1_16scan_by_key_implILNS1_25lookback_scan_determinismE0ELb0ES3_N6thrust23THRUST_200600_302600_NS6detail15normal_iteratorINS9_10device_ptrIxEEEENS9_18transform_iteratorINS9_6negateIxEESE_NS9_11use_defaultESI_EESE_xNS9_4plusIvEENS9_8equal_toIvEExEE10hipError_tPvRmT2_T3_T4_T5_mT6_T7_P12ihipStream_tbENKUlT_T0_E_clISt17integral_constantIbLb1EES14_EEDaSZ_S10_EUlSZ_E_NS1_11comp_targetILNS1_3genE0ELNS1_11target_archE4294967295ELNS1_3gpuE0ELNS1_3repE0EEENS1_30default_config_static_selectorELNS0_4arch9wavefront6targetE1EEEvT1_
; %bb.0:
	.section	.rodata,"a",@progbits
	.p2align	6, 0x0
	.amdhsa_kernel _ZN7rocprim17ROCPRIM_400000_NS6detail17trampoline_kernelINS0_14default_configENS1_27scan_by_key_config_selectorIxxEEZZNS1_16scan_by_key_implILNS1_25lookback_scan_determinismE0ELb0ES3_N6thrust23THRUST_200600_302600_NS6detail15normal_iteratorINS9_10device_ptrIxEEEENS9_18transform_iteratorINS9_6negateIxEESE_NS9_11use_defaultESI_EESE_xNS9_4plusIvEENS9_8equal_toIvEExEE10hipError_tPvRmT2_T3_T4_T5_mT6_T7_P12ihipStream_tbENKUlT_T0_E_clISt17integral_constantIbLb1EES14_EEDaSZ_S10_EUlSZ_E_NS1_11comp_targetILNS1_3genE0ELNS1_11target_archE4294967295ELNS1_3gpuE0ELNS1_3repE0EEENS1_30default_config_static_selectorELNS0_4arch9wavefront6targetE1EEEvT1_
		.amdhsa_group_segment_fixed_size 0
		.amdhsa_private_segment_fixed_size 0
		.amdhsa_kernarg_size 144
		.amdhsa_user_sgpr_count 2
		.amdhsa_user_sgpr_dispatch_ptr 0
		.amdhsa_user_sgpr_queue_ptr 0
		.amdhsa_user_sgpr_kernarg_segment_ptr 1
		.amdhsa_user_sgpr_dispatch_id 0
		.amdhsa_user_sgpr_kernarg_preload_length 0
		.amdhsa_user_sgpr_kernarg_preload_offset 0
		.amdhsa_user_sgpr_private_segment_size 0
		.amdhsa_uses_dynamic_stack 0
		.amdhsa_enable_private_segment 0
		.amdhsa_system_sgpr_workgroup_id_x 1
		.amdhsa_system_sgpr_workgroup_id_y 0
		.amdhsa_system_sgpr_workgroup_id_z 0
		.amdhsa_system_sgpr_workgroup_info 0
		.amdhsa_system_vgpr_workitem_id 0
		.amdhsa_next_free_vgpr 1
		.amdhsa_next_free_sgpr 0
		.amdhsa_accum_offset 4
		.amdhsa_reserve_vcc 0
		.amdhsa_float_round_mode_32 0
		.amdhsa_float_round_mode_16_64 0
		.amdhsa_float_denorm_mode_32 3
		.amdhsa_float_denorm_mode_16_64 3
		.amdhsa_dx10_clamp 1
		.amdhsa_ieee_mode 1
		.amdhsa_fp16_overflow 0
		.amdhsa_tg_split 0
		.amdhsa_exception_fp_ieee_invalid_op 0
		.amdhsa_exception_fp_denorm_src 0
		.amdhsa_exception_fp_ieee_div_zero 0
		.amdhsa_exception_fp_ieee_overflow 0
		.amdhsa_exception_fp_ieee_underflow 0
		.amdhsa_exception_fp_ieee_inexact 0
		.amdhsa_exception_int_div_zero 0
	.end_amdhsa_kernel
	.section	.text._ZN7rocprim17ROCPRIM_400000_NS6detail17trampoline_kernelINS0_14default_configENS1_27scan_by_key_config_selectorIxxEEZZNS1_16scan_by_key_implILNS1_25lookback_scan_determinismE0ELb0ES3_N6thrust23THRUST_200600_302600_NS6detail15normal_iteratorINS9_10device_ptrIxEEEENS9_18transform_iteratorINS9_6negateIxEESE_NS9_11use_defaultESI_EESE_xNS9_4plusIvEENS9_8equal_toIvEExEE10hipError_tPvRmT2_T3_T4_T5_mT6_T7_P12ihipStream_tbENKUlT_T0_E_clISt17integral_constantIbLb1EES14_EEDaSZ_S10_EUlSZ_E_NS1_11comp_targetILNS1_3genE0ELNS1_11target_archE4294967295ELNS1_3gpuE0ELNS1_3repE0EEENS1_30default_config_static_selectorELNS0_4arch9wavefront6targetE1EEEvT1_,"axG",@progbits,_ZN7rocprim17ROCPRIM_400000_NS6detail17trampoline_kernelINS0_14default_configENS1_27scan_by_key_config_selectorIxxEEZZNS1_16scan_by_key_implILNS1_25lookback_scan_determinismE0ELb0ES3_N6thrust23THRUST_200600_302600_NS6detail15normal_iteratorINS9_10device_ptrIxEEEENS9_18transform_iteratorINS9_6negateIxEESE_NS9_11use_defaultESI_EESE_xNS9_4plusIvEENS9_8equal_toIvEExEE10hipError_tPvRmT2_T3_T4_T5_mT6_T7_P12ihipStream_tbENKUlT_T0_E_clISt17integral_constantIbLb1EES14_EEDaSZ_S10_EUlSZ_E_NS1_11comp_targetILNS1_3genE0ELNS1_11target_archE4294967295ELNS1_3gpuE0ELNS1_3repE0EEENS1_30default_config_static_selectorELNS0_4arch9wavefront6targetE1EEEvT1_,comdat
.Lfunc_end902:
	.size	_ZN7rocprim17ROCPRIM_400000_NS6detail17trampoline_kernelINS0_14default_configENS1_27scan_by_key_config_selectorIxxEEZZNS1_16scan_by_key_implILNS1_25lookback_scan_determinismE0ELb0ES3_N6thrust23THRUST_200600_302600_NS6detail15normal_iteratorINS9_10device_ptrIxEEEENS9_18transform_iteratorINS9_6negateIxEESE_NS9_11use_defaultESI_EESE_xNS9_4plusIvEENS9_8equal_toIvEExEE10hipError_tPvRmT2_T3_T4_T5_mT6_T7_P12ihipStream_tbENKUlT_T0_E_clISt17integral_constantIbLb1EES14_EEDaSZ_S10_EUlSZ_E_NS1_11comp_targetILNS1_3genE0ELNS1_11target_archE4294967295ELNS1_3gpuE0ELNS1_3repE0EEENS1_30default_config_static_selectorELNS0_4arch9wavefront6targetE1EEEvT1_, .Lfunc_end902-_ZN7rocprim17ROCPRIM_400000_NS6detail17trampoline_kernelINS0_14default_configENS1_27scan_by_key_config_selectorIxxEEZZNS1_16scan_by_key_implILNS1_25lookback_scan_determinismE0ELb0ES3_N6thrust23THRUST_200600_302600_NS6detail15normal_iteratorINS9_10device_ptrIxEEEENS9_18transform_iteratorINS9_6negateIxEESE_NS9_11use_defaultESI_EESE_xNS9_4plusIvEENS9_8equal_toIvEExEE10hipError_tPvRmT2_T3_T4_T5_mT6_T7_P12ihipStream_tbENKUlT_T0_E_clISt17integral_constantIbLb1EES14_EEDaSZ_S10_EUlSZ_E_NS1_11comp_targetILNS1_3genE0ELNS1_11target_archE4294967295ELNS1_3gpuE0ELNS1_3repE0EEENS1_30default_config_static_selectorELNS0_4arch9wavefront6targetE1EEEvT1_
                                        ; -- End function
	.section	.AMDGPU.csdata,"",@progbits
; Kernel info:
; codeLenInByte = 0
; NumSgprs: 6
; NumVgprs: 0
; NumAgprs: 0
; TotalNumVgprs: 0
; ScratchSize: 0
; MemoryBound: 0
; FloatMode: 240
; IeeeMode: 1
; LDSByteSize: 0 bytes/workgroup (compile time only)
; SGPRBlocks: 0
; VGPRBlocks: 0
; NumSGPRsForWavesPerEU: 6
; NumVGPRsForWavesPerEU: 1
; AccumOffset: 4
; Occupancy: 8
; WaveLimiterHint : 0
; COMPUTE_PGM_RSRC2:SCRATCH_EN: 0
; COMPUTE_PGM_RSRC2:USER_SGPR: 2
; COMPUTE_PGM_RSRC2:TRAP_HANDLER: 0
; COMPUTE_PGM_RSRC2:TGID_X_EN: 1
; COMPUTE_PGM_RSRC2:TGID_Y_EN: 0
; COMPUTE_PGM_RSRC2:TGID_Z_EN: 0
; COMPUTE_PGM_RSRC2:TIDIG_COMP_CNT: 0
; COMPUTE_PGM_RSRC3_GFX90A:ACCUM_OFFSET: 0
; COMPUTE_PGM_RSRC3_GFX90A:TG_SPLIT: 0
	.section	.text._ZN7rocprim17ROCPRIM_400000_NS6detail17trampoline_kernelINS0_14default_configENS1_27scan_by_key_config_selectorIxxEEZZNS1_16scan_by_key_implILNS1_25lookback_scan_determinismE0ELb0ES3_N6thrust23THRUST_200600_302600_NS6detail15normal_iteratorINS9_10device_ptrIxEEEENS9_18transform_iteratorINS9_6negateIxEESE_NS9_11use_defaultESI_EESE_xNS9_4plusIvEENS9_8equal_toIvEExEE10hipError_tPvRmT2_T3_T4_T5_mT6_T7_P12ihipStream_tbENKUlT_T0_E_clISt17integral_constantIbLb1EES14_EEDaSZ_S10_EUlSZ_E_NS1_11comp_targetILNS1_3genE10ELNS1_11target_archE1201ELNS1_3gpuE5ELNS1_3repE0EEENS1_30default_config_static_selectorELNS0_4arch9wavefront6targetE1EEEvT1_,"axG",@progbits,_ZN7rocprim17ROCPRIM_400000_NS6detail17trampoline_kernelINS0_14default_configENS1_27scan_by_key_config_selectorIxxEEZZNS1_16scan_by_key_implILNS1_25lookback_scan_determinismE0ELb0ES3_N6thrust23THRUST_200600_302600_NS6detail15normal_iteratorINS9_10device_ptrIxEEEENS9_18transform_iteratorINS9_6negateIxEESE_NS9_11use_defaultESI_EESE_xNS9_4plusIvEENS9_8equal_toIvEExEE10hipError_tPvRmT2_T3_T4_T5_mT6_T7_P12ihipStream_tbENKUlT_T0_E_clISt17integral_constantIbLb1EES14_EEDaSZ_S10_EUlSZ_E_NS1_11comp_targetILNS1_3genE10ELNS1_11target_archE1201ELNS1_3gpuE5ELNS1_3repE0EEENS1_30default_config_static_selectorELNS0_4arch9wavefront6targetE1EEEvT1_,comdat
	.protected	_ZN7rocprim17ROCPRIM_400000_NS6detail17trampoline_kernelINS0_14default_configENS1_27scan_by_key_config_selectorIxxEEZZNS1_16scan_by_key_implILNS1_25lookback_scan_determinismE0ELb0ES3_N6thrust23THRUST_200600_302600_NS6detail15normal_iteratorINS9_10device_ptrIxEEEENS9_18transform_iteratorINS9_6negateIxEESE_NS9_11use_defaultESI_EESE_xNS9_4plusIvEENS9_8equal_toIvEExEE10hipError_tPvRmT2_T3_T4_T5_mT6_T7_P12ihipStream_tbENKUlT_T0_E_clISt17integral_constantIbLb1EES14_EEDaSZ_S10_EUlSZ_E_NS1_11comp_targetILNS1_3genE10ELNS1_11target_archE1201ELNS1_3gpuE5ELNS1_3repE0EEENS1_30default_config_static_selectorELNS0_4arch9wavefront6targetE1EEEvT1_ ; -- Begin function _ZN7rocprim17ROCPRIM_400000_NS6detail17trampoline_kernelINS0_14default_configENS1_27scan_by_key_config_selectorIxxEEZZNS1_16scan_by_key_implILNS1_25lookback_scan_determinismE0ELb0ES3_N6thrust23THRUST_200600_302600_NS6detail15normal_iteratorINS9_10device_ptrIxEEEENS9_18transform_iteratorINS9_6negateIxEESE_NS9_11use_defaultESI_EESE_xNS9_4plusIvEENS9_8equal_toIvEExEE10hipError_tPvRmT2_T3_T4_T5_mT6_T7_P12ihipStream_tbENKUlT_T0_E_clISt17integral_constantIbLb1EES14_EEDaSZ_S10_EUlSZ_E_NS1_11comp_targetILNS1_3genE10ELNS1_11target_archE1201ELNS1_3gpuE5ELNS1_3repE0EEENS1_30default_config_static_selectorELNS0_4arch9wavefront6targetE1EEEvT1_
	.globl	_ZN7rocprim17ROCPRIM_400000_NS6detail17trampoline_kernelINS0_14default_configENS1_27scan_by_key_config_selectorIxxEEZZNS1_16scan_by_key_implILNS1_25lookback_scan_determinismE0ELb0ES3_N6thrust23THRUST_200600_302600_NS6detail15normal_iteratorINS9_10device_ptrIxEEEENS9_18transform_iteratorINS9_6negateIxEESE_NS9_11use_defaultESI_EESE_xNS9_4plusIvEENS9_8equal_toIvEExEE10hipError_tPvRmT2_T3_T4_T5_mT6_T7_P12ihipStream_tbENKUlT_T0_E_clISt17integral_constantIbLb1EES14_EEDaSZ_S10_EUlSZ_E_NS1_11comp_targetILNS1_3genE10ELNS1_11target_archE1201ELNS1_3gpuE5ELNS1_3repE0EEENS1_30default_config_static_selectorELNS0_4arch9wavefront6targetE1EEEvT1_
	.p2align	8
	.type	_ZN7rocprim17ROCPRIM_400000_NS6detail17trampoline_kernelINS0_14default_configENS1_27scan_by_key_config_selectorIxxEEZZNS1_16scan_by_key_implILNS1_25lookback_scan_determinismE0ELb0ES3_N6thrust23THRUST_200600_302600_NS6detail15normal_iteratorINS9_10device_ptrIxEEEENS9_18transform_iteratorINS9_6negateIxEESE_NS9_11use_defaultESI_EESE_xNS9_4plusIvEENS9_8equal_toIvEExEE10hipError_tPvRmT2_T3_T4_T5_mT6_T7_P12ihipStream_tbENKUlT_T0_E_clISt17integral_constantIbLb1EES14_EEDaSZ_S10_EUlSZ_E_NS1_11comp_targetILNS1_3genE10ELNS1_11target_archE1201ELNS1_3gpuE5ELNS1_3repE0EEENS1_30default_config_static_selectorELNS0_4arch9wavefront6targetE1EEEvT1_,@function
_ZN7rocprim17ROCPRIM_400000_NS6detail17trampoline_kernelINS0_14default_configENS1_27scan_by_key_config_selectorIxxEEZZNS1_16scan_by_key_implILNS1_25lookback_scan_determinismE0ELb0ES3_N6thrust23THRUST_200600_302600_NS6detail15normal_iteratorINS9_10device_ptrIxEEEENS9_18transform_iteratorINS9_6negateIxEESE_NS9_11use_defaultESI_EESE_xNS9_4plusIvEENS9_8equal_toIvEExEE10hipError_tPvRmT2_T3_T4_T5_mT6_T7_P12ihipStream_tbENKUlT_T0_E_clISt17integral_constantIbLb1EES14_EEDaSZ_S10_EUlSZ_E_NS1_11comp_targetILNS1_3genE10ELNS1_11target_archE1201ELNS1_3gpuE5ELNS1_3repE0EEENS1_30default_config_static_selectorELNS0_4arch9wavefront6targetE1EEEvT1_: ; @_ZN7rocprim17ROCPRIM_400000_NS6detail17trampoline_kernelINS0_14default_configENS1_27scan_by_key_config_selectorIxxEEZZNS1_16scan_by_key_implILNS1_25lookback_scan_determinismE0ELb0ES3_N6thrust23THRUST_200600_302600_NS6detail15normal_iteratorINS9_10device_ptrIxEEEENS9_18transform_iteratorINS9_6negateIxEESE_NS9_11use_defaultESI_EESE_xNS9_4plusIvEENS9_8equal_toIvEExEE10hipError_tPvRmT2_T3_T4_T5_mT6_T7_P12ihipStream_tbENKUlT_T0_E_clISt17integral_constantIbLb1EES14_EEDaSZ_S10_EUlSZ_E_NS1_11comp_targetILNS1_3genE10ELNS1_11target_archE1201ELNS1_3gpuE5ELNS1_3repE0EEENS1_30default_config_static_selectorELNS0_4arch9wavefront6targetE1EEEvT1_
; %bb.0:
	.section	.rodata,"a",@progbits
	.p2align	6, 0x0
	.amdhsa_kernel _ZN7rocprim17ROCPRIM_400000_NS6detail17trampoline_kernelINS0_14default_configENS1_27scan_by_key_config_selectorIxxEEZZNS1_16scan_by_key_implILNS1_25lookback_scan_determinismE0ELb0ES3_N6thrust23THRUST_200600_302600_NS6detail15normal_iteratorINS9_10device_ptrIxEEEENS9_18transform_iteratorINS9_6negateIxEESE_NS9_11use_defaultESI_EESE_xNS9_4plusIvEENS9_8equal_toIvEExEE10hipError_tPvRmT2_T3_T4_T5_mT6_T7_P12ihipStream_tbENKUlT_T0_E_clISt17integral_constantIbLb1EES14_EEDaSZ_S10_EUlSZ_E_NS1_11comp_targetILNS1_3genE10ELNS1_11target_archE1201ELNS1_3gpuE5ELNS1_3repE0EEENS1_30default_config_static_selectorELNS0_4arch9wavefront6targetE1EEEvT1_
		.amdhsa_group_segment_fixed_size 0
		.amdhsa_private_segment_fixed_size 0
		.amdhsa_kernarg_size 144
		.amdhsa_user_sgpr_count 2
		.amdhsa_user_sgpr_dispatch_ptr 0
		.amdhsa_user_sgpr_queue_ptr 0
		.amdhsa_user_sgpr_kernarg_segment_ptr 1
		.amdhsa_user_sgpr_dispatch_id 0
		.amdhsa_user_sgpr_kernarg_preload_length 0
		.amdhsa_user_sgpr_kernarg_preload_offset 0
		.amdhsa_user_sgpr_private_segment_size 0
		.amdhsa_uses_dynamic_stack 0
		.amdhsa_enable_private_segment 0
		.amdhsa_system_sgpr_workgroup_id_x 1
		.amdhsa_system_sgpr_workgroup_id_y 0
		.amdhsa_system_sgpr_workgroup_id_z 0
		.amdhsa_system_sgpr_workgroup_info 0
		.amdhsa_system_vgpr_workitem_id 0
		.amdhsa_next_free_vgpr 1
		.amdhsa_next_free_sgpr 0
		.amdhsa_accum_offset 4
		.amdhsa_reserve_vcc 0
		.amdhsa_float_round_mode_32 0
		.amdhsa_float_round_mode_16_64 0
		.amdhsa_float_denorm_mode_32 3
		.amdhsa_float_denorm_mode_16_64 3
		.amdhsa_dx10_clamp 1
		.amdhsa_ieee_mode 1
		.amdhsa_fp16_overflow 0
		.amdhsa_tg_split 0
		.amdhsa_exception_fp_ieee_invalid_op 0
		.amdhsa_exception_fp_denorm_src 0
		.amdhsa_exception_fp_ieee_div_zero 0
		.amdhsa_exception_fp_ieee_overflow 0
		.amdhsa_exception_fp_ieee_underflow 0
		.amdhsa_exception_fp_ieee_inexact 0
		.amdhsa_exception_int_div_zero 0
	.end_amdhsa_kernel
	.section	.text._ZN7rocprim17ROCPRIM_400000_NS6detail17trampoline_kernelINS0_14default_configENS1_27scan_by_key_config_selectorIxxEEZZNS1_16scan_by_key_implILNS1_25lookback_scan_determinismE0ELb0ES3_N6thrust23THRUST_200600_302600_NS6detail15normal_iteratorINS9_10device_ptrIxEEEENS9_18transform_iteratorINS9_6negateIxEESE_NS9_11use_defaultESI_EESE_xNS9_4plusIvEENS9_8equal_toIvEExEE10hipError_tPvRmT2_T3_T4_T5_mT6_T7_P12ihipStream_tbENKUlT_T0_E_clISt17integral_constantIbLb1EES14_EEDaSZ_S10_EUlSZ_E_NS1_11comp_targetILNS1_3genE10ELNS1_11target_archE1201ELNS1_3gpuE5ELNS1_3repE0EEENS1_30default_config_static_selectorELNS0_4arch9wavefront6targetE1EEEvT1_,"axG",@progbits,_ZN7rocprim17ROCPRIM_400000_NS6detail17trampoline_kernelINS0_14default_configENS1_27scan_by_key_config_selectorIxxEEZZNS1_16scan_by_key_implILNS1_25lookback_scan_determinismE0ELb0ES3_N6thrust23THRUST_200600_302600_NS6detail15normal_iteratorINS9_10device_ptrIxEEEENS9_18transform_iteratorINS9_6negateIxEESE_NS9_11use_defaultESI_EESE_xNS9_4plusIvEENS9_8equal_toIvEExEE10hipError_tPvRmT2_T3_T4_T5_mT6_T7_P12ihipStream_tbENKUlT_T0_E_clISt17integral_constantIbLb1EES14_EEDaSZ_S10_EUlSZ_E_NS1_11comp_targetILNS1_3genE10ELNS1_11target_archE1201ELNS1_3gpuE5ELNS1_3repE0EEENS1_30default_config_static_selectorELNS0_4arch9wavefront6targetE1EEEvT1_,comdat
.Lfunc_end903:
	.size	_ZN7rocprim17ROCPRIM_400000_NS6detail17trampoline_kernelINS0_14default_configENS1_27scan_by_key_config_selectorIxxEEZZNS1_16scan_by_key_implILNS1_25lookback_scan_determinismE0ELb0ES3_N6thrust23THRUST_200600_302600_NS6detail15normal_iteratorINS9_10device_ptrIxEEEENS9_18transform_iteratorINS9_6negateIxEESE_NS9_11use_defaultESI_EESE_xNS9_4plusIvEENS9_8equal_toIvEExEE10hipError_tPvRmT2_T3_T4_T5_mT6_T7_P12ihipStream_tbENKUlT_T0_E_clISt17integral_constantIbLb1EES14_EEDaSZ_S10_EUlSZ_E_NS1_11comp_targetILNS1_3genE10ELNS1_11target_archE1201ELNS1_3gpuE5ELNS1_3repE0EEENS1_30default_config_static_selectorELNS0_4arch9wavefront6targetE1EEEvT1_, .Lfunc_end903-_ZN7rocprim17ROCPRIM_400000_NS6detail17trampoline_kernelINS0_14default_configENS1_27scan_by_key_config_selectorIxxEEZZNS1_16scan_by_key_implILNS1_25lookback_scan_determinismE0ELb0ES3_N6thrust23THRUST_200600_302600_NS6detail15normal_iteratorINS9_10device_ptrIxEEEENS9_18transform_iteratorINS9_6negateIxEESE_NS9_11use_defaultESI_EESE_xNS9_4plusIvEENS9_8equal_toIvEExEE10hipError_tPvRmT2_T3_T4_T5_mT6_T7_P12ihipStream_tbENKUlT_T0_E_clISt17integral_constantIbLb1EES14_EEDaSZ_S10_EUlSZ_E_NS1_11comp_targetILNS1_3genE10ELNS1_11target_archE1201ELNS1_3gpuE5ELNS1_3repE0EEENS1_30default_config_static_selectorELNS0_4arch9wavefront6targetE1EEEvT1_
                                        ; -- End function
	.section	.AMDGPU.csdata,"",@progbits
; Kernel info:
; codeLenInByte = 0
; NumSgprs: 6
; NumVgprs: 0
; NumAgprs: 0
; TotalNumVgprs: 0
; ScratchSize: 0
; MemoryBound: 0
; FloatMode: 240
; IeeeMode: 1
; LDSByteSize: 0 bytes/workgroup (compile time only)
; SGPRBlocks: 0
; VGPRBlocks: 0
; NumSGPRsForWavesPerEU: 6
; NumVGPRsForWavesPerEU: 1
; AccumOffset: 4
; Occupancy: 8
; WaveLimiterHint : 0
; COMPUTE_PGM_RSRC2:SCRATCH_EN: 0
; COMPUTE_PGM_RSRC2:USER_SGPR: 2
; COMPUTE_PGM_RSRC2:TRAP_HANDLER: 0
; COMPUTE_PGM_RSRC2:TGID_X_EN: 1
; COMPUTE_PGM_RSRC2:TGID_Y_EN: 0
; COMPUTE_PGM_RSRC2:TGID_Z_EN: 0
; COMPUTE_PGM_RSRC2:TIDIG_COMP_CNT: 0
; COMPUTE_PGM_RSRC3_GFX90A:ACCUM_OFFSET: 0
; COMPUTE_PGM_RSRC3_GFX90A:TG_SPLIT: 0
	.section	.text._ZN7rocprim17ROCPRIM_400000_NS6detail17trampoline_kernelINS0_14default_configENS1_27scan_by_key_config_selectorIxxEEZZNS1_16scan_by_key_implILNS1_25lookback_scan_determinismE0ELb0ES3_N6thrust23THRUST_200600_302600_NS6detail15normal_iteratorINS9_10device_ptrIxEEEENS9_18transform_iteratorINS9_6negateIxEESE_NS9_11use_defaultESI_EESE_xNS9_4plusIvEENS9_8equal_toIvEExEE10hipError_tPvRmT2_T3_T4_T5_mT6_T7_P12ihipStream_tbENKUlT_T0_E_clISt17integral_constantIbLb1EES14_EEDaSZ_S10_EUlSZ_E_NS1_11comp_targetILNS1_3genE5ELNS1_11target_archE942ELNS1_3gpuE9ELNS1_3repE0EEENS1_30default_config_static_selectorELNS0_4arch9wavefront6targetE1EEEvT1_,"axG",@progbits,_ZN7rocprim17ROCPRIM_400000_NS6detail17trampoline_kernelINS0_14default_configENS1_27scan_by_key_config_selectorIxxEEZZNS1_16scan_by_key_implILNS1_25lookback_scan_determinismE0ELb0ES3_N6thrust23THRUST_200600_302600_NS6detail15normal_iteratorINS9_10device_ptrIxEEEENS9_18transform_iteratorINS9_6negateIxEESE_NS9_11use_defaultESI_EESE_xNS9_4plusIvEENS9_8equal_toIvEExEE10hipError_tPvRmT2_T3_T4_T5_mT6_T7_P12ihipStream_tbENKUlT_T0_E_clISt17integral_constantIbLb1EES14_EEDaSZ_S10_EUlSZ_E_NS1_11comp_targetILNS1_3genE5ELNS1_11target_archE942ELNS1_3gpuE9ELNS1_3repE0EEENS1_30default_config_static_selectorELNS0_4arch9wavefront6targetE1EEEvT1_,comdat
	.protected	_ZN7rocprim17ROCPRIM_400000_NS6detail17trampoline_kernelINS0_14default_configENS1_27scan_by_key_config_selectorIxxEEZZNS1_16scan_by_key_implILNS1_25lookback_scan_determinismE0ELb0ES3_N6thrust23THRUST_200600_302600_NS6detail15normal_iteratorINS9_10device_ptrIxEEEENS9_18transform_iteratorINS9_6negateIxEESE_NS9_11use_defaultESI_EESE_xNS9_4plusIvEENS9_8equal_toIvEExEE10hipError_tPvRmT2_T3_T4_T5_mT6_T7_P12ihipStream_tbENKUlT_T0_E_clISt17integral_constantIbLb1EES14_EEDaSZ_S10_EUlSZ_E_NS1_11comp_targetILNS1_3genE5ELNS1_11target_archE942ELNS1_3gpuE9ELNS1_3repE0EEENS1_30default_config_static_selectorELNS0_4arch9wavefront6targetE1EEEvT1_ ; -- Begin function _ZN7rocprim17ROCPRIM_400000_NS6detail17trampoline_kernelINS0_14default_configENS1_27scan_by_key_config_selectorIxxEEZZNS1_16scan_by_key_implILNS1_25lookback_scan_determinismE0ELb0ES3_N6thrust23THRUST_200600_302600_NS6detail15normal_iteratorINS9_10device_ptrIxEEEENS9_18transform_iteratorINS9_6negateIxEESE_NS9_11use_defaultESI_EESE_xNS9_4plusIvEENS9_8equal_toIvEExEE10hipError_tPvRmT2_T3_T4_T5_mT6_T7_P12ihipStream_tbENKUlT_T0_E_clISt17integral_constantIbLb1EES14_EEDaSZ_S10_EUlSZ_E_NS1_11comp_targetILNS1_3genE5ELNS1_11target_archE942ELNS1_3gpuE9ELNS1_3repE0EEENS1_30default_config_static_selectorELNS0_4arch9wavefront6targetE1EEEvT1_
	.globl	_ZN7rocprim17ROCPRIM_400000_NS6detail17trampoline_kernelINS0_14default_configENS1_27scan_by_key_config_selectorIxxEEZZNS1_16scan_by_key_implILNS1_25lookback_scan_determinismE0ELb0ES3_N6thrust23THRUST_200600_302600_NS6detail15normal_iteratorINS9_10device_ptrIxEEEENS9_18transform_iteratorINS9_6negateIxEESE_NS9_11use_defaultESI_EESE_xNS9_4plusIvEENS9_8equal_toIvEExEE10hipError_tPvRmT2_T3_T4_T5_mT6_T7_P12ihipStream_tbENKUlT_T0_E_clISt17integral_constantIbLb1EES14_EEDaSZ_S10_EUlSZ_E_NS1_11comp_targetILNS1_3genE5ELNS1_11target_archE942ELNS1_3gpuE9ELNS1_3repE0EEENS1_30default_config_static_selectorELNS0_4arch9wavefront6targetE1EEEvT1_
	.p2align	8
	.type	_ZN7rocprim17ROCPRIM_400000_NS6detail17trampoline_kernelINS0_14default_configENS1_27scan_by_key_config_selectorIxxEEZZNS1_16scan_by_key_implILNS1_25lookback_scan_determinismE0ELb0ES3_N6thrust23THRUST_200600_302600_NS6detail15normal_iteratorINS9_10device_ptrIxEEEENS9_18transform_iteratorINS9_6negateIxEESE_NS9_11use_defaultESI_EESE_xNS9_4plusIvEENS9_8equal_toIvEExEE10hipError_tPvRmT2_T3_T4_T5_mT6_T7_P12ihipStream_tbENKUlT_T0_E_clISt17integral_constantIbLb1EES14_EEDaSZ_S10_EUlSZ_E_NS1_11comp_targetILNS1_3genE5ELNS1_11target_archE942ELNS1_3gpuE9ELNS1_3repE0EEENS1_30default_config_static_selectorELNS0_4arch9wavefront6targetE1EEEvT1_,@function
_ZN7rocprim17ROCPRIM_400000_NS6detail17trampoline_kernelINS0_14default_configENS1_27scan_by_key_config_selectorIxxEEZZNS1_16scan_by_key_implILNS1_25lookback_scan_determinismE0ELb0ES3_N6thrust23THRUST_200600_302600_NS6detail15normal_iteratorINS9_10device_ptrIxEEEENS9_18transform_iteratorINS9_6negateIxEESE_NS9_11use_defaultESI_EESE_xNS9_4plusIvEENS9_8equal_toIvEExEE10hipError_tPvRmT2_T3_T4_T5_mT6_T7_P12ihipStream_tbENKUlT_T0_E_clISt17integral_constantIbLb1EES14_EEDaSZ_S10_EUlSZ_E_NS1_11comp_targetILNS1_3genE5ELNS1_11target_archE942ELNS1_3gpuE9ELNS1_3repE0EEENS1_30default_config_static_selectorELNS0_4arch9wavefront6targetE1EEEvT1_: ; @_ZN7rocprim17ROCPRIM_400000_NS6detail17trampoline_kernelINS0_14default_configENS1_27scan_by_key_config_selectorIxxEEZZNS1_16scan_by_key_implILNS1_25lookback_scan_determinismE0ELb0ES3_N6thrust23THRUST_200600_302600_NS6detail15normal_iteratorINS9_10device_ptrIxEEEENS9_18transform_iteratorINS9_6negateIxEESE_NS9_11use_defaultESI_EESE_xNS9_4plusIvEENS9_8equal_toIvEExEE10hipError_tPvRmT2_T3_T4_T5_mT6_T7_P12ihipStream_tbENKUlT_T0_E_clISt17integral_constantIbLb1EES14_EEDaSZ_S10_EUlSZ_E_NS1_11comp_targetILNS1_3genE5ELNS1_11target_archE942ELNS1_3gpuE9ELNS1_3repE0EEENS1_30default_config_static_selectorELNS0_4arch9wavefront6targetE1EEEvT1_
; %bb.0:
	s_load_dwordx4 s[8:11], s[0:1], 0x0
	s_load_dwordx2 s[2:3], s[0:1], 0x10
	s_load_dwordx2 s[38:39], s[0:1], 0x20
	s_load_dwordx8 s[40:47], s[0:1], 0x38
	s_load_dwordx2 s[58:59], s[0:1], 0x58
	v_cmp_ne_u32_e64 s[4:5], 0, v0
	v_cmp_eq_u32_e64 s[36:37], 0, v0
	s_and_saveexec_b64 s[6:7], s[36:37]
	s_cbranch_execz .LBB904_4
; %bb.1:
	s_mov_b64 s[14:15], exec
	v_mbcnt_lo_u32_b32 v1, s14, 0
	v_mbcnt_hi_u32_b32 v1, s15, v1
	v_cmp_eq_u32_e32 vcc, 0, v1
                                        ; implicit-def: $vgpr2
	s_and_saveexec_b64 s[12:13], vcc
	s_cbranch_execz .LBB904_3
; %bb.2:
	s_load_dwordx2 s[16:17], s[0:1], 0x88
	s_bcnt1_i32_b64 s14, s[14:15]
	v_mov_b32_e32 v2, 0
	v_mov_b32_e32 v3, s14
	s_waitcnt lgkmcnt(0)
	global_atomic_add v2, v2, v3, s[16:17] sc0
.LBB904_3:
	s_or_b64 exec, exec, s[12:13]
	s_waitcnt vmcnt(0)
	v_readfirstlane_b32 s12, v2
	v_mov_b32_e32 v2, 0
	s_nop 0
	v_add_u32_e32 v1, s12, v1
	ds_write_b32 v2, v1
.LBB904_4:
	s_or_b64 exec, exec, s[6:7]
	v_mov_b32_e32 v1, 0
	s_load_dword s6, s[0:1], 0x60
	s_load_dwordx8 s[48:55], s[0:1], 0x68
	s_waitcnt lgkmcnt(0)
	s_barrier
	ds_read_b32 v1, v1
	s_lshl_b64 s[56:57], s[10:11], 3
	s_add_u32 s7, s8, s56
	s_addc_u32 s8, s9, s57
	s_add_u32 s2, s2, s56
	s_mul_i32 s0, s59, s6
	s_mul_hi_u32 s1, s58, s6
	s_addc_u32 s3, s3, s57
	s_add_i32 s9, s1, s0
	s_waitcnt lgkmcnt(0)
	v_readfirstlane_b32 s47, v1
	s_cmp_lg_u64 s[52:53], 0
	s_mov_b32 s1, 0
	s_mul_i32 s0, s47, 0xe00
	s_cselect_b64 s[64:65], -1, 0
	s_lshl_b64 s[52:53], s[0:1], 3
	s_add_u32 s62, s7, s52
	s_addc_u32 s63, s8, s53
	s_add_u32 s60, s2, s52
	s_mul_i32 s6, s58, s6
	s_addc_u32 s61, s3, s53
	s_add_u32 s66, s6, s47
	s_addc_u32 s67, s9, 0
	s_add_u32 s0, s48, -1
	s_addc_u32 s1, s49, -1
	v_mov_b64_e32 v[2:3], s[0:1]
	v_cmp_ge_u64_e64 s[2:3], s[66:67], v[2:3]
	s_mov_b64 s[10:11], 0
	s_mov_b64 s[6:7], -1
	s_and_b64 vcc, exec, s[2:3]
	s_mul_i32 s33, s0, 0xfffff200
	s_barrier
	s_barrier
	s_cbranch_vccz .LBB904_81
; %bb.5:
	v_mov_b64_e32 v[2:3], s[62:63]
	flat_load_dwordx2 v[2:3], v[2:3]
	s_add_i32 s69, s33, s46
	v_cmp_gt_u32_e64 s[6:7], s69, v0
	s_waitcnt vmcnt(0) lgkmcnt(0)
	v_mov_b64_e32 v[4:5], v[2:3]
	s_and_saveexec_b64 s[0:1], s[6:7]
	s_cbranch_execz .LBB904_7
; %bb.6:
	v_lshlrev_b32_e32 v4, 3, v0
	v_mov_b32_e32 v5, 0
	v_lshl_add_u64 v[4:5], s[62:63], 0, v[4:5]
	flat_load_dwordx2 v[4:5], v[4:5]
.LBB904_7:
	s_or_b64 exec, exec, s[0:1]
	v_or_b32_e32 v1, 0x100, v0
	v_cmp_gt_u32_e64 s[8:9], s69, v1
	v_mov_b64_e32 v[6:7], v[2:3]
	s_and_saveexec_b64 s[0:1], s[8:9]
	s_cbranch_execz .LBB904_9
; %bb.8:
	v_lshlrev_b32_e32 v6, 3, v0
	v_mov_b32_e32 v7, 0
	v_lshl_add_u64 v[6:7], s[62:63], 0, v[6:7]
	flat_load_dwordx2 v[6:7], v[6:7] offset:2048
.LBB904_9:
	s_or_b64 exec, exec, s[0:1]
	v_or_b32_e32 v1, 0x200, v0
	v_cmp_gt_u32_e64 s[10:11], s69, v1
	v_mov_b64_e32 v[8:9], v[2:3]
	s_and_saveexec_b64 s[0:1], s[10:11]
	s_cbranch_execz .LBB904_11
; %bb.10:
	v_lshlrev_b32_e32 v8, 3, v1
	v_mov_b32_e32 v9, 0
	v_lshl_add_u64 v[8:9], s[62:63], 0, v[8:9]
	flat_load_dwordx2 v[8:9], v[8:9]
.LBB904_11:
	s_or_b64 exec, exec, s[0:1]
	v_or_b32_e32 v30, 0x300, v0
	v_cmp_gt_u32_e64 s[12:13], s69, v30
	v_mov_b64_e32 v[10:11], v[2:3]
	s_and_saveexec_b64 s[0:1], s[12:13]
	s_cbranch_execz .LBB904_13
; %bb.12:
	v_lshlrev_b32_e32 v10, 3, v30
	v_mov_b32_e32 v11, 0
	v_lshl_add_u64 v[10:11], s[62:63], 0, v[10:11]
	flat_load_dwordx2 v[10:11], v[10:11]
.LBB904_13:
	;; [unrolled: 12-line block ×11, first 2 shown]
	s_or_b64 exec, exec, s[0:1]
	v_or_b32_e32 v41, 0xd00, v0
	v_cmp_gt_u32_e64 s[34:35], s69, v41
	s_and_saveexec_b64 s[0:1], s[34:35]
	s_cbranch_execz .LBB904_33
; %bb.32:
	v_lshlrev_b32_e32 v2, 3, v41
	v_mov_b32_e32 v3, 0
	v_lshl_add_u64 v[2:3], s[62:63], 0, v[2:3]
	flat_load_dwordx2 v[2:3], v[2:3]
.LBB904_33:
	s_or_b64 exec, exec, s[0:1]
	v_lshlrev_b32_e32 v42, 3, v0
	s_movk_i32 s0, 0x68
	v_mad_u32_u24 v36, v0, s0, v42
	s_waitcnt vmcnt(0) lgkmcnt(0)
	ds_write2st64_b64 v42, v[4:5], v[6:7] offset1:4
	ds_write2st64_b64 v42, v[8:9], v[10:11] offset0:8 offset1:12
	ds_write2st64_b64 v42, v[12:13], v[14:15] offset0:16 offset1:20
	;; [unrolled: 1-line block ×6, first 2 shown]
	s_waitcnt lgkmcnt(0)
	s_barrier
	ds_read_b128 v[74:77], v36
	ds_read_b128 v[70:73], v36 offset:16
	ds_read_b128 v[66:69], v36 offset:32
	;; [unrolled: 1-line block ×6, first 2 shown]
	s_cmp_eq_u64 s[66:67], 0
	s_mov_b64 s[0:1], s[62:63]
	s_cbranch_scc1 .LBB904_37
; %bb.34:
	s_andn2_b64 vcc, exec, s[64:65]
	s_cbranch_vccnz .LBB904_239
; %bb.35:
	s_lshl_b64 s[0:1], s[66:67], 3
	s_add_u32 s0, s54, s0
	s_addc_u32 s1, s55, s1
	s_add_u32 s0, s0, -8
	s_addc_u32 s1, s1, -1
	s_cbranch_execnz .LBB904_37
.LBB904_36:
	s_add_u32 s0, s62, -8
	s_addc_u32 s1, s63, -1
.LBB904_37:
	v_mov_b64_e32 v[2:3], s[0:1]
	flat_load_dwordx2 v[4:5], v[2:3]
	s_movk_i32 s0, 0xff98
	v_mad_i32_i24 v2, v0, s0, v36
	s_waitcnt lgkmcnt(0)
	ds_write_b64 v2, v[60:61] offset:28672
	s_waitcnt lgkmcnt(0)
	s_barrier
	s_and_saveexec_b64 s[0:1], s[4:5]
	s_cbranch_execz .LBB904_39
; %bb.38:
	v_mul_i32_i24_e32 v2, 0xffffff98, v0
	v_add_u32_e32 v2, v36, v2
	s_waitcnt vmcnt(0)
	ds_read_b64 v[4:5], v2 offset:28664
.LBB904_39:
	s_or_b64 exec, exec, s[0:1]
	s_waitcnt lgkmcnt(0)
	s_barrier
	s_waitcnt lgkmcnt(0)
                                        ; implicit-def: $vgpr2_vgpr3
	s_and_saveexec_b64 s[0:1], s[6:7]
	s_cbranch_execnz .LBB904_226
; %bb.40:
	s_or_b64 exec, exec, s[0:1]
                                        ; implicit-def: $vgpr6_vgpr7
	s_and_saveexec_b64 s[0:1], s[8:9]
	s_cbranch_execnz .LBB904_227
.LBB904_41:
	s_or_b64 exec, exec, s[0:1]
                                        ; implicit-def: $vgpr8_vgpr9
	s_and_saveexec_b64 s[0:1], s[10:11]
	s_cbranch_execnz .LBB904_228
.LBB904_42:
	s_or_b64 exec, exec, s[0:1]
                                        ; implicit-def: $vgpr10_vgpr11
	s_and_saveexec_b64 s[0:1], s[12:13]
	s_cbranch_execnz .LBB904_229
.LBB904_43:
	s_or_b64 exec, exec, s[0:1]
                                        ; implicit-def: $vgpr12_vgpr13
	s_and_saveexec_b64 s[0:1], s[14:15]
	s_cbranch_execnz .LBB904_230
.LBB904_44:
	s_or_b64 exec, exec, s[0:1]
                                        ; implicit-def: $vgpr14_vgpr15
	s_and_saveexec_b64 s[0:1], s[16:17]
	s_cbranch_execnz .LBB904_231
.LBB904_45:
	s_or_b64 exec, exec, s[0:1]
                                        ; implicit-def: $vgpr16_vgpr17
	s_and_saveexec_b64 s[0:1], s[18:19]
	s_cbranch_execnz .LBB904_232
.LBB904_46:
	s_or_b64 exec, exec, s[0:1]
                                        ; implicit-def: $vgpr18_vgpr19
	s_and_saveexec_b64 s[0:1], s[20:21]
	s_cbranch_execnz .LBB904_233
.LBB904_47:
	s_or_b64 exec, exec, s[0:1]
                                        ; implicit-def: $vgpr20_vgpr21
	s_and_saveexec_b64 s[0:1], s[22:23]
	s_cbranch_execnz .LBB904_234
.LBB904_48:
	s_or_b64 exec, exec, s[0:1]
                                        ; implicit-def: $vgpr22_vgpr23
	s_and_saveexec_b64 s[0:1], s[24:25]
	s_cbranch_execnz .LBB904_235
.LBB904_49:
	s_or_b64 exec, exec, s[0:1]
                                        ; implicit-def: $vgpr24_vgpr25
	s_and_saveexec_b64 s[0:1], s[26:27]
	s_cbranch_execnz .LBB904_236
.LBB904_50:
	s_or_b64 exec, exec, s[0:1]
                                        ; implicit-def: $vgpr26_vgpr27
	s_and_saveexec_b64 s[0:1], s[28:29]
	s_cbranch_execnz .LBB904_237
.LBB904_51:
	s_or_b64 exec, exec, s[0:1]
                                        ; implicit-def: $vgpr28_vgpr29
	s_and_saveexec_b64 s[0:1], s[30:31]
	s_cbranch_execnz .LBB904_238
.LBB904_52:
	s_or_b64 exec, exec, s[0:1]
                                        ; implicit-def: $vgpr30_vgpr31
	s_and_saveexec_b64 s[0:1], s[34:35]
	s_cbranch_execz .LBB904_54
.LBB904_53:
	v_lshlrev_b32_e32 v1, 3, v41
	global_load_dwordx2 v[30:31], v1, s[60:61]
	s_waitcnt vmcnt(0)
	v_sub_co_u32_e32 v30, vcc, 0, v30
	s_nop 1
	v_subb_co_u32_e32 v31, vcc, 0, v31, vcc
.LBB904_54:
	s_or_b64 exec, exec, s[0:1]
	v_mul_u32_u24_e32 v37, 14, v0
	v_mov_b64_e32 v[78:79], 0
	ds_write2st64_b64 v42, v[2:3], v[6:7] offset1:4
	ds_write2st64_b64 v42, v[8:9], v[10:11] offset0:8 offset1:12
	ds_write2st64_b64 v42, v[12:13], v[14:15] offset0:16 offset1:20
	;; [unrolled: 1-line block ×6, first 2 shown]
	v_cmp_gt_u32_e32 vcc, s69, v37
	s_mov_b64 s[10:11], 0
	s_mov_b64 s[6:7], 0
	s_mov_b32 s68, 0
	v_mov_b32_e32 v80, 0
	v_mov_b32_e32 v91, 0
	v_mov_b64_e32 v[46:47], v[78:79]
	v_mov_b32_e32 v90, 0
	v_mov_b64_e32 v[34:35], v[78:79]
	;; [unrolled: 2-line block ×12, first 2 shown]
	s_waitcnt lgkmcnt(0)
	s_barrier
	s_waitcnt lgkmcnt(0)
                                        ; implicit-def: $sgpr0_sgpr1
                                        ; implicit-def: $vgpr52_vgpr53
	s_and_saveexec_b64 s[8:9], vcc
	s_cbranch_execz .LBB904_80
; %bb.55:
	ds_read_b64 v[2:3], v36
	s_waitcnt vmcnt(0)
	v_cmp_ne_u64_e32 vcc, v[4:5], v[74:75]
	v_or_b32_e32 v4, 1, v37
	v_mov_b64_e32 v[78:79], 0
	v_cndmask_b32_e64 v1, 0, 1, vcc
	v_cmp_gt_u32_e32 vcc, s69, v4
	s_mov_b64 s[12:13], 0
	s_mov_b64 s[0:1], 0
	v_mov_b32_e32 v80, 0
	v_mov_b32_e32 v91, 0
	v_mov_b64_e32 v[46:47], v[78:79]
	v_mov_b32_e32 v90, 0
	v_mov_b64_e32 v[34:35], v[78:79]
	;; [unrolled: 2-line block ×11, first 2 shown]
                                        ; implicit-def: $sgpr14_sgpr15
                                        ; implicit-def: $vgpr52_vgpr53
	s_and_saveexec_b64 s[10:11], vcc
	s_cbranch_execz .LBB904_79
; %bb.56:
	ds_read2_b64 v[14:17], v36 offset0:1 offset1:2
	v_cmp_ne_u64_e32 vcc, v[74:75], v[76:77]
	v_add_u32_e32 v4, 2, v37
	v_mov_b64_e32 v[78:79], 0
	v_cndmask_b32_e64 v82, 0, 1, vcc
	v_cmp_gt_u32_e32 vcc, s69, v4
	s_mov_b64 s[16:17], 0
	v_mov_b32_e32 v80, 0
	v_mov_b32_e32 v91, 0
	v_mov_b64_e32 v[46:47], v[78:79]
	v_mov_b32_e32 v90, 0
	v_mov_b64_e32 v[34:35], v[78:79]
	;; [unrolled: 2-line block ×10, first 2 shown]
                                        ; implicit-def: $sgpr14_sgpr15
                                        ; implicit-def: $vgpr52_vgpr53
	s_and_saveexec_b64 s[12:13], vcc
	s_cbranch_execz .LBB904_78
; %bb.57:
	v_cmp_ne_u64_e32 vcc, v[76:77], v[70:71]
	v_add_u32_e32 v4, 3, v37
	v_mov_b64_e32 v[78:79], 0
	s_waitcnt lgkmcnt(0)
	v_mov_b32_e32 v6, v16
	v_mov_b32_e32 v7, v17
	v_cndmask_b32_e64 v81, 0, 1, vcc
	v_cmp_gt_u32_e32 vcc, s69, v4
	v_mov_b32_e32 v80, 0
	v_mov_b32_e32 v91, 0
	v_mov_b64_e32 v[46:47], v[78:79]
	v_mov_b32_e32 v90, 0
	v_mov_b64_e32 v[34:35], v[78:79]
	;; [unrolled: 2-line block ×9, first 2 shown]
                                        ; implicit-def: $sgpr18_sgpr19
                                        ; implicit-def: $vgpr52_vgpr53
	s_and_saveexec_b64 s[14:15], vcc
	s_cbranch_execz .LBB904_77
; %bb.58:
	ds_read2_b64 v[22:25], v36 offset0:3 offset1:4
	v_cmp_ne_u64_e32 vcc, v[70:71], v[72:73]
	v_add_u32_e32 v4, 4, v37
	v_mov_b64_e32 v[78:79], 0
	v_cndmask_b32_e64 v83, 0, 1, vcc
	v_cmp_gt_u32_e32 vcc, s69, v4
	s_mov_b64 s[20:21], 0
	v_mov_b32_e32 v80, 0
	v_mov_b32_e32 v91, 0
	v_mov_b64_e32 v[46:47], v[78:79]
	v_mov_b32_e32 v90, 0
	v_mov_b64_e32 v[34:35], v[78:79]
	;; [unrolled: 2-line block ×8, first 2 shown]
                                        ; implicit-def: $sgpr18_sgpr19
                                        ; implicit-def: $vgpr52_vgpr53
	s_and_saveexec_b64 s[16:17], vcc
	s_cbranch_execz .LBB904_76
; %bb.59:
	v_cmp_ne_u64_e32 vcc, v[72:73], v[66:67]
	v_add_u32_e32 v4, 5, v37
	v_mov_b64_e32 v[78:79], 0
	s_waitcnt lgkmcnt(0)
	v_mov_b32_e32 v10, v24
	v_mov_b32_e32 v11, v25
	v_cndmask_b32_e64 v84, 0, 1, vcc
	v_cmp_gt_u32_e32 vcc, s69, v4
	v_mov_b32_e32 v80, 0
	v_mov_b32_e32 v91, 0
	v_mov_b64_e32 v[46:47], v[78:79]
	v_mov_b32_e32 v90, 0
	v_mov_b64_e32 v[34:35], v[78:79]
	;; [unrolled: 2-line block ×7, first 2 shown]
                                        ; implicit-def: $sgpr22_sgpr23
                                        ; implicit-def: $vgpr52_vgpr53
	s_and_saveexec_b64 s[18:19], vcc
	s_cbranch_execz .LBB904_75
; %bb.60:
	ds_read2_b64 v[30:33], v36 offset0:5 offset1:6
	v_cmp_ne_u64_e32 vcc, v[66:67], v[68:69]
	v_add_u32_e32 v4, 6, v37
	v_mov_b64_e32 v[78:79], 0
	v_cndmask_b32_e64 v85, 0, 1, vcc
	v_cmp_gt_u32_e32 vcc, s69, v4
	s_mov_b64 s[24:25], 0
	v_mov_b32_e32 v80, 0
	v_mov_b32_e32 v91, 0
	v_mov_b64_e32 v[46:47], v[78:79]
	v_mov_b32_e32 v90, 0
	v_mov_b64_e32 v[34:35], v[78:79]
	;; [unrolled: 2-line block ×6, first 2 shown]
                                        ; implicit-def: $sgpr22_sgpr23
                                        ; implicit-def: $vgpr52_vgpr53
	s_and_saveexec_b64 s[20:21], vcc
	s_cbranch_execz .LBB904_74
; %bb.61:
	v_cmp_ne_u64_e32 vcc, v[68:69], v[62:63]
	v_add_u32_e32 v4, 7, v37
	v_mov_b64_e32 v[78:79], 0
	s_waitcnt lgkmcnt(0)
	v_mov_b32_e32 v18, v32
	v_mov_b32_e32 v19, v33
	v_cndmask_b32_e64 v86, 0, 1, vcc
	v_cmp_gt_u32_e32 vcc, s69, v4
	v_mov_b32_e32 v80, 0
	v_mov_b32_e32 v91, 0
	v_mov_b64_e32 v[46:47], v[78:79]
	v_mov_b32_e32 v90, 0
	v_mov_b64_e32 v[34:35], v[78:79]
	;; [unrolled: 2-line block ×5, first 2 shown]
                                        ; implicit-def: $sgpr26_sgpr27
                                        ; implicit-def: $vgpr52_vgpr53
	s_and_saveexec_b64 s[22:23], vcc
	s_cbranch_execz .LBB904_73
; %bb.62:
	ds_read2_b64 v[38:41], v36 offset0:7 offset1:8
	v_cmp_ne_u64_e32 vcc, v[62:63], v[64:65]
	v_add_u32_e32 v4, 8, v37
	v_mov_b64_e32 v[78:79], 0
	v_cndmask_b32_e64 v87, 0, 1, vcc
	v_cmp_gt_u32_e32 vcc, s69, v4
	s_mov_b64 s[28:29], 0
	v_mov_b32_e32 v80, 0
	v_mov_b32_e32 v91, 0
	v_mov_b64_e32 v[46:47], v[78:79]
	v_mov_b32_e32 v90, 0
	v_mov_b64_e32 v[34:35], v[78:79]
	;; [unrolled: 2-line block ×4, first 2 shown]
                                        ; implicit-def: $sgpr26_sgpr27
                                        ; implicit-def: $vgpr52_vgpr53
	s_and_saveexec_b64 s[24:25], vcc
	s_cbranch_execz .LBB904_72
; %bb.63:
	v_cmp_ne_u64_e32 vcc, v[64:65], v[48:49]
	v_add_u32_e32 v4, 9, v37
	v_mov_b64_e32 v[78:79], 0
	s_waitcnt lgkmcnt(0)
	v_mov_b32_e32 v26, v40
	v_mov_b32_e32 v27, v41
	v_cndmask_b32_e64 v88, 0, 1, vcc
	v_cmp_gt_u32_e32 vcc, s69, v4
	v_mov_b32_e32 v80, 0
	v_mov_b32_e32 v91, 0
	v_mov_b64_e32 v[46:47], v[78:79]
	v_mov_b32_e32 v90, 0
	v_mov_b64_e32 v[34:35], v[78:79]
	v_mov_b32_e32 v89, 0
	v_mov_b64_e32 v[42:43], v[78:79]
                                        ; implicit-def: $sgpr30_sgpr31
                                        ; implicit-def: $vgpr52_vgpr53
	s_and_saveexec_b64 s[26:27], vcc
	s_cbranch_execz .LBB904_71
; %bb.64:
	ds_read2_b64 v[42:45], v36 offset0:9 offset1:10
	v_cmp_ne_u64_e32 vcc, v[48:49], v[50:51]
	v_add_u32_e32 v4, 10, v37
	v_mov_b64_e32 v[78:79], 0
	v_cndmask_b32_e64 v89, 0, 1, vcc
	v_cmp_gt_u32_e32 vcc, s69, v4
	s_mov_b64 s[34:35], 0
	v_mov_b32_e32 v80, 0
	v_mov_b32_e32 v91, 0
	v_mov_b64_e32 v[46:47], v[78:79]
	v_mov_b32_e32 v90, 0
	v_mov_b64_e32 v[34:35], v[78:79]
                                        ; implicit-def: $sgpr30_sgpr31
                                        ; implicit-def: $vgpr52_vgpr53
	s_and_saveexec_b64 s[28:29], vcc
	s_cbranch_execz .LBB904_70
; %bb.65:
	v_cmp_ne_u64_e32 vcc, v[50:51], v[54:55]
	v_add_u32_e32 v4, 11, v37
	v_mov_b64_e32 v[78:79], 0
	s_waitcnt lgkmcnt(0)
	v_mov_b32_e32 v34, v44
	v_mov_b32_e32 v35, v45
	v_cndmask_b32_e64 v90, 0, 1, vcc
	v_cmp_gt_u32_e32 vcc, s69, v4
	v_mov_b32_e32 v80, 0
	v_mov_b32_e32 v91, 0
	v_mov_b64_e32 v[46:47], v[78:79]
                                        ; implicit-def: $sgpr48_sgpr49
                                        ; implicit-def: $vgpr52_vgpr53
	s_and_saveexec_b64 s[30:31], vcc
	s_cbranch_execz .LBB904_69
; %bb.66:
	ds_read2_b64 v[46:49], v36 offset0:11 offset1:12
	v_cmp_ne_u64_e32 vcc, v[54:55], v[56:57]
	v_add_u32_e32 v4, 12, v37
	v_mov_b32_e32 v80, 0
	v_cndmask_b32_e64 v91, 0, 1, vcc
	v_cmp_gt_u32_e32 vcc, s69, v4
	v_mov_b64_e32 v[78:79], 0
                                        ; implicit-def: $sgpr34_sgpr35
                                        ; implicit-def: $vgpr52_vgpr53
	s_and_saveexec_b64 s[48:49], vcc
	s_xor_b64 s[48:49], exec, s[48:49]
	s_cbranch_execz .LBB904_68
; %bb.67:
	ds_read_b64 v[52:53], v36 offset:104
	v_cmp_ne_u64_e64 s[0:1], v[56:57], v[58:59]
	v_add_u32_e32 v4, 13, v37
	v_cmp_ne_u64_e32 vcc, v[58:59], v[60:61]
	v_cndmask_b32_e64 v80, 0, 1, s[0:1]
	v_cmp_gt_u32_e64 s[0:1], s69, v4
	s_and_b64 s[34:35], vcc, exec
	s_and_b64 s[0:1], s[0:1], exec
	s_waitcnt lgkmcnt(1)
	v_mov_b64_e32 v[50:51], v[48:49]
	v_mov_b64_e32 v[78:79], v[48:49]
.LBB904_68:
	s_or_b64 exec, exec, s[48:49]
	s_and_b64 s[48:49], s[34:35], exec
	s_and_b64 s[34:35], s[0:1], exec
.LBB904_69:
	s_or_b64 exec, exec, s[30:31]
	s_and_b64 s[30:31], s[48:49], exec
	s_and_b64 s[0:1], s[34:35], exec
	s_waitcnt lgkmcnt(0)
	v_mov_b64_e32 v[36:37], v[46:47]
	v_mov_b64_e32 v[28:29], v[42:43]
	;; [unrolled: 1-line block ×6, first 2 shown]
.LBB904_70:
	s_or_b64 exec, exec, s[28:29]
	s_and_b64 s[30:31], s[30:31], exec
	s_and_b64 s[28:29], s[0:1], exec
.LBB904_71:
	s_or_b64 exec, exec, s[26:27]
	s_and_b64 s[26:27], s[30:31], exec
	s_and_b64 s[0:1], s[28:29], exec
.LBB904_72:
	s_or_b64 exec, exec, s[24:25]
	s_and_b64 s[26:27], s[26:27], exec
	s_and_b64 s[24:25], s[0:1], exec
.LBB904_73:
	s_or_b64 exec, exec, s[22:23]
	s_and_b64 s[22:23], s[26:27], exec
	s_and_b64 s[0:1], s[24:25], exec
.LBB904_74:
	s_or_b64 exec, exec, s[20:21]
	s_and_b64 s[22:23], s[22:23], exec
	s_and_b64 s[20:21], s[0:1], exec
.LBB904_75:
	s_or_b64 exec, exec, s[18:19]
	s_and_b64 s[18:19], s[22:23], exec
	s_and_b64 s[0:1], s[20:21], exec
.LBB904_76:
	s_or_b64 exec, exec, s[16:17]
	s_and_b64 s[18:19], s[18:19], exec
	s_and_b64 s[16:17], s[0:1], exec
.LBB904_77:
	s_or_b64 exec, exec, s[14:15]
	s_and_b64 s[14:15], s[18:19], exec
	s_and_b64 s[0:1], s[16:17], exec
.LBB904_78:
	s_or_b64 exec, exec, s[12:13]
	s_and_b64 s[14:15], s[14:15], exec
	s_and_b64 s[12:13], s[0:1], exec
.LBB904_79:
	s_or_b64 exec, exec, s[10:11]
	s_and_b64 s[0:1], s[14:15], exec
	s_and_b64 s[10:11], s[12:13], exec
.LBB904_80:
	s_or_b64 exec, exec, s[8:9]
	s_mov_b64 s[8:9], 0
	s_and_b64 vcc, exec, s[6:7]
	s_waitcnt lgkmcnt(0)
	v_lshlrev_b32_e32 v32, 3, v0
	s_cbranch_vccnz .LBB904_82
	s_branch .LBB904_90
.LBB904_81:
                                        ; implicit-def: $sgpr0_sgpr1
                                        ; implicit-def: $vgpr52_vgpr53
                                        ; implicit-def: $vgpr80
                                        ; implicit-def: $vgpr91
                                        ; implicit-def: $vgpr36_vgpr37
                                        ; implicit-def: $vgpr90
                                        ; implicit-def: $vgpr89
                                        ; implicit-def: $vgpr28_vgpr29
                                        ; implicit-def: $vgpr88
                                        ; implicit-def: $vgpr87
                                        ; implicit-def: $vgpr20_vgpr21
                                        ; implicit-def: $vgpr86
                                        ; implicit-def: $vgpr85
                                        ; implicit-def: $vgpr12_vgpr13
                                        ; implicit-def: $vgpr84
                                        ; implicit-def: $vgpr83
                                        ; implicit-def: $vgpr8_vgpr9
                                        ; implicit-def: $vgpr81
                                        ; implicit-def: $vgpr82
                                        ; implicit-def: $vgpr4_vgpr5
                                        ; implicit-def: $vgpr1
                                        ; implicit-def: $sgpr68
                                        ; implicit-def: $sgpr8_sgpr9
                                        ; implicit-def: $vgpr78_vgpr79
                                        ; implicit-def: $vgpr46_vgpr47
                                        ; implicit-def: $vgpr42_vgpr43
                                        ; implicit-def: $vgpr38_vgpr39
                                        ; implicit-def: $vgpr30_vgpr31
                                        ; implicit-def: $vgpr22_vgpr23
                                        ; implicit-def: $vgpr14_vgpr15
	s_and_b64 vcc, exec, s[6:7]
	v_lshlrev_b32_e32 v32, 3, v0
	s_cbranch_vccz .LBB904_90
.LBB904_82:
	v_mov_b32_e32 v33, 0
	v_lshl_add_u64 v[2:3], s[62:63], 0, v[32:33]
	s_waitcnt vmcnt(0)
	v_add_co_u32_e32 v4, vcc, 0x1000, v2
	s_movk_i32 s0, 0x68
	s_nop 0
	v_addc_co_u32_e32 v5, vcc, 0, v3, vcc
	flat_load_dwordx2 v[6:7], v[2:3]
	flat_load_dwordx2 v[8:9], v[2:3] offset:2048
	flat_load_dwordx2 v[10:11], v[4:5]
	flat_load_dwordx2 v[12:13], v[4:5] offset:2048
	v_add_co_u32_e32 v4, vcc, 0x2000, v2
	v_mad_u32_u24 v1, v0, s0, v32
	s_nop 0
	v_addc_co_u32_e32 v5, vcc, 0, v3, vcc
	v_add_co_u32_e32 v14, vcc, 0x3000, v2
	s_cmp_eq_u64 s[66:67], 0
	s_nop 0
	v_addc_co_u32_e32 v15, vcc, 0, v3, vcc
	flat_load_dwordx2 v[16:17], v[4:5]
	flat_load_dwordx2 v[18:19], v[4:5] offset:2048
	flat_load_dwordx2 v[20:21], v[14:15]
	flat_load_dwordx2 v[22:23], v[14:15] offset:2048
	v_add_co_u32_e32 v4, vcc, 0x4000, v2
	s_nop 1
	v_addc_co_u32_e32 v5, vcc, 0, v3, vcc
	v_add_co_u32_e32 v14, vcc, 0x5000, v2
	s_nop 1
	v_addc_co_u32_e32 v15, vcc, 0, v3, vcc
	v_add_co_u32_e32 v2, vcc, 0x6000, v2
	flat_load_dwordx2 v[24:25], v[4:5]
	flat_load_dwordx2 v[26:27], v[4:5] offset:2048
	flat_load_dwordx2 v[28:29], v[14:15]
	flat_load_dwordx2 v[30:31], v[14:15] offset:2048
	v_addc_co_u32_e32 v3, vcc, 0, v3, vcc
	flat_load_dwordx2 v[4:5], v[2:3]
	flat_load_dwordx2 v[14:15], v[2:3] offset:2048
	s_waitcnt vmcnt(0) lgkmcnt(0)
	ds_write2st64_b64 v32, v[6:7], v[8:9] offset1:4
	ds_write2st64_b64 v32, v[10:11], v[12:13] offset0:8 offset1:12
	ds_write2st64_b64 v32, v[16:17], v[18:19] offset0:16 offset1:20
	;; [unrolled: 1-line block ×6, first 2 shown]
	s_waitcnt lgkmcnt(0)
	s_barrier
	ds_read_b128 v[14:17], v1
	ds_read_b128 v[2:5], v1 offset:16
	ds_read_b128 v[6:9], v1 offset:32
	ds_read_b128 v[10:13], v1 offset:48
	ds_read_b128 v[18:21], v1 offset:64
	ds_read_b128 v[22:25], v1 offset:80
	ds_read_b128 v[26:29], v1 offset:96
	s_cbranch_scc1 .LBB904_87
; %bb.83:
	s_andn2_b64 vcc, exec, s[64:65]
	s_cbranch_vccnz .LBB904_240
; %bb.84:
	s_lshl_b64 s[0:1], s[66:67], 3
	s_add_u32 s0, s54, s0
	s_addc_u32 s1, s55, s1
	s_add_u32 s0, s0, -8
	s_addc_u32 s1, s1, -1
	s_cbranch_execnz .LBB904_86
.LBB904_85:
	s_add_u32 s0, s62, -8
	s_addc_u32 s1, s63, -1
.LBB904_86:
	s_mov_b64 s[62:63], s[0:1]
.LBB904_87:
	v_mov_b64_e32 v[30:31], s[62:63]
	flat_load_dwordx2 v[30:31], v[30:31]
	s_movk_i32 s0, 0xff98
	v_mad_i32_i24 v33, v0, s0, v1
	s_waitcnt lgkmcnt(0)
	ds_write_b64 v33, v[28:29] offset:28672
	s_waitcnt lgkmcnt(0)
	s_barrier
	s_and_saveexec_b64 s[0:1], s[4:5]
	s_cbranch_execz .LBB904_89
; %bb.88:
	s_waitcnt vmcnt(0)
	v_mul_i32_i24_e32 v30, 0xffffff98, v0
	v_add_u32_e32 v30, v1, v30
	ds_read_b64 v[30:31], v30 offset:28664
.LBB904_89:
	s_or_b64 exec, exec, s[0:1]
	v_mov_b32_e32 v33, 0
	s_waitcnt lgkmcnt(0)
	s_barrier
	v_lshl_add_u64 v[34:35], s[60:61], 0, v[32:33]
	global_load_dwordx2 v[36:37], v32, s[60:61]
	global_load_dwordx2 v[38:39], v32, s[60:61] offset:2048
	s_movk_i32 s1, 0x2000
	v_add_co_u32_e32 v40, vcc, s1, v34
	s_movk_i32 s0, 0x1000
	s_nop 0
	v_addc_co_u32_e32 v41, vcc, 0, v35, vcc
	global_load_dwordx2 v[42:43], v[40:41], off offset:-4096
	v_add_co_u32_e32 v44, vcc, s0, v34
	s_movk_i32 s1, 0x4000
	s_nop 0
	v_addc_co_u32_e32 v45, vcc, 0, v35, vcc
	global_load_dwordx2 v[46:47], v[44:45], off offset:2048
	global_load_dwordx2 v[48:49], v[40:41], off
	global_load_dwordx2 v[50:51], v[40:41], off offset:2048
	v_add_co_u32_e32 v40, vcc, s1, v34
	s_movk_i32 s0, 0x3000
	s_nop 0
	v_addc_co_u32_e32 v41, vcc, 0, v35, vcc
	global_load_dwordx2 v[44:45], v[40:41], off offset:-4096
	v_add_co_u32_e32 v52, vcc, s0, v34
	s_movk_i32 s1, 0x6000
	s_nop 0
	v_addc_co_u32_e32 v53, vcc, 0, v35, vcc
	global_load_dwordx2 v[54:55], v[52:53], off offset:2048
	global_load_dwordx2 v[56:57], v[40:41], off
	global_load_dwordx2 v[58:59], v[40:41], off offset:2048
	v_add_co_u32_e32 v40, vcc, s1, v34
	s_movk_i32 s0, 0x5000
	s_nop 0
	v_addc_co_u32_e32 v41, vcc, 0, v35, vcc
	global_load_dwordx2 v[52:53], v[40:41], off offset:-4096
	v_add_co_u32_e32 v34, vcc, s0, v34
	v_cmp_ne_u64_e64 s[0:1], v[26:27], v[28:29]
	s_nop 0
	v_addc_co_u32_e32 v35, vcc, 0, v35, vcc
	global_load_dwordx2 v[60:61], v[34:35], off offset:2048
	global_load_dwordx2 v[62:63], v[40:41], off
	global_load_dwordx2 v[64:65], v[40:41], off offset:2048
	v_cmp_ne_u64_e32 vcc, v[24:25], v[26:27]
	s_mov_b64 s[10:11], -1
                                        ; implicit-def: $sgpr68
                                        ; implicit-def: $sgpr8_sgpr9
                                        ; implicit-def: $vgpr78_vgpr79
	s_nop 0
	v_cndmask_b32_e64 v80, 0, 1, vcc
	v_cmp_ne_u64_e32 vcc, v[22:23], v[24:25]
	s_nop 1
	v_cndmask_b32_e64 v91, 0, 1, vcc
	v_cmp_ne_u64_e32 vcc, v[20:21], v[22:23]
	;; [unrolled: 3-line block ×10, first 2 shown]
	s_nop 1
	v_cndmask_b32_e64 v81, 0, 1, vcc
	s_waitcnt vmcnt(0)
	v_sub_co_u32_e32 v2, vcc, 0, v36
	s_nop 1
	v_subb_co_u32_e32 v3, vcc, 0, v37, vcc
	v_sub_co_u32_e32 v4, vcc, 0, v38
	s_nop 1
	v_subb_co_u32_e32 v5, vcc, 0, v39, vcc
	v_sub_co_u32_e32 v6, vcc, 0, v42
                                        ; implicit-def: $vgpr38_vgpr39
	s_nop 1
	v_subb_co_u32_e32 v7, vcc, 0, v43, vcc
	v_sub_co_u32_e32 v8, vcc, 0, v46
                                        ; implicit-def: $vgpr42_vgpr43
	s_nop 1
	v_subb_co_u32_e32 v9, vcc, 0, v47, vcc
	v_sub_co_u32_e32 v10, vcc, 0, v48
                                        ; implicit-def: $vgpr46_vgpr47
	s_nop 1
	v_subb_co_u32_e32 v11, vcc, 0, v49, vcc
	v_sub_co_u32_e32 v12, vcc, 0, v50
	s_nop 1
	v_subb_co_u32_e32 v13, vcc, 0, v51, vcc
	v_sub_co_u32_e32 v18, vcc, 0, v44
	s_nop 1
	v_subb_co_u32_e32 v19, vcc, 0, v45, vcc
	v_sub_co_u32_e32 v20, vcc, 0, v54
	s_nop 1
	v_subb_co_u32_e32 v21, vcc, 0, v55, vcc
	v_sub_co_u32_e32 v22, vcc, 0, v56
	s_nop 1
	v_subb_co_u32_e32 v23, vcc, 0, v57, vcc
	v_sub_co_u32_e32 v24, vcc, 0, v58
	s_nop 1
	v_subb_co_u32_e32 v25, vcc, 0, v59, vcc
	v_sub_co_u32_e32 v26, vcc, 0, v52
	s_nop 1
	v_subb_co_u32_e32 v27, vcc, 0, v53, vcc
	v_sub_co_u32_e32 v28, vcc, 0, v60
	s_nop 1
	v_subb_co_u32_e32 v29, vcc, 0, v61, vcc
	v_sub_co_u32_e32 v34, vcc, 0, v62
	s_nop 1
	v_subb_co_u32_e32 v35, vcc, 0, v63, vcc
	v_sub_co_u32_e32 v36, vcc, 0, v64
	s_nop 1
	v_subb_co_u32_e32 v37, vcc, 0, v65, vcc
	ds_write2st64_b64 v32, v[2:3], v[4:5] offset1:4
	ds_write2st64_b64 v32, v[6:7], v[8:9] offset0:8 offset1:12
	ds_write2st64_b64 v32, v[10:11], v[12:13] offset0:16 offset1:20
	;; [unrolled: 1-line block ×6, first 2 shown]
	s_waitcnt lgkmcnt(0)
	s_barrier
	ds_read_b128 v[2:5], v1
	ds_read_b128 v[6:9], v1 offset:16
	ds_read_b128 v[10:13], v1 offset:32
	;; [unrolled: 1-line block ×6, first 2 shown]
	v_cmp_ne_u64_e32 vcc, v[14:15], v[16:17]
                                        ; implicit-def: $vgpr22_vgpr23
	s_nop 1
	v_cndmask_b32_e64 v82, 0, 1, vcc
	v_cmp_ne_u64_e32 vcc, v[30:31], v[14:15]
                                        ; implicit-def: $vgpr30_vgpr31
                                        ; implicit-def: $vgpr14_vgpr15
	s_nop 1
	v_cndmask_b32_e64 v1, 0, 1, vcc
.LBB904_90:
	v_mov_b64_e32 v[16:17], s[8:9]
	v_mov_b32_e32 v33, s68
	s_and_saveexec_b64 s[6:7], s[10:11]
	s_cbranch_execz .LBB904_92
; %bb.91:
	v_cndmask_b32_e64 v33, 0, 1, s[0:1]
	s_waitcnt vmcnt(0) lgkmcnt(0)
	v_mov_b64_e32 v[14:15], v[4:5]
	v_mov_b64_e32 v[22:23], v[8:9]
	;; [unrolled: 1-line block ×8, first 2 shown]
.LBB904_92:
	s_or_b64 exec, exec, s[6:7]
	s_waitcnt vmcnt(0) lgkmcnt(0)
	v_or_b32_e32 v4, v33, v80
	s_cmp_lg_u32 s47, 0
	v_or_b32_e32 v29, v4, v91
	v_mbcnt_lo_u32_b32 v28, -1, 0
	s_barrier
	s_cbranch_scc0 .LBB904_163
; %bb.93:
	v_mov_b32_e32 v8, 0
	v_cmp_eq_u16_sdwa s[6:7], v82, v8 src0_sel:BYTE_0 src1_sel:DWORD
	v_cmp_eq_u16_sdwa s[8:9], v81, v8 src0_sel:BYTE_0 src1_sel:DWORD
	v_cmp_eq_u16_sdwa s[10:11], v83, v8 src0_sel:BYTE_0 src1_sel:DWORD
	v_cndmask_b32_e64 v5, 0, v3, s[6:7]
	v_cndmask_b32_e64 v4, 0, v2, s[6:7]
	v_lshl_add_u64 v[4:5], v[4:5], 0, v[14:15]
	v_cndmask_b32_e64 v5, 0, v5, s[8:9]
	v_cndmask_b32_e64 v4, 0, v4, s[8:9]
	v_lshl_add_u64 v[4:5], v[4:5], 0, v[6:7]
	v_cndmask_b32_e64 v5, 0, v5, s[10:11]
	v_cndmask_b32_e64 v4, 0, v4, s[10:11]
	v_lshl_add_u64 v[4:5], v[4:5], 0, v[22:23]
	v_cmp_eq_u16_sdwa s[12:13], v84, v8 src0_sel:BYTE_0 src1_sel:DWORD
	v_cmp_eq_u16_sdwa s[14:15], v85, v8 src0_sel:BYTE_0 src1_sel:DWORD
	v_cmp_eq_u16_sdwa s[16:17], v86, v8 src0_sel:BYTE_0 src1_sel:DWORD
	v_cndmask_b32_e64 v5, 0, v5, s[12:13]
	v_cndmask_b32_e64 v4, 0, v4, s[12:13]
	v_lshl_add_u64 v[4:5], v[4:5], 0, v[10:11]
	v_cndmask_b32_e64 v5, 0, v5, s[14:15]
	v_cndmask_b32_e64 v4, 0, v4, s[14:15]
	v_lshl_add_u64 v[4:5], v[4:5], 0, v[30:31]
	v_cndmask_b32_e64 v5, 0, v5, s[16:17]
	v_cndmask_b32_e64 v4, 0, v4, s[16:17]
	v_lshl_add_u64 v[4:5], v[4:5], 0, v[18:19]
	;; [unrolled: 12-line block ×4, first 2 shown]
	v_cmp_eq_u16_sdwa s[30:31], v33, v8 src0_sel:BYTE_0 src1_sel:DWORD
	v_and_b32_e32 v12, 0xff, v1
	v_mbcnt_hi_u32_b32 v44, -1, v28
	v_cndmask_b32_e64 v5, 0, v5, s[30:31]
	v_cndmask_b32_e64 v4, 0, v4, s[30:31]
	v_lshl_add_u64 v[8:9], v[4:5], 0, v[16:17]
	v_or_b32_e32 v4, v29, v90
	v_or_b32_e32 v4, v4, v89
	;; [unrolled: 1-line block ×10, first 2 shown]
	v_and_b32_e32 v4, 1, v4
	v_cmp_eq_u32_e32 vcc, 1, v4
	v_and_b32_e32 v4, 15, v44
	v_mov_b32_dpp v13, v8 row_shr:1 row_mask:0xf bank_mask:0xf
	v_cndmask_b32_e64 v12, v12, 1, vcc
	v_mov_b32_dpp v20, v9 row_shr:1 row_mask:0xf bank_mask:0xf
	v_cmp_ne_u32_e32 vcc, 0, v4
	v_mov_b32_dpp v5, v12 row_shr:1 row_mask:0xf bank_mask:0xf
	s_and_saveexec_b64 s[0:1], vcc
; %bb.94:
	v_cmp_eq_u32_e32 vcc, 0, v12
	v_and_or_b32 v12, v5, 1, v12
	s_nop 0
	v_cndmask_b32_e32 v21, 0, v20, vcc
	v_cndmask_b32_e32 v20, 0, v13, vcc
	v_lshl_add_u64 v[8:9], v[20:21], 0, v[8:9]
; %bb.95:
	s_or_b64 exec, exec, s[0:1]
	s_nop 0
	v_mov_b32_dpp v13, v8 row_shr:2 row_mask:0xf bank_mask:0xf
	v_mov_b32_dpp v20, v9 row_shr:2 row_mask:0xf bank_mask:0xf
	v_mov_b32_dpp v5, v12 row_shr:2 row_mask:0xf bank_mask:0xf
	v_cmp_lt_u32_e32 vcc, 1, v4
	s_and_saveexec_b64 s[0:1], vcc
; %bb.96:
	v_cmp_eq_u32_e32 vcc, 0, v12
	v_or_b32_e32 v5, v5, v12
	v_and_b32_e32 v12, 1, v5
	v_cndmask_b32_e32 v21, 0, v20, vcc
	v_cndmask_b32_e32 v20, 0, v13, vcc
	v_lshl_add_u64 v[8:9], v[20:21], 0, v[8:9]
; %bb.97:
	s_or_b64 exec, exec, s[0:1]
	s_nop 0
	v_mov_b32_dpp v13, v8 row_shr:4 row_mask:0xf bank_mask:0xf
	v_mov_b32_dpp v20, v9 row_shr:4 row_mask:0xf bank_mask:0xf
	v_mov_b32_dpp v5, v12 row_shr:4 row_mask:0xf bank_mask:0xf
	v_cmp_lt_u32_e32 vcc, 3, v4
	s_and_saveexec_b64 s[0:1], vcc
; %bb.98:
	v_cmp_eq_u32_e32 vcc, 0, v12
	v_or_b32_e32 v5, v5, v12
	v_and_b32_e32 v12, 1, v5
	;; [unrolled: 15-line block ×3, first 2 shown]
	v_cndmask_b32_e32 v21, 0, v20, vcc
	v_cndmask_b32_e32 v20, 0, v13, vcc
	v_lshl_add_u64 v[8:9], v[20:21], 0, v[8:9]
; %bb.101:
	s_or_b64 exec, exec, s[0:1]
	v_and_b32_e32 v20, 16, v44
	v_mov_b32_dpp v5, v8 row_bcast:15 row_mask:0xf bank_mask:0xf
	v_mov_b32_dpp v13, v9 row_bcast:15 row_mask:0xf bank_mask:0xf
	v_mov_b32_dpp v4, v12 row_bcast:15 row_mask:0xf bank_mask:0xf
	v_cmp_ne_u32_e32 vcc, 0, v20
	s_and_saveexec_b64 s[0:1], vcc
; %bb.102:
	v_cmp_eq_u32_e32 vcc, 0, v12
	v_or_b32_e32 v4, v4, v12
	v_and_b32_e32 v12, 1, v4
	v_cndmask_b32_e32 v21, 0, v13, vcc
	v_cndmask_b32_e32 v20, 0, v5, vcc
	v_lshl_add_u64 v[8:9], v[20:21], 0, v[8:9]
; %bb.103:
	s_or_b64 exec, exec, s[0:1]
	s_nop 0
	v_mov_b32_dpp v13, v8 row_bcast:31 row_mask:0xf bank_mask:0xf
	v_mov_b32_dpp v20, v9 row_bcast:31 row_mask:0xf bank_mask:0xf
	;; [unrolled: 1-line block ×3, first 2 shown]
	v_cmp_lt_u32_e32 vcc, 31, v44
	v_mov_b32_e32 v4, v12
	s_and_saveexec_b64 s[0:1], vcc
; %bb.104:
	v_cmp_eq_u32_e32 vcc, 0, v12
	v_or_b32_e32 v5, v5, v12
	v_and_b32_e32 v4, 1, v5
	v_cndmask_b32_e32 v21, 0, v20, vcc
	v_cndmask_b32_e32 v20, 0, v13, vcc
	v_lshl_add_u64 v[8:9], v[20:21], 0, v[8:9]
	v_and_b32_e32 v12, 1, v5
; %bb.105:
	s_or_b64 exec, exec, s[0:1]
	v_or_b32_e32 v5, 63, v0
	v_lshrrev_b32_e32 v13, 6, v0
	v_cmp_eq_u32_e32 vcc, v5, v0
	s_and_saveexec_b64 s[0:1], vcc
	s_cbranch_execz .LBB904_107
; %bb.106:
	v_lshlrev_b32_e32 v5, 4, v13
	ds_write_b64 v5, v[8:9]
	ds_write_b8 v5, v4 offset:8
.LBB904_107:
	s_or_b64 exec, exec, s[0:1]
	v_cmp_gt_u32_e32 vcc, 4, v0
	s_waitcnt lgkmcnt(0)
	s_barrier
	s_and_saveexec_b64 s[34:35], vcc
	s_cbranch_execz .LBB904_113
; %bb.108:
	v_lshlrev_b32_e32 v20, 4, v0
	ds_read_b64 v[4:5], v20
	ds_read_b32 v21, v20 offset:8
	v_and_b32_e32 v24, 3, v44
	v_cmp_ne_u32_e32 vcc, 0, v24
	s_waitcnt lgkmcnt(1)
	v_mov_b32_dpp v40, v4 row_shr:1 row_mask:0xf bank_mask:0xf
	v_mov_b32_dpp v41, v5 row_shr:1 row_mask:0xf bank_mask:0xf
	s_waitcnt lgkmcnt(0)
	v_mov_b32_dpp v37, v21 row_shr:1 row_mask:0xf bank_mask:0xf
	v_mov_b32_e32 v25, v21
	v_mov_b32_e32 v36, v21
	s_and_saveexec_b64 s[0:1], vcc
; %bb.109:
	v_mov_b32_e32 v25, 0
	v_cmp_eq_u16_sdwa vcc, v21, v25 src0_sel:BYTE_0 src1_sel:DWORD
	v_or_b32_e32 v36, v37, v21
	v_and_b32_e32 v25, 1, v36
	v_cndmask_b32_e32 v41, 0, v41, vcc
	v_cndmask_b32_e32 v40, 0, v40, vcc
	v_and_b32_e32 v36, 1, v36
	s_movk_i32 s48, 0xff00
	v_lshl_add_u64 v[4:5], v[40:41], 0, v[4:5]
	v_and_or_b32 v21, v21, s48, v36
; %bb.110:
	s_or_b64 exec, exec, s[0:1]
	v_mov_b32_dpp v37, v4 row_shr:2 row_mask:0xf bank_mask:0xf
	v_mov_b32_dpp v40, v5 row_shr:2 row_mask:0xf bank_mask:0xf
	;; [unrolled: 1-line block ×3, first 2 shown]
	v_cmp_lt_u32_e32 vcc, 1, v24
	s_and_saveexec_b64 s[48:49], vcc
; %bb.111:
	v_mov_b32_e32 v24, 0
	v_cmp_eq_u16_sdwa vcc, v36, v24 src0_sel:BYTE_0 src1_sel:DWORD
	v_and_b32_e32 v21, 1, v21
	v_cmp_eq_u32_e64 s[0:1], 1, v21
	v_cndmask_b32_e32 v25, 0, v40, vcc
	v_cndmask_b32_e32 v24, 0, v37, vcc
	v_lshl_add_u64 v[4:5], v[24:25], 0, v[4:5]
	v_and_b32_e32 v24, 1, v36
	v_cmp_eq_u32_e32 vcc, 1, v24
	s_or_b64 s[0:1], vcc, s[0:1]
	v_cndmask_b32_e64 v25, 0, 1, s[0:1]
; %bb.112:
	s_or_b64 exec, exec, s[48:49]
	ds_write_b64 v20, v[4:5]
	ds_write_b8 v20, v25 offset:8
.LBB904_113:
	s_or_b64 exec, exec, s[34:35]
	v_cmp_gt_u32_e32 vcc, 64, v0
	v_cmp_lt_u32_e64 s[0:1], 63, v0
	v_mov_b32_e32 v36, 0
	v_mov_b64_e32 v[4:5], 0
	s_waitcnt lgkmcnt(0)
	s_barrier
	s_and_saveexec_b64 s[34:35], s[0:1]
	s_cbranch_execz .LBB904_115
; %bb.114:
	v_lshl_add_u32 v13, v13, 4, -16
	ds_read_b64 v[4:5], v13
	ds_read_u8 v36, v13 offset:8
	v_and_b32_e32 v20, 1, v12
	v_cmp_eq_u32_e64 s[0:1], 0, v12
	s_waitcnt lgkmcnt(1)
	s_nop 0
	v_cndmask_b32_e64 v13, 0, v5, s[0:1]
	v_cndmask_b32_e64 v12, 0, v4, s[0:1]
	v_cmp_eq_u32_e64 s[0:1], 1, v20
	v_lshl_add_u64 v[8:9], v[12:13], 0, v[8:9]
	s_waitcnt lgkmcnt(0)
	v_cndmask_b32_e64 v12, v36, 1, s[0:1]
.LBB904_115:
	s_or_b64 exec, exec, s[34:35]
	v_add_u32_e32 v13, -1, v44
	v_and_b32_e32 v20, 64, v44
	v_cmp_lt_i32_e64 s[0:1], v13, v20
	v_cmp_eq_u32_e64 s[34:35], 0, v44
	s_nop 0
	v_cndmask_b32_e64 v13, v13, v44, s[0:1]
	v_lshlrev_b32_e32 v13, 2, v13
	ds_bpermute_b32 v37, v13, v8
	ds_bpermute_b32 v40, v13, v9
	;; [unrolled: 1-line block ×3, first 2 shown]
	s_and_saveexec_b64 s[48:49], vcc
	s_cbranch_execz .LBB904_162
; %bb.116:
	v_mov_b32_e32 v13, 0
	ds_read2_b64 v[48:51], v13 offset0:6 offset1:7
	s_and_saveexec_b64 s[0:1], s[34:35]
	s_cbranch_execz .LBB904_118
; %bb.117:
	s_add_i32 s54, s47, 64
	s_mov_b32 s55, 0
	s_lshl_b64 s[60:61], s[54:55], 4
	s_add_u32 s60, s40, s60
	s_addc_u32 s61, s41, s61
	v_mov_b32_e32 v8, s54
	v_mov_b32_e32 v9, 1
	s_waitcnt lgkmcnt(0)
	global_store_dword v13, v48, s[60:61] sc1
	global_store_dword v13, v49, s[60:61] offset:4 sc1
	global_store_dword v13, v50, s[60:61] offset:8 sc1
	;; [unrolled: 1-line block ×3, first 2 shown]
	s_waitcnt vmcnt(0)
	global_store_byte v8, v9, s[44:45] sc1
.LBB904_118:
	s_or_b64 exec, exec, s[0:1]
	v_xad_u32 v8, v44, -1, s47
	v_add_u32_e32 v12, 64, v8
	global_load_ubyte v45, v12, s[44:45] sc1
	s_waitcnt vmcnt(0)
	v_cmp_eq_u16_e32 vcc, 0, v45
	s_and_saveexec_b64 s[0:1], vcc
	s_cbranch_execz .LBB904_124
; %bb.119:
	v_lshl_add_u64 v[20:21], s[44:45], 0, v[12:13]
	s_mov_b32 s60, 1
	s_mov_b64 s[54:55], 0
.LBB904_120:                            ; =>This Loop Header: Depth=1
                                        ;     Child Loop BB904_121 Depth 2
	s_max_u32 s61, s60, 1
.LBB904_121:                            ;   Parent Loop BB904_120 Depth=1
                                        ; =>  This Inner Loop Header: Depth=2
	s_add_i32 s61, s61, -1
	s_cmp_eq_u32 s61, 0
	s_sleep 1
	s_cbranch_scc0 .LBB904_121
; %bb.122:                              ;   in Loop: Header=BB904_120 Depth=1
	global_load_ubyte v45, v[20:21], off sc1
	s_cmp_lt_u32 s60, 32
	s_cselect_b64 s[62:63], -1, 0
	s_cmp_lg_u64 s[62:63], 0
	s_addc_u32 s60, s60, 0
	s_waitcnt vmcnt(0)
	v_cmp_ne_u16_e32 vcc, 0, v45
	s_or_b64 s[54:55], vcc, s[54:55]
	s_andn2_b64 exec, exec, s[54:55]
	s_cbranch_execnz .LBB904_120
; %bb.123:
	s_or_b64 exec, exec, s[54:55]
.LBB904_124:
	s_or_b64 exec, exec, s[0:1]
	v_mov_b32_e32 v9, s43
	v_mov_b32_e32 v20, s41
	v_cmp_eq_u16_e32 vcc, 1, v45
	s_waitcnt vmcnt(0) lgkmcnt(0)
	s_nop 0
	v_cndmask_b32_e32 v21, v9, v20, vcc
	v_mov_b32_e32 v9, s42
	v_mov_b32_e32 v20, s40
	v_cndmask_b32_e32 v20, v9, v20, vcc
	v_lshl_add_u64 v[12:13], v[12:13], 4, v[20:21]
	global_load_dword v24, v[12:13], off sc1
	global_load_dword v25, v[12:13], off offset:4 sc1
	global_load_dword v64, v[12:13], off offset:8 sc1
	;; [unrolled: 1-line block ×3, first 2 shown]
	v_cmp_eq_u16_e32 vcc, 2, v45
	v_lshlrev_b64 v[12:13], v44, -1
	v_and_b32_e32 v51, 63, v44
	s_waitcnt vmcnt(0)
	v_and_b32_e32 v9, vcc_hi, v13
	v_and_b32_e32 v55, vcc_lo, v12
	v_cmp_ne_u32_e32 vcc, 63, v51
	v_or_b32_e32 v9, 0x80000000, v9
	v_ffbl_b32_e32 v9, v9
	v_addc_co_u32_e32 v20, vcc, 0, v44, vcc
	v_lshlrev_b32_e32 v52, 2, v20
	v_add_u32_e32 v9, 32, v9
	v_ffbl_b32_e32 v55, v55
	v_min_u32_e32 v9, v55, v9
	v_cmp_lt_u32_e32 vcc, v51, v9
	ds_bpermute_b32 v53, v52, v24
	ds_bpermute_b32 v54, v52, v25
	v_and_b32_e32 v20, 0xff, v64
	ds_bpermute_b32 v21, v52, v20
	s_and_saveexec_b64 s[0:1], vcc
	s_cbranch_execz .LBB904_126
; %bb.125:
	v_mov_b32_e32 v20, 0
	v_cmp_eq_u16_sdwa vcc, v64, v20 src0_sel:BYTE_0 src1_sel:DWORD
	s_waitcnt lgkmcnt(0)
	v_or_b32_e32 v20, v21, v64
	v_and_b32_e32 v64, 1, v20
	v_cndmask_b32_e32 v55, 0, v54, vcc
	v_cndmask_b32_e32 v54, 0, v53, vcc
	v_lshl_add_u64 v[24:25], v[54:55], 0, v[24:25]
	v_and_b32_e32 v20, 1, v20
.LBB904_126:
	s_or_b64 exec, exec, s[0:1]
	v_cmp_gt_u32_e32 vcc, 62, v51
	s_waitcnt lgkmcnt(1)
	v_add_u32_e32 v54, 2, v51
	s_waitcnt lgkmcnt(0)
	v_cndmask_b32_e64 v21, 0, 1, vcc
	v_lshlrev_b32_e32 v21, 1, v21
	v_add_lshl_u32 v53, v21, v44, 2
	ds_bpermute_b32 v55, v53, v24
	ds_bpermute_b32 v56, v53, v25
	ds_bpermute_b32 v21, v53, v20
	v_cmp_le_u32_e32 vcc, v54, v9
	s_and_saveexec_b64 s[54:55], vcc
	s_cbranch_execz .LBB904_128
; %bb.127:
	v_mov_b32_e32 v20, 0
	v_cmp_eq_u16_sdwa vcc, v64, v20 src0_sel:BYTE_0 src1_sel:DWORD
	v_and_b32_e32 v20, 1, v64
	s_waitcnt lgkmcnt(1)
	v_cndmask_b32_e32 v57, 0, v56, vcc
	v_cndmask_b32_e32 v56, 0, v55, vcc
	v_cmp_eq_u32_e32 vcc, 1, v20
	s_waitcnt lgkmcnt(0)
	v_and_b32_e32 v20, 1, v21
	v_cmp_eq_u32_e64 s[0:1], 1, v20
	s_or_b64 s[0:1], vcc, s[0:1]
	v_lshl_add_u64 v[24:25], v[56:57], 0, v[24:25]
	v_cndmask_b32_e64 v64, 0, 1, s[0:1]
	v_cndmask_b32_e64 v20, 0, 1, s[0:1]
.LBB904_128:
	s_or_b64 exec, exec, s[54:55]
	v_cmp_gt_u32_e32 vcc, 60, v51
	s_waitcnt lgkmcnt(1)
	v_add_u32_e32 v56, 4, v51
	s_waitcnt lgkmcnt(0)
	v_cndmask_b32_e64 v21, 0, 1, vcc
	v_lshlrev_b32_e32 v21, 2, v21
	v_add_lshl_u32 v55, v21, v44, 2
	ds_bpermute_b32 v57, v55, v24
	ds_bpermute_b32 v58, v55, v25
	ds_bpermute_b32 v21, v55, v20
	v_cmp_le_u32_e32 vcc, v56, v9
	s_and_saveexec_b64 s[54:55], vcc
	s_cbranch_execz .LBB904_130
; %bb.129:
	v_mov_b32_e32 v20, 0
	v_cmp_eq_u16_sdwa vcc, v64, v20 src0_sel:BYTE_0 src1_sel:DWORD
	v_and_b32_e32 v20, 1, v64
	s_waitcnt lgkmcnt(1)
	v_cndmask_b32_e32 v59, 0, v58, vcc
	v_cndmask_b32_e32 v58, 0, v57, vcc
	v_cmp_eq_u32_e32 vcc, 1, v20
	s_waitcnt lgkmcnt(0)
	v_and_b32_e32 v20, 1, v21
	v_cmp_eq_u32_e64 s[0:1], 1, v20
	s_or_b64 s[0:1], vcc, s[0:1]
	v_lshl_add_u64 v[24:25], v[58:59], 0, v[24:25]
	v_cndmask_b32_e64 v64, 0, 1, s[0:1]
	v_cndmask_b32_e64 v20, 0, 1, s[0:1]
.LBB904_130:
	;; [unrolled: 30-line block ×4, first 2 shown]
	s_or_b64 exec, exec, s[54:55]
	v_cmp_gt_u32_e32 vcc, 32, v51
	s_waitcnt lgkmcnt(1)
	v_add_u32_e32 v62, 32, v51
	s_waitcnt lgkmcnt(0)
	v_cndmask_b32_e64 v21, 0, 1, vcc
	v_lshlrev_b32_e32 v21, 5, v21
	v_add_lshl_u32 v61, v21, v44, 2
	ds_bpermute_b32 v21, v61, v24
	ds_bpermute_b32 v44, v61, v25
	;; [unrolled: 1-line block ×3, first 2 shown]
	v_cmp_le_u32_e32 vcc, v62, v9
	s_and_saveexec_b64 s[54:55], vcc
	s_cbranch_execz .LBB904_136
; %bb.135:
	v_mov_b32_e32 v9, 0
	v_cmp_eq_u16_sdwa vcc, v64, v9 src0_sel:BYTE_0 src1_sel:DWORD
	v_and_b32_e32 v9, 1, v64
	s_waitcnt lgkmcnt(1)
	v_cndmask_b32_e32 v67, 0, v44, vcc
	v_cndmask_b32_e32 v66, 0, v21, vcc
	v_cmp_eq_u32_e32 vcc, 1, v9
	s_waitcnt lgkmcnt(0)
	v_and_b32_e32 v9, 1, v20
	v_cmp_eq_u32_e64 s[0:1], 1, v9
	s_or_b64 s[0:1], vcc, s[0:1]
	v_lshl_add_u64 v[24:25], v[66:67], 0, v[24:25]
	v_cndmask_b32_e64 v64, 0, 1, s[0:1]
.LBB904_136:
	s_or_b64 exec, exec, s[54:55]
	v_mov_b32_e32 v9, 0
	v_mov_b32_e32 v63, 2
	s_branch .LBB904_138
.LBB904_137:                            ;   in Loop: Header=BB904_138 Depth=1
	s_or_b64 exec, exec, s[60:61]
	v_cmp_eq_u16_sdwa vcc, v44, v9 src0_sel:BYTE_0 src1_sel:DWORD
	v_and_b32_e32 v64, 1, v44
	v_subrev_u32_e32 v8, 64, v8
	v_cndmask_b32_e32 v25, 0, v25, vcc
	v_cndmask_b32_e32 v24, 0, v24, vcc
	v_cmp_eq_u32_e32 vcc, 1, v64
	s_or_b64 s[0:1], vcc, s[54:55]
	v_lshl_add_u64 v[24:25], v[24:25], 0, v[20:21]
	v_cndmask_b32_e64 v64, 0, 1, s[0:1]
.LBB904_138:                            ; =>This Loop Header: Depth=1
                                        ;     Child Loop BB904_141 Depth 2
                                        ;       Child Loop BB904_142 Depth 3
	v_cmp_ne_u16_sdwa s[0:1], v45, v63 src0_sel:BYTE_0 src1_sel:DWORD
	s_waitcnt lgkmcnt(1)
	v_mov_b32_e32 v44, v64
	s_waitcnt lgkmcnt(0)
	v_cndmask_b32_e64 v20, 0, 1, s[0:1]
	;;#ASMSTART
	;;#ASMEND
	s_nop 0
	v_cmp_ne_u32_e32 vcc, 0, v20
	s_cmp_lg_u64 vcc, exec
	v_mov_b64_e32 v[20:21], v[24:25]
	s_cbranch_scc1 .LBB904_157
; %bb.139:                              ;   in Loop: Header=BB904_138 Depth=1
	global_load_ubyte v45, v8, s[44:45] sc1
	s_waitcnt vmcnt(0)
	v_cmp_eq_u16_e32 vcc, 0, v45
	s_and_saveexec_b64 s[0:1], vcc
	s_cbranch_execz .LBB904_145
; %bb.140:                              ;   in Loop: Header=BB904_138 Depth=1
	v_lshl_add_u64 v[24:25], s[44:45], 0, v[8:9]
	s_mov_b32 s60, 1
	s_mov_b64 s[54:55], 0
.LBB904_141:                            ;   Parent Loop BB904_138 Depth=1
                                        ; =>  This Loop Header: Depth=2
                                        ;       Child Loop BB904_142 Depth 3
	s_max_u32 s61, s60, 1
.LBB904_142:                            ;   Parent Loop BB904_138 Depth=1
                                        ;     Parent Loop BB904_141 Depth=2
                                        ; =>    This Inner Loop Header: Depth=3
	s_add_i32 s61, s61, -1
	s_cmp_eq_u32 s61, 0
	s_sleep 1
	s_cbranch_scc0 .LBB904_142
; %bb.143:                              ;   in Loop: Header=BB904_141 Depth=2
	global_load_ubyte v45, v[24:25], off sc1
	s_cmp_lt_u32 s60, 32
	s_cselect_b64 s[62:63], -1, 0
	s_cmp_lg_u64 s[62:63], 0
	s_addc_u32 s60, s60, 0
	s_waitcnt vmcnt(0)
	v_cmp_ne_u16_e32 vcc, 0, v45
	s_or_b64 s[54:55], vcc, s[54:55]
	s_andn2_b64 exec, exec, s[54:55]
	s_cbranch_execnz .LBB904_141
; %bb.144:                              ;   in Loop: Header=BB904_138 Depth=1
	s_or_b64 exec, exec, s[54:55]
.LBB904_145:                            ;   in Loop: Header=BB904_138 Depth=1
	s_or_b64 exec, exec, s[0:1]
	v_mov_b32_e32 v24, s43
	v_mov_b32_e32 v25, s41
	v_cmp_eq_u16_e32 vcc, 1, v45
	v_mov_b32_e32 v64, s40
	s_waitcnt vmcnt(0)
	v_cndmask_b32_e32 v25, v24, v25, vcc
	v_mov_b32_e32 v24, s42
	v_cndmask_b32_e32 v24, v24, v64, vcc
	v_lshl_add_u64 v[66:67], v[8:9], 4, v[24:25]
	global_load_dword v24, v[66:67], off sc1
	global_load_dword v25, v[66:67], off offset:4 sc1
	global_load_dword v64, v[66:67], off offset:8 sc1
	;; [unrolled: 1-line block ×3, first 2 shown]
	v_cmp_eq_u16_e32 vcc, 2, v45
	s_waitcnt vmcnt(3)
	ds_bpermute_b32 v68, v52, v24
	s_waitcnt vmcnt(0)
	v_and_b32_e32 v65, vcc_hi, v13
	v_and_b32_e32 v66, 0xff, v64
	v_or_b32_e32 v65, 0x80000000, v65
	ds_bpermute_b32 v69, v52, v25
	ds_bpermute_b32 v67, v52, v66
	v_and_b32_e32 v70, vcc_lo, v12
	v_ffbl_b32_e32 v65, v65
	v_add_u32_e32 v65, 32, v65
	v_ffbl_b32_e32 v70, v70
	v_min_u32_e32 v65, v70, v65
	v_cmp_lt_u32_e32 vcc, v51, v65
	s_and_saveexec_b64 s[0:1], vcc
	s_cbranch_execz .LBB904_147
; %bb.146:                              ;   in Loop: Header=BB904_138 Depth=1
	v_cmp_eq_u16_sdwa vcc, v64, v9 src0_sel:BYTE_0 src1_sel:DWORD
	s_waitcnt lgkmcnt(0)
	v_or_b32_e32 v66, v67, v64
	v_and_b32_e32 v64, 1, v66
	v_cndmask_b32_e32 v69, 0, v69, vcc
	v_cndmask_b32_e32 v68, 0, v68, vcc
	v_lshl_add_u64 v[24:25], v[68:69], 0, v[24:25]
	v_and_b32_e32 v66, 1, v66
.LBB904_147:                            ;   in Loop: Header=BB904_138 Depth=1
	s_or_b64 exec, exec, s[0:1]
	s_waitcnt lgkmcnt(2)
	ds_bpermute_b32 v68, v53, v24
	s_waitcnt lgkmcnt(2)
	ds_bpermute_b32 v69, v53, v25
	;; [unrolled: 2-line block ×3, first 2 shown]
	v_and_b32_e32 v70, 1, v64
	v_cmp_le_u32_e32 vcc, v54, v65
	v_cmp_eq_u32_e64 s[54:55], 1, v70
	s_and_saveexec_b64 s[0:1], vcc
	s_cbranch_execz .LBB904_149
; %bb.148:                              ;   in Loop: Header=BB904_138 Depth=1
	v_cmp_eq_u16_sdwa vcc, v64, v9 src0_sel:BYTE_0 src1_sel:DWORD
	s_waitcnt lgkmcnt(0)
	v_and_b32_e32 v64, 1, v67
	v_cndmask_b32_e32 v69, 0, v69, vcc
	v_cndmask_b32_e32 v68, 0, v68, vcc
	v_cmp_eq_u32_e32 vcc, 1, v64
	s_or_b64 s[60:61], s[54:55], vcc
	v_cndmask_b32_e64 v64, 0, 1, s[60:61]
	v_cndmask_b32_e64 v66, 0, 1, s[60:61]
	s_andn2_b64 s[54:55], s[54:55], exec
	s_and_b64 s[60:61], s[60:61], exec
	v_lshl_add_u64 v[24:25], v[68:69], 0, v[24:25]
	s_or_b64 s[54:55], s[54:55], s[60:61]
.LBB904_149:                            ;   in Loop: Header=BB904_138 Depth=1
	s_or_b64 exec, exec, s[0:1]
	s_waitcnt lgkmcnt(2)
	ds_bpermute_b32 v68, v55, v24
	s_waitcnt lgkmcnt(2)
	ds_bpermute_b32 v69, v55, v25
	s_waitcnt lgkmcnt(2)
	ds_bpermute_b32 v67, v55, v66
	v_cmp_le_u32_e32 vcc, v56, v65
	s_and_saveexec_b64 s[60:61], vcc
	s_cbranch_execz .LBB904_151
; %bb.150:                              ;   in Loop: Header=BB904_138 Depth=1
	v_cmp_eq_u16_sdwa vcc, v64, v9 src0_sel:BYTE_0 src1_sel:DWORD
	v_and_b32_e32 v64, 1, v64
	s_andn2_b64 s[54:55], s[54:55], exec
	s_waitcnt lgkmcnt(1)
	v_cndmask_b32_e32 v69, 0, v69, vcc
	v_cndmask_b32_e32 v68, 0, v68, vcc
	v_cmp_eq_u32_e32 vcc, 1, v64
	s_waitcnt lgkmcnt(0)
	v_and_b32_e32 v64, 1, v67
	v_cmp_eq_u32_e64 s[0:1], 1, v64
	s_or_b64 s[0:1], vcc, s[0:1]
	v_lshl_add_u64 v[24:25], v[68:69], 0, v[24:25]
	v_cndmask_b32_e64 v64, 0, 1, s[0:1]
	v_cndmask_b32_e64 v66, 0, 1, s[0:1]
	s_and_b64 s[0:1], s[0:1], exec
	s_or_b64 s[54:55], s[54:55], s[0:1]
.LBB904_151:                            ;   in Loop: Header=BB904_138 Depth=1
	s_or_b64 exec, exec, s[60:61]
	s_waitcnt lgkmcnt(2)
	ds_bpermute_b32 v68, v57, v24
	s_waitcnt lgkmcnt(2)
	ds_bpermute_b32 v69, v57, v25
	s_waitcnt lgkmcnt(2)
	ds_bpermute_b32 v67, v57, v66
	v_cmp_le_u32_e32 vcc, v58, v65
	s_and_saveexec_b64 s[60:61], vcc
	s_cbranch_execz .LBB904_153
; %bb.152:                              ;   in Loop: Header=BB904_138 Depth=1
	v_cmp_eq_u16_sdwa vcc, v64, v9 src0_sel:BYTE_0 src1_sel:DWORD
	v_and_b32_e32 v64, 1, v64
	s_andn2_b64 s[54:55], s[54:55], exec
	s_waitcnt lgkmcnt(1)
	v_cndmask_b32_e32 v69, 0, v69, vcc
	v_cndmask_b32_e32 v68, 0, v68, vcc
	v_cmp_eq_u32_e32 vcc, 1, v64
	s_waitcnt lgkmcnt(0)
	v_and_b32_e32 v64, 1, v67
	v_cmp_eq_u32_e64 s[0:1], 1, v64
	s_or_b64 s[0:1], vcc, s[0:1]
	v_lshl_add_u64 v[24:25], v[68:69], 0, v[24:25]
	v_cndmask_b32_e64 v64, 0, 1, s[0:1]
	v_cndmask_b32_e64 v66, 0, 1, s[0:1]
	s_and_b64 s[0:1], s[0:1], exec
	s_or_b64 s[54:55], s[54:55], s[0:1]
.LBB904_153:                            ;   in Loop: Header=BB904_138 Depth=1
	;; [unrolled: 28-line block ×3, first 2 shown]
	s_or_b64 exec, exec, s[60:61]
	s_waitcnt lgkmcnt(0)
	ds_bpermute_b32 v67, v61, v24
	ds_bpermute_b32 v68, v61, v25
	;; [unrolled: 1-line block ×3, first 2 shown]
	v_cmp_le_u32_e32 vcc, v62, v65
	s_and_saveexec_b64 s[60:61], vcc
	s_cbranch_execz .LBB904_137
; %bb.156:                              ;   in Loop: Header=BB904_138 Depth=1
	v_cmp_eq_u16_sdwa vcc, v64, v9 src0_sel:BYTE_0 src1_sel:DWORD
	v_and_b32_e32 v64, 1, v64
	s_andn2_b64 s[54:55], s[54:55], exec
	s_waitcnt lgkmcnt(1)
	v_cndmask_b32_e32 v69, 0, v68, vcc
	v_cndmask_b32_e32 v68, 0, v67, vcc
	v_cmp_eq_u32_e32 vcc, 1, v64
	s_waitcnt lgkmcnt(0)
	v_and_b32_e32 v64, 1, v66
	v_cmp_eq_u32_e64 s[0:1], 1, v64
	s_or_b64 s[0:1], vcc, s[0:1]
	s_and_b64 s[0:1], s[0:1], exec
	v_lshl_add_u64 v[24:25], v[68:69], 0, v[24:25]
	s_or_b64 s[54:55], s[54:55], s[0:1]
	s_branch .LBB904_137
.LBB904_157:                            ;   in Loop: Header=BB904_138 Depth=1
                                        ; implicit-def: $vgpr64
                                        ; implicit-def: $vgpr24_vgpr25
                                        ; implicit-def: $vgpr45
	s_cbranch_execz .LBB904_138
; %bb.158:
	s_and_saveexec_b64 s[0:1], s[34:35]
	s_cbranch_execz .LBB904_160
; %bb.159:
	s_mov_b32 s41, 0
	v_mov_b32_e32 v12, 0
	s_add_i32 s40, s47, 64
	v_cmp_eq_u32_sdwa vcc, v50, v12 src0_sel:BYTE_0 src1_sel:DWORD
	s_lshl_b64 s[54:55], s[40:41], 4
	v_and_b32_e32 v13, 1, v50
	v_cndmask_b32_e32 v9, 0, v21, vcc
	v_cndmask_b32_e32 v8, 0, v20, vcc
	s_add_u32 s54, s42, s54
	v_lshl_add_u64 v[8:9], v[8:9], 0, v[48:49]
	v_and_b32_e32 v24, 1, v44
	v_cmp_eq_u32_e32 vcc, 1, v13
	s_addc_u32 s55, s43, s55
	s_nop 0
	v_cndmask_b32_e64 v13, v24, 1, vcc
	global_store_dword v12, v8, s[54:55] sc1
	global_store_dword v12, v9, s[54:55] offset:4 sc1
	global_store_dword v12, v13, s[54:55] offset:8 sc1
	;; [unrolled: 1-line block ×3, first 2 shown]
	v_mov_b32_e32 v8, s40
	v_mov_b32_e32 v9, 2
	s_waitcnt vmcnt(0) lgkmcnt(0)
	global_store_byte v8, v9, s[44:45] sc1
.LBB904_160:
	s_or_b64 exec, exec, s[0:1]
	s_and_b64 exec, exec, s[36:37]
	s_cbranch_execz .LBB904_162
; %bb.161:
	v_mov_b32_e32 v8, 0
	ds_write_b64 v8, v[20:21] offset:48
	ds_write_b8 v8, v44 offset:56
.LBB904_162:
	s_or_b64 exec, exec, s[48:49]
	s_waitcnt lgkmcnt(0)
	v_cndmask_b32_e64 v8, v41, v36, s[34:35]
	v_mov_b32_e32 v13, 0
	v_cndmask_b32_e64 v9, v40, v5, s[34:35]
	v_cndmask_b32_e64 v12, v37, v4, s[34:35]
	v_cmp_eq_u16_sdwa vcc, v1, v13 src0_sel:BYTE_0 src1_sel:DWORD
	v_and_b32_e32 v20, 1, v1
	v_and_b32_e32 v8, 1, v8
	s_barrier
	ds_read_b64 v[4:5], v13 offset:48
	v_cndmask_b32_e32 v12, 0, v12, vcc
	v_cndmask_b32_e32 v9, 0, v9, vcc
	v_cmp_eq_u32_e32 vcc, 1, v20
	v_cmp_eq_u32_e64 s[0:1], 1, v8
	s_or_b64 s[0:1], vcc, s[0:1]
	v_cndmask_b32_e64 v9, v9, 0, s[36:37]
	v_cndmask_b32_e64 v8, 0, 1, s[0:1]
	;; [unrolled: 1-line block ×4, first 2 shown]
	v_cmp_eq_u16_sdwa vcc, v20, v13 src0_sel:BYTE_0 src1_sel:DWORD
	v_lshl_add_u64 v[8:9], v[8:9], 0, v[2:3]
	s_waitcnt lgkmcnt(0)
	v_cndmask_b32_e32 v5, 0, v5, vcc
	v_cndmask_b32_e32 v4, 0, v4, vcc
	v_lshl_add_u64 v[48:49], v[8:9], 0, v[4:5]
	v_cndmask_b32_e64 v5, 0, v49, s[6:7]
	v_cndmask_b32_e64 v4, 0, v48, s[6:7]
	v_lshl_add_u64 v[50:51], v[4:5], 0, v[14:15]
	v_cndmask_b32_e64 v5, 0, v51, s[8:9]
	v_cndmask_b32_e64 v4, 0, v50, s[8:9]
	;; [unrolled: 3-line block ×13, first 2 shown]
	v_lshl_add_u64 v[74:75], v[4:5], 0, v[16:17]
	s_branch .LBB904_193
.LBB904_163:
                                        ; implicit-def: $vgpr74_vgpr75
                                        ; implicit-def: $vgpr70_vgpr71
                                        ; implicit-def: $vgpr66_vgpr67
                                        ; implicit-def: $vgpr62_vgpr63
                                        ; implicit-def: $vgpr58_vgpr59
                                        ; implicit-def: $vgpr54_vgpr55
                                        ; implicit-def: $vgpr50_vgpr51
	s_cbranch_execz .LBB904_193
; %bb.164:
	s_cmp_lg_u64 s[58:59], 0
	s_cselect_b32 s7, s51, 0
	s_cselect_b32 s6, s50, 0
	s_cmp_lg_u64 s[6:7], 0
	s_cselect_b64 s[0:1], -1, 0
	s_and_b64 s[8:9], s[36:37], s[0:1]
	s_and_saveexec_b64 s[0:1], s[8:9]
	s_cbranch_execz .LBB904_166
; %bb.165:
	v_mov_b32_e32 v8, 0
	global_load_dwordx2 v[4:5], v8, s[6:7]
	global_load_ubyte v9, v8, s[6:7] offset:8
	v_cmp_eq_u16_sdwa vcc, v1, v8 src0_sel:BYTE_0 src1_sel:DWORD
	s_waitcnt vmcnt(0)
	v_or_b32_e32 v1, v1, v9
	v_cndmask_b32_e32 v5, 0, v5, vcc
	v_cndmask_b32_e32 v4, 0, v4, vcc
	v_lshl_add_u64 v[2:3], v[4:5], 0, v[2:3]
	v_and_b32_e32 v1, 1, v1
.LBB904_166:
	s_or_b64 exec, exec, s[0:1]
	v_mov_b32_e32 v9, 0
	v_cmp_eq_u16_sdwa vcc, v82, v9 src0_sel:BYTE_0 src1_sel:DWORD
	v_cmp_eq_u16_sdwa s[6:7], v81, v9 src0_sel:BYTE_0 src1_sel:DWORD
	v_cmp_eq_u16_sdwa s[8:9], v83, v9 src0_sel:BYTE_0 src1_sel:DWORD
	v_cndmask_b32_e32 v5, 0, v3, vcc
	v_cndmask_b32_e32 v4, 0, v2, vcc
	v_lshl_add_u64 v[50:51], v[4:5], 0, v[14:15]
	v_cndmask_b32_e64 v5, 0, v51, s[6:7]
	v_cndmask_b32_e64 v4, 0, v50, s[6:7]
	v_lshl_add_u64 v[52:53], v[4:5], 0, v[6:7]
	v_cndmask_b32_e64 v5, 0, v53, s[8:9]
	v_cndmask_b32_e64 v4, 0, v52, s[8:9]
	v_lshl_add_u64 v[54:55], v[4:5], 0, v[22:23]
	v_cmp_eq_u16_sdwa s[10:11], v84, v9 src0_sel:BYTE_0 src1_sel:DWORD
	v_cmp_eq_u16_sdwa s[12:13], v85, v9 src0_sel:BYTE_0 src1_sel:DWORD
	v_cmp_eq_u16_sdwa s[14:15], v86, v9 src0_sel:BYTE_0 src1_sel:DWORD
	v_cndmask_b32_e64 v5, 0, v55, s[10:11]
	v_cndmask_b32_e64 v4, 0, v54, s[10:11]
	v_lshl_add_u64 v[56:57], v[4:5], 0, v[10:11]
	v_cndmask_b32_e64 v5, 0, v57, s[12:13]
	v_cndmask_b32_e64 v4, 0, v56, s[12:13]
	v_lshl_add_u64 v[58:59], v[4:5], 0, v[30:31]
	v_cndmask_b32_e64 v5, 0, v59, s[14:15]
	v_cndmask_b32_e64 v4, 0, v58, s[14:15]
	v_lshl_add_u64 v[60:61], v[4:5], 0, v[18:19]
	v_cmp_eq_u16_sdwa s[16:17], v87, v9 src0_sel:BYTE_0 src1_sel:DWORD
	v_cmp_eq_u16_sdwa s[18:19], v88, v9 src0_sel:BYTE_0 src1_sel:DWORD
	v_cmp_eq_u16_sdwa s[20:21], v89, v9 src0_sel:BYTE_0 src1_sel:DWORD
	v_cndmask_b32_e64 v5, 0, v61, s[16:17]
	v_cndmask_b32_e64 v4, 0, v60, s[16:17]
	v_lshl_add_u64 v[62:63], v[4:5], 0, v[38:39]
	v_cndmask_b32_e64 v5, 0, v63, s[18:19]
	v_cndmask_b32_e64 v4, 0, v62, s[18:19]
	v_lshl_add_u64 v[64:65], v[4:5], 0, v[26:27]
	v_cndmask_b32_e64 v5, 0, v65, s[20:21]
	v_cndmask_b32_e64 v4, 0, v64, s[20:21]
	v_lshl_add_u64 v[66:67], v[4:5], 0, v[42:43]
	v_cmp_eq_u16_sdwa s[22:23], v90, v9 src0_sel:BYTE_0 src1_sel:DWORD
	v_cmp_eq_u16_sdwa s[24:25], v91, v9 src0_sel:BYTE_0 src1_sel:DWORD
	v_cmp_eq_u16_sdwa s[26:27], v80, v9 src0_sel:BYTE_0 src1_sel:DWORD
	v_cndmask_b32_e64 v5, 0, v67, s[22:23]
	v_cndmask_b32_e64 v4, 0, v66, s[22:23]
	v_lshl_add_u64 v[68:69], v[4:5], 0, v[34:35]
	v_cndmask_b32_e64 v5, 0, v69, s[24:25]
	v_cndmask_b32_e64 v4, 0, v68, s[24:25]
	v_lshl_add_u64 v[70:71], v[4:5], 0, v[46:47]
	v_cndmask_b32_e64 v5, 0, v71, s[26:27]
	v_cndmask_b32_e64 v4, 0, v70, s[26:27]
	v_lshl_add_u64 v[72:73], v[4:5], 0, v[78:79]
	v_cmp_eq_u16_sdwa s[28:29], v33, v9 src0_sel:BYTE_0 src1_sel:DWORD
	v_and_b32_e32 v8, 0xff, v1
	v_mbcnt_hi_u32_b32 v12, -1, v28
	v_cndmask_b32_e64 v5, 0, v73, s[28:29]
	v_cndmask_b32_e64 v4, 0, v72, s[28:29]
	v_lshl_add_u64 v[74:75], v[4:5], 0, v[16:17]
	v_or_b32_e32 v4, v29, v90
	v_or_b32_e32 v4, v4, v89
	v_or_b32_e32 v4, v4, v88
	v_or_b32_e32 v4, v4, v87
	v_or_b32_e32 v4, v4, v86
	v_or_b32_e32 v4, v4, v85
	v_or_b32_e32 v4, v4, v84
	v_or_b32_e32 v4, v4, v83
	v_or_b32_e32 v4, v4, v81
	v_or_b32_e32 v4, v4, v82
	v_and_b32_e32 v4, 1, v4
	v_cmp_eq_u32_e64 s[0:1], 1, v4
	v_and_b32_e32 v20, 15, v12
	v_mov_b32_dpp v24, v74 row_shr:1 row_mask:0xf bank_mask:0xf
	v_cndmask_b32_e64 v13, v8, 1, s[0:1]
	v_mov_b32_dpp v25, v75 row_shr:1 row_mask:0xf bank_mask:0xf
	v_cmp_ne_u32_e64 s[0:1], 0, v20
	v_mov_b32_dpp v21, v13 row_shr:1 row_mask:0xf bank_mask:0xf
	v_mov_b64_e32 v[4:5], v[74:75]
	v_mov_b32_e32 v9, v75
	v_mov_b32_e32 v8, v74
	s_and_saveexec_b64 s[30:31], s[0:1]
; %bb.167:
	v_cmp_eq_u32_e64 s[0:1], 0, v13
	v_and_or_b32 v13, v21, 1, v13
	s_nop 0
	v_cndmask_b32_e64 v5, 0, v25, s[0:1]
	v_cndmask_b32_e64 v4, 0, v24, s[0:1]
	v_lshl_add_u64 v[4:5], v[74:75], 0, v[4:5]
	v_mov_b32_e32 v9, v5
	v_mov_b32_e32 v8, v4
; %bb.168:
	s_or_b64 exec, exec, s[30:31]
	s_nop 0
	v_mov_b32_dpp v24, v8 row_shr:2 row_mask:0xf bank_mask:0xf
	v_mov_b32_dpp v25, v9 row_shr:2 row_mask:0xf bank_mask:0xf
	v_mov_b32_dpp v21, v13 row_shr:2 row_mask:0xf bank_mask:0xf
	v_cmp_lt_u32_e64 s[0:1], 1, v20
	s_and_saveexec_b64 s[30:31], s[0:1]
; %bb.169:
	v_cmp_eq_u32_e64 s[0:1], 0, v13
	s_nop 1
	v_cndmask_b32_e64 v9, 0, v25, s[0:1]
	v_cndmask_b32_e64 v8, 0, v24, s[0:1]
	v_lshl_add_u64 v[8:9], v[8:9], 0, v[4:5]
	v_or_b32_e32 v4, v21, v13
	v_and_b32_e32 v13, 1, v4
	v_mov_b64_e32 v[4:5], v[8:9]
; %bb.170:
	s_or_b64 exec, exec, s[30:31]
	v_mov_b32_dpp v24, v8 row_shr:4 row_mask:0xf bank_mask:0xf
	v_mov_b32_dpp v25, v9 row_shr:4 row_mask:0xf bank_mask:0xf
	v_mov_b32_dpp v21, v13 row_shr:4 row_mask:0xf bank_mask:0xf
	v_cmp_lt_u32_e64 s[0:1], 3, v20
	s_and_saveexec_b64 s[30:31], s[0:1]
; %bb.171:
	v_cmp_eq_u32_e64 s[0:1], 0, v13
	s_nop 1
	v_cndmask_b32_e64 v9, 0, v25, s[0:1]
	v_cndmask_b32_e64 v8, 0, v24, s[0:1]
	v_lshl_add_u64 v[8:9], v[8:9], 0, v[4:5]
	v_or_b32_e32 v4, v21, v13
	v_and_b32_e32 v13, 1, v4
	v_mov_b64_e32 v[4:5], v[8:9]
; %bb.172:
	s_or_b64 exec, exec, s[30:31]
	;; [unrolled: 16-line block ×3, first 2 shown]
	v_and_b32_e32 v25, 16, v12
	v_mov_b32_dpp v21, v8 row_bcast:15 row_mask:0xf bank_mask:0xf
	v_mov_b32_dpp v24, v9 row_bcast:15 row_mask:0xf bank_mask:0xf
	;; [unrolled: 1-line block ×3, first 2 shown]
	v_cmp_ne_u32_e64 s[0:1], 0, v25
	s_and_saveexec_b64 s[30:31], s[0:1]
; %bb.175:
	v_cmp_eq_u32_e64 s[0:1], 0, v13
	s_nop 1
	v_cndmask_b32_e64 v9, 0, v24, s[0:1]
	v_cndmask_b32_e64 v8, 0, v21, s[0:1]
	v_lshl_add_u64 v[4:5], v[8:9], 0, v[4:5]
	v_or_b32_e32 v8, v20, v13
	v_and_b32_e32 v13, 1, v8
	v_mov_b32_e32 v9, v5
	v_mov_b32_e32 v8, v4
; %bb.176:
	s_or_b64 exec, exec, s[30:31]
	s_nop 0
	v_mov_b32_dpp v20, v8 row_bcast:31 row_mask:0xf bank_mask:0xf
	v_mov_b32_dpp v21, v9 row_bcast:31 row_mask:0xf bank_mask:0xf
	;; [unrolled: 1-line block ×3, first 2 shown]
	v_cmp_lt_u32_e64 s[0:1], 31, v12
	v_mov_b32_e32 v8, v13
	s_and_saveexec_b64 s[30:31], s[0:1]
; %bb.177:
	v_cmp_eq_u32_e64 s[0:1], 0, v13
	v_or_b32_e32 v9, v9, v13
	v_and_b32_e32 v8, 1, v9
	v_cndmask_b32_e64 v21, 0, v21, s[0:1]
	v_cndmask_b32_e64 v20, 0, v20, s[0:1]
	v_lshl_add_u64 v[4:5], v[20:21], 0, v[4:5]
	v_and_b32_e32 v13, 1, v9
; %bb.178:
	s_or_b64 exec, exec, s[30:31]
	v_or_b32_e32 v9, 63, v0
	v_lshrrev_b32_e32 v20, 6, v0
	v_cmp_eq_u32_e64 s[0:1], v9, v0
	s_and_saveexec_b64 s[30:31], s[0:1]
	s_cbranch_execz .LBB904_180
; %bb.179:
	v_lshlrev_b32_e32 v9, 4, v20
	ds_write_b64 v9, v[4:5]
	ds_write_b8 v9, v8 offset:8
.LBB904_180:
	s_or_b64 exec, exec, s[30:31]
	v_cmp_gt_u32_e64 s[0:1], 4, v0
	s_waitcnt lgkmcnt(0)
	s_barrier
	s_and_saveexec_b64 s[34:35], s[0:1]
	s_cbranch_execz .LBB904_186
; %bb.181:
	v_lshlrev_b32_e32 v21, 4, v0
	ds_read_b64 v[8:9], v21
	ds_read_b32 v24, v21 offset:8
	v_and_b32_e32 v25, 3, v12
	v_cmp_ne_u32_e64 s[0:1], 0, v25
	s_waitcnt lgkmcnt(1)
	v_mov_b32_dpp v36, v8 row_shr:1 row_mask:0xf bank_mask:0xf
	v_mov_b32_dpp v37, v9 row_shr:1 row_mask:0xf bank_mask:0xf
	s_waitcnt lgkmcnt(0)
	v_mov_b32_dpp v33, v24 row_shr:1 row_mask:0xf bank_mask:0xf
	v_mov_b32_e32 v28, v24
	v_mov_b32_e32 v29, v24
	s_and_saveexec_b64 s[30:31], s[0:1]
; %bb.182:
	v_mov_b32_e32 v28, 0
	v_cmp_eq_u16_sdwa s[0:1], v24, v28 src0_sel:BYTE_0 src1_sel:DWORD
	s_nop 1
	v_cndmask_b32_e64 v29, 0, v37, s[0:1]
	v_cndmask_b32_e64 v28, 0, v36, s[0:1]
	v_lshl_add_u64 v[8:9], v[28:29], 0, v[8:9]
	v_or_b32_e32 v29, v33, v24
	v_and_b32_e32 v28, 1, v29
	v_and_b32_e32 v29, 1, v29
	s_movk_i32 s0, 0xff00
	v_and_or_b32 v24, v24, s0, v29
; %bb.183:
	s_or_b64 exec, exec, s[30:31]
	v_mov_b32_dpp v33, v8 row_shr:2 row_mask:0xf bank_mask:0xf
	v_mov_b32_dpp v36, v9 row_shr:2 row_mask:0xf bank_mask:0xf
	;; [unrolled: 1-line block ×3, first 2 shown]
	v_cmp_lt_u32_e64 s[0:1], 1, v25
	s_and_saveexec_b64 s[40:41], s[0:1]
; %bb.184:
	v_mov_b32_e32 v25, 0
	v_cmp_eq_u16_sdwa s[0:1], v29, v25 src0_sel:BYTE_0 src1_sel:DWORD
	v_and_b32_e32 v25, 1, v29
	v_and_b32_e32 v24, 1, v24
	v_cndmask_b32_e64 v37, 0, v36, s[0:1]
	v_cndmask_b32_e64 v36, 0, v33, s[0:1]
	v_cmp_eq_u32_e64 s[0:1], 1, v25
	v_cmp_eq_u32_e64 s[30:31], 1, v24
	s_or_b64 s[0:1], s[0:1], s[30:31]
	v_lshl_add_u64 v[8:9], v[36:37], 0, v[8:9]
	v_cndmask_b32_e64 v28, 0, 1, s[0:1]
; %bb.185:
	s_or_b64 exec, exec, s[40:41]
	ds_write_b64 v21, v[8:9]
	ds_write_b8 v21, v28 offset:8
.LBB904_186:
	s_or_b64 exec, exec, s[34:35]
	v_cmp_lt_u32_e64 s[0:1], 63, v0
	v_mov_b64_e32 v[8:9], 0
	s_waitcnt lgkmcnt(0)
	s_barrier
	s_and_saveexec_b64 s[30:31], s[0:1]
	s_cbranch_execz .LBB904_188
; %bb.187:
	v_lshl_add_u32 v8, v20, 4, -16
	ds_read_b64 v[8:9], v8
	v_cmp_eq_u32_e64 s[0:1], 0, v13
	s_waitcnt lgkmcnt(0)
	s_nop 0
	v_cndmask_b32_e64 v21, 0, v9, s[0:1]
	v_cndmask_b32_e64 v20, 0, v8, s[0:1]
	v_lshl_add_u64 v[4:5], v[20:21], 0, v[4:5]
.LBB904_188:
	s_or_b64 exec, exec, s[30:31]
	v_add_u32_e32 v13, -1, v12
	v_and_b32_e32 v20, 64, v12
	v_cmp_lt_i32_e64 s[0:1], v13, v20
	s_nop 1
	v_cndmask_b32_e64 v13, v13, v12, s[0:1]
	v_lshlrev_b32_e32 v13, 2, v13
	ds_bpermute_b32 v4, v13, v4
	ds_bpermute_b32 v5, v13, v5
	s_and_saveexec_b64 s[30:31], s[4:5]
	s_cbranch_execz .LBB904_190
; %bb.189:
	v_cmp_eq_u32_e64 s[0:1], 0, v12
	;;#ASMSTART
	;;#ASMEND
	s_waitcnt lgkmcnt(1)
	s_nop 0
	v_cndmask_b32_e64 v4, v4, v8, s[0:1]
	v_mov_b32_e32 v8, 0
	s_waitcnt lgkmcnt(0)
	v_cndmask_b32_e64 v5, v5, v9, s[0:1]
	v_cmp_eq_u16_sdwa s[0:1], v1, v8 src0_sel:BYTE_0 src1_sel:DWORD
	s_nop 1
	v_cndmask_b32_e64 v5, 0, v5, s[0:1]
	v_cndmask_b32_e64 v4, 0, v4, s[0:1]
	v_lshl_add_u64 v[2:3], v[4:5], 0, v[2:3]
	v_cndmask_b32_e32 v5, 0, v3, vcc
	v_cndmask_b32_e32 v4, 0, v2, vcc
	v_lshl_add_u64 v[50:51], v[4:5], 0, v[14:15]
	v_cndmask_b32_e64 v5, 0, v51, s[6:7]
	v_cndmask_b32_e64 v4, 0, v50, s[6:7]
	v_lshl_add_u64 v[52:53], v[4:5], 0, v[6:7]
	v_cndmask_b32_e64 v5, 0, v53, s[8:9]
	v_cndmask_b32_e64 v4, 0, v52, s[8:9]
	;; [unrolled: 3-line block ×12, first 2 shown]
	v_lshl_add_u64 v[74:75], v[4:5], 0, v[16:17]
.LBB904_190:
	s_or_b64 exec, exec, s[30:31]
	s_and_saveexec_b64 s[0:1], s[36:37]
	s_cbranch_execz .LBB904_192
; %bb.191:
	v_mov_b32_e32 v1, 0
	s_waitcnt lgkmcnt(0)
	ds_read_b64 v[4:5], v1 offset:48
	ds_read_u8 v6, v1 offset:56
	s_waitcnt lgkmcnt(1)
	global_store_dword v1, v4, s[42:43] offset:1024 sc1
	global_store_dword v1, v5, s[42:43] offset:1028 sc1
	s_waitcnt lgkmcnt(0)
	global_store_dword v1, v6, s[42:43] offset:1032 sc1
	global_store_dword v1, v1, s[42:43] offset:1036 sc1
	v_mov_b32_e32 v4, 2
	s_waitcnt vmcnt(0)
	global_store_byte v1, v4, s[44:45] offset:64 sc1
.LBB904_192:
	s_or_b64 exec, exec, s[0:1]
	v_mov_b64_e32 v[48:49], v[2:3]
.LBB904_193:
	s_add_u32 s0, s38, s56
	s_addc_u32 s1, s39, s57
	s_add_u32 s0, s0, s52
	v_mul_u32_u24_e32 v1, 14, v0
	s_addc_u32 s1, s1, s53
	s_and_b64 vcc, exec, s[2:3]
	v_lshlrev_b32_e32 v30, 3, v1
	s_cbranch_vccz .LBB904_221
; %bb.194:
	s_movk_i32 s2, 0xff98
	v_mad_i32_i24 v1, v0, s2, v30
	s_waitcnt lgkmcnt(0)
	s_barrier
	ds_write_b128 v30, v[48:51]
	ds_write_b128 v30, v[52:55] offset:16
	ds_write_b128 v30, v[56:59] offset:32
	;; [unrolled: 1-line block ×6, first 2 shown]
	s_waitcnt lgkmcnt(0)
	s_barrier
	ds_read2st64_b64 v[26:29], v1 offset0:4 offset1:8
	ds_read2st64_b64 v[22:25], v1 offset0:12 offset1:16
	;; [unrolled: 1-line block ×6, first 2 shown]
	ds_read_b64 v[4:5], v1 offset:26624
	s_add_i32 s33, s33, s46
	v_mov_b32_e32 v33, 0
	v_lshl_add_u64 v[2:3], s[0:1], 0, v[32:33]
	v_cmp_gt_u32_e32 vcc, s33, v0
	s_and_saveexec_b64 s[2:3], vcc
	s_cbranch_execz .LBB904_196
; %bb.195:
	v_mul_i32_i24_e32 v1, 0xffffff98, v0
	v_add_u32_e32 v1, v30, v1
	ds_read_b64 v[34:35], v1
	s_waitcnt lgkmcnt(0)
	flat_store_dwordx2 v[2:3], v[34:35]
.LBB904_196:
	s_or_b64 exec, exec, s[2:3]
	v_or_b32_e32 v1, 0x100, v0
	v_cmp_gt_u32_e32 vcc, s33, v1
	s_and_saveexec_b64 s[2:3], vcc
	s_cbranch_execz .LBB904_198
; %bb.197:
	s_waitcnt lgkmcnt(0)
	flat_store_dwordx2 v[2:3], v[26:27] offset:2048
.LBB904_198:
	s_or_b64 exec, exec, s[2:3]
	v_or_b32_e32 v1, 0x200, v0
	v_cmp_gt_u32_e32 vcc, s33, v1
	s_and_saveexec_b64 s[2:3], vcc
	s_cbranch_execz .LBB904_200
; %bb.199:
	s_waitcnt lgkmcnt(0)
	v_add_co_u32_e32 v26, vcc, 0x1000, v2
	s_nop 1
	v_addc_co_u32_e32 v27, vcc, 0, v3, vcc
	flat_store_dwordx2 v[26:27], v[28:29]
.LBB904_200:
	s_or_b64 exec, exec, s[2:3]
	v_or_b32_e32 v1, 0x300, v0
	v_cmp_gt_u32_e32 vcc, s33, v1
	s_and_saveexec_b64 s[2:3], vcc
	s_cbranch_execz .LBB904_202
; %bb.201:
	s_waitcnt lgkmcnt(0)
	v_add_co_u32_e32 v26, vcc, 0x1000, v2
	s_nop 1
	v_addc_co_u32_e32 v27, vcc, 0, v3, vcc
	flat_store_dwordx2 v[26:27], v[22:23] offset:2048
.LBB904_202:
	s_or_b64 exec, exec, s[2:3]
	v_or_b32_e32 v1, 0x400, v0
	v_cmp_gt_u32_e32 vcc, s33, v1
	s_and_saveexec_b64 s[2:3], vcc
	s_cbranch_execz .LBB904_204
; %bb.203:
	s_waitcnt lgkmcnt(0)
	v_add_co_u32_e32 v22, vcc, 0x2000, v2
	s_nop 1
	v_addc_co_u32_e32 v23, vcc, 0, v3, vcc
	flat_store_dwordx2 v[22:23], v[24:25]
.LBB904_204:
	s_or_b64 exec, exec, s[2:3]
	v_or_b32_e32 v1, 0x500, v0
	v_cmp_gt_u32_e32 vcc, s33, v1
	s_and_saveexec_b64 s[2:3], vcc
	s_cbranch_execz .LBB904_206
; %bb.205:
	s_waitcnt lgkmcnt(0)
	v_add_co_u32_e32 v22, vcc, 0x2000, v2
	s_nop 1
	v_addc_co_u32_e32 v23, vcc, 0, v3, vcc
	flat_store_dwordx2 v[22:23], v[18:19] offset:2048
.LBB904_206:
	;; [unrolled: 24-line block ×5, first 2 shown]
	s_or_b64 exec, exec, s[2:3]
	v_or_b32_e32 v1, 0xc00, v0
	v_cmp_gt_u32_e32 vcc, s33, v1
	s_and_saveexec_b64 s[2:3], vcc
	s_cbranch_execz .LBB904_220
; %bb.219:
	v_add_co_u32_e32 v2, vcc, 0x6000, v2
	s_nop 1
	v_addc_co_u32_e32 v3, vcc, 0, v3, vcc
	s_waitcnt lgkmcnt(0)
	flat_store_dwordx2 v[2:3], v[8:9]
.LBB904_220:
	s_or_b64 exec, exec, s[2:3]
	v_or_b32_e32 v2, 0xd00, v0
	v_mov_b32_e32 v1, v33
	v_cmp_gt_u32_e64 s[2:3], s33, v2
	s_branch .LBB904_223
.LBB904_221:
	s_mov_b64 s[2:3], 0
                                        ; implicit-def: $vgpr4_vgpr5
	s_cbranch_execz .LBB904_223
; %bb.222:
	v_mov_b32_e32 v1, 0
	s_movk_i32 s4, 0xff98
	v_mad_i32_i24 v2, v0, s4, v30
	v_mov_b32_e32 v33, v1
	s_waitcnt lgkmcnt(0)
	s_barrier
	ds_write_b128 v30, v[48:51]
	ds_write_b128 v30, v[52:55] offset:16
	ds_write_b128 v30, v[56:59] offset:32
	;; [unrolled: 1-line block ×6, first 2 shown]
	s_waitcnt lgkmcnt(0)
	s_barrier
	ds_read2st64_b64 v[6:9], v2 offset1:4
	ds_read2st64_b64 v[10:13], v2 offset0:8 offset1:12
	ds_read2st64_b64 v[14:17], v2 offset0:16 offset1:20
	;; [unrolled: 1-line block ×6, first 2 shown]
	v_lshl_add_u64 v[30:31], s[0:1], 0, v[32:33]
	s_movk_i32 s4, 0x1000
	s_waitcnt lgkmcnt(0)
	flat_store_dwordx2 v[30:31], v[6:7]
	flat_store_dwordx2 v[30:31], v[8:9] offset:2048
	v_add_co_u32_e32 v6, vcc, s4, v30
	s_movk_i32 s4, 0x2000
	s_nop 0
	v_addc_co_u32_e32 v7, vcc, 0, v31, vcc
	flat_store_dwordx2 v[6:7], v[10:11]
	flat_store_dwordx2 v[6:7], v[12:13] offset:2048
	v_add_co_u32_e32 v6, vcc, s4, v30
	s_movk_i32 s4, 0x3000
	s_nop 0
	v_addc_co_u32_e32 v7, vcc, 0, v31, vcc
	;; [unrolled: 6-line block ×3, first 2 shown]
	flat_store_dwordx2 v[6:7], v[18:19]
	flat_store_dwordx2 v[6:7], v[20:21] offset:2048
	v_add_co_u32_e32 v6, vcc, s4, v30
	s_or_b64 s[2:3], s[2:3], exec
	s_nop 0
	v_addc_co_u32_e32 v7, vcc, 0, v31, vcc
	flat_store_dwordx2 v[6:7], v[22:23]
	flat_store_dwordx2 v[6:7], v[24:25] offset:2048
	v_add_co_u32_e32 v6, vcc, 0x5000, v30
	s_nop 1
	v_addc_co_u32_e32 v7, vcc, 0, v31, vcc
	flat_store_dwordx2 v[6:7], v[26:27]
	flat_store_dwordx2 v[6:7], v[28:29] offset:2048
	v_add_co_u32_e32 v6, vcc, 0x6000, v30
	s_nop 1
	v_addc_co_u32_e32 v7, vcc, 0, v31, vcc
	flat_store_dwordx2 v[6:7], v[2:3]
.LBB904_223:
	s_and_saveexec_b64 s[4:5], s[2:3]
	s_cbranch_execnz .LBB904_225
; %bb.224:
	s_endpgm
.LBB904_225:
	v_lshl_add_u64 v[0:1], v[0:1], 3, s[0:1]
	v_add_co_u32_e32 v0, vcc, 0x6000, v0
	s_nop 1
	v_addc_co_u32_e32 v1, vcc, 0, v1, vcc
	s_waitcnt lgkmcnt(0)
	flat_store_dwordx2 v[0:1], v[4:5] offset:2048
	s_endpgm
.LBB904_226:
	global_load_dwordx2 v[2:3], v42, s[60:61]
	s_waitcnt vmcnt(0)
	v_sub_co_u32_e32 v2, vcc, 0, v2
	s_nop 1
	v_subb_co_u32_e32 v3, vcc, 0, v3, vcc
	s_or_b64 exec, exec, s[0:1]
                                        ; implicit-def: $vgpr6_vgpr7
	s_and_saveexec_b64 s[0:1], s[8:9]
	s_cbranch_execz .LBB904_41
.LBB904_227:
	global_load_dwordx2 v[6:7], v42, s[60:61] offset:2048
	s_waitcnt vmcnt(0)
	v_sub_co_u32_e32 v6, vcc, 0, v6
	s_nop 1
	v_subb_co_u32_e32 v7, vcc, 0, v7, vcc
	s_or_b64 exec, exec, s[0:1]
                                        ; implicit-def: $vgpr8_vgpr9
	s_and_saveexec_b64 s[0:1], s[10:11]
	s_cbranch_execz .LBB904_42
.LBB904_228:
	v_lshlrev_b32_e32 v1, 3, v1
	global_load_dwordx2 v[8:9], v1, s[60:61]
	s_waitcnt vmcnt(0)
	v_sub_co_u32_e32 v8, vcc, 0, v8
	s_nop 1
	v_subb_co_u32_e32 v9, vcc, 0, v9, vcc
	s_or_b64 exec, exec, s[0:1]
                                        ; implicit-def: $vgpr10_vgpr11
	s_and_saveexec_b64 s[0:1], s[12:13]
	s_cbranch_execz .LBB904_43
.LBB904_229:
	v_lshlrev_b32_e32 v1, 3, v30
	global_load_dwordx2 v[10:11], v1, s[60:61]
	s_waitcnt vmcnt(0)
	v_sub_co_u32_e32 v10, vcc, 0, v10
	s_nop 1
	v_subb_co_u32_e32 v11, vcc, 0, v11, vcc
	s_or_b64 exec, exec, s[0:1]
                                        ; implicit-def: $vgpr12_vgpr13
	s_and_saveexec_b64 s[0:1], s[14:15]
	s_cbranch_execz .LBB904_44
.LBB904_230:
	v_lshlrev_b32_e32 v1, 3, v31
	global_load_dwordx2 v[12:13], v1, s[60:61]
	s_waitcnt vmcnt(0)
	v_sub_co_u32_e32 v12, vcc, 0, v12
	s_nop 1
	v_subb_co_u32_e32 v13, vcc, 0, v13, vcc
	s_or_b64 exec, exec, s[0:1]
                                        ; implicit-def: $vgpr14_vgpr15
	s_and_saveexec_b64 s[0:1], s[16:17]
	s_cbranch_execz .LBB904_45
.LBB904_231:
	v_lshlrev_b32_e32 v1, 3, v32
	global_load_dwordx2 v[14:15], v1, s[60:61]
	s_waitcnt vmcnt(0)
	v_sub_co_u32_e32 v14, vcc, 0, v14
	s_nop 1
	v_subb_co_u32_e32 v15, vcc, 0, v15, vcc
	s_or_b64 exec, exec, s[0:1]
                                        ; implicit-def: $vgpr16_vgpr17
	s_and_saveexec_b64 s[0:1], s[18:19]
	s_cbranch_execz .LBB904_46
.LBB904_232:
	v_lshlrev_b32_e32 v1, 3, v33
	global_load_dwordx2 v[16:17], v1, s[60:61]
	s_waitcnt vmcnt(0)
	v_sub_co_u32_e32 v16, vcc, 0, v16
	s_nop 1
	v_subb_co_u32_e32 v17, vcc, 0, v17, vcc
	s_or_b64 exec, exec, s[0:1]
                                        ; implicit-def: $vgpr18_vgpr19
	s_and_saveexec_b64 s[0:1], s[20:21]
	s_cbranch_execz .LBB904_47
.LBB904_233:
	v_lshlrev_b32_e32 v1, 3, v34
	global_load_dwordx2 v[18:19], v1, s[60:61]
	s_waitcnt vmcnt(0)
	v_sub_co_u32_e32 v18, vcc, 0, v18
	s_nop 1
	v_subb_co_u32_e32 v19, vcc, 0, v19, vcc
	s_or_b64 exec, exec, s[0:1]
                                        ; implicit-def: $vgpr20_vgpr21
	s_and_saveexec_b64 s[0:1], s[22:23]
	s_cbranch_execz .LBB904_48
.LBB904_234:
	v_lshlrev_b32_e32 v1, 3, v35
	global_load_dwordx2 v[20:21], v1, s[60:61]
	s_waitcnt vmcnt(0)
	v_sub_co_u32_e32 v20, vcc, 0, v20
	s_nop 1
	v_subb_co_u32_e32 v21, vcc, 0, v21, vcc
	s_or_b64 exec, exec, s[0:1]
                                        ; implicit-def: $vgpr22_vgpr23
	s_and_saveexec_b64 s[0:1], s[24:25]
	s_cbranch_execz .LBB904_49
.LBB904_235:
	v_lshlrev_b32_e32 v1, 3, v37
	global_load_dwordx2 v[22:23], v1, s[60:61]
	s_waitcnt vmcnt(0)
	v_sub_co_u32_e32 v22, vcc, 0, v22
	s_nop 1
	v_subb_co_u32_e32 v23, vcc, 0, v23, vcc
	s_or_b64 exec, exec, s[0:1]
                                        ; implicit-def: $vgpr24_vgpr25
	s_and_saveexec_b64 s[0:1], s[26:27]
	s_cbranch_execz .LBB904_50
.LBB904_236:
	v_lshlrev_b32_e32 v1, 3, v38
	global_load_dwordx2 v[24:25], v1, s[60:61]
	s_waitcnt vmcnt(0)
	v_sub_co_u32_e32 v24, vcc, 0, v24
	s_nop 1
	v_subb_co_u32_e32 v25, vcc, 0, v25, vcc
	s_or_b64 exec, exec, s[0:1]
                                        ; implicit-def: $vgpr26_vgpr27
	s_and_saveexec_b64 s[0:1], s[28:29]
	s_cbranch_execz .LBB904_51
.LBB904_237:
	v_lshlrev_b32_e32 v1, 3, v39
	global_load_dwordx2 v[26:27], v1, s[60:61]
	s_waitcnt vmcnt(0)
	v_sub_co_u32_e32 v26, vcc, 0, v26
	s_nop 1
	v_subb_co_u32_e32 v27, vcc, 0, v27, vcc
	s_or_b64 exec, exec, s[0:1]
                                        ; implicit-def: $vgpr28_vgpr29
	s_and_saveexec_b64 s[0:1], s[30:31]
	s_cbranch_execz .LBB904_52
.LBB904_238:
	v_lshlrev_b32_e32 v1, 3, v40
	global_load_dwordx2 v[28:29], v1, s[60:61]
	s_waitcnt vmcnt(0)
	v_sub_co_u32_e32 v28, vcc, 0, v28
	s_nop 1
	v_subb_co_u32_e32 v29, vcc, 0, v29, vcc
	s_or_b64 exec, exec, s[0:1]
                                        ; implicit-def: $vgpr30_vgpr31
	s_and_saveexec_b64 s[0:1], s[34:35]
	s_cbranch_execnz .LBB904_53
	s_branch .LBB904_54
.LBB904_239:
                                        ; implicit-def: $sgpr0_sgpr1
	s_branch .LBB904_36
.LBB904_240:
                                        ; implicit-def: $sgpr0_sgpr1
	s_branch .LBB904_85
	.section	.rodata,"a",@progbits
	.p2align	6, 0x0
	.amdhsa_kernel _ZN7rocprim17ROCPRIM_400000_NS6detail17trampoline_kernelINS0_14default_configENS1_27scan_by_key_config_selectorIxxEEZZNS1_16scan_by_key_implILNS1_25lookback_scan_determinismE0ELb0ES3_N6thrust23THRUST_200600_302600_NS6detail15normal_iteratorINS9_10device_ptrIxEEEENS9_18transform_iteratorINS9_6negateIxEESE_NS9_11use_defaultESI_EESE_xNS9_4plusIvEENS9_8equal_toIvEExEE10hipError_tPvRmT2_T3_T4_T5_mT6_T7_P12ihipStream_tbENKUlT_T0_E_clISt17integral_constantIbLb1EES14_EEDaSZ_S10_EUlSZ_E_NS1_11comp_targetILNS1_3genE5ELNS1_11target_archE942ELNS1_3gpuE9ELNS1_3repE0EEENS1_30default_config_static_selectorELNS0_4arch9wavefront6targetE1EEEvT1_
		.amdhsa_group_segment_fixed_size 32768
		.amdhsa_private_segment_fixed_size 0
		.amdhsa_kernarg_size 144
		.amdhsa_user_sgpr_count 2
		.amdhsa_user_sgpr_dispatch_ptr 0
		.amdhsa_user_sgpr_queue_ptr 0
		.amdhsa_user_sgpr_kernarg_segment_ptr 1
		.amdhsa_user_sgpr_dispatch_id 0
		.amdhsa_user_sgpr_kernarg_preload_length 0
		.amdhsa_user_sgpr_kernarg_preload_offset 0
		.amdhsa_user_sgpr_private_segment_size 0
		.amdhsa_uses_dynamic_stack 0
		.amdhsa_enable_private_segment 0
		.amdhsa_system_sgpr_workgroup_id_x 1
		.amdhsa_system_sgpr_workgroup_id_y 0
		.amdhsa_system_sgpr_workgroup_id_z 0
		.amdhsa_system_sgpr_workgroup_info 0
		.amdhsa_system_vgpr_workitem_id 0
		.amdhsa_next_free_vgpr 92
		.amdhsa_next_free_sgpr 70
		.amdhsa_accum_offset 92
		.amdhsa_reserve_vcc 1
		.amdhsa_float_round_mode_32 0
		.amdhsa_float_round_mode_16_64 0
		.amdhsa_float_denorm_mode_32 3
		.amdhsa_float_denorm_mode_16_64 3
		.amdhsa_dx10_clamp 1
		.amdhsa_ieee_mode 1
		.amdhsa_fp16_overflow 0
		.amdhsa_tg_split 0
		.amdhsa_exception_fp_ieee_invalid_op 0
		.amdhsa_exception_fp_denorm_src 0
		.amdhsa_exception_fp_ieee_div_zero 0
		.amdhsa_exception_fp_ieee_overflow 0
		.amdhsa_exception_fp_ieee_underflow 0
		.amdhsa_exception_fp_ieee_inexact 0
		.amdhsa_exception_int_div_zero 0
	.end_amdhsa_kernel
	.section	.text._ZN7rocprim17ROCPRIM_400000_NS6detail17trampoline_kernelINS0_14default_configENS1_27scan_by_key_config_selectorIxxEEZZNS1_16scan_by_key_implILNS1_25lookback_scan_determinismE0ELb0ES3_N6thrust23THRUST_200600_302600_NS6detail15normal_iteratorINS9_10device_ptrIxEEEENS9_18transform_iteratorINS9_6negateIxEESE_NS9_11use_defaultESI_EESE_xNS9_4plusIvEENS9_8equal_toIvEExEE10hipError_tPvRmT2_T3_T4_T5_mT6_T7_P12ihipStream_tbENKUlT_T0_E_clISt17integral_constantIbLb1EES14_EEDaSZ_S10_EUlSZ_E_NS1_11comp_targetILNS1_3genE5ELNS1_11target_archE942ELNS1_3gpuE9ELNS1_3repE0EEENS1_30default_config_static_selectorELNS0_4arch9wavefront6targetE1EEEvT1_,"axG",@progbits,_ZN7rocprim17ROCPRIM_400000_NS6detail17trampoline_kernelINS0_14default_configENS1_27scan_by_key_config_selectorIxxEEZZNS1_16scan_by_key_implILNS1_25lookback_scan_determinismE0ELb0ES3_N6thrust23THRUST_200600_302600_NS6detail15normal_iteratorINS9_10device_ptrIxEEEENS9_18transform_iteratorINS9_6negateIxEESE_NS9_11use_defaultESI_EESE_xNS9_4plusIvEENS9_8equal_toIvEExEE10hipError_tPvRmT2_T3_T4_T5_mT6_T7_P12ihipStream_tbENKUlT_T0_E_clISt17integral_constantIbLb1EES14_EEDaSZ_S10_EUlSZ_E_NS1_11comp_targetILNS1_3genE5ELNS1_11target_archE942ELNS1_3gpuE9ELNS1_3repE0EEENS1_30default_config_static_selectorELNS0_4arch9wavefront6targetE1EEEvT1_,comdat
.Lfunc_end904:
	.size	_ZN7rocprim17ROCPRIM_400000_NS6detail17trampoline_kernelINS0_14default_configENS1_27scan_by_key_config_selectorIxxEEZZNS1_16scan_by_key_implILNS1_25lookback_scan_determinismE0ELb0ES3_N6thrust23THRUST_200600_302600_NS6detail15normal_iteratorINS9_10device_ptrIxEEEENS9_18transform_iteratorINS9_6negateIxEESE_NS9_11use_defaultESI_EESE_xNS9_4plusIvEENS9_8equal_toIvEExEE10hipError_tPvRmT2_T3_T4_T5_mT6_T7_P12ihipStream_tbENKUlT_T0_E_clISt17integral_constantIbLb1EES14_EEDaSZ_S10_EUlSZ_E_NS1_11comp_targetILNS1_3genE5ELNS1_11target_archE942ELNS1_3gpuE9ELNS1_3repE0EEENS1_30default_config_static_selectorELNS0_4arch9wavefront6targetE1EEEvT1_, .Lfunc_end904-_ZN7rocprim17ROCPRIM_400000_NS6detail17trampoline_kernelINS0_14default_configENS1_27scan_by_key_config_selectorIxxEEZZNS1_16scan_by_key_implILNS1_25lookback_scan_determinismE0ELb0ES3_N6thrust23THRUST_200600_302600_NS6detail15normal_iteratorINS9_10device_ptrIxEEEENS9_18transform_iteratorINS9_6negateIxEESE_NS9_11use_defaultESI_EESE_xNS9_4plusIvEENS9_8equal_toIvEExEE10hipError_tPvRmT2_T3_T4_T5_mT6_T7_P12ihipStream_tbENKUlT_T0_E_clISt17integral_constantIbLb1EES14_EEDaSZ_S10_EUlSZ_E_NS1_11comp_targetILNS1_3genE5ELNS1_11target_archE942ELNS1_3gpuE9ELNS1_3repE0EEENS1_30default_config_static_selectorELNS0_4arch9wavefront6targetE1EEEvT1_
                                        ; -- End function
	.section	.AMDGPU.csdata,"",@progbits
; Kernel info:
; codeLenInByte = 12808
; NumSgprs: 76
; NumVgprs: 92
; NumAgprs: 0
; TotalNumVgprs: 92
; ScratchSize: 0
; MemoryBound: 0
; FloatMode: 240
; IeeeMode: 1
; LDSByteSize: 32768 bytes/workgroup (compile time only)
; SGPRBlocks: 9
; VGPRBlocks: 11
; NumSGPRsForWavesPerEU: 76
; NumVGPRsForWavesPerEU: 92
; AccumOffset: 92
; Occupancy: 2
; WaveLimiterHint : 1
; COMPUTE_PGM_RSRC2:SCRATCH_EN: 0
; COMPUTE_PGM_RSRC2:USER_SGPR: 2
; COMPUTE_PGM_RSRC2:TRAP_HANDLER: 0
; COMPUTE_PGM_RSRC2:TGID_X_EN: 1
; COMPUTE_PGM_RSRC2:TGID_Y_EN: 0
; COMPUTE_PGM_RSRC2:TGID_Z_EN: 0
; COMPUTE_PGM_RSRC2:TIDIG_COMP_CNT: 0
; COMPUTE_PGM_RSRC3_GFX90A:ACCUM_OFFSET: 22
; COMPUTE_PGM_RSRC3_GFX90A:TG_SPLIT: 0
	.section	.text._ZN7rocprim17ROCPRIM_400000_NS6detail17trampoline_kernelINS0_14default_configENS1_27scan_by_key_config_selectorIxxEEZZNS1_16scan_by_key_implILNS1_25lookback_scan_determinismE0ELb0ES3_N6thrust23THRUST_200600_302600_NS6detail15normal_iteratorINS9_10device_ptrIxEEEENS9_18transform_iteratorINS9_6negateIxEESE_NS9_11use_defaultESI_EESE_xNS9_4plusIvEENS9_8equal_toIvEExEE10hipError_tPvRmT2_T3_T4_T5_mT6_T7_P12ihipStream_tbENKUlT_T0_E_clISt17integral_constantIbLb1EES14_EEDaSZ_S10_EUlSZ_E_NS1_11comp_targetILNS1_3genE4ELNS1_11target_archE910ELNS1_3gpuE8ELNS1_3repE0EEENS1_30default_config_static_selectorELNS0_4arch9wavefront6targetE1EEEvT1_,"axG",@progbits,_ZN7rocprim17ROCPRIM_400000_NS6detail17trampoline_kernelINS0_14default_configENS1_27scan_by_key_config_selectorIxxEEZZNS1_16scan_by_key_implILNS1_25lookback_scan_determinismE0ELb0ES3_N6thrust23THRUST_200600_302600_NS6detail15normal_iteratorINS9_10device_ptrIxEEEENS9_18transform_iteratorINS9_6negateIxEESE_NS9_11use_defaultESI_EESE_xNS9_4plusIvEENS9_8equal_toIvEExEE10hipError_tPvRmT2_T3_T4_T5_mT6_T7_P12ihipStream_tbENKUlT_T0_E_clISt17integral_constantIbLb1EES14_EEDaSZ_S10_EUlSZ_E_NS1_11comp_targetILNS1_3genE4ELNS1_11target_archE910ELNS1_3gpuE8ELNS1_3repE0EEENS1_30default_config_static_selectorELNS0_4arch9wavefront6targetE1EEEvT1_,comdat
	.protected	_ZN7rocprim17ROCPRIM_400000_NS6detail17trampoline_kernelINS0_14default_configENS1_27scan_by_key_config_selectorIxxEEZZNS1_16scan_by_key_implILNS1_25lookback_scan_determinismE0ELb0ES3_N6thrust23THRUST_200600_302600_NS6detail15normal_iteratorINS9_10device_ptrIxEEEENS9_18transform_iteratorINS9_6negateIxEESE_NS9_11use_defaultESI_EESE_xNS9_4plusIvEENS9_8equal_toIvEExEE10hipError_tPvRmT2_T3_T4_T5_mT6_T7_P12ihipStream_tbENKUlT_T0_E_clISt17integral_constantIbLb1EES14_EEDaSZ_S10_EUlSZ_E_NS1_11comp_targetILNS1_3genE4ELNS1_11target_archE910ELNS1_3gpuE8ELNS1_3repE0EEENS1_30default_config_static_selectorELNS0_4arch9wavefront6targetE1EEEvT1_ ; -- Begin function _ZN7rocprim17ROCPRIM_400000_NS6detail17trampoline_kernelINS0_14default_configENS1_27scan_by_key_config_selectorIxxEEZZNS1_16scan_by_key_implILNS1_25lookback_scan_determinismE0ELb0ES3_N6thrust23THRUST_200600_302600_NS6detail15normal_iteratorINS9_10device_ptrIxEEEENS9_18transform_iteratorINS9_6negateIxEESE_NS9_11use_defaultESI_EESE_xNS9_4plusIvEENS9_8equal_toIvEExEE10hipError_tPvRmT2_T3_T4_T5_mT6_T7_P12ihipStream_tbENKUlT_T0_E_clISt17integral_constantIbLb1EES14_EEDaSZ_S10_EUlSZ_E_NS1_11comp_targetILNS1_3genE4ELNS1_11target_archE910ELNS1_3gpuE8ELNS1_3repE0EEENS1_30default_config_static_selectorELNS0_4arch9wavefront6targetE1EEEvT1_
	.globl	_ZN7rocprim17ROCPRIM_400000_NS6detail17trampoline_kernelINS0_14default_configENS1_27scan_by_key_config_selectorIxxEEZZNS1_16scan_by_key_implILNS1_25lookback_scan_determinismE0ELb0ES3_N6thrust23THRUST_200600_302600_NS6detail15normal_iteratorINS9_10device_ptrIxEEEENS9_18transform_iteratorINS9_6negateIxEESE_NS9_11use_defaultESI_EESE_xNS9_4plusIvEENS9_8equal_toIvEExEE10hipError_tPvRmT2_T3_T4_T5_mT6_T7_P12ihipStream_tbENKUlT_T0_E_clISt17integral_constantIbLb1EES14_EEDaSZ_S10_EUlSZ_E_NS1_11comp_targetILNS1_3genE4ELNS1_11target_archE910ELNS1_3gpuE8ELNS1_3repE0EEENS1_30default_config_static_selectorELNS0_4arch9wavefront6targetE1EEEvT1_
	.p2align	8
	.type	_ZN7rocprim17ROCPRIM_400000_NS6detail17trampoline_kernelINS0_14default_configENS1_27scan_by_key_config_selectorIxxEEZZNS1_16scan_by_key_implILNS1_25lookback_scan_determinismE0ELb0ES3_N6thrust23THRUST_200600_302600_NS6detail15normal_iteratorINS9_10device_ptrIxEEEENS9_18transform_iteratorINS9_6negateIxEESE_NS9_11use_defaultESI_EESE_xNS9_4plusIvEENS9_8equal_toIvEExEE10hipError_tPvRmT2_T3_T4_T5_mT6_T7_P12ihipStream_tbENKUlT_T0_E_clISt17integral_constantIbLb1EES14_EEDaSZ_S10_EUlSZ_E_NS1_11comp_targetILNS1_3genE4ELNS1_11target_archE910ELNS1_3gpuE8ELNS1_3repE0EEENS1_30default_config_static_selectorELNS0_4arch9wavefront6targetE1EEEvT1_,@function
_ZN7rocprim17ROCPRIM_400000_NS6detail17trampoline_kernelINS0_14default_configENS1_27scan_by_key_config_selectorIxxEEZZNS1_16scan_by_key_implILNS1_25lookback_scan_determinismE0ELb0ES3_N6thrust23THRUST_200600_302600_NS6detail15normal_iteratorINS9_10device_ptrIxEEEENS9_18transform_iteratorINS9_6negateIxEESE_NS9_11use_defaultESI_EESE_xNS9_4plusIvEENS9_8equal_toIvEExEE10hipError_tPvRmT2_T3_T4_T5_mT6_T7_P12ihipStream_tbENKUlT_T0_E_clISt17integral_constantIbLb1EES14_EEDaSZ_S10_EUlSZ_E_NS1_11comp_targetILNS1_3genE4ELNS1_11target_archE910ELNS1_3gpuE8ELNS1_3repE0EEENS1_30default_config_static_selectorELNS0_4arch9wavefront6targetE1EEEvT1_: ; @_ZN7rocprim17ROCPRIM_400000_NS6detail17trampoline_kernelINS0_14default_configENS1_27scan_by_key_config_selectorIxxEEZZNS1_16scan_by_key_implILNS1_25lookback_scan_determinismE0ELb0ES3_N6thrust23THRUST_200600_302600_NS6detail15normal_iteratorINS9_10device_ptrIxEEEENS9_18transform_iteratorINS9_6negateIxEESE_NS9_11use_defaultESI_EESE_xNS9_4plusIvEENS9_8equal_toIvEExEE10hipError_tPvRmT2_T3_T4_T5_mT6_T7_P12ihipStream_tbENKUlT_T0_E_clISt17integral_constantIbLb1EES14_EEDaSZ_S10_EUlSZ_E_NS1_11comp_targetILNS1_3genE4ELNS1_11target_archE910ELNS1_3gpuE8ELNS1_3repE0EEENS1_30default_config_static_selectorELNS0_4arch9wavefront6targetE1EEEvT1_
; %bb.0:
	.section	.rodata,"a",@progbits
	.p2align	6, 0x0
	.amdhsa_kernel _ZN7rocprim17ROCPRIM_400000_NS6detail17trampoline_kernelINS0_14default_configENS1_27scan_by_key_config_selectorIxxEEZZNS1_16scan_by_key_implILNS1_25lookback_scan_determinismE0ELb0ES3_N6thrust23THRUST_200600_302600_NS6detail15normal_iteratorINS9_10device_ptrIxEEEENS9_18transform_iteratorINS9_6negateIxEESE_NS9_11use_defaultESI_EESE_xNS9_4plusIvEENS9_8equal_toIvEExEE10hipError_tPvRmT2_T3_T4_T5_mT6_T7_P12ihipStream_tbENKUlT_T0_E_clISt17integral_constantIbLb1EES14_EEDaSZ_S10_EUlSZ_E_NS1_11comp_targetILNS1_3genE4ELNS1_11target_archE910ELNS1_3gpuE8ELNS1_3repE0EEENS1_30default_config_static_selectorELNS0_4arch9wavefront6targetE1EEEvT1_
		.amdhsa_group_segment_fixed_size 0
		.amdhsa_private_segment_fixed_size 0
		.amdhsa_kernarg_size 144
		.amdhsa_user_sgpr_count 2
		.amdhsa_user_sgpr_dispatch_ptr 0
		.amdhsa_user_sgpr_queue_ptr 0
		.amdhsa_user_sgpr_kernarg_segment_ptr 1
		.amdhsa_user_sgpr_dispatch_id 0
		.amdhsa_user_sgpr_kernarg_preload_length 0
		.amdhsa_user_sgpr_kernarg_preload_offset 0
		.amdhsa_user_sgpr_private_segment_size 0
		.amdhsa_uses_dynamic_stack 0
		.amdhsa_enable_private_segment 0
		.amdhsa_system_sgpr_workgroup_id_x 1
		.amdhsa_system_sgpr_workgroup_id_y 0
		.amdhsa_system_sgpr_workgroup_id_z 0
		.amdhsa_system_sgpr_workgroup_info 0
		.amdhsa_system_vgpr_workitem_id 0
		.amdhsa_next_free_vgpr 1
		.amdhsa_next_free_sgpr 0
		.amdhsa_accum_offset 4
		.amdhsa_reserve_vcc 0
		.amdhsa_float_round_mode_32 0
		.amdhsa_float_round_mode_16_64 0
		.amdhsa_float_denorm_mode_32 3
		.amdhsa_float_denorm_mode_16_64 3
		.amdhsa_dx10_clamp 1
		.amdhsa_ieee_mode 1
		.amdhsa_fp16_overflow 0
		.amdhsa_tg_split 0
		.amdhsa_exception_fp_ieee_invalid_op 0
		.amdhsa_exception_fp_denorm_src 0
		.amdhsa_exception_fp_ieee_div_zero 0
		.amdhsa_exception_fp_ieee_overflow 0
		.amdhsa_exception_fp_ieee_underflow 0
		.amdhsa_exception_fp_ieee_inexact 0
		.amdhsa_exception_int_div_zero 0
	.end_amdhsa_kernel
	.section	.text._ZN7rocprim17ROCPRIM_400000_NS6detail17trampoline_kernelINS0_14default_configENS1_27scan_by_key_config_selectorIxxEEZZNS1_16scan_by_key_implILNS1_25lookback_scan_determinismE0ELb0ES3_N6thrust23THRUST_200600_302600_NS6detail15normal_iteratorINS9_10device_ptrIxEEEENS9_18transform_iteratorINS9_6negateIxEESE_NS9_11use_defaultESI_EESE_xNS9_4plusIvEENS9_8equal_toIvEExEE10hipError_tPvRmT2_T3_T4_T5_mT6_T7_P12ihipStream_tbENKUlT_T0_E_clISt17integral_constantIbLb1EES14_EEDaSZ_S10_EUlSZ_E_NS1_11comp_targetILNS1_3genE4ELNS1_11target_archE910ELNS1_3gpuE8ELNS1_3repE0EEENS1_30default_config_static_selectorELNS0_4arch9wavefront6targetE1EEEvT1_,"axG",@progbits,_ZN7rocprim17ROCPRIM_400000_NS6detail17trampoline_kernelINS0_14default_configENS1_27scan_by_key_config_selectorIxxEEZZNS1_16scan_by_key_implILNS1_25lookback_scan_determinismE0ELb0ES3_N6thrust23THRUST_200600_302600_NS6detail15normal_iteratorINS9_10device_ptrIxEEEENS9_18transform_iteratorINS9_6negateIxEESE_NS9_11use_defaultESI_EESE_xNS9_4plusIvEENS9_8equal_toIvEExEE10hipError_tPvRmT2_T3_T4_T5_mT6_T7_P12ihipStream_tbENKUlT_T0_E_clISt17integral_constantIbLb1EES14_EEDaSZ_S10_EUlSZ_E_NS1_11comp_targetILNS1_3genE4ELNS1_11target_archE910ELNS1_3gpuE8ELNS1_3repE0EEENS1_30default_config_static_selectorELNS0_4arch9wavefront6targetE1EEEvT1_,comdat
.Lfunc_end905:
	.size	_ZN7rocprim17ROCPRIM_400000_NS6detail17trampoline_kernelINS0_14default_configENS1_27scan_by_key_config_selectorIxxEEZZNS1_16scan_by_key_implILNS1_25lookback_scan_determinismE0ELb0ES3_N6thrust23THRUST_200600_302600_NS6detail15normal_iteratorINS9_10device_ptrIxEEEENS9_18transform_iteratorINS9_6negateIxEESE_NS9_11use_defaultESI_EESE_xNS9_4plusIvEENS9_8equal_toIvEExEE10hipError_tPvRmT2_T3_T4_T5_mT6_T7_P12ihipStream_tbENKUlT_T0_E_clISt17integral_constantIbLb1EES14_EEDaSZ_S10_EUlSZ_E_NS1_11comp_targetILNS1_3genE4ELNS1_11target_archE910ELNS1_3gpuE8ELNS1_3repE0EEENS1_30default_config_static_selectorELNS0_4arch9wavefront6targetE1EEEvT1_, .Lfunc_end905-_ZN7rocprim17ROCPRIM_400000_NS6detail17trampoline_kernelINS0_14default_configENS1_27scan_by_key_config_selectorIxxEEZZNS1_16scan_by_key_implILNS1_25lookback_scan_determinismE0ELb0ES3_N6thrust23THRUST_200600_302600_NS6detail15normal_iteratorINS9_10device_ptrIxEEEENS9_18transform_iteratorINS9_6negateIxEESE_NS9_11use_defaultESI_EESE_xNS9_4plusIvEENS9_8equal_toIvEExEE10hipError_tPvRmT2_T3_T4_T5_mT6_T7_P12ihipStream_tbENKUlT_T0_E_clISt17integral_constantIbLb1EES14_EEDaSZ_S10_EUlSZ_E_NS1_11comp_targetILNS1_3genE4ELNS1_11target_archE910ELNS1_3gpuE8ELNS1_3repE0EEENS1_30default_config_static_selectorELNS0_4arch9wavefront6targetE1EEEvT1_
                                        ; -- End function
	.section	.AMDGPU.csdata,"",@progbits
; Kernel info:
; codeLenInByte = 0
; NumSgprs: 6
; NumVgprs: 0
; NumAgprs: 0
; TotalNumVgprs: 0
; ScratchSize: 0
; MemoryBound: 0
; FloatMode: 240
; IeeeMode: 1
; LDSByteSize: 0 bytes/workgroup (compile time only)
; SGPRBlocks: 0
; VGPRBlocks: 0
; NumSGPRsForWavesPerEU: 6
; NumVGPRsForWavesPerEU: 1
; AccumOffset: 4
; Occupancy: 8
; WaveLimiterHint : 0
; COMPUTE_PGM_RSRC2:SCRATCH_EN: 0
; COMPUTE_PGM_RSRC2:USER_SGPR: 2
; COMPUTE_PGM_RSRC2:TRAP_HANDLER: 0
; COMPUTE_PGM_RSRC2:TGID_X_EN: 1
; COMPUTE_PGM_RSRC2:TGID_Y_EN: 0
; COMPUTE_PGM_RSRC2:TGID_Z_EN: 0
; COMPUTE_PGM_RSRC2:TIDIG_COMP_CNT: 0
; COMPUTE_PGM_RSRC3_GFX90A:ACCUM_OFFSET: 0
; COMPUTE_PGM_RSRC3_GFX90A:TG_SPLIT: 0
	.section	.text._ZN7rocprim17ROCPRIM_400000_NS6detail17trampoline_kernelINS0_14default_configENS1_27scan_by_key_config_selectorIxxEEZZNS1_16scan_by_key_implILNS1_25lookback_scan_determinismE0ELb0ES3_N6thrust23THRUST_200600_302600_NS6detail15normal_iteratorINS9_10device_ptrIxEEEENS9_18transform_iteratorINS9_6negateIxEESE_NS9_11use_defaultESI_EESE_xNS9_4plusIvEENS9_8equal_toIvEExEE10hipError_tPvRmT2_T3_T4_T5_mT6_T7_P12ihipStream_tbENKUlT_T0_E_clISt17integral_constantIbLb1EES14_EEDaSZ_S10_EUlSZ_E_NS1_11comp_targetILNS1_3genE3ELNS1_11target_archE908ELNS1_3gpuE7ELNS1_3repE0EEENS1_30default_config_static_selectorELNS0_4arch9wavefront6targetE1EEEvT1_,"axG",@progbits,_ZN7rocprim17ROCPRIM_400000_NS6detail17trampoline_kernelINS0_14default_configENS1_27scan_by_key_config_selectorIxxEEZZNS1_16scan_by_key_implILNS1_25lookback_scan_determinismE0ELb0ES3_N6thrust23THRUST_200600_302600_NS6detail15normal_iteratorINS9_10device_ptrIxEEEENS9_18transform_iteratorINS9_6negateIxEESE_NS9_11use_defaultESI_EESE_xNS9_4plusIvEENS9_8equal_toIvEExEE10hipError_tPvRmT2_T3_T4_T5_mT6_T7_P12ihipStream_tbENKUlT_T0_E_clISt17integral_constantIbLb1EES14_EEDaSZ_S10_EUlSZ_E_NS1_11comp_targetILNS1_3genE3ELNS1_11target_archE908ELNS1_3gpuE7ELNS1_3repE0EEENS1_30default_config_static_selectorELNS0_4arch9wavefront6targetE1EEEvT1_,comdat
	.protected	_ZN7rocprim17ROCPRIM_400000_NS6detail17trampoline_kernelINS0_14default_configENS1_27scan_by_key_config_selectorIxxEEZZNS1_16scan_by_key_implILNS1_25lookback_scan_determinismE0ELb0ES3_N6thrust23THRUST_200600_302600_NS6detail15normal_iteratorINS9_10device_ptrIxEEEENS9_18transform_iteratorINS9_6negateIxEESE_NS9_11use_defaultESI_EESE_xNS9_4plusIvEENS9_8equal_toIvEExEE10hipError_tPvRmT2_T3_T4_T5_mT6_T7_P12ihipStream_tbENKUlT_T0_E_clISt17integral_constantIbLb1EES14_EEDaSZ_S10_EUlSZ_E_NS1_11comp_targetILNS1_3genE3ELNS1_11target_archE908ELNS1_3gpuE7ELNS1_3repE0EEENS1_30default_config_static_selectorELNS0_4arch9wavefront6targetE1EEEvT1_ ; -- Begin function _ZN7rocprim17ROCPRIM_400000_NS6detail17trampoline_kernelINS0_14default_configENS1_27scan_by_key_config_selectorIxxEEZZNS1_16scan_by_key_implILNS1_25lookback_scan_determinismE0ELb0ES3_N6thrust23THRUST_200600_302600_NS6detail15normal_iteratorINS9_10device_ptrIxEEEENS9_18transform_iteratorINS9_6negateIxEESE_NS9_11use_defaultESI_EESE_xNS9_4plusIvEENS9_8equal_toIvEExEE10hipError_tPvRmT2_T3_T4_T5_mT6_T7_P12ihipStream_tbENKUlT_T0_E_clISt17integral_constantIbLb1EES14_EEDaSZ_S10_EUlSZ_E_NS1_11comp_targetILNS1_3genE3ELNS1_11target_archE908ELNS1_3gpuE7ELNS1_3repE0EEENS1_30default_config_static_selectorELNS0_4arch9wavefront6targetE1EEEvT1_
	.globl	_ZN7rocprim17ROCPRIM_400000_NS6detail17trampoline_kernelINS0_14default_configENS1_27scan_by_key_config_selectorIxxEEZZNS1_16scan_by_key_implILNS1_25lookback_scan_determinismE0ELb0ES3_N6thrust23THRUST_200600_302600_NS6detail15normal_iteratorINS9_10device_ptrIxEEEENS9_18transform_iteratorINS9_6negateIxEESE_NS9_11use_defaultESI_EESE_xNS9_4plusIvEENS9_8equal_toIvEExEE10hipError_tPvRmT2_T3_T4_T5_mT6_T7_P12ihipStream_tbENKUlT_T0_E_clISt17integral_constantIbLb1EES14_EEDaSZ_S10_EUlSZ_E_NS1_11comp_targetILNS1_3genE3ELNS1_11target_archE908ELNS1_3gpuE7ELNS1_3repE0EEENS1_30default_config_static_selectorELNS0_4arch9wavefront6targetE1EEEvT1_
	.p2align	8
	.type	_ZN7rocprim17ROCPRIM_400000_NS6detail17trampoline_kernelINS0_14default_configENS1_27scan_by_key_config_selectorIxxEEZZNS1_16scan_by_key_implILNS1_25lookback_scan_determinismE0ELb0ES3_N6thrust23THRUST_200600_302600_NS6detail15normal_iteratorINS9_10device_ptrIxEEEENS9_18transform_iteratorINS9_6negateIxEESE_NS9_11use_defaultESI_EESE_xNS9_4plusIvEENS9_8equal_toIvEExEE10hipError_tPvRmT2_T3_T4_T5_mT6_T7_P12ihipStream_tbENKUlT_T0_E_clISt17integral_constantIbLb1EES14_EEDaSZ_S10_EUlSZ_E_NS1_11comp_targetILNS1_3genE3ELNS1_11target_archE908ELNS1_3gpuE7ELNS1_3repE0EEENS1_30default_config_static_selectorELNS0_4arch9wavefront6targetE1EEEvT1_,@function
_ZN7rocprim17ROCPRIM_400000_NS6detail17trampoline_kernelINS0_14default_configENS1_27scan_by_key_config_selectorIxxEEZZNS1_16scan_by_key_implILNS1_25lookback_scan_determinismE0ELb0ES3_N6thrust23THRUST_200600_302600_NS6detail15normal_iteratorINS9_10device_ptrIxEEEENS9_18transform_iteratorINS9_6negateIxEESE_NS9_11use_defaultESI_EESE_xNS9_4plusIvEENS9_8equal_toIvEExEE10hipError_tPvRmT2_T3_T4_T5_mT6_T7_P12ihipStream_tbENKUlT_T0_E_clISt17integral_constantIbLb1EES14_EEDaSZ_S10_EUlSZ_E_NS1_11comp_targetILNS1_3genE3ELNS1_11target_archE908ELNS1_3gpuE7ELNS1_3repE0EEENS1_30default_config_static_selectorELNS0_4arch9wavefront6targetE1EEEvT1_: ; @_ZN7rocprim17ROCPRIM_400000_NS6detail17trampoline_kernelINS0_14default_configENS1_27scan_by_key_config_selectorIxxEEZZNS1_16scan_by_key_implILNS1_25lookback_scan_determinismE0ELb0ES3_N6thrust23THRUST_200600_302600_NS6detail15normal_iteratorINS9_10device_ptrIxEEEENS9_18transform_iteratorINS9_6negateIxEESE_NS9_11use_defaultESI_EESE_xNS9_4plusIvEENS9_8equal_toIvEExEE10hipError_tPvRmT2_T3_T4_T5_mT6_T7_P12ihipStream_tbENKUlT_T0_E_clISt17integral_constantIbLb1EES14_EEDaSZ_S10_EUlSZ_E_NS1_11comp_targetILNS1_3genE3ELNS1_11target_archE908ELNS1_3gpuE7ELNS1_3repE0EEENS1_30default_config_static_selectorELNS0_4arch9wavefront6targetE1EEEvT1_
; %bb.0:
	.section	.rodata,"a",@progbits
	.p2align	6, 0x0
	.amdhsa_kernel _ZN7rocprim17ROCPRIM_400000_NS6detail17trampoline_kernelINS0_14default_configENS1_27scan_by_key_config_selectorIxxEEZZNS1_16scan_by_key_implILNS1_25lookback_scan_determinismE0ELb0ES3_N6thrust23THRUST_200600_302600_NS6detail15normal_iteratorINS9_10device_ptrIxEEEENS9_18transform_iteratorINS9_6negateIxEESE_NS9_11use_defaultESI_EESE_xNS9_4plusIvEENS9_8equal_toIvEExEE10hipError_tPvRmT2_T3_T4_T5_mT6_T7_P12ihipStream_tbENKUlT_T0_E_clISt17integral_constantIbLb1EES14_EEDaSZ_S10_EUlSZ_E_NS1_11comp_targetILNS1_3genE3ELNS1_11target_archE908ELNS1_3gpuE7ELNS1_3repE0EEENS1_30default_config_static_selectorELNS0_4arch9wavefront6targetE1EEEvT1_
		.amdhsa_group_segment_fixed_size 0
		.amdhsa_private_segment_fixed_size 0
		.amdhsa_kernarg_size 144
		.amdhsa_user_sgpr_count 2
		.amdhsa_user_sgpr_dispatch_ptr 0
		.amdhsa_user_sgpr_queue_ptr 0
		.amdhsa_user_sgpr_kernarg_segment_ptr 1
		.amdhsa_user_sgpr_dispatch_id 0
		.amdhsa_user_sgpr_kernarg_preload_length 0
		.amdhsa_user_sgpr_kernarg_preload_offset 0
		.amdhsa_user_sgpr_private_segment_size 0
		.amdhsa_uses_dynamic_stack 0
		.amdhsa_enable_private_segment 0
		.amdhsa_system_sgpr_workgroup_id_x 1
		.amdhsa_system_sgpr_workgroup_id_y 0
		.amdhsa_system_sgpr_workgroup_id_z 0
		.amdhsa_system_sgpr_workgroup_info 0
		.amdhsa_system_vgpr_workitem_id 0
		.amdhsa_next_free_vgpr 1
		.amdhsa_next_free_sgpr 0
		.amdhsa_accum_offset 4
		.amdhsa_reserve_vcc 0
		.amdhsa_float_round_mode_32 0
		.amdhsa_float_round_mode_16_64 0
		.amdhsa_float_denorm_mode_32 3
		.amdhsa_float_denorm_mode_16_64 3
		.amdhsa_dx10_clamp 1
		.amdhsa_ieee_mode 1
		.amdhsa_fp16_overflow 0
		.amdhsa_tg_split 0
		.amdhsa_exception_fp_ieee_invalid_op 0
		.amdhsa_exception_fp_denorm_src 0
		.amdhsa_exception_fp_ieee_div_zero 0
		.amdhsa_exception_fp_ieee_overflow 0
		.amdhsa_exception_fp_ieee_underflow 0
		.amdhsa_exception_fp_ieee_inexact 0
		.amdhsa_exception_int_div_zero 0
	.end_amdhsa_kernel
	.section	.text._ZN7rocprim17ROCPRIM_400000_NS6detail17trampoline_kernelINS0_14default_configENS1_27scan_by_key_config_selectorIxxEEZZNS1_16scan_by_key_implILNS1_25lookback_scan_determinismE0ELb0ES3_N6thrust23THRUST_200600_302600_NS6detail15normal_iteratorINS9_10device_ptrIxEEEENS9_18transform_iteratorINS9_6negateIxEESE_NS9_11use_defaultESI_EESE_xNS9_4plusIvEENS9_8equal_toIvEExEE10hipError_tPvRmT2_T3_T4_T5_mT6_T7_P12ihipStream_tbENKUlT_T0_E_clISt17integral_constantIbLb1EES14_EEDaSZ_S10_EUlSZ_E_NS1_11comp_targetILNS1_3genE3ELNS1_11target_archE908ELNS1_3gpuE7ELNS1_3repE0EEENS1_30default_config_static_selectorELNS0_4arch9wavefront6targetE1EEEvT1_,"axG",@progbits,_ZN7rocprim17ROCPRIM_400000_NS6detail17trampoline_kernelINS0_14default_configENS1_27scan_by_key_config_selectorIxxEEZZNS1_16scan_by_key_implILNS1_25lookback_scan_determinismE0ELb0ES3_N6thrust23THRUST_200600_302600_NS6detail15normal_iteratorINS9_10device_ptrIxEEEENS9_18transform_iteratorINS9_6negateIxEESE_NS9_11use_defaultESI_EESE_xNS9_4plusIvEENS9_8equal_toIvEExEE10hipError_tPvRmT2_T3_T4_T5_mT6_T7_P12ihipStream_tbENKUlT_T0_E_clISt17integral_constantIbLb1EES14_EEDaSZ_S10_EUlSZ_E_NS1_11comp_targetILNS1_3genE3ELNS1_11target_archE908ELNS1_3gpuE7ELNS1_3repE0EEENS1_30default_config_static_selectorELNS0_4arch9wavefront6targetE1EEEvT1_,comdat
.Lfunc_end906:
	.size	_ZN7rocprim17ROCPRIM_400000_NS6detail17trampoline_kernelINS0_14default_configENS1_27scan_by_key_config_selectorIxxEEZZNS1_16scan_by_key_implILNS1_25lookback_scan_determinismE0ELb0ES3_N6thrust23THRUST_200600_302600_NS6detail15normal_iteratorINS9_10device_ptrIxEEEENS9_18transform_iteratorINS9_6negateIxEESE_NS9_11use_defaultESI_EESE_xNS9_4plusIvEENS9_8equal_toIvEExEE10hipError_tPvRmT2_T3_T4_T5_mT6_T7_P12ihipStream_tbENKUlT_T0_E_clISt17integral_constantIbLb1EES14_EEDaSZ_S10_EUlSZ_E_NS1_11comp_targetILNS1_3genE3ELNS1_11target_archE908ELNS1_3gpuE7ELNS1_3repE0EEENS1_30default_config_static_selectorELNS0_4arch9wavefront6targetE1EEEvT1_, .Lfunc_end906-_ZN7rocprim17ROCPRIM_400000_NS6detail17trampoline_kernelINS0_14default_configENS1_27scan_by_key_config_selectorIxxEEZZNS1_16scan_by_key_implILNS1_25lookback_scan_determinismE0ELb0ES3_N6thrust23THRUST_200600_302600_NS6detail15normal_iteratorINS9_10device_ptrIxEEEENS9_18transform_iteratorINS9_6negateIxEESE_NS9_11use_defaultESI_EESE_xNS9_4plusIvEENS9_8equal_toIvEExEE10hipError_tPvRmT2_T3_T4_T5_mT6_T7_P12ihipStream_tbENKUlT_T0_E_clISt17integral_constantIbLb1EES14_EEDaSZ_S10_EUlSZ_E_NS1_11comp_targetILNS1_3genE3ELNS1_11target_archE908ELNS1_3gpuE7ELNS1_3repE0EEENS1_30default_config_static_selectorELNS0_4arch9wavefront6targetE1EEEvT1_
                                        ; -- End function
	.section	.AMDGPU.csdata,"",@progbits
; Kernel info:
; codeLenInByte = 0
; NumSgprs: 6
; NumVgprs: 0
; NumAgprs: 0
; TotalNumVgprs: 0
; ScratchSize: 0
; MemoryBound: 0
; FloatMode: 240
; IeeeMode: 1
; LDSByteSize: 0 bytes/workgroup (compile time only)
; SGPRBlocks: 0
; VGPRBlocks: 0
; NumSGPRsForWavesPerEU: 6
; NumVGPRsForWavesPerEU: 1
; AccumOffset: 4
; Occupancy: 8
; WaveLimiterHint : 0
; COMPUTE_PGM_RSRC2:SCRATCH_EN: 0
; COMPUTE_PGM_RSRC2:USER_SGPR: 2
; COMPUTE_PGM_RSRC2:TRAP_HANDLER: 0
; COMPUTE_PGM_RSRC2:TGID_X_EN: 1
; COMPUTE_PGM_RSRC2:TGID_Y_EN: 0
; COMPUTE_PGM_RSRC2:TGID_Z_EN: 0
; COMPUTE_PGM_RSRC2:TIDIG_COMP_CNT: 0
; COMPUTE_PGM_RSRC3_GFX90A:ACCUM_OFFSET: 0
; COMPUTE_PGM_RSRC3_GFX90A:TG_SPLIT: 0
	.section	.text._ZN7rocprim17ROCPRIM_400000_NS6detail17trampoline_kernelINS0_14default_configENS1_27scan_by_key_config_selectorIxxEEZZNS1_16scan_by_key_implILNS1_25lookback_scan_determinismE0ELb0ES3_N6thrust23THRUST_200600_302600_NS6detail15normal_iteratorINS9_10device_ptrIxEEEENS9_18transform_iteratorINS9_6negateIxEESE_NS9_11use_defaultESI_EESE_xNS9_4plusIvEENS9_8equal_toIvEExEE10hipError_tPvRmT2_T3_T4_T5_mT6_T7_P12ihipStream_tbENKUlT_T0_E_clISt17integral_constantIbLb1EES14_EEDaSZ_S10_EUlSZ_E_NS1_11comp_targetILNS1_3genE2ELNS1_11target_archE906ELNS1_3gpuE6ELNS1_3repE0EEENS1_30default_config_static_selectorELNS0_4arch9wavefront6targetE1EEEvT1_,"axG",@progbits,_ZN7rocprim17ROCPRIM_400000_NS6detail17trampoline_kernelINS0_14default_configENS1_27scan_by_key_config_selectorIxxEEZZNS1_16scan_by_key_implILNS1_25lookback_scan_determinismE0ELb0ES3_N6thrust23THRUST_200600_302600_NS6detail15normal_iteratorINS9_10device_ptrIxEEEENS9_18transform_iteratorINS9_6negateIxEESE_NS9_11use_defaultESI_EESE_xNS9_4plusIvEENS9_8equal_toIvEExEE10hipError_tPvRmT2_T3_T4_T5_mT6_T7_P12ihipStream_tbENKUlT_T0_E_clISt17integral_constantIbLb1EES14_EEDaSZ_S10_EUlSZ_E_NS1_11comp_targetILNS1_3genE2ELNS1_11target_archE906ELNS1_3gpuE6ELNS1_3repE0EEENS1_30default_config_static_selectorELNS0_4arch9wavefront6targetE1EEEvT1_,comdat
	.protected	_ZN7rocprim17ROCPRIM_400000_NS6detail17trampoline_kernelINS0_14default_configENS1_27scan_by_key_config_selectorIxxEEZZNS1_16scan_by_key_implILNS1_25lookback_scan_determinismE0ELb0ES3_N6thrust23THRUST_200600_302600_NS6detail15normal_iteratorINS9_10device_ptrIxEEEENS9_18transform_iteratorINS9_6negateIxEESE_NS9_11use_defaultESI_EESE_xNS9_4plusIvEENS9_8equal_toIvEExEE10hipError_tPvRmT2_T3_T4_T5_mT6_T7_P12ihipStream_tbENKUlT_T0_E_clISt17integral_constantIbLb1EES14_EEDaSZ_S10_EUlSZ_E_NS1_11comp_targetILNS1_3genE2ELNS1_11target_archE906ELNS1_3gpuE6ELNS1_3repE0EEENS1_30default_config_static_selectorELNS0_4arch9wavefront6targetE1EEEvT1_ ; -- Begin function _ZN7rocprim17ROCPRIM_400000_NS6detail17trampoline_kernelINS0_14default_configENS1_27scan_by_key_config_selectorIxxEEZZNS1_16scan_by_key_implILNS1_25lookback_scan_determinismE0ELb0ES3_N6thrust23THRUST_200600_302600_NS6detail15normal_iteratorINS9_10device_ptrIxEEEENS9_18transform_iteratorINS9_6negateIxEESE_NS9_11use_defaultESI_EESE_xNS9_4plusIvEENS9_8equal_toIvEExEE10hipError_tPvRmT2_T3_T4_T5_mT6_T7_P12ihipStream_tbENKUlT_T0_E_clISt17integral_constantIbLb1EES14_EEDaSZ_S10_EUlSZ_E_NS1_11comp_targetILNS1_3genE2ELNS1_11target_archE906ELNS1_3gpuE6ELNS1_3repE0EEENS1_30default_config_static_selectorELNS0_4arch9wavefront6targetE1EEEvT1_
	.globl	_ZN7rocprim17ROCPRIM_400000_NS6detail17trampoline_kernelINS0_14default_configENS1_27scan_by_key_config_selectorIxxEEZZNS1_16scan_by_key_implILNS1_25lookback_scan_determinismE0ELb0ES3_N6thrust23THRUST_200600_302600_NS6detail15normal_iteratorINS9_10device_ptrIxEEEENS9_18transform_iteratorINS9_6negateIxEESE_NS9_11use_defaultESI_EESE_xNS9_4plusIvEENS9_8equal_toIvEExEE10hipError_tPvRmT2_T3_T4_T5_mT6_T7_P12ihipStream_tbENKUlT_T0_E_clISt17integral_constantIbLb1EES14_EEDaSZ_S10_EUlSZ_E_NS1_11comp_targetILNS1_3genE2ELNS1_11target_archE906ELNS1_3gpuE6ELNS1_3repE0EEENS1_30default_config_static_selectorELNS0_4arch9wavefront6targetE1EEEvT1_
	.p2align	8
	.type	_ZN7rocprim17ROCPRIM_400000_NS6detail17trampoline_kernelINS0_14default_configENS1_27scan_by_key_config_selectorIxxEEZZNS1_16scan_by_key_implILNS1_25lookback_scan_determinismE0ELb0ES3_N6thrust23THRUST_200600_302600_NS6detail15normal_iteratorINS9_10device_ptrIxEEEENS9_18transform_iteratorINS9_6negateIxEESE_NS9_11use_defaultESI_EESE_xNS9_4plusIvEENS9_8equal_toIvEExEE10hipError_tPvRmT2_T3_T4_T5_mT6_T7_P12ihipStream_tbENKUlT_T0_E_clISt17integral_constantIbLb1EES14_EEDaSZ_S10_EUlSZ_E_NS1_11comp_targetILNS1_3genE2ELNS1_11target_archE906ELNS1_3gpuE6ELNS1_3repE0EEENS1_30default_config_static_selectorELNS0_4arch9wavefront6targetE1EEEvT1_,@function
_ZN7rocprim17ROCPRIM_400000_NS6detail17trampoline_kernelINS0_14default_configENS1_27scan_by_key_config_selectorIxxEEZZNS1_16scan_by_key_implILNS1_25lookback_scan_determinismE0ELb0ES3_N6thrust23THRUST_200600_302600_NS6detail15normal_iteratorINS9_10device_ptrIxEEEENS9_18transform_iteratorINS9_6negateIxEESE_NS9_11use_defaultESI_EESE_xNS9_4plusIvEENS9_8equal_toIvEExEE10hipError_tPvRmT2_T3_T4_T5_mT6_T7_P12ihipStream_tbENKUlT_T0_E_clISt17integral_constantIbLb1EES14_EEDaSZ_S10_EUlSZ_E_NS1_11comp_targetILNS1_3genE2ELNS1_11target_archE906ELNS1_3gpuE6ELNS1_3repE0EEENS1_30default_config_static_selectorELNS0_4arch9wavefront6targetE1EEEvT1_: ; @_ZN7rocprim17ROCPRIM_400000_NS6detail17trampoline_kernelINS0_14default_configENS1_27scan_by_key_config_selectorIxxEEZZNS1_16scan_by_key_implILNS1_25lookback_scan_determinismE0ELb0ES3_N6thrust23THRUST_200600_302600_NS6detail15normal_iteratorINS9_10device_ptrIxEEEENS9_18transform_iteratorINS9_6negateIxEESE_NS9_11use_defaultESI_EESE_xNS9_4plusIvEENS9_8equal_toIvEExEE10hipError_tPvRmT2_T3_T4_T5_mT6_T7_P12ihipStream_tbENKUlT_T0_E_clISt17integral_constantIbLb1EES14_EEDaSZ_S10_EUlSZ_E_NS1_11comp_targetILNS1_3genE2ELNS1_11target_archE906ELNS1_3gpuE6ELNS1_3repE0EEENS1_30default_config_static_selectorELNS0_4arch9wavefront6targetE1EEEvT1_
; %bb.0:
	.section	.rodata,"a",@progbits
	.p2align	6, 0x0
	.amdhsa_kernel _ZN7rocprim17ROCPRIM_400000_NS6detail17trampoline_kernelINS0_14default_configENS1_27scan_by_key_config_selectorIxxEEZZNS1_16scan_by_key_implILNS1_25lookback_scan_determinismE0ELb0ES3_N6thrust23THRUST_200600_302600_NS6detail15normal_iteratorINS9_10device_ptrIxEEEENS9_18transform_iteratorINS9_6negateIxEESE_NS9_11use_defaultESI_EESE_xNS9_4plusIvEENS9_8equal_toIvEExEE10hipError_tPvRmT2_T3_T4_T5_mT6_T7_P12ihipStream_tbENKUlT_T0_E_clISt17integral_constantIbLb1EES14_EEDaSZ_S10_EUlSZ_E_NS1_11comp_targetILNS1_3genE2ELNS1_11target_archE906ELNS1_3gpuE6ELNS1_3repE0EEENS1_30default_config_static_selectorELNS0_4arch9wavefront6targetE1EEEvT1_
		.amdhsa_group_segment_fixed_size 0
		.amdhsa_private_segment_fixed_size 0
		.amdhsa_kernarg_size 144
		.amdhsa_user_sgpr_count 2
		.amdhsa_user_sgpr_dispatch_ptr 0
		.amdhsa_user_sgpr_queue_ptr 0
		.amdhsa_user_sgpr_kernarg_segment_ptr 1
		.amdhsa_user_sgpr_dispatch_id 0
		.amdhsa_user_sgpr_kernarg_preload_length 0
		.amdhsa_user_sgpr_kernarg_preload_offset 0
		.amdhsa_user_sgpr_private_segment_size 0
		.amdhsa_uses_dynamic_stack 0
		.amdhsa_enable_private_segment 0
		.amdhsa_system_sgpr_workgroup_id_x 1
		.amdhsa_system_sgpr_workgroup_id_y 0
		.amdhsa_system_sgpr_workgroup_id_z 0
		.amdhsa_system_sgpr_workgroup_info 0
		.amdhsa_system_vgpr_workitem_id 0
		.amdhsa_next_free_vgpr 1
		.amdhsa_next_free_sgpr 0
		.amdhsa_accum_offset 4
		.amdhsa_reserve_vcc 0
		.amdhsa_float_round_mode_32 0
		.amdhsa_float_round_mode_16_64 0
		.amdhsa_float_denorm_mode_32 3
		.amdhsa_float_denorm_mode_16_64 3
		.amdhsa_dx10_clamp 1
		.amdhsa_ieee_mode 1
		.amdhsa_fp16_overflow 0
		.amdhsa_tg_split 0
		.amdhsa_exception_fp_ieee_invalid_op 0
		.amdhsa_exception_fp_denorm_src 0
		.amdhsa_exception_fp_ieee_div_zero 0
		.amdhsa_exception_fp_ieee_overflow 0
		.amdhsa_exception_fp_ieee_underflow 0
		.amdhsa_exception_fp_ieee_inexact 0
		.amdhsa_exception_int_div_zero 0
	.end_amdhsa_kernel
	.section	.text._ZN7rocprim17ROCPRIM_400000_NS6detail17trampoline_kernelINS0_14default_configENS1_27scan_by_key_config_selectorIxxEEZZNS1_16scan_by_key_implILNS1_25lookback_scan_determinismE0ELb0ES3_N6thrust23THRUST_200600_302600_NS6detail15normal_iteratorINS9_10device_ptrIxEEEENS9_18transform_iteratorINS9_6negateIxEESE_NS9_11use_defaultESI_EESE_xNS9_4plusIvEENS9_8equal_toIvEExEE10hipError_tPvRmT2_T3_T4_T5_mT6_T7_P12ihipStream_tbENKUlT_T0_E_clISt17integral_constantIbLb1EES14_EEDaSZ_S10_EUlSZ_E_NS1_11comp_targetILNS1_3genE2ELNS1_11target_archE906ELNS1_3gpuE6ELNS1_3repE0EEENS1_30default_config_static_selectorELNS0_4arch9wavefront6targetE1EEEvT1_,"axG",@progbits,_ZN7rocprim17ROCPRIM_400000_NS6detail17trampoline_kernelINS0_14default_configENS1_27scan_by_key_config_selectorIxxEEZZNS1_16scan_by_key_implILNS1_25lookback_scan_determinismE0ELb0ES3_N6thrust23THRUST_200600_302600_NS6detail15normal_iteratorINS9_10device_ptrIxEEEENS9_18transform_iteratorINS9_6negateIxEESE_NS9_11use_defaultESI_EESE_xNS9_4plusIvEENS9_8equal_toIvEExEE10hipError_tPvRmT2_T3_T4_T5_mT6_T7_P12ihipStream_tbENKUlT_T0_E_clISt17integral_constantIbLb1EES14_EEDaSZ_S10_EUlSZ_E_NS1_11comp_targetILNS1_3genE2ELNS1_11target_archE906ELNS1_3gpuE6ELNS1_3repE0EEENS1_30default_config_static_selectorELNS0_4arch9wavefront6targetE1EEEvT1_,comdat
.Lfunc_end907:
	.size	_ZN7rocprim17ROCPRIM_400000_NS6detail17trampoline_kernelINS0_14default_configENS1_27scan_by_key_config_selectorIxxEEZZNS1_16scan_by_key_implILNS1_25lookback_scan_determinismE0ELb0ES3_N6thrust23THRUST_200600_302600_NS6detail15normal_iteratorINS9_10device_ptrIxEEEENS9_18transform_iteratorINS9_6negateIxEESE_NS9_11use_defaultESI_EESE_xNS9_4plusIvEENS9_8equal_toIvEExEE10hipError_tPvRmT2_T3_T4_T5_mT6_T7_P12ihipStream_tbENKUlT_T0_E_clISt17integral_constantIbLb1EES14_EEDaSZ_S10_EUlSZ_E_NS1_11comp_targetILNS1_3genE2ELNS1_11target_archE906ELNS1_3gpuE6ELNS1_3repE0EEENS1_30default_config_static_selectorELNS0_4arch9wavefront6targetE1EEEvT1_, .Lfunc_end907-_ZN7rocprim17ROCPRIM_400000_NS6detail17trampoline_kernelINS0_14default_configENS1_27scan_by_key_config_selectorIxxEEZZNS1_16scan_by_key_implILNS1_25lookback_scan_determinismE0ELb0ES3_N6thrust23THRUST_200600_302600_NS6detail15normal_iteratorINS9_10device_ptrIxEEEENS9_18transform_iteratorINS9_6negateIxEESE_NS9_11use_defaultESI_EESE_xNS9_4plusIvEENS9_8equal_toIvEExEE10hipError_tPvRmT2_T3_T4_T5_mT6_T7_P12ihipStream_tbENKUlT_T0_E_clISt17integral_constantIbLb1EES14_EEDaSZ_S10_EUlSZ_E_NS1_11comp_targetILNS1_3genE2ELNS1_11target_archE906ELNS1_3gpuE6ELNS1_3repE0EEENS1_30default_config_static_selectorELNS0_4arch9wavefront6targetE1EEEvT1_
                                        ; -- End function
	.section	.AMDGPU.csdata,"",@progbits
; Kernel info:
; codeLenInByte = 0
; NumSgprs: 6
; NumVgprs: 0
; NumAgprs: 0
; TotalNumVgprs: 0
; ScratchSize: 0
; MemoryBound: 0
; FloatMode: 240
; IeeeMode: 1
; LDSByteSize: 0 bytes/workgroup (compile time only)
; SGPRBlocks: 0
; VGPRBlocks: 0
; NumSGPRsForWavesPerEU: 6
; NumVGPRsForWavesPerEU: 1
; AccumOffset: 4
; Occupancy: 8
; WaveLimiterHint : 0
; COMPUTE_PGM_RSRC2:SCRATCH_EN: 0
; COMPUTE_PGM_RSRC2:USER_SGPR: 2
; COMPUTE_PGM_RSRC2:TRAP_HANDLER: 0
; COMPUTE_PGM_RSRC2:TGID_X_EN: 1
; COMPUTE_PGM_RSRC2:TGID_Y_EN: 0
; COMPUTE_PGM_RSRC2:TGID_Z_EN: 0
; COMPUTE_PGM_RSRC2:TIDIG_COMP_CNT: 0
; COMPUTE_PGM_RSRC3_GFX90A:ACCUM_OFFSET: 0
; COMPUTE_PGM_RSRC3_GFX90A:TG_SPLIT: 0
	.section	.text._ZN7rocprim17ROCPRIM_400000_NS6detail17trampoline_kernelINS0_14default_configENS1_27scan_by_key_config_selectorIxxEEZZNS1_16scan_by_key_implILNS1_25lookback_scan_determinismE0ELb0ES3_N6thrust23THRUST_200600_302600_NS6detail15normal_iteratorINS9_10device_ptrIxEEEENS9_18transform_iteratorINS9_6negateIxEESE_NS9_11use_defaultESI_EESE_xNS9_4plusIvEENS9_8equal_toIvEExEE10hipError_tPvRmT2_T3_T4_T5_mT6_T7_P12ihipStream_tbENKUlT_T0_E_clISt17integral_constantIbLb1EES14_EEDaSZ_S10_EUlSZ_E_NS1_11comp_targetILNS1_3genE10ELNS1_11target_archE1200ELNS1_3gpuE4ELNS1_3repE0EEENS1_30default_config_static_selectorELNS0_4arch9wavefront6targetE1EEEvT1_,"axG",@progbits,_ZN7rocprim17ROCPRIM_400000_NS6detail17trampoline_kernelINS0_14default_configENS1_27scan_by_key_config_selectorIxxEEZZNS1_16scan_by_key_implILNS1_25lookback_scan_determinismE0ELb0ES3_N6thrust23THRUST_200600_302600_NS6detail15normal_iteratorINS9_10device_ptrIxEEEENS9_18transform_iteratorINS9_6negateIxEESE_NS9_11use_defaultESI_EESE_xNS9_4plusIvEENS9_8equal_toIvEExEE10hipError_tPvRmT2_T3_T4_T5_mT6_T7_P12ihipStream_tbENKUlT_T0_E_clISt17integral_constantIbLb1EES14_EEDaSZ_S10_EUlSZ_E_NS1_11comp_targetILNS1_3genE10ELNS1_11target_archE1200ELNS1_3gpuE4ELNS1_3repE0EEENS1_30default_config_static_selectorELNS0_4arch9wavefront6targetE1EEEvT1_,comdat
	.protected	_ZN7rocprim17ROCPRIM_400000_NS6detail17trampoline_kernelINS0_14default_configENS1_27scan_by_key_config_selectorIxxEEZZNS1_16scan_by_key_implILNS1_25lookback_scan_determinismE0ELb0ES3_N6thrust23THRUST_200600_302600_NS6detail15normal_iteratorINS9_10device_ptrIxEEEENS9_18transform_iteratorINS9_6negateIxEESE_NS9_11use_defaultESI_EESE_xNS9_4plusIvEENS9_8equal_toIvEExEE10hipError_tPvRmT2_T3_T4_T5_mT6_T7_P12ihipStream_tbENKUlT_T0_E_clISt17integral_constantIbLb1EES14_EEDaSZ_S10_EUlSZ_E_NS1_11comp_targetILNS1_3genE10ELNS1_11target_archE1200ELNS1_3gpuE4ELNS1_3repE0EEENS1_30default_config_static_selectorELNS0_4arch9wavefront6targetE1EEEvT1_ ; -- Begin function _ZN7rocprim17ROCPRIM_400000_NS6detail17trampoline_kernelINS0_14default_configENS1_27scan_by_key_config_selectorIxxEEZZNS1_16scan_by_key_implILNS1_25lookback_scan_determinismE0ELb0ES3_N6thrust23THRUST_200600_302600_NS6detail15normal_iteratorINS9_10device_ptrIxEEEENS9_18transform_iteratorINS9_6negateIxEESE_NS9_11use_defaultESI_EESE_xNS9_4plusIvEENS9_8equal_toIvEExEE10hipError_tPvRmT2_T3_T4_T5_mT6_T7_P12ihipStream_tbENKUlT_T0_E_clISt17integral_constantIbLb1EES14_EEDaSZ_S10_EUlSZ_E_NS1_11comp_targetILNS1_3genE10ELNS1_11target_archE1200ELNS1_3gpuE4ELNS1_3repE0EEENS1_30default_config_static_selectorELNS0_4arch9wavefront6targetE1EEEvT1_
	.globl	_ZN7rocprim17ROCPRIM_400000_NS6detail17trampoline_kernelINS0_14default_configENS1_27scan_by_key_config_selectorIxxEEZZNS1_16scan_by_key_implILNS1_25lookback_scan_determinismE0ELb0ES3_N6thrust23THRUST_200600_302600_NS6detail15normal_iteratorINS9_10device_ptrIxEEEENS9_18transform_iteratorINS9_6negateIxEESE_NS9_11use_defaultESI_EESE_xNS9_4plusIvEENS9_8equal_toIvEExEE10hipError_tPvRmT2_T3_T4_T5_mT6_T7_P12ihipStream_tbENKUlT_T0_E_clISt17integral_constantIbLb1EES14_EEDaSZ_S10_EUlSZ_E_NS1_11comp_targetILNS1_3genE10ELNS1_11target_archE1200ELNS1_3gpuE4ELNS1_3repE0EEENS1_30default_config_static_selectorELNS0_4arch9wavefront6targetE1EEEvT1_
	.p2align	8
	.type	_ZN7rocprim17ROCPRIM_400000_NS6detail17trampoline_kernelINS0_14default_configENS1_27scan_by_key_config_selectorIxxEEZZNS1_16scan_by_key_implILNS1_25lookback_scan_determinismE0ELb0ES3_N6thrust23THRUST_200600_302600_NS6detail15normal_iteratorINS9_10device_ptrIxEEEENS9_18transform_iteratorINS9_6negateIxEESE_NS9_11use_defaultESI_EESE_xNS9_4plusIvEENS9_8equal_toIvEExEE10hipError_tPvRmT2_T3_T4_T5_mT6_T7_P12ihipStream_tbENKUlT_T0_E_clISt17integral_constantIbLb1EES14_EEDaSZ_S10_EUlSZ_E_NS1_11comp_targetILNS1_3genE10ELNS1_11target_archE1200ELNS1_3gpuE4ELNS1_3repE0EEENS1_30default_config_static_selectorELNS0_4arch9wavefront6targetE1EEEvT1_,@function
_ZN7rocprim17ROCPRIM_400000_NS6detail17trampoline_kernelINS0_14default_configENS1_27scan_by_key_config_selectorIxxEEZZNS1_16scan_by_key_implILNS1_25lookback_scan_determinismE0ELb0ES3_N6thrust23THRUST_200600_302600_NS6detail15normal_iteratorINS9_10device_ptrIxEEEENS9_18transform_iteratorINS9_6negateIxEESE_NS9_11use_defaultESI_EESE_xNS9_4plusIvEENS9_8equal_toIvEExEE10hipError_tPvRmT2_T3_T4_T5_mT6_T7_P12ihipStream_tbENKUlT_T0_E_clISt17integral_constantIbLb1EES14_EEDaSZ_S10_EUlSZ_E_NS1_11comp_targetILNS1_3genE10ELNS1_11target_archE1200ELNS1_3gpuE4ELNS1_3repE0EEENS1_30default_config_static_selectorELNS0_4arch9wavefront6targetE1EEEvT1_: ; @_ZN7rocprim17ROCPRIM_400000_NS6detail17trampoline_kernelINS0_14default_configENS1_27scan_by_key_config_selectorIxxEEZZNS1_16scan_by_key_implILNS1_25lookback_scan_determinismE0ELb0ES3_N6thrust23THRUST_200600_302600_NS6detail15normal_iteratorINS9_10device_ptrIxEEEENS9_18transform_iteratorINS9_6negateIxEESE_NS9_11use_defaultESI_EESE_xNS9_4plusIvEENS9_8equal_toIvEExEE10hipError_tPvRmT2_T3_T4_T5_mT6_T7_P12ihipStream_tbENKUlT_T0_E_clISt17integral_constantIbLb1EES14_EEDaSZ_S10_EUlSZ_E_NS1_11comp_targetILNS1_3genE10ELNS1_11target_archE1200ELNS1_3gpuE4ELNS1_3repE0EEENS1_30default_config_static_selectorELNS0_4arch9wavefront6targetE1EEEvT1_
; %bb.0:
	.section	.rodata,"a",@progbits
	.p2align	6, 0x0
	.amdhsa_kernel _ZN7rocprim17ROCPRIM_400000_NS6detail17trampoline_kernelINS0_14default_configENS1_27scan_by_key_config_selectorIxxEEZZNS1_16scan_by_key_implILNS1_25lookback_scan_determinismE0ELb0ES3_N6thrust23THRUST_200600_302600_NS6detail15normal_iteratorINS9_10device_ptrIxEEEENS9_18transform_iteratorINS9_6negateIxEESE_NS9_11use_defaultESI_EESE_xNS9_4plusIvEENS9_8equal_toIvEExEE10hipError_tPvRmT2_T3_T4_T5_mT6_T7_P12ihipStream_tbENKUlT_T0_E_clISt17integral_constantIbLb1EES14_EEDaSZ_S10_EUlSZ_E_NS1_11comp_targetILNS1_3genE10ELNS1_11target_archE1200ELNS1_3gpuE4ELNS1_3repE0EEENS1_30default_config_static_selectorELNS0_4arch9wavefront6targetE1EEEvT1_
		.amdhsa_group_segment_fixed_size 0
		.amdhsa_private_segment_fixed_size 0
		.amdhsa_kernarg_size 144
		.amdhsa_user_sgpr_count 2
		.amdhsa_user_sgpr_dispatch_ptr 0
		.amdhsa_user_sgpr_queue_ptr 0
		.amdhsa_user_sgpr_kernarg_segment_ptr 1
		.amdhsa_user_sgpr_dispatch_id 0
		.amdhsa_user_sgpr_kernarg_preload_length 0
		.amdhsa_user_sgpr_kernarg_preload_offset 0
		.amdhsa_user_sgpr_private_segment_size 0
		.amdhsa_uses_dynamic_stack 0
		.amdhsa_enable_private_segment 0
		.amdhsa_system_sgpr_workgroup_id_x 1
		.amdhsa_system_sgpr_workgroup_id_y 0
		.amdhsa_system_sgpr_workgroup_id_z 0
		.amdhsa_system_sgpr_workgroup_info 0
		.amdhsa_system_vgpr_workitem_id 0
		.amdhsa_next_free_vgpr 1
		.amdhsa_next_free_sgpr 0
		.amdhsa_accum_offset 4
		.amdhsa_reserve_vcc 0
		.amdhsa_float_round_mode_32 0
		.amdhsa_float_round_mode_16_64 0
		.amdhsa_float_denorm_mode_32 3
		.amdhsa_float_denorm_mode_16_64 3
		.amdhsa_dx10_clamp 1
		.amdhsa_ieee_mode 1
		.amdhsa_fp16_overflow 0
		.amdhsa_tg_split 0
		.amdhsa_exception_fp_ieee_invalid_op 0
		.amdhsa_exception_fp_denorm_src 0
		.amdhsa_exception_fp_ieee_div_zero 0
		.amdhsa_exception_fp_ieee_overflow 0
		.amdhsa_exception_fp_ieee_underflow 0
		.amdhsa_exception_fp_ieee_inexact 0
		.amdhsa_exception_int_div_zero 0
	.end_amdhsa_kernel
	.section	.text._ZN7rocprim17ROCPRIM_400000_NS6detail17trampoline_kernelINS0_14default_configENS1_27scan_by_key_config_selectorIxxEEZZNS1_16scan_by_key_implILNS1_25lookback_scan_determinismE0ELb0ES3_N6thrust23THRUST_200600_302600_NS6detail15normal_iteratorINS9_10device_ptrIxEEEENS9_18transform_iteratorINS9_6negateIxEESE_NS9_11use_defaultESI_EESE_xNS9_4plusIvEENS9_8equal_toIvEExEE10hipError_tPvRmT2_T3_T4_T5_mT6_T7_P12ihipStream_tbENKUlT_T0_E_clISt17integral_constantIbLb1EES14_EEDaSZ_S10_EUlSZ_E_NS1_11comp_targetILNS1_3genE10ELNS1_11target_archE1200ELNS1_3gpuE4ELNS1_3repE0EEENS1_30default_config_static_selectorELNS0_4arch9wavefront6targetE1EEEvT1_,"axG",@progbits,_ZN7rocprim17ROCPRIM_400000_NS6detail17trampoline_kernelINS0_14default_configENS1_27scan_by_key_config_selectorIxxEEZZNS1_16scan_by_key_implILNS1_25lookback_scan_determinismE0ELb0ES3_N6thrust23THRUST_200600_302600_NS6detail15normal_iteratorINS9_10device_ptrIxEEEENS9_18transform_iteratorINS9_6negateIxEESE_NS9_11use_defaultESI_EESE_xNS9_4plusIvEENS9_8equal_toIvEExEE10hipError_tPvRmT2_T3_T4_T5_mT6_T7_P12ihipStream_tbENKUlT_T0_E_clISt17integral_constantIbLb1EES14_EEDaSZ_S10_EUlSZ_E_NS1_11comp_targetILNS1_3genE10ELNS1_11target_archE1200ELNS1_3gpuE4ELNS1_3repE0EEENS1_30default_config_static_selectorELNS0_4arch9wavefront6targetE1EEEvT1_,comdat
.Lfunc_end908:
	.size	_ZN7rocprim17ROCPRIM_400000_NS6detail17trampoline_kernelINS0_14default_configENS1_27scan_by_key_config_selectorIxxEEZZNS1_16scan_by_key_implILNS1_25lookback_scan_determinismE0ELb0ES3_N6thrust23THRUST_200600_302600_NS6detail15normal_iteratorINS9_10device_ptrIxEEEENS9_18transform_iteratorINS9_6negateIxEESE_NS9_11use_defaultESI_EESE_xNS9_4plusIvEENS9_8equal_toIvEExEE10hipError_tPvRmT2_T3_T4_T5_mT6_T7_P12ihipStream_tbENKUlT_T0_E_clISt17integral_constantIbLb1EES14_EEDaSZ_S10_EUlSZ_E_NS1_11comp_targetILNS1_3genE10ELNS1_11target_archE1200ELNS1_3gpuE4ELNS1_3repE0EEENS1_30default_config_static_selectorELNS0_4arch9wavefront6targetE1EEEvT1_, .Lfunc_end908-_ZN7rocprim17ROCPRIM_400000_NS6detail17trampoline_kernelINS0_14default_configENS1_27scan_by_key_config_selectorIxxEEZZNS1_16scan_by_key_implILNS1_25lookback_scan_determinismE0ELb0ES3_N6thrust23THRUST_200600_302600_NS6detail15normal_iteratorINS9_10device_ptrIxEEEENS9_18transform_iteratorINS9_6negateIxEESE_NS9_11use_defaultESI_EESE_xNS9_4plusIvEENS9_8equal_toIvEExEE10hipError_tPvRmT2_T3_T4_T5_mT6_T7_P12ihipStream_tbENKUlT_T0_E_clISt17integral_constantIbLb1EES14_EEDaSZ_S10_EUlSZ_E_NS1_11comp_targetILNS1_3genE10ELNS1_11target_archE1200ELNS1_3gpuE4ELNS1_3repE0EEENS1_30default_config_static_selectorELNS0_4arch9wavefront6targetE1EEEvT1_
                                        ; -- End function
	.section	.AMDGPU.csdata,"",@progbits
; Kernel info:
; codeLenInByte = 0
; NumSgprs: 6
; NumVgprs: 0
; NumAgprs: 0
; TotalNumVgprs: 0
; ScratchSize: 0
; MemoryBound: 0
; FloatMode: 240
; IeeeMode: 1
; LDSByteSize: 0 bytes/workgroup (compile time only)
; SGPRBlocks: 0
; VGPRBlocks: 0
; NumSGPRsForWavesPerEU: 6
; NumVGPRsForWavesPerEU: 1
; AccumOffset: 4
; Occupancy: 8
; WaveLimiterHint : 0
; COMPUTE_PGM_RSRC2:SCRATCH_EN: 0
; COMPUTE_PGM_RSRC2:USER_SGPR: 2
; COMPUTE_PGM_RSRC2:TRAP_HANDLER: 0
; COMPUTE_PGM_RSRC2:TGID_X_EN: 1
; COMPUTE_PGM_RSRC2:TGID_Y_EN: 0
; COMPUTE_PGM_RSRC2:TGID_Z_EN: 0
; COMPUTE_PGM_RSRC2:TIDIG_COMP_CNT: 0
; COMPUTE_PGM_RSRC3_GFX90A:ACCUM_OFFSET: 0
; COMPUTE_PGM_RSRC3_GFX90A:TG_SPLIT: 0
	.section	.text._ZN7rocprim17ROCPRIM_400000_NS6detail17trampoline_kernelINS0_14default_configENS1_27scan_by_key_config_selectorIxxEEZZNS1_16scan_by_key_implILNS1_25lookback_scan_determinismE0ELb0ES3_N6thrust23THRUST_200600_302600_NS6detail15normal_iteratorINS9_10device_ptrIxEEEENS9_18transform_iteratorINS9_6negateIxEESE_NS9_11use_defaultESI_EESE_xNS9_4plusIvEENS9_8equal_toIvEExEE10hipError_tPvRmT2_T3_T4_T5_mT6_T7_P12ihipStream_tbENKUlT_T0_E_clISt17integral_constantIbLb1EES14_EEDaSZ_S10_EUlSZ_E_NS1_11comp_targetILNS1_3genE9ELNS1_11target_archE1100ELNS1_3gpuE3ELNS1_3repE0EEENS1_30default_config_static_selectorELNS0_4arch9wavefront6targetE1EEEvT1_,"axG",@progbits,_ZN7rocprim17ROCPRIM_400000_NS6detail17trampoline_kernelINS0_14default_configENS1_27scan_by_key_config_selectorIxxEEZZNS1_16scan_by_key_implILNS1_25lookback_scan_determinismE0ELb0ES3_N6thrust23THRUST_200600_302600_NS6detail15normal_iteratorINS9_10device_ptrIxEEEENS9_18transform_iteratorINS9_6negateIxEESE_NS9_11use_defaultESI_EESE_xNS9_4plusIvEENS9_8equal_toIvEExEE10hipError_tPvRmT2_T3_T4_T5_mT6_T7_P12ihipStream_tbENKUlT_T0_E_clISt17integral_constantIbLb1EES14_EEDaSZ_S10_EUlSZ_E_NS1_11comp_targetILNS1_3genE9ELNS1_11target_archE1100ELNS1_3gpuE3ELNS1_3repE0EEENS1_30default_config_static_selectorELNS0_4arch9wavefront6targetE1EEEvT1_,comdat
	.protected	_ZN7rocprim17ROCPRIM_400000_NS6detail17trampoline_kernelINS0_14default_configENS1_27scan_by_key_config_selectorIxxEEZZNS1_16scan_by_key_implILNS1_25lookback_scan_determinismE0ELb0ES3_N6thrust23THRUST_200600_302600_NS6detail15normal_iteratorINS9_10device_ptrIxEEEENS9_18transform_iteratorINS9_6negateIxEESE_NS9_11use_defaultESI_EESE_xNS9_4plusIvEENS9_8equal_toIvEExEE10hipError_tPvRmT2_T3_T4_T5_mT6_T7_P12ihipStream_tbENKUlT_T0_E_clISt17integral_constantIbLb1EES14_EEDaSZ_S10_EUlSZ_E_NS1_11comp_targetILNS1_3genE9ELNS1_11target_archE1100ELNS1_3gpuE3ELNS1_3repE0EEENS1_30default_config_static_selectorELNS0_4arch9wavefront6targetE1EEEvT1_ ; -- Begin function _ZN7rocprim17ROCPRIM_400000_NS6detail17trampoline_kernelINS0_14default_configENS1_27scan_by_key_config_selectorIxxEEZZNS1_16scan_by_key_implILNS1_25lookback_scan_determinismE0ELb0ES3_N6thrust23THRUST_200600_302600_NS6detail15normal_iteratorINS9_10device_ptrIxEEEENS9_18transform_iteratorINS9_6negateIxEESE_NS9_11use_defaultESI_EESE_xNS9_4plusIvEENS9_8equal_toIvEExEE10hipError_tPvRmT2_T3_T4_T5_mT6_T7_P12ihipStream_tbENKUlT_T0_E_clISt17integral_constantIbLb1EES14_EEDaSZ_S10_EUlSZ_E_NS1_11comp_targetILNS1_3genE9ELNS1_11target_archE1100ELNS1_3gpuE3ELNS1_3repE0EEENS1_30default_config_static_selectorELNS0_4arch9wavefront6targetE1EEEvT1_
	.globl	_ZN7rocprim17ROCPRIM_400000_NS6detail17trampoline_kernelINS0_14default_configENS1_27scan_by_key_config_selectorIxxEEZZNS1_16scan_by_key_implILNS1_25lookback_scan_determinismE0ELb0ES3_N6thrust23THRUST_200600_302600_NS6detail15normal_iteratorINS9_10device_ptrIxEEEENS9_18transform_iteratorINS9_6negateIxEESE_NS9_11use_defaultESI_EESE_xNS9_4plusIvEENS9_8equal_toIvEExEE10hipError_tPvRmT2_T3_T4_T5_mT6_T7_P12ihipStream_tbENKUlT_T0_E_clISt17integral_constantIbLb1EES14_EEDaSZ_S10_EUlSZ_E_NS1_11comp_targetILNS1_3genE9ELNS1_11target_archE1100ELNS1_3gpuE3ELNS1_3repE0EEENS1_30default_config_static_selectorELNS0_4arch9wavefront6targetE1EEEvT1_
	.p2align	8
	.type	_ZN7rocprim17ROCPRIM_400000_NS6detail17trampoline_kernelINS0_14default_configENS1_27scan_by_key_config_selectorIxxEEZZNS1_16scan_by_key_implILNS1_25lookback_scan_determinismE0ELb0ES3_N6thrust23THRUST_200600_302600_NS6detail15normal_iteratorINS9_10device_ptrIxEEEENS9_18transform_iteratorINS9_6negateIxEESE_NS9_11use_defaultESI_EESE_xNS9_4plusIvEENS9_8equal_toIvEExEE10hipError_tPvRmT2_T3_T4_T5_mT6_T7_P12ihipStream_tbENKUlT_T0_E_clISt17integral_constantIbLb1EES14_EEDaSZ_S10_EUlSZ_E_NS1_11comp_targetILNS1_3genE9ELNS1_11target_archE1100ELNS1_3gpuE3ELNS1_3repE0EEENS1_30default_config_static_selectorELNS0_4arch9wavefront6targetE1EEEvT1_,@function
_ZN7rocprim17ROCPRIM_400000_NS6detail17trampoline_kernelINS0_14default_configENS1_27scan_by_key_config_selectorIxxEEZZNS1_16scan_by_key_implILNS1_25lookback_scan_determinismE0ELb0ES3_N6thrust23THRUST_200600_302600_NS6detail15normal_iteratorINS9_10device_ptrIxEEEENS9_18transform_iteratorINS9_6negateIxEESE_NS9_11use_defaultESI_EESE_xNS9_4plusIvEENS9_8equal_toIvEExEE10hipError_tPvRmT2_T3_T4_T5_mT6_T7_P12ihipStream_tbENKUlT_T0_E_clISt17integral_constantIbLb1EES14_EEDaSZ_S10_EUlSZ_E_NS1_11comp_targetILNS1_3genE9ELNS1_11target_archE1100ELNS1_3gpuE3ELNS1_3repE0EEENS1_30default_config_static_selectorELNS0_4arch9wavefront6targetE1EEEvT1_: ; @_ZN7rocprim17ROCPRIM_400000_NS6detail17trampoline_kernelINS0_14default_configENS1_27scan_by_key_config_selectorIxxEEZZNS1_16scan_by_key_implILNS1_25lookback_scan_determinismE0ELb0ES3_N6thrust23THRUST_200600_302600_NS6detail15normal_iteratorINS9_10device_ptrIxEEEENS9_18transform_iteratorINS9_6negateIxEESE_NS9_11use_defaultESI_EESE_xNS9_4plusIvEENS9_8equal_toIvEExEE10hipError_tPvRmT2_T3_T4_T5_mT6_T7_P12ihipStream_tbENKUlT_T0_E_clISt17integral_constantIbLb1EES14_EEDaSZ_S10_EUlSZ_E_NS1_11comp_targetILNS1_3genE9ELNS1_11target_archE1100ELNS1_3gpuE3ELNS1_3repE0EEENS1_30default_config_static_selectorELNS0_4arch9wavefront6targetE1EEEvT1_
; %bb.0:
	.section	.rodata,"a",@progbits
	.p2align	6, 0x0
	.amdhsa_kernel _ZN7rocprim17ROCPRIM_400000_NS6detail17trampoline_kernelINS0_14default_configENS1_27scan_by_key_config_selectorIxxEEZZNS1_16scan_by_key_implILNS1_25lookback_scan_determinismE0ELb0ES3_N6thrust23THRUST_200600_302600_NS6detail15normal_iteratorINS9_10device_ptrIxEEEENS9_18transform_iteratorINS9_6negateIxEESE_NS9_11use_defaultESI_EESE_xNS9_4plusIvEENS9_8equal_toIvEExEE10hipError_tPvRmT2_T3_T4_T5_mT6_T7_P12ihipStream_tbENKUlT_T0_E_clISt17integral_constantIbLb1EES14_EEDaSZ_S10_EUlSZ_E_NS1_11comp_targetILNS1_3genE9ELNS1_11target_archE1100ELNS1_3gpuE3ELNS1_3repE0EEENS1_30default_config_static_selectorELNS0_4arch9wavefront6targetE1EEEvT1_
		.amdhsa_group_segment_fixed_size 0
		.amdhsa_private_segment_fixed_size 0
		.amdhsa_kernarg_size 144
		.amdhsa_user_sgpr_count 2
		.amdhsa_user_sgpr_dispatch_ptr 0
		.amdhsa_user_sgpr_queue_ptr 0
		.amdhsa_user_sgpr_kernarg_segment_ptr 1
		.amdhsa_user_sgpr_dispatch_id 0
		.amdhsa_user_sgpr_kernarg_preload_length 0
		.amdhsa_user_sgpr_kernarg_preload_offset 0
		.amdhsa_user_sgpr_private_segment_size 0
		.amdhsa_uses_dynamic_stack 0
		.amdhsa_enable_private_segment 0
		.amdhsa_system_sgpr_workgroup_id_x 1
		.amdhsa_system_sgpr_workgroup_id_y 0
		.amdhsa_system_sgpr_workgroup_id_z 0
		.amdhsa_system_sgpr_workgroup_info 0
		.amdhsa_system_vgpr_workitem_id 0
		.amdhsa_next_free_vgpr 1
		.amdhsa_next_free_sgpr 0
		.amdhsa_accum_offset 4
		.amdhsa_reserve_vcc 0
		.amdhsa_float_round_mode_32 0
		.amdhsa_float_round_mode_16_64 0
		.amdhsa_float_denorm_mode_32 3
		.amdhsa_float_denorm_mode_16_64 3
		.amdhsa_dx10_clamp 1
		.amdhsa_ieee_mode 1
		.amdhsa_fp16_overflow 0
		.amdhsa_tg_split 0
		.amdhsa_exception_fp_ieee_invalid_op 0
		.amdhsa_exception_fp_denorm_src 0
		.amdhsa_exception_fp_ieee_div_zero 0
		.amdhsa_exception_fp_ieee_overflow 0
		.amdhsa_exception_fp_ieee_underflow 0
		.amdhsa_exception_fp_ieee_inexact 0
		.amdhsa_exception_int_div_zero 0
	.end_amdhsa_kernel
	.section	.text._ZN7rocprim17ROCPRIM_400000_NS6detail17trampoline_kernelINS0_14default_configENS1_27scan_by_key_config_selectorIxxEEZZNS1_16scan_by_key_implILNS1_25lookback_scan_determinismE0ELb0ES3_N6thrust23THRUST_200600_302600_NS6detail15normal_iteratorINS9_10device_ptrIxEEEENS9_18transform_iteratorINS9_6negateIxEESE_NS9_11use_defaultESI_EESE_xNS9_4plusIvEENS9_8equal_toIvEExEE10hipError_tPvRmT2_T3_T4_T5_mT6_T7_P12ihipStream_tbENKUlT_T0_E_clISt17integral_constantIbLb1EES14_EEDaSZ_S10_EUlSZ_E_NS1_11comp_targetILNS1_3genE9ELNS1_11target_archE1100ELNS1_3gpuE3ELNS1_3repE0EEENS1_30default_config_static_selectorELNS0_4arch9wavefront6targetE1EEEvT1_,"axG",@progbits,_ZN7rocprim17ROCPRIM_400000_NS6detail17trampoline_kernelINS0_14default_configENS1_27scan_by_key_config_selectorIxxEEZZNS1_16scan_by_key_implILNS1_25lookback_scan_determinismE0ELb0ES3_N6thrust23THRUST_200600_302600_NS6detail15normal_iteratorINS9_10device_ptrIxEEEENS9_18transform_iteratorINS9_6negateIxEESE_NS9_11use_defaultESI_EESE_xNS9_4plusIvEENS9_8equal_toIvEExEE10hipError_tPvRmT2_T3_T4_T5_mT6_T7_P12ihipStream_tbENKUlT_T0_E_clISt17integral_constantIbLb1EES14_EEDaSZ_S10_EUlSZ_E_NS1_11comp_targetILNS1_3genE9ELNS1_11target_archE1100ELNS1_3gpuE3ELNS1_3repE0EEENS1_30default_config_static_selectorELNS0_4arch9wavefront6targetE1EEEvT1_,comdat
.Lfunc_end909:
	.size	_ZN7rocprim17ROCPRIM_400000_NS6detail17trampoline_kernelINS0_14default_configENS1_27scan_by_key_config_selectorIxxEEZZNS1_16scan_by_key_implILNS1_25lookback_scan_determinismE0ELb0ES3_N6thrust23THRUST_200600_302600_NS6detail15normal_iteratorINS9_10device_ptrIxEEEENS9_18transform_iteratorINS9_6negateIxEESE_NS9_11use_defaultESI_EESE_xNS9_4plusIvEENS9_8equal_toIvEExEE10hipError_tPvRmT2_T3_T4_T5_mT6_T7_P12ihipStream_tbENKUlT_T0_E_clISt17integral_constantIbLb1EES14_EEDaSZ_S10_EUlSZ_E_NS1_11comp_targetILNS1_3genE9ELNS1_11target_archE1100ELNS1_3gpuE3ELNS1_3repE0EEENS1_30default_config_static_selectorELNS0_4arch9wavefront6targetE1EEEvT1_, .Lfunc_end909-_ZN7rocprim17ROCPRIM_400000_NS6detail17trampoline_kernelINS0_14default_configENS1_27scan_by_key_config_selectorIxxEEZZNS1_16scan_by_key_implILNS1_25lookback_scan_determinismE0ELb0ES3_N6thrust23THRUST_200600_302600_NS6detail15normal_iteratorINS9_10device_ptrIxEEEENS9_18transform_iteratorINS9_6negateIxEESE_NS9_11use_defaultESI_EESE_xNS9_4plusIvEENS9_8equal_toIvEExEE10hipError_tPvRmT2_T3_T4_T5_mT6_T7_P12ihipStream_tbENKUlT_T0_E_clISt17integral_constantIbLb1EES14_EEDaSZ_S10_EUlSZ_E_NS1_11comp_targetILNS1_3genE9ELNS1_11target_archE1100ELNS1_3gpuE3ELNS1_3repE0EEENS1_30default_config_static_selectorELNS0_4arch9wavefront6targetE1EEEvT1_
                                        ; -- End function
	.section	.AMDGPU.csdata,"",@progbits
; Kernel info:
; codeLenInByte = 0
; NumSgprs: 6
; NumVgprs: 0
; NumAgprs: 0
; TotalNumVgprs: 0
; ScratchSize: 0
; MemoryBound: 0
; FloatMode: 240
; IeeeMode: 1
; LDSByteSize: 0 bytes/workgroup (compile time only)
; SGPRBlocks: 0
; VGPRBlocks: 0
; NumSGPRsForWavesPerEU: 6
; NumVGPRsForWavesPerEU: 1
; AccumOffset: 4
; Occupancy: 8
; WaveLimiterHint : 0
; COMPUTE_PGM_RSRC2:SCRATCH_EN: 0
; COMPUTE_PGM_RSRC2:USER_SGPR: 2
; COMPUTE_PGM_RSRC2:TRAP_HANDLER: 0
; COMPUTE_PGM_RSRC2:TGID_X_EN: 1
; COMPUTE_PGM_RSRC2:TGID_Y_EN: 0
; COMPUTE_PGM_RSRC2:TGID_Z_EN: 0
; COMPUTE_PGM_RSRC2:TIDIG_COMP_CNT: 0
; COMPUTE_PGM_RSRC3_GFX90A:ACCUM_OFFSET: 0
; COMPUTE_PGM_RSRC3_GFX90A:TG_SPLIT: 0
	.section	.text._ZN7rocprim17ROCPRIM_400000_NS6detail17trampoline_kernelINS0_14default_configENS1_27scan_by_key_config_selectorIxxEEZZNS1_16scan_by_key_implILNS1_25lookback_scan_determinismE0ELb0ES3_N6thrust23THRUST_200600_302600_NS6detail15normal_iteratorINS9_10device_ptrIxEEEENS9_18transform_iteratorINS9_6negateIxEESE_NS9_11use_defaultESI_EESE_xNS9_4plusIvEENS9_8equal_toIvEExEE10hipError_tPvRmT2_T3_T4_T5_mT6_T7_P12ihipStream_tbENKUlT_T0_E_clISt17integral_constantIbLb1EES14_EEDaSZ_S10_EUlSZ_E_NS1_11comp_targetILNS1_3genE8ELNS1_11target_archE1030ELNS1_3gpuE2ELNS1_3repE0EEENS1_30default_config_static_selectorELNS0_4arch9wavefront6targetE1EEEvT1_,"axG",@progbits,_ZN7rocprim17ROCPRIM_400000_NS6detail17trampoline_kernelINS0_14default_configENS1_27scan_by_key_config_selectorIxxEEZZNS1_16scan_by_key_implILNS1_25lookback_scan_determinismE0ELb0ES3_N6thrust23THRUST_200600_302600_NS6detail15normal_iteratorINS9_10device_ptrIxEEEENS9_18transform_iteratorINS9_6negateIxEESE_NS9_11use_defaultESI_EESE_xNS9_4plusIvEENS9_8equal_toIvEExEE10hipError_tPvRmT2_T3_T4_T5_mT6_T7_P12ihipStream_tbENKUlT_T0_E_clISt17integral_constantIbLb1EES14_EEDaSZ_S10_EUlSZ_E_NS1_11comp_targetILNS1_3genE8ELNS1_11target_archE1030ELNS1_3gpuE2ELNS1_3repE0EEENS1_30default_config_static_selectorELNS0_4arch9wavefront6targetE1EEEvT1_,comdat
	.protected	_ZN7rocprim17ROCPRIM_400000_NS6detail17trampoline_kernelINS0_14default_configENS1_27scan_by_key_config_selectorIxxEEZZNS1_16scan_by_key_implILNS1_25lookback_scan_determinismE0ELb0ES3_N6thrust23THRUST_200600_302600_NS6detail15normal_iteratorINS9_10device_ptrIxEEEENS9_18transform_iteratorINS9_6negateIxEESE_NS9_11use_defaultESI_EESE_xNS9_4plusIvEENS9_8equal_toIvEExEE10hipError_tPvRmT2_T3_T4_T5_mT6_T7_P12ihipStream_tbENKUlT_T0_E_clISt17integral_constantIbLb1EES14_EEDaSZ_S10_EUlSZ_E_NS1_11comp_targetILNS1_3genE8ELNS1_11target_archE1030ELNS1_3gpuE2ELNS1_3repE0EEENS1_30default_config_static_selectorELNS0_4arch9wavefront6targetE1EEEvT1_ ; -- Begin function _ZN7rocprim17ROCPRIM_400000_NS6detail17trampoline_kernelINS0_14default_configENS1_27scan_by_key_config_selectorIxxEEZZNS1_16scan_by_key_implILNS1_25lookback_scan_determinismE0ELb0ES3_N6thrust23THRUST_200600_302600_NS6detail15normal_iteratorINS9_10device_ptrIxEEEENS9_18transform_iteratorINS9_6negateIxEESE_NS9_11use_defaultESI_EESE_xNS9_4plusIvEENS9_8equal_toIvEExEE10hipError_tPvRmT2_T3_T4_T5_mT6_T7_P12ihipStream_tbENKUlT_T0_E_clISt17integral_constantIbLb1EES14_EEDaSZ_S10_EUlSZ_E_NS1_11comp_targetILNS1_3genE8ELNS1_11target_archE1030ELNS1_3gpuE2ELNS1_3repE0EEENS1_30default_config_static_selectorELNS0_4arch9wavefront6targetE1EEEvT1_
	.globl	_ZN7rocprim17ROCPRIM_400000_NS6detail17trampoline_kernelINS0_14default_configENS1_27scan_by_key_config_selectorIxxEEZZNS1_16scan_by_key_implILNS1_25lookback_scan_determinismE0ELb0ES3_N6thrust23THRUST_200600_302600_NS6detail15normal_iteratorINS9_10device_ptrIxEEEENS9_18transform_iteratorINS9_6negateIxEESE_NS9_11use_defaultESI_EESE_xNS9_4plusIvEENS9_8equal_toIvEExEE10hipError_tPvRmT2_T3_T4_T5_mT6_T7_P12ihipStream_tbENKUlT_T0_E_clISt17integral_constantIbLb1EES14_EEDaSZ_S10_EUlSZ_E_NS1_11comp_targetILNS1_3genE8ELNS1_11target_archE1030ELNS1_3gpuE2ELNS1_3repE0EEENS1_30default_config_static_selectorELNS0_4arch9wavefront6targetE1EEEvT1_
	.p2align	8
	.type	_ZN7rocprim17ROCPRIM_400000_NS6detail17trampoline_kernelINS0_14default_configENS1_27scan_by_key_config_selectorIxxEEZZNS1_16scan_by_key_implILNS1_25lookback_scan_determinismE0ELb0ES3_N6thrust23THRUST_200600_302600_NS6detail15normal_iteratorINS9_10device_ptrIxEEEENS9_18transform_iteratorINS9_6negateIxEESE_NS9_11use_defaultESI_EESE_xNS9_4plusIvEENS9_8equal_toIvEExEE10hipError_tPvRmT2_T3_T4_T5_mT6_T7_P12ihipStream_tbENKUlT_T0_E_clISt17integral_constantIbLb1EES14_EEDaSZ_S10_EUlSZ_E_NS1_11comp_targetILNS1_3genE8ELNS1_11target_archE1030ELNS1_3gpuE2ELNS1_3repE0EEENS1_30default_config_static_selectorELNS0_4arch9wavefront6targetE1EEEvT1_,@function
_ZN7rocprim17ROCPRIM_400000_NS6detail17trampoline_kernelINS0_14default_configENS1_27scan_by_key_config_selectorIxxEEZZNS1_16scan_by_key_implILNS1_25lookback_scan_determinismE0ELb0ES3_N6thrust23THRUST_200600_302600_NS6detail15normal_iteratorINS9_10device_ptrIxEEEENS9_18transform_iteratorINS9_6negateIxEESE_NS9_11use_defaultESI_EESE_xNS9_4plusIvEENS9_8equal_toIvEExEE10hipError_tPvRmT2_T3_T4_T5_mT6_T7_P12ihipStream_tbENKUlT_T0_E_clISt17integral_constantIbLb1EES14_EEDaSZ_S10_EUlSZ_E_NS1_11comp_targetILNS1_3genE8ELNS1_11target_archE1030ELNS1_3gpuE2ELNS1_3repE0EEENS1_30default_config_static_selectorELNS0_4arch9wavefront6targetE1EEEvT1_: ; @_ZN7rocprim17ROCPRIM_400000_NS6detail17trampoline_kernelINS0_14default_configENS1_27scan_by_key_config_selectorIxxEEZZNS1_16scan_by_key_implILNS1_25lookback_scan_determinismE0ELb0ES3_N6thrust23THRUST_200600_302600_NS6detail15normal_iteratorINS9_10device_ptrIxEEEENS9_18transform_iteratorINS9_6negateIxEESE_NS9_11use_defaultESI_EESE_xNS9_4plusIvEENS9_8equal_toIvEExEE10hipError_tPvRmT2_T3_T4_T5_mT6_T7_P12ihipStream_tbENKUlT_T0_E_clISt17integral_constantIbLb1EES14_EEDaSZ_S10_EUlSZ_E_NS1_11comp_targetILNS1_3genE8ELNS1_11target_archE1030ELNS1_3gpuE2ELNS1_3repE0EEENS1_30default_config_static_selectorELNS0_4arch9wavefront6targetE1EEEvT1_
; %bb.0:
	.section	.rodata,"a",@progbits
	.p2align	6, 0x0
	.amdhsa_kernel _ZN7rocprim17ROCPRIM_400000_NS6detail17trampoline_kernelINS0_14default_configENS1_27scan_by_key_config_selectorIxxEEZZNS1_16scan_by_key_implILNS1_25lookback_scan_determinismE0ELb0ES3_N6thrust23THRUST_200600_302600_NS6detail15normal_iteratorINS9_10device_ptrIxEEEENS9_18transform_iteratorINS9_6negateIxEESE_NS9_11use_defaultESI_EESE_xNS9_4plusIvEENS9_8equal_toIvEExEE10hipError_tPvRmT2_T3_T4_T5_mT6_T7_P12ihipStream_tbENKUlT_T0_E_clISt17integral_constantIbLb1EES14_EEDaSZ_S10_EUlSZ_E_NS1_11comp_targetILNS1_3genE8ELNS1_11target_archE1030ELNS1_3gpuE2ELNS1_3repE0EEENS1_30default_config_static_selectorELNS0_4arch9wavefront6targetE1EEEvT1_
		.amdhsa_group_segment_fixed_size 0
		.amdhsa_private_segment_fixed_size 0
		.amdhsa_kernarg_size 144
		.amdhsa_user_sgpr_count 2
		.amdhsa_user_sgpr_dispatch_ptr 0
		.amdhsa_user_sgpr_queue_ptr 0
		.amdhsa_user_sgpr_kernarg_segment_ptr 1
		.amdhsa_user_sgpr_dispatch_id 0
		.amdhsa_user_sgpr_kernarg_preload_length 0
		.amdhsa_user_sgpr_kernarg_preload_offset 0
		.amdhsa_user_sgpr_private_segment_size 0
		.amdhsa_uses_dynamic_stack 0
		.amdhsa_enable_private_segment 0
		.amdhsa_system_sgpr_workgroup_id_x 1
		.amdhsa_system_sgpr_workgroup_id_y 0
		.amdhsa_system_sgpr_workgroup_id_z 0
		.amdhsa_system_sgpr_workgroup_info 0
		.amdhsa_system_vgpr_workitem_id 0
		.amdhsa_next_free_vgpr 1
		.amdhsa_next_free_sgpr 0
		.amdhsa_accum_offset 4
		.amdhsa_reserve_vcc 0
		.amdhsa_float_round_mode_32 0
		.amdhsa_float_round_mode_16_64 0
		.amdhsa_float_denorm_mode_32 3
		.amdhsa_float_denorm_mode_16_64 3
		.amdhsa_dx10_clamp 1
		.amdhsa_ieee_mode 1
		.amdhsa_fp16_overflow 0
		.amdhsa_tg_split 0
		.amdhsa_exception_fp_ieee_invalid_op 0
		.amdhsa_exception_fp_denorm_src 0
		.amdhsa_exception_fp_ieee_div_zero 0
		.amdhsa_exception_fp_ieee_overflow 0
		.amdhsa_exception_fp_ieee_underflow 0
		.amdhsa_exception_fp_ieee_inexact 0
		.amdhsa_exception_int_div_zero 0
	.end_amdhsa_kernel
	.section	.text._ZN7rocprim17ROCPRIM_400000_NS6detail17trampoline_kernelINS0_14default_configENS1_27scan_by_key_config_selectorIxxEEZZNS1_16scan_by_key_implILNS1_25lookback_scan_determinismE0ELb0ES3_N6thrust23THRUST_200600_302600_NS6detail15normal_iteratorINS9_10device_ptrIxEEEENS9_18transform_iteratorINS9_6negateIxEESE_NS9_11use_defaultESI_EESE_xNS9_4plusIvEENS9_8equal_toIvEExEE10hipError_tPvRmT2_T3_T4_T5_mT6_T7_P12ihipStream_tbENKUlT_T0_E_clISt17integral_constantIbLb1EES14_EEDaSZ_S10_EUlSZ_E_NS1_11comp_targetILNS1_3genE8ELNS1_11target_archE1030ELNS1_3gpuE2ELNS1_3repE0EEENS1_30default_config_static_selectorELNS0_4arch9wavefront6targetE1EEEvT1_,"axG",@progbits,_ZN7rocprim17ROCPRIM_400000_NS6detail17trampoline_kernelINS0_14default_configENS1_27scan_by_key_config_selectorIxxEEZZNS1_16scan_by_key_implILNS1_25lookback_scan_determinismE0ELb0ES3_N6thrust23THRUST_200600_302600_NS6detail15normal_iteratorINS9_10device_ptrIxEEEENS9_18transform_iteratorINS9_6negateIxEESE_NS9_11use_defaultESI_EESE_xNS9_4plusIvEENS9_8equal_toIvEExEE10hipError_tPvRmT2_T3_T4_T5_mT6_T7_P12ihipStream_tbENKUlT_T0_E_clISt17integral_constantIbLb1EES14_EEDaSZ_S10_EUlSZ_E_NS1_11comp_targetILNS1_3genE8ELNS1_11target_archE1030ELNS1_3gpuE2ELNS1_3repE0EEENS1_30default_config_static_selectorELNS0_4arch9wavefront6targetE1EEEvT1_,comdat
.Lfunc_end910:
	.size	_ZN7rocprim17ROCPRIM_400000_NS6detail17trampoline_kernelINS0_14default_configENS1_27scan_by_key_config_selectorIxxEEZZNS1_16scan_by_key_implILNS1_25lookback_scan_determinismE0ELb0ES3_N6thrust23THRUST_200600_302600_NS6detail15normal_iteratorINS9_10device_ptrIxEEEENS9_18transform_iteratorINS9_6negateIxEESE_NS9_11use_defaultESI_EESE_xNS9_4plusIvEENS9_8equal_toIvEExEE10hipError_tPvRmT2_T3_T4_T5_mT6_T7_P12ihipStream_tbENKUlT_T0_E_clISt17integral_constantIbLb1EES14_EEDaSZ_S10_EUlSZ_E_NS1_11comp_targetILNS1_3genE8ELNS1_11target_archE1030ELNS1_3gpuE2ELNS1_3repE0EEENS1_30default_config_static_selectorELNS0_4arch9wavefront6targetE1EEEvT1_, .Lfunc_end910-_ZN7rocprim17ROCPRIM_400000_NS6detail17trampoline_kernelINS0_14default_configENS1_27scan_by_key_config_selectorIxxEEZZNS1_16scan_by_key_implILNS1_25lookback_scan_determinismE0ELb0ES3_N6thrust23THRUST_200600_302600_NS6detail15normal_iteratorINS9_10device_ptrIxEEEENS9_18transform_iteratorINS9_6negateIxEESE_NS9_11use_defaultESI_EESE_xNS9_4plusIvEENS9_8equal_toIvEExEE10hipError_tPvRmT2_T3_T4_T5_mT6_T7_P12ihipStream_tbENKUlT_T0_E_clISt17integral_constantIbLb1EES14_EEDaSZ_S10_EUlSZ_E_NS1_11comp_targetILNS1_3genE8ELNS1_11target_archE1030ELNS1_3gpuE2ELNS1_3repE0EEENS1_30default_config_static_selectorELNS0_4arch9wavefront6targetE1EEEvT1_
                                        ; -- End function
	.section	.AMDGPU.csdata,"",@progbits
; Kernel info:
; codeLenInByte = 0
; NumSgprs: 6
; NumVgprs: 0
; NumAgprs: 0
; TotalNumVgprs: 0
; ScratchSize: 0
; MemoryBound: 0
; FloatMode: 240
; IeeeMode: 1
; LDSByteSize: 0 bytes/workgroup (compile time only)
; SGPRBlocks: 0
; VGPRBlocks: 0
; NumSGPRsForWavesPerEU: 6
; NumVGPRsForWavesPerEU: 1
; AccumOffset: 4
; Occupancy: 8
; WaveLimiterHint : 0
; COMPUTE_PGM_RSRC2:SCRATCH_EN: 0
; COMPUTE_PGM_RSRC2:USER_SGPR: 2
; COMPUTE_PGM_RSRC2:TRAP_HANDLER: 0
; COMPUTE_PGM_RSRC2:TGID_X_EN: 1
; COMPUTE_PGM_RSRC2:TGID_Y_EN: 0
; COMPUTE_PGM_RSRC2:TGID_Z_EN: 0
; COMPUTE_PGM_RSRC2:TIDIG_COMP_CNT: 0
; COMPUTE_PGM_RSRC3_GFX90A:ACCUM_OFFSET: 0
; COMPUTE_PGM_RSRC3_GFX90A:TG_SPLIT: 0
	.section	.text._ZN7rocprim17ROCPRIM_400000_NS6detail17trampoline_kernelINS0_14default_configENS1_27scan_by_key_config_selectorIxxEEZZNS1_16scan_by_key_implILNS1_25lookback_scan_determinismE0ELb0ES3_N6thrust23THRUST_200600_302600_NS6detail15normal_iteratorINS9_10device_ptrIxEEEENS9_18transform_iteratorINS9_6negateIxEESE_NS9_11use_defaultESI_EESE_xNS9_4plusIvEENS9_8equal_toIvEExEE10hipError_tPvRmT2_T3_T4_T5_mT6_T7_P12ihipStream_tbENKUlT_T0_E_clISt17integral_constantIbLb1EES13_IbLb0EEEEDaSZ_S10_EUlSZ_E_NS1_11comp_targetILNS1_3genE0ELNS1_11target_archE4294967295ELNS1_3gpuE0ELNS1_3repE0EEENS1_30default_config_static_selectorELNS0_4arch9wavefront6targetE1EEEvT1_,"axG",@progbits,_ZN7rocprim17ROCPRIM_400000_NS6detail17trampoline_kernelINS0_14default_configENS1_27scan_by_key_config_selectorIxxEEZZNS1_16scan_by_key_implILNS1_25lookback_scan_determinismE0ELb0ES3_N6thrust23THRUST_200600_302600_NS6detail15normal_iteratorINS9_10device_ptrIxEEEENS9_18transform_iteratorINS9_6negateIxEESE_NS9_11use_defaultESI_EESE_xNS9_4plusIvEENS9_8equal_toIvEExEE10hipError_tPvRmT2_T3_T4_T5_mT6_T7_P12ihipStream_tbENKUlT_T0_E_clISt17integral_constantIbLb1EES13_IbLb0EEEEDaSZ_S10_EUlSZ_E_NS1_11comp_targetILNS1_3genE0ELNS1_11target_archE4294967295ELNS1_3gpuE0ELNS1_3repE0EEENS1_30default_config_static_selectorELNS0_4arch9wavefront6targetE1EEEvT1_,comdat
	.protected	_ZN7rocprim17ROCPRIM_400000_NS6detail17trampoline_kernelINS0_14default_configENS1_27scan_by_key_config_selectorIxxEEZZNS1_16scan_by_key_implILNS1_25lookback_scan_determinismE0ELb0ES3_N6thrust23THRUST_200600_302600_NS6detail15normal_iteratorINS9_10device_ptrIxEEEENS9_18transform_iteratorINS9_6negateIxEESE_NS9_11use_defaultESI_EESE_xNS9_4plusIvEENS9_8equal_toIvEExEE10hipError_tPvRmT2_T3_T4_T5_mT6_T7_P12ihipStream_tbENKUlT_T0_E_clISt17integral_constantIbLb1EES13_IbLb0EEEEDaSZ_S10_EUlSZ_E_NS1_11comp_targetILNS1_3genE0ELNS1_11target_archE4294967295ELNS1_3gpuE0ELNS1_3repE0EEENS1_30default_config_static_selectorELNS0_4arch9wavefront6targetE1EEEvT1_ ; -- Begin function _ZN7rocprim17ROCPRIM_400000_NS6detail17trampoline_kernelINS0_14default_configENS1_27scan_by_key_config_selectorIxxEEZZNS1_16scan_by_key_implILNS1_25lookback_scan_determinismE0ELb0ES3_N6thrust23THRUST_200600_302600_NS6detail15normal_iteratorINS9_10device_ptrIxEEEENS9_18transform_iteratorINS9_6negateIxEESE_NS9_11use_defaultESI_EESE_xNS9_4plusIvEENS9_8equal_toIvEExEE10hipError_tPvRmT2_T3_T4_T5_mT6_T7_P12ihipStream_tbENKUlT_T0_E_clISt17integral_constantIbLb1EES13_IbLb0EEEEDaSZ_S10_EUlSZ_E_NS1_11comp_targetILNS1_3genE0ELNS1_11target_archE4294967295ELNS1_3gpuE0ELNS1_3repE0EEENS1_30default_config_static_selectorELNS0_4arch9wavefront6targetE1EEEvT1_
	.globl	_ZN7rocprim17ROCPRIM_400000_NS6detail17trampoline_kernelINS0_14default_configENS1_27scan_by_key_config_selectorIxxEEZZNS1_16scan_by_key_implILNS1_25lookback_scan_determinismE0ELb0ES3_N6thrust23THRUST_200600_302600_NS6detail15normal_iteratorINS9_10device_ptrIxEEEENS9_18transform_iteratorINS9_6negateIxEESE_NS9_11use_defaultESI_EESE_xNS9_4plusIvEENS9_8equal_toIvEExEE10hipError_tPvRmT2_T3_T4_T5_mT6_T7_P12ihipStream_tbENKUlT_T0_E_clISt17integral_constantIbLb1EES13_IbLb0EEEEDaSZ_S10_EUlSZ_E_NS1_11comp_targetILNS1_3genE0ELNS1_11target_archE4294967295ELNS1_3gpuE0ELNS1_3repE0EEENS1_30default_config_static_selectorELNS0_4arch9wavefront6targetE1EEEvT1_
	.p2align	8
	.type	_ZN7rocprim17ROCPRIM_400000_NS6detail17trampoline_kernelINS0_14default_configENS1_27scan_by_key_config_selectorIxxEEZZNS1_16scan_by_key_implILNS1_25lookback_scan_determinismE0ELb0ES3_N6thrust23THRUST_200600_302600_NS6detail15normal_iteratorINS9_10device_ptrIxEEEENS9_18transform_iteratorINS9_6negateIxEESE_NS9_11use_defaultESI_EESE_xNS9_4plusIvEENS9_8equal_toIvEExEE10hipError_tPvRmT2_T3_T4_T5_mT6_T7_P12ihipStream_tbENKUlT_T0_E_clISt17integral_constantIbLb1EES13_IbLb0EEEEDaSZ_S10_EUlSZ_E_NS1_11comp_targetILNS1_3genE0ELNS1_11target_archE4294967295ELNS1_3gpuE0ELNS1_3repE0EEENS1_30default_config_static_selectorELNS0_4arch9wavefront6targetE1EEEvT1_,@function
_ZN7rocprim17ROCPRIM_400000_NS6detail17trampoline_kernelINS0_14default_configENS1_27scan_by_key_config_selectorIxxEEZZNS1_16scan_by_key_implILNS1_25lookback_scan_determinismE0ELb0ES3_N6thrust23THRUST_200600_302600_NS6detail15normal_iteratorINS9_10device_ptrIxEEEENS9_18transform_iteratorINS9_6negateIxEESE_NS9_11use_defaultESI_EESE_xNS9_4plusIvEENS9_8equal_toIvEExEE10hipError_tPvRmT2_T3_T4_T5_mT6_T7_P12ihipStream_tbENKUlT_T0_E_clISt17integral_constantIbLb1EES13_IbLb0EEEEDaSZ_S10_EUlSZ_E_NS1_11comp_targetILNS1_3genE0ELNS1_11target_archE4294967295ELNS1_3gpuE0ELNS1_3repE0EEENS1_30default_config_static_selectorELNS0_4arch9wavefront6targetE1EEEvT1_: ; @_ZN7rocprim17ROCPRIM_400000_NS6detail17trampoline_kernelINS0_14default_configENS1_27scan_by_key_config_selectorIxxEEZZNS1_16scan_by_key_implILNS1_25lookback_scan_determinismE0ELb0ES3_N6thrust23THRUST_200600_302600_NS6detail15normal_iteratorINS9_10device_ptrIxEEEENS9_18transform_iteratorINS9_6negateIxEESE_NS9_11use_defaultESI_EESE_xNS9_4plusIvEENS9_8equal_toIvEExEE10hipError_tPvRmT2_T3_T4_T5_mT6_T7_P12ihipStream_tbENKUlT_T0_E_clISt17integral_constantIbLb1EES13_IbLb0EEEEDaSZ_S10_EUlSZ_E_NS1_11comp_targetILNS1_3genE0ELNS1_11target_archE4294967295ELNS1_3gpuE0ELNS1_3repE0EEENS1_30default_config_static_selectorELNS0_4arch9wavefront6targetE1EEEvT1_
; %bb.0:
	.section	.rodata,"a",@progbits
	.p2align	6, 0x0
	.amdhsa_kernel _ZN7rocprim17ROCPRIM_400000_NS6detail17trampoline_kernelINS0_14default_configENS1_27scan_by_key_config_selectorIxxEEZZNS1_16scan_by_key_implILNS1_25lookback_scan_determinismE0ELb0ES3_N6thrust23THRUST_200600_302600_NS6detail15normal_iteratorINS9_10device_ptrIxEEEENS9_18transform_iteratorINS9_6negateIxEESE_NS9_11use_defaultESI_EESE_xNS9_4plusIvEENS9_8equal_toIvEExEE10hipError_tPvRmT2_T3_T4_T5_mT6_T7_P12ihipStream_tbENKUlT_T0_E_clISt17integral_constantIbLb1EES13_IbLb0EEEEDaSZ_S10_EUlSZ_E_NS1_11comp_targetILNS1_3genE0ELNS1_11target_archE4294967295ELNS1_3gpuE0ELNS1_3repE0EEENS1_30default_config_static_selectorELNS0_4arch9wavefront6targetE1EEEvT1_
		.amdhsa_group_segment_fixed_size 0
		.amdhsa_private_segment_fixed_size 0
		.amdhsa_kernarg_size 144
		.amdhsa_user_sgpr_count 2
		.amdhsa_user_sgpr_dispatch_ptr 0
		.amdhsa_user_sgpr_queue_ptr 0
		.amdhsa_user_sgpr_kernarg_segment_ptr 1
		.amdhsa_user_sgpr_dispatch_id 0
		.amdhsa_user_sgpr_kernarg_preload_length 0
		.amdhsa_user_sgpr_kernarg_preload_offset 0
		.amdhsa_user_sgpr_private_segment_size 0
		.amdhsa_uses_dynamic_stack 0
		.amdhsa_enable_private_segment 0
		.amdhsa_system_sgpr_workgroup_id_x 1
		.amdhsa_system_sgpr_workgroup_id_y 0
		.amdhsa_system_sgpr_workgroup_id_z 0
		.amdhsa_system_sgpr_workgroup_info 0
		.amdhsa_system_vgpr_workitem_id 0
		.amdhsa_next_free_vgpr 1
		.amdhsa_next_free_sgpr 0
		.amdhsa_accum_offset 4
		.amdhsa_reserve_vcc 0
		.amdhsa_float_round_mode_32 0
		.amdhsa_float_round_mode_16_64 0
		.amdhsa_float_denorm_mode_32 3
		.amdhsa_float_denorm_mode_16_64 3
		.amdhsa_dx10_clamp 1
		.amdhsa_ieee_mode 1
		.amdhsa_fp16_overflow 0
		.amdhsa_tg_split 0
		.amdhsa_exception_fp_ieee_invalid_op 0
		.amdhsa_exception_fp_denorm_src 0
		.amdhsa_exception_fp_ieee_div_zero 0
		.amdhsa_exception_fp_ieee_overflow 0
		.amdhsa_exception_fp_ieee_underflow 0
		.amdhsa_exception_fp_ieee_inexact 0
		.amdhsa_exception_int_div_zero 0
	.end_amdhsa_kernel
	.section	.text._ZN7rocprim17ROCPRIM_400000_NS6detail17trampoline_kernelINS0_14default_configENS1_27scan_by_key_config_selectorIxxEEZZNS1_16scan_by_key_implILNS1_25lookback_scan_determinismE0ELb0ES3_N6thrust23THRUST_200600_302600_NS6detail15normal_iteratorINS9_10device_ptrIxEEEENS9_18transform_iteratorINS9_6negateIxEESE_NS9_11use_defaultESI_EESE_xNS9_4plusIvEENS9_8equal_toIvEExEE10hipError_tPvRmT2_T3_T4_T5_mT6_T7_P12ihipStream_tbENKUlT_T0_E_clISt17integral_constantIbLb1EES13_IbLb0EEEEDaSZ_S10_EUlSZ_E_NS1_11comp_targetILNS1_3genE0ELNS1_11target_archE4294967295ELNS1_3gpuE0ELNS1_3repE0EEENS1_30default_config_static_selectorELNS0_4arch9wavefront6targetE1EEEvT1_,"axG",@progbits,_ZN7rocprim17ROCPRIM_400000_NS6detail17trampoline_kernelINS0_14default_configENS1_27scan_by_key_config_selectorIxxEEZZNS1_16scan_by_key_implILNS1_25lookback_scan_determinismE0ELb0ES3_N6thrust23THRUST_200600_302600_NS6detail15normal_iteratorINS9_10device_ptrIxEEEENS9_18transform_iteratorINS9_6negateIxEESE_NS9_11use_defaultESI_EESE_xNS9_4plusIvEENS9_8equal_toIvEExEE10hipError_tPvRmT2_T3_T4_T5_mT6_T7_P12ihipStream_tbENKUlT_T0_E_clISt17integral_constantIbLb1EES13_IbLb0EEEEDaSZ_S10_EUlSZ_E_NS1_11comp_targetILNS1_3genE0ELNS1_11target_archE4294967295ELNS1_3gpuE0ELNS1_3repE0EEENS1_30default_config_static_selectorELNS0_4arch9wavefront6targetE1EEEvT1_,comdat
.Lfunc_end911:
	.size	_ZN7rocprim17ROCPRIM_400000_NS6detail17trampoline_kernelINS0_14default_configENS1_27scan_by_key_config_selectorIxxEEZZNS1_16scan_by_key_implILNS1_25lookback_scan_determinismE0ELb0ES3_N6thrust23THRUST_200600_302600_NS6detail15normal_iteratorINS9_10device_ptrIxEEEENS9_18transform_iteratorINS9_6negateIxEESE_NS9_11use_defaultESI_EESE_xNS9_4plusIvEENS9_8equal_toIvEExEE10hipError_tPvRmT2_T3_T4_T5_mT6_T7_P12ihipStream_tbENKUlT_T0_E_clISt17integral_constantIbLb1EES13_IbLb0EEEEDaSZ_S10_EUlSZ_E_NS1_11comp_targetILNS1_3genE0ELNS1_11target_archE4294967295ELNS1_3gpuE0ELNS1_3repE0EEENS1_30default_config_static_selectorELNS0_4arch9wavefront6targetE1EEEvT1_, .Lfunc_end911-_ZN7rocprim17ROCPRIM_400000_NS6detail17trampoline_kernelINS0_14default_configENS1_27scan_by_key_config_selectorIxxEEZZNS1_16scan_by_key_implILNS1_25lookback_scan_determinismE0ELb0ES3_N6thrust23THRUST_200600_302600_NS6detail15normal_iteratorINS9_10device_ptrIxEEEENS9_18transform_iteratorINS9_6negateIxEESE_NS9_11use_defaultESI_EESE_xNS9_4plusIvEENS9_8equal_toIvEExEE10hipError_tPvRmT2_T3_T4_T5_mT6_T7_P12ihipStream_tbENKUlT_T0_E_clISt17integral_constantIbLb1EES13_IbLb0EEEEDaSZ_S10_EUlSZ_E_NS1_11comp_targetILNS1_3genE0ELNS1_11target_archE4294967295ELNS1_3gpuE0ELNS1_3repE0EEENS1_30default_config_static_selectorELNS0_4arch9wavefront6targetE1EEEvT1_
                                        ; -- End function
	.section	.AMDGPU.csdata,"",@progbits
; Kernel info:
; codeLenInByte = 0
; NumSgprs: 6
; NumVgprs: 0
; NumAgprs: 0
; TotalNumVgprs: 0
; ScratchSize: 0
; MemoryBound: 0
; FloatMode: 240
; IeeeMode: 1
; LDSByteSize: 0 bytes/workgroup (compile time only)
; SGPRBlocks: 0
; VGPRBlocks: 0
; NumSGPRsForWavesPerEU: 6
; NumVGPRsForWavesPerEU: 1
; AccumOffset: 4
; Occupancy: 8
; WaveLimiterHint : 0
; COMPUTE_PGM_RSRC2:SCRATCH_EN: 0
; COMPUTE_PGM_RSRC2:USER_SGPR: 2
; COMPUTE_PGM_RSRC2:TRAP_HANDLER: 0
; COMPUTE_PGM_RSRC2:TGID_X_EN: 1
; COMPUTE_PGM_RSRC2:TGID_Y_EN: 0
; COMPUTE_PGM_RSRC2:TGID_Z_EN: 0
; COMPUTE_PGM_RSRC2:TIDIG_COMP_CNT: 0
; COMPUTE_PGM_RSRC3_GFX90A:ACCUM_OFFSET: 0
; COMPUTE_PGM_RSRC3_GFX90A:TG_SPLIT: 0
	.section	.text._ZN7rocprim17ROCPRIM_400000_NS6detail17trampoline_kernelINS0_14default_configENS1_27scan_by_key_config_selectorIxxEEZZNS1_16scan_by_key_implILNS1_25lookback_scan_determinismE0ELb0ES3_N6thrust23THRUST_200600_302600_NS6detail15normal_iteratorINS9_10device_ptrIxEEEENS9_18transform_iteratorINS9_6negateIxEESE_NS9_11use_defaultESI_EESE_xNS9_4plusIvEENS9_8equal_toIvEExEE10hipError_tPvRmT2_T3_T4_T5_mT6_T7_P12ihipStream_tbENKUlT_T0_E_clISt17integral_constantIbLb1EES13_IbLb0EEEEDaSZ_S10_EUlSZ_E_NS1_11comp_targetILNS1_3genE10ELNS1_11target_archE1201ELNS1_3gpuE5ELNS1_3repE0EEENS1_30default_config_static_selectorELNS0_4arch9wavefront6targetE1EEEvT1_,"axG",@progbits,_ZN7rocprim17ROCPRIM_400000_NS6detail17trampoline_kernelINS0_14default_configENS1_27scan_by_key_config_selectorIxxEEZZNS1_16scan_by_key_implILNS1_25lookback_scan_determinismE0ELb0ES3_N6thrust23THRUST_200600_302600_NS6detail15normal_iteratorINS9_10device_ptrIxEEEENS9_18transform_iteratorINS9_6negateIxEESE_NS9_11use_defaultESI_EESE_xNS9_4plusIvEENS9_8equal_toIvEExEE10hipError_tPvRmT2_T3_T4_T5_mT6_T7_P12ihipStream_tbENKUlT_T0_E_clISt17integral_constantIbLb1EES13_IbLb0EEEEDaSZ_S10_EUlSZ_E_NS1_11comp_targetILNS1_3genE10ELNS1_11target_archE1201ELNS1_3gpuE5ELNS1_3repE0EEENS1_30default_config_static_selectorELNS0_4arch9wavefront6targetE1EEEvT1_,comdat
	.protected	_ZN7rocprim17ROCPRIM_400000_NS6detail17trampoline_kernelINS0_14default_configENS1_27scan_by_key_config_selectorIxxEEZZNS1_16scan_by_key_implILNS1_25lookback_scan_determinismE0ELb0ES3_N6thrust23THRUST_200600_302600_NS6detail15normal_iteratorINS9_10device_ptrIxEEEENS9_18transform_iteratorINS9_6negateIxEESE_NS9_11use_defaultESI_EESE_xNS9_4plusIvEENS9_8equal_toIvEExEE10hipError_tPvRmT2_T3_T4_T5_mT6_T7_P12ihipStream_tbENKUlT_T0_E_clISt17integral_constantIbLb1EES13_IbLb0EEEEDaSZ_S10_EUlSZ_E_NS1_11comp_targetILNS1_3genE10ELNS1_11target_archE1201ELNS1_3gpuE5ELNS1_3repE0EEENS1_30default_config_static_selectorELNS0_4arch9wavefront6targetE1EEEvT1_ ; -- Begin function _ZN7rocprim17ROCPRIM_400000_NS6detail17trampoline_kernelINS0_14default_configENS1_27scan_by_key_config_selectorIxxEEZZNS1_16scan_by_key_implILNS1_25lookback_scan_determinismE0ELb0ES3_N6thrust23THRUST_200600_302600_NS6detail15normal_iteratorINS9_10device_ptrIxEEEENS9_18transform_iteratorINS9_6negateIxEESE_NS9_11use_defaultESI_EESE_xNS9_4plusIvEENS9_8equal_toIvEExEE10hipError_tPvRmT2_T3_T4_T5_mT6_T7_P12ihipStream_tbENKUlT_T0_E_clISt17integral_constantIbLb1EES13_IbLb0EEEEDaSZ_S10_EUlSZ_E_NS1_11comp_targetILNS1_3genE10ELNS1_11target_archE1201ELNS1_3gpuE5ELNS1_3repE0EEENS1_30default_config_static_selectorELNS0_4arch9wavefront6targetE1EEEvT1_
	.globl	_ZN7rocprim17ROCPRIM_400000_NS6detail17trampoline_kernelINS0_14default_configENS1_27scan_by_key_config_selectorIxxEEZZNS1_16scan_by_key_implILNS1_25lookback_scan_determinismE0ELb0ES3_N6thrust23THRUST_200600_302600_NS6detail15normal_iteratorINS9_10device_ptrIxEEEENS9_18transform_iteratorINS9_6negateIxEESE_NS9_11use_defaultESI_EESE_xNS9_4plusIvEENS9_8equal_toIvEExEE10hipError_tPvRmT2_T3_T4_T5_mT6_T7_P12ihipStream_tbENKUlT_T0_E_clISt17integral_constantIbLb1EES13_IbLb0EEEEDaSZ_S10_EUlSZ_E_NS1_11comp_targetILNS1_3genE10ELNS1_11target_archE1201ELNS1_3gpuE5ELNS1_3repE0EEENS1_30default_config_static_selectorELNS0_4arch9wavefront6targetE1EEEvT1_
	.p2align	8
	.type	_ZN7rocprim17ROCPRIM_400000_NS6detail17trampoline_kernelINS0_14default_configENS1_27scan_by_key_config_selectorIxxEEZZNS1_16scan_by_key_implILNS1_25lookback_scan_determinismE0ELb0ES3_N6thrust23THRUST_200600_302600_NS6detail15normal_iteratorINS9_10device_ptrIxEEEENS9_18transform_iteratorINS9_6negateIxEESE_NS9_11use_defaultESI_EESE_xNS9_4plusIvEENS9_8equal_toIvEExEE10hipError_tPvRmT2_T3_T4_T5_mT6_T7_P12ihipStream_tbENKUlT_T0_E_clISt17integral_constantIbLb1EES13_IbLb0EEEEDaSZ_S10_EUlSZ_E_NS1_11comp_targetILNS1_3genE10ELNS1_11target_archE1201ELNS1_3gpuE5ELNS1_3repE0EEENS1_30default_config_static_selectorELNS0_4arch9wavefront6targetE1EEEvT1_,@function
_ZN7rocprim17ROCPRIM_400000_NS6detail17trampoline_kernelINS0_14default_configENS1_27scan_by_key_config_selectorIxxEEZZNS1_16scan_by_key_implILNS1_25lookback_scan_determinismE0ELb0ES3_N6thrust23THRUST_200600_302600_NS6detail15normal_iteratorINS9_10device_ptrIxEEEENS9_18transform_iteratorINS9_6negateIxEESE_NS9_11use_defaultESI_EESE_xNS9_4plusIvEENS9_8equal_toIvEExEE10hipError_tPvRmT2_T3_T4_T5_mT6_T7_P12ihipStream_tbENKUlT_T0_E_clISt17integral_constantIbLb1EES13_IbLb0EEEEDaSZ_S10_EUlSZ_E_NS1_11comp_targetILNS1_3genE10ELNS1_11target_archE1201ELNS1_3gpuE5ELNS1_3repE0EEENS1_30default_config_static_selectorELNS0_4arch9wavefront6targetE1EEEvT1_: ; @_ZN7rocprim17ROCPRIM_400000_NS6detail17trampoline_kernelINS0_14default_configENS1_27scan_by_key_config_selectorIxxEEZZNS1_16scan_by_key_implILNS1_25lookback_scan_determinismE0ELb0ES3_N6thrust23THRUST_200600_302600_NS6detail15normal_iteratorINS9_10device_ptrIxEEEENS9_18transform_iteratorINS9_6negateIxEESE_NS9_11use_defaultESI_EESE_xNS9_4plusIvEENS9_8equal_toIvEExEE10hipError_tPvRmT2_T3_T4_T5_mT6_T7_P12ihipStream_tbENKUlT_T0_E_clISt17integral_constantIbLb1EES13_IbLb0EEEEDaSZ_S10_EUlSZ_E_NS1_11comp_targetILNS1_3genE10ELNS1_11target_archE1201ELNS1_3gpuE5ELNS1_3repE0EEENS1_30default_config_static_selectorELNS0_4arch9wavefront6targetE1EEEvT1_
; %bb.0:
	.section	.rodata,"a",@progbits
	.p2align	6, 0x0
	.amdhsa_kernel _ZN7rocprim17ROCPRIM_400000_NS6detail17trampoline_kernelINS0_14default_configENS1_27scan_by_key_config_selectorIxxEEZZNS1_16scan_by_key_implILNS1_25lookback_scan_determinismE0ELb0ES3_N6thrust23THRUST_200600_302600_NS6detail15normal_iteratorINS9_10device_ptrIxEEEENS9_18transform_iteratorINS9_6negateIxEESE_NS9_11use_defaultESI_EESE_xNS9_4plusIvEENS9_8equal_toIvEExEE10hipError_tPvRmT2_T3_T4_T5_mT6_T7_P12ihipStream_tbENKUlT_T0_E_clISt17integral_constantIbLb1EES13_IbLb0EEEEDaSZ_S10_EUlSZ_E_NS1_11comp_targetILNS1_3genE10ELNS1_11target_archE1201ELNS1_3gpuE5ELNS1_3repE0EEENS1_30default_config_static_selectorELNS0_4arch9wavefront6targetE1EEEvT1_
		.amdhsa_group_segment_fixed_size 0
		.amdhsa_private_segment_fixed_size 0
		.amdhsa_kernarg_size 144
		.amdhsa_user_sgpr_count 2
		.amdhsa_user_sgpr_dispatch_ptr 0
		.amdhsa_user_sgpr_queue_ptr 0
		.amdhsa_user_sgpr_kernarg_segment_ptr 1
		.amdhsa_user_sgpr_dispatch_id 0
		.amdhsa_user_sgpr_kernarg_preload_length 0
		.amdhsa_user_sgpr_kernarg_preload_offset 0
		.amdhsa_user_sgpr_private_segment_size 0
		.amdhsa_uses_dynamic_stack 0
		.amdhsa_enable_private_segment 0
		.amdhsa_system_sgpr_workgroup_id_x 1
		.amdhsa_system_sgpr_workgroup_id_y 0
		.amdhsa_system_sgpr_workgroup_id_z 0
		.amdhsa_system_sgpr_workgroup_info 0
		.amdhsa_system_vgpr_workitem_id 0
		.amdhsa_next_free_vgpr 1
		.amdhsa_next_free_sgpr 0
		.amdhsa_accum_offset 4
		.amdhsa_reserve_vcc 0
		.amdhsa_float_round_mode_32 0
		.amdhsa_float_round_mode_16_64 0
		.amdhsa_float_denorm_mode_32 3
		.amdhsa_float_denorm_mode_16_64 3
		.amdhsa_dx10_clamp 1
		.amdhsa_ieee_mode 1
		.amdhsa_fp16_overflow 0
		.amdhsa_tg_split 0
		.amdhsa_exception_fp_ieee_invalid_op 0
		.amdhsa_exception_fp_denorm_src 0
		.amdhsa_exception_fp_ieee_div_zero 0
		.amdhsa_exception_fp_ieee_overflow 0
		.amdhsa_exception_fp_ieee_underflow 0
		.amdhsa_exception_fp_ieee_inexact 0
		.amdhsa_exception_int_div_zero 0
	.end_amdhsa_kernel
	.section	.text._ZN7rocprim17ROCPRIM_400000_NS6detail17trampoline_kernelINS0_14default_configENS1_27scan_by_key_config_selectorIxxEEZZNS1_16scan_by_key_implILNS1_25lookback_scan_determinismE0ELb0ES3_N6thrust23THRUST_200600_302600_NS6detail15normal_iteratorINS9_10device_ptrIxEEEENS9_18transform_iteratorINS9_6negateIxEESE_NS9_11use_defaultESI_EESE_xNS9_4plusIvEENS9_8equal_toIvEExEE10hipError_tPvRmT2_T3_T4_T5_mT6_T7_P12ihipStream_tbENKUlT_T0_E_clISt17integral_constantIbLb1EES13_IbLb0EEEEDaSZ_S10_EUlSZ_E_NS1_11comp_targetILNS1_3genE10ELNS1_11target_archE1201ELNS1_3gpuE5ELNS1_3repE0EEENS1_30default_config_static_selectorELNS0_4arch9wavefront6targetE1EEEvT1_,"axG",@progbits,_ZN7rocprim17ROCPRIM_400000_NS6detail17trampoline_kernelINS0_14default_configENS1_27scan_by_key_config_selectorIxxEEZZNS1_16scan_by_key_implILNS1_25lookback_scan_determinismE0ELb0ES3_N6thrust23THRUST_200600_302600_NS6detail15normal_iteratorINS9_10device_ptrIxEEEENS9_18transform_iteratorINS9_6negateIxEESE_NS9_11use_defaultESI_EESE_xNS9_4plusIvEENS9_8equal_toIvEExEE10hipError_tPvRmT2_T3_T4_T5_mT6_T7_P12ihipStream_tbENKUlT_T0_E_clISt17integral_constantIbLb1EES13_IbLb0EEEEDaSZ_S10_EUlSZ_E_NS1_11comp_targetILNS1_3genE10ELNS1_11target_archE1201ELNS1_3gpuE5ELNS1_3repE0EEENS1_30default_config_static_selectorELNS0_4arch9wavefront6targetE1EEEvT1_,comdat
.Lfunc_end912:
	.size	_ZN7rocprim17ROCPRIM_400000_NS6detail17trampoline_kernelINS0_14default_configENS1_27scan_by_key_config_selectorIxxEEZZNS1_16scan_by_key_implILNS1_25lookback_scan_determinismE0ELb0ES3_N6thrust23THRUST_200600_302600_NS6detail15normal_iteratorINS9_10device_ptrIxEEEENS9_18transform_iteratorINS9_6negateIxEESE_NS9_11use_defaultESI_EESE_xNS9_4plusIvEENS9_8equal_toIvEExEE10hipError_tPvRmT2_T3_T4_T5_mT6_T7_P12ihipStream_tbENKUlT_T0_E_clISt17integral_constantIbLb1EES13_IbLb0EEEEDaSZ_S10_EUlSZ_E_NS1_11comp_targetILNS1_3genE10ELNS1_11target_archE1201ELNS1_3gpuE5ELNS1_3repE0EEENS1_30default_config_static_selectorELNS0_4arch9wavefront6targetE1EEEvT1_, .Lfunc_end912-_ZN7rocprim17ROCPRIM_400000_NS6detail17trampoline_kernelINS0_14default_configENS1_27scan_by_key_config_selectorIxxEEZZNS1_16scan_by_key_implILNS1_25lookback_scan_determinismE0ELb0ES3_N6thrust23THRUST_200600_302600_NS6detail15normal_iteratorINS9_10device_ptrIxEEEENS9_18transform_iteratorINS9_6negateIxEESE_NS9_11use_defaultESI_EESE_xNS9_4plusIvEENS9_8equal_toIvEExEE10hipError_tPvRmT2_T3_T4_T5_mT6_T7_P12ihipStream_tbENKUlT_T0_E_clISt17integral_constantIbLb1EES13_IbLb0EEEEDaSZ_S10_EUlSZ_E_NS1_11comp_targetILNS1_3genE10ELNS1_11target_archE1201ELNS1_3gpuE5ELNS1_3repE0EEENS1_30default_config_static_selectorELNS0_4arch9wavefront6targetE1EEEvT1_
                                        ; -- End function
	.section	.AMDGPU.csdata,"",@progbits
; Kernel info:
; codeLenInByte = 0
; NumSgprs: 6
; NumVgprs: 0
; NumAgprs: 0
; TotalNumVgprs: 0
; ScratchSize: 0
; MemoryBound: 0
; FloatMode: 240
; IeeeMode: 1
; LDSByteSize: 0 bytes/workgroup (compile time only)
; SGPRBlocks: 0
; VGPRBlocks: 0
; NumSGPRsForWavesPerEU: 6
; NumVGPRsForWavesPerEU: 1
; AccumOffset: 4
; Occupancy: 8
; WaveLimiterHint : 0
; COMPUTE_PGM_RSRC2:SCRATCH_EN: 0
; COMPUTE_PGM_RSRC2:USER_SGPR: 2
; COMPUTE_PGM_RSRC2:TRAP_HANDLER: 0
; COMPUTE_PGM_RSRC2:TGID_X_EN: 1
; COMPUTE_PGM_RSRC2:TGID_Y_EN: 0
; COMPUTE_PGM_RSRC2:TGID_Z_EN: 0
; COMPUTE_PGM_RSRC2:TIDIG_COMP_CNT: 0
; COMPUTE_PGM_RSRC3_GFX90A:ACCUM_OFFSET: 0
; COMPUTE_PGM_RSRC3_GFX90A:TG_SPLIT: 0
	.section	.text._ZN7rocprim17ROCPRIM_400000_NS6detail17trampoline_kernelINS0_14default_configENS1_27scan_by_key_config_selectorIxxEEZZNS1_16scan_by_key_implILNS1_25lookback_scan_determinismE0ELb0ES3_N6thrust23THRUST_200600_302600_NS6detail15normal_iteratorINS9_10device_ptrIxEEEENS9_18transform_iteratorINS9_6negateIxEESE_NS9_11use_defaultESI_EESE_xNS9_4plusIvEENS9_8equal_toIvEExEE10hipError_tPvRmT2_T3_T4_T5_mT6_T7_P12ihipStream_tbENKUlT_T0_E_clISt17integral_constantIbLb1EES13_IbLb0EEEEDaSZ_S10_EUlSZ_E_NS1_11comp_targetILNS1_3genE5ELNS1_11target_archE942ELNS1_3gpuE9ELNS1_3repE0EEENS1_30default_config_static_selectorELNS0_4arch9wavefront6targetE1EEEvT1_,"axG",@progbits,_ZN7rocprim17ROCPRIM_400000_NS6detail17trampoline_kernelINS0_14default_configENS1_27scan_by_key_config_selectorIxxEEZZNS1_16scan_by_key_implILNS1_25lookback_scan_determinismE0ELb0ES3_N6thrust23THRUST_200600_302600_NS6detail15normal_iteratorINS9_10device_ptrIxEEEENS9_18transform_iteratorINS9_6negateIxEESE_NS9_11use_defaultESI_EESE_xNS9_4plusIvEENS9_8equal_toIvEExEE10hipError_tPvRmT2_T3_T4_T5_mT6_T7_P12ihipStream_tbENKUlT_T0_E_clISt17integral_constantIbLb1EES13_IbLb0EEEEDaSZ_S10_EUlSZ_E_NS1_11comp_targetILNS1_3genE5ELNS1_11target_archE942ELNS1_3gpuE9ELNS1_3repE0EEENS1_30default_config_static_selectorELNS0_4arch9wavefront6targetE1EEEvT1_,comdat
	.protected	_ZN7rocprim17ROCPRIM_400000_NS6detail17trampoline_kernelINS0_14default_configENS1_27scan_by_key_config_selectorIxxEEZZNS1_16scan_by_key_implILNS1_25lookback_scan_determinismE0ELb0ES3_N6thrust23THRUST_200600_302600_NS6detail15normal_iteratorINS9_10device_ptrIxEEEENS9_18transform_iteratorINS9_6negateIxEESE_NS9_11use_defaultESI_EESE_xNS9_4plusIvEENS9_8equal_toIvEExEE10hipError_tPvRmT2_T3_T4_T5_mT6_T7_P12ihipStream_tbENKUlT_T0_E_clISt17integral_constantIbLb1EES13_IbLb0EEEEDaSZ_S10_EUlSZ_E_NS1_11comp_targetILNS1_3genE5ELNS1_11target_archE942ELNS1_3gpuE9ELNS1_3repE0EEENS1_30default_config_static_selectorELNS0_4arch9wavefront6targetE1EEEvT1_ ; -- Begin function _ZN7rocprim17ROCPRIM_400000_NS6detail17trampoline_kernelINS0_14default_configENS1_27scan_by_key_config_selectorIxxEEZZNS1_16scan_by_key_implILNS1_25lookback_scan_determinismE0ELb0ES3_N6thrust23THRUST_200600_302600_NS6detail15normal_iteratorINS9_10device_ptrIxEEEENS9_18transform_iteratorINS9_6negateIxEESE_NS9_11use_defaultESI_EESE_xNS9_4plusIvEENS9_8equal_toIvEExEE10hipError_tPvRmT2_T3_T4_T5_mT6_T7_P12ihipStream_tbENKUlT_T0_E_clISt17integral_constantIbLb1EES13_IbLb0EEEEDaSZ_S10_EUlSZ_E_NS1_11comp_targetILNS1_3genE5ELNS1_11target_archE942ELNS1_3gpuE9ELNS1_3repE0EEENS1_30default_config_static_selectorELNS0_4arch9wavefront6targetE1EEEvT1_
	.globl	_ZN7rocprim17ROCPRIM_400000_NS6detail17trampoline_kernelINS0_14default_configENS1_27scan_by_key_config_selectorIxxEEZZNS1_16scan_by_key_implILNS1_25lookback_scan_determinismE0ELb0ES3_N6thrust23THRUST_200600_302600_NS6detail15normal_iteratorINS9_10device_ptrIxEEEENS9_18transform_iteratorINS9_6negateIxEESE_NS9_11use_defaultESI_EESE_xNS9_4plusIvEENS9_8equal_toIvEExEE10hipError_tPvRmT2_T3_T4_T5_mT6_T7_P12ihipStream_tbENKUlT_T0_E_clISt17integral_constantIbLb1EES13_IbLb0EEEEDaSZ_S10_EUlSZ_E_NS1_11comp_targetILNS1_3genE5ELNS1_11target_archE942ELNS1_3gpuE9ELNS1_3repE0EEENS1_30default_config_static_selectorELNS0_4arch9wavefront6targetE1EEEvT1_
	.p2align	8
	.type	_ZN7rocprim17ROCPRIM_400000_NS6detail17trampoline_kernelINS0_14default_configENS1_27scan_by_key_config_selectorIxxEEZZNS1_16scan_by_key_implILNS1_25lookback_scan_determinismE0ELb0ES3_N6thrust23THRUST_200600_302600_NS6detail15normal_iteratorINS9_10device_ptrIxEEEENS9_18transform_iteratorINS9_6negateIxEESE_NS9_11use_defaultESI_EESE_xNS9_4plusIvEENS9_8equal_toIvEExEE10hipError_tPvRmT2_T3_T4_T5_mT6_T7_P12ihipStream_tbENKUlT_T0_E_clISt17integral_constantIbLb1EES13_IbLb0EEEEDaSZ_S10_EUlSZ_E_NS1_11comp_targetILNS1_3genE5ELNS1_11target_archE942ELNS1_3gpuE9ELNS1_3repE0EEENS1_30default_config_static_selectorELNS0_4arch9wavefront6targetE1EEEvT1_,@function
_ZN7rocprim17ROCPRIM_400000_NS6detail17trampoline_kernelINS0_14default_configENS1_27scan_by_key_config_selectorIxxEEZZNS1_16scan_by_key_implILNS1_25lookback_scan_determinismE0ELb0ES3_N6thrust23THRUST_200600_302600_NS6detail15normal_iteratorINS9_10device_ptrIxEEEENS9_18transform_iteratorINS9_6negateIxEESE_NS9_11use_defaultESI_EESE_xNS9_4plusIvEENS9_8equal_toIvEExEE10hipError_tPvRmT2_T3_T4_T5_mT6_T7_P12ihipStream_tbENKUlT_T0_E_clISt17integral_constantIbLb1EES13_IbLb0EEEEDaSZ_S10_EUlSZ_E_NS1_11comp_targetILNS1_3genE5ELNS1_11target_archE942ELNS1_3gpuE9ELNS1_3repE0EEENS1_30default_config_static_selectorELNS0_4arch9wavefront6targetE1EEEvT1_: ; @_ZN7rocprim17ROCPRIM_400000_NS6detail17trampoline_kernelINS0_14default_configENS1_27scan_by_key_config_selectorIxxEEZZNS1_16scan_by_key_implILNS1_25lookback_scan_determinismE0ELb0ES3_N6thrust23THRUST_200600_302600_NS6detail15normal_iteratorINS9_10device_ptrIxEEEENS9_18transform_iteratorINS9_6negateIxEESE_NS9_11use_defaultESI_EESE_xNS9_4plusIvEENS9_8equal_toIvEExEE10hipError_tPvRmT2_T3_T4_T5_mT6_T7_P12ihipStream_tbENKUlT_T0_E_clISt17integral_constantIbLb1EES13_IbLb0EEEEDaSZ_S10_EUlSZ_E_NS1_11comp_targetILNS1_3genE5ELNS1_11target_archE942ELNS1_3gpuE9ELNS1_3repE0EEENS1_30default_config_static_selectorELNS0_4arch9wavefront6targetE1EEEvT1_
; %bb.0:
	s_load_dwordx4 s[4:7], s[0:1], 0x0
	s_load_dwordx2 s[8:9], s[0:1], 0x10
	s_load_dwordx8 s[40:47], s[0:1], 0x38
	s_load_dwordx2 s[56:57], s[0:1], 0x58
	s_load_dword s3, s[0:1], 0x60
	s_load_dwordx8 s[48:55], s[0:1], 0x68
	s_waitcnt lgkmcnt(0)
	s_lshl_b64 s[38:39], s[6:7], 3
	s_add_u32 s6, s4, s38
	s_addc_u32 s7, s5, s39
	s_add_u32 s8, s8, s38
	s_mul_i32 s4, s57, s3
	s_mul_hi_u32 s5, s56, s3
	s_addc_u32 s9, s9, s39
	s_add_i32 s12, s5, s4
	s_cmp_lg_u64 s[52:53], 0
	s_mul_i32 s4, s2, 0xe00
	s_mov_b32 s5, 0
	s_cselect_b64 s[60:61], -1, 0
	s_lshl_b64 s[52:53], s[4:5], 3
	s_add_u32 s58, s6, s52
	s_addc_u32 s59, s7, s53
	s_add_u32 s36, s8, s52
	s_mul_i32 s3, s56, s3
	s_addc_u32 s37, s9, s53
	s_add_u32 s62, s3, s2
	s_addc_u32 s63, s12, 0
	s_add_u32 s4, s48, -1
	s_addc_u32 s5, s49, -1
	v_mov_b64_e32 v[2:3], s[4:5]
	v_cmp_ge_u64_e64 s[34:35], s[62:63], v[2:3]
	s_mov_b64 s[10:11], 0
	s_mov_b64 s[6:7], -1
	s_and_b64 vcc, exec, s[34:35]
	s_mul_i32 s33, s4, 0xfffff200
	s_barrier
	s_cbranch_vccz .LBB913_77
; %bb.1:
	v_mov_b64_e32 v[2:3], s[58:59]
	flat_load_dwordx2 v[2:3], v[2:3]
	s_add_i32 s47, s33, s46
	v_cmp_gt_u32_e64 s[4:5], s47, v0
	s_waitcnt vmcnt(0) lgkmcnt(0)
	v_mov_b64_e32 v[4:5], v[2:3]
	s_and_saveexec_b64 s[6:7], s[4:5]
	s_cbranch_execz .LBB913_3
; %bb.2:
	v_lshlrev_b32_e32 v4, 3, v0
	v_mov_b32_e32 v5, 0
	v_lshl_add_u64 v[4:5], s[58:59], 0, v[4:5]
	flat_load_dwordx2 v[4:5], v[4:5]
.LBB913_3:
	s_or_b64 exec, exec, s[6:7]
	v_or_b32_e32 v1, 0x100, v0
	v_cmp_gt_u32_e64 s[6:7], s47, v1
	v_mov_b64_e32 v[6:7], v[2:3]
	s_and_saveexec_b64 s[8:9], s[6:7]
	s_cbranch_execz .LBB913_5
; %bb.4:
	v_lshlrev_b32_e32 v6, 3, v0
	v_mov_b32_e32 v7, 0
	v_lshl_add_u64 v[6:7], s[58:59], 0, v[6:7]
	flat_load_dwordx2 v[6:7], v[6:7] offset:2048
.LBB913_5:
	s_or_b64 exec, exec, s[8:9]
	v_or_b32_e32 v1, 0x200, v0
	v_cmp_gt_u32_e64 s[8:9], s47, v1
	v_mov_b64_e32 v[8:9], v[2:3]
	s_and_saveexec_b64 s[10:11], s[8:9]
	s_cbranch_execz .LBB913_7
; %bb.6:
	v_lshlrev_b32_e32 v8, 3, v1
	v_mov_b32_e32 v9, 0
	v_lshl_add_u64 v[8:9], s[58:59], 0, v[8:9]
	flat_load_dwordx2 v[8:9], v[8:9]
.LBB913_7:
	s_or_b64 exec, exec, s[10:11]
	v_or_b32_e32 v30, 0x300, v0
	v_cmp_gt_u32_e64 s[10:11], s47, v30
	v_mov_b64_e32 v[10:11], v[2:3]
	s_and_saveexec_b64 s[12:13], s[10:11]
	s_cbranch_execz .LBB913_9
; %bb.8:
	v_lshlrev_b32_e32 v10, 3, v30
	v_mov_b32_e32 v11, 0
	v_lshl_add_u64 v[10:11], s[58:59], 0, v[10:11]
	flat_load_dwordx2 v[10:11], v[10:11]
.LBB913_9:
	;; [unrolled: 12-line block ×11, first 2 shown]
	s_or_b64 exec, exec, s[30:31]
	v_or_b32_e32 v41, 0xd00, v0
	v_cmp_gt_u32_e64 s[30:31], s47, v41
	s_and_saveexec_b64 s[48:49], s[30:31]
	s_cbranch_execz .LBB913_29
; %bb.28:
	v_lshlrev_b32_e32 v2, 3, v41
	v_mov_b32_e32 v3, 0
	v_lshl_add_u64 v[2:3], s[58:59], 0, v[2:3]
	flat_load_dwordx2 v[2:3], v[2:3]
.LBB913_29:
	s_or_b64 exec, exec, s[48:49]
	v_lshlrev_b32_e32 v42, 3, v0
	s_movk_i32 s3, 0x68
	v_mad_u32_u24 v36, v0, s3, v42
	s_waitcnt vmcnt(0) lgkmcnt(0)
	ds_write2st64_b64 v42, v[4:5], v[6:7] offset1:4
	ds_write2st64_b64 v42, v[8:9], v[10:11] offset0:8 offset1:12
	ds_write2st64_b64 v42, v[12:13], v[14:15] offset0:16 offset1:20
	;; [unrolled: 1-line block ×6, first 2 shown]
	s_waitcnt lgkmcnt(0)
	s_barrier
	ds_read_b128 v[74:77], v36
	ds_read_b128 v[70:73], v36 offset:16
	ds_read_b128 v[66:69], v36 offset:32
	;; [unrolled: 1-line block ×6, first 2 shown]
	s_cmp_eq_u64 s[62:63], 0
	s_mov_b64 s[48:49], s[58:59]
	s_cbranch_scc1 .LBB913_33
; %bb.30:
	s_andn2_b64 vcc, exec, s[60:61]
	s_cbranch_vccnz .LBB913_235
; %bb.31:
	s_lshl_b64 s[48:49], s[62:63], 3
	s_add_u32 s3, s54, s48
	s_addc_u32 s49, s55, s49
	s_add_u32 s48, s3, -8
	s_addc_u32 s49, s49, -1
	s_cbranch_execnz .LBB913_33
.LBB913_32:
	s_add_u32 s48, s58, -8
	s_addc_u32 s49, s59, -1
.LBB913_33:
	v_mov_b64_e32 v[2:3], s[48:49]
	flat_load_dwordx2 v[4:5], v[2:3]
	s_movk_i32 s3, 0xff98
	v_mad_i32_i24 v2, v0, s3, v36
	v_cmp_ne_u32_e32 vcc, 0, v0
	s_waitcnt lgkmcnt(0)
	ds_write_b64 v2, v[60:61] offset:28672
	s_waitcnt lgkmcnt(0)
	s_barrier
	s_and_saveexec_b64 s[48:49], vcc
	s_cbranch_execz .LBB913_35
; %bb.34:
	v_mul_i32_i24_e32 v2, 0xffffff98, v0
	v_add_u32_e32 v2, v36, v2
	s_waitcnt vmcnt(0)
	ds_read_b64 v[4:5], v2 offset:28664
.LBB913_35:
	s_or_b64 exec, exec, s[48:49]
	s_waitcnt lgkmcnt(0)
	s_barrier
	s_waitcnt lgkmcnt(0)
                                        ; implicit-def: $vgpr2_vgpr3
	s_and_saveexec_b64 s[48:49], s[4:5]
	s_cbranch_execnz .LBB913_222
; %bb.36:
	s_or_b64 exec, exec, s[48:49]
                                        ; implicit-def: $vgpr6_vgpr7
	s_and_saveexec_b64 s[4:5], s[6:7]
	s_cbranch_execnz .LBB913_223
.LBB913_37:
	s_or_b64 exec, exec, s[4:5]
                                        ; implicit-def: $vgpr8_vgpr9
	s_and_saveexec_b64 s[4:5], s[8:9]
	s_cbranch_execnz .LBB913_224
.LBB913_38:
	s_or_b64 exec, exec, s[4:5]
                                        ; implicit-def: $vgpr10_vgpr11
	s_and_saveexec_b64 s[4:5], s[10:11]
	s_cbranch_execnz .LBB913_225
.LBB913_39:
	s_or_b64 exec, exec, s[4:5]
                                        ; implicit-def: $vgpr12_vgpr13
	s_and_saveexec_b64 s[4:5], s[12:13]
	s_cbranch_execnz .LBB913_226
.LBB913_40:
	s_or_b64 exec, exec, s[4:5]
                                        ; implicit-def: $vgpr14_vgpr15
	s_and_saveexec_b64 s[4:5], s[14:15]
	s_cbranch_execnz .LBB913_227
.LBB913_41:
	s_or_b64 exec, exec, s[4:5]
                                        ; implicit-def: $vgpr16_vgpr17
	s_and_saveexec_b64 s[4:5], s[16:17]
	s_cbranch_execnz .LBB913_228
.LBB913_42:
	s_or_b64 exec, exec, s[4:5]
                                        ; implicit-def: $vgpr18_vgpr19
	s_and_saveexec_b64 s[4:5], s[18:19]
	s_cbranch_execnz .LBB913_229
.LBB913_43:
	s_or_b64 exec, exec, s[4:5]
                                        ; implicit-def: $vgpr20_vgpr21
	s_and_saveexec_b64 s[4:5], s[20:21]
	s_cbranch_execnz .LBB913_230
.LBB913_44:
	s_or_b64 exec, exec, s[4:5]
                                        ; implicit-def: $vgpr22_vgpr23
	s_and_saveexec_b64 s[4:5], s[22:23]
	s_cbranch_execnz .LBB913_231
.LBB913_45:
	s_or_b64 exec, exec, s[4:5]
                                        ; implicit-def: $vgpr24_vgpr25
	s_and_saveexec_b64 s[4:5], s[24:25]
	s_cbranch_execnz .LBB913_232
.LBB913_46:
	s_or_b64 exec, exec, s[4:5]
                                        ; implicit-def: $vgpr26_vgpr27
	s_and_saveexec_b64 s[4:5], s[26:27]
	s_cbranch_execnz .LBB913_233
.LBB913_47:
	s_or_b64 exec, exec, s[4:5]
                                        ; implicit-def: $vgpr28_vgpr29
	s_and_saveexec_b64 s[4:5], s[28:29]
	s_cbranch_execnz .LBB913_234
.LBB913_48:
	s_or_b64 exec, exec, s[4:5]
                                        ; implicit-def: $vgpr30_vgpr31
	s_and_saveexec_b64 s[4:5], s[30:31]
	s_cbranch_execz .LBB913_50
.LBB913_49:
	v_lshlrev_b32_e32 v1, 3, v41
	global_load_dwordx2 v[30:31], v1, s[36:37]
	s_waitcnt vmcnt(0)
	v_sub_co_u32_e32 v30, vcc, 0, v30
	s_nop 1
	v_subb_co_u32_e32 v31, vcc, 0, v31, vcc
.LBB913_50:
	s_or_b64 exec, exec, s[4:5]
	v_mul_u32_u24_e32 v37, 14, v0
	v_mov_b64_e32 v[78:79], 0
	ds_write2st64_b64 v42, v[2:3], v[6:7] offset1:4
	ds_write2st64_b64 v42, v[8:9], v[10:11] offset0:8 offset1:12
	ds_write2st64_b64 v42, v[12:13], v[14:15] offset0:16 offset1:20
	;; [unrolled: 1-line block ×6, first 2 shown]
	v_cmp_gt_u32_e32 vcc, s47, v37
	s_mov_b64 s[10:11], 0
	s_mov_b64 s[6:7], 0
	s_mov_b32 s3, 0
	v_mov_b32_e32 v80, 0
	v_mov_b32_e32 v91, 0
	v_mov_b64_e32 v[46:47], v[78:79]
	v_mov_b32_e32 v90, 0
	v_mov_b64_e32 v[34:35], v[78:79]
	;; [unrolled: 2-line block ×12, first 2 shown]
	s_waitcnt lgkmcnt(0)
	s_barrier
	s_waitcnt lgkmcnt(0)
                                        ; implicit-def: $sgpr4_sgpr5
                                        ; implicit-def: $vgpr52_vgpr53
	s_and_saveexec_b64 s[8:9], vcc
	s_cbranch_execz .LBB913_76
; %bb.51:
	ds_read_b64 v[2:3], v36
	s_waitcnt vmcnt(0)
	v_cmp_ne_u64_e32 vcc, v[4:5], v[74:75]
	v_or_b32_e32 v4, 1, v37
	v_mov_b64_e32 v[78:79], 0
	v_cndmask_b32_e64 v1, 0, 1, vcc
	v_cmp_gt_u32_e32 vcc, s47, v4
	s_mov_b64 s[12:13], 0
	s_mov_b64 s[4:5], 0
	v_mov_b32_e32 v80, 0
	v_mov_b32_e32 v91, 0
	v_mov_b64_e32 v[46:47], v[78:79]
	v_mov_b32_e32 v90, 0
	v_mov_b64_e32 v[34:35], v[78:79]
	;; [unrolled: 2-line block ×11, first 2 shown]
                                        ; implicit-def: $sgpr14_sgpr15
                                        ; implicit-def: $vgpr52_vgpr53
	s_and_saveexec_b64 s[10:11], vcc
	s_cbranch_execz .LBB913_75
; %bb.52:
	ds_read2_b64 v[14:17], v36 offset0:1 offset1:2
	v_cmp_ne_u64_e32 vcc, v[74:75], v[76:77]
	v_add_u32_e32 v4, 2, v37
	v_mov_b64_e32 v[78:79], 0
	v_cndmask_b32_e64 v82, 0, 1, vcc
	v_cmp_gt_u32_e32 vcc, s47, v4
	s_mov_b64 s[16:17], 0
	v_mov_b32_e32 v80, 0
	v_mov_b32_e32 v91, 0
	v_mov_b64_e32 v[46:47], v[78:79]
	v_mov_b32_e32 v90, 0
	v_mov_b64_e32 v[34:35], v[78:79]
	;; [unrolled: 2-line block ×10, first 2 shown]
                                        ; implicit-def: $sgpr14_sgpr15
                                        ; implicit-def: $vgpr52_vgpr53
	s_and_saveexec_b64 s[12:13], vcc
	s_cbranch_execz .LBB913_74
; %bb.53:
	v_cmp_ne_u64_e32 vcc, v[76:77], v[70:71]
	v_add_u32_e32 v4, 3, v37
	v_mov_b64_e32 v[78:79], 0
	s_waitcnt lgkmcnt(0)
	v_mov_b32_e32 v6, v16
	v_mov_b32_e32 v7, v17
	v_cndmask_b32_e64 v81, 0, 1, vcc
	v_cmp_gt_u32_e32 vcc, s47, v4
	v_mov_b32_e32 v80, 0
	v_mov_b32_e32 v91, 0
	v_mov_b64_e32 v[46:47], v[78:79]
	v_mov_b32_e32 v90, 0
	v_mov_b64_e32 v[34:35], v[78:79]
	;; [unrolled: 2-line block ×9, first 2 shown]
                                        ; implicit-def: $sgpr18_sgpr19
                                        ; implicit-def: $vgpr52_vgpr53
	s_and_saveexec_b64 s[14:15], vcc
	s_cbranch_execz .LBB913_73
; %bb.54:
	ds_read2_b64 v[22:25], v36 offset0:3 offset1:4
	v_cmp_ne_u64_e32 vcc, v[70:71], v[72:73]
	v_add_u32_e32 v4, 4, v37
	v_mov_b64_e32 v[78:79], 0
	v_cndmask_b32_e64 v83, 0, 1, vcc
	v_cmp_gt_u32_e32 vcc, s47, v4
	s_mov_b64 s[20:21], 0
	v_mov_b32_e32 v80, 0
	v_mov_b32_e32 v91, 0
	v_mov_b64_e32 v[46:47], v[78:79]
	v_mov_b32_e32 v90, 0
	v_mov_b64_e32 v[34:35], v[78:79]
	;; [unrolled: 2-line block ×8, first 2 shown]
                                        ; implicit-def: $sgpr18_sgpr19
                                        ; implicit-def: $vgpr52_vgpr53
	s_and_saveexec_b64 s[16:17], vcc
	s_cbranch_execz .LBB913_72
; %bb.55:
	v_cmp_ne_u64_e32 vcc, v[72:73], v[66:67]
	v_add_u32_e32 v4, 5, v37
	v_mov_b64_e32 v[78:79], 0
	s_waitcnt lgkmcnt(0)
	v_mov_b32_e32 v10, v24
	v_mov_b32_e32 v11, v25
	v_cndmask_b32_e64 v84, 0, 1, vcc
	v_cmp_gt_u32_e32 vcc, s47, v4
	v_mov_b32_e32 v80, 0
	v_mov_b32_e32 v91, 0
	v_mov_b64_e32 v[46:47], v[78:79]
	v_mov_b32_e32 v90, 0
	v_mov_b64_e32 v[34:35], v[78:79]
	;; [unrolled: 2-line block ×7, first 2 shown]
                                        ; implicit-def: $sgpr22_sgpr23
                                        ; implicit-def: $vgpr52_vgpr53
	s_and_saveexec_b64 s[18:19], vcc
	s_cbranch_execz .LBB913_71
; %bb.56:
	ds_read2_b64 v[30:33], v36 offset0:5 offset1:6
	v_cmp_ne_u64_e32 vcc, v[66:67], v[68:69]
	v_add_u32_e32 v4, 6, v37
	v_mov_b64_e32 v[78:79], 0
	v_cndmask_b32_e64 v85, 0, 1, vcc
	v_cmp_gt_u32_e32 vcc, s47, v4
	s_mov_b64 s[24:25], 0
	v_mov_b32_e32 v80, 0
	v_mov_b32_e32 v91, 0
	v_mov_b64_e32 v[46:47], v[78:79]
	v_mov_b32_e32 v90, 0
	v_mov_b64_e32 v[34:35], v[78:79]
	;; [unrolled: 2-line block ×6, first 2 shown]
                                        ; implicit-def: $sgpr22_sgpr23
                                        ; implicit-def: $vgpr52_vgpr53
	s_and_saveexec_b64 s[20:21], vcc
	s_cbranch_execz .LBB913_70
; %bb.57:
	v_cmp_ne_u64_e32 vcc, v[68:69], v[62:63]
	v_add_u32_e32 v4, 7, v37
	v_mov_b64_e32 v[78:79], 0
	s_waitcnt lgkmcnt(0)
	v_mov_b32_e32 v18, v32
	v_mov_b32_e32 v19, v33
	v_cndmask_b32_e64 v86, 0, 1, vcc
	v_cmp_gt_u32_e32 vcc, s47, v4
	v_mov_b32_e32 v80, 0
	v_mov_b32_e32 v91, 0
	v_mov_b64_e32 v[46:47], v[78:79]
	v_mov_b32_e32 v90, 0
	v_mov_b64_e32 v[34:35], v[78:79]
	;; [unrolled: 2-line block ×5, first 2 shown]
                                        ; implicit-def: $sgpr26_sgpr27
                                        ; implicit-def: $vgpr52_vgpr53
	s_and_saveexec_b64 s[22:23], vcc
	s_cbranch_execz .LBB913_69
; %bb.58:
	ds_read2_b64 v[38:41], v36 offset0:7 offset1:8
	v_cmp_ne_u64_e32 vcc, v[62:63], v[64:65]
	v_add_u32_e32 v4, 8, v37
	v_mov_b64_e32 v[78:79], 0
	v_cndmask_b32_e64 v87, 0, 1, vcc
	v_cmp_gt_u32_e32 vcc, s47, v4
	s_mov_b64 s[28:29], 0
	v_mov_b32_e32 v80, 0
	v_mov_b32_e32 v91, 0
	v_mov_b64_e32 v[46:47], v[78:79]
	v_mov_b32_e32 v90, 0
	v_mov_b64_e32 v[34:35], v[78:79]
	v_mov_b32_e32 v89, 0
	v_mov_b64_e32 v[42:43], v[78:79]
	v_mov_b32_e32 v88, 0
	v_mov_b64_e32 v[26:27], v[78:79]
                                        ; implicit-def: $sgpr26_sgpr27
                                        ; implicit-def: $vgpr52_vgpr53
	s_and_saveexec_b64 s[24:25], vcc
	s_cbranch_execz .LBB913_68
; %bb.59:
	v_cmp_ne_u64_e32 vcc, v[64:65], v[48:49]
	v_add_u32_e32 v4, 9, v37
	v_mov_b64_e32 v[78:79], 0
	s_waitcnt lgkmcnt(0)
	v_mov_b32_e32 v26, v40
	v_mov_b32_e32 v27, v41
	v_cndmask_b32_e64 v88, 0, 1, vcc
	v_cmp_gt_u32_e32 vcc, s47, v4
	v_mov_b32_e32 v80, 0
	v_mov_b32_e32 v91, 0
	v_mov_b64_e32 v[46:47], v[78:79]
	v_mov_b32_e32 v90, 0
	v_mov_b64_e32 v[34:35], v[78:79]
	;; [unrolled: 2-line block ×3, first 2 shown]
                                        ; implicit-def: $sgpr30_sgpr31
                                        ; implicit-def: $vgpr52_vgpr53
	s_and_saveexec_b64 s[26:27], vcc
	s_cbranch_execz .LBB913_67
; %bb.60:
	ds_read2_b64 v[42:45], v36 offset0:9 offset1:10
	v_cmp_ne_u64_e32 vcc, v[48:49], v[50:51]
	v_add_u32_e32 v4, 10, v37
	v_mov_b64_e32 v[78:79], 0
	v_cndmask_b32_e64 v89, 0, 1, vcc
	v_cmp_gt_u32_e32 vcc, s47, v4
	s_mov_b64 s[48:49], 0
	v_mov_b32_e32 v80, 0
	v_mov_b32_e32 v91, 0
	v_mov_b64_e32 v[46:47], v[78:79]
	v_mov_b32_e32 v90, 0
	v_mov_b64_e32 v[34:35], v[78:79]
                                        ; implicit-def: $sgpr30_sgpr31
                                        ; implicit-def: $vgpr52_vgpr53
	s_and_saveexec_b64 s[28:29], vcc
	s_cbranch_execz .LBB913_66
; %bb.61:
	v_cmp_ne_u64_e32 vcc, v[50:51], v[54:55]
	v_add_u32_e32 v4, 11, v37
	v_mov_b64_e32 v[78:79], 0
	s_waitcnt lgkmcnt(0)
	v_mov_b32_e32 v34, v44
	v_mov_b32_e32 v35, v45
	v_cndmask_b32_e64 v90, 0, 1, vcc
	v_cmp_gt_u32_e32 vcc, s47, v4
	v_mov_b32_e32 v80, 0
	v_mov_b32_e32 v91, 0
	v_mov_b64_e32 v[46:47], v[78:79]
                                        ; implicit-def: $sgpr64_sgpr65
                                        ; implicit-def: $vgpr52_vgpr53
	s_and_saveexec_b64 s[30:31], vcc
	s_cbranch_execz .LBB913_65
; %bb.62:
	ds_read2_b64 v[46:49], v36 offset0:11 offset1:12
	v_cmp_ne_u64_e32 vcc, v[54:55], v[56:57]
	v_add_u32_e32 v4, 12, v37
	v_mov_b32_e32 v80, 0
	v_cndmask_b32_e64 v91, 0, 1, vcc
	v_cmp_gt_u32_e32 vcc, s47, v4
	v_mov_b64_e32 v[78:79], 0
                                        ; implicit-def: $sgpr48_sgpr49
                                        ; implicit-def: $vgpr52_vgpr53
	s_and_saveexec_b64 s[64:65], vcc
	s_xor_b64 s[64:65], exec, s[64:65]
	s_cbranch_execz .LBB913_64
; %bb.63:
	ds_read_b64 v[52:53], v36 offset:104
	v_cmp_ne_u64_e64 s[4:5], v[56:57], v[58:59]
	v_add_u32_e32 v4, 13, v37
	v_cmp_ne_u64_e32 vcc, v[58:59], v[60:61]
	v_cndmask_b32_e64 v80, 0, 1, s[4:5]
	v_cmp_gt_u32_e64 s[4:5], s47, v4
	s_and_b64 s[48:49], vcc, exec
	s_and_b64 s[4:5], s[4:5], exec
	s_waitcnt lgkmcnt(1)
	v_mov_b64_e32 v[50:51], v[48:49]
	v_mov_b64_e32 v[78:79], v[48:49]
.LBB913_64:
	s_or_b64 exec, exec, s[64:65]
	s_and_b64 s[64:65], s[48:49], exec
	s_and_b64 s[48:49], s[4:5], exec
.LBB913_65:
	s_or_b64 exec, exec, s[30:31]
	s_and_b64 s[30:31], s[64:65], exec
	s_and_b64 s[4:5], s[48:49], exec
	s_waitcnt lgkmcnt(0)
	v_mov_b64_e32 v[36:37], v[46:47]
	v_mov_b64_e32 v[28:29], v[42:43]
	;; [unrolled: 1-line block ×6, first 2 shown]
.LBB913_66:
	s_or_b64 exec, exec, s[28:29]
	s_and_b64 s[30:31], s[30:31], exec
	s_and_b64 s[28:29], s[4:5], exec
.LBB913_67:
	s_or_b64 exec, exec, s[26:27]
	s_and_b64 s[26:27], s[30:31], exec
	s_and_b64 s[4:5], s[28:29], exec
.LBB913_68:
	s_or_b64 exec, exec, s[24:25]
	s_and_b64 s[26:27], s[26:27], exec
	s_and_b64 s[24:25], s[4:5], exec
.LBB913_69:
	s_or_b64 exec, exec, s[22:23]
	s_and_b64 s[22:23], s[26:27], exec
	s_and_b64 s[4:5], s[24:25], exec
.LBB913_70:
	s_or_b64 exec, exec, s[20:21]
	s_and_b64 s[22:23], s[22:23], exec
	s_and_b64 s[20:21], s[4:5], exec
.LBB913_71:
	s_or_b64 exec, exec, s[18:19]
	s_and_b64 s[18:19], s[22:23], exec
	s_and_b64 s[4:5], s[20:21], exec
.LBB913_72:
	s_or_b64 exec, exec, s[16:17]
	s_and_b64 s[18:19], s[18:19], exec
	s_and_b64 s[16:17], s[4:5], exec
.LBB913_73:
	s_or_b64 exec, exec, s[14:15]
	s_and_b64 s[14:15], s[18:19], exec
	s_and_b64 s[4:5], s[16:17], exec
.LBB913_74:
	s_or_b64 exec, exec, s[12:13]
	s_and_b64 s[14:15], s[14:15], exec
	s_and_b64 s[12:13], s[4:5], exec
.LBB913_75:
	s_or_b64 exec, exec, s[10:11]
	s_and_b64 s[4:5], s[14:15], exec
	s_and_b64 s[10:11], s[12:13], exec
.LBB913_76:
	s_or_b64 exec, exec, s[8:9]
	s_mov_b64 s[8:9], 0
	s_and_b64 vcc, exec, s[6:7]
	s_waitcnt lgkmcnt(0)
	v_lshlrev_b32_e32 v32, 3, v0
	s_cbranch_vccnz .LBB913_78
	s_branch .LBB913_86
.LBB913_77:
                                        ; implicit-def: $sgpr4_sgpr5
                                        ; implicit-def: $vgpr52_vgpr53
                                        ; implicit-def: $vgpr80
                                        ; implicit-def: $vgpr91
                                        ; implicit-def: $vgpr36_vgpr37
                                        ; implicit-def: $vgpr90
                                        ; implicit-def: $vgpr89
                                        ; implicit-def: $vgpr28_vgpr29
                                        ; implicit-def: $vgpr88
                                        ; implicit-def: $vgpr87
                                        ; implicit-def: $vgpr20_vgpr21
                                        ; implicit-def: $vgpr86
                                        ; implicit-def: $vgpr85
                                        ; implicit-def: $vgpr12_vgpr13
                                        ; implicit-def: $vgpr84
                                        ; implicit-def: $vgpr83
                                        ; implicit-def: $vgpr8_vgpr9
                                        ; implicit-def: $vgpr81
                                        ; implicit-def: $vgpr82
                                        ; implicit-def: $vgpr4_vgpr5
                                        ; implicit-def: $vgpr1
                                        ; implicit-def: $sgpr3
                                        ; implicit-def: $sgpr8_sgpr9
                                        ; implicit-def: $vgpr78_vgpr79
                                        ; implicit-def: $vgpr46_vgpr47
                                        ; implicit-def: $vgpr42_vgpr43
                                        ; implicit-def: $vgpr38_vgpr39
                                        ; implicit-def: $vgpr30_vgpr31
                                        ; implicit-def: $vgpr22_vgpr23
                                        ; implicit-def: $vgpr14_vgpr15
	s_and_b64 vcc, exec, s[6:7]
	v_lshlrev_b32_e32 v32, 3, v0
	s_cbranch_vccz .LBB913_86
.LBB913_78:
	v_mov_b32_e32 v33, 0
	v_lshl_add_u64 v[2:3], s[58:59], 0, v[32:33]
	s_waitcnt vmcnt(0)
	v_add_co_u32_e32 v4, vcc, 0x1000, v2
	s_movk_i32 s3, 0x68
	s_nop 0
	v_addc_co_u32_e32 v5, vcc, 0, v3, vcc
	flat_load_dwordx2 v[6:7], v[2:3]
	flat_load_dwordx2 v[8:9], v[2:3] offset:2048
	flat_load_dwordx2 v[10:11], v[4:5]
	flat_load_dwordx2 v[12:13], v[4:5] offset:2048
	v_add_co_u32_e32 v4, vcc, 0x2000, v2
	v_mad_u32_u24 v1, v0, s3, v32
	s_nop 0
	v_addc_co_u32_e32 v5, vcc, 0, v3, vcc
	v_add_co_u32_e32 v14, vcc, 0x3000, v2
	s_cmp_eq_u64 s[62:63], 0
	s_nop 0
	v_addc_co_u32_e32 v15, vcc, 0, v3, vcc
	flat_load_dwordx2 v[16:17], v[4:5]
	flat_load_dwordx2 v[18:19], v[4:5] offset:2048
	flat_load_dwordx2 v[20:21], v[14:15]
	flat_load_dwordx2 v[22:23], v[14:15] offset:2048
	v_add_co_u32_e32 v4, vcc, 0x4000, v2
	s_nop 1
	v_addc_co_u32_e32 v5, vcc, 0, v3, vcc
	v_add_co_u32_e32 v14, vcc, 0x5000, v2
	s_nop 1
	v_addc_co_u32_e32 v15, vcc, 0, v3, vcc
	v_add_co_u32_e32 v2, vcc, 0x6000, v2
	flat_load_dwordx2 v[24:25], v[4:5]
	flat_load_dwordx2 v[26:27], v[4:5] offset:2048
	flat_load_dwordx2 v[28:29], v[14:15]
	flat_load_dwordx2 v[30:31], v[14:15] offset:2048
	v_addc_co_u32_e32 v3, vcc, 0, v3, vcc
	flat_load_dwordx2 v[4:5], v[2:3]
	flat_load_dwordx2 v[14:15], v[2:3] offset:2048
	s_waitcnt vmcnt(0) lgkmcnt(0)
	ds_write2st64_b64 v32, v[6:7], v[8:9] offset1:4
	ds_write2st64_b64 v32, v[10:11], v[12:13] offset0:8 offset1:12
	ds_write2st64_b64 v32, v[16:17], v[18:19] offset0:16 offset1:20
	;; [unrolled: 1-line block ×6, first 2 shown]
	s_waitcnt lgkmcnt(0)
	s_barrier
	ds_read_b128 v[14:17], v1
	ds_read_b128 v[2:5], v1 offset:16
	ds_read_b128 v[6:9], v1 offset:32
	ds_read_b128 v[10:13], v1 offset:48
	ds_read_b128 v[18:21], v1 offset:64
	ds_read_b128 v[22:25], v1 offset:80
	ds_read_b128 v[26:29], v1 offset:96
	s_cbranch_scc1 .LBB913_83
; %bb.79:
	s_andn2_b64 vcc, exec, s[60:61]
	s_cbranch_vccnz .LBB913_236
; %bb.80:
	s_lshl_b64 s[4:5], s[62:63], 3
	s_add_u32 s3, s54, s4
	s_addc_u32 s5, s55, s5
	s_add_u32 s4, s3, -8
	s_addc_u32 s5, s5, -1
	s_cbranch_execnz .LBB913_82
.LBB913_81:
	s_add_u32 s4, s58, -8
	s_addc_u32 s5, s59, -1
.LBB913_82:
	s_mov_b64 s[58:59], s[4:5]
.LBB913_83:
	v_mov_b64_e32 v[30:31], s[58:59]
	flat_load_dwordx2 v[30:31], v[30:31]
	s_movk_i32 s3, 0xff98
	v_mad_i32_i24 v33, v0, s3, v1
	v_cmp_ne_u32_e32 vcc, 0, v0
	s_waitcnt lgkmcnt(0)
	ds_write_b64 v33, v[28:29] offset:28672
	s_waitcnt lgkmcnt(0)
	s_barrier
	s_and_saveexec_b64 s[4:5], vcc
	s_cbranch_execz .LBB913_85
; %bb.84:
	s_waitcnt vmcnt(0)
	v_mul_i32_i24_e32 v30, 0xffffff98, v0
	v_add_u32_e32 v30, v1, v30
	ds_read_b64 v[30:31], v30 offset:28664
.LBB913_85:
	s_or_b64 exec, exec, s[4:5]
	v_mov_b32_e32 v33, 0
	s_waitcnt lgkmcnt(0)
	s_barrier
	v_lshl_add_u64 v[34:35], s[36:37], 0, v[32:33]
	global_load_dwordx2 v[36:37], v32, s[36:37]
	global_load_dwordx2 v[38:39], v32, s[36:37] offset:2048
	s_movk_i32 s4, 0x2000
	v_add_co_u32_e32 v40, vcc, s4, v34
	s_movk_i32 s3, 0x1000
	s_nop 0
	v_addc_co_u32_e32 v41, vcc, 0, v35, vcc
	global_load_dwordx2 v[42:43], v[40:41], off offset:-4096
	v_add_co_u32_e32 v44, vcc, s3, v34
	s_movk_i32 s4, 0x4000
	s_nop 0
	v_addc_co_u32_e32 v45, vcc, 0, v35, vcc
	global_load_dwordx2 v[46:47], v[44:45], off offset:2048
	global_load_dwordx2 v[48:49], v[40:41], off
	global_load_dwordx2 v[50:51], v[40:41], off offset:2048
	v_add_co_u32_e32 v40, vcc, s4, v34
	s_movk_i32 s3, 0x3000
	s_nop 0
	v_addc_co_u32_e32 v41, vcc, 0, v35, vcc
	global_load_dwordx2 v[44:45], v[40:41], off offset:-4096
	v_add_co_u32_e32 v52, vcc, s3, v34
	s_movk_i32 s4, 0x6000
	s_nop 0
	v_addc_co_u32_e32 v53, vcc, 0, v35, vcc
	global_load_dwordx2 v[54:55], v[52:53], off offset:2048
	global_load_dwordx2 v[56:57], v[40:41], off
	global_load_dwordx2 v[58:59], v[40:41], off offset:2048
	v_add_co_u32_e32 v40, vcc, s4, v34
	s_movk_i32 s3, 0x5000
	s_nop 0
	v_addc_co_u32_e32 v41, vcc, 0, v35, vcc
	global_load_dwordx2 v[52:53], v[40:41], off offset:-4096
	v_add_co_u32_e32 v34, vcc, s3, v34
	v_cmp_ne_u64_e64 s[4:5], v[26:27], v[28:29]
	s_nop 0
	v_addc_co_u32_e32 v35, vcc, 0, v35, vcc
	global_load_dwordx2 v[60:61], v[34:35], off offset:2048
	global_load_dwordx2 v[62:63], v[40:41], off
	global_load_dwordx2 v[64:65], v[40:41], off offset:2048
	v_cmp_ne_u64_e32 vcc, v[24:25], v[26:27]
	s_mov_b64 s[10:11], -1
                                        ; implicit-def: $sgpr3
                                        ; implicit-def: $sgpr8_sgpr9
                                        ; implicit-def: $vgpr78_vgpr79
	s_nop 0
	v_cndmask_b32_e64 v80, 0, 1, vcc
	v_cmp_ne_u64_e32 vcc, v[22:23], v[24:25]
	s_nop 1
	v_cndmask_b32_e64 v91, 0, 1, vcc
	v_cmp_ne_u64_e32 vcc, v[20:21], v[22:23]
	;; [unrolled: 3-line block ×10, first 2 shown]
	s_nop 1
	v_cndmask_b32_e64 v81, 0, 1, vcc
	s_waitcnt vmcnt(0)
	v_sub_co_u32_e32 v2, vcc, 0, v36
	s_nop 1
	v_subb_co_u32_e32 v3, vcc, 0, v37, vcc
	v_sub_co_u32_e32 v4, vcc, 0, v38
	s_nop 1
	v_subb_co_u32_e32 v5, vcc, 0, v39, vcc
	v_sub_co_u32_e32 v6, vcc, 0, v42
                                        ; implicit-def: $vgpr38_vgpr39
	s_nop 1
	v_subb_co_u32_e32 v7, vcc, 0, v43, vcc
	v_sub_co_u32_e32 v8, vcc, 0, v46
                                        ; implicit-def: $vgpr42_vgpr43
	s_nop 1
	v_subb_co_u32_e32 v9, vcc, 0, v47, vcc
	v_sub_co_u32_e32 v10, vcc, 0, v48
                                        ; implicit-def: $vgpr46_vgpr47
	s_nop 1
	v_subb_co_u32_e32 v11, vcc, 0, v49, vcc
	v_sub_co_u32_e32 v12, vcc, 0, v50
	s_nop 1
	v_subb_co_u32_e32 v13, vcc, 0, v51, vcc
	v_sub_co_u32_e32 v18, vcc, 0, v44
	;; [unrolled: 3-line block ×9, first 2 shown]
	s_nop 1
	v_subb_co_u32_e32 v37, vcc, 0, v65, vcc
	ds_write2st64_b64 v32, v[2:3], v[4:5] offset1:4
	ds_write2st64_b64 v32, v[6:7], v[8:9] offset0:8 offset1:12
	ds_write2st64_b64 v32, v[10:11], v[12:13] offset0:16 offset1:20
	;; [unrolled: 1-line block ×6, first 2 shown]
	s_waitcnt lgkmcnt(0)
	s_barrier
	ds_read_b128 v[2:5], v1
	ds_read_b128 v[6:9], v1 offset:16
	ds_read_b128 v[10:13], v1 offset:32
	;; [unrolled: 1-line block ×6, first 2 shown]
	v_cmp_ne_u64_e32 vcc, v[14:15], v[16:17]
                                        ; implicit-def: $vgpr22_vgpr23
	s_nop 1
	v_cndmask_b32_e64 v82, 0, 1, vcc
	v_cmp_ne_u64_e32 vcc, v[30:31], v[14:15]
                                        ; implicit-def: $vgpr30_vgpr31
                                        ; implicit-def: $vgpr14_vgpr15
	s_nop 1
	v_cndmask_b32_e64 v1, 0, 1, vcc
.LBB913_86:
	v_mov_b64_e32 v[16:17], s[8:9]
	v_mov_b32_e32 v33, s3
	s_and_saveexec_b64 s[6:7], s[10:11]
	s_cbranch_execz .LBB913_88
; %bb.87:
	v_cndmask_b32_e64 v33, 0, 1, s[4:5]
	s_waitcnt vmcnt(0) lgkmcnt(0)
	v_mov_b64_e32 v[14:15], v[4:5]
	v_mov_b64_e32 v[22:23], v[8:9]
	;; [unrolled: 1-line block ×8, first 2 shown]
.LBB913_88:
	s_or_b64 exec, exec, s[6:7]
	s_waitcnt vmcnt(0) lgkmcnt(0)
	v_or_b32_e32 v4, v33, v80
	s_cmp_lg_u32 s2, 0
	v_or_b32_e32 v29, v4, v91
	v_mbcnt_lo_u32_b32 v28, -1, 0
	s_barrier
	s_cbranch_scc0 .LBB913_159
; %bb.89:
	v_mov_b32_e32 v8, 0
	v_cmp_eq_u16_sdwa s[4:5], v82, v8 src0_sel:BYTE_0 src1_sel:DWORD
	v_cmp_eq_u16_sdwa s[6:7], v81, v8 src0_sel:BYTE_0 src1_sel:DWORD
	v_cmp_eq_u16_sdwa s[8:9], v83, v8 src0_sel:BYTE_0 src1_sel:DWORD
	v_cndmask_b32_e64 v5, 0, v3, s[4:5]
	v_cndmask_b32_e64 v4, 0, v2, s[4:5]
	v_lshl_add_u64 v[4:5], v[4:5], 0, v[14:15]
	v_cndmask_b32_e64 v5, 0, v5, s[6:7]
	v_cndmask_b32_e64 v4, 0, v4, s[6:7]
	v_lshl_add_u64 v[4:5], v[4:5], 0, v[6:7]
	v_cndmask_b32_e64 v5, 0, v5, s[8:9]
	v_cndmask_b32_e64 v4, 0, v4, s[8:9]
	v_lshl_add_u64 v[4:5], v[4:5], 0, v[22:23]
	v_cmp_eq_u16_sdwa s[10:11], v84, v8 src0_sel:BYTE_0 src1_sel:DWORD
	v_cmp_eq_u16_sdwa s[12:13], v85, v8 src0_sel:BYTE_0 src1_sel:DWORD
	v_cmp_eq_u16_sdwa s[14:15], v86, v8 src0_sel:BYTE_0 src1_sel:DWORD
	v_cndmask_b32_e64 v5, 0, v5, s[10:11]
	v_cndmask_b32_e64 v4, 0, v4, s[10:11]
	v_lshl_add_u64 v[4:5], v[4:5], 0, v[10:11]
	v_cndmask_b32_e64 v5, 0, v5, s[12:13]
	v_cndmask_b32_e64 v4, 0, v4, s[12:13]
	v_lshl_add_u64 v[4:5], v[4:5], 0, v[30:31]
	v_cndmask_b32_e64 v5, 0, v5, s[14:15]
	v_cndmask_b32_e64 v4, 0, v4, s[14:15]
	v_lshl_add_u64 v[4:5], v[4:5], 0, v[18:19]
	;; [unrolled: 12-line block ×4, first 2 shown]
	v_cmp_eq_u16_sdwa s[28:29], v33, v8 src0_sel:BYTE_0 src1_sel:DWORD
	v_and_b32_e32 v12, 0xff, v1
	v_mbcnt_hi_u32_b32 v44, -1, v28
	v_cndmask_b32_e64 v5, 0, v5, s[28:29]
	v_cndmask_b32_e64 v4, 0, v4, s[28:29]
	v_lshl_add_u64 v[8:9], v[4:5], 0, v[16:17]
	v_or_b32_e32 v4, v29, v90
	v_or_b32_e32 v4, v4, v89
	;; [unrolled: 1-line block ×10, first 2 shown]
	v_and_b32_e32 v4, 1, v4
	v_cmp_eq_u32_e32 vcc, 1, v4
	v_and_b32_e32 v4, 15, v44
	v_mov_b32_dpp v13, v8 row_shr:1 row_mask:0xf bank_mask:0xf
	v_cndmask_b32_e64 v12, v12, 1, vcc
	v_mov_b32_dpp v20, v9 row_shr:1 row_mask:0xf bank_mask:0xf
	v_cmp_ne_u32_e32 vcc, 0, v4
	v_mov_b32_dpp v5, v12 row_shr:1 row_mask:0xf bank_mask:0xf
	s_and_saveexec_b64 s[30:31], vcc
; %bb.90:
	v_cmp_eq_u32_e32 vcc, 0, v12
	v_and_or_b32 v12, v5, 1, v12
	s_nop 0
	v_cndmask_b32_e32 v21, 0, v20, vcc
	v_cndmask_b32_e32 v20, 0, v13, vcc
	v_lshl_add_u64 v[8:9], v[20:21], 0, v[8:9]
; %bb.91:
	s_or_b64 exec, exec, s[30:31]
	s_nop 0
	v_mov_b32_dpp v13, v8 row_shr:2 row_mask:0xf bank_mask:0xf
	v_mov_b32_dpp v20, v9 row_shr:2 row_mask:0xf bank_mask:0xf
	v_mov_b32_dpp v5, v12 row_shr:2 row_mask:0xf bank_mask:0xf
	v_cmp_lt_u32_e32 vcc, 1, v4
	s_and_saveexec_b64 s[30:31], vcc
; %bb.92:
	v_cmp_eq_u32_e32 vcc, 0, v12
	v_or_b32_e32 v5, v5, v12
	v_and_b32_e32 v12, 1, v5
	v_cndmask_b32_e32 v21, 0, v20, vcc
	v_cndmask_b32_e32 v20, 0, v13, vcc
	v_lshl_add_u64 v[8:9], v[20:21], 0, v[8:9]
; %bb.93:
	s_or_b64 exec, exec, s[30:31]
	s_nop 0
	v_mov_b32_dpp v13, v8 row_shr:4 row_mask:0xf bank_mask:0xf
	v_mov_b32_dpp v20, v9 row_shr:4 row_mask:0xf bank_mask:0xf
	v_mov_b32_dpp v5, v12 row_shr:4 row_mask:0xf bank_mask:0xf
	v_cmp_lt_u32_e32 vcc, 3, v4
	s_and_saveexec_b64 s[30:31], vcc
; %bb.94:
	v_cmp_eq_u32_e32 vcc, 0, v12
	v_or_b32_e32 v5, v5, v12
	v_and_b32_e32 v12, 1, v5
	;; [unrolled: 15-line block ×3, first 2 shown]
	v_cndmask_b32_e32 v21, 0, v20, vcc
	v_cndmask_b32_e32 v20, 0, v13, vcc
	v_lshl_add_u64 v[8:9], v[20:21], 0, v[8:9]
; %bb.97:
	s_or_b64 exec, exec, s[30:31]
	v_and_b32_e32 v20, 16, v44
	v_mov_b32_dpp v5, v8 row_bcast:15 row_mask:0xf bank_mask:0xf
	v_mov_b32_dpp v13, v9 row_bcast:15 row_mask:0xf bank_mask:0xf
	;; [unrolled: 1-line block ×3, first 2 shown]
	v_cmp_ne_u32_e32 vcc, 0, v20
	s_and_saveexec_b64 s[30:31], vcc
; %bb.98:
	v_cmp_eq_u32_e32 vcc, 0, v12
	v_or_b32_e32 v4, v4, v12
	v_and_b32_e32 v12, 1, v4
	v_cndmask_b32_e32 v21, 0, v13, vcc
	v_cndmask_b32_e32 v20, 0, v5, vcc
	v_lshl_add_u64 v[8:9], v[20:21], 0, v[8:9]
; %bb.99:
	s_or_b64 exec, exec, s[30:31]
	s_nop 0
	v_mov_b32_dpp v13, v8 row_bcast:31 row_mask:0xf bank_mask:0xf
	v_mov_b32_dpp v20, v9 row_bcast:31 row_mask:0xf bank_mask:0xf
	;; [unrolled: 1-line block ×3, first 2 shown]
	v_cmp_lt_u32_e32 vcc, 31, v44
	v_mov_b32_e32 v4, v12
	s_and_saveexec_b64 s[30:31], vcc
; %bb.100:
	v_cmp_eq_u32_e32 vcc, 0, v12
	v_or_b32_e32 v5, v5, v12
	v_and_b32_e32 v4, 1, v5
	v_cndmask_b32_e32 v21, 0, v20, vcc
	v_cndmask_b32_e32 v20, 0, v13, vcc
	v_lshl_add_u64 v[8:9], v[20:21], 0, v[8:9]
	v_and_b32_e32 v12, 1, v5
; %bb.101:
	s_or_b64 exec, exec, s[30:31]
	v_or_b32_e32 v5, 63, v0
	v_lshrrev_b32_e32 v13, 6, v0
	v_cmp_eq_u32_e32 vcc, v5, v0
	s_and_saveexec_b64 s[30:31], vcc
	s_cbranch_execz .LBB913_103
; %bb.102:
	v_lshlrev_b32_e32 v5, 4, v13
	ds_write_b64 v5, v[8:9]
	ds_write_b8 v5, v4 offset:8
.LBB913_103:
	s_or_b64 exec, exec, s[30:31]
	v_cmp_gt_u32_e32 vcc, 4, v0
	s_waitcnt lgkmcnt(0)
	s_barrier
	s_and_saveexec_b64 s[36:37], vcc
	s_cbranch_execz .LBB913_109
; %bb.104:
	v_lshlrev_b32_e32 v20, 4, v0
	ds_read_b64 v[4:5], v20
	ds_read_b32 v21, v20 offset:8
	v_and_b32_e32 v24, 3, v44
	v_cmp_ne_u32_e32 vcc, 0, v24
	s_waitcnt lgkmcnt(1)
	v_mov_b32_dpp v40, v4 row_shr:1 row_mask:0xf bank_mask:0xf
	v_mov_b32_dpp v41, v5 row_shr:1 row_mask:0xf bank_mask:0xf
	s_waitcnt lgkmcnt(0)
	v_mov_b32_dpp v37, v21 row_shr:1 row_mask:0xf bank_mask:0xf
	v_mov_b32_e32 v25, v21
	v_mov_b32_e32 v36, v21
	s_and_saveexec_b64 s[30:31], vcc
; %bb.105:
	v_mov_b32_e32 v25, 0
	v_cmp_eq_u16_sdwa vcc, v21, v25 src0_sel:BYTE_0 src1_sel:DWORD
	v_or_b32_e32 v36, v37, v21
	v_and_b32_e32 v25, 1, v36
	v_cndmask_b32_e32 v41, 0, v41, vcc
	v_cndmask_b32_e32 v40, 0, v40, vcc
	v_and_b32_e32 v36, 1, v36
	s_movk_i32 s3, 0xff00
	v_lshl_add_u64 v[4:5], v[40:41], 0, v[4:5]
	v_and_or_b32 v21, v21, s3, v36
; %bb.106:
	s_or_b64 exec, exec, s[30:31]
	v_mov_b32_dpp v37, v4 row_shr:2 row_mask:0xf bank_mask:0xf
	v_mov_b32_dpp v40, v5 row_shr:2 row_mask:0xf bank_mask:0xf
	;; [unrolled: 1-line block ×3, first 2 shown]
	v_cmp_lt_u32_e32 vcc, 1, v24
	s_and_saveexec_b64 s[48:49], vcc
; %bb.107:
	v_mov_b32_e32 v24, 0
	v_cmp_eq_u16_sdwa vcc, v36, v24 src0_sel:BYTE_0 src1_sel:DWORD
	v_and_b32_e32 v21, 1, v21
	v_cmp_eq_u32_e64 s[30:31], 1, v21
	v_cndmask_b32_e32 v25, 0, v40, vcc
	v_cndmask_b32_e32 v24, 0, v37, vcc
	v_lshl_add_u64 v[4:5], v[24:25], 0, v[4:5]
	v_and_b32_e32 v24, 1, v36
	v_cmp_eq_u32_e32 vcc, 1, v24
	s_or_b64 s[30:31], vcc, s[30:31]
	v_cndmask_b32_e64 v25, 0, 1, s[30:31]
; %bb.108:
	s_or_b64 exec, exec, s[48:49]
	ds_write_b64 v20, v[4:5]
	ds_write_b8 v20, v25 offset:8
.LBB913_109:
	s_or_b64 exec, exec, s[36:37]
	v_cmp_gt_u32_e32 vcc, 64, v0
	v_cmp_lt_u32_e64 s[30:31], 63, v0
	v_mov_b32_e32 v36, 0
	v_mov_b64_e32 v[4:5], 0
	s_waitcnt lgkmcnt(0)
	s_barrier
	s_and_saveexec_b64 s[36:37], s[30:31]
	s_cbranch_execz .LBB913_111
; %bb.110:
	v_lshl_add_u32 v13, v13, 4, -16
	ds_read_b64 v[4:5], v13
	ds_read_u8 v36, v13 offset:8
	v_and_b32_e32 v20, 1, v12
	v_cmp_eq_u32_e64 s[30:31], 0, v12
	s_waitcnt lgkmcnt(1)
	s_nop 0
	v_cndmask_b32_e64 v13, 0, v5, s[30:31]
	v_cndmask_b32_e64 v12, 0, v4, s[30:31]
	v_cmp_eq_u32_e64 s[30:31], 1, v20
	v_lshl_add_u64 v[8:9], v[12:13], 0, v[8:9]
	s_waitcnt lgkmcnt(0)
	v_cndmask_b32_e64 v12, v36, 1, s[30:31]
.LBB913_111:
	s_or_b64 exec, exec, s[36:37]
	v_add_u32_e32 v13, -1, v44
	v_and_b32_e32 v20, 64, v44
	v_cmp_lt_i32_e64 s[30:31], v13, v20
	s_nop 1
	v_cndmask_b32_e64 v13, v13, v44, s[30:31]
	v_lshlrev_b32_e32 v13, 2, v13
	ds_bpermute_b32 v37, v13, v8
	ds_bpermute_b32 v40, v13, v9
	;; [unrolled: 1-line block ×3, first 2 shown]
	v_cmp_eq_u32_e64 s[30:31], 0, v44
	s_and_saveexec_b64 s[48:49], vcc
	s_cbranch_execz .LBB913_158
; %bb.112:
	v_mov_b32_e32 v13, 0
	ds_read2_b64 v[48:51], v13 offset0:6 offset1:7
	s_and_saveexec_b64 s[36:37], s[30:31]
	s_cbranch_execz .LBB913_114
; %bb.113:
	s_add_i32 s54, s2, 64
	s_mov_b32 s55, 0
	s_lshl_b64 s[58:59], s[54:55], 4
	s_add_u32 s58, s40, s58
	s_addc_u32 s59, s41, s59
	v_mov_b32_e32 v8, s54
	v_mov_b32_e32 v9, 1
	s_waitcnt lgkmcnt(0)
	global_store_dword v13, v48, s[58:59] sc1
	global_store_dword v13, v49, s[58:59] offset:4 sc1
	global_store_dword v13, v50, s[58:59] offset:8 sc1
	;; [unrolled: 1-line block ×3, first 2 shown]
	s_waitcnt vmcnt(0)
	global_store_byte v8, v9, s[44:45] sc1
.LBB913_114:
	s_or_b64 exec, exec, s[36:37]
	v_xad_u32 v8, v44, -1, s2
	v_add_u32_e32 v12, 64, v8
	global_load_ubyte v45, v12, s[44:45] sc1
	s_waitcnt vmcnt(0)
	v_cmp_eq_u16_e32 vcc, 0, v45
	s_and_saveexec_b64 s[36:37], vcc
	s_cbranch_execz .LBB913_120
; %bb.115:
	v_lshl_add_u64 v[20:21], s[44:45], 0, v[12:13]
	s_mov_b32 s3, 1
	s_mov_b64 s[54:55], 0
.LBB913_116:                            ; =>This Loop Header: Depth=1
                                        ;     Child Loop BB913_117 Depth 2
	s_max_u32 s47, s3, 1
.LBB913_117:                            ;   Parent Loop BB913_116 Depth=1
                                        ; =>  This Inner Loop Header: Depth=2
	s_add_i32 s47, s47, -1
	s_cmp_eq_u32 s47, 0
	s_sleep 1
	s_cbranch_scc0 .LBB913_117
; %bb.118:                              ;   in Loop: Header=BB913_116 Depth=1
	global_load_ubyte v45, v[20:21], off sc1
	s_cmp_lt_u32 s3, 32
	s_cselect_b64 s[58:59], -1, 0
	s_cmp_lg_u64 s[58:59], 0
	s_addc_u32 s3, s3, 0
	s_waitcnt vmcnt(0)
	v_cmp_ne_u16_e32 vcc, 0, v45
	s_or_b64 s[54:55], vcc, s[54:55]
	s_andn2_b64 exec, exec, s[54:55]
	s_cbranch_execnz .LBB913_116
; %bb.119:
	s_or_b64 exec, exec, s[54:55]
.LBB913_120:
	s_or_b64 exec, exec, s[36:37]
	v_mov_b32_e32 v9, s43
	v_mov_b32_e32 v20, s41
	v_cmp_eq_u16_e32 vcc, 1, v45
	s_waitcnt vmcnt(0) lgkmcnt(0)
	s_nop 0
	v_cndmask_b32_e32 v21, v9, v20, vcc
	v_mov_b32_e32 v9, s42
	v_mov_b32_e32 v20, s40
	v_cndmask_b32_e32 v20, v9, v20, vcc
	v_lshl_add_u64 v[12:13], v[12:13], 4, v[20:21]
	global_load_dword v24, v[12:13], off sc1
	global_load_dword v25, v[12:13], off offset:4 sc1
	global_load_dword v64, v[12:13], off offset:8 sc1
	;; [unrolled: 1-line block ×3, first 2 shown]
	v_cmp_eq_u16_e32 vcc, 2, v45
	v_lshlrev_b64 v[12:13], v44, -1
	v_and_b32_e32 v51, 63, v44
	s_waitcnt vmcnt(0)
	v_and_b32_e32 v9, vcc_hi, v13
	v_and_b32_e32 v55, vcc_lo, v12
	v_cmp_ne_u32_e32 vcc, 63, v51
	v_or_b32_e32 v9, 0x80000000, v9
	v_ffbl_b32_e32 v9, v9
	v_addc_co_u32_e32 v20, vcc, 0, v44, vcc
	v_lshlrev_b32_e32 v52, 2, v20
	v_add_u32_e32 v9, 32, v9
	v_ffbl_b32_e32 v55, v55
	v_min_u32_e32 v9, v55, v9
	v_cmp_lt_u32_e32 vcc, v51, v9
	ds_bpermute_b32 v53, v52, v24
	ds_bpermute_b32 v54, v52, v25
	v_and_b32_e32 v20, 0xff, v64
	ds_bpermute_b32 v21, v52, v20
	s_and_saveexec_b64 s[36:37], vcc
	s_cbranch_execz .LBB913_122
; %bb.121:
	v_mov_b32_e32 v20, 0
	v_cmp_eq_u16_sdwa vcc, v64, v20 src0_sel:BYTE_0 src1_sel:DWORD
	s_waitcnt lgkmcnt(0)
	v_or_b32_e32 v20, v21, v64
	v_and_b32_e32 v64, 1, v20
	v_cndmask_b32_e32 v55, 0, v54, vcc
	v_cndmask_b32_e32 v54, 0, v53, vcc
	v_lshl_add_u64 v[24:25], v[54:55], 0, v[24:25]
	v_and_b32_e32 v20, 1, v20
.LBB913_122:
	s_or_b64 exec, exec, s[36:37]
	v_cmp_gt_u32_e32 vcc, 62, v51
	s_waitcnt lgkmcnt(1)
	v_add_u32_e32 v54, 2, v51
	s_waitcnt lgkmcnt(0)
	v_cndmask_b32_e64 v21, 0, 1, vcc
	v_lshlrev_b32_e32 v21, 1, v21
	v_add_lshl_u32 v53, v21, v44, 2
	ds_bpermute_b32 v55, v53, v24
	ds_bpermute_b32 v56, v53, v25
	ds_bpermute_b32 v21, v53, v20
	v_cmp_le_u32_e32 vcc, v54, v9
	s_and_saveexec_b64 s[54:55], vcc
	s_cbranch_execz .LBB913_124
; %bb.123:
	v_mov_b32_e32 v20, 0
	v_cmp_eq_u16_sdwa vcc, v64, v20 src0_sel:BYTE_0 src1_sel:DWORD
	v_and_b32_e32 v20, 1, v64
	s_waitcnt lgkmcnt(1)
	v_cndmask_b32_e32 v57, 0, v56, vcc
	v_cndmask_b32_e32 v56, 0, v55, vcc
	v_cmp_eq_u32_e32 vcc, 1, v20
	s_waitcnt lgkmcnt(0)
	v_and_b32_e32 v20, 1, v21
	v_cmp_eq_u32_e64 s[36:37], 1, v20
	s_or_b64 s[36:37], vcc, s[36:37]
	v_lshl_add_u64 v[24:25], v[56:57], 0, v[24:25]
	v_cndmask_b32_e64 v64, 0, 1, s[36:37]
	v_cndmask_b32_e64 v20, 0, 1, s[36:37]
.LBB913_124:
	s_or_b64 exec, exec, s[54:55]
	v_cmp_gt_u32_e32 vcc, 60, v51
	s_waitcnt lgkmcnt(1)
	v_add_u32_e32 v56, 4, v51
	s_waitcnt lgkmcnt(0)
	v_cndmask_b32_e64 v21, 0, 1, vcc
	v_lshlrev_b32_e32 v21, 2, v21
	v_add_lshl_u32 v55, v21, v44, 2
	ds_bpermute_b32 v57, v55, v24
	ds_bpermute_b32 v58, v55, v25
	ds_bpermute_b32 v21, v55, v20
	v_cmp_le_u32_e32 vcc, v56, v9
	s_and_saveexec_b64 s[54:55], vcc
	s_cbranch_execz .LBB913_126
; %bb.125:
	v_mov_b32_e32 v20, 0
	v_cmp_eq_u16_sdwa vcc, v64, v20 src0_sel:BYTE_0 src1_sel:DWORD
	v_and_b32_e32 v20, 1, v64
	s_waitcnt lgkmcnt(1)
	v_cndmask_b32_e32 v59, 0, v58, vcc
	v_cndmask_b32_e32 v58, 0, v57, vcc
	v_cmp_eq_u32_e32 vcc, 1, v20
	s_waitcnt lgkmcnt(0)
	v_and_b32_e32 v20, 1, v21
	v_cmp_eq_u32_e64 s[36:37], 1, v20
	s_or_b64 s[36:37], vcc, s[36:37]
	v_lshl_add_u64 v[24:25], v[58:59], 0, v[24:25]
	v_cndmask_b32_e64 v64, 0, 1, s[36:37]
	v_cndmask_b32_e64 v20, 0, 1, s[36:37]
.LBB913_126:
	;; [unrolled: 30-line block ×4, first 2 shown]
	s_or_b64 exec, exec, s[54:55]
	v_cmp_gt_u32_e32 vcc, 32, v51
	s_waitcnt lgkmcnt(1)
	v_add_u32_e32 v62, 32, v51
	s_waitcnt lgkmcnt(0)
	v_cndmask_b32_e64 v21, 0, 1, vcc
	v_lshlrev_b32_e32 v21, 5, v21
	v_add_lshl_u32 v61, v21, v44, 2
	ds_bpermute_b32 v21, v61, v24
	ds_bpermute_b32 v44, v61, v25
	;; [unrolled: 1-line block ×3, first 2 shown]
	v_cmp_le_u32_e32 vcc, v62, v9
	s_and_saveexec_b64 s[54:55], vcc
	s_cbranch_execz .LBB913_132
; %bb.131:
	v_mov_b32_e32 v9, 0
	v_cmp_eq_u16_sdwa vcc, v64, v9 src0_sel:BYTE_0 src1_sel:DWORD
	v_and_b32_e32 v9, 1, v64
	s_waitcnt lgkmcnt(1)
	v_cndmask_b32_e32 v67, 0, v44, vcc
	v_cndmask_b32_e32 v66, 0, v21, vcc
	v_cmp_eq_u32_e32 vcc, 1, v9
	s_waitcnt lgkmcnt(0)
	v_and_b32_e32 v9, 1, v20
	v_cmp_eq_u32_e64 s[36:37], 1, v9
	s_or_b64 s[36:37], vcc, s[36:37]
	v_lshl_add_u64 v[24:25], v[66:67], 0, v[24:25]
	v_cndmask_b32_e64 v64, 0, 1, s[36:37]
.LBB913_132:
	s_or_b64 exec, exec, s[54:55]
	v_mov_b32_e32 v9, 0
	v_mov_b32_e32 v63, 2
	s_branch .LBB913_134
.LBB913_133:                            ;   in Loop: Header=BB913_134 Depth=1
	s_or_b64 exec, exec, s[58:59]
	v_cmp_eq_u16_sdwa vcc, v44, v9 src0_sel:BYTE_0 src1_sel:DWORD
	v_and_b32_e32 v64, 1, v44
	v_subrev_u32_e32 v8, 64, v8
	v_cndmask_b32_e32 v25, 0, v25, vcc
	v_cndmask_b32_e32 v24, 0, v24, vcc
	v_cmp_eq_u32_e32 vcc, 1, v64
	s_or_b64 s[36:37], vcc, s[54:55]
	v_lshl_add_u64 v[24:25], v[24:25], 0, v[20:21]
	v_cndmask_b32_e64 v64, 0, 1, s[36:37]
.LBB913_134:                            ; =>This Loop Header: Depth=1
                                        ;     Child Loop BB913_137 Depth 2
                                        ;       Child Loop BB913_138 Depth 3
	v_cmp_ne_u16_sdwa s[36:37], v45, v63 src0_sel:BYTE_0 src1_sel:DWORD
	s_waitcnt lgkmcnt(1)
	v_mov_b32_e32 v44, v64
	s_waitcnt lgkmcnt(0)
	v_cndmask_b32_e64 v20, 0, 1, s[36:37]
	;;#ASMSTART
	;;#ASMEND
	s_nop 0
	v_cmp_ne_u32_e32 vcc, 0, v20
	s_cmp_lg_u64 vcc, exec
	v_mov_b64_e32 v[20:21], v[24:25]
	s_cbranch_scc1 .LBB913_153
; %bb.135:                              ;   in Loop: Header=BB913_134 Depth=1
	global_load_ubyte v45, v8, s[44:45] sc1
	s_waitcnt vmcnt(0)
	v_cmp_eq_u16_e32 vcc, 0, v45
	s_and_saveexec_b64 s[36:37], vcc
	s_cbranch_execz .LBB913_141
; %bb.136:                              ;   in Loop: Header=BB913_134 Depth=1
	v_lshl_add_u64 v[24:25], s[44:45], 0, v[8:9]
	s_mov_b32 s3, 1
	s_mov_b64 s[54:55], 0
.LBB913_137:                            ;   Parent Loop BB913_134 Depth=1
                                        ; =>  This Loop Header: Depth=2
                                        ;       Child Loop BB913_138 Depth 3
	s_max_u32 s47, s3, 1
.LBB913_138:                            ;   Parent Loop BB913_134 Depth=1
                                        ;     Parent Loop BB913_137 Depth=2
                                        ; =>    This Inner Loop Header: Depth=3
	s_add_i32 s47, s47, -1
	s_cmp_eq_u32 s47, 0
	s_sleep 1
	s_cbranch_scc0 .LBB913_138
; %bb.139:                              ;   in Loop: Header=BB913_137 Depth=2
	global_load_ubyte v45, v[24:25], off sc1
	s_cmp_lt_u32 s3, 32
	s_cselect_b64 s[58:59], -1, 0
	s_cmp_lg_u64 s[58:59], 0
	s_addc_u32 s3, s3, 0
	s_waitcnt vmcnt(0)
	v_cmp_ne_u16_e32 vcc, 0, v45
	s_or_b64 s[54:55], vcc, s[54:55]
	s_andn2_b64 exec, exec, s[54:55]
	s_cbranch_execnz .LBB913_137
; %bb.140:                              ;   in Loop: Header=BB913_134 Depth=1
	s_or_b64 exec, exec, s[54:55]
.LBB913_141:                            ;   in Loop: Header=BB913_134 Depth=1
	s_or_b64 exec, exec, s[36:37]
	v_mov_b32_e32 v24, s43
	v_mov_b32_e32 v25, s41
	v_cmp_eq_u16_e32 vcc, 1, v45
	v_mov_b32_e32 v64, s40
	s_waitcnt vmcnt(0)
	v_cndmask_b32_e32 v25, v24, v25, vcc
	v_mov_b32_e32 v24, s42
	v_cndmask_b32_e32 v24, v24, v64, vcc
	v_lshl_add_u64 v[66:67], v[8:9], 4, v[24:25]
	global_load_dword v24, v[66:67], off sc1
	global_load_dword v25, v[66:67], off offset:4 sc1
	global_load_dword v64, v[66:67], off offset:8 sc1
	;; [unrolled: 1-line block ×3, first 2 shown]
	v_cmp_eq_u16_e32 vcc, 2, v45
	s_waitcnt vmcnt(3)
	ds_bpermute_b32 v68, v52, v24
	s_waitcnt vmcnt(0)
	v_and_b32_e32 v65, vcc_hi, v13
	v_and_b32_e32 v66, 0xff, v64
	v_or_b32_e32 v65, 0x80000000, v65
	ds_bpermute_b32 v69, v52, v25
	ds_bpermute_b32 v67, v52, v66
	v_and_b32_e32 v70, vcc_lo, v12
	v_ffbl_b32_e32 v65, v65
	v_add_u32_e32 v65, 32, v65
	v_ffbl_b32_e32 v70, v70
	v_min_u32_e32 v65, v70, v65
	v_cmp_lt_u32_e32 vcc, v51, v65
	s_and_saveexec_b64 s[36:37], vcc
	s_cbranch_execz .LBB913_143
; %bb.142:                              ;   in Loop: Header=BB913_134 Depth=1
	v_cmp_eq_u16_sdwa vcc, v64, v9 src0_sel:BYTE_0 src1_sel:DWORD
	s_waitcnt lgkmcnt(0)
	v_or_b32_e32 v66, v67, v64
	v_and_b32_e32 v64, 1, v66
	v_cndmask_b32_e32 v69, 0, v69, vcc
	v_cndmask_b32_e32 v68, 0, v68, vcc
	v_lshl_add_u64 v[24:25], v[68:69], 0, v[24:25]
	v_and_b32_e32 v66, 1, v66
.LBB913_143:                            ;   in Loop: Header=BB913_134 Depth=1
	s_or_b64 exec, exec, s[36:37]
	s_waitcnt lgkmcnt(2)
	ds_bpermute_b32 v68, v53, v24
	s_waitcnt lgkmcnt(2)
	ds_bpermute_b32 v69, v53, v25
	;; [unrolled: 2-line block ×3, first 2 shown]
	v_and_b32_e32 v70, 1, v64
	v_cmp_le_u32_e32 vcc, v54, v65
	v_cmp_eq_u32_e64 s[54:55], 1, v70
	s_and_saveexec_b64 s[36:37], vcc
	s_cbranch_execz .LBB913_145
; %bb.144:                              ;   in Loop: Header=BB913_134 Depth=1
	v_cmp_eq_u16_sdwa vcc, v64, v9 src0_sel:BYTE_0 src1_sel:DWORD
	s_waitcnt lgkmcnt(0)
	v_and_b32_e32 v64, 1, v67
	v_cndmask_b32_e32 v69, 0, v69, vcc
	v_cndmask_b32_e32 v68, 0, v68, vcc
	v_cmp_eq_u32_e32 vcc, 1, v64
	s_or_b64 s[58:59], s[54:55], vcc
	v_cndmask_b32_e64 v64, 0, 1, s[58:59]
	v_cndmask_b32_e64 v66, 0, 1, s[58:59]
	s_andn2_b64 s[54:55], s[54:55], exec
	s_and_b64 s[58:59], s[58:59], exec
	v_lshl_add_u64 v[24:25], v[68:69], 0, v[24:25]
	s_or_b64 s[54:55], s[54:55], s[58:59]
.LBB913_145:                            ;   in Loop: Header=BB913_134 Depth=1
	s_or_b64 exec, exec, s[36:37]
	s_waitcnt lgkmcnt(2)
	ds_bpermute_b32 v68, v55, v24
	s_waitcnt lgkmcnt(2)
	ds_bpermute_b32 v69, v55, v25
	s_waitcnt lgkmcnt(2)
	ds_bpermute_b32 v67, v55, v66
	v_cmp_le_u32_e32 vcc, v56, v65
	s_and_saveexec_b64 s[58:59], vcc
	s_cbranch_execz .LBB913_147
; %bb.146:                              ;   in Loop: Header=BB913_134 Depth=1
	v_cmp_eq_u16_sdwa vcc, v64, v9 src0_sel:BYTE_0 src1_sel:DWORD
	v_and_b32_e32 v64, 1, v64
	s_andn2_b64 s[54:55], s[54:55], exec
	s_waitcnt lgkmcnt(1)
	v_cndmask_b32_e32 v69, 0, v69, vcc
	v_cndmask_b32_e32 v68, 0, v68, vcc
	v_cmp_eq_u32_e32 vcc, 1, v64
	s_waitcnt lgkmcnt(0)
	v_and_b32_e32 v64, 1, v67
	v_cmp_eq_u32_e64 s[36:37], 1, v64
	s_or_b64 s[36:37], vcc, s[36:37]
	v_lshl_add_u64 v[24:25], v[68:69], 0, v[24:25]
	v_cndmask_b32_e64 v64, 0, 1, s[36:37]
	v_cndmask_b32_e64 v66, 0, 1, s[36:37]
	s_and_b64 s[36:37], s[36:37], exec
	s_or_b64 s[54:55], s[54:55], s[36:37]
.LBB913_147:                            ;   in Loop: Header=BB913_134 Depth=1
	s_or_b64 exec, exec, s[58:59]
	s_waitcnt lgkmcnt(2)
	ds_bpermute_b32 v68, v57, v24
	s_waitcnt lgkmcnt(2)
	ds_bpermute_b32 v69, v57, v25
	s_waitcnt lgkmcnt(2)
	ds_bpermute_b32 v67, v57, v66
	v_cmp_le_u32_e32 vcc, v58, v65
	s_and_saveexec_b64 s[58:59], vcc
	s_cbranch_execz .LBB913_149
; %bb.148:                              ;   in Loop: Header=BB913_134 Depth=1
	v_cmp_eq_u16_sdwa vcc, v64, v9 src0_sel:BYTE_0 src1_sel:DWORD
	v_and_b32_e32 v64, 1, v64
	s_andn2_b64 s[54:55], s[54:55], exec
	s_waitcnt lgkmcnt(1)
	v_cndmask_b32_e32 v69, 0, v69, vcc
	v_cndmask_b32_e32 v68, 0, v68, vcc
	v_cmp_eq_u32_e32 vcc, 1, v64
	s_waitcnt lgkmcnt(0)
	v_and_b32_e32 v64, 1, v67
	v_cmp_eq_u32_e64 s[36:37], 1, v64
	s_or_b64 s[36:37], vcc, s[36:37]
	v_lshl_add_u64 v[24:25], v[68:69], 0, v[24:25]
	v_cndmask_b32_e64 v64, 0, 1, s[36:37]
	v_cndmask_b32_e64 v66, 0, 1, s[36:37]
	s_and_b64 s[36:37], s[36:37], exec
	s_or_b64 s[54:55], s[54:55], s[36:37]
.LBB913_149:                            ;   in Loop: Header=BB913_134 Depth=1
	;; [unrolled: 28-line block ×3, first 2 shown]
	s_or_b64 exec, exec, s[58:59]
	s_waitcnt lgkmcnt(0)
	ds_bpermute_b32 v67, v61, v24
	ds_bpermute_b32 v68, v61, v25
	;; [unrolled: 1-line block ×3, first 2 shown]
	v_cmp_le_u32_e32 vcc, v62, v65
	s_and_saveexec_b64 s[58:59], vcc
	s_cbranch_execz .LBB913_133
; %bb.152:                              ;   in Loop: Header=BB913_134 Depth=1
	v_cmp_eq_u16_sdwa vcc, v64, v9 src0_sel:BYTE_0 src1_sel:DWORD
	v_and_b32_e32 v64, 1, v64
	s_andn2_b64 s[54:55], s[54:55], exec
	s_waitcnt lgkmcnt(1)
	v_cndmask_b32_e32 v69, 0, v68, vcc
	v_cndmask_b32_e32 v68, 0, v67, vcc
	v_cmp_eq_u32_e32 vcc, 1, v64
	s_waitcnt lgkmcnt(0)
	v_and_b32_e32 v64, 1, v66
	v_cmp_eq_u32_e64 s[36:37], 1, v64
	s_or_b64 s[36:37], vcc, s[36:37]
	s_and_b64 s[36:37], s[36:37], exec
	v_lshl_add_u64 v[24:25], v[68:69], 0, v[24:25]
	s_or_b64 s[54:55], s[54:55], s[36:37]
	s_branch .LBB913_133
.LBB913_153:                            ;   in Loop: Header=BB913_134 Depth=1
                                        ; implicit-def: $vgpr64
                                        ; implicit-def: $vgpr24_vgpr25
                                        ; implicit-def: $vgpr45
	s_cbranch_execz .LBB913_134
; %bb.154:
	s_and_saveexec_b64 s[36:37], s[30:31]
	s_cbranch_execz .LBB913_156
; %bb.155:
	s_mov_b32 s3, 0
	v_mov_b32_e32 v12, 0
	s_add_i32 s2, s2, 64
	v_cmp_eq_u32_sdwa vcc, v50, v12 src0_sel:BYTE_0 src1_sel:DWORD
	s_lshl_b64 s[40:41], s[2:3], 4
	v_and_b32_e32 v13, 1, v50
	v_cndmask_b32_e32 v9, 0, v21, vcc
	v_cndmask_b32_e32 v8, 0, v20, vcc
	s_add_u32 s40, s42, s40
	v_lshl_add_u64 v[8:9], v[8:9], 0, v[48:49]
	v_and_b32_e32 v24, 1, v44
	v_cmp_eq_u32_e32 vcc, 1, v13
	s_addc_u32 s41, s43, s41
	s_nop 0
	v_cndmask_b32_e64 v13, v24, 1, vcc
	global_store_dword v12, v8, s[40:41] sc1
	global_store_dword v12, v9, s[40:41] offset:4 sc1
	global_store_dword v12, v13, s[40:41] offset:8 sc1
	;; [unrolled: 1-line block ×3, first 2 shown]
	v_mov_b32_e32 v8, s2
	v_mov_b32_e32 v9, 2
	s_waitcnt vmcnt(0) lgkmcnt(0)
	global_store_byte v8, v9, s[44:45] sc1
.LBB913_156:
	s_or_b64 exec, exec, s[36:37]
	v_cmp_eq_u32_e32 vcc, 0, v0
	s_and_b64 exec, exec, vcc
	s_cbranch_execz .LBB913_158
; %bb.157:
	v_mov_b32_e32 v8, 0
	ds_write_b64 v8, v[20:21] offset:48
	ds_write_b8 v8, v44 offset:56
.LBB913_158:
	s_or_b64 exec, exec, s[48:49]
	s_waitcnt lgkmcnt(0)
	v_cndmask_b32_e64 v8, v41, v36, s[30:31]
	v_mov_b32_e32 v13, 0
	v_cndmask_b32_e64 v9, v40, v5, s[30:31]
	v_cndmask_b32_e64 v12, v37, v4, s[30:31]
	v_cmp_eq_u16_sdwa vcc, v1, v13 src0_sel:BYTE_0 src1_sel:DWORD
	v_and_b32_e32 v20, 1, v1
	v_and_b32_e32 v8, 1, v8
	s_barrier
	ds_read_b64 v[4:5], v13 offset:48
	v_cndmask_b32_e32 v12, 0, v12, vcc
	v_cndmask_b32_e32 v9, 0, v9, vcc
	v_cmp_eq_u32_e32 vcc, 1, v20
	v_cmp_eq_u32_e64 s[2:3], 1, v8
	s_or_b64 s[2:3], vcc, s[2:3]
	v_cmp_eq_u32_e32 vcc, 0, v0
	v_cndmask_b32_e64 v8, 0, 1, s[2:3]
	s_nop 0
	v_cndmask_b32_e32 v20, v8, v1, vcc
	v_cndmask_b32_e64 v9, v9, 0, vcc
	v_cndmask_b32_e64 v8, v12, 0, vcc
	v_cmp_eq_u16_sdwa vcc, v20, v13 src0_sel:BYTE_0 src1_sel:DWORD
	v_lshl_add_u64 v[8:9], v[8:9], 0, v[2:3]
	s_waitcnt lgkmcnt(0)
	v_cndmask_b32_e32 v5, 0, v5, vcc
	v_cndmask_b32_e32 v4, 0, v4, vcc
	v_lshl_add_u64 v[48:49], v[8:9], 0, v[4:5]
	v_cndmask_b32_e64 v5, 0, v49, s[4:5]
	v_cndmask_b32_e64 v4, 0, v48, s[4:5]
	v_lshl_add_u64 v[50:51], v[4:5], 0, v[14:15]
	v_cndmask_b32_e64 v5, 0, v51, s[6:7]
	v_cndmask_b32_e64 v4, 0, v50, s[6:7]
	;; [unrolled: 3-line block ×13, first 2 shown]
	v_lshl_add_u64 v[74:75], v[4:5], 0, v[16:17]
	s_load_dwordx2 s[36:37], s[0:1], 0x20
	s_branch .LBB913_189
.LBB913_159:
                                        ; implicit-def: $vgpr74_vgpr75
                                        ; implicit-def: $vgpr70_vgpr71
                                        ; implicit-def: $vgpr66_vgpr67
                                        ; implicit-def: $vgpr62_vgpr63
                                        ; implicit-def: $vgpr58_vgpr59
                                        ; implicit-def: $vgpr54_vgpr55
                                        ; implicit-def: $vgpr50_vgpr51
	s_load_dwordx2 s[36:37], s[0:1], 0x20
	s_cbranch_execz .LBB913_189
; %bb.160:
	s_cmp_lg_u64 s[56:57], 0
	s_cselect_b32 s3, s51, 0
	s_cselect_b32 s2, s50, 0
	s_cmp_lg_u64 s[2:3], 0
	s_cselect_b64 s[4:5], -1, 0
	v_cmp_eq_u32_e32 vcc, 0, v0
	v_cmp_ne_u32_e64 s[0:1], 0, v0
	s_and_b64 s[6:7], vcc, s[4:5]
	s_and_saveexec_b64 s[4:5], s[6:7]
	s_cbranch_execz .LBB913_162
; %bb.161:
	v_mov_b32_e32 v8, 0
	global_load_dwordx2 v[4:5], v8, s[2:3]
	global_load_ubyte v9, v8, s[2:3] offset:8
	v_cmp_eq_u16_sdwa s[2:3], v1, v8 src0_sel:BYTE_0 src1_sel:DWORD
	s_waitcnt vmcnt(0)
	v_or_b32_e32 v1, v1, v9
	v_cndmask_b32_e64 v5, 0, v5, s[2:3]
	v_cndmask_b32_e64 v4, 0, v4, s[2:3]
	v_lshl_add_u64 v[2:3], v[4:5], 0, v[2:3]
	v_and_b32_e32 v1, 1, v1
.LBB913_162:
	s_or_b64 exec, exec, s[4:5]
	v_mov_b32_e32 v9, 0
	v_cmp_eq_u16_sdwa s[4:5], v82, v9 src0_sel:BYTE_0 src1_sel:DWORD
	v_cmp_eq_u16_sdwa s[6:7], v81, v9 src0_sel:BYTE_0 src1_sel:DWORD
	v_cmp_eq_u16_sdwa s[8:9], v83, v9 src0_sel:BYTE_0 src1_sel:DWORD
	v_cndmask_b32_e64 v5, 0, v3, s[4:5]
	v_cndmask_b32_e64 v4, 0, v2, s[4:5]
	v_lshl_add_u64 v[50:51], v[4:5], 0, v[14:15]
	v_cndmask_b32_e64 v5, 0, v51, s[6:7]
	v_cndmask_b32_e64 v4, 0, v50, s[6:7]
	v_lshl_add_u64 v[52:53], v[4:5], 0, v[6:7]
	v_cndmask_b32_e64 v5, 0, v53, s[8:9]
	v_cndmask_b32_e64 v4, 0, v52, s[8:9]
	v_lshl_add_u64 v[54:55], v[4:5], 0, v[22:23]
	v_cmp_eq_u16_sdwa s[10:11], v84, v9 src0_sel:BYTE_0 src1_sel:DWORD
	v_cmp_eq_u16_sdwa s[12:13], v85, v9 src0_sel:BYTE_0 src1_sel:DWORD
	v_cmp_eq_u16_sdwa s[14:15], v86, v9 src0_sel:BYTE_0 src1_sel:DWORD
	v_cndmask_b32_e64 v5, 0, v55, s[10:11]
	v_cndmask_b32_e64 v4, 0, v54, s[10:11]
	v_lshl_add_u64 v[56:57], v[4:5], 0, v[10:11]
	v_cndmask_b32_e64 v5, 0, v57, s[12:13]
	v_cndmask_b32_e64 v4, 0, v56, s[12:13]
	v_lshl_add_u64 v[58:59], v[4:5], 0, v[30:31]
	v_cndmask_b32_e64 v5, 0, v59, s[14:15]
	v_cndmask_b32_e64 v4, 0, v58, s[14:15]
	v_lshl_add_u64 v[60:61], v[4:5], 0, v[18:19]
	;; [unrolled: 12-line block ×4, first 2 shown]
	v_cmp_eq_u16_sdwa s[28:29], v33, v9 src0_sel:BYTE_0 src1_sel:DWORD
	v_and_b32_e32 v8, 0xff, v1
	v_mbcnt_hi_u32_b32 v12, -1, v28
	v_cndmask_b32_e64 v5, 0, v73, s[28:29]
	v_cndmask_b32_e64 v4, 0, v72, s[28:29]
	v_lshl_add_u64 v[74:75], v[4:5], 0, v[16:17]
	v_or_b32_e32 v4, v29, v90
	v_or_b32_e32 v4, v4, v89
	;; [unrolled: 1-line block ×10, first 2 shown]
	v_and_b32_e32 v4, 1, v4
	v_cmp_eq_u32_e64 s[2:3], 1, v4
	v_and_b32_e32 v20, 15, v12
	v_mov_b32_dpp v24, v74 row_shr:1 row_mask:0xf bank_mask:0xf
	v_cndmask_b32_e64 v13, v8, 1, s[2:3]
	v_mov_b32_dpp v25, v75 row_shr:1 row_mask:0xf bank_mask:0xf
	v_cmp_ne_u32_e64 s[2:3], 0, v20
	v_mov_b32_dpp v21, v13 row_shr:1 row_mask:0xf bank_mask:0xf
	v_mov_b64_e32 v[4:5], v[74:75]
	v_mov_b32_e32 v9, v75
	v_mov_b32_e32 v8, v74
	s_and_saveexec_b64 s[30:31], s[2:3]
; %bb.163:
	v_cmp_eq_u32_e64 s[2:3], 0, v13
	v_and_or_b32 v13, v21, 1, v13
	s_nop 0
	v_cndmask_b32_e64 v5, 0, v25, s[2:3]
	v_cndmask_b32_e64 v4, 0, v24, s[2:3]
	v_lshl_add_u64 v[4:5], v[74:75], 0, v[4:5]
	v_mov_b32_e32 v9, v5
	v_mov_b32_e32 v8, v4
; %bb.164:
	s_or_b64 exec, exec, s[30:31]
	s_nop 0
	v_mov_b32_dpp v24, v8 row_shr:2 row_mask:0xf bank_mask:0xf
	v_mov_b32_dpp v25, v9 row_shr:2 row_mask:0xf bank_mask:0xf
	v_mov_b32_dpp v21, v13 row_shr:2 row_mask:0xf bank_mask:0xf
	v_cmp_lt_u32_e64 s[2:3], 1, v20
	s_and_saveexec_b64 s[30:31], s[2:3]
; %bb.165:
	v_cmp_eq_u32_e64 s[2:3], 0, v13
	s_nop 1
	v_cndmask_b32_e64 v9, 0, v25, s[2:3]
	v_cndmask_b32_e64 v8, 0, v24, s[2:3]
	v_lshl_add_u64 v[8:9], v[8:9], 0, v[4:5]
	v_or_b32_e32 v4, v21, v13
	v_and_b32_e32 v13, 1, v4
	v_mov_b64_e32 v[4:5], v[8:9]
; %bb.166:
	s_or_b64 exec, exec, s[30:31]
	v_mov_b32_dpp v24, v8 row_shr:4 row_mask:0xf bank_mask:0xf
	v_mov_b32_dpp v25, v9 row_shr:4 row_mask:0xf bank_mask:0xf
	v_mov_b32_dpp v21, v13 row_shr:4 row_mask:0xf bank_mask:0xf
	v_cmp_lt_u32_e64 s[2:3], 3, v20
	s_and_saveexec_b64 s[30:31], s[2:3]
; %bb.167:
	v_cmp_eq_u32_e64 s[2:3], 0, v13
	s_nop 1
	v_cndmask_b32_e64 v9, 0, v25, s[2:3]
	v_cndmask_b32_e64 v8, 0, v24, s[2:3]
	v_lshl_add_u64 v[8:9], v[8:9], 0, v[4:5]
	v_or_b32_e32 v4, v21, v13
	v_and_b32_e32 v13, 1, v4
	v_mov_b64_e32 v[4:5], v[8:9]
; %bb.168:
	s_or_b64 exec, exec, s[30:31]
	;; [unrolled: 16-line block ×3, first 2 shown]
	v_and_b32_e32 v25, 16, v12
	v_mov_b32_dpp v21, v8 row_bcast:15 row_mask:0xf bank_mask:0xf
	v_mov_b32_dpp v24, v9 row_bcast:15 row_mask:0xf bank_mask:0xf
	;; [unrolled: 1-line block ×3, first 2 shown]
	v_cmp_ne_u32_e64 s[2:3], 0, v25
	s_and_saveexec_b64 s[30:31], s[2:3]
; %bb.171:
	v_cmp_eq_u32_e64 s[2:3], 0, v13
	s_nop 1
	v_cndmask_b32_e64 v9, 0, v24, s[2:3]
	v_cndmask_b32_e64 v8, 0, v21, s[2:3]
	v_lshl_add_u64 v[4:5], v[8:9], 0, v[4:5]
	v_or_b32_e32 v8, v20, v13
	v_and_b32_e32 v13, 1, v8
	v_mov_b32_e32 v9, v5
	v_mov_b32_e32 v8, v4
; %bb.172:
	s_or_b64 exec, exec, s[30:31]
	s_nop 0
	v_mov_b32_dpp v20, v8 row_bcast:31 row_mask:0xf bank_mask:0xf
	v_mov_b32_dpp v21, v9 row_bcast:31 row_mask:0xf bank_mask:0xf
	;; [unrolled: 1-line block ×3, first 2 shown]
	v_cmp_lt_u32_e64 s[2:3], 31, v12
	v_mov_b32_e32 v8, v13
	s_and_saveexec_b64 s[30:31], s[2:3]
; %bb.173:
	v_cmp_eq_u32_e64 s[2:3], 0, v13
	v_or_b32_e32 v9, v9, v13
	v_and_b32_e32 v8, 1, v9
	v_cndmask_b32_e64 v21, 0, v21, s[2:3]
	v_cndmask_b32_e64 v20, 0, v20, s[2:3]
	v_lshl_add_u64 v[4:5], v[20:21], 0, v[4:5]
	v_and_b32_e32 v13, 1, v9
; %bb.174:
	s_or_b64 exec, exec, s[30:31]
	v_or_b32_e32 v9, 63, v0
	v_lshrrev_b32_e32 v20, 6, v0
	v_cmp_eq_u32_e64 s[2:3], v9, v0
	s_and_saveexec_b64 s[30:31], s[2:3]
	s_cbranch_execz .LBB913_176
; %bb.175:
	v_lshlrev_b32_e32 v9, 4, v20
	ds_write_b64 v9, v[4:5]
	ds_write_b8 v9, v8 offset:8
.LBB913_176:
	s_or_b64 exec, exec, s[30:31]
	v_cmp_gt_u32_e64 s[2:3], 4, v0
	s_waitcnt lgkmcnt(0)
	s_barrier
	s_and_saveexec_b64 s[40:41], s[2:3]
	s_cbranch_execz .LBB913_182
; %bb.177:
	v_lshlrev_b32_e32 v21, 4, v0
	ds_read_b64 v[8:9], v21
	ds_read_b32 v24, v21 offset:8
	v_and_b32_e32 v25, 3, v12
	v_cmp_ne_u32_e64 s[2:3], 0, v25
	s_waitcnt lgkmcnt(1)
	v_mov_b32_dpp v36, v8 row_shr:1 row_mask:0xf bank_mask:0xf
	v_mov_b32_dpp v37, v9 row_shr:1 row_mask:0xf bank_mask:0xf
	s_waitcnt lgkmcnt(0)
	v_mov_b32_dpp v33, v24 row_shr:1 row_mask:0xf bank_mask:0xf
	v_mov_b32_e32 v28, v24
	v_mov_b32_e32 v29, v24
	s_and_saveexec_b64 s[30:31], s[2:3]
; %bb.178:
	v_mov_b32_e32 v28, 0
	v_cmp_eq_u16_sdwa s[2:3], v24, v28 src0_sel:BYTE_0 src1_sel:DWORD
	s_nop 1
	v_cndmask_b32_e64 v29, 0, v37, s[2:3]
	v_cndmask_b32_e64 v28, 0, v36, s[2:3]
	v_lshl_add_u64 v[8:9], v[28:29], 0, v[8:9]
	v_or_b32_e32 v29, v33, v24
	v_and_b32_e32 v28, 1, v29
	v_and_b32_e32 v29, 1, v29
	s_movk_i32 s2, 0xff00
	v_and_or_b32 v24, v24, s2, v29
; %bb.179:
	s_or_b64 exec, exec, s[30:31]
	v_mov_b32_dpp v33, v8 row_shr:2 row_mask:0xf bank_mask:0xf
	v_mov_b32_dpp v36, v9 row_shr:2 row_mask:0xf bank_mask:0xf
	;; [unrolled: 1-line block ×3, first 2 shown]
	v_cmp_lt_u32_e64 s[2:3], 1, v25
	s_and_saveexec_b64 s[48:49], s[2:3]
; %bb.180:
	v_mov_b32_e32 v25, 0
	v_cmp_eq_u16_sdwa s[2:3], v29, v25 src0_sel:BYTE_0 src1_sel:DWORD
	v_and_b32_e32 v25, 1, v29
	v_and_b32_e32 v24, 1, v24
	v_cndmask_b32_e64 v37, 0, v36, s[2:3]
	v_cndmask_b32_e64 v36, 0, v33, s[2:3]
	v_cmp_eq_u32_e64 s[2:3], 1, v25
	v_cmp_eq_u32_e64 s[30:31], 1, v24
	s_or_b64 s[2:3], s[2:3], s[30:31]
	v_lshl_add_u64 v[8:9], v[36:37], 0, v[8:9]
	v_cndmask_b32_e64 v28, 0, 1, s[2:3]
; %bb.181:
	s_or_b64 exec, exec, s[48:49]
	ds_write_b64 v21, v[8:9]
	ds_write_b8 v21, v28 offset:8
.LBB913_182:
	s_or_b64 exec, exec, s[40:41]
	v_cmp_lt_u32_e64 s[2:3], 63, v0
	v_mov_b64_e32 v[8:9], 0
	s_waitcnt lgkmcnt(0)
	s_barrier
	s_and_saveexec_b64 s[30:31], s[2:3]
	s_cbranch_execz .LBB913_184
; %bb.183:
	v_lshl_add_u32 v8, v20, 4, -16
	ds_read_b64 v[8:9], v8
	v_cmp_eq_u32_e64 s[2:3], 0, v13
	s_waitcnt lgkmcnt(0)
	s_nop 0
	v_cndmask_b32_e64 v21, 0, v9, s[2:3]
	v_cndmask_b32_e64 v20, 0, v8, s[2:3]
	v_lshl_add_u64 v[4:5], v[20:21], 0, v[4:5]
.LBB913_184:
	s_or_b64 exec, exec, s[30:31]
	v_add_u32_e32 v13, -1, v12
	v_and_b32_e32 v20, 64, v12
	v_cmp_lt_i32_e64 s[2:3], v13, v20
	s_nop 1
	v_cndmask_b32_e64 v13, v13, v12, s[2:3]
	v_lshlrev_b32_e32 v13, 2, v13
	ds_bpermute_b32 v4, v13, v4
	ds_bpermute_b32 v5, v13, v5
	s_and_saveexec_b64 s[2:3], s[0:1]
	s_cbranch_execz .LBB913_186
; %bb.185:
	v_cmp_eq_u32_e64 s[0:1], 0, v12
	;;#ASMSTART
	;;#ASMEND
	s_waitcnt lgkmcnt(1)
	s_nop 0
	v_cndmask_b32_e64 v4, v4, v8, s[0:1]
	v_mov_b32_e32 v8, 0
	s_waitcnt lgkmcnt(0)
	v_cndmask_b32_e64 v5, v5, v9, s[0:1]
	v_cmp_eq_u16_sdwa s[0:1], v1, v8 src0_sel:BYTE_0 src1_sel:DWORD
	s_nop 1
	v_cndmask_b32_e64 v5, 0, v5, s[0:1]
	v_cndmask_b32_e64 v4, 0, v4, s[0:1]
	v_lshl_add_u64 v[2:3], v[4:5], 0, v[2:3]
	v_cndmask_b32_e64 v5, 0, v3, s[4:5]
	v_cndmask_b32_e64 v4, 0, v2, s[4:5]
	v_lshl_add_u64 v[50:51], v[4:5], 0, v[14:15]
	;; [unrolled: 3-line block ×14, first 2 shown]
.LBB913_186:
	s_or_b64 exec, exec, s[2:3]
	s_and_saveexec_b64 s[0:1], vcc
	s_cbranch_execz .LBB913_188
; %bb.187:
	v_mov_b32_e32 v1, 0
	s_waitcnt lgkmcnt(0)
	ds_read_b64 v[4:5], v1 offset:48
	ds_read_u8 v6, v1 offset:56
	s_waitcnt lgkmcnt(1)
	global_store_dword v1, v4, s[42:43] offset:1024 sc1
	global_store_dword v1, v5, s[42:43] offset:1028 sc1
	s_waitcnt lgkmcnt(0)
	global_store_dword v1, v6, s[42:43] offset:1032 sc1
	global_store_dword v1, v1, s[42:43] offset:1036 sc1
	v_mov_b32_e32 v4, 2
	s_waitcnt vmcnt(0)
	global_store_byte v1, v4, s[44:45] offset:64 sc1
.LBB913_188:
	s_or_b64 exec, exec, s[0:1]
	v_mov_b64_e32 v[48:49], v[2:3]
.LBB913_189:
	s_waitcnt lgkmcnt(0)
	s_add_u32 s0, s36, s38
	s_addc_u32 s1, s37, s39
	s_add_u32 s0, s0, s52
	v_mul_u32_u24_e32 v1, 14, v0
	s_addc_u32 s1, s1, s53
	s_and_b64 vcc, exec, s[34:35]
	v_lshlrev_b32_e32 v30, 3, v1
	s_cbranch_vccz .LBB913_217
; %bb.190:
	s_movk_i32 s2, 0xff98
	v_mad_i32_i24 v1, v0, s2, v30
	s_barrier
	ds_write_b128 v30, v[48:51]
	ds_write_b128 v30, v[52:55] offset:16
	ds_write_b128 v30, v[56:59] offset:32
	;; [unrolled: 1-line block ×6, first 2 shown]
	s_waitcnt lgkmcnt(0)
	s_barrier
	ds_read2st64_b64 v[26:29], v1 offset0:4 offset1:8
	ds_read2st64_b64 v[22:25], v1 offset0:12 offset1:16
	;; [unrolled: 1-line block ×6, first 2 shown]
	ds_read_b64 v[4:5], v1 offset:26624
	s_add_i32 s33, s33, s46
	v_mov_b32_e32 v33, 0
	v_lshl_add_u64 v[2:3], s[0:1], 0, v[32:33]
	v_cmp_gt_u32_e32 vcc, s33, v0
	s_and_saveexec_b64 s[2:3], vcc
	s_cbranch_execz .LBB913_192
; %bb.191:
	v_mul_i32_i24_e32 v1, 0xffffff98, v0
	v_add_u32_e32 v1, v30, v1
	ds_read_b64 v[34:35], v1
	s_waitcnt lgkmcnt(0)
	flat_store_dwordx2 v[2:3], v[34:35]
.LBB913_192:
	s_or_b64 exec, exec, s[2:3]
	v_or_b32_e32 v1, 0x100, v0
	v_cmp_gt_u32_e32 vcc, s33, v1
	s_and_saveexec_b64 s[2:3], vcc
	s_cbranch_execz .LBB913_194
; %bb.193:
	s_waitcnt lgkmcnt(0)
	flat_store_dwordx2 v[2:3], v[26:27] offset:2048
.LBB913_194:
	s_or_b64 exec, exec, s[2:3]
	v_or_b32_e32 v1, 0x200, v0
	v_cmp_gt_u32_e32 vcc, s33, v1
	s_and_saveexec_b64 s[2:3], vcc
	s_cbranch_execz .LBB913_196
; %bb.195:
	s_waitcnt lgkmcnt(0)
	v_add_co_u32_e32 v26, vcc, 0x1000, v2
	s_nop 1
	v_addc_co_u32_e32 v27, vcc, 0, v3, vcc
	flat_store_dwordx2 v[26:27], v[28:29]
.LBB913_196:
	s_or_b64 exec, exec, s[2:3]
	v_or_b32_e32 v1, 0x300, v0
	v_cmp_gt_u32_e32 vcc, s33, v1
	s_and_saveexec_b64 s[2:3], vcc
	s_cbranch_execz .LBB913_198
; %bb.197:
	s_waitcnt lgkmcnt(0)
	v_add_co_u32_e32 v26, vcc, 0x1000, v2
	s_nop 1
	v_addc_co_u32_e32 v27, vcc, 0, v3, vcc
	flat_store_dwordx2 v[26:27], v[22:23] offset:2048
.LBB913_198:
	s_or_b64 exec, exec, s[2:3]
	v_or_b32_e32 v1, 0x400, v0
	v_cmp_gt_u32_e32 vcc, s33, v1
	s_and_saveexec_b64 s[2:3], vcc
	s_cbranch_execz .LBB913_200
; %bb.199:
	s_waitcnt lgkmcnt(0)
	v_add_co_u32_e32 v22, vcc, 0x2000, v2
	s_nop 1
	v_addc_co_u32_e32 v23, vcc, 0, v3, vcc
	flat_store_dwordx2 v[22:23], v[24:25]
.LBB913_200:
	s_or_b64 exec, exec, s[2:3]
	v_or_b32_e32 v1, 0x500, v0
	v_cmp_gt_u32_e32 vcc, s33, v1
	s_and_saveexec_b64 s[2:3], vcc
	s_cbranch_execz .LBB913_202
; %bb.201:
	s_waitcnt lgkmcnt(0)
	v_add_co_u32_e32 v22, vcc, 0x2000, v2
	s_nop 1
	v_addc_co_u32_e32 v23, vcc, 0, v3, vcc
	flat_store_dwordx2 v[22:23], v[18:19] offset:2048
.LBB913_202:
	;; [unrolled: 24-line block ×5, first 2 shown]
	s_or_b64 exec, exec, s[2:3]
	v_or_b32_e32 v1, 0xc00, v0
	v_cmp_gt_u32_e32 vcc, s33, v1
	s_and_saveexec_b64 s[2:3], vcc
	s_cbranch_execz .LBB913_216
; %bb.215:
	v_add_co_u32_e32 v2, vcc, 0x6000, v2
	s_nop 1
	v_addc_co_u32_e32 v3, vcc, 0, v3, vcc
	s_waitcnt lgkmcnt(0)
	flat_store_dwordx2 v[2:3], v[8:9]
.LBB913_216:
	s_or_b64 exec, exec, s[2:3]
	v_or_b32_e32 v2, 0xd00, v0
	v_mov_b32_e32 v1, v33
	v_cmp_gt_u32_e64 s[2:3], s33, v2
	s_branch .LBB913_219
.LBB913_217:
	s_mov_b64 s[2:3], 0
                                        ; implicit-def: $vgpr4_vgpr5
	s_cbranch_execz .LBB913_219
; %bb.218:
	v_mov_b32_e32 v1, 0
	s_movk_i32 s4, 0xff98
	v_mad_i32_i24 v2, v0, s4, v30
	v_mov_b32_e32 v33, v1
	s_waitcnt lgkmcnt(0)
	s_barrier
	ds_write_b128 v30, v[48:51]
	ds_write_b128 v30, v[52:55] offset:16
	ds_write_b128 v30, v[56:59] offset:32
	;; [unrolled: 1-line block ×6, first 2 shown]
	s_waitcnt lgkmcnt(0)
	s_barrier
	ds_read2st64_b64 v[6:9], v2 offset1:4
	ds_read2st64_b64 v[10:13], v2 offset0:8 offset1:12
	ds_read2st64_b64 v[14:17], v2 offset0:16 offset1:20
	;; [unrolled: 1-line block ×6, first 2 shown]
	v_lshl_add_u64 v[30:31], s[0:1], 0, v[32:33]
	s_movk_i32 s4, 0x1000
	s_waitcnt lgkmcnt(0)
	flat_store_dwordx2 v[30:31], v[6:7]
	flat_store_dwordx2 v[30:31], v[8:9] offset:2048
	v_add_co_u32_e32 v6, vcc, s4, v30
	s_movk_i32 s4, 0x2000
	s_nop 0
	v_addc_co_u32_e32 v7, vcc, 0, v31, vcc
	flat_store_dwordx2 v[6:7], v[10:11]
	flat_store_dwordx2 v[6:7], v[12:13] offset:2048
	v_add_co_u32_e32 v6, vcc, s4, v30
	s_movk_i32 s4, 0x3000
	s_nop 0
	v_addc_co_u32_e32 v7, vcc, 0, v31, vcc
	;; [unrolled: 6-line block ×3, first 2 shown]
	flat_store_dwordx2 v[6:7], v[18:19]
	flat_store_dwordx2 v[6:7], v[20:21] offset:2048
	v_add_co_u32_e32 v6, vcc, s4, v30
	s_or_b64 s[2:3], s[2:3], exec
	s_nop 0
	v_addc_co_u32_e32 v7, vcc, 0, v31, vcc
	flat_store_dwordx2 v[6:7], v[22:23]
	flat_store_dwordx2 v[6:7], v[24:25] offset:2048
	v_add_co_u32_e32 v6, vcc, 0x5000, v30
	s_nop 1
	v_addc_co_u32_e32 v7, vcc, 0, v31, vcc
	flat_store_dwordx2 v[6:7], v[26:27]
	flat_store_dwordx2 v[6:7], v[28:29] offset:2048
	v_add_co_u32_e32 v6, vcc, 0x6000, v30
	s_nop 1
	v_addc_co_u32_e32 v7, vcc, 0, v31, vcc
	flat_store_dwordx2 v[6:7], v[2:3]
.LBB913_219:
	s_and_saveexec_b64 s[4:5], s[2:3]
	s_cbranch_execnz .LBB913_221
; %bb.220:
	s_endpgm
.LBB913_221:
	v_lshl_add_u64 v[0:1], v[0:1], 3, s[0:1]
	v_add_co_u32_e32 v0, vcc, 0x6000, v0
	s_nop 1
	v_addc_co_u32_e32 v1, vcc, 0, v1, vcc
	s_waitcnt lgkmcnt(0)
	flat_store_dwordx2 v[0:1], v[4:5] offset:2048
	s_endpgm
.LBB913_222:
	global_load_dwordx2 v[2:3], v42, s[36:37]
	s_waitcnt vmcnt(0)
	v_sub_co_u32_e32 v2, vcc, 0, v2
	s_nop 1
	v_subb_co_u32_e32 v3, vcc, 0, v3, vcc
	s_or_b64 exec, exec, s[48:49]
                                        ; implicit-def: $vgpr6_vgpr7
	s_and_saveexec_b64 s[4:5], s[6:7]
	s_cbranch_execz .LBB913_37
.LBB913_223:
	global_load_dwordx2 v[6:7], v42, s[36:37] offset:2048
	s_waitcnt vmcnt(0)
	v_sub_co_u32_e32 v6, vcc, 0, v6
	s_nop 1
	v_subb_co_u32_e32 v7, vcc, 0, v7, vcc
	s_or_b64 exec, exec, s[4:5]
                                        ; implicit-def: $vgpr8_vgpr9
	s_and_saveexec_b64 s[4:5], s[8:9]
	s_cbranch_execz .LBB913_38
.LBB913_224:
	v_lshlrev_b32_e32 v1, 3, v1
	global_load_dwordx2 v[8:9], v1, s[36:37]
	s_waitcnt vmcnt(0)
	v_sub_co_u32_e32 v8, vcc, 0, v8
	s_nop 1
	v_subb_co_u32_e32 v9, vcc, 0, v9, vcc
	s_or_b64 exec, exec, s[4:5]
                                        ; implicit-def: $vgpr10_vgpr11
	s_and_saveexec_b64 s[4:5], s[10:11]
	s_cbranch_execz .LBB913_39
.LBB913_225:
	v_lshlrev_b32_e32 v1, 3, v30
	global_load_dwordx2 v[10:11], v1, s[36:37]
	s_waitcnt vmcnt(0)
	v_sub_co_u32_e32 v10, vcc, 0, v10
	s_nop 1
	v_subb_co_u32_e32 v11, vcc, 0, v11, vcc
	s_or_b64 exec, exec, s[4:5]
                                        ; implicit-def: $vgpr12_vgpr13
	s_and_saveexec_b64 s[4:5], s[12:13]
	s_cbranch_execz .LBB913_40
.LBB913_226:
	v_lshlrev_b32_e32 v1, 3, v31
	global_load_dwordx2 v[12:13], v1, s[36:37]
	s_waitcnt vmcnt(0)
	v_sub_co_u32_e32 v12, vcc, 0, v12
	s_nop 1
	v_subb_co_u32_e32 v13, vcc, 0, v13, vcc
	s_or_b64 exec, exec, s[4:5]
                                        ; implicit-def: $vgpr14_vgpr15
	s_and_saveexec_b64 s[4:5], s[14:15]
	s_cbranch_execz .LBB913_41
.LBB913_227:
	v_lshlrev_b32_e32 v1, 3, v32
	global_load_dwordx2 v[14:15], v1, s[36:37]
	s_waitcnt vmcnt(0)
	v_sub_co_u32_e32 v14, vcc, 0, v14
	s_nop 1
	v_subb_co_u32_e32 v15, vcc, 0, v15, vcc
	s_or_b64 exec, exec, s[4:5]
                                        ; implicit-def: $vgpr16_vgpr17
	s_and_saveexec_b64 s[4:5], s[16:17]
	s_cbranch_execz .LBB913_42
.LBB913_228:
	v_lshlrev_b32_e32 v1, 3, v33
	global_load_dwordx2 v[16:17], v1, s[36:37]
	s_waitcnt vmcnt(0)
	v_sub_co_u32_e32 v16, vcc, 0, v16
	s_nop 1
	v_subb_co_u32_e32 v17, vcc, 0, v17, vcc
	s_or_b64 exec, exec, s[4:5]
                                        ; implicit-def: $vgpr18_vgpr19
	s_and_saveexec_b64 s[4:5], s[18:19]
	s_cbranch_execz .LBB913_43
.LBB913_229:
	v_lshlrev_b32_e32 v1, 3, v34
	global_load_dwordx2 v[18:19], v1, s[36:37]
	s_waitcnt vmcnt(0)
	v_sub_co_u32_e32 v18, vcc, 0, v18
	s_nop 1
	v_subb_co_u32_e32 v19, vcc, 0, v19, vcc
	s_or_b64 exec, exec, s[4:5]
                                        ; implicit-def: $vgpr20_vgpr21
	s_and_saveexec_b64 s[4:5], s[20:21]
	s_cbranch_execz .LBB913_44
.LBB913_230:
	v_lshlrev_b32_e32 v1, 3, v35
	global_load_dwordx2 v[20:21], v1, s[36:37]
	s_waitcnt vmcnt(0)
	v_sub_co_u32_e32 v20, vcc, 0, v20
	s_nop 1
	v_subb_co_u32_e32 v21, vcc, 0, v21, vcc
	s_or_b64 exec, exec, s[4:5]
                                        ; implicit-def: $vgpr22_vgpr23
	s_and_saveexec_b64 s[4:5], s[22:23]
	s_cbranch_execz .LBB913_45
.LBB913_231:
	v_lshlrev_b32_e32 v1, 3, v37
	global_load_dwordx2 v[22:23], v1, s[36:37]
	s_waitcnt vmcnt(0)
	v_sub_co_u32_e32 v22, vcc, 0, v22
	s_nop 1
	v_subb_co_u32_e32 v23, vcc, 0, v23, vcc
	s_or_b64 exec, exec, s[4:5]
                                        ; implicit-def: $vgpr24_vgpr25
	s_and_saveexec_b64 s[4:5], s[24:25]
	s_cbranch_execz .LBB913_46
.LBB913_232:
	v_lshlrev_b32_e32 v1, 3, v38
	global_load_dwordx2 v[24:25], v1, s[36:37]
	s_waitcnt vmcnt(0)
	v_sub_co_u32_e32 v24, vcc, 0, v24
	s_nop 1
	v_subb_co_u32_e32 v25, vcc, 0, v25, vcc
	s_or_b64 exec, exec, s[4:5]
                                        ; implicit-def: $vgpr26_vgpr27
	s_and_saveexec_b64 s[4:5], s[26:27]
	s_cbranch_execz .LBB913_47
.LBB913_233:
	v_lshlrev_b32_e32 v1, 3, v39
	global_load_dwordx2 v[26:27], v1, s[36:37]
	s_waitcnt vmcnt(0)
	v_sub_co_u32_e32 v26, vcc, 0, v26
	s_nop 1
	v_subb_co_u32_e32 v27, vcc, 0, v27, vcc
	s_or_b64 exec, exec, s[4:5]
                                        ; implicit-def: $vgpr28_vgpr29
	s_and_saveexec_b64 s[4:5], s[28:29]
	s_cbranch_execz .LBB913_48
.LBB913_234:
	v_lshlrev_b32_e32 v1, 3, v40
	global_load_dwordx2 v[28:29], v1, s[36:37]
	s_waitcnt vmcnt(0)
	v_sub_co_u32_e32 v28, vcc, 0, v28
	s_nop 1
	v_subb_co_u32_e32 v29, vcc, 0, v29, vcc
	s_or_b64 exec, exec, s[4:5]
                                        ; implicit-def: $vgpr30_vgpr31
	s_and_saveexec_b64 s[4:5], s[30:31]
	s_cbranch_execnz .LBB913_49
	s_branch .LBB913_50
.LBB913_235:
                                        ; implicit-def: $sgpr48_sgpr49
	s_branch .LBB913_32
.LBB913_236:
                                        ; implicit-def: $sgpr4_sgpr5
	s_branch .LBB913_81
	.section	.rodata,"a",@progbits
	.p2align	6, 0x0
	.amdhsa_kernel _ZN7rocprim17ROCPRIM_400000_NS6detail17trampoline_kernelINS0_14default_configENS1_27scan_by_key_config_selectorIxxEEZZNS1_16scan_by_key_implILNS1_25lookback_scan_determinismE0ELb0ES3_N6thrust23THRUST_200600_302600_NS6detail15normal_iteratorINS9_10device_ptrIxEEEENS9_18transform_iteratorINS9_6negateIxEESE_NS9_11use_defaultESI_EESE_xNS9_4plusIvEENS9_8equal_toIvEExEE10hipError_tPvRmT2_T3_T4_T5_mT6_T7_P12ihipStream_tbENKUlT_T0_E_clISt17integral_constantIbLb1EES13_IbLb0EEEEDaSZ_S10_EUlSZ_E_NS1_11comp_targetILNS1_3genE5ELNS1_11target_archE942ELNS1_3gpuE9ELNS1_3repE0EEENS1_30default_config_static_selectorELNS0_4arch9wavefront6targetE1EEEvT1_
		.amdhsa_group_segment_fixed_size 32768
		.amdhsa_private_segment_fixed_size 0
		.amdhsa_kernarg_size 144
		.amdhsa_user_sgpr_count 2
		.amdhsa_user_sgpr_dispatch_ptr 0
		.amdhsa_user_sgpr_queue_ptr 0
		.amdhsa_user_sgpr_kernarg_segment_ptr 1
		.amdhsa_user_sgpr_dispatch_id 0
		.amdhsa_user_sgpr_kernarg_preload_length 0
		.amdhsa_user_sgpr_kernarg_preload_offset 0
		.amdhsa_user_sgpr_private_segment_size 0
		.amdhsa_uses_dynamic_stack 0
		.amdhsa_enable_private_segment 0
		.amdhsa_system_sgpr_workgroup_id_x 1
		.amdhsa_system_sgpr_workgroup_id_y 0
		.amdhsa_system_sgpr_workgroup_id_z 0
		.amdhsa_system_sgpr_workgroup_info 0
		.amdhsa_system_vgpr_workitem_id 0
		.amdhsa_next_free_vgpr 92
		.amdhsa_next_free_sgpr 66
		.amdhsa_accum_offset 92
		.amdhsa_reserve_vcc 1
		.amdhsa_float_round_mode_32 0
		.amdhsa_float_round_mode_16_64 0
		.amdhsa_float_denorm_mode_32 3
		.amdhsa_float_denorm_mode_16_64 3
		.amdhsa_dx10_clamp 1
		.amdhsa_ieee_mode 1
		.amdhsa_fp16_overflow 0
		.amdhsa_tg_split 0
		.amdhsa_exception_fp_ieee_invalid_op 0
		.amdhsa_exception_fp_denorm_src 0
		.amdhsa_exception_fp_ieee_div_zero 0
		.amdhsa_exception_fp_ieee_overflow 0
		.amdhsa_exception_fp_ieee_underflow 0
		.amdhsa_exception_fp_ieee_inexact 0
		.amdhsa_exception_int_div_zero 0
	.end_amdhsa_kernel
	.section	.text._ZN7rocprim17ROCPRIM_400000_NS6detail17trampoline_kernelINS0_14default_configENS1_27scan_by_key_config_selectorIxxEEZZNS1_16scan_by_key_implILNS1_25lookback_scan_determinismE0ELb0ES3_N6thrust23THRUST_200600_302600_NS6detail15normal_iteratorINS9_10device_ptrIxEEEENS9_18transform_iteratorINS9_6negateIxEESE_NS9_11use_defaultESI_EESE_xNS9_4plusIvEENS9_8equal_toIvEExEE10hipError_tPvRmT2_T3_T4_T5_mT6_T7_P12ihipStream_tbENKUlT_T0_E_clISt17integral_constantIbLb1EES13_IbLb0EEEEDaSZ_S10_EUlSZ_E_NS1_11comp_targetILNS1_3genE5ELNS1_11target_archE942ELNS1_3gpuE9ELNS1_3repE0EEENS1_30default_config_static_selectorELNS0_4arch9wavefront6targetE1EEEvT1_,"axG",@progbits,_ZN7rocprim17ROCPRIM_400000_NS6detail17trampoline_kernelINS0_14default_configENS1_27scan_by_key_config_selectorIxxEEZZNS1_16scan_by_key_implILNS1_25lookback_scan_determinismE0ELb0ES3_N6thrust23THRUST_200600_302600_NS6detail15normal_iteratorINS9_10device_ptrIxEEEENS9_18transform_iteratorINS9_6negateIxEESE_NS9_11use_defaultESI_EESE_xNS9_4plusIvEENS9_8equal_toIvEExEE10hipError_tPvRmT2_T3_T4_T5_mT6_T7_P12ihipStream_tbENKUlT_T0_E_clISt17integral_constantIbLb1EES13_IbLb0EEEEDaSZ_S10_EUlSZ_E_NS1_11comp_targetILNS1_3genE5ELNS1_11target_archE942ELNS1_3gpuE9ELNS1_3repE0EEENS1_30default_config_static_selectorELNS0_4arch9wavefront6targetE1EEEvT1_,comdat
.Lfunc_end913:
	.size	_ZN7rocprim17ROCPRIM_400000_NS6detail17trampoline_kernelINS0_14default_configENS1_27scan_by_key_config_selectorIxxEEZZNS1_16scan_by_key_implILNS1_25lookback_scan_determinismE0ELb0ES3_N6thrust23THRUST_200600_302600_NS6detail15normal_iteratorINS9_10device_ptrIxEEEENS9_18transform_iteratorINS9_6negateIxEESE_NS9_11use_defaultESI_EESE_xNS9_4plusIvEENS9_8equal_toIvEExEE10hipError_tPvRmT2_T3_T4_T5_mT6_T7_P12ihipStream_tbENKUlT_T0_E_clISt17integral_constantIbLb1EES13_IbLb0EEEEDaSZ_S10_EUlSZ_E_NS1_11comp_targetILNS1_3genE5ELNS1_11target_archE942ELNS1_3gpuE9ELNS1_3repE0EEENS1_30default_config_static_selectorELNS0_4arch9wavefront6targetE1EEEvT1_, .Lfunc_end913-_ZN7rocprim17ROCPRIM_400000_NS6detail17trampoline_kernelINS0_14default_configENS1_27scan_by_key_config_selectorIxxEEZZNS1_16scan_by_key_implILNS1_25lookback_scan_determinismE0ELb0ES3_N6thrust23THRUST_200600_302600_NS6detail15normal_iteratorINS9_10device_ptrIxEEEENS9_18transform_iteratorINS9_6negateIxEESE_NS9_11use_defaultESI_EESE_xNS9_4plusIvEENS9_8equal_toIvEExEE10hipError_tPvRmT2_T3_T4_T5_mT6_T7_P12ihipStream_tbENKUlT_T0_E_clISt17integral_constantIbLb1EES13_IbLb0EEEEDaSZ_S10_EUlSZ_E_NS1_11comp_targetILNS1_3genE5ELNS1_11target_archE942ELNS1_3gpuE9ELNS1_3repE0EEENS1_30default_config_static_selectorELNS0_4arch9wavefront6targetE1EEEvT1_
                                        ; -- End function
	.section	.AMDGPU.csdata,"",@progbits
; Kernel info:
; codeLenInByte = 12716
; NumSgprs: 72
; NumVgprs: 92
; NumAgprs: 0
; TotalNumVgprs: 92
; ScratchSize: 0
; MemoryBound: 0
; FloatMode: 240
; IeeeMode: 1
; LDSByteSize: 32768 bytes/workgroup (compile time only)
; SGPRBlocks: 8
; VGPRBlocks: 11
; NumSGPRsForWavesPerEU: 72
; NumVGPRsForWavesPerEU: 92
; AccumOffset: 92
; Occupancy: 2
; WaveLimiterHint : 1
; COMPUTE_PGM_RSRC2:SCRATCH_EN: 0
; COMPUTE_PGM_RSRC2:USER_SGPR: 2
; COMPUTE_PGM_RSRC2:TRAP_HANDLER: 0
; COMPUTE_PGM_RSRC2:TGID_X_EN: 1
; COMPUTE_PGM_RSRC2:TGID_Y_EN: 0
; COMPUTE_PGM_RSRC2:TGID_Z_EN: 0
; COMPUTE_PGM_RSRC2:TIDIG_COMP_CNT: 0
; COMPUTE_PGM_RSRC3_GFX90A:ACCUM_OFFSET: 22
; COMPUTE_PGM_RSRC3_GFX90A:TG_SPLIT: 0
	.section	.text._ZN7rocprim17ROCPRIM_400000_NS6detail17trampoline_kernelINS0_14default_configENS1_27scan_by_key_config_selectorIxxEEZZNS1_16scan_by_key_implILNS1_25lookback_scan_determinismE0ELb0ES3_N6thrust23THRUST_200600_302600_NS6detail15normal_iteratorINS9_10device_ptrIxEEEENS9_18transform_iteratorINS9_6negateIxEESE_NS9_11use_defaultESI_EESE_xNS9_4plusIvEENS9_8equal_toIvEExEE10hipError_tPvRmT2_T3_T4_T5_mT6_T7_P12ihipStream_tbENKUlT_T0_E_clISt17integral_constantIbLb1EES13_IbLb0EEEEDaSZ_S10_EUlSZ_E_NS1_11comp_targetILNS1_3genE4ELNS1_11target_archE910ELNS1_3gpuE8ELNS1_3repE0EEENS1_30default_config_static_selectorELNS0_4arch9wavefront6targetE1EEEvT1_,"axG",@progbits,_ZN7rocprim17ROCPRIM_400000_NS6detail17trampoline_kernelINS0_14default_configENS1_27scan_by_key_config_selectorIxxEEZZNS1_16scan_by_key_implILNS1_25lookback_scan_determinismE0ELb0ES3_N6thrust23THRUST_200600_302600_NS6detail15normal_iteratorINS9_10device_ptrIxEEEENS9_18transform_iteratorINS9_6negateIxEESE_NS9_11use_defaultESI_EESE_xNS9_4plusIvEENS9_8equal_toIvEExEE10hipError_tPvRmT2_T3_T4_T5_mT6_T7_P12ihipStream_tbENKUlT_T0_E_clISt17integral_constantIbLb1EES13_IbLb0EEEEDaSZ_S10_EUlSZ_E_NS1_11comp_targetILNS1_3genE4ELNS1_11target_archE910ELNS1_3gpuE8ELNS1_3repE0EEENS1_30default_config_static_selectorELNS0_4arch9wavefront6targetE1EEEvT1_,comdat
	.protected	_ZN7rocprim17ROCPRIM_400000_NS6detail17trampoline_kernelINS0_14default_configENS1_27scan_by_key_config_selectorIxxEEZZNS1_16scan_by_key_implILNS1_25lookback_scan_determinismE0ELb0ES3_N6thrust23THRUST_200600_302600_NS6detail15normal_iteratorINS9_10device_ptrIxEEEENS9_18transform_iteratorINS9_6negateIxEESE_NS9_11use_defaultESI_EESE_xNS9_4plusIvEENS9_8equal_toIvEExEE10hipError_tPvRmT2_T3_T4_T5_mT6_T7_P12ihipStream_tbENKUlT_T0_E_clISt17integral_constantIbLb1EES13_IbLb0EEEEDaSZ_S10_EUlSZ_E_NS1_11comp_targetILNS1_3genE4ELNS1_11target_archE910ELNS1_3gpuE8ELNS1_3repE0EEENS1_30default_config_static_selectorELNS0_4arch9wavefront6targetE1EEEvT1_ ; -- Begin function _ZN7rocprim17ROCPRIM_400000_NS6detail17trampoline_kernelINS0_14default_configENS1_27scan_by_key_config_selectorIxxEEZZNS1_16scan_by_key_implILNS1_25lookback_scan_determinismE0ELb0ES3_N6thrust23THRUST_200600_302600_NS6detail15normal_iteratorINS9_10device_ptrIxEEEENS9_18transform_iteratorINS9_6negateIxEESE_NS9_11use_defaultESI_EESE_xNS9_4plusIvEENS9_8equal_toIvEExEE10hipError_tPvRmT2_T3_T4_T5_mT6_T7_P12ihipStream_tbENKUlT_T0_E_clISt17integral_constantIbLb1EES13_IbLb0EEEEDaSZ_S10_EUlSZ_E_NS1_11comp_targetILNS1_3genE4ELNS1_11target_archE910ELNS1_3gpuE8ELNS1_3repE0EEENS1_30default_config_static_selectorELNS0_4arch9wavefront6targetE1EEEvT1_
	.globl	_ZN7rocprim17ROCPRIM_400000_NS6detail17trampoline_kernelINS0_14default_configENS1_27scan_by_key_config_selectorIxxEEZZNS1_16scan_by_key_implILNS1_25lookback_scan_determinismE0ELb0ES3_N6thrust23THRUST_200600_302600_NS6detail15normal_iteratorINS9_10device_ptrIxEEEENS9_18transform_iteratorINS9_6negateIxEESE_NS9_11use_defaultESI_EESE_xNS9_4plusIvEENS9_8equal_toIvEExEE10hipError_tPvRmT2_T3_T4_T5_mT6_T7_P12ihipStream_tbENKUlT_T0_E_clISt17integral_constantIbLb1EES13_IbLb0EEEEDaSZ_S10_EUlSZ_E_NS1_11comp_targetILNS1_3genE4ELNS1_11target_archE910ELNS1_3gpuE8ELNS1_3repE0EEENS1_30default_config_static_selectorELNS0_4arch9wavefront6targetE1EEEvT1_
	.p2align	8
	.type	_ZN7rocprim17ROCPRIM_400000_NS6detail17trampoline_kernelINS0_14default_configENS1_27scan_by_key_config_selectorIxxEEZZNS1_16scan_by_key_implILNS1_25lookback_scan_determinismE0ELb0ES3_N6thrust23THRUST_200600_302600_NS6detail15normal_iteratorINS9_10device_ptrIxEEEENS9_18transform_iteratorINS9_6negateIxEESE_NS9_11use_defaultESI_EESE_xNS9_4plusIvEENS9_8equal_toIvEExEE10hipError_tPvRmT2_T3_T4_T5_mT6_T7_P12ihipStream_tbENKUlT_T0_E_clISt17integral_constantIbLb1EES13_IbLb0EEEEDaSZ_S10_EUlSZ_E_NS1_11comp_targetILNS1_3genE4ELNS1_11target_archE910ELNS1_3gpuE8ELNS1_3repE0EEENS1_30default_config_static_selectorELNS0_4arch9wavefront6targetE1EEEvT1_,@function
_ZN7rocprim17ROCPRIM_400000_NS6detail17trampoline_kernelINS0_14default_configENS1_27scan_by_key_config_selectorIxxEEZZNS1_16scan_by_key_implILNS1_25lookback_scan_determinismE0ELb0ES3_N6thrust23THRUST_200600_302600_NS6detail15normal_iteratorINS9_10device_ptrIxEEEENS9_18transform_iteratorINS9_6negateIxEESE_NS9_11use_defaultESI_EESE_xNS9_4plusIvEENS9_8equal_toIvEExEE10hipError_tPvRmT2_T3_T4_T5_mT6_T7_P12ihipStream_tbENKUlT_T0_E_clISt17integral_constantIbLb1EES13_IbLb0EEEEDaSZ_S10_EUlSZ_E_NS1_11comp_targetILNS1_3genE4ELNS1_11target_archE910ELNS1_3gpuE8ELNS1_3repE0EEENS1_30default_config_static_selectorELNS0_4arch9wavefront6targetE1EEEvT1_: ; @_ZN7rocprim17ROCPRIM_400000_NS6detail17trampoline_kernelINS0_14default_configENS1_27scan_by_key_config_selectorIxxEEZZNS1_16scan_by_key_implILNS1_25lookback_scan_determinismE0ELb0ES3_N6thrust23THRUST_200600_302600_NS6detail15normal_iteratorINS9_10device_ptrIxEEEENS9_18transform_iteratorINS9_6negateIxEESE_NS9_11use_defaultESI_EESE_xNS9_4plusIvEENS9_8equal_toIvEExEE10hipError_tPvRmT2_T3_T4_T5_mT6_T7_P12ihipStream_tbENKUlT_T0_E_clISt17integral_constantIbLb1EES13_IbLb0EEEEDaSZ_S10_EUlSZ_E_NS1_11comp_targetILNS1_3genE4ELNS1_11target_archE910ELNS1_3gpuE8ELNS1_3repE0EEENS1_30default_config_static_selectorELNS0_4arch9wavefront6targetE1EEEvT1_
; %bb.0:
	.section	.rodata,"a",@progbits
	.p2align	6, 0x0
	.amdhsa_kernel _ZN7rocprim17ROCPRIM_400000_NS6detail17trampoline_kernelINS0_14default_configENS1_27scan_by_key_config_selectorIxxEEZZNS1_16scan_by_key_implILNS1_25lookback_scan_determinismE0ELb0ES3_N6thrust23THRUST_200600_302600_NS6detail15normal_iteratorINS9_10device_ptrIxEEEENS9_18transform_iteratorINS9_6negateIxEESE_NS9_11use_defaultESI_EESE_xNS9_4plusIvEENS9_8equal_toIvEExEE10hipError_tPvRmT2_T3_T4_T5_mT6_T7_P12ihipStream_tbENKUlT_T0_E_clISt17integral_constantIbLb1EES13_IbLb0EEEEDaSZ_S10_EUlSZ_E_NS1_11comp_targetILNS1_3genE4ELNS1_11target_archE910ELNS1_3gpuE8ELNS1_3repE0EEENS1_30default_config_static_selectorELNS0_4arch9wavefront6targetE1EEEvT1_
		.amdhsa_group_segment_fixed_size 0
		.amdhsa_private_segment_fixed_size 0
		.amdhsa_kernarg_size 144
		.amdhsa_user_sgpr_count 2
		.amdhsa_user_sgpr_dispatch_ptr 0
		.amdhsa_user_sgpr_queue_ptr 0
		.amdhsa_user_sgpr_kernarg_segment_ptr 1
		.amdhsa_user_sgpr_dispatch_id 0
		.amdhsa_user_sgpr_kernarg_preload_length 0
		.amdhsa_user_sgpr_kernarg_preload_offset 0
		.amdhsa_user_sgpr_private_segment_size 0
		.amdhsa_uses_dynamic_stack 0
		.amdhsa_enable_private_segment 0
		.amdhsa_system_sgpr_workgroup_id_x 1
		.amdhsa_system_sgpr_workgroup_id_y 0
		.amdhsa_system_sgpr_workgroup_id_z 0
		.amdhsa_system_sgpr_workgroup_info 0
		.amdhsa_system_vgpr_workitem_id 0
		.amdhsa_next_free_vgpr 1
		.amdhsa_next_free_sgpr 0
		.amdhsa_accum_offset 4
		.amdhsa_reserve_vcc 0
		.amdhsa_float_round_mode_32 0
		.amdhsa_float_round_mode_16_64 0
		.amdhsa_float_denorm_mode_32 3
		.amdhsa_float_denorm_mode_16_64 3
		.amdhsa_dx10_clamp 1
		.amdhsa_ieee_mode 1
		.amdhsa_fp16_overflow 0
		.amdhsa_tg_split 0
		.amdhsa_exception_fp_ieee_invalid_op 0
		.amdhsa_exception_fp_denorm_src 0
		.amdhsa_exception_fp_ieee_div_zero 0
		.amdhsa_exception_fp_ieee_overflow 0
		.amdhsa_exception_fp_ieee_underflow 0
		.amdhsa_exception_fp_ieee_inexact 0
		.amdhsa_exception_int_div_zero 0
	.end_amdhsa_kernel
	.section	.text._ZN7rocprim17ROCPRIM_400000_NS6detail17trampoline_kernelINS0_14default_configENS1_27scan_by_key_config_selectorIxxEEZZNS1_16scan_by_key_implILNS1_25lookback_scan_determinismE0ELb0ES3_N6thrust23THRUST_200600_302600_NS6detail15normal_iteratorINS9_10device_ptrIxEEEENS9_18transform_iteratorINS9_6negateIxEESE_NS9_11use_defaultESI_EESE_xNS9_4plusIvEENS9_8equal_toIvEExEE10hipError_tPvRmT2_T3_T4_T5_mT6_T7_P12ihipStream_tbENKUlT_T0_E_clISt17integral_constantIbLb1EES13_IbLb0EEEEDaSZ_S10_EUlSZ_E_NS1_11comp_targetILNS1_3genE4ELNS1_11target_archE910ELNS1_3gpuE8ELNS1_3repE0EEENS1_30default_config_static_selectorELNS0_4arch9wavefront6targetE1EEEvT1_,"axG",@progbits,_ZN7rocprim17ROCPRIM_400000_NS6detail17trampoline_kernelINS0_14default_configENS1_27scan_by_key_config_selectorIxxEEZZNS1_16scan_by_key_implILNS1_25lookback_scan_determinismE0ELb0ES3_N6thrust23THRUST_200600_302600_NS6detail15normal_iteratorINS9_10device_ptrIxEEEENS9_18transform_iteratorINS9_6negateIxEESE_NS9_11use_defaultESI_EESE_xNS9_4plusIvEENS9_8equal_toIvEExEE10hipError_tPvRmT2_T3_T4_T5_mT6_T7_P12ihipStream_tbENKUlT_T0_E_clISt17integral_constantIbLb1EES13_IbLb0EEEEDaSZ_S10_EUlSZ_E_NS1_11comp_targetILNS1_3genE4ELNS1_11target_archE910ELNS1_3gpuE8ELNS1_3repE0EEENS1_30default_config_static_selectorELNS0_4arch9wavefront6targetE1EEEvT1_,comdat
.Lfunc_end914:
	.size	_ZN7rocprim17ROCPRIM_400000_NS6detail17trampoline_kernelINS0_14default_configENS1_27scan_by_key_config_selectorIxxEEZZNS1_16scan_by_key_implILNS1_25lookback_scan_determinismE0ELb0ES3_N6thrust23THRUST_200600_302600_NS6detail15normal_iteratorINS9_10device_ptrIxEEEENS9_18transform_iteratorINS9_6negateIxEESE_NS9_11use_defaultESI_EESE_xNS9_4plusIvEENS9_8equal_toIvEExEE10hipError_tPvRmT2_T3_T4_T5_mT6_T7_P12ihipStream_tbENKUlT_T0_E_clISt17integral_constantIbLb1EES13_IbLb0EEEEDaSZ_S10_EUlSZ_E_NS1_11comp_targetILNS1_3genE4ELNS1_11target_archE910ELNS1_3gpuE8ELNS1_3repE0EEENS1_30default_config_static_selectorELNS0_4arch9wavefront6targetE1EEEvT1_, .Lfunc_end914-_ZN7rocprim17ROCPRIM_400000_NS6detail17trampoline_kernelINS0_14default_configENS1_27scan_by_key_config_selectorIxxEEZZNS1_16scan_by_key_implILNS1_25lookback_scan_determinismE0ELb0ES3_N6thrust23THRUST_200600_302600_NS6detail15normal_iteratorINS9_10device_ptrIxEEEENS9_18transform_iteratorINS9_6negateIxEESE_NS9_11use_defaultESI_EESE_xNS9_4plusIvEENS9_8equal_toIvEExEE10hipError_tPvRmT2_T3_T4_T5_mT6_T7_P12ihipStream_tbENKUlT_T0_E_clISt17integral_constantIbLb1EES13_IbLb0EEEEDaSZ_S10_EUlSZ_E_NS1_11comp_targetILNS1_3genE4ELNS1_11target_archE910ELNS1_3gpuE8ELNS1_3repE0EEENS1_30default_config_static_selectorELNS0_4arch9wavefront6targetE1EEEvT1_
                                        ; -- End function
	.section	.AMDGPU.csdata,"",@progbits
; Kernel info:
; codeLenInByte = 0
; NumSgprs: 6
; NumVgprs: 0
; NumAgprs: 0
; TotalNumVgprs: 0
; ScratchSize: 0
; MemoryBound: 0
; FloatMode: 240
; IeeeMode: 1
; LDSByteSize: 0 bytes/workgroup (compile time only)
; SGPRBlocks: 0
; VGPRBlocks: 0
; NumSGPRsForWavesPerEU: 6
; NumVGPRsForWavesPerEU: 1
; AccumOffset: 4
; Occupancy: 8
; WaveLimiterHint : 0
; COMPUTE_PGM_RSRC2:SCRATCH_EN: 0
; COMPUTE_PGM_RSRC2:USER_SGPR: 2
; COMPUTE_PGM_RSRC2:TRAP_HANDLER: 0
; COMPUTE_PGM_RSRC2:TGID_X_EN: 1
; COMPUTE_PGM_RSRC2:TGID_Y_EN: 0
; COMPUTE_PGM_RSRC2:TGID_Z_EN: 0
; COMPUTE_PGM_RSRC2:TIDIG_COMP_CNT: 0
; COMPUTE_PGM_RSRC3_GFX90A:ACCUM_OFFSET: 0
; COMPUTE_PGM_RSRC3_GFX90A:TG_SPLIT: 0
	.section	.text._ZN7rocprim17ROCPRIM_400000_NS6detail17trampoline_kernelINS0_14default_configENS1_27scan_by_key_config_selectorIxxEEZZNS1_16scan_by_key_implILNS1_25lookback_scan_determinismE0ELb0ES3_N6thrust23THRUST_200600_302600_NS6detail15normal_iteratorINS9_10device_ptrIxEEEENS9_18transform_iteratorINS9_6negateIxEESE_NS9_11use_defaultESI_EESE_xNS9_4plusIvEENS9_8equal_toIvEExEE10hipError_tPvRmT2_T3_T4_T5_mT6_T7_P12ihipStream_tbENKUlT_T0_E_clISt17integral_constantIbLb1EES13_IbLb0EEEEDaSZ_S10_EUlSZ_E_NS1_11comp_targetILNS1_3genE3ELNS1_11target_archE908ELNS1_3gpuE7ELNS1_3repE0EEENS1_30default_config_static_selectorELNS0_4arch9wavefront6targetE1EEEvT1_,"axG",@progbits,_ZN7rocprim17ROCPRIM_400000_NS6detail17trampoline_kernelINS0_14default_configENS1_27scan_by_key_config_selectorIxxEEZZNS1_16scan_by_key_implILNS1_25lookback_scan_determinismE0ELb0ES3_N6thrust23THRUST_200600_302600_NS6detail15normal_iteratorINS9_10device_ptrIxEEEENS9_18transform_iteratorINS9_6negateIxEESE_NS9_11use_defaultESI_EESE_xNS9_4plusIvEENS9_8equal_toIvEExEE10hipError_tPvRmT2_T3_T4_T5_mT6_T7_P12ihipStream_tbENKUlT_T0_E_clISt17integral_constantIbLb1EES13_IbLb0EEEEDaSZ_S10_EUlSZ_E_NS1_11comp_targetILNS1_3genE3ELNS1_11target_archE908ELNS1_3gpuE7ELNS1_3repE0EEENS1_30default_config_static_selectorELNS0_4arch9wavefront6targetE1EEEvT1_,comdat
	.protected	_ZN7rocprim17ROCPRIM_400000_NS6detail17trampoline_kernelINS0_14default_configENS1_27scan_by_key_config_selectorIxxEEZZNS1_16scan_by_key_implILNS1_25lookback_scan_determinismE0ELb0ES3_N6thrust23THRUST_200600_302600_NS6detail15normal_iteratorINS9_10device_ptrIxEEEENS9_18transform_iteratorINS9_6negateIxEESE_NS9_11use_defaultESI_EESE_xNS9_4plusIvEENS9_8equal_toIvEExEE10hipError_tPvRmT2_T3_T4_T5_mT6_T7_P12ihipStream_tbENKUlT_T0_E_clISt17integral_constantIbLb1EES13_IbLb0EEEEDaSZ_S10_EUlSZ_E_NS1_11comp_targetILNS1_3genE3ELNS1_11target_archE908ELNS1_3gpuE7ELNS1_3repE0EEENS1_30default_config_static_selectorELNS0_4arch9wavefront6targetE1EEEvT1_ ; -- Begin function _ZN7rocprim17ROCPRIM_400000_NS6detail17trampoline_kernelINS0_14default_configENS1_27scan_by_key_config_selectorIxxEEZZNS1_16scan_by_key_implILNS1_25lookback_scan_determinismE0ELb0ES3_N6thrust23THRUST_200600_302600_NS6detail15normal_iteratorINS9_10device_ptrIxEEEENS9_18transform_iteratorINS9_6negateIxEESE_NS9_11use_defaultESI_EESE_xNS9_4plusIvEENS9_8equal_toIvEExEE10hipError_tPvRmT2_T3_T4_T5_mT6_T7_P12ihipStream_tbENKUlT_T0_E_clISt17integral_constantIbLb1EES13_IbLb0EEEEDaSZ_S10_EUlSZ_E_NS1_11comp_targetILNS1_3genE3ELNS1_11target_archE908ELNS1_3gpuE7ELNS1_3repE0EEENS1_30default_config_static_selectorELNS0_4arch9wavefront6targetE1EEEvT1_
	.globl	_ZN7rocprim17ROCPRIM_400000_NS6detail17trampoline_kernelINS0_14default_configENS1_27scan_by_key_config_selectorIxxEEZZNS1_16scan_by_key_implILNS1_25lookback_scan_determinismE0ELb0ES3_N6thrust23THRUST_200600_302600_NS6detail15normal_iteratorINS9_10device_ptrIxEEEENS9_18transform_iteratorINS9_6negateIxEESE_NS9_11use_defaultESI_EESE_xNS9_4plusIvEENS9_8equal_toIvEExEE10hipError_tPvRmT2_T3_T4_T5_mT6_T7_P12ihipStream_tbENKUlT_T0_E_clISt17integral_constantIbLb1EES13_IbLb0EEEEDaSZ_S10_EUlSZ_E_NS1_11comp_targetILNS1_3genE3ELNS1_11target_archE908ELNS1_3gpuE7ELNS1_3repE0EEENS1_30default_config_static_selectorELNS0_4arch9wavefront6targetE1EEEvT1_
	.p2align	8
	.type	_ZN7rocprim17ROCPRIM_400000_NS6detail17trampoline_kernelINS0_14default_configENS1_27scan_by_key_config_selectorIxxEEZZNS1_16scan_by_key_implILNS1_25lookback_scan_determinismE0ELb0ES3_N6thrust23THRUST_200600_302600_NS6detail15normal_iteratorINS9_10device_ptrIxEEEENS9_18transform_iteratorINS9_6negateIxEESE_NS9_11use_defaultESI_EESE_xNS9_4plusIvEENS9_8equal_toIvEExEE10hipError_tPvRmT2_T3_T4_T5_mT6_T7_P12ihipStream_tbENKUlT_T0_E_clISt17integral_constantIbLb1EES13_IbLb0EEEEDaSZ_S10_EUlSZ_E_NS1_11comp_targetILNS1_3genE3ELNS1_11target_archE908ELNS1_3gpuE7ELNS1_3repE0EEENS1_30default_config_static_selectorELNS0_4arch9wavefront6targetE1EEEvT1_,@function
_ZN7rocprim17ROCPRIM_400000_NS6detail17trampoline_kernelINS0_14default_configENS1_27scan_by_key_config_selectorIxxEEZZNS1_16scan_by_key_implILNS1_25lookback_scan_determinismE0ELb0ES3_N6thrust23THRUST_200600_302600_NS6detail15normal_iteratorINS9_10device_ptrIxEEEENS9_18transform_iteratorINS9_6negateIxEESE_NS9_11use_defaultESI_EESE_xNS9_4plusIvEENS9_8equal_toIvEExEE10hipError_tPvRmT2_T3_T4_T5_mT6_T7_P12ihipStream_tbENKUlT_T0_E_clISt17integral_constantIbLb1EES13_IbLb0EEEEDaSZ_S10_EUlSZ_E_NS1_11comp_targetILNS1_3genE3ELNS1_11target_archE908ELNS1_3gpuE7ELNS1_3repE0EEENS1_30default_config_static_selectorELNS0_4arch9wavefront6targetE1EEEvT1_: ; @_ZN7rocprim17ROCPRIM_400000_NS6detail17trampoline_kernelINS0_14default_configENS1_27scan_by_key_config_selectorIxxEEZZNS1_16scan_by_key_implILNS1_25lookback_scan_determinismE0ELb0ES3_N6thrust23THRUST_200600_302600_NS6detail15normal_iteratorINS9_10device_ptrIxEEEENS9_18transform_iteratorINS9_6negateIxEESE_NS9_11use_defaultESI_EESE_xNS9_4plusIvEENS9_8equal_toIvEExEE10hipError_tPvRmT2_T3_T4_T5_mT6_T7_P12ihipStream_tbENKUlT_T0_E_clISt17integral_constantIbLb1EES13_IbLb0EEEEDaSZ_S10_EUlSZ_E_NS1_11comp_targetILNS1_3genE3ELNS1_11target_archE908ELNS1_3gpuE7ELNS1_3repE0EEENS1_30default_config_static_selectorELNS0_4arch9wavefront6targetE1EEEvT1_
; %bb.0:
	.section	.rodata,"a",@progbits
	.p2align	6, 0x0
	.amdhsa_kernel _ZN7rocprim17ROCPRIM_400000_NS6detail17trampoline_kernelINS0_14default_configENS1_27scan_by_key_config_selectorIxxEEZZNS1_16scan_by_key_implILNS1_25lookback_scan_determinismE0ELb0ES3_N6thrust23THRUST_200600_302600_NS6detail15normal_iteratorINS9_10device_ptrIxEEEENS9_18transform_iteratorINS9_6negateIxEESE_NS9_11use_defaultESI_EESE_xNS9_4plusIvEENS9_8equal_toIvEExEE10hipError_tPvRmT2_T3_T4_T5_mT6_T7_P12ihipStream_tbENKUlT_T0_E_clISt17integral_constantIbLb1EES13_IbLb0EEEEDaSZ_S10_EUlSZ_E_NS1_11comp_targetILNS1_3genE3ELNS1_11target_archE908ELNS1_3gpuE7ELNS1_3repE0EEENS1_30default_config_static_selectorELNS0_4arch9wavefront6targetE1EEEvT1_
		.amdhsa_group_segment_fixed_size 0
		.amdhsa_private_segment_fixed_size 0
		.amdhsa_kernarg_size 144
		.amdhsa_user_sgpr_count 2
		.amdhsa_user_sgpr_dispatch_ptr 0
		.amdhsa_user_sgpr_queue_ptr 0
		.amdhsa_user_sgpr_kernarg_segment_ptr 1
		.amdhsa_user_sgpr_dispatch_id 0
		.amdhsa_user_sgpr_kernarg_preload_length 0
		.amdhsa_user_sgpr_kernarg_preload_offset 0
		.amdhsa_user_sgpr_private_segment_size 0
		.amdhsa_uses_dynamic_stack 0
		.amdhsa_enable_private_segment 0
		.amdhsa_system_sgpr_workgroup_id_x 1
		.amdhsa_system_sgpr_workgroup_id_y 0
		.amdhsa_system_sgpr_workgroup_id_z 0
		.amdhsa_system_sgpr_workgroup_info 0
		.amdhsa_system_vgpr_workitem_id 0
		.amdhsa_next_free_vgpr 1
		.amdhsa_next_free_sgpr 0
		.amdhsa_accum_offset 4
		.amdhsa_reserve_vcc 0
		.amdhsa_float_round_mode_32 0
		.amdhsa_float_round_mode_16_64 0
		.amdhsa_float_denorm_mode_32 3
		.amdhsa_float_denorm_mode_16_64 3
		.amdhsa_dx10_clamp 1
		.amdhsa_ieee_mode 1
		.amdhsa_fp16_overflow 0
		.amdhsa_tg_split 0
		.amdhsa_exception_fp_ieee_invalid_op 0
		.amdhsa_exception_fp_denorm_src 0
		.amdhsa_exception_fp_ieee_div_zero 0
		.amdhsa_exception_fp_ieee_overflow 0
		.amdhsa_exception_fp_ieee_underflow 0
		.amdhsa_exception_fp_ieee_inexact 0
		.amdhsa_exception_int_div_zero 0
	.end_amdhsa_kernel
	.section	.text._ZN7rocprim17ROCPRIM_400000_NS6detail17trampoline_kernelINS0_14default_configENS1_27scan_by_key_config_selectorIxxEEZZNS1_16scan_by_key_implILNS1_25lookback_scan_determinismE0ELb0ES3_N6thrust23THRUST_200600_302600_NS6detail15normal_iteratorINS9_10device_ptrIxEEEENS9_18transform_iteratorINS9_6negateIxEESE_NS9_11use_defaultESI_EESE_xNS9_4plusIvEENS9_8equal_toIvEExEE10hipError_tPvRmT2_T3_T4_T5_mT6_T7_P12ihipStream_tbENKUlT_T0_E_clISt17integral_constantIbLb1EES13_IbLb0EEEEDaSZ_S10_EUlSZ_E_NS1_11comp_targetILNS1_3genE3ELNS1_11target_archE908ELNS1_3gpuE7ELNS1_3repE0EEENS1_30default_config_static_selectorELNS0_4arch9wavefront6targetE1EEEvT1_,"axG",@progbits,_ZN7rocprim17ROCPRIM_400000_NS6detail17trampoline_kernelINS0_14default_configENS1_27scan_by_key_config_selectorIxxEEZZNS1_16scan_by_key_implILNS1_25lookback_scan_determinismE0ELb0ES3_N6thrust23THRUST_200600_302600_NS6detail15normal_iteratorINS9_10device_ptrIxEEEENS9_18transform_iteratorINS9_6negateIxEESE_NS9_11use_defaultESI_EESE_xNS9_4plusIvEENS9_8equal_toIvEExEE10hipError_tPvRmT2_T3_T4_T5_mT6_T7_P12ihipStream_tbENKUlT_T0_E_clISt17integral_constantIbLb1EES13_IbLb0EEEEDaSZ_S10_EUlSZ_E_NS1_11comp_targetILNS1_3genE3ELNS1_11target_archE908ELNS1_3gpuE7ELNS1_3repE0EEENS1_30default_config_static_selectorELNS0_4arch9wavefront6targetE1EEEvT1_,comdat
.Lfunc_end915:
	.size	_ZN7rocprim17ROCPRIM_400000_NS6detail17trampoline_kernelINS0_14default_configENS1_27scan_by_key_config_selectorIxxEEZZNS1_16scan_by_key_implILNS1_25lookback_scan_determinismE0ELb0ES3_N6thrust23THRUST_200600_302600_NS6detail15normal_iteratorINS9_10device_ptrIxEEEENS9_18transform_iteratorINS9_6negateIxEESE_NS9_11use_defaultESI_EESE_xNS9_4plusIvEENS9_8equal_toIvEExEE10hipError_tPvRmT2_T3_T4_T5_mT6_T7_P12ihipStream_tbENKUlT_T0_E_clISt17integral_constantIbLb1EES13_IbLb0EEEEDaSZ_S10_EUlSZ_E_NS1_11comp_targetILNS1_3genE3ELNS1_11target_archE908ELNS1_3gpuE7ELNS1_3repE0EEENS1_30default_config_static_selectorELNS0_4arch9wavefront6targetE1EEEvT1_, .Lfunc_end915-_ZN7rocprim17ROCPRIM_400000_NS6detail17trampoline_kernelINS0_14default_configENS1_27scan_by_key_config_selectorIxxEEZZNS1_16scan_by_key_implILNS1_25lookback_scan_determinismE0ELb0ES3_N6thrust23THRUST_200600_302600_NS6detail15normal_iteratorINS9_10device_ptrIxEEEENS9_18transform_iteratorINS9_6negateIxEESE_NS9_11use_defaultESI_EESE_xNS9_4plusIvEENS9_8equal_toIvEExEE10hipError_tPvRmT2_T3_T4_T5_mT6_T7_P12ihipStream_tbENKUlT_T0_E_clISt17integral_constantIbLb1EES13_IbLb0EEEEDaSZ_S10_EUlSZ_E_NS1_11comp_targetILNS1_3genE3ELNS1_11target_archE908ELNS1_3gpuE7ELNS1_3repE0EEENS1_30default_config_static_selectorELNS0_4arch9wavefront6targetE1EEEvT1_
                                        ; -- End function
	.section	.AMDGPU.csdata,"",@progbits
; Kernel info:
; codeLenInByte = 0
; NumSgprs: 6
; NumVgprs: 0
; NumAgprs: 0
; TotalNumVgprs: 0
; ScratchSize: 0
; MemoryBound: 0
; FloatMode: 240
; IeeeMode: 1
; LDSByteSize: 0 bytes/workgroup (compile time only)
; SGPRBlocks: 0
; VGPRBlocks: 0
; NumSGPRsForWavesPerEU: 6
; NumVGPRsForWavesPerEU: 1
; AccumOffset: 4
; Occupancy: 8
; WaveLimiterHint : 0
; COMPUTE_PGM_RSRC2:SCRATCH_EN: 0
; COMPUTE_PGM_RSRC2:USER_SGPR: 2
; COMPUTE_PGM_RSRC2:TRAP_HANDLER: 0
; COMPUTE_PGM_RSRC2:TGID_X_EN: 1
; COMPUTE_PGM_RSRC2:TGID_Y_EN: 0
; COMPUTE_PGM_RSRC2:TGID_Z_EN: 0
; COMPUTE_PGM_RSRC2:TIDIG_COMP_CNT: 0
; COMPUTE_PGM_RSRC3_GFX90A:ACCUM_OFFSET: 0
; COMPUTE_PGM_RSRC3_GFX90A:TG_SPLIT: 0
	.section	.text._ZN7rocprim17ROCPRIM_400000_NS6detail17trampoline_kernelINS0_14default_configENS1_27scan_by_key_config_selectorIxxEEZZNS1_16scan_by_key_implILNS1_25lookback_scan_determinismE0ELb0ES3_N6thrust23THRUST_200600_302600_NS6detail15normal_iteratorINS9_10device_ptrIxEEEENS9_18transform_iteratorINS9_6negateIxEESE_NS9_11use_defaultESI_EESE_xNS9_4plusIvEENS9_8equal_toIvEExEE10hipError_tPvRmT2_T3_T4_T5_mT6_T7_P12ihipStream_tbENKUlT_T0_E_clISt17integral_constantIbLb1EES13_IbLb0EEEEDaSZ_S10_EUlSZ_E_NS1_11comp_targetILNS1_3genE2ELNS1_11target_archE906ELNS1_3gpuE6ELNS1_3repE0EEENS1_30default_config_static_selectorELNS0_4arch9wavefront6targetE1EEEvT1_,"axG",@progbits,_ZN7rocprim17ROCPRIM_400000_NS6detail17trampoline_kernelINS0_14default_configENS1_27scan_by_key_config_selectorIxxEEZZNS1_16scan_by_key_implILNS1_25lookback_scan_determinismE0ELb0ES3_N6thrust23THRUST_200600_302600_NS6detail15normal_iteratorINS9_10device_ptrIxEEEENS9_18transform_iteratorINS9_6negateIxEESE_NS9_11use_defaultESI_EESE_xNS9_4plusIvEENS9_8equal_toIvEExEE10hipError_tPvRmT2_T3_T4_T5_mT6_T7_P12ihipStream_tbENKUlT_T0_E_clISt17integral_constantIbLb1EES13_IbLb0EEEEDaSZ_S10_EUlSZ_E_NS1_11comp_targetILNS1_3genE2ELNS1_11target_archE906ELNS1_3gpuE6ELNS1_3repE0EEENS1_30default_config_static_selectorELNS0_4arch9wavefront6targetE1EEEvT1_,comdat
	.protected	_ZN7rocprim17ROCPRIM_400000_NS6detail17trampoline_kernelINS0_14default_configENS1_27scan_by_key_config_selectorIxxEEZZNS1_16scan_by_key_implILNS1_25lookback_scan_determinismE0ELb0ES3_N6thrust23THRUST_200600_302600_NS6detail15normal_iteratorINS9_10device_ptrIxEEEENS9_18transform_iteratorINS9_6negateIxEESE_NS9_11use_defaultESI_EESE_xNS9_4plusIvEENS9_8equal_toIvEExEE10hipError_tPvRmT2_T3_T4_T5_mT6_T7_P12ihipStream_tbENKUlT_T0_E_clISt17integral_constantIbLb1EES13_IbLb0EEEEDaSZ_S10_EUlSZ_E_NS1_11comp_targetILNS1_3genE2ELNS1_11target_archE906ELNS1_3gpuE6ELNS1_3repE0EEENS1_30default_config_static_selectorELNS0_4arch9wavefront6targetE1EEEvT1_ ; -- Begin function _ZN7rocprim17ROCPRIM_400000_NS6detail17trampoline_kernelINS0_14default_configENS1_27scan_by_key_config_selectorIxxEEZZNS1_16scan_by_key_implILNS1_25lookback_scan_determinismE0ELb0ES3_N6thrust23THRUST_200600_302600_NS6detail15normal_iteratorINS9_10device_ptrIxEEEENS9_18transform_iteratorINS9_6negateIxEESE_NS9_11use_defaultESI_EESE_xNS9_4plusIvEENS9_8equal_toIvEExEE10hipError_tPvRmT2_T3_T4_T5_mT6_T7_P12ihipStream_tbENKUlT_T0_E_clISt17integral_constantIbLb1EES13_IbLb0EEEEDaSZ_S10_EUlSZ_E_NS1_11comp_targetILNS1_3genE2ELNS1_11target_archE906ELNS1_3gpuE6ELNS1_3repE0EEENS1_30default_config_static_selectorELNS0_4arch9wavefront6targetE1EEEvT1_
	.globl	_ZN7rocprim17ROCPRIM_400000_NS6detail17trampoline_kernelINS0_14default_configENS1_27scan_by_key_config_selectorIxxEEZZNS1_16scan_by_key_implILNS1_25lookback_scan_determinismE0ELb0ES3_N6thrust23THRUST_200600_302600_NS6detail15normal_iteratorINS9_10device_ptrIxEEEENS9_18transform_iteratorINS9_6negateIxEESE_NS9_11use_defaultESI_EESE_xNS9_4plusIvEENS9_8equal_toIvEExEE10hipError_tPvRmT2_T3_T4_T5_mT6_T7_P12ihipStream_tbENKUlT_T0_E_clISt17integral_constantIbLb1EES13_IbLb0EEEEDaSZ_S10_EUlSZ_E_NS1_11comp_targetILNS1_3genE2ELNS1_11target_archE906ELNS1_3gpuE6ELNS1_3repE0EEENS1_30default_config_static_selectorELNS0_4arch9wavefront6targetE1EEEvT1_
	.p2align	8
	.type	_ZN7rocprim17ROCPRIM_400000_NS6detail17trampoline_kernelINS0_14default_configENS1_27scan_by_key_config_selectorIxxEEZZNS1_16scan_by_key_implILNS1_25lookback_scan_determinismE0ELb0ES3_N6thrust23THRUST_200600_302600_NS6detail15normal_iteratorINS9_10device_ptrIxEEEENS9_18transform_iteratorINS9_6negateIxEESE_NS9_11use_defaultESI_EESE_xNS9_4plusIvEENS9_8equal_toIvEExEE10hipError_tPvRmT2_T3_T4_T5_mT6_T7_P12ihipStream_tbENKUlT_T0_E_clISt17integral_constantIbLb1EES13_IbLb0EEEEDaSZ_S10_EUlSZ_E_NS1_11comp_targetILNS1_3genE2ELNS1_11target_archE906ELNS1_3gpuE6ELNS1_3repE0EEENS1_30default_config_static_selectorELNS0_4arch9wavefront6targetE1EEEvT1_,@function
_ZN7rocprim17ROCPRIM_400000_NS6detail17trampoline_kernelINS0_14default_configENS1_27scan_by_key_config_selectorIxxEEZZNS1_16scan_by_key_implILNS1_25lookback_scan_determinismE0ELb0ES3_N6thrust23THRUST_200600_302600_NS6detail15normal_iteratorINS9_10device_ptrIxEEEENS9_18transform_iteratorINS9_6negateIxEESE_NS9_11use_defaultESI_EESE_xNS9_4plusIvEENS9_8equal_toIvEExEE10hipError_tPvRmT2_T3_T4_T5_mT6_T7_P12ihipStream_tbENKUlT_T0_E_clISt17integral_constantIbLb1EES13_IbLb0EEEEDaSZ_S10_EUlSZ_E_NS1_11comp_targetILNS1_3genE2ELNS1_11target_archE906ELNS1_3gpuE6ELNS1_3repE0EEENS1_30default_config_static_selectorELNS0_4arch9wavefront6targetE1EEEvT1_: ; @_ZN7rocprim17ROCPRIM_400000_NS6detail17trampoline_kernelINS0_14default_configENS1_27scan_by_key_config_selectorIxxEEZZNS1_16scan_by_key_implILNS1_25lookback_scan_determinismE0ELb0ES3_N6thrust23THRUST_200600_302600_NS6detail15normal_iteratorINS9_10device_ptrIxEEEENS9_18transform_iteratorINS9_6negateIxEESE_NS9_11use_defaultESI_EESE_xNS9_4plusIvEENS9_8equal_toIvEExEE10hipError_tPvRmT2_T3_T4_T5_mT6_T7_P12ihipStream_tbENKUlT_T0_E_clISt17integral_constantIbLb1EES13_IbLb0EEEEDaSZ_S10_EUlSZ_E_NS1_11comp_targetILNS1_3genE2ELNS1_11target_archE906ELNS1_3gpuE6ELNS1_3repE0EEENS1_30default_config_static_selectorELNS0_4arch9wavefront6targetE1EEEvT1_
; %bb.0:
	.section	.rodata,"a",@progbits
	.p2align	6, 0x0
	.amdhsa_kernel _ZN7rocprim17ROCPRIM_400000_NS6detail17trampoline_kernelINS0_14default_configENS1_27scan_by_key_config_selectorIxxEEZZNS1_16scan_by_key_implILNS1_25lookback_scan_determinismE0ELb0ES3_N6thrust23THRUST_200600_302600_NS6detail15normal_iteratorINS9_10device_ptrIxEEEENS9_18transform_iteratorINS9_6negateIxEESE_NS9_11use_defaultESI_EESE_xNS9_4plusIvEENS9_8equal_toIvEExEE10hipError_tPvRmT2_T3_T4_T5_mT6_T7_P12ihipStream_tbENKUlT_T0_E_clISt17integral_constantIbLb1EES13_IbLb0EEEEDaSZ_S10_EUlSZ_E_NS1_11comp_targetILNS1_3genE2ELNS1_11target_archE906ELNS1_3gpuE6ELNS1_3repE0EEENS1_30default_config_static_selectorELNS0_4arch9wavefront6targetE1EEEvT1_
		.amdhsa_group_segment_fixed_size 0
		.amdhsa_private_segment_fixed_size 0
		.amdhsa_kernarg_size 144
		.amdhsa_user_sgpr_count 2
		.amdhsa_user_sgpr_dispatch_ptr 0
		.amdhsa_user_sgpr_queue_ptr 0
		.amdhsa_user_sgpr_kernarg_segment_ptr 1
		.amdhsa_user_sgpr_dispatch_id 0
		.amdhsa_user_sgpr_kernarg_preload_length 0
		.amdhsa_user_sgpr_kernarg_preload_offset 0
		.amdhsa_user_sgpr_private_segment_size 0
		.amdhsa_uses_dynamic_stack 0
		.amdhsa_enable_private_segment 0
		.amdhsa_system_sgpr_workgroup_id_x 1
		.amdhsa_system_sgpr_workgroup_id_y 0
		.amdhsa_system_sgpr_workgroup_id_z 0
		.amdhsa_system_sgpr_workgroup_info 0
		.amdhsa_system_vgpr_workitem_id 0
		.amdhsa_next_free_vgpr 1
		.amdhsa_next_free_sgpr 0
		.amdhsa_accum_offset 4
		.amdhsa_reserve_vcc 0
		.amdhsa_float_round_mode_32 0
		.amdhsa_float_round_mode_16_64 0
		.amdhsa_float_denorm_mode_32 3
		.amdhsa_float_denorm_mode_16_64 3
		.amdhsa_dx10_clamp 1
		.amdhsa_ieee_mode 1
		.amdhsa_fp16_overflow 0
		.amdhsa_tg_split 0
		.amdhsa_exception_fp_ieee_invalid_op 0
		.amdhsa_exception_fp_denorm_src 0
		.amdhsa_exception_fp_ieee_div_zero 0
		.amdhsa_exception_fp_ieee_overflow 0
		.amdhsa_exception_fp_ieee_underflow 0
		.amdhsa_exception_fp_ieee_inexact 0
		.amdhsa_exception_int_div_zero 0
	.end_amdhsa_kernel
	.section	.text._ZN7rocprim17ROCPRIM_400000_NS6detail17trampoline_kernelINS0_14default_configENS1_27scan_by_key_config_selectorIxxEEZZNS1_16scan_by_key_implILNS1_25lookback_scan_determinismE0ELb0ES3_N6thrust23THRUST_200600_302600_NS6detail15normal_iteratorINS9_10device_ptrIxEEEENS9_18transform_iteratorINS9_6negateIxEESE_NS9_11use_defaultESI_EESE_xNS9_4plusIvEENS9_8equal_toIvEExEE10hipError_tPvRmT2_T3_T4_T5_mT6_T7_P12ihipStream_tbENKUlT_T0_E_clISt17integral_constantIbLb1EES13_IbLb0EEEEDaSZ_S10_EUlSZ_E_NS1_11comp_targetILNS1_3genE2ELNS1_11target_archE906ELNS1_3gpuE6ELNS1_3repE0EEENS1_30default_config_static_selectorELNS0_4arch9wavefront6targetE1EEEvT1_,"axG",@progbits,_ZN7rocprim17ROCPRIM_400000_NS6detail17trampoline_kernelINS0_14default_configENS1_27scan_by_key_config_selectorIxxEEZZNS1_16scan_by_key_implILNS1_25lookback_scan_determinismE0ELb0ES3_N6thrust23THRUST_200600_302600_NS6detail15normal_iteratorINS9_10device_ptrIxEEEENS9_18transform_iteratorINS9_6negateIxEESE_NS9_11use_defaultESI_EESE_xNS9_4plusIvEENS9_8equal_toIvEExEE10hipError_tPvRmT2_T3_T4_T5_mT6_T7_P12ihipStream_tbENKUlT_T0_E_clISt17integral_constantIbLb1EES13_IbLb0EEEEDaSZ_S10_EUlSZ_E_NS1_11comp_targetILNS1_3genE2ELNS1_11target_archE906ELNS1_3gpuE6ELNS1_3repE0EEENS1_30default_config_static_selectorELNS0_4arch9wavefront6targetE1EEEvT1_,comdat
.Lfunc_end916:
	.size	_ZN7rocprim17ROCPRIM_400000_NS6detail17trampoline_kernelINS0_14default_configENS1_27scan_by_key_config_selectorIxxEEZZNS1_16scan_by_key_implILNS1_25lookback_scan_determinismE0ELb0ES3_N6thrust23THRUST_200600_302600_NS6detail15normal_iteratorINS9_10device_ptrIxEEEENS9_18transform_iteratorINS9_6negateIxEESE_NS9_11use_defaultESI_EESE_xNS9_4plusIvEENS9_8equal_toIvEExEE10hipError_tPvRmT2_T3_T4_T5_mT6_T7_P12ihipStream_tbENKUlT_T0_E_clISt17integral_constantIbLb1EES13_IbLb0EEEEDaSZ_S10_EUlSZ_E_NS1_11comp_targetILNS1_3genE2ELNS1_11target_archE906ELNS1_3gpuE6ELNS1_3repE0EEENS1_30default_config_static_selectorELNS0_4arch9wavefront6targetE1EEEvT1_, .Lfunc_end916-_ZN7rocprim17ROCPRIM_400000_NS6detail17trampoline_kernelINS0_14default_configENS1_27scan_by_key_config_selectorIxxEEZZNS1_16scan_by_key_implILNS1_25lookback_scan_determinismE0ELb0ES3_N6thrust23THRUST_200600_302600_NS6detail15normal_iteratorINS9_10device_ptrIxEEEENS9_18transform_iteratorINS9_6negateIxEESE_NS9_11use_defaultESI_EESE_xNS9_4plusIvEENS9_8equal_toIvEExEE10hipError_tPvRmT2_T3_T4_T5_mT6_T7_P12ihipStream_tbENKUlT_T0_E_clISt17integral_constantIbLb1EES13_IbLb0EEEEDaSZ_S10_EUlSZ_E_NS1_11comp_targetILNS1_3genE2ELNS1_11target_archE906ELNS1_3gpuE6ELNS1_3repE0EEENS1_30default_config_static_selectorELNS0_4arch9wavefront6targetE1EEEvT1_
                                        ; -- End function
	.section	.AMDGPU.csdata,"",@progbits
; Kernel info:
; codeLenInByte = 0
; NumSgprs: 6
; NumVgprs: 0
; NumAgprs: 0
; TotalNumVgprs: 0
; ScratchSize: 0
; MemoryBound: 0
; FloatMode: 240
; IeeeMode: 1
; LDSByteSize: 0 bytes/workgroup (compile time only)
; SGPRBlocks: 0
; VGPRBlocks: 0
; NumSGPRsForWavesPerEU: 6
; NumVGPRsForWavesPerEU: 1
; AccumOffset: 4
; Occupancy: 8
; WaveLimiterHint : 0
; COMPUTE_PGM_RSRC2:SCRATCH_EN: 0
; COMPUTE_PGM_RSRC2:USER_SGPR: 2
; COMPUTE_PGM_RSRC2:TRAP_HANDLER: 0
; COMPUTE_PGM_RSRC2:TGID_X_EN: 1
; COMPUTE_PGM_RSRC2:TGID_Y_EN: 0
; COMPUTE_PGM_RSRC2:TGID_Z_EN: 0
; COMPUTE_PGM_RSRC2:TIDIG_COMP_CNT: 0
; COMPUTE_PGM_RSRC3_GFX90A:ACCUM_OFFSET: 0
; COMPUTE_PGM_RSRC3_GFX90A:TG_SPLIT: 0
	.section	.text._ZN7rocprim17ROCPRIM_400000_NS6detail17trampoline_kernelINS0_14default_configENS1_27scan_by_key_config_selectorIxxEEZZNS1_16scan_by_key_implILNS1_25lookback_scan_determinismE0ELb0ES3_N6thrust23THRUST_200600_302600_NS6detail15normal_iteratorINS9_10device_ptrIxEEEENS9_18transform_iteratorINS9_6negateIxEESE_NS9_11use_defaultESI_EESE_xNS9_4plusIvEENS9_8equal_toIvEExEE10hipError_tPvRmT2_T3_T4_T5_mT6_T7_P12ihipStream_tbENKUlT_T0_E_clISt17integral_constantIbLb1EES13_IbLb0EEEEDaSZ_S10_EUlSZ_E_NS1_11comp_targetILNS1_3genE10ELNS1_11target_archE1200ELNS1_3gpuE4ELNS1_3repE0EEENS1_30default_config_static_selectorELNS0_4arch9wavefront6targetE1EEEvT1_,"axG",@progbits,_ZN7rocprim17ROCPRIM_400000_NS6detail17trampoline_kernelINS0_14default_configENS1_27scan_by_key_config_selectorIxxEEZZNS1_16scan_by_key_implILNS1_25lookback_scan_determinismE0ELb0ES3_N6thrust23THRUST_200600_302600_NS6detail15normal_iteratorINS9_10device_ptrIxEEEENS9_18transform_iteratorINS9_6negateIxEESE_NS9_11use_defaultESI_EESE_xNS9_4plusIvEENS9_8equal_toIvEExEE10hipError_tPvRmT2_T3_T4_T5_mT6_T7_P12ihipStream_tbENKUlT_T0_E_clISt17integral_constantIbLb1EES13_IbLb0EEEEDaSZ_S10_EUlSZ_E_NS1_11comp_targetILNS1_3genE10ELNS1_11target_archE1200ELNS1_3gpuE4ELNS1_3repE0EEENS1_30default_config_static_selectorELNS0_4arch9wavefront6targetE1EEEvT1_,comdat
	.protected	_ZN7rocprim17ROCPRIM_400000_NS6detail17trampoline_kernelINS0_14default_configENS1_27scan_by_key_config_selectorIxxEEZZNS1_16scan_by_key_implILNS1_25lookback_scan_determinismE0ELb0ES3_N6thrust23THRUST_200600_302600_NS6detail15normal_iteratorINS9_10device_ptrIxEEEENS9_18transform_iteratorINS9_6negateIxEESE_NS9_11use_defaultESI_EESE_xNS9_4plusIvEENS9_8equal_toIvEExEE10hipError_tPvRmT2_T3_T4_T5_mT6_T7_P12ihipStream_tbENKUlT_T0_E_clISt17integral_constantIbLb1EES13_IbLb0EEEEDaSZ_S10_EUlSZ_E_NS1_11comp_targetILNS1_3genE10ELNS1_11target_archE1200ELNS1_3gpuE4ELNS1_3repE0EEENS1_30default_config_static_selectorELNS0_4arch9wavefront6targetE1EEEvT1_ ; -- Begin function _ZN7rocprim17ROCPRIM_400000_NS6detail17trampoline_kernelINS0_14default_configENS1_27scan_by_key_config_selectorIxxEEZZNS1_16scan_by_key_implILNS1_25lookback_scan_determinismE0ELb0ES3_N6thrust23THRUST_200600_302600_NS6detail15normal_iteratorINS9_10device_ptrIxEEEENS9_18transform_iteratorINS9_6negateIxEESE_NS9_11use_defaultESI_EESE_xNS9_4plusIvEENS9_8equal_toIvEExEE10hipError_tPvRmT2_T3_T4_T5_mT6_T7_P12ihipStream_tbENKUlT_T0_E_clISt17integral_constantIbLb1EES13_IbLb0EEEEDaSZ_S10_EUlSZ_E_NS1_11comp_targetILNS1_3genE10ELNS1_11target_archE1200ELNS1_3gpuE4ELNS1_3repE0EEENS1_30default_config_static_selectorELNS0_4arch9wavefront6targetE1EEEvT1_
	.globl	_ZN7rocprim17ROCPRIM_400000_NS6detail17trampoline_kernelINS0_14default_configENS1_27scan_by_key_config_selectorIxxEEZZNS1_16scan_by_key_implILNS1_25lookback_scan_determinismE0ELb0ES3_N6thrust23THRUST_200600_302600_NS6detail15normal_iteratorINS9_10device_ptrIxEEEENS9_18transform_iteratorINS9_6negateIxEESE_NS9_11use_defaultESI_EESE_xNS9_4plusIvEENS9_8equal_toIvEExEE10hipError_tPvRmT2_T3_T4_T5_mT6_T7_P12ihipStream_tbENKUlT_T0_E_clISt17integral_constantIbLb1EES13_IbLb0EEEEDaSZ_S10_EUlSZ_E_NS1_11comp_targetILNS1_3genE10ELNS1_11target_archE1200ELNS1_3gpuE4ELNS1_3repE0EEENS1_30default_config_static_selectorELNS0_4arch9wavefront6targetE1EEEvT1_
	.p2align	8
	.type	_ZN7rocprim17ROCPRIM_400000_NS6detail17trampoline_kernelINS0_14default_configENS1_27scan_by_key_config_selectorIxxEEZZNS1_16scan_by_key_implILNS1_25lookback_scan_determinismE0ELb0ES3_N6thrust23THRUST_200600_302600_NS6detail15normal_iteratorINS9_10device_ptrIxEEEENS9_18transform_iteratorINS9_6negateIxEESE_NS9_11use_defaultESI_EESE_xNS9_4plusIvEENS9_8equal_toIvEExEE10hipError_tPvRmT2_T3_T4_T5_mT6_T7_P12ihipStream_tbENKUlT_T0_E_clISt17integral_constantIbLb1EES13_IbLb0EEEEDaSZ_S10_EUlSZ_E_NS1_11comp_targetILNS1_3genE10ELNS1_11target_archE1200ELNS1_3gpuE4ELNS1_3repE0EEENS1_30default_config_static_selectorELNS0_4arch9wavefront6targetE1EEEvT1_,@function
_ZN7rocprim17ROCPRIM_400000_NS6detail17trampoline_kernelINS0_14default_configENS1_27scan_by_key_config_selectorIxxEEZZNS1_16scan_by_key_implILNS1_25lookback_scan_determinismE0ELb0ES3_N6thrust23THRUST_200600_302600_NS6detail15normal_iteratorINS9_10device_ptrIxEEEENS9_18transform_iteratorINS9_6negateIxEESE_NS9_11use_defaultESI_EESE_xNS9_4plusIvEENS9_8equal_toIvEExEE10hipError_tPvRmT2_T3_T4_T5_mT6_T7_P12ihipStream_tbENKUlT_T0_E_clISt17integral_constantIbLb1EES13_IbLb0EEEEDaSZ_S10_EUlSZ_E_NS1_11comp_targetILNS1_3genE10ELNS1_11target_archE1200ELNS1_3gpuE4ELNS1_3repE0EEENS1_30default_config_static_selectorELNS0_4arch9wavefront6targetE1EEEvT1_: ; @_ZN7rocprim17ROCPRIM_400000_NS6detail17trampoline_kernelINS0_14default_configENS1_27scan_by_key_config_selectorIxxEEZZNS1_16scan_by_key_implILNS1_25lookback_scan_determinismE0ELb0ES3_N6thrust23THRUST_200600_302600_NS6detail15normal_iteratorINS9_10device_ptrIxEEEENS9_18transform_iteratorINS9_6negateIxEESE_NS9_11use_defaultESI_EESE_xNS9_4plusIvEENS9_8equal_toIvEExEE10hipError_tPvRmT2_T3_T4_T5_mT6_T7_P12ihipStream_tbENKUlT_T0_E_clISt17integral_constantIbLb1EES13_IbLb0EEEEDaSZ_S10_EUlSZ_E_NS1_11comp_targetILNS1_3genE10ELNS1_11target_archE1200ELNS1_3gpuE4ELNS1_3repE0EEENS1_30default_config_static_selectorELNS0_4arch9wavefront6targetE1EEEvT1_
; %bb.0:
	.section	.rodata,"a",@progbits
	.p2align	6, 0x0
	.amdhsa_kernel _ZN7rocprim17ROCPRIM_400000_NS6detail17trampoline_kernelINS0_14default_configENS1_27scan_by_key_config_selectorIxxEEZZNS1_16scan_by_key_implILNS1_25lookback_scan_determinismE0ELb0ES3_N6thrust23THRUST_200600_302600_NS6detail15normal_iteratorINS9_10device_ptrIxEEEENS9_18transform_iteratorINS9_6negateIxEESE_NS9_11use_defaultESI_EESE_xNS9_4plusIvEENS9_8equal_toIvEExEE10hipError_tPvRmT2_T3_T4_T5_mT6_T7_P12ihipStream_tbENKUlT_T0_E_clISt17integral_constantIbLb1EES13_IbLb0EEEEDaSZ_S10_EUlSZ_E_NS1_11comp_targetILNS1_3genE10ELNS1_11target_archE1200ELNS1_3gpuE4ELNS1_3repE0EEENS1_30default_config_static_selectorELNS0_4arch9wavefront6targetE1EEEvT1_
		.amdhsa_group_segment_fixed_size 0
		.amdhsa_private_segment_fixed_size 0
		.amdhsa_kernarg_size 144
		.amdhsa_user_sgpr_count 2
		.amdhsa_user_sgpr_dispatch_ptr 0
		.amdhsa_user_sgpr_queue_ptr 0
		.amdhsa_user_sgpr_kernarg_segment_ptr 1
		.amdhsa_user_sgpr_dispatch_id 0
		.amdhsa_user_sgpr_kernarg_preload_length 0
		.amdhsa_user_sgpr_kernarg_preload_offset 0
		.amdhsa_user_sgpr_private_segment_size 0
		.amdhsa_uses_dynamic_stack 0
		.amdhsa_enable_private_segment 0
		.amdhsa_system_sgpr_workgroup_id_x 1
		.amdhsa_system_sgpr_workgroup_id_y 0
		.amdhsa_system_sgpr_workgroup_id_z 0
		.amdhsa_system_sgpr_workgroup_info 0
		.amdhsa_system_vgpr_workitem_id 0
		.amdhsa_next_free_vgpr 1
		.amdhsa_next_free_sgpr 0
		.amdhsa_accum_offset 4
		.amdhsa_reserve_vcc 0
		.amdhsa_float_round_mode_32 0
		.amdhsa_float_round_mode_16_64 0
		.amdhsa_float_denorm_mode_32 3
		.amdhsa_float_denorm_mode_16_64 3
		.amdhsa_dx10_clamp 1
		.amdhsa_ieee_mode 1
		.amdhsa_fp16_overflow 0
		.amdhsa_tg_split 0
		.amdhsa_exception_fp_ieee_invalid_op 0
		.amdhsa_exception_fp_denorm_src 0
		.amdhsa_exception_fp_ieee_div_zero 0
		.amdhsa_exception_fp_ieee_overflow 0
		.amdhsa_exception_fp_ieee_underflow 0
		.amdhsa_exception_fp_ieee_inexact 0
		.amdhsa_exception_int_div_zero 0
	.end_amdhsa_kernel
	.section	.text._ZN7rocprim17ROCPRIM_400000_NS6detail17trampoline_kernelINS0_14default_configENS1_27scan_by_key_config_selectorIxxEEZZNS1_16scan_by_key_implILNS1_25lookback_scan_determinismE0ELb0ES3_N6thrust23THRUST_200600_302600_NS6detail15normal_iteratorINS9_10device_ptrIxEEEENS9_18transform_iteratorINS9_6negateIxEESE_NS9_11use_defaultESI_EESE_xNS9_4plusIvEENS9_8equal_toIvEExEE10hipError_tPvRmT2_T3_T4_T5_mT6_T7_P12ihipStream_tbENKUlT_T0_E_clISt17integral_constantIbLb1EES13_IbLb0EEEEDaSZ_S10_EUlSZ_E_NS1_11comp_targetILNS1_3genE10ELNS1_11target_archE1200ELNS1_3gpuE4ELNS1_3repE0EEENS1_30default_config_static_selectorELNS0_4arch9wavefront6targetE1EEEvT1_,"axG",@progbits,_ZN7rocprim17ROCPRIM_400000_NS6detail17trampoline_kernelINS0_14default_configENS1_27scan_by_key_config_selectorIxxEEZZNS1_16scan_by_key_implILNS1_25lookback_scan_determinismE0ELb0ES3_N6thrust23THRUST_200600_302600_NS6detail15normal_iteratorINS9_10device_ptrIxEEEENS9_18transform_iteratorINS9_6negateIxEESE_NS9_11use_defaultESI_EESE_xNS9_4plusIvEENS9_8equal_toIvEExEE10hipError_tPvRmT2_T3_T4_T5_mT6_T7_P12ihipStream_tbENKUlT_T0_E_clISt17integral_constantIbLb1EES13_IbLb0EEEEDaSZ_S10_EUlSZ_E_NS1_11comp_targetILNS1_3genE10ELNS1_11target_archE1200ELNS1_3gpuE4ELNS1_3repE0EEENS1_30default_config_static_selectorELNS0_4arch9wavefront6targetE1EEEvT1_,comdat
.Lfunc_end917:
	.size	_ZN7rocprim17ROCPRIM_400000_NS6detail17trampoline_kernelINS0_14default_configENS1_27scan_by_key_config_selectorIxxEEZZNS1_16scan_by_key_implILNS1_25lookback_scan_determinismE0ELb0ES3_N6thrust23THRUST_200600_302600_NS6detail15normal_iteratorINS9_10device_ptrIxEEEENS9_18transform_iteratorINS9_6negateIxEESE_NS9_11use_defaultESI_EESE_xNS9_4plusIvEENS9_8equal_toIvEExEE10hipError_tPvRmT2_T3_T4_T5_mT6_T7_P12ihipStream_tbENKUlT_T0_E_clISt17integral_constantIbLb1EES13_IbLb0EEEEDaSZ_S10_EUlSZ_E_NS1_11comp_targetILNS1_3genE10ELNS1_11target_archE1200ELNS1_3gpuE4ELNS1_3repE0EEENS1_30default_config_static_selectorELNS0_4arch9wavefront6targetE1EEEvT1_, .Lfunc_end917-_ZN7rocprim17ROCPRIM_400000_NS6detail17trampoline_kernelINS0_14default_configENS1_27scan_by_key_config_selectorIxxEEZZNS1_16scan_by_key_implILNS1_25lookback_scan_determinismE0ELb0ES3_N6thrust23THRUST_200600_302600_NS6detail15normal_iteratorINS9_10device_ptrIxEEEENS9_18transform_iteratorINS9_6negateIxEESE_NS9_11use_defaultESI_EESE_xNS9_4plusIvEENS9_8equal_toIvEExEE10hipError_tPvRmT2_T3_T4_T5_mT6_T7_P12ihipStream_tbENKUlT_T0_E_clISt17integral_constantIbLb1EES13_IbLb0EEEEDaSZ_S10_EUlSZ_E_NS1_11comp_targetILNS1_3genE10ELNS1_11target_archE1200ELNS1_3gpuE4ELNS1_3repE0EEENS1_30default_config_static_selectorELNS0_4arch9wavefront6targetE1EEEvT1_
                                        ; -- End function
	.section	.AMDGPU.csdata,"",@progbits
; Kernel info:
; codeLenInByte = 0
; NumSgprs: 6
; NumVgprs: 0
; NumAgprs: 0
; TotalNumVgprs: 0
; ScratchSize: 0
; MemoryBound: 0
; FloatMode: 240
; IeeeMode: 1
; LDSByteSize: 0 bytes/workgroup (compile time only)
; SGPRBlocks: 0
; VGPRBlocks: 0
; NumSGPRsForWavesPerEU: 6
; NumVGPRsForWavesPerEU: 1
; AccumOffset: 4
; Occupancy: 8
; WaveLimiterHint : 0
; COMPUTE_PGM_RSRC2:SCRATCH_EN: 0
; COMPUTE_PGM_RSRC2:USER_SGPR: 2
; COMPUTE_PGM_RSRC2:TRAP_HANDLER: 0
; COMPUTE_PGM_RSRC2:TGID_X_EN: 1
; COMPUTE_PGM_RSRC2:TGID_Y_EN: 0
; COMPUTE_PGM_RSRC2:TGID_Z_EN: 0
; COMPUTE_PGM_RSRC2:TIDIG_COMP_CNT: 0
; COMPUTE_PGM_RSRC3_GFX90A:ACCUM_OFFSET: 0
; COMPUTE_PGM_RSRC3_GFX90A:TG_SPLIT: 0
	.section	.text._ZN7rocprim17ROCPRIM_400000_NS6detail17trampoline_kernelINS0_14default_configENS1_27scan_by_key_config_selectorIxxEEZZNS1_16scan_by_key_implILNS1_25lookback_scan_determinismE0ELb0ES3_N6thrust23THRUST_200600_302600_NS6detail15normal_iteratorINS9_10device_ptrIxEEEENS9_18transform_iteratorINS9_6negateIxEESE_NS9_11use_defaultESI_EESE_xNS9_4plusIvEENS9_8equal_toIvEExEE10hipError_tPvRmT2_T3_T4_T5_mT6_T7_P12ihipStream_tbENKUlT_T0_E_clISt17integral_constantIbLb1EES13_IbLb0EEEEDaSZ_S10_EUlSZ_E_NS1_11comp_targetILNS1_3genE9ELNS1_11target_archE1100ELNS1_3gpuE3ELNS1_3repE0EEENS1_30default_config_static_selectorELNS0_4arch9wavefront6targetE1EEEvT1_,"axG",@progbits,_ZN7rocprim17ROCPRIM_400000_NS6detail17trampoline_kernelINS0_14default_configENS1_27scan_by_key_config_selectorIxxEEZZNS1_16scan_by_key_implILNS1_25lookback_scan_determinismE0ELb0ES3_N6thrust23THRUST_200600_302600_NS6detail15normal_iteratorINS9_10device_ptrIxEEEENS9_18transform_iteratorINS9_6negateIxEESE_NS9_11use_defaultESI_EESE_xNS9_4plusIvEENS9_8equal_toIvEExEE10hipError_tPvRmT2_T3_T4_T5_mT6_T7_P12ihipStream_tbENKUlT_T0_E_clISt17integral_constantIbLb1EES13_IbLb0EEEEDaSZ_S10_EUlSZ_E_NS1_11comp_targetILNS1_3genE9ELNS1_11target_archE1100ELNS1_3gpuE3ELNS1_3repE0EEENS1_30default_config_static_selectorELNS0_4arch9wavefront6targetE1EEEvT1_,comdat
	.protected	_ZN7rocprim17ROCPRIM_400000_NS6detail17trampoline_kernelINS0_14default_configENS1_27scan_by_key_config_selectorIxxEEZZNS1_16scan_by_key_implILNS1_25lookback_scan_determinismE0ELb0ES3_N6thrust23THRUST_200600_302600_NS6detail15normal_iteratorINS9_10device_ptrIxEEEENS9_18transform_iteratorINS9_6negateIxEESE_NS9_11use_defaultESI_EESE_xNS9_4plusIvEENS9_8equal_toIvEExEE10hipError_tPvRmT2_T3_T4_T5_mT6_T7_P12ihipStream_tbENKUlT_T0_E_clISt17integral_constantIbLb1EES13_IbLb0EEEEDaSZ_S10_EUlSZ_E_NS1_11comp_targetILNS1_3genE9ELNS1_11target_archE1100ELNS1_3gpuE3ELNS1_3repE0EEENS1_30default_config_static_selectorELNS0_4arch9wavefront6targetE1EEEvT1_ ; -- Begin function _ZN7rocprim17ROCPRIM_400000_NS6detail17trampoline_kernelINS0_14default_configENS1_27scan_by_key_config_selectorIxxEEZZNS1_16scan_by_key_implILNS1_25lookback_scan_determinismE0ELb0ES3_N6thrust23THRUST_200600_302600_NS6detail15normal_iteratorINS9_10device_ptrIxEEEENS9_18transform_iteratorINS9_6negateIxEESE_NS9_11use_defaultESI_EESE_xNS9_4plusIvEENS9_8equal_toIvEExEE10hipError_tPvRmT2_T3_T4_T5_mT6_T7_P12ihipStream_tbENKUlT_T0_E_clISt17integral_constantIbLb1EES13_IbLb0EEEEDaSZ_S10_EUlSZ_E_NS1_11comp_targetILNS1_3genE9ELNS1_11target_archE1100ELNS1_3gpuE3ELNS1_3repE0EEENS1_30default_config_static_selectorELNS0_4arch9wavefront6targetE1EEEvT1_
	.globl	_ZN7rocprim17ROCPRIM_400000_NS6detail17trampoline_kernelINS0_14default_configENS1_27scan_by_key_config_selectorIxxEEZZNS1_16scan_by_key_implILNS1_25lookback_scan_determinismE0ELb0ES3_N6thrust23THRUST_200600_302600_NS6detail15normal_iteratorINS9_10device_ptrIxEEEENS9_18transform_iteratorINS9_6negateIxEESE_NS9_11use_defaultESI_EESE_xNS9_4plusIvEENS9_8equal_toIvEExEE10hipError_tPvRmT2_T3_T4_T5_mT6_T7_P12ihipStream_tbENKUlT_T0_E_clISt17integral_constantIbLb1EES13_IbLb0EEEEDaSZ_S10_EUlSZ_E_NS1_11comp_targetILNS1_3genE9ELNS1_11target_archE1100ELNS1_3gpuE3ELNS1_3repE0EEENS1_30default_config_static_selectorELNS0_4arch9wavefront6targetE1EEEvT1_
	.p2align	8
	.type	_ZN7rocprim17ROCPRIM_400000_NS6detail17trampoline_kernelINS0_14default_configENS1_27scan_by_key_config_selectorIxxEEZZNS1_16scan_by_key_implILNS1_25lookback_scan_determinismE0ELb0ES3_N6thrust23THRUST_200600_302600_NS6detail15normal_iteratorINS9_10device_ptrIxEEEENS9_18transform_iteratorINS9_6negateIxEESE_NS9_11use_defaultESI_EESE_xNS9_4plusIvEENS9_8equal_toIvEExEE10hipError_tPvRmT2_T3_T4_T5_mT6_T7_P12ihipStream_tbENKUlT_T0_E_clISt17integral_constantIbLb1EES13_IbLb0EEEEDaSZ_S10_EUlSZ_E_NS1_11comp_targetILNS1_3genE9ELNS1_11target_archE1100ELNS1_3gpuE3ELNS1_3repE0EEENS1_30default_config_static_selectorELNS0_4arch9wavefront6targetE1EEEvT1_,@function
_ZN7rocprim17ROCPRIM_400000_NS6detail17trampoline_kernelINS0_14default_configENS1_27scan_by_key_config_selectorIxxEEZZNS1_16scan_by_key_implILNS1_25lookback_scan_determinismE0ELb0ES3_N6thrust23THRUST_200600_302600_NS6detail15normal_iteratorINS9_10device_ptrIxEEEENS9_18transform_iteratorINS9_6negateIxEESE_NS9_11use_defaultESI_EESE_xNS9_4plusIvEENS9_8equal_toIvEExEE10hipError_tPvRmT2_T3_T4_T5_mT6_T7_P12ihipStream_tbENKUlT_T0_E_clISt17integral_constantIbLb1EES13_IbLb0EEEEDaSZ_S10_EUlSZ_E_NS1_11comp_targetILNS1_3genE9ELNS1_11target_archE1100ELNS1_3gpuE3ELNS1_3repE0EEENS1_30default_config_static_selectorELNS0_4arch9wavefront6targetE1EEEvT1_: ; @_ZN7rocprim17ROCPRIM_400000_NS6detail17trampoline_kernelINS0_14default_configENS1_27scan_by_key_config_selectorIxxEEZZNS1_16scan_by_key_implILNS1_25lookback_scan_determinismE0ELb0ES3_N6thrust23THRUST_200600_302600_NS6detail15normal_iteratorINS9_10device_ptrIxEEEENS9_18transform_iteratorINS9_6negateIxEESE_NS9_11use_defaultESI_EESE_xNS9_4plusIvEENS9_8equal_toIvEExEE10hipError_tPvRmT2_T3_T4_T5_mT6_T7_P12ihipStream_tbENKUlT_T0_E_clISt17integral_constantIbLb1EES13_IbLb0EEEEDaSZ_S10_EUlSZ_E_NS1_11comp_targetILNS1_3genE9ELNS1_11target_archE1100ELNS1_3gpuE3ELNS1_3repE0EEENS1_30default_config_static_selectorELNS0_4arch9wavefront6targetE1EEEvT1_
; %bb.0:
	.section	.rodata,"a",@progbits
	.p2align	6, 0x0
	.amdhsa_kernel _ZN7rocprim17ROCPRIM_400000_NS6detail17trampoline_kernelINS0_14default_configENS1_27scan_by_key_config_selectorIxxEEZZNS1_16scan_by_key_implILNS1_25lookback_scan_determinismE0ELb0ES3_N6thrust23THRUST_200600_302600_NS6detail15normal_iteratorINS9_10device_ptrIxEEEENS9_18transform_iteratorINS9_6negateIxEESE_NS9_11use_defaultESI_EESE_xNS9_4plusIvEENS9_8equal_toIvEExEE10hipError_tPvRmT2_T3_T4_T5_mT6_T7_P12ihipStream_tbENKUlT_T0_E_clISt17integral_constantIbLb1EES13_IbLb0EEEEDaSZ_S10_EUlSZ_E_NS1_11comp_targetILNS1_3genE9ELNS1_11target_archE1100ELNS1_3gpuE3ELNS1_3repE0EEENS1_30default_config_static_selectorELNS0_4arch9wavefront6targetE1EEEvT1_
		.amdhsa_group_segment_fixed_size 0
		.amdhsa_private_segment_fixed_size 0
		.amdhsa_kernarg_size 144
		.amdhsa_user_sgpr_count 2
		.amdhsa_user_sgpr_dispatch_ptr 0
		.amdhsa_user_sgpr_queue_ptr 0
		.amdhsa_user_sgpr_kernarg_segment_ptr 1
		.amdhsa_user_sgpr_dispatch_id 0
		.amdhsa_user_sgpr_kernarg_preload_length 0
		.amdhsa_user_sgpr_kernarg_preload_offset 0
		.amdhsa_user_sgpr_private_segment_size 0
		.amdhsa_uses_dynamic_stack 0
		.amdhsa_enable_private_segment 0
		.amdhsa_system_sgpr_workgroup_id_x 1
		.amdhsa_system_sgpr_workgroup_id_y 0
		.amdhsa_system_sgpr_workgroup_id_z 0
		.amdhsa_system_sgpr_workgroup_info 0
		.amdhsa_system_vgpr_workitem_id 0
		.amdhsa_next_free_vgpr 1
		.amdhsa_next_free_sgpr 0
		.amdhsa_accum_offset 4
		.amdhsa_reserve_vcc 0
		.amdhsa_float_round_mode_32 0
		.amdhsa_float_round_mode_16_64 0
		.amdhsa_float_denorm_mode_32 3
		.amdhsa_float_denorm_mode_16_64 3
		.amdhsa_dx10_clamp 1
		.amdhsa_ieee_mode 1
		.amdhsa_fp16_overflow 0
		.amdhsa_tg_split 0
		.amdhsa_exception_fp_ieee_invalid_op 0
		.amdhsa_exception_fp_denorm_src 0
		.amdhsa_exception_fp_ieee_div_zero 0
		.amdhsa_exception_fp_ieee_overflow 0
		.amdhsa_exception_fp_ieee_underflow 0
		.amdhsa_exception_fp_ieee_inexact 0
		.amdhsa_exception_int_div_zero 0
	.end_amdhsa_kernel
	.section	.text._ZN7rocprim17ROCPRIM_400000_NS6detail17trampoline_kernelINS0_14default_configENS1_27scan_by_key_config_selectorIxxEEZZNS1_16scan_by_key_implILNS1_25lookback_scan_determinismE0ELb0ES3_N6thrust23THRUST_200600_302600_NS6detail15normal_iteratorINS9_10device_ptrIxEEEENS9_18transform_iteratorINS9_6negateIxEESE_NS9_11use_defaultESI_EESE_xNS9_4plusIvEENS9_8equal_toIvEExEE10hipError_tPvRmT2_T3_T4_T5_mT6_T7_P12ihipStream_tbENKUlT_T0_E_clISt17integral_constantIbLb1EES13_IbLb0EEEEDaSZ_S10_EUlSZ_E_NS1_11comp_targetILNS1_3genE9ELNS1_11target_archE1100ELNS1_3gpuE3ELNS1_3repE0EEENS1_30default_config_static_selectorELNS0_4arch9wavefront6targetE1EEEvT1_,"axG",@progbits,_ZN7rocprim17ROCPRIM_400000_NS6detail17trampoline_kernelINS0_14default_configENS1_27scan_by_key_config_selectorIxxEEZZNS1_16scan_by_key_implILNS1_25lookback_scan_determinismE0ELb0ES3_N6thrust23THRUST_200600_302600_NS6detail15normal_iteratorINS9_10device_ptrIxEEEENS9_18transform_iteratorINS9_6negateIxEESE_NS9_11use_defaultESI_EESE_xNS9_4plusIvEENS9_8equal_toIvEExEE10hipError_tPvRmT2_T3_T4_T5_mT6_T7_P12ihipStream_tbENKUlT_T0_E_clISt17integral_constantIbLb1EES13_IbLb0EEEEDaSZ_S10_EUlSZ_E_NS1_11comp_targetILNS1_3genE9ELNS1_11target_archE1100ELNS1_3gpuE3ELNS1_3repE0EEENS1_30default_config_static_selectorELNS0_4arch9wavefront6targetE1EEEvT1_,comdat
.Lfunc_end918:
	.size	_ZN7rocprim17ROCPRIM_400000_NS6detail17trampoline_kernelINS0_14default_configENS1_27scan_by_key_config_selectorIxxEEZZNS1_16scan_by_key_implILNS1_25lookback_scan_determinismE0ELb0ES3_N6thrust23THRUST_200600_302600_NS6detail15normal_iteratorINS9_10device_ptrIxEEEENS9_18transform_iteratorINS9_6negateIxEESE_NS9_11use_defaultESI_EESE_xNS9_4plusIvEENS9_8equal_toIvEExEE10hipError_tPvRmT2_T3_T4_T5_mT6_T7_P12ihipStream_tbENKUlT_T0_E_clISt17integral_constantIbLb1EES13_IbLb0EEEEDaSZ_S10_EUlSZ_E_NS1_11comp_targetILNS1_3genE9ELNS1_11target_archE1100ELNS1_3gpuE3ELNS1_3repE0EEENS1_30default_config_static_selectorELNS0_4arch9wavefront6targetE1EEEvT1_, .Lfunc_end918-_ZN7rocprim17ROCPRIM_400000_NS6detail17trampoline_kernelINS0_14default_configENS1_27scan_by_key_config_selectorIxxEEZZNS1_16scan_by_key_implILNS1_25lookback_scan_determinismE0ELb0ES3_N6thrust23THRUST_200600_302600_NS6detail15normal_iteratorINS9_10device_ptrIxEEEENS9_18transform_iteratorINS9_6negateIxEESE_NS9_11use_defaultESI_EESE_xNS9_4plusIvEENS9_8equal_toIvEExEE10hipError_tPvRmT2_T3_T4_T5_mT6_T7_P12ihipStream_tbENKUlT_T0_E_clISt17integral_constantIbLb1EES13_IbLb0EEEEDaSZ_S10_EUlSZ_E_NS1_11comp_targetILNS1_3genE9ELNS1_11target_archE1100ELNS1_3gpuE3ELNS1_3repE0EEENS1_30default_config_static_selectorELNS0_4arch9wavefront6targetE1EEEvT1_
                                        ; -- End function
	.section	.AMDGPU.csdata,"",@progbits
; Kernel info:
; codeLenInByte = 0
; NumSgprs: 6
; NumVgprs: 0
; NumAgprs: 0
; TotalNumVgprs: 0
; ScratchSize: 0
; MemoryBound: 0
; FloatMode: 240
; IeeeMode: 1
; LDSByteSize: 0 bytes/workgroup (compile time only)
; SGPRBlocks: 0
; VGPRBlocks: 0
; NumSGPRsForWavesPerEU: 6
; NumVGPRsForWavesPerEU: 1
; AccumOffset: 4
; Occupancy: 8
; WaveLimiterHint : 0
; COMPUTE_PGM_RSRC2:SCRATCH_EN: 0
; COMPUTE_PGM_RSRC2:USER_SGPR: 2
; COMPUTE_PGM_RSRC2:TRAP_HANDLER: 0
; COMPUTE_PGM_RSRC2:TGID_X_EN: 1
; COMPUTE_PGM_RSRC2:TGID_Y_EN: 0
; COMPUTE_PGM_RSRC2:TGID_Z_EN: 0
; COMPUTE_PGM_RSRC2:TIDIG_COMP_CNT: 0
; COMPUTE_PGM_RSRC3_GFX90A:ACCUM_OFFSET: 0
; COMPUTE_PGM_RSRC3_GFX90A:TG_SPLIT: 0
	.section	.text._ZN7rocprim17ROCPRIM_400000_NS6detail17trampoline_kernelINS0_14default_configENS1_27scan_by_key_config_selectorIxxEEZZNS1_16scan_by_key_implILNS1_25lookback_scan_determinismE0ELb0ES3_N6thrust23THRUST_200600_302600_NS6detail15normal_iteratorINS9_10device_ptrIxEEEENS9_18transform_iteratorINS9_6negateIxEESE_NS9_11use_defaultESI_EESE_xNS9_4plusIvEENS9_8equal_toIvEExEE10hipError_tPvRmT2_T3_T4_T5_mT6_T7_P12ihipStream_tbENKUlT_T0_E_clISt17integral_constantIbLb1EES13_IbLb0EEEEDaSZ_S10_EUlSZ_E_NS1_11comp_targetILNS1_3genE8ELNS1_11target_archE1030ELNS1_3gpuE2ELNS1_3repE0EEENS1_30default_config_static_selectorELNS0_4arch9wavefront6targetE1EEEvT1_,"axG",@progbits,_ZN7rocprim17ROCPRIM_400000_NS6detail17trampoline_kernelINS0_14default_configENS1_27scan_by_key_config_selectorIxxEEZZNS1_16scan_by_key_implILNS1_25lookback_scan_determinismE0ELb0ES3_N6thrust23THRUST_200600_302600_NS6detail15normal_iteratorINS9_10device_ptrIxEEEENS9_18transform_iteratorINS9_6negateIxEESE_NS9_11use_defaultESI_EESE_xNS9_4plusIvEENS9_8equal_toIvEExEE10hipError_tPvRmT2_T3_T4_T5_mT6_T7_P12ihipStream_tbENKUlT_T0_E_clISt17integral_constantIbLb1EES13_IbLb0EEEEDaSZ_S10_EUlSZ_E_NS1_11comp_targetILNS1_3genE8ELNS1_11target_archE1030ELNS1_3gpuE2ELNS1_3repE0EEENS1_30default_config_static_selectorELNS0_4arch9wavefront6targetE1EEEvT1_,comdat
	.protected	_ZN7rocprim17ROCPRIM_400000_NS6detail17trampoline_kernelINS0_14default_configENS1_27scan_by_key_config_selectorIxxEEZZNS1_16scan_by_key_implILNS1_25lookback_scan_determinismE0ELb0ES3_N6thrust23THRUST_200600_302600_NS6detail15normal_iteratorINS9_10device_ptrIxEEEENS9_18transform_iteratorINS9_6negateIxEESE_NS9_11use_defaultESI_EESE_xNS9_4plusIvEENS9_8equal_toIvEExEE10hipError_tPvRmT2_T3_T4_T5_mT6_T7_P12ihipStream_tbENKUlT_T0_E_clISt17integral_constantIbLb1EES13_IbLb0EEEEDaSZ_S10_EUlSZ_E_NS1_11comp_targetILNS1_3genE8ELNS1_11target_archE1030ELNS1_3gpuE2ELNS1_3repE0EEENS1_30default_config_static_selectorELNS0_4arch9wavefront6targetE1EEEvT1_ ; -- Begin function _ZN7rocprim17ROCPRIM_400000_NS6detail17trampoline_kernelINS0_14default_configENS1_27scan_by_key_config_selectorIxxEEZZNS1_16scan_by_key_implILNS1_25lookback_scan_determinismE0ELb0ES3_N6thrust23THRUST_200600_302600_NS6detail15normal_iteratorINS9_10device_ptrIxEEEENS9_18transform_iteratorINS9_6negateIxEESE_NS9_11use_defaultESI_EESE_xNS9_4plusIvEENS9_8equal_toIvEExEE10hipError_tPvRmT2_T3_T4_T5_mT6_T7_P12ihipStream_tbENKUlT_T0_E_clISt17integral_constantIbLb1EES13_IbLb0EEEEDaSZ_S10_EUlSZ_E_NS1_11comp_targetILNS1_3genE8ELNS1_11target_archE1030ELNS1_3gpuE2ELNS1_3repE0EEENS1_30default_config_static_selectorELNS0_4arch9wavefront6targetE1EEEvT1_
	.globl	_ZN7rocprim17ROCPRIM_400000_NS6detail17trampoline_kernelINS0_14default_configENS1_27scan_by_key_config_selectorIxxEEZZNS1_16scan_by_key_implILNS1_25lookback_scan_determinismE0ELb0ES3_N6thrust23THRUST_200600_302600_NS6detail15normal_iteratorINS9_10device_ptrIxEEEENS9_18transform_iteratorINS9_6negateIxEESE_NS9_11use_defaultESI_EESE_xNS9_4plusIvEENS9_8equal_toIvEExEE10hipError_tPvRmT2_T3_T4_T5_mT6_T7_P12ihipStream_tbENKUlT_T0_E_clISt17integral_constantIbLb1EES13_IbLb0EEEEDaSZ_S10_EUlSZ_E_NS1_11comp_targetILNS1_3genE8ELNS1_11target_archE1030ELNS1_3gpuE2ELNS1_3repE0EEENS1_30default_config_static_selectorELNS0_4arch9wavefront6targetE1EEEvT1_
	.p2align	8
	.type	_ZN7rocprim17ROCPRIM_400000_NS6detail17trampoline_kernelINS0_14default_configENS1_27scan_by_key_config_selectorIxxEEZZNS1_16scan_by_key_implILNS1_25lookback_scan_determinismE0ELb0ES3_N6thrust23THRUST_200600_302600_NS6detail15normal_iteratorINS9_10device_ptrIxEEEENS9_18transform_iteratorINS9_6negateIxEESE_NS9_11use_defaultESI_EESE_xNS9_4plusIvEENS9_8equal_toIvEExEE10hipError_tPvRmT2_T3_T4_T5_mT6_T7_P12ihipStream_tbENKUlT_T0_E_clISt17integral_constantIbLb1EES13_IbLb0EEEEDaSZ_S10_EUlSZ_E_NS1_11comp_targetILNS1_3genE8ELNS1_11target_archE1030ELNS1_3gpuE2ELNS1_3repE0EEENS1_30default_config_static_selectorELNS0_4arch9wavefront6targetE1EEEvT1_,@function
_ZN7rocprim17ROCPRIM_400000_NS6detail17trampoline_kernelINS0_14default_configENS1_27scan_by_key_config_selectorIxxEEZZNS1_16scan_by_key_implILNS1_25lookback_scan_determinismE0ELb0ES3_N6thrust23THRUST_200600_302600_NS6detail15normal_iteratorINS9_10device_ptrIxEEEENS9_18transform_iteratorINS9_6negateIxEESE_NS9_11use_defaultESI_EESE_xNS9_4plusIvEENS9_8equal_toIvEExEE10hipError_tPvRmT2_T3_T4_T5_mT6_T7_P12ihipStream_tbENKUlT_T0_E_clISt17integral_constantIbLb1EES13_IbLb0EEEEDaSZ_S10_EUlSZ_E_NS1_11comp_targetILNS1_3genE8ELNS1_11target_archE1030ELNS1_3gpuE2ELNS1_3repE0EEENS1_30default_config_static_selectorELNS0_4arch9wavefront6targetE1EEEvT1_: ; @_ZN7rocprim17ROCPRIM_400000_NS6detail17trampoline_kernelINS0_14default_configENS1_27scan_by_key_config_selectorIxxEEZZNS1_16scan_by_key_implILNS1_25lookback_scan_determinismE0ELb0ES3_N6thrust23THRUST_200600_302600_NS6detail15normal_iteratorINS9_10device_ptrIxEEEENS9_18transform_iteratorINS9_6negateIxEESE_NS9_11use_defaultESI_EESE_xNS9_4plusIvEENS9_8equal_toIvEExEE10hipError_tPvRmT2_T3_T4_T5_mT6_T7_P12ihipStream_tbENKUlT_T0_E_clISt17integral_constantIbLb1EES13_IbLb0EEEEDaSZ_S10_EUlSZ_E_NS1_11comp_targetILNS1_3genE8ELNS1_11target_archE1030ELNS1_3gpuE2ELNS1_3repE0EEENS1_30default_config_static_selectorELNS0_4arch9wavefront6targetE1EEEvT1_
; %bb.0:
	.section	.rodata,"a",@progbits
	.p2align	6, 0x0
	.amdhsa_kernel _ZN7rocprim17ROCPRIM_400000_NS6detail17trampoline_kernelINS0_14default_configENS1_27scan_by_key_config_selectorIxxEEZZNS1_16scan_by_key_implILNS1_25lookback_scan_determinismE0ELb0ES3_N6thrust23THRUST_200600_302600_NS6detail15normal_iteratorINS9_10device_ptrIxEEEENS9_18transform_iteratorINS9_6negateIxEESE_NS9_11use_defaultESI_EESE_xNS9_4plusIvEENS9_8equal_toIvEExEE10hipError_tPvRmT2_T3_T4_T5_mT6_T7_P12ihipStream_tbENKUlT_T0_E_clISt17integral_constantIbLb1EES13_IbLb0EEEEDaSZ_S10_EUlSZ_E_NS1_11comp_targetILNS1_3genE8ELNS1_11target_archE1030ELNS1_3gpuE2ELNS1_3repE0EEENS1_30default_config_static_selectorELNS0_4arch9wavefront6targetE1EEEvT1_
		.amdhsa_group_segment_fixed_size 0
		.amdhsa_private_segment_fixed_size 0
		.amdhsa_kernarg_size 144
		.amdhsa_user_sgpr_count 2
		.amdhsa_user_sgpr_dispatch_ptr 0
		.amdhsa_user_sgpr_queue_ptr 0
		.amdhsa_user_sgpr_kernarg_segment_ptr 1
		.amdhsa_user_sgpr_dispatch_id 0
		.amdhsa_user_sgpr_kernarg_preload_length 0
		.amdhsa_user_sgpr_kernarg_preload_offset 0
		.amdhsa_user_sgpr_private_segment_size 0
		.amdhsa_uses_dynamic_stack 0
		.amdhsa_enable_private_segment 0
		.amdhsa_system_sgpr_workgroup_id_x 1
		.amdhsa_system_sgpr_workgroup_id_y 0
		.amdhsa_system_sgpr_workgroup_id_z 0
		.amdhsa_system_sgpr_workgroup_info 0
		.amdhsa_system_vgpr_workitem_id 0
		.amdhsa_next_free_vgpr 1
		.amdhsa_next_free_sgpr 0
		.amdhsa_accum_offset 4
		.amdhsa_reserve_vcc 0
		.amdhsa_float_round_mode_32 0
		.amdhsa_float_round_mode_16_64 0
		.amdhsa_float_denorm_mode_32 3
		.amdhsa_float_denorm_mode_16_64 3
		.amdhsa_dx10_clamp 1
		.amdhsa_ieee_mode 1
		.amdhsa_fp16_overflow 0
		.amdhsa_tg_split 0
		.amdhsa_exception_fp_ieee_invalid_op 0
		.amdhsa_exception_fp_denorm_src 0
		.amdhsa_exception_fp_ieee_div_zero 0
		.amdhsa_exception_fp_ieee_overflow 0
		.amdhsa_exception_fp_ieee_underflow 0
		.amdhsa_exception_fp_ieee_inexact 0
		.amdhsa_exception_int_div_zero 0
	.end_amdhsa_kernel
	.section	.text._ZN7rocprim17ROCPRIM_400000_NS6detail17trampoline_kernelINS0_14default_configENS1_27scan_by_key_config_selectorIxxEEZZNS1_16scan_by_key_implILNS1_25lookback_scan_determinismE0ELb0ES3_N6thrust23THRUST_200600_302600_NS6detail15normal_iteratorINS9_10device_ptrIxEEEENS9_18transform_iteratorINS9_6negateIxEESE_NS9_11use_defaultESI_EESE_xNS9_4plusIvEENS9_8equal_toIvEExEE10hipError_tPvRmT2_T3_T4_T5_mT6_T7_P12ihipStream_tbENKUlT_T0_E_clISt17integral_constantIbLb1EES13_IbLb0EEEEDaSZ_S10_EUlSZ_E_NS1_11comp_targetILNS1_3genE8ELNS1_11target_archE1030ELNS1_3gpuE2ELNS1_3repE0EEENS1_30default_config_static_selectorELNS0_4arch9wavefront6targetE1EEEvT1_,"axG",@progbits,_ZN7rocprim17ROCPRIM_400000_NS6detail17trampoline_kernelINS0_14default_configENS1_27scan_by_key_config_selectorIxxEEZZNS1_16scan_by_key_implILNS1_25lookback_scan_determinismE0ELb0ES3_N6thrust23THRUST_200600_302600_NS6detail15normal_iteratorINS9_10device_ptrIxEEEENS9_18transform_iteratorINS9_6negateIxEESE_NS9_11use_defaultESI_EESE_xNS9_4plusIvEENS9_8equal_toIvEExEE10hipError_tPvRmT2_T3_T4_T5_mT6_T7_P12ihipStream_tbENKUlT_T0_E_clISt17integral_constantIbLb1EES13_IbLb0EEEEDaSZ_S10_EUlSZ_E_NS1_11comp_targetILNS1_3genE8ELNS1_11target_archE1030ELNS1_3gpuE2ELNS1_3repE0EEENS1_30default_config_static_selectorELNS0_4arch9wavefront6targetE1EEEvT1_,comdat
.Lfunc_end919:
	.size	_ZN7rocprim17ROCPRIM_400000_NS6detail17trampoline_kernelINS0_14default_configENS1_27scan_by_key_config_selectorIxxEEZZNS1_16scan_by_key_implILNS1_25lookback_scan_determinismE0ELb0ES3_N6thrust23THRUST_200600_302600_NS6detail15normal_iteratorINS9_10device_ptrIxEEEENS9_18transform_iteratorINS9_6negateIxEESE_NS9_11use_defaultESI_EESE_xNS9_4plusIvEENS9_8equal_toIvEExEE10hipError_tPvRmT2_T3_T4_T5_mT6_T7_P12ihipStream_tbENKUlT_T0_E_clISt17integral_constantIbLb1EES13_IbLb0EEEEDaSZ_S10_EUlSZ_E_NS1_11comp_targetILNS1_3genE8ELNS1_11target_archE1030ELNS1_3gpuE2ELNS1_3repE0EEENS1_30default_config_static_selectorELNS0_4arch9wavefront6targetE1EEEvT1_, .Lfunc_end919-_ZN7rocprim17ROCPRIM_400000_NS6detail17trampoline_kernelINS0_14default_configENS1_27scan_by_key_config_selectorIxxEEZZNS1_16scan_by_key_implILNS1_25lookback_scan_determinismE0ELb0ES3_N6thrust23THRUST_200600_302600_NS6detail15normal_iteratorINS9_10device_ptrIxEEEENS9_18transform_iteratorINS9_6negateIxEESE_NS9_11use_defaultESI_EESE_xNS9_4plusIvEENS9_8equal_toIvEExEE10hipError_tPvRmT2_T3_T4_T5_mT6_T7_P12ihipStream_tbENKUlT_T0_E_clISt17integral_constantIbLb1EES13_IbLb0EEEEDaSZ_S10_EUlSZ_E_NS1_11comp_targetILNS1_3genE8ELNS1_11target_archE1030ELNS1_3gpuE2ELNS1_3repE0EEENS1_30default_config_static_selectorELNS0_4arch9wavefront6targetE1EEEvT1_
                                        ; -- End function
	.section	.AMDGPU.csdata,"",@progbits
; Kernel info:
; codeLenInByte = 0
; NumSgprs: 6
; NumVgprs: 0
; NumAgprs: 0
; TotalNumVgprs: 0
; ScratchSize: 0
; MemoryBound: 0
; FloatMode: 240
; IeeeMode: 1
; LDSByteSize: 0 bytes/workgroup (compile time only)
; SGPRBlocks: 0
; VGPRBlocks: 0
; NumSGPRsForWavesPerEU: 6
; NumVGPRsForWavesPerEU: 1
; AccumOffset: 4
; Occupancy: 8
; WaveLimiterHint : 0
; COMPUTE_PGM_RSRC2:SCRATCH_EN: 0
; COMPUTE_PGM_RSRC2:USER_SGPR: 2
; COMPUTE_PGM_RSRC2:TRAP_HANDLER: 0
; COMPUTE_PGM_RSRC2:TGID_X_EN: 1
; COMPUTE_PGM_RSRC2:TGID_Y_EN: 0
; COMPUTE_PGM_RSRC2:TGID_Z_EN: 0
; COMPUTE_PGM_RSRC2:TIDIG_COMP_CNT: 0
; COMPUTE_PGM_RSRC3_GFX90A:ACCUM_OFFSET: 0
; COMPUTE_PGM_RSRC3_GFX90A:TG_SPLIT: 0
	.section	.text._ZN7rocprim17ROCPRIM_400000_NS6detail17trampoline_kernelINS0_14default_configENS1_27scan_by_key_config_selectorIxxEEZZNS1_16scan_by_key_implILNS1_25lookback_scan_determinismE0ELb0ES3_N6thrust23THRUST_200600_302600_NS6detail15normal_iteratorINS9_10device_ptrIxEEEENS9_18transform_iteratorINS9_6negateIxEESE_NS9_11use_defaultESI_EESE_xNS9_4plusIvEENS9_8equal_toIvEExEE10hipError_tPvRmT2_T3_T4_T5_mT6_T7_P12ihipStream_tbENKUlT_T0_E_clISt17integral_constantIbLb0EES13_IbLb1EEEEDaSZ_S10_EUlSZ_E_NS1_11comp_targetILNS1_3genE0ELNS1_11target_archE4294967295ELNS1_3gpuE0ELNS1_3repE0EEENS1_30default_config_static_selectorELNS0_4arch9wavefront6targetE1EEEvT1_,"axG",@progbits,_ZN7rocprim17ROCPRIM_400000_NS6detail17trampoline_kernelINS0_14default_configENS1_27scan_by_key_config_selectorIxxEEZZNS1_16scan_by_key_implILNS1_25lookback_scan_determinismE0ELb0ES3_N6thrust23THRUST_200600_302600_NS6detail15normal_iteratorINS9_10device_ptrIxEEEENS9_18transform_iteratorINS9_6negateIxEESE_NS9_11use_defaultESI_EESE_xNS9_4plusIvEENS9_8equal_toIvEExEE10hipError_tPvRmT2_T3_T4_T5_mT6_T7_P12ihipStream_tbENKUlT_T0_E_clISt17integral_constantIbLb0EES13_IbLb1EEEEDaSZ_S10_EUlSZ_E_NS1_11comp_targetILNS1_3genE0ELNS1_11target_archE4294967295ELNS1_3gpuE0ELNS1_3repE0EEENS1_30default_config_static_selectorELNS0_4arch9wavefront6targetE1EEEvT1_,comdat
	.protected	_ZN7rocprim17ROCPRIM_400000_NS6detail17trampoline_kernelINS0_14default_configENS1_27scan_by_key_config_selectorIxxEEZZNS1_16scan_by_key_implILNS1_25lookback_scan_determinismE0ELb0ES3_N6thrust23THRUST_200600_302600_NS6detail15normal_iteratorINS9_10device_ptrIxEEEENS9_18transform_iteratorINS9_6negateIxEESE_NS9_11use_defaultESI_EESE_xNS9_4plusIvEENS9_8equal_toIvEExEE10hipError_tPvRmT2_T3_T4_T5_mT6_T7_P12ihipStream_tbENKUlT_T0_E_clISt17integral_constantIbLb0EES13_IbLb1EEEEDaSZ_S10_EUlSZ_E_NS1_11comp_targetILNS1_3genE0ELNS1_11target_archE4294967295ELNS1_3gpuE0ELNS1_3repE0EEENS1_30default_config_static_selectorELNS0_4arch9wavefront6targetE1EEEvT1_ ; -- Begin function _ZN7rocprim17ROCPRIM_400000_NS6detail17trampoline_kernelINS0_14default_configENS1_27scan_by_key_config_selectorIxxEEZZNS1_16scan_by_key_implILNS1_25lookback_scan_determinismE0ELb0ES3_N6thrust23THRUST_200600_302600_NS6detail15normal_iteratorINS9_10device_ptrIxEEEENS9_18transform_iteratorINS9_6negateIxEESE_NS9_11use_defaultESI_EESE_xNS9_4plusIvEENS9_8equal_toIvEExEE10hipError_tPvRmT2_T3_T4_T5_mT6_T7_P12ihipStream_tbENKUlT_T0_E_clISt17integral_constantIbLb0EES13_IbLb1EEEEDaSZ_S10_EUlSZ_E_NS1_11comp_targetILNS1_3genE0ELNS1_11target_archE4294967295ELNS1_3gpuE0ELNS1_3repE0EEENS1_30default_config_static_selectorELNS0_4arch9wavefront6targetE1EEEvT1_
	.globl	_ZN7rocprim17ROCPRIM_400000_NS6detail17trampoline_kernelINS0_14default_configENS1_27scan_by_key_config_selectorIxxEEZZNS1_16scan_by_key_implILNS1_25lookback_scan_determinismE0ELb0ES3_N6thrust23THRUST_200600_302600_NS6detail15normal_iteratorINS9_10device_ptrIxEEEENS9_18transform_iteratorINS9_6negateIxEESE_NS9_11use_defaultESI_EESE_xNS9_4plusIvEENS9_8equal_toIvEExEE10hipError_tPvRmT2_T3_T4_T5_mT6_T7_P12ihipStream_tbENKUlT_T0_E_clISt17integral_constantIbLb0EES13_IbLb1EEEEDaSZ_S10_EUlSZ_E_NS1_11comp_targetILNS1_3genE0ELNS1_11target_archE4294967295ELNS1_3gpuE0ELNS1_3repE0EEENS1_30default_config_static_selectorELNS0_4arch9wavefront6targetE1EEEvT1_
	.p2align	8
	.type	_ZN7rocprim17ROCPRIM_400000_NS6detail17trampoline_kernelINS0_14default_configENS1_27scan_by_key_config_selectorIxxEEZZNS1_16scan_by_key_implILNS1_25lookback_scan_determinismE0ELb0ES3_N6thrust23THRUST_200600_302600_NS6detail15normal_iteratorINS9_10device_ptrIxEEEENS9_18transform_iteratorINS9_6negateIxEESE_NS9_11use_defaultESI_EESE_xNS9_4plusIvEENS9_8equal_toIvEExEE10hipError_tPvRmT2_T3_T4_T5_mT6_T7_P12ihipStream_tbENKUlT_T0_E_clISt17integral_constantIbLb0EES13_IbLb1EEEEDaSZ_S10_EUlSZ_E_NS1_11comp_targetILNS1_3genE0ELNS1_11target_archE4294967295ELNS1_3gpuE0ELNS1_3repE0EEENS1_30default_config_static_selectorELNS0_4arch9wavefront6targetE1EEEvT1_,@function
_ZN7rocprim17ROCPRIM_400000_NS6detail17trampoline_kernelINS0_14default_configENS1_27scan_by_key_config_selectorIxxEEZZNS1_16scan_by_key_implILNS1_25lookback_scan_determinismE0ELb0ES3_N6thrust23THRUST_200600_302600_NS6detail15normal_iteratorINS9_10device_ptrIxEEEENS9_18transform_iteratorINS9_6negateIxEESE_NS9_11use_defaultESI_EESE_xNS9_4plusIvEENS9_8equal_toIvEExEE10hipError_tPvRmT2_T3_T4_T5_mT6_T7_P12ihipStream_tbENKUlT_T0_E_clISt17integral_constantIbLb0EES13_IbLb1EEEEDaSZ_S10_EUlSZ_E_NS1_11comp_targetILNS1_3genE0ELNS1_11target_archE4294967295ELNS1_3gpuE0ELNS1_3repE0EEENS1_30default_config_static_selectorELNS0_4arch9wavefront6targetE1EEEvT1_: ; @_ZN7rocprim17ROCPRIM_400000_NS6detail17trampoline_kernelINS0_14default_configENS1_27scan_by_key_config_selectorIxxEEZZNS1_16scan_by_key_implILNS1_25lookback_scan_determinismE0ELb0ES3_N6thrust23THRUST_200600_302600_NS6detail15normal_iteratorINS9_10device_ptrIxEEEENS9_18transform_iteratorINS9_6negateIxEESE_NS9_11use_defaultESI_EESE_xNS9_4plusIvEENS9_8equal_toIvEExEE10hipError_tPvRmT2_T3_T4_T5_mT6_T7_P12ihipStream_tbENKUlT_T0_E_clISt17integral_constantIbLb0EES13_IbLb1EEEEDaSZ_S10_EUlSZ_E_NS1_11comp_targetILNS1_3genE0ELNS1_11target_archE4294967295ELNS1_3gpuE0ELNS1_3repE0EEENS1_30default_config_static_selectorELNS0_4arch9wavefront6targetE1EEEvT1_
; %bb.0:
	.section	.rodata,"a",@progbits
	.p2align	6, 0x0
	.amdhsa_kernel _ZN7rocprim17ROCPRIM_400000_NS6detail17trampoline_kernelINS0_14default_configENS1_27scan_by_key_config_selectorIxxEEZZNS1_16scan_by_key_implILNS1_25lookback_scan_determinismE0ELb0ES3_N6thrust23THRUST_200600_302600_NS6detail15normal_iteratorINS9_10device_ptrIxEEEENS9_18transform_iteratorINS9_6negateIxEESE_NS9_11use_defaultESI_EESE_xNS9_4plusIvEENS9_8equal_toIvEExEE10hipError_tPvRmT2_T3_T4_T5_mT6_T7_P12ihipStream_tbENKUlT_T0_E_clISt17integral_constantIbLb0EES13_IbLb1EEEEDaSZ_S10_EUlSZ_E_NS1_11comp_targetILNS1_3genE0ELNS1_11target_archE4294967295ELNS1_3gpuE0ELNS1_3repE0EEENS1_30default_config_static_selectorELNS0_4arch9wavefront6targetE1EEEvT1_
		.amdhsa_group_segment_fixed_size 0
		.amdhsa_private_segment_fixed_size 0
		.amdhsa_kernarg_size 144
		.amdhsa_user_sgpr_count 2
		.amdhsa_user_sgpr_dispatch_ptr 0
		.amdhsa_user_sgpr_queue_ptr 0
		.amdhsa_user_sgpr_kernarg_segment_ptr 1
		.amdhsa_user_sgpr_dispatch_id 0
		.amdhsa_user_sgpr_kernarg_preload_length 0
		.amdhsa_user_sgpr_kernarg_preload_offset 0
		.amdhsa_user_sgpr_private_segment_size 0
		.amdhsa_uses_dynamic_stack 0
		.amdhsa_enable_private_segment 0
		.amdhsa_system_sgpr_workgroup_id_x 1
		.amdhsa_system_sgpr_workgroup_id_y 0
		.amdhsa_system_sgpr_workgroup_id_z 0
		.amdhsa_system_sgpr_workgroup_info 0
		.amdhsa_system_vgpr_workitem_id 0
		.amdhsa_next_free_vgpr 1
		.amdhsa_next_free_sgpr 0
		.amdhsa_accum_offset 4
		.amdhsa_reserve_vcc 0
		.amdhsa_float_round_mode_32 0
		.amdhsa_float_round_mode_16_64 0
		.amdhsa_float_denorm_mode_32 3
		.amdhsa_float_denorm_mode_16_64 3
		.amdhsa_dx10_clamp 1
		.amdhsa_ieee_mode 1
		.amdhsa_fp16_overflow 0
		.amdhsa_tg_split 0
		.amdhsa_exception_fp_ieee_invalid_op 0
		.amdhsa_exception_fp_denorm_src 0
		.amdhsa_exception_fp_ieee_div_zero 0
		.amdhsa_exception_fp_ieee_overflow 0
		.amdhsa_exception_fp_ieee_underflow 0
		.amdhsa_exception_fp_ieee_inexact 0
		.amdhsa_exception_int_div_zero 0
	.end_amdhsa_kernel
	.section	.text._ZN7rocprim17ROCPRIM_400000_NS6detail17trampoline_kernelINS0_14default_configENS1_27scan_by_key_config_selectorIxxEEZZNS1_16scan_by_key_implILNS1_25lookback_scan_determinismE0ELb0ES3_N6thrust23THRUST_200600_302600_NS6detail15normal_iteratorINS9_10device_ptrIxEEEENS9_18transform_iteratorINS9_6negateIxEESE_NS9_11use_defaultESI_EESE_xNS9_4plusIvEENS9_8equal_toIvEExEE10hipError_tPvRmT2_T3_T4_T5_mT6_T7_P12ihipStream_tbENKUlT_T0_E_clISt17integral_constantIbLb0EES13_IbLb1EEEEDaSZ_S10_EUlSZ_E_NS1_11comp_targetILNS1_3genE0ELNS1_11target_archE4294967295ELNS1_3gpuE0ELNS1_3repE0EEENS1_30default_config_static_selectorELNS0_4arch9wavefront6targetE1EEEvT1_,"axG",@progbits,_ZN7rocprim17ROCPRIM_400000_NS6detail17trampoline_kernelINS0_14default_configENS1_27scan_by_key_config_selectorIxxEEZZNS1_16scan_by_key_implILNS1_25lookback_scan_determinismE0ELb0ES3_N6thrust23THRUST_200600_302600_NS6detail15normal_iteratorINS9_10device_ptrIxEEEENS9_18transform_iteratorINS9_6negateIxEESE_NS9_11use_defaultESI_EESE_xNS9_4plusIvEENS9_8equal_toIvEExEE10hipError_tPvRmT2_T3_T4_T5_mT6_T7_P12ihipStream_tbENKUlT_T0_E_clISt17integral_constantIbLb0EES13_IbLb1EEEEDaSZ_S10_EUlSZ_E_NS1_11comp_targetILNS1_3genE0ELNS1_11target_archE4294967295ELNS1_3gpuE0ELNS1_3repE0EEENS1_30default_config_static_selectorELNS0_4arch9wavefront6targetE1EEEvT1_,comdat
.Lfunc_end920:
	.size	_ZN7rocprim17ROCPRIM_400000_NS6detail17trampoline_kernelINS0_14default_configENS1_27scan_by_key_config_selectorIxxEEZZNS1_16scan_by_key_implILNS1_25lookback_scan_determinismE0ELb0ES3_N6thrust23THRUST_200600_302600_NS6detail15normal_iteratorINS9_10device_ptrIxEEEENS9_18transform_iteratorINS9_6negateIxEESE_NS9_11use_defaultESI_EESE_xNS9_4plusIvEENS9_8equal_toIvEExEE10hipError_tPvRmT2_T3_T4_T5_mT6_T7_P12ihipStream_tbENKUlT_T0_E_clISt17integral_constantIbLb0EES13_IbLb1EEEEDaSZ_S10_EUlSZ_E_NS1_11comp_targetILNS1_3genE0ELNS1_11target_archE4294967295ELNS1_3gpuE0ELNS1_3repE0EEENS1_30default_config_static_selectorELNS0_4arch9wavefront6targetE1EEEvT1_, .Lfunc_end920-_ZN7rocprim17ROCPRIM_400000_NS6detail17trampoline_kernelINS0_14default_configENS1_27scan_by_key_config_selectorIxxEEZZNS1_16scan_by_key_implILNS1_25lookback_scan_determinismE0ELb0ES3_N6thrust23THRUST_200600_302600_NS6detail15normal_iteratorINS9_10device_ptrIxEEEENS9_18transform_iteratorINS9_6negateIxEESE_NS9_11use_defaultESI_EESE_xNS9_4plusIvEENS9_8equal_toIvEExEE10hipError_tPvRmT2_T3_T4_T5_mT6_T7_P12ihipStream_tbENKUlT_T0_E_clISt17integral_constantIbLb0EES13_IbLb1EEEEDaSZ_S10_EUlSZ_E_NS1_11comp_targetILNS1_3genE0ELNS1_11target_archE4294967295ELNS1_3gpuE0ELNS1_3repE0EEENS1_30default_config_static_selectorELNS0_4arch9wavefront6targetE1EEEvT1_
                                        ; -- End function
	.section	.AMDGPU.csdata,"",@progbits
; Kernel info:
; codeLenInByte = 0
; NumSgprs: 6
; NumVgprs: 0
; NumAgprs: 0
; TotalNumVgprs: 0
; ScratchSize: 0
; MemoryBound: 0
; FloatMode: 240
; IeeeMode: 1
; LDSByteSize: 0 bytes/workgroup (compile time only)
; SGPRBlocks: 0
; VGPRBlocks: 0
; NumSGPRsForWavesPerEU: 6
; NumVGPRsForWavesPerEU: 1
; AccumOffset: 4
; Occupancy: 8
; WaveLimiterHint : 0
; COMPUTE_PGM_RSRC2:SCRATCH_EN: 0
; COMPUTE_PGM_RSRC2:USER_SGPR: 2
; COMPUTE_PGM_RSRC2:TRAP_HANDLER: 0
; COMPUTE_PGM_RSRC2:TGID_X_EN: 1
; COMPUTE_PGM_RSRC2:TGID_Y_EN: 0
; COMPUTE_PGM_RSRC2:TGID_Z_EN: 0
; COMPUTE_PGM_RSRC2:TIDIG_COMP_CNT: 0
; COMPUTE_PGM_RSRC3_GFX90A:ACCUM_OFFSET: 0
; COMPUTE_PGM_RSRC3_GFX90A:TG_SPLIT: 0
	.section	.text._ZN7rocprim17ROCPRIM_400000_NS6detail17trampoline_kernelINS0_14default_configENS1_27scan_by_key_config_selectorIxxEEZZNS1_16scan_by_key_implILNS1_25lookback_scan_determinismE0ELb0ES3_N6thrust23THRUST_200600_302600_NS6detail15normal_iteratorINS9_10device_ptrIxEEEENS9_18transform_iteratorINS9_6negateIxEESE_NS9_11use_defaultESI_EESE_xNS9_4plusIvEENS9_8equal_toIvEExEE10hipError_tPvRmT2_T3_T4_T5_mT6_T7_P12ihipStream_tbENKUlT_T0_E_clISt17integral_constantIbLb0EES13_IbLb1EEEEDaSZ_S10_EUlSZ_E_NS1_11comp_targetILNS1_3genE10ELNS1_11target_archE1201ELNS1_3gpuE5ELNS1_3repE0EEENS1_30default_config_static_selectorELNS0_4arch9wavefront6targetE1EEEvT1_,"axG",@progbits,_ZN7rocprim17ROCPRIM_400000_NS6detail17trampoline_kernelINS0_14default_configENS1_27scan_by_key_config_selectorIxxEEZZNS1_16scan_by_key_implILNS1_25lookback_scan_determinismE0ELb0ES3_N6thrust23THRUST_200600_302600_NS6detail15normal_iteratorINS9_10device_ptrIxEEEENS9_18transform_iteratorINS9_6negateIxEESE_NS9_11use_defaultESI_EESE_xNS9_4plusIvEENS9_8equal_toIvEExEE10hipError_tPvRmT2_T3_T4_T5_mT6_T7_P12ihipStream_tbENKUlT_T0_E_clISt17integral_constantIbLb0EES13_IbLb1EEEEDaSZ_S10_EUlSZ_E_NS1_11comp_targetILNS1_3genE10ELNS1_11target_archE1201ELNS1_3gpuE5ELNS1_3repE0EEENS1_30default_config_static_selectorELNS0_4arch9wavefront6targetE1EEEvT1_,comdat
	.protected	_ZN7rocprim17ROCPRIM_400000_NS6detail17trampoline_kernelINS0_14default_configENS1_27scan_by_key_config_selectorIxxEEZZNS1_16scan_by_key_implILNS1_25lookback_scan_determinismE0ELb0ES3_N6thrust23THRUST_200600_302600_NS6detail15normal_iteratorINS9_10device_ptrIxEEEENS9_18transform_iteratorINS9_6negateIxEESE_NS9_11use_defaultESI_EESE_xNS9_4plusIvEENS9_8equal_toIvEExEE10hipError_tPvRmT2_T3_T4_T5_mT6_T7_P12ihipStream_tbENKUlT_T0_E_clISt17integral_constantIbLb0EES13_IbLb1EEEEDaSZ_S10_EUlSZ_E_NS1_11comp_targetILNS1_3genE10ELNS1_11target_archE1201ELNS1_3gpuE5ELNS1_3repE0EEENS1_30default_config_static_selectorELNS0_4arch9wavefront6targetE1EEEvT1_ ; -- Begin function _ZN7rocprim17ROCPRIM_400000_NS6detail17trampoline_kernelINS0_14default_configENS1_27scan_by_key_config_selectorIxxEEZZNS1_16scan_by_key_implILNS1_25lookback_scan_determinismE0ELb0ES3_N6thrust23THRUST_200600_302600_NS6detail15normal_iteratorINS9_10device_ptrIxEEEENS9_18transform_iteratorINS9_6negateIxEESE_NS9_11use_defaultESI_EESE_xNS9_4plusIvEENS9_8equal_toIvEExEE10hipError_tPvRmT2_T3_T4_T5_mT6_T7_P12ihipStream_tbENKUlT_T0_E_clISt17integral_constantIbLb0EES13_IbLb1EEEEDaSZ_S10_EUlSZ_E_NS1_11comp_targetILNS1_3genE10ELNS1_11target_archE1201ELNS1_3gpuE5ELNS1_3repE0EEENS1_30default_config_static_selectorELNS0_4arch9wavefront6targetE1EEEvT1_
	.globl	_ZN7rocprim17ROCPRIM_400000_NS6detail17trampoline_kernelINS0_14default_configENS1_27scan_by_key_config_selectorIxxEEZZNS1_16scan_by_key_implILNS1_25lookback_scan_determinismE0ELb0ES3_N6thrust23THRUST_200600_302600_NS6detail15normal_iteratorINS9_10device_ptrIxEEEENS9_18transform_iteratorINS9_6negateIxEESE_NS9_11use_defaultESI_EESE_xNS9_4plusIvEENS9_8equal_toIvEExEE10hipError_tPvRmT2_T3_T4_T5_mT6_T7_P12ihipStream_tbENKUlT_T0_E_clISt17integral_constantIbLb0EES13_IbLb1EEEEDaSZ_S10_EUlSZ_E_NS1_11comp_targetILNS1_3genE10ELNS1_11target_archE1201ELNS1_3gpuE5ELNS1_3repE0EEENS1_30default_config_static_selectorELNS0_4arch9wavefront6targetE1EEEvT1_
	.p2align	8
	.type	_ZN7rocprim17ROCPRIM_400000_NS6detail17trampoline_kernelINS0_14default_configENS1_27scan_by_key_config_selectorIxxEEZZNS1_16scan_by_key_implILNS1_25lookback_scan_determinismE0ELb0ES3_N6thrust23THRUST_200600_302600_NS6detail15normal_iteratorINS9_10device_ptrIxEEEENS9_18transform_iteratorINS9_6negateIxEESE_NS9_11use_defaultESI_EESE_xNS9_4plusIvEENS9_8equal_toIvEExEE10hipError_tPvRmT2_T3_T4_T5_mT6_T7_P12ihipStream_tbENKUlT_T0_E_clISt17integral_constantIbLb0EES13_IbLb1EEEEDaSZ_S10_EUlSZ_E_NS1_11comp_targetILNS1_3genE10ELNS1_11target_archE1201ELNS1_3gpuE5ELNS1_3repE0EEENS1_30default_config_static_selectorELNS0_4arch9wavefront6targetE1EEEvT1_,@function
_ZN7rocprim17ROCPRIM_400000_NS6detail17trampoline_kernelINS0_14default_configENS1_27scan_by_key_config_selectorIxxEEZZNS1_16scan_by_key_implILNS1_25lookback_scan_determinismE0ELb0ES3_N6thrust23THRUST_200600_302600_NS6detail15normal_iteratorINS9_10device_ptrIxEEEENS9_18transform_iteratorINS9_6negateIxEESE_NS9_11use_defaultESI_EESE_xNS9_4plusIvEENS9_8equal_toIvEExEE10hipError_tPvRmT2_T3_T4_T5_mT6_T7_P12ihipStream_tbENKUlT_T0_E_clISt17integral_constantIbLb0EES13_IbLb1EEEEDaSZ_S10_EUlSZ_E_NS1_11comp_targetILNS1_3genE10ELNS1_11target_archE1201ELNS1_3gpuE5ELNS1_3repE0EEENS1_30default_config_static_selectorELNS0_4arch9wavefront6targetE1EEEvT1_: ; @_ZN7rocprim17ROCPRIM_400000_NS6detail17trampoline_kernelINS0_14default_configENS1_27scan_by_key_config_selectorIxxEEZZNS1_16scan_by_key_implILNS1_25lookback_scan_determinismE0ELb0ES3_N6thrust23THRUST_200600_302600_NS6detail15normal_iteratorINS9_10device_ptrIxEEEENS9_18transform_iteratorINS9_6negateIxEESE_NS9_11use_defaultESI_EESE_xNS9_4plusIvEENS9_8equal_toIvEExEE10hipError_tPvRmT2_T3_T4_T5_mT6_T7_P12ihipStream_tbENKUlT_T0_E_clISt17integral_constantIbLb0EES13_IbLb1EEEEDaSZ_S10_EUlSZ_E_NS1_11comp_targetILNS1_3genE10ELNS1_11target_archE1201ELNS1_3gpuE5ELNS1_3repE0EEENS1_30default_config_static_selectorELNS0_4arch9wavefront6targetE1EEEvT1_
; %bb.0:
	.section	.rodata,"a",@progbits
	.p2align	6, 0x0
	.amdhsa_kernel _ZN7rocprim17ROCPRIM_400000_NS6detail17trampoline_kernelINS0_14default_configENS1_27scan_by_key_config_selectorIxxEEZZNS1_16scan_by_key_implILNS1_25lookback_scan_determinismE0ELb0ES3_N6thrust23THRUST_200600_302600_NS6detail15normal_iteratorINS9_10device_ptrIxEEEENS9_18transform_iteratorINS9_6negateIxEESE_NS9_11use_defaultESI_EESE_xNS9_4plusIvEENS9_8equal_toIvEExEE10hipError_tPvRmT2_T3_T4_T5_mT6_T7_P12ihipStream_tbENKUlT_T0_E_clISt17integral_constantIbLb0EES13_IbLb1EEEEDaSZ_S10_EUlSZ_E_NS1_11comp_targetILNS1_3genE10ELNS1_11target_archE1201ELNS1_3gpuE5ELNS1_3repE0EEENS1_30default_config_static_selectorELNS0_4arch9wavefront6targetE1EEEvT1_
		.amdhsa_group_segment_fixed_size 0
		.amdhsa_private_segment_fixed_size 0
		.amdhsa_kernarg_size 144
		.amdhsa_user_sgpr_count 2
		.amdhsa_user_sgpr_dispatch_ptr 0
		.amdhsa_user_sgpr_queue_ptr 0
		.amdhsa_user_sgpr_kernarg_segment_ptr 1
		.amdhsa_user_sgpr_dispatch_id 0
		.amdhsa_user_sgpr_kernarg_preload_length 0
		.amdhsa_user_sgpr_kernarg_preload_offset 0
		.amdhsa_user_sgpr_private_segment_size 0
		.amdhsa_uses_dynamic_stack 0
		.amdhsa_enable_private_segment 0
		.amdhsa_system_sgpr_workgroup_id_x 1
		.amdhsa_system_sgpr_workgroup_id_y 0
		.amdhsa_system_sgpr_workgroup_id_z 0
		.amdhsa_system_sgpr_workgroup_info 0
		.amdhsa_system_vgpr_workitem_id 0
		.amdhsa_next_free_vgpr 1
		.amdhsa_next_free_sgpr 0
		.amdhsa_accum_offset 4
		.amdhsa_reserve_vcc 0
		.amdhsa_float_round_mode_32 0
		.amdhsa_float_round_mode_16_64 0
		.amdhsa_float_denorm_mode_32 3
		.amdhsa_float_denorm_mode_16_64 3
		.amdhsa_dx10_clamp 1
		.amdhsa_ieee_mode 1
		.amdhsa_fp16_overflow 0
		.amdhsa_tg_split 0
		.amdhsa_exception_fp_ieee_invalid_op 0
		.amdhsa_exception_fp_denorm_src 0
		.amdhsa_exception_fp_ieee_div_zero 0
		.amdhsa_exception_fp_ieee_overflow 0
		.amdhsa_exception_fp_ieee_underflow 0
		.amdhsa_exception_fp_ieee_inexact 0
		.amdhsa_exception_int_div_zero 0
	.end_amdhsa_kernel
	.section	.text._ZN7rocprim17ROCPRIM_400000_NS6detail17trampoline_kernelINS0_14default_configENS1_27scan_by_key_config_selectorIxxEEZZNS1_16scan_by_key_implILNS1_25lookback_scan_determinismE0ELb0ES3_N6thrust23THRUST_200600_302600_NS6detail15normal_iteratorINS9_10device_ptrIxEEEENS9_18transform_iteratorINS9_6negateIxEESE_NS9_11use_defaultESI_EESE_xNS9_4plusIvEENS9_8equal_toIvEExEE10hipError_tPvRmT2_T3_T4_T5_mT6_T7_P12ihipStream_tbENKUlT_T0_E_clISt17integral_constantIbLb0EES13_IbLb1EEEEDaSZ_S10_EUlSZ_E_NS1_11comp_targetILNS1_3genE10ELNS1_11target_archE1201ELNS1_3gpuE5ELNS1_3repE0EEENS1_30default_config_static_selectorELNS0_4arch9wavefront6targetE1EEEvT1_,"axG",@progbits,_ZN7rocprim17ROCPRIM_400000_NS6detail17trampoline_kernelINS0_14default_configENS1_27scan_by_key_config_selectorIxxEEZZNS1_16scan_by_key_implILNS1_25lookback_scan_determinismE0ELb0ES3_N6thrust23THRUST_200600_302600_NS6detail15normal_iteratorINS9_10device_ptrIxEEEENS9_18transform_iteratorINS9_6negateIxEESE_NS9_11use_defaultESI_EESE_xNS9_4plusIvEENS9_8equal_toIvEExEE10hipError_tPvRmT2_T3_T4_T5_mT6_T7_P12ihipStream_tbENKUlT_T0_E_clISt17integral_constantIbLb0EES13_IbLb1EEEEDaSZ_S10_EUlSZ_E_NS1_11comp_targetILNS1_3genE10ELNS1_11target_archE1201ELNS1_3gpuE5ELNS1_3repE0EEENS1_30default_config_static_selectorELNS0_4arch9wavefront6targetE1EEEvT1_,comdat
.Lfunc_end921:
	.size	_ZN7rocprim17ROCPRIM_400000_NS6detail17trampoline_kernelINS0_14default_configENS1_27scan_by_key_config_selectorIxxEEZZNS1_16scan_by_key_implILNS1_25lookback_scan_determinismE0ELb0ES3_N6thrust23THRUST_200600_302600_NS6detail15normal_iteratorINS9_10device_ptrIxEEEENS9_18transform_iteratorINS9_6negateIxEESE_NS9_11use_defaultESI_EESE_xNS9_4plusIvEENS9_8equal_toIvEExEE10hipError_tPvRmT2_T3_T4_T5_mT6_T7_P12ihipStream_tbENKUlT_T0_E_clISt17integral_constantIbLb0EES13_IbLb1EEEEDaSZ_S10_EUlSZ_E_NS1_11comp_targetILNS1_3genE10ELNS1_11target_archE1201ELNS1_3gpuE5ELNS1_3repE0EEENS1_30default_config_static_selectorELNS0_4arch9wavefront6targetE1EEEvT1_, .Lfunc_end921-_ZN7rocprim17ROCPRIM_400000_NS6detail17trampoline_kernelINS0_14default_configENS1_27scan_by_key_config_selectorIxxEEZZNS1_16scan_by_key_implILNS1_25lookback_scan_determinismE0ELb0ES3_N6thrust23THRUST_200600_302600_NS6detail15normal_iteratorINS9_10device_ptrIxEEEENS9_18transform_iteratorINS9_6negateIxEESE_NS9_11use_defaultESI_EESE_xNS9_4plusIvEENS9_8equal_toIvEExEE10hipError_tPvRmT2_T3_T4_T5_mT6_T7_P12ihipStream_tbENKUlT_T0_E_clISt17integral_constantIbLb0EES13_IbLb1EEEEDaSZ_S10_EUlSZ_E_NS1_11comp_targetILNS1_3genE10ELNS1_11target_archE1201ELNS1_3gpuE5ELNS1_3repE0EEENS1_30default_config_static_selectorELNS0_4arch9wavefront6targetE1EEEvT1_
                                        ; -- End function
	.section	.AMDGPU.csdata,"",@progbits
; Kernel info:
; codeLenInByte = 0
; NumSgprs: 6
; NumVgprs: 0
; NumAgprs: 0
; TotalNumVgprs: 0
; ScratchSize: 0
; MemoryBound: 0
; FloatMode: 240
; IeeeMode: 1
; LDSByteSize: 0 bytes/workgroup (compile time only)
; SGPRBlocks: 0
; VGPRBlocks: 0
; NumSGPRsForWavesPerEU: 6
; NumVGPRsForWavesPerEU: 1
; AccumOffset: 4
; Occupancy: 8
; WaveLimiterHint : 0
; COMPUTE_PGM_RSRC2:SCRATCH_EN: 0
; COMPUTE_PGM_RSRC2:USER_SGPR: 2
; COMPUTE_PGM_RSRC2:TRAP_HANDLER: 0
; COMPUTE_PGM_RSRC2:TGID_X_EN: 1
; COMPUTE_PGM_RSRC2:TGID_Y_EN: 0
; COMPUTE_PGM_RSRC2:TGID_Z_EN: 0
; COMPUTE_PGM_RSRC2:TIDIG_COMP_CNT: 0
; COMPUTE_PGM_RSRC3_GFX90A:ACCUM_OFFSET: 0
; COMPUTE_PGM_RSRC3_GFX90A:TG_SPLIT: 0
	.section	.text._ZN7rocprim17ROCPRIM_400000_NS6detail17trampoline_kernelINS0_14default_configENS1_27scan_by_key_config_selectorIxxEEZZNS1_16scan_by_key_implILNS1_25lookback_scan_determinismE0ELb0ES3_N6thrust23THRUST_200600_302600_NS6detail15normal_iteratorINS9_10device_ptrIxEEEENS9_18transform_iteratorINS9_6negateIxEESE_NS9_11use_defaultESI_EESE_xNS9_4plusIvEENS9_8equal_toIvEExEE10hipError_tPvRmT2_T3_T4_T5_mT6_T7_P12ihipStream_tbENKUlT_T0_E_clISt17integral_constantIbLb0EES13_IbLb1EEEEDaSZ_S10_EUlSZ_E_NS1_11comp_targetILNS1_3genE5ELNS1_11target_archE942ELNS1_3gpuE9ELNS1_3repE0EEENS1_30default_config_static_selectorELNS0_4arch9wavefront6targetE1EEEvT1_,"axG",@progbits,_ZN7rocprim17ROCPRIM_400000_NS6detail17trampoline_kernelINS0_14default_configENS1_27scan_by_key_config_selectorIxxEEZZNS1_16scan_by_key_implILNS1_25lookback_scan_determinismE0ELb0ES3_N6thrust23THRUST_200600_302600_NS6detail15normal_iteratorINS9_10device_ptrIxEEEENS9_18transform_iteratorINS9_6negateIxEESE_NS9_11use_defaultESI_EESE_xNS9_4plusIvEENS9_8equal_toIvEExEE10hipError_tPvRmT2_T3_T4_T5_mT6_T7_P12ihipStream_tbENKUlT_T0_E_clISt17integral_constantIbLb0EES13_IbLb1EEEEDaSZ_S10_EUlSZ_E_NS1_11comp_targetILNS1_3genE5ELNS1_11target_archE942ELNS1_3gpuE9ELNS1_3repE0EEENS1_30default_config_static_selectorELNS0_4arch9wavefront6targetE1EEEvT1_,comdat
	.protected	_ZN7rocprim17ROCPRIM_400000_NS6detail17trampoline_kernelINS0_14default_configENS1_27scan_by_key_config_selectorIxxEEZZNS1_16scan_by_key_implILNS1_25lookback_scan_determinismE0ELb0ES3_N6thrust23THRUST_200600_302600_NS6detail15normal_iteratorINS9_10device_ptrIxEEEENS9_18transform_iteratorINS9_6negateIxEESE_NS9_11use_defaultESI_EESE_xNS9_4plusIvEENS9_8equal_toIvEExEE10hipError_tPvRmT2_T3_T4_T5_mT6_T7_P12ihipStream_tbENKUlT_T0_E_clISt17integral_constantIbLb0EES13_IbLb1EEEEDaSZ_S10_EUlSZ_E_NS1_11comp_targetILNS1_3genE5ELNS1_11target_archE942ELNS1_3gpuE9ELNS1_3repE0EEENS1_30default_config_static_selectorELNS0_4arch9wavefront6targetE1EEEvT1_ ; -- Begin function _ZN7rocprim17ROCPRIM_400000_NS6detail17trampoline_kernelINS0_14default_configENS1_27scan_by_key_config_selectorIxxEEZZNS1_16scan_by_key_implILNS1_25lookback_scan_determinismE0ELb0ES3_N6thrust23THRUST_200600_302600_NS6detail15normal_iteratorINS9_10device_ptrIxEEEENS9_18transform_iteratorINS9_6negateIxEESE_NS9_11use_defaultESI_EESE_xNS9_4plusIvEENS9_8equal_toIvEExEE10hipError_tPvRmT2_T3_T4_T5_mT6_T7_P12ihipStream_tbENKUlT_T0_E_clISt17integral_constantIbLb0EES13_IbLb1EEEEDaSZ_S10_EUlSZ_E_NS1_11comp_targetILNS1_3genE5ELNS1_11target_archE942ELNS1_3gpuE9ELNS1_3repE0EEENS1_30default_config_static_selectorELNS0_4arch9wavefront6targetE1EEEvT1_
	.globl	_ZN7rocprim17ROCPRIM_400000_NS6detail17trampoline_kernelINS0_14default_configENS1_27scan_by_key_config_selectorIxxEEZZNS1_16scan_by_key_implILNS1_25lookback_scan_determinismE0ELb0ES3_N6thrust23THRUST_200600_302600_NS6detail15normal_iteratorINS9_10device_ptrIxEEEENS9_18transform_iteratorINS9_6negateIxEESE_NS9_11use_defaultESI_EESE_xNS9_4plusIvEENS9_8equal_toIvEExEE10hipError_tPvRmT2_T3_T4_T5_mT6_T7_P12ihipStream_tbENKUlT_T0_E_clISt17integral_constantIbLb0EES13_IbLb1EEEEDaSZ_S10_EUlSZ_E_NS1_11comp_targetILNS1_3genE5ELNS1_11target_archE942ELNS1_3gpuE9ELNS1_3repE0EEENS1_30default_config_static_selectorELNS0_4arch9wavefront6targetE1EEEvT1_
	.p2align	8
	.type	_ZN7rocprim17ROCPRIM_400000_NS6detail17trampoline_kernelINS0_14default_configENS1_27scan_by_key_config_selectorIxxEEZZNS1_16scan_by_key_implILNS1_25lookback_scan_determinismE0ELb0ES3_N6thrust23THRUST_200600_302600_NS6detail15normal_iteratorINS9_10device_ptrIxEEEENS9_18transform_iteratorINS9_6negateIxEESE_NS9_11use_defaultESI_EESE_xNS9_4plusIvEENS9_8equal_toIvEExEE10hipError_tPvRmT2_T3_T4_T5_mT6_T7_P12ihipStream_tbENKUlT_T0_E_clISt17integral_constantIbLb0EES13_IbLb1EEEEDaSZ_S10_EUlSZ_E_NS1_11comp_targetILNS1_3genE5ELNS1_11target_archE942ELNS1_3gpuE9ELNS1_3repE0EEENS1_30default_config_static_selectorELNS0_4arch9wavefront6targetE1EEEvT1_,@function
_ZN7rocprim17ROCPRIM_400000_NS6detail17trampoline_kernelINS0_14default_configENS1_27scan_by_key_config_selectorIxxEEZZNS1_16scan_by_key_implILNS1_25lookback_scan_determinismE0ELb0ES3_N6thrust23THRUST_200600_302600_NS6detail15normal_iteratorINS9_10device_ptrIxEEEENS9_18transform_iteratorINS9_6negateIxEESE_NS9_11use_defaultESI_EESE_xNS9_4plusIvEENS9_8equal_toIvEExEE10hipError_tPvRmT2_T3_T4_T5_mT6_T7_P12ihipStream_tbENKUlT_T0_E_clISt17integral_constantIbLb0EES13_IbLb1EEEEDaSZ_S10_EUlSZ_E_NS1_11comp_targetILNS1_3genE5ELNS1_11target_archE942ELNS1_3gpuE9ELNS1_3repE0EEENS1_30default_config_static_selectorELNS0_4arch9wavefront6targetE1EEEvT1_: ; @_ZN7rocprim17ROCPRIM_400000_NS6detail17trampoline_kernelINS0_14default_configENS1_27scan_by_key_config_selectorIxxEEZZNS1_16scan_by_key_implILNS1_25lookback_scan_determinismE0ELb0ES3_N6thrust23THRUST_200600_302600_NS6detail15normal_iteratorINS9_10device_ptrIxEEEENS9_18transform_iteratorINS9_6negateIxEESE_NS9_11use_defaultESI_EESE_xNS9_4plusIvEENS9_8equal_toIvEExEE10hipError_tPvRmT2_T3_T4_T5_mT6_T7_P12ihipStream_tbENKUlT_T0_E_clISt17integral_constantIbLb0EES13_IbLb1EEEEDaSZ_S10_EUlSZ_E_NS1_11comp_targetILNS1_3genE5ELNS1_11target_archE942ELNS1_3gpuE9ELNS1_3repE0EEENS1_30default_config_static_selectorELNS0_4arch9wavefront6targetE1EEEvT1_
; %bb.0:
	s_load_dwordx4 s[8:11], s[0:1], 0x0
	s_load_dwordx2 s[2:3], s[0:1], 0x10
	s_load_dwordx2 s[38:39], s[0:1], 0x20
	s_load_dwordx8 s[40:47], s[0:1], 0x38
	s_load_dwordx2 s[58:59], s[0:1], 0x58
	v_cmp_ne_u32_e64 s[4:5], 0, v0
	v_cmp_eq_u32_e64 s[36:37], 0, v0
	s_and_saveexec_b64 s[6:7], s[36:37]
	s_cbranch_execz .LBB922_4
; %bb.1:
	s_mov_b64 s[14:15], exec
	v_mbcnt_lo_u32_b32 v1, s14, 0
	v_mbcnt_hi_u32_b32 v1, s15, v1
	v_cmp_eq_u32_e32 vcc, 0, v1
                                        ; implicit-def: $vgpr2
	s_and_saveexec_b64 s[12:13], vcc
	s_cbranch_execz .LBB922_3
; %bb.2:
	s_load_dwordx2 s[16:17], s[0:1], 0x88
	s_bcnt1_i32_b64 s14, s[14:15]
	v_mov_b32_e32 v2, 0
	v_mov_b32_e32 v3, s14
	s_waitcnt lgkmcnt(0)
	global_atomic_add v2, v2, v3, s[16:17] sc0
.LBB922_3:
	s_or_b64 exec, exec, s[12:13]
	s_waitcnt vmcnt(0)
	v_readfirstlane_b32 s12, v2
	v_mov_b32_e32 v2, 0
	s_nop 0
	v_add_u32_e32 v1, s12, v1
	ds_write_b32 v2, v1
.LBB922_4:
	s_or_b64 exec, exec, s[6:7]
	v_mov_b32_e32 v1, 0
	s_load_dword s6, s[0:1], 0x60
	s_load_dwordx8 s[48:55], s[0:1], 0x68
	s_waitcnt lgkmcnt(0)
	s_barrier
	ds_read_b32 v1, v1
	s_lshl_b64 s[56:57], s[10:11], 3
	s_add_u32 s7, s8, s56
	s_addc_u32 s8, s9, s57
	s_add_u32 s2, s2, s56
	s_mul_i32 s0, s59, s6
	s_mul_hi_u32 s1, s58, s6
	s_addc_u32 s3, s3, s57
	s_add_i32 s9, s1, s0
	s_waitcnt lgkmcnt(0)
	v_readfirstlane_b32 s47, v1
	s_cmp_lg_u64 s[52:53], 0
	s_mov_b32 s1, 0
	s_mul_i32 s0, s47, 0xe00
	s_cselect_b64 s[64:65], -1, 0
	s_lshl_b64 s[52:53], s[0:1], 3
	s_add_u32 s62, s7, s52
	s_addc_u32 s63, s8, s53
	s_add_u32 s60, s2, s52
	s_mul_i32 s6, s58, s6
	s_addc_u32 s61, s3, s53
	s_add_u32 s66, s6, s47
	s_addc_u32 s67, s9, 0
	s_add_u32 s0, s48, -1
	s_addc_u32 s1, s49, -1
	v_mov_b64_e32 v[2:3], s[0:1]
	v_cmp_ge_u64_e64 s[2:3], s[66:67], v[2:3]
	s_mov_b64 s[10:11], 0
	s_mov_b64 s[6:7], -1
	s_and_b64 vcc, exec, s[2:3]
	s_mul_i32 s33, s0, 0xfffff200
	s_barrier
	s_barrier
	s_cbranch_vccz .LBB922_81
; %bb.5:
	v_mov_b64_e32 v[2:3], s[62:63]
	flat_load_dwordx2 v[24:25], v[2:3]
	s_add_i32 s69, s33, s46
	v_cmp_gt_u32_e64 s[6:7], s69, v0
	s_waitcnt vmcnt(0) lgkmcnt(0)
	v_mov_b64_e32 v[28:29], v[24:25]
	s_and_saveexec_b64 s[0:1], s[6:7]
	s_cbranch_execz .LBB922_7
; %bb.6:
	v_lshlrev_b32_e32 v2, 3, v0
	v_mov_b32_e32 v3, 0
	v_lshl_add_u64 v[2:3], s[62:63], 0, v[2:3]
	flat_load_dwordx2 v[28:29], v[2:3]
.LBB922_7:
	s_or_b64 exec, exec, s[0:1]
	v_or_b32_e32 v1, 0x100, v0
	v_cmp_gt_u32_e64 s[8:9], s69, v1
	v_mov_b64_e32 v[30:31], v[24:25]
	s_and_saveexec_b64 s[0:1], s[8:9]
	s_cbranch_execz .LBB922_9
; %bb.8:
	v_lshlrev_b32_e32 v2, 3, v0
	v_mov_b32_e32 v3, 0
	v_lshl_add_u64 v[2:3], s[62:63], 0, v[2:3]
	flat_load_dwordx2 v[30:31], v[2:3] offset:2048
.LBB922_9:
	s_or_b64 exec, exec, s[0:1]
	v_or_b32_e32 v1, 0x200, v0
	v_cmp_gt_u32_e64 s[10:11], s69, v1
	v_lshlrev_b32_e32 v2, 3, v1
	v_mov_b64_e32 v[32:33], v[24:25]
	s_and_saveexec_b64 s[0:1], s[10:11]
	s_cbranch_execz .LBB922_11
; %bb.10:
	v_mov_b32_e32 v3, 0
	v_lshl_add_u64 v[4:5], s[62:63], 0, v[2:3]
	flat_load_dwordx2 v[32:33], v[4:5]
.LBB922_11:
	s_or_b64 exec, exec, s[0:1]
	v_or_b32_e32 v1, 0x300, v0
	v_cmp_gt_u32_e64 s[12:13], s69, v1
	v_lshlrev_b32_e32 v4, 3, v1
	v_mov_b64_e32 v[34:35], v[24:25]
	s_and_saveexec_b64 s[0:1], s[12:13]
	s_cbranch_execz .LBB922_13
; %bb.12:
	v_mov_b32_e32 v5, 0
	v_lshl_add_u64 v[6:7], s[62:63], 0, v[4:5]
	flat_load_dwordx2 v[34:35], v[6:7]
.LBB922_13:
	;; [unrolled: 12-line block ×11, first 2 shown]
	s_or_b64 exec, exec, s[0:1]
	v_or_b32_e32 v1, 0xd00, v0
	v_cmp_gt_u32_e64 s[34:35], s69, v1
	v_lshlrev_b32_e32 v26, 3, v1
	s_and_saveexec_b64 s[0:1], s[34:35]
	s_cbranch_execz .LBB922_33
; %bb.32:
	v_mov_b32_e32 v27, 0
	v_lshl_add_u64 v[24:25], s[62:63], 0, v[26:27]
	flat_load_dwordx2 v[24:25], v[24:25]
.LBB922_33:
	s_or_b64 exec, exec, s[0:1]
	v_lshlrev_b32_e32 v1, 3, v0
	s_movk_i32 s0, 0x68
	s_waitcnt vmcnt(0) lgkmcnt(0)
	ds_write2st64_b64 v1, v[28:29], v[30:31] offset1:4
	ds_write2st64_b64 v1, v[32:33], v[34:35] offset0:8 offset1:12
	ds_write2st64_b64 v1, v[36:37], v[38:39] offset0:16 offset1:20
	;; [unrolled: 1-line block ×6, first 2 shown]
	v_mad_u32_u24 v36, v0, s0, v1
	s_waitcnt lgkmcnt(0)
	s_barrier
	ds_read_b128 v[74:77], v36
	ds_read_b128 v[70:73], v36 offset:16
	ds_read_b128 v[66:69], v36 offset:32
	;; [unrolled: 1-line block ×6, first 2 shown]
	s_cmp_eq_u64 s[66:67], 0
	s_mov_b64 s[0:1], s[62:63]
	s_cbranch_scc1 .LBB922_37
; %bb.34:
	s_andn2_b64 vcc, exec, s[64:65]
	s_cbranch_vccnz .LBB922_235
; %bb.35:
	s_lshl_b64 s[0:1], s[66:67], 3
	s_add_u32 s0, s54, s0
	s_addc_u32 s1, s55, s1
	s_add_u32 s0, s0, -8
	s_addc_u32 s1, s1, -1
	s_cbranch_execnz .LBB922_37
.LBB922_36:
	s_add_u32 s0, s62, -8
	s_addc_u32 s1, s63, -1
.LBB922_37:
	v_mov_b64_e32 v[24:25], s[0:1]
	flat_load_dwordx2 v[24:25], v[24:25]
	s_movk_i32 s0, 0xff98
	v_mad_i32_i24 v3, v0, s0, v36
	s_waitcnt lgkmcnt(0)
	ds_write_b64 v3, v[60:61] offset:28672
	s_waitcnt lgkmcnt(0)
	s_barrier
	s_and_saveexec_b64 s[0:1], s[4:5]
	s_cbranch_execz .LBB922_39
; %bb.38:
	v_mul_i32_i24_e32 v3, 0xffffff98, v0
	v_add_u32_e32 v3, v36, v3
	s_waitcnt vmcnt(0)
	ds_read_b64 v[24:25], v3 offset:28664
.LBB922_39:
	s_or_b64 exec, exec, s[0:1]
	s_waitcnt lgkmcnt(0)
	s_barrier
	s_waitcnt lgkmcnt(0)
                                        ; implicit-def: $vgpr28_vgpr29
	s_and_saveexec_b64 s[0:1], s[6:7]
	s_cbranch_execnz .LBB922_222
; %bb.40:
	s_or_b64 exec, exec, s[0:1]
                                        ; implicit-def: $vgpr30_vgpr31
	s_and_saveexec_b64 s[0:1], s[8:9]
	s_cbranch_execnz .LBB922_223
.LBB922_41:
	s_or_b64 exec, exec, s[0:1]
                                        ; implicit-def: $vgpr32_vgpr33
	s_and_saveexec_b64 s[0:1], s[10:11]
	s_cbranch_execnz .LBB922_224
.LBB922_42:
	s_or_b64 exec, exec, s[0:1]
                                        ; implicit-def: $vgpr2_vgpr3
	s_and_saveexec_b64 s[0:1], s[12:13]
	s_cbranch_execnz .LBB922_225
.LBB922_43:
	s_or_b64 exec, exec, s[0:1]
                                        ; implicit-def: $vgpr4_vgpr5
	s_and_saveexec_b64 s[0:1], s[14:15]
	s_cbranch_execnz .LBB922_226
.LBB922_44:
	s_or_b64 exec, exec, s[0:1]
                                        ; implicit-def: $vgpr6_vgpr7
	s_and_saveexec_b64 s[0:1], s[16:17]
	s_cbranch_execnz .LBB922_227
.LBB922_45:
	s_or_b64 exec, exec, s[0:1]
                                        ; implicit-def: $vgpr8_vgpr9
	s_and_saveexec_b64 s[0:1], s[18:19]
	s_cbranch_execnz .LBB922_228
.LBB922_46:
	s_or_b64 exec, exec, s[0:1]
                                        ; implicit-def: $vgpr10_vgpr11
	s_and_saveexec_b64 s[0:1], s[20:21]
	s_cbranch_execnz .LBB922_229
.LBB922_47:
	s_or_b64 exec, exec, s[0:1]
                                        ; implicit-def: $vgpr12_vgpr13
	s_and_saveexec_b64 s[0:1], s[22:23]
	s_cbranch_execnz .LBB922_230
.LBB922_48:
	s_or_b64 exec, exec, s[0:1]
                                        ; implicit-def: $vgpr14_vgpr15
	s_and_saveexec_b64 s[0:1], s[24:25]
	s_cbranch_execnz .LBB922_231
.LBB922_49:
	s_or_b64 exec, exec, s[0:1]
                                        ; implicit-def: $vgpr16_vgpr17
	s_and_saveexec_b64 s[0:1], s[26:27]
	s_cbranch_execnz .LBB922_232
.LBB922_50:
	s_or_b64 exec, exec, s[0:1]
                                        ; implicit-def: $vgpr18_vgpr19
	s_and_saveexec_b64 s[0:1], s[28:29]
	s_cbranch_execnz .LBB922_233
.LBB922_51:
	s_or_b64 exec, exec, s[0:1]
                                        ; implicit-def: $vgpr20_vgpr21
	s_and_saveexec_b64 s[0:1], s[30:31]
	s_cbranch_execnz .LBB922_234
.LBB922_52:
	s_or_b64 exec, exec, s[0:1]
                                        ; implicit-def: $vgpr22_vgpr23
	s_and_saveexec_b64 s[0:1], s[34:35]
	s_cbranch_execz .LBB922_54
.LBB922_53:
	global_load_dwordx2 v[22:23], v26, s[60:61]
	s_waitcnt vmcnt(0)
	v_sub_co_u32_e32 v22, vcc, 0, v22
	s_nop 1
	v_subb_co_u32_e32 v23, vcc, 0, v23, vcc
.LBB922_54:
	s_or_b64 exec, exec, s[0:1]
	v_mul_u32_u24_e32 v37, 14, v0
	v_mov_b64_e32 v[78:79], 0
	ds_write2st64_b64 v1, v[28:29], v[30:31] offset1:4
	ds_write2st64_b64 v1, v[32:33], v[2:3] offset0:8 offset1:12
	ds_write2st64_b64 v1, v[4:5], v[6:7] offset0:16 offset1:20
	;; [unrolled: 1-line block ×6, first 2 shown]
	v_cmp_gt_u32_e32 vcc, s69, v37
	s_mov_b64 s[10:11], 0
	s_mov_b64 s[6:7], 0
	s_mov_b32 s68, 0
	v_mov_b32_e32 v80, 0
	v_mov_b32_e32 v91, 0
	v_mov_b64_e32 v[46:47], v[78:79]
	v_mov_b32_e32 v90, 0
	v_mov_b64_e32 v[34:35], v[78:79]
	;; [unrolled: 2-line block ×12, first 2 shown]
	s_waitcnt lgkmcnt(0)
	s_barrier
	s_waitcnt lgkmcnt(0)
                                        ; implicit-def: $sgpr0_sgpr1
                                        ; implicit-def: $vgpr52_vgpr53
	s_and_saveexec_b64 s[8:9], vcc
	s_cbranch_execz .LBB922_80
; %bb.55:
	ds_read_b64 v[2:3], v36
	s_waitcnt vmcnt(0)
	v_cmp_ne_u64_e32 vcc, v[24:25], v[74:75]
	v_or_b32_e32 v4, 1, v37
	v_mov_b64_e32 v[78:79], 0
	v_cndmask_b32_e64 v1, 0, 1, vcc
	v_cmp_gt_u32_e32 vcc, s69, v4
	s_mov_b64 s[12:13], 0
	s_mov_b64 s[0:1], 0
	v_mov_b32_e32 v80, 0
	v_mov_b32_e32 v91, 0
	v_mov_b64_e32 v[46:47], v[78:79]
	v_mov_b32_e32 v90, 0
	v_mov_b64_e32 v[34:35], v[78:79]
	;; [unrolled: 2-line block ×11, first 2 shown]
                                        ; implicit-def: $sgpr14_sgpr15
                                        ; implicit-def: $vgpr52_vgpr53
	s_and_saveexec_b64 s[10:11], vcc
	s_cbranch_execz .LBB922_79
; %bb.56:
	ds_read2_b64 v[14:17], v36 offset0:1 offset1:2
	v_cmp_ne_u64_e32 vcc, v[74:75], v[76:77]
	v_add_u32_e32 v4, 2, v37
	v_mov_b64_e32 v[78:79], 0
	v_cndmask_b32_e64 v82, 0, 1, vcc
	v_cmp_gt_u32_e32 vcc, s69, v4
	s_mov_b64 s[16:17], 0
	v_mov_b32_e32 v80, 0
	v_mov_b32_e32 v91, 0
	v_mov_b64_e32 v[46:47], v[78:79]
	v_mov_b32_e32 v90, 0
	v_mov_b64_e32 v[34:35], v[78:79]
	;; [unrolled: 2-line block ×10, first 2 shown]
                                        ; implicit-def: $sgpr14_sgpr15
                                        ; implicit-def: $vgpr52_vgpr53
	s_and_saveexec_b64 s[12:13], vcc
	s_cbranch_execz .LBB922_78
; %bb.57:
	v_cmp_ne_u64_e32 vcc, v[76:77], v[70:71]
	v_add_u32_e32 v4, 3, v37
	v_mov_b64_e32 v[78:79], 0
	s_waitcnt lgkmcnt(0)
	v_mov_b32_e32 v6, v16
	v_mov_b32_e32 v7, v17
	v_cndmask_b32_e64 v81, 0, 1, vcc
	v_cmp_gt_u32_e32 vcc, s69, v4
	v_mov_b32_e32 v80, 0
	v_mov_b32_e32 v91, 0
	v_mov_b64_e32 v[46:47], v[78:79]
	v_mov_b32_e32 v90, 0
	v_mov_b64_e32 v[34:35], v[78:79]
	;; [unrolled: 2-line block ×9, first 2 shown]
                                        ; implicit-def: $sgpr18_sgpr19
                                        ; implicit-def: $vgpr52_vgpr53
	s_and_saveexec_b64 s[14:15], vcc
	s_cbranch_execz .LBB922_77
; %bb.58:
	ds_read2_b64 v[22:25], v36 offset0:3 offset1:4
	v_cmp_ne_u64_e32 vcc, v[70:71], v[72:73]
	v_add_u32_e32 v4, 4, v37
	v_mov_b64_e32 v[78:79], 0
	v_cndmask_b32_e64 v83, 0, 1, vcc
	v_cmp_gt_u32_e32 vcc, s69, v4
	s_mov_b64 s[20:21], 0
	v_mov_b32_e32 v80, 0
	v_mov_b32_e32 v91, 0
	v_mov_b64_e32 v[46:47], v[78:79]
	v_mov_b32_e32 v90, 0
	v_mov_b64_e32 v[34:35], v[78:79]
	;; [unrolled: 2-line block ×8, first 2 shown]
                                        ; implicit-def: $sgpr18_sgpr19
                                        ; implicit-def: $vgpr52_vgpr53
	s_and_saveexec_b64 s[16:17], vcc
	s_cbranch_execz .LBB922_76
; %bb.59:
	v_cmp_ne_u64_e32 vcc, v[72:73], v[66:67]
	v_add_u32_e32 v4, 5, v37
	v_mov_b64_e32 v[78:79], 0
	s_waitcnt lgkmcnt(0)
	v_mov_b32_e32 v10, v24
	v_mov_b32_e32 v11, v25
	v_cndmask_b32_e64 v84, 0, 1, vcc
	v_cmp_gt_u32_e32 vcc, s69, v4
	v_mov_b32_e32 v80, 0
	v_mov_b32_e32 v91, 0
	v_mov_b64_e32 v[46:47], v[78:79]
	v_mov_b32_e32 v90, 0
	v_mov_b64_e32 v[34:35], v[78:79]
	;; [unrolled: 2-line block ×7, first 2 shown]
                                        ; implicit-def: $sgpr22_sgpr23
                                        ; implicit-def: $vgpr52_vgpr53
	s_and_saveexec_b64 s[18:19], vcc
	s_cbranch_execz .LBB922_75
; %bb.60:
	ds_read2_b64 v[30:33], v36 offset0:5 offset1:6
	v_cmp_ne_u64_e32 vcc, v[66:67], v[68:69]
	v_add_u32_e32 v4, 6, v37
	v_mov_b64_e32 v[78:79], 0
	v_cndmask_b32_e64 v85, 0, 1, vcc
	v_cmp_gt_u32_e32 vcc, s69, v4
	s_mov_b64 s[24:25], 0
	v_mov_b32_e32 v80, 0
	v_mov_b32_e32 v91, 0
	v_mov_b64_e32 v[46:47], v[78:79]
	v_mov_b32_e32 v90, 0
	v_mov_b64_e32 v[34:35], v[78:79]
	;; [unrolled: 2-line block ×6, first 2 shown]
                                        ; implicit-def: $sgpr22_sgpr23
                                        ; implicit-def: $vgpr52_vgpr53
	s_and_saveexec_b64 s[20:21], vcc
	s_cbranch_execz .LBB922_74
; %bb.61:
	v_cmp_ne_u64_e32 vcc, v[68:69], v[62:63]
	v_add_u32_e32 v4, 7, v37
	v_mov_b64_e32 v[78:79], 0
	s_waitcnt lgkmcnt(0)
	v_mov_b32_e32 v18, v32
	v_mov_b32_e32 v19, v33
	v_cndmask_b32_e64 v86, 0, 1, vcc
	v_cmp_gt_u32_e32 vcc, s69, v4
	v_mov_b32_e32 v80, 0
	v_mov_b32_e32 v91, 0
	v_mov_b64_e32 v[46:47], v[78:79]
	v_mov_b32_e32 v90, 0
	v_mov_b64_e32 v[34:35], v[78:79]
	;; [unrolled: 2-line block ×5, first 2 shown]
                                        ; implicit-def: $sgpr26_sgpr27
                                        ; implicit-def: $vgpr52_vgpr53
	s_and_saveexec_b64 s[22:23], vcc
	s_cbranch_execz .LBB922_73
; %bb.62:
	ds_read2_b64 v[38:41], v36 offset0:7 offset1:8
	v_cmp_ne_u64_e32 vcc, v[62:63], v[64:65]
	v_add_u32_e32 v4, 8, v37
	v_mov_b64_e32 v[78:79], 0
	v_cndmask_b32_e64 v87, 0, 1, vcc
	v_cmp_gt_u32_e32 vcc, s69, v4
	s_mov_b64 s[28:29], 0
	v_mov_b32_e32 v80, 0
	v_mov_b32_e32 v91, 0
	v_mov_b64_e32 v[46:47], v[78:79]
	v_mov_b32_e32 v90, 0
	v_mov_b64_e32 v[34:35], v[78:79]
	;; [unrolled: 2-line block ×4, first 2 shown]
                                        ; implicit-def: $sgpr26_sgpr27
                                        ; implicit-def: $vgpr52_vgpr53
	s_and_saveexec_b64 s[24:25], vcc
	s_cbranch_execz .LBB922_72
; %bb.63:
	v_cmp_ne_u64_e32 vcc, v[64:65], v[48:49]
	v_add_u32_e32 v4, 9, v37
	v_mov_b64_e32 v[78:79], 0
	s_waitcnt lgkmcnt(0)
	v_mov_b32_e32 v26, v40
	v_mov_b32_e32 v27, v41
	v_cndmask_b32_e64 v88, 0, 1, vcc
	v_cmp_gt_u32_e32 vcc, s69, v4
	v_mov_b32_e32 v80, 0
	v_mov_b32_e32 v91, 0
	v_mov_b64_e32 v[46:47], v[78:79]
	v_mov_b32_e32 v90, 0
	v_mov_b64_e32 v[34:35], v[78:79]
	;; [unrolled: 2-line block ×3, first 2 shown]
                                        ; implicit-def: $sgpr30_sgpr31
                                        ; implicit-def: $vgpr52_vgpr53
	s_and_saveexec_b64 s[26:27], vcc
	s_cbranch_execz .LBB922_71
; %bb.64:
	ds_read2_b64 v[42:45], v36 offset0:9 offset1:10
	v_cmp_ne_u64_e32 vcc, v[48:49], v[50:51]
	v_add_u32_e32 v4, 10, v37
	v_mov_b64_e32 v[78:79], 0
	v_cndmask_b32_e64 v89, 0, 1, vcc
	v_cmp_gt_u32_e32 vcc, s69, v4
	s_mov_b64 s[34:35], 0
	v_mov_b32_e32 v80, 0
	v_mov_b32_e32 v91, 0
	v_mov_b64_e32 v[46:47], v[78:79]
	v_mov_b32_e32 v90, 0
	v_mov_b64_e32 v[34:35], v[78:79]
                                        ; implicit-def: $sgpr30_sgpr31
                                        ; implicit-def: $vgpr52_vgpr53
	s_and_saveexec_b64 s[28:29], vcc
	s_cbranch_execz .LBB922_70
; %bb.65:
	v_cmp_ne_u64_e32 vcc, v[50:51], v[54:55]
	v_add_u32_e32 v4, 11, v37
	v_mov_b64_e32 v[78:79], 0
	s_waitcnt lgkmcnt(0)
	v_mov_b32_e32 v34, v44
	v_mov_b32_e32 v35, v45
	v_cndmask_b32_e64 v90, 0, 1, vcc
	v_cmp_gt_u32_e32 vcc, s69, v4
	v_mov_b32_e32 v80, 0
	v_mov_b32_e32 v91, 0
	v_mov_b64_e32 v[46:47], v[78:79]
                                        ; implicit-def: $sgpr48_sgpr49
                                        ; implicit-def: $vgpr52_vgpr53
	s_and_saveexec_b64 s[30:31], vcc
	s_cbranch_execz .LBB922_69
; %bb.66:
	ds_read2_b64 v[46:49], v36 offset0:11 offset1:12
	v_cmp_ne_u64_e32 vcc, v[54:55], v[56:57]
	v_add_u32_e32 v4, 12, v37
	v_mov_b32_e32 v80, 0
	v_cndmask_b32_e64 v91, 0, 1, vcc
	v_cmp_gt_u32_e32 vcc, s69, v4
	v_mov_b64_e32 v[78:79], 0
                                        ; implicit-def: $sgpr34_sgpr35
                                        ; implicit-def: $vgpr52_vgpr53
	s_and_saveexec_b64 s[48:49], vcc
	s_xor_b64 s[48:49], exec, s[48:49]
	s_cbranch_execz .LBB922_68
; %bb.67:
	ds_read_b64 v[52:53], v36 offset:104
	v_cmp_ne_u64_e64 s[0:1], v[56:57], v[58:59]
	v_add_u32_e32 v4, 13, v37
	v_cmp_ne_u64_e32 vcc, v[58:59], v[60:61]
	v_cndmask_b32_e64 v80, 0, 1, s[0:1]
	v_cmp_gt_u32_e64 s[0:1], s69, v4
	s_and_b64 s[34:35], vcc, exec
	s_and_b64 s[0:1], s[0:1], exec
	s_waitcnt lgkmcnt(1)
	v_mov_b64_e32 v[50:51], v[48:49]
	v_mov_b64_e32 v[78:79], v[48:49]
.LBB922_68:
	s_or_b64 exec, exec, s[48:49]
	s_and_b64 s[48:49], s[34:35], exec
	s_and_b64 s[34:35], s[0:1], exec
.LBB922_69:
	s_or_b64 exec, exec, s[30:31]
	s_and_b64 s[30:31], s[48:49], exec
	s_and_b64 s[0:1], s[34:35], exec
	s_waitcnt lgkmcnt(0)
	v_mov_b64_e32 v[36:37], v[46:47]
	v_mov_b64_e32 v[28:29], v[42:43]
	;; [unrolled: 1-line block ×6, first 2 shown]
.LBB922_70:
	s_or_b64 exec, exec, s[28:29]
	s_and_b64 s[30:31], s[30:31], exec
	s_and_b64 s[28:29], s[0:1], exec
.LBB922_71:
	s_or_b64 exec, exec, s[26:27]
	s_and_b64 s[26:27], s[30:31], exec
	s_and_b64 s[0:1], s[28:29], exec
.LBB922_72:
	s_or_b64 exec, exec, s[24:25]
	s_and_b64 s[26:27], s[26:27], exec
	s_and_b64 s[24:25], s[0:1], exec
.LBB922_73:
	s_or_b64 exec, exec, s[22:23]
	s_and_b64 s[22:23], s[26:27], exec
	s_and_b64 s[0:1], s[24:25], exec
.LBB922_74:
	s_or_b64 exec, exec, s[20:21]
	s_and_b64 s[22:23], s[22:23], exec
	s_and_b64 s[20:21], s[0:1], exec
.LBB922_75:
	s_or_b64 exec, exec, s[18:19]
	s_and_b64 s[18:19], s[22:23], exec
	s_and_b64 s[0:1], s[20:21], exec
.LBB922_76:
	s_or_b64 exec, exec, s[16:17]
	s_and_b64 s[18:19], s[18:19], exec
	s_and_b64 s[16:17], s[0:1], exec
.LBB922_77:
	s_or_b64 exec, exec, s[14:15]
	s_and_b64 s[14:15], s[18:19], exec
	s_and_b64 s[0:1], s[16:17], exec
.LBB922_78:
	s_or_b64 exec, exec, s[12:13]
	s_and_b64 s[14:15], s[14:15], exec
	s_and_b64 s[12:13], s[0:1], exec
.LBB922_79:
	s_or_b64 exec, exec, s[10:11]
	s_and_b64 s[0:1], s[14:15], exec
	s_and_b64 s[10:11], s[12:13], exec
.LBB922_80:
	s_or_b64 exec, exec, s[8:9]
	s_mov_b64 s[8:9], 0
	s_and_b64 vcc, exec, s[6:7]
	s_waitcnt lgkmcnt(0)
	v_lshlrev_b32_e32 v32, 3, v0
	s_cbranch_vccnz .LBB922_82
	s_branch .LBB922_90
.LBB922_81:
                                        ; implicit-def: $sgpr0_sgpr1
                                        ; implicit-def: $vgpr52_vgpr53
                                        ; implicit-def: $vgpr80
                                        ; implicit-def: $vgpr91
                                        ; implicit-def: $vgpr36_vgpr37
                                        ; implicit-def: $vgpr90
                                        ; implicit-def: $vgpr89
                                        ; implicit-def: $vgpr28_vgpr29
                                        ; implicit-def: $vgpr88
                                        ; implicit-def: $vgpr87
                                        ; implicit-def: $vgpr20_vgpr21
                                        ; implicit-def: $vgpr86
                                        ; implicit-def: $vgpr85
                                        ; implicit-def: $vgpr12_vgpr13
                                        ; implicit-def: $vgpr84
                                        ; implicit-def: $vgpr83
                                        ; implicit-def: $vgpr8_vgpr9
                                        ; implicit-def: $vgpr81
                                        ; implicit-def: $vgpr82
                                        ; implicit-def: $vgpr4_vgpr5
                                        ; implicit-def: $vgpr1
                                        ; implicit-def: $sgpr68
                                        ; implicit-def: $sgpr8_sgpr9
                                        ; implicit-def: $vgpr78_vgpr79
                                        ; implicit-def: $vgpr46_vgpr47
                                        ; implicit-def: $vgpr42_vgpr43
                                        ; implicit-def: $vgpr38_vgpr39
                                        ; implicit-def: $vgpr30_vgpr31
                                        ; implicit-def: $vgpr22_vgpr23
                                        ; implicit-def: $vgpr14_vgpr15
	s_and_b64 vcc, exec, s[6:7]
	v_lshlrev_b32_e32 v32, 3, v0
	s_cbranch_vccz .LBB922_90
.LBB922_82:
	v_mov_b32_e32 v33, 0
	v_lshl_add_u64 v[2:3], s[62:63], 0, v[32:33]
	v_add_co_u32_e32 v4, vcc, 0x1000, v2
	s_movk_i32 s0, 0x68
	s_nop 0
	v_addc_co_u32_e32 v5, vcc, 0, v3, vcc
	flat_load_dwordx2 v[6:7], v[2:3]
	flat_load_dwordx2 v[8:9], v[2:3] offset:2048
	flat_load_dwordx2 v[10:11], v[4:5]
	flat_load_dwordx2 v[12:13], v[4:5] offset:2048
	v_add_co_u32_e32 v4, vcc, 0x2000, v2
	v_mad_u32_u24 v1, v0, s0, v32
	s_nop 0
	v_addc_co_u32_e32 v5, vcc, 0, v3, vcc
	v_add_co_u32_e32 v14, vcc, 0x3000, v2
	s_cmp_eq_u64 s[66:67], 0
	s_nop 0
	v_addc_co_u32_e32 v15, vcc, 0, v3, vcc
	flat_load_dwordx2 v[16:17], v[4:5]
	flat_load_dwordx2 v[18:19], v[4:5] offset:2048
	flat_load_dwordx2 v[20:21], v[14:15]
	flat_load_dwordx2 v[22:23], v[14:15] offset:2048
	v_add_co_u32_e32 v4, vcc, 0x4000, v2
	s_nop 1
	v_addc_co_u32_e32 v5, vcc, 0, v3, vcc
	v_add_co_u32_e32 v14, vcc, 0x5000, v2
	s_nop 1
	v_addc_co_u32_e32 v15, vcc, 0, v3, vcc
	v_add_co_u32_e32 v2, vcc, 0x6000, v2
	s_waitcnt vmcnt(0)
	flat_load_dwordx2 v[24:25], v[4:5]
	flat_load_dwordx2 v[26:27], v[4:5] offset:2048
	flat_load_dwordx2 v[28:29], v[14:15]
	flat_load_dwordx2 v[30:31], v[14:15] offset:2048
	v_addc_co_u32_e32 v3, vcc, 0, v3, vcc
	flat_load_dwordx2 v[4:5], v[2:3]
	flat_load_dwordx2 v[14:15], v[2:3] offset:2048
	s_waitcnt lgkmcnt(0)
	ds_write2st64_b64 v32, v[6:7], v[8:9] offset1:4
	ds_write2st64_b64 v32, v[10:11], v[12:13] offset0:8 offset1:12
	ds_write2st64_b64 v32, v[16:17], v[18:19] offset0:16 offset1:20
	;; [unrolled: 1-line block ×3, first 2 shown]
	s_waitcnt vmcnt(0)
	ds_write2st64_b64 v32, v[24:25], v[26:27] offset0:32 offset1:36
	ds_write2st64_b64 v32, v[28:29], v[30:31] offset0:40 offset1:44
	;; [unrolled: 1-line block ×3, first 2 shown]
	s_waitcnt lgkmcnt(0)
	s_barrier
	ds_read_b128 v[14:17], v1
	ds_read_b128 v[2:5], v1 offset:16
	ds_read_b128 v[6:9], v1 offset:32
	ds_read_b128 v[10:13], v1 offset:48
	ds_read_b128 v[18:21], v1 offset:64
	ds_read_b128 v[22:25], v1 offset:80
	ds_read_b128 v[26:29], v1 offset:96
	s_cbranch_scc1 .LBB922_87
; %bb.83:
	s_andn2_b64 vcc, exec, s[64:65]
	s_cbranch_vccnz .LBB922_236
; %bb.84:
	s_lshl_b64 s[0:1], s[66:67], 3
	s_add_u32 s0, s54, s0
	s_addc_u32 s1, s55, s1
	s_add_u32 s0, s0, -8
	s_addc_u32 s1, s1, -1
	s_cbranch_execnz .LBB922_86
.LBB922_85:
	s_add_u32 s0, s62, -8
	s_addc_u32 s1, s63, -1
.LBB922_86:
	s_mov_b64 s[62:63], s[0:1]
.LBB922_87:
	v_mov_b64_e32 v[30:31], s[62:63]
	flat_load_dwordx2 v[30:31], v[30:31]
	s_movk_i32 s0, 0xff98
	v_mad_i32_i24 v33, v0, s0, v1
	s_waitcnt lgkmcnt(0)
	ds_write_b64 v33, v[28:29] offset:28672
	s_waitcnt lgkmcnt(0)
	s_barrier
	s_and_saveexec_b64 s[0:1], s[4:5]
	s_cbranch_execz .LBB922_89
; %bb.88:
	s_waitcnt vmcnt(0)
	v_mul_i32_i24_e32 v30, 0xffffff98, v0
	v_add_u32_e32 v30, v1, v30
	ds_read_b64 v[30:31], v30 offset:28664
.LBB922_89:
	s_or_b64 exec, exec, s[0:1]
	v_mov_b32_e32 v33, 0
	s_waitcnt lgkmcnt(0)
	s_barrier
	v_lshl_add_u64 v[34:35], s[60:61], 0, v[32:33]
	global_load_dwordx2 v[36:37], v32, s[60:61]
	global_load_dwordx2 v[38:39], v32, s[60:61] offset:2048
	s_movk_i32 s1, 0x2000
	v_add_co_u32_e32 v40, vcc, s1, v34
	s_movk_i32 s0, 0x1000
	s_nop 0
	v_addc_co_u32_e32 v41, vcc, 0, v35, vcc
	global_load_dwordx2 v[42:43], v[40:41], off offset:-4096
	v_add_co_u32_e32 v44, vcc, s0, v34
	s_movk_i32 s1, 0x4000
	s_nop 0
	v_addc_co_u32_e32 v45, vcc, 0, v35, vcc
	global_load_dwordx2 v[46:47], v[44:45], off offset:2048
	global_load_dwordx2 v[48:49], v[40:41], off
	global_load_dwordx2 v[50:51], v[40:41], off offset:2048
	v_add_co_u32_e32 v40, vcc, s1, v34
	s_movk_i32 s0, 0x3000
	s_nop 0
	v_addc_co_u32_e32 v41, vcc, 0, v35, vcc
	global_load_dwordx2 v[44:45], v[40:41], off offset:-4096
	v_add_co_u32_e32 v52, vcc, s0, v34
	s_movk_i32 s1, 0x6000
	s_nop 0
	v_addc_co_u32_e32 v53, vcc, 0, v35, vcc
	global_load_dwordx2 v[54:55], v[52:53], off offset:2048
	global_load_dwordx2 v[56:57], v[40:41], off
	global_load_dwordx2 v[58:59], v[40:41], off offset:2048
	v_add_co_u32_e32 v40, vcc, s1, v34
	s_movk_i32 s0, 0x5000
	s_nop 0
	v_addc_co_u32_e32 v41, vcc, 0, v35, vcc
	global_load_dwordx2 v[52:53], v[40:41], off offset:-4096
	v_add_co_u32_e32 v34, vcc, s0, v34
	v_cmp_ne_u64_e64 s[0:1], v[26:27], v[28:29]
	s_nop 0
	v_addc_co_u32_e32 v35, vcc, 0, v35, vcc
	global_load_dwordx2 v[60:61], v[34:35], off offset:2048
	global_load_dwordx2 v[62:63], v[40:41], off
	global_load_dwordx2 v[64:65], v[40:41], off offset:2048
	v_cmp_ne_u64_e32 vcc, v[24:25], v[26:27]
	s_mov_b64 s[10:11], -1
                                        ; implicit-def: $sgpr68
                                        ; implicit-def: $sgpr8_sgpr9
                                        ; implicit-def: $vgpr78_vgpr79
	s_nop 0
	v_cndmask_b32_e64 v80, 0, 1, vcc
	v_cmp_ne_u64_e32 vcc, v[22:23], v[24:25]
	s_nop 1
	v_cndmask_b32_e64 v91, 0, 1, vcc
	v_cmp_ne_u64_e32 vcc, v[20:21], v[22:23]
	;; [unrolled: 3-line block ×10, first 2 shown]
	s_nop 1
	v_cndmask_b32_e64 v81, 0, 1, vcc
	s_waitcnt vmcnt(0)
	v_sub_co_u32_e32 v2, vcc, 0, v36
	s_nop 1
	v_subb_co_u32_e32 v3, vcc, 0, v37, vcc
	v_sub_co_u32_e32 v4, vcc, 0, v38
	s_nop 1
	v_subb_co_u32_e32 v5, vcc, 0, v39, vcc
	v_sub_co_u32_e32 v6, vcc, 0, v42
                                        ; implicit-def: $vgpr38_vgpr39
	s_nop 1
	v_subb_co_u32_e32 v7, vcc, 0, v43, vcc
	v_sub_co_u32_e32 v8, vcc, 0, v46
                                        ; implicit-def: $vgpr42_vgpr43
	s_nop 1
	v_subb_co_u32_e32 v9, vcc, 0, v47, vcc
	v_sub_co_u32_e32 v10, vcc, 0, v48
                                        ; implicit-def: $vgpr46_vgpr47
	s_nop 1
	v_subb_co_u32_e32 v11, vcc, 0, v49, vcc
	v_sub_co_u32_e32 v12, vcc, 0, v50
	s_nop 1
	v_subb_co_u32_e32 v13, vcc, 0, v51, vcc
	v_sub_co_u32_e32 v18, vcc, 0, v44
	;; [unrolled: 3-line block ×9, first 2 shown]
	s_nop 1
	v_subb_co_u32_e32 v37, vcc, 0, v65, vcc
	ds_write2st64_b64 v32, v[2:3], v[4:5] offset1:4
	ds_write2st64_b64 v32, v[6:7], v[8:9] offset0:8 offset1:12
	ds_write2st64_b64 v32, v[10:11], v[12:13] offset0:16 offset1:20
	ds_write2st64_b64 v32, v[18:19], v[20:21] offset0:24 offset1:28
	ds_write2st64_b64 v32, v[22:23], v[24:25] offset0:32 offset1:36
	ds_write2st64_b64 v32, v[26:27], v[28:29] offset0:40 offset1:44
	ds_write2st64_b64 v32, v[34:35], v[36:37] offset0:48 offset1:52
	s_waitcnt lgkmcnt(0)
	s_barrier
	ds_read_b128 v[2:5], v1
	ds_read_b128 v[6:9], v1 offset:16
	ds_read_b128 v[10:13], v1 offset:32
	;; [unrolled: 1-line block ×6, first 2 shown]
	v_cmp_ne_u64_e32 vcc, v[14:15], v[16:17]
                                        ; implicit-def: $vgpr22_vgpr23
	s_nop 1
	v_cndmask_b32_e64 v82, 0, 1, vcc
	v_cmp_ne_u64_e32 vcc, v[30:31], v[14:15]
                                        ; implicit-def: $vgpr30_vgpr31
                                        ; implicit-def: $vgpr14_vgpr15
	s_nop 1
	v_cndmask_b32_e64 v1, 0, 1, vcc
.LBB922_90:
	v_mov_b64_e32 v[16:17], s[8:9]
	v_mov_b32_e32 v33, s68
	s_and_saveexec_b64 s[6:7], s[10:11]
	s_cbranch_execz .LBB922_92
; %bb.91:
	v_cndmask_b32_e64 v33, 0, 1, s[0:1]
	s_waitcnt lgkmcnt(0)
	v_mov_b64_e32 v[14:15], v[4:5]
	v_mov_b64_e32 v[22:23], v[8:9]
	;; [unrolled: 1-line block ×8, first 2 shown]
.LBB922_92:
	s_or_b64 exec, exec, s[6:7]
	s_waitcnt lgkmcnt(0)
	v_or_b32_e32 v4, v33, v80
	s_cmp_lg_u32 s47, 0
	v_or_b32_e32 v29, v4, v91
	v_mbcnt_lo_u32_b32 v28, -1, 0
	s_barrier
	s_cbranch_scc0 .LBB922_159
; %bb.93:
	v_mov_b32_e32 v8, 0
	v_cmp_eq_u16_sdwa s[6:7], v82, v8 src0_sel:BYTE_0 src1_sel:DWORD
	v_cmp_eq_u16_sdwa s[8:9], v81, v8 src0_sel:BYTE_0 src1_sel:DWORD
	v_cmp_eq_u16_sdwa s[10:11], v83, v8 src0_sel:BYTE_0 src1_sel:DWORD
	v_cndmask_b32_e64 v5, 0, v3, s[6:7]
	v_cndmask_b32_e64 v4, 0, v2, s[6:7]
	v_lshl_add_u64 v[4:5], v[4:5], 0, v[14:15]
	v_cndmask_b32_e64 v5, 0, v5, s[8:9]
	v_cndmask_b32_e64 v4, 0, v4, s[8:9]
	v_lshl_add_u64 v[4:5], v[4:5], 0, v[6:7]
	v_cndmask_b32_e64 v5, 0, v5, s[10:11]
	v_cndmask_b32_e64 v4, 0, v4, s[10:11]
	v_lshl_add_u64 v[4:5], v[4:5], 0, v[22:23]
	v_cmp_eq_u16_sdwa s[12:13], v84, v8 src0_sel:BYTE_0 src1_sel:DWORD
	v_cmp_eq_u16_sdwa s[14:15], v85, v8 src0_sel:BYTE_0 src1_sel:DWORD
	v_cmp_eq_u16_sdwa s[16:17], v86, v8 src0_sel:BYTE_0 src1_sel:DWORD
	v_cndmask_b32_e64 v5, 0, v5, s[12:13]
	v_cndmask_b32_e64 v4, 0, v4, s[12:13]
	v_lshl_add_u64 v[4:5], v[4:5], 0, v[10:11]
	v_cndmask_b32_e64 v5, 0, v5, s[14:15]
	v_cndmask_b32_e64 v4, 0, v4, s[14:15]
	v_lshl_add_u64 v[4:5], v[4:5], 0, v[30:31]
	v_cndmask_b32_e64 v5, 0, v5, s[16:17]
	v_cndmask_b32_e64 v4, 0, v4, s[16:17]
	v_lshl_add_u64 v[4:5], v[4:5], 0, v[18:19]
	;; [unrolled: 12-line block ×4, first 2 shown]
	v_cmp_eq_u16_sdwa s[30:31], v33, v8 src0_sel:BYTE_0 src1_sel:DWORD
	v_and_b32_e32 v12, 0xff, v1
	v_mbcnt_hi_u32_b32 v44, -1, v28
	v_cndmask_b32_e64 v5, 0, v5, s[30:31]
	v_cndmask_b32_e64 v4, 0, v4, s[30:31]
	v_lshl_add_u64 v[8:9], v[4:5], 0, v[16:17]
	v_or_b32_e32 v4, v29, v90
	v_or_b32_e32 v4, v4, v89
	;; [unrolled: 1-line block ×10, first 2 shown]
	v_and_b32_e32 v4, 1, v4
	v_cmp_eq_u32_e32 vcc, 1, v4
	v_and_b32_e32 v4, 15, v44
	v_mov_b32_dpp v13, v8 row_shr:1 row_mask:0xf bank_mask:0xf
	v_cndmask_b32_e64 v12, v12, 1, vcc
	v_mov_b32_dpp v20, v9 row_shr:1 row_mask:0xf bank_mask:0xf
	v_cmp_ne_u32_e32 vcc, 0, v4
	v_mov_b32_dpp v5, v12 row_shr:1 row_mask:0xf bank_mask:0xf
	s_and_saveexec_b64 s[0:1], vcc
; %bb.94:
	v_cmp_eq_u32_e32 vcc, 0, v12
	v_and_or_b32 v12, v5, 1, v12
	s_nop 0
	v_cndmask_b32_e32 v21, 0, v20, vcc
	v_cndmask_b32_e32 v20, 0, v13, vcc
	v_lshl_add_u64 v[8:9], v[20:21], 0, v[8:9]
; %bb.95:
	s_or_b64 exec, exec, s[0:1]
	s_nop 0
	v_mov_b32_dpp v13, v8 row_shr:2 row_mask:0xf bank_mask:0xf
	v_mov_b32_dpp v20, v9 row_shr:2 row_mask:0xf bank_mask:0xf
	v_mov_b32_dpp v5, v12 row_shr:2 row_mask:0xf bank_mask:0xf
	v_cmp_lt_u32_e32 vcc, 1, v4
	s_and_saveexec_b64 s[0:1], vcc
; %bb.96:
	v_cmp_eq_u32_e32 vcc, 0, v12
	v_or_b32_e32 v5, v5, v12
	v_and_b32_e32 v12, 1, v5
	v_cndmask_b32_e32 v21, 0, v20, vcc
	v_cndmask_b32_e32 v20, 0, v13, vcc
	v_lshl_add_u64 v[8:9], v[20:21], 0, v[8:9]
; %bb.97:
	s_or_b64 exec, exec, s[0:1]
	s_nop 0
	v_mov_b32_dpp v13, v8 row_shr:4 row_mask:0xf bank_mask:0xf
	v_mov_b32_dpp v20, v9 row_shr:4 row_mask:0xf bank_mask:0xf
	v_mov_b32_dpp v5, v12 row_shr:4 row_mask:0xf bank_mask:0xf
	v_cmp_lt_u32_e32 vcc, 3, v4
	s_and_saveexec_b64 s[0:1], vcc
; %bb.98:
	v_cmp_eq_u32_e32 vcc, 0, v12
	v_or_b32_e32 v5, v5, v12
	v_and_b32_e32 v12, 1, v5
	;; [unrolled: 15-line block ×3, first 2 shown]
	v_cndmask_b32_e32 v21, 0, v20, vcc
	v_cndmask_b32_e32 v20, 0, v13, vcc
	v_lshl_add_u64 v[8:9], v[20:21], 0, v[8:9]
; %bb.101:
	s_or_b64 exec, exec, s[0:1]
	v_and_b32_e32 v20, 16, v44
	v_mov_b32_dpp v5, v8 row_bcast:15 row_mask:0xf bank_mask:0xf
	v_mov_b32_dpp v13, v9 row_bcast:15 row_mask:0xf bank_mask:0xf
	;; [unrolled: 1-line block ×3, first 2 shown]
	v_cmp_ne_u32_e32 vcc, 0, v20
	s_and_saveexec_b64 s[0:1], vcc
; %bb.102:
	v_cmp_eq_u32_e32 vcc, 0, v12
	v_or_b32_e32 v4, v4, v12
	v_and_b32_e32 v12, 1, v4
	v_cndmask_b32_e32 v21, 0, v13, vcc
	v_cndmask_b32_e32 v20, 0, v5, vcc
	v_lshl_add_u64 v[8:9], v[20:21], 0, v[8:9]
; %bb.103:
	s_or_b64 exec, exec, s[0:1]
	s_nop 0
	v_mov_b32_dpp v13, v8 row_bcast:31 row_mask:0xf bank_mask:0xf
	v_mov_b32_dpp v20, v9 row_bcast:31 row_mask:0xf bank_mask:0xf
	;; [unrolled: 1-line block ×3, first 2 shown]
	v_cmp_lt_u32_e32 vcc, 31, v44
	v_mov_b32_e32 v4, v12
	s_and_saveexec_b64 s[0:1], vcc
; %bb.104:
	v_cmp_eq_u32_e32 vcc, 0, v12
	v_or_b32_e32 v5, v5, v12
	v_and_b32_e32 v4, 1, v5
	v_cndmask_b32_e32 v21, 0, v20, vcc
	v_cndmask_b32_e32 v20, 0, v13, vcc
	v_lshl_add_u64 v[8:9], v[20:21], 0, v[8:9]
	v_and_b32_e32 v12, 1, v5
; %bb.105:
	s_or_b64 exec, exec, s[0:1]
	v_or_b32_e32 v5, 63, v0
	v_lshrrev_b32_e32 v13, 6, v0
	v_cmp_eq_u32_e32 vcc, v5, v0
	s_and_saveexec_b64 s[0:1], vcc
	s_cbranch_execz .LBB922_107
; %bb.106:
	v_lshlrev_b32_e32 v5, 4, v13
	ds_write_b64 v5, v[8:9]
	ds_write_b8 v5, v4 offset:8
.LBB922_107:
	s_or_b64 exec, exec, s[0:1]
	v_cmp_gt_u32_e32 vcc, 4, v0
	s_waitcnt lgkmcnt(0)
	s_barrier
	s_and_saveexec_b64 s[34:35], vcc
	s_cbranch_execz .LBB922_113
; %bb.108:
	v_lshlrev_b32_e32 v20, 4, v0
	ds_read_b64 v[4:5], v20
	ds_read_b32 v21, v20 offset:8
	s_waitcnt vmcnt(0)
	v_and_b32_e32 v24, 3, v44
	v_cmp_ne_u32_e32 vcc, 0, v24
	s_waitcnt lgkmcnt(1)
	v_mov_b32_dpp v40, v4 row_shr:1 row_mask:0xf bank_mask:0xf
	v_mov_b32_dpp v41, v5 row_shr:1 row_mask:0xf bank_mask:0xf
	s_waitcnt lgkmcnt(0)
	v_mov_b32_dpp v37, v21 row_shr:1 row_mask:0xf bank_mask:0xf
	v_mov_b32_e32 v25, v21
	v_mov_b32_e32 v36, v21
	s_and_saveexec_b64 s[0:1], vcc
; %bb.109:
	v_mov_b32_e32 v25, 0
	v_cmp_eq_u16_sdwa vcc, v21, v25 src0_sel:BYTE_0 src1_sel:DWORD
	v_or_b32_e32 v36, v37, v21
	v_and_b32_e32 v25, 1, v36
	v_cndmask_b32_e32 v41, 0, v41, vcc
	v_cndmask_b32_e32 v40, 0, v40, vcc
	v_and_b32_e32 v36, 1, v36
	s_movk_i32 s48, 0xff00
	v_lshl_add_u64 v[4:5], v[40:41], 0, v[4:5]
	v_and_or_b32 v21, v21, s48, v36
; %bb.110:
	s_or_b64 exec, exec, s[0:1]
	v_mov_b32_dpp v37, v4 row_shr:2 row_mask:0xf bank_mask:0xf
	v_mov_b32_dpp v40, v5 row_shr:2 row_mask:0xf bank_mask:0xf
	;; [unrolled: 1-line block ×3, first 2 shown]
	v_cmp_lt_u32_e32 vcc, 1, v24
	s_and_saveexec_b64 s[48:49], vcc
; %bb.111:
	v_mov_b32_e32 v24, 0
	v_cmp_eq_u16_sdwa vcc, v36, v24 src0_sel:BYTE_0 src1_sel:DWORD
	v_and_b32_e32 v21, 1, v21
	v_cmp_eq_u32_e64 s[0:1], 1, v21
	v_cndmask_b32_e32 v25, 0, v40, vcc
	v_cndmask_b32_e32 v24, 0, v37, vcc
	v_lshl_add_u64 v[4:5], v[24:25], 0, v[4:5]
	v_and_b32_e32 v24, 1, v36
	v_cmp_eq_u32_e32 vcc, 1, v24
	s_or_b64 s[0:1], vcc, s[0:1]
	v_cndmask_b32_e64 v25, 0, 1, s[0:1]
; %bb.112:
	s_or_b64 exec, exec, s[48:49]
	ds_write_b64 v20, v[4:5]
	ds_write_b8 v20, v25 offset:8
.LBB922_113:
	s_or_b64 exec, exec, s[34:35]
	v_cmp_gt_u32_e32 vcc, 64, v0
	v_cmp_lt_u32_e64 s[0:1], 63, v0
	v_mov_b32_e32 v36, 0
	v_mov_b64_e32 v[4:5], 0
	s_waitcnt lgkmcnt(0)
	s_barrier
	s_and_saveexec_b64 s[34:35], s[0:1]
	s_cbranch_execz .LBB922_115
; %bb.114:
	v_lshl_add_u32 v13, v13, 4, -16
	ds_read_b64 v[4:5], v13
	ds_read_u8 v36, v13 offset:8
	v_and_b32_e32 v20, 1, v12
	v_cmp_eq_u32_e64 s[0:1], 0, v12
	s_waitcnt lgkmcnt(0)
	s_nop 0
	v_cndmask_b32_e64 v13, 0, v5, s[0:1]
	v_cndmask_b32_e64 v12, 0, v4, s[0:1]
	v_cmp_eq_u32_e64 s[0:1], 1, v20
	v_lshl_add_u64 v[8:9], v[12:13], 0, v[8:9]
	s_nop 0
	v_cndmask_b32_e64 v12, v36, 1, s[0:1]
.LBB922_115:
	s_or_b64 exec, exec, s[34:35]
	v_add_u32_e32 v13, -1, v44
	v_and_b32_e32 v20, 64, v44
	v_cmp_lt_i32_e64 s[0:1], v13, v20
	v_cmp_eq_u32_e64 s[34:35], 0, v44
	s_nop 0
	v_cndmask_b32_e64 v13, v13, v44, s[0:1]
	v_lshlrev_b32_e32 v13, 2, v13
	ds_bpermute_b32 v37, v13, v8
	ds_bpermute_b32 v40, v13, v9
	;; [unrolled: 1-line block ×3, first 2 shown]
	s_and_saveexec_b64 s[48:49], vcc
	s_cbranch_execz .LBB922_158
; %bb.116:
	v_mov_b32_e32 v13, 0
	ds_read2_b64 v[48:51], v13 offset0:6 offset1:7
	s_and_saveexec_b64 s[0:1], s[34:35]
	s_cbranch_execz .LBB922_118
; %bb.117:
	s_add_i32 s54, s47, 64
	s_mov_b32 s55, 0
	s_lshl_b64 s[60:61], s[54:55], 4
	s_add_u32 s60, s40, s60
	s_addc_u32 s61, s41, s61
	v_mov_b32_e32 v8, s54
	v_mov_b32_e32 v9, 1
	s_waitcnt lgkmcnt(0)
	global_store_dword v13, v48, s[60:61] sc1
	global_store_dword v13, v49, s[60:61] offset:4 sc1
	global_store_dword v13, v50, s[60:61] offset:8 sc1
	;; [unrolled: 1-line block ×3, first 2 shown]
	s_waitcnt vmcnt(0)
	global_store_byte v8, v9, s[44:45] sc1
.LBB922_118:
	s_or_b64 exec, exec, s[0:1]
	v_xad_u32 v8, v44, -1, s47
	v_add_u32_e32 v12, 64, v8
	global_load_ubyte v45, v12, s[44:45] sc1
	s_waitcnt vmcnt(0)
	v_cmp_eq_u16_e32 vcc, 0, v45
	s_and_saveexec_b64 s[0:1], vcc
	s_cbranch_execz .LBB922_122
; %bb.119:
	v_lshl_add_u64 v[20:21], s[44:45], 0, v[12:13]
	s_mov_b64 s[54:55], 0
.LBB922_120:                            ; =>This Inner Loop Header: Depth=1
	global_load_ubyte v45, v[20:21], off sc1
	s_waitcnt vmcnt(0)
	v_cmp_ne_u16_e32 vcc, 0, v45
	s_or_b64 s[54:55], vcc, s[54:55]
	s_andn2_b64 exec, exec, s[54:55]
	s_cbranch_execnz .LBB922_120
; %bb.121:
	s_or_b64 exec, exec, s[54:55]
.LBB922_122:
	s_or_b64 exec, exec, s[0:1]
	v_mov_b32_e32 v9, s43
	v_mov_b32_e32 v20, s41
	v_cmp_eq_u16_e32 vcc, 1, v45
	s_waitcnt vmcnt(0) lgkmcnt(0)
	s_nop 0
	v_cndmask_b32_e32 v21, v9, v20, vcc
	v_mov_b32_e32 v9, s42
	v_mov_b32_e32 v20, s40
	v_cndmask_b32_e32 v20, v9, v20, vcc
	v_lshl_add_u64 v[12:13], v[12:13], 4, v[20:21]
	global_load_dword v24, v[12:13], off sc1
	global_load_dword v25, v[12:13], off offset:4 sc1
	global_load_dword v64, v[12:13], off offset:8 sc1
	;; [unrolled: 1-line block ×3, first 2 shown]
	v_cmp_eq_u16_e32 vcc, 2, v45
	v_lshlrev_b64 v[12:13], v44, -1
	v_and_b32_e32 v51, 63, v44
	s_waitcnt vmcnt(0)
	v_and_b32_e32 v9, vcc_hi, v13
	v_and_b32_e32 v55, vcc_lo, v12
	v_cmp_ne_u32_e32 vcc, 63, v51
	v_or_b32_e32 v9, 0x80000000, v9
	v_ffbl_b32_e32 v9, v9
	v_addc_co_u32_e32 v20, vcc, 0, v44, vcc
	v_lshlrev_b32_e32 v52, 2, v20
	v_add_u32_e32 v9, 32, v9
	v_ffbl_b32_e32 v55, v55
	v_min_u32_e32 v9, v55, v9
	v_cmp_lt_u32_e32 vcc, v51, v9
	ds_bpermute_b32 v53, v52, v24
	ds_bpermute_b32 v54, v52, v25
	v_and_b32_e32 v20, 0xff, v64
	ds_bpermute_b32 v21, v52, v20
	s_and_saveexec_b64 s[0:1], vcc
	s_cbranch_execz .LBB922_124
; %bb.123:
	v_mov_b32_e32 v20, 0
	v_cmp_eq_u16_sdwa vcc, v64, v20 src0_sel:BYTE_0 src1_sel:DWORD
	s_waitcnt lgkmcnt(0)
	v_or_b32_e32 v20, v21, v64
	v_and_b32_e32 v64, 1, v20
	v_cndmask_b32_e32 v55, 0, v54, vcc
	v_cndmask_b32_e32 v54, 0, v53, vcc
	v_lshl_add_u64 v[24:25], v[54:55], 0, v[24:25]
	v_and_b32_e32 v20, 1, v20
.LBB922_124:
	s_or_b64 exec, exec, s[0:1]
	v_cmp_gt_u32_e32 vcc, 62, v51
	s_waitcnt lgkmcnt(1)
	v_add_u32_e32 v54, 2, v51
	s_waitcnt lgkmcnt(0)
	v_cndmask_b32_e64 v21, 0, 1, vcc
	v_lshlrev_b32_e32 v21, 1, v21
	v_add_lshl_u32 v53, v21, v44, 2
	ds_bpermute_b32 v55, v53, v24
	ds_bpermute_b32 v56, v53, v25
	ds_bpermute_b32 v21, v53, v20
	v_cmp_le_u32_e32 vcc, v54, v9
	s_and_saveexec_b64 s[54:55], vcc
	s_cbranch_execz .LBB922_126
; %bb.125:
	v_mov_b32_e32 v20, 0
	v_cmp_eq_u16_sdwa vcc, v64, v20 src0_sel:BYTE_0 src1_sel:DWORD
	v_and_b32_e32 v20, 1, v64
	s_waitcnt lgkmcnt(1)
	v_cndmask_b32_e32 v57, 0, v56, vcc
	v_cndmask_b32_e32 v56, 0, v55, vcc
	v_cmp_eq_u32_e32 vcc, 1, v20
	s_waitcnt lgkmcnt(0)
	v_and_b32_e32 v20, 1, v21
	v_cmp_eq_u32_e64 s[0:1], 1, v20
	s_or_b64 s[0:1], vcc, s[0:1]
	v_lshl_add_u64 v[24:25], v[56:57], 0, v[24:25]
	v_cndmask_b32_e64 v64, 0, 1, s[0:1]
	v_cndmask_b32_e64 v20, 0, 1, s[0:1]
.LBB922_126:
	s_or_b64 exec, exec, s[54:55]
	v_cmp_gt_u32_e32 vcc, 60, v51
	s_waitcnt lgkmcnt(1)
	v_add_u32_e32 v56, 4, v51
	s_waitcnt lgkmcnt(0)
	v_cndmask_b32_e64 v21, 0, 1, vcc
	v_lshlrev_b32_e32 v21, 2, v21
	v_add_lshl_u32 v55, v21, v44, 2
	ds_bpermute_b32 v57, v55, v24
	ds_bpermute_b32 v58, v55, v25
	ds_bpermute_b32 v21, v55, v20
	v_cmp_le_u32_e32 vcc, v56, v9
	s_and_saveexec_b64 s[54:55], vcc
	s_cbranch_execz .LBB922_128
; %bb.127:
	v_mov_b32_e32 v20, 0
	v_cmp_eq_u16_sdwa vcc, v64, v20 src0_sel:BYTE_0 src1_sel:DWORD
	v_and_b32_e32 v20, 1, v64
	s_waitcnt lgkmcnt(1)
	v_cndmask_b32_e32 v59, 0, v58, vcc
	v_cndmask_b32_e32 v58, 0, v57, vcc
	v_cmp_eq_u32_e32 vcc, 1, v20
	s_waitcnt lgkmcnt(0)
	v_and_b32_e32 v20, 1, v21
	v_cmp_eq_u32_e64 s[0:1], 1, v20
	s_or_b64 s[0:1], vcc, s[0:1]
	v_lshl_add_u64 v[24:25], v[58:59], 0, v[24:25]
	v_cndmask_b32_e64 v64, 0, 1, s[0:1]
	v_cndmask_b32_e64 v20, 0, 1, s[0:1]
.LBB922_128:
	;; [unrolled: 30-line block ×4, first 2 shown]
	s_or_b64 exec, exec, s[54:55]
	v_cmp_gt_u32_e32 vcc, 32, v51
	s_waitcnt lgkmcnt(1)
	v_add_u32_e32 v62, 32, v51
	s_waitcnt lgkmcnt(0)
	v_cndmask_b32_e64 v21, 0, 1, vcc
	v_lshlrev_b32_e32 v21, 5, v21
	v_add_lshl_u32 v61, v21, v44, 2
	ds_bpermute_b32 v21, v61, v24
	ds_bpermute_b32 v44, v61, v25
	;; [unrolled: 1-line block ×3, first 2 shown]
	v_cmp_le_u32_e32 vcc, v62, v9
	s_and_saveexec_b64 s[54:55], vcc
	s_cbranch_execz .LBB922_134
; %bb.133:
	v_mov_b32_e32 v9, 0
	v_cmp_eq_u16_sdwa vcc, v64, v9 src0_sel:BYTE_0 src1_sel:DWORD
	v_and_b32_e32 v9, 1, v64
	s_waitcnt lgkmcnt(1)
	v_cndmask_b32_e32 v67, 0, v44, vcc
	v_cndmask_b32_e32 v66, 0, v21, vcc
	v_cmp_eq_u32_e32 vcc, 1, v9
	s_waitcnt lgkmcnt(0)
	v_and_b32_e32 v9, 1, v20
	v_cmp_eq_u32_e64 s[0:1], 1, v9
	s_or_b64 s[0:1], vcc, s[0:1]
	v_lshl_add_u64 v[24:25], v[66:67], 0, v[24:25]
	v_cndmask_b32_e64 v64, 0, 1, s[0:1]
.LBB922_134:
	s_or_b64 exec, exec, s[54:55]
	v_mov_b32_e32 v9, 0
	v_mov_b32_e32 v63, 2
	s_branch .LBB922_136
.LBB922_135:                            ;   in Loop: Header=BB922_136 Depth=1
	s_or_b64 exec, exec, s[60:61]
	v_cmp_eq_u16_sdwa vcc, v44, v9 src0_sel:BYTE_0 src1_sel:DWORD
	v_and_b32_e32 v64, 1, v44
	v_subrev_u32_e32 v8, 64, v8
	v_cndmask_b32_e32 v25, 0, v25, vcc
	v_cndmask_b32_e32 v24, 0, v24, vcc
	v_cmp_eq_u32_e32 vcc, 1, v64
	s_or_b64 s[0:1], vcc, s[54:55]
	v_lshl_add_u64 v[24:25], v[24:25], 0, v[20:21]
	v_cndmask_b32_e64 v64, 0, 1, s[0:1]
.LBB922_136:                            ; =>This Loop Header: Depth=1
                                        ;     Child Loop BB922_139 Depth 2
	v_cmp_ne_u16_sdwa s[0:1], v45, v63 src0_sel:BYTE_0 src1_sel:DWORD
	s_waitcnt lgkmcnt(1)
	v_mov_b32_e32 v44, v64
	s_waitcnt lgkmcnt(0)
	v_cndmask_b32_e64 v20, 0, 1, s[0:1]
	;;#ASMSTART
	;;#ASMEND
	s_nop 0
	v_cmp_ne_u32_e32 vcc, 0, v20
	s_cmp_lg_u64 vcc, exec
	v_mov_b64_e32 v[20:21], v[24:25]
	s_cbranch_scc1 .LBB922_153
; %bb.137:                              ;   in Loop: Header=BB922_136 Depth=1
	global_load_ubyte v45, v8, s[44:45] sc1
	s_waitcnt vmcnt(0)
	v_cmp_eq_u16_e32 vcc, 0, v45
	s_and_saveexec_b64 s[0:1], vcc
	s_cbranch_execz .LBB922_141
; %bb.138:                              ;   in Loop: Header=BB922_136 Depth=1
	v_lshl_add_u64 v[24:25], s[44:45], 0, v[8:9]
	s_mov_b64 s[54:55], 0
.LBB922_139:                            ;   Parent Loop BB922_136 Depth=1
                                        ; =>  This Inner Loop Header: Depth=2
	global_load_ubyte v45, v[24:25], off sc1
	s_waitcnt vmcnt(0)
	v_cmp_ne_u16_e32 vcc, 0, v45
	s_or_b64 s[54:55], vcc, s[54:55]
	s_andn2_b64 exec, exec, s[54:55]
	s_cbranch_execnz .LBB922_139
; %bb.140:                              ;   in Loop: Header=BB922_136 Depth=1
	s_or_b64 exec, exec, s[54:55]
.LBB922_141:                            ;   in Loop: Header=BB922_136 Depth=1
	s_or_b64 exec, exec, s[0:1]
	v_mov_b32_e32 v24, s43
	v_mov_b32_e32 v25, s41
	v_cmp_eq_u16_e32 vcc, 1, v45
	v_mov_b32_e32 v64, s40
	s_waitcnt vmcnt(0)
	v_cndmask_b32_e32 v25, v24, v25, vcc
	v_mov_b32_e32 v24, s42
	v_cndmask_b32_e32 v24, v24, v64, vcc
	v_lshl_add_u64 v[66:67], v[8:9], 4, v[24:25]
	global_load_dword v24, v[66:67], off sc1
	global_load_dword v25, v[66:67], off offset:4 sc1
	global_load_dword v64, v[66:67], off offset:8 sc1
	;; [unrolled: 1-line block ×3, first 2 shown]
	v_cmp_eq_u16_e32 vcc, 2, v45
	s_waitcnt vmcnt(3)
	ds_bpermute_b32 v68, v52, v24
	s_waitcnt vmcnt(0)
	v_and_b32_e32 v65, vcc_hi, v13
	v_and_b32_e32 v66, 0xff, v64
	v_or_b32_e32 v65, 0x80000000, v65
	ds_bpermute_b32 v69, v52, v25
	ds_bpermute_b32 v67, v52, v66
	v_and_b32_e32 v70, vcc_lo, v12
	v_ffbl_b32_e32 v65, v65
	v_add_u32_e32 v65, 32, v65
	v_ffbl_b32_e32 v70, v70
	v_min_u32_e32 v65, v70, v65
	v_cmp_lt_u32_e32 vcc, v51, v65
	s_and_saveexec_b64 s[0:1], vcc
	s_cbranch_execz .LBB922_143
; %bb.142:                              ;   in Loop: Header=BB922_136 Depth=1
	v_cmp_eq_u16_sdwa vcc, v64, v9 src0_sel:BYTE_0 src1_sel:DWORD
	s_waitcnt lgkmcnt(0)
	v_or_b32_e32 v66, v67, v64
	v_and_b32_e32 v64, 1, v66
	v_cndmask_b32_e32 v69, 0, v69, vcc
	v_cndmask_b32_e32 v68, 0, v68, vcc
	v_lshl_add_u64 v[24:25], v[68:69], 0, v[24:25]
	v_and_b32_e32 v66, 1, v66
.LBB922_143:                            ;   in Loop: Header=BB922_136 Depth=1
	s_or_b64 exec, exec, s[0:1]
	s_waitcnt lgkmcnt(2)
	ds_bpermute_b32 v68, v53, v24
	s_waitcnt lgkmcnt(2)
	ds_bpermute_b32 v69, v53, v25
	;; [unrolled: 2-line block ×3, first 2 shown]
	v_and_b32_e32 v70, 1, v64
	v_cmp_le_u32_e32 vcc, v54, v65
	v_cmp_eq_u32_e64 s[54:55], 1, v70
	s_and_saveexec_b64 s[0:1], vcc
	s_cbranch_execz .LBB922_145
; %bb.144:                              ;   in Loop: Header=BB922_136 Depth=1
	v_cmp_eq_u16_sdwa vcc, v64, v9 src0_sel:BYTE_0 src1_sel:DWORD
	s_waitcnt lgkmcnt(0)
	v_and_b32_e32 v64, 1, v67
	v_cndmask_b32_e32 v69, 0, v69, vcc
	v_cndmask_b32_e32 v68, 0, v68, vcc
	v_cmp_eq_u32_e32 vcc, 1, v64
	s_or_b64 s[60:61], s[54:55], vcc
	v_cndmask_b32_e64 v64, 0, 1, s[60:61]
	v_cndmask_b32_e64 v66, 0, 1, s[60:61]
	s_andn2_b64 s[54:55], s[54:55], exec
	s_and_b64 s[60:61], s[60:61], exec
	v_lshl_add_u64 v[24:25], v[68:69], 0, v[24:25]
	s_or_b64 s[54:55], s[54:55], s[60:61]
.LBB922_145:                            ;   in Loop: Header=BB922_136 Depth=1
	s_or_b64 exec, exec, s[0:1]
	s_waitcnt lgkmcnt(2)
	ds_bpermute_b32 v68, v55, v24
	s_waitcnt lgkmcnt(2)
	ds_bpermute_b32 v69, v55, v25
	s_waitcnt lgkmcnt(2)
	ds_bpermute_b32 v67, v55, v66
	v_cmp_le_u32_e32 vcc, v56, v65
	s_and_saveexec_b64 s[60:61], vcc
	s_cbranch_execz .LBB922_147
; %bb.146:                              ;   in Loop: Header=BB922_136 Depth=1
	v_cmp_eq_u16_sdwa vcc, v64, v9 src0_sel:BYTE_0 src1_sel:DWORD
	v_and_b32_e32 v64, 1, v64
	s_andn2_b64 s[54:55], s[54:55], exec
	s_waitcnt lgkmcnt(1)
	v_cndmask_b32_e32 v69, 0, v69, vcc
	v_cndmask_b32_e32 v68, 0, v68, vcc
	v_cmp_eq_u32_e32 vcc, 1, v64
	s_waitcnt lgkmcnt(0)
	v_and_b32_e32 v64, 1, v67
	v_cmp_eq_u32_e64 s[0:1], 1, v64
	s_or_b64 s[0:1], vcc, s[0:1]
	v_lshl_add_u64 v[24:25], v[68:69], 0, v[24:25]
	v_cndmask_b32_e64 v64, 0, 1, s[0:1]
	v_cndmask_b32_e64 v66, 0, 1, s[0:1]
	s_and_b64 s[0:1], s[0:1], exec
	s_or_b64 s[54:55], s[54:55], s[0:1]
.LBB922_147:                            ;   in Loop: Header=BB922_136 Depth=1
	s_or_b64 exec, exec, s[60:61]
	s_waitcnt lgkmcnt(2)
	ds_bpermute_b32 v68, v57, v24
	s_waitcnt lgkmcnt(2)
	ds_bpermute_b32 v69, v57, v25
	s_waitcnt lgkmcnt(2)
	ds_bpermute_b32 v67, v57, v66
	v_cmp_le_u32_e32 vcc, v58, v65
	s_and_saveexec_b64 s[60:61], vcc
	s_cbranch_execz .LBB922_149
; %bb.148:                              ;   in Loop: Header=BB922_136 Depth=1
	v_cmp_eq_u16_sdwa vcc, v64, v9 src0_sel:BYTE_0 src1_sel:DWORD
	v_and_b32_e32 v64, 1, v64
	s_andn2_b64 s[54:55], s[54:55], exec
	s_waitcnt lgkmcnt(1)
	v_cndmask_b32_e32 v69, 0, v69, vcc
	v_cndmask_b32_e32 v68, 0, v68, vcc
	v_cmp_eq_u32_e32 vcc, 1, v64
	s_waitcnt lgkmcnt(0)
	v_and_b32_e32 v64, 1, v67
	v_cmp_eq_u32_e64 s[0:1], 1, v64
	s_or_b64 s[0:1], vcc, s[0:1]
	v_lshl_add_u64 v[24:25], v[68:69], 0, v[24:25]
	v_cndmask_b32_e64 v64, 0, 1, s[0:1]
	v_cndmask_b32_e64 v66, 0, 1, s[0:1]
	s_and_b64 s[0:1], s[0:1], exec
	s_or_b64 s[54:55], s[54:55], s[0:1]
.LBB922_149:                            ;   in Loop: Header=BB922_136 Depth=1
	s_or_b64 exec, exec, s[60:61]
	s_waitcnt lgkmcnt(2)
	ds_bpermute_b32 v68, v59, v24
	s_waitcnt lgkmcnt(2)
	ds_bpermute_b32 v69, v59, v25
	s_waitcnt lgkmcnt(2)
	ds_bpermute_b32 v67, v59, v66
	v_cmp_le_u32_e32 vcc, v60, v65
	s_and_saveexec_b64 s[60:61], vcc
	s_cbranch_execz .LBB922_151
; %bb.150:                              ;   in Loop: Header=BB922_136 Depth=1
	v_cmp_eq_u16_sdwa vcc, v64, v9 src0_sel:BYTE_0 src1_sel:DWORD
	v_and_b32_e32 v64, 1, v64
	s_andn2_b64 s[54:55], s[54:55], exec
	s_waitcnt lgkmcnt(1)
	v_cndmask_b32_e32 v69, 0, v69, vcc
	v_cndmask_b32_e32 v68, 0, v68, vcc
	v_cmp_eq_u32_e32 vcc, 1, v64
	s_waitcnt lgkmcnt(0)
	v_and_b32_e32 v64, 1, v67
	v_cmp_eq_u32_e64 s[0:1], 1, v64
	s_or_b64 s[0:1], vcc, s[0:1]
	v_lshl_add_u64 v[24:25], v[68:69], 0, v[24:25]
	v_cndmask_b32_e64 v64, 0, 1, s[0:1]
	v_cndmask_b32_e64 v66, 0, 1, s[0:1]
	s_and_b64 s[0:1], s[0:1], exec
	s_or_b64 s[54:55], s[54:55], s[0:1]
.LBB922_151:                            ;   in Loop: Header=BB922_136 Depth=1
	s_or_b64 exec, exec, s[60:61]
	s_waitcnt lgkmcnt(0)
	ds_bpermute_b32 v67, v61, v24
	ds_bpermute_b32 v68, v61, v25
	;; [unrolled: 1-line block ×3, first 2 shown]
	v_cmp_le_u32_e32 vcc, v62, v65
	s_and_saveexec_b64 s[60:61], vcc
	s_cbranch_execz .LBB922_135
; %bb.152:                              ;   in Loop: Header=BB922_136 Depth=1
	v_cmp_eq_u16_sdwa vcc, v64, v9 src0_sel:BYTE_0 src1_sel:DWORD
	v_and_b32_e32 v64, 1, v64
	s_andn2_b64 s[54:55], s[54:55], exec
	s_waitcnt lgkmcnt(1)
	v_cndmask_b32_e32 v69, 0, v68, vcc
	v_cndmask_b32_e32 v68, 0, v67, vcc
	v_cmp_eq_u32_e32 vcc, 1, v64
	s_waitcnt lgkmcnt(0)
	v_and_b32_e32 v64, 1, v66
	v_cmp_eq_u32_e64 s[0:1], 1, v64
	s_or_b64 s[0:1], vcc, s[0:1]
	s_and_b64 s[0:1], s[0:1], exec
	v_lshl_add_u64 v[24:25], v[68:69], 0, v[24:25]
	s_or_b64 s[54:55], s[54:55], s[0:1]
	s_branch .LBB922_135
.LBB922_153:                            ;   in Loop: Header=BB922_136 Depth=1
                                        ; implicit-def: $vgpr64
                                        ; implicit-def: $vgpr24_vgpr25
                                        ; implicit-def: $vgpr45
	s_cbranch_execz .LBB922_136
; %bb.154:
	s_and_saveexec_b64 s[0:1], s[34:35]
	s_cbranch_execz .LBB922_156
; %bb.155:
	s_mov_b32 s41, 0
	v_mov_b32_e32 v12, 0
	s_add_i32 s40, s47, 64
	v_cmp_eq_u32_sdwa vcc, v50, v12 src0_sel:BYTE_0 src1_sel:DWORD
	s_lshl_b64 s[54:55], s[40:41], 4
	v_and_b32_e32 v13, 1, v50
	v_cndmask_b32_e32 v9, 0, v21, vcc
	v_cndmask_b32_e32 v8, 0, v20, vcc
	s_add_u32 s54, s42, s54
	v_lshl_add_u64 v[8:9], v[8:9], 0, v[48:49]
	v_and_b32_e32 v24, 1, v44
	v_cmp_eq_u32_e32 vcc, 1, v13
	s_addc_u32 s55, s43, s55
	s_nop 0
	v_cndmask_b32_e64 v13, v24, 1, vcc
	global_store_dword v12, v8, s[54:55] sc1
	global_store_dword v12, v9, s[54:55] offset:4 sc1
	global_store_dword v12, v13, s[54:55] offset:8 sc1
	;; [unrolled: 1-line block ×3, first 2 shown]
	v_mov_b32_e32 v8, s40
	v_mov_b32_e32 v9, 2
	s_waitcnt vmcnt(0) lgkmcnt(0)
	global_store_byte v8, v9, s[44:45] sc1
.LBB922_156:
	s_or_b64 exec, exec, s[0:1]
	s_and_b64 exec, exec, s[36:37]
	s_cbranch_execz .LBB922_158
; %bb.157:
	v_mov_b32_e32 v8, 0
	ds_write_b64 v8, v[20:21] offset:48
	ds_write_b8 v8, v44 offset:56
.LBB922_158:
	s_or_b64 exec, exec, s[48:49]
	s_waitcnt lgkmcnt(0)
	v_cndmask_b32_e64 v8, v41, v36, s[34:35]
	v_mov_b32_e32 v13, 0
	v_cndmask_b32_e64 v9, v40, v5, s[34:35]
	v_cndmask_b32_e64 v12, v37, v4, s[34:35]
	v_cmp_eq_u16_sdwa vcc, v1, v13 src0_sel:BYTE_0 src1_sel:DWORD
	v_and_b32_e32 v20, 1, v1
	v_and_b32_e32 v8, 1, v8
	s_barrier
	ds_read_b64 v[4:5], v13 offset:48
	v_cndmask_b32_e32 v12, 0, v12, vcc
	v_cndmask_b32_e32 v9, 0, v9, vcc
	v_cmp_eq_u32_e32 vcc, 1, v20
	v_cmp_eq_u32_e64 s[0:1], 1, v8
	s_or_b64 s[0:1], vcc, s[0:1]
	v_cndmask_b32_e64 v9, v9, 0, s[36:37]
	v_cndmask_b32_e64 v8, 0, 1, s[0:1]
	;; [unrolled: 1-line block ×4, first 2 shown]
	v_cmp_eq_u16_sdwa vcc, v20, v13 src0_sel:BYTE_0 src1_sel:DWORD
	v_lshl_add_u64 v[8:9], v[8:9], 0, v[2:3]
	s_waitcnt lgkmcnt(0)
	v_cndmask_b32_e32 v5, 0, v5, vcc
	v_cndmask_b32_e32 v4, 0, v4, vcc
	v_lshl_add_u64 v[48:49], v[8:9], 0, v[4:5]
	v_cndmask_b32_e64 v5, 0, v49, s[6:7]
	v_cndmask_b32_e64 v4, 0, v48, s[6:7]
	v_lshl_add_u64 v[50:51], v[4:5], 0, v[14:15]
	v_cndmask_b32_e64 v5, 0, v51, s[8:9]
	v_cndmask_b32_e64 v4, 0, v50, s[8:9]
	v_lshl_add_u64 v[52:53], v[4:5], 0, v[6:7]
	v_cndmask_b32_e64 v5, 0, v53, s[10:11]
	v_cndmask_b32_e64 v4, 0, v52, s[10:11]
	v_lshl_add_u64 v[54:55], v[4:5], 0, v[22:23]
	v_cndmask_b32_e64 v5, 0, v55, s[12:13]
	v_cndmask_b32_e64 v4, 0, v54, s[12:13]
	v_lshl_add_u64 v[56:57], v[4:5], 0, v[10:11]
	v_cndmask_b32_e64 v5, 0, v57, s[14:15]
	v_cndmask_b32_e64 v4, 0, v56, s[14:15]
	v_lshl_add_u64 v[58:59], v[4:5], 0, v[30:31]
	v_cndmask_b32_e64 v5, 0, v59, s[16:17]
	v_cndmask_b32_e64 v4, 0, v58, s[16:17]
	v_lshl_add_u64 v[60:61], v[4:5], 0, v[18:19]
	v_cndmask_b32_e64 v5, 0, v61, s[18:19]
	v_cndmask_b32_e64 v4, 0, v60, s[18:19]
	v_lshl_add_u64 v[62:63], v[4:5], 0, v[38:39]
	v_cndmask_b32_e64 v5, 0, v63, s[20:21]
	v_cndmask_b32_e64 v4, 0, v62, s[20:21]
	v_lshl_add_u64 v[64:65], v[4:5], 0, v[26:27]
	v_cndmask_b32_e64 v5, 0, v65, s[22:23]
	v_cndmask_b32_e64 v4, 0, v64, s[22:23]
	v_lshl_add_u64 v[66:67], v[4:5], 0, v[42:43]
	v_cndmask_b32_e64 v5, 0, v67, s[24:25]
	v_cndmask_b32_e64 v4, 0, v66, s[24:25]
	v_lshl_add_u64 v[68:69], v[4:5], 0, v[34:35]
	v_cndmask_b32_e64 v5, 0, v69, s[26:27]
	v_cndmask_b32_e64 v4, 0, v68, s[26:27]
	v_lshl_add_u64 v[70:71], v[4:5], 0, v[46:47]
	v_cndmask_b32_e64 v5, 0, v71, s[28:29]
	v_cndmask_b32_e64 v4, 0, v70, s[28:29]
	v_lshl_add_u64 v[72:73], v[4:5], 0, v[78:79]
	v_cndmask_b32_e64 v5, 0, v73, s[30:31]
	v_cndmask_b32_e64 v4, 0, v72, s[30:31]
	v_lshl_add_u64 v[74:75], v[4:5], 0, v[16:17]
	s_branch .LBB922_189
.LBB922_159:
                                        ; implicit-def: $vgpr74_vgpr75
                                        ; implicit-def: $vgpr70_vgpr71
                                        ; implicit-def: $vgpr66_vgpr67
                                        ; implicit-def: $vgpr62_vgpr63
                                        ; implicit-def: $vgpr58_vgpr59
                                        ; implicit-def: $vgpr54_vgpr55
                                        ; implicit-def: $vgpr50_vgpr51
	s_cbranch_execz .LBB922_189
; %bb.160:
	s_cmp_lg_u64 s[58:59], 0
	s_cselect_b32 s7, s51, 0
	s_cselect_b32 s6, s50, 0
	s_cmp_lg_u64 s[6:7], 0
	s_cselect_b64 s[0:1], -1, 0
	s_and_b64 s[8:9], s[36:37], s[0:1]
	s_and_saveexec_b64 s[0:1], s[8:9]
	s_cbranch_execz .LBB922_162
; %bb.161:
	v_mov_b32_e32 v8, 0
	global_load_dwordx2 v[4:5], v8, s[6:7]
	global_load_ubyte v9, v8, s[6:7] offset:8
	v_cmp_eq_u16_sdwa vcc, v1, v8 src0_sel:BYTE_0 src1_sel:DWORD
	s_waitcnt vmcnt(0)
	v_or_b32_e32 v1, v1, v9
	v_cndmask_b32_e32 v5, 0, v5, vcc
	v_cndmask_b32_e32 v4, 0, v4, vcc
	v_lshl_add_u64 v[2:3], v[4:5], 0, v[2:3]
	v_and_b32_e32 v1, 1, v1
.LBB922_162:
	s_or_b64 exec, exec, s[0:1]
	v_mov_b32_e32 v9, 0
	v_cmp_eq_u16_sdwa vcc, v82, v9 src0_sel:BYTE_0 src1_sel:DWORD
	v_cmp_eq_u16_sdwa s[6:7], v81, v9 src0_sel:BYTE_0 src1_sel:DWORD
	v_cmp_eq_u16_sdwa s[8:9], v83, v9 src0_sel:BYTE_0 src1_sel:DWORD
	v_cndmask_b32_e32 v5, 0, v3, vcc
	v_cndmask_b32_e32 v4, 0, v2, vcc
	v_lshl_add_u64 v[50:51], v[4:5], 0, v[14:15]
	v_cndmask_b32_e64 v5, 0, v51, s[6:7]
	v_cndmask_b32_e64 v4, 0, v50, s[6:7]
	v_lshl_add_u64 v[52:53], v[4:5], 0, v[6:7]
	v_cndmask_b32_e64 v5, 0, v53, s[8:9]
	v_cndmask_b32_e64 v4, 0, v52, s[8:9]
	v_lshl_add_u64 v[54:55], v[4:5], 0, v[22:23]
	v_cmp_eq_u16_sdwa s[10:11], v84, v9 src0_sel:BYTE_0 src1_sel:DWORD
	v_cmp_eq_u16_sdwa s[12:13], v85, v9 src0_sel:BYTE_0 src1_sel:DWORD
	v_cmp_eq_u16_sdwa s[14:15], v86, v9 src0_sel:BYTE_0 src1_sel:DWORD
	v_cndmask_b32_e64 v5, 0, v55, s[10:11]
	v_cndmask_b32_e64 v4, 0, v54, s[10:11]
	v_lshl_add_u64 v[56:57], v[4:5], 0, v[10:11]
	v_cndmask_b32_e64 v5, 0, v57, s[12:13]
	v_cndmask_b32_e64 v4, 0, v56, s[12:13]
	v_lshl_add_u64 v[58:59], v[4:5], 0, v[30:31]
	v_cndmask_b32_e64 v5, 0, v59, s[14:15]
	v_cndmask_b32_e64 v4, 0, v58, s[14:15]
	v_lshl_add_u64 v[60:61], v[4:5], 0, v[18:19]
	v_cmp_eq_u16_sdwa s[16:17], v87, v9 src0_sel:BYTE_0 src1_sel:DWORD
	v_cmp_eq_u16_sdwa s[18:19], v88, v9 src0_sel:BYTE_0 src1_sel:DWORD
	v_cmp_eq_u16_sdwa s[20:21], v89, v9 src0_sel:BYTE_0 src1_sel:DWORD
	v_cndmask_b32_e64 v5, 0, v61, s[16:17]
	v_cndmask_b32_e64 v4, 0, v60, s[16:17]
	v_lshl_add_u64 v[62:63], v[4:5], 0, v[38:39]
	v_cndmask_b32_e64 v5, 0, v63, s[18:19]
	v_cndmask_b32_e64 v4, 0, v62, s[18:19]
	v_lshl_add_u64 v[64:65], v[4:5], 0, v[26:27]
	v_cndmask_b32_e64 v5, 0, v65, s[20:21]
	v_cndmask_b32_e64 v4, 0, v64, s[20:21]
	v_lshl_add_u64 v[66:67], v[4:5], 0, v[42:43]
	v_cmp_eq_u16_sdwa s[22:23], v90, v9 src0_sel:BYTE_0 src1_sel:DWORD
	v_cmp_eq_u16_sdwa s[24:25], v91, v9 src0_sel:BYTE_0 src1_sel:DWORD
	v_cmp_eq_u16_sdwa s[26:27], v80, v9 src0_sel:BYTE_0 src1_sel:DWORD
	v_cndmask_b32_e64 v5, 0, v67, s[22:23]
	v_cndmask_b32_e64 v4, 0, v66, s[22:23]
	v_lshl_add_u64 v[68:69], v[4:5], 0, v[34:35]
	v_cndmask_b32_e64 v5, 0, v69, s[24:25]
	v_cndmask_b32_e64 v4, 0, v68, s[24:25]
	v_lshl_add_u64 v[70:71], v[4:5], 0, v[46:47]
	v_cndmask_b32_e64 v5, 0, v71, s[26:27]
	v_cndmask_b32_e64 v4, 0, v70, s[26:27]
	v_lshl_add_u64 v[72:73], v[4:5], 0, v[78:79]
	v_cmp_eq_u16_sdwa s[28:29], v33, v9 src0_sel:BYTE_0 src1_sel:DWORD
	v_and_b32_e32 v8, 0xff, v1
	v_mbcnt_hi_u32_b32 v12, -1, v28
	v_cndmask_b32_e64 v5, 0, v73, s[28:29]
	v_cndmask_b32_e64 v4, 0, v72, s[28:29]
	v_lshl_add_u64 v[74:75], v[4:5], 0, v[16:17]
	v_or_b32_e32 v4, v29, v90
	v_or_b32_e32 v4, v4, v89
	;; [unrolled: 1-line block ×10, first 2 shown]
	v_and_b32_e32 v4, 1, v4
	v_cmp_eq_u32_e64 s[0:1], 1, v4
	v_and_b32_e32 v20, 15, v12
	s_waitcnt vmcnt(0)
	v_mov_b32_dpp v24, v74 row_shr:1 row_mask:0xf bank_mask:0xf
	v_cndmask_b32_e64 v13, v8, 1, s[0:1]
	v_mov_b32_dpp v25, v75 row_shr:1 row_mask:0xf bank_mask:0xf
	v_cmp_ne_u32_e64 s[0:1], 0, v20
	v_mov_b32_dpp v21, v13 row_shr:1 row_mask:0xf bank_mask:0xf
	v_mov_b64_e32 v[4:5], v[74:75]
	v_mov_b32_e32 v9, v75
	v_mov_b32_e32 v8, v74
	s_and_saveexec_b64 s[30:31], s[0:1]
; %bb.163:
	v_cmp_eq_u32_e64 s[0:1], 0, v13
	v_and_or_b32 v13, v21, 1, v13
	s_nop 0
	v_cndmask_b32_e64 v5, 0, v25, s[0:1]
	v_cndmask_b32_e64 v4, 0, v24, s[0:1]
	v_lshl_add_u64 v[4:5], v[74:75], 0, v[4:5]
	v_mov_b32_e32 v9, v5
	v_mov_b32_e32 v8, v4
; %bb.164:
	s_or_b64 exec, exec, s[30:31]
	s_nop 0
	v_mov_b32_dpp v24, v8 row_shr:2 row_mask:0xf bank_mask:0xf
	v_mov_b32_dpp v25, v9 row_shr:2 row_mask:0xf bank_mask:0xf
	v_mov_b32_dpp v21, v13 row_shr:2 row_mask:0xf bank_mask:0xf
	v_cmp_lt_u32_e64 s[0:1], 1, v20
	s_and_saveexec_b64 s[30:31], s[0:1]
; %bb.165:
	v_cmp_eq_u32_e64 s[0:1], 0, v13
	s_nop 1
	v_cndmask_b32_e64 v9, 0, v25, s[0:1]
	v_cndmask_b32_e64 v8, 0, v24, s[0:1]
	v_lshl_add_u64 v[8:9], v[8:9], 0, v[4:5]
	v_or_b32_e32 v4, v21, v13
	v_and_b32_e32 v13, 1, v4
	v_mov_b64_e32 v[4:5], v[8:9]
; %bb.166:
	s_or_b64 exec, exec, s[30:31]
	v_mov_b32_dpp v24, v8 row_shr:4 row_mask:0xf bank_mask:0xf
	v_mov_b32_dpp v25, v9 row_shr:4 row_mask:0xf bank_mask:0xf
	v_mov_b32_dpp v21, v13 row_shr:4 row_mask:0xf bank_mask:0xf
	v_cmp_lt_u32_e64 s[0:1], 3, v20
	s_and_saveexec_b64 s[30:31], s[0:1]
; %bb.167:
	v_cmp_eq_u32_e64 s[0:1], 0, v13
	s_nop 1
	v_cndmask_b32_e64 v9, 0, v25, s[0:1]
	v_cndmask_b32_e64 v8, 0, v24, s[0:1]
	v_lshl_add_u64 v[8:9], v[8:9], 0, v[4:5]
	v_or_b32_e32 v4, v21, v13
	v_and_b32_e32 v13, 1, v4
	v_mov_b64_e32 v[4:5], v[8:9]
; %bb.168:
	s_or_b64 exec, exec, s[30:31]
	;; [unrolled: 16-line block ×3, first 2 shown]
	v_and_b32_e32 v25, 16, v12
	v_mov_b32_dpp v21, v8 row_bcast:15 row_mask:0xf bank_mask:0xf
	v_mov_b32_dpp v24, v9 row_bcast:15 row_mask:0xf bank_mask:0xf
	;; [unrolled: 1-line block ×3, first 2 shown]
	v_cmp_ne_u32_e64 s[0:1], 0, v25
	s_and_saveexec_b64 s[30:31], s[0:1]
; %bb.171:
	v_cmp_eq_u32_e64 s[0:1], 0, v13
	s_nop 1
	v_cndmask_b32_e64 v9, 0, v24, s[0:1]
	v_cndmask_b32_e64 v8, 0, v21, s[0:1]
	v_lshl_add_u64 v[4:5], v[8:9], 0, v[4:5]
	v_or_b32_e32 v8, v20, v13
	v_and_b32_e32 v13, 1, v8
	v_mov_b32_e32 v9, v5
	v_mov_b32_e32 v8, v4
; %bb.172:
	s_or_b64 exec, exec, s[30:31]
	s_nop 0
	v_mov_b32_dpp v20, v8 row_bcast:31 row_mask:0xf bank_mask:0xf
	v_mov_b32_dpp v21, v9 row_bcast:31 row_mask:0xf bank_mask:0xf
	;; [unrolled: 1-line block ×3, first 2 shown]
	v_cmp_lt_u32_e64 s[0:1], 31, v12
	v_mov_b32_e32 v8, v13
	s_and_saveexec_b64 s[30:31], s[0:1]
; %bb.173:
	v_cmp_eq_u32_e64 s[0:1], 0, v13
	v_or_b32_e32 v9, v9, v13
	v_and_b32_e32 v8, 1, v9
	v_cndmask_b32_e64 v21, 0, v21, s[0:1]
	v_cndmask_b32_e64 v20, 0, v20, s[0:1]
	v_lshl_add_u64 v[4:5], v[20:21], 0, v[4:5]
	v_and_b32_e32 v13, 1, v9
; %bb.174:
	s_or_b64 exec, exec, s[30:31]
	v_or_b32_e32 v9, 63, v0
	v_lshrrev_b32_e32 v20, 6, v0
	v_cmp_eq_u32_e64 s[0:1], v9, v0
	s_and_saveexec_b64 s[30:31], s[0:1]
	s_cbranch_execz .LBB922_176
; %bb.175:
	v_lshlrev_b32_e32 v9, 4, v20
	ds_write_b64 v9, v[4:5]
	ds_write_b8 v9, v8 offset:8
.LBB922_176:
	s_or_b64 exec, exec, s[30:31]
	v_cmp_gt_u32_e64 s[0:1], 4, v0
	s_waitcnt lgkmcnt(0)
	s_barrier
	s_and_saveexec_b64 s[34:35], s[0:1]
	s_cbranch_execz .LBB922_182
; %bb.177:
	v_lshlrev_b32_e32 v21, 4, v0
	ds_read_b64 v[8:9], v21
	ds_read_b32 v24, v21 offset:8
	v_and_b32_e32 v25, 3, v12
	v_cmp_ne_u32_e64 s[0:1], 0, v25
	s_waitcnt lgkmcnt(1)
	v_mov_b32_dpp v36, v8 row_shr:1 row_mask:0xf bank_mask:0xf
	v_mov_b32_dpp v37, v9 row_shr:1 row_mask:0xf bank_mask:0xf
	s_waitcnt lgkmcnt(0)
	v_mov_b32_dpp v33, v24 row_shr:1 row_mask:0xf bank_mask:0xf
	v_mov_b32_e32 v28, v24
	v_mov_b32_e32 v29, v24
	s_and_saveexec_b64 s[30:31], s[0:1]
; %bb.178:
	v_mov_b32_e32 v28, 0
	v_cmp_eq_u16_sdwa s[0:1], v24, v28 src0_sel:BYTE_0 src1_sel:DWORD
	s_nop 1
	v_cndmask_b32_e64 v29, 0, v37, s[0:1]
	v_cndmask_b32_e64 v28, 0, v36, s[0:1]
	v_lshl_add_u64 v[8:9], v[28:29], 0, v[8:9]
	v_or_b32_e32 v29, v33, v24
	v_and_b32_e32 v28, 1, v29
	v_and_b32_e32 v29, 1, v29
	s_movk_i32 s0, 0xff00
	v_and_or_b32 v24, v24, s0, v29
; %bb.179:
	s_or_b64 exec, exec, s[30:31]
	v_mov_b32_dpp v33, v8 row_shr:2 row_mask:0xf bank_mask:0xf
	v_mov_b32_dpp v36, v9 row_shr:2 row_mask:0xf bank_mask:0xf
	;; [unrolled: 1-line block ×3, first 2 shown]
	v_cmp_lt_u32_e64 s[0:1], 1, v25
	s_and_saveexec_b64 s[40:41], s[0:1]
; %bb.180:
	v_mov_b32_e32 v25, 0
	v_cmp_eq_u16_sdwa s[0:1], v29, v25 src0_sel:BYTE_0 src1_sel:DWORD
	v_and_b32_e32 v25, 1, v29
	v_and_b32_e32 v24, 1, v24
	v_cndmask_b32_e64 v37, 0, v36, s[0:1]
	v_cndmask_b32_e64 v36, 0, v33, s[0:1]
	v_cmp_eq_u32_e64 s[0:1], 1, v25
	v_cmp_eq_u32_e64 s[30:31], 1, v24
	s_or_b64 s[0:1], s[0:1], s[30:31]
	v_lshl_add_u64 v[8:9], v[36:37], 0, v[8:9]
	v_cndmask_b32_e64 v28, 0, 1, s[0:1]
; %bb.181:
	s_or_b64 exec, exec, s[40:41]
	ds_write_b64 v21, v[8:9]
	ds_write_b8 v21, v28 offset:8
.LBB922_182:
	s_or_b64 exec, exec, s[34:35]
	v_cmp_lt_u32_e64 s[0:1], 63, v0
	v_mov_b64_e32 v[8:9], 0
	s_waitcnt lgkmcnt(0)
	s_barrier
	s_and_saveexec_b64 s[30:31], s[0:1]
	s_cbranch_execz .LBB922_184
; %bb.183:
	v_lshl_add_u32 v8, v20, 4, -16
	ds_read_b64 v[8:9], v8
	v_cmp_eq_u32_e64 s[0:1], 0, v13
	s_waitcnt lgkmcnt(0)
	s_nop 0
	v_cndmask_b32_e64 v21, 0, v9, s[0:1]
	v_cndmask_b32_e64 v20, 0, v8, s[0:1]
	v_lshl_add_u64 v[4:5], v[20:21], 0, v[4:5]
.LBB922_184:
	s_or_b64 exec, exec, s[30:31]
	v_add_u32_e32 v13, -1, v12
	v_and_b32_e32 v20, 64, v12
	v_cmp_lt_i32_e64 s[0:1], v13, v20
	s_nop 1
	v_cndmask_b32_e64 v13, v13, v12, s[0:1]
	v_lshlrev_b32_e32 v13, 2, v13
	ds_bpermute_b32 v4, v13, v4
	ds_bpermute_b32 v5, v13, v5
	s_and_saveexec_b64 s[30:31], s[4:5]
	s_cbranch_execz .LBB922_186
; %bb.185:
	v_cmp_eq_u32_e64 s[0:1], 0, v12
	;;#ASMSTART
	;;#ASMEND
	s_waitcnt lgkmcnt(1)
	s_nop 0
	v_cndmask_b32_e64 v4, v4, v8, s[0:1]
	v_mov_b32_e32 v8, 0
	s_waitcnt lgkmcnt(0)
	v_cndmask_b32_e64 v5, v5, v9, s[0:1]
	v_cmp_eq_u16_sdwa s[0:1], v1, v8 src0_sel:BYTE_0 src1_sel:DWORD
	s_nop 1
	v_cndmask_b32_e64 v5, 0, v5, s[0:1]
	v_cndmask_b32_e64 v4, 0, v4, s[0:1]
	v_lshl_add_u64 v[2:3], v[4:5], 0, v[2:3]
	v_cndmask_b32_e32 v5, 0, v3, vcc
	v_cndmask_b32_e32 v4, 0, v2, vcc
	v_lshl_add_u64 v[50:51], v[4:5], 0, v[14:15]
	v_cndmask_b32_e64 v5, 0, v51, s[6:7]
	v_cndmask_b32_e64 v4, 0, v50, s[6:7]
	v_lshl_add_u64 v[52:53], v[4:5], 0, v[6:7]
	v_cndmask_b32_e64 v5, 0, v53, s[8:9]
	v_cndmask_b32_e64 v4, 0, v52, s[8:9]
	;; [unrolled: 3-line block ×12, first 2 shown]
	v_lshl_add_u64 v[74:75], v[4:5], 0, v[16:17]
.LBB922_186:
	s_or_b64 exec, exec, s[30:31]
	s_and_saveexec_b64 s[0:1], s[36:37]
	s_cbranch_execz .LBB922_188
; %bb.187:
	v_mov_b32_e32 v1, 0
	s_waitcnt lgkmcnt(0)
	ds_read_b64 v[4:5], v1 offset:48
	ds_read_u8 v6, v1 offset:56
	s_waitcnt lgkmcnt(1)
	global_store_dword v1, v4, s[42:43] offset:1024 sc1
	global_store_dword v1, v5, s[42:43] offset:1028 sc1
	s_waitcnt lgkmcnt(0)
	global_store_dword v1, v6, s[42:43] offset:1032 sc1
	global_store_dword v1, v1, s[42:43] offset:1036 sc1
	v_mov_b32_e32 v4, 2
	s_waitcnt vmcnt(0)
	global_store_byte v1, v4, s[44:45] offset:64 sc1
.LBB922_188:
	s_or_b64 exec, exec, s[0:1]
	v_mov_b64_e32 v[48:49], v[2:3]
.LBB922_189:
	s_add_u32 s0, s38, s56
	s_addc_u32 s1, s39, s57
	s_add_u32 s0, s0, s52
	v_mul_u32_u24_e32 v1, 14, v0
	s_addc_u32 s1, s1, s53
	s_and_b64 vcc, exec, s[2:3]
	v_lshlrev_b32_e32 v30, 3, v1
	s_cbranch_vccz .LBB922_217
; %bb.190:
	s_movk_i32 s2, 0xff98
	v_mad_i32_i24 v1, v0, s2, v30
	s_waitcnt lgkmcnt(0)
	s_barrier
	ds_write_b128 v30, v[48:51]
	ds_write_b128 v30, v[52:55] offset:16
	ds_write_b128 v30, v[56:59] offset:32
	;; [unrolled: 1-line block ×6, first 2 shown]
	s_waitcnt lgkmcnt(0)
	s_barrier
	ds_read2st64_b64 v[26:29], v1 offset0:4 offset1:8
	s_waitcnt vmcnt(0)
	ds_read2st64_b64 v[22:25], v1 offset0:12 offset1:16
	ds_read2st64_b64 v[18:21], v1 offset0:20 offset1:24
	;; [unrolled: 1-line block ×5, first 2 shown]
	ds_read_b64 v[4:5], v1 offset:26624
	s_add_i32 s33, s33, s46
	v_mov_b32_e32 v33, 0
	v_lshl_add_u64 v[2:3], s[0:1], 0, v[32:33]
	v_cmp_gt_u32_e32 vcc, s33, v0
	s_and_saveexec_b64 s[2:3], vcc
	s_cbranch_execz .LBB922_192
; %bb.191:
	v_mul_i32_i24_e32 v1, 0xffffff98, v0
	v_add_u32_e32 v1, v30, v1
	ds_read_b64 v[34:35], v1
	s_waitcnt lgkmcnt(0)
	flat_store_dwordx2 v[2:3], v[34:35]
.LBB922_192:
	s_or_b64 exec, exec, s[2:3]
	v_or_b32_e32 v1, 0x100, v0
	v_cmp_gt_u32_e32 vcc, s33, v1
	s_and_saveexec_b64 s[2:3], vcc
	s_cbranch_execz .LBB922_194
; %bb.193:
	s_waitcnt lgkmcnt(0)
	flat_store_dwordx2 v[2:3], v[26:27] offset:2048
.LBB922_194:
	s_or_b64 exec, exec, s[2:3]
	v_or_b32_e32 v1, 0x200, v0
	v_cmp_gt_u32_e32 vcc, s33, v1
	s_and_saveexec_b64 s[2:3], vcc
	s_cbranch_execz .LBB922_196
; %bb.195:
	s_waitcnt lgkmcnt(0)
	v_add_co_u32_e32 v26, vcc, 0x1000, v2
	s_nop 1
	v_addc_co_u32_e32 v27, vcc, 0, v3, vcc
	flat_store_dwordx2 v[26:27], v[28:29]
.LBB922_196:
	s_or_b64 exec, exec, s[2:3]
	v_or_b32_e32 v1, 0x300, v0
	v_cmp_gt_u32_e32 vcc, s33, v1
	s_and_saveexec_b64 s[2:3], vcc
	s_cbranch_execz .LBB922_198
; %bb.197:
	s_waitcnt lgkmcnt(0)
	v_add_co_u32_e32 v26, vcc, 0x1000, v2
	s_nop 1
	v_addc_co_u32_e32 v27, vcc, 0, v3, vcc
	flat_store_dwordx2 v[26:27], v[22:23] offset:2048
.LBB922_198:
	s_or_b64 exec, exec, s[2:3]
	v_or_b32_e32 v1, 0x400, v0
	v_cmp_gt_u32_e32 vcc, s33, v1
	s_and_saveexec_b64 s[2:3], vcc
	s_cbranch_execz .LBB922_200
; %bb.199:
	s_waitcnt lgkmcnt(0)
	v_add_co_u32_e32 v22, vcc, 0x2000, v2
	s_nop 1
	v_addc_co_u32_e32 v23, vcc, 0, v3, vcc
	flat_store_dwordx2 v[22:23], v[24:25]
.LBB922_200:
	s_or_b64 exec, exec, s[2:3]
	v_or_b32_e32 v1, 0x500, v0
	v_cmp_gt_u32_e32 vcc, s33, v1
	s_and_saveexec_b64 s[2:3], vcc
	s_cbranch_execz .LBB922_202
; %bb.201:
	s_waitcnt lgkmcnt(0)
	v_add_co_u32_e32 v22, vcc, 0x2000, v2
	s_nop 1
	v_addc_co_u32_e32 v23, vcc, 0, v3, vcc
	flat_store_dwordx2 v[22:23], v[18:19] offset:2048
.LBB922_202:
	s_or_b64 exec, exec, s[2:3]
	v_or_b32_e32 v1, 0x600, v0
	v_cmp_gt_u32_e32 vcc, s33, v1
	s_and_saveexec_b64 s[2:3], vcc
	s_cbranch_execz .LBB922_204
; %bb.203:
	s_waitcnt lgkmcnt(0)
	v_add_co_u32_e32 v18, vcc, 0x3000, v2
	s_nop 1
	v_addc_co_u32_e32 v19, vcc, 0, v3, vcc
	flat_store_dwordx2 v[18:19], v[20:21]
.LBB922_204:
	s_or_b64 exec, exec, s[2:3]
	v_or_b32_e32 v1, 0x700, v0
	v_cmp_gt_u32_e32 vcc, s33, v1
	s_and_saveexec_b64 s[2:3], vcc
	s_cbranch_execz .LBB922_206
; %bb.205:
	s_waitcnt lgkmcnt(0)
	v_add_co_u32_e32 v18, vcc, 0x3000, v2
	s_nop 1
	v_addc_co_u32_e32 v19, vcc, 0, v3, vcc
	flat_store_dwordx2 v[18:19], v[14:15] offset:2048
.LBB922_206:
	s_or_b64 exec, exec, s[2:3]
	v_or_b32_e32 v1, 0x800, v0
	v_cmp_gt_u32_e32 vcc, s33, v1
	s_and_saveexec_b64 s[2:3], vcc
	s_cbranch_execz .LBB922_208
; %bb.207:
	s_waitcnt lgkmcnt(0)
	v_add_co_u32_e32 v14, vcc, 0x4000, v2
	s_nop 1
	v_addc_co_u32_e32 v15, vcc, 0, v3, vcc
	flat_store_dwordx2 v[14:15], v[16:17]
.LBB922_208:
	s_or_b64 exec, exec, s[2:3]
	v_or_b32_e32 v1, 0x900, v0
	v_cmp_gt_u32_e32 vcc, s33, v1
	s_and_saveexec_b64 s[2:3], vcc
	s_cbranch_execz .LBB922_210
; %bb.209:
	s_waitcnt lgkmcnt(0)
	v_add_co_u32_e32 v14, vcc, 0x4000, v2
	s_nop 1
	v_addc_co_u32_e32 v15, vcc, 0, v3, vcc
	flat_store_dwordx2 v[14:15], v[10:11] offset:2048
.LBB922_210:
	s_or_b64 exec, exec, s[2:3]
	v_or_b32_e32 v1, 0xa00, v0
	v_cmp_gt_u32_e32 vcc, s33, v1
	s_and_saveexec_b64 s[2:3], vcc
	s_cbranch_execz .LBB922_212
; %bb.211:
	s_waitcnt lgkmcnt(0)
	v_add_co_u32_e32 v10, vcc, 0x5000, v2
	s_nop 1
	v_addc_co_u32_e32 v11, vcc, 0, v3, vcc
	flat_store_dwordx2 v[10:11], v[12:13]
.LBB922_212:
	s_or_b64 exec, exec, s[2:3]
	v_or_b32_e32 v1, 0xb00, v0
	v_cmp_gt_u32_e32 vcc, s33, v1
	s_and_saveexec_b64 s[2:3], vcc
	s_cbranch_execz .LBB922_214
; %bb.213:
	s_waitcnt lgkmcnt(0)
	v_add_co_u32_e32 v10, vcc, 0x5000, v2
	s_nop 1
	v_addc_co_u32_e32 v11, vcc, 0, v3, vcc
	flat_store_dwordx2 v[10:11], v[6:7] offset:2048
.LBB922_214:
	s_or_b64 exec, exec, s[2:3]
	v_or_b32_e32 v1, 0xc00, v0
	v_cmp_gt_u32_e32 vcc, s33, v1
	s_and_saveexec_b64 s[2:3], vcc
	s_cbranch_execz .LBB922_216
; %bb.215:
	v_add_co_u32_e32 v2, vcc, 0x6000, v2
	s_nop 1
	v_addc_co_u32_e32 v3, vcc, 0, v3, vcc
	s_waitcnt lgkmcnt(0)
	flat_store_dwordx2 v[2:3], v[8:9]
.LBB922_216:
	s_or_b64 exec, exec, s[2:3]
	v_or_b32_e32 v2, 0xd00, v0
	v_mov_b32_e32 v1, v33
	v_cmp_gt_u32_e64 s[2:3], s33, v2
	s_branch .LBB922_219
.LBB922_217:
	s_mov_b64 s[2:3], 0
                                        ; implicit-def: $vgpr4_vgpr5
	s_cbranch_execz .LBB922_219
; %bb.218:
	v_mov_b32_e32 v1, 0
	s_movk_i32 s4, 0xff98
	v_mad_i32_i24 v2, v0, s4, v30
	v_mov_b32_e32 v33, v1
	s_waitcnt lgkmcnt(0)
	s_barrier
	ds_write_b128 v30, v[48:51]
	ds_write_b128 v30, v[52:55] offset:16
	ds_write_b128 v30, v[56:59] offset:32
	;; [unrolled: 1-line block ×6, first 2 shown]
	s_waitcnt lgkmcnt(0)
	s_barrier
	ds_read2st64_b64 v[6:9], v2 offset1:4
	ds_read2st64_b64 v[10:13], v2 offset0:8 offset1:12
	ds_read2st64_b64 v[14:17], v2 offset0:16 offset1:20
	;; [unrolled: 1-line block ×3, first 2 shown]
	s_waitcnt vmcnt(0)
	ds_read2st64_b64 v[22:25], v2 offset0:32 offset1:36
	ds_read2st64_b64 v[26:29], v2 offset0:40 offset1:44
	;; [unrolled: 1-line block ×3, first 2 shown]
	v_lshl_add_u64 v[30:31], s[0:1], 0, v[32:33]
	s_movk_i32 s4, 0x1000
	s_waitcnt lgkmcnt(6)
	flat_store_dwordx2 v[30:31], v[6:7]
	flat_store_dwordx2 v[30:31], v[8:9] offset:2048
	v_add_co_u32_e32 v6, vcc, s4, v30
	s_movk_i32 s4, 0x2000
	s_nop 0
	v_addc_co_u32_e32 v7, vcc, 0, v31, vcc
	s_waitcnt lgkmcnt(0)
	flat_store_dwordx2 v[6:7], v[10:11]
	flat_store_dwordx2 v[6:7], v[12:13] offset:2048
	v_add_co_u32_e32 v6, vcc, s4, v30
	s_movk_i32 s4, 0x3000
	s_nop 0
	v_addc_co_u32_e32 v7, vcc, 0, v31, vcc
	flat_store_dwordx2 v[6:7], v[14:15]
	flat_store_dwordx2 v[6:7], v[16:17] offset:2048
	v_add_co_u32_e32 v6, vcc, s4, v30
	s_movk_i32 s4, 0x4000
	s_nop 0
	v_addc_co_u32_e32 v7, vcc, 0, v31, vcc
	flat_store_dwordx2 v[6:7], v[18:19]
	flat_store_dwordx2 v[6:7], v[20:21] offset:2048
	v_add_co_u32_e32 v6, vcc, s4, v30
	s_or_b64 s[2:3], s[2:3], exec
	s_nop 0
	v_addc_co_u32_e32 v7, vcc, 0, v31, vcc
	flat_store_dwordx2 v[6:7], v[22:23]
	flat_store_dwordx2 v[6:7], v[24:25] offset:2048
	v_add_co_u32_e32 v6, vcc, 0x5000, v30
	s_nop 1
	v_addc_co_u32_e32 v7, vcc, 0, v31, vcc
	flat_store_dwordx2 v[6:7], v[26:27]
	flat_store_dwordx2 v[6:7], v[28:29] offset:2048
	v_add_co_u32_e32 v6, vcc, 0x6000, v30
	s_nop 1
	v_addc_co_u32_e32 v7, vcc, 0, v31, vcc
	flat_store_dwordx2 v[6:7], v[2:3]
.LBB922_219:
	s_and_saveexec_b64 s[4:5], s[2:3]
	s_cbranch_execnz .LBB922_221
; %bb.220:
	s_endpgm
.LBB922_221:
	v_lshl_add_u64 v[0:1], v[0:1], 3, s[0:1]
	v_add_co_u32_e32 v0, vcc, 0x6000, v0
	s_nop 1
	v_addc_co_u32_e32 v1, vcc, 0, v1, vcc
	s_waitcnt lgkmcnt(0)
	flat_store_dwordx2 v[0:1], v[4:5] offset:2048
	s_endpgm
.LBB922_222:
	global_load_dwordx2 v[28:29], v1, s[60:61]
	s_waitcnt vmcnt(0)
	v_sub_co_u32_e32 v28, vcc, 0, v28
	s_nop 1
	v_subb_co_u32_e32 v29, vcc, 0, v29, vcc
	s_or_b64 exec, exec, s[0:1]
                                        ; implicit-def: $vgpr30_vgpr31
	s_and_saveexec_b64 s[0:1], s[8:9]
	s_cbranch_execz .LBB922_41
.LBB922_223:
	global_load_dwordx2 v[30:31], v1, s[60:61] offset:2048
	s_waitcnt vmcnt(0)
	v_sub_co_u32_e32 v30, vcc, 0, v30
	s_nop 1
	v_subb_co_u32_e32 v31, vcc, 0, v31, vcc
	s_or_b64 exec, exec, s[0:1]
                                        ; implicit-def: $vgpr32_vgpr33
	s_and_saveexec_b64 s[0:1], s[10:11]
	s_cbranch_execz .LBB922_42
.LBB922_224:
	global_load_dwordx2 v[2:3], v2, s[60:61]
	s_waitcnt vmcnt(0)
	v_sub_co_u32_e32 v32, vcc, 0, v2
	s_nop 1
	v_subb_co_u32_e32 v33, vcc, 0, v3, vcc
	s_or_b64 exec, exec, s[0:1]
                                        ; implicit-def: $vgpr2_vgpr3
	s_and_saveexec_b64 s[0:1], s[12:13]
	s_cbranch_execz .LBB922_43
.LBB922_225:
	global_load_dwordx2 v[2:3], v4, s[60:61]
	s_waitcnt vmcnt(0)
	v_sub_co_u32_e32 v2, vcc, 0, v2
	s_nop 1
	v_subb_co_u32_e32 v3, vcc, 0, v3, vcc
	s_or_b64 exec, exec, s[0:1]
                                        ; implicit-def: $vgpr4_vgpr5
	s_and_saveexec_b64 s[0:1], s[14:15]
	s_cbranch_execz .LBB922_44
.LBB922_226:
	global_load_dwordx2 v[4:5], v6, s[60:61]
	s_waitcnt vmcnt(0)
	v_sub_co_u32_e32 v4, vcc, 0, v4
	s_nop 1
	v_subb_co_u32_e32 v5, vcc, 0, v5, vcc
	s_or_b64 exec, exec, s[0:1]
                                        ; implicit-def: $vgpr6_vgpr7
	s_and_saveexec_b64 s[0:1], s[16:17]
	s_cbranch_execz .LBB922_45
.LBB922_227:
	global_load_dwordx2 v[6:7], v8, s[60:61]
	s_waitcnt vmcnt(0)
	v_sub_co_u32_e32 v6, vcc, 0, v6
	s_nop 1
	v_subb_co_u32_e32 v7, vcc, 0, v7, vcc
	s_or_b64 exec, exec, s[0:1]
                                        ; implicit-def: $vgpr8_vgpr9
	s_and_saveexec_b64 s[0:1], s[18:19]
	s_cbranch_execz .LBB922_46
.LBB922_228:
	global_load_dwordx2 v[8:9], v10, s[60:61]
	s_waitcnt vmcnt(0)
	v_sub_co_u32_e32 v8, vcc, 0, v8
	s_nop 1
	v_subb_co_u32_e32 v9, vcc, 0, v9, vcc
	s_or_b64 exec, exec, s[0:1]
                                        ; implicit-def: $vgpr10_vgpr11
	s_and_saveexec_b64 s[0:1], s[20:21]
	s_cbranch_execz .LBB922_47
.LBB922_229:
	global_load_dwordx2 v[10:11], v12, s[60:61]
	s_waitcnt vmcnt(0)
	v_sub_co_u32_e32 v10, vcc, 0, v10
	s_nop 1
	v_subb_co_u32_e32 v11, vcc, 0, v11, vcc
	s_or_b64 exec, exec, s[0:1]
                                        ; implicit-def: $vgpr12_vgpr13
	s_and_saveexec_b64 s[0:1], s[22:23]
	s_cbranch_execz .LBB922_48
.LBB922_230:
	global_load_dwordx2 v[12:13], v14, s[60:61]
	s_waitcnt vmcnt(0)
	v_sub_co_u32_e32 v12, vcc, 0, v12
	s_nop 1
	v_subb_co_u32_e32 v13, vcc, 0, v13, vcc
	s_or_b64 exec, exec, s[0:1]
                                        ; implicit-def: $vgpr14_vgpr15
	s_and_saveexec_b64 s[0:1], s[24:25]
	s_cbranch_execz .LBB922_49
.LBB922_231:
	global_load_dwordx2 v[14:15], v16, s[60:61]
	s_waitcnt vmcnt(0)
	v_sub_co_u32_e32 v14, vcc, 0, v14
	s_nop 1
	v_subb_co_u32_e32 v15, vcc, 0, v15, vcc
	s_or_b64 exec, exec, s[0:1]
                                        ; implicit-def: $vgpr16_vgpr17
	s_and_saveexec_b64 s[0:1], s[26:27]
	s_cbranch_execz .LBB922_50
.LBB922_232:
	global_load_dwordx2 v[16:17], v18, s[60:61]
	s_waitcnt vmcnt(0)
	v_sub_co_u32_e32 v16, vcc, 0, v16
	s_nop 1
	v_subb_co_u32_e32 v17, vcc, 0, v17, vcc
	s_or_b64 exec, exec, s[0:1]
                                        ; implicit-def: $vgpr18_vgpr19
	s_and_saveexec_b64 s[0:1], s[28:29]
	s_cbranch_execz .LBB922_51
.LBB922_233:
	global_load_dwordx2 v[18:19], v20, s[60:61]
	s_waitcnt vmcnt(0)
	v_sub_co_u32_e32 v18, vcc, 0, v18
	s_nop 1
	v_subb_co_u32_e32 v19, vcc, 0, v19, vcc
	s_or_b64 exec, exec, s[0:1]
                                        ; implicit-def: $vgpr20_vgpr21
	s_and_saveexec_b64 s[0:1], s[30:31]
	s_cbranch_execz .LBB922_52
.LBB922_234:
	global_load_dwordx2 v[20:21], v22, s[60:61]
	s_waitcnt vmcnt(0)
	v_sub_co_u32_e32 v20, vcc, 0, v20
	s_nop 1
	v_subb_co_u32_e32 v21, vcc, 0, v21, vcc
	s_or_b64 exec, exec, s[0:1]
                                        ; implicit-def: $vgpr22_vgpr23
	s_and_saveexec_b64 s[0:1], s[34:35]
	s_cbranch_execnz .LBB922_53
	s_branch .LBB922_54
.LBB922_235:
                                        ; implicit-def: $sgpr0_sgpr1
	s_branch .LBB922_36
.LBB922_236:
                                        ; implicit-def: $sgpr0_sgpr1
	s_branch .LBB922_85
	.section	.rodata,"a",@progbits
	.p2align	6, 0x0
	.amdhsa_kernel _ZN7rocprim17ROCPRIM_400000_NS6detail17trampoline_kernelINS0_14default_configENS1_27scan_by_key_config_selectorIxxEEZZNS1_16scan_by_key_implILNS1_25lookback_scan_determinismE0ELb0ES3_N6thrust23THRUST_200600_302600_NS6detail15normal_iteratorINS9_10device_ptrIxEEEENS9_18transform_iteratorINS9_6negateIxEESE_NS9_11use_defaultESI_EESE_xNS9_4plusIvEENS9_8equal_toIvEExEE10hipError_tPvRmT2_T3_T4_T5_mT6_T7_P12ihipStream_tbENKUlT_T0_E_clISt17integral_constantIbLb0EES13_IbLb1EEEEDaSZ_S10_EUlSZ_E_NS1_11comp_targetILNS1_3genE5ELNS1_11target_archE942ELNS1_3gpuE9ELNS1_3repE0EEENS1_30default_config_static_selectorELNS0_4arch9wavefront6targetE1EEEvT1_
		.amdhsa_group_segment_fixed_size 32768
		.amdhsa_private_segment_fixed_size 0
		.amdhsa_kernarg_size 144
		.amdhsa_user_sgpr_count 2
		.amdhsa_user_sgpr_dispatch_ptr 0
		.amdhsa_user_sgpr_queue_ptr 0
		.amdhsa_user_sgpr_kernarg_segment_ptr 1
		.amdhsa_user_sgpr_dispatch_id 0
		.amdhsa_user_sgpr_kernarg_preload_length 0
		.amdhsa_user_sgpr_kernarg_preload_offset 0
		.amdhsa_user_sgpr_private_segment_size 0
		.amdhsa_uses_dynamic_stack 0
		.amdhsa_enable_private_segment 0
		.amdhsa_system_sgpr_workgroup_id_x 1
		.amdhsa_system_sgpr_workgroup_id_y 0
		.amdhsa_system_sgpr_workgroup_id_z 0
		.amdhsa_system_sgpr_workgroup_info 0
		.amdhsa_system_vgpr_workitem_id 0
		.amdhsa_next_free_vgpr 92
		.amdhsa_next_free_sgpr 70
		.amdhsa_accum_offset 92
		.amdhsa_reserve_vcc 1
		.amdhsa_float_round_mode_32 0
		.amdhsa_float_round_mode_16_64 0
		.amdhsa_float_denorm_mode_32 3
		.amdhsa_float_denorm_mode_16_64 3
		.amdhsa_dx10_clamp 1
		.amdhsa_ieee_mode 1
		.amdhsa_fp16_overflow 0
		.amdhsa_tg_split 0
		.amdhsa_exception_fp_ieee_invalid_op 0
		.amdhsa_exception_fp_denorm_src 0
		.amdhsa_exception_fp_ieee_div_zero 0
		.amdhsa_exception_fp_ieee_overflow 0
		.amdhsa_exception_fp_ieee_underflow 0
		.amdhsa_exception_fp_ieee_inexact 0
		.amdhsa_exception_int_div_zero 0
	.end_amdhsa_kernel
	.section	.text._ZN7rocprim17ROCPRIM_400000_NS6detail17trampoline_kernelINS0_14default_configENS1_27scan_by_key_config_selectorIxxEEZZNS1_16scan_by_key_implILNS1_25lookback_scan_determinismE0ELb0ES3_N6thrust23THRUST_200600_302600_NS6detail15normal_iteratorINS9_10device_ptrIxEEEENS9_18transform_iteratorINS9_6negateIxEESE_NS9_11use_defaultESI_EESE_xNS9_4plusIvEENS9_8equal_toIvEExEE10hipError_tPvRmT2_T3_T4_T5_mT6_T7_P12ihipStream_tbENKUlT_T0_E_clISt17integral_constantIbLb0EES13_IbLb1EEEEDaSZ_S10_EUlSZ_E_NS1_11comp_targetILNS1_3genE5ELNS1_11target_archE942ELNS1_3gpuE9ELNS1_3repE0EEENS1_30default_config_static_selectorELNS0_4arch9wavefront6targetE1EEEvT1_,"axG",@progbits,_ZN7rocprim17ROCPRIM_400000_NS6detail17trampoline_kernelINS0_14default_configENS1_27scan_by_key_config_selectorIxxEEZZNS1_16scan_by_key_implILNS1_25lookback_scan_determinismE0ELb0ES3_N6thrust23THRUST_200600_302600_NS6detail15normal_iteratorINS9_10device_ptrIxEEEENS9_18transform_iteratorINS9_6negateIxEESE_NS9_11use_defaultESI_EESE_xNS9_4plusIvEENS9_8equal_toIvEExEE10hipError_tPvRmT2_T3_T4_T5_mT6_T7_P12ihipStream_tbENKUlT_T0_E_clISt17integral_constantIbLb0EES13_IbLb1EEEEDaSZ_S10_EUlSZ_E_NS1_11comp_targetILNS1_3genE5ELNS1_11target_archE942ELNS1_3gpuE9ELNS1_3repE0EEENS1_30default_config_static_selectorELNS0_4arch9wavefront6targetE1EEEvT1_,comdat
.Lfunc_end922:
	.size	_ZN7rocprim17ROCPRIM_400000_NS6detail17trampoline_kernelINS0_14default_configENS1_27scan_by_key_config_selectorIxxEEZZNS1_16scan_by_key_implILNS1_25lookback_scan_determinismE0ELb0ES3_N6thrust23THRUST_200600_302600_NS6detail15normal_iteratorINS9_10device_ptrIxEEEENS9_18transform_iteratorINS9_6negateIxEESE_NS9_11use_defaultESI_EESE_xNS9_4plusIvEENS9_8equal_toIvEExEE10hipError_tPvRmT2_T3_T4_T5_mT6_T7_P12ihipStream_tbENKUlT_T0_E_clISt17integral_constantIbLb0EES13_IbLb1EEEEDaSZ_S10_EUlSZ_E_NS1_11comp_targetILNS1_3genE5ELNS1_11target_archE942ELNS1_3gpuE9ELNS1_3repE0EEENS1_30default_config_static_selectorELNS0_4arch9wavefront6targetE1EEEvT1_, .Lfunc_end922-_ZN7rocprim17ROCPRIM_400000_NS6detail17trampoline_kernelINS0_14default_configENS1_27scan_by_key_config_selectorIxxEEZZNS1_16scan_by_key_implILNS1_25lookback_scan_determinismE0ELb0ES3_N6thrust23THRUST_200600_302600_NS6detail15normal_iteratorINS9_10device_ptrIxEEEENS9_18transform_iteratorINS9_6negateIxEESE_NS9_11use_defaultESI_EESE_xNS9_4plusIvEENS9_8equal_toIvEExEE10hipError_tPvRmT2_T3_T4_T5_mT6_T7_P12ihipStream_tbENKUlT_T0_E_clISt17integral_constantIbLb0EES13_IbLb1EEEEDaSZ_S10_EUlSZ_E_NS1_11comp_targetILNS1_3genE5ELNS1_11target_archE942ELNS1_3gpuE9ELNS1_3repE0EEENS1_30default_config_static_selectorELNS0_4arch9wavefront6targetE1EEEvT1_
                                        ; -- End function
	.section	.AMDGPU.csdata,"",@progbits
; Kernel info:
; codeLenInByte = 12704
; NumSgprs: 76
; NumVgprs: 92
; NumAgprs: 0
; TotalNumVgprs: 92
; ScratchSize: 0
; MemoryBound: 0
; FloatMode: 240
; IeeeMode: 1
; LDSByteSize: 32768 bytes/workgroup (compile time only)
; SGPRBlocks: 9
; VGPRBlocks: 11
; NumSGPRsForWavesPerEU: 76
; NumVGPRsForWavesPerEU: 92
; AccumOffset: 92
; Occupancy: 2
; WaveLimiterHint : 1
; COMPUTE_PGM_RSRC2:SCRATCH_EN: 0
; COMPUTE_PGM_RSRC2:USER_SGPR: 2
; COMPUTE_PGM_RSRC2:TRAP_HANDLER: 0
; COMPUTE_PGM_RSRC2:TGID_X_EN: 1
; COMPUTE_PGM_RSRC2:TGID_Y_EN: 0
; COMPUTE_PGM_RSRC2:TGID_Z_EN: 0
; COMPUTE_PGM_RSRC2:TIDIG_COMP_CNT: 0
; COMPUTE_PGM_RSRC3_GFX90A:ACCUM_OFFSET: 22
; COMPUTE_PGM_RSRC3_GFX90A:TG_SPLIT: 0
	.section	.text._ZN7rocprim17ROCPRIM_400000_NS6detail17trampoline_kernelINS0_14default_configENS1_27scan_by_key_config_selectorIxxEEZZNS1_16scan_by_key_implILNS1_25lookback_scan_determinismE0ELb0ES3_N6thrust23THRUST_200600_302600_NS6detail15normal_iteratorINS9_10device_ptrIxEEEENS9_18transform_iteratorINS9_6negateIxEESE_NS9_11use_defaultESI_EESE_xNS9_4plusIvEENS9_8equal_toIvEExEE10hipError_tPvRmT2_T3_T4_T5_mT6_T7_P12ihipStream_tbENKUlT_T0_E_clISt17integral_constantIbLb0EES13_IbLb1EEEEDaSZ_S10_EUlSZ_E_NS1_11comp_targetILNS1_3genE4ELNS1_11target_archE910ELNS1_3gpuE8ELNS1_3repE0EEENS1_30default_config_static_selectorELNS0_4arch9wavefront6targetE1EEEvT1_,"axG",@progbits,_ZN7rocprim17ROCPRIM_400000_NS6detail17trampoline_kernelINS0_14default_configENS1_27scan_by_key_config_selectorIxxEEZZNS1_16scan_by_key_implILNS1_25lookback_scan_determinismE0ELb0ES3_N6thrust23THRUST_200600_302600_NS6detail15normal_iteratorINS9_10device_ptrIxEEEENS9_18transform_iteratorINS9_6negateIxEESE_NS9_11use_defaultESI_EESE_xNS9_4plusIvEENS9_8equal_toIvEExEE10hipError_tPvRmT2_T3_T4_T5_mT6_T7_P12ihipStream_tbENKUlT_T0_E_clISt17integral_constantIbLb0EES13_IbLb1EEEEDaSZ_S10_EUlSZ_E_NS1_11comp_targetILNS1_3genE4ELNS1_11target_archE910ELNS1_3gpuE8ELNS1_3repE0EEENS1_30default_config_static_selectorELNS0_4arch9wavefront6targetE1EEEvT1_,comdat
	.protected	_ZN7rocprim17ROCPRIM_400000_NS6detail17trampoline_kernelINS0_14default_configENS1_27scan_by_key_config_selectorIxxEEZZNS1_16scan_by_key_implILNS1_25lookback_scan_determinismE0ELb0ES3_N6thrust23THRUST_200600_302600_NS6detail15normal_iteratorINS9_10device_ptrIxEEEENS9_18transform_iteratorINS9_6negateIxEESE_NS9_11use_defaultESI_EESE_xNS9_4plusIvEENS9_8equal_toIvEExEE10hipError_tPvRmT2_T3_T4_T5_mT6_T7_P12ihipStream_tbENKUlT_T0_E_clISt17integral_constantIbLb0EES13_IbLb1EEEEDaSZ_S10_EUlSZ_E_NS1_11comp_targetILNS1_3genE4ELNS1_11target_archE910ELNS1_3gpuE8ELNS1_3repE0EEENS1_30default_config_static_selectorELNS0_4arch9wavefront6targetE1EEEvT1_ ; -- Begin function _ZN7rocprim17ROCPRIM_400000_NS6detail17trampoline_kernelINS0_14default_configENS1_27scan_by_key_config_selectorIxxEEZZNS1_16scan_by_key_implILNS1_25lookback_scan_determinismE0ELb0ES3_N6thrust23THRUST_200600_302600_NS6detail15normal_iteratorINS9_10device_ptrIxEEEENS9_18transform_iteratorINS9_6negateIxEESE_NS9_11use_defaultESI_EESE_xNS9_4plusIvEENS9_8equal_toIvEExEE10hipError_tPvRmT2_T3_T4_T5_mT6_T7_P12ihipStream_tbENKUlT_T0_E_clISt17integral_constantIbLb0EES13_IbLb1EEEEDaSZ_S10_EUlSZ_E_NS1_11comp_targetILNS1_3genE4ELNS1_11target_archE910ELNS1_3gpuE8ELNS1_3repE0EEENS1_30default_config_static_selectorELNS0_4arch9wavefront6targetE1EEEvT1_
	.globl	_ZN7rocprim17ROCPRIM_400000_NS6detail17trampoline_kernelINS0_14default_configENS1_27scan_by_key_config_selectorIxxEEZZNS1_16scan_by_key_implILNS1_25lookback_scan_determinismE0ELb0ES3_N6thrust23THRUST_200600_302600_NS6detail15normal_iteratorINS9_10device_ptrIxEEEENS9_18transform_iteratorINS9_6negateIxEESE_NS9_11use_defaultESI_EESE_xNS9_4plusIvEENS9_8equal_toIvEExEE10hipError_tPvRmT2_T3_T4_T5_mT6_T7_P12ihipStream_tbENKUlT_T0_E_clISt17integral_constantIbLb0EES13_IbLb1EEEEDaSZ_S10_EUlSZ_E_NS1_11comp_targetILNS1_3genE4ELNS1_11target_archE910ELNS1_3gpuE8ELNS1_3repE0EEENS1_30default_config_static_selectorELNS0_4arch9wavefront6targetE1EEEvT1_
	.p2align	8
	.type	_ZN7rocprim17ROCPRIM_400000_NS6detail17trampoline_kernelINS0_14default_configENS1_27scan_by_key_config_selectorIxxEEZZNS1_16scan_by_key_implILNS1_25lookback_scan_determinismE0ELb0ES3_N6thrust23THRUST_200600_302600_NS6detail15normal_iteratorINS9_10device_ptrIxEEEENS9_18transform_iteratorINS9_6negateIxEESE_NS9_11use_defaultESI_EESE_xNS9_4plusIvEENS9_8equal_toIvEExEE10hipError_tPvRmT2_T3_T4_T5_mT6_T7_P12ihipStream_tbENKUlT_T0_E_clISt17integral_constantIbLb0EES13_IbLb1EEEEDaSZ_S10_EUlSZ_E_NS1_11comp_targetILNS1_3genE4ELNS1_11target_archE910ELNS1_3gpuE8ELNS1_3repE0EEENS1_30default_config_static_selectorELNS0_4arch9wavefront6targetE1EEEvT1_,@function
_ZN7rocprim17ROCPRIM_400000_NS6detail17trampoline_kernelINS0_14default_configENS1_27scan_by_key_config_selectorIxxEEZZNS1_16scan_by_key_implILNS1_25lookback_scan_determinismE0ELb0ES3_N6thrust23THRUST_200600_302600_NS6detail15normal_iteratorINS9_10device_ptrIxEEEENS9_18transform_iteratorINS9_6negateIxEESE_NS9_11use_defaultESI_EESE_xNS9_4plusIvEENS9_8equal_toIvEExEE10hipError_tPvRmT2_T3_T4_T5_mT6_T7_P12ihipStream_tbENKUlT_T0_E_clISt17integral_constantIbLb0EES13_IbLb1EEEEDaSZ_S10_EUlSZ_E_NS1_11comp_targetILNS1_3genE4ELNS1_11target_archE910ELNS1_3gpuE8ELNS1_3repE0EEENS1_30default_config_static_selectorELNS0_4arch9wavefront6targetE1EEEvT1_: ; @_ZN7rocprim17ROCPRIM_400000_NS6detail17trampoline_kernelINS0_14default_configENS1_27scan_by_key_config_selectorIxxEEZZNS1_16scan_by_key_implILNS1_25lookback_scan_determinismE0ELb0ES3_N6thrust23THRUST_200600_302600_NS6detail15normal_iteratorINS9_10device_ptrIxEEEENS9_18transform_iteratorINS9_6negateIxEESE_NS9_11use_defaultESI_EESE_xNS9_4plusIvEENS9_8equal_toIvEExEE10hipError_tPvRmT2_T3_T4_T5_mT6_T7_P12ihipStream_tbENKUlT_T0_E_clISt17integral_constantIbLb0EES13_IbLb1EEEEDaSZ_S10_EUlSZ_E_NS1_11comp_targetILNS1_3genE4ELNS1_11target_archE910ELNS1_3gpuE8ELNS1_3repE0EEENS1_30default_config_static_selectorELNS0_4arch9wavefront6targetE1EEEvT1_
; %bb.0:
	.section	.rodata,"a",@progbits
	.p2align	6, 0x0
	.amdhsa_kernel _ZN7rocprim17ROCPRIM_400000_NS6detail17trampoline_kernelINS0_14default_configENS1_27scan_by_key_config_selectorIxxEEZZNS1_16scan_by_key_implILNS1_25lookback_scan_determinismE0ELb0ES3_N6thrust23THRUST_200600_302600_NS6detail15normal_iteratorINS9_10device_ptrIxEEEENS9_18transform_iteratorINS9_6negateIxEESE_NS9_11use_defaultESI_EESE_xNS9_4plusIvEENS9_8equal_toIvEExEE10hipError_tPvRmT2_T3_T4_T5_mT6_T7_P12ihipStream_tbENKUlT_T0_E_clISt17integral_constantIbLb0EES13_IbLb1EEEEDaSZ_S10_EUlSZ_E_NS1_11comp_targetILNS1_3genE4ELNS1_11target_archE910ELNS1_3gpuE8ELNS1_3repE0EEENS1_30default_config_static_selectorELNS0_4arch9wavefront6targetE1EEEvT1_
		.amdhsa_group_segment_fixed_size 0
		.amdhsa_private_segment_fixed_size 0
		.amdhsa_kernarg_size 144
		.amdhsa_user_sgpr_count 2
		.amdhsa_user_sgpr_dispatch_ptr 0
		.amdhsa_user_sgpr_queue_ptr 0
		.amdhsa_user_sgpr_kernarg_segment_ptr 1
		.amdhsa_user_sgpr_dispatch_id 0
		.amdhsa_user_sgpr_kernarg_preload_length 0
		.amdhsa_user_sgpr_kernarg_preload_offset 0
		.amdhsa_user_sgpr_private_segment_size 0
		.amdhsa_uses_dynamic_stack 0
		.amdhsa_enable_private_segment 0
		.amdhsa_system_sgpr_workgroup_id_x 1
		.amdhsa_system_sgpr_workgroup_id_y 0
		.amdhsa_system_sgpr_workgroup_id_z 0
		.amdhsa_system_sgpr_workgroup_info 0
		.amdhsa_system_vgpr_workitem_id 0
		.amdhsa_next_free_vgpr 1
		.amdhsa_next_free_sgpr 0
		.amdhsa_accum_offset 4
		.amdhsa_reserve_vcc 0
		.amdhsa_float_round_mode_32 0
		.amdhsa_float_round_mode_16_64 0
		.amdhsa_float_denorm_mode_32 3
		.amdhsa_float_denorm_mode_16_64 3
		.amdhsa_dx10_clamp 1
		.amdhsa_ieee_mode 1
		.amdhsa_fp16_overflow 0
		.amdhsa_tg_split 0
		.amdhsa_exception_fp_ieee_invalid_op 0
		.amdhsa_exception_fp_denorm_src 0
		.amdhsa_exception_fp_ieee_div_zero 0
		.amdhsa_exception_fp_ieee_overflow 0
		.amdhsa_exception_fp_ieee_underflow 0
		.amdhsa_exception_fp_ieee_inexact 0
		.amdhsa_exception_int_div_zero 0
	.end_amdhsa_kernel
	.section	.text._ZN7rocprim17ROCPRIM_400000_NS6detail17trampoline_kernelINS0_14default_configENS1_27scan_by_key_config_selectorIxxEEZZNS1_16scan_by_key_implILNS1_25lookback_scan_determinismE0ELb0ES3_N6thrust23THRUST_200600_302600_NS6detail15normal_iteratorINS9_10device_ptrIxEEEENS9_18transform_iteratorINS9_6negateIxEESE_NS9_11use_defaultESI_EESE_xNS9_4plusIvEENS9_8equal_toIvEExEE10hipError_tPvRmT2_T3_T4_T5_mT6_T7_P12ihipStream_tbENKUlT_T0_E_clISt17integral_constantIbLb0EES13_IbLb1EEEEDaSZ_S10_EUlSZ_E_NS1_11comp_targetILNS1_3genE4ELNS1_11target_archE910ELNS1_3gpuE8ELNS1_3repE0EEENS1_30default_config_static_selectorELNS0_4arch9wavefront6targetE1EEEvT1_,"axG",@progbits,_ZN7rocprim17ROCPRIM_400000_NS6detail17trampoline_kernelINS0_14default_configENS1_27scan_by_key_config_selectorIxxEEZZNS1_16scan_by_key_implILNS1_25lookback_scan_determinismE0ELb0ES3_N6thrust23THRUST_200600_302600_NS6detail15normal_iteratorINS9_10device_ptrIxEEEENS9_18transform_iteratorINS9_6negateIxEESE_NS9_11use_defaultESI_EESE_xNS9_4plusIvEENS9_8equal_toIvEExEE10hipError_tPvRmT2_T3_T4_T5_mT6_T7_P12ihipStream_tbENKUlT_T0_E_clISt17integral_constantIbLb0EES13_IbLb1EEEEDaSZ_S10_EUlSZ_E_NS1_11comp_targetILNS1_3genE4ELNS1_11target_archE910ELNS1_3gpuE8ELNS1_3repE0EEENS1_30default_config_static_selectorELNS0_4arch9wavefront6targetE1EEEvT1_,comdat
.Lfunc_end923:
	.size	_ZN7rocprim17ROCPRIM_400000_NS6detail17trampoline_kernelINS0_14default_configENS1_27scan_by_key_config_selectorIxxEEZZNS1_16scan_by_key_implILNS1_25lookback_scan_determinismE0ELb0ES3_N6thrust23THRUST_200600_302600_NS6detail15normal_iteratorINS9_10device_ptrIxEEEENS9_18transform_iteratorINS9_6negateIxEESE_NS9_11use_defaultESI_EESE_xNS9_4plusIvEENS9_8equal_toIvEExEE10hipError_tPvRmT2_T3_T4_T5_mT6_T7_P12ihipStream_tbENKUlT_T0_E_clISt17integral_constantIbLb0EES13_IbLb1EEEEDaSZ_S10_EUlSZ_E_NS1_11comp_targetILNS1_3genE4ELNS1_11target_archE910ELNS1_3gpuE8ELNS1_3repE0EEENS1_30default_config_static_selectorELNS0_4arch9wavefront6targetE1EEEvT1_, .Lfunc_end923-_ZN7rocprim17ROCPRIM_400000_NS6detail17trampoline_kernelINS0_14default_configENS1_27scan_by_key_config_selectorIxxEEZZNS1_16scan_by_key_implILNS1_25lookback_scan_determinismE0ELb0ES3_N6thrust23THRUST_200600_302600_NS6detail15normal_iteratorINS9_10device_ptrIxEEEENS9_18transform_iteratorINS9_6negateIxEESE_NS9_11use_defaultESI_EESE_xNS9_4plusIvEENS9_8equal_toIvEExEE10hipError_tPvRmT2_T3_T4_T5_mT6_T7_P12ihipStream_tbENKUlT_T0_E_clISt17integral_constantIbLb0EES13_IbLb1EEEEDaSZ_S10_EUlSZ_E_NS1_11comp_targetILNS1_3genE4ELNS1_11target_archE910ELNS1_3gpuE8ELNS1_3repE0EEENS1_30default_config_static_selectorELNS0_4arch9wavefront6targetE1EEEvT1_
                                        ; -- End function
	.section	.AMDGPU.csdata,"",@progbits
; Kernel info:
; codeLenInByte = 0
; NumSgprs: 6
; NumVgprs: 0
; NumAgprs: 0
; TotalNumVgprs: 0
; ScratchSize: 0
; MemoryBound: 0
; FloatMode: 240
; IeeeMode: 1
; LDSByteSize: 0 bytes/workgroup (compile time only)
; SGPRBlocks: 0
; VGPRBlocks: 0
; NumSGPRsForWavesPerEU: 6
; NumVGPRsForWavesPerEU: 1
; AccumOffset: 4
; Occupancy: 8
; WaveLimiterHint : 0
; COMPUTE_PGM_RSRC2:SCRATCH_EN: 0
; COMPUTE_PGM_RSRC2:USER_SGPR: 2
; COMPUTE_PGM_RSRC2:TRAP_HANDLER: 0
; COMPUTE_PGM_RSRC2:TGID_X_EN: 1
; COMPUTE_PGM_RSRC2:TGID_Y_EN: 0
; COMPUTE_PGM_RSRC2:TGID_Z_EN: 0
; COMPUTE_PGM_RSRC2:TIDIG_COMP_CNT: 0
; COMPUTE_PGM_RSRC3_GFX90A:ACCUM_OFFSET: 0
; COMPUTE_PGM_RSRC3_GFX90A:TG_SPLIT: 0
	.section	.text._ZN7rocprim17ROCPRIM_400000_NS6detail17trampoline_kernelINS0_14default_configENS1_27scan_by_key_config_selectorIxxEEZZNS1_16scan_by_key_implILNS1_25lookback_scan_determinismE0ELb0ES3_N6thrust23THRUST_200600_302600_NS6detail15normal_iteratorINS9_10device_ptrIxEEEENS9_18transform_iteratorINS9_6negateIxEESE_NS9_11use_defaultESI_EESE_xNS9_4plusIvEENS9_8equal_toIvEExEE10hipError_tPvRmT2_T3_T4_T5_mT6_T7_P12ihipStream_tbENKUlT_T0_E_clISt17integral_constantIbLb0EES13_IbLb1EEEEDaSZ_S10_EUlSZ_E_NS1_11comp_targetILNS1_3genE3ELNS1_11target_archE908ELNS1_3gpuE7ELNS1_3repE0EEENS1_30default_config_static_selectorELNS0_4arch9wavefront6targetE1EEEvT1_,"axG",@progbits,_ZN7rocprim17ROCPRIM_400000_NS6detail17trampoline_kernelINS0_14default_configENS1_27scan_by_key_config_selectorIxxEEZZNS1_16scan_by_key_implILNS1_25lookback_scan_determinismE0ELb0ES3_N6thrust23THRUST_200600_302600_NS6detail15normal_iteratorINS9_10device_ptrIxEEEENS9_18transform_iteratorINS9_6negateIxEESE_NS9_11use_defaultESI_EESE_xNS9_4plusIvEENS9_8equal_toIvEExEE10hipError_tPvRmT2_T3_T4_T5_mT6_T7_P12ihipStream_tbENKUlT_T0_E_clISt17integral_constantIbLb0EES13_IbLb1EEEEDaSZ_S10_EUlSZ_E_NS1_11comp_targetILNS1_3genE3ELNS1_11target_archE908ELNS1_3gpuE7ELNS1_3repE0EEENS1_30default_config_static_selectorELNS0_4arch9wavefront6targetE1EEEvT1_,comdat
	.protected	_ZN7rocprim17ROCPRIM_400000_NS6detail17trampoline_kernelINS0_14default_configENS1_27scan_by_key_config_selectorIxxEEZZNS1_16scan_by_key_implILNS1_25lookback_scan_determinismE0ELb0ES3_N6thrust23THRUST_200600_302600_NS6detail15normal_iteratorINS9_10device_ptrIxEEEENS9_18transform_iteratorINS9_6negateIxEESE_NS9_11use_defaultESI_EESE_xNS9_4plusIvEENS9_8equal_toIvEExEE10hipError_tPvRmT2_T3_T4_T5_mT6_T7_P12ihipStream_tbENKUlT_T0_E_clISt17integral_constantIbLb0EES13_IbLb1EEEEDaSZ_S10_EUlSZ_E_NS1_11comp_targetILNS1_3genE3ELNS1_11target_archE908ELNS1_3gpuE7ELNS1_3repE0EEENS1_30default_config_static_selectorELNS0_4arch9wavefront6targetE1EEEvT1_ ; -- Begin function _ZN7rocprim17ROCPRIM_400000_NS6detail17trampoline_kernelINS0_14default_configENS1_27scan_by_key_config_selectorIxxEEZZNS1_16scan_by_key_implILNS1_25lookback_scan_determinismE0ELb0ES3_N6thrust23THRUST_200600_302600_NS6detail15normal_iteratorINS9_10device_ptrIxEEEENS9_18transform_iteratorINS9_6negateIxEESE_NS9_11use_defaultESI_EESE_xNS9_4plusIvEENS9_8equal_toIvEExEE10hipError_tPvRmT2_T3_T4_T5_mT6_T7_P12ihipStream_tbENKUlT_T0_E_clISt17integral_constantIbLb0EES13_IbLb1EEEEDaSZ_S10_EUlSZ_E_NS1_11comp_targetILNS1_3genE3ELNS1_11target_archE908ELNS1_3gpuE7ELNS1_3repE0EEENS1_30default_config_static_selectorELNS0_4arch9wavefront6targetE1EEEvT1_
	.globl	_ZN7rocprim17ROCPRIM_400000_NS6detail17trampoline_kernelINS0_14default_configENS1_27scan_by_key_config_selectorIxxEEZZNS1_16scan_by_key_implILNS1_25lookback_scan_determinismE0ELb0ES3_N6thrust23THRUST_200600_302600_NS6detail15normal_iteratorINS9_10device_ptrIxEEEENS9_18transform_iteratorINS9_6negateIxEESE_NS9_11use_defaultESI_EESE_xNS9_4plusIvEENS9_8equal_toIvEExEE10hipError_tPvRmT2_T3_T4_T5_mT6_T7_P12ihipStream_tbENKUlT_T0_E_clISt17integral_constantIbLb0EES13_IbLb1EEEEDaSZ_S10_EUlSZ_E_NS1_11comp_targetILNS1_3genE3ELNS1_11target_archE908ELNS1_3gpuE7ELNS1_3repE0EEENS1_30default_config_static_selectorELNS0_4arch9wavefront6targetE1EEEvT1_
	.p2align	8
	.type	_ZN7rocprim17ROCPRIM_400000_NS6detail17trampoline_kernelINS0_14default_configENS1_27scan_by_key_config_selectorIxxEEZZNS1_16scan_by_key_implILNS1_25lookback_scan_determinismE0ELb0ES3_N6thrust23THRUST_200600_302600_NS6detail15normal_iteratorINS9_10device_ptrIxEEEENS9_18transform_iteratorINS9_6negateIxEESE_NS9_11use_defaultESI_EESE_xNS9_4plusIvEENS9_8equal_toIvEExEE10hipError_tPvRmT2_T3_T4_T5_mT6_T7_P12ihipStream_tbENKUlT_T0_E_clISt17integral_constantIbLb0EES13_IbLb1EEEEDaSZ_S10_EUlSZ_E_NS1_11comp_targetILNS1_3genE3ELNS1_11target_archE908ELNS1_3gpuE7ELNS1_3repE0EEENS1_30default_config_static_selectorELNS0_4arch9wavefront6targetE1EEEvT1_,@function
_ZN7rocprim17ROCPRIM_400000_NS6detail17trampoline_kernelINS0_14default_configENS1_27scan_by_key_config_selectorIxxEEZZNS1_16scan_by_key_implILNS1_25lookback_scan_determinismE0ELb0ES3_N6thrust23THRUST_200600_302600_NS6detail15normal_iteratorINS9_10device_ptrIxEEEENS9_18transform_iteratorINS9_6negateIxEESE_NS9_11use_defaultESI_EESE_xNS9_4plusIvEENS9_8equal_toIvEExEE10hipError_tPvRmT2_T3_T4_T5_mT6_T7_P12ihipStream_tbENKUlT_T0_E_clISt17integral_constantIbLb0EES13_IbLb1EEEEDaSZ_S10_EUlSZ_E_NS1_11comp_targetILNS1_3genE3ELNS1_11target_archE908ELNS1_3gpuE7ELNS1_3repE0EEENS1_30default_config_static_selectorELNS0_4arch9wavefront6targetE1EEEvT1_: ; @_ZN7rocprim17ROCPRIM_400000_NS6detail17trampoline_kernelINS0_14default_configENS1_27scan_by_key_config_selectorIxxEEZZNS1_16scan_by_key_implILNS1_25lookback_scan_determinismE0ELb0ES3_N6thrust23THRUST_200600_302600_NS6detail15normal_iteratorINS9_10device_ptrIxEEEENS9_18transform_iteratorINS9_6negateIxEESE_NS9_11use_defaultESI_EESE_xNS9_4plusIvEENS9_8equal_toIvEExEE10hipError_tPvRmT2_T3_T4_T5_mT6_T7_P12ihipStream_tbENKUlT_T0_E_clISt17integral_constantIbLb0EES13_IbLb1EEEEDaSZ_S10_EUlSZ_E_NS1_11comp_targetILNS1_3genE3ELNS1_11target_archE908ELNS1_3gpuE7ELNS1_3repE0EEENS1_30default_config_static_selectorELNS0_4arch9wavefront6targetE1EEEvT1_
; %bb.0:
	.section	.rodata,"a",@progbits
	.p2align	6, 0x0
	.amdhsa_kernel _ZN7rocprim17ROCPRIM_400000_NS6detail17trampoline_kernelINS0_14default_configENS1_27scan_by_key_config_selectorIxxEEZZNS1_16scan_by_key_implILNS1_25lookback_scan_determinismE0ELb0ES3_N6thrust23THRUST_200600_302600_NS6detail15normal_iteratorINS9_10device_ptrIxEEEENS9_18transform_iteratorINS9_6negateIxEESE_NS9_11use_defaultESI_EESE_xNS9_4plusIvEENS9_8equal_toIvEExEE10hipError_tPvRmT2_T3_T4_T5_mT6_T7_P12ihipStream_tbENKUlT_T0_E_clISt17integral_constantIbLb0EES13_IbLb1EEEEDaSZ_S10_EUlSZ_E_NS1_11comp_targetILNS1_3genE3ELNS1_11target_archE908ELNS1_3gpuE7ELNS1_3repE0EEENS1_30default_config_static_selectorELNS0_4arch9wavefront6targetE1EEEvT1_
		.amdhsa_group_segment_fixed_size 0
		.amdhsa_private_segment_fixed_size 0
		.amdhsa_kernarg_size 144
		.amdhsa_user_sgpr_count 2
		.amdhsa_user_sgpr_dispatch_ptr 0
		.amdhsa_user_sgpr_queue_ptr 0
		.amdhsa_user_sgpr_kernarg_segment_ptr 1
		.amdhsa_user_sgpr_dispatch_id 0
		.amdhsa_user_sgpr_kernarg_preload_length 0
		.amdhsa_user_sgpr_kernarg_preload_offset 0
		.amdhsa_user_sgpr_private_segment_size 0
		.amdhsa_uses_dynamic_stack 0
		.amdhsa_enable_private_segment 0
		.amdhsa_system_sgpr_workgroup_id_x 1
		.amdhsa_system_sgpr_workgroup_id_y 0
		.amdhsa_system_sgpr_workgroup_id_z 0
		.amdhsa_system_sgpr_workgroup_info 0
		.amdhsa_system_vgpr_workitem_id 0
		.amdhsa_next_free_vgpr 1
		.amdhsa_next_free_sgpr 0
		.amdhsa_accum_offset 4
		.amdhsa_reserve_vcc 0
		.amdhsa_float_round_mode_32 0
		.amdhsa_float_round_mode_16_64 0
		.amdhsa_float_denorm_mode_32 3
		.amdhsa_float_denorm_mode_16_64 3
		.amdhsa_dx10_clamp 1
		.amdhsa_ieee_mode 1
		.amdhsa_fp16_overflow 0
		.amdhsa_tg_split 0
		.amdhsa_exception_fp_ieee_invalid_op 0
		.amdhsa_exception_fp_denorm_src 0
		.amdhsa_exception_fp_ieee_div_zero 0
		.amdhsa_exception_fp_ieee_overflow 0
		.amdhsa_exception_fp_ieee_underflow 0
		.amdhsa_exception_fp_ieee_inexact 0
		.amdhsa_exception_int_div_zero 0
	.end_amdhsa_kernel
	.section	.text._ZN7rocprim17ROCPRIM_400000_NS6detail17trampoline_kernelINS0_14default_configENS1_27scan_by_key_config_selectorIxxEEZZNS1_16scan_by_key_implILNS1_25lookback_scan_determinismE0ELb0ES3_N6thrust23THRUST_200600_302600_NS6detail15normal_iteratorINS9_10device_ptrIxEEEENS9_18transform_iteratorINS9_6negateIxEESE_NS9_11use_defaultESI_EESE_xNS9_4plusIvEENS9_8equal_toIvEExEE10hipError_tPvRmT2_T3_T4_T5_mT6_T7_P12ihipStream_tbENKUlT_T0_E_clISt17integral_constantIbLb0EES13_IbLb1EEEEDaSZ_S10_EUlSZ_E_NS1_11comp_targetILNS1_3genE3ELNS1_11target_archE908ELNS1_3gpuE7ELNS1_3repE0EEENS1_30default_config_static_selectorELNS0_4arch9wavefront6targetE1EEEvT1_,"axG",@progbits,_ZN7rocprim17ROCPRIM_400000_NS6detail17trampoline_kernelINS0_14default_configENS1_27scan_by_key_config_selectorIxxEEZZNS1_16scan_by_key_implILNS1_25lookback_scan_determinismE0ELb0ES3_N6thrust23THRUST_200600_302600_NS6detail15normal_iteratorINS9_10device_ptrIxEEEENS9_18transform_iteratorINS9_6negateIxEESE_NS9_11use_defaultESI_EESE_xNS9_4plusIvEENS9_8equal_toIvEExEE10hipError_tPvRmT2_T3_T4_T5_mT6_T7_P12ihipStream_tbENKUlT_T0_E_clISt17integral_constantIbLb0EES13_IbLb1EEEEDaSZ_S10_EUlSZ_E_NS1_11comp_targetILNS1_3genE3ELNS1_11target_archE908ELNS1_3gpuE7ELNS1_3repE0EEENS1_30default_config_static_selectorELNS0_4arch9wavefront6targetE1EEEvT1_,comdat
.Lfunc_end924:
	.size	_ZN7rocprim17ROCPRIM_400000_NS6detail17trampoline_kernelINS0_14default_configENS1_27scan_by_key_config_selectorIxxEEZZNS1_16scan_by_key_implILNS1_25lookback_scan_determinismE0ELb0ES3_N6thrust23THRUST_200600_302600_NS6detail15normal_iteratorINS9_10device_ptrIxEEEENS9_18transform_iteratorINS9_6negateIxEESE_NS9_11use_defaultESI_EESE_xNS9_4plusIvEENS9_8equal_toIvEExEE10hipError_tPvRmT2_T3_T4_T5_mT6_T7_P12ihipStream_tbENKUlT_T0_E_clISt17integral_constantIbLb0EES13_IbLb1EEEEDaSZ_S10_EUlSZ_E_NS1_11comp_targetILNS1_3genE3ELNS1_11target_archE908ELNS1_3gpuE7ELNS1_3repE0EEENS1_30default_config_static_selectorELNS0_4arch9wavefront6targetE1EEEvT1_, .Lfunc_end924-_ZN7rocprim17ROCPRIM_400000_NS6detail17trampoline_kernelINS0_14default_configENS1_27scan_by_key_config_selectorIxxEEZZNS1_16scan_by_key_implILNS1_25lookback_scan_determinismE0ELb0ES3_N6thrust23THRUST_200600_302600_NS6detail15normal_iteratorINS9_10device_ptrIxEEEENS9_18transform_iteratorINS9_6negateIxEESE_NS9_11use_defaultESI_EESE_xNS9_4plusIvEENS9_8equal_toIvEExEE10hipError_tPvRmT2_T3_T4_T5_mT6_T7_P12ihipStream_tbENKUlT_T0_E_clISt17integral_constantIbLb0EES13_IbLb1EEEEDaSZ_S10_EUlSZ_E_NS1_11comp_targetILNS1_3genE3ELNS1_11target_archE908ELNS1_3gpuE7ELNS1_3repE0EEENS1_30default_config_static_selectorELNS0_4arch9wavefront6targetE1EEEvT1_
                                        ; -- End function
	.section	.AMDGPU.csdata,"",@progbits
; Kernel info:
; codeLenInByte = 0
; NumSgprs: 6
; NumVgprs: 0
; NumAgprs: 0
; TotalNumVgprs: 0
; ScratchSize: 0
; MemoryBound: 0
; FloatMode: 240
; IeeeMode: 1
; LDSByteSize: 0 bytes/workgroup (compile time only)
; SGPRBlocks: 0
; VGPRBlocks: 0
; NumSGPRsForWavesPerEU: 6
; NumVGPRsForWavesPerEU: 1
; AccumOffset: 4
; Occupancy: 8
; WaveLimiterHint : 0
; COMPUTE_PGM_RSRC2:SCRATCH_EN: 0
; COMPUTE_PGM_RSRC2:USER_SGPR: 2
; COMPUTE_PGM_RSRC2:TRAP_HANDLER: 0
; COMPUTE_PGM_RSRC2:TGID_X_EN: 1
; COMPUTE_PGM_RSRC2:TGID_Y_EN: 0
; COMPUTE_PGM_RSRC2:TGID_Z_EN: 0
; COMPUTE_PGM_RSRC2:TIDIG_COMP_CNT: 0
; COMPUTE_PGM_RSRC3_GFX90A:ACCUM_OFFSET: 0
; COMPUTE_PGM_RSRC3_GFX90A:TG_SPLIT: 0
	.section	.text._ZN7rocprim17ROCPRIM_400000_NS6detail17trampoline_kernelINS0_14default_configENS1_27scan_by_key_config_selectorIxxEEZZNS1_16scan_by_key_implILNS1_25lookback_scan_determinismE0ELb0ES3_N6thrust23THRUST_200600_302600_NS6detail15normal_iteratorINS9_10device_ptrIxEEEENS9_18transform_iteratorINS9_6negateIxEESE_NS9_11use_defaultESI_EESE_xNS9_4plusIvEENS9_8equal_toIvEExEE10hipError_tPvRmT2_T3_T4_T5_mT6_T7_P12ihipStream_tbENKUlT_T0_E_clISt17integral_constantIbLb0EES13_IbLb1EEEEDaSZ_S10_EUlSZ_E_NS1_11comp_targetILNS1_3genE2ELNS1_11target_archE906ELNS1_3gpuE6ELNS1_3repE0EEENS1_30default_config_static_selectorELNS0_4arch9wavefront6targetE1EEEvT1_,"axG",@progbits,_ZN7rocprim17ROCPRIM_400000_NS6detail17trampoline_kernelINS0_14default_configENS1_27scan_by_key_config_selectorIxxEEZZNS1_16scan_by_key_implILNS1_25lookback_scan_determinismE0ELb0ES3_N6thrust23THRUST_200600_302600_NS6detail15normal_iteratorINS9_10device_ptrIxEEEENS9_18transform_iteratorINS9_6negateIxEESE_NS9_11use_defaultESI_EESE_xNS9_4plusIvEENS9_8equal_toIvEExEE10hipError_tPvRmT2_T3_T4_T5_mT6_T7_P12ihipStream_tbENKUlT_T0_E_clISt17integral_constantIbLb0EES13_IbLb1EEEEDaSZ_S10_EUlSZ_E_NS1_11comp_targetILNS1_3genE2ELNS1_11target_archE906ELNS1_3gpuE6ELNS1_3repE0EEENS1_30default_config_static_selectorELNS0_4arch9wavefront6targetE1EEEvT1_,comdat
	.protected	_ZN7rocprim17ROCPRIM_400000_NS6detail17trampoline_kernelINS0_14default_configENS1_27scan_by_key_config_selectorIxxEEZZNS1_16scan_by_key_implILNS1_25lookback_scan_determinismE0ELb0ES3_N6thrust23THRUST_200600_302600_NS6detail15normal_iteratorINS9_10device_ptrIxEEEENS9_18transform_iteratorINS9_6negateIxEESE_NS9_11use_defaultESI_EESE_xNS9_4plusIvEENS9_8equal_toIvEExEE10hipError_tPvRmT2_T3_T4_T5_mT6_T7_P12ihipStream_tbENKUlT_T0_E_clISt17integral_constantIbLb0EES13_IbLb1EEEEDaSZ_S10_EUlSZ_E_NS1_11comp_targetILNS1_3genE2ELNS1_11target_archE906ELNS1_3gpuE6ELNS1_3repE0EEENS1_30default_config_static_selectorELNS0_4arch9wavefront6targetE1EEEvT1_ ; -- Begin function _ZN7rocprim17ROCPRIM_400000_NS6detail17trampoline_kernelINS0_14default_configENS1_27scan_by_key_config_selectorIxxEEZZNS1_16scan_by_key_implILNS1_25lookback_scan_determinismE0ELb0ES3_N6thrust23THRUST_200600_302600_NS6detail15normal_iteratorINS9_10device_ptrIxEEEENS9_18transform_iteratorINS9_6negateIxEESE_NS9_11use_defaultESI_EESE_xNS9_4plusIvEENS9_8equal_toIvEExEE10hipError_tPvRmT2_T3_T4_T5_mT6_T7_P12ihipStream_tbENKUlT_T0_E_clISt17integral_constantIbLb0EES13_IbLb1EEEEDaSZ_S10_EUlSZ_E_NS1_11comp_targetILNS1_3genE2ELNS1_11target_archE906ELNS1_3gpuE6ELNS1_3repE0EEENS1_30default_config_static_selectorELNS0_4arch9wavefront6targetE1EEEvT1_
	.globl	_ZN7rocprim17ROCPRIM_400000_NS6detail17trampoline_kernelINS0_14default_configENS1_27scan_by_key_config_selectorIxxEEZZNS1_16scan_by_key_implILNS1_25lookback_scan_determinismE0ELb0ES3_N6thrust23THRUST_200600_302600_NS6detail15normal_iteratorINS9_10device_ptrIxEEEENS9_18transform_iteratorINS9_6negateIxEESE_NS9_11use_defaultESI_EESE_xNS9_4plusIvEENS9_8equal_toIvEExEE10hipError_tPvRmT2_T3_T4_T5_mT6_T7_P12ihipStream_tbENKUlT_T0_E_clISt17integral_constantIbLb0EES13_IbLb1EEEEDaSZ_S10_EUlSZ_E_NS1_11comp_targetILNS1_3genE2ELNS1_11target_archE906ELNS1_3gpuE6ELNS1_3repE0EEENS1_30default_config_static_selectorELNS0_4arch9wavefront6targetE1EEEvT1_
	.p2align	8
	.type	_ZN7rocprim17ROCPRIM_400000_NS6detail17trampoline_kernelINS0_14default_configENS1_27scan_by_key_config_selectorIxxEEZZNS1_16scan_by_key_implILNS1_25lookback_scan_determinismE0ELb0ES3_N6thrust23THRUST_200600_302600_NS6detail15normal_iteratorINS9_10device_ptrIxEEEENS9_18transform_iteratorINS9_6negateIxEESE_NS9_11use_defaultESI_EESE_xNS9_4plusIvEENS9_8equal_toIvEExEE10hipError_tPvRmT2_T3_T4_T5_mT6_T7_P12ihipStream_tbENKUlT_T0_E_clISt17integral_constantIbLb0EES13_IbLb1EEEEDaSZ_S10_EUlSZ_E_NS1_11comp_targetILNS1_3genE2ELNS1_11target_archE906ELNS1_3gpuE6ELNS1_3repE0EEENS1_30default_config_static_selectorELNS0_4arch9wavefront6targetE1EEEvT1_,@function
_ZN7rocprim17ROCPRIM_400000_NS6detail17trampoline_kernelINS0_14default_configENS1_27scan_by_key_config_selectorIxxEEZZNS1_16scan_by_key_implILNS1_25lookback_scan_determinismE0ELb0ES3_N6thrust23THRUST_200600_302600_NS6detail15normal_iteratorINS9_10device_ptrIxEEEENS9_18transform_iteratorINS9_6negateIxEESE_NS9_11use_defaultESI_EESE_xNS9_4plusIvEENS9_8equal_toIvEExEE10hipError_tPvRmT2_T3_T4_T5_mT6_T7_P12ihipStream_tbENKUlT_T0_E_clISt17integral_constantIbLb0EES13_IbLb1EEEEDaSZ_S10_EUlSZ_E_NS1_11comp_targetILNS1_3genE2ELNS1_11target_archE906ELNS1_3gpuE6ELNS1_3repE0EEENS1_30default_config_static_selectorELNS0_4arch9wavefront6targetE1EEEvT1_: ; @_ZN7rocprim17ROCPRIM_400000_NS6detail17trampoline_kernelINS0_14default_configENS1_27scan_by_key_config_selectorIxxEEZZNS1_16scan_by_key_implILNS1_25lookback_scan_determinismE0ELb0ES3_N6thrust23THRUST_200600_302600_NS6detail15normal_iteratorINS9_10device_ptrIxEEEENS9_18transform_iteratorINS9_6negateIxEESE_NS9_11use_defaultESI_EESE_xNS9_4plusIvEENS9_8equal_toIvEExEE10hipError_tPvRmT2_T3_T4_T5_mT6_T7_P12ihipStream_tbENKUlT_T0_E_clISt17integral_constantIbLb0EES13_IbLb1EEEEDaSZ_S10_EUlSZ_E_NS1_11comp_targetILNS1_3genE2ELNS1_11target_archE906ELNS1_3gpuE6ELNS1_3repE0EEENS1_30default_config_static_selectorELNS0_4arch9wavefront6targetE1EEEvT1_
; %bb.0:
	.section	.rodata,"a",@progbits
	.p2align	6, 0x0
	.amdhsa_kernel _ZN7rocprim17ROCPRIM_400000_NS6detail17trampoline_kernelINS0_14default_configENS1_27scan_by_key_config_selectorIxxEEZZNS1_16scan_by_key_implILNS1_25lookback_scan_determinismE0ELb0ES3_N6thrust23THRUST_200600_302600_NS6detail15normal_iteratorINS9_10device_ptrIxEEEENS9_18transform_iteratorINS9_6negateIxEESE_NS9_11use_defaultESI_EESE_xNS9_4plusIvEENS9_8equal_toIvEExEE10hipError_tPvRmT2_T3_T4_T5_mT6_T7_P12ihipStream_tbENKUlT_T0_E_clISt17integral_constantIbLb0EES13_IbLb1EEEEDaSZ_S10_EUlSZ_E_NS1_11comp_targetILNS1_3genE2ELNS1_11target_archE906ELNS1_3gpuE6ELNS1_3repE0EEENS1_30default_config_static_selectorELNS0_4arch9wavefront6targetE1EEEvT1_
		.amdhsa_group_segment_fixed_size 0
		.amdhsa_private_segment_fixed_size 0
		.amdhsa_kernarg_size 144
		.amdhsa_user_sgpr_count 2
		.amdhsa_user_sgpr_dispatch_ptr 0
		.amdhsa_user_sgpr_queue_ptr 0
		.amdhsa_user_sgpr_kernarg_segment_ptr 1
		.amdhsa_user_sgpr_dispatch_id 0
		.amdhsa_user_sgpr_kernarg_preload_length 0
		.amdhsa_user_sgpr_kernarg_preload_offset 0
		.amdhsa_user_sgpr_private_segment_size 0
		.amdhsa_uses_dynamic_stack 0
		.amdhsa_enable_private_segment 0
		.amdhsa_system_sgpr_workgroup_id_x 1
		.amdhsa_system_sgpr_workgroup_id_y 0
		.amdhsa_system_sgpr_workgroup_id_z 0
		.amdhsa_system_sgpr_workgroup_info 0
		.amdhsa_system_vgpr_workitem_id 0
		.amdhsa_next_free_vgpr 1
		.amdhsa_next_free_sgpr 0
		.amdhsa_accum_offset 4
		.amdhsa_reserve_vcc 0
		.amdhsa_float_round_mode_32 0
		.amdhsa_float_round_mode_16_64 0
		.amdhsa_float_denorm_mode_32 3
		.amdhsa_float_denorm_mode_16_64 3
		.amdhsa_dx10_clamp 1
		.amdhsa_ieee_mode 1
		.amdhsa_fp16_overflow 0
		.amdhsa_tg_split 0
		.amdhsa_exception_fp_ieee_invalid_op 0
		.amdhsa_exception_fp_denorm_src 0
		.amdhsa_exception_fp_ieee_div_zero 0
		.amdhsa_exception_fp_ieee_overflow 0
		.amdhsa_exception_fp_ieee_underflow 0
		.amdhsa_exception_fp_ieee_inexact 0
		.amdhsa_exception_int_div_zero 0
	.end_amdhsa_kernel
	.section	.text._ZN7rocprim17ROCPRIM_400000_NS6detail17trampoline_kernelINS0_14default_configENS1_27scan_by_key_config_selectorIxxEEZZNS1_16scan_by_key_implILNS1_25lookback_scan_determinismE0ELb0ES3_N6thrust23THRUST_200600_302600_NS6detail15normal_iteratorINS9_10device_ptrIxEEEENS9_18transform_iteratorINS9_6negateIxEESE_NS9_11use_defaultESI_EESE_xNS9_4plusIvEENS9_8equal_toIvEExEE10hipError_tPvRmT2_T3_T4_T5_mT6_T7_P12ihipStream_tbENKUlT_T0_E_clISt17integral_constantIbLb0EES13_IbLb1EEEEDaSZ_S10_EUlSZ_E_NS1_11comp_targetILNS1_3genE2ELNS1_11target_archE906ELNS1_3gpuE6ELNS1_3repE0EEENS1_30default_config_static_selectorELNS0_4arch9wavefront6targetE1EEEvT1_,"axG",@progbits,_ZN7rocprim17ROCPRIM_400000_NS6detail17trampoline_kernelINS0_14default_configENS1_27scan_by_key_config_selectorIxxEEZZNS1_16scan_by_key_implILNS1_25lookback_scan_determinismE0ELb0ES3_N6thrust23THRUST_200600_302600_NS6detail15normal_iteratorINS9_10device_ptrIxEEEENS9_18transform_iteratorINS9_6negateIxEESE_NS9_11use_defaultESI_EESE_xNS9_4plusIvEENS9_8equal_toIvEExEE10hipError_tPvRmT2_T3_T4_T5_mT6_T7_P12ihipStream_tbENKUlT_T0_E_clISt17integral_constantIbLb0EES13_IbLb1EEEEDaSZ_S10_EUlSZ_E_NS1_11comp_targetILNS1_3genE2ELNS1_11target_archE906ELNS1_3gpuE6ELNS1_3repE0EEENS1_30default_config_static_selectorELNS0_4arch9wavefront6targetE1EEEvT1_,comdat
.Lfunc_end925:
	.size	_ZN7rocprim17ROCPRIM_400000_NS6detail17trampoline_kernelINS0_14default_configENS1_27scan_by_key_config_selectorIxxEEZZNS1_16scan_by_key_implILNS1_25lookback_scan_determinismE0ELb0ES3_N6thrust23THRUST_200600_302600_NS6detail15normal_iteratorINS9_10device_ptrIxEEEENS9_18transform_iteratorINS9_6negateIxEESE_NS9_11use_defaultESI_EESE_xNS9_4plusIvEENS9_8equal_toIvEExEE10hipError_tPvRmT2_T3_T4_T5_mT6_T7_P12ihipStream_tbENKUlT_T0_E_clISt17integral_constantIbLb0EES13_IbLb1EEEEDaSZ_S10_EUlSZ_E_NS1_11comp_targetILNS1_3genE2ELNS1_11target_archE906ELNS1_3gpuE6ELNS1_3repE0EEENS1_30default_config_static_selectorELNS0_4arch9wavefront6targetE1EEEvT1_, .Lfunc_end925-_ZN7rocprim17ROCPRIM_400000_NS6detail17trampoline_kernelINS0_14default_configENS1_27scan_by_key_config_selectorIxxEEZZNS1_16scan_by_key_implILNS1_25lookback_scan_determinismE0ELb0ES3_N6thrust23THRUST_200600_302600_NS6detail15normal_iteratorINS9_10device_ptrIxEEEENS9_18transform_iteratorINS9_6negateIxEESE_NS9_11use_defaultESI_EESE_xNS9_4plusIvEENS9_8equal_toIvEExEE10hipError_tPvRmT2_T3_T4_T5_mT6_T7_P12ihipStream_tbENKUlT_T0_E_clISt17integral_constantIbLb0EES13_IbLb1EEEEDaSZ_S10_EUlSZ_E_NS1_11comp_targetILNS1_3genE2ELNS1_11target_archE906ELNS1_3gpuE6ELNS1_3repE0EEENS1_30default_config_static_selectorELNS0_4arch9wavefront6targetE1EEEvT1_
                                        ; -- End function
	.section	.AMDGPU.csdata,"",@progbits
; Kernel info:
; codeLenInByte = 0
; NumSgprs: 6
; NumVgprs: 0
; NumAgprs: 0
; TotalNumVgprs: 0
; ScratchSize: 0
; MemoryBound: 0
; FloatMode: 240
; IeeeMode: 1
; LDSByteSize: 0 bytes/workgroup (compile time only)
; SGPRBlocks: 0
; VGPRBlocks: 0
; NumSGPRsForWavesPerEU: 6
; NumVGPRsForWavesPerEU: 1
; AccumOffset: 4
; Occupancy: 8
; WaveLimiterHint : 0
; COMPUTE_PGM_RSRC2:SCRATCH_EN: 0
; COMPUTE_PGM_RSRC2:USER_SGPR: 2
; COMPUTE_PGM_RSRC2:TRAP_HANDLER: 0
; COMPUTE_PGM_RSRC2:TGID_X_EN: 1
; COMPUTE_PGM_RSRC2:TGID_Y_EN: 0
; COMPUTE_PGM_RSRC2:TGID_Z_EN: 0
; COMPUTE_PGM_RSRC2:TIDIG_COMP_CNT: 0
; COMPUTE_PGM_RSRC3_GFX90A:ACCUM_OFFSET: 0
; COMPUTE_PGM_RSRC3_GFX90A:TG_SPLIT: 0
	.section	.text._ZN7rocprim17ROCPRIM_400000_NS6detail17trampoline_kernelINS0_14default_configENS1_27scan_by_key_config_selectorIxxEEZZNS1_16scan_by_key_implILNS1_25lookback_scan_determinismE0ELb0ES3_N6thrust23THRUST_200600_302600_NS6detail15normal_iteratorINS9_10device_ptrIxEEEENS9_18transform_iteratorINS9_6negateIxEESE_NS9_11use_defaultESI_EESE_xNS9_4plusIvEENS9_8equal_toIvEExEE10hipError_tPvRmT2_T3_T4_T5_mT6_T7_P12ihipStream_tbENKUlT_T0_E_clISt17integral_constantIbLb0EES13_IbLb1EEEEDaSZ_S10_EUlSZ_E_NS1_11comp_targetILNS1_3genE10ELNS1_11target_archE1200ELNS1_3gpuE4ELNS1_3repE0EEENS1_30default_config_static_selectorELNS0_4arch9wavefront6targetE1EEEvT1_,"axG",@progbits,_ZN7rocprim17ROCPRIM_400000_NS6detail17trampoline_kernelINS0_14default_configENS1_27scan_by_key_config_selectorIxxEEZZNS1_16scan_by_key_implILNS1_25lookback_scan_determinismE0ELb0ES3_N6thrust23THRUST_200600_302600_NS6detail15normal_iteratorINS9_10device_ptrIxEEEENS9_18transform_iteratorINS9_6negateIxEESE_NS9_11use_defaultESI_EESE_xNS9_4plusIvEENS9_8equal_toIvEExEE10hipError_tPvRmT2_T3_T4_T5_mT6_T7_P12ihipStream_tbENKUlT_T0_E_clISt17integral_constantIbLb0EES13_IbLb1EEEEDaSZ_S10_EUlSZ_E_NS1_11comp_targetILNS1_3genE10ELNS1_11target_archE1200ELNS1_3gpuE4ELNS1_3repE0EEENS1_30default_config_static_selectorELNS0_4arch9wavefront6targetE1EEEvT1_,comdat
	.protected	_ZN7rocprim17ROCPRIM_400000_NS6detail17trampoline_kernelINS0_14default_configENS1_27scan_by_key_config_selectorIxxEEZZNS1_16scan_by_key_implILNS1_25lookback_scan_determinismE0ELb0ES3_N6thrust23THRUST_200600_302600_NS6detail15normal_iteratorINS9_10device_ptrIxEEEENS9_18transform_iteratorINS9_6negateIxEESE_NS9_11use_defaultESI_EESE_xNS9_4plusIvEENS9_8equal_toIvEExEE10hipError_tPvRmT2_T3_T4_T5_mT6_T7_P12ihipStream_tbENKUlT_T0_E_clISt17integral_constantIbLb0EES13_IbLb1EEEEDaSZ_S10_EUlSZ_E_NS1_11comp_targetILNS1_3genE10ELNS1_11target_archE1200ELNS1_3gpuE4ELNS1_3repE0EEENS1_30default_config_static_selectorELNS0_4arch9wavefront6targetE1EEEvT1_ ; -- Begin function _ZN7rocprim17ROCPRIM_400000_NS6detail17trampoline_kernelINS0_14default_configENS1_27scan_by_key_config_selectorIxxEEZZNS1_16scan_by_key_implILNS1_25lookback_scan_determinismE0ELb0ES3_N6thrust23THRUST_200600_302600_NS6detail15normal_iteratorINS9_10device_ptrIxEEEENS9_18transform_iteratorINS9_6negateIxEESE_NS9_11use_defaultESI_EESE_xNS9_4plusIvEENS9_8equal_toIvEExEE10hipError_tPvRmT2_T3_T4_T5_mT6_T7_P12ihipStream_tbENKUlT_T0_E_clISt17integral_constantIbLb0EES13_IbLb1EEEEDaSZ_S10_EUlSZ_E_NS1_11comp_targetILNS1_3genE10ELNS1_11target_archE1200ELNS1_3gpuE4ELNS1_3repE0EEENS1_30default_config_static_selectorELNS0_4arch9wavefront6targetE1EEEvT1_
	.globl	_ZN7rocprim17ROCPRIM_400000_NS6detail17trampoline_kernelINS0_14default_configENS1_27scan_by_key_config_selectorIxxEEZZNS1_16scan_by_key_implILNS1_25lookback_scan_determinismE0ELb0ES3_N6thrust23THRUST_200600_302600_NS6detail15normal_iteratorINS9_10device_ptrIxEEEENS9_18transform_iteratorINS9_6negateIxEESE_NS9_11use_defaultESI_EESE_xNS9_4plusIvEENS9_8equal_toIvEExEE10hipError_tPvRmT2_T3_T4_T5_mT6_T7_P12ihipStream_tbENKUlT_T0_E_clISt17integral_constantIbLb0EES13_IbLb1EEEEDaSZ_S10_EUlSZ_E_NS1_11comp_targetILNS1_3genE10ELNS1_11target_archE1200ELNS1_3gpuE4ELNS1_3repE0EEENS1_30default_config_static_selectorELNS0_4arch9wavefront6targetE1EEEvT1_
	.p2align	8
	.type	_ZN7rocprim17ROCPRIM_400000_NS6detail17trampoline_kernelINS0_14default_configENS1_27scan_by_key_config_selectorIxxEEZZNS1_16scan_by_key_implILNS1_25lookback_scan_determinismE0ELb0ES3_N6thrust23THRUST_200600_302600_NS6detail15normal_iteratorINS9_10device_ptrIxEEEENS9_18transform_iteratorINS9_6negateIxEESE_NS9_11use_defaultESI_EESE_xNS9_4plusIvEENS9_8equal_toIvEExEE10hipError_tPvRmT2_T3_T4_T5_mT6_T7_P12ihipStream_tbENKUlT_T0_E_clISt17integral_constantIbLb0EES13_IbLb1EEEEDaSZ_S10_EUlSZ_E_NS1_11comp_targetILNS1_3genE10ELNS1_11target_archE1200ELNS1_3gpuE4ELNS1_3repE0EEENS1_30default_config_static_selectorELNS0_4arch9wavefront6targetE1EEEvT1_,@function
_ZN7rocprim17ROCPRIM_400000_NS6detail17trampoline_kernelINS0_14default_configENS1_27scan_by_key_config_selectorIxxEEZZNS1_16scan_by_key_implILNS1_25lookback_scan_determinismE0ELb0ES3_N6thrust23THRUST_200600_302600_NS6detail15normal_iteratorINS9_10device_ptrIxEEEENS9_18transform_iteratorINS9_6negateIxEESE_NS9_11use_defaultESI_EESE_xNS9_4plusIvEENS9_8equal_toIvEExEE10hipError_tPvRmT2_T3_T4_T5_mT6_T7_P12ihipStream_tbENKUlT_T0_E_clISt17integral_constantIbLb0EES13_IbLb1EEEEDaSZ_S10_EUlSZ_E_NS1_11comp_targetILNS1_3genE10ELNS1_11target_archE1200ELNS1_3gpuE4ELNS1_3repE0EEENS1_30default_config_static_selectorELNS0_4arch9wavefront6targetE1EEEvT1_: ; @_ZN7rocprim17ROCPRIM_400000_NS6detail17trampoline_kernelINS0_14default_configENS1_27scan_by_key_config_selectorIxxEEZZNS1_16scan_by_key_implILNS1_25lookback_scan_determinismE0ELb0ES3_N6thrust23THRUST_200600_302600_NS6detail15normal_iteratorINS9_10device_ptrIxEEEENS9_18transform_iteratorINS9_6negateIxEESE_NS9_11use_defaultESI_EESE_xNS9_4plusIvEENS9_8equal_toIvEExEE10hipError_tPvRmT2_T3_T4_T5_mT6_T7_P12ihipStream_tbENKUlT_T0_E_clISt17integral_constantIbLb0EES13_IbLb1EEEEDaSZ_S10_EUlSZ_E_NS1_11comp_targetILNS1_3genE10ELNS1_11target_archE1200ELNS1_3gpuE4ELNS1_3repE0EEENS1_30default_config_static_selectorELNS0_4arch9wavefront6targetE1EEEvT1_
; %bb.0:
	.section	.rodata,"a",@progbits
	.p2align	6, 0x0
	.amdhsa_kernel _ZN7rocprim17ROCPRIM_400000_NS6detail17trampoline_kernelINS0_14default_configENS1_27scan_by_key_config_selectorIxxEEZZNS1_16scan_by_key_implILNS1_25lookback_scan_determinismE0ELb0ES3_N6thrust23THRUST_200600_302600_NS6detail15normal_iteratorINS9_10device_ptrIxEEEENS9_18transform_iteratorINS9_6negateIxEESE_NS9_11use_defaultESI_EESE_xNS9_4plusIvEENS9_8equal_toIvEExEE10hipError_tPvRmT2_T3_T4_T5_mT6_T7_P12ihipStream_tbENKUlT_T0_E_clISt17integral_constantIbLb0EES13_IbLb1EEEEDaSZ_S10_EUlSZ_E_NS1_11comp_targetILNS1_3genE10ELNS1_11target_archE1200ELNS1_3gpuE4ELNS1_3repE0EEENS1_30default_config_static_selectorELNS0_4arch9wavefront6targetE1EEEvT1_
		.amdhsa_group_segment_fixed_size 0
		.amdhsa_private_segment_fixed_size 0
		.amdhsa_kernarg_size 144
		.amdhsa_user_sgpr_count 2
		.amdhsa_user_sgpr_dispatch_ptr 0
		.amdhsa_user_sgpr_queue_ptr 0
		.amdhsa_user_sgpr_kernarg_segment_ptr 1
		.amdhsa_user_sgpr_dispatch_id 0
		.amdhsa_user_sgpr_kernarg_preload_length 0
		.amdhsa_user_sgpr_kernarg_preload_offset 0
		.amdhsa_user_sgpr_private_segment_size 0
		.amdhsa_uses_dynamic_stack 0
		.amdhsa_enable_private_segment 0
		.amdhsa_system_sgpr_workgroup_id_x 1
		.amdhsa_system_sgpr_workgroup_id_y 0
		.amdhsa_system_sgpr_workgroup_id_z 0
		.amdhsa_system_sgpr_workgroup_info 0
		.amdhsa_system_vgpr_workitem_id 0
		.amdhsa_next_free_vgpr 1
		.amdhsa_next_free_sgpr 0
		.amdhsa_accum_offset 4
		.amdhsa_reserve_vcc 0
		.amdhsa_float_round_mode_32 0
		.amdhsa_float_round_mode_16_64 0
		.amdhsa_float_denorm_mode_32 3
		.amdhsa_float_denorm_mode_16_64 3
		.amdhsa_dx10_clamp 1
		.amdhsa_ieee_mode 1
		.amdhsa_fp16_overflow 0
		.amdhsa_tg_split 0
		.amdhsa_exception_fp_ieee_invalid_op 0
		.amdhsa_exception_fp_denorm_src 0
		.amdhsa_exception_fp_ieee_div_zero 0
		.amdhsa_exception_fp_ieee_overflow 0
		.amdhsa_exception_fp_ieee_underflow 0
		.amdhsa_exception_fp_ieee_inexact 0
		.amdhsa_exception_int_div_zero 0
	.end_amdhsa_kernel
	.section	.text._ZN7rocprim17ROCPRIM_400000_NS6detail17trampoline_kernelINS0_14default_configENS1_27scan_by_key_config_selectorIxxEEZZNS1_16scan_by_key_implILNS1_25lookback_scan_determinismE0ELb0ES3_N6thrust23THRUST_200600_302600_NS6detail15normal_iteratorINS9_10device_ptrIxEEEENS9_18transform_iteratorINS9_6negateIxEESE_NS9_11use_defaultESI_EESE_xNS9_4plusIvEENS9_8equal_toIvEExEE10hipError_tPvRmT2_T3_T4_T5_mT6_T7_P12ihipStream_tbENKUlT_T0_E_clISt17integral_constantIbLb0EES13_IbLb1EEEEDaSZ_S10_EUlSZ_E_NS1_11comp_targetILNS1_3genE10ELNS1_11target_archE1200ELNS1_3gpuE4ELNS1_3repE0EEENS1_30default_config_static_selectorELNS0_4arch9wavefront6targetE1EEEvT1_,"axG",@progbits,_ZN7rocprim17ROCPRIM_400000_NS6detail17trampoline_kernelINS0_14default_configENS1_27scan_by_key_config_selectorIxxEEZZNS1_16scan_by_key_implILNS1_25lookback_scan_determinismE0ELb0ES3_N6thrust23THRUST_200600_302600_NS6detail15normal_iteratorINS9_10device_ptrIxEEEENS9_18transform_iteratorINS9_6negateIxEESE_NS9_11use_defaultESI_EESE_xNS9_4plusIvEENS9_8equal_toIvEExEE10hipError_tPvRmT2_T3_T4_T5_mT6_T7_P12ihipStream_tbENKUlT_T0_E_clISt17integral_constantIbLb0EES13_IbLb1EEEEDaSZ_S10_EUlSZ_E_NS1_11comp_targetILNS1_3genE10ELNS1_11target_archE1200ELNS1_3gpuE4ELNS1_3repE0EEENS1_30default_config_static_selectorELNS0_4arch9wavefront6targetE1EEEvT1_,comdat
.Lfunc_end926:
	.size	_ZN7rocprim17ROCPRIM_400000_NS6detail17trampoline_kernelINS0_14default_configENS1_27scan_by_key_config_selectorIxxEEZZNS1_16scan_by_key_implILNS1_25lookback_scan_determinismE0ELb0ES3_N6thrust23THRUST_200600_302600_NS6detail15normal_iteratorINS9_10device_ptrIxEEEENS9_18transform_iteratorINS9_6negateIxEESE_NS9_11use_defaultESI_EESE_xNS9_4plusIvEENS9_8equal_toIvEExEE10hipError_tPvRmT2_T3_T4_T5_mT6_T7_P12ihipStream_tbENKUlT_T0_E_clISt17integral_constantIbLb0EES13_IbLb1EEEEDaSZ_S10_EUlSZ_E_NS1_11comp_targetILNS1_3genE10ELNS1_11target_archE1200ELNS1_3gpuE4ELNS1_3repE0EEENS1_30default_config_static_selectorELNS0_4arch9wavefront6targetE1EEEvT1_, .Lfunc_end926-_ZN7rocprim17ROCPRIM_400000_NS6detail17trampoline_kernelINS0_14default_configENS1_27scan_by_key_config_selectorIxxEEZZNS1_16scan_by_key_implILNS1_25lookback_scan_determinismE0ELb0ES3_N6thrust23THRUST_200600_302600_NS6detail15normal_iteratorINS9_10device_ptrIxEEEENS9_18transform_iteratorINS9_6negateIxEESE_NS9_11use_defaultESI_EESE_xNS9_4plusIvEENS9_8equal_toIvEExEE10hipError_tPvRmT2_T3_T4_T5_mT6_T7_P12ihipStream_tbENKUlT_T0_E_clISt17integral_constantIbLb0EES13_IbLb1EEEEDaSZ_S10_EUlSZ_E_NS1_11comp_targetILNS1_3genE10ELNS1_11target_archE1200ELNS1_3gpuE4ELNS1_3repE0EEENS1_30default_config_static_selectorELNS0_4arch9wavefront6targetE1EEEvT1_
                                        ; -- End function
	.section	.AMDGPU.csdata,"",@progbits
; Kernel info:
; codeLenInByte = 0
; NumSgprs: 6
; NumVgprs: 0
; NumAgprs: 0
; TotalNumVgprs: 0
; ScratchSize: 0
; MemoryBound: 0
; FloatMode: 240
; IeeeMode: 1
; LDSByteSize: 0 bytes/workgroup (compile time only)
; SGPRBlocks: 0
; VGPRBlocks: 0
; NumSGPRsForWavesPerEU: 6
; NumVGPRsForWavesPerEU: 1
; AccumOffset: 4
; Occupancy: 8
; WaveLimiterHint : 0
; COMPUTE_PGM_RSRC2:SCRATCH_EN: 0
; COMPUTE_PGM_RSRC2:USER_SGPR: 2
; COMPUTE_PGM_RSRC2:TRAP_HANDLER: 0
; COMPUTE_PGM_RSRC2:TGID_X_EN: 1
; COMPUTE_PGM_RSRC2:TGID_Y_EN: 0
; COMPUTE_PGM_RSRC2:TGID_Z_EN: 0
; COMPUTE_PGM_RSRC2:TIDIG_COMP_CNT: 0
; COMPUTE_PGM_RSRC3_GFX90A:ACCUM_OFFSET: 0
; COMPUTE_PGM_RSRC3_GFX90A:TG_SPLIT: 0
	.section	.text._ZN7rocprim17ROCPRIM_400000_NS6detail17trampoline_kernelINS0_14default_configENS1_27scan_by_key_config_selectorIxxEEZZNS1_16scan_by_key_implILNS1_25lookback_scan_determinismE0ELb0ES3_N6thrust23THRUST_200600_302600_NS6detail15normal_iteratorINS9_10device_ptrIxEEEENS9_18transform_iteratorINS9_6negateIxEESE_NS9_11use_defaultESI_EESE_xNS9_4plusIvEENS9_8equal_toIvEExEE10hipError_tPvRmT2_T3_T4_T5_mT6_T7_P12ihipStream_tbENKUlT_T0_E_clISt17integral_constantIbLb0EES13_IbLb1EEEEDaSZ_S10_EUlSZ_E_NS1_11comp_targetILNS1_3genE9ELNS1_11target_archE1100ELNS1_3gpuE3ELNS1_3repE0EEENS1_30default_config_static_selectorELNS0_4arch9wavefront6targetE1EEEvT1_,"axG",@progbits,_ZN7rocprim17ROCPRIM_400000_NS6detail17trampoline_kernelINS0_14default_configENS1_27scan_by_key_config_selectorIxxEEZZNS1_16scan_by_key_implILNS1_25lookback_scan_determinismE0ELb0ES3_N6thrust23THRUST_200600_302600_NS6detail15normal_iteratorINS9_10device_ptrIxEEEENS9_18transform_iteratorINS9_6negateIxEESE_NS9_11use_defaultESI_EESE_xNS9_4plusIvEENS9_8equal_toIvEExEE10hipError_tPvRmT2_T3_T4_T5_mT6_T7_P12ihipStream_tbENKUlT_T0_E_clISt17integral_constantIbLb0EES13_IbLb1EEEEDaSZ_S10_EUlSZ_E_NS1_11comp_targetILNS1_3genE9ELNS1_11target_archE1100ELNS1_3gpuE3ELNS1_3repE0EEENS1_30default_config_static_selectorELNS0_4arch9wavefront6targetE1EEEvT1_,comdat
	.protected	_ZN7rocprim17ROCPRIM_400000_NS6detail17trampoline_kernelINS0_14default_configENS1_27scan_by_key_config_selectorIxxEEZZNS1_16scan_by_key_implILNS1_25lookback_scan_determinismE0ELb0ES3_N6thrust23THRUST_200600_302600_NS6detail15normal_iteratorINS9_10device_ptrIxEEEENS9_18transform_iteratorINS9_6negateIxEESE_NS9_11use_defaultESI_EESE_xNS9_4plusIvEENS9_8equal_toIvEExEE10hipError_tPvRmT2_T3_T4_T5_mT6_T7_P12ihipStream_tbENKUlT_T0_E_clISt17integral_constantIbLb0EES13_IbLb1EEEEDaSZ_S10_EUlSZ_E_NS1_11comp_targetILNS1_3genE9ELNS1_11target_archE1100ELNS1_3gpuE3ELNS1_3repE0EEENS1_30default_config_static_selectorELNS0_4arch9wavefront6targetE1EEEvT1_ ; -- Begin function _ZN7rocprim17ROCPRIM_400000_NS6detail17trampoline_kernelINS0_14default_configENS1_27scan_by_key_config_selectorIxxEEZZNS1_16scan_by_key_implILNS1_25lookback_scan_determinismE0ELb0ES3_N6thrust23THRUST_200600_302600_NS6detail15normal_iteratorINS9_10device_ptrIxEEEENS9_18transform_iteratorINS9_6negateIxEESE_NS9_11use_defaultESI_EESE_xNS9_4plusIvEENS9_8equal_toIvEExEE10hipError_tPvRmT2_T3_T4_T5_mT6_T7_P12ihipStream_tbENKUlT_T0_E_clISt17integral_constantIbLb0EES13_IbLb1EEEEDaSZ_S10_EUlSZ_E_NS1_11comp_targetILNS1_3genE9ELNS1_11target_archE1100ELNS1_3gpuE3ELNS1_3repE0EEENS1_30default_config_static_selectorELNS0_4arch9wavefront6targetE1EEEvT1_
	.globl	_ZN7rocprim17ROCPRIM_400000_NS6detail17trampoline_kernelINS0_14default_configENS1_27scan_by_key_config_selectorIxxEEZZNS1_16scan_by_key_implILNS1_25lookback_scan_determinismE0ELb0ES3_N6thrust23THRUST_200600_302600_NS6detail15normal_iteratorINS9_10device_ptrIxEEEENS9_18transform_iteratorINS9_6negateIxEESE_NS9_11use_defaultESI_EESE_xNS9_4plusIvEENS9_8equal_toIvEExEE10hipError_tPvRmT2_T3_T4_T5_mT6_T7_P12ihipStream_tbENKUlT_T0_E_clISt17integral_constantIbLb0EES13_IbLb1EEEEDaSZ_S10_EUlSZ_E_NS1_11comp_targetILNS1_3genE9ELNS1_11target_archE1100ELNS1_3gpuE3ELNS1_3repE0EEENS1_30default_config_static_selectorELNS0_4arch9wavefront6targetE1EEEvT1_
	.p2align	8
	.type	_ZN7rocprim17ROCPRIM_400000_NS6detail17trampoline_kernelINS0_14default_configENS1_27scan_by_key_config_selectorIxxEEZZNS1_16scan_by_key_implILNS1_25lookback_scan_determinismE0ELb0ES3_N6thrust23THRUST_200600_302600_NS6detail15normal_iteratorINS9_10device_ptrIxEEEENS9_18transform_iteratorINS9_6negateIxEESE_NS9_11use_defaultESI_EESE_xNS9_4plusIvEENS9_8equal_toIvEExEE10hipError_tPvRmT2_T3_T4_T5_mT6_T7_P12ihipStream_tbENKUlT_T0_E_clISt17integral_constantIbLb0EES13_IbLb1EEEEDaSZ_S10_EUlSZ_E_NS1_11comp_targetILNS1_3genE9ELNS1_11target_archE1100ELNS1_3gpuE3ELNS1_3repE0EEENS1_30default_config_static_selectorELNS0_4arch9wavefront6targetE1EEEvT1_,@function
_ZN7rocprim17ROCPRIM_400000_NS6detail17trampoline_kernelINS0_14default_configENS1_27scan_by_key_config_selectorIxxEEZZNS1_16scan_by_key_implILNS1_25lookback_scan_determinismE0ELb0ES3_N6thrust23THRUST_200600_302600_NS6detail15normal_iteratorINS9_10device_ptrIxEEEENS9_18transform_iteratorINS9_6negateIxEESE_NS9_11use_defaultESI_EESE_xNS9_4plusIvEENS9_8equal_toIvEExEE10hipError_tPvRmT2_T3_T4_T5_mT6_T7_P12ihipStream_tbENKUlT_T0_E_clISt17integral_constantIbLb0EES13_IbLb1EEEEDaSZ_S10_EUlSZ_E_NS1_11comp_targetILNS1_3genE9ELNS1_11target_archE1100ELNS1_3gpuE3ELNS1_3repE0EEENS1_30default_config_static_selectorELNS0_4arch9wavefront6targetE1EEEvT1_: ; @_ZN7rocprim17ROCPRIM_400000_NS6detail17trampoline_kernelINS0_14default_configENS1_27scan_by_key_config_selectorIxxEEZZNS1_16scan_by_key_implILNS1_25lookback_scan_determinismE0ELb0ES3_N6thrust23THRUST_200600_302600_NS6detail15normal_iteratorINS9_10device_ptrIxEEEENS9_18transform_iteratorINS9_6negateIxEESE_NS9_11use_defaultESI_EESE_xNS9_4plusIvEENS9_8equal_toIvEExEE10hipError_tPvRmT2_T3_T4_T5_mT6_T7_P12ihipStream_tbENKUlT_T0_E_clISt17integral_constantIbLb0EES13_IbLb1EEEEDaSZ_S10_EUlSZ_E_NS1_11comp_targetILNS1_3genE9ELNS1_11target_archE1100ELNS1_3gpuE3ELNS1_3repE0EEENS1_30default_config_static_selectorELNS0_4arch9wavefront6targetE1EEEvT1_
; %bb.0:
	.section	.rodata,"a",@progbits
	.p2align	6, 0x0
	.amdhsa_kernel _ZN7rocprim17ROCPRIM_400000_NS6detail17trampoline_kernelINS0_14default_configENS1_27scan_by_key_config_selectorIxxEEZZNS1_16scan_by_key_implILNS1_25lookback_scan_determinismE0ELb0ES3_N6thrust23THRUST_200600_302600_NS6detail15normal_iteratorINS9_10device_ptrIxEEEENS9_18transform_iteratorINS9_6negateIxEESE_NS9_11use_defaultESI_EESE_xNS9_4plusIvEENS9_8equal_toIvEExEE10hipError_tPvRmT2_T3_T4_T5_mT6_T7_P12ihipStream_tbENKUlT_T0_E_clISt17integral_constantIbLb0EES13_IbLb1EEEEDaSZ_S10_EUlSZ_E_NS1_11comp_targetILNS1_3genE9ELNS1_11target_archE1100ELNS1_3gpuE3ELNS1_3repE0EEENS1_30default_config_static_selectorELNS0_4arch9wavefront6targetE1EEEvT1_
		.amdhsa_group_segment_fixed_size 0
		.amdhsa_private_segment_fixed_size 0
		.amdhsa_kernarg_size 144
		.amdhsa_user_sgpr_count 2
		.amdhsa_user_sgpr_dispatch_ptr 0
		.amdhsa_user_sgpr_queue_ptr 0
		.amdhsa_user_sgpr_kernarg_segment_ptr 1
		.amdhsa_user_sgpr_dispatch_id 0
		.amdhsa_user_sgpr_kernarg_preload_length 0
		.amdhsa_user_sgpr_kernarg_preload_offset 0
		.amdhsa_user_sgpr_private_segment_size 0
		.amdhsa_uses_dynamic_stack 0
		.amdhsa_enable_private_segment 0
		.amdhsa_system_sgpr_workgroup_id_x 1
		.amdhsa_system_sgpr_workgroup_id_y 0
		.amdhsa_system_sgpr_workgroup_id_z 0
		.amdhsa_system_sgpr_workgroup_info 0
		.amdhsa_system_vgpr_workitem_id 0
		.amdhsa_next_free_vgpr 1
		.amdhsa_next_free_sgpr 0
		.amdhsa_accum_offset 4
		.amdhsa_reserve_vcc 0
		.amdhsa_float_round_mode_32 0
		.amdhsa_float_round_mode_16_64 0
		.amdhsa_float_denorm_mode_32 3
		.amdhsa_float_denorm_mode_16_64 3
		.amdhsa_dx10_clamp 1
		.amdhsa_ieee_mode 1
		.amdhsa_fp16_overflow 0
		.amdhsa_tg_split 0
		.amdhsa_exception_fp_ieee_invalid_op 0
		.amdhsa_exception_fp_denorm_src 0
		.amdhsa_exception_fp_ieee_div_zero 0
		.amdhsa_exception_fp_ieee_overflow 0
		.amdhsa_exception_fp_ieee_underflow 0
		.amdhsa_exception_fp_ieee_inexact 0
		.amdhsa_exception_int_div_zero 0
	.end_amdhsa_kernel
	.section	.text._ZN7rocprim17ROCPRIM_400000_NS6detail17trampoline_kernelINS0_14default_configENS1_27scan_by_key_config_selectorIxxEEZZNS1_16scan_by_key_implILNS1_25lookback_scan_determinismE0ELb0ES3_N6thrust23THRUST_200600_302600_NS6detail15normal_iteratorINS9_10device_ptrIxEEEENS9_18transform_iteratorINS9_6negateIxEESE_NS9_11use_defaultESI_EESE_xNS9_4plusIvEENS9_8equal_toIvEExEE10hipError_tPvRmT2_T3_T4_T5_mT6_T7_P12ihipStream_tbENKUlT_T0_E_clISt17integral_constantIbLb0EES13_IbLb1EEEEDaSZ_S10_EUlSZ_E_NS1_11comp_targetILNS1_3genE9ELNS1_11target_archE1100ELNS1_3gpuE3ELNS1_3repE0EEENS1_30default_config_static_selectorELNS0_4arch9wavefront6targetE1EEEvT1_,"axG",@progbits,_ZN7rocprim17ROCPRIM_400000_NS6detail17trampoline_kernelINS0_14default_configENS1_27scan_by_key_config_selectorIxxEEZZNS1_16scan_by_key_implILNS1_25lookback_scan_determinismE0ELb0ES3_N6thrust23THRUST_200600_302600_NS6detail15normal_iteratorINS9_10device_ptrIxEEEENS9_18transform_iteratorINS9_6negateIxEESE_NS9_11use_defaultESI_EESE_xNS9_4plusIvEENS9_8equal_toIvEExEE10hipError_tPvRmT2_T3_T4_T5_mT6_T7_P12ihipStream_tbENKUlT_T0_E_clISt17integral_constantIbLb0EES13_IbLb1EEEEDaSZ_S10_EUlSZ_E_NS1_11comp_targetILNS1_3genE9ELNS1_11target_archE1100ELNS1_3gpuE3ELNS1_3repE0EEENS1_30default_config_static_selectorELNS0_4arch9wavefront6targetE1EEEvT1_,comdat
.Lfunc_end927:
	.size	_ZN7rocprim17ROCPRIM_400000_NS6detail17trampoline_kernelINS0_14default_configENS1_27scan_by_key_config_selectorIxxEEZZNS1_16scan_by_key_implILNS1_25lookback_scan_determinismE0ELb0ES3_N6thrust23THRUST_200600_302600_NS6detail15normal_iteratorINS9_10device_ptrIxEEEENS9_18transform_iteratorINS9_6negateIxEESE_NS9_11use_defaultESI_EESE_xNS9_4plusIvEENS9_8equal_toIvEExEE10hipError_tPvRmT2_T3_T4_T5_mT6_T7_P12ihipStream_tbENKUlT_T0_E_clISt17integral_constantIbLb0EES13_IbLb1EEEEDaSZ_S10_EUlSZ_E_NS1_11comp_targetILNS1_3genE9ELNS1_11target_archE1100ELNS1_3gpuE3ELNS1_3repE0EEENS1_30default_config_static_selectorELNS0_4arch9wavefront6targetE1EEEvT1_, .Lfunc_end927-_ZN7rocprim17ROCPRIM_400000_NS6detail17trampoline_kernelINS0_14default_configENS1_27scan_by_key_config_selectorIxxEEZZNS1_16scan_by_key_implILNS1_25lookback_scan_determinismE0ELb0ES3_N6thrust23THRUST_200600_302600_NS6detail15normal_iteratorINS9_10device_ptrIxEEEENS9_18transform_iteratorINS9_6negateIxEESE_NS9_11use_defaultESI_EESE_xNS9_4plusIvEENS9_8equal_toIvEExEE10hipError_tPvRmT2_T3_T4_T5_mT6_T7_P12ihipStream_tbENKUlT_T0_E_clISt17integral_constantIbLb0EES13_IbLb1EEEEDaSZ_S10_EUlSZ_E_NS1_11comp_targetILNS1_3genE9ELNS1_11target_archE1100ELNS1_3gpuE3ELNS1_3repE0EEENS1_30default_config_static_selectorELNS0_4arch9wavefront6targetE1EEEvT1_
                                        ; -- End function
	.section	.AMDGPU.csdata,"",@progbits
; Kernel info:
; codeLenInByte = 0
; NumSgprs: 6
; NumVgprs: 0
; NumAgprs: 0
; TotalNumVgprs: 0
; ScratchSize: 0
; MemoryBound: 0
; FloatMode: 240
; IeeeMode: 1
; LDSByteSize: 0 bytes/workgroup (compile time only)
; SGPRBlocks: 0
; VGPRBlocks: 0
; NumSGPRsForWavesPerEU: 6
; NumVGPRsForWavesPerEU: 1
; AccumOffset: 4
; Occupancy: 8
; WaveLimiterHint : 0
; COMPUTE_PGM_RSRC2:SCRATCH_EN: 0
; COMPUTE_PGM_RSRC2:USER_SGPR: 2
; COMPUTE_PGM_RSRC2:TRAP_HANDLER: 0
; COMPUTE_PGM_RSRC2:TGID_X_EN: 1
; COMPUTE_PGM_RSRC2:TGID_Y_EN: 0
; COMPUTE_PGM_RSRC2:TGID_Z_EN: 0
; COMPUTE_PGM_RSRC2:TIDIG_COMP_CNT: 0
; COMPUTE_PGM_RSRC3_GFX90A:ACCUM_OFFSET: 0
; COMPUTE_PGM_RSRC3_GFX90A:TG_SPLIT: 0
	.section	.text._ZN7rocprim17ROCPRIM_400000_NS6detail17trampoline_kernelINS0_14default_configENS1_27scan_by_key_config_selectorIxxEEZZNS1_16scan_by_key_implILNS1_25lookback_scan_determinismE0ELb0ES3_N6thrust23THRUST_200600_302600_NS6detail15normal_iteratorINS9_10device_ptrIxEEEENS9_18transform_iteratorINS9_6negateIxEESE_NS9_11use_defaultESI_EESE_xNS9_4plusIvEENS9_8equal_toIvEExEE10hipError_tPvRmT2_T3_T4_T5_mT6_T7_P12ihipStream_tbENKUlT_T0_E_clISt17integral_constantIbLb0EES13_IbLb1EEEEDaSZ_S10_EUlSZ_E_NS1_11comp_targetILNS1_3genE8ELNS1_11target_archE1030ELNS1_3gpuE2ELNS1_3repE0EEENS1_30default_config_static_selectorELNS0_4arch9wavefront6targetE1EEEvT1_,"axG",@progbits,_ZN7rocprim17ROCPRIM_400000_NS6detail17trampoline_kernelINS0_14default_configENS1_27scan_by_key_config_selectorIxxEEZZNS1_16scan_by_key_implILNS1_25lookback_scan_determinismE0ELb0ES3_N6thrust23THRUST_200600_302600_NS6detail15normal_iteratorINS9_10device_ptrIxEEEENS9_18transform_iteratorINS9_6negateIxEESE_NS9_11use_defaultESI_EESE_xNS9_4plusIvEENS9_8equal_toIvEExEE10hipError_tPvRmT2_T3_T4_T5_mT6_T7_P12ihipStream_tbENKUlT_T0_E_clISt17integral_constantIbLb0EES13_IbLb1EEEEDaSZ_S10_EUlSZ_E_NS1_11comp_targetILNS1_3genE8ELNS1_11target_archE1030ELNS1_3gpuE2ELNS1_3repE0EEENS1_30default_config_static_selectorELNS0_4arch9wavefront6targetE1EEEvT1_,comdat
	.protected	_ZN7rocprim17ROCPRIM_400000_NS6detail17trampoline_kernelINS0_14default_configENS1_27scan_by_key_config_selectorIxxEEZZNS1_16scan_by_key_implILNS1_25lookback_scan_determinismE0ELb0ES3_N6thrust23THRUST_200600_302600_NS6detail15normal_iteratorINS9_10device_ptrIxEEEENS9_18transform_iteratorINS9_6negateIxEESE_NS9_11use_defaultESI_EESE_xNS9_4plusIvEENS9_8equal_toIvEExEE10hipError_tPvRmT2_T3_T4_T5_mT6_T7_P12ihipStream_tbENKUlT_T0_E_clISt17integral_constantIbLb0EES13_IbLb1EEEEDaSZ_S10_EUlSZ_E_NS1_11comp_targetILNS1_3genE8ELNS1_11target_archE1030ELNS1_3gpuE2ELNS1_3repE0EEENS1_30default_config_static_selectorELNS0_4arch9wavefront6targetE1EEEvT1_ ; -- Begin function _ZN7rocprim17ROCPRIM_400000_NS6detail17trampoline_kernelINS0_14default_configENS1_27scan_by_key_config_selectorIxxEEZZNS1_16scan_by_key_implILNS1_25lookback_scan_determinismE0ELb0ES3_N6thrust23THRUST_200600_302600_NS6detail15normal_iteratorINS9_10device_ptrIxEEEENS9_18transform_iteratorINS9_6negateIxEESE_NS9_11use_defaultESI_EESE_xNS9_4plusIvEENS9_8equal_toIvEExEE10hipError_tPvRmT2_T3_T4_T5_mT6_T7_P12ihipStream_tbENKUlT_T0_E_clISt17integral_constantIbLb0EES13_IbLb1EEEEDaSZ_S10_EUlSZ_E_NS1_11comp_targetILNS1_3genE8ELNS1_11target_archE1030ELNS1_3gpuE2ELNS1_3repE0EEENS1_30default_config_static_selectorELNS0_4arch9wavefront6targetE1EEEvT1_
	.globl	_ZN7rocprim17ROCPRIM_400000_NS6detail17trampoline_kernelINS0_14default_configENS1_27scan_by_key_config_selectorIxxEEZZNS1_16scan_by_key_implILNS1_25lookback_scan_determinismE0ELb0ES3_N6thrust23THRUST_200600_302600_NS6detail15normal_iteratorINS9_10device_ptrIxEEEENS9_18transform_iteratorINS9_6negateIxEESE_NS9_11use_defaultESI_EESE_xNS9_4plusIvEENS9_8equal_toIvEExEE10hipError_tPvRmT2_T3_T4_T5_mT6_T7_P12ihipStream_tbENKUlT_T0_E_clISt17integral_constantIbLb0EES13_IbLb1EEEEDaSZ_S10_EUlSZ_E_NS1_11comp_targetILNS1_3genE8ELNS1_11target_archE1030ELNS1_3gpuE2ELNS1_3repE0EEENS1_30default_config_static_selectorELNS0_4arch9wavefront6targetE1EEEvT1_
	.p2align	8
	.type	_ZN7rocprim17ROCPRIM_400000_NS6detail17trampoline_kernelINS0_14default_configENS1_27scan_by_key_config_selectorIxxEEZZNS1_16scan_by_key_implILNS1_25lookback_scan_determinismE0ELb0ES3_N6thrust23THRUST_200600_302600_NS6detail15normal_iteratorINS9_10device_ptrIxEEEENS9_18transform_iteratorINS9_6negateIxEESE_NS9_11use_defaultESI_EESE_xNS9_4plusIvEENS9_8equal_toIvEExEE10hipError_tPvRmT2_T3_T4_T5_mT6_T7_P12ihipStream_tbENKUlT_T0_E_clISt17integral_constantIbLb0EES13_IbLb1EEEEDaSZ_S10_EUlSZ_E_NS1_11comp_targetILNS1_3genE8ELNS1_11target_archE1030ELNS1_3gpuE2ELNS1_3repE0EEENS1_30default_config_static_selectorELNS0_4arch9wavefront6targetE1EEEvT1_,@function
_ZN7rocprim17ROCPRIM_400000_NS6detail17trampoline_kernelINS0_14default_configENS1_27scan_by_key_config_selectorIxxEEZZNS1_16scan_by_key_implILNS1_25lookback_scan_determinismE0ELb0ES3_N6thrust23THRUST_200600_302600_NS6detail15normal_iteratorINS9_10device_ptrIxEEEENS9_18transform_iteratorINS9_6negateIxEESE_NS9_11use_defaultESI_EESE_xNS9_4plusIvEENS9_8equal_toIvEExEE10hipError_tPvRmT2_T3_T4_T5_mT6_T7_P12ihipStream_tbENKUlT_T0_E_clISt17integral_constantIbLb0EES13_IbLb1EEEEDaSZ_S10_EUlSZ_E_NS1_11comp_targetILNS1_3genE8ELNS1_11target_archE1030ELNS1_3gpuE2ELNS1_3repE0EEENS1_30default_config_static_selectorELNS0_4arch9wavefront6targetE1EEEvT1_: ; @_ZN7rocprim17ROCPRIM_400000_NS6detail17trampoline_kernelINS0_14default_configENS1_27scan_by_key_config_selectorIxxEEZZNS1_16scan_by_key_implILNS1_25lookback_scan_determinismE0ELb0ES3_N6thrust23THRUST_200600_302600_NS6detail15normal_iteratorINS9_10device_ptrIxEEEENS9_18transform_iteratorINS9_6negateIxEESE_NS9_11use_defaultESI_EESE_xNS9_4plusIvEENS9_8equal_toIvEExEE10hipError_tPvRmT2_T3_T4_T5_mT6_T7_P12ihipStream_tbENKUlT_T0_E_clISt17integral_constantIbLb0EES13_IbLb1EEEEDaSZ_S10_EUlSZ_E_NS1_11comp_targetILNS1_3genE8ELNS1_11target_archE1030ELNS1_3gpuE2ELNS1_3repE0EEENS1_30default_config_static_selectorELNS0_4arch9wavefront6targetE1EEEvT1_
; %bb.0:
	.section	.rodata,"a",@progbits
	.p2align	6, 0x0
	.amdhsa_kernel _ZN7rocprim17ROCPRIM_400000_NS6detail17trampoline_kernelINS0_14default_configENS1_27scan_by_key_config_selectorIxxEEZZNS1_16scan_by_key_implILNS1_25lookback_scan_determinismE0ELb0ES3_N6thrust23THRUST_200600_302600_NS6detail15normal_iteratorINS9_10device_ptrIxEEEENS9_18transform_iteratorINS9_6negateIxEESE_NS9_11use_defaultESI_EESE_xNS9_4plusIvEENS9_8equal_toIvEExEE10hipError_tPvRmT2_T3_T4_T5_mT6_T7_P12ihipStream_tbENKUlT_T0_E_clISt17integral_constantIbLb0EES13_IbLb1EEEEDaSZ_S10_EUlSZ_E_NS1_11comp_targetILNS1_3genE8ELNS1_11target_archE1030ELNS1_3gpuE2ELNS1_3repE0EEENS1_30default_config_static_selectorELNS0_4arch9wavefront6targetE1EEEvT1_
		.amdhsa_group_segment_fixed_size 0
		.amdhsa_private_segment_fixed_size 0
		.amdhsa_kernarg_size 144
		.amdhsa_user_sgpr_count 2
		.amdhsa_user_sgpr_dispatch_ptr 0
		.amdhsa_user_sgpr_queue_ptr 0
		.amdhsa_user_sgpr_kernarg_segment_ptr 1
		.amdhsa_user_sgpr_dispatch_id 0
		.amdhsa_user_sgpr_kernarg_preload_length 0
		.amdhsa_user_sgpr_kernarg_preload_offset 0
		.amdhsa_user_sgpr_private_segment_size 0
		.amdhsa_uses_dynamic_stack 0
		.amdhsa_enable_private_segment 0
		.amdhsa_system_sgpr_workgroup_id_x 1
		.amdhsa_system_sgpr_workgroup_id_y 0
		.amdhsa_system_sgpr_workgroup_id_z 0
		.amdhsa_system_sgpr_workgroup_info 0
		.amdhsa_system_vgpr_workitem_id 0
		.amdhsa_next_free_vgpr 1
		.amdhsa_next_free_sgpr 0
		.amdhsa_accum_offset 4
		.amdhsa_reserve_vcc 0
		.amdhsa_float_round_mode_32 0
		.amdhsa_float_round_mode_16_64 0
		.amdhsa_float_denorm_mode_32 3
		.amdhsa_float_denorm_mode_16_64 3
		.amdhsa_dx10_clamp 1
		.amdhsa_ieee_mode 1
		.amdhsa_fp16_overflow 0
		.amdhsa_tg_split 0
		.amdhsa_exception_fp_ieee_invalid_op 0
		.amdhsa_exception_fp_denorm_src 0
		.amdhsa_exception_fp_ieee_div_zero 0
		.amdhsa_exception_fp_ieee_overflow 0
		.amdhsa_exception_fp_ieee_underflow 0
		.amdhsa_exception_fp_ieee_inexact 0
		.amdhsa_exception_int_div_zero 0
	.end_amdhsa_kernel
	.section	.text._ZN7rocprim17ROCPRIM_400000_NS6detail17trampoline_kernelINS0_14default_configENS1_27scan_by_key_config_selectorIxxEEZZNS1_16scan_by_key_implILNS1_25lookback_scan_determinismE0ELb0ES3_N6thrust23THRUST_200600_302600_NS6detail15normal_iteratorINS9_10device_ptrIxEEEENS9_18transform_iteratorINS9_6negateIxEESE_NS9_11use_defaultESI_EESE_xNS9_4plusIvEENS9_8equal_toIvEExEE10hipError_tPvRmT2_T3_T4_T5_mT6_T7_P12ihipStream_tbENKUlT_T0_E_clISt17integral_constantIbLb0EES13_IbLb1EEEEDaSZ_S10_EUlSZ_E_NS1_11comp_targetILNS1_3genE8ELNS1_11target_archE1030ELNS1_3gpuE2ELNS1_3repE0EEENS1_30default_config_static_selectorELNS0_4arch9wavefront6targetE1EEEvT1_,"axG",@progbits,_ZN7rocprim17ROCPRIM_400000_NS6detail17trampoline_kernelINS0_14default_configENS1_27scan_by_key_config_selectorIxxEEZZNS1_16scan_by_key_implILNS1_25lookback_scan_determinismE0ELb0ES3_N6thrust23THRUST_200600_302600_NS6detail15normal_iteratorINS9_10device_ptrIxEEEENS9_18transform_iteratorINS9_6negateIxEESE_NS9_11use_defaultESI_EESE_xNS9_4plusIvEENS9_8equal_toIvEExEE10hipError_tPvRmT2_T3_T4_T5_mT6_T7_P12ihipStream_tbENKUlT_T0_E_clISt17integral_constantIbLb0EES13_IbLb1EEEEDaSZ_S10_EUlSZ_E_NS1_11comp_targetILNS1_3genE8ELNS1_11target_archE1030ELNS1_3gpuE2ELNS1_3repE0EEENS1_30default_config_static_selectorELNS0_4arch9wavefront6targetE1EEEvT1_,comdat
.Lfunc_end928:
	.size	_ZN7rocprim17ROCPRIM_400000_NS6detail17trampoline_kernelINS0_14default_configENS1_27scan_by_key_config_selectorIxxEEZZNS1_16scan_by_key_implILNS1_25lookback_scan_determinismE0ELb0ES3_N6thrust23THRUST_200600_302600_NS6detail15normal_iteratorINS9_10device_ptrIxEEEENS9_18transform_iteratorINS9_6negateIxEESE_NS9_11use_defaultESI_EESE_xNS9_4plusIvEENS9_8equal_toIvEExEE10hipError_tPvRmT2_T3_T4_T5_mT6_T7_P12ihipStream_tbENKUlT_T0_E_clISt17integral_constantIbLb0EES13_IbLb1EEEEDaSZ_S10_EUlSZ_E_NS1_11comp_targetILNS1_3genE8ELNS1_11target_archE1030ELNS1_3gpuE2ELNS1_3repE0EEENS1_30default_config_static_selectorELNS0_4arch9wavefront6targetE1EEEvT1_, .Lfunc_end928-_ZN7rocprim17ROCPRIM_400000_NS6detail17trampoline_kernelINS0_14default_configENS1_27scan_by_key_config_selectorIxxEEZZNS1_16scan_by_key_implILNS1_25lookback_scan_determinismE0ELb0ES3_N6thrust23THRUST_200600_302600_NS6detail15normal_iteratorINS9_10device_ptrIxEEEENS9_18transform_iteratorINS9_6negateIxEESE_NS9_11use_defaultESI_EESE_xNS9_4plusIvEENS9_8equal_toIvEExEE10hipError_tPvRmT2_T3_T4_T5_mT6_T7_P12ihipStream_tbENKUlT_T0_E_clISt17integral_constantIbLb0EES13_IbLb1EEEEDaSZ_S10_EUlSZ_E_NS1_11comp_targetILNS1_3genE8ELNS1_11target_archE1030ELNS1_3gpuE2ELNS1_3repE0EEENS1_30default_config_static_selectorELNS0_4arch9wavefront6targetE1EEEvT1_
                                        ; -- End function
	.section	.AMDGPU.csdata,"",@progbits
; Kernel info:
; codeLenInByte = 0
; NumSgprs: 6
; NumVgprs: 0
; NumAgprs: 0
; TotalNumVgprs: 0
; ScratchSize: 0
; MemoryBound: 0
; FloatMode: 240
; IeeeMode: 1
; LDSByteSize: 0 bytes/workgroup (compile time only)
; SGPRBlocks: 0
; VGPRBlocks: 0
; NumSGPRsForWavesPerEU: 6
; NumVGPRsForWavesPerEU: 1
; AccumOffset: 4
; Occupancy: 8
; WaveLimiterHint : 0
; COMPUTE_PGM_RSRC2:SCRATCH_EN: 0
; COMPUTE_PGM_RSRC2:USER_SGPR: 2
; COMPUTE_PGM_RSRC2:TRAP_HANDLER: 0
; COMPUTE_PGM_RSRC2:TGID_X_EN: 1
; COMPUTE_PGM_RSRC2:TGID_Y_EN: 0
; COMPUTE_PGM_RSRC2:TGID_Z_EN: 0
; COMPUTE_PGM_RSRC2:TIDIG_COMP_CNT: 0
; COMPUTE_PGM_RSRC3_GFX90A:ACCUM_OFFSET: 0
; COMPUTE_PGM_RSRC3_GFX90A:TG_SPLIT: 0
	.section	.text._ZN7rocprim17ROCPRIM_400000_NS6detail17trampoline_kernelINS0_14default_configENS1_27scan_by_key_config_selectorIiiEEZZNS1_16scan_by_key_implILNS1_25lookback_scan_determinismE0ELb0ES3_N6thrust23THRUST_200600_302600_NS6detail15normal_iteratorINS9_10device_ptrIiEEEENS9_18transform_iteratorINS9_6negateIiEESE_NS9_11use_defaultESI_EESE_iNS9_4plusIvEENS9_8equal_toIvEEiEE10hipError_tPvRmT2_T3_T4_T5_mT6_T7_P12ihipStream_tbENKUlT_T0_E_clISt17integral_constantIbLb0EES14_EEDaSZ_S10_EUlSZ_E_NS1_11comp_targetILNS1_3genE0ELNS1_11target_archE4294967295ELNS1_3gpuE0ELNS1_3repE0EEENS1_30default_config_static_selectorELNS0_4arch9wavefront6targetE1EEEvT1_,"axG",@progbits,_ZN7rocprim17ROCPRIM_400000_NS6detail17trampoline_kernelINS0_14default_configENS1_27scan_by_key_config_selectorIiiEEZZNS1_16scan_by_key_implILNS1_25lookback_scan_determinismE0ELb0ES3_N6thrust23THRUST_200600_302600_NS6detail15normal_iteratorINS9_10device_ptrIiEEEENS9_18transform_iteratorINS9_6negateIiEESE_NS9_11use_defaultESI_EESE_iNS9_4plusIvEENS9_8equal_toIvEEiEE10hipError_tPvRmT2_T3_T4_T5_mT6_T7_P12ihipStream_tbENKUlT_T0_E_clISt17integral_constantIbLb0EES14_EEDaSZ_S10_EUlSZ_E_NS1_11comp_targetILNS1_3genE0ELNS1_11target_archE4294967295ELNS1_3gpuE0ELNS1_3repE0EEENS1_30default_config_static_selectorELNS0_4arch9wavefront6targetE1EEEvT1_,comdat
	.protected	_ZN7rocprim17ROCPRIM_400000_NS6detail17trampoline_kernelINS0_14default_configENS1_27scan_by_key_config_selectorIiiEEZZNS1_16scan_by_key_implILNS1_25lookback_scan_determinismE0ELb0ES3_N6thrust23THRUST_200600_302600_NS6detail15normal_iteratorINS9_10device_ptrIiEEEENS9_18transform_iteratorINS9_6negateIiEESE_NS9_11use_defaultESI_EESE_iNS9_4plusIvEENS9_8equal_toIvEEiEE10hipError_tPvRmT2_T3_T4_T5_mT6_T7_P12ihipStream_tbENKUlT_T0_E_clISt17integral_constantIbLb0EES14_EEDaSZ_S10_EUlSZ_E_NS1_11comp_targetILNS1_3genE0ELNS1_11target_archE4294967295ELNS1_3gpuE0ELNS1_3repE0EEENS1_30default_config_static_selectorELNS0_4arch9wavefront6targetE1EEEvT1_ ; -- Begin function _ZN7rocprim17ROCPRIM_400000_NS6detail17trampoline_kernelINS0_14default_configENS1_27scan_by_key_config_selectorIiiEEZZNS1_16scan_by_key_implILNS1_25lookback_scan_determinismE0ELb0ES3_N6thrust23THRUST_200600_302600_NS6detail15normal_iteratorINS9_10device_ptrIiEEEENS9_18transform_iteratorINS9_6negateIiEESE_NS9_11use_defaultESI_EESE_iNS9_4plusIvEENS9_8equal_toIvEEiEE10hipError_tPvRmT2_T3_T4_T5_mT6_T7_P12ihipStream_tbENKUlT_T0_E_clISt17integral_constantIbLb0EES14_EEDaSZ_S10_EUlSZ_E_NS1_11comp_targetILNS1_3genE0ELNS1_11target_archE4294967295ELNS1_3gpuE0ELNS1_3repE0EEENS1_30default_config_static_selectorELNS0_4arch9wavefront6targetE1EEEvT1_
	.globl	_ZN7rocprim17ROCPRIM_400000_NS6detail17trampoline_kernelINS0_14default_configENS1_27scan_by_key_config_selectorIiiEEZZNS1_16scan_by_key_implILNS1_25lookback_scan_determinismE0ELb0ES3_N6thrust23THRUST_200600_302600_NS6detail15normal_iteratorINS9_10device_ptrIiEEEENS9_18transform_iteratorINS9_6negateIiEESE_NS9_11use_defaultESI_EESE_iNS9_4plusIvEENS9_8equal_toIvEEiEE10hipError_tPvRmT2_T3_T4_T5_mT6_T7_P12ihipStream_tbENKUlT_T0_E_clISt17integral_constantIbLb0EES14_EEDaSZ_S10_EUlSZ_E_NS1_11comp_targetILNS1_3genE0ELNS1_11target_archE4294967295ELNS1_3gpuE0ELNS1_3repE0EEENS1_30default_config_static_selectorELNS0_4arch9wavefront6targetE1EEEvT1_
	.p2align	8
	.type	_ZN7rocprim17ROCPRIM_400000_NS6detail17trampoline_kernelINS0_14default_configENS1_27scan_by_key_config_selectorIiiEEZZNS1_16scan_by_key_implILNS1_25lookback_scan_determinismE0ELb0ES3_N6thrust23THRUST_200600_302600_NS6detail15normal_iteratorINS9_10device_ptrIiEEEENS9_18transform_iteratorINS9_6negateIiEESE_NS9_11use_defaultESI_EESE_iNS9_4plusIvEENS9_8equal_toIvEEiEE10hipError_tPvRmT2_T3_T4_T5_mT6_T7_P12ihipStream_tbENKUlT_T0_E_clISt17integral_constantIbLb0EES14_EEDaSZ_S10_EUlSZ_E_NS1_11comp_targetILNS1_3genE0ELNS1_11target_archE4294967295ELNS1_3gpuE0ELNS1_3repE0EEENS1_30default_config_static_selectorELNS0_4arch9wavefront6targetE1EEEvT1_,@function
_ZN7rocprim17ROCPRIM_400000_NS6detail17trampoline_kernelINS0_14default_configENS1_27scan_by_key_config_selectorIiiEEZZNS1_16scan_by_key_implILNS1_25lookback_scan_determinismE0ELb0ES3_N6thrust23THRUST_200600_302600_NS6detail15normal_iteratorINS9_10device_ptrIiEEEENS9_18transform_iteratorINS9_6negateIiEESE_NS9_11use_defaultESI_EESE_iNS9_4plusIvEENS9_8equal_toIvEEiEE10hipError_tPvRmT2_T3_T4_T5_mT6_T7_P12ihipStream_tbENKUlT_T0_E_clISt17integral_constantIbLb0EES14_EEDaSZ_S10_EUlSZ_E_NS1_11comp_targetILNS1_3genE0ELNS1_11target_archE4294967295ELNS1_3gpuE0ELNS1_3repE0EEENS1_30default_config_static_selectorELNS0_4arch9wavefront6targetE1EEEvT1_: ; @_ZN7rocprim17ROCPRIM_400000_NS6detail17trampoline_kernelINS0_14default_configENS1_27scan_by_key_config_selectorIiiEEZZNS1_16scan_by_key_implILNS1_25lookback_scan_determinismE0ELb0ES3_N6thrust23THRUST_200600_302600_NS6detail15normal_iteratorINS9_10device_ptrIiEEEENS9_18transform_iteratorINS9_6negateIiEESE_NS9_11use_defaultESI_EESE_iNS9_4plusIvEENS9_8equal_toIvEEiEE10hipError_tPvRmT2_T3_T4_T5_mT6_T7_P12ihipStream_tbENKUlT_T0_E_clISt17integral_constantIbLb0EES14_EEDaSZ_S10_EUlSZ_E_NS1_11comp_targetILNS1_3genE0ELNS1_11target_archE4294967295ELNS1_3gpuE0ELNS1_3repE0EEENS1_30default_config_static_selectorELNS0_4arch9wavefront6targetE1EEEvT1_
; %bb.0:
	.section	.rodata,"a",@progbits
	.p2align	6, 0x0
	.amdhsa_kernel _ZN7rocprim17ROCPRIM_400000_NS6detail17trampoline_kernelINS0_14default_configENS1_27scan_by_key_config_selectorIiiEEZZNS1_16scan_by_key_implILNS1_25lookback_scan_determinismE0ELb0ES3_N6thrust23THRUST_200600_302600_NS6detail15normal_iteratorINS9_10device_ptrIiEEEENS9_18transform_iteratorINS9_6negateIiEESE_NS9_11use_defaultESI_EESE_iNS9_4plusIvEENS9_8equal_toIvEEiEE10hipError_tPvRmT2_T3_T4_T5_mT6_T7_P12ihipStream_tbENKUlT_T0_E_clISt17integral_constantIbLb0EES14_EEDaSZ_S10_EUlSZ_E_NS1_11comp_targetILNS1_3genE0ELNS1_11target_archE4294967295ELNS1_3gpuE0ELNS1_3repE0EEENS1_30default_config_static_selectorELNS0_4arch9wavefront6targetE1EEEvT1_
		.amdhsa_group_segment_fixed_size 0
		.amdhsa_private_segment_fixed_size 0
		.amdhsa_kernarg_size 120
		.amdhsa_user_sgpr_count 2
		.amdhsa_user_sgpr_dispatch_ptr 0
		.amdhsa_user_sgpr_queue_ptr 0
		.amdhsa_user_sgpr_kernarg_segment_ptr 1
		.amdhsa_user_sgpr_dispatch_id 0
		.amdhsa_user_sgpr_kernarg_preload_length 0
		.amdhsa_user_sgpr_kernarg_preload_offset 0
		.amdhsa_user_sgpr_private_segment_size 0
		.amdhsa_uses_dynamic_stack 0
		.amdhsa_enable_private_segment 0
		.amdhsa_system_sgpr_workgroup_id_x 1
		.amdhsa_system_sgpr_workgroup_id_y 0
		.amdhsa_system_sgpr_workgroup_id_z 0
		.amdhsa_system_sgpr_workgroup_info 0
		.amdhsa_system_vgpr_workitem_id 0
		.amdhsa_next_free_vgpr 1
		.amdhsa_next_free_sgpr 0
		.amdhsa_accum_offset 4
		.amdhsa_reserve_vcc 0
		.amdhsa_float_round_mode_32 0
		.amdhsa_float_round_mode_16_64 0
		.amdhsa_float_denorm_mode_32 3
		.amdhsa_float_denorm_mode_16_64 3
		.amdhsa_dx10_clamp 1
		.amdhsa_ieee_mode 1
		.amdhsa_fp16_overflow 0
		.amdhsa_tg_split 0
		.amdhsa_exception_fp_ieee_invalid_op 0
		.amdhsa_exception_fp_denorm_src 0
		.amdhsa_exception_fp_ieee_div_zero 0
		.amdhsa_exception_fp_ieee_overflow 0
		.amdhsa_exception_fp_ieee_underflow 0
		.amdhsa_exception_fp_ieee_inexact 0
		.amdhsa_exception_int_div_zero 0
	.end_amdhsa_kernel
	.section	.text._ZN7rocprim17ROCPRIM_400000_NS6detail17trampoline_kernelINS0_14default_configENS1_27scan_by_key_config_selectorIiiEEZZNS1_16scan_by_key_implILNS1_25lookback_scan_determinismE0ELb0ES3_N6thrust23THRUST_200600_302600_NS6detail15normal_iteratorINS9_10device_ptrIiEEEENS9_18transform_iteratorINS9_6negateIiEESE_NS9_11use_defaultESI_EESE_iNS9_4plusIvEENS9_8equal_toIvEEiEE10hipError_tPvRmT2_T3_T4_T5_mT6_T7_P12ihipStream_tbENKUlT_T0_E_clISt17integral_constantIbLb0EES14_EEDaSZ_S10_EUlSZ_E_NS1_11comp_targetILNS1_3genE0ELNS1_11target_archE4294967295ELNS1_3gpuE0ELNS1_3repE0EEENS1_30default_config_static_selectorELNS0_4arch9wavefront6targetE1EEEvT1_,"axG",@progbits,_ZN7rocprim17ROCPRIM_400000_NS6detail17trampoline_kernelINS0_14default_configENS1_27scan_by_key_config_selectorIiiEEZZNS1_16scan_by_key_implILNS1_25lookback_scan_determinismE0ELb0ES3_N6thrust23THRUST_200600_302600_NS6detail15normal_iteratorINS9_10device_ptrIiEEEENS9_18transform_iteratorINS9_6negateIiEESE_NS9_11use_defaultESI_EESE_iNS9_4plusIvEENS9_8equal_toIvEEiEE10hipError_tPvRmT2_T3_T4_T5_mT6_T7_P12ihipStream_tbENKUlT_T0_E_clISt17integral_constantIbLb0EES14_EEDaSZ_S10_EUlSZ_E_NS1_11comp_targetILNS1_3genE0ELNS1_11target_archE4294967295ELNS1_3gpuE0ELNS1_3repE0EEENS1_30default_config_static_selectorELNS0_4arch9wavefront6targetE1EEEvT1_,comdat
.Lfunc_end929:
	.size	_ZN7rocprim17ROCPRIM_400000_NS6detail17trampoline_kernelINS0_14default_configENS1_27scan_by_key_config_selectorIiiEEZZNS1_16scan_by_key_implILNS1_25lookback_scan_determinismE0ELb0ES3_N6thrust23THRUST_200600_302600_NS6detail15normal_iteratorINS9_10device_ptrIiEEEENS9_18transform_iteratorINS9_6negateIiEESE_NS9_11use_defaultESI_EESE_iNS9_4plusIvEENS9_8equal_toIvEEiEE10hipError_tPvRmT2_T3_T4_T5_mT6_T7_P12ihipStream_tbENKUlT_T0_E_clISt17integral_constantIbLb0EES14_EEDaSZ_S10_EUlSZ_E_NS1_11comp_targetILNS1_3genE0ELNS1_11target_archE4294967295ELNS1_3gpuE0ELNS1_3repE0EEENS1_30default_config_static_selectorELNS0_4arch9wavefront6targetE1EEEvT1_, .Lfunc_end929-_ZN7rocprim17ROCPRIM_400000_NS6detail17trampoline_kernelINS0_14default_configENS1_27scan_by_key_config_selectorIiiEEZZNS1_16scan_by_key_implILNS1_25lookback_scan_determinismE0ELb0ES3_N6thrust23THRUST_200600_302600_NS6detail15normal_iteratorINS9_10device_ptrIiEEEENS9_18transform_iteratorINS9_6negateIiEESE_NS9_11use_defaultESI_EESE_iNS9_4plusIvEENS9_8equal_toIvEEiEE10hipError_tPvRmT2_T3_T4_T5_mT6_T7_P12ihipStream_tbENKUlT_T0_E_clISt17integral_constantIbLb0EES14_EEDaSZ_S10_EUlSZ_E_NS1_11comp_targetILNS1_3genE0ELNS1_11target_archE4294967295ELNS1_3gpuE0ELNS1_3repE0EEENS1_30default_config_static_selectorELNS0_4arch9wavefront6targetE1EEEvT1_
                                        ; -- End function
	.section	.AMDGPU.csdata,"",@progbits
; Kernel info:
; codeLenInByte = 0
; NumSgprs: 6
; NumVgprs: 0
; NumAgprs: 0
; TotalNumVgprs: 0
; ScratchSize: 0
; MemoryBound: 0
; FloatMode: 240
; IeeeMode: 1
; LDSByteSize: 0 bytes/workgroup (compile time only)
; SGPRBlocks: 0
; VGPRBlocks: 0
; NumSGPRsForWavesPerEU: 6
; NumVGPRsForWavesPerEU: 1
; AccumOffset: 4
; Occupancy: 8
; WaveLimiterHint : 0
; COMPUTE_PGM_RSRC2:SCRATCH_EN: 0
; COMPUTE_PGM_RSRC2:USER_SGPR: 2
; COMPUTE_PGM_RSRC2:TRAP_HANDLER: 0
; COMPUTE_PGM_RSRC2:TGID_X_EN: 1
; COMPUTE_PGM_RSRC2:TGID_Y_EN: 0
; COMPUTE_PGM_RSRC2:TGID_Z_EN: 0
; COMPUTE_PGM_RSRC2:TIDIG_COMP_CNT: 0
; COMPUTE_PGM_RSRC3_GFX90A:ACCUM_OFFSET: 0
; COMPUTE_PGM_RSRC3_GFX90A:TG_SPLIT: 0
	.section	.text._ZN7rocprim17ROCPRIM_400000_NS6detail17trampoline_kernelINS0_14default_configENS1_27scan_by_key_config_selectorIiiEEZZNS1_16scan_by_key_implILNS1_25lookback_scan_determinismE0ELb0ES3_N6thrust23THRUST_200600_302600_NS6detail15normal_iteratorINS9_10device_ptrIiEEEENS9_18transform_iteratorINS9_6negateIiEESE_NS9_11use_defaultESI_EESE_iNS9_4plusIvEENS9_8equal_toIvEEiEE10hipError_tPvRmT2_T3_T4_T5_mT6_T7_P12ihipStream_tbENKUlT_T0_E_clISt17integral_constantIbLb0EES14_EEDaSZ_S10_EUlSZ_E_NS1_11comp_targetILNS1_3genE10ELNS1_11target_archE1201ELNS1_3gpuE5ELNS1_3repE0EEENS1_30default_config_static_selectorELNS0_4arch9wavefront6targetE1EEEvT1_,"axG",@progbits,_ZN7rocprim17ROCPRIM_400000_NS6detail17trampoline_kernelINS0_14default_configENS1_27scan_by_key_config_selectorIiiEEZZNS1_16scan_by_key_implILNS1_25lookback_scan_determinismE0ELb0ES3_N6thrust23THRUST_200600_302600_NS6detail15normal_iteratorINS9_10device_ptrIiEEEENS9_18transform_iteratorINS9_6negateIiEESE_NS9_11use_defaultESI_EESE_iNS9_4plusIvEENS9_8equal_toIvEEiEE10hipError_tPvRmT2_T3_T4_T5_mT6_T7_P12ihipStream_tbENKUlT_T0_E_clISt17integral_constantIbLb0EES14_EEDaSZ_S10_EUlSZ_E_NS1_11comp_targetILNS1_3genE10ELNS1_11target_archE1201ELNS1_3gpuE5ELNS1_3repE0EEENS1_30default_config_static_selectorELNS0_4arch9wavefront6targetE1EEEvT1_,comdat
	.protected	_ZN7rocprim17ROCPRIM_400000_NS6detail17trampoline_kernelINS0_14default_configENS1_27scan_by_key_config_selectorIiiEEZZNS1_16scan_by_key_implILNS1_25lookback_scan_determinismE0ELb0ES3_N6thrust23THRUST_200600_302600_NS6detail15normal_iteratorINS9_10device_ptrIiEEEENS9_18transform_iteratorINS9_6negateIiEESE_NS9_11use_defaultESI_EESE_iNS9_4plusIvEENS9_8equal_toIvEEiEE10hipError_tPvRmT2_T3_T4_T5_mT6_T7_P12ihipStream_tbENKUlT_T0_E_clISt17integral_constantIbLb0EES14_EEDaSZ_S10_EUlSZ_E_NS1_11comp_targetILNS1_3genE10ELNS1_11target_archE1201ELNS1_3gpuE5ELNS1_3repE0EEENS1_30default_config_static_selectorELNS0_4arch9wavefront6targetE1EEEvT1_ ; -- Begin function _ZN7rocprim17ROCPRIM_400000_NS6detail17trampoline_kernelINS0_14default_configENS1_27scan_by_key_config_selectorIiiEEZZNS1_16scan_by_key_implILNS1_25lookback_scan_determinismE0ELb0ES3_N6thrust23THRUST_200600_302600_NS6detail15normal_iteratorINS9_10device_ptrIiEEEENS9_18transform_iteratorINS9_6negateIiEESE_NS9_11use_defaultESI_EESE_iNS9_4plusIvEENS9_8equal_toIvEEiEE10hipError_tPvRmT2_T3_T4_T5_mT6_T7_P12ihipStream_tbENKUlT_T0_E_clISt17integral_constantIbLb0EES14_EEDaSZ_S10_EUlSZ_E_NS1_11comp_targetILNS1_3genE10ELNS1_11target_archE1201ELNS1_3gpuE5ELNS1_3repE0EEENS1_30default_config_static_selectorELNS0_4arch9wavefront6targetE1EEEvT1_
	.globl	_ZN7rocprim17ROCPRIM_400000_NS6detail17trampoline_kernelINS0_14default_configENS1_27scan_by_key_config_selectorIiiEEZZNS1_16scan_by_key_implILNS1_25lookback_scan_determinismE0ELb0ES3_N6thrust23THRUST_200600_302600_NS6detail15normal_iteratorINS9_10device_ptrIiEEEENS9_18transform_iteratorINS9_6negateIiEESE_NS9_11use_defaultESI_EESE_iNS9_4plusIvEENS9_8equal_toIvEEiEE10hipError_tPvRmT2_T3_T4_T5_mT6_T7_P12ihipStream_tbENKUlT_T0_E_clISt17integral_constantIbLb0EES14_EEDaSZ_S10_EUlSZ_E_NS1_11comp_targetILNS1_3genE10ELNS1_11target_archE1201ELNS1_3gpuE5ELNS1_3repE0EEENS1_30default_config_static_selectorELNS0_4arch9wavefront6targetE1EEEvT1_
	.p2align	8
	.type	_ZN7rocprim17ROCPRIM_400000_NS6detail17trampoline_kernelINS0_14default_configENS1_27scan_by_key_config_selectorIiiEEZZNS1_16scan_by_key_implILNS1_25lookback_scan_determinismE0ELb0ES3_N6thrust23THRUST_200600_302600_NS6detail15normal_iteratorINS9_10device_ptrIiEEEENS9_18transform_iteratorINS9_6negateIiEESE_NS9_11use_defaultESI_EESE_iNS9_4plusIvEENS9_8equal_toIvEEiEE10hipError_tPvRmT2_T3_T4_T5_mT6_T7_P12ihipStream_tbENKUlT_T0_E_clISt17integral_constantIbLb0EES14_EEDaSZ_S10_EUlSZ_E_NS1_11comp_targetILNS1_3genE10ELNS1_11target_archE1201ELNS1_3gpuE5ELNS1_3repE0EEENS1_30default_config_static_selectorELNS0_4arch9wavefront6targetE1EEEvT1_,@function
_ZN7rocprim17ROCPRIM_400000_NS6detail17trampoline_kernelINS0_14default_configENS1_27scan_by_key_config_selectorIiiEEZZNS1_16scan_by_key_implILNS1_25lookback_scan_determinismE0ELb0ES3_N6thrust23THRUST_200600_302600_NS6detail15normal_iteratorINS9_10device_ptrIiEEEENS9_18transform_iteratorINS9_6negateIiEESE_NS9_11use_defaultESI_EESE_iNS9_4plusIvEENS9_8equal_toIvEEiEE10hipError_tPvRmT2_T3_T4_T5_mT6_T7_P12ihipStream_tbENKUlT_T0_E_clISt17integral_constantIbLb0EES14_EEDaSZ_S10_EUlSZ_E_NS1_11comp_targetILNS1_3genE10ELNS1_11target_archE1201ELNS1_3gpuE5ELNS1_3repE0EEENS1_30default_config_static_selectorELNS0_4arch9wavefront6targetE1EEEvT1_: ; @_ZN7rocprim17ROCPRIM_400000_NS6detail17trampoline_kernelINS0_14default_configENS1_27scan_by_key_config_selectorIiiEEZZNS1_16scan_by_key_implILNS1_25lookback_scan_determinismE0ELb0ES3_N6thrust23THRUST_200600_302600_NS6detail15normal_iteratorINS9_10device_ptrIiEEEENS9_18transform_iteratorINS9_6negateIiEESE_NS9_11use_defaultESI_EESE_iNS9_4plusIvEENS9_8equal_toIvEEiEE10hipError_tPvRmT2_T3_T4_T5_mT6_T7_P12ihipStream_tbENKUlT_T0_E_clISt17integral_constantIbLb0EES14_EEDaSZ_S10_EUlSZ_E_NS1_11comp_targetILNS1_3genE10ELNS1_11target_archE1201ELNS1_3gpuE5ELNS1_3repE0EEENS1_30default_config_static_selectorELNS0_4arch9wavefront6targetE1EEEvT1_
; %bb.0:
	.section	.rodata,"a",@progbits
	.p2align	6, 0x0
	.amdhsa_kernel _ZN7rocprim17ROCPRIM_400000_NS6detail17trampoline_kernelINS0_14default_configENS1_27scan_by_key_config_selectorIiiEEZZNS1_16scan_by_key_implILNS1_25lookback_scan_determinismE0ELb0ES3_N6thrust23THRUST_200600_302600_NS6detail15normal_iteratorINS9_10device_ptrIiEEEENS9_18transform_iteratorINS9_6negateIiEESE_NS9_11use_defaultESI_EESE_iNS9_4plusIvEENS9_8equal_toIvEEiEE10hipError_tPvRmT2_T3_T4_T5_mT6_T7_P12ihipStream_tbENKUlT_T0_E_clISt17integral_constantIbLb0EES14_EEDaSZ_S10_EUlSZ_E_NS1_11comp_targetILNS1_3genE10ELNS1_11target_archE1201ELNS1_3gpuE5ELNS1_3repE0EEENS1_30default_config_static_selectorELNS0_4arch9wavefront6targetE1EEEvT1_
		.amdhsa_group_segment_fixed_size 0
		.amdhsa_private_segment_fixed_size 0
		.amdhsa_kernarg_size 120
		.amdhsa_user_sgpr_count 2
		.amdhsa_user_sgpr_dispatch_ptr 0
		.amdhsa_user_sgpr_queue_ptr 0
		.amdhsa_user_sgpr_kernarg_segment_ptr 1
		.amdhsa_user_sgpr_dispatch_id 0
		.amdhsa_user_sgpr_kernarg_preload_length 0
		.amdhsa_user_sgpr_kernarg_preload_offset 0
		.amdhsa_user_sgpr_private_segment_size 0
		.amdhsa_uses_dynamic_stack 0
		.amdhsa_enable_private_segment 0
		.amdhsa_system_sgpr_workgroup_id_x 1
		.amdhsa_system_sgpr_workgroup_id_y 0
		.amdhsa_system_sgpr_workgroup_id_z 0
		.amdhsa_system_sgpr_workgroup_info 0
		.amdhsa_system_vgpr_workitem_id 0
		.amdhsa_next_free_vgpr 1
		.amdhsa_next_free_sgpr 0
		.amdhsa_accum_offset 4
		.amdhsa_reserve_vcc 0
		.amdhsa_float_round_mode_32 0
		.amdhsa_float_round_mode_16_64 0
		.amdhsa_float_denorm_mode_32 3
		.amdhsa_float_denorm_mode_16_64 3
		.amdhsa_dx10_clamp 1
		.amdhsa_ieee_mode 1
		.amdhsa_fp16_overflow 0
		.amdhsa_tg_split 0
		.amdhsa_exception_fp_ieee_invalid_op 0
		.amdhsa_exception_fp_denorm_src 0
		.amdhsa_exception_fp_ieee_div_zero 0
		.amdhsa_exception_fp_ieee_overflow 0
		.amdhsa_exception_fp_ieee_underflow 0
		.amdhsa_exception_fp_ieee_inexact 0
		.amdhsa_exception_int_div_zero 0
	.end_amdhsa_kernel
	.section	.text._ZN7rocprim17ROCPRIM_400000_NS6detail17trampoline_kernelINS0_14default_configENS1_27scan_by_key_config_selectorIiiEEZZNS1_16scan_by_key_implILNS1_25lookback_scan_determinismE0ELb0ES3_N6thrust23THRUST_200600_302600_NS6detail15normal_iteratorINS9_10device_ptrIiEEEENS9_18transform_iteratorINS9_6negateIiEESE_NS9_11use_defaultESI_EESE_iNS9_4plusIvEENS9_8equal_toIvEEiEE10hipError_tPvRmT2_T3_T4_T5_mT6_T7_P12ihipStream_tbENKUlT_T0_E_clISt17integral_constantIbLb0EES14_EEDaSZ_S10_EUlSZ_E_NS1_11comp_targetILNS1_3genE10ELNS1_11target_archE1201ELNS1_3gpuE5ELNS1_3repE0EEENS1_30default_config_static_selectorELNS0_4arch9wavefront6targetE1EEEvT1_,"axG",@progbits,_ZN7rocprim17ROCPRIM_400000_NS6detail17trampoline_kernelINS0_14default_configENS1_27scan_by_key_config_selectorIiiEEZZNS1_16scan_by_key_implILNS1_25lookback_scan_determinismE0ELb0ES3_N6thrust23THRUST_200600_302600_NS6detail15normal_iteratorINS9_10device_ptrIiEEEENS9_18transform_iteratorINS9_6negateIiEESE_NS9_11use_defaultESI_EESE_iNS9_4plusIvEENS9_8equal_toIvEEiEE10hipError_tPvRmT2_T3_T4_T5_mT6_T7_P12ihipStream_tbENKUlT_T0_E_clISt17integral_constantIbLb0EES14_EEDaSZ_S10_EUlSZ_E_NS1_11comp_targetILNS1_3genE10ELNS1_11target_archE1201ELNS1_3gpuE5ELNS1_3repE0EEENS1_30default_config_static_selectorELNS0_4arch9wavefront6targetE1EEEvT1_,comdat
.Lfunc_end930:
	.size	_ZN7rocprim17ROCPRIM_400000_NS6detail17trampoline_kernelINS0_14default_configENS1_27scan_by_key_config_selectorIiiEEZZNS1_16scan_by_key_implILNS1_25lookback_scan_determinismE0ELb0ES3_N6thrust23THRUST_200600_302600_NS6detail15normal_iteratorINS9_10device_ptrIiEEEENS9_18transform_iteratorINS9_6negateIiEESE_NS9_11use_defaultESI_EESE_iNS9_4plusIvEENS9_8equal_toIvEEiEE10hipError_tPvRmT2_T3_T4_T5_mT6_T7_P12ihipStream_tbENKUlT_T0_E_clISt17integral_constantIbLb0EES14_EEDaSZ_S10_EUlSZ_E_NS1_11comp_targetILNS1_3genE10ELNS1_11target_archE1201ELNS1_3gpuE5ELNS1_3repE0EEENS1_30default_config_static_selectorELNS0_4arch9wavefront6targetE1EEEvT1_, .Lfunc_end930-_ZN7rocprim17ROCPRIM_400000_NS6detail17trampoline_kernelINS0_14default_configENS1_27scan_by_key_config_selectorIiiEEZZNS1_16scan_by_key_implILNS1_25lookback_scan_determinismE0ELb0ES3_N6thrust23THRUST_200600_302600_NS6detail15normal_iteratorINS9_10device_ptrIiEEEENS9_18transform_iteratorINS9_6negateIiEESE_NS9_11use_defaultESI_EESE_iNS9_4plusIvEENS9_8equal_toIvEEiEE10hipError_tPvRmT2_T3_T4_T5_mT6_T7_P12ihipStream_tbENKUlT_T0_E_clISt17integral_constantIbLb0EES14_EEDaSZ_S10_EUlSZ_E_NS1_11comp_targetILNS1_3genE10ELNS1_11target_archE1201ELNS1_3gpuE5ELNS1_3repE0EEENS1_30default_config_static_selectorELNS0_4arch9wavefront6targetE1EEEvT1_
                                        ; -- End function
	.section	.AMDGPU.csdata,"",@progbits
; Kernel info:
; codeLenInByte = 0
; NumSgprs: 6
; NumVgprs: 0
; NumAgprs: 0
; TotalNumVgprs: 0
; ScratchSize: 0
; MemoryBound: 0
; FloatMode: 240
; IeeeMode: 1
; LDSByteSize: 0 bytes/workgroup (compile time only)
; SGPRBlocks: 0
; VGPRBlocks: 0
; NumSGPRsForWavesPerEU: 6
; NumVGPRsForWavesPerEU: 1
; AccumOffset: 4
; Occupancy: 8
; WaveLimiterHint : 0
; COMPUTE_PGM_RSRC2:SCRATCH_EN: 0
; COMPUTE_PGM_RSRC2:USER_SGPR: 2
; COMPUTE_PGM_RSRC2:TRAP_HANDLER: 0
; COMPUTE_PGM_RSRC2:TGID_X_EN: 1
; COMPUTE_PGM_RSRC2:TGID_Y_EN: 0
; COMPUTE_PGM_RSRC2:TGID_Z_EN: 0
; COMPUTE_PGM_RSRC2:TIDIG_COMP_CNT: 0
; COMPUTE_PGM_RSRC3_GFX90A:ACCUM_OFFSET: 0
; COMPUTE_PGM_RSRC3_GFX90A:TG_SPLIT: 0
	.section	.text._ZN7rocprim17ROCPRIM_400000_NS6detail17trampoline_kernelINS0_14default_configENS1_27scan_by_key_config_selectorIiiEEZZNS1_16scan_by_key_implILNS1_25lookback_scan_determinismE0ELb0ES3_N6thrust23THRUST_200600_302600_NS6detail15normal_iteratorINS9_10device_ptrIiEEEENS9_18transform_iteratorINS9_6negateIiEESE_NS9_11use_defaultESI_EESE_iNS9_4plusIvEENS9_8equal_toIvEEiEE10hipError_tPvRmT2_T3_T4_T5_mT6_T7_P12ihipStream_tbENKUlT_T0_E_clISt17integral_constantIbLb0EES14_EEDaSZ_S10_EUlSZ_E_NS1_11comp_targetILNS1_3genE5ELNS1_11target_archE942ELNS1_3gpuE9ELNS1_3repE0EEENS1_30default_config_static_selectorELNS0_4arch9wavefront6targetE1EEEvT1_,"axG",@progbits,_ZN7rocprim17ROCPRIM_400000_NS6detail17trampoline_kernelINS0_14default_configENS1_27scan_by_key_config_selectorIiiEEZZNS1_16scan_by_key_implILNS1_25lookback_scan_determinismE0ELb0ES3_N6thrust23THRUST_200600_302600_NS6detail15normal_iteratorINS9_10device_ptrIiEEEENS9_18transform_iteratorINS9_6negateIiEESE_NS9_11use_defaultESI_EESE_iNS9_4plusIvEENS9_8equal_toIvEEiEE10hipError_tPvRmT2_T3_T4_T5_mT6_T7_P12ihipStream_tbENKUlT_T0_E_clISt17integral_constantIbLb0EES14_EEDaSZ_S10_EUlSZ_E_NS1_11comp_targetILNS1_3genE5ELNS1_11target_archE942ELNS1_3gpuE9ELNS1_3repE0EEENS1_30default_config_static_selectorELNS0_4arch9wavefront6targetE1EEEvT1_,comdat
	.protected	_ZN7rocprim17ROCPRIM_400000_NS6detail17trampoline_kernelINS0_14default_configENS1_27scan_by_key_config_selectorIiiEEZZNS1_16scan_by_key_implILNS1_25lookback_scan_determinismE0ELb0ES3_N6thrust23THRUST_200600_302600_NS6detail15normal_iteratorINS9_10device_ptrIiEEEENS9_18transform_iteratorINS9_6negateIiEESE_NS9_11use_defaultESI_EESE_iNS9_4plusIvEENS9_8equal_toIvEEiEE10hipError_tPvRmT2_T3_T4_T5_mT6_T7_P12ihipStream_tbENKUlT_T0_E_clISt17integral_constantIbLb0EES14_EEDaSZ_S10_EUlSZ_E_NS1_11comp_targetILNS1_3genE5ELNS1_11target_archE942ELNS1_3gpuE9ELNS1_3repE0EEENS1_30default_config_static_selectorELNS0_4arch9wavefront6targetE1EEEvT1_ ; -- Begin function _ZN7rocprim17ROCPRIM_400000_NS6detail17trampoline_kernelINS0_14default_configENS1_27scan_by_key_config_selectorIiiEEZZNS1_16scan_by_key_implILNS1_25lookback_scan_determinismE0ELb0ES3_N6thrust23THRUST_200600_302600_NS6detail15normal_iteratorINS9_10device_ptrIiEEEENS9_18transform_iteratorINS9_6negateIiEESE_NS9_11use_defaultESI_EESE_iNS9_4plusIvEENS9_8equal_toIvEEiEE10hipError_tPvRmT2_T3_T4_T5_mT6_T7_P12ihipStream_tbENKUlT_T0_E_clISt17integral_constantIbLb0EES14_EEDaSZ_S10_EUlSZ_E_NS1_11comp_targetILNS1_3genE5ELNS1_11target_archE942ELNS1_3gpuE9ELNS1_3repE0EEENS1_30default_config_static_selectorELNS0_4arch9wavefront6targetE1EEEvT1_
	.globl	_ZN7rocprim17ROCPRIM_400000_NS6detail17trampoline_kernelINS0_14default_configENS1_27scan_by_key_config_selectorIiiEEZZNS1_16scan_by_key_implILNS1_25lookback_scan_determinismE0ELb0ES3_N6thrust23THRUST_200600_302600_NS6detail15normal_iteratorINS9_10device_ptrIiEEEENS9_18transform_iteratorINS9_6negateIiEESE_NS9_11use_defaultESI_EESE_iNS9_4plusIvEENS9_8equal_toIvEEiEE10hipError_tPvRmT2_T3_T4_T5_mT6_T7_P12ihipStream_tbENKUlT_T0_E_clISt17integral_constantIbLb0EES14_EEDaSZ_S10_EUlSZ_E_NS1_11comp_targetILNS1_3genE5ELNS1_11target_archE942ELNS1_3gpuE9ELNS1_3repE0EEENS1_30default_config_static_selectorELNS0_4arch9wavefront6targetE1EEEvT1_
	.p2align	8
	.type	_ZN7rocprim17ROCPRIM_400000_NS6detail17trampoline_kernelINS0_14default_configENS1_27scan_by_key_config_selectorIiiEEZZNS1_16scan_by_key_implILNS1_25lookback_scan_determinismE0ELb0ES3_N6thrust23THRUST_200600_302600_NS6detail15normal_iteratorINS9_10device_ptrIiEEEENS9_18transform_iteratorINS9_6negateIiEESE_NS9_11use_defaultESI_EESE_iNS9_4plusIvEENS9_8equal_toIvEEiEE10hipError_tPvRmT2_T3_T4_T5_mT6_T7_P12ihipStream_tbENKUlT_T0_E_clISt17integral_constantIbLb0EES14_EEDaSZ_S10_EUlSZ_E_NS1_11comp_targetILNS1_3genE5ELNS1_11target_archE942ELNS1_3gpuE9ELNS1_3repE0EEENS1_30default_config_static_selectorELNS0_4arch9wavefront6targetE1EEEvT1_,@function
_ZN7rocprim17ROCPRIM_400000_NS6detail17trampoline_kernelINS0_14default_configENS1_27scan_by_key_config_selectorIiiEEZZNS1_16scan_by_key_implILNS1_25lookback_scan_determinismE0ELb0ES3_N6thrust23THRUST_200600_302600_NS6detail15normal_iteratorINS9_10device_ptrIiEEEENS9_18transform_iteratorINS9_6negateIiEESE_NS9_11use_defaultESI_EESE_iNS9_4plusIvEENS9_8equal_toIvEEiEE10hipError_tPvRmT2_T3_T4_T5_mT6_T7_P12ihipStream_tbENKUlT_T0_E_clISt17integral_constantIbLb0EES14_EEDaSZ_S10_EUlSZ_E_NS1_11comp_targetILNS1_3genE5ELNS1_11target_archE942ELNS1_3gpuE9ELNS1_3repE0EEENS1_30default_config_static_selectorELNS0_4arch9wavefront6targetE1EEEvT1_: ; @_ZN7rocprim17ROCPRIM_400000_NS6detail17trampoline_kernelINS0_14default_configENS1_27scan_by_key_config_selectorIiiEEZZNS1_16scan_by_key_implILNS1_25lookback_scan_determinismE0ELb0ES3_N6thrust23THRUST_200600_302600_NS6detail15normal_iteratorINS9_10device_ptrIiEEEENS9_18transform_iteratorINS9_6negateIiEESE_NS9_11use_defaultESI_EESE_iNS9_4plusIvEENS9_8equal_toIvEEiEE10hipError_tPvRmT2_T3_T4_T5_mT6_T7_P12ihipStream_tbENKUlT_T0_E_clISt17integral_constantIbLb0EES14_EEDaSZ_S10_EUlSZ_E_NS1_11comp_targetILNS1_3genE5ELNS1_11target_archE942ELNS1_3gpuE9ELNS1_3repE0EEENS1_30default_config_static_selectorELNS0_4arch9wavefront6targetE1EEEvT1_
; %bb.0:
	s_load_dwordx4 s[4:7], s[0:1], 0x0
	s_load_dwordx2 s[8:9], s[0:1], 0x10
	s_load_dwordx4 s[64:67], s[0:1], 0x30
	s_load_dwordx2 s[70:71], s[0:1], 0x40
	s_load_dword s3, s[0:1], 0x48
	s_load_dwordx8 s[56:63], s[0:1], 0x50
	s_waitcnt lgkmcnt(0)
	s_lshl_b64 s[68:69], s[6:7], 2
	s_add_u32 s6, s4, s68
	s_addc_u32 s7, s5, s69
	s_add_u32 s8, s8, s68
	s_mul_i32 s4, s71, s3
	s_mul_hi_u32 s5, s70, s3
	s_addc_u32 s9, s9, s69
	s_add_i32 s12, s5, s4
	s_cmp_lg_u64 s[60:61], 0
	s_mul_i32 s4, s2, 0x1700
	s_mov_b32 s5, 0
	s_cselect_b64 s[74:75], -1, 0
	s_lshl_b64 s[60:61], s[4:5], 2
	s_add_u32 s72, s6, s60
	s_addc_u32 s73, s7, s61
	s_add_u32 s52, s8, s60
	s_mul_i32 s3, s70, s3
	s_addc_u32 s53, s9, s61
	s_add_u32 s76, s3, s2
	s_addc_u32 s77, s12, 0
	s_add_u32 s4, s56, -1
	s_addc_u32 s5, s57, -1
	v_mov_b64_e32 v[2:3], s[4:5]
	v_cmp_ge_u64_e64 s[54:55], s[76:77], v[2:3]
	s_mov_b64 s[10:11], 0
	s_mov_b64 s[6:7], -1
	s_and_b64 vcc, exec, s[54:55]
	s_mul_i32 s33, s4, 0xffffe900
	s_barrier
	s_cbranch_vccz .LBB931_122
; %bb.1:
	v_mov_b64_e32 v[2:3], s[72:73]
	flat_load_dword v1, v[2:3]
	s_add_i32 s3, s33, s66
	v_cmp_gt_u32_e64 s[4:5], s3, v0
	s_waitcnt vmcnt(0) lgkmcnt(0)
	v_mov_b32_e32 v4, v1
	s_and_saveexec_b64 s[6:7], s[4:5]
	s_cbranch_execz .LBB931_3
; %bb.2:
	v_lshlrev_b32_e32 v2, 2, v0
	v_mov_b32_e32 v3, 0
	v_lshl_add_u64 v[2:3], s[72:73], 0, v[2:3]
	flat_load_dword v4, v[2:3]
.LBB931_3:
	s_or_b64 exec, exec, s[6:7]
	v_or_b32_e32 v2, 0x100, v0
	v_cmp_gt_u32_e64 s[6:7], s3, v2
	v_mov_b32_e32 v5, v1
	s_and_saveexec_b64 s[8:9], s[6:7]
	s_cbranch_execz .LBB931_5
; %bb.4:
	v_lshlrev_b32_e32 v2, 2, v0
	v_mov_b32_e32 v3, 0
	v_lshl_add_u64 v[2:3], s[72:73], 0, v[2:3]
	flat_load_dword v5, v[2:3] offset:1024
.LBB931_5:
	s_or_b64 exec, exec, s[8:9]
	v_or_b32_e32 v2, 0x200, v0
	v_cmp_gt_u32_e64 s[8:9], s3, v2
	v_mov_b32_e32 v6, v1
	s_and_saveexec_b64 s[10:11], s[8:9]
	s_cbranch_execz .LBB931_7
; %bb.6:
	v_lshlrev_b32_e32 v2, 2, v0
	v_mov_b32_e32 v3, 0
	v_lshl_add_u64 v[2:3], s[72:73], 0, v[2:3]
	flat_load_dword v6, v[2:3] offset:2048
.LBB931_7:
	;; [unrolled: 12-line block ×3, first 2 shown]
	s_or_b64 exec, exec, s[12:13]
	v_or_b32_e32 v2, 0x400, v0
	v_cmp_gt_u32_e64 s[12:13], s3, v2
	v_lshlrev_b32_e32 v2, 2, v2
	v_mov_b32_e32 v8, v1
	s_and_saveexec_b64 s[14:15], s[12:13]
	s_cbranch_execz .LBB931_11
; %bb.10:
	v_mov_b32_e32 v3, 0
	v_lshl_add_u64 v[8:9], s[72:73], 0, v[2:3]
	flat_load_dword v8, v[8:9]
.LBB931_11:
	s_or_b64 exec, exec, s[14:15]
	v_or_b32_e32 v3, 0x500, v0
	v_cmp_gt_u32_e64 s[14:15], s3, v3
	v_lshlrev_b32_e32 v10, 2, v3
	v_mov_b32_e32 v9, v1
	s_and_saveexec_b64 s[16:17], s[14:15]
	s_cbranch_execz .LBB931_13
; %bb.12:
	v_mov_b32_e32 v11, 0
	v_lshl_add_u64 v[12:13], s[72:73], 0, v[10:11]
	flat_load_dword v9, v[12:13]
.LBB931_13:
	;; [unrolled: 12-line block ×18, first 2 shown]
	s_or_b64 exec, exec, s[50:51]
	v_or_b32_e32 v3, 0x1600, v0
	v_cmp_gt_u32_e64 s[50:51], s3, v3
	v_lshlrev_b32_e32 v44, 2, v3
	s_and_saveexec_b64 s[56:57], s[50:51]
	s_cbranch_execz .LBB931_47
; %bb.46:
	v_mov_b32_e32 v45, 0
	v_lshl_add_u64 v[46:47], s[72:73], 0, v[44:45]
	flat_load_dword v1, v[46:47]
.LBB931_47:
	s_or_b64 exec, exec, s[56:57]
	v_lshlrev_b32_e32 v3, 2, v0
	s_movk_i32 s56, 0x58
	s_waitcnt vmcnt(0) lgkmcnt(0)
	ds_write2st64_b32 v3, v4, v5 offset1:4
	ds_write2st64_b32 v3, v6, v7 offset0:8 offset1:12
	ds_write2st64_b32 v3, v8, v9 offset0:16 offset1:20
	;; [unrolled: 1-line block ×10, first 2 shown]
	ds_write_b32 v3, v1 offset:22528
	v_mad_u32_u24 v1, v0, s56, v3
	s_waitcnt lgkmcnt(0)
	s_barrier
	ds_read2_b32 v[68:69], v1 offset1:1
	ds_read2_b32 v[66:67], v1 offset0:2 offset1:3
	ds_read2_b32 v[64:65], v1 offset0:4 offset1:5
	;; [unrolled: 1-line block ×10, first 2 shown]
	ds_read_b32 v72, v1 offset:88
	s_cmp_eq_u64 s[76:77], 0
	s_mov_b64 s[56:57], s[72:73]
	s_cbranch_scc1 .LBB931_51
; %bb.48:
	s_andn2_b64 vcc, exec, s[74:75]
	s_cbranch_vccnz .LBB931_263
; %bb.49:
	s_lshl_b64 s[56:57], s[76:77], 2
	s_add_u32 s56, s62, s56
	s_addc_u32 s57, s63, s57
	s_add_u32 s56, s56, -4
	s_addc_u32 s57, s57, -1
	s_cbranch_execnz .LBB931_51
.LBB931_50:
	s_add_u32 s56, s72, -4
	s_addc_u32 s57, s73, -1
.LBB931_51:
	v_mov_b64_e32 v[46:47], s[56:57]
	flat_load_dword v70, v[46:47]
	s_movk_i32 s56, 0xffa8
	v_mad_i32_i24 v11, v0, s56, v1
	v_cmp_ne_u32_e32 vcc, 0, v0
	s_waitcnt lgkmcnt(0)
	ds_write_b32 v11, v72 offset:23552
	s_waitcnt lgkmcnt(0)
	s_barrier
	s_and_saveexec_b64 s[56:57], vcc
	s_cbranch_execz .LBB931_53
; %bb.52:
	v_mul_i32_i24_e32 v11, 0xffffffa8, v0
	v_add_u32_e32 v11, v1, v11
	s_waitcnt vmcnt(0)
	ds_read_b32 v70, v11 offset:23548
.LBB931_53:
	s_or_b64 exec, exec, s[56:57]
	s_waitcnt lgkmcnt(0)
	s_barrier
	s_waitcnt lgkmcnt(0)
                                        ; implicit-def: $vgpr11
	s_and_saveexec_b64 s[56:57], s[4:5]
	s_cbranch_execnz .LBB931_239
; %bb.54:
	s_or_b64 exec, exec, s[56:57]
                                        ; implicit-def: $vgpr13
	s_and_saveexec_b64 s[4:5], s[6:7]
	s_cbranch_execnz .LBB931_240
.LBB931_55:
	s_or_b64 exec, exec, s[4:5]
                                        ; implicit-def: $vgpr15
	s_and_saveexec_b64 s[4:5], s[8:9]
	s_cbranch_execnz .LBB931_241
.LBB931_56:
	s_or_b64 exec, exec, s[4:5]
                                        ; implicit-def: $vgpr17
	s_and_saveexec_b64 s[4:5], s[10:11]
	s_cbranch_execnz .LBB931_242
.LBB931_57:
	s_or_b64 exec, exec, s[4:5]
                                        ; implicit-def: $vgpr19
	s_and_saveexec_b64 s[4:5], s[12:13]
	s_cbranch_execnz .LBB931_243
.LBB931_58:
	s_or_b64 exec, exec, s[4:5]
                                        ; implicit-def: $vgpr2
	s_and_saveexec_b64 s[4:5], s[14:15]
	s_cbranch_execnz .LBB931_244
.LBB931_59:
	s_or_b64 exec, exec, s[4:5]
                                        ; implicit-def: $vgpr10
	s_and_saveexec_b64 s[4:5], s[16:17]
	s_cbranch_execnz .LBB931_245
.LBB931_60:
	s_or_b64 exec, exec, s[4:5]
                                        ; implicit-def: $vgpr12
	s_and_saveexec_b64 s[4:5], s[18:19]
	s_cbranch_execnz .LBB931_246
.LBB931_61:
	s_or_b64 exec, exec, s[4:5]
                                        ; implicit-def: $vgpr14
	s_and_saveexec_b64 s[4:5], s[20:21]
	s_cbranch_execnz .LBB931_247
.LBB931_62:
	s_or_b64 exec, exec, s[4:5]
                                        ; implicit-def: $vgpr16
	s_and_saveexec_b64 s[4:5], s[22:23]
	s_cbranch_execnz .LBB931_248
.LBB931_63:
	s_or_b64 exec, exec, s[4:5]
                                        ; implicit-def: $vgpr18
	s_and_saveexec_b64 s[4:5], s[24:25]
	s_cbranch_execnz .LBB931_249
.LBB931_64:
	s_or_b64 exec, exec, s[4:5]
                                        ; implicit-def: $vgpr20
	s_and_saveexec_b64 s[4:5], s[26:27]
	s_cbranch_execnz .LBB931_250
.LBB931_65:
	s_or_b64 exec, exec, s[4:5]
                                        ; implicit-def: $vgpr21
	s_and_saveexec_b64 s[4:5], s[28:29]
	s_cbranch_execnz .LBB931_251
.LBB931_66:
	s_or_b64 exec, exec, s[4:5]
                                        ; implicit-def: $vgpr22
	s_and_saveexec_b64 s[4:5], s[30:31]
	s_cbranch_execnz .LBB931_252
.LBB931_67:
	s_or_b64 exec, exec, s[4:5]
                                        ; implicit-def: $vgpr23
	s_and_saveexec_b64 s[4:5], s[34:35]
	s_cbranch_execnz .LBB931_253
.LBB931_68:
	s_or_b64 exec, exec, s[4:5]
                                        ; implicit-def: $vgpr24
	s_and_saveexec_b64 s[4:5], s[36:37]
	s_cbranch_execnz .LBB931_254
.LBB931_69:
	s_or_b64 exec, exec, s[4:5]
                                        ; implicit-def: $vgpr25
	s_and_saveexec_b64 s[4:5], s[38:39]
	s_cbranch_execnz .LBB931_255
.LBB931_70:
	s_or_b64 exec, exec, s[4:5]
                                        ; implicit-def: $vgpr26
	s_and_saveexec_b64 s[4:5], s[40:41]
	s_cbranch_execnz .LBB931_256
.LBB931_71:
	s_or_b64 exec, exec, s[4:5]
                                        ; implicit-def: $vgpr27
	s_and_saveexec_b64 s[4:5], s[42:43]
	s_cbranch_execnz .LBB931_257
.LBB931_72:
	s_or_b64 exec, exec, s[4:5]
                                        ; implicit-def: $vgpr28
	s_and_saveexec_b64 s[4:5], s[44:45]
	s_cbranch_execnz .LBB931_258
.LBB931_73:
	s_or_b64 exec, exec, s[4:5]
                                        ; implicit-def: $vgpr29
	s_and_saveexec_b64 s[4:5], s[46:47]
	s_cbranch_execnz .LBB931_259
.LBB931_74:
	s_or_b64 exec, exec, s[4:5]
                                        ; implicit-def: $vgpr30
	s_and_saveexec_b64 s[4:5], s[48:49]
	s_cbranch_execnz .LBB931_260
.LBB931_75:
	s_or_b64 exec, exec, s[4:5]
                                        ; implicit-def: $vgpr31
	s_and_saveexec_b64 s[4:5], s[50:51]
	s_cbranch_execz .LBB931_77
.LBB931_76:
	global_load_dword v31, v44, s[52:53]
	s_waitcnt vmcnt(0)
	v_sub_u32_e32 v31, 0, v31
.LBB931_77:
	s_or_b64 exec, exec, s[4:5]
	v_mul_u32_u24_e32 v73, 23, v0
	ds_write2st64_b32 v3, v11, v13 offset1:4
	ds_write2st64_b32 v3, v15, v17 offset0:8 offset1:12
	ds_write2st64_b32 v3, v19, v2 offset0:16 offset1:20
	ds_write2st64_b32 v3, v10, v12 offset0:24 offset1:28
	ds_write2st64_b32 v3, v14, v16 offset0:32 offset1:36
	ds_write2st64_b32 v3, v18, v20 offset0:40 offset1:44
	ds_write2st64_b32 v3, v21, v22 offset0:48 offset1:52
	ds_write2st64_b32 v3, v23, v24 offset0:56 offset1:60
	ds_write2st64_b32 v3, v25, v26 offset0:64 offset1:68
	ds_write2st64_b32 v3, v27, v28 offset0:72 offset1:76
	ds_write2st64_b32 v3, v29, v30 offset0:80 offset1:84
	ds_write_b32 v3, v31 offset:22528
	v_mov_b64_e32 v[10:11], 0
	v_cmp_gt_u32_e32 vcc, s3, v73
	s_mov_b64 s[10:11], 0
	s_mov_b64 s[6:7], 0
	v_mov_b64_e32 v[12:13], v[10:11]
	v_mov_b64_e32 v[14:15], v[10:11]
	;; [unrolled: 1-line block ×21, first 2 shown]
	s_waitcnt lgkmcnt(0)
	s_barrier
	s_waitcnt lgkmcnt(0)
                                        ; implicit-def: $sgpr4_sgpr5
                                        ; implicit-def: $vgpr3
	s_and_saveexec_b64 s[8:9], vcc
	s_cbranch_execz .LBB931_121
; %bb.78:
	ds_read_b32 v10, v1
	v_add_u32_e32 v2, 1, v73
	s_waitcnt vmcnt(0)
	v_cmp_ne_u32_e32 vcc, v70, v68
	v_mov_b64_e32 v[12:13], 0
	s_mov_b64 s[12:13], 0
	v_cndmask_b32_e64 v11, 0, 1, vcc
	v_cmp_gt_u32_e32 vcc, s3, v2
	s_mov_b64 s[4:5], 0
	v_mov_b64_e32 v[14:15], v[12:13]
	v_mov_b64_e32 v[16:17], v[12:13]
	;; [unrolled: 1-line block ×20, first 2 shown]
                                        ; implicit-def: $sgpr14_sgpr15
                                        ; implicit-def: $vgpr3
	s_and_saveexec_b64 s[10:11], vcc
	s_cbranch_execz .LBB931_120
; %bb.79:
	ds_read2_b32 v[70:71], v1 offset0:1 offset1:2
	v_add_u32_e32 v2, 2, v73
	v_cmp_ne_u32_e32 vcc, v68, v69
	v_mov_b64_e32 v[14:15], 0
	s_mov_b64 s[16:17], 0
	v_cndmask_b32_e64 v13, 0, 1, vcc
	v_cmp_gt_u32_e32 vcc, s3, v2
	s_waitcnt lgkmcnt(0)
	v_mov_b32_e32 v12, v70
	v_mov_b64_e32 v[16:17], v[14:15]
	v_mov_b64_e32 v[18:19], v[14:15]
	;; [unrolled: 1-line block ×19, first 2 shown]
                                        ; implicit-def: $sgpr14_sgpr15
                                        ; implicit-def: $vgpr3
	s_and_saveexec_b64 s[12:13], vcc
	s_cbranch_execz .LBB931_119
; %bb.80:
	v_add_u32_e32 v2, 3, v73
	v_cmp_ne_u32_e32 vcc, v69, v66
	v_mov_b64_e32 v[16:17], 0
	v_mov_b32_e32 v14, v71
	v_cndmask_b32_e64 v15, 0, 1, vcc
	v_cmp_gt_u32_e32 vcc, s3, v2
	v_mov_b64_e32 v[18:19], v[16:17]
	v_mov_b64_e32 v[20:21], v[16:17]
	v_mov_b64_e32 v[22:23], v[16:17]
	v_mov_b64_e32 v[24:25], v[16:17]
	v_mov_b64_e32 v[26:27], v[16:17]
	v_mov_b64_e32 v[28:29], v[16:17]
	v_mov_b64_e32 v[30:31], v[16:17]
	v_mov_b64_e32 v[32:33], v[16:17]
	v_mov_b64_e32 v[34:35], v[16:17]
	v_mov_b64_e32 v[36:37], v[16:17]
	v_mov_b64_e32 v[38:39], v[16:17]
	v_mov_b64_e32 v[40:41], v[16:17]
	v_mov_b64_e32 v[42:43], v[16:17]
	v_mov_b64_e32 v[44:45], v[16:17]
	v_mov_b64_e32 v[46:47], v[16:17]
	v_mov_b64_e32 v[48:49], v[16:17]
	v_mov_b64_e32 v[50:51], v[16:17]
	v_mov_b64_e32 v[52:53], v[16:17]
                                        ; implicit-def: $sgpr18_sgpr19
                                        ; implicit-def: $vgpr3
	s_and_saveexec_b64 s[14:15], vcc
	s_cbranch_execz .LBB931_118
; %bb.81:
	ds_read2_b32 v[68:69], v1 offset0:3 offset1:4
	v_add_u32_e32 v2, 4, v73
	v_cmp_ne_u32_e32 vcc, v66, v67
	v_mov_b64_e32 v[18:19], 0
	s_mov_b64 s[20:21], 0
	v_cndmask_b32_e64 v17, 0, 1, vcc
	v_cmp_gt_u32_e32 vcc, s3, v2
	s_waitcnt lgkmcnt(0)
	v_mov_b32_e32 v16, v68
	v_mov_b64_e32 v[20:21], v[18:19]
	v_mov_b64_e32 v[22:23], v[18:19]
	v_mov_b64_e32 v[24:25], v[18:19]
	v_mov_b64_e32 v[26:27], v[18:19]
	v_mov_b64_e32 v[28:29], v[18:19]
	v_mov_b64_e32 v[30:31], v[18:19]
	v_mov_b64_e32 v[32:33], v[18:19]
	v_mov_b64_e32 v[34:35], v[18:19]
	v_mov_b64_e32 v[36:37], v[18:19]
	v_mov_b64_e32 v[38:39], v[18:19]
	v_mov_b64_e32 v[40:41], v[18:19]
	v_mov_b64_e32 v[42:43], v[18:19]
	v_mov_b64_e32 v[44:45], v[18:19]
	v_mov_b64_e32 v[46:47], v[18:19]
	v_mov_b64_e32 v[48:49], v[18:19]
	v_mov_b64_e32 v[50:51], v[18:19]
	v_mov_b64_e32 v[52:53], v[18:19]
                                        ; implicit-def: $sgpr18_sgpr19
                                        ; implicit-def: $vgpr3
	s_and_saveexec_b64 s[16:17], vcc
	s_cbranch_execz .LBB931_117
; %bb.82:
	v_add_u32_e32 v2, 5, v73
	v_cmp_ne_u32_e32 vcc, v67, v64
	v_mov_b64_e32 v[20:21], 0
	v_mov_b32_e32 v18, v69
	v_cndmask_b32_e64 v19, 0, 1, vcc
	v_cmp_gt_u32_e32 vcc, s3, v2
	v_mov_b64_e32 v[22:23], v[20:21]
	v_mov_b64_e32 v[24:25], v[20:21]
	;; [unrolled: 1-line block ×16, first 2 shown]
                                        ; implicit-def: $sgpr22_sgpr23
                                        ; implicit-def: $vgpr3
	s_and_saveexec_b64 s[18:19], vcc
	s_cbranch_execz .LBB931_116
; %bb.83:
	ds_read2_b32 v[66:67], v1 offset0:5 offset1:6
	v_add_u32_e32 v2, 6, v73
	v_cmp_ne_u32_e32 vcc, v64, v65
	v_mov_b64_e32 v[22:23], 0
	s_mov_b64 s[24:25], 0
	v_cndmask_b32_e64 v21, 0, 1, vcc
	v_cmp_gt_u32_e32 vcc, s3, v2
	s_waitcnt lgkmcnt(0)
	v_mov_b32_e32 v20, v66
	v_mov_b64_e32 v[24:25], v[22:23]
	v_mov_b64_e32 v[26:27], v[22:23]
	;; [unrolled: 1-line block ×15, first 2 shown]
                                        ; implicit-def: $sgpr22_sgpr23
                                        ; implicit-def: $vgpr3
	s_and_saveexec_b64 s[20:21], vcc
	s_cbranch_execz .LBB931_115
; %bb.84:
	v_add_u32_e32 v2, 7, v73
	v_cmp_ne_u32_e32 vcc, v65, v62
	v_mov_b64_e32 v[24:25], 0
	v_mov_b32_e32 v22, v67
	v_cndmask_b32_e64 v23, 0, 1, vcc
	v_cmp_gt_u32_e32 vcc, s3, v2
	v_mov_b64_e32 v[26:27], v[24:25]
	v_mov_b64_e32 v[28:29], v[24:25]
	;; [unrolled: 1-line block ×14, first 2 shown]
                                        ; implicit-def: $sgpr26_sgpr27
                                        ; implicit-def: $vgpr3
	s_and_saveexec_b64 s[22:23], vcc
	s_cbranch_execz .LBB931_114
; %bb.85:
	ds_read2_b32 v[64:65], v1 offset0:7 offset1:8
	v_add_u32_e32 v2, 8, v73
	v_cmp_ne_u32_e32 vcc, v62, v63
	v_mov_b64_e32 v[26:27], 0
	s_mov_b64 s[28:29], 0
	v_cndmask_b32_e64 v25, 0, 1, vcc
	v_cmp_gt_u32_e32 vcc, s3, v2
	s_waitcnt lgkmcnt(0)
	v_mov_b32_e32 v24, v64
	v_mov_b64_e32 v[28:29], v[26:27]
	v_mov_b64_e32 v[30:31], v[26:27]
	;; [unrolled: 1-line block ×13, first 2 shown]
                                        ; implicit-def: $sgpr26_sgpr27
                                        ; implicit-def: $vgpr3
	s_and_saveexec_b64 s[24:25], vcc
	s_cbranch_execz .LBB931_113
; %bb.86:
	v_add_u32_e32 v2, 9, v73
	v_cmp_ne_u32_e32 vcc, v63, v60
	v_mov_b64_e32 v[28:29], 0
	v_mov_b32_e32 v26, v65
	v_cndmask_b32_e64 v27, 0, 1, vcc
	v_cmp_gt_u32_e32 vcc, s3, v2
	v_mov_b64_e32 v[30:31], v[28:29]
	v_mov_b64_e32 v[32:33], v[28:29]
	;; [unrolled: 1-line block ×12, first 2 shown]
                                        ; implicit-def: $sgpr30_sgpr31
                                        ; implicit-def: $vgpr3
	s_and_saveexec_b64 s[26:27], vcc
	s_cbranch_execz .LBB931_112
; %bb.87:
	ds_read2_b32 v[62:63], v1 offset0:9 offset1:10
	v_add_u32_e32 v2, 10, v73
	v_cmp_ne_u32_e32 vcc, v60, v61
	v_mov_b64_e32 v[30:31], 0
	s_mov_b64 s[34:35], 0
	v_cndmask_b32_e64 v29, 0, 1, vcc
	v_cmp_gt_u32_e32 vcc, s3, v2
	s_waitcnt lgkmcnt(0)
	v_mov_b32_e32 v28, v62
	v_mov_b64_e32 v[32:33], v[30:31]
	v_mov_b64_e32 v[34:35], v[30:31]
	;; [unrolled: 1-line block ×11, first 2 shown]
                                        ; implicit-def: $sgpr30_sgpr31
                                        ; implicit-def: $vgpr3
	s_and_saveexec_b64 s[28:29], vcc
	s_cbranch_execz .LBB931_111
; %bb.88:
	v_add_u32_e32 v2, 11, v73
	v_cmp_ne_u32_e32 vcc, v61, v58
	v_mov_b64_e32 v[32:33], 0
	v_mov_b32_e32 v30, v63
	v_cndmask_b32_e64 v31, 0, 1, vcc
	v_cmp_gt_u32_e32 vcc, s3, v2
	v_mov_b64_e32 v[34:35], v[32:33]
	v_mov_b64_e32 v[36:37], v[32:33]
	;; [unrolled: 1-line block ×10, first 2 shown]
                                        ; implicit-def: $sgpr36_sgpr37
                                        ; implicit-def: $vgpr3
	s_and_saveexec_b64 s[30:31], vcc
	s_cbranch_execz .LBB931_110
; %bb.89:
	ds_read2_b32 v[60:61], v1 offset0:11 offset1:12
	v_add_u32_e32 v2, 12, v73
	v_cmp_ne_u32_e32 vcc, v58, v59
	v_mov_b64_e32 v[34:35], 0
	s_mov_b64 s[38:39], 0
	v_cndmask_b32_e64 v33, 0, 1, vcc
	v_cmp_gt_u32_e32 vcc, s3, v2
	s_waitcnt lgkmcnt(0)
	v_mov_b32_e32 v32, v60
	v_mov_b64_e32 v[36:37], v[34:35]
	v_mov_b64_e32 v[38:39], v[34:35]
	;; [unrolled: 1-line block ×9, first 2 shown]
                                        ; implicit-def: $sgpr36_sgpr37
                                        ; implicit-def: $vgpr3
	s_and_saveexec_b64 s[34:35], vcc
	s_cbranch_execz .LBB931_109
; %bb.90:
	v_add_u32_e32 v2, 13, v73
	v_cmp_ne_u32_e32 vcc, v59, v56
	v_mov_b64_e32 v[36:37], 0
	v_mov_b32_e32 v34, v61
	v_cndmask_b32_e64 v35, 0, 1, vcc
	v_cmp_gt_u32_e32 vcc, s3, v2
	v_mov_b64_e32 v[38:39], v[36:37]
	v_mov_b64_e32 v[40:41], v[36:37]
	;; [unrolled: 1-line block ×8, first 2 shown]
                                        ; implicit-def: $sgpr40_sgpr41
                                        ; implicit-def: $vgpr3
	s_and_saveexec_b64 s[36:37], vcc
	s_cbranch_execz .LBB931_108
; %bb.91:
	ds_read2_b32 v[58:59], v1 offset0:13 offset1:14
	v_add_u32_e32 v2, 14, v73
	v_cmp_ne_u32_e32 vcc, v56, v57
	v_mov_b64_e32 v[38:39], 0
	s_mov_b64 s[42:43], 0
	v_cndmask_b32_e64 v37, 0, 1, vcc
	v_cmp_gt_u32_e32 vcc, s3, v2
	s_waitcnt lgkmcnt(0)
	v_mov_b32_e32 v36, v58
	v_mov_b64_e32 v[40:41], v[38:39]
	v_mov_b64_e32 v[42:43], v[38:39]
	v_mov_b64_e32 v[44:45], v[38:39]
	v_mov_b64_e32 v[46:47], v[38:39]
	v_mov_b64_e32 v[48:49], v[38:39]
	v_mov_b64_e32 v[50:51], v[38:39]
	v_mov_b64_e32 v[52:53], v[38:39]
                                        ; implicit-def: $sgpr40_sgpr41
                                        ; implicit-def: $vgpr3
	s_and_saveexec_b64 s[38:39], vcc
	s_cbranch_execz .LBB931_107
; %bb.92:
	v_add_u32_e32 v2, 15, v73
	v_cmp_ne_u32_e32 vcc, v57, v54
	v_mov_b64_e32 v[40:41], 0
	v_mov_b32_e32 v38, v59
	v_cndmask_b32_e64 v39, 0, 1, vcc
	v_cmp_gt_u32_e32 vcc, s3, v2
	v_mov_b64_e32 v[42:43], v[40:41]
	v_mov_b64_e32 v[44:45], v[40:41]
	;; [unrolled: 1-line block ×6, first 2 shown]
                                        ; implicit-def: $sgpr44_sgpr45
                                        ; implicit-def: $vgpr3
	s_and_saveexec_b64 s[40:41], vcc
	s_cbranch_execz .LBB931_106
; %bb.93:
	ds_read2_b32 v[56:57], v1 offset0:15 offset1:16
	v_add_u32_e32 v2, 16, v73
	v_cmp_ne_u32_e32 vcc, v54, v55
	v_mov_b64_e32 v[42:43], 0
	s_mov_b64 s[46:47], 0
	v_cndmask_b32_e64 v41, 0, 1, vcc
	v_cmp_gt_u32_e32 vcc, s3, v2
	s_waitcnt lgkmcnt(0)
	v_mov_b32_e32 v40, v56
	v_mov_b64_e32 v[44:45], v[42:43]
	v_mov_b64_e32 v[46:47], v[42:43]
	;; [unrolled: 1-line block ×5, first 2 shown]
                                        ; implicit-def: $sgpr44_sgpr45
                                        ; implicit-def: $vgpr3
	s_and_saveexec_b64 s[42:43], vcc
	s_cbranch_execz .LBB931_105
; %bb.94:
	v_add_u32_e32 v2, 17, v73
	v_cmp_ne_u32_e32 vcc, v55, v8
	v_mov_b64_e32 v[44:45], 0
	v_mov_b32_e32 v42, v57
	v_cndmask_b32_e64 v43, 0, 1, vcc
	v_cmp_gt_u32_e32 vcc, s3, v2
	v_mov_b64_e32 v[46:47], v[44:45]
	v_mov_b64_e32 v[48:49], v[44:45]
	;; [unrolled: 1-line block ×4, first 2 shown]
                                        ; implicit-def: $sgpr48_sgpr49
                                        ; implicit-def: $vgpr3
	s_and_saveexec_b64 s[44:45], vcc
	s_cbranch_execz .LBB931_104
; %bb.95:
	ds_read2_b32 v[54:55], v1 offset0:17 offset1:18
	v_add_u32_e32 v2, 18, v73
	v_cmp_ne_u32_e32 vcc, v8, v9
	v_mov_b64_e32 v[46:47], 0
	s_mov_b64 s[50:51], 0
	v_cndmask_b32_e64 v45, 0, 1, vcc
	v_cmp_gt_u32_e32 vcc, s3, v2
	s_waitcnt lgkmcnt(0)
	v_mov_b32_e32 v44, v54
	v_mov_b64_e32 v[48:49], v[46:47]
	v_mov_b64_e32 v[50:51], v[46:47]
	;; [unrolled: 1-line block ×3, first 2 shown]
                                        ; implicit-def: $sgpr48_sgpr49
                                        ; implicit-def: $vgpr3
	s_and_saveexec_b64 s[46:47], vcc
	s_cbranch_execz .LBB931_103
; %bb.96:
	v_add_u32_e32 v2, 19, v73
	v_cmp_ne_u32_e32 vcc, v9, v6
	v_mov_b64_e32 v[48:49], 0
	v_mov_b32_e32 v46, v55
	v_cndmask_b32_e64 v47, 0, 1, vcc
	v_cmp_gt_u32_e32 vcc, s3, v2
	v_mov_b64_e32 v[50:51], v[48:49]
	v_mov_b64_e32 v[52:53], v[48:49]
                                        ; implicit-def: $sgpr56_sgpr57
                                        ; implicit-def: $vgpr3
	s_and_saveexec_b64 s[48:49], vcc
	s_cbranch_execz .LBB931_102
; %bb.97:
	ds_read2_b32 v[8:9], v1 offset0:19 offset1:20
	v_add_u32_e32 v2, 20, v73
	v_cmp_ne_u32_e32 vcc, v6, v7
	v_mov_b64_e32 v[50:51], 0
	s_mov_b64 s[56:57], 0
	v_cndmask_b32_e64 v49, 0, 1, vcc
	v_cmp_gt_u32_e32 vcc, s3, v2
	s_waitcnt lgkmcnt(0)
	v_mov_b32_e32 v48, v8
	v_mov_b64_e32 v[52:53], v[50:51]
                                        ; implicit-def: $sgpr78_sgpr79
                                        ; implicit-def: $vgpr3
	s_and_saveexec_b64 s[50:51], vcc
	s_cbranch_execz .LBB931_101
; %bb.98:
	v_add_u32_e32 v2, 21, v73
	v_cmp_ne_u32_e32 vcc, v7, v4
	v_mov_b32_e32 v50, v9
	v_mov_b64_e32 v[52:53], 0
	v_cndmask_b32_e64 v51, 0, 1, vcc
	v_cmp_gt_u32_e32 vcc, s3, v2
                                        ; implicit-def: $sgpr78_sgpr79
                                        ; implicit-def: $vgpr3
	s_and_saveexec_b64 s[4:5], vcc
	s_xor_b64 s[80:81], exec, s[4:5]
	s_cbranch_execz .LBB931_100
; %bb.99:
	ds_read2_b32 v[2:3], v1 offset0:21 offset1:22
	v_add_u32_e32 v1, 22, v73
	v_cmp_ne_u32_e64 s[4:5], v4, v5
	v_cmp_ne_u32_e32 vcc, v5, v72
	s_and_b64 s[78:79], vcc, exec
	v_cndmask_b32_e64 v53, 0, 1, s[4:5]
	v_cmp_gt_u32_e64 s[4:5], s3, v1
	s_waitcnt lgkmcnt(0)
	v_mov_b32_e32 v52, v2
	s_and_b64 s[56:57], s[4:5], exec
.LBB931_100:
	s_or_b64 exec, exec, s[80:81]
	s_and_b64 s[78:79], s[78:79], exec
	s_and_b64 s[4:5], s[56:57], exec
.LBB931_101:
	s_or_b64 exec, exec, s[50:51]
	s_and_b64 s[56:57], s[78:79], exec
	s_and_b64 s[50:51], s[4:5], exec
.LBB931_102:
	s_or_b64 exec, exec, s[48:49]
	s_and_b64 s[48:49], s[56:57], exec
	s_and_b64 s[4:5], s[50:51], exec
.LBB931_103:
	s_or_b64 exec, exec, s[46:47]
	s_and_b64 s[48:49], s[48:49], exec
	s_and_b64 s[46:47], s[4:5], exec
.LBB931_104:
	s_or_b64 exec, exec, s[44:45]
	s_and_b64 s[44:45], s[48:49], exec
	s_and_b64 s[4:5], s[46:47], exec
.LBB931_105:
	s_or_b64 exec, exec, s[42:43]
	s_and_b64 s[44:45], s[44:45], exec
	s_and_b64 s[42:43], s[4:5], exec
.LBB931_106:
	s_or_b64 exec, exec, s[40:41]
	s_and_b64 s[40:41], s[44:45], exec
	s_and_b64 s[4:5], s[42:43], exec
.LBB931_107:
	s_or_b64 exec, exec, s[38:39]
	s_and_b64 s[40:41], s[40:41], exec
	s_and_b64 s[38:39], s[4:5], exec
.LBB931_108:
	s_or_b64 exec, exec, s[36:37]
	s_and_b64 s[36:37], s[40:41], exec
	s_and_b64 s[4:5], s[38:39], exec
.LBB931_109:
	s_or_b64 exec, exec, s[34:35]
	s_and_b64 s[36:37], s[36:37], exec
	s_and_b64 s[34:35], s[4:5], exec
.LBB931_110:
	s_or_b64 exec, exec, s[30:31]
	s_and_b64 s[30:31], s[36:37], exec
	s_and_b64 s[4:5], s[34:35], exec
.LBB931_111:
	s_or_b64 exec, exec, s[28:29]
	s_and_b64 s[30:31], s[30:31], exec
	s_and_b64 s[28:29], s[4:5], exec
.LBB931_112:
	s_or_b64 exec, exec, s[26:27]
	s_and_b64 s[26:27], s[30:31], exec
	s_and_b64 s[4:5], s[28:29], exec
.LBB931_113:
	s_or_b64 exec, exec, s[24:25]
	s_and_b64 s[26:27], s[26:27], exec
	s_and_b64 s[24:25], s[4:5], exec
.LBB931_114:
	s_or_b64 exec, exec, s[22:23]
	s_and_b64 s[22:23], s[26:27], exec
	s_and_b64 s[4:5], s[24:25], exec
.LBB931_115:
	s_or_b64 exec, exec, s[20:21]
	s_and_b64 s[22:23], s[22:23], exec
	s_and_b64 s[20:21], s[4:5], exec
.LBB931_116:
	s_or_b64 exec, exec, s[18:19]
	s_and_b64 s[18:19], s[22:23], exec
	s_and_b64 s[4:5], s[20:21], exec
.LBB931_117:
	s_or_b64 exec, exec, s[16:17]
	s_and_b64 s[18:19], s[18:19], exec
	s_and_b64 s[16:17], s[4:5], exec
.LBB931_118:
	s_or_b64 exec, exec, s[14:15]
	s_and_b64 s[14:15], s[18:19], exec
	s_and_b64 s[4:5], s[16:17], exec
.LBB931_119:
	s_or_b64 exec, exec, s[12:13]
	s_and_b64 s[14:15], s[14:15], exec
	s_and_b64 s[12:13], s[4:5], exec
.LBB931_120:
	s_or_b64 exec, exec, s[10:11]
	s_and_b64 s[4:5], s[14:15], exec
	s_and_b64 s[10:11], s[12:13], exec
.LBB931_121:
	s_or_b64 exec, exec, s[8:9]
	s_mov_b64 s[8:9], 0
	s_and_b64 vcc, exec, s[6:7]
	v_lshlrev_b32_e32 v54, 2, v0
	s_cbranch_vccnz .LBB931_123
	s_branch .LBB931_131
.LBB931_122:
                                        ; implicit-def: $sgpr4_sgpr5
                                        ; implicit-def: $vgpr3
                                        ; implicit-def: $vgpr10_vgpr11
                                        ; implicit-def: $vgpr12_vgpr13
                                        ; implicit-def: $vgpr14_vgpr15
                                        ; implicit-def: $vgpr16_vgpr17
                                        ; implicit-def: $vgpr18_vgpr19
                                        ; implicit-def: $vgpr20_vgpr21
                                        ; implicit-def: $vgpr22_vgpr23
                                        ; implicit-def: $vgpr24_vgpr25
                                        ; implicit-def: $vgpr26_vgpr27
                                        ; implicit-def: $vgpr28_vgpr29
                                        ; implicit-def: $vgpr30_vgpr31
                                        ; implicit-def: $vgpr32_vgpr33
                                        ; implicit-def: $vgpr34_vgpr35
                                        ; implicit-def: $vgpr36_vgpr37
                                        ; implicit-def: $vgpr38_vgpr39
                                        ; implicit-def: $vgpr40_vgpr41
                                        ; implicit-def: $vgpr42_vgpr43
                                        ; implicit-def: $vgpr44_vgpr45
                                        ; implicit-def: $vgpr46_vgpr47
                                        ; implicit-def: $vgpr48_vgpr49
                                        ; implicit-def: $vgpr50_vgpr51
                                        ; implicit-def: $vgpr52_vgpr53
                                        ; implicit-def: $sgpr8_sgpr9
	s_and_b64 vcc, exec, s[6:7]
	v_lshlrev_b32_e32 v54, 2, v0
	s_cbranch_vccz .LBB931_131
.LBB931_123:
	v_mov_b32_e32 v55, 0
	v_lshl_add_u64 v[2:3], s[72:73], 0, v[54:55]
	v_add_co_u32_e32 v4, vcc, 0x1000, v2
	s_movk_i32 s3, 0x58
	s_nop 0
	v_addc_co_u32_e32 v5, vcc, 0, v3, vcc
	flat_load_dword v8, v[2:3]
	flat_load_dword v9, v[2:3] offset:1024
	s_waitcnt lgkmcnt(0)
	flat_load_dword v10, v[2:3] offset:2048
	flat_load_dword v11, v[2:3] offset:3072
	flat_load_dword v12, v[4:5]
	flat_load_dword v13, v[4:5] offset:1024
	flat_load_dword v14, v[4:5] offset:2048
	;; [unrolled: 1-line block ×3, first 2 shown]
	v_add_co_u32_e32 v4, vcc, 0x2000, v2
	v_mad_u32_u24 v1, v0, s3, v54
	s_nop 0
	v_addc_co_u32_e32 v5, vcc, 0, v3, vcc
	v_add_co_u32_e32 v6, vcc, 0x3000, v2
	s_cmp_eq_u64 s[76:77], 0
	s_nop 0
	v_addc_co_u32_e32 v7, vcc, 0, v3, vcc
	flat_load_dword v16, v[4:5]
	flat_load_dword v17, v[4:5] offset:1024
	flat_load_dword v18, v[4:5] offset:2048
	;; [unrolled: 1-line block ×3, first 2 shown]
	flat_load_dword v20, v[6:7]
	flat_load_dword v21, v[6:7] offset:1024
	flat_load_dword v22, v[6:7] offset:2048
	;; [unrolled: 1-line block ×3, first 2 shown]
	v_add_co_u32_e32 v4, vcc, 0x4000, v2
	s_nop 1
	v_addc_co_u32_e32 v5, vcc, 0, v3, vcc
	v_add_co_u32_e32 v2, vcc, 0x5000, v2
	s_nop 1
	v_addc_co_u32_e32 v3, vcc, 0, v3, vcc
	flat_load_dword v6, v[4:5]
	flat_load_dword v7, v[4:5] offset:1024
	flat_load_dword v24, v[4:5] offset:2048
	;; [unrolled: 1-line block ×3, first 2 shown]
	flat_load_dword v26, v[2:3]
	flat_load_dword v27, v[2:3] offset:1024
	flat_load_dword v28, v[2:3] offset:2048
	s_waitcnt vmcnt(0)
	ds_write2st64_b32 v54, v8, v9 offset1:4
	s_waitcnt lgkmcnt(0)
	ds_write2st64_b32 v54, v10, v11 offset0:8 offset1:12
	ds_write2st64_b32 v54, v12, v13 offset0:16 offset1:20
	;; [unrolled: 1-line block ×10, first 2 shown]
	ds_write_b32 v54, v28 offset:22528
	s_waitcnt lgkmcnt(0)
	s_barrier
	ds_read2_b32 v[14:15], v1 offset1:1
	ds_read2_b32 v[18:19], v1 offset0:2 offset1:3
	ds_read2_b32 v[22:23], v1 offset0:4 offset1:5
	;; [unrolled: 1-line block ×10, first 2 shown]
	ds_read_b32 v3, v1 offset:88
	s_cbranch_scc1 .LBB931_128
; %bb.124:
	s_andn2_b64 vcc, exec, s[74:75]
	s_cbranch_vccnz .LBB931_264
; %bb.125:
	s_lshl_b64 s[4:5], s[76:77], 2
	s_add_u32 s3, s62, s4
	s_addc_u32 s5, s63, s5
	s_add_u32 s4, s3, -4
	s_addc_u32 s5, s5, -1
	s_cbranch_execnz .LBB931_127
.LBB931_126:
	s_add_u32 s4, s72, -4
	s_addc_u32 s5, s73, -1
.LBB931_127:
	s_mov_b64 s[72:73], s[4:5]
.LBB931_128:
	v_mov_b64_e32 v[10:11], s[72:73]
	flat_load_dword v2, v[10:11]
	s_movk_i32 s3, 0xffa8
	v_mad_i32_i24 v10, v0, s3, v1
	v_cmp_ne_u32_e32 vcc, 0, v0
	s_waitcnt lgkmcnt(0)
	ds_write_b32 v10, v3 offset:23552
	s_waitcnt lgkmcnt(0)
	s_barrier
	s_and_saveexec_b64 s[4:5], vcc
	s_cbranch_execz .LBB931_130
; %bb.129:
	s_waitcnt vmcnt(0)
	v_mul_i32_i24_e32 v2, 0xffffffa8, v0
	v_add_u32_e32 v2, v1, v2
	ds_read_b32 v2, v2 offset:23548
.LBB931_130:
	s_or_b64 exec, exec, s[4:5]
	v_mov_b32_e32 v55, 0
	v_lshl_add_u64 v[10:11], s[52:53], 0, v[54:55]
	s_movk_i32 s3, 0x1000
	v_add_co_u32_e32 v12, vcc, s3, v10
	s_movk_i32 s3, 0x2000
	s_nop 0
	v_addc_co_u32_e32 v13, vcc, 0, v11, vcc
	v_add_co_u32_e32 v16, vcc, s3, v10
	s_movk_i32 s3, 0x3000
	s_nop 0
	v_addc_co_u32_e32 v17, vcc, 0, v11, vcc
	;; [unrolled: 4-line block ×4, first 2 shown]
	v_add_co_u32_e32 v10, vcc, s3, v10
	s_waitcnt lgkmcnt(0)
	s_nop 0
	v_addc_co_u32_e32 v11, vcc, 0, v11, vcc
	s_barrier
	global_load_dword v28, v54, s[52:53]
	global_load_dword v29, v54, s[52:53] offset:1024
	global_load_dword v32, v54, s[52:53] offset:2048
	;; [unrolled: 1-line block ×3, first 2 shown]
	global_load_dword v36, v[16:17], off offset:-4096
	global_load_dword v37, v[16:17], off
	global_load_dword v40, v[16:17], off offset:1024
	global_load_dword v41, v[12:13], off offset:1024
	;; [unrolled: 1-line block ×9, first 2 shown]
	global_load_dword v51, v[24:25], off offset:-4096
	global_load_dword v52, v[24:25], off
	global_load_dword v53, v[24:25], off offset:1024
	global_load_dword v55, v[24:25], off offset:2048
	;; [unrolled: 1-line block ×3, first 2 shown]
	global_load_dword v12, v[10:11], off
	global_load_dword v13, v[10:11], off offset:1024
	global_load_dword v16, v[10:11], off offset:2048
	v_cmp_ne_u32_e64 s[4:5], v5, v3
	s_waitcnt vmcnt(0)
	v_cmp_ne_u32_e32 vcc, v2, v14
	s_mov_b64 s[10:11], -1
                                        ; implicit-def: $sgpr8_sgpr9
	v_sub_u32_e32 v3, 0, v28
	v_sub_u32_e32 v10, 0, v29
	;; [unrolled: 1-line block ×4, first 2 shown]
	ds_write2st64_b32 v54, v3, v10 offset1:4
	ds_write2st64_b32 v54, v11, v17 offset0:8 offset1:12
	v_sub_u32_e32 v3, 0, v36
	v_sub_u32_e32 v10, 0, v41
	;; [unrolled: 1-line block ×19, first 2 shown]
	ds_write2st64_b32 v54, v3, v10 offset0:16 offset1:20
	ds_write2st64_b32 v54, v11, v17 offset0:24 offset1:28
	;; [unrolled: 1-line block ×9, first 2 shown]
	ds_write_b32 v54, v16 offset:22528
	v_cndmask_b32_e64 v11, 0, 1, vcc
	v_cmp_ne_u32_e32 vcc, v14, v15
	s_waitcnt lgkmcnt(0)
	s_barrier
	v_cndmask_b32_e64 v13, 0, 1, vcc
	v_cmp_ne_u32_e32 vcc, v15, v18
	ds_read2_b32 v[16:17], v1 offset1:1
	ds_read2_b32 v[20:21], v1 offset0:2 offset1:3
	ds_read2_b32 v[24:25], v1 offset0:4 offset1:5
	;; [unrolled: 1-line block ×10, first 2 shown]
	ds_read_b32 v3, v1 offset:88
	v_cndmask_b32_e64 v15, 0, 1, vcc
	v_cmp_ne_u32_e32 vcc, v18, v19
	s_waitcnt lgkmcnt(11)
	v_mov_b32_e32 v12, v17
	v_mov_b32_e32 v10, v16
	v_cndmask_b32_e64 v17, 0, 1, vcc
	v_cmp_ne_u32_e32 vcc, v19, v22
	s_waitcnt lgkmcnt(10)
	v_mov_b32_e32 v16, v21
	v_mov_b32_e32 v14, v20
	;; [unrolled: 5-line block ×5, first 2 shown]
	v_cndmask_b32_e64 v25, 0, 1, vcc
	v_cmp_ne_u32_e32 vcc, v27, v30
	s_waitcnt lgkmcnt(6)
	v_mov_b32_e32 v32, v37
	s_waitcnt lgkmcnt(2)
	v_mov_b32_e32 v48, v51
	v_cndmask_b32_e64 v27, 0, 1, vcc
	v_cmp_ne_u32_e32 vcc, v30, v31
	v_mov_b32_e32 v30, v36
	v_mov_b32_e32 v36, v41
	v_cndmask_b32_e64 v29, 0, 1, vcc
	v_cmp_ne_u32_e32 vcc, v31, v34
	s_waitcnt lgkmcnt(1)
	v_mov_b32_e32 v52, v57
	v_cndmask_b32_e64 v31, 0, 1, vcc
	v_cmp_ne_u32_e32 vcc, v34, v35
	v_mov_b32_e32 v34, v40
	v_mov_b32_e32 v40, v45
	v_cndmask_b32_e64 v33, 0, 1, vcc
	v_cmp_ne_u32_e32 vcc, v35, v38
	s_nop 1
	v_cndmask_b32_e64 v35, 0, 1, vcc
	v_cmp_ne_u32_e32 vcc, v38, v39
	v_mov_b32_e32 v38, v44
	v_mov_b32_e32 v44, v47
	v_cndmask_b32_e64 v37, 0, 1, vcc
	v_cmp_ne_u32_e32 vcc, v39, v42
	s_nop 1
	v_cndmask_b32_e64 v39, 0, 1, vcc
	v_cmp_ne_u32_e32 vcc, v42, v43
	v_mov_b32_e32 v42, v46
	v_mov_b32_e32 v46, v50
	v_cndmask_b32_e64 v41, 0, 1, vcc
	v_cmp_ne_u32_e32 vcc, v43, v8
	v_mov_b32_e32 v50, v56
	s_nop 0
	v_cndmask_b32_e64 v43, 0, 1, vcc
	v_cmp_ne_u32_e32 vcc, v8, v9
	s_nop 1
	v_cndmask_b32_e64 v45, 0, 1, vcc
	v_cmp_ne_u32_e32 vcc, v9, v6
	;; [unrolled: 3-line block ×5, first 2 shown]
	s_nop 1
	v_cndmask_b32_e64 v53, 0, 1, vcc
.LBB931_131:
	v_mov_b64_e32 v[56:57], s[8:9]
	s_and_saveexec_b64 s[6:7], s[10:11]
	s_cbranch_execz .LBB931_133
; %bb.132:
	v_cndmask_b32_e64 v57, 0, 1, s[4:5]
	s_waitcnt lgkmcnt(0)
	v_mov_b32_e32 v56, v3
.LBB931_133:
	s_or_b64 exec, exec, s[6:7]
	s_mov_b32 s48, 0
	s_cmp_lg_u32 s2, 0
	v_or_b32_e32 v55, v57, v53
	v_lshrrev_b32_e32 v1, 5, v0
	v_cmp_gt_u32_e32 vcc, 64, v0
	s_waitcnt lgkmcnt(0)
	s_barrier
	s_cbranch_scc0 .LBB931_168
; %bb.134:
	s_mov_b32 s49, 1
	v_cmp_gt_u64_e64 s[4:5], s[48:49], v[12:13]
	v_cmp_gt_u64_e64 s[6:7], s[48:49], v[14:15]
	v_cmp_gt_u64_e64 s[8:9], s[48:49], v[16:17]
	v_cndmask_b32_e64 v2, 0, v10, s[4:5]
	v_add_u32_e32 v2, v2, v12
	v_cndmask_b32_e64 v2, 0, v2, s[6:7]
	v_add_u32_e32 v2, v2, v14
	v_cndmask_b32_e64 v2, 0, v2, s[8:9]
	v_add_u32_e32 v2, v2, v16
	v_cmp_gt_u64_e64 s[10:11], s[48:49], v[18:19]
	v_cmp_gt_u64_e64 s[12:13], s[48:49], v[20:21]
	v_cmp_gt_u64_e64 s[14:15], s[48:49], v[22:23]
	v_cndmask_b32_e64 v2, 0, v2, s[10:11]
	v_add_u32_e32 v2, v2, v18
	v_cndmask_b32_e64 v2, 0, v2, s[12:13]
	v_add_u32_e32 v2, v2, v20
	v_cndmask_b32_e64 v2, 0, v2, s[14:15]
	v_add_u32_e32 v2, v2, v22
	;; [unrolled: 9-line block ×7, first 2 shown]
	v_cmp_gt_u64_e64 s[48:49], s[48:49], v[56:57]
	s_nop 1
	v_cndmask_b32_e64 v2, 0, v2, s[48:49]
	v_add_u32_e32 v62, v2, v56
	v_or3_b32 v2, v55, v51, v49
	v_or3_b32 v2, v2, v47, v45
	;; [unrolled: 1-line block ×10, first 2 shown]
	v_and_b32_e32 v2, 1, v2
	v_cmp_eq_u32_e64 s[50:51], 1, v2
	v_add_lshl_u32 v2, v1, v0, 3
	s_nop 0
	v_cndmask_b32_e64 v63, v11, 1, s[50:51]
	ds_write_b32 v2, v62
	ds_write_b8 v2, v63 offset:4
	s_waitcnt lgkmcnt(0)
	s_barrier
	s_and_saveexec_b64 s[52:53], vcc
	s_cbranch_execz .LBB931_146
; %bb.135:
	v_lshrrev_b32_e32 v2, 3, v0
	v_add_lshl_u32 v4, v2, v54, 3
	ds_read2_b32 v[6:7], v4 offset0:2 offset1:4
	ds_read_b64 v[2:3], v4
	ds_read_u8 v8, v4 offset:12
	ds_read_u8 v9, v4 offset:20
	ds_read_b32 v58, v4 offset:24
	ds_read_u8 v59, v4 offset:28
	v_mov_b32_e32 v60, 0
	s_waitcnt lgkmcnt(0)
	v_cmp_eq_u16_sdwa s[50:51], v8, v60 src0_sel:BYTE_0 src1_sel:DWORD
	v_and_b32_e32 v5, 1, v3
	s_nop 0
	v_cndmask_b32_e64 v61, 0, v2, s[50:51]
	v_add_u32_e32 v6, v61, v6
	v_cmp_eq_u16_sdwa s[50:51], v9, v60 src0_sel:BYTE_0 src1_sel:DWORD
	s_nop 1
	v_cndmask_b32_e64 v6, 0, v6, s[50:51]
	v_add_u32_e32 v6, v6, v7
	v_cmp_eq_u16_e64 s[50:51], 0, v59
	s_nop 1
	v_cndmask_b32_e64 v6, 0, v6, s[50:51]
	v_add_u32_e32 v7, v6, v58
	v_or_b32_e32 v6, v59, v9
	v_or_b32_e32 v6, v6, v8
	v_and_b32_e32 v6, 1, v6
	v_cmp_eq_u32_e64 s[50:51], 1, v6
	v_mbcnt_lo_u32_b32 v8, -1, 0
	v_and_b32_e32 v6, 0xffffff00, v3
	v_cndmask_b32_e64 v9, v5, 1, s[50:51]
	v_mbcnt_hi_u32_b32 v8, -1, v8
	v_and_b32_e32 v59, 15, v8
	v_or_b32_sdwa v58, v6, v9 dst_sel:DWORD dst_unused:UNUSED_PAD src0_sel:DWORD src1_sel:WORD_0
	v_mov_b32_dpp v60, v7 row_shr:1 row_mask:0xf bank_mask:0xf
	v_cmp_ne_u32_e64 s[50:51], 0, v59
	v_mov_b32_dpp v61, v58 row_shr:1 row_mask:0xf bank_mask:0xf
	s_and_saveexec_b64 s[56:57], s[50:51]
; %bb.136:
	v_and_b32_e32 v58, 1, v9
	v_and_b32_e32 v61, 1, v61
	v_cmp_eq_u32_e64 s[50:51], 1, v58
	s_nop 1
	v_cndmask_b32_e64 v61, v61, 1, s[50:51]
	v_cmp_eq_u16_e64 s[50:51], 0, v9
	v_or_b32_sdwa v58, v6, v61 dst_sel:DWORD dst_unused:UNUSED_PAD src0_sel:DWORD src1_sel:WORD_0
	s_nop 0
	v_cndmask_b32_e64 v9, 0, v60, s[50:51]
	v_add_u32_e32 v7, v9, v7
	v_mov_b32_e32 v9, v61
; %bb.137:
	s_or_b64 exec, exec, s[56:57]
	v_mov_b32_dpp v60, v7 row_shr:2 row_mask:0xf bank_mask:0xf
	v_mov_b32_dpp v61, v58 row_shr:2 row_mask:0xf bank_mask:0xf
	v_cmp_lt_u32_e64 s[50:51], 1, v59
	s_and_saveexec_b64 s[56:57], s[50:51]
; %bb.138:
	v_and_b32_e32 v58, 1, v9
	v_and_b32_e32 v61, 1, v61
	v_cmp_eq_u32_e64 s[50:51], 1, v58
	s_nop 1
	v_cndmask_b32_e64 v61, v61, 1, s[50:51]
	v_cmp_eq_u16_e64 s[50:51], 0, v9
	v_or_b32_sdwa v58, v6, v61 dst_sel:DWORD dst_unused:UNUSED_PAD src0_sel:DWORD src1_sel:WORD_0
	s_nop 0
	v_cndmask_b32_e64 v9, 0, v60, s[50:51]
	v_add_u32_e32 v7, v9, v7
	v_mov_b32_e32 v9, v61
; %bb.139:
	s_or_b64 exec, exec, s[56:57]
	v_mov_b32_dpp v60, v7 row_shr:4 row_mask:0xf bank_mask:0xf
	v_mov_b32_dpp v61, v58 row_shr:4 row_mask:0xf bank_mask:0xf
	v_cmp_lt_u32_e64 s[50:51], 3, v59
	;; [unrolled: 18-line block ×3, first 2 shown]
	s_and_saveexec_b64 s[56:57], s[50:51]
; %bb.142:
	v_and_b32_e32 v58, 1, v9
	v_and_b32_e32 v59, 1, v61
	v_cmp_eq_u32_e64 s[50:51], 1, v58
	s_nop 1
	v_cndmask_b32_e64 v59, v59, 1, s[50:51]
	v_cmp_eq_u16_e64 s[50:51], 0, v9
	v_or_b32_sdwa v58, v6, v59 dst_sel:DWORD dst_unused:UNUSED_PAD src0_sel:DWORD src1_sel:WORD_0
	s_nop 0
	v_cndmask_b32_e64 v9, 0, v60, s[50:51]
	v_add_u32_e32 v7, v9, v7
	v_mov_b32_e32 v9, v59
; %bb.143:
	s_or_b64 exec, exec, s[56:57]
	v_and_b32_e32 v61, 16, v8
	v_mov_b32_dpp v59, v7 row_bcast:15 row_mask:0xf bank_mask:0xf
	v_mov_b32_dpp v60, v58 row_bcast:15 row_mask:0xf bank_mask:0xf
	v_cmp_ne_u32_e64 s[50:51], 0, v61
	s_and_saveexec_b64 s[56:57], s[50:51]
; %bb.144:
	v_and_b32_e32 v58, 1, v9
	v_and_b32_e32 v60, 1, v60
	v_cmp_eq_u32_e64 s[50:51], 1, v58
	s_nop 1
	v_cndmask_b32_e64 v60, v60, 1, s[50:51]
	v_cmp_eq_u16_e64 s[50:51], 0, v9
	v_or_b32_sdwa v58, v6, v60 dst_sel:DWORD dst_unused:UNUSED_PAD src0_sel:DWORD src1_sel:WORD_0
	s_nop 0
	v_cndmask_b32_e64 v9, 0, v59, s[50:51]
	v_add_u32_e32 v7, v9, v7
	v_mov_b32_e32 v9, v60
; %bb.145:
	s_or_b64 exec, exec, s[56:57]
	v_mov_b32_dpp v58, v58 row_bcast:31 row_mask:0xf bank_mask:0xf
	v_and_b32_e32 v60, 1, v9
	v_and_b32_e32 v58, 1, v58
	v_cmp_eq_u32_e64 s[50:51], 1, v60
	v_mov_b32_e32 v60, 0
	v_cmp_eq_u16_sdwa s[56:57], v9, v60 src0_sel:BYTE_0 src1_sel:DWORD
	v_cndmask_b32_e64 v58, v58, 1, s[50:51]
	v_cmp_lt_u32_e64 s[50:51], 31, v8
	v_mov_b32_dpp v59, v7 row_bcast:31 row_mask:0xf bank_mask:0xf
	s_movk_i32 s3, 0xff
	v_cndmask_b32_e64 v9, v9, v58, s[50:51]
	s_and_b64 s[50:51], s[50:51], s[56:57]
	v_cndmask_b32_e64 v58, 0, v59, s[50:51]
	v_add_u32_e32 v7, v58, v7
	v_add_u32_e32 v58, -1, v8
	v_and_b32_e32 v59, 64, v8
	v_cmp_lt_i32_e64 s[50:51], v58, v59
	v_and_or_b32 v6, v9, s3, v6
	s_nop 0
	v_cndmask_b32_e64 v8, v58, v8, s[50:51]
	v_lshlrev_b32_e32 v8, 2, v8
	ds_bpermute_b32 v7, v8, v7
	ds_bpermute_b32 v6, v8, v6
	v_cmp_eq_u16_sdwa s[50:51], v3, v60 src0_sel:BYTE_0 src1_sel:DWORD
	; wave barrier
	s_waitcnt lgkmcnt(0)
	s_nop 0
	v_cndmask_b32_e64 v3, 0, v7, s[50:51]
	v_add_u32_e32 v2, v3, v2
	v_and_b32_e32 v3, 1, v6
	v_cmp_eq_u32_e64 s[50:51], 1, v5
	s_nop 1
	v_cndmask_b32_e64 v3, v3, 1, s[50:51]
	v_cmp_eq_u32_e64 s[50:51], 0, v0
	s_nop 1
	v_cndmask_b32_e64 v5, v2, v62, s[50:51]
	v_cndmask_b32_e64 v6, v3, v63, s[50:51]
	ds_write_b32 v4, v5
	ds_write_b8 v4, v6 offset:4
	; wave barrier
	ds_read_u8 v7, v4 offset:12
	ds_read2_b32 v[2:3], v4 offset0:2 offset1:4
	ds_read_u8 v8, v4 offset:20
	ds_read_b32 v9, v4 offset:24
	ds_read_u8 v58, v4 offset:28
	s_waitcnt lgkmcnt(0)
	v_cmp_eq_u16_e64 s[50:51], 0, v7
	s_nop 1
	v_cndmask_b32_e64 v5, 0, v5, s[50:51]
	v_add_u32_e32 v2, v5, v2
	v_and_b32_e32 v5, 1, v7
	v_cmp_eq_u32_e64 s[50:51], 1, v5
	s_nop 1
	v_cndmask_b32_e64 v5, v6, 1, s[50:51]
	v_cmp_eq_u16_e64 s[50:51], 0, v8
	ds_write_b8 v4, v5 offset:12
	s_nop 0
	v_cndmask_b32_e64 v6, 0, v2, s[50:51]
	v_add_u32_e32 v3, v6, v3
	v_and_b32_e32 v6, 1, v8
	v_cmp_eq_u32_e64 s[50:51], 1, v6
	s_nop 1
	v_cndmask_b32_e64 v5, v5, 1, s[50:51]
	v_cmp_eq_u16_e64 s[50:51], 0, v58
	ds_write2_b32 v4, v2, v3 offset0:2 offset1:4
	ds_write_b8 v4, v5 offset:20
	v_cndmask_b32_e64 v2, 0, v3, s[50:51]
	v_and_b32_e32 v3, 1, v58
	v_add_u32_e32 v2, v2, v9
	v_cmp_eq_u32_e64 s[50:51], 1, v3
	s_nop 1
	v_cndmask_b32_e64 v3, v5, 1, s[50:51]
	ds_write_b32 v4, v2 offset:24
	ds_write_b8 v4, v3 offset:28
.LBB931_146:
	s_or_b64 exec, exec, s[52:53]
	v_cmp_eq_u32_e64 s[50:51], 0, v0
	v_cmp_ne_u32_e64 s[52:53], 0, v0
	s_waitcnt lgkmcnt(0)
	s_barrier
	s_and_saveexec_b64 s[56:57], s[52:53]
	s_cbranch_execz .LBB931_148
; %bb.147:
	v_add_u32_e32 v2, -1, v0
	v_lshrrev_b32_e32 v3, 5, v2
	v_add_lshl_u32 v2, v3, v2, 3
	ds_read_b32 v62, v2
	ds_read_u8 v63, v2 offset:4
.LBB931_148:
	s_or_b64 exec, exec, s[56:57]
	s_and_saveexec_b64 s[62:63], vcc
	s_cbranch_execz .LBB931_167
; %bb.149:
	v_mov_b32_e32 v5, 0
	ds_read_b64 v[2:3], v5 offset:2096
	v_mbcnt_lo_u32_b32 v4, -1, 0
	v_mbcnt_hi_u32_b32 v73, -1, v4
	s_mov_b32 s73, 0
	v_cmp_eq_u32_e64 s[52:53], 0, v73
	s_waitcnt lgkmcnt(0)
	v_readfirstlane_b32 s3, v3
	s_and_saveexec_b64 s[56:57], s[52:53]
	s_cbranch_execz .LBB931_151
; %bb.150:
	s_add_i32 s72, s2, 64
	s_lshl_b64 s[74:75], s[72:73], 4
	s_add_u32 s74, s64, s74
	s_addc_u32 s75, s65, s75
	s_and_b32 s77, s3, 0xff000000
	s_mov_b32 s76, s73
	s_and_b32 s79, s3, 0xff0000
	s_mov_b32 s78, s73
	s_or_b64 s[76:77], s[78:79], s[76:77]
	s_and_b32 s79, s3, 0xff00
	s_or_b64 s[76:77], s[76:77], s[78:79]
	s_and_b32 s79, s3, 0xff
	s_or_b64 s[72:73], s[76:77], s[78:79]
	v_mov_b32_e32 v3, s73
	v_mov_b32_e32 v4, 1
	v_mov_b64_e32 v[6:7], s[74:75]
	;;#ASMSTART
	global_store_dwordx4 v[6:7], v[2:5] off sc1	
s_waitcnt vmcnt(0)
	;;#ASMEND
.LBB931_151:
	s_or_b64 exec, exec, s[56:57]
	v_xad_u32 v58, v73, -1, s2
	v_add_u32_e32 v4, 64, v58
	v_lshl_add_u64 v[60:61], v[4:5], 4, s[64:65]
	;;#ASMSTART
	global_load_dwordx4 v[6:9], v[60:61] off sc1	
s_waitcnt vmcnt(0)
	;;#ASMEND
	s_nop 0
	v_and_b32_e32 v3, 0xff0000, v6
	v_and_b32_e32 v4, 0xff000000, v6
	;; [unrolled: 1-line block ×3, first 2 shown]
	v_or_b32_sdwa v3, v6, v3 dst_sel:DWORD dst_unused:UNUSED_PAD src0_sel:WORD_0 src1_sel:DWORD
	v_or3_b32 v7, 0, 0, v7
	v_or3_b32 v6, v3, v4, 0
	v_cmp_eq_u16_sdwa s[72:73], v8, v5 src0_sel:BYTE_0 src1_sel:DWORD
	s_and_saveexec_b64 s[56:57], s[72:73]
	s_cbranch_execz .LBB931_155
; %bb.152:
	s_mov_b64 s[72:73], 0
	v_mov_b32_e32 v3, 0
.LBB931_153:                            ; =>This Inner Loop Header: Depth=1
	;;#ASMSTART
	global_load_dwordx4 v[6:9], v[60:61] off sc1	
s_waitcnt vmcnt(0)
	;;#ASMEND
	s_nop 0
	v_cmp_ne_u16_sdwa s[74:75], v8, v3 src0_sel:BYTE_0 src1_sel:DWORD
	s_or_b64 s[72:73], s[74:75], s[72:73]
	s_andn2_b64 exec, exec, s[72:73]
	s_cbranch_execnz .LBB931_153
; %bb.154:
	s_or_b64 exec, exec, s[72:73]
	v_and_b32_e32 v7, 0xff, v7
.LBB931_155:
	s_or_b64 exec, exec, s[56:57]
	v_mov_b32_e32 v3, 2
	v_cmp_eq_u16_sdwa s[56:57], v8, v3 src0_sel:BYTE_0 src1_sel:DWORD
	v_lshlrev_b64 v[4:5], v73, -1
	v_and_b32_e32 v64, 63, v73
	v_and_b32_e32 v9, s57, v5
	v_or_b32_e32 v9, 0x80000000, v9
	v_and_b32_e32 v59, s56, v4
	v_ffbl_b32_e32 v9, v9
	v_add_u32_e32 v9, 32, v9
	v_ffbl_b32_e32 v59, v59
	v_cmp_ne_u32_e32 vcc, 63, v64
	v_min_u32_e32 v9, v59, v9
	s_mov_b32 s72, 0
	v_addc_co_u32_e32 v59, vcc, 0, v73, vcc
	v_lshlrev_b32_e32 v65, 2, v59
	ds_bpermute_b32 v59, v65, v7
	ds_bpermute_b32 v60, v65, v6
	v_and_b32_e32 v61, 1, v7
	s_mov_b32 s73, 1
	v_cmp_eq_u32_e32 vcc, 1, v61
	s_waitcnt lgkmcnt(0)
	v_and_b32_e32 v59, 1, v59
	v_cmp_lt_u32_e64 s[56:57], v64, v9
	v_cndmask_b32_e64 v59, v59, 1, vcc
	v_cmp_gt_u64_e32 vcc, s[72:73], v[6:7]
	s_and_b64 vcc, s[56:57], vcc
	v_and_b32_e32 v61, 0xffff, v59
	v_cndmask_b32_e64 v68, v7, v59, s[56:57]
	v_cndmask_b32_e32 v59, 0, v60, vcc
	v_cmp_gt_u32_e32 vcc, 62, v64
	v_cndmask_b32_e64 v7, v7, v61, s[56:57]
	v_add_u32_e32 v6, v59, v6
	v_cndmask_b32_e64 v60, 0, 1, vcc
	v_lshlrev_b32_e32 v60, 1, v60
	v_add_lshl_u32 v66, v60, v73, 2
	ds_bpermute_b32 v60, v66, v7
	ds_bpermute_b32 v61, v66, v6
	v_and_b32_e32 v59, 1, v68
	v_cmp_eq_u32_e32 vcc, 1, v59
	v_mov_b32_e32 v59, 0
	s_waitcnt lgkmcnt(0)
	v_and_b32_e32 v60, 1, v60
	v_add_u32_e32 v67, 2, v64
	v_cndmask_b32_e64 v60, v60, 1, vcc
	v_cmp_eq_u16_sdwa vcc, v68, v59 src0_sel:BYTE_0 src1_sel:DWORD
	v_and_b32_e32 v69, 0xffff, v60
	v_add_u32_e32 v77, 32, v64
	v_cndmask_b32_e32 v61, 0, v61, vcc
	v_cmp_gt_u32_e32 vcc, v67, v9
	s_nop 1
	v_cndmask_b32_e32 v60, v60, v68, vcc
	v_cndmask_b32_e64 v61, v61, 0, vcc
	v_cndmask_b32_e32 v7, v69, v7, vcc
	v_cmp_gt_u32_e32 vcc, 60, v64
	v_add_u32_e32 v6, v61, v6
	v_and_b32_e32 v71, 1, v60
	v_cndmask_b32_e64 v68, 0, 1, vcc
	v_lshlrev_b32_e32 v68, 2, v68
	v_add_lshl_u32 v68, v68, v73, 2
	s_waitcnt vmcnt(0)
	ds_bpermute_b32 v70, v68, v7
	ds_bpermute_b32 v61, v68, v6
	v_cmp_eq_u32_e32 vcc, 1, v71
	v_add_u32_e32 v69, 4, v64
	s_waitcnt lgkmcnt(1)
	v_and_b32_e32 v70, 1, v70
	v_cndmask_b32_e64 v70, v70, 1, vcc
	v_cmp_eq_u16_sdwa vcc, v60, v59 src0_sel:BYTE_0 src1_sel:DWORD
	v_and_b32_e32 v71, 0xffff, v70
	s_waitcnt lgkmcnt(0)
	v_cndmask_b32_e32 v61, 0, v61, vcc
	v_cmp_gt_u32_e32 vcc, v69, v9
	s_nop 1
	v_cndmask_b32_e32 v60, v70, v60, vcc
	v_cndmask_b32_e64 v61, v61, 0, vcc
	v_cndmask_b32_e32 v7, v71, v7, vcc
	v_cmp_gt_u32_e32 vcc, 56, v64
	v_add_u32_e32 v6, v61, v6
	v_and_b32_e32 v74, 1, v60
	v_cndmask_b32_e64 v70, 0, 1, vcc
	v_lshlrev_b32_e32 v70, 3, v70
	v_add_lshl_u32 v70, v70, v73, 2
	ds_bpermute_b32 v72, v70, v7
	ds_bpermute_b32 v61, v70, v6
	v_cmp_eq_u32_e32 vcc, 1, v74
	v_add_u32_e32 v71, 8, v64
	s_waitcnt lgkmcnt(1)
	v_and_b32_e32 v72, 1, v72
	v_cndmask_b32_e64 v72, v72, 1, vcc
	v_cmp_eq_u16_sdwa vcc, v60, v59 src0_sel:BYTE_0 src1_sel:DWORD
	v_and_b32_e32 v74, 0xffff, v72
	s_waitcnt lgkmcnt(0)
	v_cndmask_b32_e32 v61, 0, v61, vcc
	v_cmp_gt_u32_e32 vcc, v71, v9
	s_nop 1
	v_cndmask_b32_e32 v60, v72, v60, vcc
	v_cndmask_b32_e64 v61, v61, 0, vcc
	v_cndmask_b32_e32 v7, v74, v7, vcc
	v_cmp_gt_u32_e32 vcc, 48, v64
	v_add_u32_e32 v6, v61, v6
	v_and_b32_e32 v76, 1, v60
	v_cndmask_b32_e64 v72, 0, 1, vcc
	v_lshlrev_b32_e32 v72, 4, v72
	v_add_lshl_u32 v72, v72, v73, 2
	ds_bpermute_b32 v75, v72, v7
	ds_bpermute_b32 v61, v72, v6
	v_cmp_eq_u32_e32 vcc, 1, v76
	v_add_u32_e32 v74, 16, v64
	s_waitcnt lgkmcnt(1)
	v_and_b32_e32 v75, 1, v75
	v_cndmask_b32_e64 v75, v75, 1, vcc
	v_cmp_eq_u16_sdwa vcc, v60, v59 src0_sel:BYTE_0 src1_sel:DWORD
	v_and_b32_e32 v76, 0xffff, v75
	s_waitcnt lgkmcnt(0)
	v_cndmask_b32_e32 v61, 0, v61, vcc
	v_cmp_gt_u32_e32 vcc, v74, v9
	s_nop 1
	v_cndmask_b32_e32 v60, v75, v60, vcc
	v_cndmask_b32_e64 v61, v61, 0, vcc
	v_cndmask_b32_e32 v7, v76, v7, vcc
	v_cmp_gt_u32_e32 vcc, 32, v64
	v_add_u32_e32 v6, v61, v6
	s_nop 0
	v_cndmask_b32_e64 v75, 0, 1, vcc
	v_lshlrev_b32_e32 v75, 5, v75
	v_add_lshl_u32 v76, v75, v73, 2
	ds_bpermute_b32 v7, v76, v7
	ds_bpermute_b32 v61, v76, v6
	v_and_b32_e32 v73, 1, v60
	v_cmp_eq_u32_e32 vcc, 1, v73
	s_waitcnt lgkmcnt(1)
	v_and_b32_e32 v7, 1, v7
	v_cndmask_b32_e64 v7, v7, 1, vcc
	v_cmp_eq_u16_sdwa vcc, v60, v59 src0_sel:BYTE_0 src1_sel:DWORD
	s_waitcnt lgkmcnt(0)
	s_nop 0
	v_cndmask_b32_e32 v61, 0, v61, vcc
	v_cmp_gt_u32_e32 vcc, v77, v9
	s_nop 1
	v_cndmask_b32_e64 v9, v61, 0, vcc
	v_cndmask_b32_e32 v7, v7, v60, vcc
	v_add_u32_e32 v6, v9, v6
	s_branch .LBB931_157
.LBB931_156:                            ;   in Loop: Header=BB931_157 Depth=1
	s_or_b64 exec, exec, s[56:57]
	v_cmp_eq_u16_sdwa s[56:57], v8, v3 src0_sel:BYTE_0 src1_sel:DWORD
	ds_bpermute_b32 v61, v65, v7
	v_and_b32_e32 v78, 1, v7
	v_and_b32_e32 v9, s57, v5
	v_or_b32_e32 v9, 0x80000000, v9
	v_and_b32_e32 v60, s56, v4
	v_ffbl_b32_e32 v9, v9
	v_add_u32_e32 v9, 32, v9
	v_ffbl_b32_e32 v60, v60
	v_min_u32_e32 v9, v60, v9
	ds_bpermute_b32 v60, v65, v6
	s_waitcnt lgkmcnt(1)
	v_and_b32_e32 v61, 1, v61
	v_cmp_eq_u32_e32 vcc, 1, v78
	v_cmp_lt_u32_e64 s[56:57], v64, v9
	v_subrev_u32_e32 v58, 64, v58
	v_cndmask_b32_e64 v61, v61, 1, vcc
	v_cmp_gt_u64_e32 vcc, s[72:73], v[6:7]
	v_and_b32_e32 v78, 0xffff, v61
	v_cndmask_b32_e64 v61, v7, v61, s[56:57]
	v_cndmask_b32_e64 v7, v7, v78, s[56:57]
	s_and_b64 vcc, s[56:57], vcc
	ds_bpermute_b32 v78, v66, v7
	s_waitcnt lgkmcnt(1)
	v_cndmask_b32_e32 v60, 0, v60, vcc
	v_add_u32_e32 v6, v60, v6
	ds_bpermute_b32 v60, v66, v6
	v_and_b32_e32 v79, 1, v61
	s_waitcnt lgkmcnt(1)
	v_and_b32_e32 v78, 1, v78
	v_cmp_eq_u32_e32 vcc, 1, v79
	s_nop 1
	v_cndmask_b32_e64 v78, v78, 1, vcc
	v_cmp_eq_u16_sdwa vcc, v61, v59 src0_sel:BYTE_0 src1_sel:DWORD
	v_and_b32_e32 v79, 0xffff, v78
	s_waitcnt lgkmcnt(0)
	v_cndmask_b32_e32 v60, 0, v60, vcc
	v_cmp_gt_u32_e32 vcc, v67, v9
	s_nop 1
	v_cndmask_b32_e32 v7, v79, v7, vcc
	v_cndmask_b32_e32 v61, v78, v61, vcc
	ds_bpermute_b32 v78, v68, v7
	v_cndmask_b32_e64 v60, v60, 0, vcc
	v_add_u32_e32 v6, v60, v6
	ds_bpermute_b32 v60, v68, v6
	v_and_b32_e32 v79, 1, v61
	s_waitcnt lgkmcnt(1)
	v_and_b32_e32 v78, 1, v78
	v_cmp_eq_u32_e32 vcc, 1, v79
	s_nop 1
	v_cndmask_b32_e64 v78, v78, 1, vcc
	v_cmp_eq_u16_sdwa vcc, v61, v59 src0_sel:BYTE_0 src1_sel:DWORD
	v_and_b32_e32 v79, 0xffff, v78
	s_waitcnt lgkmcnt(0)
	v_cndmask_b32_e32 v60, 0, v60, vcc
	v_cmp_gt_u32_e32 vcc, v69, v9
	s_nop 1
	v_cndmask_b32_e32 v7, v79, v7, vcc
	v_cndmask_b32_e32 v61, v78, v61, vcc
	ds_bpermute_b32 v78, v70, v7
	v_cndmask_b32_e64 v60, v60, 0, vcc
	;; [unrolled: 18-line block ×3, first 2 shown]
	v_add_u32_e32 v6, v60, v6
	ds_bpermute_b32 v60, v72, v6
	v_and_b32_e32 v79, 1, v61
	s_waitcnt lgkmcnt(1)
	v_and_b32_e32 v78, 1, v78
	v_cmp_eq_u32_e32 vcc, 1, v79
	s_nop 1
	v_cndmask_b32_e64 v78, v78, 1, vcc
	v_cmp_eq_u16_sdwa vcc, v61, v59 src0_sel:BYTE_0 src1_sel:DWORD
	v_and_b32_e32 v79, 0xffff, v78
	s_waitcnt lgkmcnt(0)
	v_cndmask_b32_e32 v60, 0, v60, vcc
	v_cmp_gt_u32_e32 vcc, v74, v9
	s_nop 1
	v_cndmask_b32_e64 v60, v60, 0, vcc
	v_cndmask_b32_e32 v7, v79, v7, vcc
	ds_bpermute_b32 v7, v76, v7
	v_add_u32_e32 v6, v60, v6
	ds_bpermute_b32 v60, v76, v6
	v_cndmask_b32_e32 v61, v78, v61, vcc
	v_and_b32_e32 v78, 1, v61
	v_cmp_eq_u32_e32 vcc, 1, v78
	s_waitcnt lgkmcnt(1)
	s_nop 0
	v_cndmask_b32_e64 v7, v7, 1, vcc
	v_cmp_eq_u16_sdwa vcc, v61, v59 src0_sel:BYTE_0 src1_sel:DWORD
	s_waitcnt lgkmcnt(0)
	s_nop 0
	v_cndmask_b32_e32 v60, 0, v60, vcc
	v_cmp_gt_u32_e32 vcc, v77, v9
	s_nop 1
	v_cndmask_b32_e64 v9, v60, 0, vcc
	v_cndmask_b32_e32 v7, v7, v61, vcc
	v_add_u32_e32 v6, v9, v6
	v_cmp_eq_u16_sdwa vcc, v73, v59 src0_sel:BYTE_0 src1_sel:DWORD
	v_and_b32_e32 v9, 1, v73
	v_and_b32_e32 v7, 1, v7
	v_cndmask_b32_e32 v6, 0, v6, vcc
	v_cmp_eq_u32_e32 vcc, 1, v9
	v_add_u32_e32 v6, v6, v75
	s_nop 0
	v_cndmask_b32_e64 v7, v7, 1, vcc
.LBB931_157:                            ; =>This Loop Header: Depth=1
                                        ;     Child Loop BB931_160 Depth 2
	v_cmp_ne_u16_sdwa s[56:57], v8, v3 src0_sel:BYTE_0 src1_sel:DWORD
	v_mov_b32_e32 v73, v7
	v_mov_b32_e32 v75, v6
	v_cndmask_b32_e64 v7, 0, 1, s[56:57]
	;;#ASMSTART
	;;#ASMEND
	s_nop 0
	v_cmp_ne_u32_e32 vcc, 0, v7
	s_cmp_lg_u64 vcc, exec
	s_cbranch_scc1 .LBB931_162
; %bb.158:                              ;   in Loop: Header=BB931_157 Depth=1
	v_lshl_add_u64 v[60:61], v[58:59], 4, s[64:65]
	;;#ASMSTART
	global_load_dwordx4 v[6:9], v[60:61] off sc1	
s_waitcnt vmcnt(0)
	;;#ASMEND
	s_nop 0
	v_and_b32_e32 v9, 0xff0000, v6
	v_and_b32_e32 v78, 0xff000000, v6
	;; [unrolled: 1-line block ×3, first 2 shown]
	v_or_b32_sdwa v6, v6, v9 dst_sel:DWORD dst_unused:UNUSED_PAD src0_sel:WORD_0 src1_sel:DWORD
	v_or3_b32 v7, 0, 0, v7
	v_or3_b32 v6, v6, v78, 0
	v_cmp_eq_u16_sdwa s[74:75], v8, v59 src0_sel:BYTE_0 src1_sel:DWORD
	s_and_saveexec_b64 s[56:57], s[74:75]
	s_cbranch_execz .LBB931_156
; %bb.159:                              ;   in Loop: Header=BB931_157 Depth=1
	s_mov_b64 s[74:75], 0
.LBB931_160:                            ;   Parent Loop BB931_157 Depth=1
                                        ; =>  This Inner Loop Header: Depth=2
	;;#ASMSTART
	global_load_dwordx4 v[6:9], v[60:61] off sc1	
s_waitcnt vmcnt(0)
	;;#ASMEND
	s_nop 0
	v_cmp_ne_u16_sdwa s[76:77], v8, v59 src0_sel:BYTE_0 src1_sel:DWORD
	s_or_b64 s[74:75], s[76:77], s[74:75]
	s_andn2_b64 exec, exec, s[74:75]
	s_cbranch_execnz .LBB931_160
; %bb.161:                              ;   in Loop: Header=BB931_157 Depth=1
	s_or_b64 exec, exec, s[74:75]
	v_and_b32_e32 v7, 0xff, v7
	s_branch .LBB931_156
.LBB931_162:                            ;   in Loop: Header=BB931_157 Depth=1
                                        ; implicit-def: $vgpr7
                                        ; implicit-def: $vgpr6
                                        ; implicit-def: $vgpr8
	s_cbranch_execz .LBB931_157
; %bb.163:
	s_and_saveexec_b64 s[56:57], s[52:53]
	s_cbranch_execz .LBB931_165
; %bb.164:
	s_and_b32 s52, s3, 0xff
	s_cmp_eq_u32 s52, 0
	s_cselect_b64 vcc, -1, 0
	s_bitcmp1_b32 s3, 0
	s_mov_b32 s53, 0
	s_cselect_b64 s[72:73], -1, 0
	s_add_i32 s52, s2, 64
	s_lshl_b64 s[2:3], s[52:53], 4
	v_cndmask_b32_e32 v3, 0, v75, vcc
	s_add_u32 s2, s64, s2
	v_add_u32_e32 v2, v3, v2
	v_and_b32_e32 v3, 1, v73
	s_addc_u32 s3, s65, s3
	v_mov_b32_e32 v5, 0
	v_cndmask_b32_e64 v3, v3, 1, s[72:73]
	v_mov_b32_e32 v4, 2
	v_mov_b64_e32 v[6:7], s[2:3]
	;;#ASMSTART
	global_store_dwordx4 v[6:7], v[2:5] off sc1	
s_waitcnt vmcnt(0)
	;;#ASMEND
.LBB931_165:
	s_or_b64 exec, exec, s[56:57]
	s_and_b64 exec, exec, s[50:51]
	s_cbranch_execz .LBB931_167
; %bb.166:
	v_mov_b32_e32 v2, 0
	ds_write_b32 v2, v75
	ds_write_b8 v2, v73 offset:4
.LBB931_167:
	s_or_b64 exec, exec, s[62:63]
	s_mov_b32 s2, 0
	v_mov_b32_e32 v2, 0
	s_mov_b32 s3, 1
	s_waitcnt lgkmcnt(0)
	s_barrier
	ds_read_b32 v3, v2
	v_cmp_gt_u64_e32 vcc, s[2:3], v[10:11]
	v_and_b32_e32 v5, 1, v11
	v_and_b32_e32 v6, 1, v63
	v_cndmask_b32_e32 v4, 0, v62, vcc
	v_cmp_eq_u32_e32 vcc, 1, v5
	v_cndmask_b32_e64 v4, v4, 0, s[50:51]
	s_nop 0
	v_cndmask_b32_e64 v5, v6, 1, vcc
	v_cndmask_b32_e64 v5, v5, v11, s[50:51]
	v_cmp_eq_u16_sdwa vcc, v5, v2 src0_sel:BYTE_0 src1_sel:DWORD
	s_waitcnt lgkmcnt(0)
	s_nop 0
	v_cndmask_b32_e32 v2, 0, v3, vcc
	v_add3_u32 v80, v4, v10, v2
	v_cndmask_b32_e64 v2, 0, v80, s[4:5]
	v_add_u32_e32 v58, v2, v12
	v_cndmask_b32_e64 v2, 0, v58, s[6:7]
	v_add_u32_e32 v59, v2, v14
	;; [unrolled: 2-line block ×12, first 2 shown]
	v_cndmask_b32_e64 v2, 0, v69, s[28:29]
	s_waitcnt vmcnt(0)
	v_add_u32_e32 v70, v2, v36
	v_cndmask_b32_e64 v2, 0, v70, s[30:31]
	v_add_u32_e32 v71, v2, v38
	v_cndmask_b32_e64 v2, 0, v71, s[34:35]
	v_add_u32_e32 v72, v2, v40
	v_cndmask_b32_e64 v2, 0, v72, s[36:37]
	v_add_u32_e32 v73, v2, v42
	v_cndmask_b32_e64 v2, 0, v73, s[38:39]
	v_add_u32_e32 v74, v2, v44
	v_cndmask_b32_e64 v2, 0, v74, s[40:41]
	v_add_u32_e32 v75, v2, v46
	v_cndmask_b32_e64 v2, 0, v75, s[42:43]
	v_add_u32_e32 v76, v2, v48
	v_cndmask_b32_e64 v2, 0, v76, s[44:45]
	v_add_u32_e32 v77, v2, v50
	v_cndmask_b32_e64 v2, 0, v77, s[46:47]
	v_add_u32_e32 v78, v2, v52
	v_cndmask_b32_e64 v2, 0, v78, s[48:49]
	v_add_u32_e32 v79, v2, v56
	s_load_dwordx2 s[50:51], s[0:1], 0x20
	s_branch .LBB931_188
.LBB931_168:
                                        ; implicit-def: $vgpr78
                                        ; implicit-def: $vgpr77
                                        ; implicit-def: $vgpr76
                                        ; implicit-def: $vgpr75
                                        ; implicit-def: $vgpr74
                                        ; implicit-def: $vgpr73
                                        ; implicit-def: $vgpr72
                                        ; implicit-def: $vgpr71
                                        ; implicit-def: $vgpr70
                                        ; implicit-def: $vgpr69
                                        ; implicit-def: $vgpr68
                                        ; implicit-def: $vgpr67
                                        ; implicit-def: $vgpr66
                                        ; implicit-def: $vgpr65
                                        ; implicit-def: $vgpr64
                                        ; implicit-def: $vgpr63
                                        ; implicit-def: $vgpr62
                                        ; implicit-def: $vgpr61
                                        ; implicit-def: $vgpr60
                                        ; implicit-def: $vgpr59
                                        ; implicit-def: $vgpr58
                                        ; implicit-def: $vgpr80
                                        ; implicit-def: $vgpr79
	s_load_dwordx2 s[50:51], s[0:1], 0x20
	s_cbranch_execz .LBB931_188
; %bb.169:
	s_cmp_lg_u64 s[70:71], 0
	s_cselect_b32 s3, s59, 0
	s_cselect_b32 s2, s58, 0
	s_cmp_lg_u64 s[2:3], 0
	s_cselect_b64 s[4:5], -1, 0
	v_cmp_eq_u32_e32 vcc, 0, v0
	s_mov_b32 s48, 0
	v_cmp_ne_u32_e64 s[0:1], 0, v0
	s_and_b64 s[6:7], vcc, s[4:5]
	s_and_saveexec_b64 s[4:5], s[6:7]
	s_cbranch_execz .LBB931_171
; %bb.170:
	v_mov_b32_e32 v2, 0
	global_load_dword v4, v2, s[2:3]
	global_load_ubyte v5, v2, s[2:3] offset:4
	s_mov_b32 s49, 1
	v_and_b32_e32 v3, 1, v11
	v_cmp_gt_u64_e64 s[2:3], s[48:49], v[10:11]
	s_waitcnt vmcnt(0)
	v_and_b32_e32 v5, 1, v5
	v_cndmask_b32_e64 v4, 0, v4, s[2:3]
	v_cmp_eq_u64_e64 s[2:3], 0, v[2:3]
	v_add_u32_e32 v10, v4, v10
	s_nop 0
	v_cndmask_b32_e64 v11, 1, v5, s[2:3]
.LBB931_171:
	s_or_b64 exec, exec, s[4:5]
	s_mov_b32 s49, 1
	v_cmp_gt_u64_e64 s[4:5], s[48:49], v[12:13]
	v_cmp_gt_u64_e64 s[6:7], s[48:49], v[14:15]
	v_cmp_gt_u64_e64 s[8:9], s[48:49], v[16:17]
	v_cndmask_b32_e64 v2, 0, v10, s[4:5]
	v_add_u32_e32 v58, v2, v12
	v_cndmask_b32_e64 v2, 0, v58, s[6:7]
	v_add_u32_e32 v59, v2, v14
	v_cndmask_b32_e64 v2, 0, v59, s[8:9]
	v_add_u32_e32 v60, v2, v16
	v_cmp_gt_u64_e64 s[10:11], s[48:49], v[18:19]
	v_cmp_gt_u64_e64 s[12:13], s[48:49], v[20:21]
	v_cmp_gt_u64_e64 s[14:15], s[48:49], v[22:23]
	v_cndmask_b32_e64 v2, 0, v60, s[10:11]
	v_add_u32_e32 v61, v2, v18
	v_cndmask_b32_e64 v2, 0, v61, s[12:13]
	v_add_u32_e32 v62, v2, v20
	v_cndmask_b32_e64 v2, 0, v62, s[14:15]
	v_add_u32_e32 v63, v2, v22
	;; [unrolled: 9-line block ×4, first 2 shown]
	v_cmp_gt_u64_e64 s[28:29], s[48:49], v[36:37]
	v_cmp_gt_u64_e64 s[30:31], s[48:49], v[38:39]
	;; [unrolled: 1-line block ×3, first 2 shown]
	v_cndmask_b32_e64 v2, 0, v69, s[28:29]
	s_waitcnt vmcnt(0)
	v_add_u32_e32 v70, v2, v36
	v_cndmask_b32_e64 v2, 0, v70, s[30:31]
	v_add_u32_e32 v71, v2, v38
	v_cndmask_b32_e64 v2, 0, v71, s[34:35]
	v_add_u32_e32 v72, v2, v40
	v_cmp_gt_u64_e64 s[36:37], s[48:49], v[42:43]
	v_cmp_gt_u64_e64 s[38:39], s[48:49], v[44:45]
	;; [unrolled: 1-line block ×3, first 2 shown]
	v_cndmask_b32_e64 v2, 0, v72, s[36:37]
	v_add_u32_e32 v73, v2, v42
	v_cndmask_b32_e64 v2, 0, v73, s[38:39]
	v_add_u32_e32 v74, v2, v44
	;; [unrolled: 2-line block ×3, first 2 shown]
	v_cmp_gt_u64_e64 s[42:43], s[48:49], v[48:49]
	v_cmp_gt_u64_e64 s[44:45], s[48:49], v[50:51]
	;; [unrolled: 1-line block ×3, first 2 shown]
	v_cndmask_b32_e64 v2, 0, v75, s[42:43]
	v_add_u32_e32 v76, v2, v48
	v_cndmask_b32_e64 v2, 0, v76, s[44:45]
	v_add_u32_e32 v77, v2, v50
	;; [unrolled: 2-line block ×3, first 2 shown]
	v_cmp_gt_u64_e64 s[48:49], s[48:49], v[56:57]
	v_add_lshl_u32 v1, v1, v0, 3
	s_nop 0
	v_cndmask_b32_e64 v2, 0, v78, s[48:49]
	v_add_u32_e32 v79, v2, v56
	v_or3_b32 v2, v55, v51, v49
	v_or3_b32 v2, v2, v47, v45
	;; [unrolled: 1-line block ×10, first 2 shown]
	v_and_b32_e32 v2, 1, v2
	v_cmp_eq_u32_e64 s[2:3], 1, v2
	s_nop 1
	v_cndmask_b32_e64 v4, v11, 1, s[2:3]
	v_cmp_gt_u32_e64 s[2:3], 64, v0
	ds_write_b32 v1, v79
	ds_write_b8 v1, v4 offset:4
	s_waitcnt lgkmcnt(0)
	s_barrier
	s_and_saveexec_b64 s[52:53], s[2:3]
	s_cbranch_execz .LBB931_183
; %bb.172:
	v_lshrrev_b32_e32 v1, 3, v0
	v_add_lshl_u32 v1, v1, v54, 3
	ds_read2_b32 v[6:7], v1 offset0:2 offset1:4
	ds_read_b64 v[2:3], v1
	ds_read_u8 v8, v1 offset:12
	ds_read_u8 v9, v1 offset:20
	ds_read_b32 v13, v1 offset:24
	ds_read_u8 v15, v1 offset:28
	v_mov_b32_e32 v17, 0
	s_waitcnt lgkmcnt(3)
	v_cmp_eq_u16_sdwa s[2:3], v8, v17 src0_sel:BYTE_0 src1_sel:DWORD
	v_and_b32_e32 v5, 1, v3
	s_nop 0
	v_cndmask_b32_e64 v19, 0, v2, s[2:3]
	v_add_u32_e32 v6, v19, v6
	s_waitcnt lgkmcnt(2)
	v_cmp_eq_u16_sdwa s[2:3], v9, v17 src0_sel:BYTE_0 src1_sel:DWORD
	s_nop 1
	v_cndmask_b32_e64 v6, 0, v6, s[2:3]
	v_add_u32_e32 v6, v6, v7
	s_waitcnt lgkmcnt(0)
	v_cmp_eq_u16_e64 s[2:3], 0, v15
	s_nop 1
	v_cndmask_b32_e64 v6, 0, v6, s[2:3]
	v_add_u32_e32 v7, v6, v13
	v_or_b32_e32 v6, v15, v9
	v_or_b32_e32 v6, v6, v8
	v_and_b32_e32 v6, 1, v6
	v_cmp_eq_u32_e64 s[2:3], 1, v6
	v_mbcnt_lo_u32_b32 v8, -1, 0
	v_and_b32_e32 v6, 0xffffff00, v3
	v_cndmask_b32_e64 v9, v5, 1, s[2:3]
	v_mbcnt_hi_u32_b32 v8, -1, v8
	v_and_b32_e32 v15, 15, v8
	v_or_b32_sdwa v13, v6, v9 dst_sel:DWORD dst_unused:UNUSED_PAD src0_sel:DWORD src1_sel:WORD_0
	v_mov_b32_dpp v17, v7 row_shr:1 row_mask:0xf bank_mask:0xf
	v_cmp_ne_u32_e64 s[2:3], 0, v15
	v_mov_b32_dpp v19, v13 row_shr:1 row_mask:0xf bank_mask:0xf
	s_and_saveexec_b64 s[56:57], s[2:3]
; %bb.173:
	v_and_b32_e32 v13, 1, v9
	v_and_b32_e32 v19, 1, v19
	v_cmp_eq_u32_e64 s[2:3], 1, v13
	s_nop 1
	v_cndmask_b32_e64 v19, v19, 1, s[2:3]
	v_cmp_eq_u16_e64 s[2:3], 0, v9
	v_or_b32_sdwa v13, v6, v19 dst_sel:DWORD dst_unused:UNUSED_PAD src0_sel:DWORD src1_sel:WORD_0
	s_nop 0
	v_cndmask_b32_e64 v9, 0, v17, s[2:3]
	v_add_u32_e32 v7, v9, v7
	v_mov_b32_e32 v9, v19
; %bb.174:
	s_or_b64 exec, exec, s[56:57]
	v_mov_b32_dpp v17, v7 row_shr:2 row_mask:0xf bank_mask:0xf
	v_mov_b32_dpp v19, v13 row_shr:2 row_mask:0xf bank_mask:0xf
	v_cmp_lt_u32_e64 s[2:3], 1, v15
	s_and_saveexec_b64 s[56:57], s[2:3]
; %bb.175:
	v_and_b32_e32 v13, 1, v9
	v_and_b32_e32 v19, 1, v19
	v_cmp_eq_u32_e64 s[2:3], 1, v13
	s_nop 1
	v_cndmask_b32_e64 v19, v19, 1, s[2:3]
	v_cmp_eq_u16_e64 s[2:3], 0, v9
	v_or_b32_sdwa v13, v6, v19 dst_sel:DWORD dst_unused:UNUSED_PAD src0_sel:DWORD src1_sel:WORD_0
	s_nop 0
	v_cndmask_b32_e64 v9, 0, v17, s[2:3]
	v_add_u32_e32 v7, v9, v7
	v_mov_b32_e32 v9, v19
; %bb.176:
	s_or_b64 exec, exec, s[56:57]
	v_mov_b32_dpp v17, v7 row_shr:4 row_mask:0xf bank_mask:0xf
	v_mov_b32_dpp v19, v13 row_shr:4 row_mask:0xf bank_mask:0xf
	v_cmp_lt_u32_e64 s[2:3], 3, v15
	;; [unrolled: 18-line block ×3, first 2 shown]
	s_and_saveexec_b64 s[56:57], s[2:3]
; %bb.179:
	v_and_b32_e32 v13, 1, v9
	v_and_b32_e32 v15, 1, v19
	v_cmp_eq_u32_e64 s[2:3], 1, v13
	s_nop 1
	v_cndmask_b32_e64 v15, v15, 1, s[2:3]
	v_cmp_eq_u16_e64 s[2:3], 0, v9
	v_or_b32_sdwa v13, v6, v15 dst_sel:DWORD dst_unused:UNUSED_PAD src0_sel:DWORD src1_sel:WORD_0
	s_nop 0
	v_cndmask_b32_e64 v9, 0, v17, s[2:3]
	v_add_u32_e32 v7, v9, v7
	v_mov_b32_e32 v9, v15
; %bb.180:
	s_or_b64 exec, exec, s[56:57]
	v_and_b32_e32 v19, 16, v8
	v_mov_b32_dpp v15, v7 row_bcast:15 row_mask:0xf bank_mask:0xf
	v_mov_b32_dpp v17, v13 row_bcast:15 row_mask:0xf bank_mask:0xf
	v_cmp_ne_u32_e64 s[2:3], 0, v19
	s_and_saveexec_b64 s[56:57], s[2:3]
; %bb.181:
	v_and_b32_e32 v13, 1, v9
	v_and_b32_e32 v17, 1, v17
	v_cmp_eq_u32_e64 s[2:3], 1, v13
	s_nop 1
	v_cndmask_b32_e64 v17, v17, 1, s[2:3]
	v_cmp_eq_u16_e64 s[2:3], 0, v9
	v_or_b32_sdwa v13, v6, v17 dst_sel:DWORD dst_unused:UNUSED_PAD src0_sel:DWORD src1_sel:WORD_0
	s_nop 0
	v_cndmask_b32_e64 v9, 0, v15, s[2:3]
	v_add_u32_e32 v7, v9, v7
	v_mov_b32_e32 v9, v17
; %bb.182:
	s_or_b64 exec, exec, s[56:57]
	v_mov_b32_dpp v13, v13 row_bcast:31 row_mask:0xf bank_mask:0xf
	v_and_b32_e32 v17, 1, v9
	v_and_b32_e32 v13, 1, v13
	v_cmp_eq_u32_e64 s[2:3], 1, v17
	v_mov_b32_e32 v17, 0
	v_cmp_eq_u16_sdwa s[56:57], v9, v17 src0_sel:BYTE_0 src1_sel:DWORD
	v_cndmask_b32_e64 v13, v13, 1, s[2:3]
	v_cmp_lt_u32_e64 s[2:3], 31, v8
	v_mov_b32_dpp v15, v7 row_bcast:31 row_mask:0xf bank_mask:0xf
	s_movk_i32 s58, 0xff
	v_cndmask_b32_e64 v9, v9, v13, s[2:3]
	s_and_b64 s[2:3], s[2:3], s[56:57]
	v_cndmask_b32_e64 v13, 0, v15, s[2:3]
	v_add_u32_e32 v7, v13, v7
	v_add_u32_e32 v13, -1, v8
	v_and_b32_e32 v15, 64, v8
	v_cmp_lt_i32_e64 s[2:3], v13, v15
	v_and_or_b32 v6, v9, s58, v6
	s_nop 0
	v_cndmask_b32_e64 v8, v13, v8, s[2:3]
	v_lshlrev_b32_e32 v8, 2, v8
	ds_bpermute_b32 v7, v8, v7
	ds_bpermute_b32 v6, v8, v6
	v_cmp_eq_u16_sdwa s[2:3], v3, v17 src0_sel:BYTE_0 src1_sel:DWORD
	; wave barrier
	s_waitcnt lgkmcnt(1)
	s_nop 0
	v_cndmask_b32_e64 v3, 0, v7, s[2:3]
	v_add_u32_e32 v2, v3, v2
	s_waitcnt lgkmcnt(0)
	v_and_b32_e32 v3, 1, v6
	v_cmp_eq_u32_e64 s[2:3], 1, v5
	v_cndmask_b32_e32 v5, v2, v79, vcc
	s_nop 0
	v_cndmask_b32_e64 v3, v3, 1, s[2:3]
	v_cndmask_b32_e32 v4, v3, v4, vcc
	ds_write_b32 v1, v5
	ds_write_b8 v1, v4 offset:4
	; wave barrier
	ds_read_u8 v6, v1 offset:12
	ds_read2_b32 v[2:3], v1 offset0:2 offset1:4
	ds_read_u8 v7, v1 offset:20
	ds_read_b32 v8, v1 offset:24
	ds_read_u8 v9, v1 offset:28
	s_waitcnt lgkmcnt(4)
	v_cmp_eq_u16_e64 s[2:3], 0, v6
	s_nop 1
	v_cndmask_b32_e64 v5, 0, v5, s[2:3]
	s_waitcnt lgkmcnt(3)
	v_add_u32_e32 v2, v5, v2
	v_and_b32_e32 v5, 1, v6
	v_cmp_eq_u32_e64 s[2:3], 1, v5
	s_nop 1
	v_cndmask_b32_e64 v4, v4, 1, s[2:3]
	s_waitcnt lgkmcnt(2)
	v_cmp_eq_u16_e64 s[2:3], 0, v7
	ds_write_b8 v1, v4 offset:12
	s_nop 0
	v_cndmask_b32_e64 v5, 0, v2, s[2:3]
	v_add_u32_e32 v3, v5, v3
	v_and_b32_e32 v5, 1, v7
	v_cmp_eq_u32_e64 s[2:3], 1, v5
	s_nop 1
	v_cndmask_b32_e64 v4, v4, 1, s[2:3]
	s_waitcnt lgkmcnt(1)
	v_cmp_eq_u16_e64 s[2:3], 0, v9
	ds_write2_b32 v1, v2, v3 offset0:2 offset1:4
	ds_write_b8 v1, v4 offset:20
	v_cndmask_b32_e64 v2, 0, v3, s[2:3]
	v_and_b32_e32 v3, 1, v9
	v_add_u32_e32 v2, v2, v8
	v_cmp_eq_u32_e64 s[2:3], 1, v3
	s_nop 1
	v_cndmask_b32_e64 v3, v4, 1, s[2:3]
	ds_write_b32 v1, v2 offset:24
	ds_write_b8 v1, v3 offset:28
.LBB931_183:
	s_or_b64 exec, exec, s[52:53]
	v_mov_b32_e32 v1, v79
	s_waitcnt lgkmcnt(0)
	s_barrier
	s_and_saveexec_b64 s[2:3], s[0:1]
	s_cbranch_execnz .LBB931_261
; %bb.184:
	s_or_b64 exec, exec, s[2:3]
	s_and_saveexec_b64 s[2:3], s[0:1]
	s_cbranch_execnz .LBB931_262
.LBB931_185:
	s_or_b64 exec, exec, s[2:3]
	s_and_saveexec_b64 s[0:1], vcc
	s_cbranch_execz .LBB931_187
.LBB931_186:
	v_mov_b32_e32 v5, 0
	ds_read_b32 v2, v5 offset:2096
	ds_read_u8 v3, v5 offset:2100
	s_add_u32 s2, s64, 0x400
	s_addc_u32 s3, s65, 0
	v_mov_b32_e32 v4, 2
	v_mov_b64_e32 v[6:7], s[2:3]
	s_waitcnt lgkmcnt(0)
	;;#ASMSTART
	global_store_dwordx4 v[6:7], v[2:5] off sc1	
s_waitcnt vmcnt(0)
	;;#ASMEND
.LBB931_187:
	s_or_b64 exec, exec, s[0:1]
	v_mov_b32_e32 v80, v10
.LBB931_188:
	s_waitcnt lgkmcnt(0)
	s_add_u32 s0, s50, s68
	s_addc_u32 s1, s51, s69
	s_add_u32 s0, s0, s60
	s_addc_u32 s1, s1, s61
	s_and_b64 vcc, exec, s[54:55]
	s_cbranch_vccz .LBB931_234
; %bb.189:
	s_movk_i32 s2, 0x5c
	v_mul_i32_i24_e32 v26, 0xffffffa8, v0
	v_mul_u32_u24_e32 v1, 0x5c, v0
	v_mad_u32_u24 v2, v0, s2, v26
	s_barrier
	ds_write2_b32 v1, v80, v58 offset1:1
	ds_write2_b32 v1, v59, v60 offset0:2 offset1:3
	ds_write2_b32 v1, v61, v62 offset0:4 offset1:5
	;; [unrolled: 1-line block ×5, first 2 shown]
	s_waitcnt vmcnt(0)
	ds_write2_b32 v1, v69, v70 offset0:12 offset1:13
	ds_write2_b32 v1, v71, v72 offset0:14 offset1:15
	;; [unrolled: 1-line block ×5, first 2 shown]
	ds_write_b32 v1, v79 offset:88
	s_waitcnt lgkmcnt(0)
	s_barrier
	ds_read2st64_b32 v[24:25], v2 offset0:4 offset1:8
	ds_read2st64_b32 v[22:23], v2 offset0:12 offset1:16
	;; [unrolled: 1-line block ×11, first 2 shown]
	s_add_i32 s33, s33, s66
	v_mov_b32_e32 v55, 0
	v_lshl_add_u64 v[4:5], s[0:1], 0, v[54:55]
	v_cmp_gt_u32_e32 vcc, s33, v0
	s_and_saveexec_b64 s[2:3], vcc
	s_cbranch_execz .LBB931_191
; %bb.190:
	v_add_u32_e32 v1, v1, v26
	ds_read_b32 v1, v1
	s_waitcnt lgkmcnt(0)
	flat_store_dword v[4:5], v1
.LBB931_191:
	s_or_b64 exec, exec, s[2:3]
	v_or_b32_e32 v1, 0x100, v0
	v_cmp_gt_u32_e32 vcc, s33, v1
	s_and_saveexec_b64 s[2:3], vcc
	s_cbranch_execz .LBB931_193
; %bb.192:
	s_waitcnt lgkmcnt(0)
	flat_store_dword v[4:5], v24 offset:1024
.LBB931_193:
	s_or_b64 exec, exec, s[2:3]
	v_or_b32_e32 v1, 0x200, v0
	v_cmp_gt_u32_e32 vcc, s33, v1
	s_and_saveexec_b64 s[2:3], vcc
	s_cbranch_execz .LBB931_195
; %bb.194:
	s_waitcnt lgkmcnt(0)
	flat_store_dword v[4:5], v25 offset:2048
.LBB931_195:
	;; [unrolled: 9-line block ×3, first 2 shown]
	s_or_b64 exec, exec, s[2:3]
	v_or_b32_e32 v1, 0x400, v0
	v_cmp_gt_u32_e32 vcc, s33, v1
	s_and_saveexec_b64 s[2:3], vcc
	s_cbranch_execz .LBB931_199
; %bb.198:
	s_waitcnt lgkmcnt(0)
	v_add_co_u32_e32 v24, vcc, 0x1000, v4
	s_nop 1
	v_addc_co_u32_e32 v25, vcc, 0, v5, vcc
	flat_store_dword v[24:25], v23
.LBB931_199:
	s_or_b64 exec, exec, s[2:3]
	v_or_b32_e32 v1, 0x500, v0
	v_cmp_gt_u32_e32 vcc, s33, v1
	s_and_saveexec_b64 s[2:3], vcc
	s_cbranch_execz .LBB931_201
; %bb.200:
	s_waitcnt lgkmcnt(0)
	v_add_co_u32_e32 v22, vcc, 0x1000, v4
	s_nop 1
	v_addc_co_u32_e32 v23, vcc, 0, v5, vcc
	flat_store_dword v[22:23], v20 offset:1024
.LBB931_201:
	s_or_b64 exec, exec, s[2:3]
	v_or_b32_e32 v1, 0x600, v0
	v_cmp_gt_u32_e32 vcc, s33, v1
	s_and_saveexec_b64 s[2:3], vcc
	s_cbranch_execz .LBB931_203
; %bb.202:
	s_waitcnt lgkmcnt(0)
	v_add_co_u32_e32 v22, vcc, 0x1000, v4
	s_nop 1
	v_addc_co_u32_e32 v23, vcc, 0, v5, vcc
	flat_store_dword v[22:23], v21 offset:2048
.LBB931_203:
	s_or_b64 exec, exec, s[2:3]
	v_or_b32_e32 v1, 0x700, v0
	v_cmp_gt_u32_e32 vcc, s33, v1
	s_and_saveexec_b64 s[2:3], vcc
	s_cbranch_execz .LBB931_205
; %bb.204:
	s_waitcnt lgkmcnt(0)
	v_add_co_u32_e32 v20, vcc, 0x1000, v4
	s_nop 1
	v_addc_co_u32_e32 v21, vcc, 0, v5, vcc
	flat_store_dword v[20:21], v18 offset:3072
.LBB931_205:
	s_or_b64 exec, exec, s[2:3]
	v_or_b32_e32 v1, 0x800, v0
	v_cmp_gt_u32_e32 vcc, s33, v1
	s_and_saveexec_b64 s[2:3], vcc
	s_cbranch_execz .LBB931_207
; %bb.206:
	s_waitcnt lgkmcnt(0)
	v_add_co_u32_e32 v20, vcc, 0x2000, v4
	s_nop 1
	v_addc_co_u32_e32 v21, vcc, 0, v5, vcc
	flat_store_dword v[20:21], v19
.LBB931_207:
	s_or_b64 exec, exec, s[2:3]
	v_or_b32_e32 v1, 0x900, v0
	v_cmp_gt_u32_e32 vcc, s33, v1
	s_and_saveexec_b64 s[2:3], vcc
	s_cbranch_execz .LBB931_209
; %bb.208:
	s_waitcnt lgkmcnt(0)
	v_add_co_u32_e32 v18, vcc, 0x2000, v4
	s_nop 1
	v_addc_co_u32_e32 v19, vcc, 0, v5, vcc
	flat_store_dword v[18:19], v16 offset:1024
.LBB931_209:
	s_or_b64 exec, exec, s[2:3]
	v_or_b32_e32 v1, 0xa00, v0
	v_cmp_gt_u32_e32 vcc, s33, v1
	s_and_saveexec_b64 s[2:3], vcc
	s_cbranch_execz .LBB931_211
; %bb.210:
	s_waitcnt lgkmcnt(0)
	v_add_co_u32_e32 v18, vcc, 0x2000, v4
	s_nop 1
	v_addc_co_u32_e32 v19, vcc, 0, v5, vcc
	flat_store_dword v[18:19], v17 offset:2048
.LBB931_211:
	s_or_b64 exec, exec, s[2:3]
	v_or_b32_e32 v1, 0xb00, v0
	v_cmp_gt_u32_e32 vcc, s33, v1
	s_and_saveexec_b64 s[2:3], vcc
	s_cbranch_execz .LBB931_213
; %bb.212:
	s_waitcnt lgkmcnt(0)
	v_add_co_u32_e32 v16, vcc, 0x2000, v4
	s_nop 1
	v_addc_co_u32_e32 v17, vcc, 0, v5, vcc
	flat_store_dword v[16:17], v14 offset:3072
.LBB931_213:
	s_or_b64 exec, exec, s[2:3]
	v_or_b32_e32 v1, 0xc00, v0
	v_cmp_gt_u32_e32 vcc, s33, v1
	s_and_saveexec_b64 s[2:3], vcc
	s_cbranch_execz .LBB931_215
; %bb.214:
	s_waitcnt lgkmcnt(0)
	v_add_co_u32_e32 v16, vcc, 0x3000, v4
	s_nop 1
	v_addc_co_u32_e32 v17, vcc, 0, v5, vcc
	flat_store_dword v[16:17], v15
.LBB931_215:
	s_or_b64 exec, exec, s[2:3]
	v_or_b32_e32 v1, 0xd00, v0
	v_cmp_gt_u32_e32 vcc, s33, v1
	s_and_saveexec_b64 s[2:3], vcc
	s_cbranch_execz .LBB931_217
; %bb.216:
	s_waitcnt lgkmcnt(0)
	v_add_co_u32_e32 v14, vcc, 0x3000, v4
	s_nop 1
	v_addc_co_u32_e32 v15, vcc, 0, v5, vcc
	flat_store_dword v[14:15], v12 offset:1024
.LBB931_217:
	s_or_b64 exec, exec, s[2:3]
	v_or_b32_e32 v1, 0xe00, v0
	v_cmp_gt_u32_e32 vcc, s33, v1
	s_and_saveexec_b64 s[2:3], vcc
	s_cbranch_execz .LBB931_219
; %bb.218:
	s_waitcnt lgkmcnt(0)
	v_add_co_u32_e32 v14, vcc, 0x3000, v4
	s_nop 1
	v_addc_co_u32_e32 v15, vcc, 0, v5, vcc
	flat_store_dword v[14:15], v13 offset:2048
.LBB931_219:
	s_or_b64 exec, exec, s[2:3]
	v_or_b32_e32 v1, 0xf00, v0
	v_cmp_gt_u32_e32 vcc, s33, v1
	s_and_saveexec_b64 s[2:3], vcc
	s_cbranch_execz .LBB931_221
; %bb.220:
	s_waitcnt lgkmcnt(0)
	v_add_co_u32_e32 v12, vcc, 0x3000, v4
	s_nop 1
	v_addc_co_u32_e32 v13, vcc, 0, v5, vcc
	flat_store_dword v[12:13], v10 offset:3072
.LBB931_221:
	s_or_b64 exec, exec, s[2:3]
	v_or_b32_e32 v1, 0x1000, v0
	v_cmp_gt_u32_e32 vcc, s33, v1
	s_and_saveexec_b64 s[2:3], vcc
	s_cbranch_execz .LBB931_223
; %bb.222:
	s_waitcnt lgkmcnt(0)
	v_add_co_u32_e32 v12, vcc, 0x4000, v4
	s_nop 1
	v_addc_co_u32_e32 v13, vcc, 0, v5, vcc
	flat_store_dword v[12:13], v11
.LBB931_223:
	s_or_b64 exec, exec, s[2:3]
	v_or_b32_e32 v1, 0x1100, v0
	v_cmp_gt_u32_e32 vcc, s33, v1
	s_and_saveexec_b64 s[2:3], vcc
	s_cbranch_execz .LBB931_225
; %bb.224:
	s_waitcnt lgkmcnt(0)
	v_add_co_u32_e32 v10, vcc, 0x4000, v4
	s_nop 1
	v_addc_co_u32_e32 v11, vcc, 0, v5, vcc
	flat_store_dword v[10:11], v8 offset:1024
.LBB931_225:
	s_or_b64 exec, exec, s[2:3]
	v_or_b32_e32 v1, 0x1200, v0
	v_cmp_gt_u32_e32 vcc, s33, v1
	s_and_saveexec_b64 s[2:3], vcc
	s_cbranch_execz .LBB931_227
; %bb.226:
	s_waitcnt lgkmcnt(0)
	v_add_co_u32_e32 v10, vcc, 0x4000, v4
	s_nop 1
	v_addc_co_u32_e32 v11, vcc, 0, v5, vcc
	flat_store_dword v[10:11], v9 offset:2048
.LBB931_227:
	s_or_b64 exec, exec, s[2:3]
	v_or_b32_e32 v1, 0x1300, v0
	v_cmp_gt_u32_e32 vcc, s33, v1
	s_and_saveexec_b64 s[2:3], vcc
	s_cbranch_execz .LBB931_229
; %bb.228:
	s_waitcnt lgkmcnt(0)
	v_add_co_u32_e32 v8, vcc, 0x4000, v4
	s_nop 1
	v_addc_co_u32_e32 v9, vcc, 0, v5, vcc
	flat_store_dword v[8:9], v6 offset:3072
.LBB931_229:
	s_or_b64 exec, exec, s[2:3]
	v_or_b32_e32 v1, 0x1400, v0
	v_cmp_gt_u32_e32 vcc, s33, v1
	s_and_saveexec_b64 s[2:3], vcc
	s_cbranch_execz .LBB931_231
; %bb.230:
	s_waitcnt lgkmcnt(0)
	v_add_co_u32_e32 v8, vcc, 0x5000, v4
	s_nop 1
	v_addc_co_u32_e32 v9, vcc, 0, v5, vcc
	flat_store_dword v[8:9], v7
.LBB931_231:
	s_or_b64 exec, exec, s[2:3]
	v_or_b32_e32 v1, 0x1500, v0
	v_cmp_gt_u32_e32 vcc, s33, v1
	s_and_saveexec_b64 s[2:3], vcc
	s_cbranch_execz .LBB931_233
; %bb.232:
	v_add_co_u32_e32 v4, vcc, 0x5000, v4
	s_nop 1
	v_addc_co_u32_e32 v5, vcc, 0, v5, vcc
	s_waitcnt lgkmcnt(0)
	flat_store_dword v[4:5], v2 offset:1024
.LBB931_233:
	s_or_b64 exec, exec, s[2:3]
	s_waitcnt lgkmcnt(0)
	v_or_b32_e32 v2, 0x1600, v0
	v_mov_b32_e32 v1, v55
	v_cmp_gt_u32_e64 s[2:3], s33, v2
	s_branch .LBB931_236
.LBB931_234:
	s_mov_b64 s[2:3], 0
                                        ; implicit-def: $vgpr3
	s_cbranch_execz .LBB931_236
; %bb.235:
	v_mul_u32_u24_e32 v1, 0x5c, v0
	s_barrier
	s_movk_i32 s4, 0x5c
	ds_write2_b32 v1, v80, v58 offset1:1
	ds_write2_b32 v1, v59, v60 offset0:2 offset1:3
	ds_write2_b32 v1, v61, v62 offset0:4 offset1:5
	;; [unrolled: 1-line block ×5, first 2 shown]
	s_waitcnt vmcnt(0)
	ds_write2_b32 v1, v69, v70 offset0:12 offset1:13
	ds_write2_b32 v1, v71, v72 offset0:14 offset1:15
	;; [unrolled: 1-line block ×5, first 2 shown]
	ds_write_b32 v1, v79 offset:88
	v_mov_b32_e32 v1, 0
	v_mul_i32_i24_e32 v2, 0xffffffa8, v0
	v_mad_u32_u24 v2, v0, s4, v2
	v_mov_b32_e32 v55, v1
	s_waitcnt lgkmcnt(0)
	s_barrier
	ds_read2st64_b32 v[4:5], v2 offset1:4
	ds_read2st64_b32 v[6:7], v2 offset0:8 offset1:12
	ds_read2st64_b32 v[8:9], v2 offset0:16 offset1:20
	;; [unrolled: 1-line block ×10, first 2 shown]
	ds_read_b32 v3, v2 offset:22528
	v_lshl_add_u64 v[26:27], s[0:1], 0, v[54:55]
	s_movk_i32 s4, 0x1000
	s_waitcnt lgkmcnt(11)
	flat_store_dword v[26:27], v4
	flat_store_dword v[26:27], v5 offset:1024
	s_waitcnt lgkmcnt(0)
	flat_store_dword v[26:27], v6 offset:2048
	flat_store_dword v[26:27], v7 offset:3072
	v_add_co_u32_e32 v4, vcc, s4, v26
	s_movk_i32 s4, 0x2000
	s_nop 0
	v_addc_co_u32_e32 v5, vcc, 0, v27, vcc
	flat_store_dword v[4:5], v8
	flat_store_dword v[4:5], v9 offset:1024
	flat_store_dword v[4:5], v10 offset:2048
	;; [unrolled: 1-line block ×3, first 2 shown]
	v_add_co_u32_e32 v4, vcc, s4, v26
	s_movk_i32 s4, 0x3000
	s_nop 0
	v_addc_co_u32_e32 v5, vcc, 0, v27, vcc
	flat_store_dword v[4:5], v12
	flat_store_dword v[4:5], v13 offset:1024
	flat_store_dword v[4:5], v14 offset:2048
	;; [unrolled: 1-line block ×3, first 2 shown]
	v_add_co_u32_e32 v4, vcc, s4, v26
	s_or_b64 s[2:3], s[2:3], exec
	s_nop 0
	v_addc_co_u32_e32 v5, vcc, 0, v27, vcc
	flat_store_dword v[4:5], v16
	flat_store_dword v[4:5], v17 offset:1024
	flat_store_dword v[4:5], v18 offset:2048
	;; [unrolled: 1-line block ×3, first 2 shown]
	v_add_co_u32_e32 v4, vcc, 0x4000, v26
	s_nop 1
	v_addc_co_u32_e32 v5, vcc, 0, v27, vcc
	flat_store_dword v[4:5], v20
	flat_store_dword v[4:5], v21 offset:1024
	flat_store_dword v[4:5], v22 offset:2048
	;; [unrolled: 1-line block ×3, first 2 shown]
	v_add_co_u32_e32 v4, vcc, 0x5000, v26
	s_nop 1
	v_addc_co_u32_e32 v5, vcc, 0, v27, vcc
	flat_store_dword v[4:5], v24
	flat_store_dword v[4:5], v25 offset:1024
.LBB931_236:
	s_and_saveexec_b64 s[4:5], s[2:3]
	s_cbranch_execnz .LBB931_238
; %bb.237:
	s_endpgm
.LBB931_238:
	v_lshl_add_u64 v[0:1], v[0:1], 2, s[0:1]
	v_add_co_u32_e32 v0, vcc, 0x5000, v0
	s_nop 1
	v_addc_co_u32_e32 v1, vcc, 0, v1, vcc
	flat_store_dword v[0:1], v3 offset:2048
	s_endpgm
.LBB931_239:
	global_load_dword v11, v3, s[52:53]
	s_waitcnt vmcnt(0)
	v_sub_u32_e32 v11, 0, v11
	s_or_b64 exec, exec, s[56:57]
                                        ; implicit-def: $vgpr13
	s_and_saveexec_b64 s[4:5], s[6:7]
	s_cbranch_execz .LBB931_55
.LBB931_240:
	global_load_dword v13, v3, s[52:53] offset:1024
	s_waitcnt vmcnt(0)
	v_sub_u32_e32 v13, 0, v13
	s_or_b64 exec, exec, s[4:5]
                                        ; implicit-def: $vgpr15
	s_and_saveexec_b64 s[4:5], s[8:9]
	s_cbranch_execz .LBB931_56
.LBB931_241:
	global_load_dword v15, v3, s[52:53] offset:2048
	s_waitcnt vmcnt(0)
	v_sub_u32_e32 v15, 0, v15
	s_or_b64 exec, exec, s[4:5]
                                        ; implicit-def: $vgpr17
	s_and_saveexec_b64 s[4:5], s[10:11]
	s_cbranch_execz .LBB931_57
.LBB931_242:
	global_load_dword v17, v3, s[52:53] offset:3072
	s_waitcnt vmcnt(0)
	v_sub_u32_e32 v17, 0, v17
	s_or_b64 exec, exec, s[4:5]
                                        ; implicit-def: $vgpr19
	s_and_saveexec_b64 s[4:5], s[12:13]
	s_cbranch_execz .LBB931_58
.LBB931_243:
	global_load_dword v2, v2, s[52:53]
	s_waitcnt vmcnt(0)
	v_sub_u32_e32 v19, 0, v2
	s_or_b64 exec, exec, s[4:5]
                                        ; implicit-def: $vgpr2
	s_and_saveexec_b64 s[4:5], s[14:15]
	s_cbranch_execz .LBB931_59
.LBB931_244:
	global_load_dword v2, v10, s[52:53]
	s_waitcnt vmcnt(0)
	v_sub_u32_e32 v2, 0, v2
	s_or_b64 exec, exec, s[4:5]
                                        ; implicit-def: $vgpr10
	s_and_saveexec_b64 s[4:5], s[16:17]
	s_cbranch_execz .LBB931_60
.LBB931_245:
	global_load_dword v10, v12, s[52:53]
	s_waitcnt vmcnt(0)
	v_sub_u32_e32 v10, 0, v10
	s_or_b64 exec, exec, s[4:5]
                                        ; implicit-def: $vgpr12
	s_and_saveexec_b64 s[4:5], s[18:19]
	s_cbranch_execz .LBB931_61
.LBB931_246:
	global_load_dword v12, v14, s[52:53]
	s_waitcnt vmcnt(0)
	v_sub_u32_e32 v12, 0, v12
	s_or_b64 exec, exec, s[4:5]
                                        ; implicit-def: $vgpr14
	s_and_saveexec_b64 s[4:5], s[20:21]
	s_cbranch_execz .LBB931_62
.LBB931_247:
	global_load_dword v14, v16, s[52:53]
	s_waitcnt vmcnt(0)
	v_sub_u32_e32 v14, 0, v14
	s_or_b64 exec, exec, s[4:5]
                                        ; implicit-def: $vgpr16
	s_and_saveexec_b64 s[4:5], s[22:23]
	s_cbranch_execz .LBB931_63
.LBB931_248:
	global_load_dword v16, v18, s[52:53]
	s_waitcnt vmcnt(0)
	v_sub_u32_e32 v16, 0, v16
	s_or_b64 exec, exec, s[4:5]
                                        ; implicit-def: $vgpr18
	s_and_saveexec_b64 s[4:5], s[24:25]
	s_cbranch_execz .LBB931_64
.LBB931_249:
	global_load_dword v18, v20, s[52:53]
	s_waitcnt vmcnt(0)
	v_sub_u32_e32 v18, 0, v18
	s_or_b64 exec, exec, s[4:5]
                                        ; implicit-def: $vgpr20
	s_and_saveexec_b64 s[4:5], s[26:27]
	s_cbranch_execz .LBB931_65
.LBB931_250:
	global_load_dword v20, v22, s[52:53]
	s_waitcnt vmcnt(0)
	v_sub_u32_e32 v20, 0, v20
	s_or_b64 exec, exec, s[4:5]
                                        ; implicit-def: $vgpr21
	s_and_saveexec_b64 s[4:5], s[28:29]
	s_cbranch_execz .LBB931_66
.LBB931_251:
	global_load_dword v21, v24, s[52:53]
	s_waitcnt vmcnt(0)
	v_sub_u32_e32 v21, 0, v21
	s_or_b64 exec, exec, s[4:5]
                                        ; implicit-def: $vgpr22
	s_and_saveexec_b64 s[4:5], s[30:31]
	s_cbranch_execz .LBB931_67
.LBB931_252:
	global_load_dword v22, v26, s[52:53]
	s_waitcnt vmcnt(0)
	v_sub_u32_e32 v22, 0, v22
	s_or_b64 exec, exec, s[4:5]
                                        ; implicit-def: $vgpr23
	s_and_saveexec_b64 s[4:5], s[34:35]
	s_cbranch_execz .LBB931_68
.LBB931_253:
	global_load_dword v23, v28, s[52:53]
	s_waitcnt vmcnt(0)
	v_sub_u32_e32 v23, 0, v23
	s_or_b64 exec, exec, s[4:5]
                                        ; implicit-def: $vgpr24
	s_and_saveexec_b64 s[4:5], s[36:37]
	s_cbranch_execz .LBB931_69
.LBB931_254:
	global_load_dword v24, v30, s[52:53]
	s_waitcnt vmcnt(0)
	v_sub_u32_e32 v24, 0, v24
	s_or_b64 exec, exec, s[4:5]
                                        ; implicit-def: $vgpr25
	s_and_saveexec_b64 s[4:5], s[38:39]
	s_cbranch_execz .LBB931_70
.LBB931_255:
	global_load_dword v25, v32, s[52:53]
	s_waitcnt vmcnt(0)
	v_sub_u32_e32 v25, 0, v25
	s_or_b64 exec, exec, s[4:5]
                                        ; implicit-def: $vgpr26
	s_and_saveexec_b64 s[4:5], s[40:41]
	s_cbranch_execz .LBB931_71
.LBB931_256:
	global_load_dword v26, v34, s[52:53]
	s_waitcnt vmcnt(0)
	v_sub_u32_e32 v26, 0, v26
	s_or_b64 exec, exec, s[4:5]
                                        ; implicit-def: $vgpr27
	s_and_saveexec_b64 s[4:5], s[42:43]
	s_cbranch_execz .LBB931_72
.LBB931_257:
	global_load_dword v27, v36, s[52:53]
	s_waitcnt vmcnt(0)
	v_sub_u32_e32 v27, 0, v27
	s_or_b64 exec, exec, s[4:5]
                                        ; implicit-def: $vgpr28
	s_and_saveexec_b64 s[4:5], s[44:45]
	s_cbranch_execz .LBB931_73
.LBB931_258:
	global_load_dword v28, v38, s[52:53]
	s_waitcnt vmcnt(0)
	v_sub_u32_e32 v28, 0, v28
	s_or_b64 exec, exec, s[4:5]
                                        ; implicit-def: $vgpr29
	s_and_saveexec_b64 s[4:5], s[46:47]
	s_cbranch_execz .LBB931_74
.LBB931_259:
	global_load_dword v29, v40, s[52:53]
	s_waitcnt vmcnt(0)
	v_sub_u32_e32 v29, 0, v29
	s_or_b64 exec, exec, s[4:5]
                                        ; implicit-def: $vgpr30
	s_and_saveexec_b64 s[4:5], s[48:49]
	s_cbranch_execz .LBB931_75
.LBB931_260:
	global_load_dword v30, v42, s[52:53]
	s_waitcnt vmcnt(0)
	v_sub_u32_e32 v30, 0, v30
	s_or_b64 exec, exec, s[4:5]
                                        ; implicit-def: $vgpr31
	s_and_saveexec_b64 s[4:5], s[50:51]
	s_cbranch_execnz .LBB931_76
	s_branch .LBB931_77
.LBB931_261:
	v_add_u32_e32 v1, -1, v0
	v_lshrrev_b32_e32 v2, 5, v1
	v_add_lshl_u32 v1, v2, v1, 3
	ds_read_b32 v1, v1
	s_or_b64 exec, exec, s[2:3]
	s_and_saveexec_b64 s[2:3], s[0:1]
	s_cbranch_execz .LBB931_185
.LBB931_262:
	v_and_b32_e32 v3, 0xff, v11
	v_mov_b32_e32 v2, 0
	v_cmp_eq_u64_e64 s[0:1], 0, v[2:3]
	;;#ASMSTART
	;;#ASMEND
	s_waitcnt lgkmcnt(0)
	s_nop 0
	v_cndmask_b32_e64 v1, 0, v1, s[0:1]
	v_add_u32_e32 v10, v1, v10
	v_cndmask_b32_e64 v1, 0, v10, s[4:5]
	v_add_u32_e32 v58, v1, v12
	v_cndmask_b32_e64 v1, 0, v58, s[6:7]
	v_add_u32_e32 v59, v1, v14
	v_cndmask_b32_e64 v1, 0, v59, s[8:9]
	v_add_u32_e32 v60, v1, v16
	v_cndmask_b32_e64 v1, 0, v60, s[10:11]
	v_add_u32_e32 v61, v1, v18
	v_cndmask_b32_e64 v1, 0, v61, s[12:13]
	v_add_u32_e32 v62, v1, v20
	v_cndmask_b32_e64 v1, 0, v62, s[14:15]
	v_add_u32_e32 v63, v1, v22
	v_cndmask_b32_e64 v1, 0, v63, s[16:17]
	v_add_u32_e32 v64, v1, v24
	v_cndmask_b32_e64 v1, 0, v64, s[18:19]
	v_add_u32_e32 v65, v1, v26
	v_cndmask_b32_e64 v1, 0, v65, s[20:21]
	v_add_u32_e32 v66, v1, v28
	v_cndmask_b32_e64 v1, 0, v66, s[22:23]
	v_add_u32_e32 v67, v1, v30
	v_cndmask_b32_e64 v1, 0, v67, s[24:25]
	v_add_u32_e32 v68, v1, v32
	v_cndmask_b32_e64 v1, 0, v68, s[26:27]
	v_add_u32_e32 v69, v1, v34
	v_cndmask_b32_e64 v1, 0, v69, s[28:29]
	v_add_u32_e32 v70, v1, v36
	v_cndmask_b32_e64 v1, 0, v70, s[30:31]
	v_add_u32_e32 v71, v1, v38
	v_cndmask_b32_e64 v1, 0, v71, s[34:35]
	v_add_u32_e32 v72, v1, v40
	v_cndmask_b32_e64 v1, 0, v72, s[36:37]
	v_add_u32_e32 v73, v1, v42
	v_cndmask_b32_e64 v1, 0, v73, s[38:39]
	v_add_u32_e32 v74, v1, v44
	v_cndmask_b32_e64 v1, 0, v74, s[40:41]
	v_add_u32_e32 v75, v1, v46
	v_cndmask_b32_e64 v1, 0, v75, s[42:43]
	v_add_u32_e32 v76, v1, v48
	v_cndmask_b32_e64 v1, 0, v76, s[44:45]
	v_add_u32_e32 v77, v1, v50
	v_cndmask_b32_e64 v1, 0, v77, s[46:47]
	v_add_u32_e32 v78, v1, v52
	v_cndmask_b32_e64 v1, 0, v78, s[48:49]
	v_add_u32_e32 v79, v1, v56
	s_or_b64 exec, exec, s[2:3]
	s_and_saveexec_b64 s[0:1], vcc
	s_cbranch_execnz .LBB931_186
	s_branch .LBB931_187
.LBB931_263:
                                        ; implicit-def: $sgpr56_sgpr57
	s_branch .LBB931_50
.LBB931_264:
                                        ; implicit-def: $sgpr4_sgpr5
	s_branch .LBB931_126
	.section	.rodata,"a",@progbits
	.p2align	6, 0x0
	.amdhsa_kernel _ZN7rocprim17ROCPRIM_400000_NS6detail17trampoline_kernelINS0_14default_configENS1_27scan_by_key_config_selectorIiiEEZZNS1_16scan_by_key_implILNS1_25lookback_scan_determinismE0ELb0ES3_N6thrust23THRUST_200600_302600_NS6detail15normal_iteratorINS9_10device_ptrIiEEEENS9_18transform_iteratorINS9_6negateIiEESE_NS9_11use_defaultESI_EESE_iNS9_4plusIvEENS9_8equal_toIvEEiEE10hipError_tPvRmT2_T3_T4_T5_mT6_T7_P12ihipStream_tbENKUlT_T0_E_clISt17integral_constantIbLb0EES14_EEDaSZ_S10_EUlSZ_E_NS1_11comp_targetILNS1_3genE5ELNS1_11target_archE942ELNS1_3gpuE9ELNS1_3repE0EEENS1_30default_config_static_selectorELNS0_4arch9wavefront6targetE1EEEvT1_
		.amdhsa_group_segment_fixed_size 25600
		.amdhsa_private_segment_fixed_size 0
		.amdhsa_kernarg_size 120
		.amdhsa_user_sgpr_count 2
		.amdhsa_user_sgpr_dispatch_ptr 0
		.amdhsa_user_sgpr_queue_ptr 0
		.amdhsa_user_sgpr_kernarg_segment_ptr 1
		.amdhsa_user_sgpr_dispatch_id 0
		.amdhsa_user_sgpr_kernarg_preload_length 0
		.amdhsa_user_sgpr_kernarg_preload_offset 0
		.amdhsa_user_sgpr_private_segment_size 0
		.amdhsa_uses_dynamic_stack 0
		.amdhsa_enable_private_segment 0
		.amdhsa_system_sgpr_workgroup_id_x 1
		.amdhsa_system_sgpr_workgroup_id_y 0
		.amdhsa_system_sgpr_workgroup_id_z 0
		.amdhsa_system_sgpr_workgroup_info 0
		.amdhsa_system_vgpr_workitem_id 0
		.amdhsa_next_free_vgpr 81
		.amdhsa_next_free_sgpr 82
		.amdhsa_accum_offset 84
		.amdhsa_reserve_vcc 1
		.amdhsa_float_round_mode_32 0
		.amdhsa_float_round_mode_16_64 0
		.amdhsa_float_denorm_mode_32 3
		.amdhsa_float_denorm_mode_16_64 3
		.amdhsa_dx10_clamp 1
		.amdhsa_ieee_mode 1
		.amdhsa_fp16_overflow 0
		.amdhsa_tg_split 0
		.amdhsa_exception_fp_ieee_invalid_op 0
		.amdhsa_exception_fp_denorm_src 0
		.amdhsa_exception_fp_ieee_div_zero 0
		.amdhsa_exception_fp_ieee_overflow 0
		.amdhsa_exception_fp_ieee_underflow 0
		.amdhsa_exception_fp_ieee_inexact 0
		.amdhsa_exception_int_div_zero 0
	.end_amdhsa_kernel
	.section	.text._ZN7rocprim17ROCPRIM_400000_NS6detail17trampoline_kernelINS0_14default_configENS1_27scan_by_key_config_selectorIiiEEZZNS1_16scan_by_key_implILNS1_25lookback_scan_determinismE0ELb0ES3_N6thrust23THRUST_200600_302600_NS6detail15normal_iteratorINS9_10device_ptrIiEEEENS9_18transform_iteratorINS9_6negateIiEESE_NS9_11use_defaultESI_EESE_iNS9_4plusIvEENS9_8equal_toIvEEiEE10hipError_tPvRmT2_T3_T4_T5_mT6_T7_P12ihipStream_tbENKUlT_T0_E_clISt17integral_constantIbLb0EES14_EEDaSZ_S10_EUlSZ_E_NS1_11comp_targetILNS1_3genE5ELNS1_11target_archE942ELNS1_3gpuE9ELNS1_3repE0EEENS1_30default_config_static_selectorELNS0_4arch9wavefront6targetE1EEEvT1_,"axG",@progbits,_ZN7rocprim17ROCPRIM_400000_NS6detail17trampoline_kernelINS0_14default_configENS1_27scan_by_key_config_selectorIiiEEZZNS1_16scan_by_key_implILNS1_25lookback_scan_determinismE0ELb0ES3_N6thrust23THRUST_200600_302600_NS6detail15normal_iteratorINS9_10device_ptrIiEEEENS9_18transform_iteratorINS9_6negateIiEESE_NS9_11use_defaultESI_EESE_iNS9_4plusIvEENS9_8equal_toIvEEiEE10hipError_tPvRmT2_T3_T4_T5_mT6_T7_P12ihipStream_tbENKUlT_T0_E_clISt17integral_constantIbLb0EES14_EEDaSZ_S10_EUlSZ_E_NS1_11comp_targetILNS1_3genE5ELNS1_11target_archE942ELNS1_3gpuE9ELNS1_3repE0EEENS1_30default_config_static_selectorELNS0_4arch9wavefront6targetE1EEEvT1_,comdat
.Lfunc_end931:
	.size	_ZN7rocprim17ROCPRIM_400000_NS6detail17trampoline_kernelINS0_14default_configENS1_27scan_by_key_config_selectorIiiEEZZNS1_16scan_by_key_implILNS1_25lookback_scan_determinismE0ELb0ES3_N6thrust23THRUST_200600_302600_NS6detail15normal_iteratorINS9_10device_ptrIiEEEENS9_18transform_iteratorINS9_6negateIiEESE_NS9_11use_defaultESI_EESE_iNS9_4plusIvEENS9_8equal_toIvEEiEE10hipError_tPvRmT2_T3_T4_T5_mT6_T7_P12ihipStream_tbENKUlT_T0_E_clISt17integral_constantIbLb0EES14_EEDaSZ_S10_EUlSZ_E_NS1_11comp_targetILNS1_3genE5ELNS1_11target_archE942ELNS1_3gpuE9ELNS1_3repE0EEENS1_30default_config_static_selectorELNS0_4arch9wavefront6targetE1EEEvT1_, .Lfunc_end931-_ZN7rocprim17ROCPRIM_400000_NS6detail17trampoline_kernelINS0_14default_configENS1_27scan_by_key_config_selectorIiiEEZZNS1_16scan_by_key_implILNS1_25lookback_scan_determinismE0ELb0ES3_N6thrust23THRUST_200600_302600_NS6detail15normal_iteratorINS9_10device_ptrIiEEEENS9_18transform_iteratorINS9_6negateIiEESE_NS9_11use_defaultESI_EESE_iNS9_4plusIvEENS9_8equal_toIvEEiEE10hipError_tPvRmT2_T3_T4_T5_mT6_T7_P12ihipStream_tbENKUlT_T0_E_clISt17integral_constantIbLb0EES14_EEDaSZ_S10_EUlSZ_E_NS1_11comp_targetILNS1_3genE5ELNS1_11target_archE942ELNS1_3gpuE9ELNS1_3repE0EEENS1_30default_config_static_selectorELNS0_4arch9wavefront6targetE1EEEvT1_
                                        ; -- End function
	.section	.AMDGPU.csdata,"",@progbits
; Kernel info:
; codeLenInByte = 15436
; NumSgprs: 88
; NumVgprs: 81
; NumAgprs: 0
; TotalNumVgprs: 81
; ScratchSize: 0
; MemoryBound: 0
; FloatMode: 240
; IeeeMode: 1
; LDSByteSize: 25600 bytes/workgroup (compile time only)
; SGPRBlocks: 10
; VGPRBlocks: 10
; NumSGPRsForWavesPerEU: 88
; NumVGPRsForWavesPerEU: 81
; AccumOffset: 84
; Occupancy: 2
; WaveLimiterHint : 1
; COMPUTE_PGM_RSRC2:SCRATCH_EN: 0
; COMPUTE_PGM_RSRC2:USER_SGPR: 2
; COMPUTE_PGM_RSRC2:TRAP_HANDLER: 0
; COMPUTE_PGM_RSRC2:TGID_X_EN: 1
; COMPUTE_PGM_RSRC2:TGID_Y_EN: 0
; COMPUTE_PGM_RSRC2:TGID_Z_EN: 0
; COMPUTE_PGM_RSRC2:TIDIG_COMP_CNT: 0
; COMPUTE_PGM_RSRC3_GFX90A:ACCUM_OFFSET: 20
; COMPUTE_PGM_RSRC3_GFX90A:TG_SPLIT: 0
	.section	.text._ZN7rocprim17ROCPRIM_400000_NS6detail17trampoline_kernelINS0_14default_configENS1_27scan_by_key_config_selectorIiiEEZZNS1_16scan_by_key_implILNS1_25lookback_scan_determinismE0ELb0ES3_N6thrust23THRUST_200600_302600_NS6detail15normal_iteratorINS9_10device_ptrIiEEEENS9_18transform_iteratorINS9_6negateIiEESE_NS9_11use_defaultESI_EESE_iNS9_4plusIvEENS9_8equal_toIvEEiEE10hipError_tPvRmT2_T3_T4_T5_mT6_T7_P12ihipStream_tbENKUlT_T0_E_clISt17integral_constantIbLb0EES14_EEDaSZ_S10_EUlSZ_E_NS1_11comp_targetILNS1_3genE4ELNS1_11target_archE910ELNS1_3gpuE8ELNS1_3repE0EEENS1_30default_config_static_selectorELNS0_4arch9wavefront6targetE1EEEvT1_,"axG",@progbits,_ZN7rocprim17ROCPRIM_400000_NS6detail17trampoline_kernelINS0_14default_configENS1_27scan_by_key_config_selectorIiiEEZZNS1_16scan_by_key_implILNS1_25lookback_scan_determinismE0ELb0ES3_N6thrust23THRUST_200600_302600_NS6detail15normal_iteratorINS9_10device_ptrIiEEEENS9_18transform_iteratorINS9_6negateIiEESE_NS9_11use_defaultESI_EESE_iNS9_4plusIvEENS9_8equal_toIvEEiEE10hipError_tPvRmT2_T3_T4_T5_mT6_T7_P12ihipStream_tbENKUlT_T0_E_clISt17integral_constantIbLb0EES14_EEDaSZ_S10_EUlSZ_E_NS1_11comp_targetILNS1_3genE4ELNS1_11target_archE910ELNS1_3gpuE8ELNS1_3repE0EEENS1_30default_config_static_selectorELNS0_4arch9wavefront6targetE1EEEvT1_,comdat
	.protected	_ZN7rocprim17ROCPRIM_400000_NS6detail17trampoline_kernelINS0_14default_configENS1_27scan_by_key_config_selectorIiiEEZZNS1_16scan_by_key_implILNS1_25lookback_scan_determinismE0ELb0ES3_N6thrust23THRUST_200600_302600_NS6detail15normal_iteratorINS9_10device_ptrIiEEEENS9_18transform_iteratorINS9_6negateIiEESE_NS9_11use_defaultESI_EESE_iNS9_4plusIvEENS9_8equal_toIvEEiEE10hipError_tPvRmT2_T3_T4_T5_mT6_T7_P12ihipStream_tbENKUlT_T0_E_clISt17integral_constantIbLb0EES14_EEDaSZ_S10_EUlSZ_E_NS1_11comp_targetILNS1_3genE4ELNS1_11target_archE910ELNS1_3gpuE8ELNS1_3repE0EEENS1_30default_config_static_selectorELNS0_4arch9wavefront6targetE1EEEvT1_ ; -- Begin function _ZN7rocprim17ROCPRIM_400000_NS6detail17trampoline_kernelINS0_14default_configENS1_27scan_by_key_config_selectorIiiEEZZNS1_16scan_by_key_implILNS1_25lookback_scan_determinismE0ELb0ES3_N6thrust23THRUST_200600_302600_NS6detail15normal_iteratorINS9_10device_ptrIiEEEENS9_18transform_iteratorINS9_6negateIiEESE_NS9_11use_defaultESI_EESE_iNS9_4plusIvEENS9_8equal_toIvEEiEE10hipError_tPvRmT2_T3_T4_T5_mT6_T7_P12ihipStream_tbENKUlT_T0_E_clISt17integral_constantIbLb0EES14_EEDaSZ_S10_EUlSZ_E_NS1_11comp_targetILNS1_3genE4ELNS1_11target_archE910ELNS1_3gpuE8ELNS1_3repE0EEENS1_30default_config_static_selectorELNS0_4arch9wavefront6targetE1EEEvT1_
	.globl	_ZN7rocprim17ROCPRIM_400000_NS6detail17trampoline_kernelINS0_14default_configENS1_27scan_by_key_config_selectorIiiEEZZNS1_16scan_by_key_implILNS1_25lookback_scan_determinismE0ELb0ES3_N6thrust23THRUST_200600_302600_NS6detail15normal_iteratorINS9_10device_ptrIiEEEENS9_18transform_iteratorINS9_6negateIiEESE_NS9_11use_defaultESI_EESE_iNS9_4plusIvEENS9_8equal_toIvEEiEE10hipError_tPvRmT2_T3_T4_T5_mT6_T7_P12ihipStream_tbENKUlT_T0_E_clISt17integral_constantIbLb0EES14_EEDaSZ_S10_EUlSZ_E_NS1_11comp_targetILNS1_3genE4ELNS1_11target_archE910ELNS1_3gpuE8ELNS1_3repE0EEENS1_30default_config_static_selectorELNS0_4arch9wavefront6targetE1EEEvT1_
	.p2align	8
	.type	_ZN7rocprim17ROCPRIM_400000_NS6detail17trampoline_kernelINS0_14default_configENS1_27scan_by_key_config_selectorIiiEEZZNS1_16scan_by_key_implILNS1_25lookback_scan_determinismE0ELb0ES3_N6thrust23THRUST_200600_302600_NS6detail15normal_iteratorINS9_10device_ptrIiEEEENS9_18transform_iteratorINS9_6negateIiEESE_NS9_11use_defaultESI_EESE_iNS9_4plusIvEENS9_8equal_toIvEEiEE10hipError_tPvRmT2_T3_T4_T5_mT6_T7_P12ihipStream_tbENKUlT_T0_E_clISt17integral_constantIbLb0EES14_EEDaSZ_S10_EUlSZ_E_NS1_11comp_targetILNS1_3genE4ELNS1_11target_archE910ELNS1_3gpuE8ELNS1_3repE0EEENS1_30default_config_static_selectorELNS0_4arch9wavefront6targetE1EEEvT1_,@function
_ZN7rocprim17ROCPRIM_400000_NS6detail17trampoline_kernelINS0_14default_configENS1_27scan_by_key_config_selectorIiiEEZZNS1_16scan_by_key_implILNS1_25lookback_scan_determinismE0ELb0ES3_N6thrust23THRUST_200600_302600_NS6detail15normal_iteratorINS9_10device_ptrIiEEEENS9_18transform_iteratorINS9_6negateIiEESE_NS9_11use_defaultESI_EESE_iNS9_4plusIvEENS9_8equal_toIvEEiEE10hipError_tPvRmT2_T3_T4_T5_mT6_T7_P12ihipStream_tbENKUlT_T0_E_clISt17integral_constantIbLb0EES14_EEDaSZ_S10_EUlSZ_E_NS1_11comp_targetILNS1_3genE4ELNS1_11target_archE910ELNS1_3gpuE8ELNS1_3repE0EEENS1_30default_config_static_selectorELNS0_4arch9wavefront6targetE1EEEvT1_: ; @_ZN7rocprim17ROCPRIM_400000_NS6detail17trampoline_kernelINS0_14default_configENS1_27scan_by_key_config_selectorIiiEEZZNS1_16scan_by_key_implILNS1_25lookback_scan_determinismE0ELb0ES3_N6thrust23THRUST_200600_302600_NS6detail15normal_iteratorINS9_10device_ptrIiEEEENS9_18transform_iteratorINS9_6negateIiEESE_NS9_11use_defaultESI_EESE_iNS9_4plusIvEENS9_8equal_toIvEEiEE10hipError_tPvRmT2_T3_T4_T5_mT6_T7_P12ihipStream_tbENKUlT_T0_E_clISt17integral_constantIbLb0EES14_EEDaSZ_S10_EUlSZ_E_NS1_11comp_targetILNS1_3genE4ELNS1_11target_archE910ELNS1_3gpuE8ELNS1_3repE0EEENS1_30default_config_static_selectorELNS0_4arch9wavefront6targetE1EEEvT1_
; %bb.0:
	.section	.rodata,"a",@progbits
	.p2align	6, 0x0
	.amdhsa_kernel _ZN7rocprim17ROCPRIM_400000_NS6detail17trampoline_kernelINS0_14default_configENS1_27scan_by_key_config_selectorIiiEEZZNS1_16scan_by_key_implILNS1_25lookback_scan_determinismE0ELb0ES3_N6thrust23THRUST_200600_302600_NS6detail15normal_iteratorINS9_10device_ptrIiEEEENS9_18transform_iteratorINS9_6negateIiEESE_NS9_11use_defaultESI_EESE_iNS9_4plusIvEENS9_8equal_toIvEEiEE10hipError_tPvRmT2_T3_T4_T5_mT6_T7_P12ihipStream_tbENKUlT_T0_E_clISt17integral_constantIbLb0EES14_EEDaSZ_S10_EUlSZ_E_NS1_11comp_targetILNS1_3genE4ELNS1_11target_archE910ELNS1_3gpuE8ELNS1_3repE0EEENS1_30default_config_static_selectorELNS0_4arch9wavefront6targetE1EEEvT1_
		.amdhsa_group_segment_fixed_size 0
		.amdhsa_private_segment_fixed_size 0
		.amdhsa_kernarg_size 120
		.amdhsa_user_sgpr_count 2
		.amdhsa_user_sgpr_dispatch_ptr 0
		.amdhsa_user_sgpr_queue_ptr 0
		.amdhsa_user_sgpr_kernarg_segment_ptr 1
		.amdhsa_user_sgpr_dispatch_id 0
		.amdhsa_user_sgpr_kernarg_preload_length 0
		.amdhsa_user_sgpr_kernarg_preload_offset 0
		.amdhsa_user_sgpr_private_segment_size 0
		.amdhsa_uses_dynamic_stack 0
		.amdhsa_enable_private_segment 0
		.amdhsa_system_sgpr_workgroup_id_x 1
		.amdhsa_system_sgpr_workgroup_id_y 0
		.amdhsa_system_sgpr_workgroup_id_z 0
		.amdhsa_system_sgpr_workgroup_info 0
		.amdhsa_system_vgpr_workitem_id 0
		.amdhsa_next_free_vgpr 1
		.amdhsa_next_free_sgpr 0
		.amdhsa_accum_offset 4
		.amdhsa_reserve_vcc 0
		.amdhsa_float_round_mode_32 0
		.amdhsa_float_round_mode_16_64 0
		.amdhsa_float_denorm_mode_32 3
		.amdhsa_float_denorm_mode_16_64 3
		.amdhsa_dx10_clamp 1
		.amdhsa_ieee_mode 1
		.amdhsa_fp16_overflow 0
		.amdhsa_tg_split 0
		.amdhsa_exception_fp_ieee_invalid_op 0
		.amdhsa_exception_fp_denorm_src 0
		.amdhsa_exception_fp_ieee_div_zero 0
		.amdhsa_exception_fp_ieee_overflow 0
		.amdhsa_exception_fp_ieee_underflow 0
		.amdhsa_exception_fp_ieee_inexact 0
		.amdhsa_exception_int_div_zero 0
	.end_amdhsa_kernel
	.section	.text._ZN7rocprim17ROCPRIM_400000_NS6detail17trampoline_kernelINS0_14default_configENS1_27scan_by_key_config_selectorIiiEEZZNS1_16scan_by_key_implILNS1_25lookback_scan_determinismE0ELb0ES3_N6thrust23THRUST_200600_302600_NS6detail15normal_iteratorINS9_10device_ptrIiEEEENS9_18transform_iteratorINS9_6negateIiEESE_NS9_11use_defaultESI_EESE_iNS9_4plusIvEENS9_8equal_toIvEEiEE10hipError_tPvRmT2_T3_T4_T5_mT6_T7_P12ihipStream_tbENKUlT_T0_E_clISt17integral_constantIbLb0EES14_EEDaSZ_S10_EUlSZ_E_NS1_11comp_targetILNS1_3genE4ELNS1_11target_archE910ELNS1_3gpuE8ELNS1_3repE0EEENS1_30default_config_static_selectorELNS0_4arch9wavefront6targetE1EEEvT1_,"axG",@progbits,_ZN7rocprim17ROCPRIM_400000_NS6detail17trampoline_kernelINS0_14default_configENS1_27scan_by_key_config_selectorIiiEEZZNS1_16scan_by_key_implILNS1_25lookback_scan_determinismE0ELb0ES3_N6thrust23THRUST_200600_302600_NS6detail15normal_iteratorINS9_10device_ptrIiEEEENS9_18transform_iteratorINS9_6negateIiEESE_NS9_11use_defaultESI_EESE_iNS9_4plusIvEENS9_8equal_toIvEEiEE10hipError_tPvRmT2_T3_T4_T5_mT6_T7_P12ihipStream_tbENKUlT_T0_E_clISt17integral_constantIbLb0EES14_EEDaSZ_S10_EUlSZ_E_NS1_11comp_targetILNS1_3genE4ELNS1_11target_archE910ELNS1_3gpuE8ELNS1_3repE0EEENS1_30default_config_static_selectorELNS0_4arch9wavefront6targetE1EEEvT1_,comdat
.Lfunc_end932:
	.size	_ZN7rocprim17ROCPRIM_400000_NS6detail17trampoline_kernelINS0_14default_configENS1_27scan_by_key_config_selectorIiiEEZZNS1_16scan_by_key_implILNS1_25lookback_scan_determinismE0ELb0ES3_N6thrust23THRUST_200600_302600_NS6detail15normal_iteratorINS9_10device_ptrIiEEEENS9_18transform_iteratorINS9_6negateIiEESE_NS9_11use_defaultESI_EESE_iNS9_4plusIvEENS9_8equal_toIvEEiEE10hipError_tPvRmT2_T3_T4_T5_mT6_T7_P12ihipStream_tbENKUlT_T0_E_clISt17integral_constantIbLb0EES14_EEDaSZ_S10_EUlSZ_E_NS1_11comp_targetILNS1_3genE4ELNS1_11target_archE910ELNS1_3gpuE8ELNS1_3repE0EEENS1_30default_config_static_selectorELNS0_4arch9wavefront6targetE1EEEvT1_, .Lfunc_end932-_ZN7rocprim17ROCPRIM_400000_NS6detail17trampoline_kernelINS0_14default_configENS1_27scan_by_key_config_selectorIiiEEZZNS1_16scan_by_key_implILNS1_25lookback_scan_determinismE0ELb0ES3_N6thrust23THRUST_200600_302600_NS6detail15normal_iteratorINS9_10device_ptrIiEEEENS9_18transform_iteratorINS9_6negateIiEESE_NS9_11use_defaultESI_EESE_iNS9_4plusIvEENS9_8equal_toIvEEiEE10hipError_tPvRmT2_T3_T4_T5_mT6_T7_P12ihipStream_tbENKUlT_T0_E_clISt17integral_constantIbLb0EES14_EEDaSZ_S10_EUlSZ_E_NS1_11comp_targetILNS1_3genE4ELNS1_11target_archE910ELNS1_3gpuE8ELNS1_3repE0EEENS1_30default_config_static_selectorELNS0_4arch9wavefront6targetE1EEEvT1_
                                        ; -- End function
	.section	.AMDGPU.csdata,"",@progbits
; Kernel info:
; codeLenInByte = 0
; NumSgprs: 6
; NumVgprs: 0
; NumAgprs: 0
; TotalNumVgprs: 0
; ScratchSize: 0
; MemoryBound: 0
; FloatMode: 240
; IeeeMode: 1
; LDSByteSize: 0 bytes/workgroup (compile time only)
; SGPRBlocks: 0
; VGPRBlocks: 0
; NumSGPRsForWavesPerEU: 6
; NumVGPRsForWavesPerEU: 1
; AccumOffset: 4
; Occupancy: 8
; WaveLimiterHint : 0
; COMPUTE_PGM_RSRC2:SCRATCH_EN: 0
; COMPUTE_PGM_RSRC2:USER_SGPR: 2
; COMPUTE_PGM_RSRC2:TRAP_HANDLER: 0
; COMPUTE_PGM_RSRC2:TGID_X_EN: 1
; COMPUTE_PGM_RSRC2:TGID_Y_EN: 0
; COMPUTE_PGM_RSRC2:TGID_Z_EN: 0
; COMPUTE_PGM_RSRC2:TIDIG_COMP_CNT: 0
; COMPUTE_PGM_RSRC3_GFX90A:ACCUM_OFFSET: 0
; COMPUTE_PGM_RSRC3_GFX90A:TG_SPLIT: 0
	.section	.text._ZN7rocprim17ROCPRIM_400000_NS6detail17trampoline_kernelINS0_14default_configENS1_27scan_by_key_config_selectorIiiEEZZNS1_16scan_by_key_implILNS1_25lookback_scan_determinismE0ELb0ES3_N6thrust23THRUST_200600_302600_NS6detail15normal_iteratorINS9_10device_ptrIiEEEENS9_18transform_iteratorINS9_6negateIiEESE_NS9_11use_defaultESI_EESE_iNS9_4plusIvEENS9_8equal_toIvEEiEE10hipError_tPvRmT2_T3_T4_T5_mT6_T7_P12ihipStream_tbENKUlT_T0_E_clISt17integral_constantIbLb0EES14_EEDaSZ_S10_EUlSZ_E_NS1_11comp_targetILNS1_3genE3ELNS1_11target_archE908ELNS1_3gpuE7ELNS1_3repE0EEENS1_30default_config_static_selectorELNS0_4arch9wavefront6targetE1EEEvT1_,"axG",@progbits,_ZN7rocprim17ROCPRIM_400000_NS6detail17trampoline_kernelINS0_14default_configENS1_27scan_by_key_config_selectorIiiEEZZNS1_16scan_by_key_implILNS1_25lookback_scan_determinismE0ELb0ES3_N6thrust23THRUST_200600_302600_NS6detail15normal_iteratorINS9_10device_ptrIiEEEENS9_18transform_iteratorINS9_6negateIiEESE_NS9_11use_defaultESI_EESE_iNS9_4plusIvEENS9_8equal_toIvEEiEE10hipError_tPvRmT2_T3_T4_T5_mT6_T7_P12ihipStream_tbENKUlT_T0_E_clISt17integral_constantIbLb0EES14_EEDaSZ_S10_EUlSZ_E_NS1_11comp_targetILNS1_3genE3ELNS1_11target_archE908ELNS1_3gpuE7ELNS1_3repE0EEENS1_30default_config_static_selectorELNS0_4arch9wavefront6targetE1EEEvT1_,comdat
	.protected	_ZN7rocprim17ROCPRIM_400000_NS6detail17trampoline_kernelINS0_14default_configENS1_27scan_by_key_config_selectorIiiEEZZNS1_16scan_by_key_implILNS1_25lookback_scan_determinismE0ELb0ES3_N6thrust23THRUST_200600_302600_NS6detail15normal_iteratorINS9_10device_ptrIiEEEENS9_18transform_iteratorINS9_6negateIiEESE_NS9_11use_defaultESI_EESE_iNS9_4plusIvEENS9_8equal_toIvEEiEE10hipError_tPvRmT2_T3_T4_T5_mT6_T7_P12ihipStream_tbENKUlT_T0_E_clISt17integral_constantIbLb0EES14_EEDaSZ_S10_EUlSZ_E_NS1_11comp_targetILNS1_3genE3ELNS1_11target_archE908ELNS1_3gpuE7ELNS1_3repE0EEENS1_30default_config_static_selectorELNS0_4arch9wavefront6targetE1EEEvT1_ ; -- Begin function _ZN7rocprim17ROCPRIM_400000_NS6detail17trampoline_kernelINS0_14default_configENS1_27scan_by_key_config_selectorIiiEEZZNS1_16scan_by_key_implILNS1_25lookback_scan_determinismE0ELb0ES3_N6thrust23THRUST_200600_302600_NS6detail15normal_iteratorINS9_10device_ptrIiEEEENS9_18transform_iteratorINS9_6negateIiEESE_NS9_11use_defaultESI_EESE_iNS9_4plusIvEENS9_8equal_toIvEEiEE10hipError_tPvRmT2_T3_T4_T5_mT6_T7_P12ihipStream_tbENKUlT_T0_E_clISt17integral_constantIbLb0EES14_EEDaSZ_S10_EUlSZ_E_NS1_11comp_targetILNS1_3genE3ELNS1_11target_archE908ELNS1_3gpuE7ELNS1_3repE0EEENS1_30default_config_static_selectorELNS0_4arch9wavefront6targetE1EEEvT1_
	.globl	_ZN7rocprim17ROCPRIM_400000_NS6detail17trampoline_kernelINS0_14default_configENS1_27scan_by_key_config_selectorIiiEEZZNS1_16scan_by_key_implILNS1_25lookback_scan_determinismE0ELb0ES3_N6thrust23THRUST_200600_302600_NS6detail15normal_iteratorINS9_10device_ptrIiEEEENS9_18transform_iteratorINS9_6negateIiEESE_NS9_11use_defaultESI_EESE_iNS9_4plusIvEENS9_8equal_toIvEEiEE10hipError_tPvRmT2_T3_T4_T5_mT6_T7_P12ihipStream_tbENKUlT_T0_E_clISt17integral_constantIbLb0EES14_EEDaSZ_S10_EUlSZ_E_NS1_11comp_targetILNS1_3genE3ELNS1_11target_archE908ELNS1_3gpuE7ELNS1_3repE0EEENS1_30default_config_static_selectorELNS0_4arch9wavefront6targetE1EEEvT1_
	.p2align	8
	.type	_ZN7rocprim17ROCPRIM_400000_NS6detail17trampoline_kernelINS0_14default_configENS1_27scan_by_key_config_selectorIiiEEZZNS1_16scan_by_key_implILNS1_25lookback_scan_determinismE0ELb0ES3_N6thrust23THRUST_200600_302600_NS6detail15normal_iteratorINS9_10device_ptrIiEEEENS9_18transform_iteratorINS9_6negateIiEESE_NS9_11use_defaultESI_EESE_iNS9_4plusIvEENS9_8equal_toIvEEiEE10hipError_tPvRmT2_T3_T4_T5_mT6_T7_P12ihipStream_tbENKUlT_T0_E_clISt17integral_constantIbLb0EES14_EEDaSZ_S10_EUlSZ_E_NS1_11comp_targetILNS1_3genE3ELNS1_11target_archE908ELNS1_3gpuE7ELNS1_3repE0EEENS1_30default_config_static_selectorELNS0_4arch9wavefront6targetE1EEEvT1_,@function
_ZN7rocprim17ROCPRIM_400000_NS6detail17trampoline_kernelINS0_14default_configENS1_27scan_by_key_config_selectorIiiEEZZNS1_16scan_by_key_implILNS1_25lookback_scan_determinismE0ELb0ES3_N6thrust23THRUST_200600_302600_NS6detail15normal_iteratorINS9_10device_ptrIiEEEENS9_18transform_iteratorINS9_6negateIiEESE_NS9_11use_defaultESI_EESE_iNS9_4plusIvEENS9_8equal_toIvEEiEE10hipError_tPvRmT2_T3_T4_T5_mT6_T7_P12ihipStream_tbENKUlT_T0_E_clISt17integral_constantIbLb0EES14_EEDaSZ_S10_EUlSZ_E_NS1_11comp_targetILNS1_3genE3ELNS1_11target_archE908ELNS1_3gpuE7ELNS1_3repE0EEENS1_30default_config_static_selectorELNS0_4arch9wavefront6targetE1EEEvT1_: ; @_ZN7rocprim17ROCPRIM_400000_NS6detail17trampoline_kernelINS0_14default_configENS1_27scan_by_key_config_selectorIiiEEZZNS1_16scan_by_key_implILNS1_25lookback_scan_determinismE0ELb0ES3_N6thrust23THRUST_200600_302600_NS6detail15normal_iteratorINS9_10device_ptrIiEEEENS9_18transform_iteratorINS9_6negateIiEESE_NS9_11use_defaultESI_EESE_iNS9_4plusIvEENS9_8equal_toIvEEiEE10hipError_tPvRmT2_T3_T4_T5_mT6_T7_P12ihipStream_tbENKUlT_T0_E_clISt17integral_constantIbLb0EES14_EEDaSZ_S10_EUlSZ_E_NS1_11comp_targetILNS1_3genE3ELNS1_11target_archE908ELNS1_3gpuE7ELNS1_3repE0EEENS1_30default_config_static_selectorELNS0_4arch9wavefront6targetE1EEEvT1_
; %bb.0:
	.section	.rodata,"a",@progbits
	.p2align	6, 0x0
	.amdhsa_kernel _ZN7rocprim17ROCPRIM_400000_NS6detail17trampoline_kernelINS0_14default_configENS1_27scan_by_key_config_selectorIiiEEZZNS1_16scan_by_key_implILNS1_25lookback_scan_determinismE0ELb0ES3_N6thrust23THRUST_200600_302600_NS6detail15normal_iteratorINS9_10device_ptrIiEEEENS9_18transform_iteratorINS9_6negateIiEESE_NS9_11use_defaultESI_EESE_iNS9_4plusIvEENS9_8equal_toIvEEiEE10hipError_tPvRmT2_T3_T4_T5_mT6_T7_P12ihipStream_tbENKUlT_T0_E_clISt17integral_constantIbLb0EES14_EEDaSZ_S10_EUlSZ_E_NS1_11comp_targetILNS1_3genE3ELNS1_11target_archE908ELNS1_3gpuE7ELNS1_3repE0EEENS1_30default_config_static_selectorELNS0_4arch9wavefront6targetE1EEEvT1_
		.amdhsa_group_segment_fixed_size 0
		.amdhsa_private_segment_fixed_size 0
		.amdhsa_kernarg_size 120
		.amdhsa_user_sgpr_count 2
		.amdhsa_user_sgpr_dispatch_ptr 0
		.amdhsa_user_sgpr_queue_ptr 0
		.amdhsa_user_sgpr_kernarg_segment_ptr 1
		.amdhsa_user_sgpr_dispatch_id 0
		.amdhsa_user_sgpr_kernarg_preload_length 0
		.amdhsa_user_sgpr_kernarg_preload_offset 0
		.amdhsa_user_sgpr_private_segment_size 0
		.amdhsa_uses_dynamic_stack 0
		.amdhsa_enable_private_segment 0
		.amdhsa_system_sgpr_workgroup_id_x 1
		.amdhsa_system_sgpr_workgroup_id_y 0
		.amdhsa_system_sgpr_workgroup_id_z 0
		.amdhsa_system_sgpr_workgroup_info 0
		.amdhsa_system_vgpr_workitem_id 0
		.amdhsa_next_free_vgpr 1
		.amdhsa_next_free_sgpr 0
		.amdhsa_accum_offset 4
		.amdhsa_reserve_vcc 0
		.amdhsa_float_round_mode_32 0
		.amdhsa_float_round_mode_16_64 0
		.amdhsa_float_denorm_mode_32 3
		.amdhsa_float_denorm_mode_16_64 3
		.amdhsa_dx10_clamp 1
		.amdhsa_ieee_mode 1
		.amdhsa_fp16_overflow 0
		.amdhsa_tg_split 0
		.amdhsa_exception_fp_ieee_invalid_op 0
		.amdhsa_exception_fp_denorm_src 0
		.amdhsa_exception_fp_ieee_div_zero 0
		.amdhsa_exception_fp_ieee_overflow 0
		.amdhsa_exception_fp_ieee_underflow 0
		.amdhsa_exception_fp_ieee_inexact 0
		.amdhsa_exception_int_div_zero 0
	.end_amdhsa_kernel
	.section	.text._ZN7rocprim17ROCPRIM_400000_NS6detail17trampoline_kernelINS0_14default_configENS1_27scan_by_key_config_selectorIiiEEZZNS1_16scan_by_key_implILNS1_25lookback_scan_determinismE0ELb0ES3_N6thrust23THRUST_200600_302600_NS6detail15normal_iteratorINS9_10device_ptrIiEEEENS9_18transform_iteratorINS9_6negateIiEESE_NS9_11use_defaultESI_EESE_iNS9_4plusIvEENS9_8equal_toIvEEiEE10hipError_tPvRmT2_T3_T4_T5_mT6_T7_P12ihipStream_tbENKUlT_T0_E_clISt17integral_constantIbLb0EES14_EEDaSZ_S10_EUlSZ_E_NS1_11comp_targetILNS1_3genE3ELNS1_11target_archE908ELNS1_3gpuE7ELNS1_3repE0EEENS1_30default_config_static_selectorELNS0_4arch9wavefront6targetE1EEEvT1_,"axG",@progbits,_ZN7rocprim17ROCPRIM_400000_NS6detail17trampoline_kernelINS0_14default_configENS1_27scan_by_key_config_selectorIiiEEZZNS1_16scan_by_key_implILNS1_25lookback_scan_determinismE0ELb0ES3_N6thrust23THRUST_200600_302600_NS6detail15normal_iteratorINS9_10device_ptrIiEEEENS9_18transform_iteratorINS9_6negateIiEESE_NS9_11use_defaultESI_EESE_iNS9_4plusIvEENS9_8equal_toIvEEiEE10hipError_tPvRmT2_T3_T4_T5_mT6_T7_P12ihipStream_tbENKUlT_T0_E_clISt17integral_constantIbLb0EES14_EEDaSZ_S10_EUlSZ_E_NS1_11comp_targetILNS1_3genE3ELNS1_11target_archE908ELNS1_3gpuE7ELNS1_3repE0EEENS1_30default_config_static_selectorELNS0_4arch9wavefront6targetE1EEEvT1_,comdat
.Lfunc_end933:
	.size	_ZN7rocprim17ROCPRIM_400000_NS6detail17trampoline_kernelINS0_14default_configENS1_27scan_by_key_config_selectorIiiEEZZNS1_16scan_by_key_implILNS1_25lookback_scan_determinismE0ELb0ES3_N6thrust23THRUST_200600_302600_NS6detail15normal_iteratorINS9_10device_ptrIiEEEENS9_18transform_iteratorINS9_6negateIiEESE_NS9_11use_defaultESI_EESE_iNS9_4plusIvEENS9_8equal_toIvEEiEE10hipError_tPvRmT2_T3_T4_T5_mT6_T7_P12ihipStream_tbENKUlT_T0_E_clISt17integral_constantIbLb0EES14_EEDaSZ_S10_EUlSZ_E_NS1_11comp_targetILNS1_3genE3ELNS1_11target_archE908ELNS1_3gpuE7ELNS1_3repE0EEENS1_30default_config_static_selectorELNS0_4arch9wavefront6targetE1EEEvT1_, .Lfunc_end933-_ZN7rocprim17ROCPRIM_400000_NS6detail17trampoline_kernelINS0_14default_configENS1_27scan_by_key_config_selectorIiiEEZZNS1_16scan_by_key_implILNS1_25lookback_scan_determinismE0ELb0ES3_N6thrust23THRUST_200600_302600_NS6detail15normal_iteratorINS9_10device_ptrIiEEEENS9_18transform_iteratorINS9_6negateIiEESE_NS9_11use_defaultESI_EESE_iNS9_4plusIvEENS9_8equal_toIvEEiEE10hipError_tPvRmT2_T3_T4_T5_mT6_T7_P12ihipStream_tbENKUlT_T0_E_clISt17integral_constantIbLb0EES14_EEDaSZ_S10_EUlSZ_E_NS1_11comp_targetILNS1_3genE3ELNS1_11target_archE908ELNS1_3gpuE7ELNS1_3repE0EEENS1_30default_config_static_selectorELNS0_4arch9wavefront6targetE1EEEvT1_
                                        ; -- End function
	.section	.AMDGPU.csdata,"",@progbits
; Kernel info:
; codeLenInByte = 0
; NumSgprs: 6
; NumVgprs: 0
; NumAgprs: 0
; TotalNumVgprs: 0
; ScratchSize: 0
; MemoryBound: 0
; FloatMode: 240
; IeeeMode: 1
; LDSByteSize: 0 bytes/workgroup (compile time only)
; SGPRBlocks: 0
; VGPRBlocks: 0
; NumSGPRsForWavesPerEU: 6
; NumVGPRsForWavesPerEU: 1
; AccumOffset: 4
; Occupancy: 8
; WaveLimiterHint : 0
; COMPUTE_PGM_RSRC2:SCRATCH_EN: 0
; COMPUTE_PGM_RSRC2:USER_SGPR: 2
; COMPUTE_PGM_RSRC2:TRAP_HANDLER: 0
; COMPUTE_PGM_RSRC2:TGID_X_EN: 1
; COMPUTE_PGM_RSRC2:TGID_Y_EN: 0
; COMPUTE_PGM_RSRC2:TGID_Z_EN: 0
; COMPUTE_PGM_RSRC2:TIDIG_COMP_CNT: 0
; COMPUTE_PGM_RSRC3_GFX90A:ACCUM_OFFSET: 0
; COMPUTE_PGM_RSRC3_GFX90A:TG_SPLIT: 0
	.section	.text._ZN7rocprim17ROCPRIM_400000_NS6detail17trampoline_kernelINS0_14default_configENS1_27scan_by_key_config_selectorIiiEEZZNS1_16scan_by_key_implILNS1_25lookback_scan_determinismE0ELb0ES3_N6thrust23THRUST_200600_302600_NS6detail15normal_iteratorINS9_10device_ptrIiEEEENS9_18transform_iteratorINS9_6negateIiEESE_NS9_11use_defaultESI_EESE_iNS9_4plusIvEENS9_8equal_toIvEEiEE10hipError_tPvRmT2_T3_T4_T5_mT6_T7_P12ihipStream_tbENKUlT_T0_E_clISt17integral_constantIbLb0EES14_EEDaSZ_S10_EUlSZ_E_NS1_11comp_targetILNS1_3genE2ELNS1_11target_archE906ELNS1_3gpuE6ELNS1_3repE0EEENS1_30default_config_static_selectorELNS0_4arch9wavefront6targetE1EEEvT1_,"axG",@progbits,_ZN7rocprim17ROCPRIM_400000_NS6detail17trampoline_kernelINS0_14default_configENS1_27scan_by_key_config_selectorIiiEEZZNS1_16scan_by_key_implILNS1_25lookback_scan_determinismE0ELb0ES3_N6thrust23THRUST_200600_302600_NS6detail15normal_iteratorINS9_10device_ptrIiEEEENS9_18transform_iteratorINS9_6negateIiEESE_NS9_11use_defaultESI_EESE_iNS9_4plusIvEENS9_8equal_toIvEEiEE10hipError_tPvRmT2_T3_T4_T5_mT6_T7_P12ihipStream_tbENKUlT_T0_E_clISt17integral_constantIbLb0EES14_EEDaSZ_S10_EUlSZ_E_NS1_11comp_targetILNS1_3genE2ELNS1_11target_archE906ELNS1_3gpuE6ELNS1_3repE0EEENS1_30default_config_static_selectorELNS0_4arch9wavefront6targetE1EEEvT1_,comdat
	.protected	_ZN7rocprim17ROCPRIM_400000_NS6detail17trampoline_kernelINS0_14default_configENS1_27scan_by_key_config_selectorIiiEEZZNS1_16scan_by_key_implILNS1_25lookback_scan_determinismE0ELb0ES3_N6thrust23THRUST_200600_302600_NS6detail15normal_iteratorINS9_10device_ptrIiEEEENS9_18transform_iteratorINS9_6negateIiEESE_NS9_11use_defaultESI_EESE_iNS9_4plusIvEENS9_8equal_toIvEEiEE10hipError_tPvRmT2_T3_T4_T5_mT6_T7_P12ihipStream_tbENKUlT_T0_E_clISt17integral_constantIbLb0EES14_EEDaSZ_S10_EUlSZ_E_NS1_11comp_targetILNS1_3genE2ELNS1_11target_archE906ELNS1_3gpuE6ELNS1_3repE0EEENS1_30default_config_static_selectorELNS0_4arch9wavefront6targetE1EEEvT1_ ; -- Begin function _ZN7rocprim17ROCPRIM_400000_NS6detail17trampoline_kernelINS0_14default_configENS1_27scan_by_key_config_selectorIiiEEZZNS1_16scan_by_key_implILNS1_25lookback_scan_determinismE0ELb0ES3_N6thrust23THRUST_200600_302600_NS6detail15normal_iteratorINS9_10device_ptrIiEEEENS9_18transform_iteratorINS9_6negateIiEESE_NS9_11use_defaultESI_EESE_iNS9_4plusIvEENS9_8equal_toIvEEiEE10hipError_tPvRmT2_T3_T4_T5_mT6_T7_P12ihipStream_tbENKUlT_T0_E_clISt17integral_constantIbLb0EES14_EEDaSZ_S10_EUlSZ_E_NS1_11comp_targetILNS1_3genE2ELNS1_11target_archE906ELNS1_3gpuE6ELNS1_3repE0EEENS1_30default_config_static_selectorELNS0_4arch9wavefront6targetE1EEEvT1_
	.globl	_ZN7rocprim17ROCPRIM_400000_NS6detail17trampoline_kernelINS0_14default_configENS1_27scan_by_key_config_selectorIiiEEZZNS1_16scan_by_key_implILNS1_25lookback_scan_determinismE0ELb0ES3_N6thrust23THRUST_200600_302600_NS6detail15normal_iteratorINS9_10device_ptrIiEEEENS9_18transform_iteratorINS9_6negateIiEESE_NS9_11use_defaultESI_EESE_iNS9_4plusIvEENS9_8equal_toIvEEiEE10hipError_tPvRmT2_T3_T4_T5_mT6_T7_P12ihipStream_tbENKUlT_T0_E_clISt17integral_constantIbLb0EES14_EEDaSZ_S10_EUlSZ_E_NS1_11comp_targetILNS1_3genE2ELNS1_11target_archE906ELNS1_3gpuE6ELNS1_3repE0EEENS1_30default_config_static_selectorELNS0_4arch9wavefront6targetE1EEEvT1_
	.p2align	8
	.type	_ZN7rocprim17ROCPRIM_400000_NS6detail17trampoline_kernelINS0_14default_configENS1_27scan_by_key_config_selectorIiiEEZZNS1_16scan_by_key_implILNS1_25lookback_scan_determinismE0ELb0ES3_N6thrust23THRUST_200600_302600_NS6detail15normal_iteratorINS9_10device_ptrIiEEEENS9_18transform_iteratorINS9_6negateIiEESE_NS9_11use_defaultESI_EESE_iNS9_4plusIvEENS9_8equal_toIvEEiEE10hipError_tPvRmT2_T3_T4_T5_mT6_T7_P12ihipStream_tbENKUlT_T0_E_clISt17integral_constantIbLb0EES14_EEDaSZ_S10_EUlSZ_E_NS1_11comp_targetILNS1_3genE2ELNS1_11target_archE906ELNS1_3gpuE6ELNS1_3repE0EEENS1_30default_config_static_selectorELNS0_4arch9wavefront6targetE1EEEvT1_,@function
_ZN7rocprim17ROCPRIM_400000_NS6detail17trampoline_kernelINS0_14default_configENS1_27scan_by_key_config_selectorIiiEEZZNS1_16scan_by_key_implILNS1_25lookback_scan_determinismE0ELb0ES3_N6thrust23THRUST_200600_302600_NS6detail15normal_iteratorINS9_10device_ptrIiEEEENS9_18transform_iteratorINS9_6negateIiEESE_NS9_11use_defaultESI_EESE_iNS9_4plusIvEENS9_8equal_toIvEEiEE10hipError_tPvRmT2_T3_T4_T5_mT6_T7_P12ihipStream_tbENKUlT_T0_E_clISt17integral_constantIbLb0EES14_EEDaSZ_S10_EUlSZ_E_NS1_11comp_targetILNS1_3genE2ELNS1_11target_archE906ELNS1_3gpuE6ELNS1_3repE0EEENS1_30default_config_static_selectorELNS0_4arch9wavefront6targetE1EEEvT1_: ; @_ZN7rocprim17ROCPRIM_400000_NS6detail17trampoline_kernelINS0_14default_configENS1_27scan_by_key_config_selectorIiiEEZZNS1_16scan_by_key_implILNS1_25lookback_scan_determinismE0ELb0ES3_N6thrust23THRUST_200600_302600_NS6detail15normal_iteratorINS9_10device_ptrIiEEEENS9_18transform_iteratorINS9_6negateIiEESE_NS9_11use_defaultESI_EESE_iNS9_4plusIvEENS9_8equal_toIvEEiEE10hipError_tPvRmT2_T3_T4_T5_mT6_T7_P12ihipStream_tbENKUlT_T0_E_clISt17integral_constantIbLb0EES14_EEDaSZ_S10_EUlSZ_E_NS1_11comp_targetILNS1_3genE2ELNS1_11target_archE906ELNS1_3gpuE6ELNS1_3repE0EEENS1_30default_config_static_selectorELNS0_4arch9wavefront6targetE1EEEvT1_
; %bb.0:
	.section	.rodata,"a",@progbits
	.p2align	6, 0x0
	.amdhsa_kernel _ZN7rocprim17ROCPRIM_400000_NS6detail17trampoline_kernelINS0_14default_configENS1_27scan_by_key_config_selectorIiiEEZZNS1_16scan_by_key_implILNS1_25lookback_scan_determinismE0ELb0ES3_N6thrust23THRUST_200600_302600_NS6detail15normal_iteratorINS9_10device_ptrIiEEEENS9_18transform_iteratorINS9_6negateIiEESE_NS9_11use_defaultESI_EESE_iNS9_4plusIvEENS9_8equal_toIvEEiEE10hipError_tPvRmT2_T3_T4_T5_mT6_T7_P12ihipStream_tbENKUlT_T0_E_clISt17integral_constantIbLb0EES14_EEDaSZ_S10_EUlSZ_E_NS1_11comp_targetILNS1_3genE2ELNS1_11target_archE906ELNS1_3gpuE6ELNS1_3repE0EEENS1_30default_config_static_selectorELNS0_4arch9wavefront6targetE1EEEvT1_
		.amdhsa_group_segment_fixed_size 0
		.amdhsa_private_segment_fixed_size 0
		.amdhsa_kernarg_size 120
		.amdhsa_user_sgpr_count 2
		.amdhsa_user_sgpr_dispatch_ptr 0
		.amdhsa_user_sgpr_queue_ptr 0
		.amdhsa_user_sgpr_kernarg_segment_ptr 1
		.amdhsa_user_sgpr_dispatch_id 0
		.amdhsa_user_sgpr_kernarg_preload_length 0
		.amdhsa_user_sgpr_kernarg_preload_offset 0
		.amdhsa_user_sgpr_private_segment_size 0
		.amdhsa_uses_dynamic_stack 0
		.amdhsa_enable_private_segment 0
		.amdhsa_system_sgpr_workgroup_id_x 1
		.amdhsa_system_sgpr_workgroup_id_y 0
		.amdhsa_system_sgpr_workgroup_id_z 0
		.amdhsa_system_sgpr_workgroup_info 0
		.amdhsa_system_vgpr_workitem_id 0
		.amdhsa_next_free_vgpr 1
		.amdhsa_next_free_sgpr 0
		.amdhsa_accum_offset 4
		.amdhsa_reserve_vcc 0
		.amdhsa_float_round_mode_32 0
		.amdhsa_float_round_mode_16_64 0
		.amdhsa_float_denorm_mode_32 3
		.amdhsa_float_denorm_mode_16_64 3
		.amdhsa_dx10_clamp 1
		.amdhsa_ieee_mode 1
		.amdhsa_fp16_overflow 0
		.amdhsa_tg_split 0
		.amdhsa_exception_fp_ieee_invalid_op 0
		.amdhsa_exception_fp_denorm_src 0
		.amdhsa_exception_fp_ieee_div_zero 0
		.amdhsa_exception_fp_ieee_overflow 0
		.amdhsa_exception_fp_ieee_underflow 0
		.amdhsa_exception_fp_ieee_inexact 0
		.amdhsa_exception_int_div_zero 0
	.end_amdhsa_kernel
	.section	.text._ZN7rocprim17ROCPRIM_400000_NS6detail17trampoline_kernelINS0_14default_configENS1_27scan_by_key_config_selectorIiiEEZZNS1_16scan_by_key_implILNS1_25lookback_scan_determinismE0ELb0ES3_N6thrust23THRUST_200600_302600_NS6detail15normal_iteratorINS9_10device_ptrIiEEEENS9_18transform_iteratorINS9_6negateIiEESE_NS9_11use_defaultESI_EESE_iNS9_4plusIvEENS9_8equal_toIvEEiEE10hipError_tPvRmT2_T3_T4_T5_mT6_T7_P12ihipStream_tbENKUlT_T0_E_clISt17integral_constantIbLb0EES14_EEDaSZ_S10_EUlSZ_E_NS1_11comp_targetILNS1_3genE2ELNS1_11target_archE906ELNS1_3gpuE6ELNS1_3repE0EEENS1_30default_config_static_selectorELNS0_4arch9wavefront6targetE1EEEvT1_,"axG",@progbits,_ZN7rocprim17ROCPRIM_400000_NS6detail17trampoline_kernelINS0_14default_configENS1_27scan_by_key_config_selectorIiiEEZZNS1_16scan_by_key_implILNS1_25lookback_scan_determinismE0ELb0ES3_N6thrust23THRUST_200600_302600_NS6detail15normal_iteratorINS9_10device_ptrIiEEEENS9_18transform_iteratorINS9_6negateIiEESE_NS9_11use_defaultESI_EESE_iNS9_4plusIvEENS9_8equal_toIvEEiEE10hipError_tPvRmT2_T3_T4_T5_mT6_T7_P12ihipStream_tbENKUlT_T0_E_clISt17integral_constantIbLb0EES14_EEDaSZ_S10_EUlSZ_E_NS1_11comp_targetILNS1_3genE2ELNS1_11target_archE906ELNS1_3gpuE6ELNS1_3repE0EEENS1_30default_config_static_selectorELNS0_4arch9wavefront6targetE1EEEvT1_,comdat
.Lfunc_end934:
	.size	_ZN7rocprim17ROCPRIM_400000_NS6detail17trampoline_kernelINS0_14default_configENS1_27scan_by_key_config_selectorIiiEEZZNS1_16scan_by_key_implILNS1_25lookback_scan_determinismE0ELb0ES3_N6thrust23THRUST_200600_302600_NS6detail15normal_iteratorINS9_10device_ptrIiEEEENS9_18transform_iteratorINS9_6negateIiEESE_NS9_11use_defaultESI_EESE_iNS9_4plusIvEENS9_8equal_toIvEEiEE10hipError_tPvRmT2_T3_T4_T5_mT6_T7_P12ihipStream_tbENKUlT_T0_E_clISt17integral_constantIbLb0EES14_EEDaSZ_S10_EUlSZ_E_NS1_11comp_targetILNS1_3genE2ELNS1_11target_archE906ELNS1_3gpuE6ELNS1_3repE0EEENS1_30default_config_static_selectorELNS0_4arch9wavefront6targetE1EEEvT1_, .Lfunc_end934-_ZN7rocprim17ROCPRIM_400000_NS6detail17trampoline_kernelINS0_14default_configENS1_27scan_by_key_config_selectorIiiEEZZNS1_16scan_by_key_implILNS1_25lookback_scan_determinismE0ELb0ES3_N6thrust23THRUST_200600_302600_NS6detail15normal_iteratorINS9_10device_ptrIiEEEENS9_18transform_iteratorINS9_6negateIiEESE_NS9_11use_defaultESI_EESE_iNS9_4plusIvEENS9_8equal_toIvEEiEE10hipError_tPvRmT2_T3_T4_T5_mT6_T7_P12ihipStream_tbENKUlT_T0_E_clISt17integral_constantIbLb0EES14_EEDaSZ_S10_EUlSZ_E_NS1_11comp_targetILNS1_3genE2ELNS1_11target_archE906ELNS1_3gpuE6ELNS1_3repE0EEENS1_30default_config_static_selectorELNS0_4arch9wavefront6targetE1EEEvT1_
                                        ; -- End function
	.section	.AMDGPU.csdata,"",@progbits
; Kernel info:
; codeLenInByte = 0
; NumSgprs: 6
; NumVgprs: 0
; NumAgprs: 0
; TotalNumVgprs: 0
; ScratchSize: 0
; MemoryBound: 0
; FloatMode: 240
; IeeeMode: 1
; LDSByteSize: 0 bytes/workgroup (compile time only)
; SGPRBlocks: 0
; VGPRBlocks: 0
; NumSGPRsForWavesPerEU: 6
; NumVGPRsForWavesPerEU: 1
; AccumOffset: 4
; Occupancy: 8
; WaveLimiterHint : 0
; COMPUTE_PGM_RSRC2:SCRATCH_EN: 0
; COMPUTE_PGM_RSRC2:USER_SGPR: 2
; COMPUTE_PGM_RSRC2:TRAP_HANDLER: 0
; COMPUTE_PGM_RSRC2:TGID_X_EN: 1
; COMPUTE_PGM_RSRC2:TGID_Y_EN: 0
; COMPUTE_PGM_RSRC2:TGID_Z_EN: 0
; COMPUTE_PGM_RSRC2:TIDIG_COMP_CNT: 0
; COMPUTE_PGM_RSRC3_GFX90A:ACCUM_OFFSET: 0
; COMPUTE_PGM_RSRC3_GFX90A:TG_SPLIT: 0
	.section	.text._ZN7rocprim17ROCPRIM_400000_NS6detail17trampoline_kernelINS0_14default_configENS1_27scan_by_key_config_selectorIiiEEZZNS1_16scan_by_key_implILNS1_25lookback_scan_determinismE0ELb0ES3_N6thrust23THRUST_200600_302600_NS6detail15normal_iteratorINS9_10device_ptrIiEEEENS9_18transform_iteratorINS9_6negateIiEESE_NS9_11use_defaultESI_EESE_iNS9_4plusIvEENS9_8equal_toIvEEiEE10hipError_tPvRmT2_T3_T4_T5_mT6_T7_P12ihipStream_tbENKUlT_T0_E_clISt17integral_constantIbLb0EES14_EEDaSZ_S10_EUlSZ_E_NS1_11comp_targetILNS1_3genE10ELNS1_11target_archE1200ELNS1_3gpuE4ELNS1_3repE0EEENS1_30default_config_static_selectorELNS0_4arch9wavefront6targetE1EEEvT1_,"axG",@progbits,_ZN7rocprim17ROCPRIM_400000_NS6detail17trampoline_kernelINS0_14default_configENS1_27scan_by_key_config_selectorIiiEEZZNS1_16scan_by_key_implILNS1_25lookback_scan_determinismE0ELb0ES3_N6thrust23THRUST_200600_302600_NS6detail15normal_iteratorINS9_10device_ptrIiEEEENS9_18transform_iteratorINS9_6negateIiEESE_NS9_11use_defaultESI_EESE_iNS9_4plusIvEENS9_8equal_toIvEEiEE10hipError_tPvRmT2_T3_T4_T5_mT6_T7_P12ihipStream_tbENKUlT_T0_E_clISt17integral_constantIbLb0EES14_EEDaSZ_S10_EUlSZ_E_NS1_11comp_targetILNS1_3genE10ELNS1_11target_archE1200ELNS1_3gpuE4ELNS1_3repE0EEENS1_30default_config_static_selectorELNS0_4arch9wavefront6targetE1EEEvT1_,comdat
	.protected	_ZN7rocprim17ROCPRIM_400000_NS6detail17trampoline_kernelINS0_14default_configENS1_27scan_by_key_config_selectorIiiEEZZNS1_16scan_by_key_implILNS1_25lookback_scan_determinismE0ELb0ES3_N6thrust23THRUST_200600_302600_NS6detail15normal_iteratorINS9_10device_ptrIiEEEENS9_18transform_iteratorINS9_6negateIiEESE_NS9_11use_defaultESI_EESE_iNS9_4plusIvEENS9_8equal_toIvEEiEE10hipError_tPvRmT2_T3_T4_T5_mT6_T7_P12ihipStream_tbENKUlT_T0_E_clISt17integral_constantIbLb0EES14_EEDaSZ_S10_EUlSZ_E_NS1_11comp_targetILNS1_3genE10ELNS1_11target_archE1200ELNS1_3gpuE4ELNS1_3repE0EEENS1_30default_config_static_selectorELNS0_4arch9wavefront6targetE1EEEvT1_ ; -- Begin function _ZN7rocprim17ROCPRIM_400000_NS6detail17trampoline_kernelINS0_14default_configENS1_27scan_by_key_config_selectorIiiEEZZNS1_16scan_by_key_implILNS1_25lookback_scan_determinismE0ELb0ES3_N6thrust23THRUST_200600_302600_NS6detail15normal_iteratorINS9_10device_ptrIiEEEENS9_18transform_iteratorINS9_6negateIiEESE_NS9_11use_defaultESI_EESE_iNS9_4plusIvEENS9_8equal_toIvEEiEE10hipError_tPvRmT2_T3_T4_T5_mT6_T7_P12ihipStream_tbENKUlT_T0_E_clISt17integral_constantIbLb0EES14_EEDaSZ_S10_EUlSZ_E_NS1_11comp_targetILNS1_3genE10ELNS1_11target_archE1200ELNS1_3gpuE4ELNS1_3repE0EEENS1_30default_config_static_selectorELNS0_4arch9wavefront6targetE1EEEvT1_
	.globl	_ZN7rocprim17ROCPRIM_400000_NS6detail17trampoline_kernelINS0_14default_configENS1_27scan_by_key_config_selectorIiiEEZZNS1_16scan_by_key_implILNS1_25lookback_scan_determinismE0ELb0ES3_N6thrust23THRUST_200600_302600_NS6detail15normal_iteratorINS9_10device_ptrIiEEEENS9_18transform_iteratorINS9_6negateIiEESE_NS9_11use_defaultESI_EESE_iNS9_4plusIvEENS9_8equal_toIvEEiEE10hipError_tPvRmT2_T3_T4_T5_mT6_T7_P12ihipStream_tbENKUlT_T0_E_clISt17integral_constantIbLb0EES14_EEDaSZ_S10_EUlSZ_E_NS1_11comp_targetILNS1_3genE10ELNS1_11target_archE1200ELNS1_3gpuE4ELNS1_3repE0EEENS1_30default_config_static_selectorELNS0_4arch9wavefront6targetE1EEEvT1_
	.p2align	8
	.type	_ZN7rocprim17ROCPRIM_400000_NS6detail17trampoline_kernelINS0_14default_configENS1_27scan_by_key_config_selectorIiiEEZZNS1_16scan_by_key_implILNS1_25lookback_scan_determinismE0ELb0ES3_N6thrust23THRUST_200600_302600_NS6detail15normal_iteratorINS9_10device_ptrIiEEEENS9_18transform_iteratorINS9_6negateIiEESE_NS9_11use_defaultESI_EESE_iNS9_4plusIvEENS9_8equal_toIvEEiEE10hipError_tPvRmT2_T3_T4_T5_mT6_T7_P12ihipStream_tbENKUlT_T0_E_clISt17integral_constantIbLb0EES14_EEDaSZ_S10_EUlSZ_E_NS1_11comp_targetILNS1_3genE10ELNS1_11target_archE1200ELNS1_3gpuE4ELNS1_3repE0EEENS1_30default_config_static_selectorELNS0_4arch9wavefront6targetE1EEEvT1_,@function
_ZN7rocprim17ROCPRIM_400000_NS6detail17trampoline_kernelINS0_14default_configENS1_27scan_by_key_config_selectorIiiEEZZNS1_16scan_by_key_implILNS1_25lookback_scan_determinismE0ELb0ES3_N6thrust23THRUST_200600_302600_NS6detail15normal_iteratorINS9_10device_ptrIiEEEENS9_18transform_iteratorINS9_6negateIiEESE_NS9_11use_defaultESI_EESE_iNS9_4plusIvEENS9_8equal_toIvEEiEE10hipError_tPvRmT2_T3_T4_T5_mT6_T7_P12ihipStream_tbENKUlT_T0_E_clISt17integral_constantIbLb0EES14_EEDaSZ_S10_EUlSZ_E_NS1_11comp_targetILNS1_3genE10ELNS1_11target_archE1200ELNS1_3gpuE4ELNS1_3repE0EEENS1_30default_config_static_selectorELNS0_4arch9wavefront6targetE1EEEvT1_: ; @_ZN7rocprim17ROCPRIM_400000_NS6detail17trampoline_kernelINS0_14default_configENS1_27scan_by_key_config_selectorIiiEEZZNS1_16scan_by_key_implILNS1_25lookback_scan_determinismE0ELb0ES3_N6thrust23THRUST_200600_302600_NS6detail15normal_iteratorINS9_10device_ptrIiEEEENS9_18transform_iteratorINS9_6negateIiEESE_NS9_11use_defaultESI_EESE_iNS9_4plusIvEENS9_8equal_toIvEEiEE10hipError_tPvRmT2_T3_T4_T5_mT6_T7_P12ihipStream_tbENKUlT_T0_E_clISt17integral_constantIbLb0EES14_EEDaSZ_S10_EUlSZ_E_NS1_11comp_targetILNS1_3genE10ELNS1_11target_archE1200ELNS1_3gpuE4ELNS1_3repE0EEENS1_30default_config_static_selectorELNS0_4arch9wavefront6targetE1EEEvT1_
; %bb.0:
	.section	.rodata,"a",@progbits
	.p2align	6, 0x0
	.amdhsa_kernel _ZN7rocprim17ROCPRIM_400000_NS6detail17trampoline_kernelINS0_14default_configENS1_27scan_by_key_config_selectorIiiEEZZNS1_16scan_by_key_implILNS1_25lookback_scan_determinismE0ELb0ES3_N6thrust23THRUST_200600_302600_NS6detail15normal_iteratorINS9_10device_ptrIiEEEENS9_18transform_iteratorINS9_6negateIiEESE_NS9_11use_defaultESI_EESE_iNS9_4plusIvEENS9_8equal_toIvEEiEE10hipError_tPvRmT2_T3_T4_T5_mT6_T7_P12ihipStream_tbENKUlT_T0_E_clISt17integral_constantIbLb0EES14_EEDaSZ_S10_EUlSZ_E_NS1_11comp_targetILNS1_3genE10ELNS1_11target_archE1200ELNS1_3gpuE4ELNS1_3repE0EEENS1_30default_config_static_selectorELNS0_4arch9wavefront6targetE1EEEvT1_
		.amdhsa_group_segment_fixed_size 0
		.amdhsa_private_segment_fixed_size 0
		.amdhsa_kernarg_size 120
		.amdhsa_user_sgpr_count 2
		.amdhsa_user_sgpr_dispatch_ptr 0
		.amdhsa_user_sgpr_queue_ptr 0
		.amdhsa_user_sgpr_kernarg_segment_ptr 1
		.amdhsa_user_sgpr_dispatch_id 0
		.amdhsa_user_sgpr_kernarg_preload_length 0
		.amdhsa_user_sgpr_kernarg_preload_offset 0
		.amdhsa_user_sgpr_private_segment_size 0
		.amdhsa_uses_dynamic_stack 0
		.amdhsa_enable_private_segment 0
		.amdhsa_system_sgpr_workgroup_id_x 1
		.amdhsa_system_sgpr_workgroup_id_y 0
		.amdhsa_system_sgpr_workgroup_id_z 0
		.amdhsa_system_sgpr_workgroup_info 0
		.amdhsa_system_vgpr_workitem_id 0
		.amdhsa_next_free_vgpr 1
		.amdhsa_next_free_sgpr 0
		.amdhsa_accum_offset 4
		.amdhsa_reserve_vcc 0
		.amdhsa_float_round_mode_32 0
		.amdhsa_float_round_mode_16_64 0
		.amdhsa_float_denorm_mode_32 3
		.amdhsa_float_denorm_mode_16_64 3
		.amdhsa_dx10_clamp 1
		.amdhsa_ieee_mode 1
		.amdhsa_fp16_overflow 0
		.amdhsa_tg_split 0
		.amdhsa_exception_fp_ieee_invalid_op 0
		.amdhsa_exception_fp_denorm_src 0
		.amdhsa_exception_fp_ieee_div_zero 0
		.amdhsa_exception_fp_ieee_overflow 0
		.amdhsa_exception_fp_ieee_underflow 0
		.amdhsa_exception_fp_ieee_inexact 0
		.amdhsa_exception_int_div_zero 0
	.end_amdhsa_kernel
	.section	.text._ZN7rocprim17ROCPRIM_400000_NS6detail17trampoline_kernelINS0_14default_configENS1_27scan_by_key_config_selectorIiiEEZZNS1_16scan_by_key_implILNS1_25lookback_scan_determinismE0ELb0ES3_N6thrust23THRUST_200600_302600_NS6detail15normal_iteratorINS9_10device_ptrIiEEEENS9_18transform_iteratorINS9_6negateIiEESE_NS9_11use_defaultESI_EESE_iNS9_4plusIvEENS9_8equal_toIvEEiEE10hipError_tPvRmT2_T3_T4_T5_mT6_T7_P12ihipStream_tbENKUlT_T0_E_clISt17integral_constantIbLb0EES14_EEDaSZ_S10_EUlSZ_E_NS1_11comp_targetILNS1_3genE10ELNS1_11target_archE1200ELNS1_3gpuE4ELNS1_3repE0EEENS1_30default_config_static_selectorELNS0_4arch9wavefront6targetE1EEEvT1_,"axG",@progbits,_ZN7rocprim17ROCPRIM_400000_NS6detail17trampoline_kernelINS0_14default_configENS1_27scan_by_key_config_selectorIiiEEZZNS1_16scan_by_key_implILNS1_25lookback_scan_determinismE0ELb0ES3_N6thrust23THRUST_200600_302600_NS6detail15normal_iteratorINS9_10device_ptrIiEEEENS9_18transform_iteratorINS9_6negateIiEESE_NS9_11use_defaultESI_EESE_iNS9_4plusIvEENS9_8equal_toIvEEiEE10hipError_tPvRmT2_T3_T4_T5_mT6_T7_P12ihipStream_tbENKUlT_T0_E_clISt17integral_constantIbLb0EES14_EEDaSZ_S10_EUlSZ_E_NS1_11comp_targetILNS1_3genE10ELNS1_11target_archE1200ELNS1_3gpuE4ELNS1_3repE0EEENS1_30default_config_static_selectorELNS0_4arch9wavefront6targetE1EEEvT1_,comdat
.Lfunc_end935:
	.size	_ZN7rocprim17ROCPRIM_400000_NS6detail17trampoline_kernelINS0_14default_configENS1_27scan_by_key_config_selectorIiiEEZZNS1_16scan_by_key_implILNS1_25lookback_scan_determinismE0ELb0ES3_N6thrust23THRUST_200600_302600_NS6detail15normal_iteratorINS9_10device_ptrIiEEEENS9_18transform_iteratorINS9_6negateIiEESE_NS9_11use_defaultESI_EESE_iNS9_4plusIvEENS9_8equal_toIvEEiEE10hipError_tPvRmT2_T3_T4_T5_mT6_T7_P12ihipStream_tbENKUlT_T0_E_clISt17integral_constantIbLb0EES14_EEDaSZ_S10_EUlSZ_E_NS1_11comp_targetILNS1_3genE10ELNS1_11target_archE1200ELNS1_3gpuE4ELNS1_3repE0EEENS1_30default_config_static_selectorELNS0_4arch9wavefront6targetE1EEEvT1_, .Lfunc_end935-_ZN7rocprim17ROCPRIM_400000_NS6detail17trampoline_kernelINS0_14default_configENS1_27scan_by_key_config_selectorIiiEEZZNS1_16scan_by_key_implILNS1_25lookback_scan_determinismE0ELb0ES3_N6thrust23THRUST_200600_302600_NS6detail15normal_iteratorINS9_10device_ptrIiEEEENS9_18transform_iteratorINS9_6negateIiEESE_NS9_11use_defaultESI_EESE_iNS9_4plusIvEENS9_8equal_toIvEEiEE10hipError_tPvRmT2_T3_T4_T5_mT6_T7_P12ihipStream_tbENKUlT_T0_E_clISt17integral_constantIbLb0EES14_EEDaSZ_S10_EUlSZ_E_NS1_11comp_targetILNS1_3genE10ELNS1_11target_archE1200ELNS1_3gpuE4ELNS1_3repE0EEENS1_30default_config_static_selectorELNS0_4arch9wavefront6targetE1EEEvT1_
                                        ; -- End function
	.section	.AMDGPU.csdata,"",@progbits
; Kernel info:
; codeLenInByte = 0
; NumSgprs: 6
; NumVgprs: 0
; NumAgprs: 0
; TotalNumVgprs: 0
; ScratchSize: 0
; MemoryBound: 0
; FloatMode: 240
; IeeeMode: 1
; LDSByteSize: 0 bytes/workgroup (compile time only)
; SGPRBlocks: 0
; VGPRBlocks: 0
; NumSGPRsForWavesPerEU: 6
; NumVGPRsForWavesPerEU: 1
; AccumOffset: 4
; Occupancy: 8
; WaveLimiterHint : 0
; COMPUTE_PGM_RSRC2:SCRATCH_EN: 0
; COMPUTE_PGM_RSRC2:USER_SGPR: 2
; COMPUTE_PGM_RSRC2:TRAP_HANDLER: 0
; COMPUTE_PGM_RSRC2:TGID_X_EN: 1
; COMPUTE_PGM_RSRC2:TGID_Y_EN: 0
; COMPUTE_PGM_RSRC2:TGID_Z_EN: 0
; COMPUTE_PGM_RSRC2:TIDIG_COMP_CNT: 0
; COMPUTE_PGM_RSRC3_GFX90A:ACCUM_OFFSET: 0
; COMPUTE_PGM_RSRC3_GFX90A:TG_SPLIT: 0
	.section	.text._ZN7rocprim17ROCPRIM_400000_NS6detail17trampoline_kernelINS0_14default_configENS1_27scan_by_key_config_selectorIiiEEZZNS1_16scan_by_key_implILNS1_25lookback_scan_determinismE0ELb0ES3_N6thrust23THRUST_200600_302600_NS6detail15normal_iteratorINS9_10device_ptrIiEEEENS9_18transform_iteratorINS9_6negateIiEESE_NS9_11use_defaultESI_EESE_iNS9_4plusIvEENS9_8equal_toIvEEiEE10hipError_tPvRmT2_T3_T4_T5_mT6_T7_P12ihipStream_tbENKUlT_T0_E_clISt17integral_constantIbLb0EES14_EEDaSZ_S10_EUlSZ_E_NS1_11comp_targetILNS1_3genE9ELNS1_11target_archE1100ELNS1_3gpuE3ELNS1_3repE0EEENS1_30default_config_static_selectorELNS0_4arch9wavefront6targetE1EEEvT1_,"axG",@progbits,_ZN7rocprim17ROCPRIM_400000_NS6detail17trampoline_kernelINS0_14default_configENS1_27scan_by_key_config_selectorIiiEEZZNS1_16scan_by_key_implILNS1_25lookback_scan_determinismE0ELb0ES3_N6thrust23THRUST_200600_302600_NS6detail15normal_iteratorINS9_10device_ptrIiEEEENS9_18transform_iteratorINS9_6negateIiEESE_NS9_11use_defaultESI_EESE_iNS9_4plusIvEENS9_8equal_toIvEEiEE10hipError_tPvRmT2_T3_T4_T5_mT6_T7_P12ihipStream_tbENKUlT_T0_E_clISt17integral_constantIbLb0EES14_EEDaSZ_S10_EUlSZ_E_NS1_11comp_targetILNS1_3genE9ELNS1_11target_archE1100ELNS1_3gpuE3ELNS1_3repE0EEENS1_30default_config_static_selectorELNS0_4arch9wavefront6targetE1EEEvT1_,comdat
	.protected	_ZN7rocprim17ROCPRIM_400000_NS6detail17trampoline_kernelINS0_14default_configENS1_27scan_by_key_config_selectorIiiEEZZNS1_16scan_by_key_implILNS1_25lookback_scan_determinismE0ELb0ES3_N6thrust23THRUST_200600_302600_NS6detail15normal_iteratorINS9_10device_ptrIiEEEENS9_18transform_iteratorINS9_6negateIiEESE_NS9_11use_defaultESI_EESE_iNS9_4plusIvEENS9_8equal_toIvEEiEE10hipError_tPvRmT2_T3_T4_T5_mT6_T7_P12ihipStream_tbENKUlT_T0_E_clISt17integral_constantIbLb0EES14_EEDaSZ_S10_EUlSZ_E_NS1_11comp_targetILNS1_3genE9ELNS1_11target_archE1100ELNS1_3gpuE3ELNS1_3repE0EEENS1_30default_config_static_selectorELNS0_4arch9wavefront6targetE1EEEvT1_ ; -- Begin function _ZN7rocprim17ROCPRIM_400000_NS6detail17trampoline_kernelINS0_14default_configENS1_27scan_by_key_config_selectorIiiEEZZNS1_16scan_by_key_implILNS1_25lookback_scan_determinismE0ELb0ES3_N6thrust23THRUST_200600_302600_NS6detail15normal_iteratorINS9_10device_ptrIiEEEENS9_18transform_iteratorINS9_6negateIiEESE_NS9_11use_defaultESI_EESE_iNS9_4plusIvEENS9_8equal_toIvEEiEE10hipError_tPvRmT2_T3_T4_T5_mT6_T7_P12ihipStream_tbENKUlT_T0_E_clISt17integral_constantIbLb0EES14_EEDaSZ_S10_EUlSZ_E_NS1_11comp_targetILNS1_3genE9ELNS1_11target_archE1100ELNS1_3gpuE3ELNS1_3repE0EEENS1_30default_config_static_selectorELNS0_4arch9wavefront6targetE1EEEvT1_
	.globl	_ZN7rocprim17ROCPRIM_400000_NS6detail17trampoline_kernelINS0_14default_configENS1_27scan_by_key_config_selectorIiiEEZZNS1_16scan_by_key_implILNS1_25lookback_scan_determinismE0ELb0ES3_N6thrust23THRUST_200600_302600_NS6detail15normal_iteratorINS9_10device_ptrIiEEEENS9_18transform_iteratorINS9_6negateIiEESE_NS9_11use_defaultESI_EESE_iNS9_4plusIvEENS9_8equal_toIvEEiEE10hipError_tPvRmT2_T3_T4_T5_mT6_T7_P12ihipStream_tbENKUlT_T0_E_clISt17integral_constantIbLb0EES14_EEDaSZ_S10_EUlSZ_E_NS1_11comp_targetILNS1_3genE9ELNS1_11target_archE1100ELNS1_3gpuE3ELNS1_3repE0EEENS1_30default_config_static_selectorELNS0_4arch9wavefront6targetE1EEEvT1_
	.p2align	8
	.type	_ZN7rocprim17ROCPRIM_400000_NS6detail17trampoline_kernelINS0_14default_configENS1_27scan_by_key_config_selectorIiiEEZZNS1_16scan_by_key_implILNS1_25lookback_scan_determinismE0ELb0ES3_N6thrust23THRUST_200600_302600_NS6detail15normal_iteratorINS9_10device_ptrIiEEEENS9_18transform_iteratorINS9_6negateIiEESE_NS9_11use_defaultESI_EESE_iNS9_4plusIvEENS9_8equal_toIvEEiEE10hipError_tPvRmT2_T3_T4_T5_mT6_T7_P12ihipStream_tbENKUlT_T0_E_clISt17integral_constantIbLb0EES14_EEDaSZ_S10_EUlSZ_E_NS1_11comp_targetILNS1_3genE9ELNS1_11target_archE1100ELNS1_3gpuE3ELNS1_3repE0EEENS1_30default_config_static_selectorELNS0_4arch9wavefront6targetE1EEEvT1_,@function
_ZN7rocprim17ROCPRIM_400000_NS6detail17trampoline_kernelINS0_14default_configENS1_27scan_by_key_config_selectorIiiEEZZNS1_16scan_by_key_implILNS1_25lookback_scan_determinismE0ELb0ES3_N6thrust23THRUST_200600_302600_NS6detail15normal_iteratorINS9_10device_ptrIiEEEENS9_18transform_iteratorINS9_6negateIiEESE_NS9_11use_defaultESI_EESE_iNS9_4plusIvEENS9_8equal_toIvEEiEE10hipError_tPvRmT2_T3_T4_T5_mT6_T7_P12ihipStream_tbENKUlT_T0_E_clISt17integral_constantIbLb0EES14_EEDaSZ_S10_EUlSZ_E_NS1_11comp_targetILNS1_3genE9ELNS1_11target_archE1100ELNS1_3gpuE3ELNS1_3repE0EEENS1_30default_config_static_selectorELNS0_4arch9wavefront6targetE1EEEvT1_: ; @_ZN7rocprim17ROCPRIM_400000_NS6detail17trampoline_kernelINS0_14default_configENS1_27scan_by_key_config_selectorIiiEEZZNS1_16scan_by_key_implILNS1_25lookback_scan_determinismE0ELb0ES3_N6thrust23THRUST_200600_302600_NS6detail15normal_iteratorINS9_10device_ptrIiEEEENS9_18transform_iteratorINS9_6negateIiEESE_NS9_11use_defaultESI_EESE_iNS9_4plusIvEENS9_8equal_toIvEEiEE10hipError_tPvRmT2_T3_T4_T5_mT6_T7_P12ihipStream_tbENKUlT_T0_E_clISt17integral_constantIbLb0EES14_EEDaSZ_S10_EUlSZ_E_NS1_11comp_targetILNS1_3genE9ELNS1_11target_archE1100ELNS1_3gpuE3ELNS1_3repE0EEENS1_30default_config_static_selectorELNS0_4arch9wavefront6targetE1EEEvT1_
; %bb.0:
	.section	.rodata,"a",@progbits
	.p2align	6, 0x0
	.amdhsa_kernel _ZN7rocprim17ROCPRIM_400000_NS6detail17trampoline_kernelINS0_14default_configENS1_27scan_by_key_config_selectorIiiEEZZNS1_16scan_by_key_implILNS1_25lookback_scan_determinismE0ELb0ES3_N6thrust23THRUST_200600_302600_NS6detail15normal_iteratorINS9_10device_ptrIiEEEENS9_18transform_iteratorINS9_6negateIiEESE_NS9_11use_defaultESI_EESE_iNS9_4plusIvEENS9_8equal_toIvEEiEE10hipError_tPvRmT2_T3_T4_T5_mT6_T7_P12ihipStream_tbENKUlT_T0_E_clISt17integral_constantIbLb0EES14_EEDaSZ_S10_EUlSZ_E_NS1_11comp_targetILNS1_3genE9ELNS1_11target_archE1100ELNS1_3gpuE3ELNS1_3repE0EEENS1_30default_config_static_selectorELNS0_4arch9wavefront6targetE1EEEvT1_
		.amdhsa_group_segment_fixed_size 0
		.amdhsa_private_segment_fixed_size 0
		.amdhsa_kernarg_size 120
		.amdhsa_user_sgpr_count 2
		.amdhsa_user_sgpr_dispatch_ptr 0
		.amdhsa_user_sgpr_queue_ptr 0
		.amdhsa_user_sgpr_kernarg_segment_ptr 1
		.amdhsa_user_sgpr_dispatch_id 0
		.amdhsa_user_sgpr_kernarg_preload_length 0
		.amdhsa_user_sgpr_kernarg_preload_offset 0
		.amdhsa_user_sgpr_private_segment_size 0
		.amdhsa_uses_dynamic_stack 0
		.amdhsa_enable_private_segment 0
		.amdhsa_system_sgpr_workgroup_id_x 1
		.amdhsa_system_sgpr_workgroup_id_y 0
		.amdhsa_system_sgpr_workgroup_id_z 0
		.amdhsa_system_sgpr_workgroup_info 0
		.amdhsa_system_vgpr_workitem_id 0
		.amdhsa_next_free_vgpr 1
		.amdhsa_next_free_sgpr 0
		.amdhsa_accum_offset 4
		.amdhsa_reserve_vcc 0
		.amdhsa_float_round_mode_32 0
		.amdhsa_float_round_mode_16_64 0
		.amdhsa_float_denorm_mode_32 3
		.amdhsa_float_denorm_mode_16_64 3
		.amdhsa_dx10_clamp 1
		.amdhsa_ieee_mode 1
		.amdhsa_fp16_overflow 0
		.amdhsa_tg_split 0
		.amdhsa_exception_fp_ieee_invalid_op 0
		.amdhsa_exception_fp_denorm_src 0
		.amdhsa_exception_fp_ieee_div_zero 0
		.amdhsa_exception_fp_ieee_overflow 0
		.amdhsa_exception_fp_ieee_underflow 0
		.amdhsa_exception_fp_ieee_inexact 0
		.amdhsa_exception_int_div_zero 0
	.end_amdhsa_kernel
	.section	.text._ZN7rocprim17ROCPRIM_400000_NS6detail17trampoline_kernelINS0_14default_configENS1_27scan_by_key_config_selectorIiiEEZZNS1_16scan_by_key_implILNS1_25lookback_scan_determinismE0ELb0ES3_N6thrust23THRUST_200600_302600_NS6detail15normal_iteratorINS9_10device_ptrIiEEEENS9_18transform_iteratorINS9_6negateIiEESE_NS9_11use_defaultESI_EESE_iNS9_4plusIvEENS9_8equal_toIvEEiEE10hipError_tPvRmT2_T3_T4_T5_mT6_T7_P12ihipStream_tbENKUlT_T0_E_clISt17integral_constantIbLb0EES14_EEDaSZ_S10_EUlSZ_E_NS1_11comp_targetILNS1_3genE9ELNS1_11target_archE1100ELNS1_3gpuE3ELNS1_3repE0EEENS1_30default_config_static_selectorELNS0_4arch9wavefront6targetE1EEEvT1_,"axG",@progbits,_ZN7rocprim17ROCPRIM_400000_NS6detail17trampoline_kernelINS0_14default_configENS1_27scan_by_key_config_selectorIiiEEZZNS1_16scan_by_key_implILNS1_25lookback_scan_determinismE0ELb0ES3_N6thrust23THRUST_200600_302600_NS6detail15normal_iteratorINS9_10device_ptrIiEEEENS9_18transform_iteratorINS9_6negateIiEESE_NS9_11use_defaultESI_EESE_iNS9_4plusIvEENS9_8equal_toIvEEiEE10hipError_tPvRmT2_T3_T4_T5_mT6_T7_P12ihipStream_tbENKUlT_T0_E_clISt17integral_constantIbLb0EES14_EEDaSZ_S10_EUlSZ_E_NS1_11comp_targetILNS1_3genE9ELNS1_11target_archE1100ELNS1_3gpuE3ELNS1_3repE0EEENS1_30default_config_static_selectorELNS0_4arch9wavefront6targetE1EEEvT1_,comdat
.Lfunc_end936:
	.size	_ZN7rocprim17ROCPRIM_400000_NS6detail17trampoline_kernelINS0_14default_configENS1_27scan_by_key_config_selectorIiiEEZZNS1_16scan_by_key_implILNS1_25lookback_scan_determinismE0ELb0ES3_N6thrust23THRUST_200600_302600_NS6detail15normal_iteratorINS9_10device_ptrIiEEEENS9_18transform_iteratorINS9_6negateIiEESE_NS9_11use_defaultESI_EESE_iNS9_4plusIvEENS9_8equal_toIvEEiEE10hipError_tPvRmT2_T3_T4_T5_mT6_T7_P12ihipStream_tbENKUlT_T0_E_clISt17integral_constantIbLb0EES14_EEDaSZ_S10_EUlSZ_E_NS1_11comp_targetILNS1_3genE9ELNS1_11target_archE1100ELNS1_3gpuE3ELNS1_3repE0EEENS1_30default_config_static_selectorELNS0_4arch9wavefront6targetE1EEEvT1_, .Lfunc_end936-_ZN7rocprim17ROCPRIM_400000_NS6detail17trampoline_kernelINS0_14default_configENS1_27scan_by_key_config_selectorIiiEEZZNS1_16scan_by_key_implILNS1_25lookback_scan_determinismE0ELb0ES3_N6thrust23THRUST_200600_302600_NS6detail15normal_iteratorINS9_10device_ptrIiEEEENS9_18transform_iteratorINS9_6negateIiEESE_NS9_11use_defaultESI_EESE_iNS9_4plusIvEENS9_8equal_toIvEEiEE10hipError_tPvRmT2_T3_T4_T5_mT6_T7_P12ihipStream_tbENKUlT_T0_E_clISt17integral_constantIbLb0EES14_EEDaSZ_S10_EUlSZ_E_NS1_11comp_targetILNS1_3genE9ELNS1_11target_archE1100ELNS1_3gpuE3ELNS1_3repE0EEENS1_30default_config_static_selectorELNS0_4arch9wavefront6targetE1EEEvT1_
                                        ; -- End function
	.section	.AMDGPU.csdata,"",@progbits
; Kernel info:
; codeLenInByte = 0
; NumSgprs: 6
; NumVgprs: 0
; NumAgprs: 0
; TotalNumVgprs: 0
; ScratchSize: 0
; MemoryBound: 0
; FloatMode: 240
; IeeeMode: 1
; LDSByteSize: 0 bytes/workgroup (compile time only)
; SGPRBlocks: 0
; VGPRBlocks: 0
; NumSGPRsForWavesPerEU: 6
; NumVGPRsForWavesPerEU: 1
; AccumOffset: 4
; Occupancy: 8
; WaveLimiterHint : 0
; COMPUTE_PGM_RSRC2:SCRATCH_EN: 0
; COMPUTE_PGM_RSRC2:USER_SGPR: 2
; COMPUTE_PGM_RSRC2:TRAP_HANDLER: 0
; COMPUTE_PGM_RSRC2:TGID_X_EN: 1
; COMPUTE_PGM_RSRC2:TGID_Y_EN: 0
; COMPUTE_PGM_RSRC2:TGID_Z_EN: 0
; COMPUTE_PGM_RSRC2:TIDIG_COMP_CNT: 0
; COMPUTE_PGM_RSRC3_GFX90A:ACCUM_OFFSET: 0
; COMPUTE_PGM_RSRC3_GFX90A:TG_SPLIT: 0
	.section	.text._ZN7rocprim17ROCPRIM_400000_NS6detail17trampoline_kernelINS0_14default_configENS1_27scan_by_key_config_selectorIiiEEZZNS1_16scan_by_key_implILNS1_25lookback_scan_determinismE0ELb0ES3_N6thrust23THRUST_200600_302600_NS6detail15normal_iteratorINS9_10device_ptrIiEEEENS9_18transform_iteratorINS9_6negateIiEESE_NS9_11use_defaultESI_EESE_iNS9_4plusIvEENS9_8equal_toIvEEiEE10hipError_tPvRmT2_T3_T4_T5_mT6_T7_P12ihipStream_tbENKUlT_T0_E_clISt17integral_constantIbLb0EES14_EEDaSZ_S10_EUlSZ_E_NS1_11comp_targetILNS1_3genE8ELNS1_11target_archE1030ELNS1_3gpuE2ELNS1_3repE0EEENS1_30default_config_static_selectorELNS0_4arch9wavefront6targetE1EEEvT1_,"axG",@progbits,_ZN7rocprim17ROCPRIM_400000_NS6detail17trampoline_kernelINS0_14default_configENS1_27scan_by_key_config_selectorIiiEEZZNS1_16scan_by_key_implILNS1_25lookback_scan_determinismE0ELb0ES3_N6thrust23THRUST_200600_302600_NS6detail15normal_iteratorINS9_10device_ptrIiEEEENS9_18transform_iteratorINS9_6negateIiEESE_NS9_11use_defaultESI_EESE_iNS9_4plusIvEENS9_8equal_toIvEEiEE10hipError_tPvRmT2_T3_T4_T5_mT6_T7_P12ihipStream_tbENKUlT_T0_E_clISt17integral_constantIbLb0EES14_EEDaSZ_S10_EUlSZ_E_NS1_11comp_targetILNS1_3genE8ELNS1_11target_archE1030ELNS1_3gpuE2ELNS1_3repE0EEENS1_30default_config_static_selectorELNS0_4arch9wavefront6targetE1EEEvT1_,comdat
	.protected	_ZN7rocprim17ROCPRIM_400000_NS6detail17trampoline_kernelINS0_14default_configENS1_27scan_by_key_config_selectorIiiEEZZNS1_16scan_by_key_implILNS1_25lookback_scan_determinismE0ELb0ES3_N6thrust23THRUST_200600_302600_NS6detail15normal_iteratorINS9_10device_ptrIiEEEENS9_18transform_iteratorINS9_6negateIiEESE_NS9_11use_defaultESI_EESE_iNS9_4plusIvEENS9_8equal_toIvEEiEE10hipError_tPvRmT2_T3_T4_T5_mT6_T7_P12ihipStream_tbENKUlT_T0_E_clISt17integral_constantIbLb0EES14_EEDaSZ_S10_EUlSZ_E_NS1_11comp_targetILNS1_3genE8ELNS1_11target_archE1030ELNS1_3gpuE2ELNS1_3repE0EEENS1_30default_config_static_selectorELNS0_4arch9wavefront6targetE1EEEvT1_ ; -- Begin function _ZN7rocprim17ROCPRIM_400000_NS6detail17trampoline_kernelINS0_14default_configENS1_27scan_by_key_config_selectorIiiEEZZNS1_16scan_by_key_implILNS1_25lookback_scan_determinismE0ELb0ES3_N6thrust23THRUST_200600_302600_NS6detail15normal_iteratorINS9_10device_ptrIiEEEENS9_18transform_iteratorINS9_6negateIiEESE_NS9_11use_defaultESI_EESE_iNS9_4plusIvEENS9_8equal_toIvEEiEE10hipError_tPvRmT2_T3_T4_T5_mT6_T7_P12ihipStream_tbENKUlT_T0_E_clISt17integral_constantIbLb0EES14_EEDaSZ_S10_EUlSZ_E_NS1_11comp_targetILNS1_3genE8ELNS1_11target_archE1030ELNS1_3gpuE2ELNS1_3repE0EEENS1_30default_config_static_selectorELNS0_4arch9wavefront6targetE1EEEvT1_
	.globl	_ZN7rocprim17ROCPRIM_400000_NS6detail17trampoline_kernelINS0_14default_configENS1_27scan_by_key_config_selectorIiiEEZZNS1_16scan_by_key_implILNS1_25lookback_scan_determinismE0ELb0ES3_N6thrust23THRUST_200600_302600_NS6detail15normal_iteratorINS9_10device_ptrIiEEEENS9_18transform_iteratorINS9_6negateIiEESE_NS9_11use_defaultESI_EESE_iNS9_4plusIvEENS9_8equal_toIvEEiEE10hipError_tPvRmT2_T3_T4_T5_mT6_T7_P12ihipStream_tbENKUlT_T0_E_clISt17integral_constantIbLb0EES14_EEDaSZ_S10_EUlSZ_E_NS1_11comp_targetILNS1_3genE8ELNS1_11target_archE1030ELNS1_3gpuE2ELNS1_3repE0EEENS1_30default_config_static_selectorELNS0_4arch9wavefront6targetE1EEEvT1_
	.p2align	8
	.type	_ZN7rocprim17ROCPRIM_400000_NS6detail17trampoline_kernelINS0_14default_configENS1_27scan_by_key_config_selectorIiiEEZZNS1_16scan_by_key_implILNS1_25lookback_scan_determinismE0ELb0ES3_N6thrust23THRUST_200600_302600_NS6detail15normal_iteratorINS9_10device_ptrIiEEEENS9_18transform_iteratorINS9_6negateIiEESE_NS9_11use_defaultESI_EESE_iNS9_4plusIvEENS9_8equal_toIvEEiEE10hipError_tPvRmT2_T3_T4_T5_mT6_T7_P12ihipStream_tbENKUlT_T0_E_clISt17integral_constantIbLb0EES14_EEDaSZ_S10_EUlSZ_E_NS1_11comp_targetILNS1_3genE8ELNS1_11target_archE1030ELNS1_3gpuE2ELNS1_3repE0EEENS1_30default_config_static_selectorELNS0_4arch9wavefront6targetE1EEEvT1_,@function
_ZN7rocprim17ROCPRIM_400000_NS6detail17trampoline_kernelINS0_14default_configENS1_27scan_by_key_config_selectorIiiEEZZNS1_16scan_by_key_implILNS1_25lookback_scan_determinismE0ELb0ES3_N6thrust23THRUST_200600_302600_NS6detail15normal_iteratorINS9_10device_ptrIiEEEENS9_18transform_iteratorINS9_6negateIiEESE_NS9_11use_defaultESI_EESE_iNS9_4plusIvEENS9_8equal_toIvEEiEE10hipError_tPvRmT2_T3_T4_T5_mT6_T7_P12ihipStream_tbENKUlT_T0_E_clISt17integral_constantIbLb0EES14_EEDaSZ_S10_EUlSZ_E_NS1_11comp_targetILNS1_3genE8ELNS1_11target_archE1030ELNS1_3gpuE2ELNS1_3repE0EEENS1_30default_config_static_selectorELNS0_4arch9wavefront6targetE1EEEvT1_: ; @_ZN7rocprim17ROCPRIM_400000_NS6detail17trampoline_kernelINS0_14default_configENS1_27scan_by_key_config_selectorIiiEEZZNS1_16scan_by_key_implILNS1_25lookback_scan_determinismE0ELb0ES3_N6thrust23THRUST_200600_302600_NS6detail15normal_iteratorINS9_10device_ptrIiEEEENS9_18transform_iteratorINS9_6negateIiEESE_NS9_11use_defaultESI_EESE_iNS9_4plusIvEENS9_8equal_toIvEEiEE10hipError_tPvRmT2_T3_T4_T5_mT6_T7_P12ihipStream_tbENKUlT_T0_E_clISt17integral_constantIbLb0EES14_EEDaSZ_S10_EUlSZ_E_NS1_11comp_targetILNS1_3genE8ELNS1_11target_archE1030ELNS1_3gpuE2ELNS1_3repE0EEENS1_30default_config_static_selectorELNS0_4arch9wavefront6targetE1EEEvT1_
; %bb.0:
	.section	.rodata,"a",@progbits
	.p2align	6, 0x0
	.amdhsa_kernel _ZN7rocprim17ROCPRIM_400000_NS6detail17trampoline_kernelINS0_14default_configENS1_27scan_by_key_config_selectorIiiEEZZNS1_16scan_by_key_implILNS1_25lookback_scan_determinismE0ELb0ES3_N6thrust23THRUST_200600_302600_NS6detail15normal_iteratorINS9_10device_ptrIiEEEENS9_18transform_iteratorINS9_6negateIiEESE_NS9_11use_defaultESI_EESE_iNS9_4plusIvEENS9_8equal_toIvEEiEE10hipError_tPvRmT2_T3_T4_T5_mT6_T7_P12ihipStream_tbENKUlT_T0_E_clISt17integral_constantIbLb0EES14_EEDaSZ_S10_EUlSZ_E_NS1_11comp_targetILNS1_3genE8ELNS1_11target_archE1030ELNS1_3gpuE2ELNS1_3repE0EEENS1_30default_config_static_selectorELNS0_4arch9wavefront6targetE1EEEvT1_
		.amdhsa_group_segment_fixed_size 0
		.amdhsa_private_segment_fixed_size 0
		.amdhsa_kernarg_size 120
		.amdhsa_user_sgpr_count 2
		.amdhsa_user_sgpr_dispatch_ptr 0
		.amdhsa_user_sgpr_queue_ptr 0
		.amdhsa_user_sgpr_kernarg_segment_ptr 1
		.amdhsa_user_sgpr_dispatch_id 0
		.amdhsa_user_sgpr_kernarg_preload_length 0
		.amdhsa_user_sgpr_kernarg_preload_offset 0
		.amdhsa_user_sgpr_private_segment_size 0
		.amdhsa_uses_dynamic_stack 0
		.amdhsa_enable_private_segment 0
		.amdhsa_system_sgpr_workgroup_id_x 1
		.amdhsa_system_sgpr_workgroup_id_y 0
		.amdhsa_system_sgpr_workgroup_id_z 0
		.amdhsa_system_sgpr_workgroup_info 0
		.amdhsa_system_vgpr_workitem_id 0
		.amdhsa_next_free_vgpr 1
		.amdhsa_next_free_sgpr 0
		.amdhsa_accum_offset 4
		.amdhsa_reserve_vcc 0
		.amdhsa_float_round_mode_32 0
		.amdhsa_float_round_mode_16_64 0
		.amdhsa_float_denorm_mode_32 3
		.amdhsa_float_denorm_mode_16_64 3
		.amdhsa_dx10_clamp 1
		.amdhsa_ieee_mode 1
		.amdhsa_fp16_overflow 0
		.amdhsa_tg_split 0
		.amdhsa_exception_fp_ieee_invalid_op 0
		.amdhsa_exception_fp_denorm_src 0
		.amdhsa_exception_fp_ieee_div_zero 0
		.amdhsa_exception_fp_ieee_overflow 0
		.amdhsa_exception_fp_ieee_underflow 0
		.amdhsa_exception_fp_ieee_inexact 0
		.amdhsa_exception_int_div_zero 0
	.end_amdhsa_kernel
	.section	.text._ZN7rocprim17ROCPRIM_400000_NS6detail17trampoline_kernelINS0_14default_configENS1_27scan_by_key_config_selectorIiiEEZZNS1_16scan_by_key_implILNS1_25lookback_scan_determinismE0ELb0ES3_N6thrust23THRUST_200600_302600_NS6detail15normal_iteratorINS9_10device_ptrIiEEEENS9_18transform_iteratorINS9_6negateIiEESE_NS9_11use_defaultESI_EESE_iNS9_4plusIvEENS9_8equal_toIvEEiEE10hipError_tPvRmT2_T3_T4_T5_mT6_T7_P12ihipStream_tbENKUlT_T0_E_clISt17integral_constantIbLb0EES14_EEDaSZ_S10_EUlSZ_E_NS1_11comp_targetILNS1_3genE8ELNS1_11target_archE1030ELNS1_3gpuE2ELNS1_3repE0EEENS1_30default_config_static_selectorELNS0_4arch9wavefront6targetE1EEEvT1_,"axG",@progbits,_ZN7rocprim17ROCPRIM_400000_NS6detail17trampoline_kernelINS0_14default_configENS1_27scan_by_key_config_selectorIiiEEZZNS1_16scan_by_key_implILNS1_25lookback_scan_determinismE0ELb0ES3_N6thrust23THRUST_200600_302600_NS6detail15normal_iteratorINS9_10device_ptrIiEEEENS9_18transform_iteratorINS9_6negateIiEESE_NS9_11use_defaultESI_EESE_iNS9_4plusIvEENS9_8equal_toIvEEiEE10hipError_tPvRmT2_T3_T4_T5_mT6_T7_P12ihipStream_tbENKUlT_T0_E_clISt17integral_constantIbLb0EES14_EEDaSZ_S10_EUlSZ_E_NS1_11comp_targetILNS1_3genE8ELNS1_11target_archE1030ELNS1_3gpuE2ELNS1_3repE0EEENS1_30default_config_static_selectorELNS0_4arch9wavefront6targetE1EEEvT1_,comdat
.Lfunc_end937:
	.size	_ZN7rocprim17ROCPRIM_400000_NS6detail17trampoline_kernelINS0_14default_configENS1_27scan_by_key_config_selectorIiiEEZZNS1_16scan_by_key_implILNS1_25lookback_scan_determinismE0ELb0ES3_N6thrust23THRUST_200600_302600_NS6detail15normal_iteratorINS9_10device_ptrIiEEEENS9_18transform_iteratorINS9_6negateIiEESE_NS9_11use_defaultESI_EESE_iNS9_4plusIvEENS9_8equal_toIvEEiEE10hipError_tPvRmT2_T3_T4_T5_mT6_T7_P12ihipStream_tbENKUlT_T0_E_clISt17integral_constantIbLb0EES14_EEDaSZ_S10_EUlSZ_E_NS1_11comp_targetILNS1_3genE8ELNS1_11target_archE1030ELNS1_3gpuE2ELNS1_3repE0EEENS1_30default_config_static_selectorELNS0_4arch9wavefront6targetE1EEEvT1_, .Lfunc_end937-_ZN7rocprim17ROCPRIM_400000_NS6detail17trampoline_kernelINS0_14default_configENS1_27scan_by_key_config_selectorIiiEEZZNS1_16scan_by_key_implILNS1_25lookback_scan_determinismE0ELb0ES3_N6thrust23THRUST_200600_302600_NS6detail15normal_iteratorINS9_10device_ptrIiEEEENS9_18transform_iteratorINS9_6negateIiEESE_NS9_11use_defaultESI_EESE_iNS9_4plusIvEENS9_8equal_toIvEEiEE10hipError_tPvRmT2_T3_T4_T5_mT6_T7_P12ihipStream_tbENKUlT_T0_E_clISt17integral_constantIbLb0EES14_EEDaSZ_S10_EUlSZ_E_NS1_11comp_targetILNS1_3genE8ELNS1_11target_archE1030ELNS1_3gpuE2ELNS1_3repE0EEENS1_30default_config_static_selectorELNS0_4arch9wavefront6targetE1EEEvT1_
                                        ; -- End function
	.section	.AMDGPU.csdata,"",@progbits
; Kernel info:
; codeLenInByte = 0
; NumSgprs: 6
; NumVgprs: 0
; NumAgprs: 0
; TotalNumVgprs: 0
; ScratchSize: 0
; MemoryBound: 0
; FloatMode: 240
; IeeeMode: 1
; LDSByteSize: 0 bytes/workgroup (compile time only)
; SGPRBlocks: 0
; VGPRBlocks: 0
; NumSGPRsForWavesPerEU: 6
; NumVGPRsForWavesPerEU: 1
; AccumOffset: 4
; Occupancy: 8
; WaveLimiterHint : 0
; COMPUTE_PGM_RSRC2:SCRATCH_EN: 0
; COMPUTE_PGM_RSRC2:USER_SGPR: 2
; COMPUTE_PGM_RSRC2:TRAP_HANDLER: 0
; COMPUTE_PGM_RSRC2:TGID_X_EN: 1
; COMPUTE_PGM_RSRC2:TGID_Y_EN: 0
; COMPUTE_PGM_RSRC2:TGID_Z_EN: 0
; COMPUTE_PGM_RSRC2:TIDIG_COMP_CNT: 0
; COMPUTE_PGM_RSRC3_GFX90A:ACCUM_OFFSET: 0
; COMPUTE_PGM_RSRC3_GFX90A:TG_SPLIT: 0
	.section	.text._ZN7rocprim17ROCPRIM_400000_NS6detail17trampoline_kernelINS0_14default_configENS1_27scan_by_key_config_selectorIiiEEZZNS1_16scan_by_key_implILNS1_25lookback_scan_determinismE0ELb0ES3_N6thrust23THRUST_200600_302600_NS6detail15normal_iteratorINS9_10device_ptrIiEEEENS9_18transform_iteratorINS9_6negateIiEESE_NS9_11use_defaultESI_EESE_iNS9_4plusIvEENS9_8equal_toIvEEiEE10hipError_tPvRmT2_T3_T4_T5_mT6_T7_P12ihipStream_tbENKUlT_T0_E_clISt17integral_constantIbLb1EES14_EEDaSZ_S10_EUlSZ_E_NS1_11comp_targetILNS1_3genE0ELNS1_11target_archE4294967295ELNS1_3gpuE0ELNS1_3repE0EEENS1_30default_config_static_selectorELNS0_4arch9wavefront6targetE1EEEvT1_,"axG",@progbits,_ZN7rocprim17ROCPRIM_400000_NS6detail17trampoline_kernelINS0_14default_configENS1_27scan_by_key_config_selectorIiiEEZZNS1_16scan_by_key_implILNS1_25lookback_scan_determinismE0ELb0ES3_N6thrust23THRUST_200600_302600_NS6detail15normal_iteratorINS9_10device_ptrIiEEEENS9_18transform_iteratorINS9_6negateIiEESE_NS9_11use_defaultESI_EESE_iNS9_4plusIvEENS9_8equal_toIvEEiEE10hipError_tPvRmT2_T3_T4_T5_mT6_T7_P12ihipStream_tbENKUlT_T0_E_clISt17integral_constantIbLb1EES14_EEDaSZ_S10_EUlSZ_E_NS1_11comp_targetILNS1_3genE0ELNS1_11target_archE4294967295ELNS1_3gpuE0ELNS1_3repE0EEENS1_30default_config_static_selectorELNS0_4arch9wavefront6targetE1EEEvT1_,comdat
	.protected	_ZN7rocprim17ROCPRIM_400000_NS6detail17trampoline_kernelINS0_14default_configENS1_27scan_by_key_config_selectorIiiEEZZNS1_16scan_by_key_implILNS1_25lookback_scan_determinismE0ELb0ES3_N6thrust23THRUST_200600_302600_NS6detail15normal_iteratorINS9_10device_ptrIiEEEENS9_18transform_iteratorINS9_6negateIiEESE_NS9_11use_defaultESI_EESE_iNS9_4plusIvEENS9_8equal_toIvEEiEE10hipError_tPvRmT2_T3_T4_T5_mT6_T7_P12ihipStream_tbENKUlT_T0_E_clISt17integral_constantIbLb1EES14_EEDaSZ_S10_EUlSZ_E_NS1_11comp_targetILNS1_3genE0ELNS1_11target_archE4294967295ELNS1_3gpuE0ELNS1_3repE0EEENS1_30default_config_static_selectorELNS0_4arch9wavefront6targetE1EEEvT1_ ; -- Begin function _ZN7rocprim17ROCPRIM_400000_NS6detail17trampoline_kernelINS0_14default_configENS1_27scan_by_key_config_selectorIiiEEZZNS1_16scan_by_key_implILNS1_25lookback_scan_determinismE0ELb0ES3_N6thrust23THRUST_200600_302600_NS6detail15normal_iteratorINS9_10device_ptrIiEEEENS9_18transform_iteratorINS9_6negateIiEESE_NS9_11use_defaultESI_EESE_iNS9_4plusIvEENS9_8equal_toIvEEiEE10hipError_tPvRmT2_T3_T4_T5_mT6_T7_P12ihipStream_tbENKUlT_T0_E_clISt17integral_constantIbLb1EES14_EEDaSZ_S10_EUlSZ_E_NS1_11comp_targetILNS1_3genE0ELNS1_11target_archE4294967295ELNS1_3gpuE0ELNS1_3repE0EEENS1_30default_config_static_selectorELNS0_4arch9wavefront6targetE1EEEvT1_
	.globl	_ZN7rocprim17ROCPRIM_400000_NS6detail17trampoline_kernelINS0_14default_configENS1_27scan_by_key_config_selectorIiiEEZZNS1_16scan_by_key_implILNS1_25lookback_scan_determinismE0ELb0ES3_N6thrust23THRUST_200600_302600_NS6detail15normal_iteratorINS9_10device_ptrIiEEEENS9_18transform_iteratorINS9_6negateIiEESE_NS9_11use_defaultESI_EESE_iNS9_4plusIvEENS9_8equal_toIvEEiEE10hipError_tPvRmT2_T3_T4_T5_mT6_T7_P12ihipStream_tbENKUlT_T0_E_clISt17integral_constantIbLb1EES14_EEDaSZ_S10_EUlSZ_E_NS1_11comp_targetILNS1_3genE0ELNS1_11target_archE4294967295ELNS1_3gpuE0ELNS1_3repE0EEENS1_30default_config_static_selectorELNS0_4arch9wavefront6targetE1EEEvT1_
	.p2align	8
	.type	_ZN7rocprim17ROCPRIM_400000_NS6detail17trampoline_kernelINS0_14default_configENS1_27scan_by_key_config_selectorIiiEEZZNS1_16scan_by_key_implILNS1_25lookback_scan_determinismE0ELb0ES3_N6thrust23THRUST_200600_302600_NS6detail15normal_iteratorINS9_10device_ptrIiEEEENS9_18transform_iteratorINS9_6negateIiEESE_NS9_11use_defaultESI_EESE_iNS9_4plusIvEENS9_8equal_toIvEEiEE10hipError_tPvRmT2_T3_T4_T5_mT6_T7_P12ihipStream_tbENKUlT_T0_E_clISt17integral_constantIbLb1EES14_EEDaSZ_S10_EUlSZ_E_NS1_11comp_targetILNS1_3genE0ELNS1_11target_archE4294967295ELNS1_3gpuE0ELNS1_3repE0EEENS1_30default_config_static_selectorELNS0_4arch9wavefront6targetE1EEEvT1_,@function
_ZN7rocprim17ROCPRIM_400000_NS6detail17trampoline_kernelINS0_14default_configENS1_27scan_by_key_config_selectorIiiEEZZNS1_16scan_by_key_implILNS1_25lookback_scan_determinismE0ELb0ES3_N6thrust23THRUST_200600_302600_NS6detail15normal_iteratorINS9_10device_ptrIiEEEENS9_18transform_iteratorINS9_6negateIiEESE_NS9_11use_defaultESI_EESE_iNS9_4plusIvEENS9_8equal_toIvEEiEE10hipError_tPvRmT2_T3_T4_T5_mT6_T7_P12ihipStream_tbENKUlT_T0_E_clISt17integral_constantIbLb1EES14_EEDaSZ_S10_EUlSZ_E_NS1_11comp_targetILNS1_3genE0ELNS1_11target_archE4294967295ELNS1_3gpuE0ELNS1_3repE0EEENS1_30default_config_static_selectorELNS0_4arch9wavefront6targetE1EEEvT1_: ; @_ZN7rocprim17ROCPRIM_400000_NS6detail17trampoline_kernelINS0_14default_configENS1_27scan_by_key_config_selectorIiiEEZZNS1_16scan_by_key_implILNS1_25lookback_scan_determinismE0ELb0ES3_N6thrust23THRUST_200600_302600_NS6detail15normal_iteratorINS9_10device_ptrIiEEEENS9_18transform_iteratorINS9_6negateIiEESE_NS9_11use_defaultESI_EESE_iNS9_4plusIvEENS9_8equal_toIvEEiEE10hipError_tPvRmT2_T3_T4_T5_mT6_T7_P12ihipStream_tbENKUlT_T0_E_clISt17integral_constantIbLb1EES14_EEDaSZ_S10_EUlSZ_E_NS1_11comp_targetILNS1_3genE0ELNS1_11target_archE4294967295ELNS1_3gpuE0ELNS1_3repE0EEENS1_30default_config_static_selectorELNS0_4arch9wavefront6targetE1EEEvT1_
; %bb.0:
	.section	.rodata,"a",@progbits
	.p2align	6, 0x0
	.amdhsa_kernel _ZN7rocprim17ROCPRIM_400000_NS6detail17trampoline_kernelINS0_14default_configENS1_27scan_by_key_config_selectorIiiEEZZNS1_16scan_by_key_implILNS1_25lookback_scan_determinismE0ELb0ES3_N6thrust23THRUST_200600_302600_NS6detail15normal_iteratorINS9_10device_ptrIiEEEENS9_18transform_iteratorINS9_6negateIiEESE_NS9_11use_defaultESI_EESE_iNS9_4plusIvEENS9_8equal_toIvEEiEE10hipError_tPvRmT2_T3_T4_T5_mT6_T7_P12ihipStream_tbENKUlT_T0_E_clISt17integral_constantIbLb1EES14_EEDaSZ_S10_EUlSZ_E_NS1_11comp_targetILNS1_3genE0ELNS1_11target_archE4294967295ELNS1_3gpuE0ELNS1_3repE0EEENS1_30default_config_static_selectorELNS0_4arch9wavefront6targetE1EEEvT1_
		.amdhsa_group_segment_fixed_size 0
		.amdhsa_private_segment_fixed_size 0
		.amdhsa_kernarg_size 120
		.amdhsa_user_sgpr_count 2
		.amdhsa_user_sgpr_dispatch_ptr 0
		.amdhsa_user_sgpr_queue_ptr 0
		.amdhsa_user_sgpr_kernarg_segment_ptr 1
		.amdhsa_user_sgpr_dispatch_id 0
		.amdhsa_user_sgpr_kernarg_preload_length 0
		.amdhsa_user_sgpr_kernarg_preload_offset 0
		.amdhsa_user_sgpr_private_segment_size 0
		.amdhsa_uses_dynamic_stack 0
		.amdhsa_enable_private_segment 0
		.amdhsa_system_sgpr_workgroup_id_x 1
		.amdhsa_system_sgpr_workgroup_id_y 0
		.amdhsa_system_sgpr_workgroup_id_z 0
		.amdhsa_system_sgpr_workgroup_info 0
		.amdhsa_system_vgpr_workitem_id 0
		.amdhsa_next_free_vgpr 1
		.amdhsa_next_free_sgpr 0
		.amdhsa_accum_offset 4
		.amdhsa_reserve_vcc 0
		.amdhsa_float_round_mode_32 0
		.amdhsa_float_round_mode_16_64 0
		.amdhsa_float_denorm_mode_32 3
		.amdhsa_float_denorm_mode_16_64 3
		.amdhsa_dx10_clamp 1
		.amdhsa_ieee_mode 1
		.amdhsa_fp16_overflow 0
		.amdhsa_tg_split 0
		.amdhsa_exception_fp_ieee_invalid_op 0
		.amdhsa_exception_fp_denorm_src 0
		.amdhsa_exception_fp_ieee_div_zero 0
		.amdhsa_exception_fp_ieee_overflow 0
		.amdhsa_exception_fp_ieee_underflow 0
		.amdhsa_exception_fp_ieee_inexact 0
		.amdhsa_exception_int_div_zero 0
	.end_amdhsa_kernel
	.section	.text._ZN7rocprim17ROCPRIM_400000_NS6detail17trampoline_kernelINS0_14default_configENS1_27scan_by_key_config_selectorIiiEEZZNS1_16scan_by_key_implILNS1_25lookback_scan_determinismE0ELb0ES3_N6thrust23THRUST_200600_302600_NS6detail15normal_iteratorINS9_10device_ptrIiEEEENS9_18transform_iteratorINS9_6negateIiEESE_NS9_11use_defaultESI_EESE_iNS9_4plusIvEENS9_8equal_toIvEEiEE10hipError_tPvRmT2_T3_T4_T5_mT6_T7_P12ihipStream_tbENKUlT_T0_E_clISt17integral_constantIbLb1EES14_EEDaSZ_S10_EUlSZ_E_NS1_11comp_targetILNS1_3genE0ELNS1_11target_archE4294967295ELNS1_3gpuE0ELNS1_3repE0EEENS1_30default_config_static_selectorELNS0_4arch9wavefront6targetE1EEEvT1_,"axG",@progbits,_ZN7rocprim17ROCPRIM_400000_NS6detail17trampoline_kernelINS0_14default_configENS1_27scan_by_key_config_selectorIiiEEZZNS1_16scan_by_key_implILNS1_25lookback_scan_determinismE0ELb0ES3_N6thrust23THRUST_200600_302600_NS6detail15normal_iteratorINS9_10device_ptrIiEEEENS9_18transform_iteratorINS9_6negateIiEESE_NS9_11use_defaultESI_EESE_iNS9_4plusIvEENS9_8equal_toIvEEiEE10hipError_tPvRmT2_T3_T4_T5_mT6_T7_P12ihipStream_tbENKUlT_T0_E_clISt17integral_constantIbLb1EES14_EEDaSZ_S10_EUlSZ_E_NS1_11comp_targetILNS1_3genE0ELNS1_11target_archE4294967295ELNS1_3gpuE0ELNS1_3repE0EEENS1_30default_config_static_selectorELNS0_4arch9wavefront6targetE1EEEvT1_,comdat
.Lfunc_end938:
	.size	_ZN7rocprim17ROCPRIM_400000_NS6detail17trampoline_kernelINS0_14default_configENS1_27scan_by_key_config_selectorIiiEEZZNS1_16scan_by_key_implILNS1_25lookback_scan_determinismE0ELb0ES3_N6thrust23THRUST_200600_302600_NS6detail15normal_iteratorINS9_10device_ptrIiEEEENS9_18transform_iteratorINS9_6negateIiEESE_NS9_11use_defaultESI_EESE_iNS9_4plusIvEENS9_8equal_toIvEEiEE10hipError_tPvRmT2_T3_T4_T5_mT6_T7_P12ihipStream_tbENKUlT_T0_E_clISt17integral_constantIbLb1EES14_EEDaSZ_S10_EUlSZ_E_NS1_11comp_targetILNS1_3genE0ELNS1_11target_archE4294967295ELNS1_3gpuE0ELNS1_3repE0EEENS1_30default_config_static_selectorELNS0_4arch9wavefront6targetE1EEEvT1_, .Lfunc_end938-_ZN7rocprim17ROCPRIM_400000_NS6detail17trampoline_kernelINS0_14default_configENS1_27scan_by_key_config_selectorIiiEEZZNS1_16scan_by_key_implILNS1_25lookback_scan_determinismE0ELb0ES3_N6thrust23THRUST_200600_302600_NS6detail15normal_iteratorINS9_10device_ptrIiEEEENS9_18transform_iteratorINS9_6negateIiEESE_NS9_11use_defaultESI_EESE_iNS9_4plusIvEENS9_8equal_toIvEEiEE10hipError_tPvRmT2_T3_T4_T5_mT6_T7_P12ihipStream_tbENKUlT_T0_E_clISt17integral_constantIbLb1EES14_EEDaSZ_S10_EUlSZ_E_NS1_11comp_targetILNS1_3genE0ELNS1_11target_archE4294967295ELNS1_3gpuE0ELNS1_3repE0EEENS1_30default_config_static_selectorELNS0_4arch9wavefront6targetE1EEEvT1_
                                        ; -- End function
	.section	.AMDGPU.csdata,"",@progbits
; Kernel info:
; codeLenInByte = 0
; NumSgprs: 6
; NumVgprs: 0
; NumAgprs: 0
; TotalNumVgprs: 0
; ScratchSize: 0
; MemoryBound: 0
; FloatMode: 240
; IeeeMode: 1
; LDSByteSize: 0 bytes/workgroup (compile time only)
; SGPRBlocks: 0
; VGPRBlocks: 0
; NumSGPRsForWavesPerEU: 6
; NumVGPRsForWavesPerEU: 1
; AccumOffset: 4
; Occupancy: 8
; WaveLimiterHint : 0
; COMPUTE_PGM_RSRC2:SCRATCH_EN: 0
; COMPUTE_PGM_RSRC2:USER_SGPR: 2
; COMPUTE_PGM_RSRC2:TRAP_HANDLER: 0
; COMPUTE_PGM_RSRC2:TGID_X_EN: 1
; COMPUTE_PGM_RSRC2:TGID_Y_EN: 0
; COMPUTE_PGM_RSRC2:TGID_Z_EN: 0
; COMPUTE_PGM_RSRC2:TIDIG_COMP_CNT: 0
; COMPUTE_PGM_RSRC3_GFX90A:ACCUM_OFFSET: 0
; COMPUTE_PGM_RSRC3_GFX90A:TG_SPLIT: 0
	.section	.text._ZN7rocprim17ROCPRIM_400000_NS6detail17trampoline_kernelINS0_14default_configENS1_27scan_by_key_config_selectorIiiEEZZNS1_16scan_by_key_implILNS1_25lookback_scan_determinismE0ELb0ES3_N6thrust23THRUST_200600_302600_NS6detail15normal_iteratorINS9_10device_ptrIiEEEENS9_18transform_iteratorINS9_6negateIiEESE_NS9_11use_defaultESI_EESE_iNS9_4plusIvEENS9_8equal_toIvEEiEE10hipError_tPvRmT2_T3_T4_T5_mT6_T7_P12ihipStream_tbENKUlT_T0_E_clISt17integral_constantIbLb1EES14_EEDaSZ_S10_EUlSZ_E_NS1_11comp_targetILNS1_3genE10ELNS1_11target_archE1201ELNS1_3gpuE5ELNS1_3repE0EEENS1_30default_config_static_selectorELNS0_4arch9wavefront6targetE1EEEvT1_,"axG",@progbits,_ZN7rocprim17ROCPRIM_400000_NS6detail17trampoline_kernelINS0_14default_configENS1_27scan_by_key_config_selectorIiiEEZZNS1_16scan_by_key_implILNS1_25lookback_scan_determinismE0ELb0ES3_N6thrust23THRUST_200600_302600_NS6detail15normal_iteratorINS9_10device_ptrIiEEEENS9_18transform_iteratorINS9_6negateIiEESE_NS9_11use_defaultESI_EESE_iNS9_4plusIvEENS9_8equal_toIvEEiEE10hipError_tPvRmT2_T3_T4_T5_mT6_T7_P12ihipStream_tbENKUlT_T0_E_clISt17integral_constantIbLb1EES14_EEDaSZ_S10_EUlSZ_E_NS1_11comp_targetILNS1_3genE10ELNS1_11target_archE1201ELNS1_3gpuE5ELNS1_3repE0EEENS1_30default_config_static_selectorELNS0_4arch9wavefront6targetE1EEEvT1_,comdat
	.protected	_ZN7rocprim17ROCPRIM_400000_NS6detail17trampoline_kernelINS0_14default_configENS1_27scan_by_key_config_selectorIiiEEZZNS1_16scan_by_key_implILNS1_25lookback_scan_determinismE0ELb0ES3_N6thrust23THRUST_200600_302600_NS6detail15normal_iteratorINS9_10device_ptrIiEEEENS9_18transform_iteratorINS9_6negateIiEESE_NS9_11use_defaultESI_EESE_iNS9_4plusIvEENS9_8equal_toIvEEiEE10hipError_tPvRmT2_T3_T4_T5_mT6_T7_P12ihipStream_tbENKUlT_T0_E_clISt17integral_constantIbLb1EES14_EEDaSZ_S10_EUlSZ_E_NS1_11comp_targetILNS1_3genE10ELNS1_11target_archE1201ELNS1_3gpuE5ELNS1_3repE0EEENS1_30default_config_static_selectorELNS0_4arch9wavefront6targetE1EEEvT1_ ; -- Begin function _ZN7rocprim17ROCPRIM_400000_NS6detail17trampoline_kernelINS0_14default_configENS1_27scan_by_key_config_selectorIiiEEZZNS1_16scan_by_key_implILNS1_25lookback_scan_determinismE0ELb0ES3_N6thrust23THRUST_200600_302600_NS6detail15normal_iteratorINS9_10device_ptrIiEEEENS9_18transform_iteratorINS9_6negateIiEESE_NS9_11use_defaultESI_EESE_iNS9_4plusIvEENS9_8equal_toIvEEiEE10hipError_tPvRmT2_T3_T4_T5_mT6_T7_P12ihipStream_tbENKUlT_T0_E_clISt17integral_constantIbLb1EES14_EEDaSZ_S10_EUlSZ_E_NS1_11comp_targetILNS1_3genE10ELNS1_11target_archE1201ELNS1_3gpuE5ELNS1_3repE0EEENS1_30default_config_static_selectorELNS0_4arch9wavefront6targetE1EEEvT1_
	.globl	_ZN7rocprim17ROCPRIM_400000_NS6detail17trampoline_kernelINS0_14default_configENS1_27scan_by_key_config_selectorIiiEEZZNS1_16scan_by_key_implILNS1_25lookback_scan_determinismE0ELb0ES3_N6thrust23THRUST_200600_302600_NS6detail15normal_iteratorINS9_10device_ptrIiEEEENS9_18transform_iteratorINS9_6negateIiEESE_NS9_11use_defaultESI_EESE_iNS9_4plusIvEENS9_8equal_toIvEEiEE10hipError_tPvRmT2_T3_T4_T5_mT6_T7_P12ihipStream_tbENKUlT_T0_E_clISt17integral_constantIbLb1EES14_EEDaSZ_S10_EUlSZ_E_NS1_11comp_targetILNS1_3genE10ELNS1_11target_archE1201ELNS1_3gpuE5ELNS1_3repE0EEENS1_30default_config_static_selectorELNS0_4arch9wavefront6targetE1EEEvT1_
	.p2align	8
	.type	_ZN7rocprim17ROCPRIM_400000_NS6detail17trampoline_kernelINS0_14default_configENS1_27scan_by_key_config_selectorIiiEEZZNS1_16scan_by_key_implILNS1_25lookback_scan_determinismE0ELb0ES3_N6thrust23THRUST_200600_302600_NS6detail15normal_iteratorINS9_10device_ptrIiEEEENS9_18transform_iteratorINS9_6negateIiEESE_NS9_11use_defaultESI_EESE_iNS9_4plusIvEENS9_8equal_toIvEEiEE10hipError_tPvRmT2_T3_T4_T5_mT6_T7_P12ihipStream_tbENKUlT_T0_E_clISt17integral_constantIbLb1EES14_EEDaSZ_S10_EUlSZ_E_NS1_11comp_targetILNS1_3genE10ELNS1_11target_archE1201ELNS1_3gpuE5ELNS1_3repE0EEENS1_30default_config_static_selectorELNS0_4arch9wavefront6targetE1EEEvT1_,@function
_ZN7rocprim17ROCPRIM_400000_NS6detail17trampoline_kernelINS0_14default_configENS1_27scan_by_key_config_selectorIiiEEZZNS1_16scan_by_key_implILNS1_25lookback_scan_determinismE0ELb0ES3_N6thrust23THRUST_200600_302600_NS6detail15normal_iteratorINS9_10device_ptrIiEEEENS9_18transform_iteratorINS9_6negateIiEESE_NS9_11use_defaultESI_EESE_iNS9_4plusIvEENS9_8equal_toIvEEiEE10hipError_tPvRmT2_T3_T4_T5_mT6_T7_P12ihipStream_tbENKUlT_T0_E_clISt17integral_constantIbLb1EES14_EEDaSZ_S10_EUlSZ_E_NS1_11comp_targetILNS1_3genE10ELNS1_11target_archE1201ELNS1_3gpuE5ELNS1_3repE0EEENS1_30default_config_static_selectorELNS0_4arch9wavefront6targetE1EEEvT1_: ; @_ZN7rocprim17ROCPRIM_400000_NS6detail17trampoline_kernelINS0_14default_configENS1_27scan_by_key_config_selectorIiiEEZZNS1_16scan_by_key_implILNS1_25lookback_scan_determinismE0ELb0ES3_N6thrust23THRUST_200600_302600_NS6detail15normal_iteratorINS9_10device_ptrIiEEEENS9_18transform_iteratorINS9_6negateIiEESE_NS9_11use_defaultESI_EESE_iNS9_4plusIvEENS9_8equal_toIvEEiEE10hipError_tPvRmT2_T3_T4_T5_mT6_T7_P12ihipStream_tbENKUlT_T0_E_clISt17integral_constantIbLb1EES14_EEDaSZ_S10_EUlSZ_E_NS1_11comp_targetILNS1_3genE10ELNS1_11target_archE1201ELNS1_3gpuE5ELNS1_3repE0EEENS1_30default_config_static_selectorELNS0_4arch9wavefront6targetE1EEEvT1_
; %bb.0:
	.section	.rodata,"a",@progbits
	.p2align	6, 0x0
	.amdhsa_kernel _ZN7rocprim17ROCPRIM_400000_NS6detail17trampoline_kernelINS0_14default_configENS1_27scan_by_key_config_selectorIiiEEZZNS1_16scan_by_key_implILNS1_25lookback_scan_determinismE0ELb0ES3_N6thrust23THRUST_200600_302600_NS6detail15normal_iteratorINS9_10device_ptrIiEEEENS9_18transform_iteratorINS9_6negateIiEESE_NS9_11use_defaultESI_EESE_iNS9_4plusIvEENS9_8equal_toIvEEiEE10hipError_tPvRmT2_T3_T4_T5_mT6_T7_P12ihipStream_tbENKUlT_T0_E_clISt17integral_constantIbLb1EES14_EEDaSZ_S10_EUlSZ_E_NS1_11comp_targetILNS1_3genE10ELNS1_11target_archE1201ELNS1_3gpuE5ELNS1_3repE0EEENS1_30default_config_static_selectorELNS0_4arch9wavefront6targetE1EEEvT1_
		.amdhsa_group_segment_fixed_size 0
		.amdhsa_private_segment_fixed_size 0
		.amdhsa_kernarg_size 120
		.amdhsa_user_sgpr_count 2
		.amdhsa_user_sgpr_dispatch_ptr 0
		.amdhsa_user_sgpr_queue_ptr 0
		.amdhsa_user_sgpr_kernarg_segment_ptr 1
		.amdhsa_user_sgpr_dispatch_id 0
		.amdhsa_user_sgpr_kernarg_preload_length 0
		.amdhsa_user_sgpr_kernarg_preload_offset 0
		.amdhsa_user_sgpr_private_segment_size 0
		.amdhsa_uses_dynamic_stack 0
		.amdhsa_enable_private_segment 0
		.amdhsa_system_sgpr_workgroup_id_x 1
		.amdhsa_system_sgpr_workgroup_id_y 0
		.amdhsa_system_sgpr_workgroup_id_z 0
		.amdhsa_system_sgpr_workgroup_info 0
		.amdhsa_system_vgpr_workitem_id 0
		.amdhsa_next_free_vgpr 1
		.amdhsa_next_free_sgpr 0
		.amdhsa_accum_offset 4
		.amdhsa_reserve_vcc 0
		.amdhsa_float_round_mode_32 0
		.amdhsa_float_round_mode_16_64 0
		.amdhsa_float_denorm_mode_32 3
		.amdhsa_float_denorm_mode_16_64 3
		.amdhsa_dx10_clamp 1
		.amdhsa_ieee_mode 1
		.amdhsa_fp16_overflow 0
		.amdhsa_tg_split 0
		.amdhsa_exception_fp_ieee_invalid_op 0
		.amdhsa_exception_fp_denorm_src 0
		.amdhsa_exception_fp_ieee_div_zero 0
		.amdhsa_exception_fp_ieee_overflow 0
		.amdhsa_exception_fp_ieee_underflow 0
		.amdhsa_exception_fp_ieee_inexact 0
		.amdhsa_exception_int_div_zero 0
	.end_amdhsa_kernel
	.section	.text._ZN7rocprim17ROCPRIM_400000_NS6detail17trampoline_kernelINS0_14default_configENS1_27scan_by_key_config_selectorIiiEEZZNS1_16scan_by_key_implILNS1_25lookback_scan_determinismE0ELb0ES3_N6thrust23THRUST_200600_302600_NS6detail15normal_iteratorINS9_10device_ptrIiEEEENS9_18transform_iteratorINS9_6negateIiEESE_NS9_11use_defaultESI_EESE_iNS9_4plusIvEENS9_8equal_toIvEEiEE10hipError_tPvRmT2_T3_T4_T5_mT6_T7_P12ihipStream_tbENKUlT_T0_E_clISt17integral_constantIbLb1EES14_EEDaSZ_S10_EUlSZ_E_NS1_11comp_targetILNS1_3genE10ELNS1_11target_archE1201ELNS1_3gpuE5ELNS1_3repE0EEENS1_30default_config_static_selectorELNS0_4arch9wavefront6targetE1EEEvT1_,"axG",@progbits,_ZN7rocprim17ROCPRIM_400000_NS6detail17trampoline_kernelINS0_14default_configENS1_27scan_by_key_config_selectorIiiEEZZNS1_16scan_by_key_implILNS1_25lookback_scan_determinismE0ELb0ES3_N6thrust23THRUST_200600_302600_NS6detail15normal_iteratorINS9_10device_ptrIiEEEENS9_18transform_iteratorINS9_6negateIiEESE_NS9_11use_defaultESI_EESE_iNS9_4plusIvEENS9_8equal_toIvEEiEE10hipError_tPvRmT2_T3_T4_T5_mT6_T7_P12ihipStream_tbENKUlT_T0_E_clISt17integral_constantIbLb1EES14_EEDaSZ_S10_EUlSZ_E_NS1_11comp_targetILNS1_3genE10ELNS1_11target_archE1201ELNS1_3gpuE5ELNS1_3repE0EEENS1_30default_config_static_selectorELNS0_4arch9wavefront6targetE1EEEvT1_,comdat
.Lfunc_end939:
	.size	_ZN7rocprim17ROCPRIM_400000_NS6detail17trampoline_kernelINS0_14default_configENS1_27scan_by_key_config_selectorIiiEEZZNS1_16scan_by_key_implILNS1_25lookback_scan_determinismE0ELb0ES3_N6thrust23THRUST_200600_302600_NS6detail15normal_iteratorINS9_10device_ptrIiEEEENS9_18transform_iteratorINS9_6negateIiEESE_NS9_11use_defaultESI_EESE_iNS9_4plusIvEENS9_8equal_toIvEEiEE10hipError_tPvRmT2_T3_T4_T5_mT6_T7_P12ihipStream_tbENKUlT_T0_E_clISt17integral_constantIbLb1EES14_EEDaSZ_S10_EUlSZ_E_NS1_11comp_targetILNS1_3genE10ELNS1_11target_archE1201ELNS1_3gpuE5ELNS1_3repE0EEENS1_30default_config_static_selectorELNS0_4arch9wavefront6targetE1EEEvT1_, .Lfunc_end939-_ZN7rocprim17ROCPRIM_400000_NS6detail17trampoline_kernelINS0_14default_configENS1_27scan_by_key_config_selectorIiiEEZZNS1_16scan_by_key_implILNS1_25lookback_scan_determinismE0ELb0ES3_N6thrust23THRUST_200600_302600_NS6detail15normal_iteratorINS9_10device_ptrIiEEEENS9_18transform_iteratorINS9_6negateIiEESE_NS9_11use_defaultESI_EESE_iNS9_4plusIvEENS9_8equal_toIvEEiEE10hipError_tPvRmT2_T3_T4_T5_mT6_T7_P12ihipStream_tbENKUlT_T0_E_clISt17integral_constantIbLb1EES14_EEDaSZ_S10_EUlSZ_E_NS1_11comp_targetILNS1_3genE10ELNS1_11target_archE1201ELNS1_3gpuE5ELNS1_3repE0EEENS1_30default_config_static_selectorELNS0_4arch9wavefront6targetE1EEEvT1_
                                        ; -- End function
	.section	.AMDGPU.csdata,"",@progbits
; Kernel info:
; codeLenInByte = 0
; NumSgprs: 6
; NumVgprs: 0
; NumAgprs: 0
; TotalNumVgprs: 0
; ScratchSize: 0
; MemoryBound: 0
; FloatMode: 240
; IeeeMode: 1
; LDSByteSize: 0 bytes/workgroup (compile time only)
; SGPRBlocks: 0
; VGPRBlocks: 0
; NumSGPRsForWavesPerEU: 6
; NumVGPRsForWavesPerEU: 1
; AccumOffset: 4
; Occupancy: 8
; WaveLimiterHint : 0
; COMPUTE_PGM_RSRC2:SCRATCH_EN: 0
; COMPUTE_PGM_RSRC2:USER_SGPR: 2
; COMPUTE_PGM_RSRC2:TRAP_HANDLER: 0
; COMPUTE_PGM_RSRC2:TGID_X_EN: 1
; COMPUTE_PGM_RSRC2:TGID_Y_EN: 0
; COMPUTE_PGM_RSRC2:TGID_Z_EN: 0
; COMPUTE_PGM_RSRC2:TIDIG_COMP_CNT: 0
; COMPUTE_PGM_RSRC3_GFX90A:ACCUM_OFFSET: 0
; COMPUTE_PGM_RSRC3_GFX90A:TG_SPLIT: 0
	.section	.text._ZN7rocprim17ROCPRIM_400000_NS6detail17trampoline_kernelINS0_14default_configENS1_27scan_by_key_config_selectorIiiEEZZNS1_16scan_by_key_implILNS1_25lookback_scan_determinismE0ELb0ES3_N6thrust23THRUST_200600_302600_NS6detail15normal_iteratorINS9_10device_ptrIiEEEENS9_18transform_iteratorINS9_6negateIiEESE_NS9_11use_defaultESI_EESE_iNS9_4plusIvEENS9_8equal_toIvEEiEE10hipError_tPvRmT2_T3_T4_T5_mT6_T7_P12ihipStream_tbENKUlT_T0_E_clISt17integral_constantIbLb1EES14_EEDaSZ_S10_EUlSZ_E_NS1_11comp_targetILNS1_3genE5ELNS1_11target_archE942ELNS1_3gpuE9ELNS1_3repE0EEENS1_30default_config_static_selectorELNS0_4arch9wavefront6targetE1EEEvT1_,"axG",@progbits,_ZN7rocprim17ROCPRIM_400000_NS6detail17trampoline_kernelINS0_14default_configENS1_27scan_by_key_config_selectorIiiEEZZNS1_16scan_by_key_implILNS1_25lookback_scan_determinismE0ELb0ES3_N6thrust23THRUST_200600_302600_NS6detail15normal_iteratorINS9_10device_ptrIiEEEENS9_18transform_iteratorINS9_6negateIiEESE_NS9_11use_defaultESI_EESE_iNS9_4plusIvEENS9_8equal_toIvEEiEE10hipError_tPvRmT2_T3_T4_T5_mT6_T7_P12ihipStream_tbENKUlT_T0_E_clISt17integral_constantIbLb1EES14_EEDaSZ_S10_EUlSZ_E_NS1_11comp_targetILNS1_3genE5ELNS1_11target_archE942ELNS1_3gpuE9ELNS1_3repE0EEENS1_30default_config_static_selectorELNS0_4arch9wavefront6targetE1EEEvT1_,comdat
	.protected	_ZN7rocprim17ROCPRIM_400000_NS6detail17trampoline_kernelINS0_14default_configENS1_27scan_by_key_config_selectorIiiEEZZNS1_16scan_by_key_implILNS1_25lookback_scan_determinismE0ELb0ES3_N6thrust23THRUST_200600_302600_NS6detail15normal_iteratorINS9_10device_ptrIiEEEENS9_18transform_iteratorINS9_6negateIiEESE_NS9_11use_defaultESI_EESE_iNS9_4plusIvEENS9_8equal_toIvEEiEE10hipError_tPvRmT2_T3_T4_T5_mT6_T7_P12ihipStream_tbENKUlT_T0_E_clISt17integral_constantIbLb1EES14_EEDaSZ_S10_EUlSZ_E_NS1_11comp_targetILNS1_3genE5ELNS1_11target_archE942ELNS1_3gpuE9ELNS1_3repE0EEENS1_30default_config_static_selectorELNS0_4arch9wavefront6targetE1EEEvT1_ ; -- Begin function _ZN7rocprim17ROCPRIM_400000_NS6detail17trampoline_kernelINS0_14default_configENS1_27scan_by_key_config_selectorIiiEEZZNS1_16scan_by_key_implILNS1_25lookback_scan_determinismE0ELb0ES3_N6thrust23THRUST_200600_302600_NS6detail15normal_iteratorINS9_10device_ptrIiEEEENS9_18transform_iteratorINS9_6negateIiEESE_NS9_11use_defaultESI_EESE_iNS9_4plusIvEENS9_8equal_toIvEEiEE10hipError_tPvRmT2_T3_T4_T5_mT6_T7_P12ihipStream_tbENKUlT_T0_E_clISt17integral_constantIbLb1EES14_EEDaSZ_S10_EUlSZ_E_NS1_11comp_targetILNS1_3genE5ELNS1_11target_archE942ELNS1_3gpuE9ELNS1_3repE0EEENS1_30default_config_static_selectorELNS0_4arch9wavefront6targetE1EEEvT1_
	.globl	_ZN7rocprim17ROCPRIM_400000_NS6detail17trampoline_kernelINS0_14default_configENS1_27scan_by_key_config_selectorIiiEEZZNS1_16scan_by_key_implILNS1_25lookback_scan_determinismE0ELb0ES3_N6thrust23THRUST_200600_302600_NS6detail15normal_iteratorINS9_10device_ptrIiEEEENS9_18transform_iteratorINS9_6negateIiEESE_NS9_11use_defaultESI_EESE_iNS9_4plusIvEENS9_8equal_toIvEEiEE10hipError_tPvRmT2_T3_T4_T5_mT6_T7_P12ihipStream_tbENKUlT_T0_E_clISt17integral_constantIbLb1EES14_EEDaSZ_S10_EUlSZ_E_NS1_11comp_targetILNS1_3genE5ELNS1_11target_archE942ELNS1_3gpuE9ELNS1_3repE0EEENS1_30default_config_static_selectorELNS0_4arch9wavefront6targetE1EEEvT1_
	.p2align	8
	.type	_ZN7rocprim17ROCPRIM_400000_NS6detail17trampoline_kernelINS0_14default_configENS1_27scan_by_key_config_selectorIiiEEZZNS1_16scan_by_key_implILNS1_25lookback_scan_determinismE0ELb0ES3_N6thrust23THRUST_200600_302600_NS6detail15normal_iteratorINS9_10device_ptrIiEEEENS9_18transform_iteratorINS9_6negateIiEESE_NS9_11use_defaultESI_EESE_iNS9_4plusIvEENS9_8equal_toIvEEiEE10hipError_tPvRmT2_T3_T4_T5_mT6_T7_P12ihipStream_tbENKUlT_T0_E_clISt17integral_constantIbLb1EES14_EEDaSZ_S10_EUlSZ_E_NS1_11comp_targetILNS1_3genE5ELNS1_11target_archE942ELNS1_3gpuE9ELNS1_3repE0EEENS1_30default_config_static_selectorELNS0_4arch9wavefront6targetE1EEEvT1_,@function
_ZN7rocprim17ROCPRIM_400000_NS6detail17trampoline_kernelINS0_14default_configENS1_27scan_by_key_config_selectorIiiEEZZNS1_16scan_by_key_implILNS1_25lookback_scan_determinismE0ELb0ES3_N6thrust23THRUST_200600_302600_NS6detail15normal_iteratorINS9_10device_ptrIiEEEENS9_18transform_iteratorINS9_6negateIiEESE_NS9_11use_defaultESI_EESE_iNS9_4plusIvEENS9_8equal_toIvEEiEE10hipError_tPvRmT2_T3_T4_T5_mT6_T7_P12ihipStream_tbENKUlT_T0_E_clISt17integral_constantIbLb1EES14_EEDaSZ_S10_EUlSZ_E_NS1_11comp_targetILNS1_3genE5ELNS1_11target_archE942ELNS1_3gpuE9ELNS1_3repE0EEENS1_30default_config_static_selectorELNS0_4arch9wavefront6targetE1EEEvT1_: ; @_ZN7rocprim17ROCPRIM_400000_NS6detail17trampoline_kernelINS0_14default_configENS1_27scan_by_key_config_selectorIiiEEZZNS1_16scan_by_key_implILNS1_25lookback_scan_determinismE0ELb0ES3_N6thrust23THRUST_200600_302600_NS6detail15normal_iteratorINS9_10device_ptrIiEEEENS9_18transform_iteratorINS9_6negateIiEESE_NS9_11use_defaultESI_EESE_iNS9_4plusIvEENS9_8equal_toIvEEiEE10hipError_tPvRmT2_T3_T4_T5_mT6_T7_P12ihipStream_tbENKUlT_T0_E_clISt17integral_constantIbLb1EES14_EEDaSZ_S10_EUlSZ_E_NS1_11comp_targetILNS1_3genE5ELNS1_11target_archE942ELNS1_3gpuE9ELNS1_3repE0EEENS1_30default_config_static_selectorELNS0_4arch9wavefront6targetE1EEEvT1_
; %bb.0:
	s_load_dwordx4 s[8:11], s[0:1], 0x0
	s_load_dwordx2 s[2:3], s[0:1], 0x10
	s_load_dwordx2 s[68:69], s[0:1], 0x20
	s_load_dwordx4 s[64:67], s[0:1], 0x30
	s_load_dwordx2 s[72:73], s[0:1], 0x40
	v_cmp_ne_u32_e64 s[4:5], 0, v0
	v_cmp_eq_u32_e64 s[54:55], 0, v0
	s_and_saveexec_b64 s[6:7], s[54:55]
	s_cbranch_execz .LBB940_4
; %bb.1:
	s_mov_b64 s[14:15], exec
	v_mbcnt_lo_u32_b32 v1, s14, 0
	v_mbcnt_hi_u32_b32 v1, s15, v1
	v_cmp_eq_u32_e32 vcc, 0, v1
                                        ; implicit-def: $vgpr2
	s_and_saveexec_b64 s[12:13], vcc
	s_cbranch_execz .LBB940_3
; %bb.2:
	s_load_dwordx2 s[16:17], s[0:1], 0x70
	s_bcnt1_i32_b64 s14, s[14:15]
	v_mov_b32_e32 v2, 0
	v_mov_b32_e32 v3, s14
	s_waitcnt lgkmcnt(0)
	global_atomic_add v2, v2, v3, s[16:17] sc0
.LBB940_3:
	s_or_b64 exec, exec, s[12:13]
	s_waitcnt vmcnt(0)
	v_readfirstlane_b32 s12, v2
	v_mov_b32_e32 v2, 0
	s_nop 0
	v_add_u32_e32 v1, s12, v1
	ds_write_b32 v2, v1
.LBB940_4:
	s_or_b64 exec, exec, s[6:7]
	v_mov_b32_e32 v1, 0
	s_load_dword s6, s[0:1], 0x48
	s_load_dwordx8 s[56:63], s[0:1], 0x50
	s_waitcnt lgkmcnt(0)
	s_barrier
	ds_read_b32 v1, v1
	s_lshl_b64 s[70:71], s[10:11], 2
	s_add_u32 s7, s8, s70
	s_addc_u32 s8, s9, s71
	s_add_u32 s2, s2, s70
	s_mul_i32 s0, s73, s6
	s_mul_hi_u32 s1, s72, s6
	s_addc_u32 s3, s3, s71
	s_add_i32 s9, s1, s0
	s_waitcnt lgkmcnt(0)
	v_readfirstlane_b32 s67, v1
	s_cmp_lg_u64 s[60:61], 0
	s_mov_b32 s1, 0
	s_mul_i32 s0, s67, 0x1700
	s_cselect_b64 s[78:79], -1, 0
	s_lshl_b64 s[60:61], s[0:1], 2
	s_add_u32 s76, s7, s60
	s_addc_u32 s77, s8, s61
	s_add_u32 s74, s2, s60
	s_mul_i32 s6, s72, s6
	s_addc_u32 s75, s3, s61
	s_add_u32 s80, s6, s67
	s_addc_u32 s81, s9, 0
	s_add_u32 s0, s56, -1
	s_addc_u32 s1, s57, -1
	v_mov_b64_e32 v[2:3], s[0:1]
	v_cmp_ge_u64_e64 s[2:3], s[80:81], v[2:3]
	s_mov_b64 s[10:11], 0
	s_mov_b64 s[6:7], -1
	s_and_b64 vcc, exec, s[2:3]
	s_mul_i32 s33, s0, 0xffffe900
	s_barrier
	s_barrier
	s_cbranch_vccz .LBB940_126
; %bb.5:
	v_mov_b64_e32 v[2:3], s[76:77]
	flat_load_dword v1, v[2:3]
	s_add_i32 s84, s33, s66
	v_cmp_gt_u32_e64 s[6:7], s84, v0
	s_waitcnt vmcnt(0) lgkmcnt(0)
	v_mov_b32_e32 v4, v1
	s_and_saveexec_b64 s[0:1], s[6:7]
	s_cbranch_execz .LBB940_7
; %bb.6:
	v_lshlrev_b32_e32 v2, 2, v0
	v_mov_b32_e32 v3, 0
	v_lshl_add_u64 v[2:3], s[76:77], 0, v[2:3]
	flat_load_dword v4, v[2:3]
.LBB940_7:
	s_or_b64 exec, exec, s[0:1]
	v_or_b32_e32 v2, 0x100, v0
	v_cmp_gt_u32_e64 s[8:9], s84, v2
	v_mov_b32_e32 v5, v1
	s_and_saveexec_b64 s[0:1], s[8:9]
	s_cbranch_execz .LBB940_9
; %bb.8:
	v_lshlrev_b32_e32 v2, 2, v0
	v_mov_b32_e32 v3, 0
	v_lshl_add_u64 v[2:3], s[76:77], 0, v[2:3]
	flat_load_dword v5, v[2:3] offset:1024
.LBB940_9:
	s_or_b64 exec, exec, s[0:1]
	v_or_b32_e32 v2, 0x200, v0
	v_cmp_gt_u32_e64 s[10:11], s84, v2
	v_mov_b32_e32 v6, v1
	s_and_saveexec_b64 s[0:1], s[10:11]
	s_cbranch_execz .LBB940_11
; %bb.10:
	v_lshlrev_b32_e32 v2, 2, v0
	v_mov_b32_e32 v3, 0
	v_lshl_add_u64 v[2:3], s[76:77], 0, v[2:3]
	flat_load_dword v6, v[2:3] offset:2048
.LBB940_11:
	;; [unrolled: 12-line block ×3, first 2 shown]
	s_or_b64 exec, exec, s[0:1]
	v_or_b32_e32 v2, 0x400, v0
	v_cmp_gt_u32_e64 s[14:15], s84, v2
	v_mov_b32_e32 v8, v1
	s_and_saveexec_b64 s[0:1], s[14:15]
	s_cbranch_execz .LBB940_15
; %bb.14:
	v_lshlrev_b32_e32 v8, 2, v2
	v_mov_b32_e32 v9, 0
	v_lshl_add_u64 v[8:9], s[76:77], 0, v[8:9]
	flat_load_dword v8, v[8:9]
.LBB940_15:
	s_or_b64 exec, exec, s[0:1]
	v_or_b32_e32 v3, 0x500, v0
	v_cmp_gt_u32_e64 s[16:17], s84, v3
	v_mov_b32_e32 v9, v1
	s_and_saveexec_b64 s[0:1], s[16:17]
	s_cbranch_execz .LBB940_17
; %bb.16:
	v_lshlrev_b32_e32 v10, 2, v3
	v_mov_b32_e32 v11, 0
	v_lshl_add_u64 v[10:11], s[76:77], 0, v[10:11]
	flat_load_dword v9, v[10:11]
.LBB940_17:
	;; [unrolled: 12-line block ×18, first 2 shown]
	s_or_b64 exec, exec, s[0:1]
	v_or_b32_e32 v26, 0x1600, v0
	v_cmp_gt_u32_e64 s[52:53], s84, v26
	s_and_saveexec_b64 s[0:1], s[52:53]
	s_cbranch_execz .LBB940_51
; %bb.50:
	v_lshlrev_b32_e32 v44, 2, v26
	v_mov_b32_e32 v45, 0
	v_lshl_add_u64 v[44:45], s[76:77], 0, v[44:45]
	flat_load_dword v1, v[44:45]
.LBB940_51:
	s_or_b64 exec, exec, s[0:1]
	v_lshlrev_b32_e32 v27, 2, v0
	s_movk_i32 s0, 0x58
	s_waitcnt vmcnt(0) lgkmcnt(0)
	ds_write2st64_b32 v27, v4, v5 offset1:4
	ds_write2st64_b32 v27, v6, v7 offset0:8 offset1:12
	ds_write2st64_b32 v27, v8, v9 offset0:16 offset1:20
	;; [unrolled: 1-line block ×10, first 2 shown]
	ds_write_b32 v27, v1 offset:22528
	v_mad_u32_u24 v1, v0, s0, v27
	s_waitcnt lgkmcnt(0)
	s_barrier
	ds_read2_b32 v[68:69], v1 offset1:1
	ds_read2_b32 v[66:67], v1 offset0:2 offset1:3
	ds_read2_b32 v[64:65], v1 offset0:4 offset1:5
	;; [unrolled: 1-line block ×10, first 2 shown]
	ds_read_b32 v72, v1 offset:88
	s_cmp_eq_u64 s[80:81], 0
	s_mov_b64 s[0:1], s[76:77]
	s_cbranch_scc1 .LBB940_55
; %bb.52:
	s_andn2_b64 vcc, exec, s[78:79]
	s_cbranch_vccnz .LBB940_271
; %bb.53:
	s_lshl_b64 s[0:1], s[80:81], 2
	s_add_u32 s0, s62, s0
	s_addc_u32 s1, s63, s1
	s_add_u32 s0, s0, -4
	s_addc_u32 s1, s1, -1
	s_cbranch_execnz .LBB940_55
.LBB940_54:
	s_add_u32 s0, s76, -4
	s_addc_u32 s1, s77, -1
.LBB940_55:
	v_mov_b64_e32 v[28:29], s[0:1]
	flat_load_dword v70, v[28:29]
	s_movk_i32 s0, 0xffa8
	v_mad_i32_i24 v28, v0, s0, v1
	s_waitcnt lgkmcnt(0)
	ds_write_b32 v28, v72 offset:23552
	s_waitcnt lgkmcnt(0)
	s_barrier
	s_and_saveexec_b64 s[0:1], s[4:5]
	s_cbranch_execz .LBB940_57
; %bb.56:
	v_mul_i32_i24_e32 v28, 0xffffffa8, v0
	v_add_u32_e32 v28, v1, v28
	s_waitcnt vmcnt(0)
	ds_read_b32 v70, v28 offset:23548
.LBB940_57:
	s_or_b64 exec, exec, s[0:1]
	s_waitcnt lgkmcnt(0)
	s_barrier
	s_waitcnt lgkmcnt(0)
                                        ; implicit-def: $vgpr28
	s_and_saveexec_b64 s[0:1], s[6:7]
	s_cbranch_execnz .LBB940_247
; %bb.58:
	s_or_b64 exec, exec, s[0:1]
                                        ; implicit-def: $vgpr29
	s_and_saveexec_b64 s[0:1], s[8:9]
	s_cbranch_execnz .LBB940_248
.LBB940_59:
	s_or_b64 exec, exec, s[0:1]
                                        ; implicit-def: $vgpr30
	s_and_saveexec_b64 s[0:1], s[10:11]
	s_cbranch_execnz .LBB940_249
.LBB940_60:
	s_or_b64 exec, exec, s[0:1]
                                        ; implicit-def: $vgpr31
	s_and_saveexec_b64 s[0:1], s[12:13]
	s_cbranch_execnz .LBB940_250
.LBB940_61:
	s_or_b64 exec, exec, s[0:1]
                                        ; implicit-def: $vgpr32
	s_and_saveexec_b64 s[0:1], s[14:15]
	s_cbranch_execnz .LBB940_251
.LBB940_62:
	s_or_b64 exec, exec, s[0:1]
                                        ; implicit-def: $vgpr2
	s_and_saveexec_b64 s[0:1], s[16:17]
	s_cbranch_execnz .LBB940_252
.LBB940_63:
	s_or_b64 exec, exec, s[0:1]
                                        ; implicit-def: $vgpr3
	s_and_saveexec_b64 s[0:1], s[18:19]
	s_cbranch_execnz .LBB940_253
.LBB940_64:
	s_or_b64 exec, exec, s[0:1]
                                        ; implicit-def: $vgpr10
	s_and_saveexec_b64 s[0:1], s[20:21]
	s_cbranch_execnz .LBB940_254
.LBB940_65:
	s_or_b64 exec, exec, s[0:1]
                                        ; implicit-def: $vgpr11
	s_and_saveexec_b64 s[0:1], s[22:23]
	s_cbranch_execnz .LBB940_255
.LBB940_66:
	s_or_b64 exec, exec, s[0:1]
                                        ; implicit-def: $vgpr12
	s_and_saveexec_b64 s[0:1], s[24:25]
	s_cbranch_execnz .LBB940_256
.LBB940_67:
	s_or_b64 exec, exec, s[0:1]
                                        ; implicit-def: $vgpr13
	s_and_saveexec_b64 s[0:1], s[26:27]
	s_cbranch_execnz .LBB940_257
.LBB940_68:
	s_or_b64 exec, exec, s[0:1]
                                        ; implicit-def: $vgpr14
	s_and_saveexec_b64 s[0:1], s[28:29]
	s_cbranch_execnz .LBB940_258
.LBB940_69:
	s_or_b64 exec, exec, s[0:1]
                                        ; implicit-def: $vgpr15
	s_and_saveexec_b64 s[0:1], s[30:31]
	s_cbranch_execnz .LBB940_259
.LBB940_70:
	s_or_b64 exec, exec, s[0:1]
                                        ; implicit-def: $vgpr16
	s_and_saveexec_b64 s[0:1], s[34:35]
	s_cbranch_execnz .LBB940_260
.LBB940_71:
	s_or_b64 exec, exec, s[0:1]
                                        ; implicit-def: $vgpr17
	s_and_saveexec_b64 s[0:1], s[36:37]
	s_cbranch_execnz .LBB940_261
.LBB940_72:
	s_or_b64 exec, exec, s[0:1]
                                        ; implicit-def: $vgpr18
	s_and_saveexec_b64 s[0:1], s[38:39]
	s_cbranch_execnz .LBB940_262
.LBB940_73:
	s_or_b64 exec, exec, s[0:1]
                                        ; implicit-def: $vgpr19
	s_and_saveexec_b64 s[0:1], s[40:41]
	s_cbranch_execnz .LBB940_263
.LBB940_74:
	s_or_b64 exec, exec, s[0:1]
                                        ; implicit-def: $vgpr20
	s_and_saveexec_b64 s[0:1], s[42:43]
	s_cbranch_execnz .LBB940_264
.LBB940_75:
	s_or_b64 exec, exec, s[0:1]
                                        ; implicit-def: $vgpr21
	s_and_saveexec_b64 s[0:1], s[44:45]
	s_cbranch_execnz .LBB940_265
.LBB940_76:
	s_or_b64 exec, exec, s[0:1]
                                        ; implicit-def: $vgpr22
	s_and_saveexec_b64 s[0:1], s[46:47]
	s_cbranch_execnz .LBB940_266
.LBB940_77:
	s_or_b64 exec, exec, s[0:1]
                                        ; implicit-def: $vgpr23
	s_and_saveexec_b64 s[0:1], s[48:49]
	s_cbranch_execnz .LBB940_267
.LBB940_78:
	s_or_b64 exec, exec, s[0:1]
                                        ; implicit-def: $vgpr24
	s_and_saveexec_b64 s[0:1], s[50:51]
	s_cbranch_execnz .LBB940_268
.LBB940_79:
	s_or_b64 exec, exec, s[0:1]
                                        ; implicit-def: $vgpr25
	s_and_saveexec_b64 s[0:1], s[52:53]
	s_cbranch_execz .LBB940_81
.LBB940_80:
	v_lshlrev_b32_e32 v25, 2, v26
	global_load_dword v25, v25, s[74:75]
	s_waitcnt vmcnt(0)
	v_sub_u32_e32 v25, 0, v25
.LBB940_81:
	s_or_b64 exec, exec, s[0:1]
	v_mul_u32_u24_e32 v73, 23, v0
	ds_write2st64_b32 v27, v28, v29 offset1:4
	ds_write2st64_b32 v27, v30, v31 offset0:8 offset1:12
	ds_write2st64_b32 v27, v32, v2 offset0:16 offset1:20
	;; [unrolled: 1-line block ×10, first 2 shown]
	ds_write_b32 v27, v25 offset:22528
	v_mov_b64_e32 v[10:11], 0
	v_cmp_gt_u32_e32 vcc, s84, v73
	s_mov_b64 s[10:11], 0
	s_mov_b64 s[6:7], 0
	v_mov_b64_e32 v[12:13], v[10:11]
	v_mov_b64_e32 v[14:15], v[10:11]
	;; [unrolled: 1-line block ×21, first 2 shown]
	s_waitcnt lgkmcnt(0)
	s_barrier
	s_waitcnt lgkmcnt(0)
                                        ; implicit-def: $sgpr0_sgpr1
                                        ; implicit-def: $vgpr3
	s_and_saveexec_b64 s[8:9], vcc
	s_cbranch_execz .LBB940_125
; %bb.82:
	ds_read_b32 v10, v1
	v_add_u32_e32 v2, 1, v73
	s_waitcnt vmcnt(0)
	v_cmp_ne_u32_e32 vcc, v70, v68
	v_mov_b64_e32 v[12:13], 0
	s_mov_b64 s[12:13], 0
	v_cndmask_b32_e64 v11, 0, 1, vcc
	v_cmp_gt_u32_e32 vcc, s84, v2
	s_mov_b64 s[0:1], 0
	v_mov_b64_e32 v[14:15], v[12:13]
	v_mov_b64_e32 v[16:17], v[12:13]
	;; [unrolled: 1-line block ×20, first 2 shown]
                                        ; implicit-def: $sgpr14_sgpr15
                                        ; implicit-def: $vgpr3
	s_and_saveexec_b64 s[10:11], vcc
	s_cbranch_execz .LBB940_124
; %bb.83:
	ds_read2_b32 v[70:71], v1 offset0:1 offset1:2
	v_add_u32_e32 v2, 2, v73
	v_cmp_ne_u32_e32 vcc, v68, v69
	v_mov_b64_e32 v[14:15], 0
	s_mov_b64 s[16:17], 0
	v_cndmask_b32_e64 v13, 0, 1, vcc
	v_cmp_gt_u32_e32 vcc, s84, v2
	s_waitcnt lgkmcnt(0)
	v_mov_b32_e32 v12, v70
	v_mov_b64_e32 v[16:17], v[14:15]
	v_mov_b64_e32 v[18:19], v[14:15]
	;; [unrolled: 1-line block ×19, first 2 shown]
                                        ; implicit-def: $sgpr14_sgpr15
                                        ; implicit-def: $vgpr3
	s_and_saveexec_b64 s[12:13], vcc
	s_cbranch_execz .LBB940_123
; %bb.84:
	v_add_u32_e32 v2, 3, v73
	v_cmp_ne_u32_e32 vcc, v69, v66
	v_mov_b64_e32 v[16:17], 0
	v_mov_b32_e32 v14, v71
	v_cndmask_b32_e64 v15, 0, 1, vcc
	v_cmp_gt_u32_e32 vcc, s84, v2
	v_mov_b64_e32 v[18:19], v[16:17]
	v_mov_b64_e32 v[20:21], v[16:17]
	;; [unrolled: 1-line block ×18, first 2 shown]
                                        ; implicit-def: $sgpr18_sgpr19
                                        ; implicit-def: $vgpr3
	s_and_saveexec_b64 s[14:15], vcc
	s_cbranch_execz .LBB940_122
; %bb.85:
	ds_read2_b32 v[68:69], v1 offset0:3 offset1:4
	v_add_u32_e32 v2, 4, v73
	v_cmp_ne_u32_e32 vcc, v66, v67
	v_mov_b64_e32 v[18:19], 0
	s_mov_b64 s[20:21], 0
	v_cndmask_b32_e64 v17, 0, 1, vcc
	v_cmp_gt_u32_e32 vcc, s84, v2
	s_waitcnt lgkmcnt(0)
	v_mov_b32_e32 v16, v68
	v_mov_b64_e32 v[20:21], v[18:19]
	v_mov_b64_e32 v[22:23], v[18:19]
	;; [unrolled: 1-line block ×17, first 2 shown]
                                        ; implicit-def: $sgpr18_sgpr19
                                        ; implicit-def: $vgpr3
	s_and_saveexec_b64 s[16:17], vcc
	s_cbranch_execz .LBB940_121
; %bb.86:
	v_add_u32_e32 v2, 5, v73
	v_cmp_ne_u32_e32 vcc, v67, v64
	v_mov_b64_e32 v[20:21], 0
	v_mov_b32_e32 v18, v69
	v_cndmask_b32_e64 v19, 0, 1, vcc
	v_cmp_gt_u32_e32 vcc, s84, v2
	v_mov_b64_e32 v[22:23], v[20:21]
	v_mov_b64_e32 v[24:25], v[20:21]
	;; [unrolled: 1-line block ×16, first 2 shown]
                                        ; implicit-def: $sgpr22_sgpr23
                                        ; implicit-def: $vgpr3
	s_and_saveexec_b64 s[18:19], vcc
	s_cbranch_execz .LBB940_120
; %bb.87:
	ds_read2_b32 v[66:67], v1 offset0:5 offset1:6
	v_add_u32_e32 v2, 6, v73
	v_cmp_ne_u32_e32 vcc, v64, v65
	v_mov_b64_e32 v[22:23], 0
	s_mov_b64 s[24:25], 0
	v_cndmask_b32_e64 v21, 0, 1, vcc
	v_cmp_gt_u32_e32 vcc, s84, v2
	s_waitcnt lgkmcnt(0)
	v_mov_b32_e32 v20, v66
	v_mov_b64_e32 v[24:25], v[22:23]
	v_mov_b64_e32 v[26:27], v[22:23]
	;; [unrolled: 1-line block ×15, first 2 shown]
                                        ; implicit-def: $sgpr22_sgpr23
                                        ; implicit-def: $vgpr3
	s_and_saveexec_b64 s[20:21], vcc
	s_cbranch_execz .LBB940_119
; %bb.88:
	v_add_u32_e32 v2, 7, v73
	v_cmp_ne_u32_e32 vcc, v65, v62
	v_mov_b64_e32 v[24:25], 0
	v_mov_b32_e32 v22, v67
	v_cndmask_b32_e64 v23, 0, 1, vcc
	v_cmp_gt_u32_e32 vcc, s84, v2
	v_mov_b64_e32 v[26:27], v[24:25]
	v_mov_b64_e32 v[28:29], v[24:25]
	;; [unrolled: 1-line block ×14, first 2 shown]
                                        ; implicit-def: $sgpr26_sgpr27
                                        ; implicit-def: $vgpr3
	s_and_saveexec_b64 s[22:23], vcc
	s_cbranch_execz .LBB940_118
; %bb.89:
	ds_read2_b32 v[64:65], v1 offset0:7 offset1:8
	v_add_u32_e32 v2, 8, v73
	v_cmp_ne_u32_e32 vcc, v62, v63
	v_mov_b64_e32 v[26:27], 0
	s_mov_b64 s[28:29], 0
	v_cndmask_b32_e64 v25, 0, 1, vcc
	v_cmp_gt_u32_e32 vcc, s84, v2
	s_waitcnt lgkmcnt(0)
	v_mov_b32_e32 v24, v64
	v_mov_b64_e32 v[28:29], v[26:27]
	v_mov_b64_e32 v[30:31], v[26:27]
	;; [unrolled: 1-line block ×13, first 2 shown]
                                        ; implicit-def: $sgpr26_sgpr27
                                        ; implicit-def: $vgpr3
	s_and_saveexec_b64 s[24:25], vcc
	s_cbranch_execz .LBB940_117
; %bb.90:
	v_add_u32_e32 v2, 9, v73
	v_cmp_ne_u32_e32 vcc, v63, v60
	v_mov_b64_e32 v[28:29], 0
	v_mov_b32_e32 v26, v65
	v_cndmask_b32_e64 v27, 0, 1, vcc
	v_cmp_gt_u32_e32 vcc, s84, v2
	v_mov_b64_e32 v[30:31], v[28:29]
	v_mov_b64_e32 v[32:33], v[28:29]
	;; [unrolled: 1-line block ×12, first 2 shown]
                                        ; implicit-def: $sgpr30_sgpr31
                                        ; implicit-def: $vgpr3
	s_and_saveexec_b64 s[26:27], vcc
	s_cbranch_execz .LBB940_116
; %bb.91:
	ds_read2_b32 v[62:63], v1 offset0:9 offset1:10
	v_add_u32_e32 v2, 10, v73
	v_cmp_ne_u32_e32 vcc, v60, v61
	v_mov_b64_e32 v[30:31], 0
	s_mov_b64 s[34:35], 0
	v_cndmask_b32_e64 v29, 0, 1, vcc
	v_cmp_gt_u32_e32 vcc, s84, v2
	s_waitcnt lgkmcnt(0)
	v_mov_b32_e32 v28, v62
	v_mov_b64_e32 v[32:33], v[30:31]
	v_mov_b64_e32 v[34:35], v[30:31]
	v_mov_b64_e32 v[36:37], v[30:31]
	v_mov_b64_e32 v[38:39], v[30:31]
	v_mov_b64_e32 v[40:41], v[30:31]
	v_mov_b64_e32 v[42:43], v[30:31]
	v_mov_b64_e32 v[44:45], v[30:31]
	v_mov_b64_e32 v[46:47], v[30:31]
	v_mov_b64_e32 v[48:49], v[30:31]
	v_mov_b64_e32 v[50:51], v[30:31]
	v_mov_b64_e32 v[52:53], v[30:31]
                                        ; implicit-def: $sgpr30_sgpr31
                                        ; implicit-def: $vgpr3
	s_and_saveexec_b64 s[28:29], vcc
	s_cbranch_execz .LBB940_115
; %bb.92:
	v_add_u32_e32 v2, 11, v73
	v_cmp_ne_u32_e32 vcc, v61, v58
	v_mov_b64_e32 v[32:33], 0
	v_mov_b32_e32 v30, v63
	v_cndmask_b32_e64 v31, 0, 1, vcc
	v_cmp_gt_u32_e32 vcc, s84, v2
	v_mov_b64_e32 v[34:35], v[32:33]
	v_mov_b64_e32 v[36:37], v[32:33]
	v_mov_b64_e32 v[38:39], v[32:33]
	v_mov_b64_e32 v[40:41], v[32:33]
	v_mov_b64_e32 v[42:43], v[32:33]
	v_mov_b64_e32 v[44:45], v[32:33]
	v_mov_b64_e32 v[46:47], v[32:33]
	v_mov_b64_e32 v[48:49], v[32:33]
	v_mov_b64_e32 v[50:51], v[32:33]
	v_mov_b64_e32 v[52:53], v[32:33]
                                        ; implicit-def: $sgpr36_sgpr37
                                        ; implicit-def: $vgpr3
	s_and_saveexec_b64 s[30:31], vcc
	s_cbranch_execz .LBB940_114
; %bb.93:
	ds_read2_b32 v[60:61], v1 offset0:11 offset1:12
	v_add_u32_e32 v2, 12, v73
	v_cmp_ne_u32_e32 vcc, v58, v59
	v_mov_b64_e32 v[34:35], 0
	s_mov_b64 s[38:39], 0
	v_cndmask_b32_e64 v33, 0, 1, vcc
	v_cmp_gt_u32_e32 vcc, s84, v2
	s_waitcnt lgkmcnt(0)
	v_mov_b32_e32 v32, v60
	v_mov_b64_e32 v[36:37], v[34:35]
	v_mov_b64_e32 v[38:39], v[34:35]
	;; [unrolled: 1-line block ×9, first 2 shown]
                                        ; implicit-def: $sgpr36_sgpr37
                                        ; implicit-def: $vgpr3
	s_and_saveexec_b64 s[34:35], vcc
	s_cbranch_execz .LBB940_113
; %bb.94:
	v_add_u32_e32 v2, 13, v73
	v_cmp_ne_u32_e32 vcc, v59, v56
	v_mov_b64_e32 v[36:37], 0
	v_mov_b32_e32 v34, v61
	v_cndmask_b32_e64 v35, 0, 1, vcc
	v_cmp_gt_u32_e32 vcc, s84, v2
	v_mov_b64_e32 v[38:39], v[36:37]
	v_mov_b64_e32 v[40:41], v[36:37]
	;; [unrolled: 1-line block ×8, first 2 shown]
                                        ; implicit-def: $sgpr40_sgpr41
                                        ; implicit-def: $vgpr3
	s_and_saveexec_b64 s[36:37], vcc
	s_cbranch_execz .LBB940_112
; %bb.95:
	ds_read2_b32 v[58:59], v1 offset0:13 offset1:14
	v_add_u32_e32 v2, 14, v73
	v_cmp_ne_u32_e32 vcc, v56, v57
	v_mov_b64_e32 v[38:39], 0
	s_mov_b64 s[42:43], 0
	v_cndmask_b32_e64 v37, 0, 1, vcc
	v_cmp_gt_u32_e32 vcc, s84, v2
	s_waitcnt lgkmcnt(0)
	v_mov_b32_e32 v36, v58
	v_mov_b64_e32 v[40:41], v[38:39]
	v_mov_b64_e32 v[42:43], v[38:39]
	;; [unrolled: 1-line block ×7, first 2 shown]
                                        ; implicit-def: $sgpr40_sgpr41
                                        ; implicit-def: $vgpr3
	s_and_saveexec_b64 s[38:39], vcc
	s_cbranch_execz .LBB940_111
; %bb.96:
	v_add_u32_e32 v2, 15, v73
	v_cmp_ne_u32_e32 vcc, v57, v54
	v_mov_b64_e32 v[40:41], 0
	v_mov_b32_e32 v38, v59
	v_cndmask_b32_e64 v39, 0, 1, vcc
	v_cmp_gt_u32_e32 vcc, s84, v2
	v_mov_b64_e32 v[42:43], v[40:41]
	v_mov_b64_e32 v[44:45], v[40:41]
	;; [unrolled: 1-line block ×6, first 2 shown]
                                        ; implicit-def: $sgpr44_sgpr45
                                        ; implicit-def: $vgpr3
	s_and_saveexec_b64 s[40:41], vcc
	s_cbranch_execz .LBB940_110
; %bb.97:
	ds_read2_b32 v[56:57], v1 offset0:15 offset1:16
	v_add_u32_e32 v2, 16, v73
	v_cmp_ne_u32_e32 vcc, v54, v55
	v_mov_b64_e32 v[42:43], 0
	s_mov_b64 s[46:47], 0
	v_cndmask_b32_e64 v41, 0, 1, vcc
	v_cmp_gt_u32_e32 vcc, s84, v2
	s_waitcnt lgkmcnt(0)
	v_mov_b32_e32 v40, v56
	v_mov_b64_e32 v[44:45], v[42:43]
	v_mov_b64_e32 v[46:47], v[42:43]
	;; [unrolled: 1-line block ×5, first 2 shown]
                                        ; implicit-def: $sgpr44_sgpr45
                                        ; implicit-def: $vgpr3
	s_and_saveexec_b64 s[42:43], vcc
	s_cbranch_execz .LBB940_109
; %bb.98:
	v_add_u32_e32 v2, 17, v73
	v_cmp_ne_u32_e32 vcc, v55, v8
	v_mov_b64_e32 v[44:45], 0
	v_mov_b32_e32 v42, v57
	v_cndmask_b32_e64 v43, 0, 1, vcc
	v_cmp_gt_u32_e32 vcc, s84, v2
	v_mov_b64_e32 v[46:47], v[44:45]
	v_mov_b64_e32 v[48:49], v[44:45]
	;; [unrolled: 1-line block ×4, first 2 shown]
                                        ; implicit-def: $sgpr48_sgpr49
                                        ; implicit-def: $vgpr3
	s_and_saveexec_b64 s[44:45], vcc
	s_cbranch_execz .LBB940_108
; %bb.99:
	ds_read2_b32 v[54:55], v1 offset0:17 offset1:18
	v_add_u32_e32 v2, 18, v73
	v_cmp_ne_u32_e32 vcc, v8, v9
	v_mov_b64_e32 v[46:47], 0
	s_mov_b64 s[50:51], 0
	v_cndmask_b32_e64 v45, 0, 1, vcc
	v_cmp_gt_u32_e32 vcc, s84, v2
	s_waitcnt lgkmcnt(0)
	v_mov_b32_e32 v44, v54
	v_mov_b64_e32 v[48:49], v[46:47]
	v_mov_b64_e32 v[50:51], v[46:47]
	;; [unrolled: 1-line block ×3, first 2 shown]
                                        ; implicit-def: $sgpr48_sgpr49
                                        ; implicit-def: $vgpr3
	s_and_saveexec_b64 s[46:47], vcc
	s_cbranch_execz .LBB940_107
; %bb.100:
	v_add_u32_e32 v2, 19, v73
	v_cmp_ne_u32_e32 vcc, v9, v6
	v_mov_b64_e32 v[48:49], 0
	v_mov_b32_e32 v46, v55
	v_cndmask_b32_e64 v47, 0, 1, vcc
	v_cmp_gt_u32_e32 vcc, s84, v2
	v_mov_b64_e32 v[50:51], v[48:49]
	v_mov_b64_e32 v[52:53], v[48:49]
                                        ; implicit-def: $sgpr52_sgpr53
                                        ; implicit-def: $vgpr3
	s_and_saveexec_b64 s[48:49], vcc
	s_cbranch_execz .LBB940_106
; %bb.101:
	ds_read2_b32 v[8:9], v1 offset0:19 offset1:20
	v_add_u32_e32 v2, 20, v73
	v_cmp_ne_u32_e32 vcc, v6, v7
	v_mov_b64_e32 v[50:51], 0
	s_mov_b64 s[52:53], 0
	v_cndmask_b32_e64 v49, 0, 1, vcc
	v_cmp_gt_u32_e32 vcc, s84, v2
	s_waitcnt lgkmcnt(0)
	v_mov_b32_e32 v48, v8
	v_mov_b64_e32 v[52:53], v[50:51]
                                        ; implicit-def: $sgpr56_sgpr57
                                        ; implicit-def: $vgpr3
	s_and_saveexec_b64 s[50:51], vcc
	s_cbranch_execz .LBB940_105
; %bb.102:
	v_add_u32_e32 v2, 21, v73
	v_cmp_ne_u32_e32 vcc, v7, v4
	v_mov_b32_e32 v50, v9
	v_mov_b64_e32 v[52:53], 0
	v_cndmask_b32_e64 v51, 0, 1, vcc
	v_cmp_gt_u32_e32 vcc, s84, v2
                                        ; implicit-def: $sgpr56_sgpr57
                                        ; implicit-def: $vgpr3
	s_and_saveexec_b64 s[0:1], vcc
	s_xor_b64 s[82:83], exec, s[0:1]
	s_cbranch_execz .LBB940_104
; %bb.103:
	ds_read2_b32 v[2:3], v1 offset0:21 offset1:22
	v_add_u32_e32 v1, 22, v73
	v_cmp_ne_u32_e64 s[0:1], v4, v5
	v_cmp_ne_u32_e32 vcc, v5, v72
	s_and_b64 s[56:57], vcc, exec
	v_cndmask_b32_e64 v53, 0, 1, s[0:1]
	v_cmp_gt_u32_e64 s[0:1], s84, v1
	s_waitcnt lgkmcnt(0)
	v_mov_b32_e32 v52, v2
	s_and_b64 s[52:53], s[0:1], exec
.LBB940_104:
	s_or_b64 exec, exec, s[82:83]
	s_and_b64 s[56:57], s[56:57], exec
	s_and_b64 s[0:1], s[52:53], exec
.LBB940_105:
	s_or_b64 exec, exec, s[50:51]
	s_and_b64 s[52:53], s[56:57], exec
	s_and_b64 s[50:51], s[0:1], exec
.LBB940_106:
	s_or_b64 exec, exec, s[48:49]
	s_and_b64 s[48:49], s[52:53], exec
	s_and_b64 s[0:1], s[50:51], exec
.LBB940_107:
	s_or_b64 exec, exec, s[46:47]
	s_and_b64 s[48:49], s[48:49], exec
	s_and_b64 s[46:47], s[0:1], exec
.LBB940_108:
	s_or_b64 exec, exec, s[44:45]
	s_and_b64 s[44:45], s[48:49], exec
	s_and_b64 s[0:1], s[46:47], exec
.LBB940_109:
	s_or_b64 exec, exec, s[42:43]
	s_and_b64 s[44:45], s[44:45], exec
	s_and_b64 s[42:43], s[0:1], exec
.LBB940_110:
	s_or_b64 exec, exec, s[40:41]
	s_and_b64 s[40:41], s[44:45], exec
	s_and_b64 s[0:1], s[42:43], exec
.LBB940_111:
	s_or_b64 exec, exec, s[38:39]
	s_and_b64 s[40:41], s[40:41], exec
	s_and_b64 s[38:39], s[0:1], exec
.LBB940_112:
	s_or_b64 exec, exec, s[36:37]
	s_and_b64 s[36:37], s[40:41], exec
	s_and_b64 s[0:1], s[38:39], exec
.LBB940_113:
	s_or_b64 exec, exec, s[34:35]
	s_and_b64 s[36:37], s[36:37], exec
	s_and_b64 s[34:35], s[0:1], exec
.LBB940_114:
	s_or_b64 exec, exec, s[30:31]
	s_and_b64 s[30:31], s[36:37], exec
	s_and_b64 s[0:1], s[34:35], exec
.LBB940_115:
	s_or_b64 exec, exec, s[28:29]
	s_and_b64 s[30:31], s[30:31], exec
	s_and_b64 s[28:29], s[0:1], exec
.LBB940_116:
	s_or_b64 exec, exec, s[26:27]
	s_and_b64 s[26:27], s[30:31], exec
	s_and_b64 s[0:1], s[28:29], exec
.LBB940_117:
	s_or_b64 exec, exec, s[24:25]
	s_and_b64 s[26:27], s[26:27], exec
	s_and_b64 s[24:25], s[0:1], exec
.LBB940_118:
	s_or_b64 exec, exec, s[22:23]
	s_and_b64 s[22:23], s[26:27], exec
	s_and_b64 s[0:1], s[24:25], exec
.LBB940_119:
	s_or_b64 exec, exec, s[20:21]
	s_and_b64 s[22:23], s[22:23], exec
	s_and_b64 s[20:21], s[0:1], exec
.LBB940_120:
	s_or_b64 exec, exec, s[18:19]
	s_and_b64 s[18:19], s[22:23], exec
	s_and_b64 s[0:1], s[20:21], exec
.LBB940_121:
	s_or_b64 exec, exec, s[16:17]
	s_and_b64 s[18:19], s[18:19], exec
	s_and_b64 s[16:17], s[0:1], exec
.LBB940_122:
	s_or_b64 exec, exec, s[14:15]
	s_and_b64 s[14:15], s[18:19], exec
	s_and_b64 s[0:1], s[16:17], exec
.LBB940_123:
	s_or_b64 exec, exec, s[12:13]
	s_and_b64 s[14:15], s[14:15], exec
	s_and_b64 s[12:13], s[0:1], exec
.LBB940_124:
	s_or_b64 exec, exec, s[10:11]
	s_and_b64 s[0:1], s[14:15], exec
	s_and_b64 s[10:11], s[12:13], exec
.LBB940_125:
	s_or_b64 exec, exec, s[8:9]
	s_mov_b64 s[8:9], 0
	s_and_b64 vcc, exec, s[6:7]
	v_lshlrev_b32_e32 v54, 2, v0
	s_cbranch_vccnz .LBB940_127
	s_branch .LBB940_135
.LBB940_126:
                                        ; implicit-def: $sgpr0_sgpr1
                                        ; implicit-def: $vgpr3
                                        ; implicit-def: $vgpr10_vgpr11
                                        ; implicit-def: $vgpr12_vgpr13
                                        ; implicit-def: $vgpr14_vgpr15
                                        ; implicit-def: $vgpr16_vgpr17
                                        ; implicit-def: $vgpr18_vgpr19
                                        ; implicit-def: $vgpr20_vgpr21
                                        ; implicit-def: $vgpr22_vgpr23
                                        ; implicit-def: $vgpr24_vgpr25
                                        ; implicit-def: $vgpr26_vgpr27
                                        ; implicit-def: $vgpr28_vgpr29
                                        ; implicit-def: $vgpr30_vgpr31
                                        ; implicit-def: $vgpr32_vgpr33
                                        ; implicit-def: $vgpr34_vgpr35
                                        ; implicit-def: $vgpr36_vgpr37
                                        ; implicit-def: $vgpr38_vgpr39
                                        ; implicit-def: $vgpr40_vgpr41
                                        ; implicit-def: $vgpr42_vgpr43
                                        ; implicit-def: $vgpr44_vgpr45
                                        ; implicit-def: $vgpr46_vgpr47
                                        ; implicit-def: $vgpr48_vgpr49
                                        ; implicit-def: $vgpr50_vgpr51
                                        ; implicit-def: $vgpr52_vgpr53
                                        ; implicit-def: $sgpr8_sgpr9
	s_and_b64 vcc, exec, s[6:7]
	v_lshlrev_b32_e32 v54, 2, v0
	s_cbranch_vccz .LBB940_135
.LBB940_127:
	v_mov_b32_e32 v55, 0
	v_lshl_add_u64 v[2:3], s[76:77], 0, v[54:55]
	v_add_co_u32_e32 v4, vcc, 0x1000, v2
	s_movk_i32 s0, 0x58
	s_nop 0
	v_addc_co_u32_e32 v5, vcc, 0, v3, vcc
	flat_load_dword v8, v[2:3]
	flat_load_dword v9, v[2:3] offset:1024
	s_waitcnt lgkmcnt(0)
	flat_load_dword v10, v[2:3] offset:2048
	flat_load_dword v11, v[2:3] offset:3072
	flat_load_dword v12, v[4:5]
	flat_load_dword v13, v[4:5] offset:1024
	flat_load_dword v14, v[4:5] offset:2048
	;; [unrolled: 1-line block ×3, first 2 shown]
	v_add_co_u32_e32 v4, vcc, 0x2000, v2
	v_mad_u32_u24 v1, v0, s0, v54
	s_nop 0
	v_addc_co_u32_e32 v5, vcc, 0, v3, vcc
	v_add_co_u32_e32 v6, vcc, 0x3000, v2
	s_cmp_eq_u64 s[80:81], 0
	s_nop 0
	v_addc_co_u32_e32 v7, vcc, 0, v3, vcc
	flat_load_dword v16, v[4:5]
	flat_load_dword v17, v[4:5] offset:1024
	flat_load_dword v18, v[4:5] offset:2048
	;; [unrolled: 1-line block ×3, first 2 shown]
	flat_load_dword v20, v[6:7]
	flat_load_dword v21, v[6:7] offset:1024
	flat_load_dword v22, v[6:7] offset:2048
	;; [unrolled: 1-line block ×3, first 2 shown]
	v_add_co_u32_e32 v4, vcc, 0x4000, v2
	s_nop 1
	v_addc_co_u32_e32 v5, vcc, 0, v3, vcc
	v_add_co_u32_e32 v2, vcc, 0x5000, v2
	s_nop 1
	v_addc_co_u32_e32 v3, vcc, 0, v3, vcc
	flat_load_dword v6, v[4:5]
	flat_load_dword v7, v[4:5] offset:1024
	flat_load_dword v24, v[4:5] offset:2048
	;; [unrolled: 1-line block ×3, first 2 shown]
	flat_load_dword v26, v[2:3]
	flat_load_dword v27, v[2:3] offset:1024
	flat_load_dword v28, v[2:3] offset:2048
	s_waitcnt vmcnt(0)
	ds_write2st64_b32 v54, v8, v9 offset1:4
	s_waitcnt lgkmcnt(0)
	ds_write2st64_b32 v54, v10, v11 offset0:8 offset1:12
	ds_write2st64_b32 v54, v12, v13 offset0:16 offset1:20
	ds_write2st64_b32 v54, v14, v15 offset0:24 offset1:28
	ds_write2st64_b32 v54, v16, v17 offset0:32 offset1:36
	ds_write2st64_b32 v54, v18, v19 offset0:40 offset1:44
	ds_write2st64_b32 v54, v20, v21 offset0:48 offset1:52
	ds_write2st64_b32 v54, v22, v23 offset0:56 offset1:60
	ds_write2st64_b32 v54, v6, v7 offset0:64 offset1:68
	ds_write2st64_b32 v54, v24, v25 offset0:72 offset1:76
	ds_write2st64_b32 v54, v26, v27 offset0:80 offset1:84
	ds_write_b32 v54, v28 offset:22528
	s_waitcnt lgkmcnt(0)
	s_barrier
	ds_read2_b32 v[14:15], v1 offset1:1
	ds_read2_b32 v[18:19], v1 offset0:2 offset1:3
	ds_read2_b32 v[22:23], v1 offset0:4 offset1:5
	;; [unrolled: 1-line block ×10, first 2 shown]
	ds_read_b32 v3, v1 offset:88
	s_cbranch_scc1 .LBB940_132
; %bb.128:
	s_andn2_b64 vcc, exec, s[78:79]
	s_cbranch_vccnz .LBB940_272
; %bb.129:
	s_lshl_b64 s[0:1], s[80:81], 2
	s_add_u32 s0, s62, s0
	s_addc_u32 s1, s63, s1
	s_add_u32 s0, s0, -4
	s_addc_u32 s1, s1, -1
	s_cbranch_execnz .LBB940_131
.LBB940_130:
	s_add_u32 s0, s76, -4
	s_addc_u32 s1, s77, -1
.LBB940_131:
	s_mov_b64 s[76:77], s[0:1]
.LBB940_132:
	v_mov_b64_e32 v[10:11], s[76:77]
	flat_load_dword v2, v[10:11]
	s_movk_i32 s0, 0xffa8
	v_mad_i32_i24 v10, v0, s0, v1
	s_waitcnt lgkmcnt(0)
	ds_write_b32 v10, v3 offset:23552
	s_waitcnt lgkmcnt(0)
	s_barrier
	s_and_saveexec_b64 s[0:1], s[4:5]
	s_cbranch_execz .LBB940_134
; %bb.133:
	s_waitcnt vmcnt(0)
	v_mul_i32_i24_e32 v2, 0xffffffa8, v0
	v_add_u32_e32 v2, v1, v2
	ds_read_b32 v2, v2 offset:23548
.LBB940_134:
	s_or_b64 exec, exec, s[0:1]
	v_mov_b32_e32 v55, 0
	v_lshl_add_u64 v[10:11], s[74:75], 0, v[54:55]
	s_movk_i32 s0, 0x1000
	v_add_co_u32_e32 v12, vcc, s0, v10
	s_movk_i32 s0, 0x2000
	s_nop 0
	v_addc_co_u32_e32 v13, vcc, 0, v11, vcc
	v_add_co_u32_e32 v16, vcc, s0, v10
	s_movk_i32 s0, 0x3000
	s_nop 0
	v_addc_co_u32_e32 v17, vcc, 0, v11, vcc
	;; [unrolled: 4-line block ×4, first 2 shown]
	v_add_co_u32_e32 v10, vcc, s0, v10
	s_waitcnt lgkmcnt(0)
	s_nop 0
	v_addc_co_u32_e32 v11, vcc, 0, v11, vcc
	s_barrier
	global_load_dword v28, v54, s[74:75]
	global_load_dword v29, v54, s[74:75] offset:1024
	global_load_dword v32, v54, s[74:75] offset:2048
	global_load_dword v33, v54, s[74:75] offset:3072
	global_load_dword v36, v[16:17], off offset:-4096
	global_load_dword v37, v[16:17], off
	global_load_dword v40, v[16:17], off offset:1024
	global_load_dword v41, v[12:13], off offset:1024
	;; [unrolled: 1-line block ×9, first 2 shown]
	global_load_dword v51, v[24:25], off offset:-4096
	global_load_dword v52, v[24:25], off
	global_load_dword v53, v[24:25], off offset:1024
	global_load_dword v55, v[24:25], off offset:2048
	global_load_dword v56, v[24:25], off offset:3072
	global_load_dword v12, v[10:11], off
	global_load_dword v13, v[10:11], off offset:1024
	global_load_dword v16, v[10:11], off offset:2048
	v_cmp_ne_u32_e64 s[0:1], v5, v3
	s_waitcnt vmcnt(0)
	v_cmp_ne_u32_e32 vcc, v2, v14
	s_mov_b64 s[10:11], -1
                                        ; implicit-def: $sgpr8_sgpr9
	v_sub_u32_e32 v3, 0, v28
	v_sub_u32_e32 v10, 0, v29
	v_sub_u32_e32 v11, 0, v32
	v_sub_u32_e32 v17, 0, v33
	ds_write2st64_b32 v54, v3, v10 offset1:4
	ds_write2st64_b32 v54, v11, v17 offset0:8 offset1:12
	v_sub_u32_e32 v3, 0, v36
	v_sub_u32_e32 v10, 0, v41
	;; [unrolled: 1-line block ×19, first 2 shown]
	ds_write2st64_b32 v54, v3, v10 offset0:16 offset1:20
	ds_write2st64_b32 v54, v11, v17 offset0:24 offset1:28
	;; [unrolled: 1-line block ×9, first 2 shown]
	ds_write_b32 v54, v16 offset:22528
	v_cndmask_b32_e64 v11, 0, 1, vcc
	v_cmp_ne_u32_e32 vcc, v14, v15
	s_waitcnt lgkmcnt(0)
	s_barrier
	v_cndmask_b32_e64 v13, 0, 1, vcc
	v_cmp_ne_u32_e32 vcc, v15, v18
	ds_read2_b32 v[16:17], v1 offset1:1
	ds_read2_b32 v[20:21], v1 offset0:2 offset1:3
	ds_read2_b32 v[24:25], v1 offset0:4 offset1:5
	ds_read2_b32 v[28:29], v1 offset0:6 offset1:7
	ds_read2_b32 v[32:33], v1 offset0:8 offset1:9
	ds_read2_b32 v[36:37], v1 offset0:10 offset1:11
	ds_read2_b32 v[40:41], v1 offset0:12 offset1:13
	ds_read2_b32 v[44:45], v1 offset0:14 offset1:15
	ds_read2_b32 v[46:47], v1 offset0:16 offset1:17
	ds_read2_b32 v[50:51], v1 offset0:18 offset1:19
	ds_read2_b32 v[56:57], v1 offset0:20 offset1:21
	ds_read_b32 v3, v1 offset:88
	v_cndmask_b32_e64 v15, 0, 1, vcc
	v_cmp_ne_u32_e32 vcc, v18, v19
	s_waitcnt lgkmcnt(11)
	v_mov_b32_e32 v12, v17
	v_mov_b32_e32 v10, v16
	v_cndmask_b32_e64 v17, 0, 1, vcc
	v_cmp_ne_u32_e32 vcc, v19, v22
	s_waitcnt lgkmcnt(10)
	v_mov_b32_e32 v16, v21
	v_mov_b32_e32 v14, v20
	;; [unrolled: 5-line block ×5, first 2 shown]
	v_cndmask_b32_e64 v25, 0, 1, vcc
	v_cmp_ne_u32_e32 vcc, v27, v30
	s_waitcnt lgkmcnt(6)
	v_mov_b32_e32 v32, v37
	s_waitcnt lgkmcnt(2)
	v_mov_b32_e32 v48, v51
	v_cndmask_b32_e64 v27, 0, 1, vcc
	v_cmp_ne_u32_e32 vcc, v30, v31
	v_mov_b32_e32 v30, v36
	v_mov_b32_e32 v36, v41
	v_cndmask_b32_e64 v29, 0, 1, vcc
	v_cmp_ne_u32_e32 vcc, v31, v34
	s_waitcnt lgkmcnt(1)
	v_mov_b32_e32 v52, v57
	v_cndmask_b32_e64 v31, 0, 1, vcc
	v_cmp_ne_u32_e32 vcc, v34, v35
	v_mov_b32_e32 v34, v40
	v_mov_b32_e32 v40, v45
	v_cndmask_b32_e64 v33, 0, 1, vcc
	v_cmp_ne_u32_e32 vcc, v35, v38
	s_nop 1
	v_cndmask_b32_e64 v35, 0, 1, vcc
	v_cmp_ne_u32_e32 vcc, v38, v39
	v_mov_b32_e32 v38, v44
	v_mov_b32_e32 v44, v47
	v_cndmask_b32_e64 v37, 0, 1, vcc
	v_cmp_ne_u32_e32 vcc, v39, v42
	s_nop 1
	v_cndmask_b32_e64 v39, 0, 1, vcc
	v_cmp_ne_u32_e32 vcc, v42, v43
	v_mov_b32_e32 v42, v46
	v_mov_b32_e32 v46, v50
	v_cndmask_b32_e64 v41, 0, 1, vcc
	v_cmp_ne_u32_e32 vcc, v43, v8
	v_mov_b32_e32 v50, v56
	s_nop 0
	v_cndmask_b32_e64 v43, 0, 1, vcc
	v_cmp_ne_u32_e32 vcc, v8, v9
	s_nop 1
	v_cndmask_b32_e64 v45, 0, 1, vcc
	v_cmp_ne_u32_e32 vcc, v9, v6
	;; [unrolled: 3-line block ×5, first 2 shown]
	s_nop 1
	v_cndmask_b32_e64 v53, 0, 1, vcc
.LBB940_135:
	v_mov_b64_e32 v[56:57], s[8:9]
	s_and_saveexec_b64 s[6:7], s[10:11]
	s_cbranch_execz .LBB940_137
; %bb.136:
	v_cndmask_b32_e64 v57, 0, 1, s[0:1]
	s_waitcnt lgkmcnt(0)
	v_mov_b32_e32 v56, v3
.LBB940_137:
	s_or_b64 exec, exec, s[6:7]
	s_mov_b32 s0, 0
	s_cmp_lg_u32 s67, 0
	v_or_b32_e32 v55, v57, v53
	v_lshrrev_b32_e32 v1, 5, v0
	v_cmp_gt_u32_e32 vcc, 64, v0
	s_waitcnt lgkmcnt(0)
	s_barrier
	s_cbranch_scc0 .LBB940_176
; %bb.138:
	s_mov_b32 s1, 1
	v_cmp_gt_u64_e64 s[6:7], s[0:1], v[12:13]
	v_cmp_gt_u64_e64 s[8:9], s[0:1], v[14:15]
	v_cmp_gt_u64_e64 s[10:11], s[0:1], v[16:17]
	v_cndmask_b32_e64 v2, 0, v10, s[6:7]
	v_add_u32_e32 v2, v2, v12
	v_cndmask_b32_e64 v2, 0, v2, s[8:9]
	v_add_u32_e32 v2, v2, v14
	v_cndmask_b32_e64 v2, 0, v2, s[10:11]
	v_add_u32_e32 v2, v2, v16
	v_cmp_gt_u64_e64 s[12:13], s[0:1], v[18:19]
	v_cmp_gt_u64_e64 s[14:15], s[0:1], v[20:21]
	v_cmp_gt_u64_e64 s[16:17], s[0:1], v[22:23]
	v_cndmask_b32_e64 v2, 0, v2, s[12:13]
	v_add_u32_e32 v2, v2, v18
	v_cndmask_b32_e64 v2, 0, v2, s[14:15]
	v_add_u32_e32 v2, v2, v20
	v_cndmask_b32_e64 v2, 0, v2, s[16:17]
	v_add_u32_e32 v2, v2, v22
	;; [unrolled: 9-line block ×7, first 2 shown]
	v_cmp_gt_u64_e64 s[50:51], s[0:1], v[56:57]
	s_nop 1
	v_cndmask_b32_e64 v2, 0, v2, s[50:51]
	v_add_u32_e32 v62, v2, v56
	v_or3_b32 v2, v55, v51, v49
	v_or3_b32 v2, v2, v47, v45
	;; [unrolled: 1-line block ×10, first 2 shown]
	v_and_b32_e32 v2, 1, v2
	v_cmp_eq_u32_e64 s[0:1], 1, v2
	v_add_lshl_u32 v2, v1, v0, 3
	s_nop 0
	v_cndmask_b32_e64 v63, v11, 1, s[0:1]
	ds_write_b32 v2, v62
	ds_write_b8 v2, v63 offset:4
	s_waitcnt lgkmcnt(0)
	s_barrier
	s_and_saveexec_b64 s[52:53], vcc
	s_cbranch_execz .LBB940_150
; %bb.139:
	v_lshrrev_b32_e32 v2, 3, v0
	v_add_lshl_u32 v4, v2, v54, 3
	ds_read2_b32 v[6:7], v4 offset0:2 offset1:4
	ds_read_b64 v[2:3], v4
	ds_read_u8 v8, v4 offset:12
	ds_read_u8 v9, v4 offset:20
	ds_read_b32 v58, v4 offset:24
	ds_read_u8 v59, v4 offset:28
	v_mov_b32_e32 v60, 0
	s_waitcnt lgkmcnt(0)
	v_cmp_eq_u16_sdwa s[0:1], v8, v60 src0_sel:BYTE_0 src1_sel:DWORD
	v_and_b32_e32 v5, 1, v3
	s_nop 0
	v_cndmask_b32_e64 v61, 0, v2, s[0:1]
	v_add_u32_e32 v6, v61, v6
	v_cmp_eq_u16_sdwa s[0:1], v9, v60 src0_sel:BYTE_0 src1_sel:DWORD
	s_nop 1
	v_cndmask_b32_e64 v6, 0, v6, s[0:1]
	v_add_u32_e32 v6, v6, v7
	v_cmp_eq_u16_e64 s[0:1], 0, v59
	s_nop 1
	v_cndmask_b32_e64 v6, 0, v6, s[0:1]
	v_add_u32_e32 v7, v6, v58
	v_or_b32_e32 v6, v59, v9
	v_or_b32_e32 v6, v6, v8
	v_and_b32_e32 v6, 1, v6
	v_cmp_eq_u32_e64 s[0:1], 1, v6
	v_mbcnt_lo_u32_b32 v8, -1, 0
	v_and_b32_e32 v6, 0xffffff00, v3
	v_cndmask_b32_e64 v9, v5, 1, s[0:1]
	v_mbcnt_hi_u32_b32 v8, -1, v8
	v_and_b32_e32 v59, 15, v8
	v_or_b32_sdwa v58, v6, v9 dst_sel:DWORD dst_unused:UNUSED_PAD src0_sel:DWORD src1_sel:WORD_0
	v_mov_b32_dpp v60, v7 row_shr:1 row_mask:0xf bank_mask:0xf
	v_cmp_ne_u32_e64 s[0:1], 0, v59
	v_mov_b32_dpp v61, v58 row_shr:1 row_mask:0xf bank_mask:0xf
	s_and_saveexec_b64 s[56:57], s[0:1]
; %bb.140:
	v_and_b32_e32 v58, 1, v9
	v_and_b32_e32 v61, 1, v61
	v_cmp_eq_u32_e64 s[0:1], 1, v58
	s_nop 1
	v_cndmask_b32_e64 v61, v61, 1, s[0:1]
	v_cmp_eq_u16_e64 s[0:1], 0, v9
	v_or_b32_sdwa v58, v6, v61 dst_sel:DWORD dst_unused:UNUSED_PAD src0_sel:DWORD src1_sel:WORD_0
	s_nop 0
	v_cndmask_b32_e64 v9, 0, v60, s[0:1]
	v_add_u32_e32 v7, v9, v7
	v_mov_b32_e32 v9, v61
; %bb.141:
	s_or_b64 exec, exec, s[56:57]
	v_mov_b32_dpp v60, v7 row_shr:2 row_mask:0xf bank_mask:0xf
	v_mov_b32_dpp v61, v58 row_shr:2 row_mask:0xf bank_mask:0xf
	v_cmp_lt_u32_e64 s[0:1], 1, v59
	s_and_saveexec_b64 s[56:57], s[0:1]
; %bb.142:
	v_and_b32_e32 v58, 1, v9
	v_and_b32_e32 v61, 1, v61
	v_cmp_eq_u32_e64 s[0:1], 1, v58
	s_nop 1
	v_cndmask_b32_e64 v61, v61, 1, s[0:1]
	v_cmp_eq_u16_e64 s[0:1], 0, v9
	v_or_b32_sdwa v58, v6, v61 dst_sel:DWORD dst_unused:UNUSED_PAD src0_sel:DWORD src1_sel:WORD_0
	s_nop 0
	v_cndmask_b32_e64 v9, 0, v60, s[0:1]
	v_add_u32_e32 v7, v9, v7
	v_mov_b32_e32 v9, v61
; %bb.143:
	s_or_b64 exec, exec, s[56:57]
	v_mov_b32_dpp v60, v7 row_shr:4 row_mask:0xf bank_mask:0xf
	v_mov_b32_dpp v61, v58 row_shr:4 row_mask:0xf bank_mask:0xf
	v_cmp_lt_u32_e64 s[0:1], 3, v59
	;; [unrolled: 18-line block ×3, first 2 shown]
	s_and_saveexec_b64 s[56:57], s[0:1]
; %bb.146:
	v_and_b32_e32 v58, 1, v9
	v_and_b32_e32 v59, 1, v61
	v_cmp_eq_u32_e64 s[0:1], 1, v58
	s_nop 1
	v_cndmask_b32_e64 v59, v59, 1, s[0:1]
	v_cmp_eq_u16_e64 s[0:1], 0, v9
	v_or_b32_sdwa v58, v6, v59 dst_sel:DWORD dst_unused:UNUSED_PAD src0_sel:DWORD src1_sel:WORD_0
	s_nop 0
	v_cndmask_b32_e64 v9, 0, v60, s[0:1]
	v_add_u32_e32 v7, v9, v7
	v_mov_b32_e32 v9, v59
; %bb.147:
	s_or_b64 exec, exec, s[56:57]
	v_and_b32_e32 v61, 16, v8
	v_mov_b32_dpp v59, v7 row_bcast:15 row_mask:0xf bank_mask:0xf
	v_mov_b32_dpp v60, v58 row_bcast:15 row_mask:0xf bank_mask:0xf
	v_cmp_ne_u32_e64 s[0:1], 0, v61
	s_and_saveexec_b64 s[56:57], s[0:1]
; %bb.148:
	v_and_b32_e32 v58, 1, v9
	v_and_b32_e32 v60, 1, v60
	v_cmp_eq_u32_e64 s[0:1], 1, v58
	s_nop 1
	v_cndmask_b32_e64 v60, v60, 1, s[0:1]
	v_cmp_eq_u16_e64 s[0:1], 0, v9
	v_or_b32_sdwa v58, v6, v60 dst_sel:DWORD dst_unused:UNUSED_PAD src0_sel:DWORD src1_sel:WORD_0
	s_nop 0
	v_cndmask_b32_e64 v9, 0, v59, s[0:1]
	v_add_u32_e32 v7, v9, v7
	v_mov_b32_e32 v9, v60
; %bb.149:
	s_or_b64 exec, exec, s[56:57]
	v_mov_b32_dpp v58, v58 row_bcast:31 row_mask:0xf bank_mask:0xf
	v_and_b32_e32 v60, 1, v9
	v_and_b32_e32 v58, 1, v58
	v_cmp_eq_u32_e64 s[0:1], 1, v60
	v_mov_b32_e32 v60, 0
	v_cmp_eq_u16_sdwa s[56:57], v9, v60 src0_sel:BYTE_0 src1_sel:DWORD
	v_cndmask_b32_e64 v58, v58, 1, s[0:1]
	v_cmp_lt_u32_e64 s[0:1], 31, v8
	v_mov_b32_dpp v59, v7 row_bcast:31 row_mask:0xf bank_mask:0xf
	s_movk_i32 s62, 0xff
	v_cndmask_b32_e64 v9, v9, v58, s[0:1]
	s_and_b64 s[0:1], s[0:1], s[56:57]
	v_cndmask_b32_e64 v58, 0, v59, s[0:1]
	v_add_u32_e32 v7, v58, v7
	v_add_u32_e32 v58, -1, v8
	v_and_b32_e32 v59, 64, v8
	v_cmp_lt_i32_e64 s[0:1], v58, v59
	v_and_or_b32 v6, v9, s62, v6
	s_nop 0
	v_cndmask_b32_e64 v8, v58, v8, s[0:1]
	v_lshlrev_b32_e32 v8, 2, v8
	ds_bpermute_b32 v7, v8, v7
	ds_bpermute_b32 v6, v8, v6
	v_cmp_eq_u16_sdwa s[0:1], v3, v60 src0_sel:BYTE_0 src1_sel:DWORD
	; wave barrier
	s_waitcnt lgkmcnt(0)
	s_nop 0
	v_cndmask_b32_e64 v3, 0, v7, s[0:1]
	v_add_u32_e32 v2, v3, v2
	v_and_b32_e32 v3, 1, v6
	v_cmp_eq_u32_e64 s[0:1], 1, v5
	v_cndmask_b32_e64 v5, v2, v62, s[54:55]
	s_nop 0
	v_cndmask_b32_e64 v3, v3, 1, s[0:1]
	v_cndmask_b32_e64 v6, v3, v63, s[54:55]
	ds_write_b32 v4, v5
	ds_write_b8 v4, v6 offset:4
	; wave barrier
	ds_read_u8 v7, v4 offset:12
	ds_read2_b32 v[2:3], v4 offset0:2 offset1:4
	ds_read_u8 v8, v4 offset:20
	ds_read_b32 v9, v4 offset:24
	ds_read_u8 v58, v4 offset:28
	s_waitcnt lgkmcnt(0)
	v_cmp_eq_u16_e64 s[0:1], 0, v7
	s_nop 1
	v_cndmask_b32_e64 v5, 0, v5, s[0:1]
	v_add_u32_e32 v2, v5, v2
	v_and_b32_e32 v5, 1, v7
	v_cmp_eq_u32_e64 s[0:1], 1, v5
	s_nop 1
	v_cndmask_b32_e64 v5, v6, 1, s[0:1]
	v_cmp_eq_u16_e64 s[0:1], 0, v8
	ds_write_b8 v4, v5 offset:12
	s_nop 0
	v_cndmask_b32_e64 v6, 0, v2, s[0:1]
	v_add_u32_e32 v3, v6, v3
	v_and_b32_e32 v6, 1, v8
	v_cmp_eq_u32_e64 s[0:1], 1, v6
	s_nop 1
	v_cndmask_b32_e64 v5, v5, 1, s[0:1]
	v_cmp_eq_u16_e64 s[0:1], 0, v58
	ds_write2_b32 v4, v2, v3 offset0:2 offset1:4
	ds_write_b8 v4, v5 offset:20
	v_cndmask_b32_e64 v2, 0, v3, s[0:1]
	v_and_b32_e32 v3, 1, v58
	v_add_u32_e32 v2, v2, v9
	v_cmp_eq_u32_e64 s[0:1], 1, v3
	s_nop 1
	v_cndmask_b32_e64 v3, v5, 1, s[0:1]
	ds_write_b32 v4, v2 offset:24
	ds_write_b8 v4, v3 offset:28
.LBB940_150:
	s_or_b64 exec, exec, s[52:53]
	s_waitcnt lgkmcnt(0)
	s_barrier
	s_and_saveexec_b64 s[0:1], s[4:5]
	s_cbranch_execz .LBB940_152
; %bb.151:
	v_add_u32_e32 v2, -1, v0
	v_lshrrev_b32_e32 v3, 5, v2
	v_add_lshl_u32 v2, v3, v2, 3
	ds_read_b32 v62, v2
	ds_read_u8 v63, v2 offset:4
.LBB940_152:
	s_or_b64 exec, exec, s[0:1]
	s_and_saveexec_b64 s[56:57], vcc
	s_cbranch_execz .LBB940_175
; %bb.153:
	v_mov_b32_e32 v5, 0
	ds_read_b64 v[2:3], v5 offset:2096
	v_mbcnt_lo_u32_b32 v4, -1, 0
	v_mbcnt_hi_u32_b32 v73, -1, v4
	s_mov_b32 s63, 0
	v_cmp_eq_u32_e64 s[52:53], 0, v73
	s_waitcnt lgkmcnt(0)
	v_readfirstlane_b32 s76, v3
	s_and_saveexec_b64 s[0:1], s[52:53]
	s_cbranch_execz .LBB940_155
; %bb.154:
	s_add_i32 s62, s67, 64
	s_lshl_b64 s[74:75], s[62:63], 4
	s_add_u32 s74, s64, s74
	s_addc_u32 s75, s65, s75
	s_and_b32 s79, s76, 0xff000000
	s_mov_b32 s78, s63
	s_and_b32 s81, s76, 0xff0000
	s_mov_b32 s80, s63
	s_or_b64 s[78:79], s[80:81], s[78:79]
	s_and_b32 s81, s76, 0xff00
	s_or_b64 s[78:79], s[78:79], s[80:81]
	s_and_b32 s81, s76, 0xff
	s_or_b64 s[62:63], s[78:79], s[80:81]
	v_mov_b32_e32 v3, s63
	v_mov_b32_e32 v4, 1
	v_mov_b64_e32 v[6:7], s[74:75]
	;;#ASMSTART
	global_store_dwordx4 v[6:7], v[2:5] off sc1	
s_waitcnt vmcnt(0)
	;;#ASMEND
.LBB940_155:
	s_or_b64 exec, exec, s[0:1]
	v_xad_u32 v58, v73, -1, s67
	v_add_u32_e32 v4, 64, v58
	v_lshl_add_u64 v[60:61], v[4:5], 4, s[64:65]
	;;#ASMSTART
	global_load_dwordx4 v[6:9], v[60:61] off sc1	
s_waitcnt vmcnt(0)
	;;#ASMEND
	s_nop 0
	v_and_b32_e32 v3, 0xff0000, v6
	v_and_b32_e32 v4, 0xff000000, v6
	;; [unrolled: 1-line block ×3, first 2 shown]
	v_or_b32_sdwa v3, v6, v3 dst_sel:DWORD dst_unused:UNUSED_PAD src0_sel:WORD_0 src1_sel:DWORD
	v_or3_b32 v7, 0, 0, v7
	v_or3_b32 v6, v3, v4, 0
	v_cmp_eq_u16_sdwa s[62:63], v8, v5 src0_sel:BYTE_0 src1_sel:DWORD
	s_and_saveexec_b64 s[0:1], s[62:63]
	s_cbranch_execz .LBB940_161
; %bb.156:
	s_mov_b32 s74, 1
	s_mov_b64 s[62:63], 0
	v_mov_b32_e32 v3, 0
.LBB940_157:                            ; =>This Loop Header: Depth=1
                                        ;     Child Loop BB940_158 Depth 2
	s_max_u32 s75, s74, 1
.LBB940_158:                            ;   Parent Loop BB940_157 Depth=1
                                        ; =>  This Inner Loop Header: Depth=2
	s_add_i32 s75, s75, -1
	s_cmp_eq_u32 s75, 0
	s_sleep 1
	s_cbranch_scc0 .LBB940_158
; %bb.159:                              ;   in Loop: Header=BB940_157 Depth=1
	s_cmp_lt_u32 s74, 32
	s_cselect_b64 s[78:79], -1, 0
	s_cmp_lg_u64 s[78:79], 0
	s_addc_u32 s74, s74, 0
	;;#ASMSTART
	global_load_dwordx4 v[6:9], v[60:61] off sc1	
s_waitcnt vmcnt(0)
	;;#ASMEND
	s_nop 0
	v_cmp_ne_u16_sdwa s[78:79], v8, v3 src0_sel:BYTE_0 src1_sel:DWORD
	s_or_b64 s[62:63], s[78:79], s[62:63]
	s_andn2_b64 exec, exec, s[62:63]
	s_cbranch_execnz .LBB940_157
; %bb.160:
	s_or_b64 exec, exec, s[62:63]
	v_and_b32_e32 v7, 0xff, v7
.LBB940_161:
	s_or_b64 exec, exec, s[0:1]
	v_mov_b32_e32 v3, 2
	v_cmp_eq_u16_sdwa s[0:1], v8, v3 src0_sel:BYTE_0 src1_sel:DWORD
	v_lshlrev_b64 v[4:5], v73, -1
	v_and_b32_e32 v64, 63, v73
	v_and_b32_e32 v9, s1, v5
	v_or_b32_e32 v9, 0x80000000, v9
	v_and_b32_e32 v59, s0, v4
	v_ffbl_b32_e32 v9, v9
	v_add_u32_e32 v9, 32, v9
	v_ffbl_b32_e32 v59, v59
	v_cmp_ne_u32_e32 vcc, 63, v64
	v_min_u32_e32 v9, v59, v9
	s_mov_b32 s62, 0
	v_addc_co_u32_e32 v59, vcc, 0, v73, vcc
	v_lshlrev_b32_e32 v65, 2, v59
	ds_bpermute_b32 v59, v65, v7
	ds_bpermute_b32 v60, v65, v6
	v_and_b32_e32 v61, 1, v7
	s_mov_b32 s63, 1
	v_cmp_eq_u32_e32 vcc, 1, v61
	s_waitcnt lgkmcnt(0)
	v_and_b32_e32 v59, 1, v59
	v_cmp_lt_u32_e64 s[0:1], v64, v9
	v_cndmask_b32_e64 v59, v59, 1, vcc
	v_cmp_gt_u64_e32 vcc, s[62:63], v[6:7]
	s_and_b64 vcc, s[0:1], vcc
	v_and_b32_e32 v61, 0xffff, v59
	v_cndmask_b32_e64 v68, v7, v59, s[0:1]
	v_cndmask_b32_e32 v59, 0, v60, vcc
	v_cmp_gt_u32_e32 vcc, 62, v64
	v_cndmask_b32_e64 v7, v7, v61, s[0:1]
	v_add_u32_e32 v6, v59, v6
	v_cndmask_b32_e64 v60, 0, 1, vcc
	v_lshlrev_b32_e32 v60, 1, v60
	v_add_lshl_u32 v66, v60, v73, 2
	ds_bpermute_b32 v60, v66, v7
	ds_bpermute_b32 v61, v66, v6
	v_and_b32_e32 v59, 1, v68
	v_cmp_eq_u32_e32 vcc, 1, v59
	v_mov_b32_e32 v59, 0
	s_waitcnt lgkmcnt(0)
	v_and_b32_e32 v60, 1, v60
	v_add_u32_e32 v67, 2, v64
	v_cndmask_b32_e64 v60, v60, 1, vcc
	v_cmp_eq_u16_sdwa vcc, v68, v59 src0_sel:BYTE_0 src1_sel:DWORD
	v_and_b32_e32 v69, 0xffff, v60
	v_add_u32_e32 v77, 32, v64
	v_cndmask_b32_e32 v61, 0, v61, vcc
	v_cmp_gt_u32_e32 vcc, v67, v9
	s_nop 1
	v_cndmask_b32_e32 v60, v60, v68, vcc
	v_cndmask_b32_e64 v61, v61, 0, vcc
	v_cndmask_b32_e32 v7, v69, v7, vcc
	v_cmp_gt_u32_e32 vcc, 60, v64
	v_add_u32_e32 v6, v61, v6
	v_and_b32_e32 v71, 1, v60
	v_cndmask_b32_e64 v68, 0, 1, vcc
	v_lshlrev_b32_e32 v68, 2, v68
	v_add_lshl_u32 v68, v68, v73, 2
	s_waitcnt vmcnt(0)
	ds_bpermute_b32 v70, v68, v7
	ds_bpermute_b32 v61, v68, v6
	v_cmp_eq_u32_e32 vcc, 1, v71
	v_add_u32_e32 v69, 4, v64
	s_waitcnt lgkmcnt(1)
	v_and_b32_e32 v70, 1, v70
	v_cndmask_b32_e64 v70, v70, 1, vcc
	v_cmp_eq_u16_sdwa vcc, v60, v59 src0_sel:BYTE_0 src1_sel:DWORD
	v_and_b32_e32 v71, 0xffff, v70
	s_waitcnt lgkmcnt(0)
	v_cndmask_b32_e32 v61, 0, v61, vcc
	v_cmp_gt_u32_e32 vcc, v69, v9
	s_nop 1
	v_cndmask_b32_e32 v60, v70, v60, vcc
	v_cndmask_b32_e64 v61, v61, 0, vcc
	v_cndmask_b32_e32 v7, v71, v7, vcc
	v_cmp_gt_u32_e32 vcc, 56, v64
	v_add_u32_e32 v6, v61, v6
	v_and_b32_e32 v74, 1, v60
	v_cndmask_b32_e64 v70, 0, 1, vcc
	v_lshlrev_b32_e32 v70, 3, v70
	v_add_lshl_u32 v70, v70, v73, 2
	ds_bpermute_b32 v72, v70, v7
	ds_bpermute_b32 v61, v70, v6
	v_cmp_eq_u32_e32 vcc, 1, v74
	v_add_u32_e32 v71, 8, v64
	s_waitcnt lgkmcnt(1)
	v_and_b32_e32 v72, 1, v72
	v_cndmask_b32_e64 v72, v72, 1, vcc
	v_cmp_eq_u16_sdwa vcc, v60, v59 src0_sel:BYTE_0 src1_sel:DWORD
	v_and_b32_e32 v74, 0xffff, v72
	s_waitcnt lgkmcnt(0)
	v_cndmask_b32_e32 v61, 0, v61, vcc
	v_cmp_gt_u32_e32 vcc, v71, v9
	s_nop 1
	v_cndmask_b32_e32 v60, v72, v60, vcc
	v_cndmask_b32_e64 v61, v61, 0, vcc
	v_cndmask_b32_e32 v7, v74, v7, vcc
	v_cmp_gt_u32_e32 vcc, 48, v64
	v_add_u32_e32 v6, v61, v6
	v_and_b32_e32 v76, 1, v60
	v_cndmask_b32_e64 v72, 0, 1, vcc
	v_lshlrev_b32_e32 v72, 4, v72
	v_add_lshl_u32 v72, v72, v73, 2
	ds_bpermute_b32 v75, v72, v7
	ds_bpermute_b32 v61, v72, v6
	v_cmp_eq_u32_e32 vcc, 1, v76
	v_add_u32_e32 v74, 16, v64
	s_waitcnt lgkmcnt(1)
	v_and_b32_e32 v75, 1, v75
	v_cndmask_b32_e64 v75, v75, 1, vcc
	v_cmp_eq_u16_sdwa vcc, v60, v59 src0_sel:BYTE_0 src1_sel:DWORD
	v_and_b32_e32 v76, 0xffff, v75
	s_waitcnt lgkmcnt(0)
	v_cndmask_b32_e32 v61, 0, v61, vcc
	v_cmp_gt_u32_e32 vcc, v74, v9
	s_nop 1
	v_cndmask_b32_e32 v60, v75, v60, vcc
	v_cndmask_b32_e64 v61, v61, 0, vcc
	v_cndmask_b32_e32 v7, v76, v7, vcc
	v_cmp_gt_u32_e32 vcc, 32, v64
	v_add_u32_e32 v6, v61, v6
	s_nop 0
	v_cndmask_b32_e64 v75, 0, 1, vcc
	v_lshlrev_b32_e32 v75, 5, v75
	v_add_lshl_u32 v76, v75, v73, 2
	ds_bpermute_b32 v7, v76, v7
	ds_bpermute_b32 v61, v76, v6
	v_and_b32_e32 v73, 1, v60
	v_cmp_eq_u32_e32 vcc, 1, v73
	s_waitcnt lgkmcnt(1)
	v_and_b32_e32 v7, 1, v7
	v_cndmask_b32_e64 v7, v7, 1, vcc
	v_cmp_eq_u16_sdwa vcc, v60, v59 src0_sel:BYTE_0 src1_sel:DWORD
	s_waitcnt lgkmcnt(0)
	s_nop 0
	v_cndmask_b32_e32 v61, 0, v61, vcc
	v_cmp_gt_u32_e32 vcc, v77, v9
	s_nop 1
	v_cndmask_b32_e64 v9, v61, 0, vcc
	v_cndmask_b32_e32 v7, v7, v60, vcc
	v_add_u32_e32 v6, v9, v6
	s_branch .LBB940_163
.LBB940_162:                            ;   in Loop: Header=BB940_163 Depth=1
	s_or_b64 exec, exec, s[0:1]
	v_cmp_eq_u16_sdwa s[0:1], v8, v3 src0_sel:BYTE_0 src1_sel:DWORD
	ds_bpermute_b32 v61, v65, v7
	v_and_b32_e32 v78, 1, v7
	v_and_b32_e32 v9, s1, v5
	v_or_b32_e32 v9, 0x80000000, v9
	v_and_b32_e32 v60, s0, v4
	v_ffbl_b32_e32 v9, v9
	v_add_u32_e32 v9, 32, v9
	v_ffbl_b32_e32 v60, v60
	v_min_u32_e32 v9, v60, v9
	ds_bpermute_b32 v60, v65, v6
	s_waitcnt lgkmcnt(1)
	v_and_b32_e32 v61, 1, v61
	v_cmp_eq_u32_e32 vcc, 1, v78
	v_cmp_lt_u32_e64 s[0:1], v64, v9
	v_subrev_u32_e32 v58, 64, v58
	v_cndmask_b32_e64 v61, v61, 1, vcc
	v_cmp_gt_u64_e32 vcc, s[62:63], v[6:7]
	v_and_b32_e32 v78, 0xffff, v61
	v_cndmask_b32_e64 v61, v7, v61, s[0:1]
	v_cndmask_b32_e64 v7, v7, v78, s[0:1]
	s_and_b64 vcc, s[0:1], vcc
	ds_bpermute_b32 v78, v66, v7
	s_waitcnt lgkmcnt(1)
	v_cndmask_b32_e32 v60, 0, v60, vcc
	v_add_u32_e32 v6, v60, v6
	ds_bpermute_b32 v60, v66, v6
	v_and_b32_e32 v79, 1, v61
	s_waitcnt lgkmcnt(1)
	v_and_b32_e32 v78, 1, v78
	v_cmp_eq_u32_e32 vcc, 1, v79
	s_nop 1
	v_cndmask_b32_e64 v78, v78, 1, vcc
	v_cmp_eq_u16_sdwa vcc, v61, v59 src0_sel:BYTE_0 src1_sel:DWORD
	v_and_b32_e32 v79, 0xffff, v78
	s_waitcnt lgkmcnt(0)
	v_cndmask_b32_e32 v60, 0, v60, vcc
	v_cmp_gt_u32_e32 vcc, v67, v9
	s_nop 1
	v_cndmask_b32_e32 v7, v79, v7, vcc
	v_cndmask_b32_e32 v61, v78, v61, vcc
	ds_bpermute_b32 v78, v68, v7
	v_cndmask_b32_e64 v60, v60, 0, vcc
	v_add_u32_e32 v6, v60, v6
	ds_bpermute_b32 v60, v68, v6
	v_and_b32_e32 v79, 1, v61
	s_waitcnt lgkmcnt(1)
	v_and_b32_e32 v78, 1, v78
	v_cmp_eq_u32_e32 vcc, 1, v79
	s_nop 1
	v_cndmask_b32_e64 v78, v78, 1, vcc
	v_cmp_eq_u16_sdwa vcc, v61, v59 src0_sel:BYTE_0 src1_sel:DWORD
	v_and_b32_e32 v79, 0xffff, v78
	s_waitcnt lgkmcnt(0)
	v_cndmask_b32_e32 v60, 0, v60, vcc
	v_cmp_gt_u32_e32 vcc, v69, v9
	s_nop 1
	v_cndmask_b32_e32 v7, v79, v7, vcc
	v_cndmask_b32_e32 v61, v78, v61, vcc
	ds_bpermute_b32 v78, v70, v7
	v_cndmask_b32_e64 v60, v60, 0, vcc
	;; [unrolled: 18-line block ×3, first 2 shown]
	v_add_u32_e32 v6, v60, v6
	ds_bpermute_b32 v60, v72, v6
	v_and_b32_e32 v79, 1, v61
	s_waitcnt lgkmcnt(1)
	v_and_b32_e32 v78, 1, v78
	v_cmp_eq_u32_e32 vcc, 1, v79
	s_nop 1
	v_cndmask_b32_e64 v78, v78, 1, vcc
	v_cmp_eq_u16_sdwa vcc, v61, v59 src0_sel:BYTE_0 src1_sel:DWORD
	v_and_b32_e32 v79, 0xffff, v78
	s_waitcnt lgkmcnt(0)
	v_cndmask_b32_e32 v60, 0, v60, vcc
	v_cmp_gt_u32_e32 vcc, v74, v9
	s_nop 1
	v_cndmask_b32_e64 v60, v60, 0, vcc
	v_cndmask_b32_e32 v7, v79, v7, vcc
	ds_bpermute_b32 v7, v76, v7
	v_add_u32_e32 v6, v60, v6
	ds_bpermute_b32 v60, v76, v6
	v_cndmask_b32_e32 v61, v78, v61, vcc
	v_and_b32_e32 v78, 1, v61
	v_cmp_eq_u32_e32 vcc, 1, v78
	s_waitcnt lgkmcnt(1)
	s_nop 0
	v_cndmask_b32_e64 v7, v7, 1, vcc
	v_cmp_eq_u16_sdwa vcc, v61, v59 src0_sel:BYTE_0 src1_sel:DWORD
	s_waitcnt lgkmcnt(0)
	s_nop 0
	v_cndmask_b32_e32 v60, 0, v60, vcc
	v_cmp_gt_u32_e32 vcc, v77, v9
	s_nop 1
	v_cndmask_b32_e64 v9, v60, 0, vcc
	v_cndmask_b32_e32 v7, v7, v61, vcc
	v_add_u32_e32 v6, v9, v6
	v_cmp_eq_u16_sdwa vcc, v73, v59 src0_sel:BYTE_0 src1_sel:DWORD
	v_and_b32_e32 v9, 1, v73
	v_and_b32_e32 v7, 1, v7
	v_cndmask_b32_e32 v6, 0, v6, vcc
	v_cmp_eq_u32_e32 vcc, 1, v9
	v_add_u32_e32 v6, v6, v75
	s_nop 0
	v_cndmask_b32_e64 v7, v7, 1, vcc
.LBB940_163:                            ; =>This Loop Header: Depth=1
                                        ;     Child Loop BB940_166 Depth 2
                                        ;       Child Loop BB940_167 Depth 3
	v_cmp_ne_u16_sdwa s[0:1], v8, v3 src0_sel:BYTE_0 src1_sel:DWORD
	v_mov_b32_e32 v73, v7
	v_mov_b32_e32 v75, v6
	v_cndmask_b32_e64 v7, 0, 1, s[0:1]
	;;#ASMSTART
	;;#ASMEND
	s_nop 0
	v_cmp_ne_u32_e32 vcc, 0, v7
	s_cmp_lg_u64 vcc, exec
	s_cbranch_scc1 .LBB940_170
; %bb.164:                              ;   in Loop: Header=BB940_163 Depth=1
	v_lshl_add_u64 v[60:61], v[58:59], 4, s[64:65]
	;;#ASMSTART
	global_load_dwordx4 v[6:9], v[60:61] off sc1	
s_waitcnt vmcnt(0)
	;;#ASMEND
	s_nop 0
	v_and_b32_e32 v9, 0xff0000, v6
	v_and_b32_e32 v78, 0xff000000, v6
	;; [unrolled: 1-line block ×3, first 2 shown]
	v_or_b32_sdwa v6, v6, v9 dst_sel:DWORD dst_unused:UNUSED_PAD src0_sel:WORD_0 src1_sel:DWORD
	v_or3_b32 v7, 0, 0, v7
	v_or3_b32 v6, v6, v78, 0
	v_cmp_eq_u16_sdwa s[74:75], v8, v59 src0_sel:BYTE_0 src1_sel:DWORD
	s_and_saveexec_b64 s[0:1], s[74:75]
	s_cbranch_execz .LBB940_162
; %bb.165:                              ;   in Loop: Header=BB940_163 Depth=1
	s_mov_b32 s77, 1
	s_mov_b64 s[74:75], 0
.LBB940_166:                            ;   Parent Loop BB940_163 Depth=1
                                        ; =>  This Loop Header: Depth=2
                                        ;       Child Loop BB940_167 Depth 3
	s_max_u32 s78, s77, 1
.LBB940_167:                            ;   Parent Loop BB940_163 Depth=1
                                        ;     Parent Loop BB940_166 Depth=2
                                        ; =>    This Inner Loop Header: Depth=3
	s_add_i32 s78, s78, -1
	s_cmp_eq_u32 s78, 0
	s_sleep 1
	s_cbranch_scc0 .LBB940_167
; %bb.168:                              ;   in Loop: Header=BB940_166 Depth=2
	s_cmp_lt_u32 s77, 32
	s_cselect_b64 s[78:79], -1, 0
	s_cmp_lg_u64 s[78:79], 0
	s_addc_u32 s77, s77, 0
	;;#ASMSTART
	global_load_dwordx4 v[6:9], v[60:61] off sc1	
s_waitcnt vmcnt(0)
	;;#ASMEND
	s_nop 0
	v_cmp_ne_u16_sdwa s[78:79], v8, v59 src0_sel:BYTE_0 src1_sel:DWORD
	s_or_b64 s[74:75], s[78:79], s[74:75]
	s_andn2_b64 exec, exec, s[74:75]
	s_cbranch_execnz .LBB940_166
; %bb.169:                              ;   in Loop: Header=BB940_163 Depth=1
	s_or_b64 exec, exec, s[74:75]
	v_and_b32_e32 v7, 0xff, v7
	s_branch .LBB940_162
.LBB940_170:                            ;   in Loop: Header=BB940_163 Depth=1
                                        ; implicit-def: $vgpr7
                                        ; implicit-def: $vgpr6
                                        ; implicit-def: $vgpr8
	s_cbranch_execz .LBB940_163
; %bb.171:
	s_and_saveexec_b64 s[0:1], s[52:53]
	s_cbranch_execz .LBB940_173
; %bb.172:
	s_and_b32 s52, s76, 0xff
	s_cmp_eq_u32 s52, 0
	s_cselect_b64 vcc, -1, 0
	s_bitcmp1_b32 s76, 0
	s_mov_b32 s53, 0
	s_cselect_b64 s[62:63], -1, 0
	s_add_i32 s52, s67, 64
	s_lshl_b64 s[52:53], s[52:53], 4
	v_cndmask_b32_e32 v3, 0, v75, vcc
	s_add_u32 s52, s64, s52
	v_add_u32_e32 v2, v3, v2
	v_and_b32_e32 v3, 1, v73
	s_addc_u32 s53, s65, s53
	v_mov_b32_e32 v5, 0
	v_cndmask_b32_e64 v3, v3, 1, s[62:63]
	v_mov_b32_e32 v4, 2
	v_mov_b64_e32 v[6:7], s[52:53]
	;;#ASMSTART
	global_store_dwordx4 v[6:7], v[2:5] off sc1	
s_waitcnt vmcnt(0)
	;;#ASMEND
.LBB940_173:
	s_or_b64 exec, exec, s[0:1]
	s_and_b64 exec, exec, s[54:55]
	s_cbranch_execz .LBB940_175
; %bb.174:
	v_mov_b32_e32 v2, 0
	ds_write_b32 v2, v75
	ds_write_b8 v2, v73 offset:4
.LBB940_175:
	s_or_b64 exec, exec, s[56:57]
	s_mov_b32 s0, 0
	v_mov_b32_e32 v2, 0
	s_mov_b32 s1, 1
	s_waitcnt lgkmcnt(0)
	s_barrier
	ds_read_b32 v3, v2
	v_cmp_gt_u64_e32 vcc, s[0:1], v[10:11]
	v_and_b32_e32 v5, 1, v11
	v_and_b32_e32 v6, 1, v63
	v_cndmask_b32_e32 v4, 0, v62, vcc
	v_cmp_eq_u32_e32 vcc, 1, v5
	v_cndmask_b32_e64 v4, v4, 0, s[54:55]
	s_nop 0
	v_cndmask_b32_e64 v5, v6, 1, vcc
	v_cndmask_b32_e64 v5, v5, v11, s[54:55]
	v_cmp_eq_u16_sdwa vcc, v5, v2 src0_sel:BYTE_0 src1_sel:DWORD
	s_waitcnt lgkmcnt(0)
	s_nop 0
	v_cndmask_b32_e32 v2, 0, v3, vcc
	v_add3_u32 v80, v4, v10, v2
	v_cndmask_b32_e64 v2, 0, v80, s[6:7]
	v_add_u32_e32 v58, v2, v12
	v_cndmask_b32_e64 v2, 0, v58, s[8:9]
	v_add_u32_e32 v59, v2, v14
	;; [unrolled: 2-line block ×12, first 2 shown]
	v_cndmask_b32_e64 v2, 0, v69, s[30:31]
	s_waitcnt vmcnt(0)
	v_add_u32_e32 v70, v2, v36
	v_cndmask_b32_e64 v2, 0, v70, s[34:35]
	v_add_u32_e32 v71, v2, v38
	v_cndmask_b32_e64 v2, 0, v71, s[36:37]
	v_add_u32_e32 v72, v2, v40
	v_cndmask_b32_e64 v2, 0, v72, s[38:39]
	v_add_u32_e32 v73, v2, v42
	v_cndmask_b32_e64 v2, 0, v73, s[40:41]
	v_add_u32_e32 v74, v2, v44
	v_cndmask_b32_e64 v2, 0, v74, s[42:43]
	v_add_u32_e32 v75, v2, v46
	v_cndmask_b32_e64 v2, 0, v75, s[44:45]
	v_add_u32_e32 v76, v2, v48
	v_cndmask_b32_e64 v2, 0, v76, s[46:47]
	v_add_u32_e32 v77, v2, v50
	v_cndmask_b32_e64 v2, 0, v77, s[48:49]
	v_add_u32_e32 v78, v2, v52
	v_cndmask_b32_e64 v2, 0, v78, s[50:51]
	v_add_u32_e32 v79, v2, v56
	s_branch .LBB940_196
.LBB940_176:
                                        ; implicit-def: $vgpr78
                                        ; implicit-def: $vgpr77
                                        ; implicit-def: $vgpr76
                                        ; implicit-def: $vgpr75
                                        ; implicit-def: $vgpr74
                                        ; implicit-def: $vgpr73
                                        ; implicit-def: $vgpr72
                                        ; implicit-def: $vgpr71
                                        ; implicit-def: $vgpr70
                                        ; implicit-def: $vgpr69
                                        ; implicit-def: $vgpr68
                                        ; implicit-def: $vgpr67
                                        ; implicit-def: $vgpr66
                                        ; implicit-def: $vgpr65
                                        ; implicit-def: $vgpr64
                                        ; implicit-def: $vgpr63
                                        ; implicit-def: $vgpr62
                                        ; implicit-def: $vgpr61
                                        ; implicit-def: $vgpr60
                                        ; implicit-def: $vgpr59
                                        ; implicit-def: $vgpr58
                                        ; implicit-def: $vgpr80
                                        ; implicit-def: $vgpr79
	s_cbranch_execz .LBB940_196
; %bb.177:
	s_cmp_lg_u64 s[72:73], 0
	s_cselect_b32 s9, s59, 0
	s_cselect_b32 s8, s58, 0
	s_cmp_lg_u64 s[8:9], 0
	s_cselect_b64 s[6:7], -1, 0
	s_mov_b32 s0, 0
	s_and_b64 s[10:11], s[54:55], s[6:7]
	s_and_saveexec_b64 s[6:7], s[10:11]
	s_cbranch_execz .LBB940_179
; %bb.178:
	v_mov_b32_e32 v2, 0
	global_load_dword v4, v2, s[8:9]
	global_load_ubyte v5, v2, s[8:9] offset:4
	s_mov_b32 s1, 1
	v_and_b32_e32 v3, 1, v11
	v_cmp_gt_u64_e32 vcc, s[0:1], v[10:11]
	s_waitcnt vmcnt(0)
	v_and_b32_e32 v5, 1, v5
	v_cndmask_b32_e32 v4, 0, v4, vcc
	v_cmp_eq_u64_e32 vcc, 0, v[2:3]
	v_add_u32_e32 v10, v4, v10
	s_nop 0
	v_cndmask_b32_e32 v11, 1, v5, vcc
.LBB940_179:
	s_or_b64 exec, exec, s[6:7]
	s_mov_b32 s1, 1
	v_cmp_gt_u64_e32 vcc, s[0:1], v[12:13]
	v_cmp_gt_u64_e64 s[6:7], s[0:1], v[14:15]
	v_cmp_gt_u64_e64 s[8:9], s[0:1], v[16:17]
	v_cndmask_b32_e32 v2, 0, v10, vcc
	v_add_u32_e32 v58, v2, v12
	v_cndmask_b32_e64 v2, 0, v58, s[6:7]
	v_add_u32_e32 v59, v2, v14
	v_cndmask_b32_e64 v2, 0, v59, s[8:9]
	v_add_u32_e32 v60, v2, v16
	v_cmp_gt_u64_e64 s[10:11], s[0:1], v[18:19]
	v_cmp_gt_u64_e64 s[12:13], s[0:1], v[20:21]
	v_cmp_gt_u64_e64 s[14:15], s[0:1], v[22:23]
	v_cndmask_b32_e64 v2, 0, v60, s[10:11]
	v_add_u32_e32 v61, v2, v18
	v_cndmask_b32_e64 v2, 0, v61, s[12:13]
	v_add_u32_e32 v62, v2, v20
	v_cndmask_b32_e64 v2, 0, v62, s[14:15]
	v_add_u32_e32 v63, v2, v22
	v_cmp_gt_u64_e64 s[16:17], s[0:1], v[24:25]
	v_cmp_gt_u64_e64 s[18:19], s[0:1], v[26:27]
	v_cmp_gt_u64_e64 s[20:21], s[0:1], v[28:29]
	v_cndmask_b32_e64 v2, 0, v63, s[16:17]
	;; [unrolled: 9-line block ×4, first 2 shown]
	s_waitcnt vmcnt(0)
	v_add_u32_e32 v70, v2, v36
	v_cndmask_b32_e64 v2, 0, v70, s[30:31]
	v_add_u32_e32 v71, v2, v38
	v_cndmask_b32_e64 v2, 0, v71, s[34:35]
	v_add_u32_e32 v72, v2, v40
	v_cmp_gt_u64_e64 s[36:37], s[0:1], v[42:43]
	v_cmp_gt_u64_e64 s[38:39], s[0:1], v[44:45]
	v_cmp_gt_u64_e64 s[40:41], s[0:1], v[46:47]
	v_cndmask_b32_e64 v2, 0, v72, s[36:37]
	v_add_u32_e32 v73, v2, v42
	v_cndmask_b32_e64 v2, 0, v73, s[38:39]
	v_add_u32_e32 v74, v2, v44
	;; [unrolled: 2-line block ×3, first 2 shown]
	v_cmp_gt_u64_e64 s[42:43], s[0:1], v[48:49]
	v_cmp_gt_u64_e64 s[44:45], s[0:1], v[50:51]
	;; [unrolled: 1-line block ×3, first 2 shown]
	v_cndmask_b32_e64 v2, 0, v75, s[42:43]
	v_add_u32_e32 v76, v2, v48
	v_cndmask_b32_e64 v2, 0, v76, s[44:45]
	v_add_u32_e32 v77, v2, v50
	;; [unrolled: 2-line block ×3, first 2 shown]
	v_cmp_gt_u64_e64 s[48:49], s[0:1], v[56:57]
	v_add_lshl_u32 v1, v1, v0, 3
	s_nop 0
	v_cndmask_b32_e64 v2, 0, v78, s[48:49]
	v_add_u32_e32 v79, v2, v56
	v_or3_b32 v2, v55, v51, v49
	v_or3_b32 v2, v2, v47, v45
	;; [unrolled: 1-line block ×10, first 2 shown]
	v_and_b32_e32 v2, 1, v2
	v_cmp_eq_u32_e64 s[0:1], 1, v2
	s_nop 1
	v_cndmask_b32_e64 v4, v11, 1, s[0:1]
	v_cmp_gt_u32_e64 s[0:1], 64, v0
	ds_write_b32 v1, v79
	ds_write_b8 v1, v4 offset:4
	s_waitcnt lgkmcnt(0)
	s_barrier
	s_and_saveexec_b64 s[50:51], s[0:1]
	s_cbranch_execz .LBB940_191
; %bb.180:
	v_lshrrev_b32_e32 v1, 3, v0
	v_add_lshl_u32 v1, v1, v54, 3
	ds_read2_b32 v[6:7], v1 offset0:2 offset1:4
	ds_read_b64 v[2:3], v1
	ds_read_u8 v8, v1 offset:12
	ds_read_u8 v9, v1 offset:20
	ds_read_b32 v13, v1 offset:24
	ds_read_u8 v15, v1 offset:28
	v_mov_b32_e32 v17, 0
	s_waitcnt lgkmcnt(3)
	v_cmp_eq_u16_sdwa s[0:1], v8, v17 src0_sel:BYTE_0 src1_sel:DWORD
	v_and_b32_e32 v5, 1, v3
	s_nop 0
	v_cndmask_b32_e64 v19, 0, v2, s[0:1]
	v_add_u32_e32 v6, v19, v6
	s_waitcnt lgkmcnt(2)
	v_cmp_eq_u16_sdwa s[0:1], v9, v17 src0_sel:BYTE_0 src1_sel:DWORD
	s_nop 1
	v_cndmask_b32_e64 v6, 0, v6, s[0:1]
	v_add_u32_e32 v6, v6, v7
	s_waitcnt lgkmcnt(0)
	v_cmp_eq_u16_e64 s[0:1], 0, v15
	s_nop 1
	v_cndmask_b32_e64 v6, 0, v6, s[0:1]
	v_add_u32_e32 v7, v6, v13
	v_or_b32_e32 v6, v15, v9
	v_or_b32_e32 v6, v6, v8
	v_and_b32_e32 v6, 1, v6
	v_cmp_eq_u32_e64 s[0:1], 1, v6
	v_mbcnt_lo_u32_b32 v8, -1, 0
	v_and_b32_e32 v6, 0xffffff00, v3
	v_cndmask_b32_e64 v9, v5, 1, s[0:1]
	v_mbcnt_hi_u32_b32 v8, -1, v8
	v_and_b32_e32 v15, 15, v8
	v_or_b32_sdwa v13, v6, v9 dst_sel:DWORD dst_unused:UNUSED_PAD src0_sel:DWORD src1_sel:WORD_0
	v_mov_b32_dpp v17, v7 row_shr:1 row_mask:0xf bank_mask:0xf
	v_cmp_ne_u32_e64 s[0:1], 0, v15
	v_mov_b32_dpp v19, v13 row_shr:1 row_mask:0xf bank_mask:0xf
	s_and_saveexec_b64 s[52:53], s[0:1]
; %bb.181:
	v_and_b32_e32 v13, 1, v9
	v_and_b32_e32 v19, 1, v19
	v_cmp_eq_u32_e64 s[0:1], 1, v13
	s_nop 1
	v_cndmask_b32_e64 v19, v19, 1, s[0:1]
	v_cmp_eq_u16_e64 s[0:1], 0, v9
	v_or_b32_sdwa v13, v6, v19 dst_sel:DWORD dst_unused:UNUSED_PAD src0_sel:DWORD src1_sel:WORD_0
	s_nop 0
	v_cndmask_b32_e64 v9, 0, v17, s[0:1]
	v_add_u32_e32 v7, v9, v7
	v_mov_b32_e32 v9, v19
; %bb.182:
	s_or_b64 exec, exec, s[52:53]
	v_mov_b32_dpp v17, v7 row_shr:2 row_mask:0xf bank_mask:0xf
	v_mov_b32_dpp v19, v13 row_shr:2 row_mask:0xf bank_mask:0xf
	v_cmp_lt_u32_e64 s[0:1], 1, v15
	s_and_saveexec_b64 s[52:53], s[0:1]
; %bb.183:
	v_and_b32_e32 v13, 1, v9
	v_and_b32_e32 v19, 1, v19
	v_cmp_eq_u32_e64 s[0:1], 1, v13
	s_nop 1
	v_cndmask_b32_e64 v19, v19, 1, s[0:1]
	v_cmp_eq_u16_e64 s[0:1], 0, v9
	v_or_b32_sdwa v13, v6, v19 dst_sel:DWORD dst_unused:UNUSED_PAD src0_sel:DWORD src1_sel:WORD_0
	s_nop 0
	v_cndmask_b32_e64 v9, 0, v17, s[0:1]
	v_add_u32_e32 v7, v9, v7
	v_mov_b32_e32 v9, v19
; %bb.184:
	s_or_b64 exec, exec, s[52:53]
	v_mov_b32_dpp v17, v7 row_shr:4 row_mask:0xf bank_mask:0xf
	v_mov_b32_dpp v19, v13 row_shr:4 row_mask:0xf bank_mask:0xf
	v_cmp_lt_u32_e64 s[0:1], 3, v15
	;; [unrolled: 18-line block ×3, first 2 shown]
	s_and_saveexec_b64 s[52:53], s[0:1]
; %bb.187:
	v_and_b32_e32 v13, 1, v9
	v_and_b32_e32 v15, 1, v19
	v_cmp_eq_u32_e64 s[0:1], 1, v13
	s_nop 1
	v_cndmask_b32_e64 v15, v15, 1, s[0:1]
	v_cmp_eq_u16_e64 s[0:1], 0, v9
	v_or_b32_sdwa v13, v6, v15 dst_sel:DWORD dst_unused:UNUSED_PAD src0_sel:DWORD src1_sel:WORD_0
	s_nop 0
	v_cndmask_b32_e64 v9, 0, v17, s[0:1]
	v_add_u32_e32 v7, v9, v7
	v_mov_b32_e32 v9, v15
; %bb.188:
	s_or_b64 exec, exec, s[52:53]
	v_and_b32_e32 v19, 16, v8
	v_mov_b32_dpp v15, v7 row_bcast:15 row_mask:0xf bank_mask:0xf
	v_mov_b32_dpp v17, v13 row_bcast:15 row_mask:0xf bank_mask:0xf
	v_cmp_ne_u32_e64 s[0:1], 0, v19
	s_and_saveexec_b64 s[52:53], s[0:1]
; %bb.189:
	v_and_b32_e32 v13, 1, v9
	v_and_b32_e32 v17, 1, v17
	v_cmp_eq_u32_e64 s[0:1], 1, v13
	s_nop 1
	v_cndmask_b32_e64 v17, v17, 1, s[0:1]
	v_cmp_eq_u16_e64 s[0:1], 0, v9
	v_or_b32_sdwa v13, v6, v17 dst_sel:DWORD dst_unused:UNUSED_PAD src0_sel:DWORD src1_sel:WORD_0
	s_nop 0
	v_cndmask_b32_e64 v9, 0, v15, s[0:1]
	v_add_u32_e32 v7, v9, v7
	v_mov_b32_e32 v9, v17
; %bb.190:
	s_or_b64 exec, exec, s[52:53]
	v_mov_b32_dpp v13, v13 row_bcast:31 row_mask:0xf bank_mask:0xf
	v_and_b32_e32 v17, 1, v9
	v_and_b32_e32 v13, 1, v13
	v_cmp_eq_u32_e64 s[0:1], 1, v17
	v_mov_b32_e32 v17, 0
	v_cmp_eq_u16_sdwa s[52:53], v9, v17 src0_sel:BYTE_0 src1_sel:DWORD
	v_cndmask_b32_e64 v13, v13, 1, s[0:1]
	v_cmp_lt_u32_e64 s[0:1], 31, v8
	v_mov_b32_dpp v15, v7 row_bcast:31 row_mask:0xf bank_mask:0xf
	s_movk_i32 s56, 0xff
	v_cndmask_b32_e64 v9, v9, v13, s[0:1]
	s_and_b64 s[0:1], s[0:1], s[52:53]
	v_cndmask_b32_e64 v13, 0, v15, s[0:1]
	v_add_u32_e32 v7, v13, v7
	v_add_u32_e32 v13, -1, v8
	v_and_b32_e32 v15, 64, v8
	v_cmp_lt_i32_e64 s[0:1], v13, v15
	v_and_or_b32 v6, v9, s56, v6
	s_nop 0
	v_cndmask_b32_e64 v8, v13, v8, s[0:1]
	v_lshlrev_b32_e32 v8, 2, v8
	ds_bpermute_b32 v7, v8, v7
	ds_bpermute_b32 v6, v8, v6
	v_cmp_eq_u16_sdwa s[0:1], v3, v17 src0_sel:BYTE_0 src1_sel:DWORD
	; wave barrier
	s_waitcnt lgkmcnt(1)
	s_nop 0
	v_cndmask_b32_e64 v3, 0, v7, s[0:1]
	v_add_u32_e32 v2, v3, v2
	s_waitcnt lgkmcnt(0)
	v_and_b32_e32 v3, 1, v6
	v_cmp_eq_u32_e64 s[0:1], 1, v5
	v_cndmask_b32_e64 v5, v2, v79, s[54:55]
	s_nop 0
	v_cndmask_b32_e64 v3, v3, 1, s[0:1]
	v_cndmask_b32_e64 v4, v3, v4, s[54:55]
	ds_write_b32 v1, v5
	ds_write_b8 v1, v4 offset:4
	; wave barrier
	ds_read_u8 v6, v1 offset:12
	ds_read2_b32 v[2:3], v1 offset0:2 offset1:4
	ds_read_u8 v7, v1 offset:20
	ds_read_b32 v8, v1 offset:24
	ds_read_u8 v9, v1 offset:28
	s_waitcnt lgkmcnt(4)
	v_cmp_eq_u16_e64 s[0:1], 0, v6
	s_nop 1
	v_cndmask_b32_e64 v5, 0, v5, s[0:1]
	s_waitcnt lgkmcnt(3)
	v_add_u32_e32 v2, v5, v2
	v_and_b32_e32 v5, 1, v6
	v_cmp_eq_u32_e64 s[0:1], 1, v5
	s_nop 1
	v_cndmask_b32_e64 v4, v4, 1, s[0:1]
	s_waitcnt lgkmcnt(2)
	v_cmp_eq_u16_e64 s[0:1], 0, v7
	ds_write_b8 v1, v4 offset:12
	s_nop 0
	v_cndmask_b32_e64 v5, 0, v2, s[0:1]
	v_add_u32_e32 v3, v5, v3
	v_and_b32_e32 v5, 1, v7
	v_cmp_eq_u32_e64 s[0:1], 1, v5
	s_nop 1
	v_cndmask_b32_e64 v4, v4, 1, s[0:1]
	s_waitcnt lgkmcnt(1)
	v_cmp_eq_u16_e64 s[0:1], 0, v9
	ds_write2_b32 v1, v2, v3 offset0:2 offset1:4
	ds_write_b8 v1, v4 offset:20
	v_cndmask_b32_e64 v2, 0, v3, s[0:1]
	v_and_b32_e32 v3, 1, v9
	v_add_u32_e32 v2, v2, v8
	v_cmp_eq_u32_e64 s[0:1], 1, v3
	s_nop 1
	v_cndmask_b32_e64 v3, v4, 1, s[0:1]
	ds_write_b32 v1, v2 offset:24
	ds_write_b8 v1, v3 offset:28
.LBB940_191:
	s_or_b64 exec, exec, s[50:51]
	v_mov_b32_e32 v1, v79
	s_waitcnt lgkmcnt(0)
	s_barrier
	s_and_saveexec_b64 s[0:1], s[4:5]
	s_cbranch_execnz .LBB940_269
; %bb.192:
	s_or_b64 exec, exec, s[0:1]
	s_and_saveexec_b64 s[50:51], s[4:5]
	s_cbranch_execnz .LBB940_270
.LBB940_193:
	s_or_b64 exec, exec, s[50:51]
	s_and_saveexec_b64 s[0:1], s[54:55]
	s_cbranch_execz .LBB940_195
.LBB940_194:
	v_mov_b32_e32 v5, 0
	ds_read_b32 v2, v5 offset:2096
	ds_read_u8 v3, v5 offset:2100
	s_add_u32 s4, s64, 0x400
	s_addc_u32 s5, s65, 0
	v_mov_b32_e32 v4, 2
	v_mov_b64_e32 v[6:7], s[4:5]
	s_waitcnt lgkmcnt(0)
	;;#ASMSTART
	global_store_dwordx4 v[6:7], v[2:5] off sc1	
s_waitcnt vmcnt(0)
	;;#ASMEND
.LBB940_195:
	s_or_b64 exec, exec, s[0:1]
	v_mov_b32_e32 v80, v10
.LBB940_196:
	s_add_u32 s0, s68, s70
	s_addc_u32 s1, s69, s71
	s_add_u32 s0, s0, s60
	s_addc_u32 s1, s1, s61
	s_and_b64 vcc, exec, s[2:3]
	s_cbranch_vccz .LBB940_242
; %bb.197:
	s_movk_i32 s2, 0x5c
	v_mul_i32_i24_e32 v26, 0xffffffa8, v0
	s_waitcnt lgkmcnt(0)
	v_mul_u32_u24_e32 v1, 0x5c, v0
	v_mad_u32_u24 v2, v0, s2, v26
	s_barrier
	ds_write2_b32 v1, v80, v58 offset1:1
	ds_write2_b32 v1, v59, v60 offset0:2 offset1:3
	ds_write2_b32 v1, v61, v62 offset0:4 offset1:5
	;; [unrolled: 1-line block ×5, first 2 shown]
	s_waitcnt vmcnt(0)
	ds_write2_b32 v1, v69, v70 offset0:12 offset1:13
	ds_write2_b32 v1, v71, v72 offset0:14 offset1:15
	;; [unrolled: 1-line block ×5, first 2 shown]
	ds_write_b32 v1, v79 offset:88
	s_waitcnt lgkmcnt(0)
	s_barrier
	ds_read2st64_b32 v[24:25], v2 offset0:4 offset1:8
	ds_read2st64_b32 v[22:23], v2 offset0:12 offset1:16
	;; [unrolled: 1-line block ×11, first 2 shown]
	s_add_i32 s33, s33, s66
	v_mov_b32_e32 v55, 0
	v_lshl_add_u64 v[4:5], s[0:1], 0, v[54:55]
	v_cmp_gt_u32_e32 vcc, s33, v0
	s_and_saveexec_b64 s[2:3], vcc
	s_cbranch_execz .LBB940_199
; %bb.198:
	v_add_u32_e32 v1, v1, v26
	ds_read_b32 v1, v1
	s_waitcnt lgkmcnt(0)
	flat_store_dword v[4:5], v1
.LBB940_199:
	s_or_b64 exec, exec, s[2:3]
	v_or_b32_e32 v1, 0x100, v0
	v_cmp_gt_u32_e32 vcc, s33, v1
	s_and_saveexec_b64 s[2:3], vcc
	s_cbranch_execz .LBB940_201
; %bb.200:
	s_waitcnt lgkmcnt(0)
	flat_store_dword v[4:5], v24 offset:1024
.LBB940_201:
	s_or_b64 exec, exec, s[2:3]
	v_or_b32_e32 v1, 0x200, v0
	v_cmp_gt_u32_e32 vcc, s33, v1
	s_and_saveexec_b64 s[2:3], vcc
	s_cbranch_execz .LBB940_203
; %bb.202:
	s_waitcnt lgkmcnt(0)
	flat_store_dword v[4:5], v25 offset:2048
.LBB940_203:
	;; [unrolled: 9-line block ×3, first 2 shown]
	s_or_b64 exec, exec, s[2:3]
	v_or_b32_e32 v1, 0x400, v0
	v_cmp_gt_u32_e32 vcc, s33, v1
	s_and_saveexec_b64 s[2:3], vcc
	s_cbranch_execz .LBB940_207
; %bb.206:
	s_waitcnt lgkmcnt(0)
	v_add_co_u32_e32 v24, vcc, 0x1000, v4
	s_nop 1
	v_addc_co_u32_e32 v25, vcc, 0, v5, vcc
	flat_store_dword v[24:25], v23
.LBB940_207:
	s_or_b64 exec, exec, s[2:3]
	v_or_b32_e32 v1, 0x500, v0
	v_cmp_gt_u32_e32 vcc, s33, v1
	s_and_saveexec_b64 s[2:3], vcc
	s_cbranch_execz .LBB940_209
; %bb.208:
	s_waitcnt lgkmcnt(0)
	v_add_co_u32_e32 v22, vcc, 0x1000, v4
	s_nop 1
	v_addc_co_u32_e32 v23, vcc, 0, v5, vcc
	flat_store_dword v[22:23], v20 offset:1024
.LBB940_209:
	s_or_b64 exec, exec, s[2:3]
	v_or_b32_e32 v1, 0x600, v0
	v_cmp_gt_u32_e32 vcc, s33, v1
	s_and_saveexec_b64 s[2:3], vcc
	s_cbranch_execz .LBB940_211
; %bb.210:
	s_waitcnt lgkmcnt(0)
	v_add_co_u32_e32 v22, vcc, 0x1000, v4
	s_nop 1
	v_addc_co_u32_e32 v23, vcc, 0, v5, vcc
	flat_store_dword v[22:23], v21 offset:2048
.LBB940_211:
	s_or_b64 exec, exec, s[2:3]
	v_or_b32_e32 v1, 0x700, v0
	v_cmp_gt_u32_e32 vcc, s33, v1
	s_and_saveexec_b64 s[2:3], vcc
	s_cbranch_execz .LBB940_213
; %bb.212:
	s_waitcnt lgkmcnt(0)
	v_add_co_u32_e32 v20, vcc, 0x1000, v4
	s_nop 1
	v_addc_co_u32_e32 v21, vcc, 0, v5, vcc
	flat_store_dword v[20:21], v18 offset:3072
.LBB940_213:
	s_or_b64 exec, exec, s[2:3]
	v_or_b32_e32 v1, 0x800, v0
	v_cmp_gt_u32_e32 vcc, s33, v1
	s_and_saveexec_b64 s[2:3], vcc
	s_cbranch_execz .LBB940_215
; %bb.214:
	s_waitcnt lgkmcnt(0)
	v_add_co_u32_e32 v20, vcc, 0x2000, v4
	s_nop 1
	v_addc_co_u32_e32 v21, vcc, 0, v5, vcc
	flat_store_dword v[20:21], v19
.LBB940_215:
	s_or_b64 exec, exec, s[2:3]
	v_or_b32_e32 v1, 0x900, v0
	v_cmp_gt_u32_e32 vcc, s33, v1
	s_and_saveexec_b64 s[2:3], vcc
	s_cbranch_execz .LBB940_217
; %bb.216:
	s_waitcnt lgkmcnt(0)
	v_add_co_u32_e32 v18, vcc, 0x2000, v4
	s_nop 1
	v_addc_co_u32_e32 v19, vcc, 0, v5, vcc
	flat_store_dword v[18:19], v16 offset:1024
.LBB940_217:
	s_or_b64 exec, exec, s[2:3]
	v_or_b32_e32 v1, 0xa00, v0
	v_cmp_gt_u32_e32 vcc, s33, v1
	s_and_saveexec_b64 s[2:3], vcc
	s_cbranch_execz .LBB940_219
; %bb.218:
	s_waitcnt lgkmcnt(0)
	v_add_co_u32_e32 v18, vcc, 0x2000, v4
	s_nop 1
	v_addc_co_u32_e32 v19, vcc, 0, v5, vcc
	flat_store_dword v[18:19], v17 offset:2048
.LBB940_219:
	s_or_b64 exec, exec, s[2:3]
	v_or_b32_e32 v1, 0xb00, v0
	v_cmp_gt_u32_e32 vcc, s33, v1
	s_and_saveexec_b64 s[2:3], vcc
	s_cbranch_execz .LBB940_221
; %bb.220:
	s_waitcnt lgkmcnt(0)
	v_add_co_u32_e32 v16, vcc, 0x2000, v4
	s_nop 1
	v_addc_co_u32_e32 v17, vcc, 0, v5, vcc
	flat_store_dword v[16:17], v14 offset:3072
.LBB940_221:
	;; [unrolled: 48-line block ×4, first 2 shown]
	s_or_b64 exec, exec, s[2:3]
	v_or_b32_e32 v1, 0x1400, v0
	v_cmp_gt_u32_e32 vcc, s33, v1
	s_and_saveexec_b64 s[2:3], vcc
	s_cbranch_execz .LBB940_239
; %bb.238:
	s_waitcnt lgkmcnt(0)
	v_add_co_u32_e32 v8, vcc, 0x5000, v4
	s_nop 1
	v_addc_co_u32_e32 v9, vcc, 0, v5, vcc
	flat_store_dword v[8:9], v7
.LBB940_239:
	s_or_b64 exec, exec, s[2:3]
	v_or_b32_e32 v1, 0x1500, v0
	v_cmp_gt_u32_e32 vcc, s33, v1
	s_and_saveexec_b64 s[2:3], vcc
	s_cbranch_execz .LBB940_241
; %bb.240:
	v_add_co_u32_e32 v4, vcc, 0x5000, v4
	s_nop 1
	v_addc_co_u32_e32 v5, vcc, 0, v5, vcc
	s_waitcnt lgkmcnt(0)
	flat_store_dword v[4:5], v2 offset:1024
.LBB940_241:
	s_or_b64 exec, exec, s[2:3]
	s_waitcnt lgkmcnt(0)
	v_or_b32_e32 v2, 0x1600, v0
	v_mov_b32_e32 v1, v55
	v_cmp_gt_u32_e64 s[2:3], s33, v2
	s_branch .LBB940_244
.LBB940_242:
	s_mov_b64 s[2:3], 0
                                        ; implicit-def: $vgpr3
	s_cbranch_execz .LBB940_244
; %bb.243:
	s_waitcnt lgkmcnt(0)
	v_mul_u32_u24_e32 v1, 0x5c, v0
	s_barrier
	s_movk_i32 s4, 0x5c
	ds_write2_b32 v1, v80, v58 offset1:1
	ds_write2_b32 v1, v59, v60 offset0:2 offset1:3
	ds_write2_b32 v1, v61, v62 offset0:4 offset1:5
	;; [unrolled: 1-line block ×5, first 2 shown]
	s_waitcnt vmcnt(0)
	ds_write2_b32 v1, v69, v70 offset0:12 offset1:13
	ds_write2_b32 v1, v71, v72 offset0:14 offset1:15
	ds_write2_b32 v1, v73, v74 offset0:16 offset1:17
	ds_write2_b32 v1, v75, v76 offset0:18 offset1:19
	ds_write2_b32 v1, v77, v78 offset0:20 offset1:21
	ds_write_b32 v1, v79 offset:88
	v_mov_b32_e32 v1, 0
	v_mul_i32_i24_e32 v2, 0xffffffa8, v0
	v_mad_u32_u24 v2, v0, s4, v2
	v_mov_b32_e32 v55, v1
	s_waitcnt lgkmcnt(0)
	s_barrier
	ds_read2st64_b32 v[4:5], v2 offset1:4
	ds_read2st64_b32 v[6:7], v2 offset0:8 offset1:12
	ds_read2st64_b32 v[8:9], v2 offset0:16 offset1:20
	;; [unrolled: 1-line block ×10, first 2 shown]
	ds_read_b32 v3, v2 offset:22528
	v_lshl_add_u64 v[26:27], s[0:1], 0, v[54:55]
	s_movk_i32 s4, 0x1000
	s_waitcnt lgkmcnt(11)
	flat_store_dword v[26:27], v4
	flat_store_dword v[26:27], v5 offset:1024
	s_waitcnt lgkmcnt(0)
	flat_store_dword v[26:27], v6 offset:2048
	flat_store_dword v[26:27], v7 offset:3072
	v_add_co_u32_e32 v4, vcc, s4, v26
	s_movk_i32 s4, 0x2000
	s_nop 0
	v_addc_co_u32_e32 v5, vcc, 0, v27, vcc
	flat_store_dword v[4:5], v8
	flat_store_dword v[4:5], v9 offset:1024
	flat_store_dword v[4:5], v10 offset:2048
	;; [unrolled: 1-line block ×3, first 2 shown]
	v_add_co_u32_e32 v4, vcc, s4, v26
	s_movk_i32 s4, 0x3000
	s_nop 0
	v_addc_co_u32_e32 v5, vcc, 0, v27, vcc
	flat_store_dword v[4:5], v12
	flat_store_dword v[4:5], v13 offset:1024
	flat_store_dword v[4:5], v14 offset:2048
	;; [unrolled: 1-line block ×3, first 2 shown]
	v_add_co_u32_e32 v4, vcc, s4, v26
	s_or_b64 s[2:3], s[2:3], exec
	s_nop 0
	v_addc_co_u32_e32 v5, vcc, 0, v27, vcc
	flat_store_dword v[4:5], v16
	flat_store_dword v[4:5], v17 offset:1024
	flat_store_dword v[4:5], v18 offset:2048
	;; [unrolled: 1-line block ×3, first 2 shown]
	v_add_co_u32_e32 v4, vcc, 0x4000, v26
	s_nop 1
	v_addc_co_u32_e32 v5, vcc, 0, v27, vcc
	flat_store_dword v[4:5], v20
	flat_store_dword v[4:5], v21 offset:1024
	flat_store_dword v[4:5], v22 offset:2048
	;; [unrolled: 1-line block ×3, first 2 shown]
	v_add_co_u32_e32 v4, vcc, 0x5000, v26
	s_nop 1
	v_addc_co_u32_e32 v5, vcc, 0, v27, vcc
	flat_store_dword v[4:5], v24
	flat_store_dword v[4:5], v25 offset:1024
.LBB940_244:
	s_and_saveexec_b64 s[4:5], s[2:3]
	s_cbranch_execnz .LBB940_246
; %bb.245:
	s_endpgm
.LBB940_246:
	s_waitcnt lgkmcnt(0)
	v_lshl_add_u64 v[0:1], v[0:1], 2, s[0:1]
	v_add_co_u32_e32 v0, vcc, 0x5000, v0
	s_nop 1
	v_addc_co_u32_e32 v1, vcc, 0, v1, vcc
	flat_store_dword v[0:1], v3 offset:2048
	s_endpgm
.LBB940_247:
	global_load_dword v28, v27, s[74:75]
	s_waitcnt vmcnt(0)
	v_sub_u32_e32 v28, 0, v28
	s_or_b64 exec, exec, s[0:1]
                                        ; implicit-def: $vgpr29
	s_and_saveexec_b64 s[0:1], s[8:9]
	s_cbranch_execz .LBB940_59
.LBB940_248:
	global_load_dword v29, v27, s[74:75] offset:1024
	s_waitcnt vmcnt(0)
	v_sub_u32_e32 v29, 0, v29
	s_or_b64 exec, exec, s[0:1]
                                        ; implicit-def: $vgpr30
	s_and_saveexec_b64 s[0:1], s[10:11]
	s_cbranch_execz .LBB940_60
.LBB940_249:
	global_load_dword v30, v27, s[74:75] offset:2048
	s_waitcnt vmcnt(0)
	v_sub_u32_e32 v30, 0, v30
	s_or_b64 exec, exec, s[0:1]
                                        ; implicit-def: $vgpr31
	s_and_saveexec_b64 s[0:1], s[12:13]
	s_cbranch_execz .LBB940_61
.LBB940_250:
	global_load_dword v31, v27, s[74:75] offset:3072
	s_waitcnt vmcnt(0)
	v_sub_u32_e32 v31, 0, v31
	s_or_b64 exec, exec, s[0:1]
                                        ; implicit-def: $vgpr32
	s_and_saveexec_b64 s[0:1], s[14:15]
	s_cbranch_execz .LBB940_62
.LBB940_251:
	v_lshlrev_b32_e32 v2, 2, v2
	global_load_dword v2, v2, s[74:75]
	s_waitcnt vmcnt(0)
	v_sub_u32_e32 v32, 0, v2
	s_or_b64 exec, exec, s[0:1]
                                        ; implicit-def: $vgpr2
	s_and_saveexec_b64 s[0:1], s[16:17]
	s_cbranch_execz .LBB940_63
.LBB940_252:
	v_lshlrev_b32_e32 v2, 2, v3
	global_load_dword v2, v2, s[74:75]
	s_waitcnt vmcnt(0)
	v_sub_u32_e32 v2, 0, v2
	s_or_b64 exec, exec, s[0:1]
                                        ; implicit-def: $vgpr3
	s_and_saveexec_b64 s[0:1], s[18:19]
	s_cbranch_execz .LBB940_64
.LBB940_253:
	v_lshlrev_b32_e32 v3, 2, v10
	global_load_dword v3, v3, s[74:75]
	s_waitcnt vmcnt(0)
	v_sub_u32_e32 v3, 0, v3
	s_or_b64 exec, exec, s[0:1]
                                        ; implicit-def: $vgpr10
	s_and_saveexec_b64 s[0:1], s[20:21]
	s_cbranch_execz .LBB940_65
.LBB940_254:
	v_lshlrev_b32_e32 v10, 2, v11
	global_load_dword v10, v10, s[74:75]
	s_waitcnt vmcnt(0)
	v_sub_u32_e32 v10, 0, v10
	s_or_b64 exec, exec, s[0:1]
                                        ; implicit-def: $vgpr11
	s_and_saveexec_b64 s[0:1], s[22:23]
	s_cbranch_execz .LBB940_66
.LBB940_255:
	v_lshlrev_b32_e32 v11, 2, v12
	global_load_dword v11, v11, s[74:75]
	s_waitcnt vmcnt(0)
	v_sub_u32_e32 v11, 0, v11
	s_or_b64 exec, exec, s[0:1]
                                        ; implicit-def: $vgpr12
	s_and_saveexec_b64 s[0:1], s[24:25]
	s_cbranch_execz .LBB940_67
.LBB940_256:
	v_lshlrev_b32_e32 v12, 2, v13
	global_load_dword v12, v12, s[74:75]
	s_waitcnt vmcnt(0)
	v_sub_u32_e32 v12, 0, v12
	s_or_b64 exec, exec, s[0:1]
                                        ; implicit-def: $vgpr13
	s_and_saveexec_b64 s[0:1], s[26:27]
	s_cbranch_execz .LBB940_68
.LBB940_257:
	v_lshlrev_b32_e32 v13, 2, v14
	global_load_dword v13, v13, s[74:75]
	s_waitcnt vmcnt(0)
	v_sub_u32_e32 v13, 0, v13
	s_or_b64 exec, exec, s[0:1]
                                        ; implicit-def: $vgpr14
	s_and_saveexec_b64 s[0:1], s[28:29]
	s_cbranch_execz .LBB940_69
.LBB940_258:
	v_lshlrev_b32_e32 v14, 2, v15
	global_load_dword v14, v14, s[74:75]
	s_waitcnt vmcnt(0)
	v_sub_u32_e32 v14, 0, v14
	s_or_b64 exec, exec, s[0:1]
                                        ; implicit-def: $vgpr15
	s_and_saveexec_b64 s[0:1], s[30:31]
	s_cbranch_execz .LBB940_70
.LBB940_259:
	v_lshlrev_b32_e32 v15, 2, v16
	global_load_dword v15, v15, s[74:75]
	s_waitcnt vmcnt(0)
	v_sub_u32_e32 v15, 0, v15
	s_or_b64 exec, exec, s[0:1]
                                        ; implicit-def: $vgpr16
	s_and_saveexec_b64 s[0:1], s[34:35]
	s_cbranch_execz .LBB940_71
.LBB940_260:
	v_lshlrev_b32_e32 v16, 2, v17
	global_load_dword v16, v16, s[74:75]
	s_waitcnt vmcnt(0)
	v_sub_u32_e32 v16, 0, v16
	s_or_b64 exec, exec, s[0:1]
                                        ; implicit-def: $vgpr17
	s_and_saveexec_b64 s[0:1], s[36:37]
	s_cbranch_execz .LBB940_72
.LBB940_261:
	v_lshlrev_b32_e32 v17, 2, v18
	global_load_dword v17, v17, s[74:75]
	s_waitcnt vmcnt(0)
	v_sub_u32_e32 v17, 0, v17
	s_or_b64 exec, exec, s[0:1]
                                        ; implicit-def: $vgpr18
	s_and_saveexec_b64 s[0:1], s[38:39]
	s_cbranch_execz .LBB940_73
.LBB940_262:
	v_lshlrev_b32_e32 v18, 2, v19
	global_load_dword v18, v18, s[74:75]
	s_waitcnt vmcnt(0)
	v_sub_u32_e32 v18, 0, v18
	s_or_b64 exec, exec, s[0:1]
                                        ; implicit-def: $vgpr19
	s_and_saveexec_b64 s[0:1], s[40:41]
	s_cbranch_execz .LBB940_74
.LBB940_263:
	v_lshlrev_b32_e32 v19, 2, v20
	global_load_dword v19, v19, s[74:75]
	s_waitcnt vmcnt(0)
	v_sub_u32_e32 v19, 0, v19
	s_or_b64 exec, exec, s[0:1]
                                        ; implicit-def: $vgpr20
	s_and_saveexec_b64 s[0:1], s[42:43]
	s_cbranch_execz .LBB940_75
.LBB940_264:
	v_lshlrev_b32_e32 v20, 2, v21
	global_load_dword v20, v20, s[74:75]
	s_waitcnt vmcnt(0)
	v_sub_u32_e32 v20, 0, v20
	s_or_b64 exec, exec, s[0:1]
                                        ; implicit-def: $vgpr21
	s_and_saveexec_b64 s[0:1], s[44:45]
	s_cbranch_execz .LBB940_76
.LBB940_265:
	v_lshlrev_b32_e32 v21, 2, v22
	global_load_dword v21, v21, s[74:75]
	s_waitcnt vmcnt(0)
	v_sub_u32_e32 v21, 0, v21
	s_or_b64 exec, exec, s[0:1]
                                        ; implicit-def: $vgpr22
	s_and_saveexec_b64 s[0:1], s[46:47]
	s_cbranch_execz .LBB940_77
.LBB940_266:
	v_lshlrev_b32_e32 v22, 2, v23
	global_load_dword v22, v22, s[74:75]
	s_waitcnt vmcnt(0)
	v_sub_u32_e32 v22, 0, v22
	s_or_b64 exec, exec, s[0:1]
                                        ; implicit-def: $vgpr23
	s_and_saveexec_b64 s[0:1], s[48:49]
	s_cbranch_execz .LBB940_78
.LBB940_267:
	v_lshlrev_b32_e32 v23, 2, v24
	global_load_dword v23, v23, s[74:75]
	s_waitcnt vmcnt(0)
	v_sub_u32_e32 v23, 0, v23
	s_or_b64 exec, exec, s[0:1]
                                        ; implicit-def: $vgpr24
	s_and_saveexec_b64 s[0:1], s[50:51]
	s_cbranch_execz .LBB940_79
.LBB940_268:
	v_lshlrev_b32_e32 v24, 2, v25
	global_load_dword v24, v24, s[74:75]
	s_waitcnt vmcnt(0)
	v_sub_u32_e32 v24, 0, v24
	s_or_b64 exec, exec, s[0:1]
                                        ; implicit-def: $vgpr25
	s_and_saveexec_b64 s[0:1], s[52:53]
	s_cbranch_execnz .LBB940_80
	s_branch .LBB940_81
.LBB940_269:
	v_add_u32_e32 v1, -1, v0
	v_lshrrev_b32_e32 v2, 5, v1
	v_add_lshl_u32 v1, v2, v1, 3
	ds_read_b32 v1, v1
	s_or_b64 exec, exec, s[0:1]
	s_and_saveexec_b64 s[50:51], s[4:5]
	s_cbranch_execz .LBB940_193
.LBB940_270:
	v_and_b32_e32 v3, 0xff, v11
	v_mov_b32_e32 v2, 0
	v_cmp_eq_u64_e64 s[0:1], 0, v[2:3]
	;;#ASMSTART
	;;#ASMEND
	s_waitcnt lgkmcnt(0)
	s_nop 0
	v_cndmask_b32_e64 v1, 0, v1, s[0:1]
	v_add_u32_e32 v10, v1, v10
	v_cndmask_b32_e32 v1, 0, v10, vcc
	v_add_u32_e32 v58, v1, v12
	v_cndmask_b32_e64 v1, 0, v58, s[6:7]
	v_add_u32_e32 v59, v1, v14
	v_cndmask_b32_e64 v1, 0, v59, s[8:9]
	;; [unrolled: 2-line block ×21, first 2 shown]
	v_add_u32_e32 v79, v1, v56
	s_or_b64 exec, exec, s[50:51]
	s_and_saveexec_b64 s[0:1], s[54:55]
	s_cbranch_execnz .LBB940_194
	s_branch .LBB940_195
.LBB940_271:
                                        ; implicit-def: $sgpr0_sgpr1
	s_branch .LBB940_54
.LBB940_272:
                                        ; implicit-def: $sgpr0_sgpr1
	s_branch .LBB940_130
	.section	.rodata,"a",@progbits
	.p2align	6, 0x0
	.amdhsa_kernel _ZN7rocprim17ROCPRIM_400000_NS6detail17trampoline_kernelINS0_14default_configENS1_27scan_by_key_config_selectorIiiEEZZNS1_16scan_by_key_implILNS1_25lookback_scan_determinismE0ELb0ES3_N6thrust23THRUST_200600_302600_NS6detail15normal_iteratorINS9_10device_ptrIiEEEENS9_18transform_iteratorINS9_6negateIiEESE_NS9_11use_defaultESI_EESE_iNS9_4plusIvEENS9_8equal_toIvEEiEE10hipError_tPvRmT2_T3_T4_T5_mT6_T7_P12ihipStream_tbENKUlT_T0_E_clISt17integral_constantIbLb1EES14_EEDaSZ_S10_EUlSZ_E_NS1_11comp_targetILNS1_3genE5ELNS1_11target_archE942ELNS1_3gpuE9ELNS1_3repE0EEENS1_30default_config_static_selectorELNS0_4arch9wavefront6targetE1EEEvT1_
		.amdhsa_group_segment_fixed_size 25600
		.amdhsa_private_segment_fixed_size 0
		.amdhsa_kernarg_size 120
		.amdhsa_user_sgpr_count 2
		.amdhsa_user_sgpr_dispatch_ptr 0
		.amdhsa_user_sgpr_queue_ptr 0
		.amdhsa_user_sgpr_kernarg_segment_ptr 1
		.amdhsa_user_sgpr_dispatch_id 0
		.amdhsa_user_sgpr_kernarg_preload_length 0
		.amdhsa_user_sgpr_kernarg_preload_offset 0
		.amdhsa_user_sgpr_private_segment_size 0
		.amdhsa_uses_dynamic_stack 0
		.amdhsa_enable_private_segment 0
		.amdhsa_system_sgpr_workgroup_id_x 1
		.amdhsa_system_sgpr_workgroup_id_y 0
		.amdhsa_system_sgpr_workgroup_id_z 0
		.amdhsa_system_sgpr_workgroup_info 0
		.amdhsa_system_vgpr_workitem_id 0
		.amdhsa_next_free_vgpr 81
		.amdhsa_next_free_sgpr 85
		.amdhsa_accum_offset 84
		.amdhsa_reserve_vcc 1
		.amdhsa_float_round_mode_32 0
		.amdhsa_float_round_mode_16_64 0
		.amdhsa_float_denorm_mode_32 3
		.amdhsa_float_denorm_mode_16_64 3
		.amdhsa_dx10_clamp 1
		.amdhsa_ieee_mode 1
		.amdhsa_fp16_overflow 0
		.amdhsa_tg_split 0
		.amdhsa_exception_fp_ieee_invalid_op 0
		.amdhsa_exception_fp_denorm_src 0
		.amdhsa_exception_fp_ieee_div_zero 0
		.amdhsa_exception_fp_ieee_overflow 0
		.amdhsa_exception_fp_ieee_underflow 0
		.amdhsa_exception_fp_ieee_inexact 0
		.amdhsa_exception_int_div_zero 0
	.end_amdhsa_kernel
	.section	.text._ZN7rocprim17ROCPRIM_400000_NS6detail17trampoline_kernelINS0_14default_configENS1_27scan_by_key_config_selectorIiiEEZZNS1_16scan_by_key_implILNS1_25lookback_scan_determinismE0ELb0ES3_N6thrust23THRUST_200600_302600_NS6detail15normal_iteratorINS9_10device_ptrIiEEEENS9_18transform_iteratorINS9_6negateIiEESE_NS9_11use_defaultESI_EESE_iNS9_4plusIvEENS9_8equal_toIvEEiEE10hipError_tPvRmT2_T3_T4_T5_mT6_T7_P12ihipStream_tbENKUlT_T0_E_clISt17integral_constantIbLb1EES14_EEDaSZ_S10_EUlSZ_E_NS1_11comp_targetILNS1_3genE5ELNS1_11target_archE942ELNS1_3gpuE9ELNS1_3repE0EEENS1_30default_config_static_selectorELNS0_4arch9wavefront6targetE1EEEvT1_,"axG",@progbits,_ZN7rocprim17ROCPRIM_400000_NS6detail17trampoline_kernelINS0_14default_configENS1_27scan_by_key_config_selectorIiiEEZZNS1_16scan_by_key_implILNS1_25lookback_scan_determinismE0ELb0ES3_N6thrust23THRUST_200600_302600_NS6detail15normal_iteratorINS9_10device_ptrIiEEEENS9_18transform_iteratorINS9_6negateIiEESE_NS9_11use_defaultESI_EESE_iNS9_4plusIvEENS9_8equal_toIvEEiEE10hipError_tPvRmT2_T3_T4_T5_mT6_T7_P12ihipStream_tbENKUlT_T0_E_clISt17integral_constantIbLb1EES14_EEDaSZ_S10_EUlSZ_E_NS1_11comp_targetILNS1_3genE5ELNS1_11target_archE942ELNS1_3gpuE9ELNS1_3repE0EEENS1_30default_config_static_selectorELNS0_4arch9wavefront6targetE1EEEvT1_,comdat
.Lfunc_end940:
	.size	_ZN7rocprim17ROCPRIM_400000_NS6detail17trampoline_kernelINS0_14default_configENS1_27scan_by_key_config_selectorIiiEEZZNS1_16scan_by_key_implILNS1_25lookback_scan_determinismE0ELb0ES3_N6thrust23THRUST_200600_302600_NS6detail15normal_iteratorINS9_10device_ptrIiEEEENS9_18transform_iteratorINS9_6negateIiEESE_NS9_11use_defaultESI_EESE_iNS9_4plusIvEENS9_8equal_toIvEEiEE10hipError_tPvRmT2_T3_T4_T5_mT6_T7_P12ihipStream_tbENKUlT_T0_E_clISt17integral_constantIbLb1EES14_EEDaSZ_S10_EUlSZ_E_NS1_11comp_targetILNS1_3genE5ELNS1_11target_archE942ELNS1_3gpuE9ELNS1_3repE0EEENS1_30default_config_static_selectorELNS0_4arch9wavefront6targetE1EEEvT1_, .Lfunc_end940-_ZN7rocprim17ROCPRIM_400000_NS6detail17trampoline_kernelINS0_14default_configENS1_27scan_by_key_config_selectorIiiEEZZNS1_16scan_by_key_implILNS1_25lookback_scan_determinismE0ELb0ES3_N6thrust23THRUST_200600_302600_NS6detail15normal_iteratorINS9_10device_ptrIiEEEENS9_18transform_iteratorINS9_6negateIiEESE_NS9_11use_defaultESI_EESE_iNS9_4plusIvEENS9_8equal_toIvEEiEE10hipError_tPvRmT2_T3_T4_T5_mT6_T7_P12ihipStream_tbENKUlT_T0_E_clISt17integral_constantIbLb1EES14_EEDaSZ_S10_EUlSZ_E_NS1_11comp_targetILNS1_3genE5ELNS1_11target_archE942ELNS1_3gpuE9ELNS1_3repE0EEENS1_30default_config_static_selectorELNS0_4arch9wavefront6targetE1EEEvT1_
                                        ; -- End function
	.section	.AMDGPU.csdata,"",@progbits
; Kernel info:
; codeLenInByte = 15676
; NumSgprs: 91
; NumVgprs: 81
; NumAgprs: 0
; TotalNumVgprs: 81
; ScratchSize: 0
; MemoryBound: 0
; FloatMode: 240
; IeeeMode: 1
; LDSByteSize: 25600 bytes/workgroup (compile time only)
; SGPRBlocks: 11
; VGPRBlocks: 10
; NumSGPRsForWavesPerEU: 91
; NumVGPRsForWavesPerEU: 81
; AccumOffset: 84
; Occupancy: 2
; WaveLimiterHint : 1
; COMPUTE_PGM_RSRC2:SCRATCH_EN: 0
; COMPUTE_PGM_RSRC2:USER_SGPR: 2
; COMPUTE_PGM_RSRC2:TRAP_HANDLER: 0
; COMPUTE_PGM_RSRC2:TGID_X_EN: 1
; COMPUTE_PGM_RSRC2:TGID_Y_EN: 0
; COMPUTE_PGM_RSRC2:TGID_Z_EN: 0
; COMPUTE_PGM_RSRC2:TIDIG_COMP_CNT: 0
; COMPUTE_PGM_RSRC3_GFX90A:ACCUM_OFFSET: 20
; COMPUTE_PGM_RSRC3_GFX90A:TG_SPLIT: 0
	.section	.text._ZN7rocprim17ROCPRIM_400000_NS6detail17trampoline_kernelINS0_14default_configENS1_27scan_by_key_config_selectorIiiEEZZNS1_16scan_by_key_implILNS1_25lookback_scan_determinismE0ELb0ES3_N6thrust23THRUST_200600_302600_NS6detail15normal_iteratorINS9_10device_ptrIiEEEENS9_18transform_iteratorINS9_6negateIiEESE_NS9_11use_defaultESI_EESE_iNS9_4plusIvEENS9_8equal_toIvEEiEE10hipError_tPvRmT2_T3_T4_T5_mT6_T7_P12ihipStream_tbENKUlT_T0_E_clISt17integral_constantIbLb1EES14_EEDaSZ_S10_EUlSZ_E_NS1_11comp_targetILNS1_3genE4ELNS1_11target_archE910ELNS1_3gpuE8ELNS1_3repE0EEENS1_30default_config_static_selectorELNS0_4arch9wavefront6targetE1EEEvT1_,"axG",@progbits,_ZN7rocprim17ROCPRIM_400000_NS6detail17trampoline_kernelINS0_14default_configENS1_27scan_by_key_config_selectorIiiEEZZNS1_16scan_by_key_implILNS1_25lookback_scan_determinismE0ELb0ES3_N6thrust23THRUST_200600_302600_NS6detail15normal_iteratorINS9_10device_ptrIiEEEENS9_18transform_iteratorINS9_6negateIiEESE_NS9_11use_defaultESI_EESE_iNS9_4plusIvEENS9_8equal_toIvEEiEE10hipError_tPvRmT2_T3_T4_T5_mT6_T7_P12ihipStream_tbENKUlT_T0_E_clISt17integral_constantIbLb1EES14_EEDaSZ_S10_EUlSZ_E_NS1_11comp_targetILNS1_3genE4ELNS1_11target_archE910ELNS1_3gpuE8ELNS1_3repE0EEENS1_30default_config_static_selectorELNS0_4arch9wavefront6targetE1EEEvT1_,comdat
	.protected	_ZN7rocprim17ROCPRIM_400000_NS6detail17trampoline_kernelINS0_14default_configENS1_27scan_by_key_config_selectorIiiEEZZNS1_16scan_by_key_implILNS1_25lookback_scan_determinismE0ELb0ES3_N6thrust23THRUST_200600_302600_NS6detail15normal_iteratorINS9_10device_ptrIiEEEENS9_18transform_iteratorINS9_6negateIiEESE_NS9_11use_defaultESI_EESE_iNS9_4plusIvEENS9_8equal_toIvEEiEE10hipError_tPvRmT2_T3_T4_T5_mT6_T7_P12ihipStream_tbENKUlT_T0_E_clISt17integral_constantIbLb1EES14_EEDaSZ_S10_EUlSZ_E_NS1_11comp_targetILNS1_3genE4ELNS1_11target_archE910ELNS1_3gpuE8ELNS1_3repE0EEENS1_30default_config_static_selectorELNS0_4arch9wavefront6targetE1EEEvT1_ ; -- Begin function _ZN7rocprim17ROCPRIM_400000_NS6detail17trampoline_kernelINS0_14default_configENS1_27scan_by_key_config_selectorIiiEEZZNS1_16scan_by_key_implILNS1_25lookback_scan_determinismE0ELb0ES3_N6thrust23THRUST_200600_302600_NS6detail15normal_iteratorINS9_10device_ptrIiEEEENS9_18transform_iteratorINS9_6negateIiEESE_NS9_11use_defaultESI_EESE_iNS9_4plusIvEENS9_8equal_toIvEEiEE10hipError_tPvRmT2_T3_T4_T5_mT6_T7_P12ihipStream_tbENKUlT_T0_E_clISt17integral_constantIbLb1EES14_EEDaSZ_S10_EUlSZ_E_NS1_11comp_targetILNS1_3genE4ELNS1_11target_archE910ELNS1_3gpuE8ELNS1_3repE0EEENS1_30default_config_static_selectorELNS0_4arch9wavefront6targetE1EEEvT1_
	.globl	_ZN7rocprim17ROCPRIM_400000_NS6detail17trampoline_kernelINS0_14default_configENS1_27scan_by_key_config_selectorIiiEEZZNS1_16scan_by_key_implILNS1_25lookback_scan_determinismE0ELb0ES3_N6thrust23THRUST_200600_302600_NS6detail15normal_iteratorINS9_10device_ptrIiEEEENS9_18transform_iteratorINS9_6negateIiEESE_NS9_11use_defaultESI_EESE_iNS9_4plusIvEENS9_8equal_toIvEEiEE10hipError_tPvRmT2_T3_T4_T5_mT6_T7_P12ihipStream_tbENKUlT_T0_E_clISt17integral_constantIbLb1EES14_EEDaSZ_S10_EUlSZ_E_NS1_11comp_targetILNS1_3genE4ELNS1_11target_archE910ELNS1_3gpuE8ELNS1_3repE0EEENS1_30default_config_static_selectorELNS0_4arch9wavefront6targetE1EEEvT1_
	.p2align	8
	.type	_ZN7rocprim17ROCPRIM_400000_NS6detail17trampoline_kernelINS0_14default_configENS1_27scan_by_key_config_selectorIiiEEZZNS1_16scan_by_key_implILNS1_25lookback_scan_determinismE0ELb0ES3_N6thrust23THRUST_200600_302600_NS6detail15normal_iteratorINS9_10device_ptrIiEEEENS9_18transform_iteratorINS9_6negateIiEESE_NS9_11use_defaultESI_EESE_iNS9_4plusIvEENS9_8equal_toIvEEiEE10hipError_tPvRmT2_T3_T4_T5_mT6_T7_P12ihipStream_tbENKUlT_T0_E_clISt17integral_constantIbLb1EES14_EEDaSZ_S10_EUlSZ_E_NS1_11comp_targetILNS1_3genE4ELNS1_11target_archE910ELNS1_3gpuE8ELNS1_3repE0EEENS1_30default_config_static_selectorELNS0_4arch9wavefront6targetE1EEEvT1_,@function
_ZN7rocprim17ROCPRIM_400000_NS6detail17trampoline_kernelINS0_14default_configENS1_27scan_by_key_config_selectorIiiEEZZNS1_16scan_by_key_implILNS1_25lookback_scan_determinismE0ELb0ES3_N6thrust23THRUST_200600_302600_NS6detail15normal_iteratorINS9_10device_ptrIiEEEENS9_18transform_iteratorINS9_6negateIiEESE_NS9_11use_defaultESI_EESE_iNS9_4plusIvEENS9_8equal_toIvEEiEE10hipError_tPvRmT2_T3_T4_T5_mT6_T7_P12ihipStream_tbENKUlT_T0_E_clISt17integral_constantIbLb1EES14_EEDaSZ_S10_EUlSZ_E_NS1_11comp_targetILNS1_3genE4ELNS1_11target_archE910ELNS1_3gpuE8ELNS1_3repE0EEENS1_30default_config_static_selectorELNS0_4arch9wavefront6targetE1EEEvT1_: ; @_ZN7rocprim17ROCPRIM_400000_NS6detail17trampoline_kernelINS0_14default_configENS1_27scan_by_key_config_selectorIiiEEZZNS1_16scan_by_key_implILNS1_25lookback_scan_determinismE0ELb0ES3_N6thrust23THRUST_200600_302600_NS6detail15normal_iteratorINS9_10device_ptrIiEEEENS9_18transform_iteratorINS9_6negateIiEESE_NS9_11use_defaultESI_EESE_iNS9_4plusIvEENS9_8equal_toIvEEiEE10hipError_tPvRmT2_T3_T4_T5_mT6_T7_P12ihipStream_tbENKUlT_T0_E_clISt17integral_constantIbLb1EES14_EEDaSZ_S10_EUlSZ_E_NS1_11comp_targetILNS1_3genE4ELNS1_11target_archE910ELNS1_3gpuE8ELNS1_3repE0EEENS1_30default_config_static_selectorELNS0_4arch9wavefront6targetE1EEEvT1_
; %bb.0:
	.section	.rodata,"a",@progbits
	.p2align	6, 0x0
	.amdhsa_kernel _ZN7rocprim17ROCPRIM_400000_NS6detail17trampoline_kernelINS0_14default_configENS1_27scan_by_key_config_selectorIiiEEZZNS1_16scan_by_key_implILNS1_25lookback_scan_determinismE0ELb0ES3_N6thrust23THRUST_200600_302600_NS6detail15normal_iteratorINS9_10device_ptrIiEEEENS9_18transform_iteratorINS9_6negateIiEESE_NS9_11use_defaultESI_EESE_iNS9_4plusIvEENS9_8equal_toIvEEiEE10hipError_tPvRmT2_T3_T4_T5_mT6_T7_P12ihipStream_tbENKUlT_T0_E_clISt17integral_constantIbLb1EES14_EEDaSZ_S10_EUlSZ_E_NS1_11comp_targetILNS1_3genE4ELNS1_11target_archE910ELNS1_3gpuE8ELNS1_3repE0EEENS1_30default_config_static_selectorELNS0_4arch9wavefront6targetE1EEEvT1_
		.amdhsa_group_segment_fixed_size 0
		.amdhsa_private_segment_fixed_size 0
		.amdhsa_kernarg_size 120
		.amdhsa_user_sgpr_count 2
		.amdhsa_user_sgpr_dispatch_ptr 0
		.amdhsa_user_sgpr_queue_ptr 0
		.amdhsa_user_sgpr_kernarg_segment_ptr 1
		.amdhsa_user_sgpr_dispatch_id 0
		.amdhsa_user_sgpr_kernarg_preload_length 0
		.amdhsa_user_sgpr_kernarg_preload_offset 0
		.amdhsa_user_sgpr_private_segment_size 0
		.amdhsa_uses_dynamic_stack 0
		.amdhsa_enable_private_segment 0
		.amdhsa_system_sgpr_workgroup_id_x 1
		.amdhsa_system_sgpr_workgroup_id_y 0
		.amdhsa_system_sgpr_workgroup_id_z 0
		.amdhsa_system_sgpr_workgroup_info 0
		.amdhsa_system_vgpr_workitem_id 0
		.amdhsa_next_free_vgpr 1
		.amdhsa_next_free_sgpr 0
		.amdhsa_accum_offset 4
		.amdhsa_reserve_vcc 0
		.amdhsa_float_round_mode_32 0
		.amdhsa_float_round_mode_16_64 0
		.amdhsa_float_denorm_mode_32 3
		.amdhsa_float_denorm_mode_16_64 3
		.amdhsa_dx10_clamp 1
		.amdhsa_ieee_mode 1
		.amdhsa_fp16_overflow 0
		.amdhsa_tg_split 0
		.amdhsa_exception_fp_ieee_invalid_op 0
		.amdhsa_exception_fp_denorm_src 0
		.amdhsa_exception_fp_ieee_div_zero 0
		.amdhsa_exception_fp_ieee_overflow 0
		.amdhsa_exception_fp_ieee_underflow 0
		.amdhsa_exception_fp_ieee_inexact 0
		.amdhsa_exception_int_div_zero 0
	.end_amdhsa_kernel
	.section	.text._ZN7rocprim17ROCPRIM_400000_NS6detail17trampoline_kernelINS0_14default_configENS1_27scan_by_key_config_selectorIiiEEZZNS1_16scan_by_key_implILNS1_25lookback_scan_determinismE0ELb0ES3_N6thrust23THRUST_200600_302600_NS6detail15normal_iteratorINS9_10device_ptrIiEEEENS9_18transform_iteratorINS9_6negateIiEESE_NS9_11use_defaultESI_EESE_iNS9_4plusIvEENS9_8equal_toIvEEiEE10hipError_tPvRmT2_T3_T4_T5_mT6_T7_P12ihipStream_tbENKUlT_T0_E_clISt17integral_constantIbLb1EES14_EEDaSZ_S10_EUlSZ_E_NS1_11comp_targetILNS1_3genE4ELNS1_11target_archE910ELNS1_3gpuE8ELNS1_3repE0EEENS1_30default_config_static_selectorELNS0_4arch9wavefront6targetE1EEEvT1_,"axG",@progbits,_ZN7rocprim17ROCPRIM_400000_NS6detail17trampoline_kernelINS0_14default_configENS1_27scan_by_key_config_selectorIiiEEZZNS1_16scan_by_key_implILNS1_25lookback_scan_determinismE0ELb0ES3_N6thrust23THRUST_200600_302600_NS6detail15normal_iteratorINS9_10device_ptrIiEEEENS9_18transform_iteratorINS9_6negateIiEESE_NS9_11use_defaultESI_EESE_iNS9_4plusIvEENS9_8equal_toIvEEiEE10hipError_tPvRmT2_T3_T4_T5_mT6_T7_P12ihipStream_tbENKUlT_T0_E_clISt17integral_constantIbLb1EES14_EEDaSZ_S10_EUlSZ_E_NS1_11comp_targetILNS1_3genE4ELNS1_11target_archE910ELNS1_3gpuE8ELNS1_3repE0EEENS1_30default_config_static_selectorELNS0_4arch9wavefront6targetE1EEEvT1_,comdat
.Lfunc_end941:
	.size	_ZN7rocprim17ROCPRIM_400000_NS6detail17trampoline_kernelINS0_14default_configENS1_27scan_by_key_config_selectorIiiEEZZNS1_16scan_by_key_implILNS1_25lookback_scan_determinismE0ELb0ES3_N6thrust23THRUST_200600_302600_NS6detail15normal_iteratorINS9_10device_ptrIiEEEENS9_18transform_iteratorINS9_6negateIiEESE_NS9_11use_defaultESI_EESE_iNS9_4plusIvEENS9_8equal_toIvEEiEE10hipError_tPvRmT2_T3_T4_T5_mT6_T7_P12ihipStream_tbENKUlT_T0_E_clISt17integral_constantIbLb1EES14_EEDaSZ_S10_EUlSZ_E_NS1_11comp_targetILNS1_3genE4ELNS1_11target_archE910ELNS1_3gpuE8ELNS1_3repE0EEENS1_30default_config_static_selectorELNS0_4arch9wavefront6targetE1EEEvT1_, .Lfunc_end941-_ZN7rocprim17ROCPRIM_400000_NS6detail17trampoline_kernelINS0_14default_configENS1_27scan_by_key_config_selectorIiiEEZZNS1_16scan_by_key_implILNS1_25lookback_scan_determinismE0ELb0ES3_N6thrust23THRUST_200600_302600_NS6detail15normal_iteratorINS9_10device_ptrIiEEEENS9_18transform_iteratorINS9_6negateIiEESE_NS9_11use_defaultESI_EESE_iNS9_4plusIvEENS9_8equal_toIvEEiEE10hipError_tPvRmT2_T3_T4_T5_mT6_T7_P12ihipStream_tbENKUlT_T0_E_clISt17integral_constantIbLb1EES14_EEDaSZ_S10_EUlSZ_E_NS1_11comp_targetILNS1_3genE4ELNS1_11target_archE910ELNS1_3gpuE8ELNS1_3repE0EEENS1_30default_config_static_selectorELNS0_4arch9wavefront6targetE1EEEvT1_
                                        ; -- End function
	.section	.AMDGPU.csdata,"",@progbits
; Kernel info:
; codeLenInByte = 0
; NumSgprs: 6
; NumVgprs: 0
; NumAgprs: 0
; TotalNumVgprs: 0
; ScratchSize: 0
; MemoryBound: 0
; FloatMode: 240
; IeeeMode: 1
; LDSByteSize: 0 bytes/workgroup (compile time only)
; SGPRBlocks: 0
; VGPRBlocks: 0
; NumSGPRsForWavesPerEU: 6
; NumVGPRsForWavesPerEU: 1
; AccumOffset: 4
; Occupancy: 8
; WaveLimiterHint : 0
; COMPUTE_PGM_RSRC2:SCRATCH_EN: 0
; COMPUTE_PGM_RSRC2:USER_SGPR: 2
; COMPUTE_PGM_RSRC2:TRAP_HANDLER: 0
; COMPUTE_PGM_RSRC2:TGID_X_EN: 1
; COMPUTE_PGM_RSRC2:TGID_Y_EN: 0
; COMPUTE_PGM_RSRC2:TGID_Z_EN: 0
; COMPUTE_PGM_RSRC2:TIDIG_COMP_CNT: 0
; COMPUTE_PGM_RSRC3_GFX90A:ACCUM_OFFSET: 0
; COMPUTE_PGM_RSRC3_GFX90A:TG_SPLIT: 0
	.section	.text._ZN7rocprim17ROCPRIM_400000_NS6detail17trampoline_kernelINS0_14default_configENS1_27scan_by_key_config_selectorIiiEEZZNS1_16scan_by_key_implILNS1_25lookback_scan_determinismE0ELb0ES3_N6thrust23THRUST_200600_302600_NS6detail15normal_iteratorINS9_10device_ptrIiEEEENS9_18transform_iteratorINS9_6negateIiEESE_NS9_11use_defaultESI_EESE_iNS9_4plusIvEENS9_8equal_toIvEEiEE10hipError_tPvRmT2_T3_T4_T5_mT6_T7_P12ihipStream_tbENKUlT_T0_E_clISt17integral_constantIbLb1EES14_EEDaSZ_S10_EUlSZ_E_NS1_11comp_targetILNS1_3genE3ELNS1_11target_archE908ELNS1_3gpuE7ELNS1_3repE0EEENS1_30default_config_static_selectorELNS0_4arch9wavefront6targetE1EEEvT1_,"axG",@progbits,_ZN7rocprim17ROCPRIM_400000_NS6detail17trampoline_kernelINS0_14default_configENS1_27scan_by_key_config_selectorIiiEEZZNS1_16scan_by_key_implILNS1_25lookback_scan_determinismE0ELb0ES3_N6thrust23THRUST_200600_302600_NS6detail15normal_iteratorINS9_10device_ptrIiEEEENS9_18transform_iteratorINS9_6negateIiEESE_NS9_11use_defaultESI_EESE_iNS9_4plusIvEENS9_8equal_toIvEEiEE10hipError_tPvRmT2_T3_T4_T5_mT6_T7_P12ihipStream_tbENKUlT_T0_E_clISt17integral_constantIbLb1EES14_EEDaSZ_S10_EUlSZ_E_NS1_11comp_targetILNS1_3genE3ELNS1_11target_archE908ELNS1_3gpuE7ELNS1_3repE0EEENS1_30default_config_static_selectorELNS0_4arch9wavefront6targetE1EEEvT1_,comdat
	.protected	_ZN7rocprim17ROCPRIM_400000_NS6detail17trampoline_kernelINS0_14default_configENS1_27scan_by_key_config_selectorIiiEEZZNS1_16scan_by_key_implILNS1_25lookback_scan_determinismE0ELb0ES3_N6thrust23THRUST_200600_302600_NS6detail15normal_iteratorINS9_10device_ptrIiEEEENS9_18transform_iteratorINS9_6negateIiEESE_NS9_11use_defaultESI_EESE_iNS9_4plusIvEENS9_8equal_toIvEEiEE10hipError_tPvRmT2_T3_T4_T5_mT6_T7_P12ihipStream_tbENKUlT_T0_E_clISt17integral_constantIbLb1EES14_EEDaSZ_S10_EUlSZ_E_NS1_11comp_targetILNS1_3genE3ELNS1_11target_archE908ELNS1_3gpuE7ELNS1_3repE0EEENS1_30default_config_static_selectorELNS0_4arch9wavefront6targetE1EEEvT1_ ; -- Begin function _ZN7rocprim17ROCPRIM_400000_NS6detail17trampoline_kernelINS0_14default_configENS1_27scan_by_key_config_selectorIiiEEZZNS1_16scan_by_key_implILNS1_25lookback_scan_determinismE0ELb0ES3_N6thrust23THRUST_200600_302600_NS6detail15normal_iteratorINS9_10device_ptrIiEEEENS9_18transform_iteratorINS9_6negateIiEESE_NS9_11use_defaultESI_EESE_iNS9_4plusIvEENS9_8equal_toIvEEiEE10hipError_tPvRmT2_T3_T4_T5_mT6_T7_P12ihipStream_tbENKUlT_T0_E_clISt17integral_constantIbLb1EES14_EEDaSZ_S10_EUlSZ_E_NS1_11comp_targetILNS1_3genE3ELNS1_11target_archE908ELNS1_3gpuE7ELNS1_3repE0EEENS1_30default_config_static_selectorELNS0_4arch9wavefront6targetE1EEEvT1_
	.globl	_ZN7rocprim17ROCPRIM_400000_NS6detail17trampoline_kernelINS0_14default_configENS1_27scan_by_key_config_selectorIiiEEZZNS1_16scan_by_key_implILNS1_25lookback_scan_determinismE0ELb0ES3_N6thrust23THRUST_200600_302600_NS6detail15normal_iteratorINS9_10device_ptrIiEEEENS9_18transform_iteratorINS9_6negateIiEESE_NS9_11use_defaultESI_EESE_iNS9_4plusIvEENS9_8equal_toIvEEiEE10hipError_tPvRmT2_T3_T4_T5_mT6_T7_P12ihipStream_tbENKUlT_T0_E_clISt17integral_constantIbLb1EES14_EEDaSZ_S10_EUlSZ_E_NS1_11comp_targetILNS1_3genE3ELNS1_11target_archE908ELNS1_3gpuE7ELNS1_3repE0EEENS1_30default_config_static_selectorELNS0_4arch9wavefront6targetE1EEEvT1_
	.p2align	8
	.type	_ZN7rocprim17ROCPRIM_400000_NS6detail17trampoline_kernelINS0_14default_configENS1_27scan_by_key_config_selectorIiiEEZZNS1_16scan_by_key_implILNS1_25lookback_scan_determinismE0ELb0ES3_N6thrust23THRUST_200600_302600_NS6detail15normal_iteratorINS9_10device_ptrIiEEEENS9_18transform_iteratorINS9_6negateIiEESE_NS9_11use_defaultESI_EESE_iNS9_4plusIvEENS9_8equal_toIvEEiEE10hipError_tPvRmT2_T3_T4_T5_mT6_T7_P12ihipStream_tbENKUlT_T0_E_clISt17integral_constantIbLb1EES14_EEDaSZ_S10_EUlSZ_E_NS1_11comp_targetILNS1_3genE3ELNS1_11target_archE908ELNS1_3gpuE7ELNS1_3repE0EEENS1_30default_config_static_selectorELNS0_4arch9wavefront6targetE1EEEvT1_,@function
_ZN7rocprim17ROCPRIM_400000_NS6detail17trampoline_kernelINS0_14default_configENS1_27scan_by_key_config_selectorIiiEEZZNS1_16scan_by_key_implILNS1_25lookback_scan_determinismE0ELb0ES3_N6thrust23THRUST_200600_302600_NS6detail15normal_iteratorINS9_10device_ptrIiEEEENS9_18transform_iteratorINS9_6negateIiEESE_NS9_11use_defaultESI_EESE_iNS9_4plusIvEENS9_8equal_toIvEEiEE10hipError_tPvRmT2_T3_T4_T5_mT6_T7_P12ihipStream_tbENKUlT_T0_E_clISt17integral_constantIbLb1EES14_EEDaSZ_S10_EUlSZ_E_NS1_11comp_targetILNS1_3genE3ELNS1_11target_archE908ELNS1_3gpuE7ELNS1_3repE0EEENS1_30default_config_static_selectorELNS0_4arch9wavefront6targetE1EEEvT1_: ; @_ZN7rocprim17ROCPRIM_400000_NS6detail17trampoline_kernelINS0_14default_configENS1_27scan_by_key_config_selectorIiiEEZZNS1_16scan_by_key_implILNS1_25lookback_scan_determinismE0ELb0ES3_N6thrust23THRUST_200600_302600_NS6detail15normal_iteratorINS9_10device_ptrIiEEEENS9_18transform_iteratorINS9_6negateIiEESE_NS9_11use_defaultESI_EESE_iNS9_4plusIvEENS9_8equal_toIvEEiEE10hipError_tPvRmT2_T3_T4_T5_mT6_T7_P12ihipStream_tbENKUlT_T0_E_clISt17integral_constantIbLb1EES14_EEDaSZ_S10_EUlSZ_E_NS1_11comp_targetILNS1_3genE3ELNS1_11target_archE908ELNS1_3gpuE7ELNS1_3repE0EEENS1_30default_config_static_selectorELNS0_4arch9wavefront6targetE1EEEvT1_
; %bb.0:
	.section	.rodata,"a",@progbits
	.p2align	6, 0x0
	.amdhsa_kernel _ZN7rocprim17ROCPRIM_400000_NS6detail17trampoline_kernelINS0_14default_configENS1_27scan_by_key_config_selectorIiiEEZZNS1_16scan_by_key_implILNS1_25lookback_scan_determinismE0ELb0ES3_N6thrust23THRUST_200600_302600_NS6detail15normal_iteratorINS9_10device_ptrIiEEEENS9_18transform_iteratorINS9_6negateIiEESE_NS9_11use_defaultESI_EESE_iNS9_4plusIvEENS9_8equal_toIvEEiEE10hipError_tPvRmT2_T3_T4_T5_mT6_T7_P12ihipStream_tbENKUlT_T0_E_clISt17integral_constantIbLb1EES14_EEDaSZ_S10_EUlSZ_E_NS1_11comp_targetILNS1_3genE3ELNS1_11target_archE908ELNS1_3gpuE7ELNS1_3repE0EEENS1_30default_config_static_selectorELNS0_4arch9wavefront6targetE1EEEvT1_
		.amdhsa_group_segment_fixed_size 0
		.amdhsa_private_segment_fixed_size 0
		.amdhsa_kernarg_size 120
		.amdhsa_user_sgpr_count 2
		.amdhsa_user_sgpr_dispatch_ptr 0
		.amdhsa_user_sgpr_queue_ptr 0
		.amdhsa_user_sgpr_kernarg_segment_ptr 1
		.amdhsa_user_sgpr_dispatch_id 0
		.amdhsa_user_sgpr_kernarg_preload_length 0
		.amdhsa_user_sgpr_kernarg_preload_offset 0
		.amdhsa_user_sgpr_private_segment_size 0
		.amdhsa_uses_dynamic_stack 0
		.amdhsa_enable_private_segment 0
		.amdhsa_system_sgpr_workgroup_id_x 1
		.amdhsa_system_sgpr_workgroup_id_y 0
		.amdhsa_system_sgpr_workgroup_id_z 0
		.amdhsa_system_sgpr_workgroup_info 0
		.amdhsa_system_vgpr_workitem_id 0
		.amdhsa_next_free_vgpr 1
		.amdhsa_next_free_sgpr 0
		.amdhsa_accum_offset 4
		.amdhsa_reserve_vcc 0
		.amdhsa_float_round_mode_32 0
		.amdhsa_float_round_mode_16_64 0
		.amdhsa_float_denorm_mode_32 3
		.amdhsa_float_denorm_mode_16_64 3
		.amdhsa_dx10_clamp 1
		.amdhsa_ieee_mode 1
		.amdhsa_fp16_overflow 0
		.amdhsa_tg_split 0
		.amdhsa_exception_fp_ieee_invalid_op 0
		.amdhsa_exception_fp_denorm_src 0
		.amdhsa_exception_fp_ieee_div_zero 0
		.amdhsa_exception_fp_ieee_overflow 0
		.amdhsa_exception_fp_ieee_underflow 0
		.amdhsa_exception_fp_ieee_inexact 0
		.amdhsa_exception_int_div_zero 0
	.end_amdhsa_kernel
	.section	.text._ZN7rocprim17ROCPRIM_400000_NS6detail17trampoline_kernelINS0_14default_configENS1_27scan_by_key_config_selectorIiiEEZZNS1_16scan_by_key_implILNS1_25lookback_scan_determinismE0ELb0ES3_N6thrust23THRUST_200600_302600_NS6detail15normal_iteratorINS9_10device_ptrIiEEEENS9_18transform_iteratorINS9_6negateIiEESE_NS9_11use_defaultESI_EESE_iNS9_4plusIvEENS9_8equal_toIvEEiEE10hipError_tPvRmT2_T3_T4_T5_mT6_T7_P12ihipStream_tbENKUlT_T0_E_clISt17integral_constantIbLb1EES14_EEDaSZ_S10_EUlSZ_E_NS1_11comp_targetILNS1_3genE3ELNS1_11target_archE908ELNS1_3gpuE7ELNS1_3repE0EEENS1_30default_config_static_selectorELNS0_4arch9wavefront6targetE1EEEvT1_,"axG",@progbits,_ZN7rocprim17ROCPRIM_400000_NS6detail17trampoline_kernelINS0_14default_configENS1_27scan_by_key_config_selectorIiiEEZZNS1_16scan_by_key_implILNS1_25lookback_scan_determinismE0ELb0ES3_N6thrust23THRUST_200600_302600_NS6detail15normal_iteratorINS9_10device_ptrIiEEEENS9_18transform_iteratorINS9_6negateIiEESE_NS9_11use_defaultESI_EESE_iNS9_4plusIvEENS9_8equal_toIvEEiEE10hipError_tPvRmT2_T3_T4_T5_mT6_T7_P12ihipStream_tbENKUlT_T0_E_clISt17integral_constantIbLb1EES14_EEDaSZ_S10_EUlSZ_E_NS1_11comp_targetILNS1_3genE3ELNS1_11target_archE908ELNS1_3gpuE7ELNS1_3repE0EEENS1_30default_config_static_selectorELNS0_4arch9wavefront6targetE1EEEvT1_,comdat
.Lfunc_end942:
	.size	_ZN7rocprim17ROCPRIM_400000_NS6detail17trampoline_kernelINS0_14default_configENS1_27scan_by_key_config_selectorIiiEEZZNS1_16scan_by_key_implILNS1_25lookback_scan_determinismE0ELb0ES3_N6thrust23THRUST_200600_302600_NS6detail15normal_iteratorINS9_10device_ptrIiEEEENS9_18transform_iteratorINS9_6negateIiEESE_NS9_11use_defaultESI_EESE_iNS9_4plusIvEENS9_8equal_toIvEEiEE10hipError_tPvRmT2_T3_T4_T5_mT6_T7_P12ihipStream_tbENKUlT_T0_E_clISt17integral_constantIbLb1EES14_EEDaSZ_S10_EUlSZ_E_NS1_11comp_targetILNS1_3genE3ELNS1_11target_archE908ELNS1_3gpuE7ELNS1_3repE0EEENS1_30default_config_static_selectorELNS0_4arch9wavefront6targetE1EEEvT1_, .Lfunc_end942-_ZN7rocprim17ROCPRIM_400000_NS6detail17trampoline_kernelINS0_14default_configENS1_27scan_by_key_config_selectorIiiEEZZNS1_16scan_by_key_implILNS1_25lookback_scan_determinismE0ELb0ES3_N6thrust23THRUST_200600_302600_NS6detail15normal_iteratorINS9_10device_ptrIiEEEENS9_18transform_iteratorINS9_6negateIiEESE_NS9_11use_defaultESI_EESE_iNS9_4plusIvEENS9_8equal_toIvEEiEE10hipError_tPvRmT2_T3_T4_T5_mT6_T7_P12ihipStream_tbENKUlT_T0_E_clISt17integral_constantIbLb1EES14_EEDaSZ_S10_EUlSZ_E_NS1_11comp_targetILNS1_3genE3ELNS1_11target_archE908ELNS1_3gpuE7ELNS1_3repE0EEENS1_30default_config_static_selectorELNS0_4arch9wavefront6targetE1EEEvT1_
                                        ; -- End function
	.section	.AMDGPU.csdata,"",@progbits
; Kernel info:
; codeLenInByte = 0
; NumSgprs: 6
; NumVgprs: 0
; NumAgprs: 0
; TotalNumVgprs: 0
; ScratchSize: 0
; MemoryBound: 0
; FloatMode: 240
; IeeeMode: 1
; LDSByteSize: 0 bytes/workgroup (compile time only)
; SGPRBlocks: 0
; VGPRBlocks: 0
; NumSGPRsForWavesPerEU: 6
; NumVGPRsForWavesPerEU: 1
; AccumOffset: 4
; Occupancy: 8
; WaveLimiterHint : 0
; COMPUTE_PGM_RSRC2:SCRATCH_EN: 0
; COMPUTE_PGM_RSRC2:USER_SGPR: 2
; COMPUTE_PGM_RSRC2:TRAP_HANDLER: 0
; COMPUTE_PGM_RSRC2:TGID_X_EN: 1
; COMPUTE_PGM_RSRC2:TGID_Y_EN: 0
; COMPUTE_PGM_RSRC2:TGID_Z_EN: 0
; COMPUTE_PGM_RSRC2:TIDIG_COMP_CNT: 0
; COMPUTE_PGM_RSRC3_GFX90A:ACCUM_OFFSET: 0
; COMPUTE_PGM_RSRC3_GFX90A:TG_SPLIT: 0
	.section	.text._ZN7rocprim17ROCPRIM_400000_NS6detail17trampoline_kernelINS0_14default_configENS1_27scan_by_key_config_selectorIiiEEZZNS1_16scan_by_key_implILNS1_25lookback_scan_determinismE0ELb0ES3_N6thrust23THRUST_200600_302600_NS6detail15normal_iteratorINS9_10device_ptrIiEEEENS9_18transform_iteratorINS9_6negateIiEESE_NS9_11use_defaultESI_EESE_iNS9_4plusIvEENS9_8equal_toIvEEiEE10hipError_tPvRmT2_T3_T4_T5_mT6_T7_P12ihipStream_tbENKUlT_T0_E_clISt17integral_constantIbLb1EES14_EEDaSZ_S10_EUlSZ_E_NS1_11comp_targetILNS1_3genE2ELNS1_11target_archE906ELNS1_3gpuE6ELNS1_3repE0EEENS1_30default_config_static_selectorELNS0_4arch9wavefront6targetE1EEEvT1_,"axG",@progbits,_ZN7rocprim17ROCPRIM_400000_NS6detail17trampoline_kernelINS0_14default_configENS1_27scan_by_key_config_selectorIiiEEZZNS1_16scan_by_key_implILNS1_25lookback_scan_determinismE0ELb0ES3_N6thrust23THRUST_200600_302600_NS6detail15normal_iteratorINS9_10device_ptrIiEEEENS9_18transform_iteratorINS9_6negateIiEESE_NS9_11use_defaultESI_EESE_iNS9_4plusIvEENS9_8equal_toIvEEiEE10hipError_tPvRmT2_T3_T4_T5_mT6_T7_P12ihipStream_tbENKUlT_T0_E_clISt17integral_constantIbLb1EES14_EEDaSZ_S10_EUlSZ_E_NS1_11comp_targetILNS1_3genE2ELNS1_11target_archE906ELNS1_3gpuE6ELNS1_3repE0EEENS1_30default_config_static_selectorELNS0_4arch9wavefront6targetE1EEEvT1_,comdat
	.protected	_ZN7rocprim17ROCPRIM_400000_NS6detail17trampoline_kernelINS0_14default_configENS1_27scan_by_key_config_selectorIiiEEZZNS1_16scan_by_key_implILNS1_25lookback_scan_determinismE0ELb0ES3_N6thrust23THRUST_200600_302600_NS6detail15normal_iteratorINS9_10device_ptrIiEEEENS9_18transform_iteratorINS9_6negateIiEESE_NS9_11use_defaultESI_EESE_iNS9_4plusIvEENS9_8equal_toIvEEiEE10hipError_tPvRmT2_T3_T4_T5_mT6_T7_P12ihipStream_tbENKUlT_T0_E_clISt17integral_constantIbLb1EES14_EEDaSZ_S10_EUlSZ_E_NS1_11comp_targetILNS1_3genE2ELNS1_11target_archE906ELNS1_3gpuE6ELNS1_3repE0EEENS1_30default_config_static_selectorELNS0_4arch9wavefront6targetE1EEEvT1_ ; -- Begin function _ZN7rocprim17ROCPRIM_400000_NS6detail17trampoline_kernelINS0_14default_configENS1_27scan_by_key_config_selectorIiiEEZZNS1_16scan_by_key_implILNS1_25lookback_scan_determinismE0ELb0ES3_N6thrust23THRUST_200600_302600_NS6detail15normal_iteratorINS9_10device_ptrIiEEEENS9_18transform_iteratorINS9_6negateIiEESE_NS9_11use_defaultESI_EESE_iNS9_4plusIvEENS9_8equal_toIvEEiEE10hipError_tPvRmT2_T3_T4_T5_mT6_T7_P12ihipStream_tbENKUlT_T0_E_clISt17integral_constantIbLb1EES14_EEDaSZ_S10_EUlSZ_E_NS1_11comp_targetILNS1_3genE2ELNS1_11target_archE906ELNS1_3gpuE6ELNS1_3repE0EEENS1_30default_config_static_selectorELNS0_4arch9wavefront6targetE1EEEvT1_
	.globl	_ZN7rocprim17ROCPRIM_400000_NS6detail17trampoline_kernelINS0_14default_configENS1_27scan_by_key_config_selectorIiiEEZZNS1_16scan_by_key_implILNS1_25lookback_scan_determinismE0ELb0ES3_N6thrust23THRUST_200600_302600_NS6detail15normal_iteratorINS9_10device_ptrIiEEEENS9_18transform_iteratorINS9_6negateIiEESE_NS9_11use_defaultESI_EESE_iNS9_4plusIvEENS9_8equal_toIvEEiEE10hipError_tPvRmT2_T3_T4_T5_mT6_T7_P12ihipStream_tbENKUlT_T0_E_clISt17integral_constantIbLb1EES14_EEDaSZ_S10_EUlSZ_E_NS1_11comp_targetILNS1_3genE2ELNS1_11target_archE906ELNS1_3gpuE6ELNS1_3repE0EEENS1_30default_config_static_selectorELNS0_4arch9wavefront6targetE1EEEvT1_
	.p2align	8
	.type	_ZN7rocprim17ROCPRIM_400000_NS6detail17trampoline_kernelINS0_14default_configENS1_27scan_by_key_config_selectorIiiEEZZNS1_16scan_by_key_implILNS1_25lookback_scan_determinismE0ELb0ES3_N6thrust23THRUST_200600_302600_NS6detail15normal_iteratorINS9_10device_ptrIiEEEENS9_18transform_iteratorINS9_6negateIiEESE_NS9_11use_defaultESI_EESE_iNS9_4plusIvEENS9_8equal_toIvEEiEE10hipError_tPvRmT2_T3_T4_T5_mT6_T7_P12ihipStream_tbENKUlT_T0_E_clISt17integral_constantIbLb1EES14_EEDaSZ_S10_EUlSZ_E_NS1_11comp_targetILNS1_3genE2ELNS1_11target_archE906ELNS1_3gpuE6ELNS1_3repE0EEENS1_30default_config_static_selectorELNS0_4arch9wavefront6targetE1EEEvT1_,@function
_ZN7rocprim17ROCPRIM_400000_NS6detail17trampoline_kernelINS0_14default_configENS1_27scan_by_key_config_selectorIiiEEZZNS1_16scan_by_key_implILNS1_25lookback_scan_determinismE0ELb0ES3_N6thrust23THRUST_200600_302600_NS6detail15normal_iteratorINS9_10device_ptrIiEEEENS9_18transform_iteratorINS9_6negateIiEESE_NS9_11use_defaultESI_EESE_iNS9_4plusIvEENS9_8equal_toIvEEiEE10hipError_tPvRmT2_T3_T4_T5_mT6_T7_P12ihipStream_tbENKUlT_T0_E_clISt17integral_constantIbLb1EES14_EEDaSZ_S10_EUlSZ_E_NS1_11comp_targetILNS1_3genE2ELNS1_11target_archE906ELNS1_3gpuE6ELNS1_3repE0EEENS1_30default_config_static_selectorELNS0_4arch9wavefront6targetE1EEEvT1_: ; @_ZN7rocprim17ROCPRIM_400000_NS6detail17trampoline_kernelINS0_14default_configENS1_27scan_by_key_config_selectorIiiEEZZNS1_16scan_by_key_implILNS1_25lookback_scan_determinismE0ELb0ES3_N6thrust23THRUST_200600_302600_NS6detail15normal_iteratorINS9_10device_ptrIiEEEENS9_18transform_iteratorINS9_6negateIiEESE_NS9_11use_defaultESI_EESE_iNS9_4plusIvEENS9_8equal_toIvEEiEE10hipError_tPvRmT2_T3_T4_T5_mT6_T7_P12ihipStream_tbENKUlT_T0_E_clISt17integral_constantIbLb1EES14_EEDaSZ_S10_EUlSZ_E_NS1_11comp_targetILNS1_3genE2ELNS1_11target_archE906ELNS1_3gpuE6ELNS1_3repE0EEENS1_30default_config_static_selectorELNS0_4arch9wavefront6targetE1EEEvT1_
; %bb.0:
	.section	.rodata,"a",@progbits
	.p2align	6, 0x0
	.amdhsa_kernel _ZN7rocprim17ROCPRIM_400000_NS6detail17trampoline_kernelINS0_14default_configENS1_27scan_by_key_config_selectorIiiEEZZNS1_16scan_by_key_implILNS1_25lookback_scan_determinismE0ELb0ES3_N6thrust23THRUST_200600_302600_NS6detail15normal_iteratorINS9_10device_ptrIiEEEENS9_18transform_iteratorINS9_6negateIiEESE_NS9_11use_defaultESI_EESE_iNS9_4plusIvEENS9_8equal_toIvEEiEE10hipError_tPvRmT2_T3_T4_T5_mT6_T7_P12ihipStream_tbENKUlT_T0_E_clISt17integral_constantIbLb1EES14_EEDaSZ_S10_EUlSZ_E_NS1_11comp_targetILNS1_3genE2ELNS1_11target_archE906ELNS1_3gpuE6ELNS1_3repE0EEENS1_30default_config_static_selectorELNS0_4arch9wavefront6targetE1EEEvT1_
		.amdhsa_group_segment_fixed_size 0
		.amdhsa_private_segment_fixed_size 0
		.amdhsa_kernarg_size 120
		.amdhsa_user_sgpr_count 2
		.amdhsa_user_sgpr_dispatch_ptr 0
		.amdhsa_user_sgpr_queue_ptr 0
		.amdhsa_user_sgpr_kernarg_segment_ptr 1
		.amdhsa_user_sgpr_dispatch_id 0
		.amdhsa_user_sgpr_kernarg_preload_length 0
		.amdhsa_user_sgpr_kernarg_preload_offset 0
		.amdhsa_user_sgpr_private_segment_size 0
		.amdhsa_uses_dynamic_stack 0
		.amdhsa_enable_private_segment 0
		.amdhsa_system_sgpr_workgroup_id_x 1
		.amdhsa_system_sgpr_workgroup_id_y 0
		.amdhsa_system_sgpr_workgroup_id_z 0
		.amdhsa_system_sgpr_workgroup_info 0
		.amdhsa_system_vgpr_workitem_id 0
		.amdhsa_next_free_vgpr 1
		.amdhsa_next_free_sgpr 0
		.amdhsa_accum_offset 4
		.amdhsa_reserve_vcc 0
		.amdhsa_float_round_mode_32 0
		.amdhsa_float_round_mode_16_64 0
		.amdhsa_float_denorm_mode_32 3
		.amdhsa_float_denorm_mode_16_64 3
		.amdhsa_dx10_clamp 1
		.amdhsa_ieee_mode 1
		.amdhsa_fp16_overflow 0
		.amdhsa_tg_split 0
		.amdhsa_exception_fp_ieee_invalid_op 0
		.amdhsa_exception_fp_denorm_src 0
		.amdhsa_exception_fp_ieee_div_zero 0
		.amdhsa_exception_fp_ieee_overflow 0
		.amdhsa_exception_fp_ieee_underflow 0
		.amdhsa_exception_fp_ieee_inexact 0
		.amdhsa_exception_int_div_zero 0
	.end_amdhsa_kernel
	.section	.text._ZN7rocprim17ROCPRIM_400000_NS6detail17trampoline_kernelINS0_14default_configENS1_27scan_by_key_config_selectorIiiEEZZNS1_16scan_by_key_implILNS1_25lookback_scan_determinismE0ELb0ES3_N6thrust23THRUST_200600_302600_NS6detail15normal_iteratorINS9_10device_ptrIiEEEENS9_18transform_iteratorINS9_6negateIiEESE_NS9_11use_defaultESI_EESE_iNS9_4plusIvEENS9_8equal_toIvEEiEE10hipError_tPvRmT2_T3_T4_T5_mT6_T7_P12ihipStream_tbENKUlT_T0_E_clISt17integral_constantIbLb1EES14_EEDaSZ_S10_EUlSZ_E_NS1_11comp_targetILNS1_3genE2ELNS1_11target_archE906ELNS1_3gpuE6ELNS1_3repE0EEENS1_30default_config_static_selectorELNS0_4arch9wavefront6targetE1EEEvT1_,"axG",@progbits,_ZN7rocprim17ROCPRIM_400000_NS6detail17trampoline_kernelINS0_14default_configENS1_27scan_by_key_config_selectorIiiEEZZNS1_16scan_by_key_implILNS1_25lookback_scan_determinismE0ELb0ES3_N6thrust23THRUST_200600_302600_NS6detail15normal_iteratorINS9_10device_ptrIiEEEENS9_18transform_iteratorINS9_6negateIiEESE_NS9_11use_defaultESI_EESE_iNS9_4plusIvEENS9_8equal_toIvEEiEE10hipError_tPvRmT2_T3_T4_T5_mT6_T7_P12ihipStream_tbENKUlT_T0_E_clISt17integral_constantIbLb1EES14_EEDaSZ_S10_EUlSZ_E_NS1_11comp_targetILNS1_3genE2ELNS1_11target_archE906ELNS1_3gpuE6ELNS1_3repE0EEENS1_30default_config_static_selectorELNS0_4arch9wavefront6targetE1EEEvT1_,comdat
.Lfunc_end943:
	.size	_ZN7rocprim17ROCPRIM_400000_NS6detail17trampoline_kernelINS0_14default_configENS1_27scan_by_key_config_selectorIiiEEZZNS1_16scan_by_key_implILNS1_25lookback_scan_determinismE0ELb0ES3_N6thrust23THRUST_200600_302600_NS6detail15normal_iteratorINS9_10device_ptrIiEEEENS9_18transform_iteratorINS9_6negateIiEESE_NS9_11use_defaultESI_EESE_iNS9_4plusIvEENS9_8equal_toIvEEiEE10hipError_tPvRmT2_T3_T4_T5_mT6_T7_P12ihipStream_tbENKUlT_T0_E_clISt17integral_constantIbLb1EES14_EEDaSZ_S10_EUlSZ_E_NS1_11comp_targetILNS1_3genE2ELNS1_11target_archE906ELNS1_3gpuE6ELNS1_3repE0EEENS1_30default_config_static_selectorELNS0_4arch9wavefront6targetE1EEEvT1_, .Lfunc_end943-_ZN7rocprim17ROCPRIM_400000_NS6detail17trampoline_kernelINS0_14default_configENS1_27scan_by_key_config_selectorIiiEEZZNS1_16scan_by_key_implILNS1_25lookback_scan_determinismE0ELb0ES3_N6thrust23THRUST_200600_302600_NS6detail15normal_iteratorINS9_10device_ptrIiEEEENS9_18transform_iteratorINS9_6negateIiEESE_NS9_11use_defaultESI_EESE_iNS9_4plusIvEENS9_8equal_toIvEEiEE10hipError_tPvRmT2_T3_T4_T5_mT6_T7_P12ihipStream_tbENKUlT_T0_E_clISt17integral_constantIbLb1EES14_EEDaSZ_S10_EUlSZ_E_NS1_11comp_targetILNS1_3genE2ELNS1_11target_archE906ELNS1_3gpuE6ELNS1_3repE0EEENS1_30default_config_static_selectorELNS0_4arch9wavefront6targetE1EEEvT1_
                                        ; -- End function
	.section	.AMDGPU.csdata,"",@progbits
; Kernel info:
; codeLenInByte = 0
; NumSgprs: 6
; NumVgprs: 0
; NumAgprs: 0
; TotalNumVgprs: 0
; ScratchSize: 0
; MemoryBound: 0
; FloatMode: 240
; IeeeMode: 1
; LDSByteSize: 0 bytes/workgroup (compile time only)
; SGPRBlocks: 0
; VGPRBlocks: 0
; NumSGPRsForWavesPerEU: 6
; NumVGPRsForWavesPerEU: 1
; AccumOffset: 4
; Occupancy: 8
; WaveLimiterHint : 0
; COMPUTE_PGM_RSRC2:SCRATCH_EN: 0
; COMPUTE_PGM_RSRC2:USER_SGPR: 2
; COMPUTE_PGM_RSRC2:TRAP_HANDLER: 0
; COMPUTE_PGM_RSRC2:TGID_X_EN: 1
; COMPUTE_PGM_RSRC2:TGID_Y_EN: 0
; COMPUTE_PGM_RSRC2:TGID_Z_EN: 0
; COMPUTE_PGM_RSRC2:TIDIG_COMP_CNT: 0
; COMPUTE_PGM_RSRC3_GFX90A:ACCUM_OFFSET: 0
; COMPUTE_PGM_RSRC3_GFX90A:TG_SPLIT: 0
	.section	.text._ZN7rocprim17ROCPRIM_400000_NS6detail17trampoline_kernelINS0_14default_configENS1_27scan_by_key_config_selectorIiiEEZZNS1_16scan_by_key_implILNS1_25lookback_scan_determinismE0ELb0ES3_N6thrust23THRUST_200600_302600_NS6detail15normal_iteratorINS9_10device_ptrIiEEEENS9_18transform_iteratorINS9_6negateIiEESE_NS9_11use_defaultESI_EESE_iNS9_4plusIvEENS9_8equal_toIvEEiEE10hipError_tPvRmT2_T3_T4_T5_mT6_T7_P12ihipStream_tbENKUlT_T0_E_clISt17integral_constantIbLb1EES14_EEDaSZ_S10_EUlSZ_E_NS1_11comp_targetILNS1_3genE10ELNS1_11target_archE1200ELNS1_3gpuE4ELNS1_3repE0EEENS1_30default_config_static_selectorELNS0_4arch9wavefront6targetE1EEEvT1_,"axG",@progbits,_ZN7rocprim17ROCPRIM_400000_NS6detail17trampoline_kernelINS0_14default_configENS1_27scan_by_key_config_selectorIiiEEZZNS1_16scan_by_key_implILNS1_25lookback_scan_determinismE0ELb0ES3_N6thrust23THRUST_200600_302600_NS6detail15normal_iteratorINS9_10device_ptrIiEEEENS9_18transform_iteratorINS9_6negateIiEESE_NS9_11use_defaultESI_EESE_iNS9_4plusIvEENS9_8equal_toIvEEiEE10hipError_tPvRmT2_T3_T4_T5_mT6_T7_P12ihipStream_tbENKUlT_T0_E_clISt17integral_constantIbLb1EES14_EEDaSZ_S10_EUlSZ_E_NS1_11comp_targetILNS1_3genE10ELNS1_11target_archE1200ELNS1_3gpuE4ELNS1_3repE0EEENS1_30default_config_static_selectorELNS0_4arch9wavefront6targetE1EEEvT1_,comdat
	.protected	_ZN7rocprim17ROCPRIM_400000_NS6detail17trampoline_kernelINS0_14default_configENS1_27scan_by_key_config_selectorIiiEEZZNS1_16scan_by_key_implILNS1_25lookback_scan_determinismE0ELb0ES3_N6thrust23THRUST_200600_302600_NS6detail15normal_iteratorINS9_10device_ptrIiEEEENS9_18transform_iteratorINS9_6negateIiEESE_NS9_11use_defaultESI_EESE_iNS9_4plusIvEENS9_8equal_toIvEEiEE10hipError_tPvRmT2_T3_T4_T5_mT6_T7_P12ihipStream_tbENKUlT_T0_E_clISt17integral_constantIbLb1EES14_EEDaSZ_S10_EUlSZ_E_NS1_11comp_targetILNS1_3genE10ELNS1_11target_archE1200ELNS1_3gpuE4ELNS1_3repE0EEENS1_30default_config_static_selectorELNS0_4arch9wavefront6targetE1EEEvT1_ ; -- Begin function _ZN7rocprim17ROCPRIM_400000_NS6detail17trampoline_kernelINS0_14default_configENS1_27scan_by_key_config_selectorIiiEEZZNS1_16scan_by_key_implILNS1_25lookback_scan_determinismE0ELb0ES3_N6thrust23THRUST_200600_302600_NS6detail15normal_iteratorINS9_10device_ptrIiEEEENS9_18transform_iteratorINS9_6negateIiEESE_NS9_11use_defaultESI_EESE_iNS9_4plusIvEENS9_8equal_toIvEEiEE10hipError_tPvRmT2_T3_T4_T5_mT6_T7_P12ihipStream_tbENKUlT_T0_E_clISt17integral_constantIbLb1EES14_EEDaSZ_S10_EUlSZ_E_NS1_11comp_targetILNS1_3genE10ELNS1_11target_archE1200ELNS1_3gpuE4ELNS1_3repE0EEENS1_30default_config_static_selectorELNS0_4arch9wavefront6targetE1EEEvT1_
	.globl	_ZN7rocprim17ROCPRIM_400000_NS6detail17trampoline_kernelINS0_14default_configENS1_27scan_by_key_config_selectorIiiEEZZNS1_16scan_by_key_implILNS1_25lookback_scan_determinismE0ELb0ES3_N6thrust23THRUST_200600_302600_NS6detail15normal_iteratorINS9_10device_ptrIiEEEENS9_18transform_iteratorINS9_6negateIiEESE_NS9_11use_defaultESI_EESE_iNS9_4plusIvEENS9_8equal_toIvEEiEE10hipError_tPvRmT2_T3_T4_T5_mT6_T7_P12ihipStream_tbENKUlT_T0_E_clISt17integral_constantIbLb1EES14_EEDaSZ_S10_EUlSZ_E_NS1_11comp_targetILNS1_3genE10ELNS1_11target_archE1200ELNS1_3gpuE4ELNS1_3repE0EEENS1_30default_config_static_selectorELNS0_4arch9wavefront6targetE1EEEvT1_
	.p2align	8
	.type	_ZN7rocprim17ROCPRIM_400000_NS6detail17trampoline_kernelINS0_14default_configENS1_27scan_by_key_config_selectorIiiEEZZNS1_16scan_by_key_implILNS1_25lookback_scan_determinismE0ELb0ES3_N6thrust23THRUST_200600_302600_NS6detail15normal_iteratorINS9_10device_ptrIiEEEENS9_18transform_iteratorINS9_6negateIiEESE_NS9_11use_defaultESI_EESE_iNS9_4plusIvEENS9_8equal_toIvEEiEE10hipError_tPvRmT2_T3_T4_T5_mT6_T7_P12ihipStream_tbENKUlT_T0_E_clISt17integral_constantIbLb1EES14_EEDaSZ_S10_EUlSZ_E_NS1_11comp_targetILNS1_3genE10ELNS1_11target_archE1200ELNS1_3gpuE4ELNS1_3repE0EEENS1_30default_config_static_selectorELNS0_4arch9wavefront6targetE1EEEvT1_,@function
_ZN7rocprim17ROCPRIM_400000_NS6detail17trampoline_kernelINS0_14default_configENS1_27scan_by_key_config_selectorIiiEEZZNS1_16scan_by_key_implILNS1_25lookback_scan_determinismE0ELb0ES3_N6thrust23THRUST_200600_302600_NS6detail15normal_iteratorINS9_10device_ptrIiEEEENS9_18transform_iteratorINS9_6negateIiEESE_NS9_11use_defaultESI_EESE_iNS9_4plusIvEENS9_8equal_toIvEEiEE10hipError_tPvRmT2_T3_T4_T5_mT6_T7_P12ihipStream_tbENKUlT_T0_E_clISt17integral_constantIbLb1EES14_EEDaSZ_S10_EUlSZ_E_NS1_11comp_targetILNS1_3genE10ELNS1_11target_archE1200ELNS1_3gpuE4ELNS1_3repE0EEENS1_30default_config_static_selectorELNS0_4arch9wavefront6targetE1EEEvT1_: ; @_ZN7rocprim17ROCPRIM_400000_NS6detail17trampoline_kernelINS0_14default_configENS1_27scan_by_key_config_selectorIiiEEZZNS1_16scan_by_key_implILNS1_25lookback_scan_determinismE0ELb0ES3_N6thrust23THRUST_200600_302600_NS6detail15normal_iteratorINS9_10device_ptrIiEEEENS9_18transform_iteratorINS9_6negateIiEESE_NS9_11use_defaultESI_EESE_iNS9_4plusIvEENS9_8equal_toIvEEiEE10hipError_tPvRmT2_T3_T4_T5_mT6_T7_P12ihipStream_tbENKUlT_T0_E_clISt17integral_constantIbLb1EES14_EEDaSZ_S10_EUlSZ_E_NS1_11comp_targetILNS1_3genE10ELNS1_11target_archE1200ELNS1_3gpuE4ELNS1_3repE0EEENS1_30default_config_static_selectorELNS0_4arch9wavefront6targetE1EEEvT1_
; %bb.0:
	.section	.rodata,"a",@progbits
	.p2align	6, 0x0
	.amdhsa_kernel _ZN7rocprim17ROCPRIM_400000_NS6detail17trampoline_kernelINS0_14default_configENS1_27scan_by_key_config_selectorIiiEEZZNS1_16scan_by_key_implILNS1_25lookback_scan_determinismE0ELb0ES3_N6thrust23THRUST_200600_302600_NS6detail15normal_iteratorINS9_10device_ptrIiEEEENS9_18transform_iteratorINS9_6negateIiEESE_NS9_11use_defaultESI_EESE_iNS9_4plusIvEENS9_8equal_toIvEEiEE10hipError_tPvRmT2_T3_T4_T5_mT6_T7_P12ihipStream_tbENKUlT_T0_E_clISt17integral_constantIbLb1EES14_EEDaSZ_S10_EUlSZ_E_NS1_11comp_targetILNS1_3genE10ELNS1_11target_archE1200ELNS1_3gpuE4ELNS1_3repE0EEENS1_30default_config_static_selectorELNS0_4arch9wavefront6targetE1EEEvT1_
		.amdhsa_group_segment_fixed_size 0
		.amdhsa_private_segment_fixed_size 0
		.amdhsa_kernarg_size 120
		.amdhsa_user_sgpr_count 2
		.amdhsa_user_sgpr_dispatch_ptr 0
		.amdhsa_user_sgpr_queue_ptr 0
		.amdhsa_user_sgpr_kernarg_segment_ptr 1
		.amdhsa_user_sgpr_dispatch_id 0
		.amdhsa_user_sgpr_kernarg_preload_length 0
		.amdhsa_user_sgpr_kernarg_preload_offset 0
		.amdhsa_user_sgpr_private_segment_size 0
		.amdhsa_uses_dynamic_stack 0
		.amdhsa_enable_private_segment 0
		.amdhsa_system_sgpr_workgroup_id_x 1
		.amdhsa_system_sgpr_workgroup_id_y 0
		.amdhsa_system_sgpr_workgroup_id_z 0
		.amdhsa_system_sgpr_workgroup_info 0
		.amdhsa_system_vgpr_workitem_id 0
		.amdhsa_next_free_vgpr 1
		.amdhsa_next_free_sgpr 0
		.amdhsa_accum_offset 4
		.amdhsa_reserve_vcc 0
		.amdhsa_float_round_mode_32 0
		.amdhsa_float_round_mode_16_64 0
		.amdhsa_float_denorm_mode_32 3
		.amdhsa_float_denorm_mode_16_64 3
		.amdhsa_dx10_clamp 1
		.amdhsa_ieee_mode 1
		.amdhsa_fp16_overflow 0
		.amdhsa_tg_split 0
		.amdhsa_exception_fp_ieee_invalid_op 0
		.amdhsa_exception_fp_denorm_src 0
		.amdhsa_exception_fp_ieee_div_zero 0
		.amdhsa_exception_fp_ieee_overflow 0
		.amdhsa_exception_fp_ieee_underflow 0
		.amdhsa_exception_fp_ieee_inexact 0
		.amdhsa_exception_int_div_zero 0
	.end_amdhsa_kernel
	.section	.text._ZN7rocprim17ROCPRIM_400000_NS6detail17trampoline_kernelINS0_14default_configENS1_27scan_by_key_config_selectorIiiEEZZNS1_16scan_by_key_implILNS1_25lookback_scan_determinismE0ELb0ES3_N6thrust23THRUST_200600_302600_NS6detail15normal_iteratorINS9_10device_ptrIiEEEENS9_18transform_iteratorINS9_6negateIiEESE_NS9_11use_defaultESI_EESE_iNS9_4plusIvEENS9_8equal_toIvEEiEE10hipError_tPvRmT2_T3_T4_T5_mT6_T7_P12ihipStream_tbENKUlT_T0_E_clISt17integral_constantIbLb1EES14_EEDaSZ_S10_EUlSZ_E_NS1_11comp_targetILNS1_3genE10ELNS1_11target_archE1200ELNS1_3gpuE4ELNS1_3repE0EEENS1_30default_config_static_selectorELNS0_4arch9wavefront6targetE1EEEvT1_,"axG",@progbits,_ZN7rocprim17ROCPRIM_400000_NS6detail17trampoline_kernelINS0_14default_configENS1_27scan_by_key_config_selectorIiiEEZZNS1_16scan_by_key_implILNS1_25lookback_scan_determinismE0ELb0ES3_N6thrust23THRUST_200600_302600_NS6detail15normal_iteratorINS9_10device_ptrIiEEEENS9_18transform_iteratorINS9_6negateIiEESE_NS9_11use_defaultESI_EESE_iNS9_4plusIvEENS9_8equal_toIvEEiEE10hipError_tPvRmT2_T3_T4_T5_mT6_T7_P12ihipStream_tbENKUlT_T0_E_clISt17integral_constantIbLb1EES14_EEDaSZ_S10_EUlSZ_E_NS1_11comp_targetILNS1_3genE10ELNS1_11target_archE1200ELNS1_3gpuE4ELNS1_3repE0EEENS1_30default_config_static_selectorELNS0_4arch9wavefront6targetE1EEEvT1_,comdat
.Lfunc_end944:
	.size	_ZN7rocprim17ROCPRIM_400000_NS6detail17trampoline_kernelINS0_14default_configENS1_27scan_by_key_config_selectorIiiEEZZNS1_16scan_by_key_implILNS1_25lookback_scan_determinismE0ELb0ES3_N6thrust23THRUST_200600_302600_NS6detail15normal_iteratorINS9_10device_ptrIiEEEENS9_18transform_iteratorINS9_6negateIiEESE_NS9_11use_defaultESI_EESE_iNS9_4plusIvEENS9_8equal_toIvEEiEE10hipError_tPvRmT2_T3_T4_T5_mT6_T7_P12ihipStream_tbENKUlT_T0_E_clISt17integral_constantIbLb1EES14_EEDaSZ_S10_EUlSZ_E_NS1_11comp_targetILNS1_3genE10ELNS1_11target_archE1200ELNS1_3gpuE4ELNS1_3repE0EEENS1_30default_config_static_selectorELNS0_4arch9wavefront6targetE1EEEvT1_, .Lfunc_end944-_ZN7rocprim17ROCPRIM_400000_NS6detail17trampoline_kernelINS0_14default_configENS1_27scan_by_key_config_selectorIiiEEZZNS1_16scan_by_key_implILNS1_25lookback_scan_determinismE0ELb0ES3_N6thrust23THRUST_200600_302600_NS6detail15normal_iteratorINS9_10device_ptrIiEEEENS9_18transform_iteratorINS9_6negateIiEESE_NS9_11use_defaultESI_EESE_iNS9_4plusIvEENS9_8equal_toIvEEiEE10hipError_tPvRmT2_T3_T4_T5_mT6_T7_P12ihipStream_tbENKUlT_T0_E_clISt17integral_constantIbLb1EES14_EEDaSZ_S10_EUlSZ_E_NS1_11comp_targetILNS1_3genE10ELNS1_11target_archE1200ELNS1_3gpuE4ELNS1_3repE0EEENS1_30default_config_static_selectorELNS0_4arch9wavefront6targetE1EEEvT1_
                                        ; -- End function
	.section	.AMDGPU.csdata,"",@progbits
; Kernel info:
; codeLenInByte = 0
; NumSgprs: 6
; NumVgprs: 0
; NumAgprs: 0
; TotalNumVgprs: 0
; ScratchSize: 0
; MemoryBound: 0
; FloatMode: 240
; IeeeMode: 1
; LDSByteSize: 0 bytes/workgroup (compile time only)
; SGPRBlocks: 0
; VGPRBlocks: 0
; NumSGPRsForWavesPerEU: 6
; NumVGPRsForWavesPerEU: 1
; AccumOffset: 4
; Occupancy: 8
; WaveLimiterHint : 0
; COMPUTE_PGM_RSRC2:SCRATCH_EN: 0
; COMPUTE_PGM_RSRC2:USER_SGPR: 2
; COMPUTE_PGM_RSRC2:TRAP_HANDLER: 0
; COMPUTE_PGM_RSRC2:TGID_X_EN: 1
; COMPUTE_PGM_RSRC2:TGID_Y_EN: 0
; COMPUTE_PGM_RSRC2:TGID_Z_EN: 0
; COMPUTE_PGM_RSRC2:TIDIG_COMP_CNT: 0
; COMPUTE_PGM_RSRC3_GFX90A:ACCUM_OFFSET: 0
; COMPUTE_PGM_RSRC3_GFX90A:TG_SPLIT: 0
	.section	.text._ZN7rocprim17ROCPRIM_400000_NS6detail17trampoline_kernelINS0_14default_configENS1_27scan_by_key_config_selectorIiiEEZZNS1_16scan_by_key_implILNS1_25lookback_scan_determinismE0ELb0ES3_N6thrust23THRUST_200600_302600_NS6detail15normal_iteratorINS9_10device_ptrIiEEEENS9_18transform_iteratorINS9_6negateIiEESE_NS9_11use_defaultESI_EESE_iNS9_4plusIvEENS9_8equal_toIvEEiEE10hipError_tPvRmT2_T3_T4_T5_mT6_T7_P12ihipStream_tbENKUlT_T0_E_clISt17integral_constantIbLb1EES14_EEDaSZ_S10_EUlSZ_E_NS1_11comp_targetILNS1_3genE9ELNS1_11target_archE1100ELNS1_3gpuE3ELNS1_3repE0EEENS1_30default_config_static_selectorELNS0_4arch9wavefront6targetE1EEEvT1_,"axG",@progbits,_ZN7rocprim17ROCPRIM_400000_NS6detail17trampoline_kernelINS0_14default_configENS1_27scan_by_key_config_selectorIiiEEZZNS1_16scan_by_key_implILNS1_25lookback_scan_determinismE0ELb0ES3_N6thrust23THRUST_200600_302600_NS6detail15normal_iteratorINS9_10device_ptrIiEEEENS9_18transform_iteratorINS9_6negateIiEESE_NS9_11use_defaultESI_EESE_iNS9_4plusIvEENS9_8equal_toIvEEiEE10hipError_tPvRmT2_T3_T4_T5_mT6_T7_P12ihipStream_tbENKUlT_T0_E_clISt17integral_constantIbLb1EES14_EEDaSZ_S10_EUlSZ_E_NS1_11comp_targetILNS1_3genE9ELNS1_11target_archE1100ELNS1_3gpuE3ELNS1_3repE0EEENS1_30default_config_static_selectorELNS0_4arch9wavefront6targetE1EEEvT1_,comdat
	.protected	_ZN7rocprim17ROCPRIM_400000_NS6detail17trampoline_kernelINS0_14default_configENS1_27scan_by_key_config_selectorIiiEEZZNS1_16scan_by_key_implILNS1_25lookback_scan_determinismE0ELb0ES3_N6thrust23THRUST_200600_302600_NS6detail15normal_iteratorINS9_10device_ptrIiEEEENS9_18transform_iteratorINS9_6negateIiEESE_NS9_11use_defaultESI_EESE_iNS9_4plusIvEENS9_8equal_toIvEEiEE10hipError_tPvRmT2_T3_T4_T5_mT6_T7_P12ihipStream_tbENKUlT_T0_E_clISt17integral_constantIbLb1EES14_EEDaSZ_S10_EUlSZ_E_NS1_11comp_targetILNS1_3genE9ELNS1_11target_archE1100ELNS1_3gpuE3ELNS1_3repE0EEENS1_30default_config_static_selectorELNS0_4arch9wavefront6targetE1EEEvT1_ ; -- Begin function _ZN7rocprim17ROCPRIM_400000_NS6detail17trampoline_kernelINS0_14default_configENS1_27scan_by_key_config_selectorIiiEEZZNS1_16scan_by_key_implILNS1_25lookback_scan_determinismE0ELb0ES3_N6thrust23THRUST_200600_302600_NS6detail15normal_iteratorINS9_10device_ptrIiEEEENS9_18transform_iteratorINS9_6negateIiEESE_NS9_11use_defaultESI_EESE_iNS9_4plusIvEENS9_8equal_toIvEEiEE10hipError_tPvRmT2_T3_T4_T5_mT6_T7_P12ihipStream_tbENKUlT_T0_E_clISt17integral_constantIbLb1EES14_EEDaSZ_S10_EUlSZ_E_NS1_11comp_targetILNS1_3genE9ELNS1_11target_archE1100ELNS1_3gpuE3ELNS1_3repE0EEENS1_30default_config_static_selectorELNS0_4arch9wavefront6targetE1EEEvT1_
	.globl	_ZN7rocprim17ROCPRIM_400000_NS6detail17trampoline_kernelINS0_14default_configENS1_27scan_by_key_config_selectorIiiEEZZNS1_16scan_by_key_implILNS1_25lookback_scan_determinismE0ELb0ES3_N6thrust23THRUST_200600_302600_NS6detail15normal_iteratorINS9_10device_ptrIiEEEENS9_18transform_iteratorINS9_6negateIiEESE_NS9_11use_defaultESI_EESE_iNS9_4plusIvEENS9_8equal_toIvEEiEE10hipError_tPvRmT2_T3_T4_T5_mT6_T7_P12ihipStream_tbENKUlT_T0_E_clISt17integral_constantIbLb1EES14_EEDaSZ_S10_EUlSZ_E_NS1_11comp_targetILNS1_3genE9ELNS1_11target_archE1100ELNS1_3gpuE3ELNS1_3repE0EEENS1_30default_config_static_selectorELNS0_4arch9wavefront6targetE1EEEvT1_
	.p2align	8
	.type	_ZN7rocprim17ROCPRIM_400000_NS6detail17trampoline_kernelINS0_14default_configENS1_27scan_by_key_config_selectorIiiEEZZNS1_16scan_by_key_implILNS1_25lookback_scan_determinismE0ELb0ES3_N6thrust23THRUST_200600_302600_NS6detail15normal_iteratorINS9_10device_ptrIiEEEENS9_18transform_iteratorINS9_6negateIiEESE_NS9_11use_defaultESI_EESE_iNS9_4plusIvEENS9_8equal_toIvEEiEE10hipError_tPvRmT2_T3_T4_T5_mT6_T7_P12ihipStream_tbENKUlT_T0_E_clISt17integral_constantIbLb1EES14_EEDaSZ_S10_EUlSZ_E_NS1_11comp_targetILNS1_3genE9ELNS1_11target_archE1100ELNS1_3gpuE3ELNS1_3repE0EEENS1_30default_config_static_selectorELNS0_4arch9wavefront6targetE1EEEvT1_,@function
_ZN7rocprim17ROCPRIM_400000_NS6detail17trampoline_kernelINS0_14default_configENS1_27scan_by_key_config_selectorIiiEEZZNS1_16scan_by_key_implILNS1_25lookback_scan_determinismE0ELb0ES3_N6thrust23THRUST_200600_302600_NS6detail15normal_iteratorINS9_10device_ptrIiEEEENS9_18transform_iteratorINS9_6negateIiEESE_NS9_11use_defaultESI_EESE_iNS9_4plusIvEENS9_8equal_toIvEEiEE10hipError_tPvRmT2_T3_T4_T5_mT6_T7_P12ihipStream_tbENKUlT_T0_E_clISt17integral_constantIbLb1EES14_EEDaSZ_S10_EUlSZ_E_NS1_11comp_targetILNS1_3genE9ELNS1_11target_archE1100ELNS1_3gpuE3ELNS1_3repE0EEENS1_30default_config_static_selectorELNS0_4arch9wavefront6targetE1EEEvT1_: ; @_ZN7rocprim17ROCPRIM_400000_NS6detail17trampoline_kernelINS0_14default_configENS1_27scan_by_key_config_selectorIiiEEZZNS1_16scan_by_key_implILNS1_25lookback_scan_determinismE0ELb0ES3_N6thrust23THRUST_200600_302600_NS6detail15normal_iteratorINS9_10device_ptrIiEEEENS9_18transform_iteratorINS9_6negateIiEESE_NS9_11use_defaultESI_EESE_iNS9_4plusIvEENS9_8equal_toIvEEiEE10hipError_tPvRmT2_T3_T4_T5_mT6_T7_P12ihipStream_tbENKUlT_T0_E_clISt17integral_constantIbLb1EES14_EEDaSZ_S10_EUlSZ_E_NS1_11comp_targetILNS1_3genE9ELNS1_11target_archE1100ELNS1_3gpuE3ELNS1_3repE0EEENS1_30default_config_static_selectorELNS0_4arch9wavefront6targetE1EEEvT1_
; %bb.0:
	.section	.rodata,"a",@progbits
	.p2align	6, 0x0
	.amdhsa_kernel _ZN7rocprim17ROCPRIM_400000_NS6detail17trampoline_kernelINS0_14default_configENS1_27scan_by_key_config_selectorIiiEEZZNS1_16scan_by_key_implILNS1_25lookback_scan_determinismE0ELb0ES3_N6thrust23THRUST_200600_302600_NS6detail15normal_iteratorINS9_10device_ptrIiEEEENS9_18transform_iteratorINS9_6negateIiEESE_NS9_11use_defaultESI_EESE_iNS9_4plusIvEENS9_8equal_toIvEEiEE10hipError_tPvRmT2_T3_T4_T5_mT6_T7_P12ihipStream_tbENKUlT_T0_E_clISt17integral_constantIbLb1EES14_EEDaSZ_S10_EUlSZ_E_NS1_11comp_targetILNS1_3genE9ELNS1_11target_archE1100ELNS1_3gpuE3ELNS1_3repE0EEENS1_30default_config_static_selectorELNS0_4arch9wavefront6targetE1EEEvT1_
		.amdhsa_group_segment_fixed_size 0
		.amdhsa_private_segment_fixed_size 0
		.amdhsa_kernarg_size 120
		.amdhsa_user_sgpr_count 2
		.amdhsa_user_sgpr_dispatch_ptr 0
		.amdhsa_user_sgpr_queue_ptr 0
		.amdhsa_user_sgpr_kernarg_segment_ptr 1
		.amdhsa_user_sgpr_dispatch_id 0
		.amdhsa_user_sgpr_kernarg_preload_length 0
		.amdhsa_user_sgpr_kernarg_preload_offset 0
		.amdhsa_user_sgpr_private_segment_size 0
		.amdhsa_uses_dynamic_stack 0
		.amdhsa_enable_private_segment 0
		.amdhsa_system_sgpr_workgroup_id_x 1
		.amdhsa_system_sgpr_workgroup_id_y 0
		.amdhsa_system_sgpr_workgroup_id_z 0
		.amdhsa_system_sgpr_workgroup_info 0
		.amdhsa_system_vgpr_workitem_id 0
		.amdhsa_next_free_vgpr 1
		.amdhsa_next_free_sgpr 0
		.amdhsa_accum_offset 4
		.amdhsa_reserve_vcc 0
		.amdhsa_float_round_mode_32 0
		.amdhsa_float_round_mode_16_64 0
		.amdhsa_float_denorm_mode_32 3
		.amdhsa_float_denorm_mode_16_64 3
		.amdhsa_dx10_clamp 1
		.amdhsa_ieee_mode 1
		.amdhsa_fp16_overflow 0
		.amdhsa_tg_split 0
		.amdhsa_exception_fp_ieee_invalid_op 0
		.amdhsa_exception_fp_denorm_src 0
		.amdhsa_exception_fp_ieee_div_zero 0
		.amdhsa_exception_fp_ieee_overflow 0
		.amdhsa_exception_fp_ieee_underflow 0
		.amdhsa_exception_fp_ieee_inexact 0
		.amdhsa_exception_int_div_zero 0
	.end_amdhsa_kernel
	.section	.text._ZN7rocprim17ROCPRIM_400000_NS6detail17trampoline_kernelINS0_14default_configENS1_27scan_by_key_config_selectorIiiEEZZNS1_16scan_by_key_implILNS1_25lookback_scan_determinismE0ELb0ES3_N6thrust23THRUST_200600_302600_NS6detail15normal_iteratorINS9_10device_ptrIiEEEENS9_18transform_iteratorINS9_6negateIiEESE_NS9_11use_defaultESI_EESE_iNS9_4plusIvEENS9_8equal_toIvEEiEE10hipError_tPvRmT2_T3_T4_T5_mT6_T7_P12ihipStream_tbENKUlT_T0_E_clISt17integral_constantIbLb1EES14_EEDaSZ_S10_EUlSZ_E_NS1_11comp_targetILNS1_3genE9ELNS1_11target_archE1100ELNS1_3gpuE3ELNS1_3repE0EEENS1_30default_config_static_selectorELNS0_4arch9wavefront6targetE1EEEvT1_,"axG",@progbits,_ZN7rocprim17ROCPRIM_400000_NS6detail17trampoline_kernelINS0_14default_configENS1_27scan_by_key_config_selectorIiiEEZZNS1_16scan_by_key_implILNS1_25lookback_scan_determinismE0ELb0ES3_N6thrust23THRUST_200600_302600_NS6detail15normal_iteratorINS9_10device_ptrIiEEEENS9_18transform_iteratorINS9_6negateIiEESE_NS9_11use_defaultESI_EESE_iNS9_4plusIvEENS9_8equal_toIvEEiEE10hipError_tPvRmT2_T3_T4_T5_mT6_T7_P12ihipStream_tbENKUlT_T0_E_clISt17integral_constantIbLb1EES14_EEDaSZ_S10_EUlSZ_E_NS1_11comp_targetILNS1_3genE9ELNS1_11target_archE1100ELNS1_3gpuE3ELNS1_3repE0EEENS1_30default_config_static_selectorELNS0_4arch9wavefront6targetE1EEEvT1_,comdat
.Lfunc_end945:
	.size	_ZN7rocprim17ROCPRIM_400000_NS6detail17trampoline_kernelINS0_14default_configENS1_27scan_by_key_config_selectorIiiEEZZNS1_16scan_by_key_implILNS1_25lookback_scan_determinismE0ELb0ES3_N6thrust23THRUST_200600_302600_NS6detail15normal_iteratorINS9_10device_ptrIiEEEENS9_18transform_iteratorINS9_6negateIiEESE_NS9_11use_defaultESI_EESE_iNS9_4plusIvEENS9_8equal_toIvEEiEE10hipError_tPvRmT2_T3_T4_T5_mT6_T7_P12ihipStream_tbENKUlT_T0_E_clISt17integral_constantIbLb1EES14_EEDaSZ_S10_EUlSZ_E_NS1_11comp_targetILNS1_3genE9ELNS1_11target_archE1100ELNS1_3gpuE3ELNS1_3repE0EEENS1_30default_config_static_selectorELNS0_4arch9wavefront6targetE1EEEvT1_, .Lfunc_end945-_ZN7rocprim17ROCPRIM_400000_NS6detail17trampoline_kernelINS0_14default_configENS1_27scan_by_key_config_selectorIiiEEZZNS1_16scan_by_key_implILNS1_25lookback_scan_determinismE0ELb0ES3_N6thrust23THRUST_200600_302600_NS6detail15normal_iteratorINS9_10device_ptrIiEEEENS9_18transform_iteratorINS9_6negateIiEESE_NS9_11use_defaultESI_EESE_iNS9_4plusIvEENS9_8equal_toIvEEiEE10hipError_tPvRmT2_T3_T4_T5_mT6_T7_P12ihipStream_tbENKUlT_T0_E_clISt17integral_constantIbLb1EES14_EEDaSZ_S10_EUlSZ_E_NS1_11comp_targetILNS1_3genE9ELNS1_11target_archE1100ELNS1_3gpuE3ELNS1_3repE0EEENS1_30default_config_static_selectorELNS0_4arch9wavefront6targetE1EEEvT1_
                                        ; -- End function
	.section	.AMDGPU.csdata,"",@progbits
; Kernel info:
; codeLenInByte = 0
; NumSgprs: 6
; NumVgprs: 0
; NumAgprs: 0
; TotalNumVgprs: 0
; ScratchSize: 0
; MemoryBound: 0
; FloatMode: 240
; IeeeMode: 1
; LDSByteSize: 0 bytes/workgroup (compile time only)
; SGPRBlocks: 0
; VGPRBlocks: 0
; NumSGPRsForWavesPerEU: 6
; NumVGPRsForWavesPerEU: 1
; AccumOffset: 4
; Occupancy: 8
; WaveLimiterHint : 0
; COMPUTE_PGM_RSRC2:SCRATCH_EN: 0
; COMPUTE_PGM_RSRC2:USER_SGPR: 2
; COMPUTE_PGM_RSRC2:TRAP_HANDLER: 0
; COMPUTE_PGM_RSRC2:TGID_X_EN: 1
; COMPUTE_PGM_RSRC2:TGID_Y_EN: 0
; COMPUTE_PGM_RSRC2:TGID_Z_EN: 0
; COMPUTE_PGM_RSRC2:TIDIG_COMP_CNT: 0
; COMPUTE_PGM_RSRC3_GFX90A:ACCUM_OFFSET: 0
; COMPUTE_PGM_RSRC3_GFX90A:TG_SPLIT: 0
	.section	.text._ZN7rocprim17ROCPRIM_400000_NS6detail17trampoline_kernelINS0_14default_configENS1_27scan_by_key_config_selectorIiiEEZZNS1_16scan_by_key_implILNS1_25lookback_scan_determinismE0ELb0ES3_N6thrust23THRUST_200600_302600_NS6detail15normal_iteratorINS9_10device_ptrIiEEEENS9_18transform_iteratorINS9_6negateIiEESE_NS9_11use_defaultESI_EESE_iNS9_4plusIvEENS9_8equal_toIvEEiEE10hipError_tPvRmT2_T3_T4_T5_mT6_T7_P12ihipStream_tbENKUlT_T0_E_clISt17integral_constantIbLb1EES14_EEDaSZ_S10_EUlSZ_E_NS1_11comp_targetILNS1_3genE8ELNS1_11target_archE1030ELNS1_3gpuE2ELNS1_3repE0EEENS1_30default_config_static_selectorELNS0_4arch9wavefront6targetE1EEEvT1_,"axG",@progbits,_ZN7rocprim17ROCPRIM_400000_NS6detail17trampoline_kernelINS0_14default_configENS1_27scan_by_key_config_selectorIiiEEZZNS1_16scan_by_key_implILNS1_25lookback_scan_determinismE0ELb0ES3_N6thrust23THRUST_200600_302600_NS6detail15normal_iteratorINS9_10device_ptrIiEEEENS9_18transform_iteratorINS9_6negateIiEESE_NS9_11use_defaultESI_EESE_iNS9_4plusIvEENS9_8equal_toIvEEiEE10hipError_tPvRmT2_T3_T4_T5_mT6_T7_P12ihipStream_tbENKUlT_T0_E_clISt17integral_constantIbLb1EES14_EEDaSZ_S10_EUlSZ_E_NS1_11comp_targetILNS1_3genE8ELNS1_11target_archE1030ELNS1_3gpuE2ELNS1_3repE0EEENS1_30default_config_static_selectorELNS0_4arch9wavefront6targetE1EEEvT1_,comdat
	.protected	_ZN7rocprim17ROCPRIM_400000_NS6detail17trampoline_kernelINS0_14default_configENS1_27scan_by_key_config_selectorIiiEEZZNS1_16scan_by_key_implILNS1_25lookback_scan_determinismE0ELb0ES3_N6thrust23THRUST_200600_302600_NS6detail15normal_iteratorINS9_10device_ptrIiEEEENS9_18transform_iteratorINS9_6negateIiEESE_NS9_11use_defaultESI_EESE_iNS9_4plusIvEENS9_8equal_toIvEEiEE10hipError_tPvRmT2_T3_T4_T5_mT6_T7_P12ihipStream_tbENKUlT_T0_E_clISt17integral_constantIbLb1EES14_EEDaSZ_S10_EUlSZ_E_NS1_11comp_targetILNS1_3genE8ELNS1_11target_archE1030ELNS1_3gpuE2ELNS1_3repE0EEENS1_30default_config_static_selectorELNS0_4arch9wavefront6targetE1EEEvT1_ ; -- Begin function _ZN7rocprim17ROCPRIM_400000_NS6detail17trampoline_kernelINS0_14default_configENS1_27scan_by_key_config_selectorIiiEEZZNS1_16scan_by_key_implILNS1_25lookback_scan_determinismE0ELb0ES3_N6thrust23THRUST_200600_302600_NS6detail15normal_iteratorINS9_10device_ptrIiEEEENS9_18transform_iteratorINS9_6negateIiEESE_NS9_11use_defaultESI_EESE_iNS9_4plusIvEENS9_8equal_toIvEEiEE10hipError_tPvRmT2_T3_T4_T5_mT6_T7_P12ihipStream_tbENKUlT_T0_E_clISt17integral_constantIbLb1EES14_EEDaSZ_S10_EUlSZ_E_NS1_11comp_targetILNS1_3genE8ELNS1_11target_archE1030ELNS1_3gpuE2ELNS1_3repE0EEENS1_30default_config_static_selectorELNS0_4arch9wavefront6targetE1EEEvT1_
	.globl	_ZN7rocprim17ROCPRIM_400000_NS6detail17trampoline_kernelINS0_14default_configENS1_27scan_by_key_config_selectorIiiEEZZNS1_16scan_by_key_implILNS1_25lookback_scan_determinismE0ELb0ES3_N6thrust23THRUST_200600_302600_NS6detail15normal_iteratorINS9_10device_ptrIiEEEENS9_18transform_iteratorINS9_6negateIiEESE_NS9_11use_defaultESI_EESE_iNS9_4plusIvEENS9_8equal_toIvEEiEE10hipError_tPvRmT2_T3_T4_T5_mT6_T7_P12ihipStream_tbENKUlT_T0_E_clISt17integral_constantIbLb1EES14_EEDaSZ_S10_EUlSZ_E_NS1_11comp_targetILNS1_3genE8ELNS1_11target_archE1030ELNS1_3gpuE2ELNS1_3repE0EEENS1_30default_config_static_selectorELNS0_4arch9wavefront6targetE1EEEvT1_
	.p2align	8
	.type	_ZN7rocprim17ROCPRIM_400000_NS6detail17trampoline_kernelINS0_14default_configENS1_27scan_by_key_config_selectorIiiEEZZNS1_16scan_by_key_implILNS1_25lookback_scan_determinismE0ELb0ES3_N6thrust23THRUST_200600_302600_NS6detail15normal_iteratorINS9_10device_ptrIiEEEENS9_18transform_iteratorINS9_6negateIiEESE_NS9_11use_defaultESI_EESE_iNS9_4plusIvEENS9_8equal_toIvEEiEE10hipError_tPvRmT2_T3_T4_T5_mT6_T7_P12ihipStream_tbENKUlT_T0_E_clISt17integral_constantIbLb1EES14_EEDaSZ_S10_EUlSZ_E_NS1_11comp_targetILNS1_3genE8ELNS1_11target_archE1030ELNS1_3gpuE2ELNS1_3repE0EEENS1_30default_config_static_selectorELNS0_4arch9wavefront6targetE1EEEvT1_,@function
_ZN7rocprim17ROCPRIM_400000_NS6detail17trampoline_kernelINS0_14default_configENS1_27scan_by_key_config_selectorIiiEEZZNS1_16scan_by_key_implILNS1_25lookback_scan_determinismE0ELb0ES3_N6thrust23THRUST_200600_302600_NS6detail15normal_iteratorINS9_10device_ptrIiEEEENS9_18transform_iteratorINS9_6negateIiEESE_NS9_11use_defaultESI_EESE_iNS9_4plusIvEENS9_8equal_toIvEEiEE10hipError_tPvRmT2_T3_T4_T5_mT6_T7_P12ihipStream_tbENKUlT_T0_E_clISt17integral_constantIbLb1EES14_EEDaSZ_S10_EUlSZ_E_NS1_11comp_targetILNS1_3genE8ELNS1_11target_archE1030ELNS1_3gpuE2ELNS1_3repE0EEENS1_30default_config_static_selectorELNS0_4arch9wavefront6targetE1EEEvT1_: ; @_ZN7rocprim17ROCPRIM_400000_NS6detail17trampoline_kernelINS0_14default_configENS1_27scan_by_key_config_selectorIiiEEZZNS1_16scan_by_key_implILNS1_25lookback_scan_determinismE0ELb0ES3_N6thrust23THRUST_200600_302600_NS6detail15normal_iteratorINS9_10device_ptrIiEEEENS9_18transform_iteratorINS9_6negateIiEESE_NS9_11use_defaultESI_EESE_iNS9_4plusIvEENS9_8equal_toIvEEiEE10hipError_tPvRmT2_T3_T4_T5_mT6_T7_P12ihipStream_tbENKUlT_T0_E_clISt17integral_constantIbLb1EES14_EEDaSZ_S10_EUlSZ_E_NS1_11comp_targetILNS1_3genE8ELNS1_11target_archE1030ELNS1_3gpuE2ELNS1_3repE0EEENS1_30default_config_static_selectorELNS0_4arch9wavefront6targetE1EEEvT1_
; %bb.0:
	.section	.rodata,"a",@progbits
	.p2align	6, 0x0
	.amdhsa_kernel _ZN7rocprim17ROCPRIM_400000_NS6detail17trampoline_kernelINS0_14default_configENS1_27scan_by_key_config_selectorIiiEEZZNS1_16scan_by_key_implILNS1_25lookback_scan_determinismE0ELb0ES3_N6thrust23THRUST_200600_302600_NS6detail15normal_iteratorINS9_10device_ptrIiEEEENS9_18transform_iteratorINS9_6negateIiEESE_NS9_11use_defaultESI_EESE_iNS9_4plusIvEENS9_8equal_toIvEEiEE10hipError_tPvRmT2_T3_T4_T5_mT6_T7_P12ihipStream_tbENKUlT_T0_E_clISt17integral_constantIbLb1EES14_EEDaSZ_S10_EUlSZ_E_NS1_11comp_targetILNS1_3genE8ELNS1_11target_archE1030ELNS1_3gpuE2ELNS1_3repE0EEENS1_30default_config_static_selectorELNS0_4arch9wavefront6targetE1EEEvT1_
		.amdhsa_group_segment_fixed_size 0
		.amdhsa_private_segment_fixed_size 0
		.amdhsa_kernarg_size 120
		.amdhsa_user_sgpr_count 2
		.amdhsa_user_sgpr_dispatch_ptr 0
		.amdhsa_user_sgpr_queue_ptr 0
		.amdhsa_user_sgpr_kernarg_segment_ptr 1
		.amdhsa_user_sgpr_dispatch_id 0
		.amdhsa_user_sgpr_kernarg_preload_length 0
		.amdhsa_user_sgpr_kernarg_preload_offset 0
		.amdhsa_user_sgpr_private_segment_size 0
		.amdhsa_uses_dynamic_stack 0
		.amdhsa_enable_private_segment 0
		.amdhsa_system_sgpr_workgroup_id_x 1
		.amdhsa_system_sgpr_workgroup_id_y 0
		.amdhsa_system_sgpr_workgroup_id_z 0
		.amdhsa_system_sgpr_workgroup_info 0
		.amdhsa_system_vgpr_workitem_id 0
		.amdhsa_next_free_vgpr 1
		.amdhsa_next_free_sgpr 0
		.amdhsa_accum_offset 4
		.amdhsa_reserve_vcc 0
		.amdhsa_float_round_mode_32 0
		.amdhsa_float_round_mode_16_64 0
		.amdhsa_float_denorm_mode_32 3
		.amdhsa_float_denorm_mode_16_64 3
		.amdhsa_dx10_clamp 1
		.amdhsa_ieee_mode 1
		.amdhsa_fp16_overflow 0
		.amdhsa_tg_split 0
		.amdhsa_exception_fp_ieee_invalid_op 0
		.amdhsa_exception_fp_denorm_src 0
		.amdhsa_exception_fp_ieee_div_zero 0
		.amdhsa_exception_fp_ieee_overflow 0
		.amdhsa_exception_fp_ieee_underflow 0
		.amdhsa_exception_fp_ieee_inexact 0
		.amdhsa_exception_int_div_zero 0
	.end_amdhsa_kernel
	.section	.text._ZN7rocprim17ROCPRIM_400000_NS6detail17trampoline_kernelINS0_14default_configENS1_27scan_by_key_config_selectorIiiEEZZNS1_16scan_by_key_implILNS1_25lookback_scan_determinismE0ELb0ES3_N6thrust23THRUST_200600_302600_NS6detail15normal_iteratorINS9_10device_ptrIiEEEENS9_18transform_iteratorINS9_6negateIiEESE_NS9_11use_defaultESI_EESE_iNS9_4plusIvEENS9_8equal_toIvEEiEE10hipError_tPvRmT2_T3_T4_T5_mT6_T7_P12ihipStream_tbENKUlT_T0_E_clISt17integral_constantIbLb1EES14_EEDaSZ_S10_EUlSZ_E_NS1_11comp_targetILNS1_3genE8ELNS1_11target_archE1030ELNS1_3gpuE2ELNS1_3repE0EEENS1_30default_config_static_selectorELNS0_4arch9wavefront6targetE1EEEvT1_,"axG",@progbits,_ZN7rocprim17ROCPRIM_400000_NS6detail17trampoline_kernelINS0_14default_configENS1_27scan_by_key_config_selectorIiiEEZZNS1_16scan_by_key_implILNS1_25lookback_scan_determinismE0ELb0ES3_N6thrust23THRUST_200600_302600_NS6detail15normal_iteratorINS9_10device_ptrIiEEEENS9_18transform_iteratorINS9_6negateIiEESE_NS9_11use_defaultESI_EESE_iNS9_4plusIvEENS9_8equal_toIvEEiEE10hipError_tPvRmT2_T3_T4_T5_mT6_T7_P12ihipStream_tbENKUlT_T0_E_clISt17integral_constantIbLb1EES14_EEDaSZ_S10_EUlSZ_E_NS1_11comp_targetILNS1_3genE8ELNS1_11target_archE1030ELNS1_3gpuE2ELNS1_3repE0EEENS1_30default_config_static_selectorELNS0_4arch9wavefront6targetE1EEEvT1_,comdat
.Lfunc_end946:
	.size	_ZN7rocprim17ROCPRIM_400000_NS6detail17trampoline_kernelINS0_14default_configENS1_27scan_by_key_config_selectorIiiEEZZNS1_16scan_by_key_implILNS1_25lookback_scan_determinismE0ELb0ES3_N6thrust23THRUST_200600_302600_NS6detail15normal_iteratorINS9_10device_ptrIiEEEENS9_18transform_iteratorINS9_6negateIiEESE_NS9_11use_defaultESI_EESE_iNS9_4plusIvEENS9_8equal_toIvEEiEE10hipError_tPvRmT2_T3_T4_T5_mT6_T7_P12ihipStream_tbENKUlT_T0_E_clISt17integral_constantIbLb1EES14_EEDaSZ_S10_EUlSZ_E_NS1_11comp_targetILNS1_3genE8ELNS1_11target_archE1030ELNS1_3gpuE2ELNS1_3repE0EEENS1_30default_config_static_selectorELNS0_4arch9wavefront6targetE1EEEvT1_, .Lfunc_end946-_ZN7rocprim17ROCPRIM_400000_NS6detail17trampoline_kernelINS0_14default_configENS1_27scan_by_key_config_selectorIiiEEZZNS1_16scan_by_key_implILNS1_25lookback_scan_determinismE0ELb0ES3_N6thrust23THRUST_200600_302600_NS6detail15normal_iteratorINS9_10device_ptrIiEEEENS9_18transform_iteratorINS9_6negateIiEESE_NS9_11use_defaultESI_EESE_iNS9_4plusIvEENS9_8equal_toIvEEiEE10hipError_tPvRmT2_T3_T4_T5_mT6_T7_P12ihipStream_tbENKUlT_T0_E_clISt17integral_constantIbLb1EES14_EEDaSZ_S10_EUlSZ_E_NS1_11comp_targetILNS1_3genE8ELNS1_11target_archE1030ELNS1_3gpuE2ELNS1_3repE0EEENS1_30default_config_static_selectorELNS0_4arch9wavefront6targetE1EEEvT1_
                                        ; -- End function
	.section	.AMDGPU.csdata,"",@progbits
; Kernel info:
; codeLenInByte = 0
; NumSgprs: 6
; NumVgprs: 0
; NumAgprs: 0
; TotalNumVgprs: 0
; ScratchSize: 0
; MemoryBound: 0
; FloatMode: 240
; IeeeMode: 1
; LDSByteSize: 0 bytes/workgroup (compile time only)
; SGPRBlocks: 0
; VGPRBlocks: 0
; NumSGPRsForWavesPerEU: 6
; NumVGPRsForWavesPerEU: 1
; AccumOffset: 4
; Occupancy: 8
; WaveLimiterHint : 0
; COMPUTE_PGM_RSRC2:SCRATCH_EN: 0
; COMPUTE_PGM_RSRC2:USER_SGPR: 2
; COMPUTE_PGM_RSRC2:TRAP_HANDLER: 0
; COMPUTE_PGM_RSRC2:TGID_X_EN: 1
; COMPUTE_PGM_RSRC2:TGID_Y_EN: 0
; COMPUTE_PGM_RSRC2:TGID_Z_EN: 0
; COMPUTE_PGM_RSRC2:TIDIG_COMP_CNT: 0
; COMPUTE_PGM_RSRC3_GFX90A:ACCUM_OFFSET: 0
; COMPUTE_PGM_RSRC3_GFX90A:TG_SPLIT: 0
	.section	.text._ZN7rocprim17ROCPRIM_400000_NS6detail17trampoline_kernelINS0_14default_configENS1_27scan_by_key_config_selectorIiiEEZZNS1_16scan_by_key_implILNS1_25lookback_scan_determinismE0ELb0ES3_N6thrust23THRUST_200600_302600_NS6detail15normal_iteratorINS9_10device_ptrIiEEEENS9_18transform_iteratorINS9_6negateIiEESE_NS9_11use_defaultESI_EESE_iNS9_4plusIvEENS9_8equal_toIvEEiEE10hipError_tPvRmT2_T3_T4_T5_mT6_T7_P12ihipStream_tbENKUlT_T0_E_clISt17integral_constantIbLb1EES13_IbLb0EEEEDaSZ_S10_EUlSZ_E_NS1_11comp_targetILNS1_3genE0ELNS1_11target_archE4294967295ELNS1_3gpuE0ELNS1_3repE0EEENS1_30default_config_static_selectorELNS0_4arch9wavefront6targetE1EEEvT1_,"axG",@progbits,_ZN7rocprim17ROCPRIM_400000_NS6detail17trampoline_kernelINS0_14default_configENS1_27scan_by_key_config_selectorIiiEEZZNS1_16scan_by_key_implILNS1_25lookback_scan_determinismE0ELb0ES3_N6thrust23THRUST_200600_302600_NS6detail15normal_iteratorINS9_10device_ptrIiEEEENS9_18transform_iteratorINS9_6negateIiEESE_NS9_11use_defaultESI_EESE_iNS9_4plusIvEENS9_8equal_toIvEEiEE10hipError_tPvRmT2_T3_T4_T5_mT6_T7_P12ihipStream_tbENKUlT_T0_E_clISt17integral_constantIbLb1EES13_IbLb0EEEEDaSZ_S10_EUlSZ_E_NS1_11comp_targetILNS1_3genE0ELNS1_11target_archE4294967295ELNS1_3gpuE0ELNS1_3repE0EEENS1_30default_config_static_selectorELNS0_4arch9wavefront6targetE1EEEvT1_,comdat
	.protected	_ZN7rocprim17ROCPRIM_400000_NS6detail17trampoline_kernelINS0_14default_configENS1_27scan_by_key_config_selectorIiiEEZZNS1_16scan_by_key_implILNS1_25lookback_scan_determinismE0ELb0ES3_N6thrust23THRUST_200600_302600_NS6detail15normal_iteratorINS9_10device_ptrIiEEEENS9_18transform_iteratorINS9_6negateIiEESE_NS9_11use_defaultESI_EESE_iNS9_4plusIvEENS9_8equal_toIvEEiEE10hipError_tPvRmT2_T3_T4_T5_mT6_T7_P12ihipStream_tbENKUlT_T0_E_clISt17integral_constantIbLb1EES13_IbLb0EEEEDaSZ_S10_EUlSZ_E_NS1_11comp_targetILNS1_3genE0ELNS1_11target_archE4294967295ELNS1_3gpuE0ELNS1_3repE0EEENS1_30default_config_static_selectorELNS0_4arch9wavefront6targetE1EEEvT1_ ; -- Begin function _ZN7rocprim17ROCPRIM_400000_NS6detail17trampoline_kernelINS0_14default_configENS1_27scan_by_key_config_selectorIiiEEZZNS1_16scan_by_key_implILNS1_25lookback_scan_determinismE0ELb0ES3_N6thrust23THRUST_200600_302600_NS6detail15normal_iteratorINS9_10device_ptrIiEEEENS9_18transform_iteratorINS9_6negateIiEESE_NS9_11use_defaultESI_EESE_iNS9_4plusIvEENS9_8equal_toIvEEiEE10hipError_tPvRmT2_T3_T4_T5_mT6_T7_P12ihipStream_tbENKUlT_T0_E_clISt17integral_constantIbLb1EES13_IbLb0EEEEDaSZ_S10_EUlSZ_E_NS1_11comp_targetILNS1_3genE0ELNS1_11target_archE4294967295ELNS1_3gpuE0ELNS1_3repE0EEENS1_30default_config_static_selectorELNS0_4arch9wavefront6targetE1EEEvT1_
	.globl	_ZN7rocprim17ROCPRIM_400000_NS6detail17trampoline_kernelINS0_14default_configENS1_27scan_by_key_config_selectorIiiEEZZNS1_16scan_by_key_implILNS1_25lookback_scan_determinismE0ELb0ES3_N6thrust23THRUST_200600_302600_NS6detail15normal_iteratorINS9_10device_ptrIiEEEENS9_18transform_iteratorINS9_6negateIiEESE_NS9_11use_defaultESI_EESE_iNS9_4plusIvEENS9_8equal_toIvEEiEE10hipError_tPvRmT2_T3_T4_T5_mT6_T7_P12ihipStream_tbENKUlT_T0_E_clISt17integral_constantIbLb1EES13_IbLb0EEEEDaSZ_S10_EUlSZ_E_NS1_11comp_targetILNS1_3genE0ELNS1_11target_archE4294967295ELNS1_3gpuE0ELNS1_3repE0EEENS1_30default_config_static_selectorELNS0_4arch9wavefront6targetE1EEEvT1_
	.p2align	8
	.type	_ZN7rocprim17ROCPRIM_400000_NS6detail17trampoline_kernelINS0_14default_configENS1_27scan_by_key_config_selectorIiiEEZZNS1_16scan_by_key_implILNS1_25lookback_scan_determinismE0ELb0ES3_N6thrust23THRUST_200600_302600_NS6detail15normal_iteratorINS9_10device_ptrIiEEEENS9_18transform_iteratorINS9_6negateIiEESE_NS9_11use_defaultESI_EESE_iNS9_4plusIvEENS9_8equal_toIvEEiEE10hipError_tPvRmT2_T3_T4_T5_mT6_T7_P12ihipStream_tbENKUlT_T0_E_clISt17integral_constantIbLb1EES13_IbLb0EEEEDaSZ_S10_EUlSZ_E_NS1_11comp_targetILNS1_3genE0ELNS1_11target_archE4294967295ELNS1_3gpuE0ELNS1_3repE0EEENS1_30default_config_static_selectorELNS0_4arch9wavefront6targetE1EEEvT1_,@function
_ZN7rocprim17ROCPRIM_400000_NS6detail17trampoline_kernelINS0_14default_configENS1_27scan_by_key_config_selectorIiiEEZZNS1_16scan_by_key_implILNS1_25lookback_scan_determinismE0ELb0ES3_N6thrust23THRUST_200600_302600_NS6detail15normal_iteratorINS9_10device_ptrIiEEEENS9_18transform_iteratorINS9_6negateIiEESE_NS9_11use_defaultESI_EESE_iNS9_4plusIvEENS9_8equal_toIvEEiEE10hipError_tPvRmT2_T3_T4_T5_mT6_T7_P12ihipStream_tbENKUlT_T0_E_clISt17integral_constantIbLb1EES13_IbLb0EEEEDaSZ_S10_EUlSZ_E_NS1_11comp_targetILNS1_3genE0ELNS1_11target_archE4294967295ELNS1_3gpuE0ELNS1_3repE0EEENS1_30default_config_static_selectorELNS0_4arch9wavefront6targetE1EEEvT1_: ; @_ZN7rocprim17ROCPRIM_400000_NS6detail17trampoline_kernelINS0_14default_configENS1_27scan_by_key_config_selectorIiiEEZZNS1_16scan_by_key_implILNS1_25lookback_scan_determinismE0ELb0ES3_N6thrust23THRUST_200600_302600_NS6detail15normal_iteratorINS9_10device_ptrIiEEEENS9_18transform_iteratorINS9_6negateIiEESE_NS9_11use_defaultESI_EESE_iNS9_4plusIvEENS9_8equal_toIvEEiEE10hipError_tPvRmT2_T3_T4_T5_mT6_T7_P12ihipStream_tbENKUlT_T0_E_clISt17integral_constantIbLb1EES13_IbLb0EEEEDaSZ_S10_EUlSZ_E_NS1_11comp_targetILNS1_3genE0ELNS1_11target_archE4294967295ELNS1_3gpuE0ELNS1_3repE0EEENS1_30default_config_static_selectorELNS0_4arch9wavefront6targetE1EEEvT1_
; %bb.0:
	.section	.rodata,"a",@progbits
	.p2align	6, 0x0
	.amdhsa_kernel _ZN7rocprim17ROCPRIM_400000_NS6detail17trampoline_kernelINS0_14default_configENS1_27scan_by_key_config_selectorIiiEEZZNS1_16scan_by_key_implILNS1_25lookback_scan_determinismE0ELb0ES3_N6thrust23THRUST_200600_302600_NS6detail15normal_iteratorINS9_10device_ptrIiEEEENS9_18transform_iteratorINS9_6negateIiEESE_NS9_11use_defaultESI_EESE_iNS9_4plusIvEENS9_8equal_toIvEEiEE10hipError_tPvRmT2_T3_T4_T5_mT6_T7_P12ihipStream_tbENKUlT_T0_E_clISt17integral_constantIbLb1EES13_IbLb0EEEEDaSZ_S10_EUlSZ_E_NS1_11comp_targetILNS1_3genE0ELNS1_11target_archE4294967295ELNS1_3gpuE0ELNS1_3repE0EEENS1_30default_config_static_selectorELNS0_4arch9wavefront6targetE1EEEvT1_
		.amdhsa_group_segment_fixed_size 0
		.amdhsa_private_segment_fixed_size 0
		.amdhsa_kernarg_size 120
		.amdhsa_user_sgpr_count 2
		.amdhsa_user_sgpr_dispatch_ptr 0
		.amdhsa_user_sgpr_queue_ptr 0
		.amdhsa_user_sgpr_kernarg_segment_ptr 1
		.amdhsa_user_sgpr_dispatch_id 0
		.amdhsa_user_sgpr_kernarg_preload_length 0
		.amdhsa_user_sgpr_kernarg_preload_offset 0
		.amdhsa_user_sgpr_private_segment_size 0
		.amdhsa_uses_dynamic_stack 0
		.amdhsa_enable_private_segment 0
		.amdhsa_system_sgpr_workgroup_id_x 1
		.amdhsa_system_sgpr_workgroup_id_y 0
		.amdhsa_system_sgpr_workgroup_id_z 0
		.amdhsa_system_sgpr_workgroup_info 0
		.amdhsa_system_vgpr_workitem_id 0
		.amdhsa_next_free_vgpr 1
		.amdhsa_next_free_sgpr 0
		.amdhsa_accum_offset 4
		.amdhsa_reserve_vcc 0
		.amdhsa_float_round_mode_32 0
		.amdhsa_float_round_mode_16_64 0
		.amdhsa_float_denorm_mode_32 3
		.amdhsa_float_denorm_mode_16_64 3
		.amdhsa_dx10_clamp 1
		.amdhsa_ieee_mode 1
		.amdhsa_fp16_overflow 0
		.amdhsa_tg_split 0
		.amdhsa_exception_fp_ieee_invalid_op 0
		.amdhsa_exception_fp_denorm_src 0
		.amdhsa_exception_fp_ieee_div_zero 0
		.amdhsa_exception_fp_ieee_overflow 0
		.amdhsa_exception_fp_ieee_underflow 0
		.amdhsa_exception_fp_ieee_inexact 0
		.amdhsa_exception_int_div_zero 0
	.end_amdhsa_kernel
	.section	.text._ZN7rocprim17ROCPRIM_400000_NS6detail17trampoline_kernelINS0_14default_configENS1_27scan_by_key_config_selectorIiiEEZZNS1_16scan_by_key_implILNS1_25lookback_scan_determinismE0ELb0ES3_N6thrust23THRUST_200600_302600_NS6detail15normal_iteratorINS9_10device_ptrIiEEEENS9_18transform_iteratorINS9_6negateIiEESE_NS9_11use_defaultESI_EESE_iNS9_4plusIvEENS9_8equal_toIvEEiEE10hipError_tPvRmT2_T3_T4_T5_mT6_T7_P12ihipStream_tbENKUlT_T0_E_clISt17integral_constantIbLb1EES13_IbLb0EEEEDaSZ_S10_EUlSZ_E_NS1_11comp_targetILNS1_3genE0ELNS1_11target_archE4294967295ELNS1_3gpuE0ELNS1_3repE0EEENS1_30default_config_static_selectorELNS0_4arch9wavefront6targetE1EEEvT1_,"axG",@progbits,_ZN7rocprim17ROCPRIM_400000_NS6detail17trampoline_kernelINS0_14default_configENS1_27scan_by_key_config_selectorIiiEEZZNS1_16scan_by_key_implILNS1_25lookback_scan_determinismE0ELb0ES3_N6thrust23THRUST_200600_302600_NS6detail15normal_iteratorINS9_10device_ptrIiEEEENS9_18transform_iteratorINS9_6negateIiEESE_NS9_11use_defaultESI_EESE_iNS9_4plusIvEENS9_8equal_toIvEEiEE10hipError_tPvRmT2_T3_T4_T5_mT6_T7_P12ihipStream_tbENKUlT_T0_E_clISt17integral_constantIbLb1EES13_IbLb0EEEEDaSZ_S10_EUlSZ_E_NS1_11comp_targetILNS1_3genE0ELNS1_11target_archE4294967295ELNS1_3gpuE0ELNS1_3repE0EEENS1_30default_config_static_selectorELNS0_4arch9wavefront6targetE1EEEvT1_,comdat
.Lfunc_end947:
	.size	_ZN7rocprim17ROCPRIM_400000_NS6detail17trampoline_kernelINS0_14default_configENS1_27scan_by_key_config_selectorIiiEEZZNS1_16scan_by_key_implILNS1_25lookback_scan_determinismE0ELb0ES3_N6thrust23THRUST_200600_302600_NS6detail15normal_iteratorINS9_10device_ptrIiEEEENS9_18transform_iteratorINS9_6negateIiEESE_NS9_11use_defaultESI_EESE_iNS9_4plusIvEENS9_8equal_toIvEEiEE10hipError_tPvRmT2_T3_T4_T5_mT6_T7_P12ihipStream_tbENKUlT_T0_E_clISt17integral_constantIbLb1EES13_IbLb0EEEEDaSZ_S10_EUlSZ_E_NS1_11comp_targetILNS1_3genE0ELNS1_11target_archE4294967295ELNS1_3gpuE0ELNS1_3repE0EEENS1_30default_config_static_selectorELNS0_4arch9wavefront6targetE1EEEvT1_, .Lfunc_end947-_ZN7rocprim17ROCPRIM_400000_NS6detail17trampoline_kernelINS0_14default_configENS1_27scan_by_key_config_selectorIiiEEZZNS1_16scan_by_key_implILNS1_25lookback_scan_determinismE0ELb0ES3_N6thrust23THRUST_200600_302600_NS6detail15normal_iteratorINS9_10device_ptrIiEEEENS9_18transform_iteratorINS9_6negateIiEESE_NS9_11use_defaultESI_EESE_iNS9_4plusIvEENS9_8equal_toIvEEiEE10hipError_tPvRmT2_T3_T4_T5_mT6_T7_P12ihipStream_tbENKUlT_T0_E_clISt17integral_constantIbLb1EES13_IbLb0EEEEDaSZ_S10_EUlSZ_E_NS1_11comp_targetILNS1_3genE0ELNS1_11target_archE4294967295ELNS1_3gpuE0ELNS1_3repE0EEENS1_30default_config_static_selectorELNS0_4arch9wavefront6targetE1EEEvT1_
                                        ; -- End function
	.section	.AMDGPU.csdata,"",@progbits
; Kernel info:
; codeLenInByte = 0
; NumSgprs: 6
; NumVgprs: 0
; NumAgprs: 0
; TotalNumVgprs: 0
; ScratchSize: 0
; MemoryBound: 0
; FloatMode: 240
; IeeeMode: 1
; LDSByteSize: 0 bytes/workgroup (compile time only)
; SGPRBlocks: 0
; VGPRBlocks: 0
; NumSGPRsForWavesPerEU: 6
; NumVGPRsForWavesPerEU: 1
; AccumOffset: 4
; Occupancy: 8
; WaveLimiterHint : 0
; COMPUTE_PGM_RSRC2:SCRATCH_EN: 0
; COMPUTE_PGM_RSRC2:USER_SGPR: 2
; COMPUTE_PGM_RSRC2:TRAP_HANDLER: 0
; COMPUTE_PGM_RSRC2:TGID_X_EN: 1
; COMPUTE_PGM_RSRC2:TGID_Y_EN: 0
; COMPUTE_PGM_RSRC2:TGID_Z_EN: 0
; COMPUTE_PGM_RSRC2:TIDIG_COMP_CNT: 0
; COMPUTE_PGM_RSRC3_GFX90A:ACCUM_OFFSET: 0
; COMPUTE_PGM_RSRC3_GFX90A:TG_SPLIT: 0
	.section	.text._ZN7rocprim17ROCPRIM_400000_NS6detail17trampoline_kernelINS0_14default_configENS1_27scan_by_key_config_selectorIiiEEZZNS1_16scan_by_key_implILNS1_25lookback_scan_determinismE0ELb0ES3_N6thrust23THRUST_200600_302600_NS6detail15normal_iteratorINS9_10device_ptrIiEEEENS9_18transform_iteratorINS9_6negateIiEESE_NS9_11use_defaultESI_EESE_iNS9_4plusIvEENS9_8equal_toIvEEiEE10hipError_tPvRmT2_T3_T4_T5_mT6_T7_P12ihipStream_tbENKUlT_T0_E_clISt17integral_constantIbLb1EES13_IbLb0EEEEDaSZ_S10_EUlSZ_E_NS1_11comp_targetILNS1_3genE10ELNS1_11target_archE1201ELNS1_3gpuE5ELNS1_3repE0EEENS1_30default_config_static_selectorELNS0_4arch9wavefront6targetE1EEEvT1_,"axG",@progbits,_ZN7rocprim17ROCPRIM_400000_NS6detail17trampoline_kernelINS0_14default_configENS1_27scan_by_key_config_selectorIiiEEZZNS1_16scan_by_key_implILNS1_25lookback_scan_determinismE0ELb0ES3_N6thrust23THRUST_200600_302600_NS6detail15normal_iteratorINS9_10device_ptrIiEEEENS9_18transform_iteratorINS9_6negateIiEESE_NS9_11use_defaultESI_EESE_iNS9_4plusIvEENS9_8equal_toIvEEiEE10hipError_tPvRmT2_T3_T4_T5_mT6_T7_P12ihipStream_tbENKUlT_T0_E_clISt17integral_constantIbLb1EES13_IbLb0EEEEDaSZ_S10_EUlSZ_E_NS1_11comp_targetILNS1_3genE10ELNS1_11target_archE1201ELNS1_3gpuE5ELNS1_3repE0EEENS1_30default_config_static_selectorELNS0_4arch9wavefront6targetE1EEEvT1_,comdat
	.protected	_ZN7rocprim17ROCPRIM_400000_NS6detail17trampoline_kernelINS0_14default_configENS1_27scan_by_key_config_selectorIiiEEZZNS1_16scan_by_key_implILNS1_25lookback_scan_determinismE0ELb0ES3_N6thrust23THRUST_200600_302600_NS6detail15normal_iteratorINS9_10device_ptrIiEEEENS9_18transform_iteratorINS9_6negateIiEESE_NS9_11use_defaultESI_EESE_iNS9_4plusIvEENS9_8equal_toIvEEiEE10hipError_tPvRmT2_T3_T4_T5_mT6_T7_P12ihipStream_tbENKUlT_T0_E_clISt17integral_constantIbLb1EES13_IbLb0EEEEDaSZ_S10_EUlSZ_E_NS1_11comp_targetILNS1_3genE10ELNS1_11target_archE1201ELNS1_3gpuE5ELNS1_3repE0EEENS1_30default_config_static_selectorELNS0_4arch9wavefront6targetE1EEEvT1_ ; -- Begin function _ZN7rocprim17ROCPRIM_400000_NS6detail17trampoline_kernelINS0_14default_configENS1_27scan_by_key_config_selectorIiiEEZZNS1_16scan_by_key_implILNS1_25lookback_scan_determinismE0ELb0ES3_N6thrust23THRUST_200600_302600_NS6detail15normal_iteratorINS9_10device_ptrIiEEEENS9_18transform_iteratorINS9_6negateIiEESE_NS9_11use_defaultESI_EESE_iNS9_4plusIvEENS9_8equal_toIvEEiEE10hipError_tPvRmT2_T3_T4_T5_mT6_T7_P12ihipStream_tbENKUlT_T0_E_clISt17integral_constantIbLb1EES13_IbLb0EEEEDaSZ_S10_EUlSZ_E_NS1_11comp_targetILNS1_3genE10ELNS1_11target_archE1201ELNS1_3gpuE5ELNS1_3repE0EEENS1_30default_config_static_selectorELNS0_4arch9wavefront6targetE1EEEvT1_
	.globl	_ZN7rocprim17ROCPRIM_400000_NS6detail17trampoline_kernelINS0_14default_configENS1_27scan_by_key_config_selectorIiiEEZZNS1_16scan_by_key_implILNS1_25lookback_scan_determinismE0ELb0ES3_N6thrust23THRUST_200600_302600_NS6detail15normal_iteratorINS9_10device_ptrIiEEEENS9_18transform_iteratorINS9_6negateIiEESE_NS9_11use_defaultESI_EESE_iNS9_4plusIvEENS9_8equal_toIvEEiEE10hipError_tPvRmT2_T3_T4_T5_mT6_T7_P12ihipStream_tbENKUlT_T0_E_clISt17integral_constantIbLb1EES13_IbLb0EEEEDaSZ_S10_EUlSZ_E_NS1_11comp_targetILNS1_3genE10ELNS1_11target_archE1201ELNS1_3gpuE5ELNS1_3repE0EEENS1_30default_config_static_selectorELNS0_4arch9wavefront6targetE1EEEvT1_
	.p2align	8
	.type	_ZN7rocprim17ROCPRIM_400000_NS6detail17trampoline_kernelINS0_14default_configENS1_27scan_by_key_config_selectorIiiEEZZNS1_16scan_by_key_implILNS1_25lookback_scan_determinismE0ELb0ES3_N6thrust23THRUST_200600_302600_NS6detail15normal_iteratorINS9_10device_ptrIiEEEENS9_18transform_iteratorINS9_6negateIiEESE_NS9_11use_defaultESI_EESE_iNS9_4plusIvEENS9_8equal_toIvEEiEE10hipError_tPvRmT2_T3_T4_T5_mT6_T7_P12ihipStream_tbENKUlT_T0_E_clISt17integral_constantIbLb1EES13_IbLb0EEEEDaSZ_S10_EUlSZ_E_NS1_11comp_targetILNS1_3genE10ELNS1_11target_archE1201ELNS1_3gpuE5ELNS1_3repE0EEENS1_30default_config_static_selectorELNS0_4arch9wavefront6targetE1EEEvT1_,@function
_ZN7rocprim17ROCPRIM_400000_NS6detail17trampoline_kernelINS0_14default_configENS1_27scan_by_key_config_selectorIiiEEZZNS1_16scan_by_key_implILNS1_25lookback_scan_determinismE0ELb0ES3_N6thrust23THRUST_200600_302600_NS6detail15normal_iteratorINS9_10device_ptrIiEEEENS9_18transform_iteratorINS9_6negateIiEESE_NS9_11use_defaultESI_EESE_iNS9_4plusIvEENS9_8equal_toIvEEiEE10hipError_tPvRmT2_T3_T4_T5_mT6_T7_P12ihipStream_tbENKUlT_T0_E_clISt17integral_constantIbLb1EES13_IbLb0EEEEDaSZ_S10_EUlSZ_E_NS1_11comp_targetILNS1_3genE10ELNS1_11target_archE1201ELNS1_3gpuE5ELNS1_3repE0EEENS1_30default_config_static_selectorELNS0_4arch9wavefront6targetE1EEEvT1_: ; @_ZN7rocprim17ROCPRIM_400000_NS6detail17trampoline_kernelINS0_14default_configENS1_27scan_by_key_config_selectorIiiEEZZNS1_16scan_by_key_implILNS1_25lookback_scan_determinismE0ELb0ES3_N6thrust23THRUST_200600_302600_NS6detail15normal_iteratorINS9_10device_ptrIiEEEENS9_18transform_iteratorINS9_6negateIiEESE_NS9_11use_defaultESI_EESE_iNS9_4plusIvEENS9_8equal_toIvEEiEE10hipError_tPvRmT2_T3_T4_T5_mT6_T7_P12ihipStream_tbENKUlT_T0_E_clISt17integral_constantIbLb1EES13_IbLb0EEEEDaSZ_S10_EUlSZ_E_NS1_11comp_targetILNS1_3genE10ELNS1_11target_archE1201ELNS1_3gpuE5ELNS1_3repE0EEENS1_30default_config_static_selectorELNS0_4arch9wavefront6targetE1EEEvT1_
; %bb.0:
	.section	.rodata,"a",@progbits
	.p2align	6, 0x0
	.amdhsa_kernel _ZN7rocprim17ROCPRIM_400000_NS6detail17trampoline_kernelINS0_14default_configENS1_27scan_by_key_config_selectorIiiEEZZNS1_16scan_by_key_implILNS1_25lookback_scan_determinismE0ELb0ES3_N6thrust23THRUST_200600_302600_NS6detail15normal_iteratorINS9_10device_ptrIiEEEENS9_18transform_iteratorINS9_6negateIiEESE_NS9_11use_defaultESI_EESE_iNS9_4plusIvEENS9_8equal_toIvEEiEE10hipError_tPvRmT2_T3_T4_T5_mT6_T7_P12ihipStream_tbENKUlT_T0_E_clISt17integral_constantIbLb1EES13_IbLb0EEEEDaSZ_S10_EUlSZ_E_NS1_11comp_targetILNS1_3genE10ELNS1_11target_archE1201ELNS1_3gpuE5ELNS1_3repE0EEENS1_30default_config_static_selectorELNS0_4arch9wavefront6targetE1EEEvT1_
		.amdhsa_group_segment_fixed_size 0
		.amdhsa_private_segment_fixed_size 0
		.amdhsa_kernarg_size 120
		.amdhsa_user_sgpr_count 2
		.amdhsa_user_sgpr_dispatch_ptr 0
		.amdhsa_user_sgpr_queue_ptr 0
		.amdhsa_user_sgpr_kernarg_segment_ptr 1
		.amdhsa_user_sgpr_dispatch_id 0
		.amdhsa_user_sgpr_kernarg_preload_length 0
		.amdhsa_user_sgpr_kernarg_preload_offset 0
		.amdhsa_user_sgpr_private_segment_size 0
		.amdhsa_uses_dynamic_stack 0
		.amdhsa_enable_private_segment 0
		.amdhsa_system_sgpr_workgroup_id_x 1
		.amdhsa_system_sgpr_workgroup_id_y 0
		.amdhsa_system_sgpr_workgroup_id_z 0
		.amdhsa_system_sgpr_workgroup_info 0
		.amdhsa_system_vgpr_workitem_id 0
		.amdhsa_next_free_vgpr 1
		.amdhsa_next_free_sgpr 0
		.amdhsa_accum_offset 4
		.amdhsa_reserve_vcc 0
		.amdhsa_float_round_mode_32 0
		.amdhsa_float_round_mode_16_64 0
		.amdhsa_float_denorm_mode_32 3
		.amdhsa_float_denorm_mode_16_64 3
		.amdhsa_dx10_clamp 1
		.amdhsa_ieee_mode 1
		.amdhsa_fp16_overflow 0
		.amdhsa_tg_split 0
		.amdhsa_exception_fp_ieee_invalid_op 0
		.amdhsa_exception_fp_denorm_src 0
		.amdhsa_exception_fp_ieee_div_zero 0
		.amdhsa_exception_fp_ieee_overflow 0
		.amdhsa_exception_fp_ieee_underflow 0
		.amdhsa_exception_fp_ieee_inexact 0
		.amdhsa_exception_int_div_zero 0
	.end_amdhsa_kernel
	.section	.text._ZN7rocprim17ROCPRIM_400000_NS6detail17trampoline_kernelINS0_14default_configENS1_27scan_by_key_config_selectorIiiEEZZNS1_16scan_by_key_implILNS1_25lookback_scan_determinismE0ELb0ES3_N6thrust23THRUST_200600_302600_NS6detail15normal_iteratorINS9_10device_ptrIiEEEENS9_18transform_iteratorINS9_6negateIiEESE_NS9_11use_defaultESI_EESE_iNS9_4plusIvEENS9_8equal_toIvEEiEE10hipError_tPvRmT2_T3_T4_T5_mT6_T7_P12ihipStream_tbENKUlT_T0_E_clISt17integral_constantIbLb1EES13_IbLb0EEEEDaSZ_S10_EUlSZ_E_NS1_11comp_targetILNS1_3genE10ELNS1_11target_archE1201ELNS1_3gpuE5ELNS1_3repE0EEENS1_30default_config_static_selectorELNS0_4arch9wavefront6targetE1EEEvT1_,"axG",@progbits,_ZN7rocprim17ROCPRIM_400000_NS6detail17trampoline_kernelINS0_14default_configENS1_27scan_by_key_config_selectorIiiEEZZNS1_16scan_by_key_implILNS1_25lookback_scan_determinismE0ELb0ES3_N6thrust23THRUST_200600_302600_NS6detail15normal_iteratorINS9_10device_ptrIiEEEENS9_18transform_iteratorINS9_6negateIiEESE_NS9_11use_defaultESI_EESE_iNS9_4plusIvEENS9_8equal_toIvEEiEE10hipError_tPvRmT2_T3_T4_T5_mT6_T7_P12ihipStream_tbENKUlT_T0_E_clISt17integral_constantIbLb1EES13_IbLb0EEEEDaSZ_S10_EUlSZ_E_NS1_11comp_targetILNS1_3genE10ELNS1_11target_archE1201ELNS1_3gpuE5ELNS1_3repE0EEENS1_30default_config_static_selectorELNS0_4arch9wavefront6targetE1EEEvT1_,comdat
.Lfunc_end948:
	.size	_ZN7rocprim17ROCPRIM_400000_NS6detail17trampoline_kernelINS0_14default_configENS1_27scan_by_key_config_selectorIiiEEZZNS1_16scan_by_key_implILNS1_25lookback_scan_determinismE0ELb0ES3_N6thrust23THRUST_200600_302600_NS6detail15normal_iteratorINS9_10device_ptrIiEEEENS9_18transform_iteratorINS9_6negateIiEESE_NS9_11use_defaultESI_EESE_iNS9_4plusIvEENS9_8equal_toIvEEiEE10hipError_tPvRmT2_T3_T4_T5_mT6_T7_P12ihipStream_tbENKUlT_T0_E_clISt17integral_constantIbLb1EES13_IbLb0EEEEDaSZ_S10_EUlSZ_E_NS1_11comp_targetILNS1_3genE10ELNS1_11target_archE1201ELNS1_3gpuE5ELNS1_3repE0EEENS1_30default_config_static_selectorELNS0_4arch9wavefront6targetE1EEEvT1_, .Lfunc_end948-_ZN7rocprim17ROCPRIM_400000_NS6detail17trampoline_kernelINS0_14default_configENS1_27scan_by_key_config_selectorIiiEEZZNS1_16scan_by_key_implILNS1_25lookback_scan_determinismE0ELb0ES3_N6thrust23THRUST_200600_302600_NS6detail15normal_iteratorINS9_10device_ptrIiEEEENS9_18transform_iteratorINS9_6negateIiEESE_NS9_11use_defaultESI_EESE_iNS9_4plusIvEENS9_8equal_toIvEEiEE10hipError_tPvRmT2_T3_T4_T5_mT6_T7_P12ihipStream_tbENKUlT_T0_E_clISt17integral_constantIbLb1EES13_IbLb0EEEEDaSZ_S10_EUlSZ_E_NS1_11comp_targetILNS1_3genE10ELNS1_11target_archE1201ELNS1_3gpuE5ELNS1_3repE0EEENS1_30default_config_static_selectorELNS0_4arch9wavefront6targetE1EEEvT1_
                                        ; -- End function
	.section	.AMDGPU.csdata,"",@progbits
; Kernel info:
; codeLenInByte = 0
; NumSgprs: 6
; NumVgprs: 0
; NumAgprs: 0
; TotalNumVgprs: 0
; ScratchSize: 0
; MemoryBound: 0
; FloatMode: 240
; IeeeMode: 1
; LDSByteSize: 0 bytes/workgroup (compile time only)
; SGPRBlocks: 0
; VGPRBlocks: 0
; NumSGPRsForWavesPerEU: 6
; NumVGPRsForWavesPerEU: 1
; AccumOffset: 4
; Occupancy: 8
; WaveLimiterHint : 0
; COMPUTE_PGM_RSRC2:SCRATCH_EN: 0
; COMPUTE_PGM_RSRC2:USER_SGPR: 2
; COMPUTE_PGM_RSRC2:TRAP_HANDLER: 0
; COMPUTE_PGM_RSRC2:TGID_X_EN: 1
; COMPUTE_PGM_RSRC2:TGID_Y_EN: 0
; COMPUTE_PGM_RSRC2:TGID_Z_EN: 0
; COMPUTE_PGM_RSRC2:TIDIG_COMP_CNT: 0
; COMPUTE_PGM_RSRC3_GFX90A:ACCUM_OFFSET: 0
; COMPUTE_PGM_RSRC3_GFX90A:TG_SPLIT: 0
	.section	.text._ZN7rocprim17ROCPRIM_400000_NS6detail17trampoline_kernelINS0_14default_configENS1_27scan_by_key_config_selectorIiiEEZZNS1_16scan_by_key_implILNS1_25lookback_scan_determinismE0ELb0ES3_N6thrust23THRUST_200600_302600_NS6detail15normal_iteratorINS9_10device_ptrIiEEEENS9_18transform_iteratorINS9_6negateIiEESE_NS9_11use_defaultESI_EESE_iNS9_4plusIvEENS9_8equal_toIvEEiEE10hipError_tPvRmT2_T3_T4_T5_mT6_T7_P12ihipStream_tbENKUlT_T0_E_clISt17integral_constantIbLb1EES13_IbLb0EEEEDaSZ_S10_EUlSZ_E_NS1_11comp_targetILNS1_3genE5ELNS1_11target_archE942ELNS1_3gpuE9ELNS1_3repE0EEENS1_30default_config_static_selectorELNS0_4arch9wavefront6targetE1EEEvT1_,"axG",@progbits,_ZN7rocprim17ROCPRIM_400000_NS6detail17trampoline_kernelINS0_14default_configENS1_27scan_by_key_config_selectorIiiEEZZNS1_16scan_by_key_implILNS1_25lookback_scan_determinismE0ELb0ES3_N6thrust23THRUST_200600_302600_NS6detail15normal_iteratorINS9_10device_ptrIiEEEENS9_18transform_iteratorINS9_6negateIiEESE_NS9_11use_defaultESI_EESE_iNS9_4plusIvEENS9_8equal_toIvEEiEE10hipError_tPvRmT2_T3_T4_T5_mT6_T7_P12ihipStream_tbENKUlT_T0_E_clISt17integral_constantIbLb1EES13_IbLb0EEEEDaSZ_S10_EUlSZ_E_NS1_11comp_targetILNS1_3genE5ELNS1_11target_archE942ELNS1_3gpuE9ELNS1_3repE0EEENS1_30default_config_static_selectorELNS0_4arch9wavefront6targetE1EEEvT1_,comdat
	.protected	_ZN7rocprim17ROCPRIM_400000_NS6detail17trampoline_kernelINS0_14default_configENS1_27scan_by_key_config_selectorIiiEEZZNS1_16scan_by_key_implILNS1_25lookback_scan_determinismE0ELb0ES3_N6thrust23THRUST_200600_302600_NS6detail15normal_iteratorINS9_10device_ptrIiEEEENS9_18transform_iteratorINS9_6negateIiEESE_NS9_11use_defaultESI_EESE_iNS9_4plusIvEENS9_8equal_toIvEEiEE10hipError_tPvRmT2_T3_T4_T5_mT6_T7_P12ihipStream_tbENKUlT_T0_E_clISt17integral_constantIbLb1EES13_IbLb0EEEEDaSZ_S10_EUlSZ_E_NS1_11comp_targetILNS1_3genE5ELNS1_11target_archE942ELNS1_3gpuE9ELNS1_3repE0EEENS1_30default_config_static_selectorELNS0_4arch9wavefront6targetE1EEEvT1_ ; -- Begin function _ZN7rocprim17ROCPRIM_400000_NS6detail17trampoline_kernelINS0_14default_configENS1_27scan_by_key_config_selectorIiiEEZZNS1_16scan_by_key_implILNS1_25lookback_scan_determinismE0ELb0ES3_N6thrust23THRUST_200600_302600_NS6detail15normal_iteratorINS9_10device_ptrIiEEEENS9_18transform_iteratorINS9_6negateIiEESE_NS9_11use_defaultESI_EESE_iNS9_4plusIvEENS9_8equal_toIvEEiEE10hipError_tPvRmT2_T3_T4_T5_mT6_T7_P12ihipStream_tbENKUlT_T0_E_clISt17integral_constantIbLb1EES13_IbLb0EEEEDaSZ_S10_EUlSZ_E_NS1_11comp_targetILNS1_3genE5ELNS1_11target_archE942ELNS1_3gpuE9ELNS1_3repE0EEENS1_30default_config_static_selectorELNS0_4arch9wavefront6targetE1EEEvT1_
	.globl	_ZN7rocprim17ROCPRIM_400000_NS6detail17trampoline_kernelINS0_14default_configENS1_27scan_by_key_config_selectorIiiEEZZNS1_16scan_by_key_implILNS1_25lookback_scan_determinismE0ELb0ES3_N6thrust23THRUST_200600_302600_NS6detail15normal_iteratorINS9_10device_ptrIiEEEENS9_18transform_iteratorINS9_6negateIiEESE_NS9_11use_defaultESI_EESE_iNS9_4plusIvEENS9_8equal_toIvEEiEE10hipError_tPvRmT2_T3_T4_T5_mT6_T7_P12ihipStream_tbENKUlT_T0_E_clISt17integral_constantIbLb1EES13_IbLb0EEEEDaSZ_S10_EUlSZ_E_NS1_11comp_targetILNS1_3genE5ELNS1_11target_archE942ELNS1_3gpuE9ELNS1_3repE0EEENS1_30default_config_static_selectorELNS0_4arch9wavefront6targetE1EEEvT1_
	.p2align	8
	.type	_ZN7rocprim17ROCPRIM_400000_NS6detail17trampoline_kernelINS0_14default_configENS1_27scan_by_key_config_selectorIiiEEZZNS1_16scan_by_key_implILNS1_25lookback_scan_determinismE0ELb0ES3_N6thrust23THRUST_200600_302600_NS6detail15normal_iteratorINS9_10device_ptrIiEEEENS9_18transform_iteratorINS9_6negateIiEESE_NS9_11use_defaultESI_EESE_iNS9_4plusIvEENS9_8equal_toIvEEiEE10hipError_tPvRmT2_T3_T4_T5_mT6_T7_P12ihipStream_tbENKUlT_T0_E_clISt17integral_constantIbLb1EES13_IbLb0EEEEDaSZ_S10_EUlSZ_E_NS1_11comp_targetILNS1_3genE5ELNS1_11target_archE942ELNS1_3gpuE9ELNS1_3repE0EEENS1_30default_config_static_selectorELNS0_4arch9wavefront6targetE1EEEvT1_,@function
_ZN7rocprim17ROCPRIM_400000_NS6detail17trampoline_kernelINS0_14default_configENS1_27scan_by_key_config_selectorIiiEEZZNS1_16scan_by_key_implILNS1_25lookback_scan_determinismE0ELb0ES3_N6thrust23THRUST_200600_302600_NS6detail15normal_iteratorINS9_10device_ptrIiEEEENS9_18transform_iteratorINS9_6negateIiEESE_NS9_11use_defaultESI_EESE_iNS9_4plusIvEENS9_8equal_toIvEEiEE10hipError_tPvRmT2_T3_T4_T5_mT6_T7_P12ihipStream_tbENKUlT_T0_E_clISt17integral_constantIbLb1EES13_IbLb0EEEEDaSZ_S10_EUlSZ_E_NS1_11comp_targetILNS1_3genE5ELNS1_11target_archE942ELNS1_3gpuE9ELNS1_3repE0EEENS1_30default_config_static_selectorELNS0_4arch9wavefront6targetE1EEEvT1_: ; @_ZN7rocprim17ROCPRIM_400000_NS6detail17trampoline_kernelINS0_14default_configENS1_27scan_by_key_config_selectorIiiEEZZNS1_16scan_by_key_implILNS1_25lookback_scan_determinismE0ELb0ES3_N6thrust23THRUST_200600_302600_NS6detail15normal_iteratorINS9_10device_ptrIiEEEENS9_18transform_iteratorINS9_6negateIiEESE_NS9_11use_defaultESI_EESE_iNS9_4plusIvEENS9_8equal_toIvEEiEE10hipError_tPvRmT2_T3_T4_T5_mT6_T7_P12ihipStream_tbENKUlT_T0_E_clISt17integral_constantIbLb1EES13_IbLb0EEEEDaSZ_S10_EUlSZ_E_NS1_11comp_targetILNS1_3genE5ELNS1_11target_archE942ELNS1_3gpuE9ELNS1_3repE0EEENS1_30default_config_static_selectorELNS0_4arch9wavefront6targetE1EEEvT1_
; %bb.0:
	s_load_dwordx4 s[4:7], s[0:1], 0x0
	s_load_dwordx2 s[8:9], s[0:1], 0x10
	s_load_dwordx4 s[64:67], s[0:1], 0x30
	s_load_dwordx2 s[70:71], s[0:1], 0x40
	s_load_dword s3, s[0:1], 0x48
	s_load_dwordx8 s[56:63], s[0:1], 0x50
	s_waitcnt lgkmcnt(0)
	s_lshl_b64 s[68:69], s[6:7], 2
	s_add_u32 s6, s4, s68
	s_addc_u32 s7, s5, s69
	s_add_u32 s8, s8, s68
	s_mul_i32 s4, s71, s3
	s_mul_hi_u32 s5, s70, s3
	s_addc_u32 s9, s9, s69
	s_add_i32 s12, s5, s4
	s_cmp_lg_u64 s[60:61], 0
	s_mul_i32 s4, s2, 0x1700
	s_mov_b32 s5, 0
	s_cselect_b64 s[74:75], -1, 0
	s_lshl_b64 s[60:61], s[4:5], 2
	s_add_u32 s72, s6, s60
	s_addc_u32 s73, s7, s61
	s_add_u32 s52, s8, s60
	s_mul_i32 s3, s70, s3
	s_addc_u32 s53, s9, s61
	s_add_u32 s76, s3, s2
	s_addc_u32 s77, s12, 0
	s_add_u32 s4, s56, -1
	s_addc_u32 s5, s57, -1
	v_mov_b64_e32 v[2:3], s[4:5]
	v_cmp_ge_u64_e64 s[54:55], s[76:77], v[2:3]
	s_mov_b64 s[10:11], 0
	s_mov_b64 s[6:7], -1
	s_and_b64 vcc, exec, s[54:55]
	s_mul_i32 s33, s4, 0xffffe900
	s_barrier
	s_cbranch_vccz .LBB949_122
; %bb.1:
	v_mov_b64_e32 v[2:3], s[72:73]
	flat_load_dword v1, v[2:3]
	s_add_i32 s3, s33, s66
	v_cmp_gt_u32_e64 s[4:5], s3, v0
	s_waitcnt vmcnt(0) lgkmcnt(0)
	v_mov_b32_e32 v4, v1
	s_and_saveexec_b64 s[6:7], s[4:5]
	s_cbranch_execz .LBB949_3
; %bb.2:
	v_lshlrev_b32_e32 v2, 2, v0
	v_mov_b32_e32 v3, 0
	v_lshl_add_u64 v[2:3], s[72:73], 0, v[2:3]
	flat_load_dword v4, v[2:3]
.LBB949_3:
	s_or_b64 exec, exec, s[6:7]
	v_or_b32_e32 v2, 0x100, v0
	v_cmp_gt_u32_e64 s[6:7], s3, v2
	v_mov_b32_e32 v5, v1
	s_and_saveexec_b64 s[8:9], s[6:7]
	s_cbranch_execz .LBB949_5
; %bb.4:
	v_lshlrev_b32_e32 v2, 2, v0
	v_mov_b32_e32 v3, 0
	v_lshl_add_u64 v[2:3], s[72:73], 0, v[2:3]
	flat_load_dword v5, v[2:3] offset:1024
.LBB949_5:
	s_or_b64 exec, exec, s[8:9]
	v_or_b32_e32 v2, 0x200, v0
	v_cmp_gt_u32_e64 s[8:9], s3, v2
	v_mov_b32_e32 v6, v1
	s_and_saveexec_b64 s[10:11], s[8:9]
	s_cbranch_execz .LBB949_7
; %bb.6:
	v_lshlrev_b32_e32 v2, 2, v0
	v_mov_b32_e32 v3, 0
	v_lshl_add_u64 v[2:3], s[72:73], 0, v[2:3]
	flat_load_dword v6, v[2:3] offset:2048
.LBB949_7:
	;; [unrolled: 12-line block ×3, first 2 shown]
	s_or_b64 exec, exec, s[12:13]
	v_or_b32_e32 v2, 0x400, v0
	v_cmp_gt_u32_e64 s[12:13], s3, v2
	v_mov_b32_e32 v8, v1
	s_and_saveexec_b64 s[14:15], s[12:13]
	s_cbranch_execz .LBB949_11
; %bb.10:
	v_lshlrev_b32_e32 v8, 2, v2
	v_mov_b32_e32 v9, 0
	v_lshl_add_u64 v[8:9], s[72:73], 0, v[8:9]
	flat_load_dword v8, v[8:9]
.LBB949_11:
	s_or_b64 exec, exec, s[14:15]
	v_or_b32_e32 v3, 0x500, v0
	v_cmp_gt_u32_e64 s[14:15], s3, v3
	v_mov_b32_e32 v9, v1
	s_and_saveexec_b64 s[16:17], s[14:15]
	s_cbranch_execz .LBB949_13
; %bb.12:
	v_lshlrev_b32_e32 v10, 2, v3
	v_mov_b32_e32 v11, 0
	v_lshl_add_u64 v[10:11], s[72:73], 0, v[10:11]
	flat_load_dword v9, v[10:11]
.LBB949_13:
	s_or_b64 exec, exec, s[16:17]
	v_or_b32_e32 v10, 0x600, v0
	v_cmp_gt_u32_e64 s[16:17], s3, v10
	v_mov_b32_e32 v28, v1
	s_and_saveexec_b64 s[18:19], s[16:17]
	s_cbranch_execz .LBB949_15
; %bb.14:
	v_lshlrev_b32_e32 v12, 2, v10
	v_mov_b32_e32 v13, 0
	v_lshl_add_u64 v[12:13], s[72:73], 0, v[12:13]
	flat_load_dword v28, v[12:13]
.LBB949_15:
	s_or_b64 exec, exec, s[18:19]
	v_or_b32_e32 v11, 0x700, v0
	v_cmp_gt_u32_e64 s[18:19], s3, v11
	v_mov_b32_e32 v29, v1
	s_and_saveexec_b64 s[20:21], s[18:19]
	s_cbranch_execz .LBB949_17
; %bb.16:
	v_lshlrev_b32_e32 v12, 2, v11
	v_mov_b32_e32 v13, 0
	v_lshl_add_u64 v[12:13], s[72:73], 0, v[12:13]
	flat_load_dword v29, v[12:13]
.LBB949_17:
	s_or_b64 exec, exec, s[20:21]
	v_or_b32_e32 v12, 0x800, v0
	v_cmp_gt_u32_e64 s[20:21], s3, v12
	v_mov_b32_e32 v30, v1
	s_and_saveexec_b64 s[22:23], s[20:21]
	s_cbranch_execz .LBB949_19
; %bb.18:
	v_lshlrev_b32_e32 v14, 2, v12
	v_mov_b32_e32 v15, 0
	v_lshl_add_u64 v[14:15], s[72:73], 0, v[14:15]
	flat_load_dword v30, v[14:15]
.LBB949_19:
	s_or_b64 exec, exec, s[22:23]
	v_or_b32_e32 v13, 0x900, v0
	v_cmp_gt_u32_e64 s[22:23], s3, v13
	v_mov_b32_e32 v31, v1
	s_and_saveexec_b64 s[24:25], s[22:23]
	s_cbranch_execz .LBB949_21
; %bb.20:
	v_lshlrev_b32_e32 v14, 2, v13
	v_mov_b32_e32 v15, 0
	v_lshl_add_u64 v[14:15], s[72:73], 0, v[14:15]
	flat_load_dword v31, v[14:15]
.LBB949_21:
	s_or_b64 exec, exec, s[24:25]
	v_or_b32_e32 v14, 0xa00, v0
	v_cmp_gt_u32_e64 s[24:25], s3, v14
	v_mov_b32_e32 v32, v1
	s_and_saveexec_b64 s[26:27], s[24:25]
	s_cbranch_execz .LBB949_23
; %bb.22:
	v_lshlrev_b32_e32 v16, 2, v14
	v_mov_b32_e32 v17, 0
	v_lshl_add_u64 v[16:17], s[72:73], 0, v[16:17]
	flat_load_dword v32, v[16:17]
.LBB949_23:
	s_or_b64 exec, exec, s[26:27]
	v_or_b32_e32 v15, 0xb00, v0
	v_cmp_gt_u32_e64 s[26:27], s3, v15
	v_mov_b32_e32 v33, v1
	s_and_saveexec_b64 s[28:29], s[26:27]
	s_cbranch_execz .LBB949_25
; %bb.24:
	v_lshlrev_b32_e32 v16, 2, v15
	v_mov_b32_e32 v17, 0
	v_lshl_add_u64 v[16:17], s[72:73], 0, v[16:17]
	flat_load_dword v33, v[16:17]
.LBB949_25:
	s_or_b64 exec, exec, s[28:29]
	v_or_b32_e32 v16, 0xc00, v0
	v_cmp_gt_u32_e64 s[28:29], s3, v16
	v_mov_b32_e32 v34, v1
	s_and_saveexec_b64 s[30:31], s[28:29]
	s_cbranch_execz .LBB949_27
; %bb.26:
	v_lshlrev_b32_e32 v18, 2, v16
	v_mov_b32_e32 v19, 0
	v_lshl_add_u64 v[18:19], s[72:73], 0, v[18:19]
	flat_load_dword v34, v[18:19]
.LBB949_27:
	s_or_b64 exec, exec, s[30:31]
	v_or_b32_e32 v17, 0xd00, v0
	v_cmp_gt_u32_e64 s[30:31], s3, v17
	v_mov_b32_e32 v35, v1
	s_and_saveexec_b64 s[34:35], s[30:31]
	s_cbranch_execz .LBB949_29
; %bb.28:
	v_lshlrev_b32_e32 v18, 2, v17
	v_mov_b32_e32 v19, 0
	v_lshl_add_u64 v[18:19], s[72:73], 0, v[18:19]
	flat_load_dword v35, v[18:19]
.LBB949_29:
	s_or_b64 exec, exec, s[34:35]
	v_or_b32_e32 v18, 0xe00, v0
	v_cmp_gt_u32_e64 s[34:35], s3, v18
	v_mov_b32_e32 v36, v1
	s_and_saveexec_b64 s[36:37], s[34:35]
	s_cbranch_execz .LBB949_31
; %bb.30:
	v_lshlrev_b32_e32 v20, 2, v18
	v_mov_b32_e32 v21, 0
	v_lshl_add_u64 v[20:21], s[72:73], 0, v[20:21]
	flat_load_dword v36, v[20:21]
.LBB949_31:
	s_or_b64 exec, exec, s[36:37]
	v_or_b32_e32 v19, 0xf00, v0
	v_cmp_gt_u32_e64 s[36:37], s3, v19
	v_mov_b32_e32 v37, v1
	s_and_saveexec_b64 s[38:39], s[36:37]
	s_cbranch_execz .LBB949_33
; %bb.32:
	v_lshlrev_b32_e32 v20, 2, v19
	v_mov_b32_e32 v21, 0
	v_lshl_add_u64 v[20:21], s[72:73], 0, v[20:21]
	flat_load_dword v37, v[20:21]
.LBB949_33:
	s_or_b64 exec, exec, s[38:39]
	v_or_b32_e32 v20, 0x1000, v0
	v_cmp_gt_u32_e64 s[38:39], s3, v20
	v_mov_b32_e32 v38, v1
	s_and_saveexec_b64 s[40:41], s[38:39]
	s_cbranch_execz .LBB949_35
; %bb.34:
	v_lshlrev_b32_e32 v22, 2, v20
	v_mov_b32_e32 v23, 0
	v_lshl_add_u64 v[22:23], s[72:73], 0, v[22:23]
	flat_load_dword v38, v[22:23]
.LBB949_35:
	s_or_b64 exec, exec, s[40:41]
	v_or_b32_e32 v21, 0x1100, v0
	v_cmp_gt_u32_e64 s[40:41], s3, v21
	v_mov_b32_e32 v39, v1
	s_and_saveexec_b64 s[42:43], s[40:41]
	s_cbranch_execz .LBB949_37
; %bb.36:
	v_lshlrev_b32_e32 v22, 2, v21
	v_mov_b32_e32 v23, 0
	v_lshl_add_u64 v[22:23], s[72:73], 0, v[22:23]
	flat_load_dword v39, v[22:23]
.LBB949_37:
	s_or_b64 exec, exec, s[42:43]
	v_or_b32_e32 v22, 0x1200, v0
	v_cmp_gt_u32_e64 s[42:43], s3, v22
	v_mov_b32_e32 v40, v1
	s_and_saveexec_b64 s[44:45], s[42:43]
	s_cbranch_execz .LBB949_39
; %bb.38:
	v_lshlrev_b32_e32 v24, 2, v22
	v_mov_b32_e32 v25, 0
	v_lshl_add_u64 v[24:25], s[72:73], 0, v[24:25]
	flat_load_dword v40, v[24:25]
.LBB949_39:
	s_or_b64 exec, exec, s[44:45]
	v_or_b32_e32 v23, 0x1300, v0
	v_cmp_gt_u32_e64 s[44:45], s3, v23
	v_mov_b32_e32 v41, v1
	s_and_saveexec_b64 s[46:47], s[44:45]
	s_cbranch_execz .LBB949_41
; %bb.40:
	v_lshlrev_b32_e32 v24, 2, v23
	v_mov_b32_e32 v25, 0
	v_lshl_add_u64 v[24:25], s[72:73], 0, v[24:25]
	flat_load_dword v41, v[24:25]
.LBB949_41:
	s_or_b64 exec, exec, s[46:47]
	v_or_b32_e32 v24, 0x1400, v0
	v_cmp_gt_u32_e64 s[46:47], s3, v24
	v_mov_b32_e32 v42, v1
	s_and_saveexec_b64 s[48:49], s[46:47]
	s_cbranch_execz .LBB949_43
; %bb.42:
	v_lshlrev_b32_e32 v26, 2, v24
	v_mov_b32_e32 v27, 0
	v_lshl_add_u64 v[26:27], s[72:73], 0, v[26:27]
	flat_load_dword v42, v[26:27]
.LBB949_43:
	s_or_b64 exec, exec, s[48:49]
	v_or_b32_e32 v25, 0x1500, v0
	v_cmp_gt_u32_e64 s[48:49], s3, v25
	v_mov_b32_e32 v43, v1
	s_and_saveexec_b64 s[50:51], s[48:49]
	s_cbranch_execz .LBB949_45
; %bb.44:
	v_lshlrev_b32_e32 v26, 2, v25
	v_mov_b32_e32 v27, 0
	v_lshl_add_u64 v[26:27], s[72:73], 0, v[26:27]
	flat_load_dword v43, v[26:27]
.LBB949_45:
	s_or_b64 exec, exec, s[50:51]
	v_or_b32_e32 v26, 0x1600, v0
	v_cmp_gt_u32_e64 s[50:51], s3, v26
	s_and_saveexec_b64 s[56:57], s[50:51]
	s_cbranch_execz .LBB949_47
; %bb.46:
	v_lshlrev_b32_e32 v44, 2, v26
	v_mov_b32_e32 v45, 0
	v_lshl_add_u64 v[44:45], s[72:73], 0, v[44:45]
	flat_load_dword v1, v[44:45]
.LBB949_47:
	s_or_b64 exec, exec, s[56:57]
	v_lshlrev_b32_e32 v27, 2, v0
	s_movk_i32 s56, 0x58
	s_waitcnt vmcnt(0) lgkmcnt(0)
	ds_write2st64_b32 v27, v4, v5 offset1:4
	ds_write2st64_b32 v27, v6, v7 offset0:8 offset1:12
	ds_write2st64_b32 v27, v8, v9 offset0:16 offset1:20
	ds_write2st64_b32 v27, v28, v29 offset0:24 offset1:28
	ds_write2st64_b32 v27, v30, v31 offset0:32 offset1:36
	ds_write2st64_b32 v27, v32, v33 offset0:40 offset1:44
	ds_write2st64_b32 v27, v34, v35 offset0:48 offset1:52
	ds_write2st64_b32 v27, v36, v37 offset0:56 offset1:60
	ds_write2st64_b32 v27, v38, v39 offset0:64 offset1:68
	ds_write2st64_b32 v27, v40, v41 offset0:72 offset1:76
	ds_write2st64_b32 v27, v42, v43 offset0:80 offset1:84
	ds_write_b32 v27, v1 offset:22528
	v_mad_u32_u24 v1, v0, s56, v27
	s_waitcnt lgkmcnt(0)
	s_barrier
	ds_read2_b32 v[68:69], v1 offset1:1
	ds_read2_b32 v[66:67], v1 offset0:2 offset1:3
	ds_read2_b32 v[64:65], v1 offset0:4 offset1:5
	;; [unrolled: 1-line block ×10, first 2 shown]
	ds_read_b32 v72, v1 offset:88
	s_cmp_eq_u64 s[76:77], 0
	s_mov_b64 s[56:57], s[72:73]
	s_cbranch_scc1 .LBB949_51
; %bb.48:
	s_andn2_b64 vcc, exec, s[74:75]
	s_cbranch_vccnz .LBB949_267
; %bb.49:
	s_lshl_b64 s[56:57], s[76:77], 2
	s_add_u32 s56, s62, s56
	s_addc_u32 s57, s63, s57
	s_add_u32 s56, s56, -4
	s_addc_u32 s57, s57, -1
	s_cbranch_execnz .LBB949_51
.LBB949_50:
	s_add_u32 s56, s72, -4
	s_addc_u32 s57, s73, -1
.LBB949_51:
	v_mov_b64_e32 v[28:29], s[56:57]
	flat_load_dword v70, v[28:29]
	s_movk_i32 s56, 0xffa8
	v_mad_i32_i24 v28, v0, s56, v1
	v_cmp_ne_u32_e32 vcc, 0, v0
	s_waitcnt lgkmcnt(0)
	ds_write_b32 v28, v72 offset:23552
	s_waitcnt lgkmcnt(0)
	s_barrier
	s_and_saveexec_b64 s[56:57], vcc
	s_cbranch_execz .LBB949_53
; %bb.52:
	v_mul_i32_i24_e32 v28, 0xffffffa8, v0
	v_add_u32_e32 v28, v1, v28
	s_waitcnt vmcnt(0)
	ds_read_b32 v70, v28 offset:23548
.LBB949_53:
	s_or_b64 exec, exec, s[56:57]
	s_waitcnt lgkmcnt(0)
	s_barrier
	s_waitcnt lgkmcnt(0)
                                        ; implicit-def: $vgpr28
	s_and_saveexec_b64 s[56:57], s[4:5]
	s_cbranch_execnz .LBB949_243
; %bb.54:
	s_or_b64 exec, exec, s[56:57]
                                        ; implicit-def: $vgpr29
	s_and_saveexec_b64 s[4:5], s[6:7]
	s_cbranch_execnz .LBB949_244
.LBB949_55:
	s_or_b64 exec, exec, s[4:5]
                                        ; implicit-def: $vgpr30
	s_and_saveexec_b64 s[4:5], s[8:9]
	s_cbranch_execnz .LBB949_245
.LBB949_56:
	s_or_b64 exec, exec, s[4:5]
                                        ; implicit-def: $vgpr31
	s_and_saveexec_b64 s[4:5], s[10:11]
	s_cbranch_execnz .LBB949_246
.LBB949_57:
	s_or_b64 exec, exec, s[4:5]
                                        ; implicit-def: $vgpr32
	s_and_saveexec_b64 s[4:5], s[12:13]
	s_cbranch_execnz .LBB949_247
.LBB949_58:
	s_or_b64 exec, exec, s[4:5]
                                        ; implicit-def: $vgpr2
	s_and_saveexec_b64 s[4:5], s[14:15]
	s_cbranch_execnz .LBB949_248
.LBB949_59:
	s_or_b64 exec, exec, s[4:5]
                                        ; implicit-def: $vgpr3
	s_and_saveexec_b64 s[4:5], s[16:17]
	s_cbranch_execnz .LBB949_249
.LBB949_60:
	s_or_b64 exec, exec, s[4:5]
                                        ; implicit-def: $vgpr10
	s_and_saveexec_b64 s[4:5], s[18:19]
	s_cbranch_execnz .LBB949_250
.LBB949_61:
	s_or_b64 exec, exec, s[4:5]
                                        ; implicit-def: $vgpr11
	s_and_saveexec_b64 s[4:5], s[20:21]
	s_cbranch_execnz .LBB949_251
.LBB949_62:
	s_or_b64 exec, exec, s[4:5]
                                        ; implicit-def: $vgpr12
	s_and_saveexec_b64 s[4:5], s[22:23]
	s_cbranch_execnz .LBB949_252
.LBB949_63:
	s_or_b64 exec, exec, s[4:5]
                                        ; implicit-def: $vgpr13
	s_and_saveexec_b64 s[4:5], s[24:25]
	s_cbranch_execnz .LBB949_253
.LBB949_64:
	s_or_b64 exec, exec, s[4:5]
                                        ; implicit-def: $vgpr14
	s_and_saveexec_b64 s[4:5], s[26:27]
	s_cbranch_execnz .LBB949_254
.LBB949_65:
	s_or_b64 exec, exec, s[4:5]
                                        ; implicit-def: $vgpr15
	s_and_saveexec_b64 s[4:5], s[28:29]
	s_cbranch_execnz .LBB949_255
.LBB949_66:
	s_or_b64 exec, exec, s[4:5]
                                        ; implicit-def: $vgpr16
	s_and_saveexec_b64 s[4:5], s[30:31]
	s_cbranch_execnz .LBB949_256
.LBB949_67:
	s_or_b64 exec, exec, s[4:5]
                                        ; implicit-def: $vgpr17
	s_and_saveexec_b64 s[4:5], s[34:35]
	s_cbranch_execnz .LBB949_257
.LBB949_68:
	s_or_b64 exec, exec, s[4:5]
                                        ; implicit-def: $vgpr18
	s_and_saveexec_b64 s[4:5], s[36:37]
	s_cbranch_execnz .LBB949_258
.LBB949_69:
	s_or_b64 exec, exec, s[4:5]
                                        ; implicit-def: $vgpr19
	s_and_saveexec_b64 s[4:5], s[38:39]
	s_cbranch_execnz .LBB949_259
.LBB949_70:
	s_or_b64 exec, exec, s[4:5]
                                        ; implicit-def: $vgpr20
	s_and_saveexec_b64 s[4:5], s[40:41]
	s_cbranch_execnz .LBB949_260
.LBB949_71:
	s_or_b64 exec, exec, s[4:5]
                                        ; implicit-def: $vgpr21
	s_and_saveexec_b64 s[4:5], s[42:43]
	s_cbranch_execnz .LBB949_261
.LBB949_72:
	s_or_b64 exec, exec, s[4:5]
                                        ; implicit-def: $vgpr22
	s_and_saveexec_b64 s[4:5], s[44:45]
	s_cbranch_execnz .LBB949_262
.LBB949_73:
	s_or_b64 exec, exec, s[4:5]
                                        ; implicit-def: $vgpr23
	s_and_saveexec_b64 s[4:5], s[46:47]
	s_cbranch_execnz .LBB949_263
.LBB949_74:
	s_or_b64 exec, exec, s[4:5]
                                        ; implicit-def: $vgpr24
	s_and_saveexec_b64 s[4:5], s[48:49]
	s_cbranch_execnz .LBB949_264
.LBB949_75:
	s_or_b64 exec, exec, s[4:5]
                                        ; implicit-def: $vgpr25
	s_and_saveexec_b64 s[4:5], s[50:51]
	s_cbranch_execz .LBB949_77
.LBB949_76:
	v_lshlrev_b32_e32 v25, 2, v26
	global_load_dword v25, v25, s[52:53]
	s_waitcnt vmcnt(0)
	v_sub_u32_e32 v25, 0, v25
.LBB949_77:
	s_or_b64 exec, exec, s[4:5]
	v_mul_u32_u24_e32 v73, 23, v0
	ds_write2st64_b32 v27, v28, v29 offset1:4
	ds_write2st64_b32 v27, v30, v31 offset0:8 offset1:12
	ds_write2st64_b32 v27, v32, v2 offset0:16 offset1:20
	;; [unrolled: 1-line block ×10, first 2 shown]
	ds_write_b32 v27, v25 offset:22528
	v_mov_b64_e32 v[10:11], 0
	v_cmp_gt_u32_e32 vcc, s3, v73
	s_mov_b64 s[10:11], 0
	s_mov_b64 s[6:7], 0
	v_mov_b64_e32 v[12:13], v[10:11]
	v_mov_b64_e32 v[14:15], v[10:11]
	;; [unrolled: 1-line block ×21, first 2 shown]
	s_waitcnt lgkmcnt(0)
	s_barrier
	s_waitcnt lgkmcnt(0)
                                        ; implicit-def: $sgpr4_sgpr5
                                        ; implicit-def: $vgpr3
	s_and_saveexec_b64 s[8:9], vcc
	s_cbranch_execz .LBB949_121
; %bb.78:
	ds_read_b32 v10, v1
	v_add_u32_e32 v2, 1, v73
	s_waitcnt vmcnt(0)
	v_cmp_ne_u32_e32 vcc, v70, v68
	v_mov_b64_e32 v[12:13], 0
	s_mov_b64 s[12:13], 0
	v_cndmask_b32_e64 v11, 0, 1, vcc
	v_cmp_gt_u32_e32 vcc, s3, v2
	s_mov_b64 s[4:5], 0
	v_mov_b64_e32 v[14:15], v[12:13]
	v_mov_b64_e32 v[16:17], v[12:13]
	;; [unrolled: 1-line block ×20, first 2 shown]
                                        ; implicit-def: $sgpr14_sgpr15
                                        ; implicit-def: $vgpr3
	s_and_saveexec_b64 s[10:11], vcc
	s_cbranch_execz .LBB949_120
; %bb.79:
	ds_read2_b32 v[70:71], v1 offset0:1 offset1:2
	v_add_u32_e32 v2, 2, v73
	v_cmp_ne_u32_e32 vcc, v68, v69
	v_mov_b64_e32 v[14:15], 0
	s_mov_b64 s[16:17], 0
	v_cndmask_b32_e64 v13, 0, 1, vcc
	v_cmp_gt_u32_e32 vcc, s3, v2
	s_waitcnt lgkmcnt(0)
	v_mov_b32_e32 v12, v70
	v_mov_b64_e32 v[16:17], v[14:15]
	v_mov_b64_e32 v[18:19], v[14:15]
	;; [unrolled: 1-line block ×19, first 2 shown]
                                        ; implicit-def: $sgpr14_sgpr15
                                        ; implicit-def: $vgpr3
	s_and_saveexec_b64 s[12:13], vcc
	s_cbranch_execz .LBB949_119
; %bb.80:
	v_add_u32_e32 v2, 3, v73
	v_cmp_ne_u32_e32 vcc, v69, v66
	v_mov_b64_e32 v[16:17], 0
	v_mov_b32_e32 v14, v71
	v_cndmask_b32_e64 v15, 0, 1, vcc
	v_cmp_gt_u32_e32 vcc, s3, v2
	v_mov_b64_e32 v[18:19], v[16:17]
	v_mov_b64_e32 v[20:21], v[16:17]
	;; [unrolled: 1-line block ×18, first 2 shown]
                                        ; implicit-def: $sgpr18_sgpr19
                                        ; implicit-def: $vgpr3
	s_and_saveexec_b64 s[14:15], vcc
	s_cbranch_execz .LBB949_118
; %bb.81:
	ds_read2_b32 v[68:69], v1 offset0:3 offset1:4
	v_add_u32_e32 v2, 4, v73
	v_cmp_ne_u32_e32 vcc, v66, v67
	v_mov_b64_e32 v[18:19], 0
	s_mov_b64 s[20:21], 0
	v_cndmask_b32_e64 v17, 0, 1, vcc
	v_cmp_gt_u32_e32 vcc, s3, v2
	s_waitcnt lgkmcnt(0)
	v_mov_b32_e32 v16, v68
	v_mov_b64_e32 v[20:21], v[18:19]
	v_mov_b64_e32 v[22:23], v[18:19]
	;; [unrolled: 1-line block ×17, first 2 shown]
                                        ; implicit-def: $sgpr18_sgpr19
                                        ; implicit-def: $vgpr3
	s_and_saveexec_b64 s[16:17], vcc
	s_cbranch_execz .LBB949_117
; %bb.82:
	v_add_u32_e32 v2, 5, v73
	v_cmp_ne_u32_e32 vcc, v67, v64
	v_mov_b64_e32 v[20:21], 0
	v_mov_b32_e32 v18, v69
	v_cndmask_b32_e64 v19, 0, 1, vcc
	v_cmp_gt_u32_e32 vcc, s3, v2
	v_mov_b64_e32 v[22:23], v[20:21]
	v_mov_b64_e32 v[24:25], v[20:21]
	;; [unrolled: 1-line block ×16, first 2 shown]
                                        ; implicit-def: $sgpr22_sgpr23
                                        ; implicit-def: $vgpr3
	s_and_saveexec_b64 s[18:19], vcc
	s_cbranch_execz .LBB949_116
; %bb.83:
	ds_read2_b32 v[66:67], v1 offset0:5 offset1:6
	v_add_u32_e32 v2, 6, v73
	v_cmp_ne_u32_e32 vcc, v64, v65
	v_mov_b64_e32 v[22:23], 0
	s_mov_b64 s[24:25], 0
	v_cndmask_b32_e64 v21, 0, 1, vcc
	v_cmp_gt_u32_e32 vcc, s3, v2
	s_waitcnt lgkmcnt(0)
	v_mov_b32_e32 v20, v66
	v_mov_b64_e32 v[24:25], v[22:23]
	v_mov_b64_e32 v[26:27], v[22:23]
	;; [unrolled: 1-line block ×15, first 2 shown]
                                        ; implicit-def: $sgpr22_sgpr23
                                        ; implicit-def: $vgpr3
	s_and_saveexec_b64 s[20:21], vcc
	s_cbranch_execz .LBB949_115
; %bb.84:
	v_add_u32_e32 v2, 7, v73
	v_cmp_ne_u32_e32 vcc, v65, v62
	v_mov_b64_e32 v[24:25], 0
	v_mov_b32_e32 v22, v67
	v_cndmask_b32_e64 v23, 0, 1, vcc
	v_cmp_gt_u32_e32 vcc, s3, v2
	v_mov_b64_e32 v[26:27], v[24:25]
	v_mov_b64_e32 v[28:29], v[24:25]
	;; [unrolled: 1-line block ×14, first 2 shown]
                                        ; implicit-def: $sgpr26_sgpr27
                                        ; implicit-def: $vgpr3
	s_and_saveexec_b64 s[22:23], vcc
	s_cbranch_execz .LBB949_114
; %bb.85:
	ds_read2_b32 v[64:65], v1 offset0:7 offset1:8
	v_add_u32_e32 v2, 8, v73
	v_cmp_ne_u32_e32 vcc, v62, v63
	v_mov_b64_e32 v[26:27], 0
	s_mov_b64 s[28:29], 0
	v_cndmask_b32_e64 v25, 0, 1, vcc
	v_cmp_gt_u32_e32 vcc, s3, v2
	s_waitcnt lgkmcnt(0)
	v_mov_b32_e32 v24, v64
	v_mov_b64_e32 v[28:29], v[26:27]
	v_mov_b64_e32 v[30:31], v[26:27]
	;; [unrolled: 1-line block ×13, first 2 shown]
                                        ; implicit-def: $sgpr26_sgpr27
                                        ; implicit-def: $vgpr3
	s_and_saveexec_b64 s[24:25], vcc
	s_cbranch_execz .LBB949_113
; %bb.86:
	v_add_u32_e32 v2, 9, v73
	v_cmp_ne_u32_e32 vcc, v63, v60
	v_mov_b64_e32 v[28:29], 0
	v_mov_b32_e32 v26, v65
	v_cndmask_b32_e64 v27, 0, 1, vcc
	v_cmp_gt_u32_e32 vcc, s3, v2
	v_mov_b64_e32 v[30:31], v[28:29]
	v_mov_b64_e32 v[32:33], v[28:29]
	;; [unrolled: 1-line block ×12, first 2 shown]
                                        ; implicit-def: $sgpr30_sgpr31
                                        ; implicit-def: $vgpr3
	s_and_saveexec_b64 s[26:27], vcc
	s_cbranch_execz .LBB949_112
; %bb.87:
	ds_read2_b32 v[62:63], v1 offset0:9 offset1:10
	v_add_u32_e32 v2, 10, v73
	v_cmp_ne_u32_e32 vcc, v60, v61
	v_mov_b64_e32 v[30:31], 0
	s_mov_b64 s[34:35], 0
	v_cndmask_b32_e64 v29, 0, 1, vcc
	v_cmp_gt_u32_e32 vcc, s3, v2
	s_waitcnt lgkmcnt(0)
	v_mov_b32_e32 v28, v62
	v_mov_b64_e32 v[32:33], v[30:31]
	v_mov_b64_e32 v[34:35], v[30:31]
	;; [unrolled: 1-line block ×11, first 2 shown]
                                        ; implicit-def: $sgpr30_sgpr31
                                        ; implicit-def: $vgpr3
	s_and_saveexec_b64 s[28:29], vcc
	s_cbranch_execz .LBB949_111
; %bb.88:
	v_add_u32_e32 v2, 11, v73
	v_cmp_ne_u32_e32 vcc, v61, v58
	v_mov_b64_e32 v[32:33], 0
	v_mov_b32_e32 v30, v63
	v_cndmask_b32_e64 v31, 0, 1, vcc
	v_cmp_gt_u32_e32 vcc, s3, v2
	v_mov_b64_e32 v[34:35], v[32:33]
	v_mov_b64_e32 v[36:37], v[32:33]
	;; [unrolled: 1-line block ×10, first 2 shown]
                                        ; implicit-def: $sgpr36_sgpr37
                                        ; implicit-def: $vgpr3
	s_and_saveexec_b64 s[30:31], vcc
	s_cbranch_execz .LBB949_110
; %bb.89:
	ds_read2_b32 v[60:61], v1 offset0:11 offset1:12
	v_add_u32_e32 v2, 12, v73
	v_cmp_ne_u32_e32 vcc, v58, v59
	v_mov_b64_e32 v[34:35], 0
	s_mov_b64 s[38:39], 0
	v_cndmask_b32_e64 v33, 0, 1, vcc
	v_cmp_gt_u32_e32 vcc, s3, v2
	s_waitcnt lgkmcnt(0)
	v_mov_b32_e32 v32, v60
	v_mov_b64_e32 v[36:37], v[34:35]
	v_mov_b64_e32 v[38:39], v[34:35]
	;; [unrolled: 1-line block ×9, first 2 shown]
                                        ; implicit-def: $sgpr36_sgpr37
                                        ; implicit-def: $vgpr3
	s_and_saveexec_b64 s[34:35], vcc
	s_cbranch_execz .LBB949_109
; %bb.90:
	v_add_u32_e32 v2, 13, v73
	v_cmp_ne_u32_e32 vcc, v59, v56
	v_mov_b64_e32 v[36:37], 0
	v_mov_b32_e32 v34, v61
	v_cndmask_b32_e64 v35, 0, 1, vcc
	v_cmp_gt_u32_e32 vcc, s3, v2
	v_mov_b64_e32 v[38:39], v[36:37]
	v_mov_b64_e32 v[40:41], v[36:37]
	;; [unrolled: 1-line block ×8, first 2 shown]
                                        ; implicit-def: $sgpr40_sgpr41
                                        ; implicit-def: $vgpr3
	s_and_saveexec_b64 s[36:37], vcc
	s_cbranch_execz .LBB949_108
; %bb.91:
	ds_read2_b32 v[58:59], v1 offset0:13 offset1:14
	v_add_u32_e32 v2, 14, v73
	v_cmp_ne_u32_e32 vcc, v56, v57
	v_mov_b64_e32 v[38:39], 0
	s_mov_b64 s[42:43], 0
	v_cndmask_b32_e64 v37, 0, 1, vcc
	v_cmp_gt_u32_e32 vcc, s3, v2
	s_waitcnt lgkmcnt(0)
	v_mov_b32_e32 v36, v58
	v_mov_b64_e32 v[40:41], v[38:39]
	v_mov_b64_e32 v[42:43], v[38:39]
	v_mov_b64_e32 v[44:45], v[38:39]
	v_mov_b64_e32 v[46:47], v[38:39]
	v_mov_b64_e32 v[48:49], v[38:39]
	v_mov_b64_e32 v[50:51], v[38:39]
	v_mov_b64_e32 v[52:53], v[38:39]
                                        ; implicit-def: $sgpr40_sgpr41
                                        ; implicit-def: $vgpr3
	s_and_saveexec_b64 s[38:39], vcc
	s_cbranch_execz .LBB949_107
; %bb.92:
	v_add_u32_e32 v2, 15, v73
	v_cmp_ne_u32_e32 vcc, v57, v54
	v_mov_b64_e32 v[40:41], 0
	v_mov_b32_e32 v38, v59
	v_cndmask_b32_e64 v39, 0, 1, vcc
	v_cmp_gt_u32_e32 vcc, s3, v2
	v_mov_b64_e32 v[42:43], v[40:41]
	v_mov_b64_e32 v[44:45], v[40:41]
	;; [unrolled: 1-line block ×6, first 2 shown]
                                        ; implicit-def: $sgpr44_sgpr45
                                        ; implicit-def: $vgpr3
	s_and_saveexec_b64 s[40:41], vcc
	s_cbranch_execz .LBB949_106
; %bb.93:
	ds_read2_b32 v[56:57], v1 offset0:15 offset1:16
	v_add_u32_e32 v2, 16, v73
	v_cmp_ne_u32_e32 vcc, v54, v55
	v_mov_b64_e32 v[42:43], 0
	s_mov_b64 s[46:47], 0
	v_cndmask_b32_e64 v41, 0, 1, vcc
	v_cmp_gt_u32_e32 vcc, s3, v2
	s_waitcnt lgkmcnt(0)
	v_mov_b32_e32 v40, v56
	v_mov_b64_e32 v[44:45], v[42:43]
	v_mov_b64_e32 v[46:47], v[42:43]
	;; [unrolled: 1-line block ×5, first 2 shown]
                                        ; implicit-def: $sgpr44_sgpr45
                                        ; implicit-def: $vgpr3
	s_and_saveexec_b64 s[42:43], vcc
	s_cbranch_execz .LBB949_105
; %bb.94:
	v_add_u32_e32 v2, 17, v73
	v_cmp_ne_u32_e32 vcc, v55, v8
	v_mov_b64_e32 v[44:45], 0
	v_mov_b32_e32 v42, v57
	v_cndmask_b32_e64 v43, 0, 1, vcc
	v_cmp_gt_u32_e32 vcc, s3, v2
	v_mov_b64_e32 v[46:47], v[44:45]
	v_mov_b64_e32 v[48:49], v[44:45]
	;; [unrolled: 1-line block ×4, first 2 shown]
                                        ; implicit-def: $sgpr48_sgpr49
                                        ; implicit-def: $vgpr3
	s_and_saveexec_b64 s[44:45], vcc
	s_cbranch_execz .LBB949_104
; %bb.95:
	ds_read2_b32 v[54:55], v1 offset0:17 offset1:18
	v_add_u32_e32 v2, 18, v73
	v_cmp_ne_u32_e32 vcc, v8, v9
	v_mov_b64_e32 v[46:47], 0
	s_mov_b64 s[50:51], 0
	v_cndmask_b32_e64 v45, 0, 1, vcc
	v_cmp_gt_u32_e32 vcc, s3, v2
	s_waitcnt lgkmcnt(0)
	v_mov_b32_e32 v44, v54
	v_mov_b64_e32 v[48:49], v[46:47]
	v_mov_b64_e32 v[50:51], v[46:47]
	;; [unrolled: 1-line block ×3, first 2 shown]
                                        ; implicit-def: $sgpr48_sgpr49
                                        ; implicit-def: $vgpr3
	s_and_saveexec_b64 s[46:47], vcc
	s_cbranch_execz .LBB949_103
; %bb.96:
	v_add_u32_e32 v2, 19, v73
	v_cmp_ne_u32_e32 vcc, v9, v6
	v_mov_b64_e32 v[48:49], 0
	v_mov_b32_e32 v46, v55
	v_cndmask_b32_e64 v47, 0, 1, vcc
	v_cmp_gt_u32_e32 vcc, s3, v2
	v_mov_b64_e32 v[50:51], v[48:49]
	v_mov_b64_e32 v[52:53], v[48:49]
                                        ; implicit-def: $sgpr56_sgpr57
                                        ; implicit-def: $vgpr3
	s_and_saveexec_b64 s[48:49], vcc
	s_cbranch_execz .LBB949_102
; %bb.97:
	ds_read2_b32 v[8:9], v1 offset0:19 offset1:20
	v_add_u32_e32 v2, 20, v73
	v_cmp_ne_u32_e32 vcc, v6, v7
	v_mov_b64_e32 v[50:51], 0
	s_mov_b64 s[56:57], 0
	v_cndmask_b32_e64 v49, 0, 1, vcc
	v_cmp_gt_u32_e32 vcc, s3, v2
	s_waitcnt lgkmcnt(0)
	v_mov_b32_e32 v48, v8
	v_mov_b64_e32 v[52:53], v[50:51]
                                        ; implicit-def: $sgpr78_sgpr79
                                        ; implicit-def: $vgpr3
	s_and_saveexec_b64 s[50:51], vcc
	s_cbranch_execz .LBB949_101
; %bb.98:
	v_add_u32_e32 v2, 21, v73
	v_cmp_ne_u32_e32 vcc, v7, v4
	v_mov_b32_e32 v50, v9
	v_mov_b64_e32 v[52:53], 0
	v_cndmask_b32_e64 v51, 0, 1, vcc
	v_cmp_gt_u32_e32 vcc, s3, v2
                                        ; implicit-def: $sgpr78_sgpr79
                                        ; implicit-def: $vgpr3
	s_and_saveexec_b64 s[4:5], vcc
	s_xor_b64 s[80:81], exec, s[4:5]
	s_cbranch_execz .LBB949_100
; %bb.99:
	ds_read2_b32 v[2:3], v1 offset0:21 offset1:22
	v_add_u32_e32 v1, 22, v73
	v_cmp_ne_u32_e64 s[4:5], v4, v5
	v_cmp_ne_u32_e32 vcc, v5, v72
	s_and_b64 s[78:79], vcc, exec
	v_cndmask_b32_e64 v53, 0, 1, s[4:5]
	v_cmp_gt_u32_e64 s[4:5], s3, v1
	s_waitcnt lgkmcnt(0)
	v_mov_b32_e32 v52, v2
	s_and_b64 s[56:57], s[4:5], exec
.LBB949_100:
	s_or_b64 exec, exec, s[80:81]
	s_and_b64 s[78:79], s[78:79], exec
	s_and_b64 s[4:5], s[56:57], exec
.LBB949_101:
	s_or_b64 exec, exec, s[50:51]
	s_and_b64 s[56:57], s[78:79], exec
	s_and_b64 s[50:51], s[4:5], exec
.LBB949_102:
	s_or_b64 exec, exec, s[48:49]
	s_and_b64 s[48:49], s[56:57], exec
	s_and_b64 s[4:5], s[50:51], exec
.LBB949_103:
	s_or_b64 exec, exec, s[46:47]
	s_and_b64 s[48:49], s[48:49], exec
	s_and_b64 s[46:47], s[4:5], exec
.LBB949_104:
	s_or_b64 exec, exec, s[44:45]
	s_and_b64 s[44:45], s[48:49], exec
	s_and_b64 s[4:5], s[46:47], exec
.LBB949_105:
	s_or_b64 exec, exec, s[42:43]
	s_and_b64 s[44:45], s[44:45], exec
	s_and_b64 s[42:43], s[4:5], exec
.LBB949_106:
	s_or_b64 exec, exec, s[40:41]
	s_and_b64 s[40:41], s[44:45], exec
	s_and_b64 s[4:5], s[42:43], exec
.LBB949_107:
	s_or_b64 exec, exec, s[38:39]
	s_and_b64 s[40:41], s[40:41], exec
	s_and_b64 s[38:39], s[4:5], exec
.LBB949_108:
	s_or_b64 exec, exec, s[36:37]
	s_and_b64 s[36:37], s[40:41], exec
	s_and_b64 s[4:5], s[38:39], exec
.LBB949_109:
	s_or_b64 exec, exec, s[34:35]
	s_and_b64 s[36:37], s[36:37], exec
	s_and_b64 s[34:35], s[4:5], exec
.LBB949_110:
	s_or_b64 exec, exec, s[30:31]
	s_and_b64 s[30:31], s[36:37], exec
	s_and_b64 s[4:5], s[34:35], exec
.LBB949_111:
	s_or_b64 exec, exec, s[28:29]
	s_and_b64 s[30:31], s[30:31], exec
	s_and_b64 s[28:29], s[4:5], exec
.LBB949_112:
	s_or_b64 exec, exec, s[26:27]
	s_and_b64 s[26:27], s[30:31], exec
	s_and_b64 s[4:5], s[28:29], exec
.LBB949_113:
	s_or_b64 exec, exec, s[24:25]
	s_and_b64 s[26:27], s[26:27], exec
	s_and_b64 s[24:25], s[4:5], exec
.LBB949_114:
	s_or_b64 exec, exec, s[22:23]
	s_and_b64 s[22:23], s[26:27], exec
	s_and_b64 s[4:5], s[24:25], exec
.LBB949_115:
	s_or_b64 exec, exec, s[20:21]
	s_and_b64 s[22:23], s[22:23], exec
	s_and_b64 s[20:21], s[4:5], exec
.LBB949_116:
	s_or_b64 exec, exec, s[18:19]
	s_and_b64 s[18:19], s[22:23], exec
	s_and_b64 s[4:5], s[20:21], exec
.LBB949_117:
	s_or_b64 exec, exec, s[16:17]
	s_and_b64 s[18:19], s[18:19], exec
	s_and_b64 s[16:17], s[4:5], exec
.LBB949_118:
	s_or_b64 exec, exec, s[14:15]
	s_and_b64 s[14:15], s[18:19], exec
	s_and_b64 s[4:5], s[16:17], exec
.LBB949_119:
	s_or_b64 exec, exec, s[12:13]
	s_and_b64 s[14:15], s[14:15], exec
	s_and_b64 s[12:13], s[4:5], exec
.LBB949_120:
	s_or_b64 exec, exec, s[10:11]
	s_and_b64 s[4:5], s[14:15], exec
	s_and_b64 s[10:11], s[12:13], exec
.LBB949_121:
	s_or_b64 exec, exec, s[8:9]
	s_mov_b64 s[8:9], 0
	s_and_b64 vcc, exec, s[6:7]
	v_lshlrev_b32_e32 v54, 2, v0
	s_cbranch_vccnz .LBB949_123
	s_branch .LBB949_131
.LBB949_122:
                                        ; implicit-def: $sgpr4_sgpr5
                                        ; implicit-def: $vgpr3
                                        ; implicit-def: $vgpr10_vgpr11
                                        ; implicit-def: $vgpr12_vgpr13
                                        ; implicit-def: $vgpr14_vgpr15
                                        ; implicit-def: $vgpr16_vgpr17
                                        ; implicit-def: $vgpr18_vgpr19
                                        ; implicit-def: $vgpr20_vgpr21
                                        ; implicit-def: $vgpr22_vgpr23
                                        ; implicit-def: $vgpr24_vgpr25
                                        ; implicit-def: $vgpr26_vgpr27
                                        ; implicit-def: $vgpr28_vgpr29
                                        ; implicit-def: $vgpr30_vgpr31
                                        ; implicit-def: $vgpr32_vgpr33
                                        ; implicit-def: $vgpr34_vgpr35
                                        ; implicit-def: $vgpr36_vgpr37
                                        ; implicit-def: $vgpr38_vgpr39
                                        ; implicit-def: $vgpr40_vgpr41
                                        ; implicit-def: $vgpr42_vgpr43
                                        ; implicit-def: $vgpr44_vgpr45
                                        ; implicit-def: $vgpr46_vgpr47
                                        ; implicit-def: $vgpr48_vgpr49
                                        ; implicit-def: $vgpr50_vgpr51
                                        ; implicit-def: $vgpr52_vgpr53
                                        ; implicit-def: $sgpr8_sgpr9
	s_and_b64 vcc, exec, s[6:7]
	v_lshlrev_b32_e32 v54, 2, v0
	s_cbranch_vccz .LBB949_131
.LBB949_123:
	v_mov_b32_e32 v55, 0
	v_lshl_add_u64 v[2:3], s[72:73], 0, v[54:55]
	v_add_co_u32_e32 v4, vcc, 0x1000, v2
	s_movk_i32 s3, 0x58
	s_nop 0
	v_addc_co_u32_e32 v5, vcc, 0, v3, vcc
	flat_load_dword v8, v[2:3]
	flat_load_dword v9, v[2:3] offset:1024
	s_waitcnt lgkmcnt(0)
	flat_load_dword v10, v[2:3] offset:2048
	flat_load_dword v11, v[2:3] offset:3072
	flat_load_dword v12, v[4:5]
	flat_load_dword v13, v[4:5] offset:1024
	flat_load_dword v14, v[4:5] offset:2048
	;; [unrolled: 1-line block ×3, first 2 shown]
	v_add_co_u32_e32 v4, vcc, 0x2000, v2
	v_mad_u32_u24 v1, v0, s3, v54
	s_nop 0
	v_addc_co_u32_e32 v5, vcc, 0, v3, vcc
	v_add_co_u32_e32 v6, vcc, 0x3000, v2
	s_cmp_eq_u64 s[76:77], 0
	s_nop 0
	v_addc_co_u32_e32 v7, vcc, 0, v3, vcc
	flat_load_dword v16, v[4:5]
	flat_load_dword v17, v[4:5] offset:1024
	flat_load_dword v18, v[4:5] offset:2048
	;; [unrolled: 1-line block ×3, first 2 shown]
	flat_load_dword v20, v[6:7]
	flat_load_dword v21, v[6:7] offset:1024
	flat_load_dword v22, v[6:7] offset:2048
	;; [unrolled: 1-line block ×3, first 2 shown]
	v_add_co_u32_e32 v4, vcc, 0x4000, v2
	s_nop 1
	v_addc_co_u32_e32 v5, vcc, 0, v3, vcc
	v_add_co_u32_e32 v2, vcc, 0x5000, v2
	s_nop 1
	v_addc_co_u32_e32 v3, vcc, 0, v3, vcc
	flat_load_dword v6, v[4:5]
	flat_load_dword v7, v[4:5] offset:1024
	flat_load_dword v24, v[4:5] offset:2048
	flat_load_dword v25, v[4:5] offset:3072
	flat_load_dword v26, v[2:3]
	flat_load_dword v27, v[2:3] offset:1024
	flat_load_dword v28, v[2:3] offset:2048
	s_waitcnt vmcnt(0)
	ds_write2st64_b32 v54, v8, v9 offset1:4
	s_waitcnt lgkmcnt(0)
	ds_write2st64_b32 v54, v10, v11 offset0:8 offset1:12
	ds_write2st64_b32 v54, v12, v13 offset0:16 offset1:20
	;; [unrolled: 1-line block ×10, first 2 shown]
	ds_write_b32 v54, v28 offset:22528
	s_waitcnt lgkmcnt(0)
	s_barrier
	ds_read2_b32 v[14:15], v1 offset1:1
	ds_read2_b32 v[18:19], v1 offset0:2 offset1:3
	ds_read2_b32 v[22:23], v1 offset0:4 offset1:5
	;; [unrolled: 1-line block ×10, first 2 shown]
	ds_read_b32 v3, v1 offset:88
	s_cbranch_scc1 .LBB949_128
; %bb.124:
	s_andn2_b64 vcc, exec, s[74:75]
	s_cbranch_vccnz .LBB949_268
; %bb.125:
	s_lshl_b64 s[4:5], s[76:77], 2
	s_add_u32 s3, s62, s4
	s_addc_u32 s5, s63, s5
	s_add_u32 s4, s3, -4
	s_addc_u32 s5, s5, -1
	s_cbranch_execnz .LBB949_127
.LBB949_126:
	s_add_u32 s4, s72, -4
	s_addc_u32 s5, s73, -1
.LBB949_127:
	s_mov_b64 s[72:73], s[4:5]
.LBB949_128:
	v_mov_b64_e32 v[10:11], s[72:73]
	flat_load_dword v2, v[10:11]
	s_movk_i32 s3, 0xffa8
	v_mad_i32_i24 v10, v0, s3, v1
	v_cmp_ne_u32_e32 vcc, 0, v0
	s_waitcnt lgkmcnt(0)
	ds_write_b32 v10, v3 offset:23552
	s_waitcnt lgkmcnt(0)
	s_barrier
	s_and_saveexec_b64 s[4:5], vcc
	s_cbranch_execz .LBB949_130
; %bb.129:
	s_waitcnt vmcnt(0)
	v_mul_i32_i24_e32 v2, 0xffffffa8, v0
	v_add_u32_e32 v2, v1, v2
	ds_read_b32 v2, v2 offset:23548
.LBB949_130:
	s_or_b64 exec, exec, s[4:5]
	v_mov_b32_e32 v55, 0
	v_lshl_add_u64 v[10:11], s[52:53], 0, v[54:55]
	s_movk_i32 s3, 0x1000
	v_add_co_u32_e32 v12, vcc, s3, v10
	s_movk_i32 s3, 0x2000
	s_nop 0
	v_addc_co_u32_e32 v13, vcc, 0, v11, vcc
	v_add_co_u32_e32 v16, vcc, s3, v10
	s_movk_i32 s3, 0x3000
	s_nop 0
	v_addc_co_u32_e32 v17, vcc, 0, v11, vcc
	;; [unrolled: 4-line block ×4, first 2 shown]
	v_add_co_u32_e32 v10, vcc, s3, v10
	s_waitcnt lgkmcnt(0)
	s_nop 0
	v_addc_co_u32_e32 v11, vcc, 0, v11, vcc
	s_barrier
	global_load_dword v28, v54, s[52:53]
	global_load_dword v29, v54, s[52:53] offset:1024
	global_load_dword v32, v54, s[52:53] offset:2048
	;; [unrolled: 1-line block ×3, first 2 shown]
	global_load_dword v36, v[16:17], off offset:-4096
	global_load_dword v37, v[16:17], off
	global_load_dword v40, v[16:17], off offset:1024
	global_load_dword v41, v[12:13], off offset:1024
	;; [unrolled: 1-line block ×9, first 2 shown]
	global_load_dword v51, v[24:25], off offset:-4096
	global_load_dword v52, v[24:25], off
	global_load_dword v53, v[24:25], off offset:1024
	global_load_dword v55, v[24:25], off offset:2048
	;; [unrolled: 1-line block ×3, first 2 shown]
	global_load_dword v12, v[10:11], off
	global_load_dword v13, v[10:11], off offset:1024
	global_load_dword v16, v[10:11], off offset:2048
	v_cmp_ne_u32_e64 s[4:5], v5, v3
	s_waitcnt vmcnt(0)
	v_cmp_ne_u32_e32 vcc, v2, v14
	s_mov_b64 s[10:11], -1
                                        ; implicit-def: $sgpr8_sgpr9
	v_sub_u32_e32 v3, 0, v28
	v_sub_u32_e32 v10, 0, v29
	;; [unrolled: 1-line block ×4, first 2 shown]
	ds_write2st64_b32 v54, v3, v10 offset1:4
	ds_write2st64_b32 v54, v11, v17 offset0:8 offset1:12
	v_sub_u32_e32 v3, 0, v36
	v_sub_u32_e32 v10, 0, v41
	;; [unrolled: 1-line block ×19, first 2 shown]
	ds_write2st64_b32 v54, v3, v10 offset0:16 offset1:20
	ds_write2st64_b32 v54, v11, v17 offset0:24 offset1:28
	ds_write2st64_b32 v54, v20, v21 offset0:32 offset1:36
	ds_write2st64_b32 v54, v24, v25 offset0:40 offset1:44
	ds_write2st64_b32 v54, v28, v29 offset0:48 offset1:52
	ds_write2st64_b32 v54, v32, v33 offset0:56 offset1:60
	ds_write2st64_b32 v54, v36, v37 offset0:64 offset1:68
	ds_write2st64_b32 v54, v40, v41 offset0:72 offset1:76
	ds_write2st64_b32 v54, v12, v13 offset0:80 offset1:84
	ds_write_b32 v54, v16 offset:22528
	v_cndmask_b32_e64 v11, 0, 1, vcc
	v_cmp_ne_u32_e32 vcc, v14, v15
	s_waitcnt lgkmcnt(0)
	s_barrier
	v_cndmask_b32_e64 v13, 0, 1, vcc
	v_cmp_ne_u32_e32 vcc, v15, v18
	ds_read2_b32 v[16:17], v1 offset1:1
	ds_read2_b32 v[20:21], v1 offset0:2 offset1:3
	ds_read2_b32 v[24:25], v1 offset0:4 offset1:5
	;; [unrolled: 1-line block ×10, first 2 shown]
	ds_read_b32 v3, v1 offset:88
	v_cndmask_b32_e64 v15, 0, 1, vcc
	v_cmp_ne_u32_e32 vcc, v18, v19
	s_waitcnt lgkmcnt(11)
	v_mov_b32_e32 v12, v17
	v_mov_b32_e32 v10, v16
	v_cndmask_b32_e64 v17, 0, 1, vcc
	v_cmp_ne_u32_e32 vcc, v19, v22
	s_waitcnt lgkmcnt(10)
	v_mov_b32_e32 v16, v21
	v_mov_b32_e32 v14, v20
	;; [unrolled: 5-line block ×5, first 2 shown]
	v_cndmask_b32_e64 v25, 0, 1, vcc
	v_cmp_ne_u32_e32 vcc, v27, v30
	s_waitcnt lgkmcnt(6)
	v_mov_b32_e32 v32, v37
	s_waitcnt lgkmcnt(2)
	v_mov_b32_e32 v48, v51
	v_cndmask_b32_e64 v27, 0, 1, vcc
	v_cmp_ne_u32_e32 vcc, v30, v31
	v_mov_b32_e32 v30, v36
	v_mov_b32_e32 v36, v41
	v_cndmask_b32_e64 v29, 0, 1, vcc
	v_cmp_ne_u32_e32 vcc, v31, v34
	s_waitcnt lgkmcnt(1)
	v_mov_b32_e32 v52, v57
	v_cndmask_b32_e64 v31, 0, 1, vcc
	v_cmp_ne_u32_e32 vcc, v34, v35
	v_mov_b32_e32 v34, v40
	v_mov_b32_e32 v40, v45
	v_cndmask_b32_e64 v33, 0, 1, vcc
	v_cmp_ne_u32_e32 vcc, v35, v38
	s_nop 1
	v_cndmask_b32_e64 v35, 0, 1, vcc
	v_cmp_ne_u32_e32 vcc, v38, v39
	v_mov_b32_e32 v38, v44
	v_mov_b32_e32 v44, v47
	v_cndmask_b32_e64 v37, 0, 1, vcc
	v_cmp_ne_u32_e32 vcc, v39, v42
	s_nop 1
	v_cndmask_b32_e64 v39, 0, 1, vcc
	v_cmp_ne_u32_e32 vcc, v42, v43
	v_mov_b32_e32 v42, v46
	v_mov_b32_e32 v46, v50
	v_cndmask_b32_e64 v41, 0, 1, vcc
	v_cmp_ne_u32_e32 vcc, v43, v8
	v_mov_b32_e32 v50, v56
	s_nop 0
	v_cndmask_b32_e64 v43, 0, 1, vcc
	v_cmp_ne_u32_e32 vcc, v8, v9
	s_nop 1
	v_cndmask_b32_e64 v45, 0, 1, vcc
	v_cmp_ne_u32_e32 vcc, v9, v6
	;; [unrolled: 3-line block ×5, first 2 shown]
	s_nop 1
	v_cndmask_b32_e64 v53, 0, 1, vcc
.LBB949_131:
	v_mov_b64_e32 v[56:57], s[8:9]
	s_and_saveexec_b64 s[6:7], s[10:11]
	s_cbranch_execz .LBB949_133
; %bb.132:
	v_cndmask_b32_e64 v57, 0, 1, s[4:5]
	s_waitcnt lgkmcnt(0)
	v_mov_b32_e32 v56, v3
.LBB949_133:
	s_or_b64 exec, exec, s[6:7]
	s_mov_b32 s48, 0
	s_cmp_lg_u32 s2, 0
	v_or_b32_e32 v55, v57, v53
	v_lshrrev_b32_e32 v1, 5, v0
	v_cmp_gt_u32_e32 vcc, 64, v0
	s_waitcnt lgkmcnt(0)
	s_barrier
	s_cbranch_scc0 .LBB949_172
; %bb.134:
	s_mov_b32 s49, 1
	v_cmp_gt_u64_e64 s[4:5], s[48:49], v[12:13]
	v_cmp_gt_u64_e64 s[6:7], s[48:49], v[14:15]
	v_cmp_gt_u64_e64 s[8:9], s[48:49], v[16:17]
	v_cndmask_b32_e64 v2, 0, v10, s[4:5]
	v_add_u32_e32 v2, v2, v12
	v_cndmask_b32_e64 v2, 0, v2, s[6:7]
	v_add_u32_e32 v2, v2, v14
	v_cndmask_b32_e64 v2, 0, v2, s[8:9]
	v_add_u32_e32 v2, v2, v16
	v_cmp_gt_u64_e64 s[10:11], s[48:49], v[18:19]
	v_cmp_gt_u64_e64 s[12:13], s[48:49], v[20:21]
	v_cmp_gt_u64_e64 s[14:15], s[48:49], v[22:23]
	v_cndmask_b32_e64 v2, 0, v2, s[10:11]
	v_add_u32_e32 v2, v2, v18
	v_cndmask_b32_e64 v2, 0, v2, s[12:13]
	v_add_u32_e32 v2, v2, v20
	v_cndmask_b32_e64 v2, 0, v2, s[14:15]
	v_add_u32_e32 v2, v2, v22
	;; [unrolled: 9-line block ×7, first 2 shown]
	v_cmp_gt_u64_e64 s[48:49], s[48:49], v[56:57]
	s_nop 1
	v_cndmask_b32_e64 v2, 0, v2, s[48:49]
	v_add_u32_e32 v62, v2, v56
	v_or3_b32 v2, v55, v51, v49
	v_or3_b32 v2, v2, v47, v45
	;; [unrolled: 1-line block ×10, first 2 shown]
	v_and_b32_e32 v2, 1, v2
	v_cmp_eq_u32_e64 s[50:51], 1, v2
	v_add_lshl_u32 v2, v1, v0, 3
	s_nop 0
	v_cndmask_b32_e64 v63, v11, 1, s[50:51]
	ds_write_b32 v2, v62
	ds_write_b8 v2, v63 offset:4
	s_waitcnt lgkmcnt(0)
	s_barrier
	s_and_saveexec_b64 s[52:53], vcc
	s_cbranch_execz .LBB949_146
; %bb.135:
	v_lshrrev_b32_e32 v2, 3, v0
	v_add_lshl_u32 v4, v2, v54, 3
	ds_read2_b32 v[6:7], v4 offset0:2 offset1:4
	ds_read_b64 v[2:3], v4
	ds_read_u8 v8, v4 offset:12
	ds_read_u8 v9, v4 offset:20
	ds_read_b32 v58, v4 offset:24
	ds_read_u8 v59, v4 offset:28
	v_mov_b32_e32 v60, 0
	s_waitcnt lgkmcnt(0)
	v_cmp_eq_u16_sdwa s[50:51], v8, v60 src0_sel:BYTE_0 src1_sel:DWORD
	v_and_b32_e32 v5, 1, v3
	s_nop 0
	v_cndmask_b32_e64 v61, 0, v2, s[50:51]
	v_add_u32_e32 v6, v61, v6
	v_cmp_eq_u16_sdwa s[50:51], v9, v60 src0_sel:BYTE_0 src1_sel:DWORD
	s_nop 1
	v_cndmask_b32_e64 v6, 0, v6, s[50:51]
	v_add_u32_e32 v6, v6, v7
	v_cmp_eq_u16_e64 s[50:51], 0, v59
	s_nop 1
	v_cndmask_b32_e64 v6, 0, v6, s[50:51]
	v_add_u32_e32 v7, v6, v58
	v_or_b32_e32 v6, v59, v9
	v_or_b32_e32 v6, v6, v8
	v_and_b32_e32 v6, 1, v6
	v_cmp_eq_u32_e64 s[50:51], 1, v6
	v_mbcnt_lo_u32_b32 v8, -1, 0
	v_and_b32_e32 v6, 0xffffff00, v3
	v_cndmask_b32_e64 v9, v5, 1, s[50:51]
	v_mbcnt_hi_u32_b32 v8, -1, v8
	v_and_b32_e32 v59, 15, v8
	v_or_b32_sdwa v58, v6, v9 dst_sel:DWORD dst_unused:UNUSED_PAD src0_sel:DWORD src1_sel:WORD_0
	v_mov_b32_dpp v60, v7 row_shr:1 row_mask:0xf bank_mask:0xf
	v_cmp_ne_u32_e64 s[50:51], 0, v59
	v_mov_b32_dpp v61, v58 row_shr:1 row_mask:0xf bank_mask:0xf
	s_and_saveexec_b64 s[56:57], s[50:51]
; %bb.136:
	v_and_b32_e32 v58, 1, v9
	v_and_b32_e32 v61, 1, v61
	v_cmp_eq_u32_e64 s[50:51], 1, v58
	s_nop 1
	v_cndmask_b32_e64 v61, v61, 1, s[50:51]
	v_cmp_eq_u16_e64 s[50:51], 0, v9
	v_or_b32_sdwa v58, v6, v61 dst_sel:DWORD dst_unused:UNUSED_PAD src0_sel:DWORD src1_sel:WORD_0
	s_nop 0
	v_cndmask_b32_e64 v9, 0, v60, s[50:51]
	v_add_u32_e32 v7, v9, v7
	v_mov_b32_e32 v9, v61
; %bb.137:
	s_or_b64 exec, exec, s[56:57]
	v_mov_b32_dpp v60, v7 row_shr:2 row_mask:0xf bank_mask:0xf
	v_mov_b32_dpp v61, v58 row_shr:2 row_mask:0xf bank_mask:0xf
	v_cmp_lt_u32_e64 s[50:51], 1, v59
	s_and_saveexec_b64 s[56:57], s[50:51]
; %bb.138:
	v_and_b32_e32 v58, 1, v9
	v_and_b32_e32 v61, 1, v61
	v_cmp_eq_u32_e64 s[50:51], 1, v58
	s_nop 1
	v_cndmask_b32_e64 v61, v61, 1, s[50:51]
	v_cmp_eq_u16_e64 s[50:51], 0, v9
	v_or_b32_sdwa v58, v6, v61 dst_sel:DWORD dst_unused:UNUSED_PAD src0_sel:DWORD src1_sel:WORD_0
	s_nop 0
	v_cndmask_b32_e64 v9, 0, v60, s[50:51]
	v_add_u32_e32 v7, v9, v7
	v_mov_b32_e32 v9, v61
; %bb.139:
	s_or_b64 exec, exec, s[56:57]
	v_mov_b32_dpp v60, v7 row_shr:4 row_mask:0xf bank_mask:0xf
	v_mov_b32_dpp v61, v58 row_shr:4 row_mask:0xf bank_mask:0xf
	v_cmp_lt_u32_e64 s[50:51], 3, v59
	;; [unrolled: 18-line block ×3, first 2 shown]
	s_and_saveexec_b64 s[56:57], s[50:51]
; %bb.142:
	v_and_b32_e32 v58, 1, v9
	v_and_b32_e32 v59, 1, v61
	v_cmp_eq_u32_e64 s[50:51], 1, v58
	s_nop 1
	v_cndmask_b32_e64 v59, v59, 1, s[50:51]
	v_cmp_eq_u16_e64 s[50:51], 0, v9
	v_or_b32_sdwa v58, v6, v59 dst_sel:DWORD dst_unused:UNUSED_PAD src0_sel:DWORD src1_sel:WORD_0
	s_nop 0
	v_cndmask_b32_e64 v9, 0, v60, s[50:51]
	v_add_u32_e32 v7, v9, v7
	v_mov_b32_e32 v9, v59
; %bb.143:
	s_or_b64 exec, exec, s[56:57]
	v_and_b32_e32 v61, 16, v8
	v_mov_b32_dpp v59, v7 row_bcast:15 row_mask:0xf bank_mask:0xf
	v_mov_b32_dpp v60, v58 row_bcast:15 row_mask:0xf bank_mask:0xf
	v_cmp_ne_u32_e64 s[50:51], 0, v61
	s_and_saveexec_b64 s[56:57], s[50:51]
; %bb.144:
	v_and_b32_e32 v58, 1, v9
	v_and_b32_e32 v60, 1, v60
	v_cmp_eq_u32_e64 s[50:51], 1, v58
	s_nop 1
	v_cndmask_b32_e64 v60, v60, 1, s[50:51]
	v_cmp_eq_u16_e64 s[50:51], 0, v9
	v_or_b32_sdwa v58, v6, v60 dst_sel:DWORD dst_unused:UNUSED_PAD src0_sel:DWORD src1_sel:WORD_0
	s_nop 0
	v_cndmask_b32_e64 v9, 0, v59, s[50:51]
	v_add_u32_e32 v7, v9, v7
	v_mov_b32_e32 v9, v60
; %bb.145:
	s_or_b64 exec, exec, s[56:57]
	v_mov_b32_dpp v58, v58 row_bcast:31 row_mask:0xf bank_mask:0xf
	v_and_b32_e32 v60, 1, v9
	v_and_b32_e32 v58, 1, v58
	v_cmp_eq_u32_e64 s[50:51], 1, v60
	v_mov_b32_e32 v60, 0
	v_cmp_eq_u16_sdwa s[56:57], v9, v60 src0_sel:BYTE_0 src1_sel:DWORD
	v_cndmask_b32_e64 v58, v58, 1, s[50:51]
	v_cmp_lt_u32_e64 s[50:51], 31, v8
	v_mov_b32_dpp v59, v7 row_bcast:31 row_mask:0xf bank_mask:0xf
	s_movk_i32 s3, 0xff
	v_cndmask_b32_e64 v9, v9, v58, s[50:51]
	s_and_b64 s[50:51], s[50:51], s[56:57]
	v_cndmask_b32_e64 v58, 0, v59, s[50:51]
	v_add_u32_e32 v7, v58, v7
	v_add_u32_e32 v58, -1, v8
	v_and_b32_e32 v59, 64, v8
	v_cmp_lt_i32_e64 s[50:51], v58, v59
	v_and_or_b32 v6, v9, s3, v6
	s_nop 0
	v_cndmask_b32_e64 v8, v58, v8, s[50:51]
	v_lshlrev_b32_e32 v8, 2, v8
	ds_bpermute_b32 v7, v8, v7
	ds_bpermute_b32 v6, v8, v6
	v_cmp_eq_u16_sdwa s[50:51], v3, v60 src0_sel:BYTE_0 src1_sel:DWORD
	; wave barrier
	s_waitcnt lgkmcnt(0)
	s_nop 0
	v_cndmask_b32_e64 v3, 0, v7, s[50:51]
	v_add_u32_e32 v2, v3, v2
	v_and_b32_e32 v3, 1, v6
	v_cmp_eq_u32_e64 s[50:51], 1, v5
	s_nop 1
	v_cndmask_b32_e64 v3, v3, 1, s[50:51]
	v_cmp_eq_u32_e64 s[50:51], 0, v0
	s_nop 1
	v_cndmask_b32_e64 v5, v2, v62, s[50:51]
	v_cndmask_b32_e64 v6, v3, v63, s[50:51]
	ds_write_b32 v4, v5
	ds_write_b8 v4, v6 offset:4
	; wave barrier
	ds_read_u8 v7, v4 offset:12
	ds_read2_b32 v[2:3], v4 offset0:2 offset1:4
	ds_read_u8 v8, v4 offset:20
	ds_read_b32 v9, v4 offset:24
	ds_read_u8 v58, v4 offset:28
	s_waitcnt lgkmcnt(0)
	v_cmp_eq_u16_e64 s[50:51], 0, v7
	s_nop 1
	v_cndmask_b32_e64 v5, 0, v5, s[50:51]
	v_add_u32_e32 v2, v5, v2
	v_and_b32_e32 v5, 1, v7
	v_cmp_eq_u32_e64 s[50:51], 1, v5
	s_nop 1
	v_cndmask_b32_e64 v5, v6, 1, s[50:51]
	v_cmp_eq_u16_e64 s[50:51], 0, v8
	ds_write_b8 v4, v5 offset:12
	s_nop 0
	v_cndmask_b32_e64 v6, 0, v2, s[50:51]
	v_add_u32_e32 v3, v6, v3
	v_and_b32_e32 v6, 1, v8
	v_cmp_eq_u32_e64 s[50:51], 1, v6
	s_nop 1
	v_cndmask_b32_e64 v5, v5, 1, s[50:51]
	v_cmp_eq_u16_e64 s[50:51], 0, v58
	ds_write2_b32 v4, v2, v3 offset0:2 offset1:4
	ds_write_b8 v4, v5 offset:20
	v_cndmask_b32_e64 v2, 0, v3, s[50:51]
	v_and_b32_e32 v3, 1, v58
	v_add_u32_e32 v2, v2, v9
	v_cmp_eq_u32_e64 s[50:51], 1, v3
	s_nop 1
	v_cndmask_b32_e64 v3, v5, 1, s[50:51]
	ds_write_b32 v4, v2 offset:24
	ds_write_b8 v4, v3 offset:28
.LBB949_146:
	s_or_b64 exec, exec, s[52:53]
	v_cmp_eq_u32_e64 s[50:51], 0, v0
	v_cmp_ne_u32_e64 s[52:53], 0, v0
	s_waitcnt lgkmcnt(0)
	s_barrier
	s_and_saveexec_b64 s[56:57], s[52:53]
	s_cbranch_execz .LBB949_148
; %bb.147:
	v_add_u32_e32 v2, -1, v0
	v_lshrrev_b32_e32 v3, 5, v2
	v_add_lshl_u32 v2, v3, v2, 3
	ds_read_b32 v62, v2
	ds_read_u8 v63, v2 offset:4
.LBB949_148:
	s_or_b64 exec, exec, s[56:57]
	s_and_saveexec_b64 s[62:63], vcc
	s_cbranch_execz .LBB949_171
; %bb.149:
	v_mov_b32_e32 v5, 0
	ds_read_b64 v[2:3], v5 offset:2096
	v_mbcnt_lo_u32_b32 v4, -1, 0
	v_mbcnt_hi_u32_b32 v73, -1, v4
	s_mov_b32 s73, 0
	v_cmp_eq_u32_e64 s[52:53], 0, v73
	s_waitcnt lgkmcnt(0)
	v_readfirstlane_b32 s3, v3
	s_and_saveexec_b64 s[56:57], s[52:53]
	s_cbranch_execz .LBB949_151
; %bb.150:
	s_add_i32 s72, s2, 64
	s_lshl_b64 s[74:75], s[72:73], 4
	s_add_u32 s74, s64, s74
	s_addc_u32 s75, s65, s75
	s_and_b32 s77, s3, 0xff000000
	s_mov_b32 s76, s73
	s_and_b32 s79, s3, 0xff0000
	s_mov_b32 s78, s73
	s_or_b64 s[76:77], s[78:79], s[76:77]
	s_and_b32 s79, s3, 0xff00
	s_or_b64 s[76:77], s[76:77], s[78:79]
	s_and_b32 s79, s3, 0xff
	s_or_b64 s[72:73], s[76:77], s[78:79]
	v_mov_b32_e32 v3, s73
	v_mov_b32_e32 v4, 1
	v_mov_b64_e32 v[6:7], s[74:75]
	;;#ASMSTART
	global_store_dwordx4 v[6:7], v[2:5] off sc1	
s_waitcnt vmcnt(0)
	;;#ASMEND
.LBB949_151:
	s_or_b64 exec, exec, s[56:57]
	v_xad_u32 v58, v73, -1, s2
	v_add_u32_e32 v4, 64, v58
	v_lshl_add_u64 v[60:61], v[4:5], 4, s[64:65]
	;;#ASMSTART
	global_load_dwordx4 v[6:9], v[60:61] off sc1	
s_waitcnt vmcnt(0)
	;;#ASMEND
	s_nop 0
	v_and_b32_e32 v3, 0xff0000, v6
	v_and_b32_e32 v4, 0xff000000, v6
	;; [unrolled: 1-line block ×3, first 2 shown]
	v_or_b32_sdwa v3, v6, v3 dst_sel:DWORD dst_unused:UNUSED_PAD src0_sel:WORD_0 src1_sel:DWORD
	v_or3_b32 v7, 0, 0, v7
	v_or3_b32 v6, v3, v4, 0
	v_cmp_eq_u16_sdwa s[72:73], v8, v5 src0_sel:BYTE_0 src1_sel:DWORD
	s_and_saveexec_b64 s[56:57], s[72:73]
	s_cbranch_execz .LBB949_157
; %bb.152:
	s_mov_b32 s67, 1
	s_mov_b64 s[72:73], 0
	v_mov_b32_e32 v3, 0
.LBB949_153:                            ; =>This Loop Header: Depth=1
                                        ;     Child Loop BB949_154 Depth 2
	s_max_u32 s74, s67, 1
.LBB949_154:                            ;   Parent Loop BB949_153 Depth=1
                                        ; =>  This Inner Loop Header: Depth=2
	s_add_i32 s74, s74, -1
	s_cmp_eq_u32 s74, 0
	s_sleep 1
	s_cbranch_scc0 .LBB949_154
; %bb.155:                              ;   in Loop: Header=BB949_153 Depth=1
	s_cmp_lt_u32 s67, 32
	s_cselect_b64 s[74:75], -1, 0
	s_cmp_lg_u64 s[74:75], 0
	s_addc_u32 s67, s67, 0
	;;#ASMSTART
	global_load_dwordx4 v[6:9], v[60:61] off sc1	
s_waitcnt vmcnt(0)
	;;#ASMEND
	s_nop 0
	v_cmp_ne_u16_sdwa s[74:75], v8, v3 src0_sel:BYTE_0 src1_sel:DWORD
	s_or_b64 s[72:73], s[74:75], s[72:73]
	s_andn2_b64 exec, exec, s[72:73]
	s_cbranch_execnz .LBB949_153
; %bb.156:
	s_or_b64 exec, exec, s[72:73]
	v_and_b32_e32 v7, 0xff, v7
.LBB949_157:
	s_or_b64 exec, exec, s[56:57]
	v_mov_b32_e32 v3, 2
	v_cmp_eq_u16_sdwa s[56:57], v8, v3 src0_sel:BYTE_0 src1_sel:DWORD
	v_lshlrev_b64 v[4:5], v73, -1
	v_and_b32_e32 v64, 63, v73
	v_and_b32_e32 v9, s57, v5
	v_or_b32_e32 v9, 0x80000000, v9
	v_and_b32_e32 v59, s56, v4
	v_ffbl_b32_e32 v9, v9
	v_add_u32_e32 v9, 32, v9
	v_ffbl_b32_e32 v59, v59
	v_cmp_ne_u32_e32 vcc, 63, v64
	v_min_u32_e32 v9, v59, v9
	s_mov_b32 s72, 0
	v_addc_co_u32_e32 v59, vcc, 0, v73, vcc
	v_lshlrev_b32_e32 v65, 2, v59
	ds_bpermute_b32 v59, v65, v7
	ds_bpermute_b32 v60, v65, v6
	v_and_b32_e32 v61, 1, v7
	s_mov_b32 s73, 1
	v_cmp_eq_u32_e32 vcc, 1, v61
	s_waitcnt lgkmcnt(0)
	v_and_b32_e32 v59, 1, v59
	v_cmp_lt_u32_e64 s[56:57], v64, v9
	v_cndmask_b32_e64 v59, v59, 1, vcc
	v_cmp_gt_u64_e32 vcc, s[72:73], v[6:7]
	s_and_b64 vcc, s[56:57], vcc
	v_and_b32_e32 v61, 0xffff, v59
	v_cndmask_b32_e64 v68, v7, v59, s[56:57]
	v_cndmask_b32_e32 v59, 0, v60, vcc
	v_cmp_gt_u32_e32 vcc, 62, v64
	v_cndmask_b32_e64 v7, v7, v61, s[56:57]
	v_add_u32_e32 v6, v59, v6
	v_cndmask_b32_e64 v60, 0, 1, vcc
	v_lshlrev_b32_e32 v60, 1, v60
	v_add_lshl_u32 v66, v60, v73, 2
	ds_bpermute_b32 v60, v66, v7
	ds_bpermute_b32 v61, v66, v6
	v_and_b32_e32 v59, 1, v68
	v_cmp_eq_u32_e32 vcc, 1, v59
	v_mov_b32_e32 v59, 0
	s_waitcnt lgkmcnt(0)
	v_and_b32_e32 v60, 1, v60
	v_add_u32_e32 v67, 2, v64
	v_cndmask_b32_e64 v60, v60, 1, vcc
	v_cmp_eq_u16_sdwa vcc, v68, v59 src0_sel:BYTE_0 src1_sel:DWORD
	v_and_b32_e32 v69, 0xffff, v60
	v_add_u32_e32 v77, 32, v64
	v_cndmask_b32_e32 v61, 0, v61, vcc
	v_cmp_gt_u32_e32 vcc, v67, v9
	s_nop 1
	v_cndmask_b32_e32 v60, v60, v68, vcc
	v_cndmask_b32_e64 v61, v61, 0, vcc
	v_cndmask_b32_e32 v7, v69, v7, vcc
	v_cmp_gt_u32_e32 vcc, 60, v64
	v_add_u32_e32 v6, v61, v6
	v_and_b32_e32 v71, 1, v60
	v_cndmask_b32_e64 v68, 0, 1, vcc
	v_lshlrev_b32_e32 v68, 2, v68
	v_add_lshl_u32 v68, v68, v73, 2
	s_waitcnt vmcnt(0)
	ds_bpermute_b32 v70, v68, v7
	ds_bpermute_b32 v61, v68, v6
	v_cmp_eq_u32_e32 vcc, 1, v71
	v_add_u32_e32 v69, 4, v64
	s_waitcnt lgkmcnt(1)
	v_and_b32_e32 v70, 1, v70
	v_cndmask_b32_e64 v70, v70, 1, vcc
	v_cmp_eq_u16_sdwa vcc, v60, v59 src0_sel:BYTE_0 src1_sel:DWORD
	v_and_b32_e32 v71, 0xffff, v70
	s_waitcnt lgkmcnt(0)
	v_cndmask_b32_e32 v61, 0, v61, vcc
	v_cmp_gt_u32_e32 vcc, v69, v9
	s_nop 1
	v_cndmask_b32_e32 v60, v70, v60, vcc
	v_cndmask_b32_e64 v61, v61, 0, vcc
	v_cndmask_b32_e32 v7, v71, v7, vcc
	v_cmp_gt_u32_e32 vcc, 56, v64
	v_add_u32_e32 v6, v61, v6
	v_and_b32_e32 v74, 1, v60
	v_cndmask_b32_e64 v70, 0, 1, vcc
	v_lshlrev_b32_e32 v70, 3, v70
	v_add_lshl_u32 v70, v70, v73, 2
	ds_bpermute_b32 v72, v70, v7
	ds_bpermute_b32 v61, v70, v6
	v_cmp_eq_u32_e32 vcc, 1, v74
	v_add_u32_e32 v71, 8, v64
	s_waitcnt lgkmcnt(1)
	v_and_b32_e32 v72, 1, v72
	v_cndmask_b32_e64 v72, v72, 1, vcc
	v_cmp_eq_u16_sdwa vcc, v60, v59 src0_sel:BYTE_0 src1_sel:DWORD
	v_and_b32_e32 v74, 0xffff, v72
	s_waitcnt lgkmcnt(0)
	v_cndmask_b32_e32 v61, 0, v61, vcc
	v_cmp_gt_u32_e32 vcc, v71, v9
	s_nop 1
	v_cndmask_b32_e32 v60, v72, v60, vcc
	v_cndmask_b32_e64 v61, v61, 0, vcc
	v_cndmask_b32_e32 v7, v74, v7, vcc
	v_cmp_gt_u32_e32 vcc, 48, v64
	v_add_u32_e32 v6, v61, v6
	v_and_b32_e32 v76, 1, v60
	v_cndmask_b32_e64 v72, 0, 1, vcc
	v_lshlrev_b32_e32 v72, 4, v72
	v_add_lshl_u32 v72, v72, v73, 2
	ds_bpermute_b32 v75, v72, v7
	ds_bpermute_b32 v61, v72, v6
	v_cmp_eq_u32_e32 vcc, 1, v76
	v_add_u32_e32 v74, 16, v64
	s_waitcnt lgkmcnt(1)
	v_and_b32_e32 v75, 1, v75
	v_cndmask_b32_e64 v75, v75, 1, vcc
	v_cmp_eq_u16_sdwa vcc, v60, v59 src0_sel:BYTE_0 src1_sel:DWORD
	v_and_b32_e32 v76, 0xffff, v75
	s_waitcnt lgkmcnt(0)
	v_cndmask_b32_e32 v61, 0, v61, vcc
	v_cmp_gt_u32_e32 vcc, v74, v9
	s_nop 1
	v_cndmask_b32_e32 v60, v75, v60, vcc
	v_cndmask_b32_e64 v61, v61, 0, vcc
	v_cndmask_b32_e32 v7, v76, v7, vcc
	v_cmp_gt_u32_e32 vcc, 32, v64
	v_add_u32_e32 v6, v61, v6
	s_nop 0
	v_cndmask_b32_e64 v75, 0, 1, vcc
	v_lshlrev_b32_e32 v75, 5, v75
	v_add_lshl_u32 v76, v75, v73, 2
	ds_bpermute_b32 v7, v76, v7
	ds_bpermute_b32 v61, v76, v6
	v_and_b32_e32 v73, 1, v60
	v_cmp_eq_u32_e32 vcc, 1, v73
	s_waitcnt lgkmcnt(1)
	v_and_b32_e32 v7, 1, v7
	v_cndmask_b32_e64 v7, v7, 1, vcc
	v_cmp_eq_u16_sdwa vcc, v60, v59 src0_sel:BYTE_0 src1_sel:DWORD
	s_waitcnt lgkmcnt(0)
	s_nop 0
	v_cndmask_b32_e32 v61, 0, v61, vcc
	v_cmp_gt_u32_e32 vcc, v77, v9
	s_nop 1
	v_cndmask_b32_e64 v9, v61, 0, vcc
	v_cndmask_b32_e32 v7, v7, v60, vcc
	v_add_u32_e32 v6, v9, v6
	s_branch .LBB949_159
.LBB949_158:                            ;   in Loop: Header=BB949_159 Depth=1
	s_or_b64 exec, exec, s[56:57]
	v_cmp_eq_u16_sdwa s[56:57], v8, v3 src0_sel:BYTE_0 src1_sel:DWORD
	ds_bpermute_b32 v61, v65, v7
	v_and_b32_e32 v78, 1, v7
	v_and_b32_e32 v9, s57, v5
	v_or_b32_e32 v9, 0x80000000, v9
	v_and_b32_e32 v60, s56, v4
	v_ffbl_b32_e32 v9, v9
	v_add_u32_e32 v9, 32, v9
	v_ffbl_b32_e32 v60, v60
	v_min_u32_e32 v9, v60, v9
	ds_bpermute_b32 v60, v65, v6
	s_waitcnt lgkmcnt(1)
	v_and_b32_e32 v61, 1, v61
	v_cmp_eq_u32_e32 vcc, 1, v78
	v_cmp_lt_u32_e64 s[56:57], v64, v9
	v_subrev_u32_e32 v58, 64, v58
	v_cndmask_b32_e64 v61, v61, 1, vcc
	v_cmp_gt_u64_e32 vcc, s[72:73], v[6:7]
	v_and_b32_e32 v78, 0xffff, v61
	v_cndmask_b32_e64 v61, v7, v61, s[56:57]
	v_cndmask_b32_e64 v7, v7, v78, s[56:57]
	s_and_b64 vcc, s[56:57], vcc
	ds_bpermute_b32 v78, v66, v7
	s_waitcnt lgkmcnt(1)
	v_cndmask_b32_e32 v60, 0, v60, vcc
	v_add_u32_e32 v6, v60, v6
	ds_bpermute_b32 v60, v66, v6
	v_and_b32_e32 v79, 1, v61
	s_waitcnt lgkmcnt(1)
	v_and_b32_e32 v78, 1, v78
	v_cmp_eq_u32_e32 vcc, 1, v79
	s_nop 1
	v_cndmask_b32_e64 v78, v78, 1, vcc
	v_cmp_eq_u16_sdwa vcc, v61, v59 src0_sel:BYTE_0 src1_sel:DWORD
	v_and_b32_e32 v79, 0xffff, v78
	s_waitcnt lgkmcnt(0)
	v_cndmask_b32_e32 v60, 0, v60, vcc
	v_cmp_gt_u32_e32 vcc, v67, v9
	s_nop 1
	v_cndmask_b32_e32 v7, v79, v7, vcc
	v_cndmask_b32_e32 v61, v78, v61, vcc
	ds_bpermute_b32 v78, v68, v7
	v_cndmask_b32_e64 v60, v60, 0, vcc
	v_add_u32_e32 v6, v60, v6
	ds_bpermute_b32 v60, v68, v6
	v_and_b32_e32 v79, 1, v61
	s_waitcnt lgkmcnt(1)
	v_and_b32_e32 v78, 1, v78
	v_cmp_eq_u32_e32 vcc, 1, v79
	s_nop 1
	v_cndmask_b32_e64 v78, v78, 1, vcc
	v_cmp_eq_u16_sdwa vcc, v61, v59 src0_sel:BYTE_0 src1_sel:DWORD
	v_and_b32_e32 v79, 0xffff, v78
	s_waitcnt lgkmcnt(0)
	v_cndmask_b32_e32 v60, 0, v60, vcc
	v_cmp_gt_u32_e32 vcc, v69, v9
	s_nop 1
	v_cndmask_b32_e32 v7, v79, v7, vcc
	v_cndmask_b32_e32 v61, v78, v61, vcc
	ds_bpermute_b32 v78, v70, v7
	v_cndmask_b32_e64 v60, v60, 0, vcc
	;; [unrolled: 18-line block ×3, first 2 shown]
	v_add_u32_e32 v6, v60, v6
	ds_bpermute_b32 v60, v72, v6
	v_and_b32_e32 v79, 1, v61
	s_waitcnt lgkmcnt(1)
	v_and_b32_e32 v78, 1, v78
	v_cmp_eq_u32_e32 vcc, 1, v79
	s_nop 1
	v_cndmask_b32_e64 v78, v78, 1, vcc
	v_cmp_eq_u16_sdwa vcc, v61, v59 src0_sel:BYTE_0 src1_sel:DWORD
	v_and_b32_e32 v79, 0xffff, v78
	s_waitcnt lgkmcnt(0)
	v_cndmask_b32_e32 v60, 0, v60, vcc
	v_cmp_gt_u32_e32 vcc, v74, v9
	s_nop 1
	v_cndmask_b32_e64 v60, v60, 0, vcc
	v_cndmask_b32_e32 v7, v79, v7, vcc
	ds_bpermute_b32 v7, v76, v7
	v_add_u32_e32 v6, v60, v6
	ds_bpermute_b32 v60, v76, v6
	v_cndmask_b32_e32 v61, v78, v61, vcc
	v_and_b32_e32 v78, 1, v61
	v_cmp_eq_u32_e32 vcc, 1, v78
	s_waitcnt lgkmcnt(1)
	s_nop 0
	v_cndmask_b32_e64 v7, v7, 1, vcc
	v_cmp_eq_u16_sdwa vcc, v61, v59 src0_sel:BYTE_0 src1_sel:DWORD
	s_waitcnt lgkmcnt(0)
	s_nop 0
	v_cndmask_b32_e32 v60, 0, v60, vcc
	v_cmp_gt_u32_e32 vcc, v77, v9
	s_nop 1
	v_cndmask_b32_e64 v9, v60, 0, vcc
	v_cndmask_b32_e32 v7, v7, v61, vcc
	v_add_u32_e32 v6, v9, v6
	v_cmp_eq_u16_sdwa vcc, v73, v59 src0_sel:BYTE_0 src1_sel:DWORD
	v_and_b32_e32 v9, 1, v73
	v_and_b32_e32 v7, 1, v7
	v_cndmask_b32_e32 v6, 0, v6, vcc
	v_cmp_eq_u32_e32 vcc, 1, v9
	v_add_u32_e32 v6, v6, v75
	s_nop 0
	v_cndmask_b32_e64 v7, v7, 1, vcc
.LBB949_159:                            ; =>This Loop Header: Depth=1
                                        ;     Child Loop BB949_162 Depth 2
                                        ;       Child Loop BB949_163 Depth 3
	v_cmp_ne_u16_sdwa s[56:57], v8, v3 src0_sel:BYTE_0 src1_sel:DWORD
	v_mov_b32_e32 v73, v7
	v_mov_b32_e32 v75, v6
	v_cndmask_b32_e64 v7, 0, 1, s[56:57]
	;;#ASMSTART
	;;#ASMEND
	s_nop 0
	v_cmp_ne_u32_e32 vcc, 0, v7
	s_cmp_lg_u64 vcc, exec
	s_cbranch_scc1 .LBB949_166
; %bb.160:                              ;   in Loop: Header=BB949_159 Depth=1
	v_lshl_add_u64 v[60:61], v[58:59], 4, s[64:65]
	;;#ASMSTART
	global_load_dwordx4 v[6:9], v[60:61] off sc1	
s_waitcnt vmcnt(0)
	;;#ASMEND
	s_nop 0
	v_and_b32_e32 v9, 0xff0000, v6
	v_and_b32_e32 v78, 0xff000000, v6
	;; [unrolled: 1-line block ×3, first 2 shown]
	v_or_b32_sdwa v6, v6, v9 dst_sel:DWORD dst_unused:UNUSED_PAD src0_sel:WORD_0 src1_sel:DWORD
	v_or3_b32 v7, 0, 0, v7
	v_or3_b32 v6, v6, v78, 0
	v_cmp_eq_u16_sdwa s[74:75], v8, v59 src0_sel:BYTE_0 src1_sel:DWORD
	s_and_saveexec_b64 s[56:57], s[74:75]
	s_cbranch_execz .LBB949_158
; %bb.161:                              ;   in Loop: Header=BB949_159 Depth=1
	s_mov_b32 s67, 1
	s_mov_b64 s[74:75], 0
.LBB949_162:                            ;   Parent Loop BB949_159 Depth=1
                                        ; =>  This Loop Header: Depth=2
                                        ;       Child Loop BB949_163 Depth 3
	s_max_u32 s76, s67, 1
.LBB949_163:                            ;   Parent Loop BB949_159 Depth=1
                                        ;     Parent Loop BB949_162 Depth=2
                                        ; =>    This Inner Loop Header: Depth=3
	s_add_i32 s76, s76, -1
	s_cmp_eq_u32 s76, 0
	s_sleep 1
	s_cbranch_scc0 .LBB949_163
; %bb.164:                              ;   in Loop: Header=BB949_162 Depth=2
	s_cmp_lt_u32 s67, 32
	s_cselect_b64 s[76:77], -1, 0
	s_cmp_lg_u64 s[76:77], 0
	s_addc_u32 s67, s67, 0
	;;#ASMSTART
	global_load_dwordx4 v[6:9], v[60:61] off sc1	
s_waitcnt vmcnt(0)
	;;#ASMEND
	s_nop 0
	v_cmp_ne_u16_sdwa s[76:77], v8, v59 src0_sel:BYTE_0 src1_sel:DWORD
	s_or_b64 s[74:75], s[76:77], s[74:75]
	s_andn2_b64 exec, exec, s[74:75]
	s_cbranch_execnz .LBB949_162
; %bb.165:                              ;   in Loop: Header=BB949_159 Depth=1
	s_or_b64 exec, exec, s[74:75]
	v_and_b32_e32 v7, 0xff, v7
	s_branch .LBB949_158
.LBB949_166:                            ;   in Loop: Header=BB949_159 Depth=1
                                        ; implicit-def: $vgpr7
                                        ; implicit-def: $vgpr6
                                        ; implicit-def: $vgpr8
	s_cbranch_execz .LBB949_159
; %bb.167:
	s_and_saveexec_b64 s[56:57], s[52:53]
	s_cbranch_execz .LBB949_169
; %bb.168:
	s_and_b32 s52, s3, 0xff
	s_cmp_eq_u32 s52, 0
	s_cselect_b64 vcc, -1, 0
	s_bitcmp1_b32 s3, 0
	s_mov_b32 s53, 0
	s_cselect_b64 s[72:73], -1, 0
	s_add_i32 s52, s2, 64
	s_lshl_b64 s[2:3], s[52:53], 4
	v_cndmask_b32_e32 v3, 0, v75, vcc
	s_add_u32 s2, s64, s2
	v_add_u32_e32 v2, v3, v2
	v_and_b32_e32 v3, 1, v73
	s_addc_u32 s3, s65, s3
	v_mov_b32_e32 v5, 0
	v_cndmask_b32_e64 v3, v3, 1, s[72:73]
	v_mov_b32_e32 v4, 2
	v_mov_b64_e32 v[6:7], s[2:3]
	;;#ASMSTART
	global_store_dwordx4 v[6:7], v[2:5] off sc1	
s_waitcnt vmcnt(0)
	;;#ASMEND
.LBB949_169:
	s_or_b64 exec, exec, s[56:57]
	s_and_b64 exec, exec, s[50:51]
	s_cbranch_execz .LBB949_171
; %bb.170:
	v_mov_b32_e32 v2, 0
	ds_write_b32 v2, v75
	ds_write_b8 v2, v73 offset:4
.LBB949_171:
	s_or_b64 exec, exec, s[62:63]
	s_mov_b32 s2, 0
	v_mov_b32_e32 v2, 0
	s_mov_b32 s3, 1
	s_waitcnt lgkmcnt(0)
	s_barrier
	ds_read_b32 v3, v2
	v_cmp_gt_u64_e32 vcc, s[2:3], v[10:11]
	v_and_b32_e32 v5, 1, v11
	v_and_b32_e32 v6, 1, v63
	v_cndmask_b32_e32 v4, 0, v62, vcc
	v_cmp_eq_u32_e32 vcc, 1, v5
	v_cndmask_b32_e64 v4, v4, 0, s[50:51]
	s_nop 0
	v_cndmask_b32_e64 v5, v6, 1, vcc
	v_cndmask_b32_e64 v5, v5, v11, s[50:51]
	v_cmp_eq_u16_sdwa vcc, v5, v2 src0_sel:BYTE_0 src1_sel:DWORD
	s_waitcnt lgkmcnt(0)
	s_nop 0
	v_cndmask_b32_e32 v2, 0, v3, vcc
	v_add3_u32 v80, v4, v10, v2
	v_cndmask_b32_e64 v2, 0, v80, s[4:5]
	v_add_u32_e32 v58, v2, v12
	v_cndmask_b32_e64 v2, 0, v58, s[6:7]
	v_add_u32_e32 v59, v2, v14
	;; [unrolled: 2-line block ×12, first 2 shown]
	v_cndmask_b32_e64 v2, 0, v69, s[28:29]
	s_waitcnt vmcnt(0)
	v_add_u32_e32 v70, v2, v36
	v_cndmask_b32_e64 v2, 0, v70, s[30:31]
	v_add_u32_e32 v71, v2, v38
	v_cndmask_b32_e64 v2, 0, v71, s[34:35]
	v_add_u32_e32 v72, v2, v40
	v_cndmask_b32_e64 v2, 0, v72, s[36:37]
	v_add_u32_e32 v73, v2, v42
	v_cndmask_b32_e64 v2, 0, v73, s[38:39]
	v_add_u32_e32 v74, v2, v44
	v_cndmask_b32_e64 v2, 0, v74, s[40:41]
	v_add_u32_e32 v75, v2, v46
	v_cndmask_b32_e64 v2, 0, v75, s[42:43]
	v_add_u32_e32 v76, v2, v48
	v_cndmask_b32_e64 v2, 0, v76, s[44:45]
	v_add_u32_e32 v77, v2, v50
	v_cndmask_b32_e64 v2, 0, v77, s[46:47]
	v_add_u32_e32 v78, v2, v52
	v_cndmask_b32_e64 v2, 0, v78, s[48:49]
	v_add_u32_e32 v79, v2, v56
	s_load_dwordx2 s[50:51], s[0:1], 0x20
	s_branch .LBB949_192
.LBB949_172:
                                        ; implicit-def: $vgpr78
                                        ; implicit-def: $vgpr77
                                        ; implicit-def: $vgpr76
                                        ; implicit-def: $vgpr75
                                        ; implicit-def: $vgpr74
                                        ; implicit-def: $vgpr73
                                        ; implicit-def: $vgpr72
                                        ; implicit-def: $vgpr71
                                        ; implicit-def: $vgpr70
                                        ; implicit-def: $vgpr69
                                        ; implicit-def: $vgpr68
                                        ; implicit-def: $vgpr67
                                        ; implicit-def: $vgpr66
                                        ; implicit-def: $vgpr65
                                        ; implicit-def: $vgpr64
                                        ; implicit-def: $vgpr63
                                        ; implicit-def: $vgpr62
                                        ; implicit-def: $vgpr61
                                        ; implicit-def: $vgpr60
                                        ; implicit-def: $vgpr59
                                        ; implicit-def: $vgpr58
                                        ; implicit-def: $vgpr80
                                        ; implicit-def: $vgpr79
	s_load_dwordx2 s[50:51], s[0:1], 0x20
	s_cbranch_execz .LBB949_192
; %bb.173:
	s_cmp_lg_u64 s[70:71], 0
	s_cselect_b32 s3, s59, 0
	s_cselect_b32 s2, s58, 0
	s_cmp_lg_u64 s[2:3], 0
	s_cselect_b64 s[4:5], -1, 0
	v_cmp_eq_u32_e32 vcc, 0, v0
	s_mov_b32 s48, 0
	v_cmp_ne_u32_e64 s[0:1], 0, v0
	s_and_b64 s[6:7], vcc, s[4:5]
	s_and_saveexec_b64 s[4:5], s[6:7]
	s_cbranch_execz .LBB949_175
; %bb.174:
	v_mov_b32_e32 v2, 0
	global_load_dword v4, v2, s[2:3]
	global_load_ubyte v5, v2, s[2:3] offset:4
	s_mov_b32 s49, 1
	v_and_b32_e32 v3, 1, v11
	v_cmp_gt_u64_e64 s[2:3], s[48:49], v[10:11]
	s_waitcnt vmcnt(0)
	v_and_b32_e32 v5, 1, v5
	v_cndmask_b32_e64 v4, 0, v4, s[2:3]
	v_cmp_eq_u64_e64 s[2:3], 0, v[2:3]
	v_add_u32_e32 v10, v4, v10
	s_nop 0
	v_cndmask_b32_e64 v11, 1, v5, s[2:3]
.LBB949_175:
	s_or_b64 exec, exec, s[4:5]
	s_mov_b32 s49, 1
	v_cmp_gt_u64_e64 s[4:5], s[48:49], v[12:13]
	v_cmp_gt_u64_e64 s[6:7], s[48:49], v[14:15]
	v_cmp_gt_u64_e64 s[8:9], s[48:49], v[16:17]
	v_cndmask_b32_e64 v2, 0, v10, s[4:5]
	v_add_u32_e32 v58, v2, v12
	v_cndmask_b32_e64 v2, 0, v58, s[6:7]
	v_add_u32_e32 v59, v2, v14
	v_cndmask_b32_e64 v2, 0, v59, s[8:9]
	v_add_u32_e32 v60, v2, v16
	v_cmp_gt_u64_e64 s[10:11], s[48:49], v[18:19]
	v_cmp_gt_u64_e64 s[12:13], s[48:49], v[20:21]
	v_cmp_gt_u64_e64 s[14:15], s[48:49], v[22:23]
	v_cndmask_b32_e64 v2, 0, v60, s[10:11]
	v_add_u32_e32 v61, v2, v18
	v_cndmask_b32_e64 v2, 0, v61, s[12:13]
	v_add_u32_e32 v62, v2, v20
	v_cndmask_b32_e64 v2, 0, v62, s[14:15]
	v_add_u32_e32 v63, v2, v22
	;; [unrolled: 9-line block ×4, first 2 shown]
	v_cmp_gt_u64_e64 s[28:29], s[48:49], v[36:37]
	v_cmp_gt_u64_e64 s[30:31], s[48:49], v[38:39]
	;; [unrolled: 1-line block ×3, first 2 shown]
	v_cndmask_b32_e64 v2, 0, v69, s[28:29]
	s_waitcnt vmcnt(0)
	v_add_u32_e32 v70, v2, v36
	v_cndmask_b32_e64 v2, 0, v70, s[30:31]
	v_add_u32_e32 v71, v2, v38
	v_cndmask_b32_e64 v2, 0, v71, s[34:35]
	v_add_u32_e32 v72, v2, v40
	v_cmp_gt_u64_e64 s[36:37], s[48:49], v[42:43]
	v_cmp_gt_u64_e64 s[38:39], s[48:49], v[44:45]
	;; [unrolled: 1-line block ×3, first 2 shown]
	v_cndmask_b32_e64 v2, 0, v72, s[36:37]
	v_add_u32_e32 v73, v2, v42
	v_cndmask_b32_e64 v2, 0, v73, s[38:39]
	v_add_u32_e32 v74, v2, v44
	;; [unrolled: 2-line block ×3, first 2 shown]
	v_cmp_gt_u64_e64 s[42:43], s[48:49], v[48:49]
	v_cmp_gt_u64_e64 s[44:45], s[48:49], v[50:51]
	;; [unrolled: 1-line block ×3, first 2 shown]
	v_cndmask_b32_e64 v2, 0, v75, s[42:43]
	v_add_u32_e32 v76, v2, v48
	v_cndmask_b32_e64 v2, 0, v76, s[44:45]
	v_add_u32_e32 v77, v2, v50
	;; [unrolled: 2-line block ×3, first 2 shown]
	v_cmp_gt_u64_e64 s[48:49], s[48:49], v[56:57]
	v_add_lshl_u32 v1, v1, v0, 3
	s_nop 0
	v_cndmask_b32_e64 v2, 0, v78, s[48:49]
	v_add_u32_e32 v79, v2, v56
	v_or3_b32 v2, v55, v51, v49
	v_or3_b32 v2, v2, v47, v45
	;; [unrolled: 1-line block ×10, first 2 shown]
	v_and_b32_e32 v2, 1, v2
	v_cmp_eq_u32_e64 s[2:3], 1, v2
	s_nop 1
	v_cndmask_b32_e64 v4, v11, 1, s[2:3]
	v_cmp_gt_u32_e64 s[2:3], 64, v0
	ds_write_b32 v1, v79
	ds_write_b8 v1, v4 offset:4
	s_waitcnt lgkmcnt(0)
	s_barrier
	s_and_saveexec_b64 s[52:53], s[2:3]
	s_cbranch_execz .LBB949_187
; %bb.176:
	v_lshrrev_b32_e32 v1, 3, v0
	v_add_lshl_u32 v1, v1, v54, 3
	ds_read2_b32 v[6:7], v1 offset0:2 offset1:4
	ds_read_b64 v[2:3], v1
	ds_read_u8 v8, v1 offset:12
	ds_read_u8 v9, v1 offset:20
	ds_read_b32 v13, v1 offset:24
	ds_read_u8 v15, v1 offset:28
	v_mov_b32_e32 v17, 0
	s_waitcnt lgkmcnt(3)
	v_cmp_eq_u16_sdwa s[2:3], v8, v17 src0_sel:BYTE_0 src1_sel:DWORD
	v_and_b32_e32 v5, 1, v3
	s_nop 0
	v_cndmask_b32_e64 v19, 0, v2, s[2:3]
	v_add_u32_e32 v6, v19, v6
	s_waitcnt lgkmcnt(2)
	v_cmp_eq_u16_sdwa s[2:3], v9, v17 src0_sel:BYTE_0 src1_sel:DWORD
	s_nop 1
	v_cndmask_b32_e64 v6, 0, v6, s[2:3]
	v_add_u32_e32 v6, v6, v7
	s_waitcnt lgkmcnt(0)
	v_cmp_eq_u16_e64 s[2:3], 0, v15
	s_nop 1
	v_cndmask_b32_e64 v6, 0, v6, s[2:3]
	v_add_u32_e32 v7, v6, v13
	v_or_b32_e32 v6, v15, v9
	v_or_b32_e32 v6, v6, v8
	v_and_b32_e32 v6, 1, v6
	v_cmp_eq_u32_e64 s[2:3], 1, v6
	v_mbcnt_lo_u32_b32 v8, -1, 0
	v_and_b32_e32 v6, 0xffffff00, v3
	v_cndmask_b32_e64 v9, v5, 1, s[2:3]
	v_mbcnt_hi_u32_b32 v8, -1, v8
	v_and_b32_e32 v15, 15, v8
	v_or_b32_sdwa v13, v6, v9 dst_sel:DWORD dst_unused:UNUSED_PAD src0_sel:DWORD src1_sel:WORD_0
	v_mov_b32_dpp v17, v7 row_shr:1 row_mask:0xf bank_mask:0xf
	v_cmp_ne_u32_e64 s[2:3], 0, v15
	v_mov_b32_dpp v19, v13 row_shr:1 row_mask:0xf bank_mask:0xf
	s_and_saveexec_b64 s[56:57], s[2:3]
; %bb.177:
	v_and_b32_e32 v13, 1, v9
	v_and_b32_e32 v19, 1, v19
	v_cmp_eq_u32_e64 s[2:3], 1, v13
	s_nop 1
	v_cndmask_b32_e64 v19, v19, 1, s[2:3]
	v_cmp_eq_u16_e64 s[2:3], 0, v9
	v_or_b32_sdwa v13, v6, v19 dst_sel:DWORD dst_unused:UNUSED_PAD src0_sel:DWORD src1_sel:WORD_0
	s_nop 0
	v_cndmask_b32_e64 v9, 0, v17, s[2:3]
	v_add_u32_e32 v7, v9, v7
	v_mov_b32_e32 v9, v19
; %bb.178:
	s_or_b64 exec, exec, s[56:57]
	v_mov_b32_dpp v17, v7 row_shr:2 row_mask:0xf bank_mask:0xf
	v_mov_b32_dpp v19, v13 row_shr:2 row_mask:0xf bank_mask:0xf
	v_cmp_lt_u32_e64 s[2:3], 1, v15
	s_and_saveexec_b64 s[56:57], s[2:3]
; %bb.179:
	v_and_b32_e32 v13, 1, v9
	v_and_b32_e32 v19, 1, v19
	v_cmp_eq_u32_e64 s[2:3], 1, v13
	s_nop 1
	v_cndmask_b32_e64 v19, v19, 1, s[2:3]
	v_cmp_eq_u16_e64 s[2:3], 0, v9
	v_or_b32_sdwa v13, v6, v19 dst_sel:DWORD dst_unused:UNUSED_PAD src0_sel:DWORD src1_sel:WORD_0
	s_nop 0
	v_cndmask_b32_e64 v9, 0, v17, s[2:3]
	v_add_u32_e32 v7, v9, v7
	v_mov_b32_e32 v9, v19
; %bb.180:
	s_or_b64 exec, exec, s[56:57]
	v_mov_b32_dpp v17, v7 row_shr:4 row_mask:0xf bank_mask:0xf
	v_mov_b32_dpp v19, v13 row_shr:4 row_mask:0xf bank_mask:0xf
	v_cmp_lt_u32_e64 s[2:3], 3, v15
	;; [unrolled: 18-line block ×3, first 2 shown]
	s_and_saveexec_b64 s[56:57], s[2:3]
; %bb.183:
	v_and_b32_e32 v13, 1, v9
	v_and_b32_e32 v15, 1, v19
	v_cmp_eq_u32_e64 s[2:3], 1, v13
	s_nop 1
	v_cndmask_b32_e64 v15, v15, 1, s[2:3]
	v_cmp_eq_u16_e64 s[2:3], 0, v9
	v_or_b32_sdwa v13, v6, v15 dst_sel:DWORD dst_unused:UNUSED_PAD src0_sel:DWORD src1_sel:WORD_0
	s_nop 0
	v_cndmask_b32_e64 v9, 0, v17, s[2:3]
	v_add_u32_e32 v7, v9, v7
	v_mov_b32_e32 v9, v15
; %bb.184:
	s_or_b64 exec, exec, s[56:57]
	v_and_b32_e32 v19, 16, v8
	v_mov_b32_dpp v15, v7 row_bcast:15 row_mask:0xf bank_mask:0xf
	v_mov_b32_dpp v17, v13 row_bcast:15 row_mask:0xf bank_mask:0xf
	v_cmp_ne_u32_e64 s[2:3], 0, v19
	s_and_saveexec_b64 s[56:57], s[2:3]
; %bb.185:
	v_and_b32_e32 v13, 1, v9
	v_and_b32_e32 v17, 1, v17
	v_cmp_eq_u32_e64 s[2:3], 1, v13
	s_nop 1
	v_cndmask_b32_e64 v17, v17, 1, s[2:3]
	v_cmp_eq_u16_e64 s[2:3], 0, v9
	v_or_b32_sdwa v13, v6, v17 dst_sel:DWORD dst_unused:UNUSED_PAD src0_sel:DWORD src1_sel:WORD_0
	s_nop 0
	v_cndmask_b32_e64 v9, 0, v15, s[2:3]
	v_add_u32_e32 v7, v9, v7
	v_mov_b32_e32 v9, v17
; %bb.186:
	s_or_b64 exec, exec, s[56:57]
	v_mov_b32_dpp v13, v13 row_bcast:31 row_mask:0xf bank_mask:0xf
	v_and_b32_e32 v17, 1, v9
	v_and_b32_e32 v13, 1, v13
	v_cmp_eq_u32_e64 s[2:3], 1, v17
	v_mov_b32_e32 v17, 0
	v_cmp_eq_u16_sdwa s[56:57], v9, v17 src0_sel:BYTE_0 src1_sel:DWORD
	v_cndmask_b32_e64 v13, v13, 1, s[2:3]
	v_cmp_lt_u32_e64 s[2:3], 31, v8
	v_mov_b32_dpp v15, v7 row_bcast:31 row_mask:0xf bank_mask:0xf
	s_movk_i32 s58, 0xff
	v_cndmask_b32_e64 v9, v9, v13, s[2:3]
	s_and_b64 s[2:3], s[2:3], s[56:57]
	v_cndmask_b32_e64 v13, 0, v15, s[2:3]
	v_add_u32_e32 v7, v13, v7
	v_add_u32_e32 v13, -1, v8
	v_and_b32_e32 v15, 64, v8
	v_cmp_lt_i32_e64 s[2:3], v13, v15
	v_and_or_b32 v6, v9, s58, v6
	s_nop 0
	v_cndmask_b32_e64 v8, v13, v8, s[2:3]
	v_lshlrev_b32_e32 v8, 2, v8
	ds_bpermute_b32 v7, v8, v7
	ds_bpermute_b32 v6, v8, v6
	v_cmp_eq_u16_sdwa s[2:3], v3, v17 src0_sel:BYTE_0 src1_sel:DWORD
	; wave barrier
	s_waitcnt lgkmcnt(1)
	s_nop 0
	v_cndmask_b32_e64 v3, 0, v7, s[2:3]
	v_add_u32_e32 v2, v3, v2
	s_waitcnt lgkmcnt(0)
	v_and_b32_e32 v3, 1, v6
	v_cmp_eq_u32_e64 s[2:3], 1, v5
	v_cndmask_b32_e32 v5, v2, v79, vcc
	s_nop 0
	v_cndmask_b32_e64 v3, v3, 1, s[2:3]
	v_cndmask_b32_e32 v4, v3, v4, vcc
	ds_write_b32 v1, v5
	ds_write_b8 v1, v4 offset:4
	; wave barrier
	ds_read_u8 v6, v1 offset:12
	ds_read2_b32 v[2:3], v1 offset0:2 offset1:4
	ds_read_u8 v7, v1 offset:20
	ds_read_b32 v8, v1 offset:24
	ds_read_u8 v9, v1 offset:28
	s_waitcnt lgkmcnt(4)
	v_cmp_eq_u16_e64 s[2:3], 0, v6
	s_nop 1
	v_cndmask_b32_e64 v5, 0, v5, s[2:3]
	s_waitcnt lgkmcnt(3)
	v_add_u32_e32 v2, v5, v2
	v_and_b32_e32 v5, 1, v6
	v_cmp_eq_u32_e64 s[2:3], 1, v5
	s_nop 1
	v_cndmask_b32_e64 v4, v4, 1, s[2:3]
	s_waitcnt lgkmcnt(2)
	v_cmp_eq_u16_e64 s[2:3], 0, v7
	ds_write_b8 v1, v4 offset:12
	s_nop 0
	v_cndmask_b32_e64 v5, 0, v2, s[2:3]
	v_add_u32_e32 v3, v5, v3
	v_and_b32_e32 v5, 1, v7
	v_cmp_eq_u32_e64 s[2:3], 1, v5
	s_nop 1
	v_cndmask_b32_e64 v4, v4, 1, s[2:3]
	s_waitcnt lgkmcnt(1)
	v_cmp_eq_u16_e64 s[2:3], 0, v9
	ds_write2_b32 v1, v2, v3 offset0:2 offset1:4
	ds_write_b8 v1, v4 offset:20
	v_cndmask_b32_e64 v2, 0, v3, s[2:3]
	v_and_b32_e32 v3, 1, v9
	v_add_u32_e32 v2, v2, v8
	v_cmp_eq_u32_e64 s[2:3], 1, v3
	s_nop 1
	v_cndmask_b32_e64 v3, v4, 1, s[2:3]
	ds_write_b32 v1, v2 offset:24
	ds_write_b8 v1, v3 offset:28
.LBB949_187:
	s_or_b64 exec, exec, s[52:53]
	v_mov_b32_e32 v1, v79
	s_waitcnt lgkmcnt(0)
	s_barrier
	s_and_saveexec_b64 s[2:3], s[0:1]
	s_cbranch_execnz .LBB949_265
; %bb.188:
	s_or_b64 exec, exec, s[2:3]
	s_and_saveexec_b64 s[2:3], s[0:1]
	s_cbranch_execnz .LBB949_266
.LBB949_189:
	s_or_b64 exec, exec, s[2:3]
	s_and_saveexec_b64 s[0:1], vcc
	s_cbranch_execz .LBB949_191
.LBB949_190:
	v_mov_b32_e32 v5, 0
	ds_read_b32 v2, v5 offset:2096
	ds_read_u8 v3, v5 offset:2100
	s_add_u32 s2, s64, 0x400
	s_addc_u32 s3, s65, 0
	v_mov_b32_e32 v4, 2
	v_mov_b64_e32 v[6:7], s[2:3]
	s_waitcnt lgkmcnt(0)
	;;#ASMSTART
	global_store_dwordx4 v[6:7], v[2:5] off sc1	
s_waitcnt vmcnt(0)
	;;#ASMEND
.LBB949_191:
	s_or_b64 exec, exec, s[0:1]
	v_mov_b32_e32 v80, v10
.LBB949_192:
	s_waitcnt lgkmcnt(0)
	s_add_u32 s0, s50, s68
	s_addc_u32 s1, s51, s69
	s_add_u32 s0, s0, s60
	s_addc_u32 s1, s1, s61
	s_and_b64 vcc, exec, s[54:55]
	s_cbranch_vccz .LBB949_238
; %bb.193:
	s_movk_i32 s2, 0x5c
	v_mul_i32_i24_e32 v26, 0xffffffa8, v0
	v_mul_u32_u24_e32 v1, 0x5c, v0
	v_mad_u32_u24 v2, v0, s2, v26
	s_barrier
	ds_write2_b32 v1, v80, v58 offset1:1
	ds_write2_b32 v1, v59, v60 offset0:2 offset1:3
	ds_write2_b32 v1, v61, v62 offset0:4 offset1:5
	;; [unrolled: 1-line block ×5, first 2 shown]
	s_waitcnt vmcnt(0)
	ds_write2_b32 v1, v69, v70 offset0:12 offset1:13
	ds_write2_b32 v1, v71, v72 offset0:14 offset1:15
	;; [unrolled: 1-line block ×5, first 2 shown]
	ds_write_b32 v1, v79 offset:88
	s_waitcnt lgkmcnt(0)
	s_barrier
	ds_read2st64_b32 v[24:25], v2 offset0:4 offset1:8
	ds_read2st64_b32 v[22:23], v2 offset0:12 offset1:16
	;; [unrolled: 1-line block ×11, first 2 shown]
	s_add_i32 s33, s33, s66
	v_mov_b32_e32 v55, 0
	v_lshl_add_u64 v[4:5], s[0:1], 0, v[54:55]
	v_cmp_gt_u32_e32 vcc, s33, v0
	s_and_saveexec_b64 s[2:3], vcc
	s_cbranch_execz .LBB949_195
; %bb.194:
	v_add_u32_e32 v1, v1, v26
	ds_read_b32 v1, v1
	s_waitcnt lgkmcnt(0)
	flat_store_dword v[4:5], v1
.LBB949_195:
	s_or_b64 exec, exec, s[2:3]
	v_or_b32_e32 v1, 0x100, v0
	v_cmp_gt_u32_e32 vcc, s33, v1
	s_and_saveexec_b64 s[2:3], vcc
	s_cbranch_execz .LBB949_197
; %bb.196:
	s_waitcnt lgkmcnt(0)
	flat_store_dword v[4:5], v24 offset:1024
.LBB949_197:
	s_or_b64 exec, exec, s[2:3]
	v_or_b32_e32 v1, 0x200, v0
	v_cmp_gt_u32_e32 vcc, s33, v1
	s_and_saveexec_b64 s[2:3], vcc
	s_cbranch_execz .LBB949_199
; %bb.198:
	s_waitcnt lgkmcnt(0)
	flat_store_dword v[4:5], v25 offset:2048
.LBB949_199:
	;; [unrolled: 9-line block ×3, first 2 shown]
	s_or_b64 exec, exec, s[2:3]
	v_or_b32_e32 v1, 0x400, v0
	v_cmp_gt_u32_e32 vcc, s33, v1
	s_and_saveexec_b64 s[2:3], vcc
	s_cbranch_execz .LBB949_203
; %bb.202:
	s_waitcnt lgkmcnt(0)
	v_add_co_u32_e32 v24, vcc, 0x1000, v4
	s_nop 1
	v_addc_co_u32_e32 v25, vcc, 0, v5, vcc
	flat_store_dword v[24:25], v23
.LBB949_203:
	s_or_b64 exec, exec, s[2:3]
	v_or_b32_e32 v1, 0x500, v0
	v_cmp_gt_u32_e32 vcc, s33, v1
	s_and_saveexec_b64 s[2:3], vcc
	s_cbranch_execz .LBB949_205
; %bb.204:
	s_waitcnt lgkmcnt(0)
	v_add_co_u32_e32 v22, vcc, 0x1000, v4
	s_nop 1
	v_addc_co_u32_e32 v23, vcc, 0, v5, vcc
	flat_store_dword v[22:23], v20 offset:1024
.LBB949_205:
	s_or_b64 exec, exec, s[2:3]
	v_or_b32_e32 v1, 0x600, v0
	v_cmp_gt_u32_e32 vcc, s33, v1
	s_and_saveexec_b64 s[2:3], vcc
	s_cbranch_execz .LBB949_207
; %bb.206:
	s_waitcnt lgkmcnt(0)
	v_add_co_u32_e32 v22, vcc, 0x1000, v4
	s_nop 1
	v_addc_co_u32_e32 v23, vcc, 0, v5, vcc
	flat_store_dword v[22:23], v21 offset:2048
.LBB949_207:
	s_or_b64 exec, exec, s[2:3]
	v_or_b32_e32 v1, 0x700, v0
	v_cmp_gt_u32_e32 vcc, s33, v1
	s_and_saveexec_b64 s[2:3], vcc
	s_cbranch_execz .LBB949_209
; %bb.208:
	s_waitcnt lgkmcnt(0)
	v_add_co_u32_e32 v20, vcc, 0x1000, v4
	s_nop 1
	v_addc_co_u32_e32 v21, vcc, 0, v5, vcc
	flat_store_dword v[20:21], v18 offset:3072
.LBB949_209:
	s_or_b64 exec, exec, s[2:3]
	v_or_b32_e32 v1, 0x800, v0
	v_cmp_gt_u32_e32 vcc, s33, v1
	s_and_saveexec_b64 s[2:3], vcc
	s_cbranch_execz .LBB949_211
; %bb.210:
	s_waitcnt lgkmcnt(0)
	v_add_co_u32_e32 v20, vcc, 0x2000, v4
	s_nop 1
	v_addc_co_u32_e32 v21, vcc, 0, v5, vcc
	flat_store_dword v[20:21], v19
.LBB949_211:
	s_or_b64 exec, exec, s[2:3]
	v_or_b32_e32 v1, 0x900, v0
	v_cmp_gt_u32_e32 vcc, s33, v1
	s_and_saveexec_b64 s[2:3], vcc
	s_cbranch_execz .LBB949_213
; %bb.212:
	s_waitcnt lgkmcnt(0)
	v_add_co_u32_e32 v18, vcc, 0x2000, v4
	s_nop 1
	v_addc_co_u32_e32 v19, vcc, 0, v5, vcc
	flat_store_dword v[18:19], v16 offset:1024
.LBB949_213:
	s_or_b64 exec, exec, s[2:3]
	v_or_b32_e32 v1, 0xa00, v0
	v_cmp_gt_u32_e32 vcc, s33, v1
	s_and_saveexec_b64 s[2:3], vcc
	s_cbranch_execz .LBB949_215
; %bb.214:
	s_waitcnt lgkmcnt(0)
	v_add_co_u32_e32 v18, vcc, 0x2000, v4
	s_nop 1
	v_addc_co_u32_e32 v19, vcc, 0, v5, vcc
	flat_store_dword v[18:19], v17 offset:2048
.LBB949_215:
	s_or_b64 exec, exec, s[2:3]
	v_or_b32_e32 v1, 0xb00, v0
	v_cmp_gt_u32_e32 vcc, s33, v1
	s_and_saveexec_b64 s[2:3], vcc
	s_cbranch_execz .LBB949_217
; %bb.216:
	s_waitcnt lgkmcnt(0)
	v_add_co_u32_e32 v16, vcc, 0x2000, v4
	s_nop 1
	v_addc_co_u32_e32 v17, vcc, 0, v5, vcc
	flat_store_dword v[16:17], v14 offset:3072
.LBB949_217:
	;; [unrolled: 48-line block ×4, first 2 shown]
	s_or_b64 exec, exec, s[2:3]
	v_or_b32_e32 v1, 0x1400, v0
	v_cmp_gt_u32_e32 vcc, s33, v1
	s_and_saveexec_b64 s[2:3], vcc
	s_cbranch_execz .LBB949_235
; %bb.234:
	s_waitcnt lgkmcnt(0)
	v_add_co_u32_e32 v8, vcc, 0x5000, v4
	s_nop 1
	v_addc_co_u32_e32 v9, vcc, 0, v5, vcc
	flat_store_dword v[8:9], v7
.LBB949_235:
	s_or_b64 exec, exec, s[2:3]
	v_or_b32_e32 v1, 0x1500, v0
	v_cmp_gt_u32_e32 vcc, s33, v1
	s_and_saveexec_b64 s[2:3], vcc
	s_cbranch_execz .LBB949_237
; %bb.236:
	v_add_co_u32_e32 v4, vcc, 0x5000, v4
	s_nop 1
	v_addc_co_u32_e32 v5, vcc, 0, v5, vcc
	s_waitcnt lgkmcnt(0)
	flat_store_dword v[4:5], v2 offset:1024
.LBB949_237:
	s_or_b64 exec, exec, s[2:3]
	s_waitcnt lgkmcnt(0)
	v_or_b32_e32 v2, 0x1600, v0
	v_mov_b32_e32 v1, v55
	v_cmp_gt_u32_e64 s[2:3], s33, v2
	s_branch .LBB949_240
.LBB949_238:
	s_mov_b64 s[2:3], 0
                                        ; implicit-def: $vgpr3
	s_cbranch_execz .LBB949_240
; %bb.239:
	v_mul_u32_u24_e32 v1, 0x5c, v0
	s_barrier
	s_movk_i32 s4, 0x5c
	ds_write2_b32 v1, v80, v58 offset1:1
	ds_write2_b32 v1, v59, v60 offset0:2 offset1:3
	ds_write2_b32 v1, v61, v62 offset0:4 offset1:5
	ds_write2_b32 v1, v63, v64 offset0:6 offset1:7
	ds_write2_b32 v1, v65, v66 offset0:8 offset1:9
	ds_write2_b32 v1, v67, v68 offset0:10 offset1:11
	s_waitcnt vmcnt(0)
	ds_write2_b32 v1, v69, v70 offset0:12 offset1:13
	ds_write2_b32 v1, v71, v72 offset0:14 offset1:15
	;; [unrolled: 1-line block ×5, first 2 shown]
	ds_write_b32 v1, v79 offset:88
	v_mov_b32_e32 v1, 0
	v_mul_i32_i24_e32 v2, 0xffffffa8, v0
	v_mad_u32_u24 v2, v0, s4, v2
	v_mov_b32_e32 v55, v1
	s_waitcnt lgkmcnt(0)
	s_barrier
	ds_read2st64_b32 v[4:5], v2 offset1:4
	ds_read2st64_b32 v[6:7], v2 offset0:8 offset1:12
	ds_read2st64_b32 v[8:9], v2 offset0:16 offset1:20
	;; [unrolled: 1-line block ×10, first 2 shown]
	ds_read_b32 v3, v2 offset:22528
	v_lshl_add_u64 v[26:27], s[0:1], 0, v[54:55]
	s_movk_i32 s4, 0x1000
	s_waitcnt lgkmcnt(11)
	flat_store_dword v[26:27], v4
	flat_store_dword v[26:27], v5 offset:1024
	s_waitcnt lgkmcnt(0)
	flat_store_dword v[26:27], v6 offset:2048
	flat_store_dword v[26:27], v7 offset:3072
	v_add_co_u32_e32 v4, vcc, s4, v26
	s_movk_i32 s4, 0x2000
	s_nop 0
	v_addc_co_u32_e32 v5, vcc, 0, v27, vcc
	flat_store_dword v[4:5], v8
	flat_store_dword v[4:5], v9 offset:1024
	flat_store_dword v[4:5], v10 offset:2048
	;; [unrolled: 1-line block ×3, first 2 shown]
	v_add_co_u32_e32 v4, vcc, s4, v26
	s_movk_i32 s4, 0x3000
	s_nop 0
	v_addc_co_u32_e32 v5, vcc, 0, v27, vcc
	flat_store_dword v[4:5], v12
	flat_store_dword v[4:5], v13 offset:1024
	flat_store_dword v[4:5], v14 offset:2048
	;; [unrolled: 1-line block ×3, first 2 shown]
	v_add_co_u32_e32 v4, vcc, s4, v26
	s_or_b64 s[2:3], s[2:3], exec
	s_nop 0
	v_addc_co_u32_e32 v5, vcc, 0, v27, vcc
	flat_store_dword v[4:5], v16
	flat_store_dword v[4:5], v17 offset:1024
	flat_store_dword v[4:5], v18 offset:2048
	;; [unrolled: 1-line block ×3, first 2 shown]
	v_add_co_u32_e32 v4, vcc, 0x4000, v26
	s_nop 1
	v_addc_co_u32_e32 v5, vcc, 0, v27, vcc
	flat_store_dword v[4:5], v20
	flat_store_dword v[4:5], v21 offset:1024
	flat_store_dword v[4:5], v22 offset:2048
	;; [unrolled: 1-line block ×3, first 2 shown]
	v_add_co_u32_e32 v4, vcc, 0x5000, v26
	s_nop 1
	v_addc_co_u32_e32 v5, vcc, 0, v27, vcc
	flat_store_dword v[4:5], v24
	flat_store_dword v[4:5], v25 offset:1024
.LBB949_240:
	s_and_saveexec_b64 s[4:5], s[2:3]
	s_cbranch_execnz .LBB949_242
; %bb.241:
	s_endpgm
.LBB949_242:
	v_lshl_add_u64 v[0:1], v[0:1], 2, s[0:1]
	v_add_co_u32_e32 v0, vcc, 0x5000, v0
	s_nop 1
	v_addc_co_u32_e32 v1, vcc, 0, v1, vcc
	flat_store_dword v[0:1], v3 offset:2048
	s_endpgm
.LBB949_243:
	global_load_dword v28, v27, s[52:53]
	s_waitcnt vmcnt(0)
	v_sub_u32_e32 v28, 0, v28
	s_or_b64 exec, exec, s[56:57]
                                        ; implicit-def: $vgpr29
	s_and_saveexec_b64 s[4:5], s[6:7]
	s_cbranch_execz .LBB949_55
.LBB949_244:
	global_load_dword v29, v27, s[52:53] offset:1024
	s_waitcnt vmcnt(0)
	v_sub_u32_e32 v29, 0, v29
	s_or_b64 exec, exec, s[4:5]
                                        ; implicit-def: $vgpr30
	s_and_saveexec_b64 s[4:5], s[8:9]
	s_cbranch_execz .LBB949_56
.LBB949_245:
	global_load_dword v30, v27, s[52:53] offset:2048
	s_waitcnt vmcnt(0)
	v_sub_u32_e32 v30, 0, v30
	s_or_b64 exec, exec, s[4:5]
                                        ; implicit-def: $vgpr31
	s_and_saveexec_b64 s[4:5], s[10:11]
	s_cbranch_execz .LBB949_57
.LBB949_246:
	global_load_dword v31, v27, s[52:53] offset:3072
	s_waitcnt vmcnt(0)
	v_sub_u32_e32 v31, 0, v31
	s_or_b64 exec, exec, s[4:5]
                                        ; implicit-def: $vgpr32
	s_and_saveexec_b64 s[4:5], s[12:13]
	s_cbranch_execz .LBB949_58
.LBB949_247:
	v_lshlrev_b32_e32 v2, 2, v2
	global_load_dword v2, v2, s[52:53]
	s_waitcnt vmcnt(0)
	v_sub_u32_e32 v32, 0, v2
	s_or_b64 exec, exec, s[4:5]
                                        ; implicit-def: $vgpr2
	s_and_saveexec_b64 s[4:5], s[14:15]
	s_cbranch_execz .LBB949_59
.LBB949_248:
	v_lshlrev_b32_e32 v2, 2, v3
	global_load_dword v2, v2, s[52:53]
	s_waitcnt vmcnt(0)
	v_sub_u32_e32 v2, 0, v2
	s_or_b64 exec, exec, s[4:5]
                                        ; implicit-def: $vgpr3
	s_and_saveexec_b64 s[4:5], s[16:17]
	s_cbranch_execz .LBB949_60
.LBB949_249:
	v_lshlrev_b32_e32 v3, 2, v10
	global_load_dword v3, v3, s[52:53]
	s_waitcnt vmcnt(0)
	v_sub_u32_e32 v3, 0, v3
	s_or_b64 exec, exec, s[4:5]
                                        ; implicit-def: $vgpr10
	s_and_saveexec_b64 s[4:5], s[18:19]
	s_cbranch_execz .LBB949_61
.LBB949_250:
	v_lshlrev_b32_e32 v10, 2, v11
	global_load_dword v10, v10, s[52:53]
	s_waitcnt vmcnt(0)
	v_sub_u32_e32 v10, 0, v10
	s_or_b64 exec, exec, s[4:5]
                                        ; implicit-def: $vgpr11
	s_and_saveexec_b64 s[4:5], s[20:21]
	s_cbranch_execz .LBB949_62
.LBB949_251:
	v_lshlrev_b32_e32 v11, 2, v12
	global_load_dword v11, v11, s[52:53]
	s_waitcnt vmcnt(0)
	v_sub_u32_e32 v11, 0, v11
	s_or_b64 exec, exec, s[4:5]
                                        ; implicit-def: $vgpr12
	s_and_saveexec_b64 s[4:5], s[22:23]
	s_cbranch_execz .LBB949_63
.LBB949_252:
	v_lshlrev_b32_e32 v12, 2, v13
	global_load_dword v12, v12, s[52:53]
	s_waitcnt vmcnt(0)
	v_sub_u32_e32 v12, 0, v12
	s_or_b64 exec, exec, s[4:5]
                                        ; implicit-def: $vgpr13
	s_and_saveexec_b64 s[4:5], s[24:25]
	s_cbranch_execz .LBB949_64
.LBB949_253:
	v_lshlrev_b32_e32 v13, 2, v14
	global_load_dword v13, v13, s[52:53]
	s_waitcnt vmcnt(0)
	v_sub_u32_e32 v13, 0, v13
	s_or_b64 exec, exec, s[4:5]
                                        ; implicit-def: $vgpr14
	s_and_saveexec_b64 s[4:5], s[26:27]
	s_cbranch_execz .LBB949_65
.LBB949_254:
	v_lshlrev_b32_e32 v14, 2, v15
	global_load_dword v14, v14, s[52:53]
	s_waitcnt vmcnt(0)
	v_sub_u32_e32 v14, 0, v14
	s_or_b64 exec, exec, s[4:5]
                                        ; implicit-def: $vgpr15
	s_and_saveexec_b64 s[4:5], s[28:29]
	s_cbranch_execz .LBB949_66
.LBB949_255:
	v_lshlrev_b32_e32 v15, 2, v16
	global_load_dword v15, v15, s[52:53]
	s_waitcnt vmcnt(0)
	v_sub_u32_e32 v15, 0, v15
	s_or_b64 exec, exec, s[4:5]
                                        ; implicit-def: $vgpr16
	s_and_saveexec_b64 s[4:5], s[30:31]
	s_cbranch_execz .LBB949_67
.LBB949_256:
	v_lshlrev_b32_e32 v16, 2, v17
	global_load_dword v16, v16, s[52:53]
	s_waitcnt vmcnt(0)
	v_sub_u32_e32 v16, 0, v16
	s_or_b64 exec, exec, s[4:5]
                                        ; implicit-def: $vgpr17
	s_and_saveexec_b64 s[4:5], s[34:35]
	s_cbranch_execz .LBB949_68
.LBB949_257:
	v_lshlrev_b32_e32 v17, 2, v18
	global_load_dword v17, v17, s[52:53]
	s_waitcnt vmcnt(0)
	v_sub_u32_e32 v17, 0, v17
	s_or_b64 exec, exec, s[4:5]
                                        ; implicit-def: $vgpr18
	s_and_saveexec_b64 s[4:5], s[36:37]
	s_cbranch_execz .LBB949_69
.LBB949_258:
	v_lshlrev_b32_e32 v18, 2, v19
	global_load_dword v18, v18, s[52:53]
	s_waitcnt vmcnt(0)
	v_sub_u32_e32 v18, 0, v18
	s_or_b64 exec, exec, s[4:5]
                                        ; implicit-def: $vgpr19
	s_and_saveexec_b64 s[4:5], s[38:39]
	s_cbranch_execz .LBB949_70
.LBB949_259:
	v_lshlrev_b32_e32 v19, 2, v20
	global_load_dword v19, v19, s[52:53]
	s_waitcnt vmcnt(0)
	v_sub_u32_e32 v19, 0, v19
	s_or_b64 exec, exec, s[4:5]
                                        ; implicit-def: $vgpr20
	s_and_saveexec_b64 s[4:5], s[40:41]
	s_cbranch_execz .LBB949_71
.LBB949_260:
	v_lshlrev_b32_e32 v20, 2, v21
	global_load_dword v20, v20, s[52:53]
	s_waitcnt vmcnt(0)
	v_sub_u32_e32 v20, 0, v20
	s_or_b64 exec, exec, s[4:5]
                                        ; implicit-def: $vgpr21
	s_and_saveexec_b64 s[4:5], s[42:43]
	s_cbranch_execz .LBB949_72
.LBB949_261:
	v_lshlrev_b32_e32 v21, 2, v22
	global_load_dword v21, v21, s[52:53]
	s_waitcnt vmcnt(0)
	v_sub_u32_e32 v21, 0, v21
	s_or_b64 exec, exec, s[4:5]
                                        ; implicit-def: $vgpr22
	s_and_saveexec_b64 s[4:5], s[44:45]
	s_cbranch_execz .LBB949_73
.LBB949_262:
	v_lshlrev_b32_e32 v22, 2, v23
	global_load_dword v22, v22, s[52:53]
	s_waitcnt vmcnt(0)
	v_sub_u32_e32 v22, 0, v22
	s_or_b64 exec, exec, s[4:5]
                                        ; implicit-def: $vgpr23
	s_and_saveexec_b64 s[4:5], s[46:47]
	s_cbranch_execz .LBB949_74
.LBB949_263:
	v_lshlrev_b32_e32 v23, 2, v24
	global_load_dword v23, v23, s[52:53]
	s_waitcnt vmcnt(0)
	v_sub_u32_e32 v23, 0, v23
	s_or_b64 exec, exec, s[4:5]
                                        ; implicit-def: $vgpr24
	s_and_saveexec_b64 s[4:5], s[48:49]
	s_cbranch_execz .LBB949_75
.LBB949_264:
	v_lshlrev_b32_e32 v24, 2, v25
	global_load_dword v24, v24, s[52:53]
	s_waitcnt vmcnt(0)
	v_sub_u32_e32 v24, 0, v24
	s_or_b64 exec, exec, s[4:5]
                                        ; implicit-def: $vgpr25
	s_and_saveexec_b64 s[4:5], s[50:51]
	s_cbranch_execnz .LBB949_76
	s_branch .LBB949_77
.LBB949_265:
	v_add_u32_e32 v1, -1, v0
	v_lshrrev_b32_e32 v2, 5, v1
	v_add_lshl_u32 v1, v2, v1, 3
	ds_read_b32 v1, v1
	s_or_b64 exec, exec, s[2:3]
	s_and_saveexec_b64 s[2:3], s[0:1]
	s_cbranch_execz .LBB949_189
.LBB949_266:
	v_and_b32_e32 v3, 0xff, v11
	v_mov_b32_e32 v2, 0
	v_cmp_eq_u64_e64 s[0:1], 0, v[2:3]
	;;#ASMSTART
	;;#ASMEND
	s_waitcnt lgkmcnt(0)
	s_nop 0
	v_cndmask_b32_e64 v1, 0, v1, s[0:1]
	v_add_u32_e32 v10, v1, v10
	v_cndmask_b32_e64 v1, 0, v10, s[4:5]
	v_add_u32_e32 v58, v1, v12
	;; [unrolled: 2-line block ×23, first 2 shown]
	s_or_b64 exec, exec, s[2:3]
	s_and_saveexec_b64 s[0:1], vcc
	s_cbranch_execnz .LBB949_190
	s_branch .LBB949_191
.LBB949_267:
                                        ; implicit-def: $sgpr56_sgpr57
	s_branch .LBB949_50
.LBB949_268:
                                        ; implicit-def: $sgpr4_sgpr5
	s_branch .LBB949_126
	.section	.rodata,"a",@progbits
	.p2align	6, 0x0
	.amdhsa_kernel _ZN7rocprim17ROCPRIM_400000_NS6detail17trampoline_kernelINS0_14default_configENS1_27scan_by_key_config_selectorIiiEEZZNS1_16scan_by_key_implILNS1_25lookback_scan_determinismE0ELb0ES3_N6thrust23THRUST_200600_302600_NS6detail15normal_iteratorINS9_10device_ptrIiEEEENS9_18transform_iteratorINS9_6negateIiEESE_NS9_11use_defaultESI_EESE_iNS9_4plusIvEENS9_8equal_toIvEEiEE10hipError_tPvRmT2_T3_T4_T5_mT6_T7_P12ihipStream_tbENKUlT_T0_E_clISt17integral_constantIbLb1EES13_IbLb0EEEEDaSZ_S10_EUlSZ_E_NS1_11comp_targetILNS1_3genE5ELNS1_11target_archE942ELNS1_3gpuE9ELNS1_3repE0EEENS1_30default_config_static_selectorELNS0_4arch9wavefront6targetE1EEEvT1_
		.amdhsa_group_segment_fixed_size 25600
		.amdhsa_private_segment_fixed_size 0
		.amdhsa_kernarg_size 120
		.amdhsa_user_sgpr_count 2
		.amdhsa_user_sgpr_dispatch_ptr 0
		.amdhsa_user_sgpr_queue_ptr 0
		.amdhsa_user_sgpr_kernarg_segment_ptr 1
		.amdhsa_user_sgpr_dispatch_id 0
		.amdhsa_user_sgpr_kernarg_preload_length 0
		.amdhsa_user_sgpr_kernarg_preload_offset 0
		.amdhsa_user_sgpr_private_segment_size 0
		.amdhsa_uses_dynamic_stack 0
		.amdhsa_enable_private_segment 0
		.amdhsa_system_sgpr_workgroup_id_x 1
		.amdhsa_system_sgpr_workgroup_id_y 0
		.amdhsa_system_sgpr_workgroup_id_z 0
		.amdhsa_system_sgpr_workgroup_info 0
		.amdhsa_system_vgpr_workitem_id 0
		.amdhsa_next_free_vgpr 81
		.amdhsa_next_free_sgpr 82
		.amdhsa_accum_offset 84
		.amdhsa_reserve_vcc 1
		.amdhsa_float_round_mode_32 0
		.amdhsa_float_round_mode_16_64 0
		.amdhsa_float_denorm_mode_32 3
		.amdhsa_float_denorm_mode_16_64 3
		.amdhsa_dx10_clamp 1
		.amdhsa_ieee_mode 1
		.amdhsa_fp16_overflow 0
		.amdhsa_tg_split 0
		.amdhsa_exception_fp_ieee_invalid_op 0
		.amdhsa_exception_fp_denorm_src 0
		.amdhsa_exception_fp_ieee_div_zero 0
		.amdhsa_exception_fp_ieee_overflow 0
		.amdhsa_exception_fp_ieee_underflow 0
		.amdhsa_exception_fp_ieee_inexact 0
		.amdhsa_exception_int_div_zero 0
	.end_amdhsa_kernel
	.section	.text._ZN7rocprim17ROCPRIM_400000_NS6detail17trampoline_kernelINS0_14default_configENS1_27scan_by_key_config_selectorIiiEEZZNS1_16scan_by_key_implILNS1_25lookback_scan_determinismE0ELb0ES3_N6thrust23THRUST_200600_302600_NS6detail15normal_iteratorINS9_10device_ptrIiEEEENS9_18transform_iteratorINS9_6negateIiEESE_NS9_11use_defaultESI_EESE_iNS9_4plusIvEENS9_8equal_toIvEEiEE10hipError_tPvRmT2_T3_T4_T5_mT6_T7_P12ihipStream_tbENKUlT_T0_E_clISt17integral_constantIbLb1EES13_IbLb0EEEEDaSZ_S10_EUlSZ_E_NS1_11comp_targetILNS1_3genE5ELNS1_11target_archE942ELNS1_3gpuE9ELNS1_3repE0EEENS1_30default_config_static_selectorELNS0_4arch9wavefront6targetE1EEEvT1_,"axG",@progbits,_ZN7rocprim17ROCPRIM_400000_NS6detail17trampoline_kernelINS0_14default_configENS1_27scan_by_key_config_selectorIiiEEZZNS1_16scan_by_key_implILNS1_25lookback_scan_determinismE0ELb0ES3_N6thrust23THRUST_200600_302600_NS6detail15normal_iteratorINS9_10device_ptrIiEEEENS9_18transform_iteratorINS9_6negateIiEESE_NS9_11use_defaultESI_EESE_iNS9_4plusIvEENS9_8equal_toIvEEiEE10hipError_tPvRmT2_T3_T4_T5_mT6_T7_P12ihipStream_tbENKUlT_T0_E_clISt17integral_constantIbLb1EES13_IbLb0EEEEDaSZ_S10_EUlSZ_E_NS1_11comp_targetILNS1_3genE5ELNS1_11target_archE942ELNS1_3gpuE9ELNS1_3repE0EEENS1_30default_config_static_selectorELNS0_4arch9wavefront6targetE1EEEvT1_,comdat
.Lfunc_end949:
	.size	_ZN7rocprim17ROCPRIM_400000_NS6detail17trampoline_kernelINS0_14default_configENS1_27scan_by_key_config_selectorIiiEEZZNS1_16scan_by_key_implILNS1_25lookback_scan_determinismE0ELb0ES3_N6thrust23THRUST_200600_302600_NS6detail15normal_iteratorINS9_10device_ptrIiEEEENS9_18transform_iteratorINS9_6negateIiEESE_NS9_11use_defaultESI_EESE_iNS9_4plusIvEENS9_8equal_toIvEEiEE10hipError_tPvRmT2_T3_T4_T5_mT6_T7_P12ihipStream_tbENKUlT_T0_E_clISt17integral_constantIbLb1EES13_IbLb0EEEEDaSZ_S10_EUlSZ_E_NS1_11comp_targetILNS1_3genE5ELNS1_11target_archE942ELNS1_3gpuE9ELNS1_3repE0EEENS1_30default_config_static_selectorELNS0_4arch9wavefront6targetE1EEEvT1_, .Lfunc_end949-_ZN7rocprim17ROCPRIM_400000_NS6detail17trampoline_kernelINS0_14default_configENS1_27scan_by_key_config_selectorIiiEEZZNS1_16scan_by_key_implILNS1_25lookback_scan_determinismE0ELb0ES3_N6thrust23THRUST_200600_302600_NS6detail15normal_iteratorINS9_10device_ptrIiEEEENS9_18transform_iteratorINS9_6negateIiEESE_NS9_11use_defaultESI_EESE_iNS9_4plusIvEENS9_8equal_toIvEEiEE10hipError_tPvRmT2_T3_T4_T5_mT6_T7_P12ihipStream_tbENKUlT_T0_E_clISt17integral_constantIbLb1EES13_IbLb0EEEEDaSZ_S10_EUlSZ_E_NS1_11comp_targetILNS1_3genE5ELNS1_11target_archE942ELNS1_3gpuE9ELNS1_3repE0EEENS1_30default_config_static_selectorELNS0_4arch9wavefront6targetE1EEEvT1_
                                        ; -- End function
	.section	.AMDGPU.csdata,"",@progbits
; Kernel info:
; codeLenInByte = 15592
; NumSgprs: 88
; NumVgprs: 81
; NumAgprs: 0
; TotalNumVgprs: 81
; ScratchSize: 0
; MemoryBound: 0
; FloatMode: 240
; IeeeMode: 1
; LDSByteSize: 25600 bytes/workgroup (compile time only)
; SGPRBlocks: 10
; VGPRBlocks: 10
; NumSGPRsForWavesPerEU: 88
; NumVGPRsForWavesPerEU: 81
; AccumOffset: 84
; Occupancy: 2
; WaveLimiterHint : 1
; COMPUTE_PGM_RSRC2:SCRATCH_EN: 0
; COMPUTE_PGM_RSRC2:USER_SGPR: 2
; COMPUTE_PGM_RSRC2:TRAP_HANDLER: 0
; COMPUTE_PGM_RSRC2:TGID_X_EN: 1
; COMPUTE_PGM_RSRC2:TGID_Y_EN: 0
; COMPUTE_PGM_RSRC2:TGID_Z_EN: 0
; COMPUTE_PGM_RSRC2:TIDIG_COMP_CNT: 0
; COMPUTE_PGM_RSRC3_GFX90A:ACCUM_OFFSET: 20
; COMPUTE_PGM_RSRC3_GFX90A:TG_SPLIT: 0
	.section	.text._ZN7rocprim17ROCPRIM_400000_NS6detail17trampoline_kernelINS0_14default_configENS1_27scan_by_key_config_selectorIiiEEZZNS1_16scan_by_key_implILNS1_25lookback_scan_determinismE0ELb0ES3_N6thrust23THRUST_200600_302600_NS6detail15normal_iteratorINS9_10device_ptrIiEEEENS9_18transform_iteratorINS9_6negateIiEESE_NS9_11use_defaultESI_EESE_iNS9_4plusIvEENS9_8equal_toIvEEiEE10hipError_tPvRmT2_T3_T4_T5_mT6_T7_P12ihipStream_tbENKUlT_T0_E_clISt17integral_constantIbLb1EES13_IbLb0EEEEDaSZ_S10_EUlSZ_E_NS1_11comp_targetILNS1_3genE4ELNS1_11target_archE910ELNS1_3gpuE8ELNS1_3repE0EEENS1_30default_config_static_selectorELNS0_4arch9wavefront6targetE1EEEvT1_,"axG",@progbits,_ZN7rocprim17ROCPRIM_400000_NS6detail17trampoline_kernelINS0_14default_configENS1_27scan_by_key_config_selectorIiiEEZZNS1_16scan_by_key_implILNS1_25lookback_scan_determinismE0ELb0ES3_N6thrust23THRUST_200600_302600_NS6detail15normal_iteratorINS9_10device_ptrIiEEEENS9_18transform_iteratorINS9_6negateIiEESE_NS9_11use_defaultESI_EESE_iNS9_4plusIvEENS9_8equal_toIvEEiEE10hipError_tPvRmT2_T3_T4_T5_mT6_T7_P12ihipStream_tbENKUlT_T0_E_clISt17integral_constantIbLb1EES13_IbLb0EEEEDaSZ_S10_EUlSZ_E_NS1_11comp_targetILNS1_3genE4ELNS1_11target_archE910ELNS1_3gpuE8ELNS1_3repE0EEENS1_30default_config_static_selectorELNS0_4arch9wavefront6targetE1EEEvT1_,comdat
	.protected	_ZN7rocprim17ROCPRIM_400000_NS6detail17trampoline_kernelINS0_14default_configENS1_27scan_by_key_config_selectorIiiEEZZNS1_16scan_by_key_implILNS1_25lookback_scan_determinismE0ELb0ES3_N6thrust23THRUST_200600_302600_NS6detail15normal_iteratorINS9_10device_ptrIiEEEENS9_18transform_iteratorINS9_6negateIiEESE_NS9_11use_defaultESI_EESE_iNS9_4plusIvEENS9_8equal_toIvEEiEE10hipError_tPvRmT2_T3_T4_T5_mT6_T7_P12ihipStream_tbENKUlT_T0_E_clISt17integral_constantIbLb1EES13_IbLb0EEEEDaSZ_S10_EUlSZ_E_NS1_11comp_targetILNS1_3genE4ELNS1_11target_archE910ELNS1_3gpuE8ELNS1_3repE0EEENS1_30default_config_static_selectorELNS0_4arch9wavefront6targetE1EEEvT1_ ; -- Begin function _ZN7rocprim17ROCPRIM_400000_NS6detail17trampoline_kernelINS0_14default_configENS1_27scan_by_key_config_selectorIiiEEZZNS1_16scan_by_key_implILNS1_25lookback_scan_determinismE0ELb0ES3_N6thrust23THRUST_200600_302600_NS6detail15normal_iteratorINS9_10device_ptrIiEEEENS9_18transform_iteratorINS9_6negateIiEESE_NS9_11use_defaultESI_EESE_iNS9_4plusIvEENS9_8equal_toIvEEiEE10hipError_tPvRmT2_T3_T4_T5_mT6_T7_P12ihipStream_tbENKUlT_T0_E_clISt17integral_constantIbLb1EES13_IbLb0EEEEDaSZ_S10_EUlSZ_E_NS1_11comp_targetILNS1_3genE4ELNS1_11target_archE910ELNS1_3gpuE8ELNS1_3repE0EEENS1_30default_config_static_selectorELNS0_4arch9wavefront6targetE1EEEvT1_
	.globl	_ZN7rocprim17ROCPRIM_400000_NS6detail17trampoline_kernelINS0_14default_configENS1_27scan_by_key_config_selectorIiiEEZZNS1_16scan_by_key_implILNS1_25lookback_scan_determinismE0ELb0ES3_N6thrust23THRUST_200600_302600_NS6detail15normal_iteratorINS9_10device_ptrIiEEEENS9_18transform_iteratorINS9_6negateIiEESE_NS9_11use_defaultESI_EESE_iNS9_4plusIvEENS9_8equal_toIvEEiEE10hipError_tPvRmT2_T3_T4_T5_mT6_T7_P12ihipStream_tbENKUlT_T0_E_clISt17integral_constantIbLb1EES13_IbLb0EEEEDaSZ_S10_EUlSZ_E_NS1_11comp_targetILNS1_3genE4ELNS1_11target_archE910ELNS1_3gpuE8ELNS1_3repE0EEENS1_30default_config_static_selectorELNS0_4arch9wavefront6targetE1EEEvT1_
	.p2align	8
	.type	_ZN7rocprim17ROCPRIM_400000_NS6detail17trampoline_kernelINS0_14default_configENS1_27scan_by_key_config_selectorIiiEEZZNS1_16scan_by_key_implILNS1_25lookback_scan_determinismE0ELb0ES3_N6thrust23THRUST_200600_302600_NS6detail15normal_iteratorINS9_10device_ptrIiEEEENS9_18transform_iteratorINS9_6negateIiEESE_NS9_11use_defaultESI_EESE_iNS9_4plusIvEENS9_8equal_toIvEEiEE10hipError_tPvRmT2_T3_T4_T5_mT6_T7_P12ihipStream_tbENKUlT_T0_E_clISt17integral_constantIbLb1EES13_IbLb0EEEEDaSZ_S10_EUlSZ_E_NS1_11comp_targetILNS1_3genE4ELNS1_11target_archE910ELNS1_3gpuE8ELNS1_3repE0EEENS1_30default_config_static_selectorELNS0_4arch9wavefront6targetE1EEEvT1_,@function
_ZN7rocprim17ROCPRIM_400000_NS6detail17trampoline_kernelINS0_14default_configENS1_27scan_by_key_config_selectorIiiEEZZNS1_16scan_by_key_implILNS1_25lookback_scan_determinismE0ELb0ES3_N6thrust23THRUST_200600_302600_NS6detail15normal_iteratorINS9_10device_ptrIiEEEENS9_18transform_iteratorINS9_6negateIiEESE_NS9_11use_defaultESI_EESE_iNS9_4plusIvEENS9_8equal_toIvEEiEE10hipError_tPvRmT2_T3_T4_T5_mT6_T7_P12ihipStream_tbENKUlT_T0_E_clISt17integral_constantIbLb1EES13_IbLb0EEEEDaSZ_S10_EUlSZ_E_NS1_11comp_targetILNS1_3genE4ELNS1_11target_archE910ELNS1_3gpuE8ELNS1_3repE0EEENS1_30default_config_static_selectorELNS0_4arch9wavefront6targetE1EEEvT1_: ; @_ZN7rocprim17ROCPRIM_400000_NS6detail17trampoline_kernelINS0_14default_configENS1_27scan_by_key_config_selectorIiiEEZZNS1_16scan_by_key_implILNS1_25lookback_scan_determinismE0ELb0ES3_N6thrust23THRUST_200600_302600_NS6detail15normal_iteratorINS9_10device_ptrIiEEEENS9_18transform_iteratorINS9_6negateIiEESE_NS9_11use_defaultESI_EESE_iNS9_4plusIvEENS9_8equal_toIvEEiEE10hipError_tPvRmT2_T3_T4_T5_mT6_T7_P12ihipStream_tbENKUlT_T0_E_clISt17integral_constantIbLb1EES13_IbLb0EEEEDaSZ_S10_EUlSZ_E_NS1_11comp_targetILNS1_3genE4ELNS1_11target_archE910ELNS1_3gpuE8ELNS1_3repE0EEENS1_30default_config_static_selectorELNS0_4arch9wavefront6targetE1EEEvT1_
; %bb.0:
	.section	.rodata,"a",@progbits
	.p2align	6, 0x0
	.amdhsa_kernel _ZN7rocprim17ROCPRIM_400000_NS6detail17trampoline_kernelINS0_14default_configENS1_27scan_by_key_config_selectorIiiEEZZNS1_16scan_by_key_implILNS1_25lookback_scan_determinismE0ELb0ES3_N6thrust23THRUST_200600_302600_NS6detail15normal_iteratorINS9_10device_ptrIiEEEENS9_18transform_iteratorINS9_6negateIiEESE_NS9_11use_defaultESI_EESE_iNS9_4plusIvEENS9_8equal_toIvEEiEE10hipError_tPvRmT2_T3_T4_T5_mT6_T7_P12ihipStream_tbENKUlT_T0_E_clISt17integral_constantIbLb1EES13_IbLb0EEEEDaSZ_S10_EUlSZ_E_NS1_11comp_targetILNS1_3genE4ELNS1_11target_archE910ELNS1_3gpuE8ELNS1_3repE0EEENS1_30default_config_static_selectorELNS0_4arch9wavefront6targetE1EEEvT1_
		.amdhsa_group_segment_fixed_size 0
		.amdhsa_private_segment_fixed_size 0
		.amdhsa_kernarg_size 120
		.amdhsa_user_sgpr_count 2
		.amdhsa_user_sgpr_dispatch_ptr 0
		.amdhsa_user_sgpr_queue_ptr 0
		.amdhsa_user_sgpr_kernarg_segment_ptr 1
		.amdhsa_user_sgpr_dispatch_id 0
		.amdhsa_user_sgpr_kernarg_preload_length 0
		.amdhsa_user_sgpr_kernarg_preload_offset 0
		.amdhsa_user_sgpr_private_segment_size 0
		.amdhsa_uses_dynamic_stack 0
		.amdhsa_enable_private_segment 0
		.amdhsa_system_sgpr_workgroup_id_x 1
		.amdhsa_system_sgpr_workgroup_id_y 0
		.amdhsa_system_sgpr_workgroup_id_z 0
		.amdhsa_system_sgpr_workgroup_info 0
		.amdhsa_system_vgpr_workitem_id 0
		.amdhsa_next_free_vgpr 1
		.amdhsa_next_free_sgpr 0
		.amdhsa_accum_offset 4
		.amdhsa_reserve_vcc 0
		.amdhsa_float_round_mode_32 0
		.amdhsa_float_round_mode_16_64 0
		.amdhsa_float_denorm_mode_32 3
		.amdhsa_float_denorm_mode_16_64 3
		.amdhsa_dx10_clamp 1
		.amdhsa_ieee_mode 1
		.amdhsa_fp16_overflow 0
		.amdhsa_tg_split 0
		.amdhsa_exception_fp_ieee_invalid_op 0
		.amdhsa_exception_fp_denorm_src 0
		.amdhsa_exception_fp_ieee_div_zero 0
		.amdhsa_exception_fp_ieee_overflow 0
		.amdhsa_exception_fp_ieee_underflow 0
		.amdhsa_exception_fp_ieee_inexact 0
		.amdhsa_exception_int_div_zero 0
	.end_amdhsa_kernel
	.section	.text._ZN7rocprim17ROCPRIM_400000_NS6detail17trampoline_kernelINS0_14default_configENS1_27scan_by_key_config_selectorIiiEEZZNS1_16scan_by_key_implILNS1_25lookback_scan_determinismE0ELb0ES3_N6thrust23THRUST_200600_302600_NS6detail15normal_iteratorINS9_10device_ptrIiEEEENS9_18transform_iteratorINS9_6negateIiEESE_NS9_11use_defaultESI_EESE_iNS9_4plusIvEENS9_8equal_toIvEEiEE10hipError_tPvRmT2_T3_T4_T5_mT6_T7_P12ihipStream_tbENKUlT_T0_E_clISt17integral_constantIbLb1EES13_IbLb0EEEEDaSZ_S10_EUlSZ_E_NS1_11comp_targetILNS1_3genE4ELNS1_11target_archE910ELNS1_3gpuE8ELNS1_3repE0EEENS1_30default_config_static_selectorELNS0_4arch9wavefront6targetE1EEEvT1_,"axG",@progbits,_ZN7rocprim17ROCPRIM_400000_NS6detail17trampoline_kernelINS0_14default_configENS1_27scan_by_key_config_selectorIiiEEZZNS1_16scan_by_key_implILNS1_25lookback_scan_determinismE0ELb0ES3_N6thrust23THRUST_200600_302600_NS6detail15normal_iteratorINS9_10device_ptrIiEEEENS9_18transform_iteratorINS9_6negateIiEESE_NS9_11use_defaultESI_EESE_iNS9_4plusIvEENS9_8equal_toIvEEiEE10hipError_tPvRmT2_T3_T4_T5_mT6_T7_P12ihipStream_tbENKUlT_T0_E_clISt17integral_constantIbLb1EES13_IbLb0EEEEDaSZ_S10_EUlSZ_E_NS1_11comp_targetILNS1_3genE4ELNS1_11target_archE910ELNS1_3gpuE8ELNS1_3repE0EEENS1_30default_config_static_selectorELNS0_4arch9wavefront6targetE1EEEvT1_,comdat
.Lfunc_end950:
	.size	_ZN7rocprim17ROCPRIM_400000_NS6detail17trampoline_kernelINS0_14default_configENS1_27scan_by_key_config_selectorIiiEEZZNS1_16scan_by_key_implILNS1_25lookback_scan_determinismE0ELb0ES3_N6thrust23THRUST_200600_302600_NS6detail15normal_iteratorINS9_10device_ptrIiEEEENS9_18transform_iteratorINS9_6negateIiEESE_NS9_11use_defaultESI_EESE_iNS9_4plusIvEENS9_8equal_toIvEEiEE10hipError_tPvRmT2_T3_T4_T5_mT6_T7_P12ihipStream_tbENKUlT_T0_E_clISt17integral_constantIbLb1EES13_IbLb0EEEEDaSZ_S10_EUlSZ_E_NS1_11comp_targetILNS1_3genE4ELNS1_11target_archE910ELNS1_3gpuE8ELNS1_3repE0EEENS1_30default_config_static_selectorELNS0_4arch9wavefront6targetE1EEEvT1_, .Lfunc_end950-_ZN7rocprim17ROCPRIM_400000_NS6detail17trampoline_kernelINS0_14default_configENS1_27scan_by_key_config_selectorIiiEEZZNS1_16scan_by_key_implILNS1_25lookback_scan_determinismE0ELb0ES3_N6thrust23THRUST_200600_302600_NS6detail15normal_iteratorINS9_10device_ptrIiEEEENS9_18transform_iteratorINS9_6negateIiEESE_NS9_11use_defaultESI_EESE_iNS9_4plusIvEENS9_8equal_toIvEEiEE10hipError_tPvRmT2_T3_T4_T5_mT6_T7_P12ihipStream_tbENKUlT_T0_E_clISt17integral_constantIbLb1EES13_IbLb0EEEEDaSZ_S10_EUlSZ_E_NS1_11comp_targetILNS1_3genE4ELNS1_11target_archE910ELNS1_3gpuE8ELNS1_3repE0EEENS1_30default_config_static_selectorELNS0_4arch9wavefront6targetE1EEEvT1_
                                        ; -- End function
	.section	.AMDGPU.csdata,"",@progbits
; Kernel info:
; codeLenInByte = 0
; NumSgprs: 6
; NumVgprs: 0
; NumAgprs: 0
; TotalNumVgprs: 0
; ScratchSize: 0
; MemoryBound: 0
; FloatMode: 240
; IeeeMode: 1
; LDSByteSize: 0 bytes/workgroup (compile time only)
; SGPRBlocks: 0
; VGPRBlocks: 0
; NumSGPRsForWavesPerEU: 6
; NumVGPRsForWavesPerEU: 1
; AccumOffset: 4
; Occupancy: 8
; WaveLimiterHint : 0
; COMPUTE_PGM_RSRC2:SCRATCH_EN: 0
; COMPUTE_PGM_RSRC2:USER_SGPR: 2
; COMPUTE_PGM_RSRC2:TRAP_HANDLER: 0
; COMPUTE_PGM_RSRC2:TGID_X_EN: 1
; COMPUTE_PGM_RSRC2:TGID_Y_EN: 0
; COMPUTE_PGM_RSRC2:TGID_Z_EN: 0
; COMPUTE_PGM_RSRC2:TIDIG_COMP_CNT: 0
; COMPUTE_PGM_RSRC3_GFX90A:ACCUM_OFFSET: 0
; COMPUTE_PGM_RSRC3_GFX90A:TG_SPLIT: 0
	.section	.text._ZN7rocprim17ROCPRIM_400000_NS6detail17trampoline_kernelINS0_14default_configENS1_27scan_by_key_config_selectorIiiEEZZNS1_16scan_by_key_implILNS1_25lookback_scan_determinismE0ELb0ES3_N6thrust23THRUST_200600_302600_NS6detail15normal_iteratorINS9_10device_ptrIiEEEENS9_18transform_iteratorINS9_6negateIiEESE_NS9_11use_defaultESI_EESE_iNS9_4plusIvEENS9_8equal_toIvEEiEE10hipError_tPvRmT2_T3_T4_T5_mT6_T7_P12ihipStream_tbENKUlT_T0_E_clISt17integral_constantIbLb1EES13_IbLb0EEEEDaSZ_S10_EUlSZ_E_NS1_11comp_targetILNS1_3genE3ELNS1_11target_archE908ELNS1_3gpuE7ELNS1_3repE0EEENS1_30default_config_static_selectorELNS0_4arch9wavefront6targetE1EEEvT1_,"axG",@progbits,_ZN7rocprim17ROCPRIM_400000_NS6detail17trampoline_kernelINS0_14default_configENS1_27scan_by_key_config_selectorIiiEEZZNS1_16scan_by_key_implILNS1_25lookback_scan_determinismE0ELb0ES3_N6thrust23THRUST_200600_302600_NS6detail15normal_iteratorINS9_10device_ptrIiEEEENS9_18transform_iteratorINS9_6negateIiEESE_NS9_11use_defaultESI_EESE_iNS9_4plusIvEENS9_8equal_toIvEEiEE10hipError_tPvRmT2_T3_T4_T5_mT6_T7_P12ihipStream_tbENKUlT_T0_E_clISt17integral_constantIbLb1EES13_IbLb0EEEEDaSZ_S10_EUlSZ_E_NS1_11comp_targetILNS1_3genE3ELNS1_11target_archE908ELNS1_3gpuE7ELNS1_3repE0EEENS1_30default_config_static_selectorELNS0_4arch9wavefront6targetE1EEEvT1_,comdat
	.protected	_ZN7rocprim17ROCPRIM_400000_NS6detail17trampoline_kernelINS0_14default_configENS1_27scan_by_key_config_selectorIiiEEZZNS1_16scan_by_key_implILNS1_25lookback_scan_determinismE0ELb0ES3_N6thrust23THRUST_200600_302600_NS6detail15normal_iteratorINS9_10device_ptrIiEEEENS9_18transform_iteratorINS9_6negateIiEESE_NS9_11use_defaultESI_EESE_iNS9_4plusIvEENS9_8equal_toIvEEiEE10hipError_tPvRmT2_T3_T4_T5_mT6_T7_P12ihipStream_tbENKUlT_T0_E_clISt17integral_constantIbLb1EES13_IbLb0EEEEDaSZ_S10_EUlSZ_E_NS1_11comp_targetILNS1_3genE3ELNS1_11target_archE908ELNS1_3gpuE7ELNS1_3repE0EEENS1_30default_config_static_selectorELNS0_4arch9wavefront6targetE1EEEvT1_ ; -- Begin function _ZN7rocprim17ROCPRIM_400000_NS6detail17trampoline_kernelINS0_14default_configENS1_27scan_by_key_config_selectorIiiEEZZNS1_16scan_by_key_implILNS1_25lookback_scan_determinismE0ELb0ES3_N6thrust23THRUST_200600_302600_NS6detail15normal_iteratorINS9_10device_ptrIiEEEENS9_18transform_iteratorINS9_6negateIiEESE_NS9_11use_defaultESI_EESE_iNS9_4plusIvEENS9_8equal_toIvEEiEE10hipError_tPvRmT2_T3_T4_T5_mT6_T7_P12ihipStream_tbENKUlT_T0_E_clISt17integral_constantIbLb1EES13_IbLb0EEEEDaSZ_S10_EUlSZ_E_NS1_11comp_targetILNS1_3genE3ELNS1_11target_archE908ELNS1_3gpuE7ELNS1_3repE0EEENS1_30default_config_static_selectorELNS0_4arch9wavefront6targetE1EEEvT1_
	.globl	_ZN7rocprim17ROCPRIM_400000_NS6detail17trampoline_kernelINS0_14default_configENS1_27scan_by_key_config_selectorIiiEEZZNS1_16scan_by_key_implILNS1_25lookback_scan_determinismE0ELb0ES3_N6thrust23THRUST_200600_302600_NS6detail15normal_iteratorINS9_10device_ptrIiEEEENS9_18transform_iteratorINS9_6negateIiEESE_NS9_11use_defaultESI_EESE_iNS9_4plusIvEENS9_8equal_toIvEEiEE10hipError_tPvRmT2_T3_T4_T5_mT6_T7_P12ihipStream_tbENKUlT_T0_E_clISt17integral_constantIbLb1EES13_IbLb0EEEEDaSZ_S10_EUlSZ_E_NS1_11comp_targetILNS1_3genE3ELNS1_11target_archE908ELNS1_3gpuE7ELNS1_3repE0EEENS1_30default_config_static_selectorELNS0_4arch9wavefront6targetE1EEEvT1_
	.p2align	8
	.type	_ZN7rocprim17ROCPRIM_400000_NS6detail17trampoline_kernelINS0_14default_configENS1_27scan_by_key_config_selectorIiiEEZZNS1_16scan_by_key_implILNS1_25lookback_scan_determinismE0ELb0ES3_N6thrust23THRUST_200600_302600_NS6detail15normal_iteratorINS9_10device_ptrIiEEEENS9_18transform_iteratorINS9_6negateIiEESE_NS9_11use_defaultESI_EESE_iNS9_4plusIvEENS9_8equal_toIvEEiEE10hipError_tPvRmT2_T3_T4_T5_mT6_T7_P12ihipStream_tbENKUlT_T0_E_clISt17integral_constantIbLb1EES13_IbLb0EEEEDaSZ_S10_EUlSZ_E_NS1_11comp_targetILNS1_3genE3ELNS1_11target_archE908ELNS1_3gpuE7ELNS1_3repE0EEENS1_30default_config_static_selectorELNS0_4arch9wavefront6targetE1EEEvT1_,@function
_ZN7rocprim17ROCPRIM_400000_NS6detail17trampoline_kernelINS0_14default_configENS1_27scan_by_key_config_selectorIiiEEZZNS1_16scan_by_key_implILNS1_25lookback_scan_determinismE0ELb0ES3_N6thrust23THRUST_200600_302600_NS6detail15normal_iteratorINS9_10device_ptrIiEEEENS9_18transform_iteratorINS9_6negateIiEESE_NS9_11use_defaultESI_EESE_iNS9_4plusIvEENS9_8equal_toIvEEiEE10hipError_tPvRmT2_T3_T4_T5_mT6_T7_P12ihipStream_tbENKUlT_T0_E_clISt17integral_constantIbLb1EES13_IbLb0EEEEDaSZ_S10_EUlSZ_E_NS1_11comp_targetILNS1_3genE3ELNS1_11target_archE908ELNS1_3gpuE7ELNS1_3repE0EEENS1_30default_config_static_selectorELNS0_4arch9wavefront6targetE1EEEvT1_: ; @_ZN7rocprim17ROCPRIM_400000_NS6detail17trampoline_kernelINS0_14default_configENS1_27scan_by_key_config_selectorIiiEEZZNS1_16scan_by_key_implILNS1_25lookback_scan_determinismE0ELb0ES3_N6thrust23THRUST_200600_302600_NS6detail15normal_iteratorINS9_10device_ptrIiEEEENS9_18transform_iteratorINS9_6negateIiEESE_NS9_11use_defaultESI_EESE_iNS9_4plusIvEENS9_8equal_toIvEEiEE10hipError_tPvRmT2_T3_T4_T5_mT6_T7_P12ihipStream_tbENKUlT_T0_E_clISt17integral_constantIbLb1EES13_IbLb0EEEEDaSZ_S10_EUlSZ_E_NS1_11comp_targetILNS1_3genE3ELNS1_11target_archE908ELNS1_3gpuE7ELNS1_3repE0EEENS1_30default_config_static_selectorELNS0_4arch9wavefront6targetE1EEEvT1_
; %bb.0:
	.section	.rodata,"a",@progbits
	.p2align	6, 0x0
	.amdhsa_kernel _ZN7rocprim17ROCPRIM_400000_NS6detail17trampoline_kernelINS0_14default_configENS1_27scan_by_key_config_selectorIiiEEZZNS1_16scan_by_key_implILNS1_25lookback_scan_determinismE0ELb0ES3_N6thrust23THRUST_200600_302600_NS6detail15normal_iteratorINS9_10device_ptrIiEEEENS9_18transform_iteratorINS9_6negateIiEESE_NS9_11use_defaultESI_EESE_iNS9_4plusIvEENS9_8equal_toIvEEiEE10hipError_tPvRmT2_T3_T4_T5_mT6_T7_P12ihipStream_tbENKUlT_T0_E_clISt17integral_constantIbLb1EES13_IbLb0EEEEDaSZ_S10_EUlSZ_E_NS1_11comp_targetILNS1_3genE3ELNS1_11target_archE908ELNS1_3gpuE7ELNS1_3repE0EEENS1_30default_config_static_selectorELNS0_4arch9wavefront6targetE1EEEvT1_
		.amdhsa_group_segment_fixed_size 0
		.amdhsa_private_segment_fixed_size 0
		.amdhsa_kernarg_size 120
		.amdhsa_user_sgpr_count 2
		.amdhsa_user_sgpr_dispatch_ptr 0
		.amdhsa_user_sgpr_queue_ptr 0
		.amdhsa_user_sgpr_kernarg_segment_ptr 1
		.amdhsa_user_sgpr_dispatch_id 0
		.amdhsa_user_sgpr_kernarg_preload_length 0
		.amdhsa_user_sgpr_kernarg_preload_offset 0
		.amdhsa_user_sgpr_private_segment_size 0
		.amdhsa_uses_dynamic_stack 0
		.amdhsa_enable_private_segment 0
		.amdhsa_system_sgpr_workgroup_id_x 1
		.amdhsa_system_sgpr_workgroup_id_y 0
		.amdhsa_system_sgpr_workgroup_id_z 0
		.amdhsa_system_sgpr_workgroup_info 0
		.amdhsa_system_vgpr_workitem_id 0
		.amdhsa_next_free_vgpr 1
		.amdhsa_next_free_sgpr 0
		.amdhsa_accum_offset 4
		.amdhsa_reserve_vcc 0
		.amdhsa_float_round_mode_32 0
		.amdhsa_float_round_mode_16_64 0
		.amdhsa_float_denorm_mode_32 3
		.amdhsa_float_denorm_mode_16_64 3
		.amdhsa_dx10_clamp 1
		.amdhsa_ieee_mode 1
		.amdhsa_fp16_overflow 0
		.amdhsa_tg_split 0
		.amdhsa_exception_fp_ieee_invalid_op 0
		.amdhsa_exception_fp_denorm_src 0
		.amdhsa_exception_fp_ieee_div_zero 0
		.amdhsa_exception_fp_ieee_overflow 0
		.amdhsa_exception_fp_ieee_underflow 0
		.amdhsa_exception_fp_ieee_inexact 0
		.amdhsa_exception_int_div_zero 0
	.end_amdhsa_kernel
	.section	.text._ZN7rocprim17ROCPRIM_400000_NS6detail17trampoline_kernelINS0_14default_configENS1_27scan_by_key_config_selectorIiiEEZZNS1_16scan_by_key_implILNS1_25lookback_scan_determinismE0ELb0ES3_N6thrust23THRUST_200600_302600_NS6detail15normal_iteratorINS9_10device_ptrIiEEEENS9_18transform_iteratorINS9_6negateIiEESE_NS9_11use_defaultESI_EESE_iNS9_4plusIvEENS9_8equal_toIvEEiEE10hipError_tPvRmT2_T3_T4_T5_mT6_T7_P12ihipStream_tbENKUlT_T0_E_clISt17integral_constantIbLb1EES13_IbLb0EEEEDaSZ_S10_EUlSZ_E_NS1_11comp_targetILNS1_3genE3ELNS1_11target_archE908ELNS1_3gpuE7ELNS1_3repE0EEENS1_30default_config_static_selectorELNS0_4arch9wavefront6targetE1EEEvT1_,"axG",@progbits,_ZN7rocprim17ROCPRIM_400000_NS6detail17trampoline_kernelINS0_14default_configENS1_27scan_by_key_config_selectorIiiEEZZNS1_16scan_by_key_implILNS1_25lookback_scan_determinismE0ELb0ES3_N6thrust23THRUST_200600_302600_NS6detail15normal_iteratorINS9_10device_ptrIiEEEENS9_18transform_iteratorINS9_6negateIiEESE_NS9_11use_defaultESI_EESE_iNS9_4plusIvEENS9_8equal_toIvEEiEE10hipError_tPvRmT2_T3_T4_T5_mT6_T7_P12ihipStream_tbENKUlT_T0_E_clISt17integral_constantIbLb1EES13_IbLb0EEEEDaSZ_S10_EUlSZ_E_NS1_11comp_targetILNS1_3genE3ELNS1_11target_archE908ELNS1_3gpuE7ELNS1_3repE0EEENS1_30default_config_static_selectorELNS0_4arch9wavefront6targetE1EEEvT1_,comdat
.Lfunc_end951:
	.size	_ZN7rocprim17ROCPRIM_400000_NS6detail17trampoline_kernelINS0_14default_configENS1_27scan_by_key_config_selectorIiiEEZZNS1_16scan_by_key_implILNS1_25lookback_scan_determinismE0ELb0ES3_N6thrust23THRUST_200600_302600_NS6detail15normal_iteratorINS9_10device_ptrIiEEEENS9_18transform_iteratorINS9_6negateIiEESE_NS9_11use_defaultESI_EESE_iNS9_4plusIvEENS9_8equal_toIvEEiEE10hipError_tPvRmT2_T3_T4_T5_mT6_T7_P12ihipStream_tbENKUlT_T0_E_clISt17integral_constantIbLb1EES13_IbLb0EEEEDaSZ_S10_EUlSZ_E_NS1_11comp_targetILNS1_3genE3ELNS1_11target_archE908ELNS1_3gpuE7ELNS1_3repE0EEENS1_30default_config_static_selectorELNS0_4arch9wavefront6targetE1EEEvT1_, .Lfunc_end951-_ZN7rocprim17ROCPRIM_400000_NS6detail17trampoline_kernelINS0_14default_configENS1_27scan_by_key_config_selectorIiiEEZZNS1_16scan_by_key_implILNS1_25lookback_scan_determinismE0ELb0ES3_N6thrust23THRUST_200600_302600_NS6detail15normal_iteratorINS9_10device_ptrIiEEEENS9_18transform_iteratorINS9_6negateIiEESE_NS9_11use_defaultESI_EESE_iNS9_4plusIvEENS9_8equal_toIvEEiEE10hipError_tPvRmT2_T3_T4_T5_mT6_T7_P12ihipStream_tbENKUlT_T0_E_clISt17integral_constantIbLb1EES13_IbLb0EEEEDaSZ_S10_EUlSZ_E_NS1_11comp_targetILNS1_3genE3ELNS1_11target_archE908ELNS1_3gpuE7ELNS1_3repE0EEENS1_30default_config_static_selectorELNS0_4arch9wavefront6targetE1EEEvT1_
                                        ; -- End function
	.section	.AMDGPU.csdata,"",@progbits
; Kernel info:
; codeLenInByte = 0
; NumSgprs: 6
; NumVgprs: 0
; NumAgprs: 0
; TotalNumVgprs: 0
; ScratchSize: 0
; MemoryBound: 0
; FloatMode: 240
; IeeeMode: 1
; LDSByteSize: 0 bytes/workgroup (compile time only)
; SGPRBlocks: 0
; VGPRBlocks: 0
; NumSGPRsForWavesPerEU: 6
; NumVGPRsForWavesPerEU: 1
; AccumOffset: 4
; Occupancy: 8
; WaveLimiterHint : 0
; COMPUTE_PGM_RSRC2:SCRATCH_EN: 0
; COMPUTE_PGM_RSRC2:USER_SGPR: 2
; COMPUTE_PGM_RSRC2:TRAP_HANDLER: 0
; COMPUTE_PGM_RSRC2:TGID_X_EN: 1
; COMPUTE_PGM_RSRC2:TGID_Y_EN: 0
; COMPUTE_PGM_RSRC2:TGID_Z_EN: 0
; COMPUTE_PGM_RSRC2:TIDIG_COMP_CNT: 0
; COMPUTE_PGM_RSRC3_GFX90A:ACCUM_OFFSET: 0
; COMPUTE_PGM_RSRC3_GFX90A:TG_SPLIT: 0
	.section	.text._ZN7rocprim17ROCPRIM_400000_NS6detail17trampoline_kernelINS0_14default_configENS1_27scan_by_key_config_selectorIiiEEZZNS1_16scan_by_key_implILNS1_25lookback_scan_determinismE0ELb0ES3_N6thrust23THRUST_200600_302600_NS6detail15normal_iteratorINS9_10device_ptrIiEEEENS9_18transform_iteratorINS9_6negateIiEESE_NS9_11use_defaultESI_EESE_iNS9_4plusIvEENS9_8equal_toIvEEiEE10hipError_tPvRmT2_T3_T4_T5_mT6_T7_P12ihipStream_tbENKUlT_T0_E_clISt17integral_constantIbLb1EES13_IbLb0EEEEDaSZ_S10_EUlSZ_E_NS1_11comp_targetILNS1_3genE2ELNS1_11target_archE906ELNS1_3gpuE6ELNS1_3repE0EEENS1_30default_config_static_selectorELNS0_4arch9wavefront6targetE1EEEvT1_,"axG",@progbits,_ZN7rocprim17ROCPRIM_400000_NS6detail17trampoline_kernelINS0_14default_configENS1_27scan_by_key_config_selectorIiiEEZZNS1_16scan_by_key_implILNS1_25lookback_scan_determinismE0ELb0ES3_N6thrust23THRUST_200600_302600_NS6detail15normal_iteratorINS9_10device_ptrIiEEEENS9_18transform_iteratorINS9_6negateIiEESE_NS9_11use_defaultESI_EESE_iNS9_4plusIvEENS9_8equal_toIvEEiEE10hipError_tPvRmT2_T3_T4_T5_mT6_T7_P12ihipStream_tbENKUlT_T0_E_clISt17integral_constantIbLb1EES13_IbLb0EEEEDaSZ_S10_EUlSZ_E_NS1_11comp_targetILNS1_3genE2ELNS1_11target_archE906ELNS1_3gpuE6ELNS1_3repE0EEENS1_30default_config_static_selectorELNS0_4arch9wavefront6targetE1EEEvT1_,comdat
	.protected	_ZN7rocprim17ROCPRIM_400000_NS6detail17trampoline_kernelINS0_14default_configENS1_27scan_by_key_config_selectorIiiEEZZNS1_16scan_by_key_implILNS1_25lookback_scan_determinismE0ELb0ES3_N6thrust23THRUST_200600_302600_NS6detail15normal_iteratorINS9_10device_ptrIiEEEENS9_18transform_iteratorINS9_6negateIiEESE_NS9_11use_defaultESI_EESE_iNS9_4plusIvEENS9_8equal_toIvEEiEE10hipError_tPvRmT2_T3_T4_T5_mT6_T7_P12ihipStream_tbENKUlT_T0_E_clISt17integral_constantIbLb1EES13_IbLb0EEEEDaSZ_S10_EUlSZ_E_NS1_11comp_targetILNS1_3genE2ELNS1_11target_archE906ELNS1_3gpuE6ELNS1_3repE0EEENS1_30default_config_static_selectorELNS0_4arch9wavefront6targetE1EEEvT1_ ; -- Begin function _ZN7rocprim17ROCPRIM_400000_NS6detail17trampoline_kernelINS0_14default_configENS1_27scan_by_key_config_selectorIiiEEZZNS1_16scan_by_key_implILNS1_25lookback_scan_determinismE0ELb0ES3_N6thrust23THRUST_200600_302600_NS6detail15normal_iteratorINS9_10device_ptrIiEEEENS9_18transform_iteratorINS9_6negateIiEESE_NS9_11use_defaultESI_EESE_iNS9_4plusIvEENS9_8equal_toIvEEiEE10hipError_tPvRmT2_T3_T4_T5_mT6_T7_P12ihipStream_tbENKUlT_T0_E_clISt17integral_constantIbLb1EES13_IbLb0EEEEDaSZ_S10_EUlSZ_E_NS1_11comp_targetILNS1_3genE2ELNS1_11target_archE906ELNS1_3gpuE6ELNS1_3repE0EEENS1_30default_config_static_selectorELNS0_4arch9wavefront6targetE1EEEvT1_
	.globl	_ZN7rocprim17ROCPRIM_400000_NS6detail17trampoline_kernelINS0_14default_configENS1_27scan_by_key_config_selectorIiiEEZZNS1_16scan_by_key_implILNS1_25lookback_scan_determinismE0ELb0ES3_N6thrust23THRUST_200600_302600_NS6detail15normal_iteratorINS9_10device_ptrIiEEEENS9_18transform_iteratorINS9_6negateIiEESE_NS9_11use_defaultESI_EESE_iNS9_4plusIvEENS9_8equal_toIvEEiEE10hipError_tPvRmT2_T3_T4_T5_mT6_T7_P12ihipStream_tbENKUlT_T0_E_clISt17integral_constantIbLb1EES13_IbLb0EEEEDaSZ_S10_EUlSZ_E_NS1_11comp_targetILNS1_3genE2ELNS1_11target_archE906ELNS1_3gpuE6ELNS1_3repE0EEENS1_30default_config_static_selectorELNS0_4arch9wavefront6targetE1EEEvT1_
	.p2align	8
	.type	_ZN7rocprim17ROCPRIM_400000_NS6detail17trampoline_kernelINS0_14default_configENS1_27scan_by_key_config_selectorIiiEEZZNS1_16scan_by_key_implILNS1_25lookback_scan_determinismE0ELb0ES3_N6thrust23THRUST_200600_302600_NS6detail15normal_iteratorINS9_10device_ptrIiEEEENS9_18transform_iteratorINS9_6negateIiEESE_NS9_11use_defaultESI_EESE_iNS9_4plusIvEENS9_8equal_toIvEEiEE10hipError_tPvRmT2_T3_T4_T5_mT6_T7_P12ihipStream_tbENKUlT_T0_E_clISt17integral_constantIbLb1EES13_IbLb0EEEEDaSZ_S10_EUlSZ_E_NS1_11comp_targetILNS1_3genE2ELNS1_11target_archE906ELNS1_3gpuE6ELNS1_3repE0EEENS1_30default_config_static_selectorELNS0_4arch9wavefront6targetE1EEEvT1_,@function
_ZN7rocprim17ROCPRIM_400000_NS6detail17trampoline_kernelINS0_14default_configENS1_27scan_by_key_config_selectorIiiEEZZNS1_16scan_by_key_implILNS1_25lookback_scan_determinismE0ELb0ES3_N6thrust23THRUST_200600_302600_NS6detail15normal_iteratorINS9_10device_ptrIiEEEENS9_18transform_iteratorINS9_6negateIiEESE_NS9_11use_defaultESI_EESE_iNS9_4plusIvEENS9_8equal_toIvEEiEE10hipError_tPvRmT2_T3_T4_T5_mT6_T7_P12ihipStream_tbENKUlT_T0_E_clISt17integral_constantIbLb1EES13_IbLb0EEEEDaSZ_S10_EUlSZ_E_NS1_11comp_targetILNS1_3genE2ELNS1_11target_archE906ELNS1_3gpuE6ELNS1_3repE0EEENS1_30default_config_static_selectorELNS0_4arch9wavefront6targetE1EEEvT1_: ; @_ZN7rocprim17ROCPRIM_400000_NS6detail17trampoline_kernelINS0_14default_configENS1_27scan_by_key_config_selectorIiiEEZZNS1_16scan_by_key_implILNS1_25lookback_scan_determinismE0ELb0ES3_N6thrust23THRUST_200600_302600_NS6detail15normal_iteratorINS9_10device_ptrIiEEEENS9_18transform_iteratorINS9_6negateIiEESE_NS9_11use_defaultESI_EESE_iNS9_4plusIvEENS9_8equal_toIvEEiEE10hipError_tPvRmT2_T3_T4_T5_mT6_T7_P12ihipStream_tbENKUlT_T0_E_clISt17integral_constantIbLb1EES13_IbLb0EEEEDaSZ_S10_EUlSZ_E_NS1_11comp_targetILNS1_3genE2ELNS1_11target_archE906ELNS1_3gpuE6ELNS1_3repE0EEENS1_30default_config_static_selectorELNS0_4arch9wavefront6targetE1EEEvT1_
; %bb.0:
	.section	.rodata,"a",@progbits
	.p2align	6, 0x0
	.amdhsa_kernel _ZN7rocprim17ROCPRIM_400000_NS6detail17trampoline_kernelINS0_14default_configENS1_27scan_by_key_config_selectorIiiEEZZNS1_16scan_by_key_implILNS1_25lookback_scan_determinismE0ELb0ES3_N6thrust23THRUST_200600_302600_NS6detail15normal_iteratorINS9_10device_ptrIiEEEENS9_18transform_iteratorINS9_6negateIiEESE_NS9_11use_defaultESI_EESE_iNS9_4plusIvEENS9_8equal_toIvEEiEE10hipError_tPvRmT2_T3_T4_T5_mT6_T7_P12ihipStream_tbENKUlT_T0_E_clISt17integral_constantIbLb1EES13_IbLb0EEEEDaSZ_S10_EUlSZ_E_NS1_11comp_targetILNS1_3genE2ELNS1_11target_archE906ELNS1_3gpuE6ELNS1_3repE0EEENS1_30default_config_static_selectorELNS0_4arch9wavefront6targetE1EEEvT1_
		.amdhsa_group_segment_fixed_size 0
		.amdhsa_private_segment_fixed_size 0
		.amdhsa_kernarg_size 120
		.amdhsa_user_sgpr_count 2
		.amdhsa_user_sgpr_dispatch_ptr 0
		.amdhsa_user_sgpr_queue_ptr 0
		.amdhsa_user_sgpr_kernarg_segment_ptr 1
		.amdhsa_user_sgpr_dispatch_id 0
		.amdhsa_user_sgpr_kernarg_preload_length 0
		.amdhsa_user_sgpr_kernarg_preload_offset 0
		.amdhsa_user_sgpr_private_segment_size 0
		.amdhsa_uses_dynamic_stack 0
		.amdhsa_enable_private_segment 0
		.amdhsa_system_sgpr_workgroup_id_x 1
		.amdhsa_system_sgpr_workgroup_id_y 0
		.amdhsa_system_sgpr_workgroup_id_z 0
		.amdhsa_system_sgpr_workgroup_info 0
		.amdhsa_system_vgpr_workitem_id 0
		.amdhsa_next_free_vgpr 1
		.amdhsa_next_free_sgpr 0
		.amdhsa_accum_offset 4
		.amdhsa_reserve_vcc 0
		.amdhsa_float_round_mode_32 0
		.amdhsa_float_round_mode_16_64 0
		.amdhsa_float_denorm_mode_32 3
		.amdhsa_float_denorm_mode_16_64 3
		.amdhsa_dx10_clamp 1
		.amdhsa_ieee_mode 1
		.amdhsa_fp16_overflow 0
		.amdhsa_tg_split 0
		.amdhsa_exception_fp_ieee_invalid_op 0
		.amdhsa_exception_fp_denorm_src 0
		.amdhsa_exception_fp_ieee_div_zero 0
		.amdhsa_exception_fp_ieee_overflow 0
		.amdhsa_exception_fp_ieee_underflow 0
		.amdhsa_exception_fp_ieee_inexact 0
		.amdhsa_exception_int_div_zero 0
	.end_amdhsa_kernel
	.section	.text._ZN7rocprim17ROCPRIM_400000_NS6detail17trampoline_kernelINS0_14default_configENS1_27scan_by_key_config_selectorIiiEEZZNS1_16scan_by_key_implILNS1_25lookback_scan_determinismE0ELb0ES3_N6thrust23THRUST_200600_302600_NS6detail15normal_iteratorINS9_10device_ptrIiEEEENS9_18transform_iteratorINS9_6negateIiEESE_NS9_11use_defaultESI_EESE_iNS9_4plusIvEENS9_8equal_toIvEEiEE10hipError_tPvRmT2_T3_T4_T5_mT6_T7_P12ihipStream_tbENKUlT_T0_E_clISt17integral_constantIbLb1EES13_IbLb0EEEEDaSZ_S10_EUlSZ_E_NS1_11comp_targetILNS1_3genE2ELNS1_11target_archE906ELNS1_3gpuE6ELNS1_3repE0EEENS1_30default_config_static_selectorELNS0_4arch9wavefront6targetE1EEEvT1_,"axG",@progbits,_ZN7rocprim17ROCPRIM_400000_NS6detail17trampoline_kernelINS0_14default_configENS1_27scan_by_key_config_selectorIiiEEZZNS1_16scan_by_key_implILNS1_25lookback_scan_determinismE0ELb0ES3_N6thrust23THRUST_200600_302600_NS6detail15normal_iteratorINS9_10device_ptrIiEEEENS9_18transform_iteratorINS9_6negateIiEESE_NS9_11use_defaultESI_EESE_iNS9_4plusIvEENS9_8equal_toIvEEiEE10hipError_tPvRmT2_T3_T4_T5_mT6_T7_P12ihipStream_tbENKUlT_T0_E_clISt17integral_constantIbLb1EES13_IbLb0EEEEDaSZ_S10_EUlSZ_E_NS1_11comp_targetILNS1_3genE2ELNS1_11target_archE906ELNS1_3gpuE6ELNS1_3repE0EEENS1_30default_config_static_selectorELNS0_4arch9wavefront6targetE1EEEvT1_,comdat
.Lfunc_end952:
	.size	_ZN7rocprim17ROCPRIM_400000_NS6detail17trampoline_kernelINS0_14default_configENS1_27scan_by_key_config_selectorIiiEEZZNS1_16scan_by_key_implILNS1_25lookback_scan_determinismE0ELb0ES3_N6thrust23THRUST_200600_302600_NS6detail15normal_iteratorINS9_10device_ptrIiEEEENS9_18transform_iteratorINS9_6negateIiEESE_NS9_11use_defaultESI_EESE_iNS9_4plusIvEENS9_8equal_toIvEEiEE10hipError_tPvRmT2_T3_T4_T5_mT6_T7_P12ihipStream_tbENKUlT_T0_E_clISt17integral_constantIbLb1EES13_IbLb0EEEEDaSZ_S10_EUlSZ_E_NS1_11comp_targetILNS1_3genE2ELNS1_11target_archE906ELNS1_3gpuE6ELNS1_3repE0EEENS1_30default_config_static_selectorELNS0_4arch9wavefront6targetE1EEEvT1_, .Lfunc_end952-_ZN7rocprim17ROCPRIM_400000_NS6detail17trampoline_kernelINS0_14default_configENS1_27scan_by_key_config_selectorIiiEEZZNS1_16scan_by_key_implILNS1_25lookback_scan_determinismE0ELb0ES3_N6thrust23THRUST_200600_302600_NS6detail15normal_iteratorINS9_10device_ptrIiEEEENS9_18transform_iteratorINS9_6negateIiEESE_NS9_11use_defaultESI_EESE_iNS9_4plusIvEENS9_8equal_toIvEEiEE10hipError_tPvRmT2_T3_T4_T5_mT6_T7_P12ihipStream_tbENKUlT_T0_E_clISt17integral_constantIbLb1EES13_IbLb0EEEEDaSZ_S10_EUlSZ_E_NS1_11comp_targetILNS1_3genE2ELNS1_11target_archE906ELNS1_3gpuE6ELNS1_3repE0EEENS1_30default_config_static_selectorELNS0_4arch9wavefront6targetE1EEEvT1_
                                        ; -- End function
	.section	.AMDGPU.csdata,"",@progbits
; Kernel info:
; codeLenInByte = 0
; NumSgprs: 6
; NumVgprs: 0
; NumAgprs: 0
; TotalNumVgprs: 0
; ScratchSize: 0
; MemoryBound: 0
; FloatMode: 240
; IeeeMode: 1
; LDSByteSize: 0 bytes/workgroup (compile time only)
; SGPRBlocks: 0
; VGPRBlocks: 0
; NumSGPRsForWavesPerEU: 6
; NumVGPRsForWavesPerEU: 1
; AccumOffset: 4
; Occupancy: 8
; WaveLimiterHint : 0
; COMPUTE_PGM_RSRC2:SCRATCH_EN: 0
; COMPUTE_PGM_RSRC2:USER_SGPR: 2
; COMPUTE_PGM_RSRC2:TRAP_HANDLER: 0
; COMPUTE_PGM_RSRC2:TGID_X_EN: 1
; COMPUTE_PGM_RSRC2:TGID_Y_EN: 0
; COMPUTE_PGM_RSRC2:TGID_Z_EN: 0
; COMPUTE_PGM_RSRC2:TIDIG_COMP_CNT: 0
; COMPUTE_PGM_RSRC3_GFX90A:ACCUM_OFFSET: 0
; COMPUTE_PGM_RSRC3_GFX90A:TG_SPLIT: 0
	.section	.text._ZN7rocprim17ROCPRIM_400000_NS6detail17trampoline_kernelINS0_14default_configENS1_27scan_by_key_config_selectorIiiEEZZNS1_16scan_by_key_implILNS1_25lookback_scan_determinismE0ELb0ES3_N6thrust23THRUST_200600_302600_NS6detail15normal_iteratorINS9_10device_ptrIiEEEENS9_18transform_iteratorINS9_6negateIiEESE_NS9_11use_defaultESI_EESE_iNS9_4plusIvEENS9_8equal_toIvEEiEE10hipError_tPvRmT2_T3_T4_T5_mT6_T7_P12ihipStream_tbENKUlT_T0_E_clISt17integral_constantIbLb1EES13_IbLb0EEEEDaSZ_S10_EUlSZ_E_NS1_11comp_targetILNS1_3genE10ELNS1_11target_archE1200ELNS1_3gpuE4ELNS1_3repE0EEENS1_30default_config_static_selectorELNS0_4arch9wavefront6targetE1EEEvT1_,"axG",@progbits,_ZN7rocprim17ROCPRIM_400000_NS6detail17trampoline_kernelINS0_14default_configENS1_27scan_by_key_config_selectorIiiEEZZNS1_16scan_by_key_implILNS1_25lookback_scan_determinismE0ELb0ES3_N6thrust23THRUST_200600_302600_NS6detail15normal_iteratorINS9_10device_ptrIiEEEENS9_18transform_iteratorINS9_6negateIiEESE_NS9_11use_defaultESI_EESE_iNS9_4plusIvEENS9_8equal_toIvEEiEE10hipError_tPvRmT2_T3_T4_T5_mT6_T7_P12ihipStream_tbENKUlT_T0_E_clISt17integral_constantIbLb1EES13_IbLb0EEEEDaSZ_S10_EUlSZ_E_NS1_11comp_targetILNS1_3genE10ELNS1_11target_archE1200ELNS1_3gpuE4ELNS1_3repE0EEENS1_30default_config_static_selectorELNS0_4arch9wavefront6targetE1EEEvT1_,comdat
	.protected	_ZN7rocprim17ROCPRIM_400000_NS6detail17trampoline_kernelINS0_14default_configENS1_27scan_by_key_config_selectorIiiEEZZNS1_16scan_by_key_implILNS1_25lookback_scan_determinismE0ELb0ES3_N6thrust23THRUST_200600_302600_NS6detail15normal_iteratorINS9_10device_ptrIiEEEENS9_18transform_iteratorINS9_6negateIiEESE_NS9_11use_defaultESI_EESE_iNS9_4plusIvEENS9_8equal_toIvEEiEE10hipError_tPvRmT2_T3_T4_T5_mT6_T7_P12ihipStream_tbENKUlT_T0_E_clISt17integral_constantIbLb1EES13_IbLb0EEEEDaSZ_S10_EUlSZ_E_NS1_11comp_targetILNS1_3genE10ELNS1_11target_archE1200ELNS1_3gpuE4ELNS1_3repE0EEENS1_30default_config_static_selectorELNS0_4arch9wavefront6targetE1EEEvT1_ ; -- Begin function _ZN7rocprim17ROCPRIM_400000_NS6detail17trampoline_kernelINS0_14default_configENS1_27scan_by_key_config_selectorIiiEEZZNS1_16scan_by_key_implILNS1_25lookback_scan_determinismE0ELb0ES3_N6thrust23THRUST_200600_302600_NS6detail15normal_iteratorINS9_10device_ptrIiEEEENS9_18transform_iteratorINS9_6negateIiEESE_NS9_11use_defaultESI_EESE_iNS9_4plusIvEENS9_8equal_toIvEEiEE10hipError_tPvRmT2_T3_T4_T5_mT6_T7_P12ihipStream_tbENKUlT_T0_E_clISt17integral_constantIbLb1EES13_IbLb0EEEEDaSZ_S10_EUlSZ_E_NS1_11comp_targetILNS1_3genE10ELNS1_11target_archE1200ELNS1_3gpuE4ELNS1_3repE0EEENS1_30default_config_static_selectorELNS0_4arch9wavefront6targetE1EEEvT1_
	.globl	_ZN7rocprim17ROCPRIM_400000_NS6detail17trampoline_kernelINS0_14default_configENS1_27scan_by_key_config_selectorIiiEEZZNS1_16scan_by_key_implILNS1_25lookback_scan_determinismE0ELb0ES3_N6thrust23THRUST_200600_302600_NS6detail15normal_iteratorINS9_10device_ptrIiEEEENS9_18transform_iteratorINS9_6negateIiEESE_NS9_11use_defaultESI_EESE_iNS9_4plusIvEENS9_8equal_toIvEEiEE10hipError_tPvRmT2_T3_T4_T5_mT6_T7_P12ihipStream_tbENKUlT_T0_E_clISt17integral_constantIbLb1EES13_IbLb0EEEEDaSZ_S10_EUlSZ_E_NS1_11comp_targetILNS1_3genE10ELNS1_11target_archE1200ELNS1_3gpuE4ELNS1_3repE0EEENS1_30default_config_static_selectorELNS0_4arch9wavefront6targetE1EEEvT1_
	.p2align	8
	.type	_ZN7rocprim17ROCPRIM_400000_NS6detail17trampoline_kernelINS0_14default_configENS1_27scan_by_key_config_selectorIiiEEZZNS1_16scan_by_key_implILNS1_25lookback_scan_determinismE0ELb0ES3_N6thrust23THRUST_200600_302600_NS6detail15normal_iteratorINS9_10device_ptrIiEEEENS9_18transform_iteratorINS9_6negateIiEESE_NS9_11use_defaultESI_EESE_iNS9_4plusIvEENS9_8equal_toIvEEiEE10hipError_tPvRmT2_T3_T4_T5_mT6_T7_P12ihipStream_tbENKUlT_T0_E_clISt17integral_constantIbLb1EES13_IbLb0EEEEDaSZ_S10_EUlSZ_E_NS1_11comp_targetILNS1_3genE10ELNS1_11target_archE1200ELNS1_3gpuE4ELNS1_3repE0EEENS1_30default_config_static_selectorELNS0_4arch9wavefront6targetE1EEEvT1_,@function
_ZN7rocprim17ROCPRIM_400000_NS6detail17trampoline_kernelINS0_14default_configENS1_27scan_by_key_config_selectorIiiEEZZNS1_16scan_by_key_implILNS1_25lookback_scan_determinismE0ELb0ES3_N6thrust23THRUST_200600_302600_NS6detail15normal_iteratorINS9_10device_ptrIiEEEENS9_18transform_iteratorINS9_6negateIiEESE_NS9_11use_defaultESI_EESE_iNS9_4plusIvEENS9_8equal_toIvEEiEE10hipError_tPvRmT2_T3_T4_T5_mT6_T7_P12ihipStream_tbENKUlT_T0_E_clISt17integral_constantIbLb1EES13_IbLb0EEEEDaSZ_S10_EUlSZ_E_NS1_11comp_targetILNS1_3genE10ELNS1_11target_archE1200ELNS1_3gpuE4ELNS1_3repE0EEENS1_30default_config_static_selectorELNS0_4arch9wavefront6targetE1EEEvT1_: ; @_ZN7rocprim17ROCPRIM_400000_NS6detail17trampoline_kernelINS0_14default_configENS1_27scan_by_key_config_selectorIiiEEZZNS1_16scan_by_key_implILNS1_25lookback_scan_determinismE0ELb0ES3_N6thrust23THRUST_200600_302600_NS6detail15normal_iteratorINS9_10device_ptrIiEEEENS9_18transform_iteratorINS9_6negateIiEESE_NS9_11use_defaultESI_EESE_iNS9_4plusIvEENS9_8equal_toIvEEiEE10hipError_tPvRmT2_T3_T4_T5_mT6_T7_P12ihipStream_tbENKUlT_T0_E_clISt17integral_constantIbLb1EES13_IbLb0EEEEDaSZ_S10_EUlSZ_E_NS1_11comp_targetILNS1_3genE10ELNS1_11target_archE1200ELNS1_3gpuE4ELNS1_3repE0EEENS1_30default_config_static_selectorELNS0_4arch9wavefront6targetE1EEEvT1_
; %bb.0:
	.section	.rodata,"a",@progbits
	.p2align	6, 0x0
	.amdhsa_kernel _ZN7rocprim17ROCPRIM_400000_NS6detail17trampoline_kernelINS0_14default_configENS1_27scan_by_key_config_selectorIiiEEZZNS1_16scan_by_key_implILNS1_25lookback_scan_determinismE0ELb0ES3_N6thrust23THRUST_200600_302600_NS6detail15normal_iteratorINS9_10device_ptrIiEEEENS9_18transform_iteratorINS9_6negateIiEESE_NS9_11use_defaultESI_EESE_iNS9_4plusIvEENS9_8equal_toIvEEiEE10hipError_tPvRmT2_T3_T4_T5_mT6_T7_P12ihipStream_tbENKUlT_T0_E_clISt17integral_constantIbLb1EES13_IbLb0EEEEDaSZ_S10_EUlSZ_E_NS1_11comp_targetILNS1_3genE10ELNS1_11target_archE1200ELNS1_3gpuE4ELNS1_3repE0EEENS1_30default_config_static_selectorELNS0_4arch9wavefront6targetE1EEEvT1_
		.amdhsa_group_segment_fixed_size 0
		.amdhsa_private_segment_fixed_size 0
		.amdhsa_kernarg_size 120
		.amdhsa_user_sgpr_count 2
		.amdhsa_user_sgpr_dispatch_ptr 0
		.amdhsa_user_sgpr_queue_ptr 0
		.amdhsa_user_sgpr_kernarg_segment_ptr 1
		.amdhsa_user_sgpr_dispatch_id 0
		.amdhsa_user_sgpr_kernarg_preload_length 0
		.amdhsa_user_sgpr_kernarg_preload_offset 0
		.amdhsa_user_sgpr_private_segment_size 0
		.amdhsa_uses_dynamic_stack 0
		.amdhsa_enable_private_segment 0
		.amdhsa_system_sgpr_workgroup_id_x 1
		.amdhsa_system_sgpr_workgroup_id_y 0
		.amdhsa_system_sgpr_workgroup_id_z 0
		.amdhsa_system_sgpr_workgroup_info 0
		.amdhsa_system_vgpr_workitem_id 0
		.amdhsa_next_free_vgpr 1
		.amdhsa_next_free_sgpr 0
		.amdhsa_accum_offset 4
		.amdhsa_reserve_vcc 0
		.amdhsa_float_round_mode_32 0
		.amdhsa_float_round_mode_16_64 0
		.amdhsa_float_denorm_mode_32 3
		.amdhsa_float_denorm_mode_16_64 3
		.amdhsa_dx10_clamp 1
		.amdhsa_ieee_mode 1
		.amdhsa_fp16_overflow 0
		.amdhsa_tg_split 0
		.amdhsa_exception_fp_ieee_invalid_op 0
		.amdhsa_exception_fp_denorm_src 0
		.amdhsa_exception_fp_ieee_div_zero 0
		.amdhsa_exception_fp_ieee_overflow 0
		.amdhsa_exception_fp_ieee_underflow 0
		.amdhsa_exception_fp_ieee_inexact 0
		.amdhsa_exception_int_div_zero 0
	.end_amdhsa_kernel
	.section	.text._ZN7rocprim17ROCPRIM_400000_NS6detail17trampoline_kernelINS0_14default_configENS1_27scan_by_key_config_selectorIiiEEZZNS1_16scan_by_key_implILNS1_25lookback_scan_determinismE0ELb0ES3_N6thrust23THRUST_200600_302600_NS6detail15normal_iteratorINS9_10device_ptrIiEEEENS9_18transform_iteratorINS9_6negateIiEESE_NS9_11use_defaultESI_EESE_iNS9_4plusIvEENS9_8equal_toIvEEiEE10hipError_tPvRmT2_T3_T4_T5_mT6_T7_P12ihipStream_tbENKUlT_T0_E_clISt17integral_constantIbLb1EES13_IbLb0EEEEDaSZ_S10_EUlSZ_E_NS1_11comp_targetILNS1_3genE10ELNS1_11target_archE1200ELNS1_3gpuE4ELNS1_3repE0EEENS1_30default_config_static_selectorELNS0_4arch9wavefront6targetE1EEEvT1_,"axG",@progbits,_ZN7rocprim17ROCPRIM_400000_NS6detail17trampoline_kernelINS0_14default_configENS1_27scan_by_key_config_selectorIiiEEZZNS1_16scan_by_key_implILNS1_25lookback_scan_determinismE0ELb0ES3_N6thrust23THRUST_200600_302600_NS6detail15normal_iteratorINS9_10device_ptrIiEEEENS9_18transform_iteratorINS9_6negateIiEESE_NS9_11use_defaultESI_EESE_iNS9_4plusIvEENS9_8equal_toIvEEiEE10hipError_tPvRmT2_T3_T4_T5_mT6_T7_P12ihipStream_tbENKUlT_T0_E_clISt17integral_constantIbLb1EES13_IbLb0EEEEDaSZ_S10_EUlSZ_E_NS1_11comp_targetILNS1_3genE10ELNS1_11target_archE1200ELNS1_3gpuE4ELNS1_3repE0EEENS1_30default_config_static_selectorELNS0_4arch9wavefront6targetE1EEEvT1_,comdat
.Lfunc_end953:
	.size	_ZN7rocprim17ROCPRIM_400000_NS6detail17trampoline_kernelINS0_14default_configENS1_27scan_by_key_config_selectorIiiEEZZNS1_16scan_by_key_implILNS1_25lookback_scan_determinismE0ELb0ES3_N6thrust23THRUST_200600_302600_NS6detail15normal_iteratorINS9_10device_ptrIiEEEENS9_18transform_iteratorINS9_6negateIiEESE_NS9_11use_defaultESI_EESE_iNS9_4plusIvEENS9_8equal_toIvEEiEE10hipError_tPvRmT2_T3_T4_T5_mT6_T7_P12ihipStream_tbENKUlT_T0_E_clISt17integral_constantIbLb1EES13_IbLb0EEEEDaSZ_S10_EUlSZ_E_NS1_11comp_targetILNS1_3genE10ELNS1_11target_archE1200ELNS1_3gpuE4ELNS1_3repE0EEENS1_30default_config_static_selectorELNS0_4arch9wavefront6targetE1EEEvT1_, .Lfunc_end953-_ZN7rocprim17ROCPRIM_400000_NS6detail17trampoline_kernelINS0_14default_configENS1_27scan_by_key_config_selectorIiiEEZZNS1_16scan_by_key_implILNS1_25lookback_scan_determinismE0ELb0ES3_N6thrust23THRUST_200600_302600_NS6detail15normal_iteratorINS9_10device_ptrIiEEEENS9_18transform_iteratorINS9_6negateIiEESE_NS9_11use_defaultESI_EESE_iNS9_4plusIvEENS9_8equal_toIvEEiEE10hipError_tPvRmT2_T3_T4_T5_mT6_T7_P12ihipStream_tbENKUlT_T0_E_clISt17integral_constantIbLb1EES13_IbLb0EEEEDaSZ_S10_EUlSZ_E_NS1_11comp_targetILNS1_3genE10ELNS1_11target_archE1200ELNS1_3gpuE4ELNS1_3repE0EEENS1_30default_config_static_selectorELNS0_4arch9wavefront6targetE1EEEvT1_
                                        ; -- End function
	.section	.AMDGPU.csdata,"",@progbits
; Kernel info:
; codeLenInByte = 0
; NumSgprs: 6
; NumVgprs: 0
; NumAgprs: 0
; TotalNumVgprs: 0
; ScratchSize: 0
; MemoryBound: 0
; FloatMode: 240
; IeeeMode: 1
; LDSByteSize: 0 bytes/workgroup (compile time only)
; SGPRBlocks: 0
; VGPRBlocks: 0
; NumSGPRsForWavesPerEU: 6
; NumVGPRsForWavesPerEU: 1
; AccumOffset: 4
; Occupancy: 8
; WaveLimiterHint : 0
; COMPUTE_PGM_RSRC2:SCRATCH_EN: 0
; COMPUTE_PGM_RSRC2:USER_SGPR: 2
; COMPUTE_PGM_RSRC2:TRAP_HANDLER: 0
; COMPUTE_PGM_RSRC2:TGID_X_EN: 1
; COMPUTE_PGM_RSRC2:TGID_Y_EN: 0
; COMPUTE_PGM_RSRC2:TGID_Z_EN: 0
; COMPUTE_PGM_RSRC2:TIDIG_COMP_CNT: 0
; COMPUTE_PGM_RSRC3_GFX90A:ACCUM_OFFSET: 0
; COMPUTE_PGM_RSRC3_GFX90A:TG_SPLIT: 0
	.section	.text._ZN7rocprim17ROCPRIM_400000_NS6detail17trampoline_kernelINS0_14default_configENS1_27scan_by_key_config_selectorIiiEEZZNS1_16scan_by_key_implILNS1_25lookback_scan_determinismE0ELb0ES3_N6thrust23THRUST_200600_302600_NS6detail15normal_iteratorINS9_10device_ptrIiEEEENS9_18transform_iteratorINS9_6negateIiEESE_NS9_11use_defaultESI_EESE_iNS9_4plusIvEENS9_8equal_toIvEEiEE10hipError_tPvRmT2_T3_T4_T5_mT6_T7_P12ihipStream_tbENKUlT_T0_E_clISt17integral_constantIbLb1EES13_IbLb0EEEEDaSZ_S10_EUlSZ_E_NS1_11comp_targetILNS1_3genE9ELNS1_11target_archE1100ELNS1_3gpuE3ELNS1_3repE0EEENS1_30default_config_static_selectorELNS0_4arch9wavefront6targetE1EEEvT1_,"axG",@progbits,_ZN7rocprim17ROCPRIM_400000_NS6detail17trampoline_kernelINS0_14default_configENS1_27scan_by_key_config_selectorIiiEEZZNS1_16scan_by_key_implILNS1_25lookback_scan_determinismE0ELb0ES3_N6thrust23THRUST_200600_302600_NS6detail15normal_iteratorINS9_10device_ptrIiEEEENS9_18transform_iteratorINS9_6negateIiEESE_NS9_11use_defaultESI_EESE_iNS9_4plusIvEENS9_8equal_toIvEEiEE10hipError_tPvRmT2_T3_T4_T5_mT6_T7_P12ihipStream_tbENKUlT_T0_E_clISt17integral_constantIbLb1EES13_IbLb0EEEEDaSZ_S10_EUlSZ_E_NS1_11comp_targetILNS1_3genE9ELNS1_11target_archE1100ELNS1_3gpuE3ELNS1_3repE0EEENS1_30default_config_static_selectorELNS0_4arch9wavefront6targetE1EEEvT1_,comdat
	.protected	_ZN7rocprim17ROCPRIM_400000_NS6detail17trampoline_kernelINS0_14default_configENS1_27scan_by_key_config_selectorIiiEEZZNS1_16scan_by_key_implILNS1_25lookback_scan_determinismE0ELb0ES3_N6thrust23THRUST_200600_302600_NS6detail15normal_iteratorINS9_10device_ptrIiEEEENS9_18transform_iteratorINS9_6negateIiEESE_NS9_11use_defaultESI_EESE_iNS9_4plusIvEENS9_8equal_toIvEEiEE10hipError_tPvRmT2_T3_T4_T5_mT6_T7_P12ihipStream_tbENKUlT_T0_E_clISt17integral_constantIbLb1EES13_IbLb0EEEEDaSZ_S10_EUlSZ_E_NS1_11comp_targetILNS1_3genE9ELNS1_11target_archE1100ELNS1_3gpuE3ELNS1_3repE0EEENS1_30default_config_static_selectorELNS0_4arch9wavefront6targetE1EEEvT1_ ; -- Begin function _ZN7rocprim17ROCPRIM_400000_NS6detail17trampoline_kernelINS0_14default_configENS1_27scan_by_key_config_selectorIiiEEZZNS1_16scan_by_key_implILNS1_25lookback_scan_determinismE0ELb0ES3_N6thrust23THRUST_200600_302600_NS6detail15normal_iteratorINS9_10device_ptrIiEEEENS9_18transform_iteratorINS9_6negateIiEESE_NS9_11use_defaultESI_EESE_iNS9_4plusIvEENS9_8equal_toIvEEiEE10hipError_tPvRmT2_T3_T4_T5_mT6_T7_P12ihipStream_tbENKUlT_T0_E_clISt17integral_constantIbLb1EES13_IbLb0EEEEDaSZ_S10_EUlSZ_E_NS1_11comp_targetILNS1_3genE9ELNS1_11target_archE1100ELNS1_3gpuE3ELNS1_3repE0EEENS1_30default_config_static_selectorELNS0_4arch9wavefront6targetE1EEEvT1_
	.globl	_ZN7rocprim17ROCPRIM_400000_NS6detail17trampoline_kernelINS0_14default_configENS1_27scan_by_key_config_selectorIiiEEZZNS1_16scan_by_key_implILNS1_25lookback_scan_determinismE0ELb0ES3_N6thrust23THRUST_200600_302600_NS6detail15normal_iteratorINS9_10device_ptrIiEEEENS9_18transform_iteratorINS9_6negateIiEESE_NS9_11use_defaultESI_EESE_iNS9_4plusIvEENS9_8equal_toIvEEiEE10hipError_tPvRmT2_T3_T4_T5_mT6_T7_P12ihipStream_tbENKUlT_T0_E_clISt17integral_constantIbLb1EES13_IbLb0EEEEDaSZ_S10_EUlSZ_E_NS1_11comp_targetILNS1_3genE9ELNS1_11target_archE1100ELNS1_3gpuE3ELNS1_3repE0EEENS1_30default_config_static_selectorELNS0_4arch9wavefront6targetE1EEEvT1_
	.p2align	8
	.type	_ZN7rocprim17ROCPRIM_400000_NS6detail17trampoline_kernelINS0_14default_configENS1_27scan_by_key_config_selectorIiiEEZZNS1_16scan_by_key_implILNS1_25lookback_scan_determinismE0ELb0ES3_N6thrust23THRUST_200600_302600_NS6detail15normal_iteratorINS9_10device_ptrIiEEEENS9_18transform_iteratorINS9_6negateIiEESE_NS9_11use_defaultESI_EESE_iNS9_4plusIvEENS9_8equal_toIvEEiEE10hipError_tPvRmT2_T3_T4_T5_mT6_T7_P12ihipStream_tbENKUlT_T0_E_clISt17integral_constantIbLb1EES13_IbLb0EEEEDaSZ_S10_EUlSZ_E_NS1_11comp_targetILNS1_3genE9ELNS1_11target_archE1100ELNS1_3gpuE3ELNS1_3repE0EEENS1_30default_config_static_selectorELNS0_4arch9wavefront6targetE1EEEvT1_,@function
_ZN7rocprim17ROCPRIM_400000_NS6detail17trampoline_kernelINS0_14default_configENS1_27scan_by_key_config_selectorIiiEEZZNS1_16scan_by_key_implILNS1_25lookback_scan_determinismE0ELb0ES3_N6thrust23THRUST_200600_302600_NS6detail15normal_iteratorINS9_10device_ptrIiEEEENS9_18transform_iteratorINS9_6negateIiEESE_NS9_11use_defaultESI_EESE_iNS9_4plusIvEENS9_8equal_toIvEEiEE10hipError_tPvRmT2_T3_T4_T5_mT6_T7_P12ihipStream_tbENKUlT_T0_E_clISt17integral_constantIbLb1EES13_IbLb0EEEEDaSZ_S10_EUlSZ_E_NS1_11comp_targetILNS1_3genE9ELNS1_11target_archE1100ELNS1_3gpuE3ELNS1_3repE0EEENS1_30default_config_static_selectorELNS0_4arch9wavefront6targetE1EEEvT1_: ; @_ZN7rocprim17ROCPRIM_400000_NS6detail17trampoline_kernelINS0_14default_configENS1_27scan_by_key_config_selectorIiiEEZZNS1_16scan_by_key_implILNS1_25lookback_scan_determinismE0ELb0ES3_N6thrust23THRUST_200600_302600_NS6detail15normal_iteratorINS9_10device_ptrIiEEEENS9_18transform_iteratorINS9_6negateIiEESE_NS9_11use_defaultESI_EESE_iNS9_4plusIvEENS9_8equal_toIvEEiEE10hipError_tPvRmT2_T3_T4_T5_mT6_T7_P12ihipStream_tbENKUlT_T0_E_clISt17integral_constantIbLb1EES13_IbLb0EEEEDaSZ_S10_EUlSZ_E_NS1_11comp_targetILNS1_3genE9ELNS1_11target_archE1100ELNS1_3gpuE3ELNS1_3repE0EEENS1_30default_config_static_selectorELNS0_4arch9wavefront6targetE1EEEvT1_
; %bb.0:
	.section	.rodata,"a",@progbits
	.p2align	6, 0x0
	.amdhsa_kernel _ZN7rocprim17ROCPRIM_400000_NS6detail17trampoline_kernelINS0_14default_configENS1_27scan_by_key_config_selectorIiiEEZZNS1_16scan_by_key_implILNS1_25lookback_scan_determinismE0ELb0ES3_N6thrust23THRUST_200600_302600_NS6detail15normal_iteratorINS9_10device_ptrIiEEEENS9_18transform_iteratorINS9_6negateIiEESE_NS9_11use_defaultESI_EESE_iNS9_4plusIvEENS9_8equal_toIvEEiEE10hipError_tPvRmT2_T3_T4_T5_mT6_T7_P12ihipStream_tbENKUlT_T0_E_clISt17integral_constantIbLb1EES13_IbLb0EEEEDaSZ_S10_EUlSZ_E_NS1_11comp_targetILNS1_3genE9ELNS1_11target_archE1100ELNS1_3gpuE3ELNS1_3repE0EEENS1_30default_config_static_selectorELNS0_4arch9wavefront6targetE1EEEvT1_
		.amdhsa_group_segment_fixed_size 0
		.amdhsa_private_segment_fixed_size 0
		.amdhsa_kernarg_size 120
		.amdhsa_user_sgpr_count 2
		.amdhsa_user_sgpr_dispatch_ptr 0
		.amdhsa_user_sgpr_queue_ptr 0
		.amdhsa_user_sgpr_kernarg_segment_ptr 1
		.amdhsa_user_sgpr_dispatch_id 0
		.amdhsa_user_sgpr_kernarg_preload_length 0
		.amdhsa_user_sgpr_kernarg_preload_offset 0
		.amdhsa_user_sgpr_private_segment_size 0
		.amdhsa_uses_dynamic_stack 0
		.amdhsa_enable_private_segment 0
		.amdhsa_system_sgpr_workgroup_id_x 1
		.amdhsa_system_sgpr_workgroup_id_y 0
		.amdhsa_system_sgpr_workgroup_id_z 0
		.amdhsa_system_sgpr_workgroup_info 0
		.amdhsa_system_vgpr_workitem_id 0
		.amdhsa_next_free_vgpr 1
		.amdhsa_next_free_sgpr 0
		.amdhsa_accum_offset 4
		.amdhsa_reserve_vcc 0
		.amdhsa_float_round_mode_32 0
		.amdhsa_float_round_mode_16_64 0
		.amdhsa_float_denorm_mode_32 3
		.amdhsa_float_denorm_mode_16_64 3
		.amdhsa_dx10_clamp 1
		.amdhsa_ieee_mode 1
		.amdhsa_fp16_overflow 0
		.amdhsa_tg_split 0
		.amdhsa_exception_fp_ieee_invalid_op 0
		.amdhsa_exception_fp_denorm_src 0
		.amdhsa_exception_fp_ieee_div_zero 0
		.amdhsa_exception_fp_ieee_overflow 0
		.amdhsa_exception_fp_ieee_underflow 0
		.amdhsa_exception_fp_ieee_inexact 0
		.amdhsa_exception_int_div_zero 0
	.end_amdhsa_kernel
	.section	.text._ZN7rocprim17ROCPRIM_400000_NS6detail17trampoline_kernelINS0_14default_configENS1_27scan_by_key_config_selectorIiiEEZZNS1_16scan_by_key_implILNS1_25lookback_scan_determinismE0ELb0ES3_N6thrust23THRUST_200600_302600_NS6detail15normal_iteratorINS9_10device_ptrIiEEEENS9_18transform_iteratorINS9_6negateIiEESE_NS9_11use_defaultESI_EESE_iNS9_4plusIvEENS9_8equal_toIvEEiEE10hipError_tPvRmT2_T3_T4_T5_mT6_T7_P12ihipStream_tbENKUlT_T0_E_clISt17integral_constantIbLb1EES13_IbLb0EEEEDaSZ_S10_EUlSZ_E_NS1_11comp_targetILNS1_3genE9ELNS1_11target_archE1100ELNS1_3gpuE3ELNS1_3repE0EEENS1_30default_config_static_selectorELNS0_4arch9wavefront6targetE1EEEvT1_,"axG",@progbits,_ZN7rocprim17ROCPRIM_400000_NS6detail17trampoline_kernelINS0_14default_configENS1_27scan_by_key_config_selectorIiiEEZZNS1_16scan_by_key_implILNS1_25lookback_scan_determinismE0ELb0ES3_N6thrust23THRUST_200600_302600_NS6detail15normal_iteratorINS9_10device_ptrIiEEEENS9_18transform_iteratorINS9_6negateIiEESE_NS9_11use_defaultESI_EESE_iNS9_4plusIvEENS9_8equal_toIvEEiEE10hipError_tPvRmT2_T3_T4_T5_mT6_T7_P12ihipStream_tbENKUlT_T0_E_clISt17integral_constantIbLb1EES13_IbLb0EEEEDaSZ_S10_EUlSZ_E_NS1_11comp_targetILNS1_3genE9ELNS1_11target_archE1100ELNS1_3gpuE3ELNS1_3repE0EEENS1_30default_config_static_selectorELNS0_4arch9wavefront6targetE1EEEvT1_,comdat
.Lfunc_end954:
	.size	_ZN7rocprim17ROCPRIM_400000_NS6detail17trampoline_kernelINS0_14default_configENS1_27scan_by_key_config_selectorIiiEEZZNS1_16scan_by_key_implILNS1_25lookback_scan_determinismE0ELb0ES3_N6thrust23THRUST_200600_302600_NS6detail15normal_iteratorINS9_10device_ptrIiEEEENS9_18transform_iteratorINS9_6negateIiEESE_NS9_11use_defaultESI_EESE_iNS9_4plusIvEENS9_8equal_toIvEEiEE10hipError_tPvRmT2_T3_T4_T5_mT6_T7_P12ihipStream_tbENKUlT_T0_E_clISt17integral_constantIbLb1EES13_IbLb0EEEEDaSZ_S10_EUlSZ_E_NS1_11comp_targetILNS1_3genE9ELNS1_11target_archE1100ELNS1_3gpuE3ELNS1_3repE0EEENS1_30default_config_static_selectorELNS0_4arch9wavefront6targetE1EEEvT1_, .Lfunc_end954-_ZN7rocprim17ROCPRIM_400000_NS6detail17trampoline_kernelINS0_14default_configENS1_27scan_by_key_config_selectorIiiEEZZNS1_16scan_by_key_implILNS1_25lookback_scan_determinismE0ELb0ES3_N6thrust23THRUST_200600_302600_NS6detail15normal_iteratorINS9_10device_ptrIiEEEENS9_18transform_iteratorINS9_6negateIiEESE_NS9_11use_defaultESI_EESE_iNS9_4plusIvEENS9_8equal_toIvEEiEE10hipError_tPvRmT2_T3_T4_T5_mT6_T7_P12ihipStream_tbENKUlT_T0_E_clISt17integral_constantIbLb1EES13_IbLb0EEEEDaSZ_S10_EUlSZ_E_NS1_11comp_targetILNS1_3genE9ELNS1_11target_archE1100ELNS1_3gpuE3ELNS1_3repE0EEENS1_30default_config_static_selectorELNS0_4arch9wavefront6targetE1EEEvT1_
                                        ; -- End function
	.section	.AMDGPU.csdata,"",@progbits
; Kernel info:
; codeLenInByte = 0
; NumSgprs: 6
; NumVgprs: 0
; NumAgprs: 0
; TotalNumVgprs: 0
; ScratchSize: 0
; MemoryBound: 0
; FloatMode: 240
; IeeeMode: 1
; LDSByteSize: 0 bytes/workgroup (compile time only)
; SGPRBlocks: 0
; VGPRBlocks: 0
; NumSGPRsForWavesPerEU: 6
; NumVGPRsForWavesPerEU: 1
; AccumOffset: 4
; Occupancy: 8
; WaveLimiterHint : 0
; COMPUTE_PGM_RSRC2:SCRATCH_EN: 0
; COMPUTE_PGM_RSRC2:USER_SGPR: 2
; COMPUTE_PGM_RSRC2:TRAP_HANDLER: 0
; COMPUTE_PGM_RSRC2:TGID_X_EN: 1
; COMPUTE_PGM_RSRC2:TGID_Y_EN: 0
; COMPUTE_PGM_RSRC2:TGID_Z_EN: 0
; COMPUTE_PGM_RSRC2:TIDIG_COMP_CNT: 0
; COMPUTE_PGM_RSRC3_GFX90A:ACCUM_OFFSET: 0
; COMPUTE_PGM_RSRC3_GFX90A:TG_SPLIT: 0
	.section	.text._ZN7rocprim17ROCPRIM_400000_NS6detail17trampoline_kernelINS0_14default_configENS1_27scan_by_key_config_selectorIiiEEZZNS1_16scan_by_key_implILNS1_25lookback_scan_determinismE0ELb0ES3_N6thrust23THRUST_200600_302600_NS6detail15normal_iteratorINS9_10device_ptrIiEEEENS9_18transform_iteratorINS9_6negateIiEESE_NS9_11use_defaultESI_EESE_iNS9_4plusIvEENS9_8equal_toIvEEiEE10hipError_tPvRmT2_T3_T4_T5_mT6_T7_P12ihipStream_tbENKUlT_T0_E_clISt17integral_constantIbLb1EES13_IbLb0EEEEDaSZ_S10_EUlSZ_E_NS1_11comp_targetILNS1_3genE8ELNS1_11target_archE1030ELNS1_3gpuE2ELNS1_3repE0EEENS1_30default_config_static_selectorELNS0_4arch9wavefront6targetE1EEEvT1_,"axG",@progbits,_ZN7rocprim17ROCPRIM_400000_NS6detail17trampoline_kernelINS0_14default_configENS1_27scan_by_key_config_selectorIiiEEZZNS1_16scan_by_key_implILNS1_25lookback_scan_determinismE0ELb0ES3_N6thrust23THRUST_200600_302600_NS6detail15normal_iteratorINS9_10device_ptrIiEEEENS9_18transform_iteratorINS9_6negateIiEESE_NS9_11use_defaultESI_EESE_iNS9_4plusIvEENS9_8equal_toIvEEiEE10hipError_tPvRmT2_T3_T4_T5_mT6_T7_P12ihipStream_tbENKUlT_T0_E_clISt17integral_constantIbLb1EES13_IbLb0EEEEDaSZ_S10_EUlSZ_E_NS1_11comp_targetILNS1_3genE8ELNS1_11target_archE1030ELNS1_3gpuE2ELNS1_3repE0EEENS1_30default_config_static_selectorELNS0_4arch9wavefront6targetE1EEEvT1_,comdat
	.protected	_ZN7rocprim17ROCPRIM_400000_NS6detail17trampoline_kernelINS0_14default_configENS1_27scan_by_key_config_selectorIiiEEZZNS1_16scan_by_key_implILNS1_25lookback_scan_determinismE0ELb0ES3_N6thrust23THRUST_200600_302600_NS6detail15normal_iteratorINS9_10device_ptrIiEEEENS9_18transform_iteratorINS9_6negateIiEESE_NS9_11use_defaultESI_EESE_iNS9_4plusIvEENS9_8equal_toIvEEiEE10hipError_tPvRmT2_T3_T4_T5_mT6_T7_P12ihipStream_tbENKUlT_T0_E_clISt17integral_constantIbLb1EES13_IbLb0EEEEDaSZ_S10_EUlSZ_E_NS1_11comp_targetILNS1_3genE8ELNS1_11target_archE1030ELNS1_3gpuE2ELNS1_3repE0EEENS1_30default_config_static_selectorELNS0_4arch9wavefront6targetE1EEEvT1_ ; -- Begin function _ZN7rocprim17ROCPRIM_400000_NS6detail17trampoline_kernelINS0_14default_configENS1_27scan_by_key_config_selectorIiiEEZZNS1_16scan_by_key_implILNS1_25lookback_scan_determinismE0ELb0ES3_N6thrust23THRUST_200600_302600_NS6detail15normal_iteratorINS9_10device_ptrIiEEEENS9_18transform_iteratorINS9_6negateIiEESE_NS9_11use_defaultESI_EESE_iNS9_4plusIvEENS9_8equal_toIvEEiEE10hipError_tPvRmT2_T3_T4_T5_mT6_T7_P12ihipStream_tbENKUlT_T0_E_clISt17integral_constantIbLb1EES13_IbLb0EEEEDaSZ_S10_EUlSZ_E_NS1_11comp_targetILNS1_3genE8ELNS1_11target_archE1030ELNS1_3gpuE2ELNS1_3repE0EEENS1_30default_config_static_selectorELNS0_4arch9wavefront6targetE1EEEvT1_
	.globl	_ZN7rocprim17ROCPRIM_400000_NS6detail17trampoline_kernelINS0_14default_configENS1_27scan_by_key_config_selectorIiiEEZZNS1_16scan_by_key_implILNS1_25lookback_scan_determinismE0ELb0ES3_N6thrust23THRUST_200600_302600_NS6detail15normal_iteratorINS9_10device_ptrIiEEEENS9_18transform_iteratorINS9_6negateIiEESE_NS9_11use_defaultESI_EESE_iNS9_4plusIvEENS9_8equal_toIvEEiEE10hipError_tPvRmT2_T3_T4_T5_mT6_T7_P12ihipStream_tbENKUlT_T0_E_clISt17integral_constantIbLb1EES13_IbLb0EEEEDaSZ_S10_EUlSZ_E_NS1_11comp_targetILNS1_3genE8ELNS1_11target_archE1030ELNS1_3gpuE2ELNS1_3repE0EEENS1_30default_config_static_selectorELNS0_4arch9wavefront6targetE1EEEvT1_
	.p2align	8
	.type	_ZN7rocprim17ROCPRIM_400000_NS6detail17trampoline_kernelINS0_14default_configENS1_27scan_by_key_config_selectorIiiEEZZNS1_16scan_by_key_implILNS1_25lookback_scan_determinismE0ELb0ES3_N6thrust23THRUST_200600_302600_NS6detail15normal_iteratorINS9_10device_ptrIiEEEENS9_18transform_iteratorINS9_6negateIiEESE_NS9_11use_defaultESI_EESE_iNS9_4plusIvEENS9_8equal_toIvEEiEE10hipError_tPvRmT2_T3_T4_T5_mT6_T7_P12ihipStream_tbENKUlT_T0_E_clISt17integral_constantIbLb1EES13_IbLb0EEEEDaSZ_S10_EUlSZ_E_NS1_11comp_targetILNS1_3genE8ELNS1_11target_archE1030ELNS1_3gpuE2ELNS1_3repE0EEENS1_30default_config_static_selectorELNS0_4arch9wavefront6targetE1EEEvT1_,@function
_ZN7rocprim17ROCPRIM_400000_NS6detail17trampoline_kernelINS0_14default_configENS1_27scan_by_key_config_selectorIiiEEZZNS1_16scan_by_key_implILNS1_25lookback_scan_determinismE0ELb0ES3_N6thrust23THRUST_200600_302600_NS6detail15normal_iteratorINS9_10device_ptrIiEEEENS9_18transform_iteratorINS9_6negateIiEESE_NS9_11use_defaultESI_EESE_iNS9_4plusIvEENS9_8equal_toIvEEiEE10hipError_tPvRmT2_T3_T4_T5_mT6_T7_P12ihipStream_tbENKUlT_T0_E_clISt17integral_constantIbLb1EES13_IbLb0EEEEDaSZ_S10_EUlSZ_E_NS1_11comp_targetILNS1_3genE8ELNS1_11target_archE1030ELNS1_3gpuE2ELNS1_3repE0EEENS1_30default_config_static_selectorELNS0_4arch9wavefront6targetE1EEEvT1_: ; @_ZN7rocprim17ROCPRIM_400000_NS6detail17trampoline_kernelINS0_14default_configENS1_27scan_by_key_config_selectorIiiEEZZNS1_16scan_by_key_implILNS1_25lookback_scan_determinismE0ELb0ES3_N6thrust23THRUST_200600_302600_NS6detail15normal_iteratorINS9_10device_ptrIiEEEENS9_18transform_iteratorINS9_6negateIiEESE_NS9_11use_defaultESI_EESE_iNS9_4plusIvEENS9_8equal_toIvEEiEE10hipError_tPvRmT2_T3_T4_T5_mT6_T7_P12ihipStream_tbENKUlT_T0_E_clISt17integral_constantIbLb1EES13_IbLb0EEEEDaSZ_S10_EUlSZ_E_NS1_11comp_targetILNS1_3genE8ELNS1_11target_archE1030ELNS1_3gpuE2ELNS1_3repE0EEENS1_30default_config_static_selectorELNS0_4arch9wavefront6targetE1EEEvT1_
; %bb.0:
	.section	.rodata,"a",@progbits
	.p2align	6, 0x0
	.amdhsa_kernel _ZN7rocprim17ROCPRIM_400000_NS6detail17trampoline_kernelINS0_14default_configENS1_27scan_by_key_config_selectorIiiEEZZNS1_16scan_by_key_implILNS1_25lookback_scan_determinismE0ELb0ES3_N6thrust23THRUST_200600_302600_NS6detail15normal_iteratorINS9_10device_ptrIiEEEENS9_18transform_iteratorINS9_6negateIiEESE_NS9_11use_defaultESI_EESE_iNS9_4plusIvEENS9_8equal_toIvEEiEE10hipError_tPvRmT2_T3_T4_T5_mT6_T7_P12ihipStream_tbENKUlT_T0_E_clISt17integral_constantIbLb1EES13_IbLb0EEEEDaSZ_S10_EUlSZ_E_NS1_11comp_targetILNS1_3genE8ELNS1_11target_archE1030ELNS1_3gpuE2ELNS1_3repE0EEENS1_30default_config_static_selectorELNS0_4arch9wavefront6targetE1EEEvT1_
		.amdhsa_group_segment_fixed_size 0
		.amdhsa_private_segment_fixed_size 0
		.amdhsa_kernarg_size 120
		.amdhsa_user_sgpr_count 2
		.amdhsa_user_sgpr_dispatch_ptr 0
		.amdhsa_user_sgpr_queue_ptr 0
		.amdhsa_user_sgpr_kernarg_segment_ptr 1
		.amdhsa_user_sgpr_dispatch_id 0
		.amdhsa_user_sgpr_kernarg_preload_length 0
		.amdhsa_user_sgpr_kernarg_preload_offset 0
		.amdhsa_user_sgpr_private_segment_size 0
		.amdhsa_uses_dynamic_stack 0
		.amdhsa_enable_private_segment 0
		.amdhsa_system_sgpr_workgroup_id_x 1
		.amdhsa_system_sgpr_workgroup_id_y 0
		.amdhsa_system_sgpr_workgroup_id_z 0
		.amdhsa_system_sgpr_workgroup_info 0
		.amdhsa_system_vgpr_workitem_id 0
		.amdhsa_next_free_vgpr 1
		.amdhsa_next_free_sgpr 0
		.amdhsa_accum_offset 4
		.amdhsa_reserve_vcc 0
		.amdhsa_float_round_mode_32 0
		.amdhsa_float_round_mode_16_64 0
		.amdhsa_float_denorm_mode_32 3
		.amdhsa_float_denorm_mode_16_64 3
		.amdhsa_dx10_clamp 1
		.amdhsa_ieee_mode 1
		.amdhsa_fp16_overflow 0
		.amdhsa_tg_split 0
		.amdhsa_exception_fp_ieee_invalid_op 0
		.amdhsa_exception_fp_denorm_src 0
		.amdhsa_exception_fp_ieee_div_zero 0
		.amdhsa_exception_fp_ieee_overflow 0
		.amdhsa_exception_fp_ieee_underflow 0
		.amdhsa_exception_fp_ieee_inexact 0
		.amdhsa_exception_int_div_zero 0
	.end_amdhsa_kernel
	.section	.text._ZN7rocprim17ROCPRIM_400000_NS6detail17trampoline_kernelINS0_14default_configENS1_27scan_by_key_config_selectorIiiEEZZNS1_16scan_by_key_implILNS1_25lookback_scan_determinismE0ELb0ES3_N6thrust23THRUST_200600_302600_NS6detail15normal_iteratorINS9_10device_ptrIiEEEENS9_18transform_iteratorINS9_6negateIiEESE_NS9_11use_defaultESI_EESE_iNS9_4plusIvEENS9_8equal_toIvEEiEE10hipError_tPvRmT2_T3_T4_T5_mT6_T7_P12ihipStream_tbENKUlT_T0_E_clISt17integral_constantIbLb1EES13_IbLb0EEEEDaSZ_S10_EUlSZ_E_NS1_11comp_targetILNS1_3genE8ELNS1_11target_archE1030ELNS1_3gpuE2ELNS1_3repE0EEENS1_30default_config_static_selectorELNS0_4arch9wavefront6targetE1EEEvT1_,"axG",@progbits,_ZN7rocprim17ROCPRIM_400000_NS6detail17trampoline_kernelINS0_14default_configENS1_27scan_by_key_config_selectorIiiEEZZNS1_16scan_by_key_implILNS1_25lookback_scan_determinismE0ELb0ES3_N6thrust23THRUST_200600_302600_NS6detail15normal_iteratorINS9_10device_ptrIiEEEENS9_18transform_iteratorINS9_6negateIiEESE_NS9_11use_defaultESI_EESE_iNS9_4plusIvEENS9_8equal_toIvEEiEE10hipError_tPvRmT2_T3_T4_T5_mT6_T7_P12ihipStream_tbENKUlT_T0_E_clISt17integral_constantIbLb1EES13_IbLb0EEEEDaSZ_S10_EUlSZ_E_NS1_11comp_targetILNS1_3genE8ELNS1_11target_archE1030ELNS1_3gpuE2ELNS1_3repE0EEENS1_30default_config_static_selectorELNS0_4arch9wavefront6targetE1EEEvT1_,comdat
.Lfunc_end955:
	.size	_ZN7rocprim17ROCPRIM_400000_NS6detail17trampoline_kernelINS0_14default_configENS1_27scan_by_key_config_selectorIiiEEZZNS1_16scan_by_key_implILNS1_25lookback_scan_determinismE0ELb0ES3_N6thrust23THRUST_200600_302600_NS6detail15normal_iteratorINS9_10device_ptrIiEEEENS9_18transform_iteratorINS9_6negateIiEESE_NS9_11use_defaultESI_EESE_iNS9_4plusIvEENS9_8equal_toIvEEiEE10hipError_tPvRmT2_T3_T4_T5_mT6_T7_P12ihipStream_tbENKUlT_T0_E_clISt17integral_constantIbLb1EES13_IbLb0EEEEDaSZ_S10_EUlSZ_E_NS1_11comp_targetILNS1_3genE8ELNS1_11target_archE1030ELNS1_3gpuE2ELNS1_3repE0EEENS1_30default_config_static_selectorELNS0_4arch9wavefront6targetE1EEEvT1_, .Lfunc_end955-_ZN7rocprim17ROCPRIM_400000_NS6detail17trampoline_kernelINS0_14default_configENS1_27scan_by_key_config_selectorIiiEEZZNS1_16scan_by_key_implILNS1_25lookback_scan_determinismE0ELb0ES3_N6thrust23THRUST_200600_302600_NS6detail15normal_iteratorINS9_10device_ptrIiEEEENS9_18transform_iteratorINS9_6negateIiEESE_NS9_11use_defaultESI_EESE_iNS9_4plusIvEENS9_8equal_toIvEEiEE10hipError_tPvRmT2_T3_T4_T5_mT6_T7_P12ihipStream_tbENKUlT_T0_E_clISt17integral_constantIbLb1EES13_IbLb0EEEEDaSZ_S10_EUlSZ_E_NS1_11comp_targetILNS1_3genE8ELNS1_11target_archE1030ELNS1_3gpuE2ELNS1_3repE0EEENS1_30default_config_static_selectorELNS0_4arch9wavefront6targetE1EEEvT1_
                                        ; -- End function
	.section	.AMDGPU.csdata,"",@progbits
; Kernel info:
; codeLenInByte = 0
; NumSgprs: 6
; NumVgprs: 0
; NumAgprs: 0
; TotalNumVgprs: 0
; ScratchSize: 0
; MemoryBound: 0
; FloatMode: 240
; IeeeMode: 1
; LDSByteSize: 0 bytes/workgroup (compile time only)
; SGPRBlocks: 0
; VGPRBlocks: 0
; NumSGPRsForWavesPerEU: 6
; NumVGPRsForWavesPerEU: 1
; AccumOffset: 4
; Occupancy: 8
; WaveLimiterHint : 0
; COMPUTE_PGM_RSRC2:SCRATCH_EN: 0
; COMPUTE_PGM_RSRC2:USER_SGPR: 2
; COMPUTE_PGM_RSRC2:TRAP_HANDLER: 0
; COMPUTE_PGM_RSRC2:TGID_X_EN: 1
; COMPUTE_PGM_RSRC2:TGID_Y_EN: 0
; COMPUTE_PGM_RSRC2:TGID_Z_EN: 0
; COMPUTE_PGM_RSRC2:TIDIG_COMP_CNT: 0
; COMPUTE_PGM_RSRC3_GFX90A:ACCUM_OFFSET: 0
; COMPUTE_PGM_RSRC3_GFX90A:TG_SPLIT: 0
	.section	.text._ZN7rocprim17ROCPRIM_400000_NS6detail17trampoline_kernelINS0_14default_configENS1_27scan_by_key_config_selectorIiiEEZZNS1_16scan_by_key_implILNS1_25lookback_scan_determinismE0ELb0ES3_N6thrust23THRUST_200600_302600_NS6detail15normal_iteratorINS9_10device_ptrIiEEEENS9_18transform_iteratorINS9_6negateIiEESE_NS9_11use_defaultESI_EESE_iNS9_4plusIvEENS9_8equal_toIvEEiEE10hipError_tPvRmT2_T3_T4_T5_mT6_T7_P12ihipStream_tbENKUlT_T0_E_clISt17integral_constantIbLb0EES13_IbLb1EEEEDaSZ_S10_EUlSZ_E_NS1_11comp_targetILNS1_3genE0ELNS1_11target_archE4294967295ELNS1_3gpuE0ELNS1_3repE0EEENS1_30default_config_static_selectorELNS0_4arch9wavefront6targetE1EEEvT1_,"axG",@progbits,_ZN7rocprim17ROCPRIM_400000_NS6detail17trampoline_kernelINS0_14default_configENS1_27scan_by_key_config_selectorIiiEEZZNS1_16scan_by_key_implILNS1_25lookback_scan_determinismE0ELb0ES3_N6thrust23THRUST_200600_302600_NS6detail15normal_iteratorINS9_10device_ptrIiEEEENS9_18transform_iteratorINS9_6negateIiEESE_NS9_11use_defaultESI_EESE_iNS9_4plusIvEENS9_8equal_toIvEEiEE10hipError_tPvRmT2_T3_T4_T5_mT6_T7_P12ihipStream_tbENKUlT_T0_E_clISt17integral_constantIbLb0EES13_IbLb1EEEEDaSZ_S10_EUlSZ_E_NS1_11comp_targetILNS1_3genE0ELNS1_11target_archE4294967295ELNS1_3gpuE0ELNS1_3repE0EEENS1_30default_config_static_selectorELNS0_4arch9wavefront6targetE1EEEvT1_,comdat
	.protected	_ZN7rocprim17ROCPRIM_400000_NS6detail17trampoline_kernelINS0_14default_configENS1_27scan_by_key_config_selectorIiiEEZZNS1_16scan_by_key_implILNS1_25lookback_scan_determinismE0ELb0ES3_N6thrust23THRUST_200600_302600_NS6detail15normal_iteratorINS9_10device_ptrIiEEEENS9_18transform_iteratorINS9_6negateIiEESE_NS9_11use_defaultESI_EESE_iNS9_4plusIvEENS9_8equal_toIvEEiEE10hipError_tPvRmT2_T3_T4_T5_mT6_T7_P12ihipStream_tbENKUlT_T0_E_clISt17integral_constantIbLb0EES13_IbLb1EEEEDaSZ_S10_EUlSZ_E_NS1_11comp_targetILNS1_3genE0ELNS1_11target_archE4294967295ELNS1_3gpuE0ELNS1_3repE0EEENS1_30default_config_static_selectorELNS0_4arch9wavefront6targetE1EEEvT1_ ; -- Begin function _ZN7rocprim17ROCPRIM_400000_NS6detail17trampoline_kernelINS0_14default_configENS1_27scan_by_key_config_selectorIiiEEZZNS1_16scan_by_key_implILNS1_25lookback_scan_determinismE0ELb0ES3_N6thrust23THRUST_200600_302600_NS6detail15normal_iteratorINS9_10device_ptrIiEEEENS9_18transform_iteratorINS9_6negateIiEESE_NS9_11use_defaultESI_EESE_iNS9_4plusIvEENS9_8equal_toIvEEiEE10hipError_tPvRmT2_T3_T4_T5_mT6_T7_P12ihipStream_tbENKUlT_T0_E_clISt17integral_constantIbLb0EES13_IbLb1EEEEDaSZ_S10_EUlSZ_E_NS1_11comp_targetILNS1_3genE0ELNS1_11target_archE4294967295ELNS1_3gpuE0ELNS1_3repE0EEENS1_30default_config_static_selectorELNS0_4arch9wavefront6targetE1EEEvT1_
	.globl	_ZN7rocprim17ROCPRIM_400000_NS6detail17trampoline_kernelINS0_14default_configENS1_27scan_by_key_config_selectorIiiEEZZNS1_16scan_by_key_implILNS1_25lookback_scan_determinismE0ELb0ES3_N6thrust23THRUST_200600_302600_NS6detail15normal_iteratorINS9_10device_ptrIiEEEENS9_18transform_iteratorINS9_6negateIiEESE_NS9_11use_defaultESI_EESE_iNS9_4plusIvEENS9_8equal_toIvEEiEE10hipError_tPvRmT2_T3_T4_T5_mT6_T7_P12ihipStream_tbENKUlT_T0_E_clISt17integral_constantIbLb0EES13_IbLb1EEEEDaSZ_S10_EUlSZ_E_NS1_11comp_targetILNS1_3genE0ELNS1_11target_archE4294967295ELNS1_3gpuE0ELNS1_3repE0EEENS1_30default_config_static_selectorELNS0_4arch9wavefront6targetE1EEEvT1_
	.p2align	8
	.type	_ZN7rocprim17ROCPRIM_400000_NS6detail17trampoline_kernelINS0_14default_configENS1_27scan_by_key_config_selectorIiiEEZZNS1_16scan_by_key_implILNS1_25lookback_scan_determinismE0ELb0ES3_N6thrust23THRUST_200600_302600_NS6detail15normal_iteratorINS9_10device_ptrIiEEEENS9_18transform_iteratorINS9_6negateIiEESE_NS9_11use_defaultESI_EESE_iNS9_4plusIvEENS9_8equal_toIvEEiEE10hipError_tPvRmT2_T3_T4_T5_mT6_T7_P12ihipStream_tbENKUlT_T0_E_clISt17integral_constantIbLb0EES13_IbLb1EEEEDaSZ_S10_EUlSZ_E_NS1_11comp_targetILNS1_3genE0ELNS1_11target_archE4294967295ELNS1_3gpuE0ELNS1_3repE0EEENS1_30default_config_static_selectorELNS0_4arch9wavefront6targetE1EEEvT1_,@function
_ZN7rocprim17ROCPRIM_400000_NS6detail17trampoline_kernelINS0_14default_configENS1_27scan_by_key_config_selectorIiiEEZZNS1_16scan_by_key_implILNS1_25lookback_scan_determinismE0ELb0ES3_N6thrust23THRUST_200600_302600_NS6detail15normal_iteratorINS9_10device_ptrIiEEEENS9_18transform_iteratorINS9_6negateIiEESE_NS9_11use_defaultESI_EESE_iNS9_4plusIvEENS9_8equal_toIvEEiEE10hipError_tPvRmT2_T3_T4_T5_mT6_T7_P12ihipStream_tbENKUlT_T0_E_clISt17integral_constantIbLb0EES13_IbLb1EEEEDaSZ_S10_EUlSZ_E_NS1_11comp_targetILNS1_3genE0ELNS1_11target_archE4294967295ELNS1_3gpuE0ELNS1_3repE0EEENS1_30default_config_static_selectorELNS0_4arch9wavefront6targetE1EEEvT1_: ; @_ZN7rocprim17ROCPRIM_400000_NS6detail17trampoline_kernelINS0_14default_configENS1_27scan_by_key_config_selectorIiiEEZZNS1_16scan_by_key_implILNS1_25lookback_scan_determinismE0ELb0ES3_N6thrust23THRUST_200600_302600_NS6detail15normal_iteratorINS9_10device_ptrIiEEEENS9_18transform_iteratorINS9_6negateIiEESE_NS9_11use_defaultESI_EESE_iNS9_4plusIvEENS9_8equal_toIvEEiEE10hipError_tPvRmT2_T3_T4_T5_mT6_T7_P12ihipStream_tbENKUlT_T0_E_clISt17integral_constantIbLb0EES13_IbLb1EEEEDaSZ_S10_EUlSZ_E_NS1_11comp_targetILNS1_3genE0ELNS1_11target_archE4294967295ELNS1_3gpuE0ELNS1_3repE0EEENS1_30default_config_static_selectorELNS0_4arch9wavefront6targetE1EEEvT1_
; %bb.0:
	.section	.rodata,"a",@progbits
	.p2align	6, 0x0
	.amdhsa_kernel _ZN7rocprim17ROCPRIM_400000_NS6detail17trampoline_kernelINS0_14default_configENS1_27scan_by_key_config_selectorIiiEEZZNS1_16scan_by_key_implILNS1_25lookback_scan_determinismE0ELb0ES3_N6thrust23THRUST_200600_302600_NS6detail15normal_iteratorINS9_10device_ptrIiEEEENS9_18transform_iteratorINS9_6negateIiEESE_NS9_11use_defaultESI_EESE_iNS9_4plusIvEENS9_8equal_toIvEEiEE10hipError_tPvRmT2_T3_T4_T5_mT6_T7_P12ihipStream_tbENKUlT_T0_E_clISt17integral_constantIbLb0EES13_IbLb1EEEEDaSZ_S10_EUlSZ_E_NS1_11comp_targetILNS1_3genE0ELNS1_11target_archE4294967295ELNS1_3gpuE0ELNS1_3repE0EEENS1_30default_config_static_selectorELNS0_4arch9wavefront6targetE1EEEvT1_
		.amdhsa_group_segment_fixed_size 0
		.amdhsa_private_segment_fixed_size 0
		.amdhsa_kernarg_size 120
		.amdhsa_user_sgpr_count 2
		.amdhsa_user_sgpr_dispatch_ptr 0
		.amdhsa_user_sgpr_queue_ptr 0
		.amdhsa_user_sgpr_kernarg_segment_ptr 1
		.amdhsa_user_sgpr_dispatch_id 0
		.amdhsa_user_sgpr_kernarg_preload_length 0
		.amdhsa_user_sgpr_kernarg_preload_offset 0
		.amdhsa_user_sgpr_private_segment_size 0
		.amdhsa_uses_dynamic_stack 0
		.amdhsa_enable_private_segment 0
		.amdhsa_system_sgpr_workgroup_id_x 1
		.amdhsa_system_sgpr_workgroup_id_y 0
		.amdhsa_system_sgpr_workgroup_id_z 0
		.amdhsa_system_sgpr_workgroup_info 0
		.amdhsa_system_vgpr_workitem_id 0
		.amdhsa_next_free_vgpr 1
		.amdhsa_next_free_sgpr 0
		.amdhsa_accum_offset 4
		.amdhsa_reserve_vcc 0
		.amdhsa_float_round_mode_32 0
		.amdhsa_float_round_mode_16_64 0
		.amdhsa_float_denorm_mode_32 3
		.amdhsa_float_denorm_mode_16_64 3
		.amdhsa_dx10_clamp 1
		.amdhsa_ieee_mode 1
		.amdhsa_fp16_overflow 0
		.amdhsa_tg_split 0
		.amdhsa_exception_fp_ieee_invalid_op 0
		.amdhsa_exception_fp_denorm_src 0
		.amdhsa_exception_fp_ieee_div_zero 0
		.amdhsa_exception_fp_ieee_overflow 0
		.amdhsa_exception_fp_ieee_underflow 0
		.amdhsa_exception_fp_ieee_inexact 0
		.amdhsa_exception_int_div_zero 0
	.end_amdhsa_kernel
	.section	.text._ZN7rocprim17ROCPRIM_400000_NS6detail17trampoline_kernelINS0_14default_configENS1_27scan_by_key_config_selectorIiiEEZZNS1_16scan_by_key_implILNS1_25lookback_scan_determinismE0ELb0ES3_N6thrust23THRUST_200600_302600_NS6detail15normal_iteratorINS9_10device_ptrIiEEEENS9_18transform_iteratorINS9_6negateIiEESE_NS9_11use_defaultESI_EESE_iNS9_4plusIvEENS9_8equal_toIvEEiEE10hipError_tPvRmT2_T3_T4_T5_mT6_T7_P12ihipStream_tbENKUlT_T0_E_clISt17integral_constantIbLb0EES13_IbLb1EEEEDaSZ_S10_EUlSZ_E_NS1_11comp_targetILNS1_3genE0ELNS1_11target_archE4294967295ELNS1_3gpuE0ELNS1_3repE0EEENS1_30default_config_static_selectorELNS0_4arch9wavefront6targetE1EEEvT1_,"axG",@progbits,_ZN7rocprim17ROCPRIM_400000_NS6detail17trampoline_kernelINS0_14default_configENS1_27scan_by_key_config_selectorIiiEEZZNS1_16scan_by_key_implILNS1_25lookback_scan_determinismE0ELb0ES3_N6thrust23THRUST_200600_302600_NS6detail15normal_iteratorINS9_10device_ptrIiEEEENS9_18transform_iteratorINS9_6negateIiEESE_NS9_11use_defaultESI_EESE_iNS9_4plusIvEENS9_8equal_toIvEEiEE10hipError_tPvRmT2_T3_T4_T5_mT6_T7_P12ihipStream_tbENKUlT_T0_E_clISt17integral_constantIbLb0EES13_IbLb1EEEEDaSZ_S10_EUlSZ_E_NS1_11comp_targetILNS1_3genE0ELNS1_11target_archE4294967295ELNS1_3gpuE0ELNS1_3repE0EEENS1_30default_config_static_selectorELNS0_4arch9wavefront6targetE1EEEvT1_,comdat
.Lfunc_end956:
	.size	_ZN7rocprim17ROCPRIM_400000_NS6detail17trampoline_kernelINS0_14default_configENS1_27scan_by_key_config_selectorIiiEEZZNS1_16scan_by_key_implILNS1_25lookback_scan_determinismE0ELb0ES3_N6thrust23THRUST_200600_302600_NS6detail15normal_iteratorINS9_10device_ptrIiEEEENS9_18transform_iteratorINS9_6negateIiEESE_NS9_11use_defaultESI_EESE_iNS9_4plusIvEENS9_8equal_toIvEEiEE10hipError_tPvRmT2_T3_T4_T5_mT6_T7_P12ihipStream_tbENKUlT_T0_E_clISt17integral_constantIbLb0EES13_IbLb1EEEEDaSZ_S10_EUlSZ_E_NS1_11comp_targetILNS1_3genE0ELNS1_11target_archE4294967295ELNS1_3gpuE0ELNS1_3repE0EEENS1_30default_config_static_selectorELNS0_4arch9wavefront6targetE1EEEvT1_, .Lfunc_end956-_ZN7rocprim17ROCPRIM_400000_NS6detail17trampoline_kernelINS0_14default_configENS1_27scan_by_key_config_selectorIiiEEZZNS1_16scan_by_key_implILNS1_25lookback_scan_determinismE0ELb0ES3_N6thrust23THRUST_200600_302600_NS6detail15normal_iteratorINS9_10device_ptrIiEEEENS9_18transform_iteratorINS9_6negateIiEESE_NS9_11use_defaultESI_EESE_iNS9_4plusIvEENS9_8equal_toIvEEiEE10hipError_tPvRmT2_T3_T4_T5_mT6_T7_P12ihipStream_tbENKUlT_T0_E_clISt17integral_constantIbLb0EES13_IbLb1EEEEDaSZ_S10_EUlSZ_E_NS1_11comp_targetILNS1_3genE0ELNS1_11target_archE4294967295ELNS1_3gpuE0ELNS1_3repE0EEENS1_30default_config_static_selectorELNS0_4arch9wavefront6targetE1EEEvT1_
                                        ; -- End function
	.section	.AMDGPU.csdata,"",@progbits
; Kernel info:
; codeLenInByte = 0
; NumSgprs: 6
; NumVgprs: 0
; NumAgprs: 0
; TotalNumVgprs: 0
; ScratchSize: 0
; MemoryBound: 0
; FloatMode: 240
; IeeeMode: 1
; LDSByteSize: 0 bytes/workgroup (compile time only)
; SGPRBlocks: 0
; VGPRBlocks: 0
; NumSGPRsForWavesPerEU: 6
; NumVGPRsForWavesPerEU: 1
; AccumOffset: 4
; Occupancy: 8
; WaveLimiterHint : 0
; COMPUTE_PGM_RSRC2:SCRATCH_EN: 0
; COMPUTE_PGM_RSRC2:USER_SGPR: 2
; COMPUTE_PGM_RSRC2:TRAP_HANDLER: 0
; COMPUTE_PGM_RSRC2:TGID_X_EN: 1
; COMPUTE_PGM_RSRC2:TGID_Y_EN: 0
; COMPUTE_PGM_RSRC2:TGID_Z_EN: 0
; COMPUTE_PGM_RSRC2:TIDIG_COMP_CNT: 0
; COMPUTE_PGM_RSRC3_GFX90A:ACCUM_OFFSET: 0
; COMPUTE_PGM_RSRC3_GFX90A:TG_SPLIT: 0
	.section	.text._ZN7rocprim17ROCPRIM_400000_NS6detail17trampoline_kernelINS0_14default_configENS1_27scan_by_key_config_selectorIiiEEZZNS1_16scan_by_key_implILNS1_25lookback_scan_determinismE0ELb0ES3_N6thrust23THRUST_200600_302600_NS6detail15normal_iteratorINS9_10device_ptrIiEEEENS9_18transform_iteratorINS9_6negateIiEESE_NS9_11use_defaultESI_EESE_iNS9_4plusIvEENS9_8equal_toIvEEiEE10hipError_tPvRmT2_T3_T4_T5_mT6_T7_P12ihipStream_tbENKUlT_T0_E_clISt17integral_constantIbLb0EES13_IbLb1EEEEDaSZ_S10_EUlSZ_E_NS1_11comp_targetILNS1_3genE10ELNS1_11target_archE1201ELNS1_3gpuE5ELNS1_3repE0EEENS1_30default_config_static_selectorELNS0_4arch9wavefront6targetE1EEEvT1_,"axG",@progbits,_ZN7rocprim17ROCPRIM_400000_NS6detail17trampoline_kernelINS0_14default_configENS1_27scan_by_key_config_selectorIiiEEZZNS1_16scan_by_key_implILNS1_25lookback_scan_determinismE0ELb0ES3_N6thrust23THRUST_200600_302600_NS6detail15normal_iteratorINS9_10device_ptrIiEEEENS9_18transform_iteratorINS9_6negateIiEESE_NS9_11use_defaultESI_EESE_iNS9_4plusIvEENS9_8equal_toIvEEiEE10hipError_tPvRmT2_T3_T4_T5_mT6_T7_P12ihipStream_tbENKUlT_T0_E_clISt17integral_constantIbLb0EES13_IbLb1EEEEDaSZ_S10_EUlSZ_E_NS1_11comp_targetILNS1_3genE10ELNS1_11target_archE1201ELNS1_3gpuE5ELNS1_3repE0EEENS1_30default_config_static_selectorELNS0_4arch9wavefront6targetE1EEEvT1_,comdat
	.protected	_ZN7rocprim17ROCPRIM_400000_NS6detail17trampoline_kernelINS0_14default_configENS1_27scan_by_key_config_selectorIiiEEZZNS1_16scan_by_key_implILNS1_25lookback_scan_determinismE0ELb0ES3_N6thrust23THRUST_200600_302600_NS6detail15normal_iteratorINS9_10device_ptrIiEEEENS9_18transform_iteratorINS9_6negateIiEESE_NS9_11use_defaultESI_EESE_iNS9_4plusIvEENS9_8equal_toIvEEiEE10hipError_tPvRmT2_T3_T4_T5_mT6_T7_P12ihipStream_tbENKUlT_T0_E_clISt17integral_constantIbLb0EES13_IbLb1EEEEDaSZ_S10_EUlSZ_E_NS1_11comp_targetILNS1_3genE10ELNS1_11target_archE1201ELNS1_3gpuE5ELNS1_3repE0EEENS1_30default_config_static_selectorELNS0_4arch9wavefront6targetE1EEEvT1_ ; -- Begin function _ZN7rocprim17ROCPRIM_400000_NS6detail17trampoline_kernelINS0_14default_configENS1_27scan_by_key_config_selectorIiiEEZZNS1_16scan_by_key_implILNS1_25lookback_scan_determinismE0ELb0ES3_N6thrust23THRUST_200600_302600_NS6detail15normal_iteratorINS9_10device_ptrIiEEEENS9_18transform_iteratorINS9_6negateIiEESE_NS9_11use_defaultESI_EESE_iNS9_4plusIvEENS9_8equal_toIvEEiEE10hipError_tPvRmT2_T3_T4_T5_mT6_T7_P12ihipStream_tbENKUlT_T0_E_clISt17integral_constantIbLb0EES13_IbLb1EEEEDaSZ_S10_EUlSZ_E_NS1_11comp_targetILNS1_3genE10ELNS1_11target_archE1201ELNS1_3gpuE5ELNS1_3repE0EEENS1_30default_config_static_selectorELNS0_4arch9wavefront6targetE1EEEvT1_
	.globl	_ZN7rocprim17ROCPRIM_400000_NS6detail17trampoline_kernelINS0_14default_configENS1_27scan_by_key_config_selectorIiiEEZZNS1_16scan_by_key_implILNS1_25lookback_scan_determinismE0ELb0ES3_N6thrust23THRUST_200600_302600_NS6detail15normal_iteratorINS9_10device_ptrIiEEEENS9_18transform_iteratorINS9_6negateIiEESE_NS9_11use_defaultESI_EESE_iNS9_4plusIvEENS9_8equal_toIvEEiEE10hipError_tPvRmT2_T3_T4_T5_mT6_T7_P12ihipStream_tbENKUlT_T0_E_clISt17integral_constantIbLb0EES13_IbLb1EEEEDaSZ_S10_EUlSZ_E_NS1_11comp_targetILNS1_3genE10ELNS1_11target_archE1201ELNS1_3gpuE5ELNS1_3repE0EEENS1_30default_config_static_selectorELNS0_4arch9wavefront6targetE1EEEvT1_
	.p2align	8
	.type	_ZN7rocprim17ROCPRIM_400000_NS6detail17trampoline_kernelINS0_14default_configENS1_27scan_by_key_config_selectorIiiEEZZNS1_16scan_by_key_implILNS1_25lookback_scan_determinismE0ELb0ES3_N6thrust23THRUST_200600_302600_NS6detail15normal_iteratorINS9_10device_ptrIiEEEENS9_18transform_iteratorINS9_6negateIiEESE_NS9_11use_defaultESI_EESE_iNS9_4plusIvEENS9_8equal_toIvEEiEE10hipError_tPvRmT2_T3_T4_T5_mT6_T7_P12ihipStream_tbENKUlT_T0_E_clISt17integral_constantIbLb0EES13_IbLb1EEEEDaSZ_S10_EUlSZ_E_NS1_11comp_targetILNS1_3genE10ELNS1_11target_archE1201ELNS1_3gpuE5ELNS1_3repE0EEENS1_30default_config_static_selectorELNS0_4arch9wavefront6targetE1EEEvT1_,@function
_ZN7rocprim17ROCPRIM_400000_NS6detail17trampoline_kernelINS0_14default_configENS1_27scan_by_key_config_selectorIiiEEZZNS1_16scan_by_key_implILNS1_25lookback_scan_determinismE0ELb0ES3_N6thrust23THRUST_200600_302600_NS6detail15normal_iteratorINS9_10device_ptrIiEEEENS9_18transform_iteratorINS9_6negateIiEESE_NS9_11use_defaultESI_EESE_iNS9_4plusIvEENS9_8equal_toIvEEiEE10hipError_tPvRmT2_T3_T4_T5_mT6_T7_P12ihipStream_tbENKUlT_T0_E_clISt17integral_constantIbLb0EES13_IbLb1EEEEDaSZ_S10_EUlSZ_E_NS1_11comp_targetILNS1_3genE10ELNS1_11target_archE1201ELNS1_3gpuE5ELNS1_3repE0EEENS1_30default_config_static_selectorELNS0_4arch9wavefront6targetE1EEEvT1_: ; @_ZN7rocprim17ROCPRIM_400000_NS6detail17trampoline_kernelINS0_14default_configENS1_27scan_by_key_config_selectorIiiEEZZNS1_16scan_by_key_implILNS1_25lookback_scan_determinismE0ELb0ES3_N6thrust23THRUST_200600_302600_NS6detail15normal_iteratorINS9_10device_ptrIiEEEENS9_18transform_iteratorINS9_6negateIiEESE_NS9_11use_defaultESI_EESE_iNS9_4plusIvEENS9_8equal_toIvEEiEE10hipError_tPvRmT2_T3_T4_T5_mT6_T7_P12ihipStream_tbENKUlT_T0_E_clISt17integral_constantIbLb0EES13_IbLb1EEEEDaSZ_S10_EUlSZ_E_NS1_11comp_targetILNS1_3genE10ELNS1_11target_archE1201ELNS1_3gpuE5ELNS1_3repE0EEENS1_30default_config_static_selectorELNS0_4arch9wavefront6targetE1EEEvT1_
; %bb.0:
	.section	.rodata,"a",@progbits
	.p2align	6, 0x0
	.amdhsa_kernel _ZN7rocprim17ROCPRIM_400000_NS6detail17trampoline_kernelINS0_14default_configENS1_27scan_by_key_config_selectorIiiEEZZNS1_16scan_by_key_implILNS1_25lookback_scan_determinismE0ELb0ES3_N6thrust23THRUST_200600_302600_NS6detail15normal_iteratorINS9_10device_ptrIiEEEENS9_18transform_iteratorINS9_6negateIiEESE_NS9_11use_defaultESI_EESE_iNS9_4plusIvEENS9_8equal_toIvEEiEE10hipError_tPvRmT2_T3_T4_T5_mT6_T7_P12ihipStream_tbENKUlT_T0_E_clISt17integral_constantIbLb0EES13_IbLb1EEEEDaSZ_S10_EUlSZ_E_NS1_11comp_targetILNS1_3genE10ELNS1_11target_archE1201ELNS1_3gpuE5ELNS1_3repE0EEENS1_30default_config_static_selectorELNS0_4arch9wavefront6targetE1EEEvT1_
		.amdhsa_group_segment_fixed_size 0
		.amdhsa_private_segment_fixed_size 0
		.amdhsa_kernarg_size 120
		.amdhsa_user_sgpr_count 2
		.amdhsa_user_sgpr_dispatch_ptr 0
		.amdhsa_user_sgpr_queue_ptr 0
		.amdhsa_user_sgpr_kernarg_segment_ptr 1
		.amdhsa_user_sgpr_dispatch_id 0
		.amdhsa_user_sgpr_kernarg_preload_length 0
		.amdhsa_user_sgpr_kernarg_preload_offset 0
		.amdhsa_user_sgpr_private_segment_size 0
		.amdhsa_uses_dynamic_stack 0
		.amdhsa_enable_private_segment 0
		.amdhsa_system_sgpr_workgroup_id_x 1
		.amdhsa_system_sgpr_workgroup_id_y 0
		.amdhsa_system_sgpr_workgroup_id_z 0
		.amdhsa_system_sgpr_workgroup_info 0
		.amdhsa_system_vgpr_workitem_id 0
		.amdhsa_next_free_vgpr 1
		.amdhsa_next_free_sgpr 0
		.amdhsa_accum_offset 4
		.amdhsa_reserve_vcc 0
		.amdhsa_float_round_mode_32 0
		.amdhsa_float_round_mode_16_64 0
		.amdhsa_float_denorm_mode_32 3
		.amdhsa_float_denorm_mode_16_64 3
		.amdhsa_dx10_clamp 1
		.amdhsa_ieee_mode 1
		.amdhsa_fp16_overflow 0
		.amdhsa_tg_split 0
		.amdhsa_exception_fp_ieee_invalid_op 0
		.amdhsa_exception_fp_denorm_src 0
		.amdhsa_exception_fp_ieee_div_zero 0
		.amdhsa_exception_fp_ieee_overflow 0
		.amdhsa_exception_fp_ieee_underflow 0
		.amdhsa_exception_fp_ieee_inexact 0
		.amdhsa_exception_int_div_zero 0
	.end_amdhsa_kernel
	.section	.text._ZN7rocprim17ROCPRIM_400000_NS6detail17trampoline_kernelINS0_14default_configENS1_27scan_by_key_config_selectorIiiEEZZNS1_16scan_by_key_implILNS1_25lookback_scan_determinismE0ELb0ES3_N6thrust23THRUST_200600_302600_NS6detail15normal_iteratorINS9_10device_ptrIiEEEENS9_18transform_iteratorINS9_6negateIiEESE_NS9_11use_defaultESI_EESE_iNS9_4plusIvEENS9_8equal_toIvEEiEE10hipError_tPvRmT2_T3_T4_T5_mT6_T7_P12ihipStream_tbENKUlT_T0_E_clISt17integral_constantIbLb0EES13_IbLb1EEEEDaSZ_S10_EUlSZ_E_NS1_11comp_targetILNS1_3genE10ELNS1_11target_archE1201ELNS1_3gpuE5ELNS1_3repE0EEENS1_30default_config_static_selectorELNS0_4arch9wavefront6targetE1EEEvT1_,"axG",@progbits,_ZN7rocprim17ROCPRIM_400000_NS6detail17trampoline_kernelINS0_14default_configENS1_27scan_by_key_config_selectorIiiEEZZNS1_16scan_by_key_implILNS1_25lookback_scan_determinismE0ELb0ES3_N6thrust23THRUST_200600_302600_NS6detail15normal_iteratorINS9_10device_ptrIiEEEENS9_18transform_iteratorINS9_6negateIiEESE_NS9_11use_defaultESI_EESE_iNS9_4plusIvEENS9_8equal_toIvEEiEE10hipError_tPvRmT2_T3_T4_T5_mT6_T7_P12ihipStream_tbENKUlT_T0_E_clISt17integral_constantIbLb0EES13_IbLb1EEEEDaSZ_S10_EUlSZ_E_NS1_11comp_targetILNS1_3genE10ELNS1_11target_archE1201ELNS1_3gpuE5ELNS1_3repE0EEENS1_30default_config_static_selectorELNS0_4arch9wavefront6targetE1EEEvT1_,comdat
.Lfunc_end957:
	.size	_ZN7rocprim17ROCPRIM_400000_NS6detail17trampoline_kernelINS0_14default_configENS1_27scan_by_key_config_selectorIiiEEZZNS1_16scan_by_key_implILNS1_25lookback_scan_determinismE0ELb0ES3_N6thrust23THRUST_200600_302600_NS6detail15normal_iteratorINS9_10device_ptrIiEEEENS9_18transform_iteratorINS9_6negateIiEESE_NS9_11use_defaultESI_EESE_iNS9_4plusIvEENS9_8equal_toIvEEiEE10hipError_tPvRmT2_T3_T4_T5_mT6_T7_P12ihipStream_tbENKUlT_T0_E_clISt17integral_constantIbLb0EES13_IbLb1EEEEDaSZ_S10_EUlSZ_E_NS1_11comp_targetILNS1_3genE10ELNS1_11target_archE1201ELNS1_3gpuE5ELNS1_3repE0EEENS1_30default_config_static_selectorELNS0_4arch9wavefront6targetE1EEEvT1_, .Lfunc_end957-_ZN7rocprim17ROCPRIM_400000_NS6detail17trampoline_kernelINS0_14default_configENS1_27scan_by_key_config_selectorIiiEEZZNS1_16scan_by_key_implILNS1_25lookback_scan_determinismE0ELb0ES3_N6thrust23THRUST_200600_302600_NS6detail15normal_iteratorINS9_10device_ptrIiEEEENS9_18transform_iteratorINS9_6negateIiEESE_NS9_11use_defaultESI_EESE_iNS9_4plusIvEENS9_8equal_toIvEEiEE10hipError_tPvRmT2_T3_T4_T5_mT6_T7_P12ihipStream_tbENKUlT_T0_E_clISt17integral_constantIbLb0EES13_IbLb1EEEEDaSZ_S10_EUlSZ_E_NS1_11comp_targetILNS1_3genE10ELNS1_11target_archE1201ELNS1_3gpuE5ELNS1_3repE0EEENS1_30default_config_static_selectorELNS0_4arch9wavefront6targetE1EEEvT1_
                                        ; -- End function
	.section	.AMDGPU.csdata,"",@progbits
; Kernel info:
; codeLenInByte = 0
; NumSgprs: 6
; NumVgprs: 0
; NumAgprs: 0
; TotalNumVgprs: 0
; ScratchSize: 0
; MemoryBound: 0
; FloatMode: 240
; IeeeMode: 1
; LDSByteSize: 0 bytes/workgroup (compile time only)
; SGPRBlocks: 0
; VGPRBlocks: 0
; NumSGPRsForWavesPerEU: 6
; NumVGPRsForWavesPerEU: 1
; AccumOffset: 4
; Occupancy: 8
; WaveLimiterHint : 0
; COMPUTE_PGM_RSRC2:SCRATCH_EN: 0
; COMPUTE_PGM_RSRC2:USER_SGPR: 2
; COMPUTE_PGM_RSRC2:TRAP_HANDLER: 0
; COMPUTE_PGM_RSRC2:TGID_X_EN: 1
; COMPUTE_PGM_RSRC2:TGID_Y_EN: 0
; COMPUTE_PGM_RSRC2:TGID_Z_EN: 0
; COMPUTE_PGM_RSRC2:TIDIG_COMP_CNT: 0
; COMPUTE_PGM_RSRC3_GFX90A:ACCUM_OFFSET: 0
; COMPUTE_PGM_RSRC3_GFX90A:TG_SPLIT: 0
	.section	.text._ZN7rocprim17ROCPRIM_400000_NS6detail17trampoline_kernelINS0_14default_configENS1_27scan_by_key_config_selectorIiiEEZZNS1_16scan_by_key_implILNS1_25lookback_scan_determinismE0ELb0ES3_N6thrust23THRUST_200600_302600_NS6detail15normal_iteratorINS9_10device_ptrIiEEEENS9_18transform_iteratorINS9_6negateIiEESE_NS9_11use_defaultESI_EESE_iNS9_4plusIvEENS9_8equal_toIvEEiEE10hipError_tPvRmT2_T3_T4_T5_mT6_T7_P12ihipStream_tbENKUlT_T0_E_clISt17integral_constantIbLb0EES13_IbLb1EEEEDaSZ_S10_EUlSZ_E_NS1_11comp_targetILNS1_3genE5ELNS1_11target_archE942ELNS1_3gpuE9ELNS1_3repE0EEENS1_30default_config_static_selectorELNS0_4arch9wavefront6targetE1EEEvT1_,"axG",@progbits,_ZN7rocprim17ROCPRIM_400000_NS6detail17trampoline_kernelINS0_14default_configENS1_27scan_by_key_config_selectorIiiEEZZNS1_16scan_by_key_implILNS1_25lookback_scan_determinismE0ELb0ES3_N6thrust23THRUST_200600_302600_NS6detail15normal_iteratorINS9_10device_ptrIiEEEENS9_18transform_iteratorINS9_6negateIiEESE_NS9_11use_defaultESI_EESE_iNS9_4plusIvEENS9_8equal_toIvEEiEE10hipError_tPvRmT2_T3_T4_T5_mT6_T7_P12ihipStream_tbENKUlT_T0_E_clISt17integral_constantIbLb0EES13_IbLb1EEEEDaSZ_S10_EUlSZ_E_NS1_11comp_targetILNS1_3genE5ELNS1_11target_archE942ELNS1_3gpuE9ELNS1_3repE0EEENS1_30default_config_static_selectorELNS0_4arch9wavefront6targetE1EEEvT1_,comdat
	.protected	_ZN7rocprim17ROCPRIM_400000_NS6detail17trampoline_kernelINS0_14default_configENS1_27scan_by_key_config_selectorIiiEEZZNS1_16scan_by_key_implILNS1_25lookback_scan_determinismE0ELb0ES3_N6thrust23THRUST_200600_302600_NS6detail15normal_iteratorINS9_10device_ptrIiEEEENS9_18transform_iteratorINS9_6negateIiEESE_NS9_11use_defaultESI_EESE_iNS9_4plusIvEENS9_8equal_toIvEEiEE10hipError_tPvRmT2_T3_T4_T5_mT6_T7_P12ihipStream_tbENKUlT_T0_E_clISt17integral_constantIbLb0EES13_IbLb1EEEEDaSZ_S10_EUlSZ_E_NS1_11comp_targetILNS1_3genE5ELNS1_11target_archE942ELNS1_3gpuE9ELNS1_3repE0EEENS1_30default_config_static_selectorELNS0_4arch9wavefront6targetE1EEEvT1_ ; -- Begin function _ZN7rocprim17ROCPRIM_400000_NS6detail17trampoline_kernelINS0_14default_configENS1_27scan_by_key_config_selectorIiiEEZZNS1_16scan_by_key_implILNS1_25lookback_scan_determinismE0ELb0ES3_N6thrust23THRUST_200600_302600_NS6detail15normal_iteratorINS9_10device_ptrIiEEEENS9_18transform_iteratorINS9_6negateIiEESE_NS9_11use_defaultESI_EESE_iNS9_4plusIvEENS9_8equal_toIvEEiEE10hipError_tPvRmT2_T3_T4_T5_mT6_T7_P12ihipStream_tbENKUlT_T0_E_clISt17integral_constantIbLb0EES13_IbLb1EEEEDaSZ_S10_EUlSZ_E_NS1_11comp_targetILNS1_3genE5ELNS1_11target_archE942ELNS1_3gpuE9ELNS1_3repE0EEENS1_30default_config_static_selectorELNS0_4arch9wavefront6targetE1EEEvT1_
	.globl	_ZN7rocprim17ROCPRIM_400000_NS6detail17trampoline_kernelINS0_14default_configENS1_27scan_by_key_config_selectorIiiEEZZNS1_16scan_by_key_implILNS1_25lookback_scan_determinismE0ELb0ES3_N6thrust23THRUST_200600_302600_NS6detail15normal_iteratorINS9_10device_ptrIiEEEENS9_18transform_iteratorINS9_6negateIiEESE_NS9_11use_defaultESI_EESE_iNS9_4plusIvEENS9_8equal_toIvEEiEE10hipError_tPvRmT2_T3_T4_T5_mT6_T7_P12ihipStream_tbENKUlT_T0_E_clISt17integral_constantIbLb0EES13_IbLb1EEEEDaSZ_S10_EUlSZ_E_NS1_11comp_targetILNS1_3genE5ELNS1_11target_archE942ELNS1_3gpuE9ELNS1_3repE0EEENS1_30default_config_static_selectorELNS0_4arch9wavefront6targetE1EEEvT1_
	.p2align	8
	.type	_ZN7rocprim17ROCPRIM_400000_NS6detail17trampoline_kernelINS0_14default_configENS1_27scan_by_key_config_selectorIiiEEZZNS1_16scan_by_key_implILNS1_25lookback_scan_determinismE0ELb0ES3_N6thrust23THRUST_200600_302600_NS6detail15normal_iteratorINS9_10device_ptrIiEEEENS9_18transform_iteratorINS9_6negateIiEESE_NS9_11use_defaultESI_EESE_iNS9_4plusIvEENS9_8equal_toIvEEiEE10hipError_tPvRmT2_T3_T4_T5_mT6_T7_P12ihipStream_tbENKUlT_T0_E_clISt17integral_constantIbLb0EES13_IbLb1EEEEDaSZ_S10_EUlSZ_E_NS1_11comp_targetILNS1_3genE5ELNS1_11target_archE942ELNS1_3gpuE9ELNS1_3repE0EEENS1_30default_config_static_selectorELNS0_4arch9wavefront6targetE1EEEvT1_,@function
_ZN7rocprim17ROCPRIM_400000_NS6detail17trampoline_kernelINS0_14default_configENS1_27scan_by_key_config_selectorIiiEEZZNS1_16scan_by_key_implILNS1_25lookback_scan_determinismE0ELb0ES3_N6thrust23THRUST_200600_302600_NS6detail15normal_iteratorINS9_10device_ptrIiEEEENS9_18transform_iteratorINS9_6negateIiEESE_NS9_11use_defaultESI_EESE_iNS9_4plusIvEENS9_8equal_toIvEEiEE10hipError_tPvRmT2_T3_T4_T5_mT6_T7_P12ihipStream_tbENKUlT_T0_E_clISt17integral_constantIbLb0EES13_IbLb1EEEEDaSZ_S10_EUlSZ_E_NS1_11comp_targetILNS1_3genE5ELNS1_11target_archE942ELNS1_3gpuE9ELNS1_3repE0EEENS1_30default_config_static_selectorELNS0_4arch9wavefront6targetE1EEEvT1_: ; @_ZN7rocprim17ROCPRIM_400000_NS6detail17trampoline_kernelINS0_14default_configENS1_27scan_by_key_config_selectorIiiEEZZNS1_16scan_by_key_implILNS1_25lookback_scan_determinismE0ELb0ES3_N6thrust23THRUST_200600_302600_NS6detail15normal_iteratorINS9_10device_ptrIiEEEENS9_18transform_iteratorINS9_6negateIiEESE_NS9_11use_defaultESI_EESE_iNS9_4plusIvEENS9_8equal_toIvEEiEE10hipError_tPvRmT2_T3_T4_T5_mT6_T7_P12ihipStream_tbENKUlT_T0_E_clISt17integral_constantIbLb0EES13_IbLb1EEEEDaSZ_S10_EUlSZ_E_NS1_11comp_targetILNS1_3genE5ELNS1_11target_archE942ELNS1_3gpuE9ELNS1_3repE0EEENS1_30default_config_static_selectorELNS0_4arch9wavefront6targetE1EEEvT1_
; %bb.0:
	s_load_dwordx4 s[8:11], s[0:1], 0x0
	s_load_dwordx2 s[2:3], s[0:1], 0x10
	s_load_dwordx2 s[68:69], s[0:1], 0x20
	s_load_dwordx4 s[64:67], s[0:1], 0x30
	s_load_dwordx2 s[72:73], s[0:1], 0x40
	v_cmp_ne_u32_e64 s[4:5], 0, v0
	v_cmp_eq_u32_e64 s[54:55], 0, v0
	s_and_saveexec_b64 s[6:7], s[54:55]
	s_cbranch_execz .LBB958_4
; %bb.1:
	s_mov_b64 s[14:15], exec
	v_mbcnt_lo_u32_b32 v1, s14, 0
	v_mbcnt_hi_u32_b32 v1, s15, v1
	v_cmp_eq_u32_e32 vcc, 0, v1
                                        ; implicit-def: $vgpr2
	s_and_saveexec_b64 s[12:13], vcc
	s_cbranch_execz .LBB958_3
; %bb.2:
	s_load_dwordx2 s[16:17], s[0:1], 0x70
	s_bcnt1_i32_b64 s14, s[14:15]
	v_mov_b32_e32 v2, 0
	v_mov_b32_e32 v3, s14
	s_waitcnt lgkmcnt(0)
	global_atomic_add v2, v2, v3, s[16:17] sc0
.LBB958_3:
	s_or_b64 exec, exec, s[12:13]
	s_waitcnt vmcnt(0)
	v_readfirstlane_b32 s12, v2
	v_mov_b32_e32 v2, 0
	s_nop 0
	v_add_u32_e32 v1, s12, v1
	ds_write_b32 v2, v1
.LBB958_4:
	s_or_b64 exec, exec, s[6:7]
	v_mov_b32_e32 v1, 0
	s_load_dword s6, s[0:1], 0x48
	s_load_dwordx8 s[56:63], s[0:1], 0x50
	s_waitcnt lgkmcnt(0)
	s_barrier
	ds_read_b32 v1, v1
	s_lshl_b64 s[70:71], s[10:11], 2
	s_add_u32 s7, s8, s70
	s_addc_u32 s8, s9, s71
	s_add_u32 s2, s2, s70
	s_mul_i32 s0, s73, s6
	s_mul_hi_u32 s1, s72, s6
	s_addc_u32 s3, s3, s71
	s_add_i32 s9, s1, s0
	s_waitcnt lgkmcnt(0)
	v_readfirstlane_b32 s67, v1
	s_cmp_lg_u64 s[60:61], 0
	s_mov_b32 s1, 0
	s_mul_i32 s0, s67, 0x1700
	s_cselect_b64 s[78:79], -1, 0
	s_lshl_b64 s[60:61], s[0:1], 2
	s_add_u32 s76, s7, s60
	s_addc_u32 s77, s8, s61
	s_add_u32 s74, s2, s60
	s_mul_i32 s6, s72, s6
	s_addc_u32 s75, s3, s61
	s_add_u32 s80, s6, s67
	s_addc_u32 s81, s9, 0
	s_add_u32 s0, s56, -1
	s_addc_u32 s1, s57, -1
	v_mov_b64_e32 v[2:3], s[0:1]
	v_cmp_ge_u64_e64 s[2:3], s[80:81], v[2:3]
	s_mov_b64 s[10:11], 0
	s_mov_b64 s[6:7], -1
	s_and_b64 vcc, exec, s[2:3]
	s_mul_i32 s33, s0, 0xffffe900
	s_barrier
	s_barrier
	s_cbranch_vccz .LBB958_126
; %bb.5:
	v_mov_b64_e32 v[2:3], s[76:77]
	flat_load_dword v1, v[2:3]
	s_add_i32 s84, s33, s66
	v_cmp_gt_u32_e64 s[6:7], s84, v0
	s_waitcnt vmcnt(0) lgkmcnt(0)
	v_mov_b32_e32 v4, v1
	s_and_saveexec_b64 s[0:1], s[6:7]
	s_cbranch_execz .LBB958_7
; %bb.6:
	v_lshlrev_b32_e32 v2, 2, v0
	v_mov_b32_e32 v3, 0
	v_lshl_add_u64 v[2:3], s[76:77], 0, v[2:3]
	flat_load_dword v4, v[2:3]
.LBB958_7:
	s_or_b64 exec, exec, s[0:1]
	v_or_b32_e32 v2, 0x100, v0
	v_cmp_gt_u32_e64 s[8:9], s84, v2
	v_mov_b32_e32 v5, v1
	s_and_saveexec_b64 s[0:1], s[8:9]
	s_cbranch_execz .LBB958_9
; %bb.8:
	v_lshlrev_b32_e32 v2, 2, v0
	v_mov_b32_e32 v3, 0
	v_lshl_add_u64 v[2:3], s[76:77], 0, v[2:3]
	flat_load_dword v5, v[2:3] offset:1024
.LBB958_9:
	s_or_b64 exec, exec, s[0:1]
	v_or_b32_e32 v2, 0x200, v0
	v_cmp_gt_u32_e64 s[10:11], s84, v2
	v_mov_b32_e32 v6, v1
	s_and_saveexec_b64 s[0:1], s[10:11]
	s_cbranch_execz .LBB958_11
; %bb.10:
	v_lshlrev_b32_e32 v2, 2, v0
	v_mov_b32_e32 v3, 0
	v_lshl_add_u64 v[2:3], s[76:77], 0, v[2:3]
	flat_load_dword v6, v[2:3] offset:2048
.LBB958_11:
	;; [unrolled: 12-line block ×3, first 2 shown]
	s_or_b64 exec, exec, s[0:1]
	v_or_b32_e32 v2, 0x400, v0
	v_cmp_gt_u32_e64 s[14:15], s84, v2
	v_lshlrev_b32_e32 v2, 2, v2
	v_mov_b32_e32 v8, v1
	s_and_saveexec_b64 s[0:1], s[14:15]
	s_cbranch_execz .LBB958_15
; %bb.14:
	v_mov_b32_e32 v3, 0
	v_lshl_add_u64 v[8:9], s[76:77], 0, v[2:3]
	flat_load_dword v8, v[8:9]
.LBB958_15:
	s_or_b64 exec, exec, s[0:1]
	v_or_b32_e32 v3, 0x500, v0
	v_cmp_gt_u32_e64 s[16:17], s84, v3
	v_lshlrev_b32_e32 v10, 2, v3
	v_mov_b32_e32 v9, v1
	s_and_saveexec_b64 s[0:1], s[16:17]
	s_cbranch_execz .LBB958_17
; %bb.16:
	v_mov_b32_e32 v11, 0
	v_lshl_add_u64 v[12:13], s[76:77], 0, v[10:11]
	flat_load_dword v9, v[12:13]
.LBB958_17:
	;; [unrolled: 12-line block ×18, first 2 shown]
	s_or_b64 exec, exec, s[0:1]
	v_or_b32_e32 v3, 0x1600, v0
	v_cmp_gt_u32_e64 s[52:53], s84, v3
	v_lshlrev_b32_e32 v44, 2, v3
	s_and_saveexec_b64 s[0:1], s[52:53]
	s_cbranch_execz .LBB958_51
; %bb.50:
	v_mov_b32_e32 v45, 0
	v_lshl_add_u64 v[46:47], s[76:77], 0, v[44:45]
	flat_load_dword v1, v[46:47]
.LBB958_51:
	s_or_b64 exec, exec, s[0:1]
	v_lshlrev_b32_e32 v3, 2, v0
	s_movk_i32 s0, 0x58
	s_waitcnt vmcnt(0) lgkmcnt(0)
	ds_write2st64_b32 v3, v4, v5 offset1:4
	ds_write2st64_b32 v3, v6, v7 offset0:8 offset1:12
	ds_write2st64_b32 v3, v8, v9 offset0:16 offset1:20
	;; [unrolled: 1-line block ×10, first 2 shown]
	ds_write_b32 v3, v1 offset:22528
	v_mad_u32_u24 v1, v0, s0, v3
	s_waitcnt lgkmcnt(0)
	s_barrier
	ds_read2_b32 v[68:69], v1 offset1:1
	ds_read2_b32 v[66:67], v1 offset0:2 offset1:3
	ds_read2_b32 v[64:65], v1 offset0:4 offset1:5
	;; [unrolled: 1-line block ×10, first 2 shown]
	ds_read_b32 v72, v1 offset:88
	s_cmp_eq_u64 s[80:81], 0
	s_mov_b64 s[0:1], s[76:77]
	s_cbranch_scc1 .LBB958_55
; %bb.52:
	s_andn2_b64 vcc, exec, s[78:79]
	s_cbranch_vccnz .LBB958_267
; %bb.53:
	s_lshl_b64 s[0:1], s[80:81], 2
	s_add_u32 s0, s62, s0
	s_addc_u32 s1, s63, s1
	s_add_u32 s0, s0, -4
	s_addc_u32 s1, s1, -1
	s_cbranch_execnz .LBB958_55
.LBB958_54:
	s_add_u32 s0, s76, -4
	s_addc_u32 s1, s77, -1
.LBB958_55:
	v_mov_b64_e32 v[46:47], s[0:1]
	flat_load_dword v70, v[46:47]
	s_movk_i32 s0, 0xffa8
	v_mad_i32_i24 v11, v0, s0, v1
	s_waitcnt lgkmcnt(0)
	ds_write_b32 v11, v72 offset:23552
	s_waitcnt lgkmcnt(0)
	s_barrier
	s_and_saveexec_b64 s[0:1], s[4:5]
	s_cbranch_execz .LBB958_57
; %bb.56:
	v_mul_i32_i24_e32 v11, 0xffffffa8, v0
	v_add_u32_e32 v11, v1, v11
	s_waitcnt vmcnt(0)
	ds_read_b32 v70, v11 offset:23548
.LBB958_57:
	s_or_b64 exec, exec, s[0:1]
	s_waitcnt lgkmcnt(0)
	s_barrier
	s_waitcnt lgkmcnt(0)
                                        ; implicit-def: $vgpr11
	s_and_saveexec_b64 s[0:1], s[6:7]
	s_cbranch_execnz .LBB958_243
; %bb.58:
	s_or_b64 exec, exec, s[0:1]
                                        ; implicit-def: $vgpr13
	s_and_saveexec_b64 s[0:1], s[8:9]
	s_cbranch_execnz .LBB958_244
.LBB958_59:
	s_or_b64 exec, exec, s[0:1]
                                        ; implicit-def: $vgpr15
	s_and_saveexec_b64 s[0:1], s[10:11]
	s_cbranch_execnz .LBB958_245
.LBB958_60:
	s_or_b64 exec, exec, s[0:1]
                                        ; implicit-def: $vgpr17
	s_and_saveexec_b64 s[0:1], s[12:13]
	s_cbranch_execnz .LBB958_246
.LBB958_61:
	s_or_b64 exec, exec, s[0:1]
                                        ; implicit-def: $vgpr19
	s_and_saveexec_b64 s[0:1], s[14:15]
	s_cbranch_execnz .LBB958_247
.LBB958_62:
	s_or_b64 exec, exec, s[0:1]
                                        ; implicit-def: $vgpr2
	s_and_saveexec_b64 s[0:1], s[16:17]
	s_cbranch_execnz .LBB958_248
.LBB958_63:
	s_or_b64 exec, exec, s[0:1]
                                        ; implicit-def: $vgpr10
	s_and_saveexec_b64 s[0:1], s[18:19]
	s_cbranch_execnz .LBB958_249
.LBB958_64:
	s_or_b64 exec, exec, s[0:1]
                                        ; implicit-def: $vgpr12
	s_and_saveexec_b64 s[0:1], s[20:21]
	s_cbranch_execnz .LBB958_250
.LBB958_65:
	s_or_b64 exec, exec, s[0:1]
                                        ; implicit-def: $vgpr14
	s_and_saveexec_b64 s[0:1], s[22:23]
	s_cbranch_execnz .LBB958_251
.LBB958_66:
	s_or_b64 exec, exec, s[0:1]
                                        ; implicit-def: $vgpr16
	s_and_saveexec_b64 s[0:1], s[24:25]
	s_cbranch_execnz .LBB958_252
.LBB958_67:
	s_or_b64 exec, exec, s[0:1]
                                        ; implicit-def: $vgpr18
	s_and_saveexec_b64 s[0:1], s[26:27]
	s_cbranch_execnz .LBB958_253
.LBB958_68:
	s_or_b64 exec, exec, s[0:1]
                                        ; implicit-def: $vgpr20
	s_and_saveexec_b64 s[0:1], s[28:29]
	s_cbranch_execnz .LBB958_254
.LBB958_69:
	s_or_b64 exec, exec, s[0:1]
                                        ; implicit-def: $vgpr21
	s_and_saveexec_b64 s[0:1], s[30:31]
	s_cbranch_execnz .LBB958_255
.LBB958_70:
	s_or_b64 exec, exec, s[0:1]
                                        ; implicit-def: $vgpr22
	s_and_saveexec_b64 s[0:1], s[34:35]
	s_cbranch_execnz .LBB958_256
.LBB958_71:
	s_or_b64 exec, exec, s[0:1]
                                        ; implicit-def: $vgpr23
	s_and_saveexec_b64 s[0:1], s[36:37]
	s_cbranch_execnz .LBB958_257
.LBB958_72:
	s_or_b64 exec, exec, s[0:1]
                                        ; implicit-def: $vgpr24
	s_and_saveexec_b64 s[0:1], s[38:39]
	s_cbranch_execnz .LBB958_258
.LBB958_73:
	s_or_b64 exec, exec, s[0:1]
                                        ; implicit-def: $vgpr25
	s_and_saveexec_b64 s[0:1], s[40:41]
	s_cbranch_execnz .LBB958_259
.LBB958_74:
	s_or_b64 exec, exec, s[0:1]
                                        ; implicit-def: $vgpr26
	s_and_saveexec_b64 s[0:1], s[42:43]
	s_cbranch_execnz .LBB958_260
.LBB958_75:
	s_or_b64 exec, exec, s[0:1]
                                        ; implicit-def: $vgpr27
	s_and_saveexec_b64 s[0:1], s[44:45]
	s_cbranch_execnz .LBB958_261
.LBB958_76:
	s_or_b64 exec, exec, s[0:1]
                                        ; implicit-def: $vgpr28
	s_and_saveexec_b64 s[0:1], s[46:47]
	s_cbranch_execnz .LBB958_262
.LBB958_77:
	s_or_b64 exec, exec, s[0:1]
                                        ; implicit-def: $vgpr29
	s_and_saveexec_b64 s[0:1], s[48:49]
	s_cbranch_execnz .LBB958_263
.LBB958_78:
	s_or_b64 exec, exec, s[0:1]
                                        ; implicit-def: $vgpr30
	s_and_saveexec_b64 s[0:1], s[50:51]
	s_cbranch_execnz .LBB958_264
.LBB958_79:
	s_or_b64 exec, exec, s[0:1]
                                        ; implicit-def: $vgpr31
	s_and_saveexec_b64 s[0:1], s[52:53]
	s_cbranch_execz .LBB958_81
.LBB958_80:
	global_load_dword v31, v44, s[74:75]
	s_waitcnt vmcnt(0)
	v_sub_u32_e32 v31, 0, v31
.LBB958_81:
	s_or_b64 exec, exec, s[0:1]
	v_mul_u32_u24_e32 v73, 23, v0
	ds_write2st64_b32 v3, v11, v13 offset1:4
	ds_write2st64_b32 v3, v15, v17 offset0:8 offset1:12
	ds_write2st64_b32 v3, v19, v2 offset0:16 offset1:20
	;; [unrolled: 1-line block ×10, first 2 shown]
	ds_write_b32 v3, v31 offset:22528
	v_mov_b64_e32 v[10:11], 0
	v_cmp_gt_u32_e32 vcc, s84, v73
	s_mov_b64 s[10:11], 0
	s_mov_b64 s[6:7], 0
	v_mov_b64_e32 v[12:13], v[10:11]
	v_mov_b64_e32 v[14:15], v[10:11]
	;; [unrolled: 1-line block ×21, first 2 shown]
	s_waitcnt lgkmcnt(0)
	s_barrier
	s_waitcnt lgkmcnt(0)
                                        ; implicit-def: $sgpr0_sgpr1
                                        ; implicit-def: $vgpr3
	s_and_saveexec_b64 s[8:9], vcc
	s_cbranch_execz .LBB958_125
; %bb.82:
	ds_read_b32 v10, v1
	v_add_u32_e32 v2, 1, v73
	s_waitcnt vmcnt(0)
	v_cmp_ne_u32_e32 vcc, v70, v68
	v_mov_b64_e32 v[12:13], 0
	s_mov_b64 s[12:13], 0
	v_cndmask_b32_e64 v11, 0, 1, vcc
	v_cmp_gt_u32_e32 vcc, s84, v2
	s_mov_b64 s[0:1], 0
	v_mov_b64_e32 v[14:15], v[12:13]
	v_mov_b64_e32 v[16:17], v[12:13]
	;; [unrolled: 1-line block ×20, first 2 shown]
                                        ; implicit-def: $sgpr14_sgpr15
                                        ; implicit-def: $vgpr3
	s_and_saveexec_b64 s[10:11], vcc
	s_cbranch_execz .LBB958_124
; %bb.83:
	ds_read2_b32 v[70:71], v1 offset0:1 offset1:2
	v_add_u32_e32 v2, 2, v73
	v_cmp_ne_u32_e32 vcc, v68, v69
	v_mov_b64_e32 v[14:15], 0
	s_mov_b64 s[16:17], 0
	v_cndmask_b32_e64 v13, 0, 1, vcc
	v_cmp_gt_u32_e32 vcc, s84, v2
	s_waitcnt lgkmcnt(0)
	v_mov_b32_e32 v12, v70
	v_mov_b64_e32 v[16:17], v[14:15]
	v_mov_b64_e32 v[18:19], v[14:15]
	;; [unrolled: 1-line block ×19, first 2 shown]
                                        ; implicit-def: $sgpr14_sgpr15
                                        ; implicit-def: $vgpr3
	s_and_saveexec_b64 s[12:13], vcc
	s_cbranch_execz .LBB958_123
; %bb.84:
	v_add_u32_e32 v2, 3, v73
	v_cmp_ne_u32_e32 vcc, v69, v66
	v_mov_b64_e32 v[16:17], 0
	v_mov_b32_e32 v14, v71
	v_cndmask_b32_e64 v15, 0, 1, vcc
	v_cmp_gt_u32_e32 vcc, s84, v2
	v_mov_b64_e32 v[18:19], v[16:17]
	v_mov_b64_e32 v[20:21], v[16:17]
	;; [unrolled: 1-line block ×18, first 2 shown]
                                        ; implicit-def: $sgpr18_sgpr19
                                        ; implicit-def: $vgpr3
	s_and_saveexec_b64 s[14:15], vcc
	s_cbranch_execz .LBB958_122
; %bb.85:
	ds_read2_b32 v[68:69], v1 offset0:3 offset1:4
	v_add_u32_e32 v2, 4, v73
	v_cmp_ne_u32_e32 vcc, v66, v67
	v_mov_b64_e32 v[18:19], 0
	s_mov_b64 s[20:21], 0
	v_cndmask_b32_e64 v17, 0, 1, vcc
	v_cmp_gt_u32_e32 vcc, s84, v2
	s_waitcnt lgkmcnt(0)
	v_mov_b32_e32 v16, v68
	v_mov_b64_e32 v[20:21], v[18:19]
	v_mov_b64_e32 v[22:23], v[18:19]
	;; [unrolled: 1-line block ×17, first 2 shown]
                                        ; implicit-def: $sgpr18_sgpr19
                                        ; implicit-def: $vgpr3
	s_and_saveexec_b64 s[16:17], vcc
	s_cbranch_execz .LBB958_121
; %bb.86:
	v_add_u32_e32 v2, 5, v73
	v_cmp_ne_u32_e32 vcc, v67, v64
	v_mov_b64_e32 v[20:21], 0
	v_mov_b32_e32 v18, v69
	v_cndmask_b32_e64 v19, 0, 1, vcc
	v_cmp_gt_u32_e32 vcc, s84, v2
	v_mov_b64_e32 v[22:23], v[20:21]
	v_mov_b64_e32 v[24:25], v[20:21]
	;; [unrolled: 1-line block ×16, first 2 shown]
                                        ; implicit-def: $sgpr22_sgpr23
                                        ; implicit-def: $vgpr3
	s_and_saveexec_b64 s[18:19], vcc
	s_cbranch_execz .LBB958_120
; %bb.87:
	ds_read2_b32 v[66:67], v1 offset0:5 offset1:6
	v_add_u32_e32 v2, 6, v73
	v_cmp_ne_u32_e32 vcc, v64, v65
	v_mov_b64_e32 v[22:23], 0
	s_mov_b64 s[24:25], 0
	v_cndmask_b32_e64 v21, 0, 1, vcc
	v_cmp_gt_u32_e32 vcc, s84, v2
	s_waitcnt lgkmcnt(0)
	v_mov_b32_e32 v20, v66
	v_mov_b64_e32 v[24:25], v[22:23]
	v_mov_b64_e32 v[26:27], v[22:23]
	;; [unrolled: 1-line block ×15, first 2 shown]
                                        ; implicit-def: $sgpr22_sgpr23
                                        ; implicit-def: $vgpr3
	s_and_saveexec_b64 s[20:21], vcc
	s_cbranch_execz .LBB958_119
; %bb.88:
	v_add_u32_e32 v2, 7, v73
	v_cmp_ne_u32_e32 vcc, v65, v62
	v_mov_b64_e32 v[24:25], 0
	v_mov_b32_e32 v22, v67
	v_cndmask_b32_e64 v23, 0, 1, vcc
	v_cmp_gt_u32_e32 vcc, s84, v2
	v_mov_b64_e32 v[26:27], v[24:25]
	v_mov_b64_e32 v[28:29], v[24:25]
	;; [unrolled: 1-line block ×14, first 2 shown]
                                        ; implicit-def: $sgpr26_sgpr27
                                        ; implicit-def: $vgpr3
	s_and_saveexec_b64 s[22:23], vcc
	s_cbranch_execz .LBB958_118
; %bb.89:
	ds_read2_b32 v[64:65], v1 offset0:7 offset1:8
	v_add_u32_e32 v2, 8, v73
	v_cmp_ne_u32_e32 vcc, v62, v63
	v_mov_b64_e32 v[26:27], 0
	s_mov_b64 s[28:29], 0
	v_cndmask_b32_e64 v25, 0, 1, vcc
	v_cmp_gt_u32_e32 vcc, s84, v2
	s_waitcnt lgkmcnt(0)
	v_mov_b32_e32 v24, v64
	v_mov_b64_e32 v[28:29], v[26:27]
	v_mov_b64_e32 v[30:31], v[26:27]
	;; [unrolled: 1-line block ×13, first 2 shown]
                                        ; implicit-def: $sgpr26_sgpr27
                                        ; implicit-def: $vgpr3
	s_and_saveexec_b64 s[24:25], vcc
	s_cbranch_execz .LBB958_117
; %bb.90:
	v_add_u32_e32 v2, 9, v73
	v_cmp_ne_u32_e32 vcc, v63, v60
	v_mov_b64_e32 v[28:29], 0
	v_mov_b32_e32 v26, v65
	v_cndmask_b32_e64 v27, 0, 1, vcc
	v_cmp_gt_u32_e32 vcc, s84, v2
	v_mov_b64_e32 v[30:31], v[28:29]
	v_mov_b64_e32 v[32:33], v[28:29]
	;; [unrolled: 1-line block ×12, first 2 shown]
                                        ; implicit-def: $sgpr30_sgpr31
                                        ; implicit-def: $vgpr3
	s_and_saveexec_b64 s[26:27], vcc
	s_cbranch_execz .LBB958_116
; %bb.91:
	ds_read2_b32 v[62:63], v1 offset0:9 offset1:10
	v_add_u32_e32 v2, 10, v73
	v_cmp_ne_u32_e32 vcc, v60, v61
	v_mov_b64_e32 v[30:31], 0
	s_mov_b64 s[34:35], 0
	v_cndmask_b32_e64 v29, 0, 1, vcc
	v_cmp_gt_u32_e32 vcc, s84, v2
	s_waitcnt lgkmcnt(0)
	v_mov_b32_e32 v28, v62
	v_mov_b64_e32 v[32:33], v[30:31]
	v_mov_b64_e32 v[34:35], v[30:31]
	;; [unrolled: 1-line block ×11, first 2 shown]
                                        ; implicit-def: $sgpr30_sgpr31
                                        ; implicit-def: $vgpr3
	s_and_saveexec_b64 s[28:29], vcc
	s_cbranch_execz .LBB958_115
; %bb.92:
	v_add_u32_e32 v2, 11, v73
	v_cmp_ne_u32_e32 vcc, v61, v58
	v_mov_b64_e32 v[32:33], 0
	v_mov_b32_e32 v30, v63
	v_cndmask_b32_e64 v31, 0, 1, vcc
	v_cmp_gt_u32_e32 vcc, s84, v2
	v_mov_b64_e32 v[34:35], v[32:33]
	v_mov_b64_e32 v[36:37], v[32:33]
	;; [unrolled: 1-line block ×10, first 2 shown]
                                        ; implicit-def: $sgpr36_sgpr37
                                        ; implicit-def: $vgpr3
	s_and_saveexec_b64 s[30:31], vcc
	s_cbranch_execz .LBB958_114
; %bb.93:
	ds_read2_b32 v[60:61], v1 offset0:11 offset1:12
	v_add_u32_e32 v2, 12, v73
	v_cmp_ne_u32_e32 vcc, v58, v59
	v_mov_b64_e32 v[34:35], 0
	s_mov_b64 s[38:39], 0
	v_cndmask_b32_e64 v33, 0, 1, vcc
	v_cmp_gt_u32_e32 vcc, s84, v2
	s_waitcnt lgkmcnt(0)
	v_mov_b32_e32 v32, v60
	v_mov_b64_e32 v[36:37], v[34:35]
	v_mov_b64_e32 v[38:39], v[34:35]
	;; [unrolled: 1-line block ×9, first 2 shown]
                                        ; implicit-def: $sgpr36_sgpr37
                                        ; implicit-def: $vgpr3
	s_and_saveexec_b64 s[34:35], vcc
	s_cbranch_execz .LBB958_113
; %bb.94:
	v_add_u32_e32 v2, 13, v73
	v_cmp_ne_u32_e32 vcc, v59, v56
	v_mov_b64_e32 v[36:37], 0
	v_mov_b32_e32 v34, v61
	v_cndmask_b32_e64 v35, 0, 1, vcc
	v_cmp_gt_u32_e32 vcc, s84, v2
	v_mov_b64_e32 v[38:39], v[36:37]
	v_mov_b64_e32 v[40:41], v[36:37]
	;; [unrolled: 1-line block ×8, first 2 shown]
                                        ; implicit-def: $sgpr40_sgpr41
                                        ; implicit-def: $vgpr3
	s_and_saveexec_b64 s[36:37], vcc
	s_cbranch_execz .LBB958_112
; %bb.95:
	ds_read2_b32 v[58:59], v1 offset0:13 offset1:14
	v_add_u32_e32 v2, 14, v73
	v_cmp_ne_u32_e32 vcc, v56, v57
	v_mov_b64_e32 v[38:39], 0
	s_mov_b64 s[42:43], 0
	v_cndmask_b32_e64 v37, 0, 1, vcc
	v_cmp_gt_u32_e32 vcc, s84, v2
	s_waitcnt lgkmcnt(0)
	v_mov_b32_e32 v36, v58
	v_mov_b64_e32 v[40:41], v[38:39]
	v_mov_b64_e32 v[42:43], v[38:39]
	;; [unrolled: 1-line block ×7, first 2 shown]
                                        ; implicit-def: $sgpr40_sgpr41
                                        ; implicit-def: $vgpr3
	s_and_saveexec_b64 s[38:39], vcc
	s_cbranch_execz .LBB958_111
; %bb.96:
	v_add_u32_e32 v2, 15, v73
	v_cmp_ne_u32_e32 vcc, v57, v54
	v_mov_b64_e32 v[40:41], 0
	v_mov_b32_e32 v38, v59
	v_cndmask_b32_e64 v39, 0, 1, vcc
	v_cmp_gt_u32_e32 vcc, s84, v2
	v_mov_b64_e32 v[42:43], v[40:41]
	v_mov_b64_e32 v[44:45], v[40:41]
	;; [unrolled: 1-line block ×6, first 2 shown]
                                        ; implicit-def: $sgpr44_sgpr45
                                        ; implicit-def: $vgpr3
	s_and_saveexec_b64 s[40:41], vcc
	s_cbranch_execz .LBB958_110
; %bb.97:
	ds_read2_b32 v[56:57], v1 offset0:15 offset1:16
	v_add_u32_e32 v2, 16, v73
	v_cmp_ne_u32_e32 vcc, v54, v55
	v_mov_b64_e32 v[42:43], 0
	s_mov_b64 s[46:47], 0
	v_cndmask_b32_e64 v41, 0, 1, vcc
	v_cmp_gt_u32_e32 vcc, s84, v2
	s_waitcnt lgkmcnt(0)
	v_mov_b32_e32 v40, v56
	v_mov_b64_e32 v[44:45], v[42:43]
	v_mov_b64_e32 v[46:47], v[42:43]
	;; [unrolled: 1-line block ×5, first 2 shown]
                                        ; implicit-def: $sgpr44_sgpr45
                                        ; implicit-def: $vgpr3
	s_and_saveexec_b64 s[42:43], vcc
	s_cbranch_execz .LBB958_109
; %bb.98:
	v_add_u32_e32 v2, 17, v73
	v_cmp_ne_u32_e32 vcc, v55, v8
	v_mov_b64_e32 v[44:45], 0
	v_mov_b32_e32 v42, v57
	v_cndmask_b32_e64 v43, 0, 1, vcc
	v_cmp_gt_u32_e32 vcc, s84, v2
	v_mov_b64_e32 v[46:47], v[44:45]
	v_mov_b64_e32 v[48:49], v[44:45]
	;; [unrolled: 1-line block ×4, first 2 shown]
                                        ; implicit-def: $sgpr48_sgpr49
                                        ; implicit-def: $vgpr3
	s_and_saveexec_b64 s[44:45], vcc
	s_cbranch_execz .LBB958_108
; %bb.99:
	ds_read2_b32 v[54:55], v1 offset0:17 offset1:18
	v_add_u32_e32 v2, 18, v73
	v_cmp_ne_u32_e32 vcc, v8, v9
	v_mov_b64_e32 v[46:47], 0
	s_mov_b64 s[50:51], 0
	v_cndmask_b32_e64 v45, 0, 1, vcc
	v_cmp_gt_u32_e32 vcc, s84, v2
	s_waitcnt lgkmcnt(0)
	v_mov_b32_e32 v44, v54
	v_mov_b64_e32 v[48:49], v[46:47]
	v_mov_b64_e32 v[50:51], v[46:47]
	;; [unrolled: 1-line block ×3, first 2 shown]
                                        ; implicit-def: $sgpr48_sgpr49
                                        ; implicit-def: $vgpr3
	s_and_saveexec_b64 s[46:47], vcc
	s_cbranch_execz .LBB958_107
; %bb.100:
	v_add_u32_e32 v2, 19, v73
	v_cmp_ne_u32_e32 vcc, v9, v6
	v_mov_b64_e32 v[48:49], 0
	v_mov_b32_e32 v46, v55
	v_cndmask_b32_e64 v47, 0, 1, vcc
	v_cmp_gt_u32_e32 vcc, s84, v2
	v_mov_b64_e32 v[50:51], v[48:49]
	v_mov_b64_e32 v[52:53], v[48:49]
                                        ; implicit-def: $sgpr52_sgpr53
                                        ; implicit-def: $vgpr3
	s_and_saveexec_b64 s[48:49], vcc
	s_cbranch_execz .LBB958_106
; %bb.101:
	ds_read2_b32 v[8:9], v1 offset0:19 offset1:20
	v_add_u32_e32 v2, 20, v73
	v_cmp_ne_u32_e32 vcc, v6, v7
	v_mov_b64_e32 v[50:51], 0
	s_mov_b64 s[52:53], 0
	v_cndmask_b32_e64 v49, 0, 1, vcc
	v_cmp_gt_u32_e32 vcc, s84, v2
	s_waitcnt lgkmcnt(0)
	v_mov_b32_e32 v48, v8
	v_mov_b64_e32 v[52:53], v[50:51]
                                        ; implicit-def: $sgpr56_sgpr57
                                        ; implicit-def: $vgpr3
	s_and_saveexec_b64 s[50:51], vcc
	s_cbranch_execz .LBB958_105
; %bb.102:
	v_add_u32_e32 v2, 21, v73
	v_cmp_ne_u32_e32 vcc, v7, v4
	v_mov_b32_e32 v50, v9
	v_mov_b64_e32 v[52:53], 0
	v_cndmask_b32_e64 v51, 0, 1, vcc
	v_cmp_gt_u32_e32 vcc, s84, v2
                                        ; implicit-def: $sgpr56_sgpr57
                                        ; implicit-def: $vgpr3
	s_and_saveexec_b64 s[0:1], vcc
	s_xor_b64 s[82:83], exec, s[0:1]
	s_cbranch_execz .LBB958_104
; %bb.103:
	ds_read2_b32 v[2:3], v1 offset0:21 offset1:22
	v_add_u32_e32 v1, 22, v73
	v_cmp_ne_u32_e64 s[0:1], v4, v5
	v_cmp_ne_u32_e32 vcc, v5, v72
	s_and_b64 s[56:57], vcc, exec
	v_cndmask_b32_e64 v53, 0, 1, s[0:1]
	v_cmp_gt_u32_e64 s[0:1], s84, v1
	s_waitcnt lgkmcnt(0)
	v_mov_b32_e32 v52, v2
	s_and_b64 s[52:53], s[0:1], exec
.LBB958_104:
	s_or_b64 exec, exec, s[82:83]
	s_and_b64 s[56:57], s[56:57], exec
	s_and_b64 s[0:1], s[52:53], exec
.LBB958_105:
	s_or_b64 exec, exec, s[50:51]
	s_and_b64 s[52:53], s[56:57], exec
	s_and_b64 s[50:51], s[0:1], exec
.LBB958_106:
	s_or_b64 exec, exec, s[48:49]
	s_and_b64 s[48:49], s[52:53], exec
	s_and_b64 s[0:1], s[50:51], exec
.LBB958_107:
	s_or_b64 exec, exec, s[46:47]
	s_and_b64 s[48:49], s[48:49], exec
	s_and_b64 s[46:47], s[0:1], exec
.LBB958_108:
	s_or_b64 exec, exec, s[44:45]
	s_and_b64 s[44:45], s[48:49], exec
	s_and_b64 s[0:1], s[46:47], exec
.LBB958_109:
	s_or_b64 exec, exec, s[42:43]
	s_and_b64 s[44:45], s[44:45], exec
	s_and_b64 s[42:43], s[0:1], exec
.LBB958_110:
	s_or_b64 exec, exec, s[40:41]
	s_and_b64 s[40:41], s[44:45], exec
	s_and_b64 s[0:1], s[42:43], exec
.LBB958_111:
	s_or_b64 exec, exec, s[38:39]
	s_and_b64 s[40:41], s[40:41], exec
	s_and_b64 s[38:39], s[0:1], exec
.LBB958_112:
	s_or_b64 exec, exec, s[36:37]
	s_and_b64 s[36:37], s[40:41], exec
	s_and_b64 s[0:1], s[38:39], exec
.LBB958_113:
	s_or_b64 exec, exec, s[34:35]
	s_and_b64 s[36:37], s[36:37], exec
	s_and_b64 s[34:35], s[0:1], exec
.LBB958_114:
	s_or_b64 exec, exec, s[30:31]
	s_and_b64 s[30:31], s[36:37], exec
	s_and_b64 s[0:1], s[34:35], exec
.LBB958_115:
	s_or_b64 exec, exec, s[28:29]
	s_and_b64 s[30:31], s[30:31], exec
	s_and_b64 s[28:29], s[0:1], exec
.LBB958_116:
	s_or_b64 exec, exec, s[26:27]
	s_and_b64 s[26:27], s[30:31], exec
	s_and_b64 s[0:1], s[28:29], exec
.LBB958_117:
	s_or_b64 exec, exec, s[24:25]
	s_and_b64 s[26:27], s[26:27], exec
	s_and_b64 s[24:25], s[0:1], exec
.LBB958_118:
	s_or_b64 exec, exec, s[22:23]
	s_and_b64 s[22:23], s[26:27], exec
	s_and_b64 s[0:1], s[24:25], exec
.LBB958_119:
	s_or_b64 exec, exec, s[20:21]
	s_and_b64 s[22:23], s[22:23], exec
	s_and_b64 s[20:21], s[0:1], exec
.LBB958_120:
	s_or_b64 exec, exec, s[18:19]
	s_and_b64 s[18:19], s[22:23], exec
	s_and_b64 s[0:1], s[20:21], exec
.LBB958_121:
	s_or_b64 exec, exec, s[16:17]
	s_and_b64 s[18:19], s[18:19], exec
	s_and_b64 s[16:17], s[0:1], exec
.LBB958_122:
	s_or_b64 exec, exec, s[14:15]
	s_and_b64 s[14:15], s[18:19], exec
	s_and_b64 s[0:1], s[16:17], exec
.LBB958_123:
	s_or_b64 exec, exec, s[12:13]
	s_and_b64 s[14:15], s[14:15], exec
	s_and_b64 s[12:13], s[0:1], exec
.LBB958_124:
	s_or_b64 exec, exec, s[10:11]
	s_and_b64 s[0:1], s[14:15], exec
	s_and_b64 s[10:11], s[12:13], exec
.LBB958_125:
	s_or_b64 exec, exec, s[8:9]
	s_mov_b64 s[8:9], 0
	s_and_b64 vcc, exec, s[6:7]
	v_lshlrev_b32_e32 v54, 2, v0
	s_cbranch_vccnz .LBB958_127
	s_branch .LBB958_135
.LBB958_126:
                                        ; implicit-def: $sgpr0_sgpr1
                                        ; implicit-def: $vgpr3
                                        ; implicit-def: $vgpr10_vgpr11
                                        ; implicit-def: $vgpr12_vgpr13
                                        ; implicit-def: $vgpr14_vgpr15
                                        ; implicit-def: $vgpr16_vgpr17
                                        ; implicit-def: $vgpr18_vgpr19
                                        ; implicit-def: $vgpr20_vgpr21
                                        ; implicit-def: $vgpr22_vgpr23
                                        ; implicit-def: $vgpr24_vgpr25
                                        ; implicit-def: $vgpr26_vgpr27
                                        ; implicit-def: $vgpr28_vgpr29
                                        ; implicit-def: $vgpr30_vgpr31
                                        ; implicit-def: $vgpr32_vgpr33
                                        ; implicit-def: $vgpr34_vgpr35
                                        ; implicit-def: $vgpr36_vgpr37
                                        ; implicit-def: $vgpr38_vgpr39
                                        ; implicit-def: $vgpr40_vgpr41
                                        ; implicit-def: $vgpr42_vgpr43
                                        ; implicit-def: $vgpr44_vgpr45
                                        ; implicit-def: $vgpr46_vgpr47
                                        ; implicit-def: $vgpr48_vgpr49
                                        ; implicit-def: $vgpr50_vgpr51
                                        ; implicit-def: $vgpr52_vgpr53
                                        ; implicit-def: $sgpr8_sgpr9
	s_and_b64 vcc, exec, s[6:7]
	v_lshlrev_b32_e32 v54, 2, v0
	s_cbranch_vccz .LBB958_135
.LBB958_127:
	v_mov_b32_e32 v55, 0
	v_lshl_add_u64 v[2:3], s[76:77], 0, v[54:55]
	v_add_co_u32_e32 v4, vcc, 0x1000, v2
	s_movk_i32 s0, 0x58
	s_nop 0
	v_addc_co_u32_e32 v5, vcc, 0, v3, vcc
	flat_load_dword v8, v[2:3]
	flat_load_dword v9, v[2:3] offset:1024
	s_waitcnt lgkmcnt(0)
	flat_load_dword v10, v[2:3] offset:2048
	flat_load_dword v11, v[2:3] offset:3072
	flat_load_dword v12, v[4:5]
	flat_load_dword v13, v[4:5] offset:1024
	flat_load_dword v14, v[4:5] offset:2048
	;; [unrolled: 1-line block ×3, first 2 shown]
	v_add_co_u32_e32 v4, vcc, 0x2000, v2
	v_mad_u32_u24 v1, v0, s0, v54
	s_nop 0
	v_addc_co_u32_e32 v5, vcc, 0, v3, vcc
	v_add_co_u32_e32 v6, vcc, 0x3000, v2
	s_cmp_eq_u64 s[80:81], 0
	s_nop 0
	v_addc_co_u32_e32 v7, vcc, 0, v3, vcc
	flat_load_dword v16, v[4:5]
	flat_load_dword v17, v[4:5] offset:1024
	flat_load_dword v18, v[4:5] offset:2048
	;; [unrolled: 1-line block ×3, first 2 shown]
	flat_load_dword v20, v[6:7]
	flat_load_dword v21, v[6:7] offset:1024
	flat_load_dword v22, v[6:7] offset:2048
	flat_load_dword v23, v[6:7] offset:3072
	v_add_co_u32_e32 v4, vcc, 0x4000, v2
	s_nop 1
	v_addc_co_u32_e32 v5, vcc, 0, v3, vcc
	v_add_co_u32_e32 v2, vcc, 0x5000, v2
	s_nop 1
	v_addc_co_u32_e32 v3, vcc, 0, v3, vcc
	flat_load_dword v6, v[4:5]
	flat_load_dword v7, v[4:5] offset:1024
	flat_load_dword v24, v[4:5] offset:2048
	;; [unrolled: 1-line block ×3, first 2 shown]
	flat_load_dword v26, v[2:3]
	flat_load_dword v27, v[2:3] offset:1024
	flat_load_dword v28, v[2:3] offset:2048
	s_waitcnt vmcnt(0)
	ds_write2st64_b32 v54, v8, v9 offset1:4
	s_waitcnt lgkmcnt(0)
	ds_write2st64_b32 v54, v10, v11 offset0:8 offset1:12
	ds_write2st64_b32 v54, v12, v13 offset0:16 offset1:20
	;; [unrolled: 1-line block ×10, first 2 shown]
	ds_write_b32 v54, v28 offset:22528
	s_waitcnt lgkmcnt(0)
	s_barrier
	ds_read2_b32 v[14:15], v1 offset1:1
	ds_read2_b32 v[18:19], v1 offset0:2 offset1:3
	ds_read2_b32 v[22:23], v1 offset0:4 offset1:5
	;; [unrolled: 1-line block ×10, first 2 shown]
	ds_read_b32 v3, v1 offset:88
	s_cbranch_scc1 .LBB958_132
; %bb.128:
	s_andn2_b64 vcc, exec, s[78:79]
	s_cbranch_vccnz .LBB958_268
; %bb.129:
	s_lshl_b64 s[0:1], s[80:81], 2
	s_add_u32 s0, s62, s0
	s_addc_u32 s1, s63, s1
	s_add_u32 s0, s0, -4
	s_addc_u32 s1, s1, -1
	s_cbranch_execnz .LBB958_131
.LBB958_130:
	s_add_u32 s0, s76, -4
	s_addc_u32 s1, s77, -1
.LBB958_131:
	s_mov_b64 s[76:77], s[0:1]
.LBB958_132:
	v_mov_b64_e32 v[10:11], s[76:77]
	flat_load_dword v2, v[10:11]
	s_movk_i32 s0, 0xffa8
	v_mad_i32_i24 v10, v0, s0, v1
	s_waitcnt lgkmcnt(0)
	ds_write_b32 v10, v3 offset:23552
	s_waitcnt lgkmcnt(0)
	s_barrier
	s_and_saveexec_b64 s[0:1], s[4:5]
	s_cbranch_execz .LBB958_134
; %bb.133:
	s_waitcnt vmcnt(0)
	v_mul_i32_i24_e32 v2, 0xffffffa8, v0
	v_add_u32_e32 v2, v1, v2
	ds_read_b32 v2, v2 offset:23548
.LBB958_134:
	s_or_b64 exec, exec, s[0:1]
	v_mov_b32_e32 v55, 0
	v_lshl_add_u64 v[10:11], s[74:75], 0, v[54:55]
	s_movk_i32 s0, 0x1000
	v_add_co_u32_e32 v12, vcc, s0, v10
	s_movk_i32 s0, 0x2000
	s_nop 0
	v_addc_co_u32_e32 v13, vcc, 0, v11, vcc
	v_add_co_u32_e32 v16, vcc, s0, v10
	s_movk_i32 s0, 0x3000
	s_nop 0
	v_addc_co_u32_e32 v17, vcc, 0, v11, vcc
	;; [unrolled: 4-line block ×4, first 2 shown]
	v_add_co_u32_e32 v10, vcc, s0, v10
	s_waitcnt lgkmcnt(0)
	s_nop 0
	v_addc_co_u32_e32 v11, vcc, 0, v11, vcc
	s_barrier
	global_load_dword v28, v54, s[74:75]
	global_load_dword v29, v54, s[74:75] offset:1024
	global_load_dword v32, v54, s[74:75] offset:2048
	;; [unrolled: 1-line block ×3, first 2 shown]
	global_load_dword v36, v[16:17], off offset:-4096
	global_load_dword v37, v[16:17], off
	global_load_dword v40, v[16:17], off offset:1024
	global_load_dword v41, v[12:13], off offset:1024
	;; [unrolled: 1-line block ×9, first 2 shown]
	global_load_dword v51, v[24:25], off offset:-4096
	global_load_dword v52, v[24:25], off
	global_load_dword v53, v[24:25], off offset:1024
	global_load_dword v55, v[24:25], off offset:2048
	;; [unrolled: 1-line block ×3, first 2 shown]
	global_load_dword v12, v[10:11], off
	global_load_dword v13, v[10:11], off offset:1024
	global_load_dword v16, v[10:11], off offset:2048
	v_cmp_ne_u32_e64 s[0:1], v5, v3
	s_waitcnt vmcnt(0)
	v_cmp_ne_u32_e32 vcc, v2, v14
	s_mov_b64 s[10:11], -1
                                        ; implicit-def: $sgpr8_sgpr9
	v_sub_u32_e32 v3, 0, v28
	v_sub_u32_e32 v10, 0, v29
	;; [unrolled: 1-line block ×4, first 2 shown]
	ds_write2st64_b32 v54, v3, v10 offset1:4
	ds_write2st64_b32 v54, v11, v17 offset0:8 offset1:12
	v_sub_u32_e32 v3, 0, v36
	v_sub_u32_e32 v10, 0, v41
	;; [unrolled: 1-line block ×19, first 2 shown]
	ds_write2st64_b32 v54, v3, v10 offset0:16 offset1:20
	ds_write2st64_b32 v54, v11, v17 offset0:24 offset1:28
	;; [unrolled: 1-line block ×9, first 2 shown]
	ds_write_b32 v54, v16 offset:22528
	v_cndmask_b32_e64 v11, 0, 1, vcc
	v_cmp_ne_u32_e32 vcc, v14, v15
	s_waitcnt lgkmcnt(0)
	s_barrier
	v_cndmask_b32_e64 v13, 0, 1, vcc
	v_cmp_ne_u32_e32 vcc, v15, v18
	ds_read2_b32 v[16:17], v1 offset1:1
	ds_read2_b32 v[20:21], v1 offset0:2 offset1:3
	ds_read2_b32 v[24:25], v1 offset0:4 offset1:5
	;; [unrolled: 1-line block ×10, first 2 shown]
	ds_read_b32 v3, v1 offset:88
	v_cndmask_b32_e64 v15, 0, 1, vcc
	v_cmp_ne_u32_e32 vcc, v18, v19
	s_waitcnt lgkmcnt(11)
	v_mov_b32_e32 v12, v17
	v_mov_b32_e32 v10, v16
	v_cndmask_b32_e64 v17, 0, 1, vcc
	v_cmp_ne_u32_e32 vcc, v19, v22
	s_waitcnt lgkmcnt(10)
	v_mov_b32_e32 v16, v21
	v_mov_b32_e32 v14, v20
	v_cndmask_b32_e64 v19, 0, 1, vcc
	v_cmp_ne_u32_e32 vcc, v22, v23
	s_waitcnt lgkmcnt(9)
	v_mov_b32_e32 v20, v25
	v_mov_b32_e32 v18, v24
	v_cndmask_b32_e64 v21, 0, 1, vcc
	v_cmp_ne_u32_e32 vcc, v23, v26
	s_waitcnt lgkmcnt(8)
	v_mov_b32_e32 v24, v29
	v_mov_b32_e32 v22, v28
	v_cndmask_b32_e64 v23, 0, 1, vcc
	v_cmp_ne_u32_e32 vcc, v26, v27
	s_waitcnt lgkmcnt(7)
	v_mov_b32_e32 v28, v33
	v_mov_b32_e32 v26, v32
	v_cndmask_b32_e64 v25, 0, 1, vcc
	v_cmp_ne_u32_e32 vcc, v27, v30
	s_waitcnt lgkmcnt(6)
	v_mov_b32_e32 v32, v37
	s_waitcnt lgkmcnt(2)
	v_mov_b32_e32 v48, v51
	v_cndmask_b32_e64 v27, 0, 1, vcc
	v_cmp_ne_u32_e32 vcc, v30, v31
	v_mov_b32_e32 v30, v36
	v_mov_b32_e32 v36, v41
	v_cndmask_b32_e64 v29, 0, 1, vcc
	v_cmp_ne_u32_e32 vcc, v31, v34
	s_waitcnt lgkmcnt(1)
	v_mov_b32_e32 v52, v57
	v_cndmask_b32_e64 v31, 0, 1, vcc
	v_cmp_ne_u32_e32 vcc, v34, v35
	v_mov_b32_e32 v34, v40
	v_mov_b32_e32 v40, v45
	v_cndmask_b32_e64 v33, 0, 1, vcc
	v_cmp_ne_u32_e32 vcc, v35, v38
	s_nop 1
	v_cndmask_b32_e64 v35, 0, 1, vcc
	v_cmp_ne_u32_e32 vcc, v38, v39
	v_mov_b32_e32 v38, v44
	v_mov_b32_e32 v44, v47
	v_cndmask_b32_e64 v37, 0, 1, vcc
	v_cmp_ne_u32_e32 vcc, v39, v42
	s_nop 1
	v_cndmask_b32_e64 v39, 0, 1, vcc
	v_cmp_ne_u32_e32 vcc, v42, v43
	v_mov_b32_e32 v42, v46
	v_mov_b32_e32 v46, v50
	v_cndmask_b32_e64 v41, 0, 1, vcc
	v_cmp_ne_u32_e32 vcc, v43, v8
	v_mov_b32_e32 v50, v56
	s_nop 0
	v_cndmask_b32_e64 v43, 0, 1, vcc
	v_cmp_ne_u32_e32 vcc, v8, v9
	s_nop 1
	v_cndmask_b32_e64 v45, 0, 1, vcc
	v_cmp_ne_u32_e32 vcc, v9, v6
	;; [unrolled: 3-line block ×5, first 2 shown]
	s_nop 1
	v_cndmask_b32_e64 v53, 0, 1, vcc
.LBB958_135:
	v_mov_b64_e32 v[56:57], s[8:9]
	s_and_saveexec_b64 s[6:7], s[10:11]
	s_cbranch_execz .LBB958_137
; %bb.136:
	v_cndmask_b32_e64 v57, 0, 1, s[0:1]
	s_waitcnt lgkmcnt(0)
	v_mov_b32_e32 v56, v3
.LBB958_137:
	s_or_b64 exec, exec, s[6:7]
	s_mov_b32 s0, 0
	s_cmp_lg_u32 s67, 0
	v_or_b32_e32 v55, v57, v53
	v_lshrrev_b32_e32 v1, 5, v0
	v_cmp_gt_u32_e32 vcc, 64, v0
	s_waitcnt lgkmcnt(0)
	s_barrier
	s_cbranch_scc0 .LBB958_172
; %bb.138:
	s_mov_b32 s1, 1
	v_cmp_gt_u64_e64 s[6:7], s[0:1], v[12:13]
	v_cmp_gt_u64_e64 s[8:9], s[0:1], v[14:15]
	v_cmp_gt_u64_e64 s[10:11], s[0:1], v[16:17]
	v_cndmask_b32_e64 v2, 0, v10, s[6:7]
	v_add_u32_e32 v2, v2, v12
	v_cndmask_b32_e64 v2, 0, v2, s[8:9]
	v_add_u32_e32 v2, v2, v14
	v_cndmask_b32_e64 v2, 0, v2, s[10:11]
	v_add_u32_e32 v2, v2, v16
	v_cmp_gt_u64_e64 s[12:13], s[0:1], v[18:19]
	v_cmp_gt_u64_e64 s[14:15], s[0:1], v[20:21]
	v_cmp_gt_u64_e64 s[16:17], s[0:1], v[22:23]
	v_cndmask_b32_e64 v2, 0, v2, s[12:13]
	v_add_u32_e32 v2, v2, v18
	v_cndmask_b32_e64 v2, 0, v2, s[14:15]
	v_add_u32_e32 v2, v2, v20
	v_cndmask_b32_e64 v2, 0, v2, s[16:17]
	v_add_u32_e32 v2, v2, v22
	;; [unrolled: 9-line block ×7, first 2 shown]
	v_cmp_gt_u64_e64 s[50:51], s[0:1], v[56:57]
	s_nop 1
	v_cndmask_b32_e64 v2, 0, v2, s[50:51]
	v_add_u32_e32 v62, v2, v56
	v_or3_b32 v2, v55, v51, v49
	v_or3_b32 v2, v2, v47, v45
	;; [unrolled: 1-line block ×10, first 2 shown]
	v_and_b32_e32 v2, 1, v2
	v_cmp_eq_u32_e64 s[0:1], 1, v2
	v_add_lshl_u32 v2, v1, v0, 3
	s_nop 0
	v_cndmask_b32_e64 v63, v11, 1, s[0:1]
	ds_write_b32 v2, v62
	ds_write_b8 v2, v63 offset:4
	s_waitcnt lgkmcnt(0)
	s_barrier
	s_and_saveexec_b64 s[52:53], vcc
	s_cbranch_execz .LBB958_150
; %bb.139:
	v_lshrrev_b32_e32 v2, 3, v0
	v_add_lshl_u32 v4, v2, v54, 3
	ds_read2_b32 v[6:7], v4 offset0:2 offset1:4
	ds_read_b64 v[2:3], v4
	ds_read_u8 v8, v4 offset:12
	ds_read_u8 v9, v4 offset:20
	ds_read_b32 v58, v4 offset:24
	ds_read_u8 v59, v4 offset:28
	v_mov_b32_e32 v60, 0
	s_waitcnt lgkmcnt(0)
	v_cmp_eq_u16_sdwa s[0:1], v8, v60 src0_sel:BYTE_0 src1_sel:DWORD
	v_and_b32_e32 v5, 1, v3
	s_nop 0
	v_cndmask_b32_e64 v61, 0, v2, s[0:1]
	v_add_u32_e32 v6, v61, v6
	v_cmp_eq_u16_sdwa s[0:1], v9, v60 src0_sel:BYTE_0 src1_sel:DWORD
	s_nop 1
	v_cndmask_b32_e64 v6, 0, v6, s[0:1]
	v_add_u32_e32 v6, v6, v7
	v_cmp_eq_u16_e64 s[0:1], 0, v59
	s_nop 1
	v_cndmask_b32_e64 v6, 0, v6, s[0:1]
	v_add_u32_e32 v7, v6, v58
	v_or_b32_e32 v6, v59, v9
	v_or_b32_e32 v6, v6, v8
	v_and_b32_e32 v6, 1, v6
	v_cmp_eq_u32_e64 s[0:1], 1, v6
	v_mbcnt_lo_u32_b32 v8, -1, 0
	v_and_b32_e32 v6, 0xffffff00, v3
	v_cndmask_b32_e64 v9, v5, 1, s[0:1]
	v_mbcnt_hi_u32_b32 v8, -1, v8
	v_and_b32_e32 v59, 15, v8
	v_or_b32_sdwa v58, v6, v9 dst_sel:DWORD dst_unused:UNUSED_PAD src0_sel:DWORD src1_sel:WORD_0
	v_mov_b32_dpp v60, v7 row_shr:1 row_mask:0xf bank_mask:0xf
	v_cmp_ne_u32_e64 s[0:1], 0, v59
	v_mov_b32_dpp v61, v58 row_shr:1 row_mask:0xf bank_mask:0xf
	s_and_saveexec_b64 s[56:57], s[0:1]
; %bb.140:
	v_and_b32_e32 v58, 1, v9
	v_and_b32_e32 v61, 1, v61
	v_cmp_eq_u32_e64 s[0:1], 1, v58
	s_nop 1
	v_cndmask_b32_e64 v61, v61, 1, s[0:1]
	v_cmp_eq_u16_e64 s[0:1], 0, v9
	v_or_b32_sdwa v58, v6, v61 dst_sel:DWORD dst_unused:UNUSED_PAD src0_sel:DWORD src1_sel:WORD_0
	s_nop 0
	v_cndmask_b32_e64 v9, 0, v60, s[0:1]
	v_add_u32_e32 v7, v9, v7
	v_mov_b32_e32 v9, v61
; %bb.141:
	s_or_b64 exec, exec, s[56:57]
	v_mov_b32_dpp v60, v7 row_shr:2 row_mask:0xf bank_mask:0xf
	v_mov_b32_dpp v61, v58 row_shr:2 row_mask:0xf bank_mask:0xf
	v_cmp_lt_u32_e64 s[0:1], 1, v59
	s_and_saveexec_b64 s[56:57], s[0:1]
; %bb.142:
	v_and_b32_e32 v58, 1, v9
	v_and_b32_e32 v61, 1, v61
	v_cmp_eq_u32_e64 s[0:1], 1, v58
	s_nop 1
	v_cndmask_b32_e64 v61, v61, 1, s[0:1]
	v_cmp_eq_u16_e64 s[0:1], 0, v9
	v_or_b32_sdwa v58, v6, v61 dst_sel:DWORD dst_unused:UNUSED_PAD src0_sel:DWORD src1_sel:WORD_0
	s_nop 0
	v_cndmask_b32_e64 v9, 0, v60, s[0:1]
	v_add_u32_e32 v7, v9, v7
	v_mov_b32_e32 v9, v61
; %bb.143:
	s_or_b64 exec, exec, s[56:57]
	v_mov_b32_dpp v60, v7 row_shr:4 row_mask:0xf bank_mask:0xf
	v_mov_b32_dpp v61, v58 row_shr:4 row_mask:0xf bank_mask:0xf
	v_cmp_lt_u32_e64 s[0:1], 3, v59
	;; [unrolled: 18-line block ×3, first 2 shown]
	s_and_saveexec_b64 s[56:57], s[0:1]
; %bb.146:
	v_and_b32_e32 v58, 1, v9
	v_and_b32_e32 v59, 1, v61
	v_cmp_eq_u32_e64 s[0:1], 1, v58
	s_nop 1
	v_cndmask_b32_e64 v59, v59, 1, s[0:1]
	v_cmp_eq_u16_e64 s[0:1], 0, v9
	v_or_b32_sdwa v58, v6, v59 dst_sel:DWORD dst_unused:UNUSED_PAD src0_sel:DWORD src1_sel:WORD_0
	s_nop 0
	v_cndmask_b32_e64 v9, 0, v60, s[0:1]
	v_add_u32_e32 v7, v9, v7
	v_mov_b32_e32 v9, v59
; %bb.147:
	s_or_b64 exec, exec, s[56:57]
	v_and_b32_e32 v61, 16, v8
	v_mov_b32_dpp v59, v7 row_bcast:15 row_mask:0xf bank_mask:0xf
	v_mov_b32_dpp v60, v58 row_bcast:15 row_mask:0xf bank_mask:0xf
	v_cmp_ne_u32_e64 s[0:1], 0, v61
	s_and_saveexec_b64 s[56:57], s[0:1]
; %bb.148:
	v_and_b32_e32 v58, 1, v9
	v_and_b32_e32 v60, 1, v60
	v_cmp_eq_u32_e64 s[0:1], 1, v58
	s_nop 1
	v_cndmask_b32_e64 v60, v60, 1, s[0:1]
	v_cmp_eq_u16_e64 s[0:1], 0, v9
	v_or_b32_sdwa v58, v6, v60 dst_sel:DWORD dst_unused:UNUSED_PAD src0_sel:DWORD src1_sel:WORD_0
	s_nop 0
	v_cndmask_b32_e64 v9, 0, v59, s[0:1]
	v_add_u32_e32 v7, v9, v7
	v_mov_b32_e32 v9, v60
; %bb.149:
	s_or_b64 exec, exec, s[56:57]
	v_mov_b32_dpp v58, v58 row_bcast:31 row_mask:0xf bank_mask:0xf
	v_and_b32_e32 v60, 1, v9
	v_and_b32_e32 v58, 1, v58
	v_cmp_eq_u32_e64 s[0:1], 1, v60
	v_mov_b32_e32 v60, 0
	v_cmp_eq_u16_sdwa s[56:57], v9, v60 src0_sel:BYTE_0 src1_sel:DWORD
	v_cndmask_b32_e64 v58, v58, 1, s[0:1]
	v_cmp_lt_u32_e64 s[0:1], 31, v8
	v_mov_b32_dpp v59, v7 row_bcast:31 row_mask:0xf bank_mask:0xf
	s_movk_i32 s62, 0xff
	v_cndmask_b32_e64 v9, v9, v58, s[0:1]
	s_and_b64 s[0:1], s[0:1], s[56:57]
	v_cndmask_b32_e64 v58, 0, v59, s[0:1]
	v_add_u32_e32 v7, v58, v7
	v_add_u32_e32 v58, -1, v8
	v_and_b32_e32 v59, 64, v8
	v_cmp_lt_i32_e64 s[0:1], v58, v59
	v_and_or_b32 v6, v9, s62, v6
	s_nop 0
	v_cndmask_b32_e64 v8, v58, v8, s[0:1]
	v_lshlrev_b32_e32 v8, 2, v8
	ds_bpermute_b32 v7, v8, v7
	ds_bpermute_b32 v6, v8, v6
	v_cmp_eq_u16_sdwa s[0:1], v3, v60 src0_sel:BYTE_0 src1_sel:DWORD
	; wave barrier
	s_waitcnt lgkmcnt(0)
	s_nop 0
	v_cndmask_b32_e64 v3, 0, v7, s[0:1]
	v_add_u32_e32 v2, v3, v2
	v_and_b32_e32 v3, 1, v6
	v_cmp_eq_u32_e64 s[0:1], 1, v5
	v_cndmask_b32_e64 v5, v2, v62, s[54:55]
	s_nop 0
	v_cndmask_b32_e64 v3, v3, 1, s[0:1]
	v_cndmask_b32_e64 v6, v3, v63, s[54:55]
	ds_write_b32 v4, v5
	ds_write_b8 v4, v6 offset:4
	; wave barrier
	ds_read_u8 v7, v4 offset:12
	ds_read2_b32 v[2:3], v4 offset0:2 offset1:4
	ds_read_u8 v8, v4 offset:20
	ds_read_b32 v9, v4 offset:24
	ds_read_u8 v58, v4 offset:28
	s_waitcnt lgkmcnt(0)
	v_cmp_eq_u16_e64 s[0:1], 0, v7
	s_nop 1
	v_cndmask_b32_e64 v5, 0, v5, s[0:1]
	v_add_u32_e32 v2, v5, v2
	v_and_b32_e32 v5, 1, v7
	v_cmp_eq_u32_e64 s[0:1], 1, v5
	s_nop 1
	v_cndmask_b32_e64 v5, v6, 1, s[0:1]
	v_cmp_eq_u16_e64 s[0:1], 0, v8
	ds_write_b8 v4, v5 offset:12
	s_nop 0
	v_cndmask_b32_e64 v6, 0, v2, s[0:1]
	v_add_u32_e32 v3, v6, v3
	v_and_b32_e32 v6, 1, v8
	v_cmp_eq_u32_e64 s[0:1], 1, v6
	s_nop 1
	v_cndmask_b32_e64 v5, v5, 1, s[0:1]
	v_cmp_eq_u16_e64 s[0:1], 0, v58
	ds_write2_b32 v4, v2, v3 offset0:2 offset1:4
	ds_write_b8 v4, v5 offset:20
	v_cndmask_b32_e64 v2, 0, v3, s[0:1]
	v_and_b32_e32 v3, 1, v58
	v_add_u32_e32 v2, v2, v9
	v_cmp_eq_u32_e64 s[0:1], 1, v3
	s_nop 1
	v_cndmask_b32_e64 v3, v5, 1, s[0:1]
	ds_write_b32 v4, v2 offset:24
	ds_write_b8 v4, v3 offset:28
.LBB958_150:
	s_or_b64 exec, exec, s[52:53]
	s_waitcnt lgkmcnt(0)
	s_barrier
	s_and_saveexec_b64 s[0:1], s[4:5]
	s_cbranch_execz .LBB958_152
; %bb.151:
	v_add_u32_e32 v2, -1, v0
	v_lshrrev_b32_e32 v3, 5, v2
	v_add_lshl_u32 v2, v3, v2, 3
	ds_read_b32 v62, v2
	ds_read_u8 v63, v2 offset:4
.LBB958_152:
	s_or_b64 exec, exec, s[0:1]
	s_and_saveexec_b64 s[56:57], vcc
	s_cbranch_execz .LBB958_171
; %bb.153:
	v_mov_b32_e32 v5, 0
	ds_read_b64 v[2:3], v5 offset:2096
	v_mbcnt_lo_u32_b32 v4, -1, 0
	v_mbcnt_hi_u32_b32 v73, -1, v4
	s_mov_b32 s63, 0
	v_cmp_eq_u32_e64 s[52:53], 0, v73
	s_waitcnt lgkmcnt(0)
	v_readfirstlane_b32 s76, v3
	s_and_saveexec_b64 s[0:1], s[52:53]
	s_cbranch_execz .LBB958_155
; %bb.154:
	s_add_i32 s62, s67, 64
	s_lshl_b64 s[74:75], s[62:63], 4
	s_add_u32 s74, s64, s74
	s_addc_u32 s75, s65, s75
	s_and_b32 s79, s76, 0xff000000
	s_mov_b32 s78, s63
	s_and_b32 s81, s76, 0xff0000
	s_mov_b32 s80, s63
	s_or_b64 s[78:79], s[80:81], s[78:79]
	s_and_b32 s81, s76, 0xff00
	s_or_b64 s[78:79], s[78:79], s[80:81]
	s_and_b32 s81, s76, 0xff
	s_or_b64 s[62:63], s[78:79], s[80:81]
	v_mov_b32_e32 v3, s63
	v_mov_b32_e32 v4, 1
	v_mov_b64_e32 v[6:7], s[74:75]
	;;#ASMSTART
	global_store_dwordx4 v[6:7], v[2:5] off sc1	
s_waitcnt vmcnt(0)
	;;#ASMEND
.LBB958_155:
	s_or_b64 exec, exec, s[0:1]
	v_xad_u32 v58, v73, -1, s67
	v_add_u32_e32 v4, 64, v58
	v_lshl_add_u64 v[60:61], v[4:5], 4, s[64:65]
	;;#ASMSTART
	global_load_dwordx4 v[6:9], v[60:61] off sc1	
s_waitcnt vmcnt(0)
	;;#ASMEND
	s_nop 0
	v_and_b32_e32 v3, 0xff0000, v6
	v_and_b32_e32 v4, 0xff000000, v6
	;; [unrolled: 1-line block ×3, first 2 shown]
	v_or_b32_sdwa v3, v6, v3 dst_sel:DWORD dst_unused:UNUSED_PAD src0_sel:WORD_0 src1_sel:DWORD
	v_or3_b32 v7, 0, 0, v7
	v_or3_b32 v6, v3, v4, 0
	v_cmp_eq_u16_sdwa s[62:63], v8, v5 src0_sel:BYTE_0 src1_sel:DWORD
	s_and_saveexec_b64 s[0:1], s[62:63]
	s_cbranch_execz .LBB958_159
; %bb.156:
	s_mov_b64 s[62:63], 0
	v_mov_b32_e32 v3, 0
.LBB958_157:                            ; =>This Inner Loop Header: Depth=1
	;;#ASMSTART
	global_load_dwordx4 v[6:9], v[60:61] off sc1	
s_waitcnt vmcnt(0)
	;;#ASMEND
	s_nop 0
	v_cmp_ne_u16_sdwa s[74:75], v8, v3 src0_sel:BYTE_0 src1_sel:DWORD
	s_or_b64 s[62:63], s[74:75], s[62:63]
	s_andn2_b64 exec, exec, s[62:63]
	s_cbranch_execnz .LBB958_157
; %bb.158:
	s_or_b64 exec, exec, s[62:63]
	v_and_b32_e32 v7, 0xff, v7
.LBB958_159:
	s_or_b64 exec, exec, s[0:1]
	v_mov_b32_e32 v3, 2
	v_cmp_eq_u16_sdwa s[0:1], v8, v3 src0_sel:BYTE_0 src1_sel:DWORD
	v_lshlrev_b64 v[4:5], v73, -1
	v_and_b32_e32 v64, 63, v73
	v_and_b32_e32 v9, s1, v5
	v_or_b32_e32 v9, 0x80000000, v9
	v_and_b32_e32 v59, s0, v4
	v_ffbl_b32_e32 v9, v9
	v_add_u32_e32 v9, 32, v9
	v_ffbl_b32_e32 v59, v59
	v_cmp_ne_u32_e32 vcc, 63, v64
	v_min_u32_e32 v9, v59, v9
	s_mov_b32 s62, 0
	v_addc_co_u32_e32 v59, vcc, 0, v73, vcc
	v_lshlrev_b32_e32 v65, 2, v59
	ds_bpermute_b32 v59, v65, v7
	ds_bpermute_b32 v60, v65, v6
	v_and_b32_e32 v61, 1, v7
	s_mov_b32 s63, 1
	v_cmp_eq_u32_e32 vcc, 1, v61
	s_waitcnt lgkmcnt(0)
	v_and_b32_e32 v59, 1, v59
	v_cmp_lt_u32_e64 s[0:1], v64, v9
	v_cndmask_b32_e64 v59, v59, 1, vcc
	v_cmp_gt_u64_e32 vcc, s[62:63], v[6:7]
	s_and_b64 vcc, s[0:1], vcc
	v_and_b32_e32 v61, 0xffff, v59
	v_cndmask_b32_e64 v68, v7, v59, s[0:1]
	v_cndmask_b32_e32 v59, 0, v60, vcc
	v_cmp_gt_u32_e32 vcc, 62, v64
	v_cndmask_b32_e64 v7, v7, v61, s[0:1]
	v_add_u32_e32 v6, v59, v6
	v_cndmask_b32_e64 v60, 0, 1, vcc
	v_lshlrev_b32_e32 v60, 1, v60
	v_add_lshl_u32 v66, v60, v73, 2
	ds_bpermute_b32 v60, v66, v7
	ds_bpermute_b32 v61, v66, v6
	v_and_b32_e32 v59, 1, v68
	v_cmp_eq_u32_e32 vcc, 1, v59
	v_mov_b32_e32 v59, 0
	s_waitcnt lgkmcnt(0)
	v_and_b32_e32 v60, 1, v60
	v_add_u32_e32 v67, 2, v64
	v_cndmask_b32_e64 v60, v60, 1, vcc
	v_cmp_eq_u16_sdwa vcc, v68, v59 src0_sel:BYTE_0 src1_sel:DWORD
	v_and_b32_e32 v69, 0xffff, v60
	v_add_u32_e32 v77, 32, v64
	v_cndmask_b32_e32 v61, 0, v61, vcc
	v_cmp_gt_u32_e32 vcc, v67, v9
	s_nop 1
	v_cndmask_b32_e32 v60, v60, v68, vcc
	v_cndmask_b32_e64 v61, v61, 0, vcc
	v_cndmask_b32_e32 v7, v69, v7, vcc
	v_cmp_gt_u32_e32 vcc, 60, v64
	v_add_u32_e32 v6, v61, v6
	v_and_b32_e32 v71, 1, v60
	v_cndmask_b32_e64 v68, 0, 1, vcc
	v_lshlrev_b32_e32 v68, 2, v68
	v_add_lshl_u32 v68, v68, v73, 2
	s_waitcnt vmcnt(0)
	ds_bpermute_b32 v70, v68, v7
	ds_bpermute_b32 v61, v68, v6
	v_cmp_eq_u32_e32 vcc, 1, v71
	v_add_u32_e32 v69, 4, v64
	s_waitcnt lgkmcnt(1)
	v_and_b32_e32 v70, 1, v70
	v_cndmask_b32_e64 v70, v70, 1, vcc
	v_cmp_eq_u16_sdwa vcc, v60, v59 src0_sel:BYTE_0 src1_sel:DWORD
	v_and_b32_e32 v71, 0xffff, v70
	s_waitcnt lgkmcnt(0)
	v_cndmask_b32_e32 v61, 0, v61, vcc
	v_cmp_gt_u32_e32 vcc, v69, v9
	s_nop 1
	v_cndmask_b32_e32 v60, v70, v60, vcc
	v_cndmask_b32_e64 v61, v61, 0, vcc
	v_cndmask_b32_e32 v7, v71, v7, vcc
	v_cmp_gt_u32_e32 vcc, 56, v64
	v_add_u32_e32 v6, v61, v6
	v_and_b32_e32 v74, 1, v60
	v_cndmask_b32_e64 v70, 0, 1, vcc
	v_lshlrev_b32_e32 v70, 3, v70
	v_add_lshl_u32 v70, v70, v73, 2
	ds_bpermute_b32 v72, v70, v7
	ds_bpermute_b32 v61, v70, v6
	v_cmp_eq_u32_e32 vcc, 1, v74
	v_add_u32_e32 v71, 8, v64
	s_waitcnt lgkmcnt(1)
	v_and_b32_e32 v72, 1, v72
	v_cndmask_b32_e64 v72, v72, 1, vcc
	v_cmp_eq_u16_sdwa vcc, v60, v59 src0_sel:BYTE_0 src1_sel:DWORD
	v_and_b32_e32 v74, 0xffff, v72
	s_waitcnt lgkmcnt(0)
	v_cndmask_b32_e32 v61, 0, v61, vcc
	v_cmp_gt_u32_e32 vcc, v71, v9
	s_nop 1
	v_cndmask_b32_e32 v60, v72, v60, vcc
	v_cndmask_b32_e64 v61, v61, 0, vcc
	v_cndmask_b32_e32 v7, v74, v7, vcc
	v_cmp_gt_u32_e32 vcc, 48, v64
	v_add_u32_e32 v6, v61, v6
	v_and_b32_e32 v76, 1, v60
	v_cndmask_b32_e64 v72, 0, 1, vcc
	v_lshlrev_b32_e32 v72, 4, v72
	v_add_lshl_u32 v72, v72, v73, 2
	ds_bpermute_b32 v75, v72, v7
	ds_bpermute_b32 v61, v72, v6
	v_cmp_eq_u32_e32 vcc, 1, v76
	v_add_u32_e32 v74, 16, v64
	s_waitcnt lgkmcnt(1)
	v_and_b32_e32 v75, 1, v75
	v_cndmask_b32_e64 v75, v75, 1, vcc
	v_cmp_eq_u16_sdwa vcc, v60, v59 src0_sel:BYTE_0 src1_sel:DWORD
	v_and_b32_e32 v76, 0xffff, v75
	s_waitcnt lgkmcnt(0)
	v_cndmask_b32_e32 v61, 0, v61, vcc
	v_cmp_gt_u32_e32 vcc, v74, v9
	s_nop 1
	v_cndmask_b32_e32 v60, v75, v60, vcc
	v_cndmask_b32_e64 v61, v61, 0, vcc
	v_cndmask_b32_e32 v7, v76, v7, vcc
	v_cmp_gt_u32_e32 vcc, 32, v64
	v_add_u32_e32 v6, v61, v6
	s_nop 0
	v_cndmask_b32_e64 v75, 0, 1, vcc
	v_lshlrev_b32_e32 v75, 5, v75
	v_add_lshl_u32 v76, v75, v73, 2
	ds_bpermute_b32 v7, v76, v7
	ds_bpermute_b32 v61, v76, v6
	v_and_b32_e32 v73, 1, v60
	v_cmp_eq_u32_e32 vcc, 1, v73
	s_waitcnt lgkmcnt(1)
	v_and_b32_e32 v7, 1, v7
	v_cndmask_b32_e64 v7, v7, 1, vcc
	v_cmp_eq_u16_sdwa vcc, v60, v59 src0_sel:BYTE_0 src1_sel:DWORD
	s_waitcnt lgkmcnt(0)
	s_nop 0
	v_cndmask_b32_e32 v61, 0, v61, vcc
	v_cmp_gt_u32_e32 vcc, v77, v9
	s_nop 1
	v_cndmask_b32_e64 v9, v61, 0, vcc
	v_cndmask_b32_e32 v7, v7, v60, vcc
	v_add_u32_e32 v6, v9, v6
	s_branch .LBB958_161
.LBB958_160:                            ;   in Loop: Header=BB958_161 Depth=1
	s_or_b64 exec, exec, s[0:1]
	v_cmp_eq_u16_sdwa s[0:1], v8, v3 src0_sel:BYTE_0 src1_sel:DWORD
	ds_bpermute_b32 v61, v65, v7
	v_and_b32_e32 v78, 1, v7
	v_and_b32_e32 v9, s1, v5
	v_or_b32_e32 v9, 0x80000000, v9
	v_and_b32_e32 v60, s0, v4
	v_ffbl_b32_e32 v9, v9
	v_add_u32_e32 v9, 32, v9
	v_ffbl_b32_e32 v60, v60
	v_min_u32_e32 v9, v60, v9
	ds_bpermute_b32 v60, v65, v6
	s_waitcnt lgkmcnt(1)
	v_and_b32_e32 v61, 1, v61
	v_cmp_eq_u32_e32 vcc, 1, v78
	v_cmp_lt_u32_e64 s[0:1], v64, v9
	v_subrev_u32_e32 v58, 64, v58
	v_cndmask_b32_e64 v61, v61, 1, vcc
	v_cmp_gt_u64_e32 vcc, s[62:63], v[6:7]
	v_and_b32_e32 v78, 0xffff, v61
	v_cndmask_b32_e64 v61, v7, v61, s[0:1]
	v_cndmask_b32_e64 v7, v7, v78, s[0:1]
	s_and_b64 vcc, s[0:1], vcc
	ds_bpermute_b32 v78, v66, v7
	s_waitcnt lgkmcnt(1)
	v_cndmask_b32_e32 v60, 0, v60, vcc
	v_add_u32_e32 v6, v60, v6
	ds_bpermute_b32 v60, v66, v6
	v_and_b32_e32 v79, 1, v61
	s_waitcnt lgkmcnt(1)
	v_and_b32_e32 v78, 1, v78
	v_cmp_eq_u32_e32 vcc, 1, v79
	s_nop 1
	v_cndmask_b32_e64 v78, v78, 1, vcc
	v_cmp_eq_u16_sdwa vcc, v61, v59 src0_sel:BYTE_0 src1_sel:DWORD
	v_and_b32_e32 v79, 0xffff, v78
	s_waitcnt lgkmcnt(0)
	v_cndmask_b32_e32 v60, 0, v60, vcc
	v_cmp_gt_u32_e32 vcc, v67, v9
	s_nop 1
	v_cndmask_b32_e32 v7, v79, v7, vcc
	v_cndmask_b32_e32 v61, v78, v61, vcc
	ds_bpermute_b32 v78, v68, v7
	v_cndmask_b32_e64 v60, v60, 0, vcc
	v_add_u32_e32 v6, v60, v6
	ds_bpermute_b32 v60, v68, v6
	v_and_b32_e32 v79, 1, v61
	s_waitcnt lgkmcnt(1)
	v_and_b32_e32 v78, 1, v78
	v_cmp_eq_u32_e32 vcc, 1, v79
	s_nop 1
	v_cndmask_b32_e64 v78, v78, 1, vcc
	v_cmp_eq_u16_sdwa vcc, v61, v59 src0_sel:BYTE_0 src1_sel:DWORD
	v_and_b32_e32 v79, 0xffff, v78
	s_waitcnt lgkmcnt(0)
	v_cndmask_b32_e32 v60, 0, v60, vcc
	v_cmp_gt_u32_e32 vcc, v69, v9
	s_nop 1
	v_cndmask_b32_e32 v7, v79, v7, vcc
	v_cndmask_b32_e32 v61, v78, v61, vcc
	ds_bpermute_b32 v78, v70, v7
	v_cndmask_b32_e64 v60, v60, 0, vcc
	;; [unrolled: 18-line block ×3, first 2 shown]
	v_add_u32_e32 v6, v60, v6
	ds_bpermute_b32 v60, v72, v6
	v_and_b32_e32 v79, 1, v61
	s_waitcnt lgkmcnt(1)
	v_and_b32_e32 v78, 1, v78
	v_cmp_eq_u32_e32 vcc, 1, v79
	s_nop 1
	v_cndmask_b32_e64 v78, v78, 1, vcc
	v_cmp_eq_u16_sdwa vcc, v61, v59 src0_sel:BYTE_0 src1_sel:DWORD
	v_and_b32_e32 v79, 0xffff, v78
	s_waitcnt lgkmcnt(0)
	v_cndmask_b32_e32 v60, 0, v60, vcc
	v_cmp_gt_u32_e32 vcc, v74, v9
	s_nop 1
	v_cndmask_b32_e64 v60, v60, 0, vcc
	v_cndmask_b32_e32 v7, v79, v7, vcc
	ds_bpermute_b32 v7, v76, v7
	v_add_u32_e32 v6, v60, v6
	ds_bpermute_b32 v60, v76, v6
	v_cndmask_b32_e32 v61, v78, v61, vcc
	v_and_b32_e32 v78, 1, v61
	v_cmp_eq_u32_e32 vcc, 1, v78
	s_waitcnt lgkmcnt(1)
	s_nop 0
	v_cndmask_b32_e64 v7, v7, 1, vcc
	v_cmp_eq_u16_sdwa vcc, v61, v59 src0_sel:BYTE_0 src1_sel:DWORD
	s_waitcnt lgkmcnt(0)
	s_nop 0
	v_cndmask_b32_e32 v60, 0, v60, vcc
	v_cmp_gt_u32_e32 vcc, v77, v9
	s_nop 1
	v_cndmask_b32_e64 v9, v60, 0, vcc
	v_cndmask_b32_e32 v7, v7, v61, vcc
	v_add_u32_e32 v6, v9, v6
	v_cmp_eq_u16_sdwa vcc, v73, v59 src0_sel:BYTE_0 src1_sel:DWORD
	v_and_b32_e32 v9, 1, v73
	v_and_b32_e32 v7, 1, v7
	v_cndmask_b32_e32 v6, 0, v6, vcc
	v_cmp_eq_u32_e32 vcc, 1, v9
	v_add_u32_e32 v6, v6, v75
	s_nop 0
	v_cndmask_b32_e64 v7, v7, 1, vcc
.LBB958_161:                            ; =>This Loop Header: Depth=1
                                        ;     Child Loop BB958_164 Depth 2
	v_cmp_ne_u16_sdwa s[0:1], v8, v3 src0_sel:BYTE_0 src1_sel:DWORD
	v_mov_b32_e32 v73, v7
	v_mov_b32_e32 v75, v6
	v_cndmask_b32_e64 v7, 0, 1, s[0:1]
	;;#ASMSTART
	;;#ASMEND
	s_nop 0
	v_cmp_ne_u32_e32 vcc, 0, v7
	s_cmp_lg_u64 vcc, exec
	s_cbranch_scc1 .LBB958_166
; %bb.162:                              ;   in Loop: Header=BB958_161 Depth=1
	v_lshl_add_u64 v[60:61], v[58:59], 4, s[64:65]
	;;#ASMSTART
	global_load_dwordx4 v[6:9], v[60:61] off sc1	
s_waitcnt vmcnt(0)
	;;#ASMEND
	s_nop 0
	v_and_b32_e32 v9, 0xff0000, v6
	v_and_b32_e32 v78, 0xff000000, v6
	;; [unrolled: 1-line block ×3, first 2 shown]
	v_or_b32_sdwa v6, v6, v9 dst_sel:DWORD dst_unused:UNUSED_PAD src0_sel:WORD_0 src1_sel:DWORD
	v_or3_b32 v7, 0, 0, v7
	v_or3_b32 v6, v6, v78, 0
	v_cmp_eq_u16_sdwa s[74:75], v8, v59 src0_sel:BYTE_0 src1_sel:DWORD
	s_and_saveexec_b64 s[0:1], s[74:75]
	s_cbranch_execz .LBB958_160
; %bb.163:                              ;   in Loop: Header=BB958_161 Depth=1
	s_mov_b64 s[74:75], 0
.LBB958_164:                            ;   Parent Loop BB958_161 Depth=1
                                        ; =>  This Inner Loop Header: Depth=2
	;;#ASMSTART
	global_load_dwordx4 v[6:9], v[60:61] off sc1	
s_waitcnt vmcnt(0)
	;;#ASMEND
	s_nop 0
	v_cmp_ne_u16_sdwa s[78:79], v8, v59 src0_sel:BYTE_0 src1_sel:DWORD
	s_or_b64 s[74:75], s[78:79], s[74:75]
	s_andn2_b64 exec, exec, s[74:75]
	s_cbranch_execnz .LBB958_164
; %bb.165:                              ;   in Loop: Header=BB958_161 Depth=1
	s_or_b64 exec, exec, s[74:75]
	v_and_b32_e32 v7, 0xff, v7
	s_branch .LBB958_160
.LBB958_166:                            ;   in Loop: Header=BB958_161 Depth=1
                                        ; implicit-def: $vgpr7
                                        ; implicit-def: $vgpr6
                                        ; implicit-def: $vgpr8
	s_cbranch_execz .LBB958_161
; %bb.167:
	s_and_saveexec_b64 s[0:1], s[52:53]
	s_cbranch_execz .LBB958_169
; %bb.168:
	s_and_b32 s52, s76, 0xff
	s_cmp_eq_u32 s52, 0
	s_cselect_b64 vcc, -1, 0
	s_bitcmp1_b32 s76, 0
	s_mov_b32 s53, 0
	s_cselect_b64 s[62:63], -1, 0
	s_add_i32 s52, s67, 64
	s_lshl_b64 s[52:53], s[52:53], 4
	v_cndmask_b32_e32 v3, 0, v75, vcc
	s_add_u32 s52, s64, s52
	v_add_u32_e32 v2, v3, v2
	v_and_b32_e32 v3, 1, v73
	s_addc_u32 s53, s65, s53
	v_mov_b32_e32 v5, 0
	v_cndmask_b32_e64 v3, v3, 1, s[62:63]
	v_mov_b32_e32 v4, 2
	v_mov_b64_e32 v[6:7], s[52:53]
	;;#ASMSTART
	global_store_dwordx4 v[6:7], v[2:5] off sc1	
s_waitcnt vmcnt(0)
	;;#ASMEND
.LBB958_169:
	s_or_b64 exec, exec, s[0:1]
	s_and_b64 exec, exec, s[54:55]
	s_cbranch_execz .LBB958_171
; %bb.170:
	v_mov_b32_e32 v2, 0
	ds_write_b32 v2, v75
	ds_write_b8 v2, v73 offset:4
.LBB958_171:
	s_or_b64 exec, exec, s[56:57]
	s_mov_b32 s0, 0
	v_mov_b32_e32 v2, 0
	s_mov_b32 s1, 1
	s_waitcnt lgkmcnt(0)
	s_barrier
	ds_read_b32 v3, v2
	v_cmp_gt_u64_e32 vcc, s[0:1], v[10:11]
	v_and_b32_e32 v5, 1, v11
	v_and_b32_e32 v6, 1, v63
	v_cndmask_b32_e32 v4, 0, v62, vcc
	v_cmp_eq_u32_e32 vcc, 1, v5
	v_cndmask_b32_e64 v4, v4, 0, s[54:55]
	s_nop 0
	v_cndmask_b32_e64 v5, v6, 1, vcc
	v_cndmask_b32_e64 v5, v5, v11, s[54:55]
	v_cmp_eq_u16_sdwa vcc, v5, v2 src0_sel:BYTE_0 src1_sel:DWORD
	s_waitcnt lgkmcnt(0)
	s_nop 0
	v_cndmask_b32_e32 v2, 0, v3, vcc
	v_add3_u32 v80, v4, v10, v2
	v_cndmask_b32_e64 v2, 0, v80, s[6:7]
	v_add_u32_e32 v58, v2, v12
	v_cndmask_b32_e64 v2, 0, v58, s[8:9]
	v_add_u32_e32 v59, v2, v14
	;; [unrolled: 2-line block ×12, first 2 shown]
	v_cndmask_b32_e64 v2, 0, v69, s[30:31]
	s_waitcnt vmcnt(0)
	v_add_u32_e32 v70, v2, v36
	v_cndmask_b32_e64 v2, 0, v70, s[34:35]
	v_add_u32_e32 v71, v2, v38
	v_cndmask_b32_e64 v2, 0, v71, s[36:37]
	;; [unrolled: 2-line block ×9, first 2 shown]
	v_add_u32_e32 v79, v2, v56
	s_branch .LBB958_192
.LBB958_172:
                                        ; implicit-def: $vgpr78
                                        ; implicit-def: $vgpr77
                                        ; implicit-def: $vgpr76
                                        ; implicit-def: $vgpr75
                                        ; implicit-def: $vgpr74
                                        ; implicit-def: $vgpr73
                                        ; implicit-def: $vgpr72
                                        ; implicit-def: $vgpr71
                                        ; implicit-def: $vgpr70
                                        ; implicit-def: $vgpr69
                                        ; implicit-def: $vgpr68
                                        ; implicit-def: $vgpr67
                                        ; implicit-def: $vgpr66
                                        ; implicit-def: $vgpr65
                                        ; implicit-def: $vgpr64
                                        ; implicit-def: $vgpr63
                                        ; implicit-def: $vgpr62
                                        ; implicit-def: $vgpr61
                                        ; implicit-def: $vgpr60
                                        ; implicit-def: $vgpr59
                                        ; implicit-def: $vgpr58
                                        ; implicit-def: $vgpr80
                                        ; implicit-def: $vgpr79
	s_cbranch_execz .LBB958_192
; %bb.173:
	s_cmp_lg_u64 s[72:73], 0
	s_cselect_b32 s9, s59, 0
	s_cselect_b32 s8, s58, 0
	s_cmp_lg_u64 s[8:9], 0
	s_cselect_b64 s[6:7], -1, 0
	s_mov_b32 s0, 0
	s_and_b64 s[10:11], s[54:55], s[6:7]
	s_and_saveexec_b64 s[6:7], s[10:11]
	s_cbranch_execz .LBB958_175
; %bb.174:
	v_mov_b32_e32 v2, 0
	global_load_dword v4, v2, s[8:9]
	global_load_ubyte v5, v2, s[8:9] offset:4
	s_mov_b32 s1, 1
	v_and_b32_e32 v3, 1, v11
	v_cmp_gt_u64_e32 vcc, s[0:1], v[10:11]
	s_waitcnt vmcnt(0)
	v_and_b32_e32 v5, 1, v5
	v_cndmask_b32_e32 v4, 0, v4, vcc
	v_cmp_eq_u64_e32 vcc, 0, v[2:3]
	v_add_u32_e32 v10, v4, v10
	s_nop 0
	v_cndmask_b32_e32 v11, 1, v5, vcc
.LBB958_175:
	s_or_b64 exec, exec, s[6:7]
	s_mov_b32 s1, 1
	v_cmp_gt_u64_e32 vcc, s[0:1], v[12:13]
	v_cmp_gt_u64_e64 s[6:7], s[0:1], v[14:15]
	v_cmp_gt_u64_e64 s[8:9], s[0:1], v[16:17]
	v_cndmask_b32_e32 v2, 0, v10, vcc
	v_add_u32_e32 v58, v2, v12
	v_cndmask_b32_e64 v2, 0, v58, s[6:7]
	v_add_u32_e32 v59, v2, v14
	v_cndmask_b32_e64 v2, 0, v59, s[8:9]
	v_add_u32_e32 v60, v2, v16
	v_cmp_gt_u64_e64 s[10:11], s[0:1], v[18:19]
	v_cmp_gt_u64_e64 s[12:13], s[0:1], v[20:21]
	v_cmp_gt_u64_e64 s[14:15], s[0:1], v[22:23]
	v_cndmask_b32_e64 v2, 0, v60, s[10:11]
	v_add_u32_e32 v61, v2, v18
	v_cndmask_b32_e64 v2, 0, v61, s[12:13]
	v_add_u32_e32 v62, v2, v20
	v_cndmask_b32_e64 v2, 0, v62, s[14:15]
	v_add_u32_e32 v63, v2, v22
	v_cmp_gt_u64_e64 s[16:17], s[0:1], v[24:25]
	v_cmp_gt_u64_e64 s[18:19], s[0:1], v[26:27]
	v_cmp_gt_u64_e64 s[20:21], s[0:1], v[28:29]
	v_cndmask_b32_e64 v2, 0, v63, s[16:17]
	;; [unrolled: 9-line block ×4, first 2 shown]
	s_waitcnt vmcnt(0)
	v_add_u32_e32 v70, v2, v36
	v_cndmask_b32_e64 v2, 0, v70, s[30:31]
	v_add_u32_e32 v71, v2, v38
	v_cndmask_b32_e64 v2, 0, v71, s[34:35]
	v_add_u32_e32 v72, v2, v40
	v_cmp_gt_u64_e64 s[36:37], s[0:1], v[42:43]
	v_cmp_gt_u64_e64 s[38:39], s[0:1], v[44:45]
	;; [unrolled: 1-line block ×3, first 2 shown]
	v_cndmask_b32_e64 v2, 0, v72, s[36:37]
	v_add_u32_e32 v73, v2, v42
	v_cndmask_b32_e64 v2, 0, v73, s[38:39]
	v_add_u32_e32 v74, v2, v44
	;; [unrolled: 2-line block ×3, first 2 shown]
	v_cmp_gt_u64_e64 s[42:43], s[0:1], v[48:49]
	v_cmp_gt_u64_e64 s[44:45], s[0:1], v[50:51]
	v_cmp_gt_u64_e64 s[46:47], s[0:1], v[52:53]
	v_cndmask_b32_e64 v2, 0, v75, s[42:43]
	v_add_u32_e32 v76, v2, v48
	v_cndmask_b32_e64 v2, 0, v76, s[44:45]
	v_add_u32_e32 v77, v2, v50
	;; [unrolled: 2-line block ×3, first 2 shown]
	v_cmp_gt_u64_e64 s[48:49], s[0:1], v[56:57]
	v_add_lshl_u32 v1, v1, v0, 3
	s_nop 0
	v_cndmask_b32_e64 v2, 0, v78, s[48:49]
	v_add_u32_e32 v79, v2, v56
	v_or3_b32 v2, v55, v51, v49
	v_or3_b32 v2, v2, v47, v45
	;; [unrolled: 1-line block ×10, first 2 shown]
	v_and_b32_e32 v2, 1, v2
	v_cmp_eq_u32_e64 s[0:1], 1, v2
	s_nop 1
	v_cndmask_b32_e64 v4, v11, 1, s[0:1]
	v_cmp_gt_u32_e64 s[0:1], 64, v0
	ds_write_b32 v1, v79
	ds_write_b8 v1, v4 offset:4
	s_waitcnt lgkmcnt(0)
	s_barrier
	s_and_saveexec_b64 s[50:51], s[0:1]
	s_cbranch_execz .LBB958_187
; %bb.176:
	v_lshrrev_b32_e32 v1, 3, v0
	v_add_lshl_u32 v1, v1, v54, 3
	ds_read2_b32 v[6:7], v1 offset0:2 offset1:4
	ds_read_b64 v[2:3], v1
	ds_read_u8 v8, v1 offset:12
	ds_read_u8 v9, v1 offset:20
	ds_read_b32 v13, v1 offset:24
	ds_read_u8 v15, v1 offset:28
	v_mov_b32_e32 v17, 0
	s_waitcnt lgkmcnt(3)
	v_cmp_eq_u16_sdwa s[0:1], v8, v17 src0_sel:BYTE_0 src1_sel:DWORD
	v_and_b32_e32 v5, 1, v3
	s_nop 0
	v_cndmask_b32_e64 v19, 0, v2, s[0:1]
	v_add_u32_e32 v6, v19, v6
	s_waitcnt lgkmcnt(2)
	v_cmp_eq_u16_sdwa s[0:1], v9, v17 src0_sel:BYTE_0 src1_sel:DWORD
	s_nop 1
	v_cndmask_b32_e64 v6, 0, v6, s[0:1]
	v_add_u32_e32 v6, v6, v7
	s_waitcnt lgkmcnt(0)
	v_cmp_eq_u16_e64 s[0:1], 0, v15
	s_nop 1
	v_cndmask_b32_e64 v6, 0, v6, s[0:1]
	v_add_u32_e32 v7, v6, v13
	v_or_b32_e32 v6, v15, v9
	v_or_b32_e32 v6, v6, v8
	v_and_b32_e32 v6, 1, v6
	v_cmp_eq_u32_e64 s[0:1], 1, v6
	v_mbcnt_lo_u32_b32 v8, -1, 0
	v_and_b32_e32 v6, 0xffffff00, v3
	v_cndmask_b32_e64 v9, v5, 1, s[0:1]
	v_mbcnt_hi_u32_b32 v8, -1, v8
	v_and_b32_e32 v15, 15, v8
	v_or_b32_sdwa v13, v6, v9 dst_sel:DWORD dst_unused:UNUSED_PAD src0_sel:DWORD src1_sel:WORD_0
	v_mov_b32_dpp v17, v7 row_shr:1 row_mask:0xf bank_mask:0xf
	v_cmp_ne_u32_e64 s[0:1], 0, v15
	v_mov_b32_dpp v19, v13 row_shr:1 row_mask:0xf bank_mask:0xf
	s_and_saveexec_b64 s[52:53], s[0:1]
; %bb.177:
	v_and_b32_e32 v13, 1, v9
	v_and_b32_e32 v19, 1, v19
	v_cmp_eq_u32_e64 s[0:1], 1, v13
	s_nop 1
	v_cndmask_b32_e64 v19, v19, 1, s[0:1]
	v_cmp_eq_u16_e64 s[0:1], 0, v9
	v_or_b32_sdwa v13, v6, v19 dst_sel:DWORD dst_unused:UNUSED_PAD src0_sel:DWORD src1_sel:WORD_0
	s_nop 0
	v_cndmask_b32_e64 v9, 0, v17, s[0:1]
	v_add_u32_e32 v7, v9, v7
	v_mov_b32_e32 v9, v19
; %bb.178:
	s_or_b64 exec, exec, s[52:53]
	v_mov_b32_dpp v17, v7 row_shr:2 row_mask:0xf bank_mask:0xf
	v_mov_b32_dpp v19, v13 row_shr:2 row_mask:0xf bank_mask:0xf
	v_cmp_lt_u32_e64 s[0:1], 1, v15
	s_and_saveexec_b64 s[52:53], s[0:1]
; %bb.179:
	v_and_b32_e32 v13, 1, v9
	v_and_b32_e32 v19, 1, v19
	v_cmp_eq_u32_e64 s[0:1], 1, v13
	s_nop 1
	v_cndmask_b32_e64 v19, v19, 1, s[0:1]
	v_cmp_eq_u16_e64 s[0:1], 0, v9
	v_or_b32_sdwa v13, v6, v19 dst_sel:DWORD dst_unused:UNUSED_PAD src0_sel:DWORD src1_sel:WORD_0
	s_nop 0
	v_cndmask_b32_e64 v9, 0, v17, s[0:1]
	v_add_u32_e32 v7, v9, v7
	v_mov_b32_e32 v9, v19
; %bb.180:
	s_or_b64 exec, exec, s[52:53]
	v_mov_b32_dpp v17, v7 row_shr:4 row_mask:0xf bank_mask:0xf
	v_mov_b32_dpp v19, v13 row_shr:4 row_mask:0xf bank_mask:0xf
	v_cmp_lt_u32_e64 s[0:1], 3, v15
	;; [unrolled: 18-line block ×3, first 2 shown]
	s_and_saveexec_b64 s[52:53], s[0:1]
; %bb.183:
	v_and_b32_e32 v13, 1, v9
	v_and_b32_e32 v15, 1, v19
	v_cmp_eq_u32_e64 s[0:1], 1, v13
	s_nop 1
	v_cndmask_b32_e64 v15, v15, 1, s[0:1]
	v_cmp_eq_u16_e64 s[0:1], 0, v9
	v_or_b32_sdwa v13, v6, v15 dst_sel:DWORD dst_unused:UNUSED_PAD src0_sel:DWORD src1_sel:WORD_0
	s_nop 0
	v_cndmask_b32_e64 v9, 0, v17, s[0:1]
	v_add_u32_e32 v7, v9, v7
	v_mov_b32_e32 v9, v15
; %bb.184:
	s_or_b64 exec, exec, s[52:53]
	v_and_b32_e32 v19, 16, v8
	v_mov_b32_dpp v15, v7 row_bcast:15 row_mask:0xf bank_mask:0xf
	v_mov_b32_dpp v17, v13 row_bcast:15 row_mask:0xf bank_mask:0xf
	v_cmp_ne_u32_e64 s[0:1], 0, v19
	s_and_saveexec_b64 s[52:53], s[0:1]
; %bb.185:
	v_and_b32_e32 v13, 1, v9
	v_and_b32_e32 v17, 1, v17
	v_cmp_eq_u32_e64 s[0:1], 1, v13
	s_nop 1
	v_cndmask_b32_e64 v17, v17, 1, s[0:1]
	v_cmp_eq_u16_e64 s[0:1], 0, v9
	v_or_b32_sdwa v13, v6, v17 dst_sel:DWORD dst_unused:UNUSED_PAD src0_sel:DWORD src1_sel:WORD_0
	s_nop 0
	v_cndmask_b32_e64 v9, 0, v15, s[0:1]
	v_add_u32_e32 v7, v9, v7
	v_mov_b32_e32 v9, v17
; %bb.186:
	s_or_b64 exec, exec, s[52:53]
	v_mov_b32_dpp v13, v13 row_bcast:31 row_mask:0xf bank_mask:0xf
	v_and_b32_e32 v17, 1, v9
	v_and_b32_e32 v13, 1, v13
	v_cmp_eq_u32_e64 s[0:1], 1, v17
	v_mov_b32_e32 v17, 0
	v_cmp_eq_u16_sdwa s[52:53], v9, v17 src0_sel:BYTE_0 src1_sel:DWORD
	v_cndmask_b32_e64 v13, v13, 1, s[0:1]
	v_cmp_lt_u32_e64 s[0:1], 31, v8
	v_mov_b32_dpp v15, v7 row_bcast:31 row_mask:0xf bank_mask:0xf
	s_movk_i32 s56, 0xff
	v_cndmask_b32_e64 v9, v9, v13, s[0:1]
	s_and_b64 s[0:1], s[0:1], s[52:53]
	v_cndmask_b32_e64 v13, 0, v15, s[0:1]
	v_add_u32_e32 v7, v13, v7
	v_add_u32_e32 v13, -1, v8
	v_and_b32_e32 v15, 64, v8
	v_cmp_lt_i32_e64 s[0:1], v13, v15
	v_and_or_b32 v6, v9, s56, v6
	s_nop 0
	v_cndmask_b32_e64 v8, v13, v8, s[0:1]
	v_lshlrev_b32_e32 v8, 2, v8
	ds_bpermute_b32 v7, v8, v7
	ds_bpermute_b32 v6, v8, v6
	v_cmp_eq_u16_sdwa s[0:1], v3, v17 src0_sel:BYTE_0 src1_sel:DWORD
	; wave barrier
	s_waitcnt lgkmcnt(1)
	s_nop 0
	v_cndmask_b32_e64 v3, 0, v7, s[0:1]
	v_add_u32_e32 v2, v3, v2
	s_waitcnt lgkmcnt(0)
	v_and_b32_e32 v3, 1, v6
	v_cmp_eq_u32_e64 s[0:1], 1, v5
	v_cndmask_b32_e64 v5, v2, v79, s[54:55]
	s_nop 0
	v_cndmask_b32_e64 v3, v3, 1, s[0:1]
	v_cndmask_b32_e64 v4, v3, v4, s[54:55]
	ds_write_b32 v1, v5
	ds_write_b8 v1, v4 offset:4
	; wave barrier
	ds_read_u8 v6, v1 offset:12
	ds_read2_b32 v[2:3], v1 offset0:2 offset1:4
	ds_read_u8 v7, v1 offset:20
	ds_read_b32 v8, v1 offset:24
	ds_read_u8 v9, v1 offset:28
	s_waitcnt lgkmcnt(4)
	v_cmp_eq_u16_e64 s[0:1], 0, v6
	s_nop 1
	v_cndmask_b32_e64 v5, 0, v5, s[0:1]
	s_waitcnt lgkmcnt(3)
	v_add_u32_e32 v2, v5, v2
	v_and_b32_e32 v5, 1, v6
	v_cmp_eq_u32_e64 s[0:1], 1, v5
	s_nop 1
	v_cndmask_b32_e64 v4, v4, 1, s[0:1]
	s_waitcnt lgkmcnt(2)
	v_cmp_eq_u16_e64 s[0:1], 0, v7
	ds_write_b8 v1, v4 offset:12
	s_nop 0
	v_cndmask_b32_e64 v5, 0, v2, s[0:1]
	v_add_u32_e32 v3, v5, v3
	v_and_b32_e32 v5, 1, v7
	v_cmp_eq_u32_e64 s[0:1], 1, v5
	s_nop 1
	v_cndmask_b32_e64 v4, v4, 1, s[0:1]
	s_waitcnt lgkmcnt(1)
	v_cmp_eq_u16_e64 s[0:1], 0, v9
	ds_write2_b32 v1, v2, v3 offset0:2 offset1:4
	ds_write_b8 v1, v4 offset:20
	v_cndmask_b32_e64 v2, 0, v3, s[0:1]
	v_and_b32_e32 v3, 1, v9
	v_add_u32_e32 v2, v2, v8
	v_cmp_eq_u32_e64 s[0:1], 1, v3
	s_nop 1
	v_cndmask_b32_e64 v3, v4, 1, s[0:1]
	ds_write_b32 v1, v2 offset:24
	ds_write_b8 v1, v3 offset:28
.LBB958_187:
	s_or_b64 exec, exec, s[50:51]
	v_mov_b32_e32 v1, v79
	s_waitcnt lgkmcnt(0)
	s_barrier
	s_and_saveexec_b64 s[0:1], s[4:5]
	s_cbranch_execnz .LBB958_265
; %bb.188:
	s_or_b64 exec, exec, s[0:1]
	s_and_saveexec_b64 s[50:51], s[4:5]
	s_cbranch_execnz .LBB958_266
.LBB958_189:
	s_or_b64 exec, exec, s[50:51]
	s_and_saveexec_b64 s[0:1], s[54:55]
	s_cbranch_execz .LBB958_191
.LBB958_190:
	v_mov_b32_e32 v5, 0
	ds_read_b32 v2, v5 offset:2096
	ds_read_u8 v3, v5 offset:2100
	s_add_u32 s4, s64, 0x400
	s_addc_u32 s5, s65, 0
	v_mov_b32_e32 v4, 2
	v_mov_b64_e32 v[6:7], s[4:5]
	s_waitcnt lgkmcnt(0)
	;;#ASMSTART
	global_store_dwordx4 v[6:7], v[2:5] off sc1	
s_waitcnt vmcnt(0)
	;;#ASMEND
.LBB958_191:
	s_or_b64 exec, exec, s[0:1]
	v_mov_b32_e32 v80, v10
.LBB958_192:
	s_add_u32 s0, s68, s70
	s_addc_u32 s1, s69, s71
	s_add_u32 s0, s0, s60
	s_addc_u32 s1, s1, s61
	s_and_b64 vcc, exec, s[2:3]
	s_cbranch_vccz .LBB958_238
; %bb.193:
	s_movk_i32 s2, 0x5c
	v_mul_i32_i24_e32 v26, 0xffffffa8, v0
	s_waitcnt lgkmcnt(0)
	v_mul_u32_u24_e32 v1, 0x5c, v0
	v_mad_u32_u24 v2, v0, s2, v26
	s_barrier
	ds_write2_b32 v1, v80, v58 offset1:1
	ds_write2_b32 v1, v59, v60 offset0:2 offset1:3
	ds_write2_b32 v1, v61, v62 offset0:4 offset1:5
	;; [unrolled: 1-line block ×5, first 2 shown]
	s_waitcnt vmcnt(0)
	ds_write2_b32 v1, v69, v70 offset0:12 offset1:13
	ds_write2_b32 v1, v71, v72 offset0:14 offset1:15
	;; [unrolled: 1-line block ×5, first 2 shown]
	ds_write_b32 v1, v79 offset:88
	s_waitcnt lgkmcnt(0)
	s_barrier
	ds_read2st64_b32 v[24:25], v2 offset0:4 offset1:8
	ds_read2st64_b32 v[22:23], v2 offset0:12 offset1:16
	;; [unrolled: 1-line block ×11, first 2 shown]
	s_add_i32 s33, s33, s66
	v_mov_b32_e32 v55, 0
	v_lshl_add_u64 v[4:5], s[0:1], 0, v[54:55]
	v_cmp_gt_u32_e32 vcc, s33, v0
	s_and_saveexec_b64 s[2:3], vcc
	s_cbranch_execz .LBB958_195
; %bb.194:
	v_add_u32_e32 v1, v1, v26
	ds_read_b32 v1, v1
	s_waitcnt lgkmcnt(0)
	flat_store_dword v[4:5], v1
.LBB958_195:
	s_or_b64 exec, exec, s[2:3]
	v_or_b32_e32 v1, 0x100, v0
	v_cmp_gt_u32_e32 vcc, s33, v1
	s_and_saveexec_b64 s[2:3], vcc
	s_cbranch_execz .LBB958_197
; %bb.196:
	s_waitcnt lgkmcnt(0)
	flat_store_dword v[4:5], v24 offset:1024
.LBB958_197:
	s_or_b64 exec, exec, s[2:3]
	v_or_b32_e32 v1, 0x200, v0
	v_cmp_gt_u32_e32 vcc, s33, v1
	s_and_saveexec_b64 s[2:3], vcc
	s_cbranch_execz .LBB958_199
; %bb.198:
	s_waitcnt lgkmcnt(0)
	flat_store_dword v[4:5], v25 offset:2048
.LBB958_199:
	;; [unrolled: 9-line block ×3, first 2 shown]
	s_or_b64 exec, exec, s[2:3]
	v_or_b32_e32 v1, 0x400, v0
	v_cmp_gt_u32_e32 vcc, s33, v1
	s_and_saveexec_b64 s[2:3], vcc
	s_cbranch_execz .LBB958_203
; %bb.202:
	s_waitcnt lgkmcnt(0)
	v_add_co_u32_e32 v24, vcc, 0x1000, v4
	s_nop 1
	v_addc_co_u32_e32 v25, vcc, 0, v5, vcc
	flat_store_dword v[24:25], v23
.LBB958_203:
	s_or_b64 exec, exec, s[2:3]
	v_or_b32_e32 v1, 0x500, v0
	v_cmp_gt_u32_e32 vcc, s33, v1
	s_and_saveexec_b64 s[2:3], vcc
	s_cbranch_execz .LBB958_205
; %bb.204:
	s_waitcnt lgkmcnt(0)
	v_add_co_u32_e32 v22, vcc, 0x1000, v4
	s_nop 1
	v_addc_co_u32_e32 v23, vcc, 0, v5, vcc
	flat_store_dword v[22:23], v20 offset:1024
.LBB958_205:
	s_or_b64 exec, exec, s[2:3]
	v_or_b32_e32 v1, 0x600, v0
	v_cmp_gt_u32_e32 vcc, s33, v1
	s_and_saveexec_b64 s[2:3], vcc
	s_cbranch_execz .LBB958_207
; %bb.206:
	s_waitcnt lgkmcnt(0)
	v_add_co_u32_e32 v22, vcc, 0x1000, v4
	s_nop 1
	v_addc_co_u32_e32 v23, vcc, 0, v5, vcc
	flat_store_dword v[22:23], v21 offset:2048
.LBB958_207:
	s_or_b64 exec, exec, s[2:3]
	v_or_b32_e32 v1, 0x700, v0
	v_cmp_gt_u32_e32 vcc, s33, v1
	s_and_saveexec_b64 s[2:3], vcc
	s_cbranch_execz .LBB958_209
; %bb.208:
	s_waitcnt lgkmcnt(0)
	v_add_co_u32_e32 v20, vcc, 0x1000, v4
	s_nop 1
	v_addc_co_u32_e32 v21, vcc, 0, v5, vcc
	flat_store_dword v[20:21], v18 offset:3072
.LBB958_209:
	s_or_b64 exec, exec, s[2:3]
	v_or_b32_e32 v1, 0x800, v0
	v_cmp_gt_u32_e32 vcc, s33, v1
	s_and_saveexec_b64 s[2:3], vcc
	s_cbranch_execz .LBB958_211
; %bb.210:
	s_waitcnt lgkmcnt(0)
	v_add_co_u32_e32 v20, vcc, 0x2000, v4
	s_nop 1
	v_addc_co_u32_e32 v21, vcc, 0, v5, vcc
	flat_store_dword v[20:21], v19
.LBB958_211:
	s_or_b64 exec, exec, s[2:3]
	v_or_b32_e32 v1, 0x900, v0
	v_cmp_gt_u32_e32 vcc, s33, v1
	s_and_saveexec_b64 s[2:3], vcc
	s_cbranch_execz .LBB958_213
; %bb.212:
	s_waitcnt lgkmcnt(0)
	v_add_co_u32_e32 v18, vcc, 0x2000, v4
	s_nop 1
	v_addc_co_u32_e32 v19, vcc, 0, v5, vcc
	flat_store_dword v[18:19], v16 offset:1024
.LBB958_213:
	s_or_b64 exec, exec, s[2:3]
	v_or_b32_e32 v1, 0xa00, v0
	v_cmp_gt_u32_e32 vcc, s33, v1
	s_and_saveexec_b64 s[2:3], vcc
	s_cbranch_execz .LBB958_215
; %bb.214:
	s_waitcnt lgkmcnt(0)
	v_add_co_u32_e32 v18, vcc, 0x2000, v4
	s_nop 1
	v_addc_co_u32_e32 v19, vcc, 0, v5, vcc
	flat_store_dword v[18:19], v17 offset:2048
.LBB958_215:
	s_or_b64 exec, exec, s[2:3]
	v_or_b32_e32 v1, 0xb00, v0
	v_cmp_gt_u32_e32 vcc, s33, v1
	s_and_saveexec_b64 s[2:3], vcc
	s_cbranch_execz .LBB958_217
; %bb.216:
	s_waitcnt lgkmcnt(0)
	v_add_co_u32_e32 v16, vcc, 0x2000, v4
	s_nop 1
	v_addc_co_u32_e32 v17, vcc, 0, v5, vcc
	flat_store_dword v[16:17], v14 offset:3072
.LBB958_217:
	;; [unrolled: 48-line block ×4, first 2 shown]
	s_or_b64 exec, exec, s[2:3]
	v_or_b32_e32 v1, 0x1400, v0
	v_cmp_gt_u32_e32 vcc, s33, v1
	s_and_saveexec_b64 s[2:3], vcc
	s_cbranch_execz .LBB958_235
; %bb.234:
	s_waitcnt lgkmcnt(0)
	v_add_co_u32_e32 v8, vcc, 0x5000, v4
	s_nop 1
	v_addc_co_u32_e32 v9, vcc, 0, v5, vcc
	flat_store_dword v[8:9], v7
.LBB958_235:
	s_or_b64 exec, exec, s[2:3]
	v_or_b32_e32 v1, 0x1500, v0
	v_cmp_gt_u32_e32 vcc, s33, v1
	s_and_saveexec_b64 s[2:3], vcc
	s_cbranch_execz .LBB958_237
; %bb.236:
	v_add_co_u32_e32 v4, vcc, 0x5000, v4
	s_nop 1
	v_addc_co_u32_e32 v5, vcc, 0, v5, vcc
	s_waitcnt lgkmcnt(0)
	flat_store_dword v[4:5], v2 offset:1024
.LBB958_237:
	s_or_b64 exec, exec, s[2:3]
	s_waitcnt lgkmcnt(0)
	v_or_b32_e32 v2, 0x1600, v0
	v_mov_b32_e32 v1, v55
	v_cmp_gt_u32_e64 s[2:3], s33, v2
	s_branch .LBB958_240
.LBB958_238:
	s_mov_b64 s[2:3], 0
                                        ; implicit-def: $vgpr3
	s_cbranch_execz .LBB958_240
; %bb.239:
	s_waitcnt lgkmcnt(0)
	v_mul_u32_u24_e32 v1, 0x5c, v0
	s_barrier
	s_movk_i32 s4, 0x5c
	ds_write2_b32 v1, v80, v58 offset1:1
	ds_write2_b32 v1, v59, v60 offset0:2 offset1:3
	ds_write2_b32 v1, v61, v62 offset0:4 offset1:5
	;; [unrolled: 1-line block ×5, first 2 shown]
	s_waitcnt vmcnt(0)
	ds_write2_b32 v1, v69, v70 offset0:12 offset1:13
	ds_write2_b32 v1, v71, v72 offset0:14 offset1:15
	;; [unrolled: 1-line block ×5, first 2 shown]
	ds_write_b32 v1, v79 offset:88
	v_mov_b32_e32 v1, 0
	v_mul_i32_i24_e32 v2, 0xffffffa8, v0
	v_mad_u32_u24 v2, v0, s4, v2
	v_mov_b32_e32 v55, v1
	s_waitcnt lgkmcnt(0)
	s_barrier
	ds_read2st64_b32 v[4:5], v2 offset1:4
	ds_read2st64_b32 v[6:7], v2 offset0:8 offset1:12
	ds_read2st64_b32 v[8:9], v2 offset0:16 offset1:20
	ds_read2st64_b32 v[10:11], v2 offset0:24 offset1:28
	ds_read2st64_b32 v[12:13], v2 offset0:32 offset1:36
	ds_read2st64_b32 v[14:15], v2 offset0:40 offset1:44
	ds_read2st64_b32 v[16:17], v2 offset0:48 offset1:52
	ds_read2st64_b32 v[18:19], v2 offset0:56 offset1:60
	ds_read2st64_b32 v[20:21], v2 offset0:64 offset1:68
	ds_read2st64_b32 v[22:23], v2 offset0:72 offset1:76
	ds_read2st64_b32 v[24:25], v2 offset0:80 offset1:84
	ds_read_b32 v3, v2 offset:22528
	v_lshl_add_u64 v[26:27], s[0:1], 0, v[54:55]
	s_movk_i32 s4, 0x1000
	s_waitcnt lgkmcnt(11)
	flat_store_dword v[26:27], v4
	flat_store_dword v[26:27], v5 offset:1024
	s_waitcnt lgkmcnt(0)
	flat_store_dword v[26:27], v6 offset:2048
	flat_store_dword v[26:27], v7 offset:3072
	v_add_co_u32_e32 v4, vcc, s4, v26
	s_movk_i32 s4, 0x2000
	s_nop 0
	v_addc_co_u32_e32 v5, vcc, 0, v27, vcc
	flat_store_dword v[4:5], v8
	flat_store_dword v[4:5], v9 offset:1024
	flat_store_dword v[4:5], v10 offset:2048
	;; [unrolled: 1-line block ×3, first 2 shown]
	v_add_co_u32_e32 v4, vcc, s4, v26
	s_movk_i32 s4, 0x3000
	s_nop 0
	v_addc_co_u32_e32 v5, vcc, 0, v27, vcc
	flat_store_dword v[4:5], v12
	flat_store_dword v[4:5], v13 offset:1024
	flat_store_dword v[4:5], v14 offset:2048
	;; [unrolled: 1-line block ×3, first 2 shown]
	v_add_co_u32_e32 v4, vcc, s4, v26
	s_or_b64 s[2:3], s[2:3], exec
	s_nop 0
	v_addc_co_u32_e32 v5, vcc, 0, v27, vcc
	flat_store_dword v[4:5], v16
	flat_store_dword v[4:5], v17 offset:1024
	flat_store_dword v[4:5], v18 offset:2048
	;; [unrolled: 1-line block ×3, first 2 shown]
	v_add_co_u32_e32 v4, vcc, 0x4000, v26
	s_nop 1
	v_addc_co_u32_e32 v5, vcc, 0, v27, vcc
	flat_store_dword v[4:5], v20
	flat_store_dword v[4:5], v21 offset:1024
	flat_store_dword v[4:5], v22 offset:2048
	;; [unrolled: 1-line block ×3, first 2 shown]
	v_add_co_u32_e32 v4, vcc, 0x5000, v26
	s_nop 1
	v_addc_co_u32_e32 v5, vcc, 0, v27, vcc
	flat_store_dword v[4:5], v24
	flat_store_dword v[4:5], v25 offset:1024
.LBB958_240:
	s_and_saveexec_b64 s[4:5], s[2:3]
	s_cbranch_execnz .LBB958_242
; %bb.241:
	s_endpgm
.LBB958_242:
	s_waitcnt lgkmcnt(0)
	v_lshl_add_u64 v[0:1], v[0:1], 2, s[0:1]
	v_add_co_u32_e32 v0, vcc, 0x5000, v0
	s_nop 1
	v_addc_co_u32_e32 v1, vcc, 0, v1, vcc
	flat_store_dword v[0:1], v3 offset:2048
	s_endpgm
.LBB958_243:
	global_load_dword v11, v3, s[74:75]
	s_waitcnt vmcnt(0)
	v_sub_u32_e32 v11, 0, v11
	s_or_b64 exec, exec, s[0:1]
                                        ; implicit-def: $vgpr13
	s_and_saveexec_b64 s[0:1], s[8:9]
	s_cbranch_execz .LBB958_59
.LBB958_244:
	global_load_dword v13, v3, s[74:75] offset:1024
	s_waitcnt vmcnt(0)
	v_sub_u32_e32 v13, 0, v13
	s_or_b64 exec, exec, s[0:1]
                                        ; implicit-def: $vgpr15
	s_and_saveexec_b64 s[0:1], s[10:11]
	s_cbranch_execz .LBB958_60
.LBB958_245:
	global_load_dword v15, v3, s[74:75] offset:2048
	s_waitcnt vmcnt(0)
	v_sub_u32_e32 v15, 0, v15
	s_or_b64 exec, exec, s[0:1]
                                        ; implicit-def: $vgpr17
	s_and_saveexec_b64 s[0:1], s[12:13]
	s_cbranch_execz .LBB958_61
.LBB958_246:
	global_load_dword v17, v3, s[74:75] offset:3072
	s_waitcnt vmcnt(0)
	v_sub_u32_e32 v17, 0, v17
	s_or_b64 exec, exec, s[0:1]
                                        ; implicit-def: $vgpr19
	s_and_saveexec_b64 s[0:1], s[14:15]
	s_cbranch_execz .LBB958_62
.LBB958_247:
	global_load_dword v2, v2, s[74:75]
	s_waitcnt vmcnt(0)
	v_sub_u32_e32 v19, 0, v2
	s_or_b64 exec, exec, s[0:1]
                                        ; implicit-def: $vgpr2
	s_and_saveexec_b64 s[0:1], s[16:17]
	s_cbranch_execz .LBB958_63
.LBB958_248:
	global_load_dword v2, v10, s[74:75]
	s_waitcnt vmcnt(0)
	v_sub_u32_e32 v2, 0, v2
	s_or_b64 exec, exec, s[0:1]
                                        ; implicit-def: $vgpr10
	s_and_saveexec_b64 s[0:1], s[18:19]
	s_cbranch_execz .LBB958_64
.LBB958_249:
	global_load_dword v10, v12, s[74:75]
	s_waitcnt vmcnt(0)
	v_sub_u32_e32 v10, 0, v10
	s_or_b64 exec, exec, s[0:1]
                                        ; implicit-def: $vgpr12
	s_and_saveexec_b64 s[0:1], s[20:21]
	s_cbranch_execz .LBB958_65
.LBB958_250:
	global_load_dword v12, v14, s[74:75]
	s_waitcnt vmcnt(0)
	v_sub_u32_e32 v12, 0, v12
	s_or_b64 exec, exec, s[0:1]
                                        ; implicit-def: $vgpr14
	s_and_saveexec_b64 s[0:1], s[22:23]
	s_cbranch_execz .LBB958_66
.LBB958_251:
	global_load_dword v14, v16, s[74:75]
	s_waitcnt vmcnt(0)
	v_sub_u32_e32 v14, 0, v14
	s_or_b64 exec, exec, s[0:1]
                                        ; implicit-def: $vgpr16
	s_and_saveexec_b64 s[0:1], s[24:25]
	s_cbranch_execz .LBB958_67
.LBB958_252:
	global_load_dword v16, v18, s[74:75]
	s_waitcnt vmcnt(0)
	v_sub_u32_e32 v16, 0, v16
	s_or_b64 exec, exec, s[0:1]
                                        ; implicit-def: $vgpr18
	s_and_saveexec_b64 s[0:1], s[26:27]
	s_cbranch_execz .LBB958_68
.LBB958_253:
	global_load_dword v18, v20, s[74:75]
	s_waitcnt vmcnt(0)
	v_sub_u32_e32 v18, 0, v18
	s_or_b64 exec, exec, s[0:1]
                                        ; implicit-def: $vgpr20
	s_and_saveexec_b64 s[0:1], s[28:29]
	s_cbranch_execz .LBB958_69
.LBB958_254:
	global_load_dword v20, v22, s[74:75]
	s_waitcnt vmcnt(0)
	v_sub_u32_e32 v20, 0, v20
	s_or_b64 exec, exec, s[0:1]
                                        ; implicit-def: $vgpr21
	s_and_saveexec_b64 s[0:1], s[30:31]
	s_cbranch_execz .LBB958_70
.LBB958_255:
	global_load_dword v21, v24, s[74:75]
	s_waitcnt vmcnt(0)
	v_sub_u32_e32 v21, 0, v21
	s_or_b64 exec, exec, s[0:1]
                                        ; implicit-def: $vgpr22
	s_and_saveexec_b64 s[0:1], s[34:35]
	s_cbranch_execz .LBB958_71
.LBB958_256:
	global_load_dword v22, v26, s[74:75]
	s_waitcnt vmcnt(0)
	v_sub_u32_e32 v22, 0, v22
	s_or_b64 exec, exec, s[0:1]
                                        ; implicit-def: $vgpr23
	s_and_saveexec_b64 s[0:1], s[36:37]
	s_cbranch_execz .LBB958_72
.LBB958_257:
	global_load_dword v23, v28, s[74:75]
	s_waitcnt vmcnt(0)
	v_sub_u32_e32 v23, 0, v23
	s_or_b64 exec, exec, s[0:1]
                                        ; implicit-def: $vgpr24
	s_and_saveexec_b64 s[0:1], s[38:39]
	s_cbranch_execz .LBB958_73
.LBB958_258:
	global_load_dword v24, v30, s[74:75]
	s_waitcnt vmcnt(0)
	v_sub_u32_e32 v24, 0, v24
	s_or_b64 exec, exec, s[0:1]
                                        ; implicit-def: $vgpr25
	s_and_saveexec_b64 s[0:1], s[40:41]
	s_cbranch_execz .LBB958_74
.LBB958_259:
	global_load_dword v25, v32, s[74:75]
	s_waitcnt vmcnt(0)
	v_sub_u32_e32 v25, 0, v25
	s_or_b64 exec, exec, s[0:1]
                                        ; implicit-def: $vgpr26
	s_and_saveexec_b64 s[0:1], s[42:43]
	s_cbranch_execz .LBB958_75
.LBB958_260:
	global_load_dword v26, v34, s[74:75]
	s_waitcnt vmcnt(0)
	v_sub_u32_e32 v26, 0, v26
	s_or_b64 exec, exec, s[0:1]
                                        ; implicit-def: $vgpr27
	s_and_saveexec_b64 s[0:1], s[44:45]
	s_cbranch_execz .LBB958_76
.LBB958_261:
	global_load_dword v27, v36, s[74:75]
	s_waitcnt vmcnt(0)
	v_sub_u32_e32 v27, 0, v27
	s_or_b64 exec, exec, s[0:1]
                                        ; implicit-def: $vgpr28
	s_and_saveexec_b64 s[0:1], s[46:47]
	s_cbranch_execz .LBB958_77
.LBB958_262:
	global_load_dword v28, v38, s[74:75]
	s_waitcnt vmcnt(0)
	v_sub_u32_e32 v28, 0, v28
	s_or_b64 exec, exec, s[0:1]
                                        ; implicit-def: $vgpr29
	s_and_saveexec_b64 s[0:1], s[48:49]
	s_cbranch_execz .LBB958_78
.LBB958_263:
	global_load_dword v29, v40, s[74:75]
	s_waitcnt vmcnt(0)
	v_sub_u32_e32 v29, 0, v29
	s_or_b64 exec, exec, s[0:1]
                                        ; implicit-def: $vgpr30
	s_and_saveexec_b64 s[0:1], s[50:51]
	s_cbranch_execz .LBB958_79
.LBB958_264:
	global_load_dword v30, v42, s[74:75]
	s_waitcnt vmcnt(0)
	v_sub_u32_e32 v30, 0, v30
	s_or_b64 exec, exec, s[0:1]
                                        ; implicit-def: $vgpr31
	s_and_saveexec_b64 s[0:1], s[52:53]
	s_cbranch_execnz .LBB958_80
	s_branch .LBB958_81
.LBB958_265:
	v_add_u32_e32 v1, -1, v0
	v_lshrrev_b32_e32 v2, 5, v1
	v_add_lshl_u32 v1, v2, v1, 3
	ds_read_b32 v1, v1
	s_or_b64 exec, exec, s[0:1]
	s_and_saveexec_b64 s[50:51], s[4:5]
	s_cbranch_execz .LBB958_189
.LBB958_266:
	v_and_b32_e32 v3, 0xff, v11
	v_mov_b32_e32 v2, 0
	v_cmp_eq_u64_e64 s[0:1], 0, v[2:3]
	;;#ASMSTART
	;;#ASMEND
	s_waitcnt lgkmcnt(0)
	s_nop 0
	v_cndmask_b32_e64 v1, 0, v1, s[0:1]
	v_add_u32_e32 v10, v1, v10
	v_cndmask_b32_e32 v1, 0, v10, vcc
	v_add_u32_e32 v58, v1, v12
	v_cndmask_b32_e64 v1, 0, v58, s[6:7]
	v_add_u32_e32 v59, v1, v14
	v_cndmask_b32_e64 v1, 0, v59, s[8:9]
	;; [unrolled: 2-line block ×21, first 2 shown]
	v_add_u32_e32 v79, v1, v56
	s_or_b64 exec, exec, s[50:51]
	s_and_saveexec_b64 s[0:1], s[54:55]
	s_cbranch_execnz .LBB958_190
	s_branch .LBB958_191
.LBB958_267:
                                        ; implicit-def: $sgpr0_sgpr1
	s_branch .LBB958_54
.LBB958_268:
                                        ; implicit-def: $sgpr0_sgpr1
	s_branch .LBB958_130
	.section	.rodata,"a",@progbits
	.p2align	6, 0x0
	.amdhsa_kernel _ZN7rocprim17ROCPRIM_400000_NS6detail17trampoline_kernelINS0_14default_configENS1_27scan_by_key_config_selectorIiiEEZZNS1_16scan_by_key_implILNS1_25lookback_scan_determinismE0ELb0ES3_N6thrust23THRUST_200600_302600_NS6detail15normal_iteratorINS9_10device_ptrIiEEEENS9_18transform_iteratorINS9_6negateIiEESE_NS9_11use_defaultESI_EESE_iNS9_4plusIvEENS9_8equal_toIvEEiEE10hipError_tPvRmT2_T3_T4_T5_mT6_T7_P12ihipStream_tbENKUlT_T0_E_clISt17integral_constantIbLb0EES13_IbLb1EEEEDaSZ_S10_EUlSZ_E_NS1_11comp_targetILNS1_3genE5ELNS1_11target_archE942ELNS1_3gpuE9ELNS1_3repE0EEENS1_30default_config_static_selectorELNS0_4arch9wavefront6targetE1EEEvT1_
		.amdhsa_group_segment_fixed_size 25600
		.amdhsa_private_segment_fixed_size 0
		.amdhsa_kernarg_size 120
		.amdhsa_user_sgpr_count 2
		.amdhsa_user_sgpr_dispatch_ptr 0
		.amdhsa_user_sgpr_queue_ptr 0
		.amdhsa_user_sgpr_kernarg_segment_ptr 1
		.amdhsa_user_sgpr_dispatch_id 0
		.amdhsa_user_sgpr_kernarg_preload_length 0
		.amdhsa_user_sgpr_kernarg_preload_offset 0
		.amdhsa_user_sgpr_private_segment_size 0
		.amdhsa_uses_dynamic_stack 0
		.amdhsa_enable_private_segment 0
		.amdhsa_system_sgpr_workgroup_id_x 1
		.amdhsa_system_sgpr_workgroup_id_y 0
		.amdhsa_system_sgpr_workgroup_id_z 0
		.amdhsa_system_sgpr_workgroup_info 0
		.amdhsa_system_vgpr_workitem_id 0
		.amdhsa_next_free_vgpr 81
		.amdhsa_next_free_sgpr 85
		.amdhsa_accum_offset 84
		.amdhsa_reserve_vcc 1
		.amdhsa_float_round_mode_32 0
		.amdhsa_float_round_mode_16_64 0
		.amdhsa_float_denorm_mode_32 3
		.amdhsa_float_denorm_mode_16_64 3
		.amdhsa_dx10_clamp 1
		.amdhsa_ieee_mode 1
		.amdhsa_fp16_overflow 0
		.amdhsa_tg_split 0
		.amdhsa_exception_fp_ieee_invalid_op 0
		.amdhsa_exception_fp_denorm_src 0
		.amdhsa_exception_fp_ieee_div_zero 0
		.amdhsa_exception_fp_ieee_overflow 0
		.amdhsa_exception_fp_ieee_underflow 0
		.amdhsa_exception_fp_ieee_inexact 0
		.amdhsa_exception_int_div_zero 0
	.end_amdhsa_kernel
	.section	.text._ZN7rocprim17ROCPRIM_400000_NS6detail17trampoline_kernelINS0_14default_configENS1_27scan_by_key_config_selectorIiiEEZZNS1_16scan_by_key_implILNS1_25lookback_scan_determinismE0ELb0ES3_N6thrust23THRUST_200600_302600_NS6detail15normal_iteratorINS9_10device_ptrIiEEEENS9_18transform_iteratorINS9_6negateIiEESE_NS9_11use_defaultESI_EESE_iNS9_4plusIvEENS9_8equal_toIvEEiEE10hipError_tPvRmT2_T3_T4_T5_mT6_T7_P12ihipStream_tbENKUlT_T0_E_clISt17integral_constantIbLb0EES13_IbLb1EEEEDaSZ_S10_EUlSZ_E_NS1_11comp_targetILNS1_3genE5ELNS1_11target_archE942ELNS1_3gpuE9ELNS1_3repE0EEENS1_30default_config_static_selectorELNS0_4arch9wavefront6targetE1EEEvT1_,"axG",@progbits,_ZN7rocprim17ROCPRIM_400000_NS6detail17trampoline_kernelINS0_14default_configENS1_27scan_by_key_config_selectorIiiEEZZNS1_16scan_by_key_implILNS1_25lookback_scan_determinismE0ELb0ES3_N6thrust23THRUST_200600_302600_NS6detail15normal_iteratorINS9_10device_ptrIiEEEENS9_18transform_iteratorINS9_6negateIiEESE_NS9_11use_defaultESI_EESE_iNS9_4plusIvEENS9_8equal_toIvEEiEE10hipError_tPvRmT2_T3_T4_T5_mT6_T7_P12ihipStream_tbENKUlT_T0_E_clISt17integral_constantIbLb0EES13_IbLb1EEEEDaSZ_S10_EUlSZ_E_NS1_11comp_targetILNS1_3genE5ELNS1_11target_archE942ELNS1_3gpuE9ELNS1_3repE0EEENS1_30default_config_static_selectorELNS0_4arch9wavefront6targetE1EEEvT1_,comdat
.Lfunc_end958:
	.size	_ZN7rocprim17ROCPRIM_400000_NS6detail17trampoline_kernelINS0_14default_configENS1_27scan_by_key_config_selectorIiiEEZZNS1_16scan_by_key_implILNS1_25lookback_scan_determinismE0ELb0ES3_N6thrust23THRUST_200600_302600_NS6detail15normal_iteratorINS9_10device_ptrIiEEEENS9_18transform_iteratorINS9_6negateIiEESE_NS9_11use_defaultESI_EESE_iNS9_4plusIvEENS9_8equal_toIvEEiEE10hipError_tPvRmT2_T3_T4_T5_mT6_T7_P12ihipStream_tbENKUlT_T0_E_clISt17integral_constantIbLb0EES13_IbLb1EEEEDaSZ_S10_EUlSZ_E_NS1_11comp_targetILNS1_3genE5ELNS1_11target_archE942ELNS1_3gpuE9ELNS1_3repE0EEENS1_30default_config_static_selectorELNS0_4arch9wavefront6targetE1EEEvT1_, .Lfunc_end958-_ZN7rocprim17ROCPRIM_400000_NS6detail17trampoline_kernelINS0_14default_configENS1_27scan_by_key_config_selectorIiiEEZZNS1_16scan_by_key_implILNS1_25lookback_scan_determinismE0ELb0ES3_N6thrust23THRUST_200600_302600_NS6detail15normal_iteratorINS9_10device_ptrIiEEEENS9_18transform_iteratorINS9_6negateIiEESE_NS9_11use_defaultESI_EESE_iNS9_4plusIvEENS9_8equal_toIvEEiEE10hipError_tPvRmT2_T3_T4_T5_mT6_T7_P12ihipStream_tbENKUlT_T0_E_clISt17integral_constantIbLb0EES13_IbLb1EEEEDaSZ_S10_EUlSZ_E_NS1_11comp_targetILNS1_3genE5ELNS1_11target_archE942ELNS1_3gpuE9ELNS1_3repE0EEENS1_30default_config_static_selectorELNS0_4arch9wavefront6targetE1EEEvT1_
                                        ; -- End function
	.section	.AMDGPU.csdata,"",@progbits
; Kernel info:
; codeLenInByte = 15520
; NumSgprs: 91
; NumVgprs: 81
; NumAgprs: 0
; TotalNumVgprs: 81
; ScratchSize: 0
; MemoryBound: 0
; FloatMode: 240
; IeeeMode: 1
; LDSByteSize: 25600 bytes/workgroup (compile time only)
; SGPRBlocks: 11
; VGPRBlocks: 10
; NumSGPRsForWavesPerEU: 91
; NumVGPRsForWavesPerEU: 81
; AccumOffset: 84
; Occupancy: 2
; WaveLimiterHint : 1
; COMPUTE_PGM_RSRC2:SCRATCH_EN: 0
; COMPUTE_PGM_RSRC2:USER_SGPR: 2
; COMPUTE_PGM_RSRC2:TRAP_HANDLER: 0
; COMPUTE_PGM_RSRC2:TGID_X_EN: 1
; COMPUTE_PGM_RSRC2:TGID_Y_EN: 0
; COMPUTE_PGM_RSRC2:TGID_Z_EN: 0
; COMPUTE_PGM_RSRC2:TIDIG_COMP_CNT: 0
; COMPUTE_PGM_RSRC3_GFX90A:ACCUM_OFFSET: 20
; COMPUTE_PGM_RSRC3_GFX90A:TG_SPLIT: 0
	.section	.text._ZN7rocprim17ROCPRIM_400000_NS6detail17trampoline_kernelINS0_14default_configENS1_27scan_by_key_config_selectorIiiEEZZNS1_16scan_by_key_implILNS1_25lookback_scan_determinismE0ELb0ES3_N6thrust23THRUST_200600_302600_NS6detail15normal_iteratorINS9_10device_ptrIiEEEENS9_18transform_iteratorINS9_6negateIiEESE_NS9_11use_defaultESI_EESE_iNS9_4plusIvEENS9_8equal_toIvEEiEE10hipError_tPvRmT2_T3_T4_T5_mT6_T7_P12ihipStream_tbENKUlT_T0_E_clISt17integral_constantIbLb0EES13_IbLb1EEEEDaSZ_S10_EUlSZ_E_NS1_11comp_targetILNS1_3genE4ELNS1_11target_archE910ELNS1_3gpuE8ELNS1_3repE0EEENS1_30default_config_static_selectorELNS0_4arch9wavefront6targetE1EEEvT1_,"axG",@progbits,_ZN7rocprim17ROCPRIM_400000_NS6detail17trampoline_kernelINS0_14default_configENS1_27scan_by_key_config_selectorIiiEEZZNS1_16scan_by_key_implILNS1_25lookback_scan_determinismE0ELb0ES3_N6thrust23THRUST_200600_302600_NS6detail15normal_iteratorINS9_10device_ptrIiEEEENS9_18transform_iteratorINS9_6negateIiEESE_NS9_11use_defaultESI_EESE_iNS9_4plusIvEENS9_8equal_toIvEEiEE10hipError_tPvRmT2_T3_T4_T5_mT6_T7_P12ihipStream_tbENKUlT_T0_E_clISt17integral_constantIbLb0EES13_IbLb1EEEEDaSZ_S10_EUlSZ_E_NS1_11comp_targetILNS1_3genE4ELNS1_11target_archE910ELNS1_3gpuE8ELNS1_3repE0EEENS1_30default_config_static_selectorELNS0_4arch9wavefront6targetE1EEEvT1_,comdat
	.protected	_ZN7rocprim17ROCPRIM_400000_NS6detail17trampoline_kernelINS0_14default_configENS1_27scan_by_key_config_selectorIiiEEZZNS1_16scan_by_key_implILNS1_25lookback_scan_determinismE0ELb0ES3_N6thrust23THRUST_200600_302600_NS6detail15normal_iteratorINS9_10device_ptrIiEEEENS9_18transform_iteratorINS9_6negateIiEESE_NS9_11use_defaultESI_EESE_iNS9_4plusIvEENS9_8equal_toIvEEiEE10hipError_tPvRmT2_T3_T4_T5_mT6_T7_P12ihipStream_tbENKUlT_T0_E_clISt17integral_constantIbLb0EES13_IbLb1EEEEDaSZ_S10_EUlSZ_E_NS1_11comp_targetILNS1_3genE4ELNS1_11target_archE910ELNS1_3gpuE8ELNS1_3repE0EEENS1_30default_config_static_selectorELNS0_4arch9wavefront6targetE1EEEvT1_ ; -- Begin function _ZN7rocprim17ROCPRIM_400000_NS6detail17trampoline_kernelINS0_14default_configENS1_27scan_by_key_config_selectorIiiEEZZNS1_16scan_by_key_implILNS1_25lookback_scan_determinismE0ELb0ES3_N6thrust23THRUST_200600_302600_NS6detail15normal_iteratorINS9_10device_ptrIiEEEENS9_18transform_iteratorINS9_6negateIiEESE_NS9_11use_defaultESI_EESE_iNS9_4plusIvEENS9_8equal_toIvEEiEE10hipError_tPvRmT2_T3_T4_T5_mT6_T7_P12ihipStream_tbENKUlT_T0_E_clISt17integral_constantIbLb0EES13_IbLb1EEEEDaSZ_S10_EUlSZ_E_NS1_11comp_targetILNS1_3genE4ELNS1_11target_archE910ELNS1_3gpuE8ELNS1_3repE0EEENS1_30default_config_static_selectorELNS0_4arch9wavefront6targetE1EEEvT1_
	.globl	_ZN7rocprim17ROCPRIM_400000_NS6detail17trampoline_kernelINS0_14default_configENS1_27scan_by_key_config_selectorIiiEEZZNS1_16scan_by_key_implILNS1_25lookback_scan_determinismE0ELb0ES3_N6thrust23THRUST_200600_302600_NS6detail15normal_iteratorINS9_10device_ptrIiEEEENS9_18transform_iteratorINS9_6negateIiEESE_NS9_11use_defaultESI_EESE_iNS9_4plusIvEENS9_8equal_toIvEEiEE10hipError_tPvRmT2_T3_T4_T5_mT6_T7_P12ihipStream_tbENKUlT_T0_E_clISt17integral_constantIbLb0EES13_IbLb1EEEEDaSZ_S10_EUlSZ_E_NS1_11comp_targetILNS1_3genE4ELNS1_11target_archE910ELNS1_3gpuE8ELNS1_3repE0EEENS1_30default_config_static_selectorELNS0_4arch9wavefront6targetE1EEEvT1_
	.p2align	8
	.type	_ZN7rocprim17ROCPRIM_400000_NS6detail17trampoline_kernelINS0_14default_configENS1_27scan_by_key_config_selectorIiiEEZZNS1_16scan_by_key_implILNS1_25lookback_scan_determinismE0ELb0ES3_N6thrust23THRUST_200600_302600_NS6detail15normal_iteratorINS9_10device_ptrIiEEEENS9_18transform_iteratorINS9_6negateIiEESE_NS9_11use_defaultESI_EESE_iNS9_4plusIvEENS9_8equal_toIvEEiEE10hipError_tPvRmT2_T3_T4_T5_mT6_T7_P12ihipStream_tbENKUlT_T0_E_clISt17integral_constantIbLb0EES13_IbLb1EEEEDaSZ_S10_EUlSZ_E_NS1_11comp_targetILNS1_3genE4ELNS1_11target_archE910ELNS1_3gpuE8ELNS1_3repE0EEENS1_30default_config_static_selectorELNS0_4arch9wavefront6targetE1EEEvT1_,@function
_ZN7rocprim17ROCPRIM_400000_NS6detail17trampoline_kernelINS0_14default_configENS1_27scan_by_key_config_selectorIiiEEZZNS1_16scan_by_key_implILNS1_25lookback_scan_determinismE0ELb0ES3_N6thrust23THRUST_200600_302600_NS6detail15normal_iteratorINS9_10device_ptrIiEEEENS9_18transform_iteratorINS9_6negateIiEESE_NS9_11use_defaultESI_EESE_iNS9_4plusIvEENS9_8equal_toIvEEiEE10hipError_tPvRmT2_T3_T4_T5_mT6_T7_P12ihipStream_tbENKUlT_T0_E_clISt17integral_constantIbLb0EES13_IbLb1EEEEDaSZ_S10_EUlSZ_E_NS1_11comp_targetILNS1_3genE4ELNS1_11target_archE910ELNS1_3gpuE8ELNS1_3repE0EEENS1_30default_config_static_selectorELNS0_4arch9wavefront6targetE1EEEvT1_: ; @_ZN7rocprim17ROCPRIM_400000_NS6detail17trampoline_kernelINS0_14default_configENS1_27scan_by_key_config_selectorIiiEEZZNS1_16scan_by_key_implILNS1_25lookback_scan_determinismE0ELb0ES3_N6thrust23THRUST_200600_302600_NS6detail15normal_iteratorINS9_10device_ptrIiEEEENS9_18transform_iteratorINS9_6negateIiEESE_NS9_11use_defaultESI_EESE_iNS9_4plusIvEENS9_8equal_toIvEEiEE10hipError_tPvRmT2_T3_T4_T5_mT6_T7_P12ihipStream_tbENKUlT_T0_E_clISt17integral_constantIbLb0EES13_IbLb1EEEEDaSZ_S10_EUlSZ_E_NS1_11comp_targetILNS1_3genE4ELNS1_11target_archE910ELNS1_3gpuE8ELNS1_3repE0EEENS1_30default_config_static_selectorELNS0_4arch9wavefront6targetE1EEEvT1_
; %bb.0:
	.section	.rodata,"a",@progbits
	.p2align	6, 0x0
	.amdhsa_kernel _ZN7rocprim17ROCPRIM_400000_NS6detail17trampoline_kernelINS0_14default_configENS1_27scan_by_key_config_selectorIiiEEZZNS1_16scan_by_key_implILNS1_25lookback_scan_determinismE0ELb0ES3_N6thrust23THRUST_200600_302600_NS6detail15normal_iteratorINS9_10device_ptrIiEEEENS9_18transform_iteratorINS9_6negateIiEESE_NS9_11use_defaultESI_EESE_iNS9_4plusIvEENS9_8equal_toIvEEiEE10hipError_tPvRmT2_T3_T4_T5_mT6_T7_P12ihipStream_tbENKUlT_T0_E_clISt17integral_constantIbLb0EES13_IbLb1EEEEDaSZ_S10_EUlSZ_E_NS1_11comp_targetILNS1_3genE4ELNS1_11target_archE910ELNS1_3gpuE8ELNS1_3repE0EEENS1_30default_config_static_selectorELNS0_4arch9wavefront6targetE1EEEvT1_
		.amdhsa_group_segment_fixed_size 0
		.amdhsa_private_segment_fixed_size 0
		.amdhsa_kernarg_size 120
		.amdhsa_user_sgpr_count 2
		.amdhsa_user_sgpr_dispatch_ptr 0
		.amdhsa_user_sgpr_queue_ptr 0
		.amdhsa_user_sgpr_kernarg_segment_ptr 1
		.amdhsa_user_sgpr_dispatch_id 0
		.amdhsa_user_sgpr_kernarg_preload_length 0
		.amdhsa_user_sgpr_kernarg_preload_offset 0
		.amdhsa_user_sgpr_private_segment_size 0
		.amdhsa_uses_dynamic_stack 0
		.amdhsa_enable_private_segment 0
		.amdhsa_system_sgpr_workgroup_id_x 1
		.amdhsa_system_sgpr_workgroup_id_y 0
		.amdhsa_system_sgpr_workgroup_id_z 0
		.amdhsa_system_sgpr_workgroup_info 0
		.amdhsa_system_vgpr_workitem_id 0
		.amdhsa_next_free_vgpr 1
		.amdhsa_next_free_sgpr 0
		.amdhsa_accum_offset 4
		.amdhsa_reserve_vcc 0
		.amdhsa_float_round_mode_32 0
		.amdhsa_float_round_mode_16_64 0
		.amdhsa_float_denorm_mode_32 3
		.amdhsa_float_denorm_mode_16_64 3
		.amdhsa_dx10_clamp 1
		.amdhsa_ieee_mode 1
		.amdhsa_fp16_overflow 0
		.amdhsa_tg_split 0
		.amdhsa_exception_fp_ieee_invalid_op 0
		.amdhsa_exception_fp_denorm_src 0
		.amdhsa_exception_fp_ieee_div_zero 0
		.amdhsa_exception_fp_ieee_overflow 0
		.amdhsa_exception_fp_ieee_underflow 0
		.amdhsa_exception_fp_ieee_inexact 0
		.amdhsa_exception_int_div_zero 0
	.end_amdhsa_kernel
	.section	.text._ZN7rocprim17ROCPRIM_400000_NS6detail17trampoline_kernelINS0_14default_configENS1_27scan_by_key_config_selectorIiiEEZZNS1_16scan_by_key_implILNS1_25lookback_scan_determinismE0ELb0ES3_N6thrust23THRUST_200600_302600_NS6detail15normal_iteratorINS9_10device_ptrIiEEEENS9_18transform_iteratorINS9_6negateIiEESE_NS9_11use_defaultESI_EESE_iNS9_4plusIvEENS9_8equal_toIvEEiEE10hipError_tPvRmT2_T3_T4_T5_mT6_T7_P12ihipStream_tbENKUlT_T0_E_clISt17integral_constantIbLb0EES13_IbLb1EEEEDaSZ_S10_EUlSZ_E_NS1_11comp_targetILNS1_3genE4ELNS1_11target_archE910ELNS1_3gpuE8ELNS1_3repE0EEENS1_30default_config_static_selectorELNS0_4arch9wavefront6targetE1EEEvT1_,"axG",@progbits,_ZN7rocprim17ROCPRIM_400000_NS6detail17trampoline_kernelINS0_14default_configENS1_27scan_by_key_config_selectorIiiEEZZNS1_16scan_by_key_implILNS1_25lookback_scan_determinismE0ELb0ES3_N6thrust23THRUST_200600_302600_NS6detail15normal_iteratorINS9_10device_ptrIiEEEENS9_18transform_iteratorINS9_6negateIiEESE_NS9_11use_defaultESI_EESE_iNS9_4plusIvEENS9_8equal_toIvEEiEE10hipError_tPvRmT2_T3_T4_T5_mT6_T7_P12ihipStream_tbENKUlT_T0_E_clISt17integral_constantIbLb0EES13_IbLb1EEEEDaSZ_S10_EUlSZ_E_NS1_11comp_targetILNS1_3genE4ELNS1_11target_archE910ELNS1_3gpuE8ELNS1_3repE0EEENS1_30default_config_static_selectorELNS0_4arch9wavefront6targetE1EEEvT1_,comdat
.Lfunc_end959:
	.size	_ZN7rocprim17ROCPRIM_400000_NS6detail17trampoline_kernelINS0_14default_configENS1_27scan_by_key_config_selectorIiiEEZZNS1_16scan_by_key_implILNS1_25lookback_scan_determinismE0ELb0ES3_N6thrust23THRUST_200600_302600_NS6detail15normal_iteratorINS9_10device_ptrIiEEEENS9_18transform_iteratorINS9_6negateIiEESE_NS9_11use_defaultESI_EESE_iNS9_4plusIvEENS9_8equal_toIvEEiEE10hipError_tPvRmT2_T3_T4_T5_mT6_T7_P12ihipStream_tbENKUlT_T0_E_clISt17integral_constantIbLb0EES13_IbLb1EEEEDaSZ_S10_EUlSZ_E_NS1_11comp_targetILNS1_3genE4ELNS1_11target_archE910ELNS1_3gpuE8ELNS1_3repE0EEENS1_30default_config_static_selectorELNS0_4arch9wavefront6targetE1EEEvT1_, .Lfunc_end959-_ZN7rocprim17ROCPRIM_400000_NS6detail17trampoline_kernelINS0_14default_configENS1_27scan_by_key_config_selectorIiiEEZZNS1_16scan_by_key_implILNS1_25lookback_scan_determinismE0ELb0ES3_N6thrust23THRUST_200600_302600_NS6detail15normal_iteratorINS9_10device_ptrIiEEEENS9_18transform_iteratorINS9_6negateIiEESE_NS9_11use_defaultESI_EESE_iNS9_4plusIvEENS9_8equal_toIvEEiEE10hipError_tPvRmT2_T3_T4_T5_mT6_T7_P12ihipStream_tbENKUlT_T0_E_clISt17integral_constantIbLb0EES13_IbLb1EEEEDaSZ_S10_EUlSZ_E_NS1_11comp_targetILNS1_3genE4ELNS1_11target_archE910ELNS1_3gpuE8ELNS1_3repE0EEENS1_30default_config_static_selectorELNS0_4arch9wavefront6targetE1EEEvT1_
                                        ; -- End function
	.section	.AMDGPU.csdata,"",@progbits
; Kernel info:
; codeLenInByte = 0
; NumSgprs: 6
; NumVgprs: 0
; NumAgprs: 0
; TotalNumVgprs: 0
; ScratchSize: 0
; MemoryBound: 0
; FloatMode: 240
; IeeeMode: 1
; LDSByteSize: 0 bytes/workgroup (compile time only)
; SGPRBlocks: 0
; VGPRBlocks: 0
; NumSGPRsForWavesPerEU: 6
; NumVGPRsForWavesPerEU: 1
; AccumOffset: 4
; Occupancy: 8
; WaveLimiterHint : 0
; COMPUTE_PGM_RSRC2:SCRATCH_EN: 0
; COMPUTE_PGM_RSRC2:USER_SGPR: 2
; COMPUTE_PGM_RSRC2:TRAP_HANDLER: 0
; COMPUTE_PGM_RSRC2:TGID_X_EN: 1
; COMPUTE_PGM_RSRC2:TGID_Y_EN: 0
; COMPUTE_PGM_RSRC2:TGID_Z_EN: 0
; COMPUTE_PGM_RSRC2:TIDIG_COMP_CNT: 0
; COMPUTE_PGM_RSRC3_GFX90A:ACCUM_OFFSET: 0
; COMPUTE_PGM_RSRC3_GFX90A:TG_SPLIT: 0
	.section	.text._ZN7rocprim17ROCPRIM_400000_NS6detail17trampoline_kernelINS0_14default_configENS1_27scan_by_key_config_selectorIiiEEZZNS1_16scan_by_key_implILNS1_25lookback_scan_determinismE0ELb0ES3_N6thrust23THRUST_200600_302600_NS6detail15normal_iteratorINS9_10device_ptrIiEEEENS9_18transform_iteratorINS9_6negateIiEESE_NS9_11use_defaultESI_EESE_iNS9_4plusIvEENS9_8equal_toIvEEiEE10hipError_tPvRmT2_T3_T4_T5_mT6_T7_P12ihipStream_tbENKUlT_T0_E_clISt17integral_constantIbLb0EES13_IbLb1EEEEDaSZ_S10_EUlSZ_E_NS1_11comp_targetILNS1_3genE3ELNS1_11target_archE908ELNS1_3gpuE7ELNS1_3repE0EEENS1_30default_config_static_selectorELNS0_4arch9wavefront6targetE1EEEvT1_,"axG",@progbits,_ZN7rocprim17ROCPRIM_400000_NS6detail17trampoline_kernelINS0_14default_configENS1_27scan_by_key_config_selectorIiiEEZZNS1_16scan_by_key_implILNS1_25lookback_scan_determinismE0ELb0ES3_N6thrust23THRUST_200600_302600_NS6detail15normal_iteratorINS9_10device_ptrIiEEEENS9_18transform_iteratorINS9_6negateIiEESE_NS9_11use_defaultESI_EESE_iNS9_4plusIvEENS9_8equal_toIvEEiEE10hipError_tPvRmT2_T3_T4_T5_mT6_T7_P12ihipStream_tbENKUlT_T0_E_clISt17integral_constantIbLb0EES13_IbLb1EEEEDaSZ_S10_EUlSZ_E_NS1_11comp_targetILNS1_3genE3ELNS1_11target_archE908ELNS1_3gpuE7ELNS1_3repE0EEENS1_30default_config_static_selectorELNS0_4arch9wavefront6targetE1EEEvT1_,comdat
	.protected	_ZN7rocprim17ROCPRIM_400000_NS6detail17trampoline_kernelINS0_14default_configENS1_27scan_by_key_config_selectorIiiEEZZNS1_16scan_by_key_implILNS1_25lookback_scan_determinismE0ELb0ES3_N6thrust23THRUST_200600_302600_NS6detail15normal_iteratorINS9_10device_ptrIiEEEENS9_18transform_iteratorINS9_6negateIiEESE_NS9_11use_defaultESI_EESE_iNS9_4plusIvEENS9_8equal_toIvEEiEE10hipError_tPvRmT2_T3_T4_T5_mT6_T7_P12ihipStream_tbENKUlT_T0_E_clISt17integral_constantIbLb0EES13_IbLb1EEEEDaSZ_S10_EUlSZ_E_NS1_11comp_targetILNS1_3genE3ELNS1_11target_archE908ELNS1_3gpuE7ELNS1_3repE0EEENS1_30default_config_static_selectorELNS0_4arch9wavefront6targetE1EEEvT1_ ; -- Begin function _ZN7rocprim17ROCPRIM_400000_NS6detail17trampoline_kernelINS0_14default_configENS1_27scan_by_key_config_selectorIiiEEZZNS1_16scan_by_key_implILNS1_25lookback_scan_determinismE0ELb0ES3_N6thrust23THRUST_200600_302600_NS6detail15normal_iteratorINS9_10device_ptrIiEEEENS9_18transform_iteratorINS9_6negateIiEESE_NS9_11use_defaultESI_EESE_iNS9_4plusIvEENS9_8equal_toIvEEiEE10hipError_tPvRmT2_T3_T4_T5_mT6_T7_P12ihipStream_tbENKUlT_T0_E_clISt17integral_constantIbLb0EES13_IbLb1EEEEDaSZ_S10_EUlSZ_E_NS1_11comp_targetILNS1_3genE3ELNS1_11target_archE908ELNS1_3gpuE7ELNS1_3repE0EEENS1_30default_config_static_selectorELNS0_4arch9wavefront6targetE1EEEvT1_
	.globl	_ZN7rocprim17ROCPRIM_400000_NS6detail17trampoline_kernelINS0_14default_configENS1_27scan_by_key_config_selectorIiiEEZZNS1_16scan_by_key_implILNS1_25lookback_scan_determinismE0ELb0ES3_N6thrust23THRUST_200600_302600_NS6detail15normal_iteratorINS9_10device_ptrIiEEEENS9_18transform_iteratorINS9_6negateIiEESE_NS9_11use_defaultESI_EESE_iNS9_4plusIvEENS9_8equal_toIvEEiEE10hipError_tPvRmT2_T3_T4_T5_mT6_T7_P12ihipStream_tbENKUlT_T0_E_clISt17integral_constantIbLb0EES13_IbLb1EEEEDaSZ_S10_EUlSZ_E_NS1_11comp_targetILNS1_3genE3ELNS1_11target_archE908ELNS1_3gpuE7ELNS1_3repE0EEENS1_30default_config_static_selectorELNS0_4arch9wavefront6targetE1EEEvT1_
	.p2align	8
	.type	_ZN7rocprim17ROCPRIM_400000_NS6detail17trampoline_kernelINS0_14default_configENS1_27scan_by_key_config_selectorIiiEEZZNS1_16scan_by_key_implILNS1_25lookback_scan_determinismE0ELb0ES3_N6thrust23THRUST_200600_302600_NS6detail15normal_iteratorINS9_10device_ptrIiEEEENS9_18transform_iteratorINS9_6negateIiEESE_NS9_11use_defaultESI_EESE_iNS9_4plusIvEENS9_8equal_toIvEEiEE10hipError_tPvRmT2_T3_T4_T5_mT6_T7_P12ihipStream_tbENKUlT_T0_E_clISt17integral_constantIbLb0EES13_IbLb1EEEEDaSZ_S10_EUlSZ_E_NS1_11comp_targetILNS1_3genE3ELNS1_11target_archE908ELNS1_3gpuE7ELNS1_3repE0EEENS1_30default_config_static_selectorELNS0_4arch9wavefront6targetE1EEEvT1_,@function
_ZN7rocprim17ROCPRIM_400000_NS6detail17trampoline_kernelINS0_14default_configENS1_27scan_by_key_config_selectorIiiEEZZNS1_16scan_by_key_implILNS1_25lookback_scan_determinismE0ELb0ES3_N6thrust23THRUST_200600_302600_NS6detail15normal_iteratorINS9_10device_ptrIiEEEENS9_18transform_iteratorINS9_6negateIiEESE_NS9_11use_defaultESI_EESE_iNS9_4plusIvEENS9_8equal_toIvEEiEE10hipError_tPvRmT2_T3_T4_T5_mT6_T7_P12ihipStream_tbENKUlT_T0_E_clISt17integral_constantIbLb0EES13_IbLb1EEEEDaSZ_S10_EUlSZ_E_NS1_11comp_targetILNS1_3genE3ELNS1_11target_archE908ELNS1_3gpuE7ELNS1_3repE0EEENS1_30default_config_static_selectorELNS0_4arch9wavefront6targetE1EEEvT1_: ; @_ZN7rocprim17ROCPRIM_400000_NS6detail17trampoline_kernelINS0_14default_configENS1_27scan_by_key_config_selectorIiiEEZZNS1_16scan_by_key_implILNS1_25lookback_scan_determinismE0ELb0ES3_N6thrust23THRUST_200600_302600_NS6detail15normal_iteratorINS9_10device_ptrIiEEEENS9_18transform_iteratorINS9_6negateIiEESE_NS9_11use_defaultESI_EESE_iNS9_4plusIvEENS9_8equal_toIvEEiEE10hipError_tPvRmT2_T3_T4_T5_mT6_T7_P12ihipStream_tbENKUlT_T0_E_clISt17integral_constantIbLb0EES13_IbLb1EEEEDaSZ_S10_EUlSZ_E_NS1_11comp_targetILNS1_3genE3ELNS1_11target_archE908ELNS1_3gpuE7ELNS1_3repE0EEENS1_30default_config_static_selectorELNS0_4arch9wavefront6targetE1EEEvT1_
; %bb.0:
	.section	.rodata,"a",@progbits
	.p2align	6, 0x0
	.amdhsa_kernel _ZN7rocprim17ROCPRIM_400000_NS6detail17trampoline_kernelINS0_14default_configENS1_27scan_by_key_config_selectorIiiEEZZNS1_16scan_by_key_implILNS1_25lookback_scan_determinismE0ELb0ES3_N6thrust23THRUST_200600_302600_NS6detail15normal_iteratorINS9_10device_ptrIiEEEENS9_18transform_iteratorINS9_6negateIiEESE_NS9_11use_defaultESI_EESE_iNS9_4plusIvEENS9_8equal_toIvEEiEE10hipError_tPvRmT2_T3_T4_T5_mT6_T7_P12ihipStream_tbENKUlT_T0_E_clISt17integral_constantIbLb0EES13_IbLb1EEEEDaSZ_S10_EUlSZ_E_NS1_11comp_targetILNS1_3genE3ELNS1_11target_archE908ELNS1_3gpuE7ELNS1_3repE0EEENS1_30default_config_static_selectorELNS0_4arch9wavefront6targetE1EEEvT1_
		.amdhsa_group_segment_fixed_size 0
		.amdhsa_private_segment_fixed_size 0
		.amdhsa_kernarg_size 120
		.amdhsa_user_sgpr_count 2
		.amdhsa_user_sgpr_dispatch_ptr 0
		.amdhsa_user_sgpr_queue_ptr 0
		.amdhsa_user_sgpr_kernarg_segment_ptr 1
		.amdhsa_user_sgpr_dispatch_id 0
		.amdhsa_user_sgpr_kernarg_preload_length 0
		.amdhsa_user_sgpr_kernarg_preload_offset 0
		.amdhsa_user_sgpr_private_segment_size 0
		.amdhsa_uses_dynamic_stack 0
		.amdhsa_enable_private_segment 0
		.amdhsa_system_sgpr_workgroup_id_x 1
		.amdhsa_system_sgpr_workgroup_id_y 0
		.amdhsa_system_sgpr_workgroup_id_z 0
		.amdhsa_system_sgpr_workgroup_info 0
		.amdhsa_system_vgpr_workitem_id 0
		.amdhsa_next_free_vgpr 1
		.amdhsa_next_free_sgpr 0
		.amdhsa_accum_offset 4
		.amdhsa_reserve_vcc 0
		.amdhsa_float_round_mode_32 0
		.amdhsa_float_round_mode_16_64 0
		.amdhsa_float_denorm_mode_32 3
		.amdhsa_float_denorm_mode_16_64 3
		.amdhsa_dx10_clamp 1
		.amdhsa_ieee_mode 1
		.amdhsa_fp16_overflow 0
		.amdhsa_tg_split 0
		.amdhsa_exception_fp_ieee_invalid_op 0
		.amdhsa_exception_fp_denorm_src 0
		.amdhsa_exception_fp_ieee_div_zero 0
		.amdhsa_exception_fp_ieee_overflow 0
		.amdhsa_exception_fp_ieee_underflow 0
		.amdhsa_exception_fp_ieee_inexact 0
		.amdhsa_exception_int_div_zero 0
	.end_amdhsa_kernel
	.section	.text._ZN7rocprim17ROCPRIM_400000_NS6detail17trampoline_kernelINS0_14default_configENS1_27scan_by_key_config_selectorIiiEEZZNS1_16scan_by_key_implILNS1_25lookback_scan_determinismE0ELb0ES3_N6thrust23THRUST_200600_302600_NS6detail15normal_iteratorINS9_10device_ptrIiEEEENS9_18transform_iteratorINS9_6negateIiEESE_NS9_11use_defaultESI_EESE_iNS9_4plusIvEENS9_8equal_toIvEEiEE10hipError_tPvRmT2_T3_T4_T5_mT6_T7_P12ihipStream_tbENKUlT_T0_E_clISt17integral_constantIbLb0EES13_IbLb1EEEEDaSZ_S10_EUlSZ_E_NS1_11comp_targetILNS1_3genE3ELNS1_11target_archE908ELNS1_3gpuE7ELNS1_3repE0EEENS1_30default_config_static_selectorELNS0_4arch9wavefront6targetE1EEEvT1_,"axG",@progbits,_ZN7rocprim17ROCPRIM_400000_NS6detail17trampoline_kernelINS0_14default_configENS1_27scan_by_key_config_selectorIiiEEZZNS1_16scan_by_key_implILNS1_25lookback_scan_determinismE0ELb0ES3_N6thrust23THRUST_200600_302600_NS6detail15normal_iteratorINS9_10device_ptrIiEEEENS9_18transform_iteratorINS9_6negateIiEESE_NS9_11use_defaultESI_EESE_iNS9_4plusIvEENS9_8equal_toIvEEiEE10hipError_tPvRmT2_T3_T4_T5_mT6_T7_P12ihipStream_tbENKUlT_T0_E_clISt17integral_constantIbLb0EES13_IbLb1EEEEDaSZ_S10_EUlSZ_E_NS1_11comp_targetILNS1_3genE3ELNS1_11target_archE908ELNS1_3gpuE7ELNS1_3repE0EEENS1_30default_config_static_selectorELNS0_4arch9wavefront6targetE1EEEvT1_,comdat
.Lfunc_end960:
	.size	_ZN7rocprim17ROCPRIM_400000_NS6detail17trampoline_kernelINS0_14default_configENS1_27scan_by_key_config_selectorIiiEEZZNS1_16scan_by_key_implILNS1_25lookback_scan_determinismE0ELb0ES3_N6thrust23THRUST_200600_302600_NS6detail15normal_iteratorINS9_10device_ptrIiEEEENS9_18transform_iteratorINS9_6negateIiEESE_NS9_11use_defaultESI_EESE_iNS9_4plusIvEENS9_8equal_toIvEEiEE10hipError_tPvRmT2_T3_T4_T5_mT6_T7_P12ihipStream_tbENKUlT_T0_E_clISt17integral_constantIbLb0EES13_IbLb1EEEEDaSZ_S10_EUlSZ_E_NS1_11comp_targetILNS1_3genE3ELNS1_11target_archE908ELNS1_3gpuE7ELNS1_3repE0EEENS1_30default_config_static_selectorELNS0_4arch9wavefront6targetE1EEEvT1_, .Lfunc_end960-_ZN7rocprim17ROCPRIM_400000_NS6detail17trampoline_kernelINS0_14default_configENS1_27scan_by_key_config_selectorIiiEEZZNS1_16scan_by_key_implILNS1_25lookback_scan_determinismE0ELb0ES3_N6thrust23THRUST_200600_302600_NS6detail15normal_iteratorINS9_10device_ptrIiEEEENS9_18transform_iteratorINS9_6negateIiEESE_NS9_11use_defaultESI_EESE_iNS9_4plusIvEENS9_8equal_toIvEEiEE10hipError_tPvRmT2_T3_T4_T5_mT6_T7_P12ihipStream_tbENKUlT_T0_E_clISt17integral_constantIbLb0EES13_IbLb1EEEEDaSZ_S10_EUlSZ_E_NS1_11comp_targetILNS1_3genE3ELNS1_11target_archE908ELNS1_3gpuE7ELNS1_3repE0EEENS1_30default_config_static_selectorELNS0_4arch9wavefront6targetE1EEEvT1_
                                        ; -- End function
	.section	.AMDGPU.csdata,"",@progbits
; Kernel info:
; codeLenInByte = 0
; NumSgprs: 6
; NumVgprs: 0
; NumAgprs: 0
; TotalNumVgprs: 0
; ScratchSize: 0
; MemoryBound: 0
; FloatMode: 240
; IeeeMode: 1
; LDSByteSize: 0 bytes/workgroup (compile time only)
; SGPRBlocks: 0
; VGPRBlocks: 0
; NumSGPRsForWavesPerEU: 6
; NumVGPRsForWavesPerEU: 1
; AccumOffset: 4
; Occupancy: 8
; WaveLimiterHint : 0
; COMPUTE_PGM_RSRC2:SCRATCH_EN: 0
; COMPUTE_PGM_RSRC2:USER_SGPR: 2
; COMPUTE_PGM_RSRC2:TRAP_HANDLER: 0
; COMPUTE_PGM_RSRC2:TGID_X_EN: 1
; COMPUTE_PGM_RSRC2:TGID_Y_EN: 0
; COMPUTE_PGM_RSRC2:TGID_Z_EN: 0
; COMPUTE_PGM_RSRC2:TIDIG_COMP_CNT: 0
; COMPUTE_PGM_RSRC3_GFX90A:ACCUM_OFFSET: 0
; COMPUTE_PGM_RSRC3_GFX90A:TG_SPLIT: 0
	.section	.text._ZN7rocprim17ROCPRIM_400000_NS6detail17trampoline_kernelINS0_14default_configENS1_27scan_by_key_config_selectorIiiEEZZNS1_16scan_by_key_implILNS1_25lookback_scan_determinismE0ELb0ES3_N6thrust23THRUST_200600_302600_NS6detail15normal_iteratorINS9_10device_ptrIiEEEENS9_18transform_iteratorINS9_6negateIiEESE_NS9_11use_defaultESI_EESE_iNS9_4plusIvEENS9_8equal_toIvEEiEE10hipError_tPvRmT2_T3_T4_T5_mT6_T7_P12ihipStream_tbENKUlT_T0_E_clISt17integral_constantIbLb0EES13_IbLb1EEEEDaSZ_S10_EUlSZ_E_NS1_11comp_targetILNS1_3genE2ELNS1_11target_archE906ELNS1_3gpuE6ELNS1_3repE0EEENS1_30default_config_static_selectorELNS0_4arch9wavefront6targetE1EEEvT1_,"axG",@progbits,_ZN7rocprim17ROCPRIM_400000_NS6detail17trampoline_kernelINS0_14default_configENS1_27scan_by_key_config_selectorIiiEEZZNS1_16scan_by_key_implILNS1_25lookback_scan_determinismE0ELb0ES3_N6thrust23THRUST_200600_302600_NS6detail15normal_iteratorINS9_10device_ptrIiEEEENS9_18transform_iteratorINS9_6negateIiEESE_NS9_11use_defaultESI_EESE_iNS9_4plusIvEENS9_8equal_toIvEEiEE10hipError_tPvRmT2_T3_T4_T5_mT6_T7_P12ihipStream_tbENKUlT_T0_E_clISt17integral_constantIbLb0EES13_IbLb1EEEEDaSZ_S10_EUlSZ_E_NS1_11comp_targetILNS1_3genE2ELNS1_11target_archE906ELNS1_3gpuE6ELNS1_3repE0EEENS1_30default_config_static_selectorELNS0_4arch9wavefront6targetE1EEEvT1_,comdat
	.protected	_ZN7rocprim17ROCPRIM_400000_NS6detail17trampoline_kernelINS0_14default_configENS1_27scan_by_key_config_selectorIiiEEZZNS1_16scan_by_key_implILNS1_25lookback_scan_determinismE0ELb0ES3_N6thrust23THRUST_200600_302600_NS6detail15normal_iteratorINS9_10device_ptrIiEEEENS9_18transform_iteratorINS9_6negateIiEESE_NS9_11use_defaultESI_EESE_iNS9_4plusIvEENS9_8equal_toIvEEiEE10hipError_tPvRmT2_T3_T4_T5_mT6_T7_P12ihipStream_tbENKUlT_T0_E_clISt17integral_constantIbLb0EES13_IbLb1EEEEDaSZ_S10_EUlSZ_E_NS1_11comp_targetILNS1_3genE2ELNS1_11target_archE906ELNS1_3gpuE6ELNS1_3repE0EEENS1_30default_config_static_selectorELNS0_4arch9wavefront6targetE1EEEvT1_ ; -- Begin function _ZN7rocprim17ROCPRIM_400000_NS6detail17trampoline_kernelINS0_14default_configENS1_27scan_by_key_config_selectorIiiEEZZNS1_16scan_by_key_implILNS1_25lookback_scan_determinismE0ELb0ES3_N6thrust23THRUST_200600_302600_NS6detail15normal_iteratorINS9_10device_ptrIiEEEENS9_18transform_iteratorINS9_6negateIiEESE_NS9_11use_defaultESI_EESE_iNS9_4plusIvEENS9_8equal_toIvEEiEE10hipError_tPvRmT2_T3_T4_T5_mT6_T7_P12ihipStream_tbENKUlT_T0_E_clISt17integral_constantIbLb0EES13_IbLb1EEEEDaSZ_S10_EUlSZ_E_NS1_11comp_targetILNS1_3genE2ELNS1_11target_archE906ELNS1_3gpuE6ELNS1_3repE0EEENS1_30default_config_static_selectorELNS0_4arch9wavefront6targetE1EEEvT1_
	.globl	_ZN7rocprim17ROCPRIM_400000_NS6detail17trampoline_kernelINS0_14default_configENS1_27scan_by_key_config_selectorIiiEEZZNS1_16scan_by_key_implILNS1_25lookback_scan_determinismE0ELb0ES3_N6thrust23THRUST_200600_302600_NS6detail15normal_iteratorINS9_10device_ptrIiEEEENS9_18transform_iteratorINS9_6negateIiEESE_NS9_11use_defaultESI_EESE_iNS9_4plusIvEENS9_8equal_toIvEEiEE10hipError_tPvRmT2_T3_T4_T5_mT6_T7_P12ihipStream_tbENKUlT_T0_E_clISt17integral_constantIbLb0EES13_IbLb1EEEEDaSZ_S10_EUlSZ_E_NS1_11comp_targetILNS1_3genE2ELNS1_11target_archE906ELNS1_3gpuE6ELNS1_3repE0EEENS1_30default_config_static_selectorELNS0_4arch9wavefront6targetE1EEEvT1_
	.p2align	8
	.type	_ZN7rocprim17ROCPRIM_400000_NS6detail17trampoline_kernelINS0_14default_configENS1_27scan_by_key_config_selectorIiiEEZZNS1_16scan_by_key_implILNS1_25lookback_scan_determinismE0ELb0ES3_N6thrust23THRUST_200600_302600_NS6detail15normal_iteratorINS9_10device_ptrIiEEEENS9_18transform_iteratorINS9_6negateIiEESE_NS9_11use_defaultESI_EESE_iNS9_4plusIvEENS9_8equal_toIvEEiEE10hipError_tPvRmT2_T3_T4_T5_mT6_T7_P12ihipStream_tbENKUlT_T0_E_clISt17integral_constantIbLb0EES13_IbLb1EEEEDaSZ_S10_EUlSZ_E_NS1_11comp_targetILNS1_3genE2ELNS1_11target_archE906ELNS1_3gpuE6ELNS1_3repE0EEENS1_30default_config_static_selectorELNS0_4arch9wavefront6targetE1EEEvT1_,@function
_ZN7rocprim17ROCPRIM_400000_NS6detail17trampoline_kernelINS0_14default_configENS1_27scan_by_key_config_selectorIiiEEZZNS1_16scan_by_key_implILNS1_25lookback_scan_determinismE0ELb0ES3_N6thrust23THRUST_200600_302600_NS6detail15normal_iteratorINS9_10device_ptrIiEEEENS9_18transform_iteratorINS9_6negateIiEESE_NS9_11use_defaultESI_EESE_iNS9_4plusIvEENS9_8equal_toIvEEiEE10hipError_tPvRmT2_T3_T4_T5_mT6_T7_P12ihipStream_tbENKUlT_T0_E_clISt17integral_constantIbLb0EES13_IbLb1EEEEDaSZ_S10_EUlSZ_E_NS1_11comp_targetILNS1_3genE2ELNS1_11target_archE906ELNS1_3gpuE6ELNS1_3repE0EEENS1_30default_config_static_selectorELNS0_4arch9wavefront6targetE1EEEvT1_: ; @_ZN7rocprim17ROCPRIM_400000_NS6detail17trampoline_kernelINS0_14default_configENS1_27scan_by_key_config_selectorIiiEEZZNS1_16scan_by_key_implILNS1_25lookback_scan_determinismE0ELb0ES3_N6thrust23THRUST_200600_302600_NS6detail15normal_iteratorINS9_10device_ptrIiEEEENS9_18transform_iteratorINS9_6negateIiEESE_NS9_11use_defaultESI_EESE_iNS9_4plusIvEENS9_8equal_toIvEEiEE10hipError_tPvRmT2_T3_T4_T5_mT6_T7_P12ihipStream_tbENKUlT_T0_E_clISt17integral_constantIbLb0EES13_IbLb1EEEEDaSZ_S10_EUlSZ_E_NS1_11comp_targetILNS1_3genE2ELNS1_11target_archE906ELNS1_3gpuE6ELNS1_3repE0EEENS1_30default_config_static_selectorELNS0_4arch9wavefront6targetE1EEEvT1_
; %bb.0:
	.section	.rodata,"a",@progbits
	.p2align	6, 0x0
	.amdhsa_kernel _ZN7rocprim17ROCPRIM_400000_NS6detail17trampoline_kernelINS0_14default_configENS1_27scan_by_key_config_selectorIiiEEZZNS1_16scan_by_key_implILNS1_25lookback_scan_determinismE0ELb0ES3_N6thrust23THRUST_200600_302600_NS6detail15normal_iteratorINS9_10device_ptrIiEEEENS9_18transform_iteratorINS9_6negateIiEESE_NS9_11use_defaultESI_EESE_iNS9_4plusIvEENS9_8equal_toIvEEiEE10hipError_tPvRmT2_T3_T4_T5_mT6_T7_P12ihipStream_tbENKUlT_T0_E_clISt17integral_constantIbLb0EES13_IbLb1EEEEDaSZ_S10_EUlSZ_E_NS1_11comp_targetILNS1_3genE2ELNS1_11target_archE906ELNS1_3gpuE6ELNS1_3repE0EEENS1_30default_config_static_selectorELNS0_4arch9wavefront6targetE1EEEvT1_
		.amdhsa_group_segment_fixed_size 0
		.amdhsa_private_segment_fixed_size 0
		.amdhsa_kernarg_size 120
		.amdhsa_user_sgpr_count 2
		.amdhsa_user_sgpr_dispatch_ptr 0
		.amdhsa_user_sgpr_queue_ptr 0
		.amdhsa_user_sgpr_kernarg_segment_ptr 1
		.amdhsa_user_sgpr_dispatch_id 0
		.amdhsa_user_sgpr_kernarg_preload_length 0
		.amdhsa_user_sgpr_kernarg_preload_offset 0
		.amdhsa_user_sgpr_private_segment_size 0
		.amdhsa_uses_dynamic_stack 0
		.amdhsa_enable_private_segment 0
		.amdhsa_system_sgpr_workgroup_id_x 1
		.amdhsa_system_sgpr_workgroup_id_y 0
		.amdhsa_system_sgpr_workgroup_id_z 0
		.amdhsa_system_sgpr_workgroup_info 0
		.amdhsa_system_vgpr_workitem_id 0
		.amdhsa_next_free_vgpr 1
		.amdhsa_next_free_sgpr 0
		.amdhsa_accum_offset 4
		.amdhsa_reserve_vcc 0
		.amdhsa_float_round_mode_32 0
		.amdhsa_float_round_mode_16_64 0
		.amdhsa_float_denorm_mode_32 3
		.amdhsa_float_denorm_mode_16_64 3
		.amdhsa_dx10_clamp 1
		.amdhsa_ieee_mode 1
		.amdhsa_fp16_overflow 0
		.amdhsa_tg_split 0
		.amdhsa_exception_fp_ieee_invalid_op 0
		.amdhsa_exception_fp_denorm_src 0
		.amdhsa_exception_fp_ieee_div_zero 0
		.amdhsa_exception_fp_ieee_overflow 0
		.amdhsa_exception_fp_ieee_underflow 0
		.amdhsa_exception_fp_ieee_inexact 0
		.amdhsa_exception_int_div_zero 0
	.end_amdhsa_kernel
	.section	.text._ZN7rocprim17ROCPRIM_400000_NS6detail17trampoline_kernelINS0_14default_configENS1_27scan_by_key_config_selectorIiiEEZZNS1_16scan_by_key_implILNS1_25lookback_scan_determinismE0ELb0ES3_N6thrust23THRUST_200600_302600_NS6detail15normal_iteratorINS9_10device_ptrIiEEEENS9_18transform_iteratorINS9_6negateIiEESE_NS9_11use_defaultESI_EESE_iNS9_4plusIvEENS9_8equal_toIvEEiEE10hipError_tPvRmT2_T3_T4_T5_mT6_T7_P12ihipStream_tbENKUlT_T0_E_clISt17integral_constantIbLb0EES13_IbLb1EEEEDaSZ_S10_EUlSZ_E_NS1_11comp_targetILNS1_3genE2ELNS1_11target_archE906ELNS1_3gpuE6ELNS1_3repE0EEENS1_30default_config_static_selectorELNS0_4arch9wavefront6targetE1EEEvT1_,"axG",@progbits,_ZN7rocprim17ROCPRIM_400000_NS6detail17trampoline_kernelINS0_14default_configENS1_27scan_by_key_config_selectorIiiEEZZNS1_16scan_by_key_implILNS1_25lookback_scan_determinismE0ELb0ES3_N6thrust23THRUST_200600_302600_NS6detail15normal_iteratorINS9_10device_ptrIiEEEENS9_18transform_iteratorINS9_6negateIiEESE_NS9_11use_defaultESI_EESE_iNS9_4plusIvEENS9_8equal_toIvEEiEE10hipError_tPvRmT2_T3_T4_T5_mT6_T7_P12ihipStream_tbENKUlT_T0_E_clISt17integral_constantIbLb0EES13_IbLb1EEEEDaSZ_S10_EUlSZ_E_NS1_11comp_targetILNS1_3genE2ELNS1_11target_archE906ELNS1_3gpuE6ELNS1_3repE0EEENS1_30default_config_static_selectorELNS0_4arch9wavefront6targetE1EEEvT1_,comdat
.Lfunc_end961:
	.size	_ZN7rocprim17ROCPRIM_400000_NS6detail17trampoline_kernelINS0_14default_configENS1_27scan_by_key_config_selectorIiiEEZZNS1_16scan_by_key_implILNS1_25lookback_scan_determinismE0ELb0ES3_N6thrust23THRUST_200600_302600_NS6detail15normal_iteratorINS9_10device_ptrIiEEEENS9_18transform_iteratorINS9_6negateIiEESE_NS9_11use_defaultESI_EESE_iNS9_4plusIvEENS9_8equal_toIvEEiEE10hipError_tPvRmT2_T3_T4_T5_mT6_T7_P12ihipStream_tbENKUlT_T0_E_clISt17integral_constantIbLb0EES13_IbLb1EEEEDaSZ_S10_EUlSZ_E_NS1_11comp_targetILNS1_3genE2ELNS1_11target_archE906ELNS1_3gpuE6ELNS1_3repE0EEENS1_30default_config_static_selectorELNS0_4arch9wavefront6targetE1EEEvT1_, .Lfunc_end961-_ZN7rocprim17ROCPRIM_400000_NS6detail17trampoline_kernelINS0_14default_configENS1_27scan_by_key_config_selectorIiiEEZZNS1_16scan_by_key_implILNS1_25lookback_scan_determinismE0ELb0ES3_N6thrust23THRUST_200600_302600_NS6detail15normal_iteratorINS9_10device_ptrIiEEEENS9_18transform_iteratorINS9_6negateIiEESE_NS9_11use_defaultESI_EESE_iNS9_4plusIvEENS9_8equal_toIvEEiEE10hipError_tPvRmT2_T3_T4_T5_mT6_T7_P12ihipStream_tbENKUlT_T0_E_clISt17integral_constantIbLb0EES13_IbLb1EEEEDaSZ_S10_EUlSZ_E_NS1_11comp_targetILNS1_3genE2ELNS1_11target_archE906ELNS1_3gpuE6ELNS1_3repE0EEENS1_30default_config_static_selectorELNS0_4arch9wavefront6targetE1EEEvT1_
                                        ; -- End function
	.section	.AMDGPU.csdata,"",@progbits
; Kernel info:
; codeLenInByte = 0
; NumSgprs: 6
; NumVgprs: 0
; NumAgprs: 0
; TotalNumVgprs: 0
; ScratchSize: 0
; MemoryBound: 0
; FloatMode: 240
; IeeeMode: 1
; LDSByteSize: 0 bytes/workgroup (compile time only)
; SGPRBlocks: 0
; VGPRBlocks: 0
; NumSGPRsForWavesPerEU: 6
; NumVGPRsForWavesPerEU: 1
; AccumOffset: 4
; Occupancy: 8
; WaveLimiterHint : 0
; COMPUTE_PGM_RSRC2:SCRATCH_EN: 0
; COMPUTE_PGM_RSRC2:USER_SGPR: 2
; COMPUTE_PGM_RSRC2:TRAP_HANDLER: 0
; COMPUTE_PGM_RSRC2:TGID_X_EN: 1
; COMPUTE_PGM_RSRC2:TGID_Y_EN: 0
; COMPUTE_PGM_RSRC2:TGID_Z_EN: 0
; COMPUTE_PGM_RSRC2:TIDIG_COMP_CNT: 0
; COMPUTE_PGM_RSRC3_GFX90A:ACCUM_OFFSET: 0
; COMPUTE_PGM_RSRC3_GFX90A:TG_SPLIT: 0
	.section	.text._ZN7rocprim17ROCPRIM_400000_NS6detail17trampoline_kernelINS0_14default_configENS1_27scan_by_key_config_selectorIiiEEZZNS1_16scan_by_key_implILNS1_25lookback_scan_determinismE0ELb0ES3_N6thrust23THRUST_200600_302600_NS6detail15normal_iteratorINS9_10device_ptrIiEEEENS9_18transform_iteratorINS9_6negateIiEESE_NS9_11use_defaultESI_EESE_iNS9_4plusIvEENS9_8equal_toIvEEiEE10hipError_tPvRmT2_T3_T4_T5_mT6_T7_P12ihipStream_tbENKUlT_T0_E_clISt17integral_constantIbLb0EES13_IbLb1EEEEDaSZ_S10_EUlSZ_E_NS1_11comp_targetILNS1_3genE10ELNS1_11target_archE1200ELNS1_3gpuE4ELNS1_3repE0EEENS1_30default_config_static_selectorELNS0_4arch9wavefront6targetE1EEEvT1_,"axG",@progbits,_ZN7rocprim17ROCPRIM_400000_NS6detail17trampoline_kernelINS0_14default_configENS1_27scan_by_key_config_selectorIiiEEZZNS1_16scan_by_key_implILNS1_25lookback_scan_determinismE0ELb0ES3_N6thrust23THRUST_200600_302600_NS6detail15normal_iteratorINS9_10device_ptrIiEEEENS9_18transform_iteratorINS9_6negateIiEESE_NS9_11use_defaultESI_EESE_iNS9_4plusIvEENS9_8equal_toIvEEiEE10hipError_tPvRmT2_T3_T4_T5_mT6_T7_P12ihipStream_tbENKUlT_T0_E_clISt17integral_constantIbLb0EES13_IbLb1EEEEDaSZ_S10_EUlSZ_E_NS1_11comp_targetILNS1_3genE10ELNS1_11target_archE1200ELNS1_3gpuE4ELNS1_3repE0EEENS1_30default_config_static_selectorELNS0_4arch9wavefront6targetE1EEEvT1_,comdat
	.protected	_ZN7rocprim17ROCPRIM_400000_NS6detail17trampoline_kernelINS0_14default_configENS1_27scan_by_key_config_selectorIiiEEZZNS1_16scan_by_key_implILNS1_25lookback_scan_determinismE0ELb0ES3_N6thrust23THRUST_200600_302600_NS6detail15normal_iteratorINS9_10device_ptrIiEEEENS9_18transform_iteratorINS9_6negateIiEESE_NS9_11use_defaultESI_EESE_iNS9_4plusIvEENS9_8equal_toIvEEiEE10hipError_tPvRmT2_T3_T4_T5_mT6_T7_P12ihipStream_tbENKUlT_T0_E_clISt17integral_constantIbLb0EES13_IbLb1EEEEDaSZ_S10_EUlSZ_E_NS1_11comp_targetILNS1_3genE10ELNS1_11target_archE1200ELNS1_3gpuE4ELNS1_3repE0EEENS1_30default_config_static_selectorELNS0_4arch9wavefront6targetE1EEEvT1_ ; -- Begin function _ZN7rocprim17ROCPRIM_400000_NS6detail17trampoline_kernelINS0_14default_configENS1_27scan_by_key_config_selectorIiiEEZZNS1_16scan_by_key_implILNS1_25lookback_scan_determinismE0ELb0ES3_N6thrust23THRUST_200600_302600_NS6detail15normal_iteratorINS9_10device_ptrIiEEEENS9_18transform_iteratorINS9_6negateIiEESE_NS9_11use_defaultESI_EESE_iNS9_4plusIvEENS9_8equal_toIvEEiEE10hipError_tPvRmT2_T3_T4_T5_mT6_T7_P12ihipStream_tbENKUlT_T0_E_clISt17integral_constantIbLb0EES13_IbLb1EEEEDaSZ_S10_EUlSZ_E_NS1_11comp_targetILNS1_3genE10ELNS1_11target_archE1200ELNS1_3gpuE4ELNS1_3repE0EEENS1_30default_config_static_selectorELNS0_4arch9wavefront6targetE1EEEvT1_
	.globl	_ZN7rocprim17ROCPRIM_400000_NS6detail17trampoline_kernelINS0_14default_configENS1_27scan_by_key_config_selectorIiiEEZZNS1_16scan_by_key_implILNS1_25lookback_scan_determinismE0ELb0ES3_N6thrust23THRUST_200600_302600_NS6detail15normal_iteratorINS9_10device_ptrIiEEEENS9_18transform_iteratorINS9_6negateIiEESE_NS9_11use_defaultESI_EESE_iNS9_4plusIvEENS9_8equal_toIvEEiEE10hipError_tPvRmT2_T3_T4_T5_mT6_T7_P12ihipStream_tbENKUlT_T0_E_clISt17integral_constantIbLb0EES13_IbLb1EEEEDaSZ_S10_EUlSZ_E_NS1_11comp_targetILNS1_3genE10ELNS1_11target_archE1200ELNS1_3gpuE4ELNS1_3repE0EEENS1_30default_config_static_selectorELNS0_4arch9wavefront6targetE1EEEvT1_
	.p2align	8
	.type	_ZN7rocprim17ROCPRIM_400000_NS6detail17trampoline_kernelINS0_14default_configENS1_27scan_by_key_config_selectorIiiEEZZNS1_16scan_by_key_implILNS1_25lookback_scan_determinismE0ELb0ES3_N6thrust23THRUST_200600_302600_NS6detail15normal_iteratorINS9_10device_ptrIiEEEENS9_18transform_iteratorINS9_6negateIiEESE_NS9_11use_defaultESI_EESE_iNS9_4plusIvEENS9_8equal_toIvEEiEE10hipError_tPvRmT2_T3_T4_T5_mT6_T7_P12ihipStream_tbENKUlT_T0_E_clISt17integral_constantIbLb0EES13_IbLb1EEEEDaSZ_S10_EUlSZ_E_NS1_11comp_targetILNS1_3genE10ELNS1_11target_archE1200ELNS1_3gpuE4ELNS1_3repE0EEENS1_30default_config_static_selectorELNS0_4arch9wavefront6targetE1EEEvT1_,@function
_ZN7rocprim17ROCPRIM_400000_NS6detail17trampoline_kernelINS0_14default_configENS1_27scan_by_key_config_selectorIiiEEZZNS1_16scan_by_key_implILNS1_25lookback_scan_determinismE0ELb0ES3_N6thrust23THRUST_200600_302600_NS6detail15normal_iteratorINS9_10device_ptrIiEEEENS9_18transform_iteratorINS9_6negateIiEESE_NS9_11use_defaultESI_EESE_iNS9_4plusIvEENS9_8equal_toIvEEiEE10hipError_tPvRmT2_T3_T4_T5_mT6_T7_P12ihipStream_tbENKUlT_T0_E_clISt17integral_constantIbLb0EES13_IbLb1EEEEDaSZ_S10_EUlSZ_E_NS1_11comp_targetILNS1_3genE10ELNS1_11target_archE1200ELNS1_3gpuE4ELNS1_3repE0EEENS1_30default_config_static_selectorELNS0_4arch9wavefront6targetE1EEEvT1_: ; @_ZN7rocprim17ROCPRIM_400000_NS6detail17trampoline_kernelINS0_14default_configENS1_27scan_by_key_config_selectorIiiEEZZNS1_16scan_by_key_implILNS1_25lookback_scan_determinismE0ELb0ES3_N6thrust23THRUST_200600_302600_NS6detail15normal_iteratorINS9_10device_ptrIiEEEENS9_18transform_iteratorINS9_6negateIiEESE_NS9_11use_defaultESI_EESE_iNS9_4plusIvEENS9_8equal_toIvEEiEE10hipError_tPvRmT2_T3_T4_T5_mT6_T7_P12ihipStream_tbENKUlT_T0_E_clISt17integral_constantIbLb0EES13_IbLb1EEEEDaSZ_S10_EUlSZ_E_NS1_11comp_targetILNS1_3genE10ELNS1_11target_archE1200ELNS1_3gpuE4ELNS1_3repE0EEENS1_30default_config_static_selectorELNS0_4arch9wavefront6targetE1EEEvT1_
; %bb.0:
	.section	.rodata,"a",@progbits
	.p2align	6, 0x0
	.amdhsa_kernel _ZN7rocprim17ROCPRIM_400000_NS6detail17trampoline_kernelINS0_14default_configENS1_27scan_by_key_config_selectorIiiEEZZNS1_16scan_by_key_implILNS1_25lookback_scan_determinismE0ELb0ES3_N6thrust23THRUST_200600_302600_NS6detail15normal_iteratorINS9_10device_ptrIiEEEENS9_18transform_iteratorINS9_6negateIiEESE_NS9_11use_defaultESI_EESE_iNS9_4plusIvEENS9_8equal_toIvEEiEE10hipError_tPvRmT2_T3_T4_T5_mT6_T7_P12ihipStream_tbENKUlT_T0_E_clISt17integral_constantIbLb0EES13_IbLb1EEEEDaSZ_S10_EUlSZ_E_NS1_11comp_targetILNS1_3genE10ELNS1_11target_archE1200ELNS1_3gpuE4ELNS1_3repE0EEENS1_30default_config_static_selectorELNS0_4arch9wavefront6targetE1EEEvT1_
		.amdhsa_group_segment_fixed_size 0
		.amdhsa_private_segment_fixed_size 0
		.amdhsa_kernarg_size 120
		.amdhsa_user_sgpr_count 2
		.amdhsa_user_sgpr_dispatch_ptr 0
		.amdhsa_user_sgpr_queue_ptr 0
		.amdhsa_user_sgpr_kernarg_segment_ptr 1
		.amdhsa_user_sgpr_dispatch_id 0
		.amdhsa_user_sgpr_kernarg_preload_length 0
		.amdhsa_user_sgpr_kernarg_preload_offset 0
		.amdhsa_user_sgpr_private_segment_size 0
		.amdhsa_uses_dynamic_stack 0
		.amdhsa_enable_private_segment 0
		.amdhsa_system_sgpr_workgroup_id_x 1
		.amdhsa_system_sgpr_workgroup_id_y 0
		.amdhsa_system_sgpr_workgroup_id_z 0
		.amdhsa_system_sgpr_workgroup_info 0
		.amdhsa_system_vgpr_workitem_id 0
		.amdhsa_next_free_vgpr 1
		.amdhsa_next_free_sgpr 0
		.amdhsa_accum_offset 4
		.amdhsa_reserve_vcc 0
		.amdhsa_float_round_mode_32 0
		.amdhsa_float_round_mode_16_64 0
		.amdhsa_float_denorm_mode_32 3
		.amdhsa_float_denorm_mode_16_64 3
		.amdhsa_dx10_clamp 1
		.amdhsa_ieee_mode 1
		.amdhsa_fp16_overflow 0
		.amdhsa_tg_split 0
		.amdhsa_exception_fp_ieee_invalid_op 0
		.amdhsa_exception_fp_denorm_src 0
		.amdhsa_exception_fp_ieee_div_zero 0
		.amdhsa_exception_fp_ieee_overflow 0
		.amdhsa_exception_fp_ieee_underflow 0
		.amdhsa_exception_fp_ieee_inexact 0
		.amdhsa_exception_int_div_zero 0
	.end_amdhsa_kernel
	.section	.text._ZN7rocprim17ROCPRIM_400000_NS6detail17trampoline_kernelINS0_14default_configENS1_27scan_by_key_config_selectorIiiEEZZNS1_16scan_by_key_implILNS1_25lookback_scan_determinismE0ELb0ES3_N6thrust23THRUST_200600_302600_NS6detail15normal_iteratorINS9_10device_ptrIiEEEENS9_18transform_iteratorINS9_6negateIiEESE_NS9_11use_defaultESI_EESE_iNS9_4plusIvEENS9_8equal_toIvEEiEE10hipError_tPvRmT2_T3_T4_T5_mT6_T7_P12ihipStream_tbENKUlT_T0_E_clISt17integral_constantIbLb0EES13_IbLb1EEEEDaSZ_S10_EUlSZ_E_NS1_11comp_targetILNS1_3genE10ELNS1_11target_archE1200ELNS1_3gpuE4ELNS1_3repE0EEENS1_30default_config_static_selectorELNS0_4arch9wavefront6targetE1EEEvT1_,"axG",@progbits,_ZN7rocprim17ROCPRIM_400000_NS6detail17trampoline_kernelINS0_14default_configENS1_27scan_by_key_config_selectorIiiEEZZNS1_16scan_by_key_implILNS1_25lookback_scan_determinismE0ELb0ES3_N6thrust23THRUST_200600_302600_NS6detail15normal_iteratorINS9_10device_ptrIiEEEENS9_18transform_iteratorINS9_6negateIiEESE_NS9_11use_defaultESI_EESE_iNS9_4plusIvEENS9_8equal_toIvEEiEE10hipError_tPvRmT2_T3_T4_T5_mT6_T7_P12ihipStream_tbENKUlT_T0_E_clISt17integral_constantIbLb0EES13_IbLb1EEEEDaSZ_S10_EUlSZ_E_NS1_11comp_targetILNS1_3genE10ELNS1_11target_archE1200ELNS1_3gpuE4ELNS1_3repE0EEENS1_30default_config_static_selectorELNS0_4arch9wavefront6targetE1EEEvT1_,comdat
.Lfunc_end962:
	.size	_ZN7rocprim17ROCPRIM_400000_NS6detail17trampoline_kernelINS0_14default_configENS1_27scan_by_key_config_selectorIiiEEZZNS1_16scan_by_key_implILNS1_25lookback_scan_determinismE0ELb0ES3_N6thrust23THRUST_200600_302600_NS6detail15normal_iteratorINS9_10device_ptrIiEEEENS9_18transform_iteratorINS9_6negateIiEESE_NS9_11use_defaultESI_EESE_iNS9_4plusIvEENS9_8equal_toIvEEiEE10hipError_tPvRmT2_T3_T4_T5_mT6_T7_P12ihipStream_tbENKUlT_T0_E_clISt17integral_constantIbLb0EES13_IbLb1EEEEDaSZ_S10_EUlSZ_E_NS1_11comp_targetILNS1_3genE10ELNS1_11target_archE1200ELNS1_3gpuE4ELNS1_3repE0EEENS1_30default_config_static_selectorELNS0_4arch9wavefront6targetE1EEEvT1_, .Lfunc_end962-_ZN7rocprim17ROCPRIM_400000_NS6detail17trampoline_kernelINS0_14default_configENS1_27scan_by_key_config_selectorIiiEEZZNS1_16scan_by_key_implILNS1_25lookback_scan_determinismE0ELb0ES3_N6thrust23THRUST_200600_302600_NS6detail15normal_iteratorINS9_10device_ptrIiEEEENS9_18transform_iteratorINS9_6negateIiEESE_NS9_11use_defaultESI_EESE_iNS9_4plusIvEENS9_8equal_toIvEEiEE10hipError_tPvRmT2_T3_T4_T5_mT6_T7_P12ihipStream_tbENKUlT_T0_E_clISt17integral_constantIbLb0EES13_IbLb1EEEEDaSZ_S10_EUlSZ_E_NS1_11comp_targetILNS1_3genE10ELNS1_11target_archE1200ELNS1_3gpuE4ELNS1_3repE0EEENS1_30default_config_static_selectorELNS0_4arch9wavefront6targetE1EEEvT1_
                                        ; -- End function
	.section	.AMDGPU.csdata,"",@progbits
; Kernel info:
; codeLenInByte = 0
; NumSgprs: 6
; NumVgprs: 0
; NumAgprs: 0
; TotalNumVgprs: 0
; ScratchSize: 0
; MemoryBound: 0
; FloatMode: 240
; IeeeMode: 1
; LDSByteSize: 0 bytes/workgroup (compile time only)
; SGPRBlocks: 0
; VGPRBlocks: 0
; NumSGPRsForWavesPerEU: 6
; NumVGPRsForWavesPerEU: 1
; AccumOffset: 4
; Occupancy: 8
; WaveLimiterHint : 0
; COMPUTE_PGM_RSRC2:SCRATCH_EN: 0
; COMPUTE_PGM_RSRC2:USER_SGPR: 2
; COMPUTE_PGM_RSRC2:TRAP_HANDLER: 0
; COMPUTE_PGM_RSRC2:TGID_X_EN: 1
; COMPUTE_PGM_RSRC2:TGID_Y_EN: 0
; COMPUTE_PGM_RSRC2:TGID_Z_EN: 0
; COMPUTE_PGM_RSRC2:TIDIG_COMP_CNT: 0
; COMPUTE_PGM_RSRC3_GFX90A:ACCUM_OFFSET: 0
; COMPUTE_PGM_RSRC3_GFX90A:TG_SPLIT: 0
	.section	.text._ZN7rocprim17ROCPRIM_400000_NS6detail17trampoline_kernelINS0_14default_configENS1_27scan_by_key_config_selectorIiiEEZZNS1_16scan_by_key_implILNS1_25lookback_scan_determinismE0ELb0ES3_N6thrust23THRUST_200600_302600_NS6detail15normal_iteratorINS9_10device_ptrIiEEEENS9_18transform_iteratorINS9_6negateIiEESE_NS9_11use_defaultESI_EESE_iNS9_4plusIvEENS9_8equal_toIvEEiEE10hipError_tPvRmT2_T3_T4_T5_mT6_T7_P12ihipStream_tbENKUlT_T0_E_clISt17integral_constantIbLb0EES13_IbLb1EEEEDaSZ_S10_EUlSZ_E_NS1_11comp_targetILNS1_3genE9ELNS1_11target_archE1100ELNS1_3gpuE3ELNS1_3repE0EEENS1_30default_config_static_selectorELNS0_4arch9wavefront6targetE1EEEvT1_,"axG",@progbits,_ZN7rocprim17ROCPRIM_400000_NS6detail17trampoline_kernelINS0_14default_configENS1_27scan_by_key_config_selectorIiiEEZZNS1_16scan_by_key_implILNS1_25lookback_scan_determinismE0ELb0ES3_N6thrust23THRUST_200600_302600_NS6detail15normal_iteratorINS9_10device_ptrIiEEEENS9_18transform_iteratorINS9_6negateIiEESE_NS9_11use_defaultESI_EESE_iNS9_4plusIvEENS9_8equal_toIvEEiEE10hipError_tPvRmT2_T3_T4_T5_mT6_T7_P12ihipStream_tbENKUlT_T0_E_clISt17integral_constantIbLb0EES13_IbLb1EEEEDaSZ_S10_EUlSZ_E_NS1_11comp_targetILNS1_3genE9ELNS1_11target_archE1100ELNS1_3gpuE3ELNS1_3repE0EEENS1_30default_config_static_selectorELNS0_4arch9wavefront6targetE1EEEvT1_,comdat
	.protected	_ZN7rocprim17ROCPRIM_400000_NS6detail17trampoline_kernelINS0_14default_configENS1_27scan_by_key_config_selectorIiiEEZZNS1_16scan_by_key_implILNS1_25lookback_scan_determinismE0ELb0ES3_N6thrust23THRUST_200600_302600_NS6detail15normal_iteratorINS9_10device_ptrIiEEEENS9_18transform_iteratorINS9_6negateIiEESE_NS9_11use_defaultESI_EESE_iNS9_4plusIvEENS9_8equal_toIvEEiEE10hipError_tPvRmT2_T3_T4_T5_mT6_T7_P12ihipStream_tbENKUlT_T0_E_clISt17integral_constantIbLb0EES13_IbLb1EEEEDaSZ_S10_EUlSZ_E_NS1_11comp_targetILNS1_3genE9ELNS1_11target_archE1100ELNS1_3gpuE3ELNS1_3repE0EEENS1_30default_config_static_selectorELNS0_4arch9wavefront6targetE1EEEvT1_ ; -- Begin function _ZN7rocprim17ROCPRIM_400000_NS6detail17trampoline_kernelINS0_14default_configENS1_27scan_by_key_config_selectorIiiEEZZNS1_16scan_by_key_implILNS1_25lookback_scan_determinismE0ELb0ES3_N6thrust23THRUST_200600_302600_NS6detail15normal_iteratorINS9_10device_ptrIiEEEENS9_18transform_iteratorINS9_6negateIiEESE_NS9_11use_defaultESI_EESE_iNS9_4plusIvEENS9_8equal_toIvEEiEE10hipError_tPvRmT2_T3_T4_T5_mT6_T7_P12ihipStream_tbENKUlT_T0_E_clISt17integral_constantIbLb0EES13_IbLb1EEEEDaSZ_S10_EUlSZ_E_NS1_11comp_targetILNS1_3genE9ELNS1_11target_archE1100ELNS1_3gpuE3ELNS1_3repE0EEENS1_30default_config_static_selectorELNS0_4arch9wavefront6targetE1EEEvT1_
	.globl	_ZN7rocprim17ROCPRIM_400000_NS6detail17trampoline_kernelINS0_14default_configENS1_27scan_by_key_config_selectorIiiEEZZNS1_16scan_by_key_implILNS1_25lookback_scan_determinismE0ELb0ES3_N6thrust23THRUST_200600_302600_NS6detail15normal_iteratorINS9_10device_ptrIiEEEENS9_18transform_iteratorINS9_6negateIiEESE_NS9_11use_defaultESI_EESE_iNS9_4plusIvEENS9_8equal_toIvEEiEE10hipError_tPvRmT2_T3_T4_T5_mT6_T7_P12ihipStream_tbENKUlT_T0_E_clISt17integral_constantIbLb0EES13_IbLb1EEEEDaSZ_S10_EUlSZ_E_NS1_11comp_targetILNS1_3genE9ELNS1_11target_archE1100ELNS1_3gpuE3ELNS1_3repE0EEENS1_30default_config_static_selectorELNS0_4arch9wavefront6targetE1EEEvT1_
	.p2align	8
	.type	_ZN7rocprim17ROCPRIM_400000_NS6detail17trampoline_kernelINS0_14default_configENS1_27scan_by_key_config_selectorIiiEEZZNS1_16scan_by_key_implILNS1_25lookback_scan_determinismE0ELb0ES3_N6thrust23THRUST_200600_302600_NS6detail15normal_iteratorINS9_10device_ptrIiEEEENS9_18transform_iteratorINS9_6negateIiEESE_NS9_11use_defaultESI_EESE_iNS9_4plusIvEENS9_8equal_toIvEEiEE10hipError_tPvRmT2_T3_T4_T5_mT6_T7_P12ihipStream_tbENKUlT_T0_E_clISt17integral_constantIbLb0EES13_IbLb1EEEEDaSZ_S10_EUlSZ_E_NS1_11comp_targetILNS1_3genE9ELNS1_11target_archE1100ELNS1_3gpuE3ELNS1_3repE0EEENS1_30default_config_static_selectorELNS0_4arch9wavefront6targetE1EEEvT1_,@function
_ZN7rocprim17ROCPRIM_400000_NS6detail17trampoline_kernelINS0_14default_configENS1_27scan_by_key_config_selectorIiiEEZZNS1_16scan_by_key_implILNS1_25lookback_scan_determinismE0ELb0ES3_N6thrust23THRUST_200600_302600_NS6detail15normal_iteratorINS9_10device_ptrIiEEEENS9_18transform_iteratorINS9_6negateIiEESE_NS9_11use_defaultESI_EESE_iNS9_4plusIvEENS9_8equal_toIvEEiEE10hipError_tPvRmT2_T3_T4_T5_mT6_T7_P12ihipStream_tbENKUlT_T0_E_clISt17integral_constantIbLb0EES13_IbLb1EEEEDaSZ_S10_EUlSZ_E_NS1_11comp_targetILNS1_3genE9ELNS1_11target_archE1100ELNS1_3gpuE3ELNS1_3repE0EEENS1_30default_config_static_selectorELNS0_4arch9wavefront6targetE1EEEvT1_: ; @_ZN7rocprim17ROCPRIM_400000_NS6detail17trampoline_kernelINS0_14default_configENS1_27scan_by_key_config_selectorIiiEEZZNS1_16scan_by_key_implILNS1_25lookback_scan_determinismE0ELb0ES3_N6thrust23THRUST_200600_302600_NS6detail15normal_iteratorINS9_10device_ptrIiEEEENS9_18transform_iteratorINS9_6negateIiEESE_NS9_11use_defaultESI_EESE_iNS9_4plusIvEENS9_8equal_toIvEEiEE10hipError_tPvRmT2_T3_T4_T5_mT6_T7_P12ihipStream_tbENKUlT_T0_E_clISt17integral_constantIbLb0EES13_IbLb1EEEEDaSZ_S10_EUlSZ_E_NS1_11comp_targetILNS1_3genE9ELNS1_11target_archE1100ELNS1_3gpuE3ELNS1_3repE0EEENS1_30default_config_static_selectorELNS0_4arch9wavefront6targetE1EEEvT1_
; %bb.0:
	.section	.rodata,"a",@progbits
	.p2align	6, 0x0
	.amdhsa_kernel _ZN7rocprim17ROCPRIM_400000_NS6detail17trampoline_kernelINS0_14default_configENS1_27scan_by_key_config_selectorIiiEEZZNS1_16scan_by_key_implILNS1_25lookback_scan_determinismE0ELb0ES3_N6thrust23THRUST_200600_302600_NS6detail15normal_iteratorINS9_10device_ptrIiEEEENS9_18transform_iteratorINS9_6negateIiEESE_NS9_11use_defaultESI_EESE_iNS9_4plusIvEENS9_8equal_toIvEEiEE10hipError_tPvRmT2_T3_T4_T5_mT6_T7_P12ihipStream_tbENKUlT_T0_E_clISt17integral_constantIbLb0EES13_IbLb1EEEEDaSZ_S10_EUlSZ_E_NS1_11comp_targetILNS1_3genE9ELNS1_11target_archE1100ELNS1_3gpuE3ELNS1_3repE0EEENS1_30default_config_static_selectorELNS0_4arch9wavefront6targetE1EEEvT1_
		.amdhsa_group_segment_fixed_size 0
		.amdhsa_private_segment_fixed_size 0
		.amdhsa_kernarg_size 120
		.amdhsa_user_sgpr_count 2
		.amdhsa_user_sgpr_dispatch_ptr 0
		.amdhsa_user_sgpr_queue_ptr 0
		.amdhsa_user_sgpr_kernarg_segment_ptr 1
		.amdhsa_user_sgpr_dispatch_id 0
		.amdhsa_user_sgpr_kernarg_preload_length 0
		.amdhsa_user_sgpr_kernarg_preload_offset 0
		.amdhsa_user_sgpr_private_segment_size 0
		.amdhsa_uses_dynamic_stack 0
		.amdhsa_enable_private_segment 0
		.amdhsa_system_sgpr_workgroup_id_x 1
		.amdhsa_system_sgpr_workgroup_id_y 0
		.amdhsa_system_sgpr_workgroup_id_z 0
		.amdhsa_system_sgpr_workgroup_info 0
		.amdhsa_system_vgpr_workitem_id 0
		.amdhsa_next_free_vgpr 1
		.amdhsa_next_free_sgpr 0
		.amdhsa_accum_offset 4
		.amdhsa_reserve_vcc 0
		.amdhsa_float_round_mode_32 0
		.amdhsa_float_round_mode_16_64 0
		.amdhsa_float_denorm_mode_32 3
		.amdhsa_float_denorm_mode_16_64 3
		.amdhsa_dx10_clamp 1
		.amdhsa_ieee_mode 1
		.amdhsa_fp16_overflow 0
		.amdhsa_tg_split 0
		.amdhsa_exception_fp_ieee_invalid_op 0
		.amdhsa_exception_fp_denorm_src 0
		.amdhsa_exception_fp_ieee_div_zero 0
		.amdhsa_exception_fp_ieee_overflow 0
		.amdhsa_exception_fp_ieee_underflow 0
		.amdhsa_exception_fp_ieee_inexact 0
		.amdhsa_exception_int_div_zero 0
	.end_amdhsa_kernel
	.section	.text._ZN7rocprim17ROCPRIM_400000_NS6detail17trampoline_kernelINS0_14default_configENS1_27scan_by_key_config_selectorIiiEEZZNS1_16scan_by_key_implILNS1_25lookback_scan_determinismE0ELb0ES3_N6thrust23THRUST_200600_302600_NS6detail15normal_iteratorINS9_10device_ptrIiEEEENS9_18transform_iteratorINS9_6negateIiEESE_NS9_11use_defaultESI_EESE_iNS9_4plusIvEENS9_8equal_toIvEEiEE10hipError_tPvRmT2_T3_T4_T5_mT6_T7_P12ihipStream_tbENKUlT_T0_E_clISt17integral_constantIbLb0EES13_IbLb1EEEEDaSZ_S10_EUlSZ_E_NS1_11comp_targetILNS1_3genE9ELNS1_11target_archE1100ELNS1_3gpuE3ELNS1_3repE0EEENS1_30default_config_static_selectorELNS0_4arch9wavefront6targetE1EEEvT1_,"axG",@progbits,_ZN7rocprim17ROCPRIM_400000_NS6detail17trampoline_kernelINS0_14default_configENS1_27scan_by_key_config_selectorIiiEEZZNS1_16scan_by_key_implILNS1_25lookback_scan_determinismE0ELb0ES3_N6thrust23THRUST_200600_302600_NS6detail15normal_iteratorINS9_10device_ptrIiEEEENS9_18transform_iteratorINS9_6negateIiEESE_NS9_11use_defaultESI_EESE_iNS9_4plusIvEENS9_8equal_toIvEEiEE10hipError_tPvRmT2_T3_T4_T5_mT6_T7_P12ihipStream_tbENKUlT_T0_E_clISt17integral_constantIbLb0EES13_IbLb1EEEEDaSZ_S10_EUlSZ_E_NS1_11comp_targetILNS1_3genE9ELNS1_11target_archE1100ELNS1_3gpuE3ELNS1_3repE0EEENS1_30default_config_static_selectorELNS0_4arch9wavefront6targetE1EEEvT1_,comdat
.Lfunc_end963:
	.size	_ZN7rocprim17ROCPRIM_400000_NS6detail17trampoline_kernelINS0_14default_configENS1_27scan_by_key_config_selectorIiiEEZZNS1_16scan_by_key_implILNS1_25lookback_scan_determinismE0ELb0ES3_N6thrust23THRUST_200600_302600_NS6detail15normal_iteratorINS9_10device_ptrIiEEEENS9_18transform_iteratorINS9_6negateIiEESE_NS9_11use_defaultESI_EESE_iNS9_4plusIvEENS9_8equal_toIvEEiEE10hipError_tPvRmT2_T3_T4_T5_mT6_T7_P12ihipStream_tbENKUlT_T0_E_clISt17integral_constantIbLb0EES13_IbLb1EEEEDaSZ_S10_EUlSZ_E_NS1_11comp_targetILNS1_3genE9ELNS1_11target_archE1100ELNS1_3gpuE3ELNS1_3repE0EEENS1_30default_config_static_selectorELNS0_4arch9wavefront6targetE1EEEvT1_, .Lfunc_end963-_ZN7rocprim17ROCPRIM_400000_NS6detail17trampoline_kernelINS0_14default_configENS1_27scan_by_key_config_selectorIiiEEZZNS1_16scan_by_key_implILNS1_25lookback_scan_determinismE0ELb0ES3_N6thrust23THRUST_200600_302600_NS6detail15normal_iteratorINS9_10device_ptrIiEEEENS9_18transform_iteratorINS9_6negateIiEESE_NS9_11use_defaultESI_EESE_iNS9_4plusIvEENS9_8equal_toIvEEiEE10hipError_tPvRmT2_T3_T4_T5_mT6_T7_P12ihipStream_tbENKUlT_T0_E_clISt17integral_constantIbLb0EES13_IbLb1EEEEDaSZ_S10_EUlSZ_E_NS1_11comp_targetILNS1_3genE9ELNS1_11target_archE1100ELNS1_3gpuE3ELNS1_3repE0EEENS1_30default_config_static_selectorELNS0_4arch9wavefront6targetE1EEEvT1_
                                        ; -- End function
	.section	.AMDGPU.csdata,"",@progbits
; Kernel info:
; codeLenInByte = 0
; NumSgprs: 6
; NumVgprs: 0
; NumAgprs: 0
; TotalNumVgprs: 0
; ScratchSize: 0
; MemoryBound: 0
; FloatMode: 240
; IeeeMode: 1
; LDSByteSize: 0 bytes/workgroup (compile time only)
; SGPRBlocks: 0
; VGPRBlocks: 0
; NumSGPRsForWavesPerEU: 6
; NumVGPRsForWavesPerEU: 1
; AccumOffset: 4
; Occupancy: 8
; WaveLimiterHint : 0
; COMPUTE_PGM_RSRC2:SCRATCH_EN: 0
; COMPUTE_PGM_RSRC2:USER_SGPR: 2
; COMPUTE_PGM_RSRC2:TRAP_HANDLER: 0
; COMPUTE_PGM_RSRC2:TGID_X_EN: 1
; COMPUTE_PGM_RSRC2:TGID_Y_EN: 0
; COMPUTE_PGM_RSRC2:TGID_Z_EN: 0
; COMPUTE_PGM_RSRC2:TIDIG_COMP_CNT: 0
; COMPUTE_PGM_RSRC3_GFX90A:ACCUM_OFFSET: 0
; COMPUTE_PGM_RSRC3_GFX90A:TG_SPLIT: 0
	.section	.text._ZN7rocprim17ROCPRIM_400000_NS6detail17trampoline_kernelINS0_14default_configENS1_27scan_by_key_config_selectorIiiEEZZNS1_16scan_by_key_implILNS1_25lookback_scan_determinismE0ELb0ES3_N6thrust23THRUST_200600_302600_NS6detail15normal_iteratorINS9_10device_ptrIiEEEENS9_18transform_iteratorINS9_6negateIiEESE_NS9_11use_defaultESI_EESE_iNS9_4plusIvEENS9_8equal_toIvEEiEE10hipError_tPvRmT2_T3_T4_T5_mT6_T7_P12ihipStream_tbENKUlT_T0_E_clISt17integral_constantIbLb0EES13_IbLb1EEEEDaSZ_S10_EUlSZ_E_NS1_11comp_targetILNS1_3genE8ELNS1_11target_archE1030ELNS1_3gpuE2ELNS1_3repE0EEENS1_30default_config_static_selectorELNS0_4arch9wavefront6targetE1EEEvT1_,"axG",@progbits,_ZN7rocprim17ROCPRIM_400000_NS6detail17trampoline_kernelINS0_14default_configENS1_27scan_by_key_config_selectorIiiEEZZNS1_16scan_by_key_implILNS1_25lookback_scan_determinismE0ELb0ES3_N6thrust23THRUST_200600_302600_NS6detail15normal_iteratorINS9_10device_ptrIiEEEENS9_18transform_iteratorINS9_6negateIiEESE_NS9_11use_defaultESI_EESE_iNS9_4plusIvEENS9_8equal_toIvEEiEE10hipError_tPvRmT2_T3_T4_T5_mT6_T7_P12ihipStream_tbENKUlT_T0_E_clISt17integral_constantIbLb0EES13_IbLb1EEEEDaSZ_S10_EUlSZ_E_NS1_11comp_targetILNS1_3genE8ELNS1_11target_archE1030ELNS1_3gpuE2ELNS1_3repE0EEENS1_30default_config_static_selectorELNS0_4arch9wavefront6targetE1EEEvT1_,comdat
	.protected	_ZN7rocprim17ROCPRIM_400000_NS6detail17trampoline_kernelINS0_14default_configENS1_27scan_by_key_config_selectorIiiEEZZNS1_16scan_by_key_implILNS1_25lookback_scan_determinismE0ELb0ES3_N6thrust23THRUST_200600_302600_NS6detail15normal_iteratorINS9_10device_ptrIiEEEENS9_18transform_iteratorINS9_6negateIiEESE_NS9_11use_defaultESI_EESE_iNS9_4plusIvEENS9_8equal_toIvEEiEE10hipError_tPvRmT2_T3_T4_T5_mT6_T7_P12ihipStream_tbENKUlT_T0_E_clISt17integral_constantIbLb0EES13_IbLb1EEEEDaSZ_S10_EUlSZ_E_NS1_11comp_targetILNS1_3genE8ELNS1_11target_archE1030ELNS1_3gpuE2ELNS1_3repE0EEENS1_30default_config_static_selectorELNS0_4arch9wavefront6targetE1EEEvT1_ ; -- Begin function _ZN7rocprim17ROCPRIM_400000_NS6detail17trampoline_kernelINS0_14default_configENS1_27scan_by_key_config_selectorIiiEEZZNS1_16scan_by_key_implILNS1_25lookback_scan_determinismE0ELb0ES3_N6thrust23THRUST_200600_302600_NS6detail15normal_iteratorINS9_10device_ptrIiEEEENS9_18transform_iteratorINS9_6negateIiEESE_NS9_11use_defaultESI_EESE_iNS9_4plusIvEENS9_8equal_toIvEEiEE10hipError_tPvRmT2_T3_T4_T5_mT6_T7_P12ihipStream_tbENKUlT_T0_E_clISt17integral_constantIbLb0EES13_IbLb1EEEEDaSZ_S10_EUlSZ_E_NS1_11comp_targetILNS1_3genE8ELNS1_11target_archE1030ELNS1_3gpuE2ELNS1_3repE0EEENS1_30default_config_static_selectorELNS0_4arch9wavefront6targetE1EEEvT1_
	.globl	_ZN7rocprim17ROCPRIM_400000_NS6detail17trampoline_kernelINS0_14default_configENS1_27scan_by_key_config_selectorIiiEEZZNS1_16scan_by_key_implILNS1_25lookback_scan_determinismE0ELb0ES3_N6thrust23THRUST_200600_302600_NS6detail15normal_iteratorINS9_10device_ptrIiEEEENS9_18transform_iteratorINS9_6negateIiEESE_NS9_11use_defaultESI_EESE_iNS9_4plusIvEENS9_8equal_toIvEEiEE10hipError_tPvRmT2_T3_T4_T5_mT6_T7_P12ihipStream_tbENKUlT_T0_E_clISt17integral_constantIbLb0EES13_IbLb1EEEEDaSZ_S10_EUlSZ_E_NS1_11comp_targetILNS1_3genE8ELNS1_11target_archE1030ELNS1_3gpuE2ELNS1_3repE0EEENS1_30default_config_static_selectorELNS0_4arch9wavefront6targetE1EEEvT1_
	.p2align	8
	.type	_ZN7rocprim17ROCPRIM_400000_NS6detail17trampoline_kernelINS0_14default_configENS1_27scan_by_key_config_selectorIiiEEZZNS1_16scan_by_key_implILNS1_25lookback_scan_determinismE0ELb0ES3_N6thrust23THRUST_200600_302600_NS6detail15normal_iteratorINS9_10device_ptrIiEEEENS9_18transform_iteratorINS9_6negateIiEESE_NS9_11use_defaultESI_EESE_iNS9_4plusIvEENS9_8equal_toIvEEiEE10hipError_tPvRmT2_T3_T4_T5_mT6_T7_P12ihipStream_tbENKUlT_T0_E_clISt17integral_constantIbLb0EES13_IbLb1EEEEDaSZ_S10_EUlSZ_E_NS1_11comp_targetILNS1_3genE8ELNS1_11target_archE1030ELNS1_3gpuE2ELNS1_3repE0EEENS1_30default_config_static_selectorELNS0_4arch9wavefront6targetE1EEEvT1_,@function
_ZN7rocprim17ROCPRIM_400000_NS6detail17trampoline_kernelINS0_14default_configENS1_27scan_by_key_config_selectorIiiEEZZNS1_16scan_by_key_implILNS1_25lookback_scan_determinismE0ELb0ES3_N6thrust23THRUST_200600_302600_NS6detail15normal_iteratorINS9_10device_ptrIiEEEENS9_18transform_iteratorINS9_6negateIiEESE_NS9_11use_defaultESI_EESE_iNS9_4plusIvEENS9_8equal_toIvEEiEE10hipError_tPvRmT2_T3_T4_T5_mT6_T7_P12ihipStream_tbENKUlT_T0_E_clISt17integral_constantIbLb0EES13_IbLb1EEEEDaSZ_S10_EUlSZ_E_NS1_11comp_targetILNS1_3genE8ELNS1_11target_archE1030ELNS1_3gpuE2ELNS1_3repE0EEENS1_30default_config_static_selectorELNS0_4arch9wavefront6targetE1EEEvT1_: ; @_ZN7rocprim17ROCPRIM_400000_NS6detail17trampoline_kernelINS0_14default_configENS1_27scan_by_key_config_selectorIiiEEZZNS1_16scan_by_key_implILNS1_25lookback_scan_determinismE0ELb0ES3_N6thrust23THRUST_200600_302600_NS6detail15normal_iteratorINS9_10device_ptrIiEEEENS9_18transform_iteratorINS9_6negateIiEESE_NS9_11use_defaultESI_EESE_iNS9_4plusIvEENS9_8equal_toIvEEiEE10hipError_tPvRmT2_T3_T4_T5_mT6_T7_P12ihipStream_tbENKUlT_T0_E_clISt17integral_constantIbLb0EES13_IbLb1EEEEDaSZ_S10_EUlSZ_E_NS1_11comp_targetILNS1_3genE8ELNS1_11target_archE1030ELNS1_3gpuE2ELNS1_3repE0EEENS1_30default_config_static_selectorELNS0_4arch9wavefront6targetE1EEEvT1_
; %bb.0:
	.section	.rodata,"a",@progbits
	.p2align	6, 0x0
	.amdhsa_kernel _ZN7rocprim17ROCPRIM_400000_NS6detail17trampoline_kernelINS0_14default_configENS1_27scan_by_key_config_selectorIiiEEZZNS1_16scan_by_key_implILNS1_25lookback_scan_determinismE0ELb0ES3_N6thrust23THRUST_200600_302600_NS6detail15normal_iteratorINS9_10device_ptrIiEEEENS9_18transform_iteratorINS9_6negateIiEESE_NS9_11use_defaultESI_EESE_iNS9_4plusIvEENS9_8equal_toIvEEiEE10hipError_tPvRmT2_T3_T4_T5_mT6_T7_P12ihipStream_tbENKUlT_T0_E_clISt17integral_constantIbLb0EES13_IbLb1EEEEDaSZ_S10_EUlSZ_E_NS1_11comp_targetILNS1_3genE8ELNS1_11target_archE1030ELNS1_3gpuE2ELNS1_3repE0EEENS1_30default_config_static_selectorELNS0_4arch9wavefront6targetE1EEEvT1_
		.amdhsa_group_segment_fixed_size 0
		.amdhsa_private_segment_fixed_size 0
		.amdhsa_kernarg_size 120
		.amdhsa_user_sgpr_count 2
		.amdhsa_user_sgpr_dispatch_ptr 0
		.amdhsa_user_sgpr_queue_ptr 0
		.amdhsa_user_sgpr_kernarg_segment_ptr 1
		.amdhsa_user_sgpr_dispatch_id 0
		.amdhsa_user_sgpr_kernarg_preload_length 0
		.amdhsa_user_sgpr_kernarg_preload_offset 0
		.amdhsa_user_sgpr_private_segment_size 0
		.amdhsa_uses_dynamic_stack 0
		.amdhsa_enable_private_segment 0
		.amdhsa_system_sgpr_workgroup_id_x 1
		.amdhsa_system_sgpr_workgroup_id_y 0
		.amdhsa_system_sgpr_workgroup_id_z 0
		.amdhsa_system_sgpr_workgroup_info 0
		.amdhsa_system_vgpr_workitem_id 0
		.amdhsa_next_free_vgpr 1
		.amdhsa_next_free_sgpr 0
		.amdhsa_accum_offset 4
		.amdhsa_reserve_vcc 0
		.amdhsa_float_round_mode_32 0
		.amdhsa_float_round_mode_16_64 0
		.amdhsa_float_denorm_mode_32 3
		.amdhsa_float_denorm_mode_16_64 3
		.amdhsa_dx10_clamp 1
		.amdhsa_ieee_mode 1
		.amdhsa_fp16_overflow 0
		.amdhsa_tg_split 0
		.amdhsa_exception_fp_ieee_invalid_op 0
		.amdhsa_exception_fp_denorm_src 0
		.amdhsa_exception_fp_ieee_div_zero 0
		.amdhsa_exception_fp_ieee_overflow 0
		.amdhsa_exception_fp_ieee_underflow 0
		.amdhsa_exception_fp_ieee_inexact 0
		.amdhsa_exception_int_div_zero 0
	.end_amdhsa_kernel
	.section	.text._ZN7rocprim17ROCPRIM_400000_NS6detail17trampoline_kernelINS0_14default_configENS1_27scan_by_key_config_selectorIiiEEZZNS1_16scan_by_key_implILNS1_25lookback_scan_determinismE0ELb0ES3_N6thrust23THRUST_200600_302600_NS6detail15normal_iteratorINS9_10device_ptrIiEEEENS9_18transform_iteratorINS9_6negateIiEESE_NS9_11use_defaultESI_EESE_iNS9_4plusIvEENS9_8equal_toIvEEiEE10hipError_tPvRmT2_T3_T4_T5_mT6_T7_P12ihipStream_tbENKUlT_T0_E_clISt17integral_constantIbLb0EES13_IbLb1EEEEDaSZ_S10_EUlSZ_E_NS1_11comp_targetILNS1_3genE8ELNS1_11target_archE1030ELNS1_3gpuE2ELNS1_3repE0EEENS1_30default_config_static_selectorELNS0_4arch9wavefront6targetE1EEEvT1_,"axG",@progbits,_ZN7rocprim17ROCPRIM_400000_NS6detail17trampoline_kernelINS0_14default_configENS1_27scan_by_key_config_selectorIiiEEZZNS1_16scan_by_key_implILNS1_25lookback_scan_determinismE0ELb0ES3_N6thrust23THRUST_200600_302600_NS6detail15normal_iteratorINS9_10device_ptrIiEEEENS9_18transform_iteratorINS9_6negateIiEESE_NS9_11use_defaultESI_EESE_iNS9_4plusIvEENS9_8equal_toIvEEiEE10hipError_tPvRmT2_T3_T4_T5_mT6_T7_P12ihipStream_tbENKUlT_T0_E_clISt17integral_constantIbLb0EES13_IbLb1EEEEDaSZ_S10_EUlSZ_E_NS1_11comp_targetILNS1_3genE8ELNS1_11target_archE1030ELNS1_3gpuE2ELNS1_3repE0EEENS1_30default_config_static_selectorELNS0_4arch9wavefront6targetE1EEEvT1_,comdat
.Lfunc_end964:
	.size	_ZN7rocprim17ROCPRIM_400000_NS6detail17trampoline_kernelINS0_14default_configENS1_27scan_by_key_config_selectorIiiEEZZNS1_16scan_by_key_implILNS1_25lookback_scan_determinismE0ELb0ES3_N6thrust23THRUST_200600_302600_NS6detail15normal_iteratorINS9_10device_ptrIiEEEENS9_18transform_iteratorINS9_6negateIiEESE_NS9_11use_defaultESI_EESE_iNS9_4plusIvEENS9_8equal_toIvEEiEE10hipError_tPvRmT2_T3_T4_T5_mT6_T7_P12ihipStream_tbENKUlT_T0_E_clISt17integral_constantIbLb0EES13_IbLb1EEEEDaSZ_S10_EUlSZ_E_NS1_11comp_targetILNS1_3genE8ELNS1_11target_archE1030ELNS1_3gpuE2ELNS1_3repE0EEENS1_30default_config_static_selectorELNS0_4arch9wavefront6targetE1EEEvT1_, .Lfunc_end964-_ZN7rocprim17ROCPRIM_400000_NS6detail17trampoline_kernelINS0_14default_configENS1_27scan_by_key_config_selectorIiiEEZZNS1_16scan_by_key_implILNS1_25lookback_scan_determinismE0ELb0ES3_N6thrust23THRUST_200600_302600_NS6detail15normal_iteratorINS9_10device_ptrIiEEEENS9_18transform_iteratorINS9_6negateIiEESE_NS9_11use_defaultESI_EESE_iNS9_4plusIvEENS9_8equal_toIvEEiEE10hipError_tPvRmT2_T3_T4_T5_mT6_T7_P12ihipStream_tbENKUlT_T0_E_clISt17integral_constantIbLb0EES13_IbLb1EEEEDaSZ_S10_EUlSZ_E_NS1_11comp_targetILNS1_3genE8ELNS1_11target_archE1030ELNS1_3gpuE2ELNS1_3repE0EEENS1_30default_config_static_selectorELNS0_4arch9wavefront6targetE1EEEvT1_
                                        ; -- End function
	.section	.AMDGPU.csdata,"",@progbits
; Kernel info:
; codeLenInByte = 0
; NumSgprs: 6
; NumVgprs: 0
; NumAgprs: 0
; TotalNumVgprs: 0
; ScratchSize: 0
; MemoryBound: 0
; FloatMode: 240
; IeeeMode: 1
; LDSByteSize: 0 bytes/workgroup (compile time only)
; SGPRBlocks: 0
; VGPRBlocks: 0
; NumSGPRsForWavesPerEU: 6
; NumVGPRsForWavesPerEU: 1
; AccumOffset: 4
; Occupancy: 8
; WaveLimiterHint : 0
; COMPUTE_PGM_RSRC2:SCRATCH_EN: 0
; COMPUTE_PGM_RSRC2:USER_SGPR: 2
; COMPUTE_PGM_RSRC2:TRAP_HANDLER: 0
; COMPUTE_PGM_RSRC2:TGID_X_EN: 1
; COMPUTE_PGM_RSRC2:TGID_Y_EN: 0
; COMPUTE_PGM_RSRC2:TGID_Z_EN: 0
; COMPUTE_PGM_RSRC2:TIDIG_COMP_CNT: 0
; COMPUTE_PGM_RSRC3_GFX90A:ACCUM_OFFSET: 0
; COMPUTE_PGM_RSRC3_GFX90A:TG_SPLIT: 0
	.section	.text._ZN7rocprim17ROCPRIM_400000_NS6detail17trampoline_kernelINS0_14default_configENS1_27scan_by_key_config_selectorIssEEZZNS1_16scan_by_key_implILNS1_25lookback_scan_determinismE0ELb0ES3_N6thrust23THRUST_200600_302600_NS6detail15normal_iteratorINS9_10device_ptrIsEEEENS9_18transform_iteratorINS9_6negateIsEESE_NS9_11use_defaultESI_EESE_sNS9_4plusIvEENS9_8equal_toIvEEsEE10hipError_tPvRmT2_T3_T4_T5_mT6_T7_P12ihipStream_tbENKUlT_T0_E_clISt17integral_constantIbLb0EES14_EEDaSZ_S10_EUlSZ_E_NS1_11comp_targetILNS1_3genE0ELNS1_11target_archE4294967295ELNS1_3gpuE0ELNS1_3repE0EEENS1_30default_config_static_selectorELNS0_4arch9wavefront6targetE1EEEvT1_,"axG",@progbits,_ZN7rocprim17ROCPRIM_400000_NS6detail17trampoline_kernelINS0_14default_configENS1_27scan_by_key_config_selectorIssEEZZNS1_16scan_by_key_implILNS1_25lookback_scan_determinismE0ELb0ES3_N6thrust23THRUST_200600_302600_NS6detail15normal_iteratorINS9_10device_ptrIsEEEENS9_18transform_iteratorINS9_6negateIsEESE_NS9_11use_defaultESI_EESE_sNS9_4plusIvEENS9_8equal_toIvEEsEE10hipError_tPvRmT2_T3_T4_T5_mT6_T7_P12ihipStream_tbENKUlT_T0_E_clISt17integral_constantIbLb0EES14_EEDaSZ_S10_EUlSZ_E_NS1_11comp_targetILNS1_3genE0ELNS1_11target_archE4294967295ELNS1_3gpuE0ELNS1_3repE0EEENS1_30default_config_static_selectorELNS0_4arch9wavefront6targetE1EEEvT1_,comdat
	.protected	_ZN7rocprim17ROCPRIM_400000_NS6detail17trampoline_kernelINS0_14default_configENS1_27scan_by_key_config_selectorIssEEZZNS1_16scan_by_key_implILNS1_25lookback_scan_determinismE0ELb0ES3_N6thrust23THRUST_200600_302600_NS6detail15normal_iteratorINS9_10device_ptrIsEEEENS9_18transform_iteratorINS9_6negateIsEESE_NS9_11use_defaultESI_EESE_sNS9_4plusIvEENS9_8equal_toIvEEsEE10hipError_tPvRmT2_T3_T4_T5_mT6_T7_P12ihipStream_tbENKUlT_T0_E_clISt17integral_constantIbLb0EES14_EEDaSZ_S10_EUlSZ_E_NS1_11comp_targetILNS1_3genE0ELNS1_11target_archE4294967295ELNS1_3gpuE0ELNS1_3repE0EEENS1_30default_config_static_selectorELNS0_4arch9wavefront6targetE1EEEvT1_ ; -- Begin function _ZN7rocprim17ROCPRIM_400000_NS6detail17trampoline_kernelINS0_14default_configENS1_27scan_by_key_config_selectorIssEEZZNS1_16scan_by_key_implILNS1_25lookback_scan_determinismE0ELb0ES3_N6thrust23THRUST_200600_302600_NS6detail15normal_iteratorINS9_10device_ptrIsEEEENS9_18transform_iteratorINS9_6negateIsEESE_NS9_11use_defaultESI_EESE_sNS9_4plusIvEENS9_8equal_toIvEEsEE10hipError_tPvRmT2_T3_T4_T5_mT6_T7_P12ihipStream_tbENKUlT_T0_E_clISt17integral_constantIbLb0EES14_EEDaSZ_S10_EUlSZ_E_NS1_11comp_targetILNS1_3genE0ELNS1_11target_archE4294967295ELNS1_3gpuE0ELNS1_3repE0EEENS1_30default_config_static_selectorELNS0_4arch9wavefront6targetE1EEEvT1_
	.globl	_ZN7rocprim17ROCPRIM_400000_NS6detail17trampoline_kernelINS0_14default_configENS1_27scan_by_key_config_selectorIssEEZZNS1_16scan_by_key_implILNS1_25lookback_scan_determinismE0ELb0ES3_N6thrust23THRUST_200600_302600_NS6detail15normal_iteratorINS9_10device_ptrIsEEEENS9_18transform_iteratorINS9_6negateIsEESE_NS9_11use_defaultESI_EESE_sNS9_4plusIvEENS9_8equal_toIvEEsEE10hipError_tPvRmT2_T3_T4_T5_mT6_T7_P12ihipStream_tbENKUlT_T0_E_clISt17integral_constantIbLb0EES14_EEDaSZ_S10_EUlSZ_E_NS1_11comp_targetILNS1_3genE0ELNS1_11target_archE4294967295ELNS1_3gpuE0ELNS1_3repE0EEENS1_30default_config_static_selectorELNS0_4arch9wavefront6targetE1EEEvT1_
	.p2align	8
	.type	_ZN7rocprim17ROCPRIM_400000_NS6detail17trampoline_kernelINS0_14default_configENS1_27scan_by_key_config_selectorIssEEZZNS1_16scan_by_key_implILNS1_25lookback_scan_determinismE0ELb0ES3_N6thrust23THRUST_200600_302600_NS6detail15normal_iteratorINS9_10device_ptrIsEEEENS9_18transform_iteratorINS9_6negateIsEESE_NS9_11use_defaultESI_EESE_sNS9_4plusIvEENS9_8equal_toIvEEsEE10hipError_tPvRmT2_T3_T4_T5_mT6_T7_P12ihipStream_tbENKUlT_T0_E_clISt17integral_constantIbLb0EES14_EEDaSZ_S10_EUlSZ_E_NS1_11comp_targetILNS1_3genE0ELNS1_11target_archE4294967295ELNS1_3gpuE0ELNS1_3repE0EEENS1_30default_config_static_selectorELNS0_4arch9wavefront6targetE1EEEvT1_,@function
_ZN7rocprim17ROCPRIM_400000_NS6detail17trampoline_kernelINS0_14default_configENS1_27scan_by_key_config_selectorIssEEZZNS1_16scan_by_key_implILNS1_25lookback_scan_determinismE0ELb0ES3_N6thrust23THRUST_200600_302600_NS6detail15normal_iteratorINS9_10device_ptrIsEEEENS9_18transform_iteratorINS9_6negateIsEESE_NS9_11use_defaultESI_EESE_sNS9_4plusIvEENS9_8equal_toIvEEsEE10hipError_tPvRmT2_T3_T4_T5_mT6_T7_P12ihipStream_tbENKUlT_T0_E_clISt17integral_constantIbLb0EES14_EEDaSZ_S10_EUlSZ_E_NS1_11comp_targetILNS1_3genE0ELNS1_11target_archE4294967295ELNS1_3gpuE0ELNS1_3repE0EEENS1_30default_config_static_selectorELNS0_4arch9wavefront6targetE1EEEvT1_: ; @_ZN7rocprim17ROCPRIM_400000_NS6detail17trampoline_kernelINS0_14default_configENS1_27scan_by_key_config_selectorIssEEZZNS1_16scan_by_key_implILNS1_25lookback_scan_determinismE0ELb0ES3_N6thrust23THRUST_200600_302600_NS6detail15normal_iteratorINS9_10device_ptrIsEEEENS9_18transform_iteratorINS9_6negateIsEESE_NS9_11use_defaultESI_EESE_sNS9_4plusIvEENS9_8equal_toIvEEsEE10hipError_tPvRmT2_T3_T4_T5_mT6_T7_P12ihipStream_tbENKUlT_T0_E_clISt17integral_constantIbLb0EES14_EEDaSZ_S10_EUlSZ_E_NS1_11comp_targetILNS1_3genE0ELNS1_11target_archE4294967295ELNS1_3gpuE0ELNS1_3repE0EEENS1_30default_config_static_selectorELNS0_4arch9wavefront6targetE1EEEvT1_
; %bb.0:
	.section	.rodata,"a",@progbits
	.p2align	6, 0x0
	.amdhsa_kernel _ZN7rocprim17ROCPRIM_400000_NS6detail17trampoline_kernelINS0_14default_configENS1_27scan_by_key_config_selectorIssEEZZNS1_16scan_by_key_implILNS1_25lookback_scan_determinismE0ELb0ES3_N6thrust23THRUST_200600_302600_NS6detail15normal_iteratorINS9_10device_ptrIsEEEENS9_18transform_iteratorINS9_6negateIsEESE_NS9_11use_defaultESI_EESE_sNS9_4plusIvEENS9_8equal_toIvEEsEE10hipError_tPvRmT2_T3_T4_T5_mT6_T7_P12ihipStream_tbENKUlT_T0_E_clISt17integral_constantIbLb0EES14_EEDaSZ_S10_EUlSZ_E_NS1_11comp_targetILNS1_3genE0ELNS1_11target_archE4294967295ELNS1_3gpuE0ELNS1_3repE0EEENS1_30default_config_static_selectorELNS0_4arch9wavefront6targetE1EEEvT1_
		.amdhsa_group_segment_fixed_size 0
		.amdhsa_private_segment_fixed_size 0
		.amdhsa_kernarg_size 120
		.amdhsa_user_sgpr_count 2
		.amdhsa_user_sgpr_dispatch_ptr 0
		.amdhsa_user_sgpr_queue_ptr 0
		.amdhsa_user_sgpr_kernarg_segment_ptr 1
		.amdhsa_user_sgpr_dispatch_id 0
		.amdhsa_user_sgpr_kernarg_preload_length 0
		.amdhsa_user_sgpr_kernarg_preload_offset 0
		.amdhsa_user_sgpr_private_segment_size 0
		.amdhsa_uses_dynamic_stack 0
		.amdhsa_enable_private_segment 0
		.amdhsa_system_sgpr_workgroup_id_x 1
		.amdhsa_system_sgpr_workgroup_id_y 0
		.amdhsa_system_sgpr_workgroup_id_z 0
		.amdhsa_system_sgpr_workgroup_info 0
		.amdhsa_system_vgpr_workitem_id 0
		.amdhsa_next_free_vgpr 1
		.amdhsa_next_free_sgpr 0
		.amdhsa_accum_offset 4
		.amdhsa_reserve_vcc 0
		.amdhsa_float_round_mode_32 0
		.amdhsa_float_round_mode_16_64 0
		.amdhsa_float_denorm_mode_32 3
		.amdhsa_float_denorm_mode_16_64 3
		.amdhsa_dx10_clamp 1
		.amdhsa_ieee_mode 1
		.amdhsa_fp16_overflow 0
		.amdhsa_tg_split 0
		.amdhsa_exception_fp_ieee_invalid_op 0
		.amdhsa_exception_fp_denorm_src 0
		.amdhsa_exception_fp_ieee_div_zero 0
		.amdhsa_exception_fp_ieee_overflow 0
		.amdhsa_exception_fp_ieee_underflow 0
		.amdhsa_exception_fp_ieee_inexact 0
		.amdhsa_exception_int_div_zero 0
	.end_amdhsa_kernel
	.section	.text._ZN7rocprim17ROCPRIM_400000_NS6detail17trampoline_kernelINS0_14default_configENS1_27scan_by_key_config_selectorIssEEZZNS1_16scan_by_key_implILNS1_25lookback_scan_determinismE0ELb0ES3_N6thrust23THRUST_200600_302600_NS6detail15normal_iteratorINS9_10device_ptrIsEEEENS9_18transform_iteratorINS9_6negateIsEESE_NS9_11use_defaultESI_EESE_sNS9_4plusIvEENS9_8equal_toIvEEsEE10hipError_tPvRmT2_T3_T4_T5_mT6_T7_P12ihipStream_tbENKUlT_T0_E_clISt17integral_constantIbLb0EES14_EEDaSZ_S10_EUlSZ_E_NS1_11comp_targetILNS1_3genE0ELNS1_11target_archE4294967295ELNS1_3gpuE0ELNS1_3repE0EEENS1_30default_config_static_selectorELNS0_4arch9wavefront6targetE1EEEvT1_,"axG",@progbits,_ZN7rocprim17ROCPRIM_400000_NS6detail17trampoline_kernelINS0_14default_configENS1_27scan_by_key_config_selectorIssEEZZNS1_16scan_by_key_implILNS1_25lookback_scan_determinismE0ELb0ES3_N6thrust23THRUST_200600_302600_NS6detail15normal_iteratorINS9_10device_ptrIsEEEENS9_18transform_iteratorINS9_6negateIsEESE_NS9_11use_defaultESI_EESE_sNS9_4plusIvEENS9_8equal_toIvEEsEE10hipError_tPvRmT2_T3_T4_T5_mT6_T7_P12ihipStream_tbENKUlT_T0_E_clISt17integral_constantIbLb0EES14_EEDaSZ_S10_EUlSZ_E_NS1_11comp_targetILNS1_3genE0ELNS1_11target_archE4294967295ELNS1_3gpuE0ELNS1_3repE0EEENS1_30default_config_static_selectorELNS0_4arch9wavefront6targetE1EEEvT1_,comdat
.Lfunc_end965:
	.size	_ZN7rocprim17ROCPRIM_400000_NS6detail17trampoline_kernelINS0_14default_configENS1_27scan_by_key_config_selectorIssEEZZNS1_16scan_by_key_implILNS1_25lookback_scan_determinismE0ELb0ES3_N6thrust23THRUST_200600_302600_NS6detail15normal_iteratorINS9_10device_ptrIsEEEENS9_18transform_iteratorINS9_6negateIsEESE_NS9_11use_defaultESI_EESE_sNS9_4plusIvEENS9_8equal_toIvEEsEE10hipError_tPvRmT2_T3_T4_T5_mT6_T7_P12ihipStream_tbENKUlT_T0_E_clISt17integral_constantIbLb0EES14_EEDaSZ_S10_EUlSZ_E_NS1_11comp_targetILNS1_3genE0ELNS1_11target_archE4294967295ELNS1_3gpuE0ELNS1_3repE0EEENS1_30default_config_static_selectorELNS0_4arch9wavefront6targetE1EEEvT1_, .Lfunc_end965-_ZN7rocprim17ROCPRIM_400000_NS6detail17trampoline_kernelINS0_14default_configENS1_27scan_by_key_config_selectorIssEEZZNS1_16scan_by_key_implILNS1_25lookback_scan_determinismE0ELb0ES3_N6thrust23THRUST_200600_302600_NS6detail15normal_iteratorINS9_10device_ptrIsEEEENS9_18transform_iteratorINS9_6negateIsEESE_NS9_11use_defaultESI_EESE_sNS9_4plusIvEENS9_8equal_toIvEEsEE10hipError_tPvRmT2_T3_T4_T5_mT6_T7_P12ihipStream_tbENKUlT_T0_E_clISt17integral_constantIbLb0EES14_EEDaSZ_S10_EUlSZ_E_NS1_11comp_targetILNS1_3genE0ELNS1_11target_archE4294967295ELNS1_3gpuE0ELNS1_3repE0EEENS1_30default_config_static_selectorELNS0_4arch9wavefront6targetE1EEEvT1_
                                        ; -- End function
	.section	.AMDGPU.csdata,"",@progbits
; Kernel info:
; codeLenInByte = 0
; NumSgprs: 6
; NumVgprs: 0
; NumAgprs: 0
; TotalNumVgprs: 0
; ScratchSize: 0
; MemoryBound: 0
; FloatMode: 240
; IeeeMode: 1
; LDSByteSize: 0 bytes/workgroup (compile time only)
; SGPRBlocks: 0
; VGPRBlocks: 0
; NumSGPRsForWavesPerEU: 6
; NumVGPRsForWavesPerEU: 1
; AccumOffset: 4
; Occupancy: 8
; WaveLimiterHint : 0
; COMPUTE_PGM_RSRC2:SCRATCH_EN: 0
; COMPUTE_PGM_RSRC2:USER_SGPR: 2
; COMPUTE_PGM_RSRC2:TRAP_HANDLER: 0
; COMPUTE_PGM_RSRC2:TGID_X_EN: 1
; COMPUTE_PGM_RSRC2:TGID_Y_EN: 0
; COMPUTE_PGM_RSRC2:TGID_Z_EN: 0
; COMPUTE_PGM_RSRC2:TIDIG_COMP_CNT: 0
; COMPUTE_PGM_RSRC3_GFX90A:ACCUM_OFFSET: 0
; COMPUTE_PGM_RSRC3_GFX90A:TG_SPLIT: 0
	.section	.text._ZN7rocprim17ROCPRIM_400000_NS6detail17trampoline_kernelINS0_14default_configENS1_27scan_by_key_config_selectorIssEEZZNS1_16scan_by_key_implILNS1_25lookback_scan_determinismE0ELb0ES3_N6thrust23THRUST_200600_302600_NS6detail15normal_iteratorINS9_10device_ptrIsEEEENS9_18transform_iteratorINS9_6negateIsEESE_NS9_11use_defaultESI_EESE_sNS9_4plusIvEENS9_8equal_toIvEEsEE10hipError_tPvRmT2_T3_T4_T5_mT6_T7_P12ihipStream_tbENKUlT_T0_E_clISt17integral_constantIbLb0EES14_EEDaSZ_S10_EUlSZ_E_NS1_11comp_targetILNS1_3genE10ELNS1_11target_archE1201ELNS1_3gpuE5ELNS1_3repE0EEENS1_30default_config_static_selectorELNS0_4arch9wavefront6targetE1EEEvT1_,"axG",@progbits,_ZN7rocprim17ROCPRIM_400000_NS6detail17trampoline_kernelINS0_14default_configENS1_27scan_by_key_config_selectorIssEEZZNS1_16scan_by_key_implILNS1_25lookback_scan_determinismE0ELb0ES3_N6thrust23THRUST_200600_302600_NS6detail15normal_iteratorINS9_10device_ptrIsEEEENS9_18transform_iteratorINS9_6negateIsEESE_NS9_11use_defaultESI_EESE_sNS9_4plusIvEENS9_8equal_toIvEEsEE10hipError_tPvRmT2_T3_T4_T5_mT6_T7_P12ihipStream_tbENKUlT_T0_E_clISt17integral_constantIbLb0EES14_EEDaSZ_S10_EUlSZ_E_NS1_11comp_targetILNS1_3genE10ELNS1_11target_archE1201ELNS1_3gpuE5ELNS1_3repE0EEENS1_30default_config_static_selectorELNS0_4arch9wavefront6targetE1EEEvT1_,comdat
	.protected	_ZN7rocprim17ROCPRIM_400000_NS6detail17trampoline_kernelINS0_14default_configENS1_27scan_by_key_config_selectorIssEEZZNS1_16scan_by_key_implILNS1_25lookback_scan_determinismE0ELb0ES3_N6thrust23THRUST_200600_302600_NS6detail15normal_iteratorINS9_10device_ptrIsEEEENS9_18transform_iteratorINS9_6negateIsEESE_NS9_11use_defaultESI_EESE_sNS9_4plusIvEENS9_8equal_toIvEEsEE10hipError_tPvRmT2_T3_T4_T5_mT6_T7_P12ihipStream_tbENKUlT_T0_E_clISt17integral_constantIbLb0EES14_EEDaSZ_S10_EUlSZ_E_NS1_11comp_targetILNS1_3genE10ELNS1_11target_archE1201ELNS1_3gpuE5ELNS1_3repE0EEENS1_30default_config_static_selectorELNS0_4arch9wavefront6targetE1EEEvT1_ ; -- Begin function _ZN7rocprim17ROCPRIM_400000_NS6detail17trampoline_kernelINS0_14default_configENS1_27scan_by_key_config_selectorIssEEZZNS1_16scan_by_key_implILNS1_25lookback_scan_determinismE0ELb0ES3_N6thrust23THRUST_200600_302600_NS6detail15normal_iteratorINS9_10device_ptrIsEEEENS9_18transform_iteratorINS9_6negateIsEESE_NS9_11use_defaultESI_EESE_sNS9_4plusIvEENS9_8equal_toIvEEsEE10hipError_tPvRmT2_T3_T4_T5_mT6_T7_P12ihipStream_tbENKUlT_T0_E_clISt17integral_constantIbLb0EES14_EEDaSZ_S10_EUlSZ_E_NS1_11comp_targetILNS1_3genE10ELNS1_11target_archE1201ELNS1_3gpuE5ELNS1_3repE0EEENS1_30default_config_static_selectorELNS0_4arch9wavefront6targetE1EEEvT1_
	.globl	_ZN7rocprim17ROCPRIM_400000_NS6detail17trampoline_kernelINS0_14default_configENS1_27scan_by_key_config_selectorIssEEZZNS1_16scan_by_key_implILNS1_25lookback_scan_determinismE0ELb0ES3_N6thrust23THRUST_200600_302600_NS6detail15normal_iteratorINS9_10device_ptrIsEEEENS9_18transform_iteratorINS9_6negateIsEESE_NS9_11use_defaultESI_EESE_sNS9_4plusIvEENS9_8equal_toIvEEsEE10hipError_tPvRmT2_T3_T4_T5_mT6_T7_P12ihipStream_tbENKUlT_T0_E_clISt17integral_constantIbLb0EES14_EEDaSZ_S10_EUlSZ_E_NS1_11comp_targetILNS1_3genE10ELNS1_11target_archE1201ELNS1_3gpuE5ELNS1_3repE0EEENS1_30default_config_static_selectorELNS0_4arch9wavefront6targetE1EEEvT1_
	.p2align	8
	.type	_ZN7rocprim17ROCPRIM_400000_NS6detail17trampoline_kernelINS0_14default_configENS1_27scan_by_key_config_selectorIssEEZZNS1_16scan_by_key_implILNS1_25lookback_scan_determinismE0ELb0ES3_N6thrust23THRUST_200600_302600_NS6detail15normal_iteratorINS9_10device_ptrIsEEEENS9_18transform_iteratorINS9_6negateIsEESE_NS9_11use_defaultESI_EESE_sNS9_4plusIvEENS9_8equal_toIvEEsEE10hipError_tPvRmT2_T3_T4_T5_mT6_T7_P12ihipStream_tbENKUlT_T0_E_clISt17integral_constantIbLb0EES14_EEDaSZ_S10_EUlSZ_E_NS1_11comp_targetILNS1_3genE10ELNS1_11target_archE1201ELNS1_3gpuE5ELNS1_3repE0EEENS1_30default_config_static_selectorELNS0_4arch9wavefront6targetE1EEEvT1_,@function
_ZN7rocprim17ROCPRIM_400000_NS6detail17trampoline_kernelINS0_14default_configENS1_27scan_by_key_config_selectorIssEEZZNS1_16scan_by_key_implILNS1_25lookback_scan_determinismE0ELb0ES3_N6thrust23THRUST_200600_302600_NS6detail15normal_iteratorINS9_10device_ptrIsEEEENS9_18transform_iteratorINS9_6negateIsEESE_NS9_11use_defaultESI_EESE_sNS9_4plusIvEENS9_8equal_toIvEEsEE10hipError_tPvRmT2_T3_T4_T5_mT6_T7_P12ihipStream_tbENKUlT_T0_E_clISt17integral_constantIbLb0EES14_EEDaSZ_S10_EUlSZ_E_NS1_11comp_targetILNS1_3genE10ELNS1_11target_archE1201ELNS1_3gpuE5ELNS1_3repE0EEENS1_30default_config_static_selectorELNS0_4arch9wavefront6targetE1EEEvT1_: ; @_ZN7rocprim17ROCPRIM_400000_NS6detail17trampoline_kernelINS0_14default_configENS1_27scan_by_key_config_selectorIssEEZZNS1_16scan_by_key_implILNS1_25lookback_scan_determinismE0ELb0ES3_N6thrust23THRUST_200600_302600_NS6detail15normal_iteratorINS9_10device_ptrIsEEEENS9_18transform_iteratorINS9_6negateIsEESE_NS9_11use_defaultESI_EESE_sNS9_4plusIvEENS9_8equal_toIvEEsEE10hipError_tPvRmT2_T3_T4_T5_mT6_T7_P12ihipStream_tbENKUlT_T0_E_clISt17integral_constantIbLb0EES14_EEDaSZ_S10_EUlSZ_E_NS1_11comp_targetILNS1_3genE10ELNS1_11target_archE1201ELNS1_3gpuE5ELNS1_3repE0EEENS1_30default_config_static_selectorELNS0_4arch9wavefront6targetE1EEEvT1_
; %bb.0:
	.section	.rodata,"a",@progbits
	.p2align	6, 0x0
	.amdhsa_kernel _ZN7rocprim17ROCPRIM_400000_NS6detail17trampoline_kernelINS0_14default_configENS1_27scan_by_key_config_selectorIssEEZZNS1_16scan_by_key_implILNS1_25lookback_scan_determinismE0ELb0ES3_N6thrust23THRUST_200600_302600_NS6detail15normal_iteratorINS9_10device_ptrIsEEEENS9_18transform_iteratorINS9_6negateIsEESE_NS9_11use_defaultESI_EESE_sNS9_4plusIvEENS9_8equal_toIvEEsEE10hipError_tPvRmT2_T3_T4_T5_mT6_T7_P12ihipStream_tbENKUlT_T0_E_clISt17integral_constantIbLb0EES14_EEDaSZ_S10_EUlSZ_E_NS1_11comp_targetILNS1_3genE10ELNS1_11target_archE1201ELNS1_3gpuE5ELNS1_3repE0EEENS1_30default_config_static_selectorELNS0_4arch9wavefront6targetE1EEEvT1_
		.amdhsa_group_segment_fixed_size 0
		.amdhsa_private_segment_fixed_size 0
		.amdhsa_kernarg_size 120
		.amdhsa_user_sgpr_count 2
		.amdhsa_user_sgpr_dispatch_ptr 0
		.amdhsa_user_sgpr_queue_ptr 0
		.amdhsa_user_sgpr_kernarg_segment_ptr 1
		.amdhsa_user_sgpr_dispatch_id 0
		.amdhsa_user_sgpr_kernarg_preload_length 0
		.amdhsa_user_sgpr_kernarg_preload_offset 0
		.amdhsa_user_sgpr_private_segment_size 0
		.amdhsa_uses_dynamic_stack 0
		.amdhsa_enable_private_segment 0
		.amdhsa_system_sgpr_workgroup_id_x 1
		.amdhsa_system_sgpr_workgroup_id_y 0
		.amdhsa_system_sgpr_workgroup_id_z 0
		.amdhsa_system_sgpr_workgroup_info 0
		.amdhsa_system_vgpr_workitem_id 0
		.amdhsa_next_free_vgpr 1
		.amdhsa_next_free_sgpr 0
		.amdhsa_accum_offset 4
		.amdhsa_reserve_vcc 0
		.amdhsa_float_round_mode_32 0
		.amdhsa_float_round_mode_16_64 0
		.amdhsa_float_denorm_mode_32 3
		.amdhsa_float_denorm_mode_16_64 3
		.amdhsa_dx10_clamp 1
		.amdhsa_ieee_mode 1
		.amdhsa_fp16_overflow 0
		.amdhsa_tg_split 0
		.amdhsa_exception_fp_ieee_invalid_op 0
		.amdhsa_exception_fp_denorm_src 0
		.amdhsa_exception_fp_ieee_div_zero 0
		.amdhsa_exception_fp_ieee_overflow 0
		.amdhsa_exception_fp_ieee_underflow 0
		.amdhsa_exception_fp_ieee_inexact 0
		.amdhsa_exception_int_div_zero 0
	.end_amdhsa_kernel
	.section	.text._ZN7rocprim17ROCPRIM_400000_NS6detail17trampoline_kernelINS0_14default_configENS1_27scan_by_key_config_selectorIssEEZZNS1_16scan_by_key_implILNS1_25lookback_scan_determinismE0ELb0ES3_N6thrust23THRUST_200600_302600_NS6detail15normal_iteratorINS9_10device_ptrIsEEEENS9_18transform_iteratorINS9_6negateIsEESE_NS9_11use_defaultESI_EESE_sNS9_4plusIvEENS9_8equal_toIvEEsEE10hipError_tPvRmT2_T3_T4_T5_mT6_T7_P12ihipStream_tbENKUlT_T0_E_clISt17integral_constantIbLb0EES14_EEDaSZ_S10_EUlSZ_E_NS1_11comp_targetILNS1_3genE10ELNS1_11target_archE1201ELNS1_3gpuE5ELNS1_3repE0EEENS1_30default_config_static_selectorELNS0_4arch9wavefront6targetE1EEEvT1_,"axG",@progbits,_ZN7rocprim17ROCPRIM_400000_NS6detail17trampoline_kernelINS0_14default_configENS1_27scan_by_key_config_selectorIssEEZZNS1_16scan_by_key_implILNS1_25lookback_scan_determinismE0ELb0ES3_N6thrust23THRUST_200600_302600_NS6detail15normal_iteratorINS9_10device_ptrIsEEEENS9_18transform_iteratorINS9_6negateIsEESE_NS9_11use_defaultESI_EESE_sNS9_4plusIvEENS9_8equal_toIvEEsEE10hipError_tPvRmT2_T3_T4_T5_mT6_T7_P12ihipStream_tbENKUlT_T0_E_clISt17integral_constantIbLb0EES14_EEDaSZ_S10_EUlSZ_E_NS1_11comp_targetILNS1_3genE10ELNS1_11target_archE1201ELNS1_3gpuE5ELNS1_3repE0EEENS1_30default_config_static_selectorELNS0_4arch9wavefront6targetE1EEEvT1_,comdat
.Lfunc_end966:
	.size	_ZN7rocprim17ROCPRIM_400000_NS6detail17trampoline_kernelINS0_14default_configENS1_27scan_by_key_config_selectorIssEEZZNS1_16scan_by_key_implILNS1_25lookback_scan_determinismE0ELb0ES3_N6thrust23THRUST_200600_302600_NS6detail15normal_iteratorINS9_10device_ptrIsEEEENS9_18transform_iteratorINS9_6negateIsEESE_NS9_11use_defaultESI_EESE_sNS9_4plusIvEENS9_8equal_toIvEEsEE10hipError_tPvRmT2_T3_T4_T5_mT6_T7_P12ihipStream_tbENKUlT_T0_E_clISt17integral_constantIbLb0EES14_EEDaSZ_S10_EUlSZ_E_NS1_11comp_targetILNS1_3genE10ELNS1_11target_archE1201ELNS1_3gpuE5ELNS1_3repE0EEENS1_30default_config_static_selectorELNS0_4arch9wavefront6targetE1EEEvT1_, .Lfunc_end966-_ZN7rocprim17ROCPRIM_400000_NS6detail17trampoline_kernelINS0_14default_configENS1_27scan_by_key_config_selectorIssEEZZNS1_16scan_by_key_implILNS1_25lookback_scan_determinismE0ELb0ES3_N6thrust23THRUST_200600_302600_NS6detail15normal_iteratorINS9_10device_ptrIsEEEENS9_18transform_iteratorINS9_6negateIsEESE_NS9_11use_defaultESI_EESE_sNS9_4plusIvEENS9_8equal_toIvEEsEE10hipError_tPvRmT2_T3_T4_T5_mT6_T7_P12ihipStream_tbENKUlT_T0_E_clISt17integral_constantIbLb0EES14_EEDaSZ_S10_EUlSZ_E_NS1_11comp_targetILNS1_3genE10ELNS1_11target_archE1201ELNS1_3gpuE5ELNS1_3repE0EEENS1_30default_config_static_selectorELNS0_4arch9wavefront6targetE1EEEvT1_
                                        ; -- End function
	.section	.AMDGPU.csdata,"",@progbits
; Kernel info:
; codeLenInByte = 0
; NumSgprs: 6
; NumVgprs: 0
; NumAgprs: 0
; TotalNumVgprs: 0
; ScratchSize: 0
; MemoryBound: 0
; FloatMode: 240
; IeeeMode: 1
; LDSByteSize: 0 bytes/workgroup (compile time only)
; SGPRBlocks: 0
; VGPRBlocks: 0
; NumSGPRsForWavesPerEU: 6
; NumVGPRsForWavesPerEU: 1
; AccumOffset: 4
; Occupancy: 8
; WaveLimiterHint : 0
; COMPUTE_PGM_RSRC2:SCRATCH_EN: 0
; COMPUTE_PGM_RSRC2:USER_SGPR: 2
; COMPUTE_PGM_RSRC2:TRAP_HANDLER: 0
; COMPUTE_PGM_RSRC2:TGID_X_EN: 1
; COMPUTE_PGM_RSRC2:TGID_Y_EN: 0
; COMPUTE_PGM_RSRC2:TGID_Z_EN: 0
; COMPUTE_PGM_RSRC2:TIDIG_COMP_CNT: 0
; COMPUTE_PGM_RSRC3_GFX90A:ACCUM_OFFSET: 0
; COMPUTE_PGM_RSRC3_GFX90A:TG_SPLIT: 0
	.section	.text._ZN7rocprim17ROCPRIM_400000_NS6detail17trampoline_kernelINS0_14default_configENS1_27scan_by_key_config_selectorIssEEZZNS1_16scan_by_key_implILNS1_25lookback_scan_determinismE0ELb0ES3_N6thrust23THRUST_200600_302600_NS6detail15normal_iteratorINS9_10device_ptrIsEEEENS9_18transform_iteratorINS9_6negateIsEESE_NS9_11use_defaultESI_EESE_sNS9_4plusIvEENS9_8equal_toIvEEsEE10hipError_tPvRmT2_T3_T4_T5_mT6_T7_P12ihipStream_tbENKUlT_T0_E_clISt17integral_constantIbLb0EES14_EEDaSZ_S10_EUlSZ_E_NS1_11comp_targetILNS1_3genE5ELNS1_11target_archE942ELNS1_3gpuE9ELNS1_3repE0EEENS1_30default_config_static_selectorELNS0_4arch9wavefront6targetE1EEEvT1_,"axG",@progbits,_ZN7rocprim17ROCPRIM_400000_NS6detail17trampoline_kernelINS0_14default_configENS1_27scan_by_key_config_selectorIssEEZZNS1_16scan_by_key_implILNS1_25lookback_scan_determinismE0ELb0ES3_N6thrust23THRUST_200600_302600_NS6detail15normal_iteratorINS9_10device_ptrIsEEEENS9_18transform_iteratorINS9_6negateIsEESE_NS9_11use_defaultESI_EESE_sNS9_4plusIvEENS9_8equal_toIvEEsEE10hipError_tPvRmT2_T3_T4_T5_mT6_T7_P12ihipStream_tbENKUlT_T0_E_clISt17integral_constantIbLb0EES14_EEDaSZ_S10_EUlSZ_E_NS1_11comp_targetILNS1_3genE5ELNS1_11target_archE942ELNS1_3gpuE9ELNS1_3repE0EEENS1_30default_config_static_selectorELNS0_4arch9wavefront6targetE1EEEvT1_,comdat
	.protected	_ZN7rocprim17ROCPRIM_400000_NS6detail17trampoline_kernelINS0_14default_configENS1_27scan_by_key_config_selectorIssEEZZNS1_16scan_by_key_implILNS1_25lookback_scan_determinismE0ELb0ES3_N6thrust23THRUST_200600_302600_NS6detail15normal_iteratorINS9_10device_ptrIsEEEENS9_18transform_iteratorINS9_6negateIsEESE_NS9_11use_defaultESI_EESE_sNS9_4plusIvEENS9_8equal_toIvEEsEE10hipError_tPvRmT2_T3_T4_T5_mT6_T7_P12ihipStream_tbENKUlT_T0_E_clISt17integral_constantIbLb0EES14_EEDaSZ_S10_EUlSZ_E_NS1_11comp_targetILNS1_3genE5ELNS1_11target_archE942ELNS1_3gpuE9ELNS1_3repE0EEENS1_30default_config_static_selectorELNS0_4arch9wavefront6targetE1EEEvT1_ ; -- Begin function _ZN7rocprim17ROCPRIM_400000_NS6detail17trampoline_kernelINS0_14default_configENS1_27scan_by_key_config_selectorIssEEZZNS1_16scan_by_key_implILNS1_25lookback_scan_determinismE0ELb0ES3_N6thrust23THRUST_200600_302600_NS6detail15normal_iteratorINS9_10device_ptrIsEEEENS9_18transform_iteratorINS9_6negateIsEESE_NS9_11use_defaultESI_EESE_sNS9_4plusIvEENS9_8equal_toIvEEsEE10hipError_tPvRmT2_T3_T4_T5_mT6_T7_P12ihipStream_tbENKUlT_T0_E_clISt17integral_constantIbLb0EES14_EEDaSZ_S10_EUlSZ_E_NS1_11comp_targetILNS1_3genE5ELNS1_11target_archE942ELNS1_3gpuE9ELNS1_3repE0EEENS1_30default_config_static_selectorELNS0_4arch9wavefront6targetE1EEEvT1_
	.globl	_ZN7rocprim17ROCPRIM_400000_NS6detail17trampoline_kernelINS0_14default_configENS1_27scan_by_key_config_selectorIssEEZZNS1_16scan_by_key_implILNS1_25lookback_scan_determinismE0ELb0ES3_N6thrust23THRUST_200600_302600_NS6detail15normal_iteratorINS9_10device_ptrIsEEEENS9_18transform_iteratorINS9_6negateIsEESE_NS9_11use_defaultESI_EESE_sNS9_4plusIvEENS9_8equal_toIvEEsEE10hipError_tPvRmT2_T3_T4_T5_mT6_T7_P12ihipStream_tbENKUlT_T0_E_clISt17integral_constantIbLb0EES14_EEDaSZ_S10_EUlSZ_E_NS1_11comp_targetILNS1_3genE5ELNS1_11target_archE942ELNS1_3gpuE9ELNS1_3repE0EEENS1_30default_config_static_selectorELNS0_4arch9wavefront6targetE1EEEvT1_
	.p2align	8
	.type	_ZN7rocprim17ROCPRIM_400000_NS6detail17trampoline_kernelINS0_14default_configENS1_27scan_by_key_config_selectorIssEEZZNS1_16scan_by_key_implILNS1_25lookback_scan_determinismE0ELb0ES3_N6thrust23THRUST_200600_302600_NS6detail15normal_iteratorINS9_10device_ptrIsEEEENS9_18transform_iteratorINS9_6negateIsEESE_NS9_11use_defaultESI_EESE_sNS9_4plusIvEENS9_8equal_toIvEEsEE10hipError_tPvRmT2_T3_T4_T5_mT6_T7_P12ihipStream_tbENKUlT_T0_E_clISt17integral_constantIbLb0EES14_EEDaSZ_S10_EUlSZ_E_NS1_11comp_targetILNS1_3genE5ELNS1_11target_archE942ELNS1_3gpuE9ELNS1_3repE0EEENS1_30default_config_static_selectorELNS0_4arch9wavefront6targetE1EEEvT1_,@function
_ZN7rocprim17ROCPRIM_400000_NS6detail17trampoline_kernelINS0_14default_configENS1_27scan_by_key_config_selectorIssEEZZNS1_16scan_by_key_implILNS1_25lookback_scan_determinismE0ELb0ES3_N6thrust23THRUST_200600_302600_NS6detail15normal_iteratorINS9_10device_ptrIsEEEENS9_18transform_iteratorINS9_6negateIsEESE_NS9_11use_defaultESI_EESE_sNS9_4plusIvEENS9_8equal_toIvEEsEE10hipError_tPvRmT2_T3_T4_T5_mT6_T7_P12ihipStream_tbENKUlT_T0_E_clISt17integral_constantIbLb0EES14_EEDaSZ_S10_EUlSZ_E_NS1_11comp_targetILNS1_3genE5ELNS1_11target_archE942ELNS1_3gpuE9ELNS1_3repE0EEENS1_30default_config_static_selectorELNS0_4arch9wavefront6targetE1EEEvT1_: ; @_ZN7rocprim17ROCPRIM_400000_NS6detail17trampoline_kernelINS0_14default_configENS1_27scan_by_key_config_selectorIssEEZZNS1_16scan_by_key_implILNS1_25lookback_scan_determinismE0ELb0ES3_N6thrust23THRUST_200600_302600_NS6detail15normal_iteratorINS9_10device_ptrIsEEEENS9_18transform_iteratorINS9_6negateIsEESE_NS9_11use_defaultESI_EESE_sNS9_4plusIvEENS9_8equal_toIvEEsEE10hipError_tPvRmT2_T3_T4_T5_mT6_T7_P12ihipStream_tbENKUlT_T0_E_clISt17integral_constantIbLb0EES14_EEDaSZ_S10_EUlSZ_E_NS1_11comp_targetILNS1_3genE5ELNS1_11target_archE942ELNS1_3gpuE9ELNS1_3repE0EEENS1_30default_config_static_selectorELNS0_4arch9wavefront6targetE1EEEvT1_
; %bb.0:
	s_load_dwordx4 s[4:7], s[0:1], 0x0
	s_load_dwordx2 s[8:9], s[0:1], 0x10
	s_load_dwordx4 s[64:67], s[0:1], 0x30
	s_load_dwordx2 s[70:71], s[0:1], 0x40
	s_load_dword s3, s[0:1], 0x48
	s_load_dwordx8 s[56:63], s[0:1], 0x50
	s_waitcnt lgkmcnt(0)
	s_lshl_b64 s[68:69], s[6:7], 1
	s_add_u32 s6, s4, s68
	s_addc_u32 s7, s5, s69
	s_add_u32 s8, s8, s68
	s_mul_i32 s4, s71, s3
	s_mul_hi_u32 s5, s70, s3
	s_addc_u32 s9, s9, s69
	s_add_i32 s10, s5, s4
	s_cmp_lg_u64 s[60:61], 0
	s_mul_i32 s4, s2, 0x1800
	s_mov_b32 s5, 0
	s_cselect_b64 s[76:77], -1, 0
	s_lshl_b64 s[60:61], s[4:5], 1
	s_add_u32 s74, s6, s60
	s_addc_u32 s75, s7, s61
	s_add_u32 s72, s8, s60
	s_mul_i32 s3, s70, s3
	s_addc_u32 s73, s9, s61
	s_add_u32 s78, s3, s2
	s_addc_u32 s79, s10, 0
	s_add_u32 s4, s56, -1
	s_addc_u32 s5, s57, -1
	v_mov_b64_e32 v[2:3], s[4:5]
	v_cmp_ge_u64_e64 s[54:55], s[78:79], v[2:3]
	s_mov_b64 s[12:13], 0
	s_mov_b64 s[6:7], -1
	s_and_b64 vcc, exec, s[54:55]
	s_mul_i32 s33, s4, 0xffffe800
	s_barrier
	s_cbranch_vccz .LBB967_127
; %bb.1:
	v_mov_b64_e32 v[2:3], s[74:75]
	flat_load_ushort v1, v[2:3]
	s_add_i32 s3, s33, s66
	v_cmp_gt_u32_e64 s[4:5], s3, v0
	s_waitcnt vmcnt(0) lgkmcnt(0)
	v_mov_b32_e32 v22, v1
	s_and_saveexec_b64 s[6:7], s[4:5]
	s_cbranch_execz .LBB967_3
; %bb.2:
	v_lshlrev_b32_e32 v2, 1, v0
	v_mov_b32_e32 v3, 0
	v_lshl_add_u64 v[2:3], s[74:75], 0, v[2:3]
	flat_load_ushort v22, v[2:3]
.LBB967_3:
	s_or_b64 exec, exec, s[6:7]
	v_or_b32_e32 v2, 0x100, v0
	v_cmp_gt_u32_e64 s[6:7], s3, v2
	v_mov_b32_e32 v23, v1
	s_and_saveexec_b64 s[8:9], s[6:7]
	s_cbranch_execz .LBB967_5
; %bb.4:
	v_lshlrev_b32_e32 v2, 1, v0
	v_mov_b32_e32 v3, 0
	v_lshl_add_u64 v[2:3], s[74:75], 0, v[2:3]
	flat_load_ushort v23, v[2:3] offset:512
.LBB967_5:
	s_or_b64 exec, exec, s[8:9]
	v_or_b32_e32 v2, 0x200, v0
	v_cmp_gt_u32_e64 s[8:9], s3, v2
	v_mov_b32_e32 v24, v1
	s_and_saveexec_b64 s[10:11], s[8:9]
	s_cbranch_execz .LBB967_7
; %bb.6:
	v_lshlrev_b32_e32 v2, 1, v0
	v_mov_b32_e32 v3, 0
	v_lshl_add_u64 v[2:3], s[74:75], 0, v[2:3]
	flat_load_ushort v24, v[2:3] offset:1024
.LBB967_7:
	;; [unrolled: 12-line block ×7, first 2 shown]
	s_or_b64 exec, exec, s[20:21]
	v_or_b32_e32 v2, 0x800, v0
	v_cmp_gt_u32_e64 s[20:21], s3, v2
	v_lshlrev_b32_e32 v2, 1, v2
	v_mov_b32_e32 v30, v1
	s_and_saveexec_b64 s[22:23], s[20:21]
	s_cbranch_execz .LBB967_19
; %bb.18:
	v_mov_b32_e32 v3, 0
	v_lshl_add_u64 v[4:5], s[74:75], 0, v[2:3]
	flat_load_ushort v30, v[4:5]
.LBB967_19:
	s_or_b64 exec, exec, s[22:23]
	v_or_b32_e32 v3, 0x900, v0
	v_cmp_gt_u32_e64 s[22:23], s3, v3
	v_lshlrev_b32_e32 v4, 1, v3
	v_mov_b32_e32 v5, v1
	s_and_saveexec_b64 s[24:25], s[22:23]
	s_cbranch_execz .LBB967_21
; %bb.20:
	v_mov_b32_e32 v5, 0
	v_lshl_add_u64 v[6:7], s[74:75], 0, v[4:5]
	flat_load_ushort v5, v[6:7]
.LBB967_21:
	;; [unrolled: 12-line block ×15, first 2 shown]
	s_or_b64 exec, exec, s[52:53]
	v_or_b32_e32 v3, 0x1700, v0
	v_cmp_gt_u32_e64 s[52:53], s3, v3
	v_lshlrev_b32_e32 v44, 1, v3
	s_and_saveexec_b64 s[56:57], s[52:53]
	s_cbranch_execz .LBB967_49
; %bb.48:
	v_mov_b32_e32 v45, 0
	v_lshl_add_u64 v[46:47], s[74:75], 0, v[44:45]
	flat_load_ushort v1, v[46:47]
.LBB967_49:
	s_or_b64 exec, exec, s[56:57]
	v_lshlrev_b32_e32 v3, 1, v0
	v_mad_u32_u24 v41, v0, 46, v3
	s_waitcnt vmcnt(0) lgkmcnt(0)
	ds_write_b16 v3, v22
	ds_write_b16 v3, v23 offset:512
	ds_write_b16 v3, v24 offset:1024
	;; [unrolled: 1-line block ×23, first 2 shown]
	s_waitcnt lgkmcnt(0)
	s_barrier
	ds_read_b128 v[30:33], v41
	ds_read_b128 v[26:29], v41 offset:16
	ds_read_b128 v[22:25], v41 offset:32
	s_cmp_eq_u64 s[78:79], 0
	s_mov_b64 s[56:57], s[74:75]
	s_cbranch_scc1 .LBB967_53
; %bb.50:
	s_andn2_b64 vcc, exec, s[76:77]
	s_cbranch_vccnz .LBB967_313
; %bb.51:
	s_lshl_b64 s[56:57], s[78:79], 1
	s_add_u32 s56, s62, s56
	s_addc_u32 s57, s63, s57
	s_add_u32 s56, s56, -2
	s_addc_u32 s57, s57, -1
	s_cbranch_execnz .LBB967_53
.LBB967_52:
	s_add_u32 s56, s74, -2
	s_addc_u32 s57, s75, -1
.LBB967_53:
	v_mov_b64_e32 v[46:47], s[56:57]
	flat_load_ushort v35, v[46:47]
	s_movk_i32 s56, 0xffd2
	s_waitcnt lgkmcnt(0)
	v_lshrrev_b32_e32 v43, 16, v25
	v_mad_i32_i24 v1, v0, s56, v41
	v_cmp_ne_u32_e32 vcc, 0, v0
	ds_write_b16 v1, v43 offset:12288
	s_waitcnt lgkmcnt(0)
	s_barrier
	s_and_saveexec_b64 s[56:57], vcc
	s_cbranch_execz .LBB967_55
; %bb.54:
	v_mul_i32_i24_e32 v1, 0xffffffd2, v0
	v_add_u32_e32 v1, v41, v1
	s_waitcnt vmcnt(0)
	ds_read_u16 v35, v1 offset:12286
.LBB967_55:
	s_or_b64 exec, exec, s[56:57]
	s_waitcnt lgkmcnt(0)
	s_barrier
	s_waitcnt lgkmcnt(0)
                                        ; implicit-def: $vgpr1
	s_and_saveexec_b64 s[56:57], s[4:5]
	s_cbranch_execnz .LBB967_290
; %bb.56:
	s_or_b64 exec, exec, s[56:57]
                                        ; implicit-def: $vgpr5
	s_and_saveexec_b64 s[4:5], s[6:7]
	s_cbranch_execnz .LBB967_291
.LBB967_57:
	s_or_b64 exec, exec, s[4:5]
                                        ; implicit-def: $vgpr7
	s_and_saveexec_b64 s[4:5], s[8:9]
	s_cbranch_execnz .LBB967_292
.LBB967_58:
	s_or_b64 exec, exec, s[4:5]
                                        ; implicit-def: $vgpr9
	s_and_saveexec_b64 s[4:5], s[10:11]
	s_cbranch_execnz .LBB967_293
.LBB967_59:
	s_or_b64 exec, exec, s[4:5]
                                        ; implicit-def: $vgpr11
	s_and_saveexec_b64 s[4:5], s[12:13]
	s_cbranch_execnz .LBB967_294
.LBB967_60:
	s_or_b64 exec, exec, s[4:5]
                                        ; implicit-def: $vgpr13
	s_and_saveexec_b64 s[4:5], s[14:15]
	s_cbranch_execnz .LBB967_295
.LBB967_61:
	s_or_b64 exec, exec, s[4:5]
                                        ; implicit-def: $vgpr15
	s_and_saveexec_b64 s[4:5], s[16:17]
	s_cbranch_execnz .LBB967_296
.LBB967_62:
	s_or_b64 exec, exec, s[4:5]
                                        ; implicit-def: $vgpr17
	s_and_saveexec_b64 s[4:5], s[18:19]
	s_cbranch_execnz .LBB967_297
.LBB967_63:
	s_or_b64 exec, exec, s[4:5]
                                        ; implicit-def: $vgpr19
	s_and_saveexec_b64 s[4:5], s[20:21]
	s_cbranch_execnz .LBB967_298
.LBB967_64:
	s_or_b64 exec, exec, s[4:5]
                                        ; implicit-def: $vgpr2
	s_and_saveexec_b64 s[4:5], s[22:23]
	s_cbranch_execnz .LBB967_299
.LBB967_65:
	s_or_b64 exec, exec, s[4:5]
                                        ; implicit-def: $vgpr4
	s_and_saveexec_b64 s[4:5], s[24:25]
	s_cbranch_execnz .LBB967_300
.LBB967_66:
	s_or_b64 exec, exec, s[4:5]
                                        ; implicit-def: $vgpr6
	s_and_saveexec_b64 s[4:5], s[26:27]
	s_cbranch_execnz .LBB967_301
.LBB967_67:
	s_or_b64 exec, exec, s[4:5]
                                        ; implicit-def: $vgpr8
	s_and_saveexec_b64 s[4:5], s[28:29]
	s_cbranch_execnz .LBB967_302
.LBB967_68:
	s_or_b64 exec, exec, s[4:5]
                                        ; implicit-def: $vgpr10
	s_and_saveexec_b64 s[4:5], s[30:31]
	s_cbranch_execnz .LBB967_303
.LBB967_69:
	s_or_b64 exec, exec, s[4:5]
                                        ; implicit-def: $vgpr12
	s_and_saveexec_b64 s[4:5], s[34:35]
	s_cbranch_execnz .LBB967_304
.LBB967_70:
	s_or_b64 exec, exec, s[4:5]
                                        ; implicit-def: $vgpr14
	s_and_saveexec_b64 s[4:5], s[36:37]
	s_cbranch_execnz .LBB967_305
.LBB967_71:
	s_or_b64 exec, exec, s[4:5]
                                        ; implicit-def: $vgpr16
	s_and_saveexec_b64 s[4:5], s[38:39]
	s_cbranch_execnz .LBB967_306
.LBB967_72:
	s_or_b64 exec, exec, s[4:5]
                                        ; implicit-def: $vgpr18
	s_and_saveexec_b64 s[4:5], s[40:41]
	s_cbranch_execnz .LBB967_307
.LBB967_73:
	s_or_b64 exec, exec, s[4:5]
                                        ; implicit-def: $vgpr20
	s_and_saveexec_b64 s[4:5], s[42:43]
	s_cbranch_execnz .LBB967_308
.LBB967_74:
	s_or_b64 exec, exec, s[4:5]
                                        ; implicit-def: $vgpr21
	s_and_saveexec_b64 s[4:5], s[44:45]
	s_cbranch_execnz .LBB967_309
.LBB967_75:
	s_or_b64 exec, exec, s[4:5]
                                        ; implicit-def: $vgpr34
	s_and_saveexec_b64 s[4:5], s[46:47]
	s_cbranch_execnz .LBB967_310
.LBB967_76:
	s_or_b64 exec, exec, s[4:5]
                                        ; implicit-def: $vgpr36
	s_and_saveexec_b64 s[4:5], s[48:49]
	s_cbranch_execnz .LBB967_311
.LBB967_77:
	s_or_b64 exec, exec, s[4:5]
                                        ; implicit-def: $vgpr37
	s_and_saveexec_b64 s[4:5], s[50:51]
	s_cbranch_execnz .LBB967_312
.LBB967_78:
	s_or_b64 exec, exec, s[4:5]
                                        ; implicit-def: $vgpr38
	s_and_saveexec_b64 s[4:5], s[52:53]
	s_cbranch_execz .LBB967_80
.LBB967_79:
	global_load_ushort v38, v44, s[72:73]
	s_waitcnt vmcnt(0)
	v_sub_u16_e32 v38, 0, v38
.LBB967_80:
	s_or_b64 exec, exec, s[4:5]
	s_mov_b32 s8, 0
	s_mov_b32 s9, s8
	ds_write_b16 v3, v1
	ds_write_b16 v3, v5 offset:512
	ds_write_b16 v3, v7 offset:1024
	;; [unrolled: 1-line block ×23, first 2 shown]
	s_mov_b32 s10, s8
	s_mov_b32 s11, s8
	;; [unrolled: 1-line block ×6, first 2 shown]
	v_mov_b64_e32 v[2:3], s[8:9]
	s_mov_b32 s18, s8
	s_mov_b32 s19, s8
	v_mov_b64_e32 v[8:9], s[14:15]
	v_mul_u32_u24_e32 v42, 24, v0
	s_mov_b32 s16, s8
	s_mov_b32 s17, s8
	v_mov_b64_e32 v[20:21], s[18:19]
	v_mov_b64_e32 v[4:5], s[10:11]
	;; [unrolled: 1-line block ×4, first 2 shown]
	v_cmp_gt_u32_e32 vcc, s3, v42
	s_mov_b64 s[6:7], 0
	v_mov_b64_e32 v[18:19], s[16:17]
	v_mov_b32_e32 v1, 0
	s_mov_b64 s[12:13], 0
	v_mov_b64_e32 v[14:15], v[6:7]
	v_mov_b64_e32 v[12:13], v[4:5]
	;; [unrolled: 1-line block ×3, first 2 shown]
	v_mov_b32_e32 v38, 0
	v_mov_b32_e32 v39, 0
	s_waitcnt lgkmcnt(0)
	s_barrier
	s_waitcnt lgkmcnt(0)
                                        ; implicit-def: $sgpr4_sgpr5
                                        ; implicit-def: $vgpr40
	s_and_saveexec_b64 s[10:11], vcc
	s_cbranch_execz .LBB967_126
; %bb.81:
	ds_read_u16 v1, v41
	s_waitcnt vmcnt(0)
	v_cmp_ne_u16_e32 vcc, v35, v30
	s_mov_b32 s12, 0
	v_or_b32_e32 v2, 1, v42
	v_cndmask_b32_e64 v3, 0, 1, vcc
	s_mov_b32 s13, s12
	v_cmp_gt_u32_e32 vcc, s3, v2
	s_waitcnt lgkmcnt(0)
	v_lshl_or_b32 v1, v3, 16, v1
	s_mov_b32 s14, s12
	s_mov_b32 s15, s12
	;; [unrolled: 1-line block ×6, first 2 shown]
	v_mov_b64_e32 v[2:3], s[12:13]
	s_mov_b32 s24, s12
	s_mov_b32 s25, s12
	v_mov_b64_e32 v[8:9], s[18:19]
	s_mov_b32 s26, s12
	s_mov_b32 s27, s12
	v_mov_b64_e32 v[18:19], s[24:25]
	v_mov_b64_e32 v[4:5], s[14:15]
	;; [unrolled: 1-line block ×4, first 2 shown]
	s_mov_b64 s[22:23], 0
	v_mov_b64_e32 v[20:21], s[26:27]
	v_mov_b32_e32 v38, 0
	v_mov_b64_e32 v[14:15], v[6:7]
	v_mov_b64_e32 v[12:13], v[4:5]
	;; [unrolled: 1-line block ×3, first 2 shown]
	v_mov_b32_e32 v39, 0
                                        ; implicit-def: $sgpr24_sgpr25
                                        ; implicit-def: $vgpr40
	s_and_saveexec_b64 s[20:21], vcc
	s_cbranch_execz .LBB967_125
; %bb.82:
	ds_read_b128 v[34:37], v41 offset:2
	v_or_b32_e32 v2, 2, v42
	v_cmp_ne_u16_sdwa s[4:5], v30, v30 src0_sel:DWORD src1_sel:WORD_1
	v_cmp_gt_u32_e32 vcc, s3, v2
	v_mov_b32_e32 v19, 0
	v_cndmask_b32_e64 v3, 0, 1, s[4:5]
	s_waitcnt lgkmcnt(0)
	v_and_b32_e32 v2, 0xffff, v34
	v_lshl_or_b32 v18, v3, 16, v2
	v_mov_b64_e32 v[2:3], s[12:13]
	v_mov_b64_e32 v[8:9], s[18:19]
	;; [unrolled: 1-line block ×5, first 2 shown]
	v_mov_b32_e32 v20, v19
	v_mov_b32_e32 v21, v19
	s_mov_b64 s[4:5], 0
	v_mov_b64_e32 v[14:15], v[6:7]
	v_mov_b64_e32 v[12:13], v[4:5]
	;; [unrolled: 1-line block ×3, first 2 shown]
	v_mov_b32_e32 v38, v19
	v_mov_b32_e32 v39, v19
                                        ; implicit-def: $sgpr12_sgpr13
                                        ; implicit-def: $vgpr40
	s_and_saveexec_b64 s[22:23], vcc
	s_cbranch_execz .LBB967_124
; %bb.83:
	v_cmp_ne_u16_sdwa s[4:5], v30, v31 src0_sel:WORD_1 src1_sel:DWORD
	s_mov_b32 s12, 0
	v_or_b32_e32 v2, 3, v42
	v_cndmask_b32_e64 v3, 0, 1, s[4:5]
	s_mov_b32 s13, s12
	v_alignbit_b32 v19, v3, v34, 16
	v_cmp_gt_u32_e32 vcc, s3, v2
	s_mov_b32 s14, s12
	s_mov_b32 s15, s12
	s_mov_b32 s16, s12
	s_mov_b32 s17, s12
	s_mov_b32 s18, s12
	s_mov_b32 s19, s12
	v_mov_b64_e32 v[2:3], s[12:13]
	v_mov_b64_e32 v[8:9], s[18:19]
	v_mov_b32_e32 v20, 0
	v_mov_b64_e32 v[4:5], s[14:15]
	v_mov_b64_e32 v[6:7], s[16:17]
	;; [unrolled: 1-line block ×3, first 2 shown]
	v_mov_b32_e32 v21, v20
	s_mov_b64 s[4:5], 0
	v_mov_b64_e32 v[14:15], v[6:7]
	v_mov_b64_e32 v[12:13], v[4:5]
	;; [unrolled: 1-line block ×3, first 2 shown]
	v_mov_b32_e32 v38, v20
	v_mov_b32_e32 v39, v20
                                        ; implicit-def: $sgpr26_sgpr27
                                        ; implicit-def: $vgpr40
	s_and_saveexec_b64 s[24:25], vcc
	s_cbranch_execz .LBB967_123
; %bb.84:
	v_cmp_ne_u16_sdwa s[4:5], v31, v31 src0_sel:DWORD src1_sel:WORD_1
	v_and_b32_e32 v2, 0xffff, v35
	v_or_b32_e32 v3, 4, v42
	v_cndmask_b32_e64 v4, 0, 1, s[4:5]
	v_lshl_or_b32 v20, v4, 16, v2
	v_cmp_gt_u32_e32 vcc, s3, v3
	v_mov_b64_e32 v[2:3], s[12:13]
	v_mov_b64_e32 v[8:9], s[18:19]
	;; [unrolled: 1-line block ×5, first 2 shown]
	v_mov_b32_e32 v21, s12
	s_mov_b64 s[4:5], 0
	v_mov_b32_e32 v38, 0
	v_mov_b64_e32 v[14:15], v[6:7]
	v_mov_b64_e32 v[12:13], v[4:5]
	;; [unrolled: 1-line block ×3, first 2 shown]
	v_mov_b32_e32 v39, 0
                                        ; implicit-def: $sgpr12_sgpr13
                                        ; implicit-def: $vgpr40
	s_and_saveexec_b64 s[26:27], vcc
	s_cbranch_execz .LBB967_122
; %bb.85:
	v_cmp_ne_u16_sdwa s[4:5], v31, v32 src0_sel:WORD_1 src1_sel:DWORD
	s_mov_b32 s12, 0
	v_or_b32_e32 v2, 5, v42
	v_cndmask_b32_e64 v3, 0, 1, s[4:5]
	s_mov_b32 s13, s12
	v_alignbit_b32 v21, v3, v35, 16
	v_cmp_gt_u32_e32 vcc, s3, v2
	s_mov_b32 s14, s12
	s_mov_b32 s15, s12
	;; [unrolled: 1-line block ×6, first 2 shown]
	v_mov_b64_e32 v[2:3], s[12:13]
	v_mov_b64_e32 v[8:9], s[18:19]
	;; [unrolled: 1-line block ×5, first 2 shown]
	s_mov_b64 s[4:5], 0
	v_mov_b32_e32 v38, 0
	v_mov_b64_e32 v[14:15], v[6:7]
	v_mov_b64_e32 v[12:13], v[4:5]
	;; [unrolled: 1-line block ×3, first 2 shown]
	v_mov_b32_e32 v39, 0
                                        ; implicit-def: $sgpr30_sgpr31
                                        ; implicit-def: $vgpr40
	s_and_saveexec_b64 s[28:29], vcc
	s_cbranch_execz .LBB967_121
; %bb.86:
	v_cmp_ne_u16_sdwa s[4:5], v32, v32 src0_sel:DWORD src1_sel:WORD_1
	v_and_b32_e32 v2, 0xffff, v36
	v_or_b32_e32 v3, 6, v42
	v_cndmask_b32_e64 v4, 0, 1, s[4:5]
	v_lshl_or_b32 v38, v4, 16, v2
	v_cmp_gt_u32_e32 vcc, s3, v3
	v_mov_b64_e32 v[2:3], s[12:13]
	v_mov_b64_e32 v[8:9], s[18:19]
	;; [unrolled: 1-line block ×5, first 2 shown]
	s_mov_b64 s[4:5], 0
	v_mov_b32_e32 v39, 0
	v_mov_b64_e32 v[14:15], v[6:7]
	v_mov_b64_e32 v[12:13], v[4:5]
	;; [unrolled: 1-line block ×3, first 2 shown]
                                        ; implicit-def: $sgpr12_sgpr13
                                        ; implicit-def: $vgpr40
	s_and_saveexec_b64 s[30:31], vcc
	s_cbranch_execz .LBB967_120
; %bb.87:
	s_mov_b32 s12, 0
	v_or_b32_e32 v3, 7, v42
	v_cmp_ne_u16_sdwa s[4:5], v32, v33 src0_sel:WORD_1 src1_sel:DWORD
	s_mov_b32 s13, s12
	v_cmp_gt_u32_e32 vcc, s3, v3
	v_cndmask_b32_e64 v2, 0, 1, s[4:5]
	v_mov_b32_e32 v3, 0
	s_mov_b32 s14, s12
	s_mov_b32 s15, s12
	;; [unrolled: 1-line block ×6, first 2 shown]
	v_mov_b64_e32 v[10:11], s[12:13]
	v_alignbit_b32 v2, v2, v36, 16
	v_mov_b32_e32 v4, v3
	v_mov_b32_e32 v5, v3
	;; [unrolled: 1-line block ×6, first 2 shown]
	s_mov_b64 s[4:5], 0
	v_mov_b64_e32 v[12:13], s[14:15]
	v_mov_b64_e32 v[14:15], s[16:17]
	;; [unrolled: 1-line block ×3, first 2 shown]
	v_mov_b32_e32 v39, v3
                                        ; implicit-def: $sgpr36_sgpr37
                                        ; implicit-def: $vgpr40
	s_and_saveexec_b64 s[34:35], vcc
	s_cbranch_execz .LBB967_119
; %bb.88:
	v_add_u32_e32 v4, 8, v42
	v_cmp_ne_u16_sdwa s[4:5], v33, v33 src0_sel:DWORD src1_sel:WORD_1
	v_and_b32_e32 v3, 0xffff, v37
	v_cmp_gt_u32_e32 vcc, s3, v4
	v_cndmask_b32_e64 v5, 0, 1, s[4:5]
	v_mov_b32_e32 v4, 0
	v_mov_b64_e32 v[10:11], s[12:13]
	v_lshl_or_b32 v3, v5, 16, v3
	v_mov_b32_e32 v5, v4
	v_mov_b32_e32 v6, v4
	;; [unrolled: 1-line block ×5, first 2 shown]
	s_mov_b64 s[4:5], 0
	v_mov_b64_e32 v[12:13], s[14:15]
	v_mov_b64_e32 v[14:15], s[16:17]
	;; [unrolled: 1-line block ×3, first 2 shown]
	v_mov_b32_e32 v39, v4
                                        ; implicit-def: $sgpr12_sgpr13
                                        ; implicit-def: $vgpr40
	s_and_saveexec_b64 s[36:37], vcc
	s_cbranch_execz .LBB967_118
; %bb.89:
	s_mov_b32 s12, 0
	v_add_u32_e32 v5, 9, v42
	v_cmp_ne_u16_sdwa s[4:5], v33, v26 src0_sel:WORD_1 src1_sel:DWORD
	s_mov_b32 s13, s12
	v_cmp_gt_u32_e32 vcc, s3, v5
	v_cndmask_b32_e64 v4, 0, 1, s[4:5]
	v_mov_b32_e32 v5, 0
	s_mov_b32 s14, s12
	s_mov_b32 s15, s12
	;; [unrolled: 1-line block ×6, first 2 shown]
	v_mov_b64_e32 v[10:11], s[12:13]
	v_alignbit_b32 v4, v4, v37, 16
	v_mov_b32_e32 v6, v5
	v_mov_b32_e32 v7, v5
	;; [unrolled: 1-line block ×4, first 2 shown]
	s_mov_b64 s[4:5], 0
	v_mov_b64_e32 v[12:13], s[14:15]
	v_mov_b64_e32 v[14:15], s[16:17]
	v_mov_b64_e32 v[16:17], s[18:19]
	v_mov_b32_e32 v39, v5
                                        ; implicit-def: $sgpr40_sgpr41
                                        ; implicit-def: $vgpr40
	s_and_saveexec_b64 s[38:39], vcc
	s_cbranch_execz .LBB967_117
; %bb.90:
	ds_read_b128 v[30:33], v41 offset:18
	v_add_u32_e32 v5, 10, v42
	v_cmp_ne_u16_sdwa s[4:5], v26, v26 src0_sel:DWORD src1_sel:WORD_1
	v_cmp_gt_u32_e32 vcc, s3, v5
	v_mov_b64_e32 v[10:11], s[12:13]
	v_cndmask_b32_e64 v6, 0, 1, s[4:5]
	s_waitcnt lgkmcnt(0)
	v_and_b32_e32 v5, 0xffff, v30
	v_lshl_or_b32 v5, v6, 16, v5
	v_mov_b32_e32 v6, 0
	v_mov_b32_e32 v7, v6
	;; [unrolled: 1-line block ×4, first 2 shown]
	s_mov_b64 s[4:5], 0
	v_mov_b64_e32 v[12:13], s[14:15]
	v_mov_b64_e32 v[14:15], s[16:17]
	;; [unrolled: 1-line block ×3, first 2 shown]
	v_mov_b32_e32 v39, v6
                                        ; implicit-def: $sgpr12_sgpr13
                                        ; implicit-def: $vgpr40
	s_and_saveexec_b64 s[40:41], vcc
	s_cbranch_execz .LBB967_116
; %bb.91:
	s_mov_b32 s12, 0
	v_add_u32_e32 v7, 11, v42
	v_cmp_ne_u16_sdwa s[4:5], v26, v27 src0_sel:WORD_1 src1_sel:DWORD
	s_mov_b32 s13, s12
	v_cmp_gt_u32_e32 vcc, s3, v7
	v_cndmask_b32_e64 v6, 0, 1, s[4:5]
	v_mov_b32_e32 v7, 0
	s_mov_b32 s14, s12
	s_mov_b32 s15, s12
	;; [unrolled: 1-line block ×6, first 2 shown]
	v_mov_b64_e32 v[10:11], s[12:13]
	v_alignbit_b32 v6, v6, v30, 16
	v_mov_b32_e32 v8, v7
	v_mov_b32_e32 v9, v7
	s_mov_b64 s[4:5], 0
	v_mov_b64_e32 v[12:13], s[14:15]
	v_mov_b64_e32 v[14:15], s[16:17]
	;; [unrolled: 1-line block ×3, first 2 shown]
	v_mov_b32_e32 v39, v7
                                        ; implicit-def: $sgpr44_sgpr45
                                        ; implicit-def: $vgpr40
	s_and_saveexec_b64 s[42:43], vcc
	s_cbranch_execz .LBB967_115
; %bb.92:
	v_add_u32_e32 v8, 12, v42
	v_cmp_ne_u16_sdwa s[4:5], v27, v27 src0_sel:DWORD src1_sel:WORD_1
	v_and_b32_e32 v7, 0xffff, v31
	v_cmp_gt_u32_e32 vcc, s3, v8
	v_cndmask_b32_e64 v9, 0, 1, s[4:5]
	v_mov_b32_e32 v8, 0
	v_mov_b64_e32 v[10:11], s[12:13]
	v_lshl_or_b32 v7, v9, 16, v7
	v_mov_b32_e32 v9, v8
	s_mov_b64 s[4:5], 0
	v_mov_b64_e32 v[12:13], s[14:15]
	v_mov_b64_e32 v[14:15], s[16:17]
	;; [unrolled: 1-line block ×3, first 2 shown]
	v_mov_b32_e32 v39, v8
                                        ; implicit-def: $sgpr12_sgpr13
                                        ; implicit-def: $vgpr40
	s_and_saveexec_b64 s[44:45], vcc
	s_cbranch_execz .LBB967_114
; %bb.93:
	s_mov_b32 s12, 0
	v_cmp_ne_u16_sdwa s[4:5], v27, v28 src0_sel:WORD_1 src1_sel:DWORD
	s_mov_b32 s13, s12
	v_add_u32_e32 v9, 13, v42
	v_cndmask_b32_e64 v8, 0, 1, s[4:5]
	s_mov_b32 s14, s12
	s_mov_b32 s15, s12
	;; [unrolled: 1-line block ×6, first 2 shown]
	v_mov_b64_e32 v[10:11], s[12:13]
	v_alignbit_b32 v8, v8, v31, 16
	v_cmp_gt_u32_e32 vcc, s3, v9
	v_mov_b32_e32 v9, s12
	s_mov_b64 s[4:5], 0
	v_mov_b64_e32 v[12:13], s[14:15]
	v_mov_b64_e32 v[14:15], s[16:17]
	;; [unrolled: 1-line block ×3, first 2 shown]
	v_mov_b32_e32 v39, 0
                                        ; implicit-def: $sgpr48_sgpr49
                                        ; implicit-def: $vgpr40
	s_and_saveexec_b64 s[46:47], vcc
	s_cbranch_execz .LBB967_113
; %bb.94:
	v_cmp_ne_u16_sdwa s[4:5], v28, v28 src0_sel:DWORD src1_sel:WORD_1
	v_and_b32_e32 v9, 0xffff, v32
	v_add_u32_e32 v10, 14, v42
	v_cndmask_b32_e64 v11, 0, 1, s[4:5]
	v_lshl_or_b32 v9, v11, 16, v9
	v_cmp_gt_u32_e32 vcc, s3, v10
	v_mov_b64_e32 v[10:11], s[12:13]
	s_mov_b64 s[4:5], 0
	v_mov_b64_e32 v[12:13], s[14:15]
	v_mov_b64_e32 v[14:15], s[16:17]
	;; [unrolled: 1-line block ×3, first 2 shown]
	v_mov_b32_e32 v39, 0
                                        ; implicit-def: $sgpr14_sgpr15
                                        ; implicit-def: $vgpr40
	s_and_saveexec_b64 s[12:13], vcc
	s_cbranch_execz .LBB967_112
; %bb.95:
	v_cmp_ne_u16_sdwa s[4:5], v28, v29 src0_sel:WORD_1 src1_sel:DWORD
	s_mov_b32 s80, 0
	v_add_u32_e32 v10, 15, v42
	v_cndmask_b32_e64 v11, 0, 1, s[4:5]
	s_mov_b32 s81, s80
	v_alignbit_b32 v39, v11, v32, 16
	v_cmp_gt_u32_e32 vcc, s3, v10
	s_mov_b32 s82, s80
	s_mov_b32 s83, s80
	;; [unrolled: 1-line block ×6, first 2 shown]
	v_mov_b64_e32 v[10:11], s[80:81]
	s_mov_b64 s[4:5], 0
	v_mov_b64_e32 v[12:13], s[82:83]
	v_mov_b64_e32 v[14:15], s[84:85]
	v_mov_b64_e32 v[16:17], s[86:87]
                                        ; implicit-def: $sgpr16_sgpr17
                                        ; implicit-def: $vgpr40
	s_and_saveexec_b64 s[14:15], vcc
	s_cbranch_execz .LBB967_111
; %bb.96:
	v_cmp_ne_u16_sdwa s[4:5], v29, v29 src0_sel:DWORD src1_sel:WORD_1
	v_and_b32_e32 v10, 0xffff, v33
	v_add_u32_e32 v11, 16, v42
	v_cndmask_b32_e64 v12, 0, 1, s[4:5]
	v_lshl_or_b32 v10, v12, 16, v10
	v_mov_b32_e32 v12, 0
	v_cmp_gt_u32_e32 vcc, s3, v11
	v_mov_b32_e32 v11, v12
	v_mov_b32_e32 v13, v12
	;; [unrolled: 1-line block ×6, first 2 shown]
	s_mov_b64 s[4:5], 0
                                        ; implicit-def: $sgpr18_sgpr19
                                        ; implicit-def: $vgpr40
	s_and_saveexec_b64 s[16:17], vcc
	s_cbranch_execz .LBB967_110
; %bb.97:
	v_cmp_ne_u16_sdwa s[4:5], v29, v22 src0_sel:WORD_1 src1_sel:DWORD
	v_add_u32_e32 v13, 17, v42
	v_cmp_gt_u32_e32 vcc, s3, v13
	v_cndmask_b32_e64 v11, 0, 1, s[4:5]
	v_alignbit_b32 v11, v11, v33, 16
	v_mov_b32_e32 v13, v12
	v_mov_b32_e32 v14, v12
	v_mov_b32_e32 v15, v12
	v_mov_b32_e32 v16, v12
	v_mov_b32_e32 v17, v12
	s_mov_b64 s[4:5], 0
                                        ; implicit-def: $sgpr48_sgpr49
                                        ; implicit-def: $vgpr40
	s_and_saveexec_b64 s[18:19], vcc
	s_cbranch_execz .LBB967_109
; %bb.98:
	ds_read_b96 v[26:28], v41 offset:34
	v_add_u32_e32 v12, 18, v42
	v_cmp_ne_u16_sdwa s[4:5], v22, v22 src0_sel:DWORD src1_sel:WORD_1
	v_cmp_gt_u32_e32 vcc, s3, v12
	v_mov_b32_e32 v14, 0
	v_cndmask_b32_e64 v13, 0, 1, s[4:5]
	s_waitcnt lgkmcnt(0)
	v_and_b32_e32 v12, 0xffff, v26
	v_lshl_or_b32 v12, v13, 16, v12
	v_mov_b32_e32 v13, v14
	v_mov_b32_e32 v15, v14
	;; [unrolled: 1-line block ×4, first 2 shown]
	s_mov_b64 s[4:5], 0
                                        ; implicit-def: $sgpr50_sgpr51
                                        ; implicit-def: $vgpr40
	s_and_saveexec_b64 s[48:49], vcc
	s_cbranch_execz .LBB967_108
; %bb.99:
	v_cmp_ne_u16_sdwa s[4:5], v22, v23 src0_sel:WORD_1 src1_sel:DWORD
	v_add_u32_e32 v15, 19, v42
	v_cmp_gt_u32_e32 vcc, s3, v15
	v_cndmask_b32_e64 v13, 0, 1, s[4:5]
	v_alignbit_b32 v13, v13, v26, 16
	v_mov_b32_e32 v15, v14
	v_mov_b32_e32 v16, v14
	;; [unrolled: 1-line block ×3, first 2 shown]
	s_mov_b64 s[4:5], 0
                                        ; implicit-def: $sgpr52_sgpr53
                                        ; implicit-def: $vgpr40
	s_and_saveexec_b64 s[50:51], vcc
	s_cbranch_execz .LBB967_107
; %bb.100:
	v_cmp_ne_u16_sdwa s[4:5], v23, v23 src0_sel:DWORD src1_sel:WORD_1
	v_and_b32_e32 v14, 0xffff, v27
	v_add_u32_e32 v15, 20, v42
	v_cndmask_b32_e64 v16, 0, 1, s[4:5]
	v_lshl_or_b32 v14, v16, 16, v14
	v_mov_b32_e32 v16, 0
	v_cmp_gt_u32_e32 vcc, s3, v15
	v_mov_b32_e32 v15, v16
	v_mov_b32_e32 v17, v16
	s_mov_b64 s[4:5], 0
                                        ; implicit-def: $sgpr56_sgpr57
                                        ; implicit-def: $vgpr40
	s_and_saveexec_b64 s[52:53], vcc
	s_cbranch_execz .LBB967_106
; %bb.101:
	v_cmp_ne_u16_sdwa s[4:5], v23, v24 src0_sel:WORD_1 src1_sel:DWORD
	v_add_u32_e32 v17, 21, v42
	v_cmp_gt_u32_e32 vcc, s3, v17
	v_cndmask_b32_e64 v15, 0, 1, s[4:5]
	v_alignbit_b32 v15, v15, v27, 16
	s_mov_b32 s9, 0
	v_mov_b32_e32 v17, v16
	s_mov_b64 s[4:5], 0
                                        ; implicit-def: $sgpr80_sgpr81
                                        ; implicit-def: $vgpr40
	s_and_saveexec_b64 s[56:57], vcc
	s_cbranch_execz .LBB967_105
; %bb.102:
	v_cmp_ne_u16_sdwa s[4:5], v24, v24 src0_sel:DWORD src1_sel:WORD_1
	v_and_b32_e32 v16, 0xffff, v28
	v_add_u32_e32 v17, 22, v42
	v_cndmask_b32_e64 v22, 0, 1, s[4:5]
	v_lshl_or_b32 v16, v22, 16, v16
	v_cmp_gt_u32_e32 vcc, s3, v17
	v_mov_b32_e32 v17, s9
	s_mov_b64 s[4:5], 0
                                        ; implicit-def: $sgpr80_sgpr81
                                        ; implicit-def: $vgpr40
	s_and_saveexec_b64 s[82:83], vcc
	s_xor_b64 s[82:83], exec, s[82:83]
	s_cbranch_execz .LBB967_104
; %bb.103:
	ds_read_u16 v40, v41 offset:46
	v_add_u32_e32 v22, 23, v42
	v_cmp_ne_u16_sdwa s[4:5], v24, v25 src0_sel:WORD_1 src1_sel:DWORD
	v_cmp_ne_u16_e32 vcc, v25, v43
	s_and_b64 s[80:81], vcc, exec
	v_cndmask_b32_e64 v17, 0, 1, s[4:5]
	v_cmp_gt_u32_e64 s[4:5], s3, v22
	v_alignbit_b32 v17, v17, v28, 16
	s_and_b64 s[4:5], s[4:5], exec
.LBB967_104:
	s_or_b64 exec, exec, s[82:83]
	s_and_b64 s[80:81], s[80:81], exec
	s_and_b64 s[4:5], s[4:5], exec
.LBB967_105:
	s_or_b64 exec, exec, s[56:57]
	s_and_b64 s[56:57], s[80:81], exec
	s_and_b64 s[4:5], s[4:5], exec
.LBB967_106:
	s_or_b64 exec, exec, s[52:53]
	s_and_b64 s[52:53], s[56:57], exec
	s_and_b64 s[4:5], s[4:5], exec
.LBB967_107:
	s_or_b64 exec, exec, s[50:51]
	s_and_b64 s[50:51], s[52:53], exec
	s_and_b64 s[4:5], s[4:5], exec
.LBB967_108:
	s_or_b64 exec, exec, s[48:49]
	s_and_b64 s[48:49], s[50:51], exec
	s_and_b64 s[4:5], s[4:5], exec
.LBB967_109:
	s_or_b64 exec, exec, s[18:19]
	s_and_b64 s[18:19], s[48:49], exec
	s_and_b64 s[4:5], s[4:5], exec
.LBB967_110:
	s_or_b64 exec, exec, s[16:17]
	s_and_b64 s[16:17], s[18:19], exec
	s_and_b64 s[4:5], s[4:5], exec
.LBB967_111:
	s_or_b64 exec, exec, s[14:15]
	s_and_b64 s[14:15], s[16:17], exec
	s_and_b64 s[4:5], s[4:5], exec
.LBB967_112:
	s_or_b64 exec, exec, s[12:13]
	s_and_b64 s[48:49], s[14:15], exec
	s_and_b64 s[4:5], s[4:5], exec
.LBB967_113:
	s_or_b64 exec, exec, s[46:47]
	s_and_b64 s[12:13], s[48:49], exec
	s_and_b64 s[4:5], s[4:5], exec
.LBB967_114:
	s_or_b64 exec, exec, s[44:45]
	s_and_b64 s[44:45], s[12:13], exec
	s_and_b64 s[4:5], s[4:5], exec
.LBB967_115:
	s_or_b64 exec, exec, s[42:43]
	s_and_b64 s[12:13], s[44:45], exec
	s_and_b64 s[4:5], s[4:5], exec
.LBB967_116:
	s_or_b64 exec, exec, s[40:41]
	s_and_b64 s[40:41], s[12:13], exec
	s_and_b64 s[4:5], s[4:5], exec
.LBB967_117:
	s_or_b64 exec, exec, s[38:39]
	s_and_b64 s[12:13], s[40:41], exec
	s_and_b64 s[4:5], s[4:5], exec
.LBB967_118:
	s_or_b64 exec, exec, s[36:37]
	s_and_b64 s[36:37], s[12:13], exec
	s_and_b64 s[4:5], s[4:5], exec
.LBB967_119:
	s_or_b64 exec, exec, s[34:35]
	s_and_b64 s[12:13], s[36:37], exec
	s_and_b64 s[4:5], s[4:5], exec
.LBB967_120:
	s_or_b64 exec, exec, s[30:31]
	s_and_b64 s[30:31], s[12:13], exec
	s_and_b64 s[4:5], s[4:5], exec
.LBB967_121:
	s_or_b64 exec, exec, s[28:29]
	s_and_b64 s[12:13], s[30:31], exec
	s_and_b64 s[4:5], s[4:5], exec
.LBB967_122:
	s_or_b64 exec, exec, s[26:27]
	s_and_b64 s[26:27], s[12:13], exec
	s_and_b64 s[4:5], s[4:5], exec
.LBB967_123:
	s_or_b64 exec, exec, s[24:25]
	s_and_b64 s[12:13], s[26:27], exec
	s_and_b64 s[4:5], s[4:5], exec
.LBB967_124:
	s_or_b64 exec, exec, s[22:23]
	s_and_b64 s[24:25], s[12:13], exec
	s_and_b64 s[22:23], s[4:5], exec
.LBB967_125:
	s_or_b64 exec, exec, s[20:21]
	s_and_b64 s[4:5], s[24:25], exec
	s_and_b64 s[12:13], s[22:23], exec
.LBB967_126:
	s_or_b64 exec, exec, s[10:11]
	s_and_b64 vcc, exec, s[6:7]
	v_lshlrev_b32_e32 v22, 1, v0
	s_cbranch_vccnz .LBB967_128
	s_branch .LBB967_136
.LBB967_127:
                                        ; implicit-def: $sgpr4_sgpr5
                                        ; implicit-def: $vgpr18_vgpr19_vgpr20_vgpr21
                                        ; implicit-def: $vgpr2_vgpr3_vgpr4_vgpr5_vgpr6_vgpr7_vgpr8_vgpr9
                                        ; implicit-def: $vgpr10_vgpr11_vgpr12_vgpr13_vgpr14_vgpr15_vgpr16_vgpr17
                                        ; implicit-def: $vgpr40
                                        ; implicit-def: $vgpr1
                                        ; implicit-def: $vgpr38
                                        ; implicit-def: $vgpr39
                                        ; implicit-def: $sgpr8
	s_and_b64 vcc, exec, s[6:7]
	v_lshlrev_b32_e32 v22, 1, v0
	s_cbranch_vccz .LBB967_136
.LBB967_128:
	v_mov_b32_e32 v23, 0
	v_lshl_add_u64 v[2:3], s[74:75], 0, v[22:23]
	v_add_co_u32_e32 v4, vcc, 0x1000, v2
	flat_load_ushort v1, v[2:3]
	flat_load_ushort v6, v[2:3] offset:512
	flat_load_ushort v7, v[2:3] offset:1024
	;; [unrolled: 1-line block ×7, first 2 shown]
	v_addc_co_u32_e32 v5, vcc, 0, v3, vcc
	v_add_co_u32_e32 v2, vcc, 0x2000, v2
	flat_load_ushort v13, v[4:5]
	flat_load_ushort v14, v[4:5] offset:512
	flat_load_ushort v15, v[4:5] offset:1024
	;; [unrolled: 1-line block ×7, first 2 shown]
	v_addc_co_u32_e32 v3, vcc, 0, v3, vcc
	flat_load_ushort v5, v[2:3]
	flat_load_ushort v21, v[2:3] offset:512
	flat_load_ushort v23, v[2:3] offset:1024
	;; [unrolled: 1-line block ×7, first 2 shown]
	v_mad_u32_u24 v4, v0, 46, v22
	s_cmp_eq_u64 s[78:79], 0
	s_waitcnt vmcnt(0) lgkmcnt(0)
	ds_write_b16 v22, v1
	ds_write_b16 v22, v6 offset:512
	ds_write_b16 v22, v7 offset:1024
	;; [unrolled: 1-line block ×23, first 2 shown]
	s_waitcnt lgkmcnt(0)
	s_barrier
	ds_read_b64 v[2:3], v4
	ds_read_u16 v5, v4 offset:8
	ds_read_b128 v[10:13], v4 offset:10
	ds_read_u16 v14, v4 offset:26
	ds_read_b32 v15, v4 offset:44
	ds_read2_b32 v[26:27], v4 offset0:9 offset1:10
	ds_read2_b32 v[24:25], v4 offset0:7 offset1:8
	s_cbranch_scc1 .LBB967_133
; %bb.129:
	s_andn2_b64 vcc, exec, s[76:77]
	s_cbranch_vccnz .LBB967_314
; %bb.130:
	s_lshl_b64 s[4:5], s[78:79], 1
	s_add_u32 s3, s62, s4
	s_addc_u32 s5, s63, s5
	s_add_u32 s4, s3, -2
	s_addc_u32 s5, s5, -1
	s_cbranch_execnz .LBB967_132
.LBB967_131:
	s_add_u32 s4, s74, -2
	s_addc_u32 s5, s75, -1
.LBB967_132:
	s_mov_b64 s[74:75], s[4:5]
.LBB967_133:
	v_mov_b64_e32 v[6:7], s[74:75]
	flat_load_ushort v1, v[6:7]
	s_movk_i32 s3, 0xffd2
	s_waitcnt lgkmcnt(0)
	v_lshrrev_b32_e32 v6, 16, v15
	v_mad_i32_i24 v7, v0, s3, v4
	v_cmp_ne_u32_e32 vcc, 0, v0
	ds_write_b16 v7, v6 offset:12288
	s_waitcnt lgkmcnt(0)
	s_barrier
	s_and_saveexec_b64 s[4:5], vcc
	s_cbranch_execz .LBB967_135
; %bb.134:
	s_waitcnt vmcnt(0)
	v_mul_i32_i24_e32 v1, 0xffffffd2, v0
	v_add_u32_e32 v1, v4, v1
	ds_read_u16 v1, v1 offset:12286
.LBB967_135:
	s_or_b64 exec, exec, s[4:5]
	v_mov_b32_e32 v23, 0
	v_lshl_add_u64 v[8:9], s[72:73], 0, v[22:23]
	s_movk_i32 s3, 0x1000
	v_add_co_u32_e32 v16, vcc, s3, v8
	s_movk_i32 s3, 0x2000
	s_nop 0
	v_addc_co_u32_e32 v17, vcc, 0, v9, vcc
	v_add_co_u32_e32 v8, vcc, s3, v8
	s_waitcnt lgkmcnt(0)
	s_barrier
	global_load_ushort v7, v22, s[72:73]
	global_load_ushort v18, v22, s[72:73] offset:512
	global_load_ushort v19, v22, s[72:73] offset:1024
	;; [unrolled: 1-line block ×7, first 2 shown]
	v_addc_co_u32_e32 v9, vcc, 0, v9, vcc
	global_load_ushort v30, v[8:9], off offset:-4096
	global_load_ushort v31, v[16:17], off offset:512
	global_load_ushort v32, v[16:17], off offset:1024
	;; [unrolled: 1-line block ×7, first 2 shown]
	global_load_ushort v38, v[8:9], off
	global_load_ushort v39, v[8:9], off offset:512
	global_load_ushort v40, v[8:9], off offset:1024
	;; [unrolled: 1-line block ×6, first 2 shown]
                                        ; kill: killed $vgpr16 killed $vgpr17
	s_nop 0
	global_load_ushort v8, v[8:9], off offset:3584
	v_cmp_ne_u16_sdwa s[6:7], v3, v5 src0_sel:WORD_1 src1_sel:DWORD
	s_waitcnt vmcnt(0)
	v_cmp_ne_u16_e32 vcc, v1, v2
	v_cmp_ne_u16_e64 s[4:5], v15, v6
	s_mov_b64 s[12:13], -1
	v_cndmask_b32_e64 v1, 0, 1, vcc
	v_cmp_ne_u16_e32 vcc, v5, v10
                                        ; implicit-def: $sgpr8
	v_sub_u16_e32 v7, 0, v7
	v_sub_u16_e32 v9, 0, v18
	;; [unrolled: 1-line block ×8, first 2 shown]
	ds_write_b16 v22, v7
	ds_write_b16 v22, v9 offset:512
	ds_write_b16 v22, v16 offset:1024
	;; [unrolled: 1-line block ×7, first 2 shown]
	v_sub_u16_e32 v7, 0, v30
	v_sub_u16_e32 v16, 0, v32
	;; [unrolled: 1-line block ×16, first 2 shown]
	ds_write_b16 v22, v7 offset:4096
	ds_write_b16 v22, v9 offset:4608
	;; [unrolled: 1-line block ×16, first 2 shown]
	s_waitcnt lgkmcnt(0)
	s_barrier
	ds_read_b96 v[32:34], v4
	v_cndmask_b32_e64 v8, 0, 1, s[6:7]
	v_cmp_ne_u16_sdwa s[6:7], v2, v3 src0_sel:WORD_1 src1_sel:DWORD
	ds_read_b128 v[28:31], v4 offset:30
	ds_read_u16 v40, v4 offset:46
	ds_read2_b32 v[16:17], v4 offset0:3 offset1:4
	s_waitcnt lgkmcnt(3)
	v_and_b32_e32 v7, 0xffff, v34
	v_lshl_or_b32 v21, v8, 16, v7
	v_cndmask_b32_e64 v7, 0, 1, s[6:7]
	v_cmp_ne_u16_sdwa s[6:7], v3, v3 src0_sel:DWORD src1_sel:WORD_1
	v_and_b32_e32 v6, 0xffff, v32
	v_lshl_or_b32 v1, v1, 16, v6
	v_cndmask_b32_e64 v3, 0, 1, s[6:7]
	v_cmp_ne_u16_sdwa s[6:7], v2, v2 src0_sel:DWORD src1_sel:WORD_1
	v_and_b32_e32 v6, 0xffff, v33
	v_alignbit_b32 v20, v3, v33, 16
	v_cndmask_b32_e64 v2, 0, 1, s[6:7]
	v_alignbit_b32 v18, v2, v32, 16
	ds_read_u16 v23, v4 offset:28
	ds_read2_b32 v[32:33], v4 offset0:5 offset1:6
	v_cmp_ne_u16_sdwa s[6:7], v13, v13 src0_sel:DWORD src1_sel:WORD_1
	v_lshl_or_b32 v19, v7, 16, v6
	v_cndmask_b32_e64 v2, 0, 1, vcc
	v_cndmask_b32_e64 v6, 0, 1, s[6:7]
	s_waitcnt lgkmcnt(0)
	v_and_b32_e32 v5, 0xffff, v33
	v_cmp_ne_u16_sdwa s[6:7], v12, v12 src0_sel:DWORD src1_sel:WORD_1
	v_and_b32_e32 v4, 0xffff, v32
	v_lshl_or_b32 v8, v6, 16, v5
	v_cndmask_b32_e64 v5, 0, 1, s[6:7]
	v_cmp_ne_u16_sdwa s[6:7], v11, v11 src0_sel:DWORD src1_sel:WORD_1
	v_and_b32_e32 v3, 0xffff, v17
	v_lshl_or_b32 v6, v5, 16, v4
	v_cndmask_b32_e64 v4, 0, 1, s[6:7]
	v_cmp_ne_u16_sdwa s[6:7], v10, v10 src0_sel:DWORD src1_sel:WORD_1
	v_alignbit_b32 v38, v2, v34, 16
	v_and_b32_e32 v2, 0xffff, v16
	v_lshl_or_b32 v4, v4, 16, v3
	v_cndmask_b32_e64 v3, 0, 1, s[6:7]
	v_cmp_ne_u16_sdwa s[6:7], v13, v14 src0_sel:WORD_1 src1_sel:DWORD
	v_lshl_or_b32 v2, v3, 16, v2
	v_cmp_ne_u16_e32 vcc, v14, v24
	v_cndmask_b32_e64 v3, 0, 1, s[6:7]
	v_cmp_ne_u16_sdwa s[6:7], v12, v13 src0_sel:WORD_1 src1_sel:DWORD
	v_alignbit_b32 v9, v3, v33, 16
	v_and_b32_e32 v13, 0xffff, v31
	v_cndmask_b32_e64 v3, 0, 1, s[6:7]
	v_cmp_ne_u16_sdwa s[6:7], v11, v12 src0_sel:WORD_1 src1_sel:DWORD
	v_alignbit_b32 v7, v3, v32, 16
	v_and_b32_e32 v12, 0xffff, v30
	v_cndmask_b32_e64 v3, 0, 1, s[6:7]
	v_cmp_ne_u16_sdwa s[6:7], v10, v11 src0_sel:WORD_1 src1_sel:DWORD
	v_alignbit_b32 v5, v3, v17, 16
	v_cndmask_b32_e64 v10, 0, 1, vcc
	v_cndmask_b32_e64 v3, 0, 1, s[6:7]
	v_cmp_ne_u16_sdwa s[6:7], v27, v27 src0_sel:DWORD src1_sel:WORD_1
	v_alignbit_b32 v3, v3, v16, 16
	v_and_b32_e32 v11, 0xffff, v29
	v_cndmask_b32_e64 v14, 0, 1, s[6:7]
	v_cmp_ne_u16_sdwa s[6:7], v26, v26 src0_sel:DWORD src1_sel:WORD_1
	v_lshl_or_b32 v16, v14, 16, v13
	v_lshl_or_b32 v39, v10, 16, v23
	v_cndmask_b32_e64 v13, 0, 1, s[6:7]
	v_cmp_ne_u16_sdwa s[6:7], v25, v25 src0_sel:DWORD src1_sel:WORD_1
	v_lshl_or_b32 v14, v13, 16, v12
	v_and_b32_e32 v10, 0xffff, v28
	v_cndmask_b32_e64 v12, 0, 1, s[6:7]
	v_cmp_ne_u16_sdwa s[6:7], v24, v24 src0_sel:DWORD src1_sel:WORD_1
	v_lshl_or_b32 v12, v12, 16, v11
	s_nop 0
	v_cndmask_b32_e64 v11, 0, 1, s[6:7]
	v_cmp_ne_u16_sdwa s[6:7], v27, v15 src0_sel:WORD_1 src1_sel:DWORD
	v_lshl_or_b32 v10, v11, 16, v10
	s_nop 0
	v_cndmask_b32_e64 v11, 0, 1, s[6:7]
	v_cmp_ne_u16_sdwa s[6:7], v26, v27 src0_sel:WORD_1 src1_sel:DWORD
	v_alignbit_b32 v17, v11, v31, 16
	s_nop 0
	v_cndmask_b32_e64 v11, 0, 1, s[6:7]
	v_cmp_ne_u16_sdwa s[6:7], v25, v26 src0_sel:WORD_1 src1_sel:DWORD
	v_alignbit_b32 v15, v11, v30, 16
	s_nop 0
	v_cndmask_b32_e64 v11, 0, 1, s[6:7]
	v_cmp_ne_u16_sdwa s[6:7], v24, v25 src0_sel:WORD_1 src1_sel:DWORD
	v_alignbit_b32 v13, v11, v29, 16
	s_nop 0
	v_cndmask_b32_e64 v11, 0, 1, s[6:7]
	v_alignbit_b32 v11, v11, v28, 16
.LBB967_136:
	v_mov_b32_e32 v23, s8
	s_and_saveexec_b64 s[6:7], s[12:13]
	s_cbranch_execz .LBB967_138
; %bb.137:
	v_mov_b32_e32 v23, 0x10000
	v_cndmask_b32_e64 v23, 0, v23, s[4:5]
	s_waitcnt lgkmcnt(0)
	v_or_b32_sdwa v23, v23, v40 dst_sel:DWORD dst_unused:UNUSED_PAD src0_sel:DWORD src1_sel:WORD_0
.LBB967_138:
	s_or_b64 exec, exec, s[6:7]
	s_cmp_lg_u32 s2, 0
	v_mbcnt_lo_u32_b32 v34, -1, 0
	s_waitcnt lgkmcnt(0)
	s_barrier
	s_cbranch_scc0 .LBB967_205
; %bb.139:
	s_mov_b32 s3, 0x10000
	v_cmp_gt_u32_e64 s[4:5], s3, v18
	v_cmp_gt_u32_e64 s[6:7], s3, v19
	v_cmp_gt_u32_e64 s[8:9], s3, v20
	v_cndmask_b32_e64 v24, 0, v1, s[4:5]
	v_add_u16_e32 v24, v24, v18
	v_cndmask_b32_e64 v24, 0, v24, s[6:7]
	v_add_u16_e32 v24, v24, v19
	v_cndmask_b32_e64 v24, 0, v24, s[8:9]
	v_add_u16_e32 v24, v24, v20
	v_cmp_gt_u32_e64 s[10:11], s3, v21
	v_cmp_gt_u32_e64 s[12:13], s3, v38
	v_cmp_gt_u32_e64 s[14:15], s3, v2
	v_cndmask_b32_e64 v24, 0, v24, s[10:11]
	v_add_u16_e32 v24, v24, v21
	v_cndmask_b32_e64 v24, 0, v24, s[12:13]
	v_add_u16_e32 v24, v24, v38
	v_cndmask_b32_e64 v24, 0, v24, s[14:15]
	v_add_u16_e32 v24, v24, v2
	;; [unrolled: 9-line block ×5, first 2 shown]
	v_cmp_gt_u32_e64 s[36:37], s3, v11
	v_cmp_gt_u32_e64 s[38:39], s3, v12
	v_or3_b32 v25, v23, v17, v16
	v_cndmask_b32_e64 v24, 0, v24, s[36:37]
	v_add_u16_e32 v24, v24, v11
	v_cndmask_b32_e64 v24, 0, v24, s[38:39]
	v_add_u16_e32 v24, v24, v12
	v_cmp_gt_u32_e64 s[40:41], s3, v13
	v_or3_b32 v25, v25, v15, v14
	v_or3_b32 v25, v25, v13, v12
	v_cndmask_b32_e64 v24, 0, v24, s[40:41]
	v_add_u16_e32 v24, v24, v13
	v_cmp_gt_u32_e64 s[42:43], s3, v14
	v_or3_b32 v25, v25, v11, v10
	v_or3_b32 v25, v25, v39, v9
	;; [unrolled: 5-line block ×5, first 2 shown]
	v_cndmask_b32_e64 v24, 0, v24, s[48:49]
	v_add_u16_e32 v24, v24, v17
	v_cmp_gt_u32_e64 s[50:51], s3, v23
	v_and_b32_e32 v25, 0x10000, v25
	s_waitcnt vmcnt(0)
	v_lshrrev_b32_e32 v35, 16, v1
	v_cndmask_b32_e64 v26, 0, v24, s[50:51]
	v_cmp_ne_u32_e32 vcc, 0, v25
	v_add_u16_e32 v24, v26, v23
	v_mbcnt_hi_u32_b32 v27, -1, v34
	v_cndmask_b32_e64 v25, v35, 1, vcc
	v_add_u16_e32 v26, v26, v23
	v_and_b32_e32 v29, 15, v27
	v_lshl_or_b32 v26, v25, 16, v26
	v_cmp_ne_u32_e32 vcc, 0, v29
	s_nop 0
	v_mov_b32_dpp v28, v26 row_shr:1 row_mask:0xf bank_mask:0xf
	s_and_saveexec_b64 s[52:53], vcc
	s_cbranch_execz .LBB967_141
; %bb.140:
	v_cmp_eq_u32_e32 vcc, 0, v25
	v_and_b32_e32 v25, 1, v25
	v_mov_b32_e32 v31, 1
	v_cndmask_b32_e32 v26, 0, v28, vcc
	v_and_b32_sdwa v28, v28, v31 dst_sel:DWORD dst_unused:UNUSED_PAD src0_sel:WORD_1 src1_sel:DWORD
	v_cmp_eq_u32_e32 vcc, 1, v25
	v_add_u16_e32 v30, v26, v24
	v_add_u16_e32 v24, v26, v24
	v_cndmask_b32_e64 v25, v28, 1, vcc
	v_lshlrev_b32_e32 v28, 16, v25
	v_or_b32_e32 v26, v28, v24
	v_mov_b32_e32 v24, v30
.LBB967_141:
	s_or_b64 exec, exec, s[52:53]
	v_lshrrev_b32_e32 v28, 16, v26
	v_mov_b32_dpp v30, v26 row_shr:2 row_mask:0xf bank_mask:0xf
	v_cmp_lt_u32_e32 vcc, 1, v29
	s_and_saveexec_b64 s[52:53], vcc
	s_cbranch_execz .LBB967_143
; %bb.142:
	v_cmp_gt_u32_e32 vcc, s3, v26
	v_and_b32_e32 v25, 0x10000, v26
	v_mov_b32_e32 v26, 1
	v_cndmask_b32_e32 v28, 0, v30, vcc
	v_and_b32_sdwa v26, v30, v26 dst_sel:DWORD dst_unused:UNUSED_PAD src0_sel:WORD_1 src1_sel:DWORD
	v_cmp_ne_u32_e32 vcc, 0, v25
	v_add_u16_e32 v31, v28, v24
	v_add_u16_e32 v24, v28, v24
	v_cndmask_b32_e64 v25, v26, 1, vcc
	v_lshlrev_b32_e32 v26, 16, v25
	v_or_b32_e32 v26, v26, v24
	v_mov_b32_e32 v28, v25
	v_mov_b32_e32 v24, v31
.LBB967_143:
	s_or_b64 exec, exec, s[52:53]
	v_mov_b32_dpp v30, v26 row_shr:4 row_mask:0xf bank_mask:0xf
	v_cmp_lt_u32_e32 vcc, 3, v29
	s_and_saveexec_b64 s[52:53], vcc
	s_cbranch_execz .LBB967_145
; %bb.144:
	v_mov_b32_e32 v25, 0
	v_cmp_eq_u16_sdwa vcc, v28, v25 src0_sel:BYTE_0 src1_sel:DWORD
	v_and_b32_e32 v25, 1, v28
	v_mov_b32_e32 v28, 1
	v_cndmask_b32_e32 v26, 0, v30, vcc
	v_and_b32_sdwa v28, v30, v28 dst_sel:DWORD dst_unused:UNUSED_PAD src0_sel:WORD_1 src1_sel:DWORD
	v_cmp_eq_u32_e32 vcc, 1, v25
	v_add_u16_e32 v31, v26, v24
	v_add_u16_e32 v24, v26, v24
	v_cndmask_b32_e64 v25, v28, 1, vcc
	v_lshlrev_b32_e32 v28, 16, v25
	v_or_b32_e32 v26, v28, v24
	v_mov_b32_e32 v28, v25
	v_mov_b32_e32 v24, v31
.LBB967_145:
	s_or_b64 exec, exec, s[52:53]
	v_mov_b32_dpp v30, v26 row_shr:8 row_mask:0xf bank_mask:0xf
	v_cmp_lt_u32_e32 vcc, 7, v29
	s_and_saveexec_b64 s[52:53], vcc
	s_cbranch_execz .LBB967_147
; %bb.146:
	v_mov_b32_e32 v25, 0
	v_cmp_eq_u16_sdwa vcc, v28, v25 src0_sel:BYTE_0 src1_sel:DWORD
	v_and_b32_e32 v25, 1, v28
	v_mov_b32_e32 v28, 1
	v_cndmask_b32_e32 v26, 0, v30, vcc
	v_and_b32_sdwa v28, v30, v28 dst_sel:DWORD dst_unused:UNUSED_PAD src0_sel:WORD_1 src1_sel:DWORD
	v_cmp_eq_u32_e32 vcc, 1, v25
	v_add_u16_e32 v29, v26, v24
	v_add_u16_e32 v24, v26, v24
	v_cndmask_b32_e64 v25, v28, 1, vcc
	v_lshlrev_b32_e32 v28, 16, v25
	v_or_b32_e32 v26, v28, v24
	v_mov_b32_e32 v28, v25
	v_mov_b32_e32 v24, v29
.LBB967_147:
	s_or_b64 exec, exec, s[52:53]
	v_and_b32_e32 v30, 16, v27
	v_mov_b32_dpp v29, v26 row_bcast:15 row_mask:0xf bank_mask:0xf
	v_cmp_ne_u32_e32 vcc, 0, v30
	s_and_saveexec_b64 s[52:53], vcc
	s_cbranch_execz .LBB967_149
; %bb.148:
	v_mov_b32_e32 v25, 0
	v_cmp_eq_u16_sdwa vcc, v28, v25 src0_sel:BYTE_0 src1_sel:DWORD
	v_and_b32_e32 v25, 1, v28
	v_mov_b32_e32 v28, 1
	v_cndmask_b32_e32 v26, 0, v29, vcc
	v_and_b32_sdwa v28, v29, v28 dst_sel:DWORD dst_unused:UNUSED_PAD src0_sel:WORD_1 src1_sel:DWORD
	v_cmp_eq_u32_e32 vcc, 1, v25
	v_add_u16_e32 v30, v26, v24
	v_add_u16_e32 v24, v26, v24
	v_cndmask_b32_e64 v25, v28, 1, vcc
	v_lshlrev_b32_e32 v28, 16, v25
	v_or_b32_e32 v26, v28, v24
	v_mov_b32_e32 v24, v30
	v_mov_b32_e32 v28, v25
.LBB967_149:
	s_or_b64 exec, exec, s[52:53]
	v_mov_b32_dpp v26, v26 row_bcast:31 row_mask:0xf bank_mask:0xf
	v_cmp_lt_u32_e32 vcc, 31, v27
	s_and_saveexec_b64 s[52:53], vcc
; %bb.150:
	v_mov_b32_e32 v25, 0
	v_cmp_eq_u16_sdwa vcc, v28, v25 src0_sel:BYTE_0 src1_sel:DWORD
	s_nop 1
	v_cndmask_b32_e32 v25, 0, v26, vcc
	v_add_u16_e32 v24, v25, v24
	v_and_b32_e32 v25, 1, v28
	v_mov_b32_e32 v28, 1
	v_and_b32_sdwa v26, v26, v28 dst_sel:DWORD dst_unused:UNUSED_PAD src0_sel:WORD_1 src1_sel:DWORD
	v_cmp_eq_u32_e32 vcc, 1, v25
	s_nop 1
	v_cndmask_b32_e64 v25, v26, 1, vcc
; %bb.151:
	s_or_b64 exec, exec, s[52:53]
	v_or_b32_e32 v28, 63, v0
	v_lshrrev_b32_e32 v26, 6, v0
	v_cmp_eq_u32_e32 vcc, v28, v0
	s_and_saveexec_b64 s[52:53], vcc
	s_cbranch_execz .LBB967_153
; %bb.152:
	v_lshlrev_b32_e32 v28, 2, v26
	ds_write_b16 v28, v24
	ds_write_b8 v28, v25 offset:2
.LBB967_153:
	s_or_b64 exec, exec, s[52:53]
	v_cmp_gt_u32_e32 vcc, 4, v0
	s_waitcnt lgkmcnt(0)
	s_barrier
	s_and_saveexec_b64 s[52:53], vcc
	s_cbranch_execz .LBB967_159
; %bb.154:
	v_lshlrev_b32_e32 v28, 2, v0
	ds_read_b32 v29, v28
	v_and_b32_e32 v32, 3, v27
	v_cmp_ne_u32_e32 vcc, 0, v32
	s_waitcnt lgkmcnt(0)
	v_lshrrev_b32_e32 v31, 16, v29
	v_mov_b32_dpp v33, v29 row_shr:1 row_mask:0xf bank_mask:0xf
	v_mov_b32_e32 v30, v29
	s_and_saveexec_b64 s[56:57], vcc
	s_cbranch_execz .LBB967_156
; %bb.155:
	v_mov_b32_e32 v30, 0
	v_cmp_eq_u16_sdwa vcc, v31, v30 src0_sel:BYTE_0 src1_sel:DWORD
	v_and_b32_e32 v31, 0x10000, v29
	v_mov_b32_e32 v40, 1
	v_cndmask_b32_e32 v37, 0, v33, vcc
	v_and_b32_sdwa v33, v33, v40 dst_sel:DWORD dst_unused:UNUSED_PAD src0_sel:WORD_1 src1_sel:DWORD
	v_cmp_ne_u32_e32 vcc, 0, v31
	v_and_b32_e32 v36, 0xff000000, v29
	v_add_u16_e32 v30, v37, v29
	v_cndmask_b32_e64 v31, v33, 1, vcc
	v_lshlrev_b32_e32 v33, 16, v31
	v_add_u16_e32 v29, v37, v29
	v_or3_b32 v29, v33, v36, v29
.LBB967_156:
	s_or_b64 exec, exec, s[56:57]
	s_nop 0
	v_mov_b32_dpp v33, v29 row_shr:2 row_mask:0xf bank_mask:0xf
	v_cmp_lt_u32_e32 vcc, 1, v32
	s_and_saveexec_b64 s[56:57], vcc
; %bb.157:
	v_and_b32_e32 v31, 0xff0000, v29
	v_cmp_eq_u32_e32 vcc, 0, v31
	v_and_b32_e32 v29, 0x10000, v29
	s_nop 0
	v_cndmask_b32_e32 v31, 0, v33, vcc
	v_add_u16_e32 v30, v31, v30
	v_mov_b32_e32 v31, 1
	v_and_b32_sdwa v31, v33, v31 dst_sel:DWORD dst_unused:UNUSED_PAD src0_sel:WORD_1 src1_sel:DWORD
	v_cmp_eq_u32_e32 vcc, 0, v29
	s_nop 1
	v_cndmask_b32_e32 v31, 1, v31, vcc
; %bb.158:
	s_or_b64 exec, exec, s[56:57]
	ds_write_b16 v28, v30
	ds_write_b8 v28, v31 offset:2
.LBB967_159:
	s_or_b64 exec, exec, s[52:53]
	v_cmp_gt_u32_e32 vcc, 64, v0
	v_cmp_lt_u32_e64 s[52:53], 63, v0
	v_mov_b32_e32 v36, 0
	v_mov_b32_e32 v37, 0
	s_waitcnt lgkmcnt(0)
	s_barrier
	s_and_saveexec_b64 s[56:57], s[52:53]
	s_cbranch_execz .LBB967_161
; %bb.160:
	v_lshl_add_u32 v26, v26, 2, -4
	ds_read_u16 v36, v26
	ds_read_u8 v37, v26 offset:2
	v_mov_b32_e32 v28, 0
	v_and_b32_e32 v29, 1, v25
	v_cmp_eq_u16_sdwa s[52:53], v25, v28 src0_sel:BYTE_0 src1_sel:DWORD
	s_waitcnt lgkmcnt(1)
	s_nop 0
	v_cndmask_b32_e64 v25, 0, v36, s[52:53]
	v_cmp_eq_u32_e64 s[52:53], 1, v29
	v_add_u16_e32 v24, v25, v24
	s_waitcnt lgkmcnt(0)
	v_cndmask_b32_e64 v25, v37, 1, s[52:53]
.LBB967_161:
	s_or_b64 exec, exec, s[56:57]
	v_and_b32_e32 v25, 0xff, v25
	v_and_b32_e32 v24, 0xffff, v24
	v_lshl_or_b32 v24, v25, 16, v24
	v_add_u32_e32 v25, -1, v27
	v_and_b32_e32 v26, 64, v27
	v_cmp_lt_i32_e64 s[52:53], v25, v26
	s_nop 1
	v_cndmask_b32_e64 v25, v25, v27, s[52:53]
	v_lshlrev_b32_e32 v25, 2, v25
	ds_bpermute_b32 v40, v25, v24
	v_cmp_eq_u32_e64 s[52:53], 0, v27
	s_and_saveexec_b64 s[56:57], vcc
	s_cbranch_execz .LBB967_204
; %bb.162:
	v_mov_b32_e32 v31, 0
	ds_read_b32 v24, v31 offset:12
	s_and_saveexec_b64 s[62:63], s[52:53]
	s_cbranch_execz .LBB967_164
; %bb.163:
	s_add_i32 s72, s2, 64
	s_mov_b32 s73, 0
	s_lshl_b64 s[72:73], s[72:73], 3
	s_add_u32 s72, s64, s72
	v_mov_b32_e32 v25, 1
	s_addc_u32 s73, s65, s73
	s_waitcnt lgkmcnt(0)
	global_store_dwordx2 v31, v[24:25], s[72:73] sc1
.LBB967_164:
	s_or_b64 exec, exec, s[62:63]
	v_xad_u32 v26, v27, -1, s2
	v_add_u32_e32 v30, 64, v26
	v_lshl_add_u64 v[32:33], v[30:31], 3, s[64:65]
	global_load_dwordx2 v[28:29], v[32:33], off sc1
	s_waitcnt vmcnt(0)
	v_cmp_eq_u16_sdwa s[72:73], v29, v31 src0_sel:BYTE_0 src1_sel:DWORD
	s_and_saveexec_b64 s[62:63], s[72:73]
	s_cbranch_execz .LBB967_168
; %bb.165:
	s_mov_b64 s[72:73], 0
	v_mov_b32_e32 v25, 0
.LBB967_166:                            ; =>This Inner Loop Header: Depth=1
	global_load_dwordx2 v[28:29], v[32:33], off sc1
	s_waitcnt vmcnt(0)
	v_cmp_ne_u16_sdwa s[74:75], v29, v25 src0_sel:BYTE_0 src1_sel:DWORD
	s_or_b64 s[72:73], s[74:75], s[72:73]
	s_andn2_b64 exec, exec, s[72:73]
	s_cbranch_execnz .LBB967_166
; %bb.167:
	s_or_b64 exec, exec, s[72:73]
.LBB967_168:
	s_or_b64 exec, exec, s[62:63]
	v_mov_b32_e32 v25, 2
	v_cmp_eq_u16_sdwa s[62:63], v29, v25 src0_sel:BYTE_0 src1_sel:DWORD
	v_lshlrev_b64 v[30:31], v27, -1
	v_and_b32_e32 v52, 0xffffff, v28
	v_and_b32_e32 v25, s63, v31
	v_or_b32_e32 v25, 0x80000000, v25
	v_ffbl_b32_e32 v25, v25
	v_add_u32_e32 v33, 32, v25
	v_and_b32_e32 v25, 63, v27
	v_cmp_ne_u32_e32 vcc, 63, v25
	v_and_b32_e32 v32, s62, v30
	v_ffbl_b32_e32 v32, v32
	v_addc_co_u32_e32 v41, vcc, 0, v27, vcc
	v_lshlrev_b32_e32 v41, 2, v41
	ds_bpermute_b32 v42, v41, v52
	v_min_u32_e32 v33, v32, v33
	v_lshrrev_b32_e32 v32, 16, v28
	v_cmp_lt_u32_e32 vcc, v25, v33
	v_bfe_u32 v50, v28, 16, 8
	s_and_saveexec_b64 s[62:63], vcc
	s_cbranch_execz .LBB967_170
; %bb.169:
	v_and_b32_e32 v32, 0xff0000, v28
	v_cmp_eq_u32_e32 vcc, 0, v32
	v_and_b32_e32 v32, 0x10000, v32
	v_mov_b32_e32 v45, 1
	s_waitcnt lgkmcnt(0)
	v_cndmask_b32_e32 v43, 0, v42, vcc
	v_and_b32_sdwa v42, v42, v45 dst_sel:DWORD dst_unused:UNUSED_PAD src0_sel:WORD_1 src1_sel:DWORD
	v_cmp_ne_u32_e32 vcc, 0, v32
	v_add_u16_e32 v44, v43, v28
	v_add_u16_e32 v28, v43, v28
	v_cndmask_b32_e64 v32, v42, 1, vcc
	v_lshlrev_b32_e32 v42, 16, v32
	v_or_b32_e32 v52, v42, v28
	v_mov_b32_e32 v28, v44
	v_mov_b32_e32 v50, v32
.LBB967_170:
	s_or_b64 exec, exec, s[62:63]
	v_cmp_gt_u32_e32 vcc, 62, v25
	v_add_u32_e32 v43, 2, v25
	s_waitcnt lgkmcnt(0)
	v_cndmask_b32_e64 v42, 0, 1, vcc
	v_lshlrev_b32_e32 v42, 1, v42
	v_add_lshl_u32 v42, v42, v27, 2
	ds_bpermute_b32 v44, v42, v52
	v_cmp_le_u32_e32 vcc, v43, v33
	s_and_saveexec_b64 s[62:63], vcc
	s_cbranch_execz .LBB967_172
; %bb.171:
	v_cmp_eq_u16_e32 vcc, 0, v50
	v_and_b32_e32 v32, 1, v50
	v_mov_b32_e32 v47, 1
	s_waitcnt lgkmcnt(0)
	v_cndmask_b32_e32 v45, 0, v44, vcc
	v_and_b32_sdwa v44, v44, v47 dst_sel:DWORD dst_unused:UNUSED_PAD src0_sel:WORD_1 src1_sel:DWORD
	v_cmp_eq_u32_e32 vcc, 1, v32
	v_add_u16_e32 v46, v45, v28
	v_add_u16_e32 v28, v45, v28
	v_cndmask_b32_e64 v32, v44, 1, vcc
	v_lshlrev_b32_e32 v44, 16, v32
	v_or_b32_e32 v52, v44, v28
	v_mov_b32_e32 v28, v46
	v_mov_b32_e32 v50, v32
.LBB967_172:
	s_or_b64 exec, exec, s[62:63]
	v_cmp_gt_u32_e32 vcc, 60, v25
	v_add_u32_e32 v45, 4, v25
	s_waitcnt lgkmcnt(0)
	v_cndmask_b32_e64 v44, 0, 1, vcc
	v_lshlrev_b32_e32 v44, 2, v44
	v_add_lshl_u32 v44, v44, v27, 2
	ds_bpermute_b32 v46, v44, v52
	v_cmp_le_u32_e32 vcc, v45, v33
	s_and_saveexec_b64 s[62:63], vcc
	s_cbranch_execz .LBB967_174
; %bb.173:
	v_cmp_eq_u16_e32 vcc, 0, v50
	v_and_b32_e32 v32, 1, v50
	v_mov_b32_e32 v49, 1
	s_waitcnt lgkmcnt(0)
	v_cndmask_b32_e32 v47, 0, v46, vcc
	v_and_b32_sdwa v46, v46, v49 dst_sel:DWORD dst_unused:UNUSED_PAD src0_sel:WORD_1 src1_sel:DWORD
	v_cmp_eq_u32_e32 vcc, 1, v32
	v_add_u16_e32 v48, v47, v28
	v_add_u16_e32 v28, v47, v28
	v_cndmask_b32_e64 v32, v46, 1, vcc
	v_lshlrev_b32_e32 v46, 16, v32
	v_or_b32_e32 v52, v46, v28
	v_mov_b32_e32 v28, v48
	v_mov_b32_e32 v50, v32
.LBB967_174:
	;; [unrolled: 27-line block ×4, first 2 shown]
	s_or_b64 exec, exec, s[62:63]
	v_cmp_gt_u32_e32 vcc, 32, v25
	v_add_u32_e32 v53, 32, v25
	s_waitcnt lgkmcnt(0)
	v_cndmask_b32_e64 v51, 0, 1, vcc
	v_lshlrev_b32_e32 v51, 5, v51
	v_add_lshl_u32 v51, v51, v27, 2
	ds_bpermute_b32 v27, v51, v52
	v_cmp_le_u32_e32 vcc, v53, v33
	s_and_saveexec_b64 s[62:63], vcc
	s_cbranch_execz .LBB967_180
; %bb.179:
	v_cmp_eq_u16_e32 vcc, 0, v50
	v_mov_b32_e32 v33, 1
	s_waitcnt lgkmcnt(0)
	v_cndmask_b32_e32 v32, 0, v27, vcc
	v_add_u16_e32 v28, v32, v28
	v_and_b32_e32 v32, 1, v50
	v_and_b32_sdwa v27, v27, v33 dst_sel:DWORD dst_unused:UNUSED_PAD src0_sel:WORD_1 src1_sel:DWORD
	v_cmp_eq_u32_e32 vcc, 1, v32
	s_nop 1
	v_cndmask_b32_e64 v32, v27, 1, vcc
.LBB967_180:
	s_or_b64 exec, exec, s[62:63]
	s_waitcnt lgkmcnt(0)
	v_mov_b32_e32 v27, 0
	v_mov_b32_e32 v54, 2
	;; [unrolled: 1-line block ×3, first 2 shown]
	s_branch .LBB967_182
.LBB967_181:                            ;   in Loop: Header=BB967_182 Depth=1
	s_or_b64 exec, exec, s[62:63]
	v_cmp_eq_u16_sdwa vcc, v50, v27 src0_sel:BYTE_0 src1_sel:DWORD
	v_and_b32_e32 v32, 1, v50
	v_and_b32_e32 v33, 1, v33
	v_cndmask_b32_e32 v28, 0, v28, vcc
	v_cmp_eq_u32_e32 vcc, 1, v32
	v_subrev_u32_e32 v26, 64, v26
	v_add_u16_e32 v28, v28, v52
	v_cndmask_b32_e64 v32, v33, 1, vcc
.LBB967_182:                            ; =>This Loop Header: Depth=1
                                        ;     Child Loop BB967_185 Depth 2
	v_cmp_ne_u16_sdwa s[62:63], v29, v54 src0_sel:BYTE_0 src1_sel:DWORD
	v_mov_b32_e32 v50, v32
	v_mov_b32_e32 v52, v28
	v_cndmask_b32_e64 v29, 0, 1, s[62:63]
	;;#ASMSTART
	;;#ASMEND
	s_nop 0
	v_cmp_ne_u32_e32 vcc, 0, v29
	s_cmp_lg_u64 vcc, exec
	s_cbranch_scc1 .LBB967_199
; %bb.183:                              ;   in Loop: Header=BB967_182 Depth=1
	v_lshl_add_u64 v[32:33], v[26:27], 3, s[64:65]
	global_load_dwordx2 v[28:29], v[32:33], off sc1
	s_waitcnt vmcnt(0)
	v_cmp_eq_u16_sdwa s[72:73], v29, v27 src0_sel:BYTE_0 src1_sel:DWORD
	s_and_saveexec_b64 s[62:63], s[72:73]
	s_cbranch_execz .LBB967_187
; %bb.184:                              ;   in Loop: Header=BB967_182 Depth=1
	s_mov_b64 s[72:73], 0
.LBB967_185:                            ;   Parent Loop BB967_182 Depth=1
                                        ; =>  This Inner Loop Header: Depth=2
	global_load_dwordx2 v[28:29], v[32:33], off sc1
	s_waitcnt vmcnt(0)
	v_cmp_ne_u16_sdwa s[74:75], v29, v27 src0_sel:BYTE_0 src1_sel:DWORD
	s_or_b64 s[72:73], s[74:75], s[72:73]
	s_andn2_b64 exec, exec, s[72:73]
	s_cbranch_execnz .LBB967_185
; %bb.186:                              ;   in Loop: Header=BB967_182 Depth=1
	s_or_b64 exec, exec, s[72:73]
.LBB967_187:                            ;   in Loop: Header=BB967_182 Depth=1
	s_or_b64 exec, exec, s[62:63]
	v_cmp_eq_u16_sdwa s[62:63], v29, v54 src0_sel:BYTE_0 src1_sel:DWORD
	s_waitcnt lgkmcnt(0)
	v_and_b32_e32 v57, 0xffffff, v28
	ds_bpermute_b32 v58, v41, v57
	v_and_b32_e32 v32, s63, v31
	v_or_b32_e32 v32, 0x80000000, v32
	v_and_b32_e32 v33, s62, v30
	v_ffbl_b32_e32 v32, v32
	v_add_u32_e32 v32, 32, v32
	v_ffbl_b32_e32 v33, v33
	v_min_u32_e32 v32, v33, v32
	v_lshrrev_b32_e32 v33, 16, v28
	v_cmp_lt_u32_e32 vcc, v25, v32
	v_bfe_u32 v56, v28, 16, 8
	s_and_saveexec_b64 s[62:63], vcc
	s_cbranch_execz .LBB967_189
; %bb.188:                              ;   in Loop: Header=BB967_182 Depth=1
	v_and_b32_e32 v33, 0xff0000, v28
	v_cmp_eq_u32_e32 vcc, 0, v33
	v_and_b32_e32 v33, 0x10000, v33
	s_waitcnt lgkmcnt(0)
	v_and_b32_sdwa v57, v58, v55 dst_sel:DWORD dst_unused:UNUSED_PAD src0_sel:WORD_1 src1_sel:DWORD
	v_cndmask_b32_e32 v56, 0, v58, vcc
	v_cmp_ne_u32_e32 vcc, 0, v33
	v_add_u16_e32 v59, v56, v28
	v_add_u16_e32 v28, v56, v28
	v_cndmask_b32_e64 v33, v57, 1, vcc
	v_lshlrev_b32_e32 v57, 16, v33
	v_or_b32_e32 v57, v57, v28
	v_mov_b32_e32 v28, v59
	v_mov_b32_e32 v56, v33
.LBB967_189:                            ;   in Loop: Header=BB967_182 Depth=1
	s_or_b64 exec, exec, s[62:63]
	s_waitcnt lgkmcnt(0)
	ds_bpermute_b32 v58, v42, v57
	v_cmp_le_u32_e32 vcc, v43, v32
	s_and_saveexec_b64 s[62:63], vcc
	s_cbranch_execz .LBB967_191
; %bb.190:                              ;   in Loop: Header=BB967_182 Depth=1
	v_cmp_eq_u16_e32 vcc, 0, v56
	v_and_b32_e32 v33, 1, v56
	s_waitcnt lgkmcnt(0)
	v_and_b32_sdwa v56, v58, v55 dst_sel:DWORD dst_unused:UNUSED_PAD src0_sel:WORD_1 src1_sel:DWORD
	v_cndmask_b32_e32 v57, 0, v58, vcc
	v_cmp_eq_u32_e32 vcc, 1, v33
	v_add_u16_e32 v59, v57, v28
	v_add_u16_e32 v28, v57, v28
	v_cndmask_b32_e64 v33, v56, 1, vcc
	v_lshlrev_b32_e32 v56, 16, v33
	v_or_b32_e32 v57, v56, v28
	v_mov_b32_e32 v28, v59
	v_mov_b32_e32 v56, v33
.LBB967_191:                            ;   in Loop: Header=BB967_182 Depth=1
	s_or_b64 exec, exec, s[62:63]
	s_waitcnt lgkmcnt(0)
	ds_bpermute_b32 v58, v44, v57
	v_cmp_le_u32_e32 vcc, v45, v32
	s_and_saveexec_b64 s[62:63], vcc
	s_cbranch_execz .LBB967_193
; %bb.192:                              ;   in Loop: Header=BB967_182 Depth=1
	v_cmp_eq_u16_e32 vcc, 0, v56
	v_and_b32_e32 v33, 1, v56
	s_waitcnt lgkmcnt(0)
	v_and_b32_sdwa v56, v58, v55 dst_sel:DWORD dst_unused:UNUSED_PAD src0_sel:WORD_1 src1_sel:DWORD
	v_cndmask_b32_e32 v57, 0, v58, vcc
	v_cmp_eq_u32_e32 vcc, 1, v33
	v_add_u16_e32 v59, v57, v28
	v_add_u16_e32 v28, v57, v28
	v_cndmask_b32_e64 v33, v56, 1, vcc
	v_lshlrev_b32_e32 v56, 16, v33
	v_or_b32_e32 v57, v56, v28
	v_mov_b32_e32 v28, v59
	v_mov_b32_e32 v56, v33
.LBB967_193:                            ;   in Loop: Header=BB967_182 Depth=1
	;; [unrolled: 21-line block ×4, first 2 shown]
	s_or_b64 exec, exec, s[62:63]
	ds_bpermute_b32 v57, v51, v57
	v_cmp_le_u32_e32 vcc, v53, v32
	s_and_saveexec_b64 s[62:63], vcc
	s_cbranch_execz .LBB967_181
; %bb.198:                              ;   in Loop: Header=BB967_182 Depth=1
	v_cmp_eq_u16_e32 vcc, 0, v56
	s_waitcnt lgkmcnt(0)
	v_lshrrev_b32_e32 v33, 16, v57
	v_cndmask_b32_e32 v32, 0, v57, vcc
	v_add_u16_e32 v28, v32, v28
	v_and_b32_e32 v32, 1, v56
	v_cmp_eq_u32_e32 vcc, 1, v32
	s_nop 1
	v_cndmask_b32_e64 v33, v33, 1, vcc
	s_branch .LBB967_181
.LBB967_199:                            ;   in Loop: Header=BB967_182 Depth=1
                                        ; implicit-def: $vgpr32
                                        ; implicit-def: $vgpr28
	s_cbranch_execz .LBB967_182
; %bb.200:
	s_and_saveexec_b64 s[62:63], s[52:53]
	s_cbranch_execz .LBB967_202
; %bb.201:
	v_and_b32_e32 v25, 0xff0000, v24
	s_mov_b32 s3, 0
	v_cmp_eq_u32_e32 vcc, 0, v25
	v_and_b32_e32 v26, 0x10000, v24
	v_mov_b32_e32 v27, 1
	s_add_i32 s2, s2, 64
	v_cndmask_b32_e32 v25, 0, v52, vcc
	v_and_b32_sdwa v27, v50, v27 dst_sel:WORD_1 dst_unused:UNUSED_PAD src0_sel:DWORD src1_sel:DWORD
	v_mov_b32_e32 v28, 0x10000
	v_cmp_eq_u32_e32 vcc, 0, v26
	s_lshl_b64 s[2:3], s[2:3], 3
	s_add_u32 s2, s64, s2
	v_cndmask_b32_e32 v26, v28, v27, vcc
	v_add_u16_e32 v24, v25, v24
	s_addc_u32 s3, s65, s3
	v_mov_b32_e32 v27, 0
	v_or_b32_e32 v24, v26, v24
	v_mov_b32_e32 v25, 2
	global_store_dwordx2 v27, v[24:25], s[2:3] sc1
.LBB967_202:
	s_or_b64 exec, exec, s[62:63]
	v_cmp_eq_u32_e32 vcc, 0, v0
	s_and_b64 exec, exec, vcc
	s_cbranch_execz .LBB967_204
; %bb.203:
	v_mov_b32_e32 v24, 0
	ds_write_b16 v24, v52 offset:12
	ds_write_b8 v24, v50 offset:14
.LBB967_204:
	s_or_b64 exec, exec, s[56:57]
	s_waitcnt lgkmcnt(0)
	v_lshrrev_b32_e32 v24, 16, v40
	v_mov_b32_e32 v26, 0
	s_mov_b32 s2, 0x10000
	v_cndmask_b32_e64 v24, v24, v37, s[52:53]
	v_cndmask_b32_e64 v25, v40, v36, s[52:53]
	s_barrier
	ds_read_b32 v27, v26 offset:12
	v_cmp_gt_u32_e32 vcc, s2, v1
	v_and_b32_e32 v28, 0x10000, v1
	v_and_b32_e32 v24, 1, v24
	v_cndmask_b32_e32 v25, 0, v25, vcc
	v_cmp_ne_u32_e32 vcc, 0, v28
	s_nop 1
	v_cndmask_b32_e64 v24, v24, 1, vcc
	v_cmp_eq_u32_e32 vcc, 0, v0
	s_nop 1
	v_cndmask_b32_e32 v24, v24, v35, vcc
	v_cndmask_b32_e64 v25, v25, 0, vcc
	v_cmp_eq_u16_sdwa vcc, v24, v26 src0_sel:BYTE_0 src1_sel:DWORD
	v_add_u16_e32 v25, v25, v1
	s_waitcnt lgkmcnt(0)
	v_cndmask_b32_e32 v24, 0, v27, vcc
	v_add_u16_e32 v50, v25, v24
	v_cndmask_b32_e64 v24, 0, v50, s[4:5]
	v_add_u16_e32 v24, v24, v18
	v_cndmask_b32_e64 v25, 0, v24, s[6:7]
	;; [unrolled: 2-line block ×23, first 2 shown]
	v_add_u16_e32 v49, v49, v23
	s_load_dwordx2 s[62:63], s[0:1], 0x20
	s_branch .LBB967_235
.LBB967_205:
                                        ; implicit-def: $vgpr50
                                        ; implicit-def: $vgpr24
                                        ; implicit-def: $vgpr25
                                        ; implicit-def: $vgpr26
                                        ; implicit-def: $vgpr27
                                        ; implicit-def: $vgpr28
                                        ; implicit-def: $vgpr29
                                        ; implicit-def: $vgpr31
                                        ; implicit-def: $vgpr30
                                        ; implicit-def: $vgpr32
                                        ; implicit-def: $vgpr33
                                        ; implicit-def: $vgpr35
                                        ; implicit-def: $vgpr36
                                        ; implicit-def: $vgpr37
                                        ; implicit-def: $vgpr40
                                        ; implicit-def: $vgpr42
                                        ; implicit-def: $vgpr41
                                        ; implicit-def: $vgpr43
                                        ; implicit-def: $vgpr44
                                        ; implicit-def: $vgpr45
                                        ; implicit-def: $vgpr46
                                        ; implicit-def: $vgpr47
                                        ; implicit-def: $vgpr48
                                        ; implicit-def: $vgpr49
	s_load_dwordx2 s[62:63], s[0:1], 0x20
	s_cbranch_execz .LBB967_235
; %bb.206:
	s_cmp_lg_u64 s[70:71], 0
	s_cselect_b32 s3, s59, 0
	s_cselect_b32 s2, s58, 0
	s_cmp_lg_u64 s[2:3], 0
	s_cselect_b64 s[4:5], -1, 0
	v_cmp_eq_u32_e32 vcc, 0, v0
	v_cmp_ne_u32_e64 s[0:1], 0, v0
	s_and_b64 s[6:7], vcc, s[4:5]
	s_and_saveexec_b64 s[4:5], s[6:7]
	s_cbranch_execz .LBB967_208
; %bb.207:
	v_mov_b32_e32 v24, 0
	global_load_ushort v25, v24, s[2:3]
	global_load_ubyte v26, v24, s[2:3] offset:2
	s_mov_b32 s2, 0x10000
	v_and_b32_e32 v24, 0x10000, v1
	v_mov_b32_e32 v27, 1
	v_cmp_gt_u32_e64 s[2:3], s2, v1
	v_mov_b32_e32 v28, 0x10000
	s_waitcnt vmcnt(0)
	v_and_b32_sdwa v26, v26, v27 dst_sel:WORD_1 dst_unused:UNUSED_PAD src0_sel:DWORD src1_sel:DWORD
	v_cndmask_b32_e64 v25, 0, v25, s[2:3]
	v_cmp_eq_u32_e64 s[2:3], 0, v24
	v_add_u16_e32 v1, v25, v1
	s_nop 0
	v_cndmask_b32_e64 v24, v28, v26, s[2:3]
	v_or_b32_e32 v1, v24, v1
.LBB967_208:
	s_or_b64 exec, exec, s[4:5]
	s_mov_b32 s50, 0x10000
	v_cmp_gt_u32_e64 s[4:5], s50, v18
	v_cmp_gt_u32_e64 s[6:7], s50, v19
	;; [unrolled: 1-line block ×3, first 2 shown]
	v_cndmask_b32_e64 v24, 0, v1, s[4:5]
	v_add_u16_e32 v24, v24, v18
	v_cndmask_b32_e64 v25, 0, v24, s[6:7]
	v_add_u16_e32 v25, v25, v19
	v_bfe_u32 v28, v19, 16, 1
	v_mov_b32_e32 v53, 1
	v_cndmask_b32_e64 v26, 0, v25, s[8:9]
	v_lshlrev_b16_e32 v28, 1, v28
	v_and_b32_sdwa v29, v18, v53 dst_sel:DWORD dst_unused:UNUSED_PAD src0_sel:WORD_1 src1_sel:DWORD
	v_add_u16_e32 v26, v26, v20
	v_cmp_gt_u32_e64 s[10:11], s50, v21
	v_or_b32_e32 v28, v29, v28
	v_bfe_u32 v29, v21, 16, 1
	v_and_b32_sdwa v30, v20, v53 dst_sel:DWORD dst_unused:UNUSED_PAD src0_sel:WORD_1 src1_sel:DWORD
	v_cndmask_b32_e64 v27, 0, v26, s[10:11]
	v_lshlrev_b16_e32 v29, 3, v29
	v_lshlrev_b16_e32 v30, 2, v30
	v_add_u16_e32 v27, v27, v21
	v_or_b32_e32 v29, v29, v30
	v_cmp_gt_u32_e64 s[12:13], s50, v38
	v_or_b32_e32 v49, v28, v29
	v_and_b32_e32 v29, 0x10000, v38
	v_cndmask_b32_e64 v28, 0, v27, s[12:13]
	v_add_u16_e32 v28, v28, v38
	v_cmp_gt_u32_e64 s[14:15], s50, v2
	v_cmp_ne_u32_e64 s[2:3], 0, v29
	v_cmp_gt_u32_e64 s[16:17], s50, v3
	v_cndmask_b32_e64 v29, 0, v28, s[14:15]
	v_add_u16_e32 v29, v29, v2
	v_cndmask_b32_e64 v30, 0, v29, s[16:17]
	v_add_u16_e32 v31, v30, v3
	v_cmp_gt_u32_e64 s[18:19], s50, v4
	v_cmp_gt_u32_e64 s[20:21], s50, v5
	;; [unrolled: 1-line block ×3, first 2 shown]
	v_cndmask_b32_e64 v30, 0, v31, s[18:19]
	v_add_u16_e32 v30, v30, v4
	v_cndmask_b32_e64 v32, 0, v30, s[20:21]
	v_add_u16_e32 v32, v32, v5
	v_cndmask_b32_e64 v33, 0, v32, s[22:23]
	v_add_u16_e32 v33, v33, v6
	v_cmp_gt_u32_e64 s[24:25], s50, v7
	v_cmp_gt_u32_e64 s[26:27], s50, v8
	;; [unrolled: 1-line block ×3, first 2 shown]
	s_waitcnt vmcnt(0)
	v_cndmask_b32_e64 v35, 0, v33, s[24:25]
	v_add_u16_e32 v35, v35, v7
	v_cndmask_b32_e64 v36, 0, v35, s[26:27]
	v_add_u16_e32 v36, v36, v8
	;; [unrolled: 2-line block ×3, first 2 shown]
	v_cmp_gt_u32_e64 s[30:31], s50, v39
	v_and_b32_e32 v41, 0x10000, v39
	v_cmp_gt_u32_e64 s[34:35], s50, v10
	v_cndmask_b32_e64 v40, 0, v37, s[30:31]
	v_add_u16_e32 v40, v40, v39
	v_cmp_ne_u32_e64 s[52:53], 0, v41
	v_cndmask_b32_e64 v41, 0, v40, s[34:35]
	v_add_u16_e32 v42, v41, v10
	v_cmp_gt_u32_e64 s[36:37], s50, v11
	v_cmp_gt_u32_e64 s[38:39], s50, v12
	v_and_b32_e32 v52, 0x10000, v23
	v_cndmask_b32_e64 v41, 0, v42, s[36:37]
	v_add_u16_e32 v41, v41, v11
	v_cndmask_b32_e64 v43, 0, v41, s[38:39]
	v_add_u16_e32 v43, v43, v12
	v_cmp_gt_u32_e64 s[40:41], s50, v13
	v_cmp_ne_u32_e64 s[56:57], 0, v52
	v_or_b32_e32 v52, v16, v8
	v_or_b32_e32 v55, v17, v9
	;; [unrolled: 1-line block ×3, first 2 shown]
	v_cndmask_b32_e64 v44, 0, v43, s[40:41]
	v_or_b32_e32 v56, v14, v6
	v_or_b32_e32 v58, v12, v4
	;; [unrolled: 1-line block ×4, first 2 shown]
	v_bfe_u32 v57, v57, 16, 1
	v_bfe_u32 v55, v55, 16, 1
	v_and_b32_sdwa v52, v52, v53 dst_sel:DWORD dst_unused:UNUSED_PAD src0_sel:WORD_1 src1_sel:DWORD
	v_add_u16_e32 v44, v44, v13
	v_cmp_gt_u32_e64 s[42:43], s50, v14
	v_or_b32_e32 v60, v10, v2
	v_bfe_u32 v61, v61, 16, 1
	v_bfe_u32 v59, v59, 16, 1
	v_and_b32_sdwa v58, v58, v53 dst_sel:DWORD dst_unused:UNUSED_PAD src0_sel:WORD_1 src1_sel:DWORD
	v_lshlrev_b16_e32 v57, 1, v57
	v_and_b32_sdwa v56, v56, v53 dst_sel:DWORD dst_unused:UNUSED_PAD src0_sel:WORD_1 src1_sel:DWORD
	v_lshlrev_b16_e32 v55, 3, v55
	v_lshlrev_b16_e32 v52, 2, v52
	v_cndmask_b32_e64 v45, 0, v44, s[42:43]
	v_lshlrev_b16_e32 v61, 1, v61
	v_and_b32_sdwa v60, v60, v53 dst_sel:DWORD dst_unused:UNUSED_PAD src0_sel:WORD_1 src1_sel:DWORD
	v_lshlrev_b16_e32 v59, 3, v59
	v_lshlrev_b16_e32 v58, 2, v58
	v_or_b32_e32 v56, v56, v57
	v_or_b32_e32 v52, v55, v52
	v_add_u16_e32 v45, v45, v14
	v_cmp_gt_u32_e64 s[44:45], s50, v15
	v_or_b32_e32 v60, v60, v61
	v_or_b32_e32 v58, v59, v58
	;; [unrolled: 1-line block ×3, first 2 shown]
	v_cndmask_b32_e64 v46, 0, v45, s[44:45]
	v_or_b32_e32 v58, v60, v58
	v_lshlrev_b16_e32 v52, 4, v52
	v_add_u16_e32 v46, v46, v15
	v_cmp_gt_u32_e64 s[46:47], s50, v16
	v_or_b32_e32 v52, v58, v52
	v_or_b32_e32 v49, v52, v49
	v_cndmask_b32_e64 v47, 0, v46, s[46:47]
	v_mov_b32_e32 v52, 0
	v_add_u16_e32 v47, v47, v16
	v_cmp_gt_u32_e64 s[48:49], s50, v17
	v_cmp_ne_u16_sdwa s[58:59], v49, v52 src0_sel:BYTE_0 src1_sel:DWORD
	s_or_b64 s[56:57], s[56:57], s[58:59]
	v_cndmask_b32_e64 v48, 0, v47, s[48:49]
	v_add_u16_e32 v48, v48, v17
	v_cmp_gt_u32_e64 s[50:51], s50, v23
	s_or_b64 s[52:53], s[56:57], s[52:53]
	v_lshrrev_b32_e32 v50, 16, v1
	v_cndmask_b32_e64 v54, 0, v48, s[50:51]
	s_or_b64 s[2:3], s[52:53], s[2:3]
	v_cndmask_b32_e64 v52, v50, 1, s[2:3]
	v_mbcnt_hi_u32_b32 v34, -1, v34
	v_add_u16_e32 v49, v54, v23
	v_add_u16_e32 v51, v54, v23
	v_and_b32_e32 v55, 15, v34
	v_lshl_or_b32 v54, v52, 16, v49
	v_cmp_ne_u32_e64 s[2:3], 0, v55
	s_nop 0
	v_mov_b32_dpp v56, v54 row_shr:1 row_mask:0xf bank_mask:0xf
	s_and_saveexec_b64 s[52:53], s[2:3]
; %bb.209:
	v_cmp_eq_u32_e64 s[2:3], 0, v52
	v_and_b32_e32 v52, 1, v52
	v_and_b32_sdwa v53, v56, v53 dst_sel:DWORD dst_unused:UNUSED_PAD src0_sel:WORD_1 src1_sel:DWORD
	v_cndmask_b32_e64 v54, 0, v56, s[2:3]
	v_cmp_eq_u32_e64 s[2:3], 1, v52
	v_add_u16_e32 v57, v51, v54
	v_add_u16_e32 v51, v51, v54
	v_cndmask_b32_e64 v52, v53, 1, s[2:3]
	v_lshlrev_b32_e32 v53, 16, v52
	v_or_b32_e32 v54, v53, v51
	v_mov_b32_e32 v51, v57
; %bb.210:
	s_or_b64 exec, exec, s[52:53]
	v_lshrrev_b32_e32 v53, 16, v54
	v_mov_b32_dpp v56, v54 row_shr:2 row_mask:0xf bank_mask:0xf
	v_cmp_lt_u32_e64 s[2:3], 1, v55
	s_and_saveexec_b64 s[52:53], s[2:3]
	s_cbranch_execz .LBB967_212
; %bb.211:
	s_mov_b32 s2, 0x10000
	v_cmp_gt_u32_e64 s[2:3], s2, v54
	v_and_b32_e32 v52, 0x10000, v54
	v_mov_b32_e32 v54, 1
	v_cndmask_b32_e64 v53, 0, v56, s[2:3]
	v_and_b32_sdwa v54, v56, v54 dst_sel:DWORD dst_unused:UNUSED_PAD src0_sel:WORD_1 src1_sel:DWORD
	v_cmp_ne_u32_e64 s[2:3], 0, v52
	v_add_u16_e32 v57, v53, v51
	v_add_u16_e32 v51, v53, v51
	v_cndmask_b32_e64 v52, v54, 1, s[2:3]
	v_lshlrev_b32_e32 v54, 16, v52
	v_or_b32_e32 v54, v54, v51
	v_mov_b32_e32 v53, v52
	v_mov_b32_e32 v51, v57
.LBB967_212:
	s_or_b64 exec, exec, s[52:53]
	v_mov_b32_dpp v56, v54 row_shr:4 row_mask:0xf bank_mask:0xf
	v_cmp_lt_u32_e64 s[2:3], 3, v55
	s_and_saveexec_b64 s[52:53], s[2:3]
	s_cbranch_execz .LBB967_214
; %bb.213:
	v_mov_b32_e32 v52, 0
	v_cmp_eq_u16_sdwa s[2:3], v53, v52 src0_sel:BYTE_0 src1_sel:DWORD
	v_and_b32_e32 v52, 1, v53
	v_mov_b32_e32 v53, 1
	v_cndmask_b32_e64 v54, 0, v56, s[2:3]
	v_and_b32_sdwa v53, v56, v53 dst_sel:DWORD dst_unused:UNUSED_PAD src0_sel:WORD_1 src1_sel:DWORD
	v_cmp_eq_u32_e64 s[2:3], 1, v52
	v_add_u16_e32 v57, v54, v51
	v_add_u16_e32 v51, v54, v51
	v_cndmask_b32_e64 v52, v53, 1, s[2:3]
	v_lshlrev_b32_e32 v53, 16, v52
	v_or_b32_e32 v54, v53, v51
	v_mov_b32_e32 v53, v52
	v_mov_b32_e32 v51, v57
.LBB967_214:
	s_or_b64 exec, exec, s[52:53]
	v_mov_b32_dpp v56, v54 row_shr:8 row_mask:0xf bank_mask:0xf
	v_cmp_lt_u32_e64 s[2:3], 7, v55
	s_and_saveexec_b64 s[52:53], s[2:3]
	s_cbranch_execz .LBB967_216
; %bb.215:
	v_mov_b32_e32 v52, 0
	v_cmp_eq_u16_sdwa s[2:3], v53, v52 src0_sel:BYTE_0 src1_sel:DWORD
	v_and_b32_e32 v52, 1, v53
	v_mov_b32_e32 v53, 1
	v_cndmask_b32_e64 v54, 0, v56, s[2:3]
	v_and_b32_sdwa v53, v56, v53 dst_sel:DWORD dst_unused:UNUSED_PAD src0_sel:WORD_1 src1_sel:DWORD
	v_cmp_eq_u32_e64 s[2:3], 1, v52
	v_add_u16_e32 v55, v54, v51
	v_add_u16_e32 v51, v54, v51
	v_cndmask_b32_e64 v52, v53, 1, s[2:3]
	v_lshlrev_b32_e32 v53, 16, v52
	v_or_b32_e32 v54, v53, v51
	v_mov_b32_e32 v53, v52
	v_mov_b32_e32 v51, v55
.LBB967_216:
	s_or_b64 exec, exec, s[52:53]
	v_and_b32_e32 v56, 16, v34
	v_mov_b32_dpp v55, v54 row_bcast:15 row_mask:0xf bank_mask:0xf
	v_cmp_ne_u32_e64 s[2:3], 0, v56
	s_and_saveexec_b64 s[52:53], s[2:3]
	s_cbranch_execz .LBB967_218
; %bb.217:
	v_mov_b32_e32 v52, 0
	v_cmp_eq_u16_sdwa s[2:3], v53, v52 src0_sel:BYTE_0 src1_sel:DWORD
	v_and_b32_e32 v52, 1, v53
	v_mov_b32_e32 v53, 1
	v_cndmask_b32_e64 v54, 0, v55, s[2:3]
	v_and_b32_sdwa v53, v55, v53 dst_sel:DWORD dst_unused:UNUSED_PAD src0_sel:WORD_1 src1_sel:DWORD
	v_cmp_eq_u32_e64 s[2:3], 1, v52
	v_add_u16_e32 v56, v54, v51
	v_add_u16_e32 v51, v54, v51
	v_cndmask_b32_e64 v52, v53, 1, s[2:3]
	v_lshlrev_b32_e32 v53, 16, v52
	v_or_b32_e32 v54, v53, v51
	v_mov_b32_e32 v51, v56
	v_mov_b32_e32 v53, v52
.LBB967_218:
	s_or_b64 exec, exec, s[52:53]
	v_mov_b32_dpp v54, v54 row_bcast:31 row_mask:0xf bank_mask:0xf
	v_cmp_lt_u32_e64 s[2:3], 31, v34
	s_and_saveexec_b64 s[52:53], s[2:3]
; %bb.219:
	v_mov_b32_e32 v52, 0
	v_cmp_eq_u16_sdwa s[2:3], v53, v52 src0_sel:BYTE_0 src1_sel:DWORD
	s_nop 1
	v_cndmask_b32_e64 v52, 0, v54, s[2:3]
	v_add_u16_e32 v51, v52, v51
	v_and_b32_e32 v52, 1, v53
	v_mov_b32_e32 v53, 1
	v_and_b32_sdwa v53, v54, v53 dst_sel:DWORD dst_unused:UNUSED_PAD src0_sel:WORD_1 src1_sel:DWORD
	v_cmp_eq_u32_e64 s[2:3], 1, v52
	s_nop 1
	v_cndmask_b32_e64 v52, v53, 1, s[2:3]
; %bb.220:
	s_or_b64 exec, exec, s[52:53]
	v_or_b32_e32 v54, 63, v0
	v_lshrrev_b32_e32 v53, 6, v0
	v_cmp_eq_u32_e64 s[2:3], v54, v0
	s_and_saveexec_b64 s[52:53], s[2:3]
	s_cbranch_execz .LBB967_222
; %bb.221:
	v_lshlrev_b32_e32 v54, 2, v53
	ds_write_b16 v54, v51
	ds_write_b8 v54, v52 offset:2
.LBB967_222:
	s_or_b64 exec, exec, s[52:53]
	v_cmp_gt_u32_e64 s[2:3], 4, v0
	s_waitcnt lgkmcnt(0)
	s_barrier
	s_and_saveexec_b64 s[52:53], s[2:3]
	s_cbranch_execz .LBB967_228
; %bb.223:
	v_lshlrev_b32_e32 v54, 2, v0
	ds_read_b32 v55, v54
	v_and_b32_e32 v58, 3, v34
	v_cmp_ne_u32_e64 s[2:3], 0, v58
	s_waitcnt lgkmcnt(0)
	v_lshrrev_b32_e32 v57, 16, v55
	v_mov_b32_dpp v59, v55 row_shr:1 row_mask:0xf bank_mask:0xf
	v_mov_b32_e32 v56, v55
	s_and_saveexec_b64 s[56:57], s[2:3]
	s_cbranch_execz .LBB967_225
; %bb.224:
	v_mov_b32_e32 v56, 0
	v_cmp_eq_u16_sdwa s[2:3], v57, v56 src0_sel:BYTE_0 src1_sel:DWORD
	v_and_b32_e32 v57, 0x10000, v55
	v_mov_b32_e32 v62, 1
	v_cndmask_b32_e64 v61, 0, v59, s[2:3]
	v_and_b32_sdwa v59, v59, v62 dst_sel:DWORD dst_unused:UNUSED_PAD src0_sel:WORD_1 src1_sel:DWORD
	v_cmp_ne_u32_e64 s[2:3], 0, v57
	v_and_b32_e32 v60, 0xff000000, v55
	v_add_u16_e32 v56, v61, v55
	v_cndmask_b32_e64 v57, v59, 1, s[2:3]
	v_lshlrev_b32_e32 v59, 16, v57
	v_add_u16_e32 v55, v61, v55
	v_or3_b32 v55, v59, v60, v55
.LBB967_225:
	s_or_b64 exec, exec, s[56:57]
	s_nop 0
	v_mov_b32_dpp v59, v55 row_shr:2 row_mask:0xf bank_mask:0xf
	v_cmp_lt_u32_e64 s[2:3], 1, v58
	s_and_saveexec_b64 s[56:57], s[2:3]
; %bb.226:
	v_and_b32_e32 v57, 0xff0000, v55
	v_cmp_eq_u32_e64 s[2:3], 0, v57
	v_and_b32_e32 v55, 0x10000, v55
	s_nop 0
	v_cndmask_b32_e64 v57, 0, v59, s[2:3]
	v_add_u16_e32 v56, v57, v56
	v_mov_b32_e32 v57, 1
	v_and_b32_sdwa v57, v59, v57 dst_sel:DWORD dst_unused:UNUSED_PAD src0_sel:WORD_1 src1_sel:DWORD
	v_cmp_eq_u32_e64 s[2:3], 0, v55
	s_nop 1
	v_cndmask_b32_e64 v57, 1, v57, s[2:3]
; %bb.227:
	s_or_b64 exec, exec, s[56:57]
	ds_write_b16 v54, v56
	ds_write_b8 v54, v57 offset:2
.LBB967_228:
	s_or_b64 exec, exec, s[52:53]
	v_cmp_lt_u32_e64 s[2:3], 63, v0
	v_mov_b32_e32 v54, 0
	s_waitcnt lgkmcnt(0)
	s_barrier
	s_and_saveexec_b64 s[52:53], s[2:3]
	s_cbranch_execz .LBB967_230
; %bb.229:
	v_lshl_add_u32 v53, v53, 2, -4
	ds_read_u16 v54, v53
	ds_read_u8 v53, v53 offset:2
	v_mov_b32_e32 v55, 0
	v_and_b32_e32 v56, 1, v52
	v_cmp_eq_u16_sdwa s[2:3], v52, v55 src0_sel:BYTE_0 src1_sel:DWORD
	s_waitcnt lgkmcnt(1)
	s_nop 0
	v_cndmask_b32_e64 v52, 0, v54, s[2:3]
	v_cmp_eq_u32_e64 s[2:3], 1, v56
	v_add_u16_e32 v51, v52, v51
	s_waitcnt lgkmcnt(0)
	v_cndmask_b32_e64 v52, v53, 1, s[2:3]
.LBB967_230:
	s_or_b64 exec, exec, s[52:53]
	v_and_b32_e32 v52, 0xff, v52
	v_and_b32_e32 v51, 0xffff, v51
	v_lshl_or_b32 v51, v52, 16, v51
	v_add_u32_e32 v52, -1, v34
	v_and_b32_e32 v53, 64, v34
	v_cmp_lt_i32_e64 s[2:3], v52, v53
	s_nop 1
	v_cndmask_b32_e64 v52, v52, v34, s[2:3]
	v_lshlrev_b32_e32 v52, 2, v52
	ds_bpermute_b32 v51, v52, v51
	s_and_saveexec_b64 s[2:3], s[0:1]
	s_cbranch_execz .LBB967_232
; %bb.231:
	v_cmp_eq_u32_e64 s[0:1], 0, v34
	v_and_b32_e32 v25, 0xff0000, v1
	v_mov_b32_e32 v50, 0
	s_waitcnt lgkmcnt(0)
	v_cndmask_b32_e64 v24, v51, v54, s[0:1]
	v_and_b32_e32 v24, 0xffff, v24
	v_cmp_eq_u32_e64 s[0:1], 0, v25
	;;#ASMSTART
	;;#ASMEND
	s_nop 1
	v_cndmask_b32_e64 v24, 0, v24, s[0:1]
	v_add_u32_e32 v1, v24, v1
	v_cndmask_b32_e64 v24, 0, v1, s[4:5]
	v_add_u16_e32 v24, v24, v18
	v_cndmask_b32_e64 v18, 0, v24, s[6:7]
	v_add_u16_e32 v25, v18, v19
	v_cndmask_b32_e64 v18, 0, v25, s[8:9]
	v_add_u16_e32 v26, v18, v20
	v_cndmask_b32_e64 v18, 0, v26, s[10:11]
	v_add_u16_e32 v27, v18, v21
	v_cndmask_b32_e64 v18, 0, v27, s[12:13]
	v_add_u16_e32 v28, v18, v38
	v_cndmask_b32_e64 v18, 0, v28, s[14:15]
	v_add_u16_e32 v29, v18, v2
	v_cndmask_b32_e64 v2, 0, v29, s[16:17]
	v_add_u16_e32 v31, v2, v3
	v_cndmask_b32_e64 v2, 0, v31, s[18:19]
	v_add_u16_e32 v30, v2, v4
	v_cndmask_b32_e64 v2, 0, v30, s[20:21]
	v_add_u16_e32 v32, v2, v5
	v_cndmask_b32_e64 v2, 0, v32, s[22:23]
	v_add_u16_e32 v33, v2, v6
	v_cndmask_b32_e64 v2, 0, v33, s[24:25]
	v_add_u16_e32 v35, v2, v7
	v_cndmask_b32_e64 v2, 0, v35, s[26:27]
	v_add_u16_e32 v36, v2, v8
	v_cndmask_b32_e64 v2, 0, v36, s[28:29]
	v_add_u16_e32 v37, v2, v9
	v_cndmask_b32_e64 v2, 0, v37, s[30:31]
	v_add_u16_e32 v40, v2, v39
	v_cndmask_b32_e64 v2, 0, v40, s[34:35]
	v_add_u16_e32 v42, v2, v10
	v_cndmask_b32_e64 v2, 0, v42, s[36:37]
	v_add_u16_e32 v41, v2, v11
	v_cndmask_b32_e64 v2, 0, v41, s[38:39]
	v_add_u16_e32 v43, v2, v12
	v_cndmask_b32_e64 v2, 0, v43, s[40:41]
	v_add_u16_e32 v44, v2, v13
	v_cndmask_b32_e64 v2, 0, v44, s[42:43]
	v_add_u16_e32 v45, v2, v14
	v_cndmask_b32_e64 v2, 0, v45, s[44:45]
	v_add_u16_e32 v46, v2, v15
	v_cndmask_b32_e64 v2, 0, v46, s[46:47]
	v_add_u16_e32 v47, v2, v16
	v_cndmask_b32_e64 v2, 0, v47, s[48:49]
	v_add_u16_e32 v48, v2, v17
	v_cndmask_b32_e64 v2, 0, v48, s[50:51]
	v_add_u16_e32 v49, v2, v23
.LBB967_232:
	s_or_b64 exec, exec, s[2:3]
	s_and_saveexec_b64 s[0:1], vcc
	s_cbranch_execz .LBB967_234
; %bb.233:
	v_mov_b32_e32 v4, 0
	ds_read_u8 v2, v4 offset:14
	ds_read_u16 v3, v4 offset:12
	s_waitcnt lgkmcnt(1)
	v_lshlrev_b32_e32 v2, 16, v2
	s_waitcnt lgkmcnt(0)
	v_or_b32_e32 v2, v2, v3
	v_mov_b32_e32 v3, 2
	global_store_dwordx2 v4, v[2:3], s[64:65] offset:512 sc1
.LBB967_234:
	s_or_b64 exec, exec, s[0:1]
	v_lshl_or_b32 v50, v50, 16, v1
.LBB967_235:
	s_waitcnt lgkmcnt(0)
	s_add_u32 s0, s62, s68
	s_addc_u32 s1, s63, s69
	s_add_u32 s0, s0, s60
	s_addc_u32 s1, s1, s61
	s_and_b64 vcc, exec, s[54:55]
	v_mul_u32_u24_e32 v4, 24, v0
	s_cbranch_vccz .LBB967_285
; %bb.236:
	s_add_i32 s33, s33, s66
	v_cmp_le_u32_e32 vcc, s33, v4
	v_or_b32_e32 v8, 1, v4
	v_or_b32_e32 v7, 2, v4
	;; [unrolled: 1-line block ×7, first 2 shown]
	s_and_saveexec_b64 s[2:3], vcc
	s_xor_b64 s[2:3], exec, s[2:3]
; %bb.237:
	v_or_b32_e32 v8, 1, v4
	v_or_b32_e32 v7, 2, v4
	;; [unrolled: 1-line block ×7, first 2 shown]
; %bb.238:
	s_andn2_saveexec_b64 s[2:3], s[2:3]
	s_or_b64 exec, exec, s[2:3]
	v_lshlrev_b32_e32 v39, 1, v4
	v_lshlrev_b32_e32 v8, 1, v8
	;; [unrolled: 1-line block ×4, first 2 shown]
	s_mov_b32 s2, 0x5040100
	s_barrier
	ds_write_b16 v39, v50
	ds_write_b16 v8, v24
	;; [unrolled: 1-line block ×4, first 2 shown]
	v_lshlrev_b32_e32 v5, 1, v5
	v_lshlrev_b32_e32 v3, 1, v3
	;; [unrolled: 1-line block ×4, first 2 shown]
	v_perm_b32 v9, v42, v40, s2
	v_perm_b32 v8, v37, v36, s2
	s_waitcnt vmcnt(0)
	v_perm_b32 v7, v35, v33, s2
	v_perm_b32 v6, v32, v30, s2
	ds_write_b16 v5, v27
	ds_write_b16 v3, v28
	ds_write_b16 v2, v29
	ds_write_b16 v1, v31
	ds_write_b128 v39, v[6:9] offset:16
	v_perm_b32 v9, v49, v48, s2
	v_perm_b32 v8, v47, v46, s2
	;; [unrolled: 1-line block ×4, first 2 shown]
	s_movk_i32 s2, 0xffd2
	v_mad_i32_i24 v2, v0, s2, v39
	ds_write_b128 v39, v[6:9] offset:32
	s_waitcnt lgkmcnt(0)
	s_barrier
	ds_read_u16 v53, v2 offset:512
	ds_read_u16 v52, v2 offset:1024
	ds_read_u16 v51, v2 offset:1536
	ds_read_u16 v38, v2 offset:2048
	ds_read_u16 v34, v2 offset:2560
	ds_read_u16 v21, v2 offset:3072
	ds_read_u16 v20, v2 offset:3584
	ds_read_u16 v19, v2 offset:4096
	ds_read_u16 v18, v2 offset:4608
	ds_read_u16 v17, v2 offset:5120
	ds_read_u16 v16, v2 offset:5632
	ds_read_u16 v15, v2 offset:6144
	ds_read_u16 v14, v2 offset:6656
	ds_read_u16 v13, v2 offset:7168
	ds_read_u16 v12, v2 offset:7680
	ds_read_u16 v11, v2 offset:8192
	ds_read_u16 v10, v2 offset:8704
	ds_read_u16 v9, v2 offset:9216
	ds_read_u16 v8, v2 offset:9728
	ds_read_u16 v7, v2 offset:10240
	ds_read_u16 v6, v2 offset:10752
	ds_read_u16 v1, v2 offset:11264
	ds_read_u16 v5, v2 offset:11776
	v_mov_b32_e32 v23, 0
	v_lshl_add_u64 v[2:3], s[0:1], 0, v[22:23]
	v_cmp_gt_u32_e32 vcc, s33, v0
	s_and_saveexec_b64 s[2:3], vcc
	s_cbranch_execz .LBB967_240
; %bb.239:
	v_mul_i32_i24_e32 v54, 0xffffffd2, v0
	v_add_u32_e32 v39, v39, v54
	ds_read_u16 v39, v39
	s_waitcnt lgkmcnt(0)
	flat_store_short v[2:3], v39
.LBB967_240:
	s_or_b64 exec, exec, s[2:3]
	v_or_b32_e32 v39, 0x100, v0
	v_cmp_gt_u32_e32 vcc, s33, v39
	s_and_saveexec_b64 s[2:3], vcc
	s_cbranch_execz .LBB967_242
; %bb.241:
	s_waitcnt lgkmcnt(0)
	flat_store_short v[2:3], v53 offset:512
.LBB967_242:
	s_or_b64 exec, exec, s[2:3]
	v_or_b32_e32 v39, 0x200, v0
	v_cmp_gt_u32_e32 vcc, s33, v39
	s_and_saveexec_b64 s[2:3], vcc
	s_cbranch_execz .LBB967_244
; %bb.243:
	s_waitcnt lgkmcnt(0)
	flat_store_short v[2:3], v52 offset:1024
.LBB967_244:
	;; [unrolled: 9-line block ×4, first 2 shown]
	s_or_b64 exec, exec, s[2:3]
	s_waitcnt lgkmcnt(0)
	v_or_b32_e32 v38, 0x500, v0
	v_cmp_gt_u32_e32 vcc, s33, v38
	s_and_saveexec_b64 s[2:3], vcc
	s_cbranch_execz .LBB967_250
; %bb.249:
	flat_store_short v[2:3], v34 offset:2560
.LBB967_250:
	s_or_b64 exec, exec, s[2:3]
	v_or_b32_e32 v34, 0x600, v0
	v_cmp_gt_u32_e32 vcc, s33, v34
	s_and_saveexec_b64 s[2:3], vcc
	s_cbranch_execz .LBB967_252
; %bb.251:
	flat_store_short v[2:3], v21 offset:3072
.LBB967_252:
	s_or_b64 exec, exec, s[2:3]
	;; [unrolled: 8-line block ×3, first 2 shown]
	v_or_b32_e32 v20, 0x800, v0
	v_cmp_gt_u32_e32 vcc, s33, v20
	s_and_saveexec_b64 s[2:3], vcc
	s_cbranch_execz .LBB967_256
; %bb.255:
	v_add_co_u32_e32 v20, vcc, 0x1000, v2
	s_nop 1
	v_addc_co_u32_e32 v21, vcc, 0, v3, vcc
	flat_store_short v[20:21], v19
.LBB967_256:
	s_or_b64 exec, exec, s[2:3]
	v_or_b32_e32 v19, 0x900, v0
	v_cmp_gt_u32_e32 vcc, s33, v19
	s_and_saveexec_b64 s[2:3], vcc
	s_cbranch_execz .LBB967_258
; %bb.257:
	v_add_co_u32_e32 v20, vcc, 0x1000, v2
	s_nop 1
	v_addc_co_u32_e32 v21, vcc, 0, v3, vcc
	flat_store_short v[20:21], v18 offset:512
.LBB967_258:
	s_or_b64 exec, exec, s[2:3]
	v_or_b32_e32 v18, 0xa00, v0
	v_cmp_gt_u32_e32 vcc, s33, v18
	s_and_saveexec_b64 s[2:3], vcc
	s_cbranch_execz .LBB967_260
; %bb.259:
	v_add_co_u32_e32 v18, vcc, 0x1000, v2
	s_nop 1
	v_addc_co_u32_e32 v19, vcc, 0, v3, vcc
	flat_store_short v[18:19], v17 offset:1024
.LBB967_260:
	;; [unrolled: 11-line block ×7, first 2 shown]
	s_or_b64 exec, exec, s[2:3]
	v_or_b32_e32 v12, 0x1000, v0
	v_cmp_gt_u32_e32 vcc, s33, v12
	s_and_saveexec_b64 s[2:3], vcc
	s_cbranch_execz .LBB967_272
; %bb.271:
	v_add_co_u32_e32 v12, vcc, 0x2000, v2
	s_nop 1
	v_addc_co_u32_e32 v13, vcc, 0, v3, vcc
	flat_store_short v[12:13], v11
.LBB967_272:
	s_or_b64 exec, exec, s[2:3]
	v_or_b32_e32 v11, 0x1100, v0
	v_cmp_gt_u32_e32 vcc, s33, v11
	s_and_saveexec_b64 s[2:3], vcc
	s_cbranch_execz .LBB967_274
; %bb.273:
	v_add_co_u32_e32 v12, vcc, 0x2000, v2
	s_nop 1
	v_addc_co_u32_e32 v13, vcc, 0, v3, vcc
	flat_store_short v[12:13], v10 offset:512
.LBB967_274:
	s_or_b64 exec, exec, s[2:3]
	v_or_b32_e32 v10, 0x1200, v0
	v_cmp_gt_u32_e32 vcc, s33, v10
	s_and_saveexec_b64 s[2:3], vcc
	s_cbranch_execz .LBB967_276
; %bb.275:
	v_add_co_u32_e32 v10, vcc, 0x2000, v2
	s_nop 1
	v_addc_co_u32_e32 v11, vcc, 0, v3, vcc
	flat_store_short v[10:11], v9 offset:1024
.LBB967_276:
	;; [unrolled: 11-line block ×6, first 2 shown]
	s_or_b64 exec, exec, s[2:3]
	v_or_b32_e32 v2, 0x1700, v0
	v_mov_b32_e32 v1, v23
	v_cmp_gt_u32_e64 s[2:3], s33, v2
	s_branch .LBB967_287
.LBB967_285:
	s_mov_b64 s[2:3], 0
                                        ; implicit-def: $vgpr5
	s_cbranch_execz .LBB967_287
; %bb.286:
	s_mov_b32 s4, 0x5040100
	v_lshlrev_b32_e32 v6, 1, v4
	v_perm_b32 v5, v31, v29, s4
	v_perm_b32 v4, v28, v27, s4
	v_perm_b32 v3, v26, v25, s4
	v_perm_b32 v2, v24, v50, s4
	s_waitcnt lgkmcnt(0)
	s_barrier
	ds_write_b128 v6, v[2:5]
	v_perm_b32 v5, v42, v40, s4
	v_perm_b32 v4, v37, v36, s4
	s_waitcnt vmcnt(0)
	v_perm_b32 v3, v35, v33, s4
	v_perm_b32 v2, v32, v30, s4
	ds_write_b128 v6, v[2:5] offset:16
	v_perm_b32 v4, v47, v46, s4
	v_perm_b32 v3, v45, v44, s4
	;; [unrolled: 1-line block ×4, first 2 shown]
	v_mov_b32_e32 v1, 0
	s_movk_i32 s4, 0xffd2
	ds_write_b128 v6, v[2:5] offset:32
	v_mad_i32_i24 v2, v0, s4, v6
	v_mov_b32_e32 v23, v1
	s_waitcnt lgkmcnt(0)
	s_barrier
	ds_read_u16 v4, v2
	ds_read_u16 v6, v2 offset:512
	ds_read_u16 v7, v2 offset:1024
	;; [unrolled: 1-line block ×23, first 2 shown]
	v_lshl_add_u64 v[2:3], s[0:1], 0, v[22:23]
	s_movk_i32 s4, 0x1000
	s_waitcnt lgkmcnt(14)
	flat_store_short v[2:3], v4
	flat_store_short v[2:3], v6 offset:512
	flat_store_short v[2:3], v7 offset:1024
	flat_store_short v[2:3], v8 offset:1536
	flat_store_short v[2:3], v9 offset:2048
	flat_store_short v[2:3], v10 offset:2560
	flat_store_short v[2:3], v11 offset:3072
	flat_store_short v[2:3], v12 offset:3584
	v_add_co_u32_e32 v6, vcc, s4, v2
	s_or_b64 s[2:3], s[2:3], exec
	s_nop 0
	v_addc_co_u32_e32 v7, vcc, 0, v3, vcc
	v_add_co_u32_e32 v2, vcc, 0x2000, v2
	flat_store_short v[6:7], v13
	flat_store_short v[6:7], v14 offset:512
	s_waitcnt lgkmcnt(0)
	flat_store_short v[6:7], v15 offset:1024
	flat_store_short v[6:7], v16 offset:1536
	;; [unrolled: 1-line block ×6, first 2 shown]
	v_addc_co_u32_e32 v3, vcc, 0, v3, vcc
	flat_store_short v[2:3], v21
	flat_store_short v[2:3], v24 offset:512
	flat_store_short v[2:3], v25 offset:1024
	;; [unrolled: 1-line block ×6, first 2 shown]
.LBB967_287:
	s_and_saveexec_b64 s[4:5], s[2:3]
	s_cbranch_execnz .LBB967_289
; %bb.288:
	s_endpgm
.LBB967_289:
	v_lshl_add_u64 v[0:1], v[0:1], 1, s[0:1]
	v_add_co_u32_e32 v0, vcc, 0x2000, v0
	s_nop 1
	v_addc_co_u32_e32 v1, vcc, 0, v1, vcc
	flat_store_short v[0:1], v5 offset:3584
	s_endpgm
.LBB967_290:
	global_load_ushort v1, v3, s[72:73]
	s_waitcnt vmcnt(0)
	v_sub_u16_e32 v1, 0, v1
	s_or_b64 exec, exec, s[56:57]
                                        ; implicit-def: $vgpr5
	s_and_saveexec_b64 s[4:5], s[6:7]
	s_cbranch_execz .LBB967_57
.LBB967_291:
	global_load_ushort v5, v3, s[72:73] offset:512
	s_waitcnt vmcnt(0)
	v_sub_u16_e32 v5, 0, v5
	s_or_b64 exec, exec, s[4:5]
                                        ; implicit-def: $vgpr7
	s_and_saveexec_b64 s[4:5], s[8:9]
	s_cbranch_execz .LBB967_58
.LBB967_292:
	global_load_ushort v7, v3, s[72:73] offset:1024
	s_waitcnt vmcnt(0)
	v_sub_u16_e32 v7, 0, v7
	s_or_b64 exec, exec, s[4:5]
                                        ; implicit-def: $vgpr9
	s_and_saveexec_b64 s[4:5], s[10:11]
	s_cbranch_execz .LBB967_59
.LBB967_293:
	global_load_ushort v9, v3, s[72:73] offset:1536
	s_waitcnt vmcnt(0)
	v_sub_u16_e32 v9, 0, v9
	s_or_b64 exec, exec, s[4:5]
                                        ; implicit-def: $vgpr11
	s_and_saveexec_b64 s[4:5], s[12:13]
	s_cbranch_execz .LBB967_60
.LBB967_294:
	global_load_ushort v11, v3, s[72:73] offset:2048
	s_waitcnt vmcnt(0)
	v_sub_u16_e32 v11, 0, v11
	s_or_b64 exec, exec, s[4:5]
                                        ; implicit-def: $vgpr13
	s_and_saveexec_b64 s[4:5], s[14:15]
	s_cbranch_execz .LBB967_61
.LBB967_295:
	global_load_ushort v13, v3, s[72:73] offset:2560
	s_waitcnt vmcnt(0)
	v_sub_u16_e32 v13, 0, v13
	s_or_b64 exec, exec, s[4:5]
                                        ; implicit-def: $vgpr15
	s_and_saveexec_b64 s[4:5], s[16:17]
	s_cbranch_execz .LBB967_62
.LBB967_296:
	global_load_ushort v15, v3, s[72:73] offset:3072
	s_waitcnt vmcnt(0)
	v_sub_u16_e32 v15, 0, v15
	s_or_b64 exec, exec, s[4:5]
                                        ; implicit-def: $vgpr17
	s_and_saveexec_b64 s[4:5], s[18:19]
	s_cbranch_execz .LBB967_63
.LBB967_297:
	global_load_ushort v17, v3, s[72:73] offset:3584
	s_waitcnt vmcnt(0)
	v_sub_u16_e32 v17, 0, v17
	s_or_b64 exec, exec, s[4:5]
                                        ; implicit-def: $vgpr19
	s_and_saveexec_b64 s[4:5], s[20:21]
	s_cbranch_execz .LBB967_64
.LBB967_298:
	global_load_ushort v2, v2, s[72:73]
	s_waitcnt vmcnt(0)
	v_sub_u16_e32 v19, 0, v2
	s_or_b64 exec, exec, s[4:5]
                                        ; implicit-def: $vgpr2
	s_and_saveexec_b64 s[4:5], s[22:23]
	s_cbranch_execz .LBB967_65
.LBB967_299:
	global_load_ushort v2, v4, s[72:73]
	s_waitcnt vmcnt(0)
	v_sub_u16_e32 v2, 0, v2
	s_or_b64 exec, exec, s[4:5]
                                        ; implicit-def: $vgpr4
	s_and_saveexec_b64 s[4:5], s[24:25]
	s_cbranch_execz .LBB967_66
.LBB967_300:
	global_load_ushort v4, v6, s[72:73]
	s_waitcnt vmcnt(0)
	v_sub_u16_e32 v4, 0, v4
	s_or_b64 exec, exec, s[4:5]
                                        ; implicit-def: $vgpr6
	s_and_saveexec_b64 s[4:5], s[26:27]
	s_cbranch_execz .LBB967_67
.LBB967_301:
	global_load_ushort v6, v8, s[72:73]
	s_waitcnt vmcnt(0)
	v_sub_u16_e32 v6, 0, v6
	s_or_b64 exec, exec, s[4:5]
                                        ; implicit-def: $vgpr8
	s_and_saveexec_b64 s[4:5], s[28:29]
	s_cbranch_execz .LBB967_68
.LBB967_302:
	global_load_ushort v8, v10, s[72:73]
	s_waitcnt vmcnt(0)
	v_sub_u16_e32 v8, 0, v8
	s_or_b64 exec, exec, s[4:5]
                                        ; implicit-def: $vgpr10
	s_and_saveexec_b64 s[4:5], s[30:31]
	s_cbranch_execz .LBB967_69
.LBB967_303:
	global_load_ushort v10, v12, s[72:73]
	s_waitcnt vmcnt(0)
	v_sub_u16_e32 v10, 0, v10
	s_or_b64 exec, exec, s[4:5]
                                        ; implicit-def: $vgpr12
	s_and_saveexec_b64 s[4:5], s[34:35]
	s_cbranch_execz .LBB967_70
.LBB967_304:
	global_load_ushort v12, v14, s[72:73]
	s_waitcnt vmcnt(0)
	v_sub_u16_e32 v12, 0, v12
	s_or_b64 exec, exec, s[4:5]
                                        ; implicit-def: $vgpr14
	s_and_saveexec_b64 s[4:5], s[36:37]
	s_cbranch_execz .LBB967_71
.LBB967_305:
	global_load_ushort v14, v16, s[72:73]
	s_waitcnt vmcnt(0)
	v_sub_u16_e32 v14, 0, v14
	s_or_b64 exec, exec, s[4:5]
                                        ; implicit-def: $vgpr16
	s_and_saveexec_b64 s[4:5], s[38:39]
	s_cbranch_execz .LBB967_72
.LBB967_306:
	global_load_ushort v16, v18, s[72:73]
	s_waitcnt vmcnt(0)
	v_sub_u16_e32 v16, 0, v16
	s_or_b64 exec, exec, s[4:5]
                                        ; implicit-def: $vgpr18
	s_and_saveexec_b64 s[4:5], s[40:41]
	s_cbranch_execz .LBB967_73
.LBB967_307:
	global_load_ushort v18, v20, s[72:73]
	s_waitcnt vmcnt(0)
	v_sub_u16_e32 v18, 0, v18
	s_or_b64 exec, exec, s[4:5]
                                        ; implicit-def: $vgpr20
	s_and_saveexec_b64 s[4:5], s[42:43]
	s_cbranch_execz .LBB967_74
.LBB967_308:
	global_load_ushort v20, v34, s[72:73]
	s_waitcnt vmcnt(0)
	v_sub_u16_e32 v20, 0, v20
	s_or_b64 exec, exec, s[4:5]
                                        ; implicit-def: $vgpr21
	s_and_saveexec_b64 s[4:5], s[44:45]
	s_cbranch_execz .LBB967_75
.LBB967_309:
	global_load_ushort v21, v36, s[72:73]
	s_waitcnt vmcnt(0)
	v_sub_u16_e32 v21, 0, v21
	s_or_b64 exec, exec, s[4:5]
                                        ; implicit-def: $vgpr34
	s_and_saveexec_b64 s[4:5], s[46:47]
	s_cbranch_execz .LBB967_76
.LBB967_310:
	global_load_ushort v34, v38, s[72:73]
	s_waitcnt vmcnt(0)
	v_sub_u16_e32 v34, 0, v34
	s_or_b64 exec, exec, s[4:5]
                                        ; implicit-def: $vgpr36
	s_and_saveexec_b64 s[4:5], s[48:49]
	s_cbranch_execz .LBB967_77
.LBB967_311:
	global_load_ushort v36, v40, s[72:73]
	s_waitcnt vmcnt(0)
	v_sub_u16_e32 v36, 0, v36
	s_or_b64 exec, exec, s[4:5]
                                        ; implicit-def: $vgpr37
	s_and_saveexec_b64 s[4:5], s[50:51]
	s_cbranch_execz .LBB967_78
.LBB967_312:
	global_load_ushort v37, v42, s[72:73]
	s_waitcnt vmcnt(0)
	v_sub_u16_e32 v37, 0, v37
	s_or_b64 exec, exec, s[4:5]
                                        ; implicit-def: $vgpr38
	s_and_saveexec_b64 s[4:5], s[52:53]
	s_cbranch_execnz .LBB967_79
	s_branch .LBB967_80
.LBB967_313:
                                        ; implicit-def: $sgpr56_sgpr57
	s_branch .LBB967_52
.LBB967_314:
                                        ; implicit-def: $sgpr4_sgpr5
	s_branch .LBB967_131
	.section	.rodata,"a",@progbits
	.p2align	6, 0x0
	.amdhsa_kernel _ZN7rocprim17ROCPRIM_400000_NS6detail17trampoline_kernelINS0_14default_configENS1_27scan_by_key_config_selectorIssEEZZNS1_16scan_by_key_implILNS1_25lookback_scan_determinismE0ELb0ES3_N6thrust23THRUST_200600_302600_NS6detail15normal_iteratorINS9_10device_ptrIsEEEENS9_18transform_iteratorINS9_6negateIsEESE_NS9_11use_defaultESI_EESE_sNS9_4plusIvEENS9_8equal_toIvEEsEE10hipError_tPvRmT2_T3_T4_T5_mT6_T7_P12ihipStream_tbENKUlT_T0_E_clISt17integral_constantIbLb0EES14_EEDaSZ_S10_EUlSZ_E_NS1_11comp_targetILNS1_3genE5ELNS1_11target_archE942ELNS1_3gpuE9ELNS1_3repE0EEENS1_30default_config_static_selectorELNS0_4arch9wavefront6targetE1EEEvT1_
		.amdhsa_group_segment_fixed_size 13312
		.amdhsa_private_segment_fixed_size 0
		.amdhsa_kernarg_size 120
		.amdhsa_user_sgpr_count 2
		.amdhsa_user_sgpr_dispatch_ptr 0
		.amdhsa_user_sgpr_queue_ptr 0
		.amdhsa_user_sgpr_kernarg_segment_ptr 1
		.amdhsa_user_sgpr_dispatch_id 0
		.amdhsa_user_sgpr_kernarg_preload_length 0
		.amdhsa_user_sgpr_kernarg_preload_offset 0
		.amdhsa_user_sgpr_private_segment_size 0
		.amdhsa_uses_dynamic_stack 0
		.amdhsa_enable_private_segment 0
		.amdhsa_system_sgpr_workgroup_id_x 1
		.amdhsa_system_sgpr_workgroup_id_y 0
		.amdhsa_system_sgpr_workgroup_id_z 0
		.amdhsa_system_sgpr_workgroup_info 0
		.amdhsa_system_vgpr_workitem_id 0
		.amdhsa_next_free_vgpr 63
		.amdhsa_next_free_sgpr 88
		.amdhsa_accum_offset 64
		.amdhsa_reserve_vcc 1
		.amdhsa_float_round_mode_32 0
		.amdhsa_float_round_mode_16_64 0
		.amdhsa_float_denorm_mode_32 3
		.amdhsa_float_denorm_mode_16_64 3
		.amdhsa_dx10_clamp 1
		.amdhsa_ieee_mode 1
		.amdhsa_fp16_overflow 0
		.amdhsa_tg_split 0
		.amdhsa_exception_fp_ieee_invalid_op 0
		.amdhsa_exception_fp_denorm_src 0
		.amdhsa_exception_fp_ieee_div_zero 0
		.amdhsa_exception_fp_ieee_overflow 0
		.amdhsa_exception_fp_ieee_underflow 0
		.amdhsa_exception_fp_ieee_inexact 0
		.amdhsa_exception_int_div_zero 0
	.end_amdhsa_kernel
	.section	.text._ZN7rocprim17ROCPRIM_400000_NS6detail17trampoline_kernelINS0_14default_configENS1_27scan_by_key_config_selectorIssEEZZNS1_16scan_by_key_implILNS1_25lookback_scan_determinismE0ELb0ES3_N6thrust23THRUST_200600_302600_NS6detail15normal_iteratorINS9_10device_ptrIsEEEENS9_18transform_iteratorINS9_6negateIsEESE_NS9_11use_defaultESI_EESE_sNS9_4plusIvEENS9_8equal_toIvEEsEE10hipError_tPvRmT2_T3_T4_T5_mT6_T7_P12ihipStream_tbENKUlT_T0_E_clISt17integral_constantIbLb0EES14_EEDaSZ_S10_EUlSZ_E_NS1_11comp_targetILNS1_3genE5ELNS1_11target_archE942ELNS1_3gpuE9ELNS1_3repE0EEENS1_30default_config_static_selectorELNS0_4arch9wavefront6targetE1EEEvT1_,"axG",@progbits,_ZN7rocprim17ROCPRIM_400000_NS6detail17trampoline_kernelINS0_14default_configENS1_27scan_by_key_config_selectorIssEEZZNS1_16scan_by_key_implILNS1_25lookback_scan_determinismE0ELb0ES3_N6thrust23THRUST_200600_302600_NS6detail15normal_iteratorINS9_10device_ptrIsEEEENS9_18transform_iteratorINS9_6negateIsEESE_NS9_11use_defaultESI_EESE_sNS9_4plusIvEENS9_8equal_toIvEEsEE10hipError_tPvRmT2_T3_T4_T5_mT6_T7_P12ihipStream_tbENKUlT_T0_E_clISt17integral_constantIbLb0EES14_EEDaSZ_S10_EUlSZ_E_NS1_11comp_targetILNS1_3genE5ELNS1_11target_archE942ELNS1_3gpuE9ELNS1_3repE0EEENS1_30default_config_static_selectorELNS0_4arch9wavefront6targetE1EEEvT1_,comdat
.Lfunc_end967:
	.size	_ZN7rocprim17ROCPRIM_400000_NS6detail17trampoline_kernelINS0_14default_configENS1_27scan_by_key_config_selectorIssEEZZNS1_16scan_by_key_implILNS1_25lookback_scan_determinismE0ELb0ES3_N6thrust23THRUST_200600_302600_NS6detail15normal_iteratorINS9_10device_ptrIsEEEENS9_18transform_iteratorINS9_6negateIsEESE_NS9_11use_defaultESI_EESE_sNS9_4plusIvEENS9_8equal_toIvEEsEE10hipError_tPvRmT2_T3_T4_T5_mT6_T7_P12ihipStream_tbENKUlT_T0_E_clISt17integral_constantIbLb0EES14_EEDaSZ_S10_EUlSZ_E_NS1_11comp_targetILNS1_3genE5ELNS1_11target_archE942ELNS1_3gpuE9ELNS1_3repE0EEENS1_30default_config_static_selectorELNS0_4arch9wavefront6targetE1EEEvT1_, .Lfunc_end967-_ZN7rocprim17ROCPRIM_400000_NS6detail17trampoline_kernelINS0_14default_configENS1_27scan_by_key_config_selectorIssEEZZNS1_16scan_by_key_implILNS1_25lookback_scan_determinismE0ELb0ES3_N6thrust23THRUST_200600_302600_NS6detail15normal_iteratorINS9_10device_ptrIsEEEENS9_18transform_iteratorINS9_6negateIsEESE_NS9_11use_defaultESI_EESE_sNS9_4plusIvEENS9_8equal_toIvEEsEE10hipError_tPvRmT2_T3_T4_T5_mT6_T7_P12ihipStream_tbENKUlT_T0_E_clISt17integral_constantIbLb0EES14_EEDaSZ_S10_EUlSZ_E_NS1_11comp_targetILNS1_3genE5ELNS1_11target_archE942ELNS1_3gpuE9ELNS1_3repE0EEENS1_30default_config_static_selectorELNS0_4arch9wavefront6targetE1EEEvT1_
                                        ; -- End function
	.section	.AMDGPU.csdata,"",@progbits
; Kernel info:
; codeLenInByte = 16164
; NumSgprs: 94
; NumVgprs: 63
; NumAgprs: 0
; TotalNumVgprs: 63
; ScratchSize: 0
; MemoryBound: 0
; FloatMode: 240
; IeeeMode: 1
; LDSByteSize: 13312 bytes/workgroup (compile time only)
; SGPRBlocks: 11
; VGPRBlocks: 7
; NumSGPRsForWavesPerEU: 94
; NumVGPRsForWavesPerEU: 63
; AccumOffset: 64
; Occupancy: 4
; WaveLimiterHint : 1
; COMPUTE_PGM_RSRC2:SCRATCH_EN: 0
; COMPUTE_PGM_RSRC2:USER_SGPR: 2
; COMPUTE_PGM_RSRC2:TRAP_HANDLER: 0
; COMPUTE_PGM_RSRC2:TGID_X_EN: 1
; COMPUTE_PGM_RSRC2:TGID_Y_EN: 0
; COMPUTE_PGM_RSRC2:TGID_Z_EN: 0
; COMPUTE_PGM_RSRC2:TIDIG_COMP_CNT: 0
; COMPUTE_PGM_RSRC3_GFX90A:ACCUM_OFFSET: 15
; COMPUTE_PGM_RSRC3_GFX90A:TG_SPLIT: 0
	.section	.text._ZN7rocprim17ROCPRIM_400000_NS6detail17trampoline_kernelINS0_14default_configENS1_27scan_by_key_config_selectorIssEEZZNS1_16scan_by_key_implILNS1_25lookback_scan_determinismE0ELb0ES3_N6thrust23THRUST_200600_302600_NS6detail15normal_iteratorINS9_10device_ptrIsEEEENS9_18transform_iteratorINS9_6negateIsEESE_NS9_11use_defaultESI_EESE_sNS9_4plusIvEENS9_8equal_toIvEEsEE10hipError_tPvRmT2_T3_T4_T5_mT6_T7_P12ihipStream_tbENKUlT_T0_E_clISt17integral_constantIbLb0EES14_EEDaSZ_S10_EUlSZ_E_NS1_11comp_targetILNS1_3genE4ELNS1_11target_archE910ELNS1_3gpuE8ELNS1_3repE0EEENS1_30default_config_static_selectorELNS0_4arch9wavefront6targetE1EEEvT1_,"axG",@progbits,_ZN7rocprim17ROCPRIM_400000_NS6detail17trampoline_kernelINS0_14default_configENS1_27scan_by_key_config_selectorIssEEZZNS1_16scan_by_key_implILNS1_25lookback_scan_determinismE0ELb0ES3_N6thrust23THRUST_200600_302600_NS6detail15normal_iteratorINS9_10device_ptrIsEEEENS9_18transform_iteratorINS9_6negateIsEESE_NS9_11use_defaultESI_EESE_sNS9_4plusIvEENS9_8equal_toIvEEsEE10hipError_tPvRmT2_T3_T4_T5_mT6_T7_P12ihipStream_tbENKUlT_T0_E_clISt17integral_constantIbLb0EES14_EEDaSZ_S10_EUlSZ_E_NS1_11comp_targetILNS1_3genE4ELNS1_11target_archE910ELNS1_3gpuE8ELNS1_3repE0EEENS1_30default_config_static_selectorELNS0_4arch9wavefront6targetE1EEEvT1_,comdat
	.protected	_ZN7rocprim17ROCPRIM_400000_NS6detail17trampoline_kernelINS0_14default_configENS1_27scan_by_key_config_selectorIssEEZZNS1_16scan_by_key_implILNS1_25lookback_scan_determinismE0ELb0ES3_N6thrust23THRUST_200600_302600_NS6detail15normal_iteratorINS9_10device_ptrIsEEEENS9_18transform_iteratorINS9_6negateIsEESE_NS9_11use_defaultESI_EESE_sNS9_4plusIvEENS9_8equal_toIvEEsEE10hipError_tPvRmT2_T3_T4_T5_mT6_T7_P12ihipStream_tbENKUlT_T0_E_clISt17integral_constantIbLb0EES14_EEDaSZ_S10_EUlSZ_E_NS1_11comp_targetILNS1_3genE4ELNS1_11target_archE910ELNS1_3gpuE8ELNS1_3repE0EEENS1_30default_config_static_selectorELNS0_4arch9wavefront6targetE1EEEvT1_ ; -- Begin function _ZN7rocprim17ROCPRIM_400000_NS6detail17trampoline_kernelINS0_14default_configENS1_27scan_by_key_config_selectorIssEEZZNS1_16scan_by_key_implILNS1_25lookback_scan_determinismE0ELb0ES3_N6thrust23THRUST_200600_302600_NS6detail15normal_iteratorINS9_10device_ptrIsEEEENS9_18transform_iteratorINS9_6negateIsEESE_NS9_11use_defaultESI_EESE_sNS9_4plusIvEENS9_8equal_toIvEEsEE10hipError_tPvRmT2_T3_T4_T5_mT6_T7_P12ihipStream_tbENKUlT_T0_E_clISt17integral_constantIbLb0EES14_EEDaSZ_S10_EUlSZ_E_NS1_11comp_targetILNS1_3genE4ELNS1_11target_archE910ELNS1_3gpuE8ELNS1_3repE0EEENS1_30default_config_static_selectorELNS0_4arch9wavefront6targetE1EEEvT1_
	.globl	_ZN7rocprim17ROCPRIM_400000_NS6detail17trampoline_kernelINS0_14default_configENS1_27scan_by_key_config_selectorIssEEZZNS1_16scan_by_key_implILNS1_25lookback_scan_determinismE0ELb0ES3_N6thrust23THRUST_200600_302600_NS6detail15normal_iteratorINS9_10device_ptrIsEEEENS9_18transform_iteratorINS9_6negateIsEESE_NS9_11use_defaultESI_EESE_sNS9_4plusIvEENS9_8equal_toIvEEsEE10hipError_tPvRmT2_T3_T4_T5_mT6_T7_P12ihipStream_tbENKUlT_T0_E_clISt17integral_constantIbLb0EES14_EEDaSZ_S10_EUlSZ_E_NS1_11comp_targetILNS1_3genE4ELNS1_11target_archE910ELNS1_3gpuE8ELNS1_3repE0EEENS1_30default_config_static_selectorELNS0_4arch9wavefront6targetE1EEEvT1_
	.p2align	8
	.type	_ZN7rocprim17ROCPRIM_400000_NS6detail17trampoline_kernelINS0_14default_configENS1_27scan_by_key_config_selectorIssEEZZNS1_16scan_by_key_implILNS1_25lookback_scan_determinismE0ELb0ES3_N6thrust23THRUST_200600_302600_NS6detail15normal_iteratorINS9_10device_ptrIsEEEENS9_18transform_iteratorINS9_6negateIsEESE_NS9_11use_defaultESI_EESE_sNS9_4plusIvEENS9_8equal_toIvEEsEE10hipError_tPvRmT2_T3_T4_T5_mT6_T7_P12ihipStream_tbENKUlT_T0_E_clISt17integral_constantIbLb0EES14_EEDaSZ_S10_EUlSZ_E_NS1_11comp_targetILNS1_3genE4ELNS1_11target_archE910ELNS1_3gpuE8ELNS1_3repE0EEENS1_30default_config_static_selectorELNS0_4arch9wavefront6targetE1EEEvT1_,@function
_ZN7rocprim17ROCPRIM_400000_NS6detail17trampoline_kernelINS0_14default_configENS1_27scan_by_key_config_selectorIssEEZZNS1_16scan_by_key_implILNS1_25lookback_scan_determinismE0ELb0ES3_N6thrust23THRUST_200600_302600_NS6detail15normal_iteratorINS9_10device_ptrIsEEEENS9_18transform_iteratorINS9_6negateIsEESE_NS9_11use_defaultESI_EESE_sNS9_4plusIvEENS9_8equal_toIvEEsEE10hipError_tPvRmT2_T3_T4_T5_mT6_T7_P12ihipStream_tbENKUlT_T0_E_clISt17integral_constantIbLb0EES14_EEDaSZ_S10_EUlSZ_E_NS1_11comp_targetILNS1_3genE4ELNS1_11target_archE910ELNS1_3gpuE8ELNS1_3repE0EEENS1_30default_config_static_selectorELNS0_4arch9wavefront6targetE1EEEvT1_: ; @_ZN7rocprim17ROCPRIM_400000_NS6detail17trampoline_kernelINS0_14default_configENS1_27scan_by_key_config_selectorIssEEZZNS1_16scan_by_key_implILNS1_25lookback_scan_determinismE0ELb0ES3_N6thrust23THRUST_200600_302600_NS6detail15normal_iteratorINS9_10device_ptrIsEEEENS9_18transform_iteratorINS9_6negateIsEESE_NS9_11use_defaultESI_EESE_sNS9_4plusIvEENS9_8equal_toIvEEsEE10hipError_tPvRmT2_T3_T4_T5_mT6_T7_P12ihipStream_tbENKUlT_T0_E_clISt17integral_constantIbLb0EES14_EEDaSZ_S10_EUlSZ_E_NS1_11comp_targetILNS1_3genE4ELNS1_11target_archE910ELNS1_3gpuE8ELNS1_3repE0EEENS1_30default_config_static_selectorELNS0_4arch9wavefront6targetE1EEEvT1_
; %bb.0:
	.section	.rodata,"a",@progbits
	.p2align	6, 0x0
	.amdhsa_kernel _ZN7rocprim17ROCPRIM_400000_NS6detail17trampoline_kernelINS0_14default_configENS1_27scan_by_key_config_selectorIssEEZZNS1_16scan_by_key_implILNS1_25lookback_scan_determinismE0ELb0ES3_N6thrust23THRUST_200600_302600_NS6detail15normal_iteratorINS9_10device_ptrIsEEEENS9_18transform_iteratorINS9_6negateIsEESE_NS9_11use_defaultESI_EESE_sNS9_4plusIvEENS9_8equal_toIvEEsEE10hipError_tPvRmT2_T3_T4_T5_mT6_T7_P12ihipStream_tbENKUlT_T0_E_clISt17integral_constantIbLb0EES14_EEDaSZ_S10_EUlSZ_E_NS1_11comp_targetILNS1_3genE4ELNS1_11target_archE910ELNS1_3gpuE8ELNS1_3repE0EEENS1_30default_config_static_selectorELNS0_4arch9wavefront6targetE1EEEvT1_
		.amdhsa_group_segment_fixed_size 0
		.amdhsa_private_segment_fixed_size 0
		.amdhsa_kernarg_size 120
		.amdhsa_user_sgpr_count 2
		.amdhsa_user_sgpr_dispatch_ptr 0
		.amdhsa_user_sgpr_queue_ptr 0
		.amdhsa_user_sgpr_kernarg_segment_ptr 1
		.amdhsa_user_sgpr_dispatch_id 0
		.amdhsa_user_sgpr_kernarg_preload_length 0
		.amdhsa_user_sgpr_kernarg_preload_offset 0
		.amdhsa_user_sgpr_private_segment_size 0
		.amdhsa_uses_dynamic_stack 0
		.amdhsa_enable_private_segment 0
		.amdhsa_system_sgpr_workgroup_id_x 1
		.amdhsa_system_sgpr_workgroup_id_y 0
		.amdhsa_system_sgpr_workgroup_id_z 0
		.amdhsa_system_sgpr_workgroup_info 0
		.amdhsa_system_vgpr_workitem_id 0
		.amdhsa_next_free_vgpr 1
		.amdhsa_next_free_sgpr 0
		.amdhsa_accum_offset 4
		.amdhsa_reserve_vcc 0
		.amdhsa_float_round_mode_32 0
		.amdhsa_float_round_mode_16_64 0
		.amdhsa_float_denorm_mode_32 3
		.amdhsa_float_denorm_mode_16_64 3
		.amdhsa_dx10_clamp 1
		.amdhsa_ieee_mode 1
		.amdhsa_fp16_overflow 0
		.amdhsa_tg_split 0
		.amdhsa_exception_fp_ieee_invalid_op 0
		.amdhsa_exception_fp_denorm_src 0
		.amdhsa_exception_fp_ieee_div_zero 0
		.amdhsa_exception_fp_ieee_overflow 0
		.amdhsa_exception_fp_ieee_underflow 0
		.amdhsa_exception_fp_ieee_inexact 0
		.amdhsa_exception_int_div_zero 0
	.end_amdhsa_kernel
	.section	.text._ZN7rocprim17ROCPRIM_400000_NS6detail17trampoline_kernelINS0_14default_configENS1_27scan_by_key_config_selectorIssEEZZNS1_16scan_by_key_implILNS1_25lookback_scan_determinismE0ELb0ES3_N6thrust23THRUST_200600_302600_NS6detail15normal_iteratorINS9_10device_ptrIsEEEENS9_18transform_iteratorINS9_6negateIsEESE_NS9_11use_defaultESI_EESE_sNS9_4plusIvEENS9_8equal_toIvEEsEE10hipError_tPvRmT2_T3_T4_T5_mT6_T7_P12ihipStream_tbENKUlT_T0_E_clISt17integral_constantIbLb0EES14_EEDaSZ_S10_EUlSZ_E_NS1_11comp_targetILNS1_3genE4ELNS1_11target_archE910ELNS1_3gpuE8ELNS1_3repE0EEENS1_30default_config_static_selectorELNS0_4arch9wavefront6targetE1EEEvT1_,"axG",@progbits,_ZN7rocprim17ROCPRIM_400000_NS6detail17trampoline_kernelINS0_14default_configENS1_27scan_by_key_config_selectorIssEEZZNS1_16scan_by_key_implILNS1_25lookback_scan_determinismE0ELb0ES3_N6thrust23THRUST_200600_302600_NS6detail15normal_iteratorINS9_10device_ptrIsEEEENS9_18transform_iteratorINS9_6negateIsEESE_NS9_11use_defaultESI_EESE_sNS9_4plusIvEENS9_8equal_toIvEEsEE10hipError_tPvRmT2_T3_T4_T5_mT6_T7_P12ihipStream_tbENKUlT_T0_E_clISt17integral_constantIbLb0EES14_EEDaSZ_S10_EUlSZ_E_NS1_11comp_targetILNS1_3genE4ELNS1_11target_archE910ELNS1_3gpuE8ELNS1_3repE0EEENS1_30default_config_static_selectorELNS0_4arch9wavefront6targetE1EEEvT1_,comdat
.Lfunc_end968:
	.size	_ZN7rocprim17ROCPRIM_400000_NS6detail17trampoline_kernelINS0_14default_configENS1_27scan_by_key_config_selectorIssEEZZNS1_16scan_by_key_implILNS1_25lookback_scan_determinismE0ELb0ES3_N6thrust23THRUST_200600_302600_NS6detail15normal_iteratorINS9_10device_ptrIsEEEENS9_18transform_iteratorINS9_6negateIsEESE_NS9_11use_defaultESI_EESE_sNS9_4plusIvEENS9_8equal_toIvEEsEE10hipError_tPvRmT2_T3_T4_T5_mT6_T7_P12ihipStream_tbENKUlT_T0_E_clISt17integral_constantIbLb0EES14_EEDaSZ_S10_EUlSZ_E_NS1_11comp_targetILNS1_3genE4ELNS1_11target_archE910ELNS1_3gpuE8ELNS1_3repE0EEENS1_30default_config_static_selectorELNS0_4arch9wavefront6targetE1EEEvT1_, .Lfunc_end968-_ZN7rocprim17ROCPRIM_400000_NS6detail17trampoline_kernelINS0_14default_configENS1_27scan_by_key_config_selectorIssEEZZNS1_16scan_by_key_implILNS1_25lookback_scan_determinismE0ELb0ES3_N6thrust23THRUST_200600_302600_NS6detail15normal_iteratorINS9_10device_ptrIsEEEENS9_18transform_iteratorINS9_6negateIsEESE_NS9_11use_defaultESI_EESE_sNS9_4plusIvEENS9_8equal_toIvEEsEE10hipError_tPvRmT2_T3_T4_T5_mT6_T7_P12ihipStream_tbENKUlT_T0_E_clISt17integral_constantIbLb0EES14_EEDaSZ_S10_EUlSZ_E_NS1_11comp_targetILNS1_3genE4ELNS1_11target_archE910ELNS1_3gpuE8ELNS1_3repE0EEENS1_30default_config_static_selectorELNS0_4arch9wavefront6targetE1EEEvT1_
                                        ; -- End function
	.section	.AMDGPU.csdata,"",@progbits
; Kernel info:
; codeLenInByte = 0
; NumSgprs: 6
; NumVgprs: 0
; NumAgprs: 0
; TotalNumVgprs: 0
; ScratchSize: 0
; MemoryBound: 0
; FloatMode: 240
; IeeeMode: 1
; LDSByteSize: 0 bytes/workgroup (compile time only)
; SGPRBlocks: 0
; VGPRBlocks: 0
; NumSGPRsForWavesPerEU: 6
; NumVGPRsForWavesPerEU: 1
; AccumOffset: 4
; Occupancy: 8
; WaveLimiterHint : 0
; COMPUTE_PGM_RSRC2:SCRATCH_EN: 0
; COMPUTE_PGM_RSRC2:USER_SGPR: 2
; COMPUTE_PGM_RSRC2:TRAP_HANDLER: 0
; COMPUTE_PGM_RSRC2:TGID_X_EN: 1
; COMPUTE_PGM_RSRC2:TGID_Y_EN: 0
; COMPUTE_PGM_RSRC2:TGID_Z_EN: 0
; COMPUTE_PGM_RSRC2:TIDIG_COMP_CNT: 0
; COMPUTE_PGM_RSRC3_GFX90A:ACCUM_OFFSET: 0
; COMPUTE_PGM_RSRC3_GFX90A:TG_SPLIT: 0
	.section	.text._ZN7rocprim17ROCPRIM_400000_NS6detail17trampoline_kernelINS0_14default_configENS1_27scan_by_key_config_selectorIssEEZZNS1_16scan_by_key_implILNS1_25lookback_scan_determinismE0ELb0ES3_N6thrust23THRUST_200600_302600_NS6detail15normal_iteratorINS9_10device_ptrIsEEEENS9_18transform_iteratorINS9_6negateIsEESE_NS9_11use_defaultESI_EESE_sNS9_4plusIvEENS9_8equal_toIvEEsEE10hipError_tPvRmT2_T3_T4_T5_mT6_T7_P12ihipStream_tbENKUlT_T0_E_clISt17integral_constantIbLb0EES14_EEDaSZ_S10_EUlSZ_E_NS1_11comp_targetILNS1_3genE3ELNS1_11target_archE908ELNS1_3gpuE7ELNS1_3repE0EEENS1_30default_config_static_selectorELNS0_4arch9wavefront6targetE1EEEvT1_,"axG",@progbits,_ZN7rocprim17ROCPRIM_400000_NS6detail17trampoline_kernelINS0_14default_configENS1_27scan_by_key_config_selectorIssEEZZNS1_16scan_by_key_implILNS1_25lookback_scan_determinismE0ELb0ES3_N6thrust23THRUST_200600_302600_NS6detail15normal_iteratorINS9_10device_ptrIsEEEENS9_18transform_iteratorINS9_6negateIsEESE_NS9_11use_defaultESI_EESE_sNS9_4plusIvEENS9_8equal_toIvEEsEE10hipError_tPvRmT2_T3_T4_T5_mT6_T7_P12ihipStream_tbENKUlT_T0_E_clISt17integral_constantIbLb0EES14_EEDaSZ_S10_EUlSZ_E_NS1_11comp_targetILNS1_3genE3ELNS1_11target_archE908ELNS1_3gpuE7ELNS1_3repE0EEENS1_30default_config_static_selectorELNS0_4arch9wavefront6targetE1EEEvT1_,comdat
	.protected	_ZN7rocprim17ROCPRIM_400000_NS6detail17trampoline_kernelINS0_14default_configENS1_27scan_by_key_config_selectorIssEEZZNS1_16scan_by_key_implILNS1_25lookback_scan_determinismE0ELb0ES3_N6thrust23THRUST_200600_302600_NS6detail15normal_iteratorINS9_10device_ptrIsEEEENS9_18transform_iteratorINS9_6negateIsEESE_NS9_11use_defaultESI_EESE_sNS9_4plusIvEENS9_8equal_toIvEEsEE10hipError_tPvRmT2_T3_T4_T5_mT6_T7_P12ihipStream_tbENKUlT_T0_E_clISt17integral_constantIbLb0EES14_EEDaSZ_S10_EUlSZ_E_NS1_11comp_targetILNS1_3genE3ELNS1_11target_archE908ELNS1_3gpuE7ELNS1_3repE0EEENS1_30default_config_static_selectorELNS0_4arch9wavefront6targetE1EEEvT1_ ; -- Begin function _ZN7rocprim17ROCPRIM_400000_NS6detail17trampoline_kernelINS0_14default_configENS1_27scan_by_key_config_selectorIssEEZZNS1_16scan_by_key_implILNS1_25lookback_scan_determinismE0ELb0ES3_N6thrust23THRUST_200600_302600_NS6detail15normal_iteratorINS9_10device_ptrIsEEEENS9_18transform_iteratorINS9_6negateIsEESE_NS9_11use_defaultESI_EESE_sNS9_4plusIvEENS9_8equal_toIvEEsEE10hipError_tPvRmT2_T3_T4_T5_mT6_T7_P12ihipStream_tbENKUlT_T0_E_clISt17integral_constantIbLb0EES14_EEDaSZ_S10_EUlSZ_E_NS1_11comp_targetILNS1_3genE3ELNS1_11target_archE908ELNS1_3gpuE7ELNS1_3repE0EEENS1_30default_config_static_selectorELNS0_4arch9wavefront6targetE1EEEvT1_
	.globl	_ZN7rocprim17ROCPRIM_400000_NS6detail17trampoline_kernelINS0_14default_configENS1_27scan_by_key_config_selectorIssEEZZNS1_16scan_by_key_implILNS1_25lookback_scan_determinismE0ELb0ES3_N6thrust23THRUST_200600_302600_NS6detail15normal_iteratorINS9_10device_ptrIsEEEENS9_18transform_iteratorINS9_6negateIsEESE_NS9_11use_defaultESI_EESE_sNS9_4plusIvEENS9_8equal_toIvEEsEE10hipError_tPvRmT2_T3_T4_T5_mT6_T7_P12ihipStream_tbENKUlT_T0_E_clISt17integral_constantIbLb0EES14_EEDaSZ_S10_EUlSZ_E_NS1_11comp_targetILNS1_3genE3ELNS1_11target_archE908ELNS1_3gpuE7ELNS1_3repE0EEENS1_30default_config_static_selectorELNS0_4arch9wavefront6targetE1EEEvT1_
	.p2align	8
	.type	_ZN7rocprim17ROCPRIM_400000_NS6detail17trampoline_kernelINS0_14default_configENS1_27scan_by_key_config_selectorIssEEZZNS1_16scan_by_key_implILNS1_25lookback_scan_determinismE0ELb0ES3_N6thrust23THRUST_200600_302600_NS6detail15normal_iteratorINS9_10device_ptrIsEEEENS9_18transform_iteratorINS9_6negateIsEESE_NS9_11use_defaultESI_EESE_sNS9_4plusIvEENS9_8equal_toIvEEsEE10hipError_tPvRmT2_T3_T4_T5_mT6_T7_P12ihipStream_tbENKUlT_T0_E_clISt17integral_constantIbLb0EES14_EEDaSZ_S10_EUlSZ_E_NS1_11comp_targetILNS1_3genE3ELNS1_11target_archE908ELNS1_3gpuE7ELNS1_3repE0EEENS1_30default_config_static_selectorELNS0_4arch9wavefront6targetE1EEEvT1_,@function
_ZN7rocprim17ROCPRIM_400000_NS6detail17trampoline_kernelINS0_14default_configENS1_27scan_by_key_config_selectorIssEEZZNS1_16scan_by_key_implILNS1_25lookback_scan_determinismE0ELb0ES3_N6thrust23THRUST_200600_302600_NS6detail15normal_iteratorINS9_10device_ptrIsEEEENS9_18transform_iteratorINS9_6negateIsEESE_NS9_11use_defaultESI_EESE_sNS9_4plusIvEENS9_8equal_toIvEEsEE10hipError_tPvRmT2_T3_T4_T5_mT6_T7_P12ihipStream_tbENKUlT_T0_E_clISt17integral_constantIbLb0EES14_EEDaSZ_S10_EUlSZ_E_NS1_11comp_targetILNS1_3genE3ELNS1_11target_archE908ELNS1_3gpuE7ELNS1_3repE0EEENS1_30default_config_static_selectorELNS0_4arch9wavefront6targetE1EEEvT1_: ; @_ZN7rocprim17ROCPRIM_400000_NS6detail17trampoline_kernelINS0_14default_configENS1_27scan_by_key_config_selectorIssEEZZNS1_16scan_by_key_implILNS1_25lookback_scan_determinismE0ELb0ES3_N6thrust23THRUST_200600_302600_NS6detail15normal_iteratorINS9_10device_ptrIsEEEENS9_18transform_iteratorINS9_6negateIsEESE_NS9_11use_defaultESI_EESE_sNS9_4plusIvEENS9_8equal_toIvEEsEE10hipError_tPvRmT2_T3_T4_T5_mT6_T7_P12ihipStream_tbENKUlT_T0_E_clISt17integral_constantIbLb0EES14_EEDaSZ_S10_EUlSZ_E_NS1_11comp_targetILNS1_3genE3ELNS1_11target_archE908ELNS1_3gpuE7ELNS1_3repE0EEENS1_30default_config_static_selectorELNS0_4arch9wavefront6targetE1EEEvT1_
; %bb.0:
	.section	.rodata,"a",@progbits
	.p2align	6, 0x0
	.amdhsa_kernel _ZN7rocprim17ROCPRIM_400000_NS6detail17trampoline_kernelINS0_14default_configENS1_27scan_by_key_config_selectorIssEEZZNS1_16scan_by_key_implILNS1_25lookback_scan_determinismE0ELb0ES3_N6thrust23THRUST_200600_302600_NS6detail15normal_iteratorINS9_10device_ptrIsEEEENS9_18transform_iteratorINS9_6negateIsEESE_NS9_11use_defaultESI_EESE_sNS9_4plusIvEENS9_8equal_toIvEEsEE10hipError_tPvRmT2_T3_T4_T5_mT6_T7_P12ihipStream_tbENKUlT_T0_E_clISt17integral_constantIbLb0EES14_EEDaSZ_S10_EUlSZ_E_NS1_11comp_targetILNS1_3genE3ELNS1_11target_archE908ELNS1_3gpuE7ELNS1_3repE0EEENS1_30default_config_static_selectorELNS0_4arch9wavefront6targetE1EEEvT1_
		.amdhsa_group_segment_fixed_size 0
		.amdhsa_private_segment_fixed_size 0
		.amdhsa_kernarg_size 120
		.amdhsa_user_sgpr_count 2
		.amdhsa_user_sgpr_dispatch_ptr 0
		.amdhsa_user_sgpr_queue_ptr 0
		.amdhsa_user_sgpr_kernarg_segment_ptr 1
		.amdhsa_user_sgpr_dispatch_id 0
		.amdhsa_user_sgpr_kernarg_preload_length 0
		.amdhsa_user_sgpr_kernarg_preload_offset 0
		.amdhsa_user_sgpr_private_segment_size 0
		.amdhsa_uses_dynamic_stack 0
		.amdhsa_enable_private_segment 0
		.amdhsa_system_sgpr_workgroup_id_x 1
		.amdhsa_system_sgpr_workgroup_id_y 0
		.amdhsa_system_sgpr_workgroup_id_z 0
		.amdhsa_system_sgpr_workgroup_info 0
		.amdhsa_system_vgpr_workitem_id 0
		.amdhsa_next_free_vgpr 1
		.amdhsa_next_free_sgpr 0
		.amdhsa_accum_offset 4
		.amdhsa_reserve_vcc 0
		.amdhsa_float_round_mode_32 0
		.amdhsa_float_round_mode_16_64 0
		.amdhsa_float_denorm_mode_32 3
		.amdhsa_float_denorm_mode_16_64 3
		.amdhsa_dx10_clamp 1
		.amdhsa_ieee_mode 1
		.amdhsa_fp16_overflow 0
		.amdhsa_tg_split 0
		.amdhsa_exception_fp_ieee_invalid_op 0
		.amdhsa_exception_fp_denorm_src 0
		.amdhsa_exception_fp_ieee_div_zero 0
		.amdhsa_exception_fp_ieee_overflow 0
		.amdhsa_exception_fp_ieee_underflow 0
		.amdhsa_exception_fp_ieee_inexact 0
		.amdhsa_exception_int_div_zero 0
	.end_amdhsa_kernel
	.section	.text._ZN7rocprim17ROCPRIM_400000_NS6detail17trampoline_kernelINS0_14default_configENS1_27scan_by_key_config_selectorIssEEZZNS1_16scan_by_key_implILNS1_25lookback_scan_determinismE0ELb0ES3_N6thrust23THRUST_200600_302600_NS6detail15normal_iteratorINS9_10device_ptrIsEEEENS9_18transform_iteratorINS9_6negateIsEESE_NS9_11use_defaultESI_EESE_sNS9_4plusIvEENS9_8equal_toIvEEsEE10hipError_tPvRmT2_T3_T4_T5_mT6_T7_P12ihipStream_tbENKUlT_T0_E_clISt17integral_constantIbLb0EES14_EEDaSZ_S10_EUlSZ_E_NS1_11comp_targetILNS1_3genE3ELNS1_11target_archE908ELNS1_3gpuE7ELNS1_3repE0EEENS1_30default_config_static_selectorELNS0_4arch9wavefront6targetE1EEEvT1_,"axG",@progbits,_ZN7rocprim17ROCPRIM_400000_NS6detail17trampoline_kernelINS0_14default_configENS1_27scan_by_key_config_selectorIssEEZZNS1_16scan_by_key_implILNS1_25lookback_scan_determinismE0ELb0ES3_N6thrust23THRUST_200600_302600_NS6detail15normal_iteratorINS9_10device_ptrIsEEEENS9_18transform_iteratorINS9_6negateIsEESE_NS9_11use_defaultESI_EESE_sNS9_4plusIvEENS9_8equal_toIvEEsEE10hipError_tPvRmT2_T3_T4_T5_mT6_T7_P12ihipStream_tbENKUlT_T0_E_clISt17integral_constantIbLb0EES14_EEDaSZ_S10_EUlSZ_E_NS1_11comp_targetILNS1_3genE3ELNS1_11target_archE908ELNS1_3gpuE7ELNS1_3repE0EEENS1_30default_config_static_selectorELNS0_4arch9wavefront6targetE1EEEvT1_,comdat
.Lfunc_end969:
	.size	_ZN7rocprim17ROCPRIM_400000_NS6detail17trampoline_kernelINS0_14default_configENS1_27scan_by_key_config_selectorIssEEZZNS1_16scan_by_key_implILNS1_25lookback_scan_determinismE0ELb0ES3_N6thrust23THRUST_200600_302600_NS6detail15normal_iteratorINS9_10device_ptrIsEEEENS9_18transform_iteratorINS9_6negateIsEESE_NS9_11use_defaultESI_EESE_sNS9_4plusIvEENS9_8equal_toIvEEsEE10hipError_tPvRmT2_T3_T4_T5_mT6_T7_P12ihipStream_tbENKUlT_T0_E_clISt17integral_constantIbLb0EES14_EEDaSZ_S10_EUlSZ_E_NS1_11comp_targetILNS1_3genE3ELNS1_11target_archE908ELNS1_3gpuE7ELNS1_3repE0EEENS1_30default_config_static_selectorELNS0_4arch9wavefront6targetE1EEEvT1_, .Lfunc_end969-_ZN7rocprim17ROCPRIM_400000_NS6detail17trampoline_kernelINS0_14default_configENS1_27scan_by_key_config_selectorIssEEZZNS1_16scan_by_key_implILNS1_25lookback_scan_determinismE0ELb0ES3_N6thrust23THRUST_200600_302600_NS6detail15normal_iteratorINS9_10device_ptrIsEEEENS9_18transform_iteratorINS9_6negateIsEESE_NS9_11use_defaultESI_EESE_sNS9_4plusIvEENS9_8equal_toIvEEsEE10hipError_tPvRmT2_T3_T4_T5_mT6_T7_P12ihipStream_tbENKUlT_T0_E_clISt17integral_constantIbLb0EES14_EEDaSZ_S10_EUlSZ_E_NS1_11comp_targetILNS1_3genE3ELNS1_11target_archE908ELNS1_3gpuE7ELNS1_3repE0EEENS1_30default_config_static_selectorELNS0_4arch9wavefront6targetE1EEEvT1_
                                        ; -- End function
	.section	.AMDGPU.csdata,"",@progbits
; Kernel info:
; codeLenInByte = 0
; NumSgprs: 6
; NumVgprs: 0
; NumAgprs: 0
; TotalNumVgprs: 0
; ScratchSize: 0
; MemoryBound: 0
; FloatMode: 240
; IeeeMode: 1
; LDSByteSize: 0 bytes/workgroup (compile time only)
; SGPRBlocks: 0
; VGPRBlocks: 0
; NumSGPRsForWavesPerEU: 6
; NumVGPRsForWavesPerEU: 1
; AccumOffset: 4
; Occupancy: 8
; WaveLimiterHint : 0
; COMPUTE_PGM_RSRC2:SCRATCH_EN: 0
; COMPUTE_PGM_RSRC2:USER_SGPR: 2
; COMPUTE_PGM_RSRC2:TRAP_HANDLER: 0
; COMPUTE_PGM_RSRC2:TGID_X_EN: 1
; COMPUTE_PGM_RSRC2:TGID_Y_EN: 0
; COMPUTE_PGM_RSRC2:TGID_Z_EN: 0
; COMPUTE_PGM_RSRC2:TIDIG_COMP_CNT: 0
; COMPUTE_PGM_RSRC3_GFX90A:ACCUM_OFFSET: 0
; COMPUTE_PGM_RSRC3_GFX90A:TG_SPLIT: 0
	.section	.text._ZN7rocprim17ROCPRIM_400000_NS6detail17trampoline_kernelINS0_14default_configENS1_27scan_by_key_config_selectorIssEEZZNS1_16scan_by_key_implILNS1_25lookback_scan_determinismE0ELb0ES3_N6thrust23THRUST_200600_302600_NS6detail15normal_iteratorINS9_10device_ptrIsEEEENS9_18transform_iteratorINS9_6negateIsEESE_NS9_11use_defaultESI_EESE_sNS9_4plusIvEENS9_8equal_toIvEEsEE10hipError_tPvRmT2_T3_T4_T5_mT6_T7_P12ihipStream_tbENKUlT_T0_E_clISt17integral_constantIbLb0EES14_EEDaSZ_S10_EUlSZ_E_NS1_11comp_targetILNS1_3genE2ELNS1_11target_archE906ELNS1_3gpuE6ELNS1_3repE0EEENS1_30default_config_static_selectorELNS0_4arch9wavefront6targetE1EEEvT1_,"axG",@progbits,_ZN7rocprim17ROCPRIM_400000_NS6detail17trampoline_kernelINS0_14default_configENS1_27scan_by_key_config_selectorIssEEZZNS1_16scan_by_key_implILNS1_25lookback_scan_determinismE0ELb0ES3_N6thrust23THRUST_200600_302600_NS6detail15normal_iteratorINS9_10device_ptrIsEEEENS9_18transform_iteratorINS9_6negateIsEESE_NS9_11use_defaultESI_EESE_sNS9_4plusIvEENS9_8equal_toIvEEsEE10hipError_tPvRmT2_T3_T4_T5_mT6_T7_P12ihipStream_tbENKUlT_T0_E_clISt17integral_constantIbLb0EES14_EEDaSZ_S10_EUlSZ_E_NS1_11comp_targetILNS1_3genE2ELNS1_11target_archE906ELNS1_3gpuE6ELNS1_3repE0EEENS1_30default_config_static_selectorELNS0_4arch9wavefront6targetE1EEEvT1_,comdat
	.protected	_ZN7rocprim17ROCPRIM_400000_NS6detail17trampoline_kernelINS0_14default_configENS1_27scan_by_key_config_selectorIssEEZZNS1_16scan_by_key_implILNS1_25lookback_scan_determinismE0ELb0ES3_N6thrust23THRUST_200600_302600_NS6detail15normal_iteratorINS9_10device_ptrIsEEEENS9_18transform_iteratorINS9_6negateIsEESE_NS9_11use_defaultESI_EESE_sNS9_4plusIvEENS9_8equal_toIvEEsEE10hipError_tPvRmT2_T3_T4_T5_mT6_T7_P12ihipStream_tbENKUlT_T0_E_clISt17integral_constantIbLb0EES14_EEDaSZ_S10_EUlSZ_E_NS1_11comp_targetILNS1_3genE2ELNS1_11target_archE906ELNS1_3gpuE6ELNS1_3repE0EEENS1_30default_config_static_selectorELNS0_4arch9wavefront6targetE1EEEvT1_ ; -- Begin function _ZN7rocprim17ROCPRIM_400000_NS6detail17trampoline_kernelINS0_14default_configENS1_27scan_by_key_config_selectorIssEEZZNS1_16scan_by_key_implILNS1_25lookback_scan_determinismE0ELb0ES3_N6thrust23THRUST_200600_302600_NS6detail15normal_iteratorINS9_10device_ptrIsEEEENS9_18transform_iteratorINS9_6negateIsEESE_NS9_11use_defaultESI_EESE_sNS9_4plusIvEENS9_8equal_toIvEEsEE10hipError_tPvRmT2_T3_T4_T5_mT6_T7_P12ihipStream_tbENKUlT_T0_E_clISt17integral_constantIbLb0EES14_EEDaSZ_S10_EUlSZ_E_NS1_11comp_targetILNS1_3genE2ELNS1_11target_archE906ELNS1_3gpuE6ELNS1_3repE0EEENS1_30default_config_static_selectorELNS0_4arch9wavefront6targetE1EEEvT1_
	.globl	_ZN7rocprim17ROCPRIM_400000_NS6detail17trampoline_kernelINS0_14default_configENS1_27scan_by_key_config_selectorIssEEZZNS1_16scan_by_key_implILNS1_25lookback_scan_determinismE0ELb0ES3_N6thrust23THRUST_200600_302600_NS6detail15normal_iteratorINS9_10device_ptrIsEEEENS9_18transform_iteratorINS9_6negateIsEESE_NS9_11use_defaultESI_EESE_sNS9_4plusIvEENS9_8equal_toIvEEsEE10hipError_tPvRmT2_T3_T4_T5_mT6_T7_P12ihipStream_tbENKUlT_T0_E_clISt17integral_constantIbLb0EES14_EEDaSZ_S10_EUlSZ_E_NS1_11comp_targetILNS1_3genE2ELNS1_11target_archE906ELNS1_3gpuE6ELNS1_3repE0EEENS1_30default_config_static_selectorELNS0_4arch9wavefront6targetE1EEEvT1_
	.p2align	8
	.type	_ZN7rocprim17ROCPRIM_400000_NS6detail17trampoline_kernelINS0_14default_configENS1_27scan_by_key_config_selectorIssEEZZNS1_16scan_by_key_implILNS1_25lookback_scan_determinismE0ELb0ES3_N6thrust23THRUST_200600_302600_NS6detail15normal_iteratorINS9_10device_ptrIsEEEENS9_18transform_iteratorINS9_6negateIsEESE_NS9_11use_defaultESI_EESE_sNS9_4plusIvEENS9_8equal_toIvEEsEE10hipError_tPvRmT2_T3_T4_T5_mT6_T7_P12ihipStream_tbENKUlT_T0_E_clISt17integral_constantIbLb0EES14_EEDaSZ_S10_EUlSZ_E_NS1_11comp_targetILNS1_3genE2ELNS1_11target_archE906ELNS1_3gpuE6ELNS1_3repE0EEENS1_30default_config_static_selectorELNS0_4arch9wavefront6targetE1EEEvT1_,@function
_ZN7rocprim17ROCPRIM_400000_NS6detail17trampoline_kernelINS0_14default_configENS1_27scan_by_key_config_selectorIssEEZZNS1_16scan_by_key_implILNS1_25lookback_scan_determinismE0ELb0ES3_N6thrust23THRUST_200600_302600_NS6detail15normal_iteratorINS9_10device_ptrIsEEEENS9_18transform_iteratorINS9_6negateIsEESE_NS9_11use_defaultESI_EESE_sNS9_4plusIvEENS9_8equal_toIvEEsEE10hipError_tPvRmT2_T3_T4_T5_mT6_T7_P12ihipStream_tbENKUlT_T0_E_clISt17integral_constantIbLb0EES14_EEDaSZ_S10_EUlSZ_E_NS1_11comp_targetILNS1_3genE2ELNS1_11target_archE906ELNS1_3gpuE6ELNS1_3repE0EEENS1_30default_config_static_selectorELNS0_4arch9wavefront6targetE1EEEvT1_: ; @_ZN7rocprim17ROCPRIM_400000_NS6detail17trampoline_kernelINS0_14default_configENS1_27scan_by_key_config_selectorIssEEZZNS1_16scan_by_key_implILNS1_25lookback_scan_determinismE0ELb0ES3_N6thrust23THRUST_200600_302600_NS6detail15normal_iteratorINS9_10device_ptrIsEEEENS9_18transform_iteratorINS9_6negateIsEESE_NS9_11use_defaultESI_EESE_sNS9_4plusIvEENS9_8equal_toIvEEsEE10hipError_tPvRmT2_T3_T4_T5_mT6_T7_P12ihipStream_tbENKUlT_T0_E_clISt17integral_constantIbLb0EES14_EEDaSZ_S10_EUlSZ_E_NS1_11comp_targetILNS1_3genE2ELNS1_11target_archE906ELNS1_3gpuE6ELNS1_3repE0EEENS1_30default_config_static_selectorELNS0_4arch9wavefront6targetE1EEEvT1_
; %bb.0:
	.section	.rodata,"a",@progbits
	.p2align	6, 0x0
	.amdhsa_kernel _ZN7rocprim17ROCPRIM_400000_NS6detail17trampoline_kernelINS0_14default_configENS1_27scan_by_key_config_selectorIssEEZZNS1_16scan_by_key_implILNS1_25lookback_scan_determinismE0ELb0ES3_N6thrust23THRUST_200600_302600_NS6detail15normal_iteratorINS9_10device_ptrIsEEEENS9_18transform_iteratorINS9_6negateIsEESE_NS9_11use_defaultESI_EESE_sNS9_4plusIvEENS9_8equal_toIvEEsEE10hipError_tPvRmT2_T3_T4_T5_mT6_T7_P12ihipStream_tbENKUlT_T0_E_clISt17integral_constantIbLb0EES14_EEDaSZ_S10_EUlSZ_E_NS1_11comp_targetILNS1_3genE2ELNS1_11target_archE906ELNS1_3gpuE6ELNS1_3repE0EEENS1_30default_config_static_selectorELNS0_4arch9wavefront6targetE1EEEvT1_
		.amdhsa_group_segment_fixed_size 0
		.amdhsa_private_segment_fixed_size 0
		.amdhsa_kernarg_size 120
		.amdhsa_user_sgpr_count 2
		.amdhsa_user_sgpr_dispatch_ptr 0
		.amdhsa_user_sgpr_queue_ptr 0
		.amdhsa_user_sgpr_kernarg_segment_ptr 1
		.amdhsa_user_sgpr_dispatch_id 0
		.amdhsa_user_sgpr_kernarg_preload_length 0
		.amdhsa_user_sgpr_kernarg_preload_offset 0
		.amdhsa_user_sgpr_private_segment_size 0
		.amdhsa_uses_dynamic_stack 0
		.amdhsa_enable_private_segment 0
		.amdhsa_system_sgpr_workgroup_id_x 1
		.amdhsa_system_sgpr_workgroup_id_y 0
		.amdhsa_system_sgpr_workgroup_id_z 0
		.amdhsa_system_sgpr_workgroup_info 0
		.amdhsa_system_vgpr_workitem_id 0
		.amdhsa_next_free_vgpr 1
		.amdhsa_next_free_sgpr 0
		.amdhsa_accum_offset 4
		.amdhsa_reserve_vcc 0
		.amdhsa_float_round_mode_32 0
		.amdhsa_float_round_mode_16_64 0
		.amdhsa_float_denorm_mode_32 3
		.amdhsa_float_denorm_mode_16_64 3
		.amdhsa_dx10_clamp 1
		.amdhsa_ieee_mode 1
		.amdhsa_fp16_overflow 0
		.amdhsa_tg_split 0
		.amdhsa_exception_fp_ieee_invalid_op 0
		.amdhsa_exception_fp_denorm_src 0
		.amdhsa_exception_fp_ieee_div_zero 0
		.amdhsa_exception_fp_ieee_overflow 0
		.amdhsa_exception_fp_ieee_underflow 0
		.amdhsa_exception_fp_ieee_inexact 0
		.amdhsa_exception_int_div_zero 0
	.end_amdhsa_kernel
	.section	.text._ZN7rocprim17ROCPRIM_400000_NS6detail17trampoline_kernelINS0_14default_configENS1_27scan_by_key_config_selectorIssEEZZNS1_16scan_by_key_implILNS1_25lookback_scan_determinismE0ELb0ES3_N6thrust23THRUST_200600_302600_NS6detail15normal_iteratorINS9_10device_ptrIsEEEENS9_18transform_iteratorINS9_6negateIsEESE_NS9_11use_defaultESI_EESE_sNS9_4plusIvEENS9_8equal_toIvEEsEE10hipError_tPvRmT2_T3_T4_T5_mT6_T7_P12ihipStream_tbENKUlT_T0_E_clISt17integral_constantIbLb0EES14_EEDaSZ_S10_EUlSZ_E_NS1_11comp_targetILNS1_3genE2ELNS1_11target_archE906ELNS1_3gpuE6ELNS1_3repE0EEENS1_30default_config_static_selectorELNS0_4arch9wavefront6targetE1EEEvT1_,"axG",@progbits,_ZN7rocprim17ROCPRIM_400000_NS6detail17trampoline_kernelINS0_14default_configENS1_27scan_by_key_config_selectorIssEEZZNS1_16scan_by_key_implILNS1_25lookback_scan_determinismE0ELb0ES3_N6thrust23THRUST_200600_302600_NS6detail15normal_iteratorINS9_10device_ptrIsEEEENS9_18transform_iteratorINS9_6negateIsEESE_NS9_11use_defaultESI_EESE_sNS9_4plusIvEENS9_8equal_toIvEEsEE10hipError_tPvRmT2_T3_T4_T5_mT6_T7_P12ihipStream_tbENKUlT_T0_E_clISt17integral_constantIbLb0EES14_EEDaSZ_S10_EUlSZ_E_NS1_11comp_targetILNS1_3genE2ELNS1_11target_archE906ELNS1_3gpuE6ELNS1_3repE0EEENS1_30default_config_static_selectorELNS0_4arch9wavefront6targetE1EEEvT1_,comdat
.Lfunc_end970:
	.size	_ZN7rocprim17ROCPRIM_400000_NS6detail17trampoline_kernelINS0_14default_configENS1_27scan_by_key_config_selectorIssEEZZNS1_16scan_by_key_implILNS1_25lookback_scan_determinismE0ELb0ES3_N6thrust23THRUST_200600_302600_NS6detail15normal_iteratorINS9_10device_ptrIsEEEENS9_18transform_iteratorINS9_6negateIsEESE_NS9_11use_defaultESI_EESE_sNS9_4plusIvEENS9_8equal_toIvEEsEE10hipError_tPvRmT2_T3_T4_T5_mT6_T7_P12ihipStream_tbENKUlT_T0_E_clISt17integral_constantIbLb0EES14_EEDaSZ_S10_EUlSZ_E_NS1_11comp_targetILNS1_3genE2ELNS1_11target_archE906ELNS1_3gpuE6ELNS1_3repE0EEENS1_30default_config_static_selectorELNS0_4arch9wavefront6targetE1EEEvT1_, .Lfunc_end970-_ZN7rocprim17ROCPRIM_400000_NS6detail17trampoline_kernelINS0_14default_configENS1_27scan_by_key_config_selectorIssEEZZNS1_16scan_by_key_implILNS1_25lookback_scan_determinismE0ELb0ES3_N6thrust23THRUST_200600_302600_NS6detail15normal_iteratorINS9_10device_ptrIsEEEENS9_18transform_iteratorINS9_6negateIsEESE_NS9_11use_defaultESI_EESE_sNS9_4plusIvEENS9_8equal_toIvEEsEE10hipError_tPvRmT2_T3_T4_T5_mT6_T7_P12ihipStream_tbENKUlT_T0_E_clISt17integral_constantIbLb0EES14_EEDaSZ_S10_EUlSZ_E_NS1_11comp_targetILNS1_3genE2ELNS1_11target_archE906ELNS1_3gpuE6ELNS1_3repE0EEENS1_30default_config_static_selectorELNS0_4arch9wavefront6targetE1EEEvT1_
                                        ; -- End function
	.section	.AMDGPU.csdata,"",@progbits
; Kernel info:
; codeLenInByte = 0
; NumSgprs: 6
; NumVgprs: 0
; NumAgprs: 0
; TotalNumVgprs: 0
; ScratchSize: 0
; MemoryBound: 0
; FloatMode: 240
; IeeeMode: 1
; LDSByteSize: 0 bytes/workgroup (compile time only)
; SGPRBlocks: 0
; VGPRBlocks: 0
; NumSGPRsForWavesPerEU: 6
; NumVGPRsForWavesPerEU: 1
; AccumOffset: 4
; Occupancy: 8
; WaveLimiterHint : 0
; COMPUTE_PGM_RSRC2:SCRATCH_EN: 0
; COMPUTE_PGM_RSRC2:USER_SGPR: 2
; COMPUTE_PGM_RSRC2:TRAP_HANDLER: 0
; COMPUTE_PGM_RSRC2:TGID_X_EN: 1
; COMPUTE_PGM_RSRC2:TGID_Y_EN: 0
; COMPUTE_PGM_RSRC2:TGID_Z_EN: 0
; COMPUTE_PGM_RSRC2:TIDIG_COMP_CNT: 0
; COMPUTE_PGM_RSRC3_GFX90A:ACCUM_OFFSET: 0
; COMPUTE_PGM_RSRC3_GFX90A:TG_SPLIT: 0
	.section	.text._ZN7rocprim17ROCPRIM_400000_NS6detail17trampoline_kernelINS0_14default_configENS1_27scan_by_key_config_selectorIssEEZZNS1_16scan_by_key_implILNS1_25lookback_scan_determinismE0ELb0ES3_N6thrust23THRUST_200600_302600_NS6detail15normal_iteratorINS9_10device_ptrIsEEEENS9_18transform_iteratorINS9_6negateIsEESE_NS9_11use_defaultESI_EESE_sNS9_4plusIvEENS9_8equal_toIvEEsEE10hipError_tPvRmT2_T3_T4_T5_mT6_T7_P12ihipStream_tbENKUlT_T0_E_clISt17integral_constantIbLb0EES14_EEDaSZ_S10_EUlSZ_E_NS1_11comp_targetILNS1_3genE10ELNS1_11target_archE1200ELNS1_3gpuE4ELNS1_3repE0EEENS1_30default_config_static_selectorELNS0_4arch9wavefront6targetE1EEEvT1_,"axG",@progbits,_ZN7rocprim17ROCPRIM_400000_NS6detail17trampoline_kernelINS0_14default_configENS1_27scan_by_key_config_selectorIssEEZZNS1_16scan_by_key_implILNS1_25lookback_scan_determinismE0ELb0ES3_N6thrust23THRUST_200600_302600_NS6detail15normal_iteratorINS9_10device_ptrIsEEEENS9_18transform_iteratorINS9_6negateIsEESE_NS9_11use_defaultESI_EESE_sNS9_4plusIvEENS9_8equal_toIvEEsEE10hipError_tPvRmT2_T3_T4_T5_mT6_T7_P12ihipStream_tbENKUlT_T0_E_clISt17integral_constantIbLb0EES14_EEDaSZ_S10_EUlSZ_E_NS1_11comp_targetILNS1_3genE10ELNS1_11target_archE1200ELNS1_3gpuE4ELNS1_3repE0EEENS1_30default_config_static_selectorELNS0_4arch9wavefront6targetE1EEEvT1_,comdat
	.protected	_ZN7rocprim17ROCPRIM_400000_NS6detail17trampoline_kernelINS0_14default_configENS1_27scan_by_key_config_selectorIssEEZZNS1_16scan_by_key_implILNS1_25lookback_scan_determinismE0ELb0ES3_N6thrust23THRUST_200600_302600_NS6detail15normal_iteratorINS9_10device_ptrIsEEEENS9_18transform_iteratorINS9_6negateIsEESE_NS9_11use_defaultESI_EESE_sNS9_4plusIvEENS9_8equal_toIvEEsEE10hipError_tPvRmT2_T3_T4_T5_mT6_T7_P12ihipStream_tbENKUlT_T0_E_clISt17integral_constantIbLb0EES14_EEDaSZ_S10_EUlSZ_E_NS1_11comp_targetILNS1_3genE10ELNS1_11target_archE1200ELNS1_3gpuE4ELNS1_3repE0EEENS1_30default_config_static_selectorELNS0_4arch9wavefront6targetE1EEEvT1_ ; -- Begin function _ZN7rocprim17ROCPRIM_400000_NS6detail17trampoline_kernelINS0_14default_configENS1_27scan_by_key_config_selectorIssEEZZNS1_16scan_by_key_implILNS1_25lookback_scan_determinismE0ELb0ES3_N6thrust23THRUST_200600_302600_NS6detail15normal_iteratorINS9_10device_ptrIsEEEENS9_18transform_iteratorINS9_6negateIsEESE_NS9_11use_defaultESI_EESE_sNS9_4plusIvEENS9_8equal_toIvEEsEE10hipError_tPvRmT2_T3_T4_T5_mT6_T7_P12ihipStream_tbENKUlT_T0_E_clISt17integral_constantIbLb0EES14_EEDaSZ_S10_EUlSZ_E_NS1_11comp_targetILNS1_3genE10ELNS1_11target_archE1200ELNS1_3gpuE4ELNS1_3repE0EEENS1_30default_config_static_selectorELNS0_4arch9wavefront6targetE1EEEvT1_
	.globl	_ZN7rocprim17ROCPRIM_400000_NS6detail17trampoline_kernelINS0_14default_configENS1_27scan_by_key_config_selectorIssEEZZNS1_16scan_by_key_implILNS1_25lookback_scan_determinismE0ELb0ES3_N6thrust23THRUST_200600_302600_NS6detail15normal_iteratorINS9_10device_ptrIsEEEENS9_18transform_iteratorINS9_6negateIsEESE_NS9_11use_defaultESI_EESE_sNS9_4plusIvEENS9_8equal_toIvEEsEE10hipError_tPvRmT2_T3_T4_T5_mT6_T7_P12ihipStream_tbENKUlT_T0_E_clISt17integral_constantIbLb0EES14_EEDaSZ_S10_EUlSZ_E_NS1_11comp_targetILNS1_3genE10ELNS1_11target_archE1200ELNS1_3gpuE4ELNS1_3repE0EEENS1_30default_config_static_selectorELNS0_4arch9wavefront6targetE1EEEvT1_
	.p2align	8
	.type	_ZN7rocprim17ROCPRIM_400000_NS6detail17trampoline_kernelINS0_14default_configENS1_27scan_by_key_config_selectorIssEEZZNS1_16scan_by_key_implILNS1_25lookback_scan_determinismE0ELb0ES3_N6thrust23THRUST_200600_302600_NS6detail15normal_iteratorINS9_10device_ptrIsEEEENS9_18transform_iteratorINS9_6negateIsEESE_NS9_11use_defaultESI_EESE_sNS9_4plusIvEENS9_8equal_toIvEEsEE10hipError_tPvRmT2_T3_T4_T5_mT6_T7_P12ihipStream_tbENKUlT_T0_E_clISt17integral_constantIbLb0EES14_EEDaSZ_S10_EUlSZ_E_NS1_11comp_targetILNS1_3genE10ELNS1_11target_archE1200ELNS1_3gpuE4ELNS1_3repE0EEENS1_30default_config_static_selectorELNS0_4arch9wavefront6targetE1EEEvT1_,@function
_ZN7rocprim17ROCPRIM_400000_NS6detail17trampoline_kernelINS0_14default_configENS1_27scan_by_key_config_selectorIssEEZZNS1_16scan_by_key_implILNS1_25lookback_scan_determinismE0ELb0ES3_N6thrust23THRUST_200600_302600_NS6detail15normal_iteratorINS9_10device_ptrIsEEEENS9_18transform_iteratorINS9_6negateIsEESE_NS9_11use_defaultESI_EESE_sNS9_4plusIvEENS9_8equal_toIvEEsEE10hipError_tPvRmT2_T3_T4_T5_mT6_T7_P12ihipStream_tbENKUlT_T0_E_clISt17integral_constantIbLb0EES14_EEDaSZ_S10_EUlSZ_E_NS1_11comp_targetILNS1_3genE10ELNS1_11target_archE1200ELNS1_3gpuE4ELNS1_3repE0EEENS1_30default_config_static_selectorELNS0_4arch9wavefront6targetE1EEEvT1_: ; @_ZN7rocprim17ROCPRIM_400000_NS6detail17trampoline_kernelINS0_14default_configENS1_27scan_by_key_config_selectorIssEEZZNS1_16scan_by_key_implILNS1_25lookback_scan_determinismE0ELb0ES3_N6thrust23THRUST_200600_302600_NS6detail15normal_iteratorINS9_10device_ptrIsEEEENS9_18transform_iteratorINS9_6negateIsEESE_NS9_11use_defaultESI_EESE_sNS9_4plusIvEENS9_8equal_toIvEEsEE10hipError_tPvRmT2_T3_T4_T5_mT6_T7_P12ihipStream_tbENKUlT_T0_E_clISt17integral_constantIbLb0EES14_EEDaSZ_S10_EUlSZ_E_NS1_11comp_targetILNS1_3genE10ELNS1_11target_archE1200ELNS1_3gpuE4ELNS1_3repE0EEENS1_30default_config_static_selectorELNS0_4arch9wavefront6targetE1EEEvT1_
; %bb.0:
	.section	.rodata,"a",@progbits
	.p2align	6, 0x0
	.amdhsa_kernel _ZN7rocprim17ROCPRIM_400000_NS6detail17trampoline_kernelINS0_14default_configENS1_27scan_by_key_config_selectorIssEEZZNS1_16scan_by_key_implILNS1_25lookback_scan_determinismE0ELb0ES3_N6thrust23THRUST_200600_302600_NS6detail15normal_iteratorINS9_10device_ptrIsEEEENS9_18transform_iteratorINS9_6negateIsEESE_NS9_11use_defaultESI_EESE_sNS9_4plusIvEENS9_8equal_toIvEEsEE10hipError_tPvRmT2_T3_T4_T5_mT6_T7_P12ihipStream_tbENKUlT_T0_E_clISt17integral_constantIbLb0EES14_EEDaSZ_S10_EUlSZ_E_NS1_11comp_targetILNS1_3genE10ELNS1_11target_archE1200ELNS1_3gpuE4ELNS1_3repE0EEENS1_30default_config_static_selectorELNS0_4arch9wavefront6targetE1EEEvT1_
		.amdhsa_group_segment_fixed_size 0
		.amdhsa_private_segment_fixed_size 0
		.amdhsa_kernarg_size 120
		.amdhsa_user_sgpr_count 2
		.amdhsa_user_sgpr_dispatch_ptr 0
		.amdhsa_user_sgpr_queue_ptr 0
		.amdhsa_user_sgpr_kernarg_segment_ptr 1
		.amdhsa_user_sgpr_dispatch_id 0
		.amdhsa_user_sgpr_kernarg_preload_length 0
		.amdhsa_user_sgpr_kernarg_preload_offset 0
		.amdhsa_user_sgpr_private_segment_size 0
		.amdhsa_uses_dynamic_stack 0
		.amdhsa_enable_private_segment 0
		.amdhsa_system_sgpr_workgroup_id_x 1
		.amdhsa_system_sgpr_workgroup_id_y 0
		.amdhsa_system_sgpr_workgroup_id_z 0
		.amdhsa_system_sgpr_workgroup_info 0
		.amdhsa_system_vgpr_workitem_id 0
		.amdhsa_next_free_vgpr 1
		.amdhsa_next_free_sgpr 0
		.amdhsa_accum_offset 4
		.amdhsa_reserve_vcc 0
		.amdhsa_float_round_mode_32 0
		.amdhsa_float_round_mode_16_64 0
		.amdhsa_float_denorm_mode_32 3
		.amdhsa_float_denorm_mode_16_64 3
		.amdhsa_dx10_clamp 1
		.amdhsa_ieee_mode 1
		.amdhsa_fp16_overflow 0
		.amdhsa_tg_split 0
		.amdhsa_exception_fp_ieee_invalid_op 0
		.amdhsa_exception_fp_denorm_src 0
		.amdhsa_exception_fp_ieee_div_zero 0
		.amdhsa_exception_fp_ieee_overflow 0
		.amdhsa_exception_fp_ieee_underflow 0
		.amdhsa_exception_fp_ieee_inexact 0
		.amdhsa_exception_int_div_zero 0
	.end_amdhsa_kernel
	.section	.text._ZN7rocprim17ROCPRIM_400000_NS6detail17trampoline_kernelINS0_14default_configENS1_27scan_by_key_config_selectorIssEEZZNS1_16scan_by_key_implILNS1_25lookback_scan_determinismE0ELb0ES3_N6thrust23THRUST_200600_302600_NS6detail15normal_iteratorINS9_10device_ptrIsEEEENS9_18transform_iteratorINS9_6negateIsEESE_NS9_11use_defaultESI_EESE_sNS9_4plusIvEENS9_8equal_toIvEEsEE10hipError_tPvRmT2_T3_T4_T5_mT6_T7_P12ihipStream_tbENKUlT_T0_E_clISt17integral_constantIbLb0EES14_EEDaSZ_S10_EUlSZ_E_NS1_11comp_targetILNS1_3genE10ELNS1_11target_archE1200ELNS1_3gpuE4ELNS1_3repE0EEENS1_30default_config_static_selectorELNS0_4arch9wavefront6targetE1EEEvT1_,"axG",@progbits,_ZN7rocprim17ROCPRIM_400000_NS6detail17trampoline_kernelINS0_14default_configENS1_27scan_by_key_config_selectorIssEEZZNS1_16scan_by_key_implILNS1_25lookback_scan_determinismE0ELb0ES3_N6thrust23THRUST_200600_302600_NS6detail15normal_iteratorINS9_10device_ptrIsEEEENS9_18transform_iteratorINS9_6negateIsEESE_NS9_11use_defaultESI_EESE_sNS9_4plusIvEENS9_8equal_toIvEEsEE10hipError_tPvRmT2_T3_T4_T5_mT6_T7_P12ihipStream_tbENKUlT_T0_E_clISt17integral_constantIbLb0EES14_EEDaSZ_S10_EUlSZ_E_NS1_11comp_targetILNS1_3genE10ELNS1_11target_archE1200ELNS1_3gpuE4ELNS1_3repE0EEENS1_30default_config_static_selectorELNS0_4arch9wavefront6targetE1EEEvT1_,comdat
.Lfunc_end971:
	.size	_ZN7rocprim17ROCPRIM_400000_NS6detail17trampoline_kernelINS0_14default_configENS1_27scan_by_key_config_selectorIssEEZZNS1_16scan_by_key_implILNS1_25lookback_scan_determinismE0ELb0ES3_N6thrust23THRUST_200600_302600_NS6detail15normal_iteratorINS9_10device_ptrIsEEEENS9_18transform_iteratorINS9_6negateIsEESE_NS9_11use_defaultESI_EESE_sNS9_4plusIvEENS9_8equal_toIvEEsEE10hipError_tPvRmT2_T3_T4_T5_mT6_T7_P12ihipStream_tbENKUlT_T0_E_clISt17integral_constantIbLb0EES14_EEDaSZ_S10_EUlSZ_E_NS1_11comp_targetILNS1_3genE10ELNS1_11target_archE1200ELNS1_3gpuE4ELNS1_3repE0EEENS1_30default_config_static_selectorELNS0_4arch9wavefront6targetE1EEEvT1_, .Lfunc_end971-_ZN7rocprim17ROCPRIM_400000_NS6detail17trampoline_kernelINS0_14default_configENS1_27scan_by_key_config_selectorIssEEZZNS1_16scan_by_key_implILNS1_25lookback_scan_determinismE0ELb0ES3_N6thrust23THRUST_200600_302600_NS6detail15normal_iteratorINS9_10device_ptrIsEEEENS9_18transform_iteratorINS9_6negateIsEESE_NS9_11use_defaultESI_EESE_sNS9_4plusIvEENS9_8equal_toIvEEsEE10hipError_tPvRmT2_T3_T4_T5_mT6_T7_P12ihipStream_tbENKUlT_T0_E_clISt17integral_constantIbLb0EES14_EEDaSZ_S10_EUlSZ_E_NS1_11comp_targetILNS1_3genE10ELNS1_11target_archE1200ELNS1_3gpuE4ELNS1_3repE0EEENS1_30default_config_static_selectorELNS0_4arch9wavefront6targetE1EEEvT1_
                                        ; -- End function
	.section	.AMDGPU.csdata,"",@progbits
; Kernel info:
; codeLenInByte = 0
; NumSgprs: 6
; NumVgprs: 0
; NumAgprs: 0
; TotalNumVgprs: 0
; ScratchSize: 0
; MemoryBound: 0
; FloatMode: 240
; IeeeMode: 1
; LDSByteSize: 0 bytes/workgroup (compile time only)
; SGPRBlocks: 0
; VGPRBlocks: 0
; NumSGPRsForWavesPerEU: 6
; NumVGPRsForWavesPerEU: 1
; AccumOffset: 4
; Occupancy: 8
; WaveLimiterHint : 0
; COMPUTE_PGM_RSRC2:SCRATCH_EN: 0
; COMPUTE_PGM_RSRC2:USER_SGPR: 2
; COMPUTE_PGM_RSRC2:TRAP_HANDLER: 0
; COMPUTE_PGM_RSRC2:TGID_X_EN: 1
; COMPUTE_PGM_RSRC2:TGID_Y_EN: 0
; COMPUTE_PGM_RSRC2:TGID_Z_EN: 0
; COMPUTE_PGM_RSRC2:TIDIG_COMP_CNT: 0
; COMPUTE_PGM_RSRC3_GFX90A:ACCUM_OFFSET: 0
; COMPUTE_PGM_RSRC3_GFX90A:TG_SPLIT: 0
	.section	.text._ZN7rocprim17ROCPRIM_400000_NS6detail17trampoline_kernelINS0_14default_configENS1_27scan_by_key_config_selectorIssEEZZNS1_16scan_by_key_implILNS1_25lookback_scan_determinismE0ELb0ES3_N6thrust23THRUST_200600_302600_NS6detail15normal_iteratorINS9_10device_ptrIsEEEENS9_18transform_iteratorINS9_6negateIsEESE_NS9_11use_defaultESI_EESE_sNS9_4plusIvEENS9_8equal_toIvEEsEE10hipError_tPvRmT2_T3_T4_T5_mT6_T7_P12ihipStream_tbENKUlT_T0_E_clISt17integral_constantIbLb0EES14_EEDaSZ_S10_EUlSZ_E_NS1_11comp_targetILNS1_3genE9ELNS1_11target_archE1100ELNS1_3gpuE3ELNS1_3repE0EEENS1_30default_config_static_selectorELNS0_4arch9wavefront6targetE1EEEvT1_,"axG",@progbits,_ZN7rocprim17ROCPRIM_400000_NS6detail17trampoline_kernelINS0_14default_configENS1_27scan_by_key_config_selectorIssEEZZNS1_16scan_by_key_implILNS1_25lookback_scan_determinismE0ELb0ES3_N6thrust23THRUST_200600_302600_NS6detail15normal_iteratorINS9_10device_ptrIsEEEENS9_18transform_iteratorINS9_6negateIsEESE_NS9_11use_defaultESI_EESE_sNS9_4plusIvEENS9_8equal_toIvEEsEE10hipError_tPvRmT2_T3_T4_T5_mT6_T7_P12ihipStream_tbENKUlT_T0_E_clISt17integral_constantIbLb0EES14_EEDaSZ_S10_EUlSZ_E_NS1_11comp_targetILNS1_3genE9ELNS1_11target_archE1100ELNS1_3gpuE3ELNS1_3repE0EEENS1_30default_config_static_selectorELNS0_4arch9wavefront6targetE1EEEvT1_,comdat
	.protected	_ZN7rocprim17ROCPRIM_400000_NS6detail17trampoline_kernelINS0_14default_configENS1_27scan_by_key_config_selectorIssEEZZNS1_16scan_by_key_implILNS1_25lookback_scan_determinismE0ELb0ES3_N6thrust23THRUST_200600_302600_NS6detail15normal_iteratorINS9_10device_ptrIsEEEENS9_18transform_iteratorINS9_6negateIsEESE_NS9_11use_defaultESI_EESE_sNS9_4plusIvEENS9_8equal_toIvEEsEE10hipError_tPvRmT2_T3_T4_T5_mT6_T7_P12ihipStream_tbENKUlT_T0_E_clISt17integral_constantIbLb0EES14_EEDaSZ_S10_EUlSZ_E_NS1_11comp_targetILNS1_3genE9ELNS1_11target_archE1100ELNS1_3gpuE3ELNS1_3repE0EEENS1_30default_config_static_selectorELNS0_4arch9wavefront6targetE1EEEvT1_ ; -- Begin function _ZN7rocprim17ROCPRIM_400000_NS6detail17trampoline_kernelINS0_14default_configENS1_27scan_by_key_config_selectorIssEEZZNS1_16scan_by_key_implILNS1_25lookback_scan_determinismE0ELb0ES3_N6thrust23THRUST_200600_302600_NS6detail15normal_iteratorINS9_10device_ptrIsEEEENS9_18transform_iteratorINS9_6negateIsEESE_NS9_11use_defaultESI_EESE_sNS9_4plusIvEENS9_8equal_toIvEEsEE10hipError_tPvRmT2_T3_T4_T5_mT6_T7_P12ihipStream_tbENKUlT_T0_E_clISt17integral_constantIbLb0EES14_EEDaSZ_S10_EUlSZ_E_NS1_11comp_targetILNS1_3genE9ELNS1_11target_archE1100ELNS1_3gpuE3ELNS1_3repE0EEENS1_30default_config_static_selectorELNS0_4arch9wavefront6targetE1EEEvT1_
	.globl	_ZN7rocprim17ROCPRIM_400000_NS6detail17trampoline_kernelINS0_14default_configENS1_27scan_by_key_config_selectorIssEEZZNS1_16scan_by_key_implILNS1_25lookback_scan_determinismE0ELb0ES3_N6thrust23THRUST_200600_302600_NS6detail15normal_iteratorINS9_10device_ptrIsEEEENS9_18transform_iteratorINS9_6negateIsEESE_NS9_11use_defaultESI_EESE_sNS9_4plusIvEENS9_8equal_toIvEEsEE10hipError_tPvRmT2_T3_T4_T5_mT6_T7_P12ihipStream_tbENKUlT_T0_E_clISt17integral_constantIbLb0EES14_EEDaSZ_S10_EUlSZ_E_NS1_11comp_targetILNS1_3genE9ELNS1_11target_archE1100ELNS1_3gpuE3ELNS1_3repE0EEENS1_30default_config_static_selectorELNS0_4arch9wavefront6targetE1EEEvT1_
	.p2align	8
	.type	_ZN7rocprim17ROCPRIM_400000_NS6detail17trampoline_kernelINS0_14default_configENS1_27scan_by_key_config_selectorIssEEZZNS1_16scan_by_key_implILNS1_25lookback_scan_determinismE0ELb0ES3_N6thrust23THRUST_200600_302600_NS6detail15normal_iteratorINS9_10device_ptrIsEEEENS9_18transform_iteratorINS9_6negateIsEESE_NS9_11use_defaultESI_EESE_sNS9_4plusIvEENS9_8equal_toIvEEsEE10hipError_tPvRmT2_T3_T4_T5_mT6_T7_P12ihipStream_tbENKUlT_T0_E_clISt17integral_constantIbLb0EES14_EEDaSZ_S10_EUlSZ_E_NS1_11comp_targetILNS1_3genE9ELNS1_11target_archE1100ELNS1_3gpuE3ELNS1_3repE0EEENS1_30default_config_static_selectorELNS0_4arch9wavefront6targetE1EEEvT1_,@function
_ZN7rocprim17ROCPRIM_400000_NS6detail17trampoline_kernelINS0_14default_configENS1_27scan_by_key_config_selectorIssEEZZNS1_16scan_by_key_implILNS1_25lookback_scan_determinismE0ELb0ES3_N6thrust23THRUST_200600_302600_NS6detail15normal_iteratorINS9_10device_ptrIsEEEENS9_18transform_iteratorINS9_6negateIsEESE_NS9_11use_defaultESI_EESE_sNS9_4plusIvEENS9_8equal_toIvEEsEE10hipError_tPvRmT2_T3_T4_T5_mT6_T7_P12ihipStream_tbENKUlT_T0_E_clISt17integral_constantIbLb0EES14_EEDaSZ_S10_EUlSZ_E_NS1_11comp_targetILNS1_3genE9ELNS1_11target_archE1100ELNS1_3gpuE3ELNS1_3repE0EEENS1_30default_config_static_selectorELNS0_4arch9wavefront6targetE1EEEvT1_: ; @_ZN7rocprim17ROCPRIM_400000_NS6detail17trampoline_kernelINS0_14default_configENS1_27scan_by_key_config_selectorIssEEZZNS1_16scan_by_key_implILNS1_25lookback_scan_determinismE0ELb0ES3_N6thrust23THRUST_200600_302600_NS6detail15normal_iteratorINS9_10device_ptrIsEEEENS9_18transform_iteratorINS9_6negateIsEESE_NS9_11use_defaultESI_EESE_sNS9_4plusIvEENS9_8equal_toIvEEsEE10hipError_tPvRmT2_T3_T4_T5_mT6_T7_P12ihipStream_tbENKUlT_T0_E_clISt17integral_constantIbLb0EES14_EEDaSZ_S10_EUlSZ_E_NS1_11comp_targetILNS1_3genE9ELNS1_11target_archE1100ELNS1_3gpuE3ELNS1_3repE0EEENS1_30default_config_static_selectorELNS0_4arch9wavefront6targetE1EEEvT1_
; %bb.0:
	.section	.rodata,"a",@progbits
	.p2align	6, 0x0
	.amdhsa_kernel _ZN7rocprim17ROCPRIM_400000_NS6detail17trampoline_kernelINS0_14default_configENS1_27scan_by_key_config_selectorIssEEZZNS1_16scan_by_key_implILNS1_25lookback_scan_determinismE0ELb0ES3_N6thrust23THRUST_200600_302600_NS6detail15normal_iteratorINS9_10device_ptrIsEEEENS9_18transform_iteratorINS9_6negateIsEESE_NS9_11use_defaultESI_EESE_sNS9_4plusIvEENS9_8equal_toIvEEsEE10hipError_tPvRmT2_T3_T4_T5_mT6_T7_P12ihipStream_tbENKUlT_T0_E_clISt17integral_constantIbLb0EES14_EEDaSZ_S10_EUlSZ_E_NS1_11comp_targetILNS1_3genE9ELNS1_11target_archE1100ELNS1_3gpuE3ELNS1_3repE0EEENS1_30default_config_static_selectorELNS0_4arch9wavefront6targetE1EEEvT1_
		.amdhsa_group_segment_fixed_size 0
		.amdhsa_private_segment_fixed_size 0
		.amdhsa_kernarg_size 120
		.amdhsa_user_sgpr_count 2
		.amdhsa_user_sgpr_dispatch_ptr 0
		.amdhsa_user_sgpr_queue_ptr 0
		.amdhsa_user_sgpr_kernarg_segment_ptr 1
		.amdhsa_user_sgpr_dispatch_id 0
		.amdhsa_user_sgpr_kernarg_preload_length 0
		.amdhsa_user_sgpr_kernarg_preload_offset 0
		.amdhsa_user_sgpr_private_segment_size 0
		.amdhsa_uses_dynamic_stack 0
		.amdhsa_enable_private_segment 0
		.amdhsa_system_sgpr_workgroup_id_x 1
		.amdhsa_system_sgpr_workgroup_id_y 0
		.amdhsa_system_sgpr_workgroup_id_z 0
		.amdhsa_system_sgpr_workgroup_info 0
		.amdhsa_system_vgpr_workitem_id 0
		.amdhsa_next_free_vgpr 1
		.amdhsa_next_free_sgpr 0
		.amdhsa_accum_offset 4
		.amdhsa_reserve_vcc 0
		.amdhsa_float_round_mode_32 0
		.amdhsa_float_round_mode_16_64 0
		.amdhsa_float_denorm_mode_32 3
		.amdhsa_float_denorm_mode_16_64 3
		.amdhsa_dx10_clamp 1
		.amdhsa_ieee_mode 1
		.amdhsa_fp16_overflow 0
		.amdhsa_tg_split 0
		.amdhsa_exception_fp_ieee_invalid_op 0
		.amdhsa_exception_fp_denorm_src 0
		.amdhsa_exception_fp_ieee_div_zero 0
		.amdhsa_exception_fp_ieee_overflow 0
		.amdhsa_exception_fp_ieee_underflow 0
		.amdhsa_exception_fp_ieee_inexact 0
		.amdhsa_exception_int_div_zero 0
	.end_amdhsa_kernel
	.section	.text._ZN7rocprim17ROCPRIM_400000_NS6detail17trampoline_kernelINS0_14default_configENS1_27scan_by_key_config_selectorIssEEZZNS1_16scan_by_key_implILNS1_25lookback_scan_determinismE0ELb0ES3_N6thrust23THRUST_200600_302600_NS6detail15normal_iteratorINS9_10device_ptrIsEEEENS9_18transform_iteratorINS9_6negateIsEESE_NS9_11use_defaultESI_EESE_sNS9_4plusIvEENS9_8equal_toIvEEsEE10hipError_tPvRmT2_T3_T4_T5_mT6_T7_P12ihipStream_tbENKUlT_T0_E_clISt17integral_constantIbLb0EES14_EEDaSZ_S10_EUlSZ_E_NS1_11comp_targetILNS1_3genE9ELNS1_11target_archE1100ELNS1_3gpuE3ELNS1_3repE0EEENS1_30default_config_static_selectorELNS0_4arch9wavefront6targetE1EEEvT1_,"axG",@progbits,_ZN7rocprim17ROCPRIM_400000_NS6detail17trampoline_kernelINS0_14default_configENS1_27scan_by_key_config_selectorIssEEZZNS1_16scan_by_key_implILNS1_25lookback_scan_determinismE0ELb0ES3_N6thrust23THRUST_200600_302600_NS6detail15normal_iteratorINS9_10device_ptrIsEEEENS9_18transform_iteratorINS9_6negateIsEESE_NS9_11use_defaultESI_EESE_sNS9_4plusIvEENS9_8equal_toIvEEsEE10hipError_tPvRmT2_T3_T4_T5_mT6_T7_P12ihipStream_tbENKUlT_T0_E_clISt17integral_constantIbLb0EES14_EEDaSZ_S10_EUlSZ_E_NS1_11comp_targetILNS1_3genE9ELNS1_11target_archE1100ELNS1_3gpuE3ELNS1_3repE0EEENS1_30default_config_static_selectorELNS0_4arch9wavefront6targetE1EEEvT1_,comdat
.Lfunc_end972:
	.size	_ZN7rocprim17ROCPRIM_400000_NS6detail17trampoline_kernelINS0_14default_configENS1_27scan_by_key_config_selectorIssEEZZNS1_16scan_by_key_implILNS1_25lookback_scan_determinismE0ELb0ES3_N6thrust23THRUST_200600_302600_NS6detail15normal_iteratorINS9_10device_ptrIsEEEENS9_18transform_iteratorINS9_6negateIsEESE_NS9_11use_defaultESI_EESE_sNS9_4plusIvEENS9_8equal_toIvEEsEE10hipError_tPvRmT2_T3_T4_T5_mT6_T7_P12ihipStream_tbENKUlT_T0_E_clISt17integral_constantIbLb0EES14_EEDaSZ_S10_EUlSZ_E_NS1_11comp_targetILNS1_3genE9ELNS1_11target_archE1100ELNS1_3gpuE3ELNS1_3repE0EEENS1_30default_config_static_selectorELNS0_4arch9wavefront6targetE1EEEvT1_, .Lfunc_end972-_ZN7rocprim17ROCPRIM_400000_NS6detail17trampoline_kernelINS0_14default_configENS1_27scan_by_key_config_selectorIssEEZZNS1_16scan_by_key_implILNS1_25lookback_scan_determinismE0ELb0ES3_N6thrust23THRUST_200600_302600_NS6detail15normal_iteratorINS9_10device_ptrIsEEEENS9_18transform_iteratorINS9_6negateIsEESE_NS9_11use_defaultESI_EESE_sNS9_4plusIvEENS9_8equal_toIvEEsEE10hipError_tPvRmT2_T3_T4_T5_mT6_T7_P12ihipStream_tbENKUlT_T0_E_clISt17integral_constantIbLb0EES14_EEDaSZ_S10_EUlSZ_E_NS1_11comp_targetILNS1_3genE9ELNS1_11target_archE1100ELNS1_3gpuE3ELNS1_3repE0EEENS1_30default_config_static_selectorELNS0_4arch9wavefront6targetE1EEEvT1_
                                        ; -- End function
	.section	.AMDGPU.csdata,"",@progbits
; Kernel info:
; codeLenInByte = 0
; NumSgprs: 6
; NumVgprs: 0
; NumAgprs: 0
; TotalNumVgprs: 0
; ScratchSize: 0
; MemoryBound: 0
; FloatMode: 240
; IeeeMode: 1
; LDSByteSize: 0 bytes/workgroup (compile time only)
; SGPRBlocks: 0
; VGPRBlocks: 0
; NumSGPRsForWavesPerEU: 6
; NumVGPRsForWavesPerEU: 1
; AccumOffset: 4
; Occupancy: 8
; WaveLimiterHint : 0
; COMPUTE_PGM_RSRC2:SCRATCH_EN: 0
; COMPUTE_PGM_RSRC2:USER_SGPR: 2
; COMPUTE_PGM_RSRC2:TRAP_HANDLER: 0
; COMPUTE_PGM_RSRC2:TGID_X_EN: 1
; COMPUTE_PGM_RSRC2:TGID_Y_EN: 0
; COMPUTE_PGM_RSRC2:TGID_Z_EN: 0
; COMPUTE_PGM_RSRC2:TIDIG_COMP_CNT: 0
; COMPUTE_PGM_RSRC3_GFX90A:ACCUM_OFFSET: 0
; COMPUTE_PGM_RSRC3_GFX90A:TG_SPLIT: 0
	.section	.text._ZN7rocprim17ROCPRIM_400000_NS6detail17trampoline_kernelINS0_14default_configENS1_27scan_by_key_config_selectorIssEEZZNS1_16scan_by_key_implILNS1_25lookback_scan_determinismE0ELb0ES3_N6thrust23THRUST_200600_302600_NS6detail15normal_iteratorINS9_10device_ptrIsEEEENS9_18transform_iteratorINS9_6negateIsEESE_NS9_11use_defaultESI_EESE_sNS9_4plusIvEENS9_8equal_toIvEEsEE10hipError_tPvRmT2_T3_T4_T5_mT6_T7_P12ihipStream_tbENKUlT_T0_E_clISt17integral_constantIbLb0EES14_EEDaSZ_S10_EUlSZ_E_NS1_11comp_targetILNS1_3genE8ELNS1_11target_archE1030ELNS1_3gpuE2ELNS1_3repE0EEENS1_30default_config_static_selectorELNS0_4arch9wavefront6targetE1EEEvT1_,"axG",@progbits,_ZN7rocprim17ROCPRIM_400000_NS6detail17trampoline_kernelINS0_14default_configENS1_27scan_by_key_config_selectorIssEEZZNS1_16scan_by_key_implILNS1_25lookback_scan_determinismE0ELb0ES3_N6thrust23THRUST_200600_302600_NS6detail15normal_iteratorINS9_10device_ptrIsEEEENS9_18transform_iteratorINS9_6negateIsEESE_NS9_11use_defaultESI_EESE_sNS9_4plusIvEENS9_8equal_toIvEEsEE10hipError_tPvRmT2_T3_T4_T5_mT6_T7_P12ihipStream_tbENKUlT_T0_E_clISt17integral_constantIbLb0EES14_EEDaSZ_S10_EUlSZ_E_NS1_11comp_targetILNS1_3genE8ELNS1_11target_archE1030ELNS1_3gpuE2ELNS1_3repE0EEENS1_30default_config_static_selectorELNS0_4arch9wavefront6targetE1EEEvT1_,comdat
	.protected	_ZN7rocprim17ROCPRIM_400000_NS6detail17trampoline_kernelINS0_14default_configENS1_27scan_by_key_config_selectorIssEEZZNS1_16scan_by_key_implILNS1_25lookback_scan_determinismE0ELb0ES3_N6thrust23THRUST_200600_302600_NS6detail15normal_iteratorINS9_10device_ptrIsEEEENS9_18transform_iteratorINS9_6negateIsEESE_NS9_11use_defaultESI_EESE_sNS9_4plusIvEENS9_8equal_toIvEEsEE10hipError_tPvRmT2_T3_T4_T5_mT6_T7_P12ihipStream_tbENKUlT_T0_E_clISt17integral_constantIbLb0EES14_EEDaSZ_S10_EUlSZ_E_NS1_11comp_targetILNS1_3genE8ELNS1_11target_archE1030ELNS1_3gpuE2ELNS1_3repE0EEENS1_30default_config_static_selectorELNS0_4arch9wavefront6targetE1EEEvT1_ ; -- Begin function _ZN7rocprim17ROCPRIM_400000_NS6detail17trampoline_kernelINS0_14default_configENS1_27scan_by_key_config_selectorIssEEZZNS1_16scan_by_key_implILNS1_25lookback_scan_determinismE0ELb0ES3_N6thrust23THRUST_200600_302600_NS6detail15normal_iteratorINS9_10device_ptrIsEEEENS9_18transform_iteratorINS9_6negateIsEESE_NS9_11use_defaultESI_EESE_sNS9_4plusIvEENS9_8equal_toIvEEsEE10hipError_tPvRmT2_T3_T4_T5_mT6_T7_P12ihipStream_tbENKUlT_T0_E_clISt17integral_constantIbLb0EES14_EEDaSZ_S10_EUlSZ_E_NS1_11comp_targetILNS1_3genE8ELNS1_11target_archE1030ELNS1_3gpuE2ELNS1_3repE0EEENS1_30default_config_static_selectorELNS0_4arch9wavefront6targetE1EEEvT1_
	.globl	_ZN7rocprim17ROCPRIM_400000_NS6detail17trampoline_kernelINS0_14default_configENS1_27scan_by_key_config_selectorIssEEZZNS1_16scan_by_key_implILNS1_25lookback_scan_determinismE0ELb0ES3_N6thrust23THRUST_200600_302600_NS6detail15normal_iteratorINS9_10device_ptrIsEEEENS9_18transform_iteratorINS9_6negateIsEESE_NS9_11use_defaultESI_EESE_sNS9_4plusIvEENS9_8equal_toIvEEsEE10hipError_tPvRmT2_T3_T4_T5_mT6_T7_P12ihipStream_tbENKUlT_T0_E_clISt17integral_constantIbLb0EES14_EEDaSZ_S10_EUlSZ_E_NS1_11comp_targetILNS1_3genE8ELNS1_11target_archE1030ELNS1_3gpuE2ELNS1_3repE0EEENS1_30default_config_static_selectorELNS0_4arch9wavefront6targetE1EEEvT1_
	.p2align	8
	.type	_ZN7rocprim17ROCPRIM_400000_NS6detail17trampoline_kernelINS0_14default_configENS1_27scan_by_key_config_selectorIssEEZZNS1_16scan_by_key_implILNS1_25lookback_scan_determinismE0ELb0ES3_N6thrust23THRUST_200600_302600_NS6detail15normal_iteratorINS9_10device_ptrIsEEEENS9_18transform_iteratorINS9_6negateIsEESE_NS9_11use_defaultESI_EESE_sNS9_4plusIvEENS9_8equal_toIvEEsEE10hipError_tPvRmT2_T3_T4_T5_mT6_T7_P12ihipStream_tbENKUlT_T0_E_clISt17integral_constantIbLb0EES14_EEDaSZ_S10_EUlSZ_E_NS1_11comp_targetILNS1_3genE8ELNS1_11target_archE1030ELNS1_3gpuE2ELNS1_3repE0EEENS1_30default_config_static_selectorELNS0_4arch9wavefront6targetE1EEEvT1_,@function
_ZN7rocprim17ROCPRIM_400000_NS6detail17trampoline_kernelINS0_14default_configENS1_27scan_by_key_config_selectorIssEEZZNS1_16scan_by_key_implILNS1_25lookback_scan_determinismE0ELb0ES3_N6thrust23THRUST_200600_302600_NS6detail15normal_iteratorINS9_10device_ptrIsEEEENS9_18transform_iteratorINS9_6negateIsEESE_NS9_11use_defaultESI_EESE_sNS9_4plusIvEENS9_8equal_toIvEEsEE10hipError_tPvRmT2_T3_T4_T5_mT6_T7_P12ihipStream_tbENKUlT_T0_E_clISt17integral_constantIbLb0EES14_EEDaSZ_S10_EUlSZ_E_NS1_11comp_targetILNS1_3genE8ELNS1_11target_archE1030ELNS1_3gpuE2ELNS1_3repE0EEENS1_30default_config_static_selectorELNS0_4arch9wavefront6targetE1EEEvT1_: ; @_ZN7rocprim17ROCPRIM_400000_NS6detail17trampoline_kernelINS0_14default_configENS1_27scan_by_key_config_selectorIssEEZZNS1_16scan_by_key_implILNS1_25lookback_scan_determinismE0ELb0ES3_N6thrust23THRUST_200600_302600_NS6detail15normal_iteratorINS9_10device_ptrIsEEEENS9_18transform_iteratorINS9_6negateIsEESE_NS9_11use_defaultESI_EESE_sNS9_4plusIvEENS9_8equal_toIvEEsEE10hipError_tPvRmT2_T3_T4_T5_mT6_T7_P12ihipStream_tbENKUlT_T0_E_clISt17integral_constantIbLb0EES14_EEDaSZ_S10_EUlSZ_E_NS1_11comp_targetILNS1_3genE8ELNS1_11target_archE1030ELNS1_3gpuE2ELNS1_3repE0EEENS1_30default_config_static_selectorELNS0_4arch9wavefront6targetE1EEEvT1_
; %bb.0:
	.section	.rodata,"a",@progbits
	.p2align	6, 0x0
	.amdhsa_kernel _ZN7rocprim17ROCPRIM_400000_NS6detail17trampoline_kernelINS0_14default_configENS1_27scan_by_key_config_selectorIssEEZZNS1_16scan_by_key_implILNS1_25lookback_scan_determinismE0ELb0ES3_N6thrust23THRUST_200600_302600_NS6detail15normal_iteratorINS9_10device_ptrIsEEEENS9_18transform_iteratorINS9_6negateIsEESE_NS9_11use_defaultESI_EESE_sNS9_4plusIvEENS9_8equal_toIvEEsEE10hipError_tPvRmT2_T3_T4_T5_mT6_T7_P12ihipStream_tbENKUlT_T0_E_clISt17integral_constantIbLb0EES14_EEDaSZ_S10_EUlSZ_E_NS1_11comp_targetILNS1_3genE8ELNS1_11target_archE1030ELNS1_3gpuE2ELNS1_3repE0EEENS1_30default_config_static_selectorELNS0_4arch9wavefront6targetE1EEEvT1_
		.amdhsa_group_segment_fixed_size 0
		.amdhsa_private_segment_fixed_size 0
		.amdhsa_kernarg_size 120
		.amdhsa_user_sgpr_count 2
		.amdhsa_user_sgpr_dispatch_ptr 0
		.amdhsa_user_sgpr_queue_ptr 0
		.amdhsa_user_sgpr_kernarg_segment_ptr 1
		.amdhsa_user_sgpr_dispatch_id 0
		.amdhsa_user_sgpr_kernarg_preload_length 0
		.amdhsa_user_sgpr_kernarg_preload_offset 0
		.amdhsa_user_sgpr_private_segment_size 0
		.amdhsa_uses_dynamic_stack 0
		.amdhsa_enable_private_segment 0
		.amdhsa_system_sgpr_workgroup_id_x 1
		.amdhsa_system_sgpr_workgroup_id_y 0
		.amdhsa_system_sgpr_workgroup_id_z 0
		.amdhsa_system_sgpr_workgroup_info 0
		.amdhsa_system_vgpr_workitem_id 0
		.amdhsa_next_free_vgpr 1
		.amdhsa_next_free_sgpr 0
		.amdhsa_accum_offset 4
		.amdhsa_reserve_vcc 0
		.amdhsa_float_round_mode_32 0
		.amdhsa_float_round_mode_16_64 0
		.amdhsa_float_denorm_mode_32 3
		.amdhsa_float_denorm_mode_16_64 3
		.amdhsa_dx10_clamp 1
		.amdhsa_ieee_mode 1
		.amdhsa_fp16_overflow 0
		.amdhsa_tg_split 0
		.amdhsa_exception_fp_ieee_invalid_op 0
		.amdhsa_exception_fp_denorm_src 0
		.amdhsa_exception_fp_ieee_div_zero 0
		.amdhsa_exception_fp_ieee_overflow 0
		.amdhsa_exception_fp_ieee_underflow 0
		.amdhsa_exception_fp_ieee_inexact 0
		.amdhsa_exception_int_div_zero 0
	.end_amdhsa_kernel
	.section	.text._ZN7rocprim17ROCPRIM_400000_NS6detail17trampoline_kernelINS0_14default_configENS1_27scan_by_key_config_selectorIssEEZZNS1_16scan_by_key_implILNS1_25lookback_scan_determinismE0ELb0ES3_N6thrust23THRUST_200600_302600_NS6detail15normal_iteratorINS9_10device_ptrIsEEEENS9_18transform_iteratorINS9_6negateIsEESE_NS9_11use_defaultESI_EESE_sNS9_4plusIvEENS9_8equal_toIvEEsEE10hipError_tPvRmT2_T3_T4_T5_mT6_T7_P12ihipStream_tbENKUlT_T0_E_clISt17integral_constantIbLb0EES14_EEDaSZ_S10_EUlSZ_E_NS1_11comp_targetILNS1_3genE8ELNS1_11target_archE1030ELNS1_3gpuE2ELNS1_3repE0EEENS1_30default_config_static_selectorELNS0_4arch9wavefront6targetE1EEEvT1_,"axG",@progbits,_ZN7rocprim17ROCPRIM_400000_NS6detail17trampoline_kernelINS0_14default_configENS1_27scan_by_key_config_selectorIssEEZZNS1_16scan_by_key_implILNS1_25lookback_scan_determinismE0ELb0ES3_N6thrust23THRUST_200600_302600_NS6detail15normal_iteratorINS9_10device_ptrIsEEEENS9_18transform_iteratorINS9_6negateIsEESE_NS9_11use_defaultESI_EESE_sNS9_4plusIvEENS9_8equal_toIvEEsEE10hipError_tPvRmT2_T3_T4_T5_mT6_T7_P12ihipStream_tbENKUlT_T0_E_clISt17integral_constantIbLb0EES14_EEDaSZ_S10_EUlSZ_E_NS1_11comp_targetILNS1_3genE8ELNS1_11target_archE1030ELNS1_3gpuE2ELNS1_3repE0EEENS1_30default_config_static_selectorELNS0_4arch9wavefront6targetE1EEEvT1_,comdat
.Lfunc_end973:
	.size	_ZN7rocprim17ROCPRIM_400000_NS6detail17trampoline_kernelINS0_14default_configENS1_27scan_by_key_config_selectorIssEEZZNS1_16scan_by_key_implILNS1_25lookback_scan_determinismE0ELb0ES3_N6thrust23THRUST_200600_302600_NS6detail15normal_iteratorINS9_10device_ptrIsEEEENS9_18transform_iteratorINS9_6negateIsEESE_NS9_11use_defaultESI_EESE_sNS9_4plusIvEENS9_8equal_toIvEEsEE10hipError_tPvRmT2_T3_T4_T5_mT6_T7_P12ihipStream_tbENKUlT_T0_E_clISt17integral_constantIbLb0EES14_EEDaSZ_S10_EUlSZ_E_NS1_11comp_targetILNS1_3genE8ELNS1_11target_archE1030ELNS1_3gpuE2ELNS1_3repE0EEENS1_30default_config_static_selectorELNS0_4arch9wavefront6targetE1EEEvT1_, .Lfunc_end973-_ZN7rocprim17ROCPRIM_400000_NS6detail17trampoline_kernelINS0_14default_configENS1_27scan_by_key_config_selectorIssEEZZNS1_16scan_by_key_implILNS1_25lookback_scan_determinismE0ELb0ES3_N6thrust23THRUST_200600_302600_NS6detail15normal_iteratorINS9_10device_ptrIsEEEENS9_18transform_iteratorINS9_6negateIsEESE_NS9_11use_defaultESI_EESE_sNS9_4plusIvEENS9_8equal_toIvEEsEE10hipError_tPvRmT2_T3_T4_T5_mT6_T7_P12ihipStream_tbENKUlT_T0_E_clISt17integral_constantIbLb0EES14_EEDaSZ_S10_EUlSZ_E_NS1_11comp_targetILNS1_3genE8ELNS1_11target_archE1030ELNS1_3gpuE2ELNS1_3repE0EEENS1_30default_config_static_selectorELNS0_4arch9wavefront6targetE1EEEvT1_
                                        ; -- End function
	.section	.AMDGPU.csdata,"",@progbits
; Kernel info:
; codeLenInByte = 0
; NumSgprs: 6
; NumVgprs: 0
; NumAgprs: 0
; TotalNumVgprs: 0
; ScratchSize: 0
; MemoryBound: 0
; FloatMode: 240
; IeeeMode: 1
; LDSByteSize: 0 bytes/workgroup (compile time only)
; SGPRBlocks: 0
; VGPRBlocks: 0
; NumSGPRsForWavesPerEU: 6
; NumVGPRsForWavesPerEU: 1
; AccumOffset: 4
; Occupancy: 8
; WaveLimiterHint : 0
; COMPUTE_PGM_RSRC2:SCRATCH_EN: 0
; COMPUTE_PGM_RSRC2:USER_SGPR: 2
; COMPUTE_PGM_RSRC2:TRAP_HANDLER: 0
; COMPUTE_PGM_RSRC2:TGID_X_EN: 1
; COMPUTE_PGM_RSRC2:TGID_Y_EN: 0
; COMPUTE_PGM_RSRC2:TGID_Z_EN: 0
; COMPUTE_PGM_RSRC2:TIDIG_COMP_CNT: 0
; COMPUTE_PGM_RSRC3_GFX90A:ACCUM_OFFSET: 0
; COMPUTE_PGM_RSRC3_GFX90A:TG_SPLIT: 0
	.section	.text._ZN7rocprim17ROCPRIM_400000_NS6detail17trampoline_kernelINS0_14default_configENS1_27scan_by_key_config_selectorIssEEZZNS1_16scan_by_key_implILNS1_25lookback_scan_determinismE0ELb0ES3_N6thrust23THRUST_200600_302600_NS6detail15normal_iteratorINS9_10device_ptrIsEEEENS9_18transform_iteratorINS9_6negateIsEESE_NS9_11use_defaultESI_EESE_sNS9_4plusIvEENS9_8equal_toIvEEsEE10hipError_tPvRmT2_T3_T4_T5_mT6_T7_P12ihipStream_tbENKUlT_T0_E_clISt17integral_constantIbLb1EES14_EEDaSZ_S10_EUlSZ_E_NS1_11comp_targetILNS1_3genE0ELNS1_11target_archE4294967295ELNS1_3gpuE0ELNS1_3repE0EEENS1_30default_config_static_selectorELNS0_4arch9wavefront6targetE1EEEvT1_,"axG",@progbits,_ZN7rocprim17ROCPRIM_400000_NS6detail17trampoline_kernelINS0_14default_configENS1_27scan_by_key_config_selectorIssEEZZNS1_16scan_by_key_implILNS1_25lookback_scan_determinismE0ELb0ES3_N6thrust23THRUST_200600_302600_NS6detail15normal_iteratorINS9_10device_ptrIsEEEENS9_18transform_iteratorINS9_6negateIsEESE_NS9_11use_defaultESI_EESE_sNS9_4plusIvEENS9_8equal_toIvEEsEE10hipError_tPvRmT2_T3_T4_T5_mT6_T7_P12ihipStream_tbENKUlT_T0_E_clISt17integral_constantIbLb1EES14_EEDaSZ_S10_EUlSZ_E_NS1_11comp_targetILNS1_3genE0ELNS1_11target_archE4294967295ELNS1_3gpuE0ELNS1_3repE0EEENS1_30default_config_static_selectorELNS0_4arch9wavefront6targetE1EEEvT1_,comdat
	.protected	_ZN7rocprim17ROCPRIM_400000_NS6detail17trampoline_kernelINS0_14default_configENS1_27scan_by_key_config_selectorIssEEZZNS1_16scan_by_key_implILNS1_25lookback_scan_determinismE0ELb0ES3_N6thrust23THRUST_200600_302600_NS6detail15normal_iteratorINS9_10device_ptrIsEEEENS9_18transform_iteratorINS9_6negateIsEESE_NS9_11use_defaultESI_EESE_sNS9_4plusIvEENS9_8equal_toIvEEsEE10hipError_tPvRmT2_T3_T4_T5_mT6_T7_P12ihipStream_tbENKUlT_T0_E_clISt17integral_constantIbLb1EES14_EEDaSZ_S10_EUlSZ_E_NS1_11comp_targetILNS1_3genE0ELNS1_11target_archE4294967295ELNS1_3gpuE0ELNS1_3repE0EEENS1_30default_config_static_selectorELNS0_4arch9wavefront6targetE1EEEvT1_ ; -- Begin function _ZN7rocprim17ROCPRIM_400000_NS6detail17trampoline_kernelINS0_14default_configENS1_27scan_by_key_config_selectorIssEEZZNS1_16scan_by_key_implILNS1_25lookback_scan_determinismE0ELb0ES3_N6thrust23THRUST_200600_302600_NS6detail15normal_iteratorINS9_10device_ptrIsEEEENS9_18transform_iteratorINS9_6negateIsEESE_NS9_11use_defaultESI_EESE_sNS9_4plusIvEENS9_8equal_toIvEEsEE10hipError_tPvRmT2_T3_T4_T5_mT6_T7_P12ihipStream_tbENKUlT_T0_E_clISt17integral_constantIbLb1EES14_EEDaSZ_S10_EUlSZ_E_NS1_11comp_targetILNS1_3genE0ELNS1_11target_archE4294967295ELNS1_3gpuE0ELNS1_3repE0EEENS1_30default_config_static_selectorELNS0_4arch9wavefront6targetE1EEEvT1_
	.globl	_ZN7rocprim17ROCPRIM_400000_NS6detail17trampoline_kernelINS0_14default_configENS1_27scan_by_key_config_selectorIssEEZZNS1_16scan_by_key_implILNS1_25lookback_scan_determinismE0ELb0ES3_N6thrust23THRUST_200600_302600_NS6detail15normal_iteratorINS9_10device_ptrIsEEEENS9_18transform_iteratorINS9_6negateIsEESE_NS9_11use_defaultESI_EESE_sNS9_4plusIvEENS9_8equal_toIvEEsEE10hipError_tPvRmT2_T3_T4_T5_mT6_T7_P12ihipStream_tbENKUlT_T0_E_clISt17integral_constantIbLb1EES14_EEDaSZ_S10_EUlSZ_E_NS1_11comp_targetILNS1_3genE0ELNS1_11target_archE4294967295ELNS1_3gpuE0ELNS1_3repE0EEENS1_30default_config_static_selectorELNS0_4arch9wavefront6targetE1EEEvT1_
	.p2align	8
	.type	_ZN7rocprim17ROCPRIM_400000_NS6detail17trampoline_kernelINS0_14default_configENS1_27scan_by_key_config_selectorIssEEZZNS1_16scan_by_key_implILNS1_25lookback_scan_determinismE0ELb0ES3_N6thrust23THRUST_200600_302600_NS6detail15normal_iteratorINS9_10device_ptrIsEEEENS9_18transform_iteratorINS9_6negateIsEESE_NS9_11use_defaultESI_EESE_sNS9_4plusIvEENS9_8equal_toIvEEsEE10hipError_tPvRmT2_T3_T4_T5_mT6_T7_P12ihipStream_tbENKUlT_T0_E_clISt17integral_constantIbLb1EES14_EEDaSZ_S10_EUlSZ_E_NS1_11comp_targetILNS1_3genE0ELNS1_11target_archE4294967295ELNS1_3gpuE0ELNS1_3repE0EEENS1_30default_config_static_selectorELNS0_4arch9wavefront6targetE1EEEvT1_,@function
_ZN7rocprim17ROCPRIM_400000_NS6detail17trampoline_kernelINS0_14default_configENS1_27scan_by_key_config_selectorIssEEZZNS1_16scan_by_key_implILNS1_25lookback_scan_determinismE0ELb0ES3_N6thrust23THRUST_200600_302600_NS6detail15normal_iteratorINS9_10device_ptrIsEEEENS9_18transform_iteratorINS9_6negateIsEESE_NS9_11use_defaultESI_EESE_sNS9_4plusIvEENS9_8equal_toIvEEsEE10hipError_tPvRmT2_T3_T4_T5_mT6_T7_P12ihipStream_tbENKUlT_T0_E_clISt17integral_constantIbLb1EES14_EEDaSZ_S10_EUlSZ_E_NS1_11comp_targetILNS1_3genE0ELNS1_11target_archE4294967295ELNS1_3gpuE0ELNS1_3repE0EEENS1_30default_config_static_selectorELNS0_4arch9wavefront6targetE1EEEvT1_: ; @_ZN7rocprim17ROCPRIM_400000_NS6detail17trampoline_kernelINS0_14default_configENS1_27scan_by_key_config_selectorIssEEZZNS1_16scan_by_key_implILNS1_25lookback_scan_determinismE0ELb0ES3_N6thrust23THRUST_200600_302600_NS6detail15normal_iteratorINS9_10device_ptrIsEEEENS9_18transform_iteratorINS9_6negateIsEESE_NS9_11use_defaultESI_EESE_sNS9_4plusIvEENS9_8equal_toIvEEsEE10hipError_tPvRmT2_T3_T4_T5_mT6_T7_P12ihipStream_tbENKUlT_T0_E_clISt17integral_constantIbLb1EES14_EEDaSZ_S10_EUlSZ_E_NS1_11comp_targetILNS1_3genE0ELNS1_11target_archE4294967295ELNS1_3gpuE0ELNS1_3repE0EEENS1_30default_config_static_selectorELNS0_4arch9wavefront6targetE1EEEvT1_
; %bb.0:
	.section	.rodata,"a",@progbits
	.p2align	6, 0x0
	.amdhsa_kernel _ZN7rocprim17ROCPRIM_400000_NS6detail17trampoline_kernelINS0_14default_configENS1_27scan_by_key_config_selectorIssEEZZNS1_16scan_by_key_implILNS1_25lookback_scan_determinismE0ELb0ES3_N6thrust23THRUST_200600_302600_NS6detail15normal_iteratorINS9_10device_ptrIsEEEENS9_18transform_iteratorINS9_6negateIsEESE_NS9_11use_defaultESI_EESE_sNS9_4plusIvEENS9_8equal_toIvEEsEE10hipError_tPvRmT2_T3_T4_T5_mT6_T7_P12ihipStream_tbENKUlT_T0_E_clISt17integral_constantIbLb1EES14_EEDaSZ_S10_EUlSZ_E_NS1_11comp_targetILNS1_3genE0ELNS1_11target_archE4294967295ELNS1_3gpuE0ELNS1_3repE0EEENS1_30default_config_static_selectorELNS0_4arch9wavefront6targetE1EEEvT1_
		.amdhsa_group_segment_fixed_size 0
		.amdhsa_private_segment_fixed_size 0
		.amdhsa_kernarg_size 120
		.amdhsa_user_sgpr_count 2
		.amdhsa_user_sgpr_dispatch_ptr 0
		.amdhsa_user_sgpr_queue_ptr 0
		.amdhsa_user_sgpr_kernarg_segment_ptr 1
		.amdhsa_user_sgpr_dispatch_id 0
		.amdhsa_user_sgpr_kernarg_preload_length 0
		.amdhsa_user_sgpr_kernarg_preload_offset 0
		.amdhsa_user_sgpr_private_segment_size 0
		.amdhsa_uses_dynamic_stack 0
		.amdhsa_enable_private_segment 0
		.amdhsa_system_sgpr_workgroup_id_x 1
		.amdhsa_system_sgpr_workgroup_id_y 0
		.amdhsa_system_sgpr_workgroup_id_z 0
		.amdhsa_system_sgpr_workgroup_info 0
		.amdhsa_system_vgpr_workitem_id 0
		.amdhsa_next_free_vgpr 1
		.amdhsa_next_free_sgpr 0
		.amdhsa_accum_offset 4
		.amdhsa_reserve_vcc 0
		.amdhsa_float_round_mode_32 0
		.amdhsa_float_round_mode_16_64 0
		.amdhsa_float_denorm_mode_32 3
		.amdhsa_float_denorm_mode_16_64 3
		.amdhsa_dx10_clamp 1
		.amdhsa_ieee_mode 1
		.amdhsa_fp16_overflow 0
		.amdhsa_tg_split 0
		.amdhsa_exception_fp_ieee_invalid_op 0
		.amdhsa_exception_fp_denorm_src 0
		.amdhsa_exception_fp_ieee_div_zero 0
		.amdhsa_exception_fp_ieee_overflow 0
		.amdhsa_exception_fp_ieee_underflow 0
		.amdhsa_exception_fp_ieee_inexact 0
		.amdhsa_exception_int_div_zero 0
	.end_amdhsa_kernel
	.section	.text._ZN7rocprim17ROCPRIM_400000_NS6detail17trampoline_kernelINS0_14default_configENS1_27scan_by_key_config_selectorIssEEZZNS1_16scan_by_key_implILNS1_25lookback_scan_determinismE0ELb0ES3_N6thrust23THRUST_200600_302600_NS6detail15normal_iteratorINS9_10device_ptrIsEEEENS9_18transform_iteratorINS9_6negateIsEESE_NS9_11use_defaultESI_EESE_sNS9_4plusIvEENS9_8equal_toIvEEsEE10hipError_tPvRmT2_T3_T4_T5_mT6_T7_P12ihipStream_tbENKUlT_T0_E_clISt17integral_constantIbLb1EES14_EEDaSZ_S10_EUlSZ_E_NS1_11comp_targetILNS1_3genE0ELNS1_11target_archE4294967295ELNS1_3gpuE0ELNS1_3repE0EEENS1_30default_config_static_selectorELNS0_4arch9wavefront6targetE1EEEvT1_,"axG",@progbits,_ZN7rocprim17ROCPRIM_400000_NS6detail17trampoline_kernelINS0_14default_configENS1_27scan_by_key_config_selectorIssEEZZNS1_16scan_by_key_implILNS1_25lookback_scan_determinismE0ELb0ES3_N6thrust23THRUST_200600_302600_NS6detail15normal_iteratorINS9_10device_ptrIsEEEENS9_18transform_iteratorINS9_6negateIsEESE_NS9_11use_defaultESI_EESE_sNS9_4plusIvEENS9_8equal_toIvEEsEE10hipError_tPvRmT2_T3_T4_T5_mT6_T7_P12ihipStream_tbENKUlT_T0_E_clISt17integral_constantIbLb1EES14_EEDaSZ_S10_EUlSZ_E_NS1_11comp_targetILNS1_3genE0ELNS1_11target_archE4294967295ELNS1_3gpuE0ELNS1_3repE0EEENS1_30default_config_static_selectorELNS0_4arch9wavefront6targetE1EEEvT1_,comdat
.Lfunc_end974:
	.size	_ZN7rocprim17ROCPRIM_400000_NS6detail17trampoline_kernelINS0_14default_configENS1_27scan_by_key_config_selectorIssEEZZNS1_16scan_by_key_implILNS1_25lookback_scan_determinismE0ELb0ES3_N6thrust23THRUST_200600_302600_NS6detail15normal_iteratorINS9_10device_ptrIsEEEENS9_18transform_iteratorINS9_6negateIsEESE_NS9_11use_defaultESI_EESE_sNS9_4plusIvEENS9_8equal_toIvEEsEE10hipError_tPvRmT2_T3_T4_T5_mT6_T7_P12ihipStream_tbENKUlT_T0_E_clISt17integral_constantIbLb1EES14_EEDaSZ_S10_EUlSZ_E_NS1_11comp_targetILNS1_3genE0ELNS1_11target_archE4294967295ELNS1_3gpuE0ELNS1_3repE0EEENS1_30default_config_static_selectorELNS0_4arch9wavefront6targetE1EEEvT1_, .Lfunc_end974-_ZN7rocprim17ROCPRIM_400000_NS6detail17trampoline_kernelINS0_14default_configENS1_27scan_by_key_config_selectorIssEEZZNS1_16scan_by_key_implILNS1_25lookback_scan_determinismE0ELb0ES3_N6thrust23THRUST_200600_302600_NS6detail15normal_iteratorINS9_10device_ptrIsEEEENS9_18transform_iteratorINS9_6negateIsEESE_NS9_11use_defaultESI_EESE_sNS9_4plusIvEENS9_8equal_toIvEEsEE10hipError_tPvRmT2_T3_T4_T5_mT6_T7_P12ihipStream_tbENKUlT_T0_E_clISt17integral_constantIbLb1EES14_EEDaSZ_S10_EUlSZ_E_NS1_11comp_targetILNS1_3genE0ELNS1_11target_archE4294967295ELNS1_3gpuE0ELNS1_3repE0EEENS1_30default_config_static_selectorELNS0_4arch9wavefront6targetE1EEEvT1_
                                        ; -- End function
	.section	.AMDGPU.csdata,"",@progbits
; Kernel info:
; codeLenInByte = 0
; NumSgprs: 6
; NumVgprs: 0
; NumAgprs: 0
; TotalNumVgprs: 0
; ScratchSize: 0
; MemoryBound: 0
; FloatMode: 240
; IeeeMode: 1
; LDSByteSize: 0 bytes/workgroup (compile time only)
; SGPRBlocks: 0
; VGPRBlocks: 0
; NumSGPRsForWavesPerEU: 6
; NumVGPRsForWavesPerEU: 1
; AccumOffset: 4
; Occupancy: 8
; WaveLimiterHint : 0
; COMPUTE_PGM_RSRC2:SCRATCH_EN: 0
; COMPUTE_PGM_RSRC2:USER_SGPR: 2
; COMPUTE_PGM_RSRC2:TRAP_HANDLER: 0
; COMPUTE_PGM_RSRC2:TGID_X_EN: 1
; COMPUTE_PGM_RSRC2:TGID_Y_EN: 0
; COMPUTE_PGM_RSRC2:TGID_Z_EN: 0
; COMPUTE_PGM_RSRC2:TIDIG_COMP_CNT: 0
; COMPUTE_PGM_RSRC3_GFX90A:ACCUM_OFFSET: 0
; COMPUTE_PGM_RSRC3_GFX90A:TG_SPLIT: 0
	.section	.text._ZN7rocprim17ROCPRIM_400000_NS6detail17trampoline_kernelINS0_14default_configENS1_27scan_by_key_config_selectorIssEEZZNS1_16scan_by_key_implILNS1_25lookback_scan_determinismE0ELb0ES3_N6thrust23THRUST_200600_302600_NS6detail15normal_iteratorINS9_10device_ptrIsEEEENS9_18transform_iteratorINS9_6negateIsEESE_NS9_11use_defaultESI_EESE_sNS9_4plusIvEENS9_8equal_toIvEEsEE10hipError_tPvRmT2_T3_T4_T5_mT6_T7_P12ihipStream_tbENKUlT_T0_E_clISt17integral_constantIbLb1EES14_EEDaSZ_S10_EUlSZ_E_NS1_11comp_targetILNS1_3genE10ELNS1_11target_archE1201ELNS1_3gpuE5ELNS1_3repE0EEENS1_30default_config_static_selectorELNS0_4arch9wavefront6targetE1EEEvT1_,"axG",@progbits,_ZN7rocprim17ROCPRIM_400000_NS6detail17trampoline_kernelINS0_14default_configENS1_27scan_by_key_config_selectorIssEEZZNS1_16scan_by_key_implILNS1_25lookback_scan_determinismE0ELb0ES3_N6thrust23THRUST_200600_302600_NS6detail15normal_iteratorINS9_10device_ptrIsEEEENS9_18transform_iteratorINS9_6negateIsEESE_NS9_11use_defaultESI_EESE_sNS9_4plusIvEENS9_8equal_toIvEEsEE10hipError_tPvRmT2_T3_T4_T5_mT6_T7_P12ihipStream_tbENKUlT_T0_E_clISt17integral_constantIbLb1EES14_EEDaSZ_S10_EUlSZ_E_NS1_11comp_targetILNS1_3genE10ELNS1_11target_archE1201ELNS1_3gpuE5ELNS1_3repE0EEENS1_30default_config_static_selectorELNS0_4arch9wavefront6targetE1EEEvT1_,comdat
	.protected	_ZN7rocprim17ROCPRIM_400000_NS6detail17trampoline_kernelINS0_14default_configENS1_27scan_by_key_config_selectorIssEEZZNS1_16scan_by_key_implILNS1_25lookback_scan_determinismE0ELb0ES3_N6thrust23THRUST_200600_302600_NS6detail15normal_iteratorINS9_10device_ptrIsEEEENS9_18transform_iteratorINS9_6negateIsEESE_NS9_11use_defaultESI_EESE_sNS9_4plusIvEENS9_8equal_toIvEEsEE10hipError_tPvRmT2_T3_T4_T5_mT6_T7_P12ihipStream_tbENKUlT_T0_E_clISt17integral_constantIbLb1EES14_EEDaSZ_S10_EUlSZ_E_NS1_11comp_targetILNS1_3genE10ELNS1_11target_archE1201ELNS1_3gpuE5ELNS1_3repE0EEENS1_30default_config_static_selectorELNS0_4arch9wavefront6targetE1EEEvT1_ ; -- Begin function _ZN7rocprim17ROCPRIM_400000_NS6detail17trampoline_kernelINS0_14default_configENS1_27scan_by_key_config_selectorIssEEZZNS1_16scan_by_key_implILNS1_25lookback_scan_determinismE0ELb0ES3_N6thrust23THRUST_200600_302600_NS6detail15normal_iteratorINS9_10device_ptrIsEEEENS9_18transform_iteratorINS9_6negateIsEESE_NS9_11use_defaultESI_EESE_sNS9_4plusIvEENS9_8equal_toIvEEsEE10hipError_tPvRmT2_T3_T4_T5_mT6_T7_P12ihipStream_tbENKUlT_T0_E_clISt17integral_constantIbLb1EES14_EEDaSZ_S10_EUlSZ_E_NS1_11comp_targetILNS1_3genE10ELNS1_11target_archE1201ELNS1_3gpuE5ELNS1_3repE0EEENS1_30default_config_static_selectorELNS0_4arch9wavefront6targetE1EEEvT1_
	.globl	_ZN7rocprim17ROCPRIM_400000_NS6detail17trampoline_kernelINS0_14default_configENS1_27scan_by_key_config_selectorIssEEZZNS1_16scan_by_key_implILNS1_25lookback_scan_determinismE0ELb0ES3_N6thrust23THRUST_200600_302600_NS6detail15normal_iteratorINS9_10device_ptrIsEEEENS9_18transform_iteratorINS9_6negateIsEESE_NS9_11use_defaultESI_EESE_sNS9_4plusIvEENS9_8equal_toIvEEsEE10hipError_tPvRmT2_T3_T4_T5_mT6_T7_P12ihipStream_tbENKUlT_T0_E_clISt17integral_constantIbLb1EES14_EEDaSZ_S10_EUlSZ_E_NS1_11comp_targetILNS1_3genE10ELNS1_11target_archE1201ELNS1_3gpuE5ELNS1_3repE0EEENS1_30default_config_static_selectorELNS0_4arch9wavefront6targetE1EEEvT1_
	.p2align	8
	.type	_ZN7rocprim17ROCPRIM_400000_NS6detail17trampoline_kernelINS0_14default_configENS1_27scan_by_key_config_selectorIssEEZZNS1_16scan_by_key_implILNS1_25lookback_scan_determinismE0ELb0ES3_N6thrust23THRUST_200600_302600_NS6detail15normal_iteratorINS9_10device_ptrIsEEEENS9_18transform_iteratorINS9_6negateIsEESE_NS9_11use_defaultESI_EESE_sNS9_4plusIvEENS9_8equal_toIvEEsEE10hipError_tPvRmT2_T3_T4_T5_mT6_T7_P12ihipStream_tbENKUlT_T0_E_clISt17integral_constantIbLb1EES14_EEDaSZ_S10_EUlSZ_E_NS1_11comp_targetILNS1_3genE10ELNS1_11target_archE1201ELNS1_3gpuE5ELNS1_3repE0EEENS1_30default_config_static_selectorELNS0_4arch9wavefront6targetE1EEEvT1_,@function
_ZN7rocprim17ROCPRIM_400000_NS6detail17trampoline_kernelINS0_14default_configENS1_27scan_by_key_config_selectorIssEEZZNS1_16scan_by_key_implILNS1_25lookback_scan_determinismE0ELb0ES3_N6thrust23THRUST_200600_302600_NS6detail15normal_iteratorINS9_10device_ptrIsEEEENS9_18transform_iteratorINS9_6negateIsEESE_NS9_11use_defaultESI_EESE_sNS9_4plusIvEENS9_8equal_toIvEEsEE10hipError_tPvRmT2_T3_T4_T5_mT6_T7_P12ihipStream_tbENKUlT_T0_E_clISt17integral_constantIbLb1EES14_EEDaSZ_S10_EUlSZ_E_NS1_11comp_targetILNS1_3genE10ELNS1_11target_archE1201ELNS1_3gpuE5ELNS1_3repE0EEENS1_30default_config_static_selectorELNS0_4arch9wavefront6targetE1EEEvT1_: ; @_ZN7rocprim17ROCPRIM_400000_NS6detail17trampoline_kernelINS0_14default_configENS1_27scan_by_key_config_selectorIssEEZZNS1_16scan_by_key_implILNS1_25lookback_scan_determinismE0ELb0ES3_N6thrust23THRUST_200600_302600_NS6detail15normal_iteratorINS9_10device_ptrIsEEEENS9_18transform_iteratorINS9_6negateIsEESE_NS9_11use_defaultESI_EESE_sNS9_4plusIvEENS9_8equal_toIvEEsEE10hipError_tPvRmT2_T3_T4_T5_mT6_T7_P12ihipStream_tbENKUlT_T0_E_clISt17integral_constantIbLb1EES14_EEDaSZ_S10_EUlSZ_E_NS1_11comp_targetILNS1_3genE10ELNS1_11target_archE1201ELNS1_3gpuE5ELNS1_3repE0EEENS1_30default_config_static_selectorELNS0_4arch9wavefront6targetE1EEEvT1_
; %bb.0:
	.section	.rodata,"a",@progbits
	.p2align	6, 0x0
	.amdhsa_kernel _ZN7rocprim17ROCPRIM_400000_NS6detail17trampoline_kernelINS0_14default_configENS1_27scan_by_key_config_selectorIssEEZZNS1_16scan_by_key_implILNS1_25lookback_scan_determinismE0ELb0ES3_N6thrust23THRUST_200600_302600_NS6detail15normal_iteratorINS9_10device_ptrIsEEEENS9_18transform_iteratorINS9_6negateIsEESE_NS9_11use_defaultESI_EESE_sNS9_4plusIvEENS9_8equal_toIvEEsEE10hipError_tPvRmT2_T3_T4_T5_mT6_T7_P12ihipStream_tbENKUlT_T0_E_clISt17integral_constantIbLb1EES14_EEDaSZ_S10_EUlSZ_E_NS1_11comp_targetILNS1_3genE10ELNS1_11target_archE1201ELNS1_3gpuE5ELNS1_3repE0EEENS1_30default_config_static_selectorELNS0_4arch9wavefront6targetE1EEEvT1_
		.amdhsa_group_segment_fixed_size 0
		.amdhsa_private_segment_fixed_size 0
		.amdhsa_kernarg_size 120
		.amdhsa_user_sgpr_count 2
		.amdhsa_user_sgpr_dispatch_ptr 0
		.amdhsa_user_sgpr_queue_ptr 0
		.amdhsa_user_sgpr_kernarg_segment_ptr 1
		.amdhsa_user_sgpr_dispatch_id 0
		.amdhsa_user_sgpr_kernarg_preload_length 0
		.amdhsa_user_sgpr_kernarg_preload_offset 0
		.amdhsa_user_sgpr_private_segment_size 0
		.amdhsa_uses_dynamic_stack 0
		.amdhsa_enable_private_segment 0
		.amdhsa_system_sgpr_workgroup_id_x 1
		.amdhsa_system_sgpr_workgroup_id_y 0
		.amdhsa_system_sgpr_workgroup_id_z 0
		.amdhsa_system_sgpr_workgroup_info 0
		.amdhsa_system_vgpr_workitem_id 0
		.amdhsa_next_free_vgpr 1
		.amdhsa_next_free_sgpr 0
		.amdhsa_accum_offset 4
		.amdhsa_reserve_vcc 0
		.amdhsa_float_round_mode_32 0
		.amdhsa_float_round_mode_16_64 0
		.amdhsa_float_denorm_mode_32 3
		.amdhsa_float_denorm_mode_16_64 3
		.amdhsa_dx10_clamp 1
		.amdhsa_ieee_mode 1
		.amdhsa_fp16_overflow 0
		.amdhsa_tg_split 0
		.amdhsa_exception_fp_ieee_invalid_op 0
		.amdhsa_exception_fp_denorm_src 0
		.amdhsa_exception_fp_ieee_div_zero 0
		.amdhsa_exception_fp_ieee_overflow 0
		.amdhsa_exception_fp_ieee_underflow 0
		.amdhsa_exception_fp_ieee_inexact 0
		.amdhsa_exception_int_div_zero 0
	.end_amdhsa_kernel
	.section	.text._ZN7rocprim17ROCPRIM_400000_NS6detail17trampoline_kernelINS0_14default_configENS1_27scan_by_key_config_selectorIssEEZZNS1_16scan_by_key_implILNS1_25lookback_scan_determinismE0ELb0ES3_N6thrust23THRUST_200600_302600_NS6detail15normal_iteratorINS9_10device_ptrIsEEEENS9_18transform_iteratorINS9_6negateIsEESE_NS9_11use_defaultESI_EESE_sNS9_4plusIvEENS9_8equal_toIvEEsEE10hipError_tPvRmT2_T3_T4_T5_mT6_T7_P12ihipStream_tbENKUlT_T0_E_clISt17integral_constantIbLb1EES14_EEDaSZ_S10_EUlSZ_E_NS1_11comp_targetILNS1_3genE10ELNS1_11target_archE1201ELNS1_3gpuE5ELNS1_3repE0EEENS1_30default_config_static_selectorELNS0_4arch9wavefront6targetE1EEEvT1_,"axG",@progbits,_ZN7rocprim17ROCPRIM_400000_NS6detail17trampoline_kernelINS0_14default_configENS1_27scan_by_key_config_selectorIssEEZZNS1_16scan_by_key_implILNS1_25lookback_scan_determinismE0ELb0ES3_N6thrust23THRUST_200600_302600_NS6detail15normal_iteratorINS9_10device_ptrIsEEEENS9_18transform_iteratorINS9_6negateIsEESE_NS9_11use_defaultESI_EESE_sNS9_4plusIvEENS9_8equal_toIvEEsEE10hipError_tPvRmT2_T3_T4_T5_mT6_T7_P12ihipStream_tbENKUlT_T0_E_clISt17integral_constantIbLb1EES14_EEDaSZ_S10_EUlSZ_E_NS1_11comp_targetILNS1_3genE10ELNS1_11target_archE1201ELNS1_3gpuE5ELNS1_3repE0EEENS1_30default_config_static_selectorELNS0_4arch9wavefront6targetE1EEEvT1_,comdat
.Lfunc_end975:
	.size	_ZN7rocprim17ROCPRIM_400000_NS6detail17trampoline_kernelINS0_14default_configENS1_27scan_by_key_config_selectorIssEEZZNS1_16scan_by_key_implILNS1_25lookback_scan_determinismE0ELb0ES3_N6thrust23THRUST_200600_302600_NS6detail15normal_iteratorINS9_10device_ptrIsEEEENS9_18transform_iteratorINS9_6negateIsEESE_NS9_11use_defaultESI_EESE_sNS9_4plusIvEENS9_8equal_toIvEEsEE10hipError_tPvRmT2_T3_T4_T5_mT6_T7_P12ihipStream_tbENKUlT_T0_E_clISt17integral_constantIbLb1EES14_EEDaSZ_S10_EUlSZ_E_NS1_11comp_targetILNS1_3genE10ELNS1_11target_archE1201ELNS1_3gpuE5ELNS1_3repE0EEENS1_30default_config_static_selectorELNS0_4arch9wavefront6targetE1EEEvT1_, .Lfunc_end975-_ZN7rocprim17ROCPRIM_400000_NS6detail17trampoline_kernelINS0_14default_configENS1_27scan_by_key_config_selectorIssEEZZNS1_16scan_by_key_implILNS1_25lookback_scan_determinismE0ELb0ES3_N6thrust23THRUST_200600_302600_NS6detail15normal_iteratorINS9_10device_ptrIsEEEENS9_18transform_iteratorINS9_6negateIsEESE_NS9_11use_defaultESI_EESE_sNS9_4plusIvEENS9_8equal_toIvEEsEE10hipError_tPvRmT2_T3_T4_T5_mT6_T7_P12ihipStream_tbENKUlT_T0_E_clISt17integral_constantIbLb1EES14_EEDaSZ_S10_EUlSZ_E_NS1_11comp_targetILNS1_3genE10ELNS1_11target_archE1201ELNS1_3gpuE5ELNS1_3repE0EEENS1_30default_config_static_selectorELNS0_4arch9wavefront6targetE1EEEvT1_
                                        ; -- End function
	.section	.AMDGPU.csdata,"",@progbits
; Kernel info:
; codeLenInByte = 0
; NumSgprs: 6
; NumVgprs: 0
; NumAgprs: 0
; TotalNumVgprs: 0
; ScratchSize: 0
; MemoryBound: 0
; FloatMode: 240
; IeeeMode: 1
; LDSByteSize: 0 bytes/workgroup (compile time only)
; SGPRBlocks: 0
; VGPRBlocks: 0
; NumSGPRsForWavesPerEU: 6
; NumVGPRsForWavesPerEU: 1
; AccumOffset: 4
; Occupancy: 8
; WaveLimiterHint : 0
; COMPUTE_PGM_RSRC2:SCRATCH_EN: 0
; COMPUTE_PGM_RSRC2:USER_SGPR: 2
; COMPUTE_PGM_RSRC2:TRAP_HANDLER: 0
; COMPUTE_PGM_RSRC2:TGID_X_EN: 1
; COMPUTE_PGM_RSRC2:TGID_Y_EN: 0
; COMPUTE_PGM_RSRC2:TGID_Z_EN: 0
; COMPUTE_PGM_RSRC2:TIDIG_COMP_CNT: 0
; COMPUTE_PGM_RSRC3_GFX90A:ACCUM_OFFSET: 0
; COMPUTE_PGM_RSRC3_GFX90A:TG_SPLIT: 0
	.section	.text._ZN7rocprim17ROCPRIM_400000_NS6detail17trampoline_kernelINS0_14default_configENS1_27scan_by_key_config_selectorIssEEZZNS1_16scan_by_key_implILNS1_25lookback_scan_determinismE0ELb0ES3_N6thrust23THRUST_200600_302600_NS6detail15normal_iteratorINS9_10device_ptrIsEEEENS9_18transform_iteratorINS9_6negateIsEESE_NS9_11use_defaultESI_EESE_sNS9_4plusIvEENS9_8equal_toIvEEsEE10hipError_tPvRmT2_T3_T4_T5_mT6_T7_P12ihipStream_tbENKUlT_T0_E_clISt17integral_constantIbLb1EES14_EEDaSZ_S10_EUlSZ_E_NS1_11comp_targetILNS1_3genE5ELNS1_11target_archE942ELNS1_3gpuE9ELNS1_3repE0EEENS1_30default_config_static_selectorELNS0_4arch9wavefront6targetE1EEEvT1_,"axG",@progbits,_ZN7rocprim17ROCPRIM_400000_NS6detail17trampoline_kernelINS0_14default_configENS1_27scan_by_key_config_selectorIssEEZZNS1_16scan_by_key_implILNS1_25lookback_scan_determinismE0ELb0ES3_N6thrust23THRUST_200600_302600_NS6detail15normal_iteratorINS9_10device_ptrIsEEEENS9_18transform_iteratorINS9_6negateIsEESE_NS9_11use_defaultESI_EESE_sNS9_4plusIvEENS9_8equal_toIvEEsEE10hipError_tPvRmT2_T3_T4_T5_mT6_T7_P12ihipStream_tbENKUlT_T0_E_clISt17integral_constantIbLb1EES14_EEDaSZ_S10_EUlSZ_E_NS1_11comp_targetILNS1_3genE5ELNS1_11target_archE942ELNS1_3gpuE9ELNS1_3repE0EEENS1_30default_config_static_selectorELNS0_4arch9wavefront6targetE1EEEvT1_,comdat
	.protected	_ZN7rocprim17ROCPRIM_400000_NS6detail17trampoline_kernelINS0_14default_configENS1_27scan_by_key_config_selectorIssEEZZNS1_16scan_by_key_implILNS1_25lookback_scan_determinismE0ELb0ES3_N6thrust23THRUST_200600_302600_NS6detail15normal_iteratorINS9_10device_ptrIsEEEENS9_18transform_iteratorINS9_6negateIsEESE_NS9_11use_defaultESI_EESE_sNS9_4plusIvEENS9_8equal_toIvEEsEE10hipError_tPvRmT2_T3_T4_T5_mT6_T7_P12ihipStream_tbENKUlT_T0_E_clISt17integral_constantIbLb1EES14_EEDaSZ_S10_EUlSZ_E_NS1_11comp_targetILNS1_3genE5ELNS1_11target_archE942ELNS1_3gpuE9ELNS1_3repE0EEENS1_30default_config_static_selectorELNS0_4arch9wavefront6targetE1EEEvT1_ ; -- Begin function _ZN7rocprim17ROCPRIM_400000_NS6detail17trampoline_kernelINS0_14default_configENS1_27scan_by_key_config_selectorIssEEZZNS1_16scan_by_key_implILNS1_25lookback_scan_determinismE0ELb0ES3_N6thrust23THRUST_200600_302600_NS6detail15normal_iteratorINS9_10device_ptrIsEEEENS9_18transform_iteratorINS9_6negateIsEESE_NS9_11use_defaultESI_EESE_sNS9_4plusIvEENS9_8equal_toIvEEsEE10hipError_tPvRmT2_T3_T4_T5_mT6_T7_P12ihipStream_tbENKUlT_T0_E_clISt17integral_constantIbLb1EES14_EEDaSZ_S10_EUlSZ_E_NS1_11comp_targetILNS1_3genE5ELNS1_11target_archE942ELNS1_3gpuE9ELNS1_3repE0EEENS1_30default_config_static_selectorELNS0_4arch9wavefront6targetE1EEEvT1_
	.globl	_ZN7rocprim17ROCPRIM_400000_NS6detail17trampoline_kernelINS0_14default_configENS1_27scan_by_key_config_selectorIssEEZZNS1_16scan_by_key_implILNS1_25lookback_scan_determinismE0ELb0ES3_N6thrust23THRUST_200600_302600_NS6detail15normal_iteratorINS9_10device_ptrIsEEEENS9_18transform_iteratorINS9_6negateIsEESE_NS9_11use_defaultESI_EESE_sNS9_4plusIvEENS9_8equal_toIvEEsEE10hipError_tPvRmT2_T3_T4_T5_mT6_T7_P12ihipStream_tbENKUlT_T0_E_clISt17integral_constantIbLb1EES14_EEDaSZ_S10_EUlSZ_E_NS1_11comp_targetILNS1_3genE5ELNS1_11target_archE942ELNS1_3gpuE9ELNS1_3repE0EEENS1_30default_config_static_selectorELNS0_4arch9wavefront6targetE1EEEvT1_
	.p2align	8
	.type	_ZN7rocprim17ROCPRIM_400000_NS6detail17trampoline_kernelINS0_14default_configENS1_27scan_by_key_config_selectorIssEEZZNS1_16scan_by_key_implILNS1_25lookback_scan_determinismE0ELb0ES3_N6thrust23THRUST_200600_302600_NS6detail15normal_iteratorINS9_10device_ptrIsEEEENS9_18transform_iteratorINS9_6negateIsEESE_NS9_11use_defaultESI_EESE_sNS9_4plusIvEENS9_8equal_toIvEEsEE10hipError_tPvRmT2_T3_T4_T5_mT6_T7_P12ihipStream_tbENKUlT_T0_E_clISt17integral_constantIbLb1EES14_EEDaSZ_S10_EUlSZ_E_NS1_11comp_targetILNS1_3genE5ELNS1_11target_archE942ELNS1_3gpuE9ELNS1_3repE0EEENS1_30default_config_static_selectorELNS0_4arch9wavefront6targetE1EEEvT1_,@function
_ZN7rocprim17ROCPRIM_400000_NS6detail17trampoline_kernelINS0_14default_configENS1_27scan_by_key_config_selectorIssEEZZNS1_16scan_by_key_implILNS1_25lookback_scan_determinismE0ELb0ES3_N6thrust23THRUST_200600_302600_NS6detail15normal_iteratorINS9_10device_ptrIsEEEENS9_18transform_iteratorINS9_6negateIsEESE_NS9_11use_defaultESI_EESE_sNS9_4plusIvEENS9_8equal_toIvEEsEE10hipError_tPvRmT2_T3_T4_T5_mT6_T7_P12ihipStream_tbENKUlT_T0_E_clISt17integral_constantIbLb1EES14_EEDaSZ_S10_EUlSZ_E_NS1_11comp_targetILNS1_3genE5ELNS1_11target_archE942ELNS1_3gpuE9ELNS1_3repE0EEENS1_30default_config_static_selectorELNS0_4arch9wavefront6targetE1EEEvT1_: ; @_ZN7rocprim17ROCPRIM_400000_NS6detail17trampoline_kernelINS0_14default_configENS1_27scan_by_key_config_selectorIssEEZZNS1_16scan_by_key_implILNS1_25lookback_scan_determinismE0ELb0ES3_N6thrust23THRUST_200600_302600_NS6detail15normal_iteratorINS9_10device_ptrIsEEEENS9_18transform_iteratorINS9_6negateIsEESE_NS9_11use_defaultESI_EESE_sNS9_4plusIvEENS9_8equal_toIvEEsEE10hipError_tPvRmT2_T3_T4_T5_mT6_T7_P12ihipStream_tbENKUlT_T0_E_clISt17integral_constantIbLb1EES14_EEDaSZ_S10_EUlSZ_E_NS1_11comp_targetILNS1_3genE5ELNS1_11target_archE942ELNS1_3gpuE9ELNS1_3repE0EEENS1_30default_config_static_selectorELNS0_4arch9wavefront6targetE1EEEvT1_
; %bb.0:
	s_load_dwordx4 s[8:11], s[0:1], 0x0
	s_load_dwordx2 s[2:3], s[0:1], 0x10
	s_load_dwordx2 s[58:59], s[0:1], 0x20
	s_load_dwordx4 s[68:71], s[0:1], 0x30
	s_load_dwordx2 s[74:75], s[0:1], 0x40
	v_cmp_ne_u32_e64 s[4:5], 0, v0
	v_cmp_eq_u32_e64 s[56:57], 0, v0
	s_and_saveexec_b64 s[6:7], s[56:57]
	s_cbranch_execz .LBB976_4
; %bb.1:
	s_mov_b64 s[14:15], exec
	v_mbcnt_lo_u32_b32 v1, s14, 0
	v_mbcnt_hi_u32_b32 v1, s15, v1
	v_cmp_eq_u32_e32 vcc, 0, v1
                                        ; implicit-def: $vgpr2
	s_and_saveexec_b64 s[12:13], vcc
	s_cbranch_execz .LBB976_3
; %bb.2:
	s_load_dwordx2 s[16:17], s[0:1], 0x70
	s_bcnt1_i32_b64 s14, s[14:15]
	v_mov_b32_e32 v2, 0
	v_mov_b32_e32 v3, s14
	s_waitcnt lgkmcnt(0)
	global_atomic_add v2, v2, v3, s[16:17] sc0
.LBB976_3:
	s_or_b64 exec, exec, s[12:13]
	s_waitcnt vmcnt(0)
	v_readfirstlane_b32 s12, v2
	v_mov_b32_e32 v2, 0
	s_nop 0
	v_add_u32_e32 v1, s12, v1
	ds_write_b32 v2, v1
.LBB976_4:
	s_or_b64 exec, exec, s[6:7]
	v_mov_b32_e32 v1, 0
	s_load_dword s6, s[0:1], 0x48
	s_load_dwordx8 s[60:67], s[0:1], 0x50
	s_waitcnt lgkmcnt(0)
	s_barrier
	ds_read_b32 v1, v1
	s_lshl_b64 s[72:73], s[10:11], 1
	s_add_u32 s7, s8, s72
	s_addc_u32 s8, s9, s73
	s_add_u32 s2, s2, s72
	s_mul_i32 s0, s75, s6
	s_mul_hi_u32 s1, s74, s6
	s_addc_u32 s3, s3, s73
	s_add_i32 s9, s1, s0
	s_waitcnt lgkmcnt(0)
	v_readfirstlane_b32 s71, v1
	s_cmp_lg_u64 s[64:65], 0
	s_mov_b32 s1, 0
	s_mul_i32 s0, s71, 0x1800
	s_cselect_b64 s[80:81], -1, 0
	s_lshl_b64 s[64:65], s[0:1], 1
	s_add_u32 s78, s7, s64
	s_addc_u32 s79, s8, s65
	s_add_u32 s76, s2, s64
	s_mul_i32 s6, s74, s6
	s_addc_u32 s77, s3, s65
	s_add_u32 s82, s6, s71
	s_addc_u32 s83, s9, 0
	s_add_u32 s0, s60, -1
	s_addc_u32 s1, s61, -1
	v_mov_b64_e32 v[2:3], s[0:1]
	v_cmp_ge_u64_e64 s[2:3], s[82:83], v[2:3]
	s_mov_b64 s[12:13], 0
	s_mov_b64 s[6:7], -1
	s_and_b64 vcc, exec, s[2:3]
	s_mul_i32 s33, s0, 0xffffe800
	s_barrier
	s_barrier
	s_cbranch_vccz .LBB976_131
; %bb.5:
	v_mov_b64_e32 v[2:3], s[78:79]
	flat_load_ushort v10, v[2:3]
	s_add_i32 s86, s33, s70
	v_cmp_gt_u32_e64 s[6:7], s86, v0
	s_waitcnt vmcnt(0) lgkmcnt(0)
	v_mov_b32_e32 v17, v10
	s_and_saveexec_b64 s[0:1], s[6:7]
	s_cbranch_execz .LBB976_7
; %bb.6:
	v_lshlrev_b32_e32 v2, 1, v0
	v_mov_b32_e32 v3, 0
	v_lshl_add_u64 v[2:3], s[78:79], 0, v[2:3]
	flat_load_ushort v17, v[2:3]
.LBB976_7:
	s_or_b64 exec, exec, s[0:1]
	v_or_b32_e32 v1, 0x100, v0
	v_cmp_gt_u32_e64 s[8:9], s86, v1
	v_mov_b32_e32 v20, v10
	s_and_saveexec_b64 s[0:1], s[8:9]
	s_cbranch_execz .LBB976_9
; %bb.8:
	v_lshlrev_b32_e32 v2, 1, v0
	v_mov_b32_e32 v3, 0
	v_lshl_add_u64 v[2:3], s[78:79], 0, v[2:3]
	flat_load_ushort v20, v[2:3] offset:512
.LBB976_9:
	s_or_b64 exec, exec, s[0:1]
	v_or_b32_e32 v1, 0x200, v0
	v_cmp_gt_u32_e64 s[10:11], s86, v1
	v_mov_b32_e32 v21, v10
	s_and_saveexec_b64 s[0:1], s[10:11]
	s_cbranch_execz .LBB976_11
; %bb.10:
	v_lshlrev_b32_e32 v2, 1, v0
	v_mov_b32_e32 v3, 0
	v_lshl_add_u64 v[2:3], s[78:79], 0, v[2:3]
	flat_load_ushort v21, v[2:3] offset:1024
.LBB976_11:
	;; [unrolled: 12-line block ×7, first 2 shown]
	s_or_b64 exec, exec, s[0:1]
	v_or_b32_e32 v1, 0x800, v0
	v_cmp_gt_u32_e64 s[22:23], s86, v1
	v_mov_b32_e32 v27, v10
	s_and_saveexec_b64 s[0:1], s[22:23]
	s_cbranch_execz .LBB976_23
; %bb.22:
	v_lshlrev_b32_e32 v2, 1, v1
	v_mov_b32_e32 v3, 0
	v_lshl_add_u64 v[2:3], s[78:79], 0, v[2:3]
	flat_load_ushort v27, v[2:3]
.LBB976_23:
	s_or_b64 exec, exec, s[0:1]
	v_or_b32_e32 v2, 0x900, v0
	v_cmp_gt_u32_e64 s[24:25], s86, v2
	v_mov_b32_e32 v28, v10
	s_and_saveexec_b64 s[0:1], s[24:25]
	s_cbranch_execz .LBB976_25
; %bb.24:
	v_lshlrev_b32_e32 v4, 1, v2
	v_mov_b32_e32 v5, 0
	v_lshl_add_u64 v[4:5], s[78:79], 0, v[4:5]
	flat_load_ushort v28, v[4:5]
.LBB976_25:
	;; [unrolled: 12-line block ×15, first 2 shown]
	s_or_b64 exec, exec, s[0:1]
	v_or_b32_e32 v19, 0x1700, v0
	v_cmp_gt_u32_e64 s[54:55], s86, v19
	s_and_saveexec_b64 s[0:1], s[54:55]
	s_cbranch_execz .LBB976_53
; %bb.52:
	v_lshlrev_b32_e32 v42, 1, v19
	v_mov_b32_e32 v43, 0
	v_lshl_add_u64 v[42:43], s[78:79], 0, v[42:43]
	flat_load_ushort v10, v[42:43]
.LBB976_53:
	s_or_b64 exec, exec, s[0:1]
	v_lshlrev_b32_e32 v15, 1, v0
	s_waitcnt vmcnt(0) lgkmcnt(0)
	ds_write_b16 v15, v17
	ds_write_b16 v15, v20 offset:512
	ds_write_b16 v15, v21 offset:1024
	;; [unrolled: 1-line block ×23, first 2 shown]
	v_mad_u32_u24 v40, v0, 46, v15
	s_waitcnt lgkmcnt(0)
	s_barrier
	ds_read_b128 v[30:33], v40
	ds_read_b128 v[26:29], v40 offset:16
	ds_read_b128 v[22:25], v40 offset:32
	s_cmp_eq_u64 s[82:83], 0
	s_mov_b64 s[0:1], s[78:79]
	s_cbranch_scc1 .LBB976_57
; %bb.54:
	s_andn2_b64 vcc, exec, s[80:81]
	s_cbranch_vccnz .LBB976_323
; %bb.55:
	s_lshl_b64 s[0:1], s[82:83], 1
	s_add_u32 s0, s66, s0
	s_addc_u32 s1, s67, s1
	s_add_u32 s0, s0, -2
	s_addc_u32 s1, s1, -1
	s_cbranch_execnz .LBB976_57
.LBB976_56:
	s_add_u32 s0, s78, -2
	s_addc_u32 s1, s79, -1
.LBB976_57:
	v_mov_b64_e32 v[20:21], s[0:1]
	flat_load_ushort v34, v[20:21]
	s_movk_i32 s0, 0xffd2
	s_waitcnt lgkmcnt(0)
	v_lshrrev_b32_e32 v42, 16, v25
	v_mad_i32_i24 v10, v0, s0, v40
	ds_write_b16 v10, v42 offset:12288
	s_waitcnt lgkmcnt(0)
	s_barrier
	s_and_saveexec_b64 s[0:1], s[4:5]
	s_cbranch_execz .LBB976_59
; %bb.58:
	v_mul_i32_i24_e32 v10, 0xffffffd2, v0
	v_add_u32_e32 v10, v40, v10
	s_waitcnt vmcnt(0)
	ds_read_u16 v34, v10 offset:12286
.LBB976_59:
	s_or_b64 exec, exec, s[0:1]
	s_waitcnt lgkmcnt(0)
	s_barrier
	s_waitcnt lgkmcnt(0)
                                        ; implicit-def: $vgpr10
	s_and_saveexec_b64 s[0:1], s[6:7]
	s_cbranch_execnz .LBB976_300
; %bb.60:
	s_or_b64 exec, exec, s[0:1]
                                        ; implicit-def: $vgpr17
	s_and_saveexec_b64 s[0:1], s[8:9]
	s_cbranch_execnz .LBB976_301
.LBB976_61:
	s_or_b64 exec, exec, s[0:1]
                                        ; implicit-def: $vgpr20
	s_and_saveexec_b64 s[0:1], s[10:11]
	s_cbranch_execnz .LBB976_302
.LBB976_62:
	s_or_b64 exec, exec, s[0:1]
                                        ; implicit-def: $vgpr21
	s_and_saveexec_b64 s[0:1], s[12:13]
	s_cbranch_execnz .LBB976_303
.LBB976_63:
	s_or_b64 exec, exec, s[0:1]
                                        ; implicit-def: $vgpr35
	s_and_saveexec_b64 s[0:1], s[14:15]
	s_cbranch_execnz .LBB976_304
.LBB976_64:
	s_or_b64 exec, exec, s[0:1]
                                        ; implicit-def: $vgpr36
	s_and_saveexec_b64 s[0:1], s[16:17]
	s_cbranch_execnz .LBB976_305
.LBB976_65:
	s_or_b64 exec, exec, s[0:1]
                                        ; implicit-def: $vgpr37
	s_and_saveexec_b64 s[0:1], s[18:19]
	s_cbranch_execnz .LBB976_306
.LBB976_66:
	s_or_b64 exec, exec, s[0:1]
                                        ; implicit-def: $vgpr38
	s_and_saveexec_b64 s[0:1], s[20:21]
	s_cbranch_execnz .LBB976_307
.LBB976_67:
	s_or_b64 exec, exec, s[0:1]
                                        ; implicit-def: $vgpr39
	s_and_saveexec_b64 s[0:1], s[22:23]
	s_cbranch_execnz .LBB976_308
.LBB976_68:
	s_or_b64 exec, exec, s[0:1]
                                        ; implicit-def: $vgpr1
	s_and_saveexec_b64 s[0:1], s[24:25]
	s_cbranch_execnz .LBB976_309
.LBB976_69:
	s_or_b64 exec, exec, s[0:1]
                                        ; implicit-def: $vgpr2
	s_and_saveexec_b64 s[0:1], s[26:27]
	s_cbranch_execnz .LBB976_310
.LBB976_70:
	s_or_b64 exec, exec, s[0:1]
                                        ; implicit-def: $vgpr3
	s_and_saveexec_b64 s[0:1], s[28:29]
	s_cbranch_execnz .LBB976_311
.LBB976_71:
	s_or_b64 exec, exec, s[0:1]
                                        ; implicit-def: $vgpr4
	s_and_saveexec_b64 s[0:1], s[30:31]
	s_cbranch_execnz .LBB976_312
.LBB976_72:
	s_or_b64 exec, exec, s[0:1]
                                        ; implicit-def: $vgpr5
	s_and_saveexec_b64 s[0:1], s[34:35]
	s_cbranch_execnz .LBB976_313
.LBB976_73:
	s_or_b64 exec, exec, s[0:1]
                                        ; implicit-def: $vgpr6
	s_and_saveexec_b64 s[0:1], s[36:37]
	s_cbranch_execnz .LBB976_314
.LBB976_74:
	s_or_b64 exec, exec, s[0:1]
                                        ; implicit-def: $vgpr7
	s_and_saveexec_b64 s[0:1], s[38:39]
	s_cbranch_execnz .LBB976_315
.LBB976_75:
	s_or_b64 exec, exec, s[0:1]
                                        ; implicit-def: $vgpr8
	s_and_saveexec_b64 s[0:1], s[40:41]
	s_cbranch_execnz .LBB976_316
.LBB976_76:
	s_or_b64 exec, exec, s[0:1]
                                        ; implicit-def: $vgpr9
	s_and_saveexec_b64 s[0:1], s[42:43]
	s_cbranch_execnz .LBB976_317
.LBB976_77:
	s_or_b64 exec, exec, s[0:1]
                                        ; implicit-def: $vgpr11
	s_and_saveexec_b64 s[0:1], s[44:45]
	s_cbranch_execnz .LBB976_318
.LBB976_78:
	s_or_b64 exec, exec, s[0:1]
                                        ; implicit-def: $vgpr12
	s_and_saveexec_b64 s[0:1], s[46:47]
	s_cbranch_execnz .LBB976_319
.LBB976_79:
	s_or_b64 exec, exec, s[0:1]
                                        ; implicit-def: $vgpr13
	s_and_saveexec_b64 s[0:1], s[48:49]
	s_cbranch_execnz .LBB976_320
.LBB976_80:
	s_or_b64 exec, exec, s[0:1]
                                        ; implicit-def: $vgpr14
	s_and_saveexec_b64 s[0:1], s[50:51]
	s_cbranch_execnz .LBB976_321
.LBB976_81:
	s_or_b64 exec, exec, s[0:1]
                                        ; implicit-def: $vgpr16
	s_and_saveexec_b64 s[0:1], s[52:53]
	s_cbranch_execnz .LBB976_322
.LBB976_82:
	s_or_b64 exec, exec, s[0:1]
                                        ; implicit-def: $vgpr18
	s_and_saveexec_b64 s[0:1], s[54:55]
	s_cbranch_execz .LBB976_84
.LBB976_83:
	v_lshlrev_b32_e32 v18, 1, v19
	global_load_ushort v18, v18, s[76:77]
	s_waitcnt vmcnt(0)
	v_sub_u16_e32 v18, 0, v18
.LBB976_84:
	s_or_b64 exec, exec, s[0:1]
	s_mov_b32 s8, 0
	s_mov_b32 s9, s8
	ds_write_b16 v15, v10
	ds_write_b16 v15, v17 offset:512
	ds_write_b16 v15, v20 offset:1024
	;; [unrolled: 1-line block ×23, first 2 shown]
	s_mov_b32 s10, s8
	s_mov_b32 s11, s8
	;; [unrolled: 1-line block ×6, first 2 shown]
	v_mov_b64_e32 v[2:3], s[8:9]
	s_mov_b32 s18, s8
	s_mov_b32 s19, s8
	v_mov_b64_e32 v[8:9], s[14:15]
	v_mul_u32_u24_e32 v43, 24, v0
	s_mov_b32 s16, s8
	s_mov_b32 s17, s8
	v_mov_b64_e32 v[20:21], s[18:19]
	v_mov_b64_e32 v[4:5], s[10:11]
	;; [unrolled: 1-line block ×4, first 2 shown]
	v_cmp_gt_u32_e32 vcc, s86, v43
	s_mov_b64 s[6:7], 0
	v_mov_b64_e32 v[18:19], s[16:17]
	v_mov_b32_e32 v1, 0
	s_mov_b64 s[12:13], 0
	v_mov_b64_e32 v[14:15], v[6:7]
	v_mov_b64_e32 v[12:13], v[4:5]
	;; [unrolled: 1-line block ×3, first 2 shown]
	v_mov_b32_e32 v38, 0
	v_mov_b32_e32 v39, 0
	s_waitcnt lgkmcnt(0)
	s_barrier
	s_waitcnt lgkmcnt(0)
                                        ; implicit-def: $sgpr0_sgpr1
                                        ; implicit-def: $vgpr41
	s_and_saveexec_b64 s[10:11], vcc
	s_cbranch_execz .LBB976_130
; %bb.85:
	ds_read_u16 v1, v40
	s_waitcnt vmcnt(0)
	v_cmp_ne_u16_e32 vcc, v34, v30
	s_mov_b32 s12, 0
	v_or_b32_e32 v2, 1, v43
	v_cndmask_b32_e64 v3, 0, 1, vcc
	s_mov_b32 s13, s12
	v_cmp_gt_u32_e32 vcc, s86, v2
	s_waitcnt lgkmcnt(0)
	v_lshl_or_b32 v1, v3, 16, v1
	s_mov_b32 s14, s12
	s_mov_b32 s15, s12
	;; [unrolled: 1-line block ×6, first 2 shown]
	v_mov_b64_e32 v[2:3], s[12:13]
	s_mov_b32 s24, s12
	s_mov_b32 s25, s12
	v_mov_b64_e32 v[8:9], s[18:19]
	s_mov_b32 s26, s12
	s_mov_b32 s27, s12
	v_mov_b64_e32 v[18:19], s[24:25]
	v_mov_b64_e32 v[4:5], s[14:15]
	;; [unrolled: 1-line block ×4, first 2 shown]
	s_mov_b64 s[22:23], 0
	v_mov_b64_e32 v[20:21], s[26:27]
	v_mov_b32_e32 v38, 0
	v_mov_b64_e32 v[14:15], v[6:7]
	v_mov_b64_e32 v[12:13], v[4:5]
	;; [unrolled: 1-line block ×3, first 2 shown]
	v_mov_b32_e32 v39, 0
                                        ; implicit-def: $sgpr24_sgpr25
                                        ; implicit-def: $vgpr41
	s_and_saveexec_b64 s[20:21], vcc
	s_cbranch_execz .LBB976_129
; %bb.86:
	ds_read_b128 v[34:37], v40 offset:2
	v_or_b32_e32 v2, 2, v43
	v_cmp_ne_u16_sdwa s[0:1], v30, v30 src0_sel:DWORD src1_sel:WORD_1
	v_cmp_gt_u32_e32 vcc, s86, v2
	v_mov_b32_e32 v19, 0
	v_cndmask_b32_e64 v3, 0, 1, s[0:1]
	s_waitcnt lgkmcnt(0)
	v_and_b32_e32 v2, 0xffff, v34
	v_lshl_or_b32 v18, v3, 16, v2
	v_mov_b64_e32 v[2:3], s[12:13]
	v_mov_b64_e32 v[8:9], s[18:19]
	;; [unrolled: 1-line block ×5, first 2 shown]
	v_mov_b32_e32 v20, v19
	v_mov_b32_e32 v21, v19
	s_mov_b64 s[0:1], 0
	v_mov_b64_e32 v[14:15], v[6:7]
	v_mov_b64_e32 v[12:13], v[4:5]
	;; [unrolled: 1-line block ×3, first 2 shown]
	v_mov_b32_e32 v38, v19
	v_mov_b32_e32 v39, v19
                                        ; implicit-def: $sgpr12_sgpr13
                                        ; implicit-def: $vgpr41
	s_and_saveexec_b64 s[22:23], vcc
	s_cbranch_execz .LBB976_128
; %bb.87:
	v_cmp_ne_u16_sdwa s[0:1], v30, v31 src0_sel:WORD_1 src1_sel:DWORD
	s_mov_b32 s12, 0
	v_or_b32_e32 v2, 3, v43
	v_cndmask_b32_e64 v3, 0, 1, s[0:1]
	s_mov_b32 s13, s12
	v_alignbit_b32 v19, v3, v34, 16
	v_cmp_gt_u32_e32 vcc, s86, v2
	s_mov_b32 s14, s12
	s_mov_b32 s15, s12
	;; [unrolled: 1-line block ×6, first 2 shown]
	v_mov_b64_e32 v[2:3], s[12:13]
	v_mov_b64_e32 v[8:9], s[18:19]
	v_mov_b32_e32 v20, 0
	v_mov_b64_e32 v[4:5], s[14:15]
	v_mov_b64_e32 v[6:7], s[16:17]
	;; [unrolled: 1-line block ×3, first 2 shown]
	v_mov_b32_e32 v21, v20
	s_mov_b64 s[0:1], 0
	v_mov_b64_e32 v[14:15], v[6:7]
	v_mov_b64_e32 v[12:13], v[4:5]
	;; [unrolled: 1-line block ×3, first 2 shown]
	v_mov_b32_e32 v38, v20
	v_mov_b32_e32 v39, v20
                                        ; implicit-def: $sgpr26_sgpr27
                                        ; implicit-def: $vgpr41
	s_and_saveexec_b64 s[24:25], vcc
	s_cbranch_execz .LBB976_127
; %bb.88:
	v_cmp_ne_u16_sdwa s[0:1], v31, v31 src0_sel:DWORD src1_sel:WORD_1
	v_and_b32_e32 v2, 0xffff, v35
	v_or_b32_e32 v3, 4, v43
	v_cndmask_b32_e64 v4, 0, 1, s[0:1]
	v_lshl_or_b32 v20, v4, 16, v2
	v_cmp_gt_u32_e32 vcc, s86, v3
	v_mov_b64_e32 v[2:3], s[12:13]
	v_mov_b64_e32 v[8:9], s[18:19]
	;; [unrolled: 1-line block ×5, first 2 shown]
	v_mov_b32_e32 v21, s12
	s_mov_b64 s[0:1], 0
	v_mov_b32_e32 v38, 0
	v_mov_b64_e32 v[14:15], v[6:7]
	v_mov_b64_e32 v[12:13], v[4:5]
	;; [unrolled: 1-line block ×3, first 2 shown]
	v_mov_b32_e32 v39, 0
                                        ; implicit-def: $sgpr12_sgpr13
                                        ; implicit-def: $vgpr41
	s_and_saveexec_b64 s[26:27], vcc
	s_cbranch_execz .LBB976_126
; %bb.89:
	v_cmp_ne_u16_sdwa s[0:1], v31, v32 src0_sel:WORD_1 src1_sel:DWORD
	s_mov_b32 s12, 0
	v_or_b32_e32 v2, 5, v43
	v_cndmask_b32_e64 v3, 0, 1, s[0:1]
	s_mov_b32 s13, s12
	v_alignbit_b32 v21, v3, v35, 16
	v_cmp_gt_u32_e32 vcc, s86, v2
	s_mov_b32 s14, s12
	s_mov_b32 s15, s12
	;; [unrolled: 1-line block ×6, first 2 shown]
	v_mov_b64_e32 v[2:3], s[12:13]
	v_mov_b64_e32 v[8:9], s[18:19]
	;; [unrolled: 1-line block ×5, first 2 shown]
	s_mov_b64 s[0:1], 0
	v_mov_b32_e32 v38, 0
	v_mov_b64_e32 v[14:15], v[6:7]
	v_mov_b64_e32 v[12:13], v[4:5]
	;; [unrolled: 1-line block ×3, first 2 shown]
	v_mov_b32_e32 v39, 0
                                        ; implicit-def: $sgpr30_sgpr31
                                        ; implicit-def: $vgpr41
	s_and_saveexec_b64 s[28:29], vcc
	s_cbranch_execz .LBB976_125
; %bb.90:
	v_cmp_ne_u16_sdwa s[0:1], v32, v32 src0_sel:DWORD src1_sel:WORD_1
	v_and_b32_e32 v2, 0xffff, v36
	v_or_b32_e32 v3, 6, v43
	v_cndmask_b32_e64 v4, 0, 1, s[0:1]
	v_lshl_or_b32 v38, v4, 16, v2
	v_cmp_gt_u32_e32 vcc, s86, v3
	v_mov_b64_e32 v[2:3], s[12:13]
	v_mov_b64_e32 v[8:9], s[18:19]
	;; [unrolled: 1-line block ×5, first 2 shown]
	s_mov_b64 s[0:1], 0
	v_mov_b32_e32 v39, 0
	v_mov_b64_e32 v[14:15], v[6:7]
	v_mov_b64_e32 v[12:13], v[4:5]
	;; [unrolled: 1-line block ×3, first 2 shown]
                                        ; implicit-def: $sgpr12_sgpr13
                                        ; implicit-def: $vgpr41
	s_and_saveexec_b64 s[30:31], vcc
	s_cbranch_execz .LBB976_124
; %bb.91:
	s_mov_b32 s12, 0
	v_or_b32_e32 v3, 7, v43
	v_cmp_ne_u16_sdwa s[0:1], v32, v33 src0_sel:WORD_1 src1_sel:DWORD
	s_mov_b32 s13, s12
	v_cmp_gt_u32_e32 vcc, s86, v3
	v_cndmask_b32_e64 v2, 0, 1, s[0:1]
	v_mov_b32_e32 v3, 0
	s_mov_b32 s14, s12
	s_mov_b32 s15, s12
	;; [unrolled: 1-line block ×6, first 2 shown]
	v_mov_b64_e32 v[10:11], s[12:13]
	v_alignbit_b32 v2, v2, v36, 16
	v_mov_b32_e32 v4, v3
	v_mov_b32_e32 v5, v3
	;; [unrolled: 1-line block ×6, first 2 shown]
	s_mov_b64 s[0:1], 0
	v_mov_b64_e32 v[12:13], s[14:15]
	v_mov_b64_e32 v[14:15], s[16:17]
	;; [unrolled: 1-line block ×3, first 2 shown]
	v_mov_b32_e32 v39, v3
                                        ; implicit-def: $sgpr36_sgpr37
                                        ; implicit-def: $vgpr41
	s_and_saveexec_b64 s[34:35], vcc
	s_cbranch_execz .LBB976_123
; %bb.92:
	v_add_u32_e32 v4, 8, v43
	v_cmp_ne_u16_sdwa s[0:1], v33, v33 src0_sel:DWORD src1_sel:WORD_1
	v_and_b32_e32 v3, 0xffff, v37
	v_cmp_gt_u32_e32 vcc, s86, v4
	v_cndmask_b32_e64 v5, 0, 1, s[0:1]
	v_mov_b32_e32 v4, 0
	v_mov_b64_e32 v[10:11], s[12:13]
	v_lshl_or_b32 v3, v5, 16, v3
	v_mov_b32_e32 v5, v4
	v_mov_b32_e32 v6, v4
	;; [unrolled: 1-line block ×5, first 2 shown]
	s_mov_b64 s[0:1], 0
	v_mov_b64_e32 v[12:13], s[14:15]
	v_mov_b64_e32 v[14:15], s[16:17]
	;; [unrolled: 1-line block ×3, first 2 shown]
	v_mov_b32_e32 v39, v4
                                        ; implicit-def: $sgpr12_sgpr13
                                        ; implicit-def: $vgpr41
	s_and_saveexec_b64 s[36:37], vcc
	s_cbranch_execz .LBB976_122
; %bb.93:
	s_mov_b32 s12, 0
	v_add_u32_e32 v5, 9, v43
	v_cmp_ne_u16_sdwa s[0:1], v33, v26 src0_sel:WORD_1 src1_sel:DWORD
	s_mov_b32 s13, s12
	v_cmp_gt_u32_e32 vcc, s86, v5
	v_cndmask_b32_e64 v4, 0, 1, s[0:1]
	v_mov_b32_e32 v5, 0
	s_mov_b32 s14, s12
	s_mov_b32 s15, s12
	;; [unrolled: 1-line block ×6, first 2 shown]
	v_mov_b64_e32 v[10:11], s[12:13]
	v_alignbit_b32 v4, v4, v37, 16
	v_mov_b32_e32 v6, v5
	v_mov_b32_e32 v7, v5
	;; [unrolled: 1-line block ×4, first 2 shown]
	s_mov_b64 s[0:1], 0
	v_mov_b64_e32 v[12:13], s[14:15]
	v_mov_b64_e32 v[14:15], s[16:17]
	;; [unrolled: 1-line block ×3, first 2 shown]
	v_mov_b32_e32 v39, v5
                                        ; implicit-def: $sgpr40_sgpr41
                                        ; implicit-def: $vgpr41
	s_and_saveexec_b64 s[38:39], vcc
	s_cbranch_execz .LBB976_121
; %bb.94:
	ds_read_b128 v[30:33], v40 offset:18
	v_add_u32_e32 v5, 10, v43
	v_cmp_ne_u16_sdwa s[0:1], v26, v26 src0_sel:DWORD src1_sel:WORD_1
	v_cmp_gt_u32_e32 vcc, s86, v5
	v_mov_b64_e32 v[10:11], s[12:13]
	v_cndmask_b32_e64 v6, 0, 1, s[0:1]
	s_waitcnt lgkmcnt(0)
	v_and_b32_e32 v5, 0xffff, v30
	v_lshl_or_b32 v5, v6, 16, v5
	v_mov_b32_e32 v6, 0
	v_mov_b32_e32 v7, v6
	;; [unrolled: 1-line block ×4, first 2 shown]
	s_mov_b64 s[0:1], 0
	v_mov_b64_e32 v[12:13], s[14:15]
	v_mov_b64_e32 v[14:15], s[16:17]
	;; [unrolled: 1-line block ×3, first 2 shown]
	v_mov_b32_e32 v39, v6
                                        ; implicit-def: $sgpr12_sgpr13
                                        ; implicit-def: $vgpr41
	s_and_saveexec_b64 s[40:41], vcc
	s_cbranch_execz .LBB976_120
; %bb.95:
	s_mov_b32 s12, 0
	v_add_u32_e32 v7, 11, v43
	v_cmp_ne_u16_sdwa s[0:1], v26, v27 src0_sel:WORD_1 src1_sel:DWORD
	s_mov_b32 s13, s12
	v_cmp_gt_u32_e32 vcc, s86, v7
	v_cndmask_b32_e64 v6, 0, 1, s[0:1]
	v_mov_b32_e32 v7, 0
	s_mov_b32 s14, s12
	s_mov_b32 s15, s12
	;; [unrolled: 1-line block ×6, first 2 shown]
	v_mov_b64_e32 v[10:11], s[12:13]
	v_alignbit_b32 v6, v6, v30, 16
	v_mov_b32_e32 v8, v7
	v_mov_b32_e32 v9, v7
	s_mov_b64 s[0:1], 0
	v_mov_b64_e32 v[12:13], s[14:15]
	v_mov_b64_e32 v[14:15], s[16:17]
	;; [unrolled: 1-line block ×3, first 2 shown]
	v_mov_b32_e32 v39, v7
                                        ; implicit-def: $sgpr44_sgpr45
                                        ; implicit-def: $vgpr41
	s_and_saveexec_b64 s[42:43], vcc
	s_cbranch_execz .LBB976_119
; %bb.96:
	v_add_u32_e32 v8, 12, v43
	v_cmp_ne_u16_sdwa s[0:1], v27, v27 src0_sel:DWORD src1_sel:WORD_1
	v_and_b32_e32 v7, 0xffff, v31
	v_cmp_gt_u32_e32 vcc, s86, v8
	v_cndmask_b32_e64 v9, 0, 1, s[0:1]
	v_mov_b32_e32 v8, 0
	v_mov_b64_e32 v[10:11], s[12:13]
	v_lshl_or_b32 v7, v9, 16, v7
	v_mov_b32_e32 v9, v8
	s_mov_b64 s[0:1], 0
	v_mov_b64_e32 v[12:13], s[14:15]
	v_mov_b64_e32 v[14:15], s[16:17]
	;; [unrolled: 1-line block ×3, first 2 shown]
	v_mov_b32_e32 v39, v8
                                        ; implicit-def: $sgpr12_sgpr13
                                        ; implicit-def: $vgpr41
	s_and_saveexec_b64 s[44:45], vcc
	s_cbranch_execz .LBB976_118
; %bb.97:
	s_mov_b32 s12, 0
	v_cmp_ne_u16_sdwa s[0:1], v27, v28 src0_sel:WORD_1 src1_sel:DWORD
	s_mov_b32 s13, s12
	v_add_u32_e32 v9, 13, v43
	v_cndmask_b32_e64 v8, 0, 1, s[0:1]
	s_mov_b32 s14, s12
	s_mov_b32 s15, s12
	;; [unrolled: 1-line block ×6, first 2 shown]
	v_mov_b64_e32 v[10:11], s[12:13]
	v_alignbit_b32 v8, v8, v31, 16
	v_cmp_gt_u32_e32 vcc, s86, v9
	v_mov_b32_e32 v9, s12
	s_mov_b64 s[0:1], 0
	v_mov_b64_e32 v[12:13], s[14:15]
	v_mov_b64_e32 v[14:15], s[16:17]
	;; [unrolled: 1-line block ×3, first 2 shown]
	v_mov_b32_e32 v39, 0
                                        ; implicit-def: $sgpr48_sgpr49
                                        ; implicit-def: $vgpr41
	s_and_saveexec_b64 s[46:47], vcc
	s_cbranch_execz .LBB976_117
; %bb.98:
	v_cmp_ne_u16_sdwa s[0:1], v28, v28 src0_sel:DWORD src1_sel:WORD_1
	v_and_b32_e32 v9, 0xffff, v32
	v_add_u32_e32 v10, 14, v43
	v_cndmask_b32_e64 v11, 0, 1, s[0:1]
	v_lshl_or_b32 v9, v11, 16, v9
	v_cmp_gt_u32_e32 vcc, s86, v10
	v_mov_b64_e32 v[10:11], s[12:13]
	s_mov_b64 s[0:1], 0
	v_mov_b64_e32 v[12:13], s[14:15]
	v_mov_b64_e32 v[14:15], s[16:17]
	;; [unrolled: 1-line block ×3, first 2 shown]
	v_mov_b32_e32 v39, 0
                                        ; implicit-def: $sgpr14_sgpr15
                                        ; implicit-def: $vgpr41
	s_and_saveexec_b64 s[12:13], vcc
	s_cbranch_execz .LBB976_116
; %bb.99:
	v_cmp_ne_u16_sdwa s[0:1], v28, v29 src0_sel:WORD_1 src1_sel:DWORD
	s_mov_b32 s48, 0
	v_add_u32_e32 v10, 15, v43
	v_cndmask_b32_e64 v11, 0, 1, s[0:1]
	s_mov_b32 s49, s48
	v_alignbit_b32 v39, v11, v32, 16
	v_cmp_gt_u32_e32 vcc, s86, v10
	s_mov_b32 s50, s48
	s_mov_b32 s51, s48
	;; [unrolled: 1-line block ×6, first 2 shown]
	v_mov_b64_e32 v[10:11], s[48:49]
	s_mov_b64 s[0:1], 0
	v_mov_b64_e32 v[12:13], s[50:51]
	v_mov_b64_e32 v[14:15], s[52:53]
	;; [unrolled: 1-line block ×3, first 2 shown]
                                        ; implicit-def: $sgpr16_sgpr17
                                        ; implicit-def: $vgpr41
	s_and_saveexec_b64 s[14:15], vcc
	s_cbranch_execz .LBB976_115
; %bb.100:
	v_cmp_ne_u16_sdwa s[0:1], v29, v29 src0_sel:DWORD src1_sel:WORD_1
	v_and_b32_e32 v10, 0xffff, v33
	v_add_u32_e32 v11, 16, v43
	v_cndmask_b32_e64 v12, 0, 1, s[0:1]
	v_lshl_or_b32 v10, v12, 16, v10
	v_mov_b32_e32 v12, 0
	v_cmp_gt_u32_e32 vcc, s86, v11
	v_mov_b32_e32 v11, v12
	v_mov_b32_e32 v13, v12
	;; [unrolled: 1-line block ×6, first 2 shown]
	s_mov_b64 s[0:1], 0
                                        ; implicit-def: $sgpr18_sgpr19
                                        ; implicit-def: $vgpr41
	s_and_saveexec_b64 s[16:17], vcc
	s_cbranch_execz .LBB976_114
; %bb.101:
	v_cmp_ne_u16_sdwa s[0:1], v29, v22 src0_sel:WORD_1 src1_sel:DWORD
	v_add_u32_e32 v13, 17, v43
	v_cmp_gt_u32_e32 vcc, s86, v13
	v_cndmask_b32_e64 v11, 0, 1, s[0:1]
	v_alignbit_b32 v11, v11, v33, 16
	v_mov_b32_e32 v13, v12
	v_mov_b32_e32 v14, v12
	;; [unrolled: 1-line block ×5, first 2 shown]
	s_mov_b64 s[0:1], 0
                                        ; implicit-def: $sgpr48_sgpr49
                                        ; implicit-def: $vgpr41
	s_and_saveexec_b64 s[18:19], vcc
	s_cbranch_execz .LBB976_113
; %bb.102:
	ds_read_b96 v[26:28], v40 offset:34
	v_add_u32_e32 v12, 18, v43
	v_cmp_ne_u16_sdwa s[0:1], v22, v22 src0_sel:DWORD src1_sel:WORD_1
	v_cmp_gt_u32_e32 vcc, s86, v12
	v_mov_b32_e32 v14, 0
	v_cndmask_b32_e64 v13, 0, 1, s[0:1]
	s_waitcnt lgkmcnt(0)
	v_and_b32_e32 v12, 0xffff, v26
	v_lshl_or_b32 v12, v13, 16, v12
	v_mov_b32_e32 v13, v14
	v_mov_b32_e32 v15, v14
	;; [unrolled: 1-line block ×4, first 2 shown]
	s_mov_b64 s[0:1], 0
                                        ; implicit-def: $sgpr50_sgpr51
                                        ; implicit-def: $vgpr41
	s_and_saveexec_b64 s[48:49], vcc
	s_cbranch_execz .LBB976_112
; %bb.103:
	v_cmp_ne_u16_sdwa s[0:1], v22, v23 src0_sel:WORD_1 src1_sel:DWORD
	v_add_u32_e32 v15, 19, v43
	v_cmp_gt_u32_e32 vcc, s86, v15
	v_cndmask_b32_e64 v13, 0, 1, s[0:1]
	v_alignbit_b32 v13, v13, v26, 16
	v_mov_b32_e32 v15, v14
	v_mov_b32_e32 v16, v14
	v_mov_b32_e32 v17, v14
	s_mov_b64 s[0:1], 0
                                        ; implicit-def: $sgpr52_sgpr53
                                        ; implicit-def: $vgpr41
	s_and_saveexec_b64 s[50:51], vcc
	s_cbranch_execz .LBB976_111
; %bb.104:
	v_cmp_ne_u16_sdwa s[0:1], v23, v23 src0_sel:DWORD src1_sel:WORD_1
	v_and_b32_e32 v14, 0xffff, v27
	v_add_u32_e32 v15, 20, v43
	v_cndmask_b32_e64 v16, 0, 1, s[0:1]
	v_lshl_or_b32 v14, v16, 16, v14
	v_mov_b32_e32 v16, 0
	v_cmp_gt_u32_e32 vcc, s86, v15
	v_mov_b32_e32 v15, v16
	v_mov_b32_e32 v17, v16
	s_mov_b64 s[0:1], 0
                                        ; implicit-def: $sgpr54_sgpr55
                                        ; implicit-def: $vgpr41
	s_and_saveexec_b64 s[52:53], vcc
	s_cbranch_execz .LBB976_110
; %bb.105:
	v_cmp_ne_u16_sdwa s[0:1], v23, v24 src0_sel:WORD_1 src1_sel:DWORD
	v_add_u32_e32 v17, 21, v43
	v_cmp_gt_u32_e32 vcc, s86, v17
	v_cndmask_b32_e64 v15, 0, 1, s[0:1]
	v_alignbit_b32 v15, v15, v27, 16
	s_mov_b32 s9, 0
	v_mov_b32_e32 v17, v16
	s_mov_b64 s[0:1], 0
                                        ; implicit-def: $sgpr60_sgpr61
                                        ; implicit-def: $vgpr41
	s_and_saveexec_b64 s[54:55], vcc
	s_cbranch_execz .LBB976_109
; %bb.106:
	v_cmp_ne_u16_sdwa s[0:1], v24, v24 src0_sel:DWORD src1_sel:WORD_1
	v_and_b32_e32 v16, 0xffff, v28
	v_add_u32_e32 v17, 22, v43
	v_cndmask_b32_e64 v22, 0, 1, s[0:1]
	v_lshl_or_b32 v16, v22, 16, v16
	v_cmp_gt_u32_e32 vcc, s86, v17
	v_mov_b32_e32 v17, s9
	s_mov_b64 s[0:1], 0
                                        ; implicit-def: $sgpr60_sgpr61
                                        ; implicit-def: $vgpr41
	s_and_saveexec_b64 s[84:85], vcc
	s_xor_b64 s[84:85], exec, s[84:85]
	s_cbranch_execz .LBB976_108
; %bb.107:
	ds_read_u16 v41, v40 offset:46
	v_add_u32_e32 v22, 23, v43
	v_cmp_ne_u16_sdwa s[0:1], v24, v25 src0_sel:WORD_1 src1_sel:DWORD
	v_cmp_ne_u16_e32 vcc, v25, v42
	s_and_b64 s[60:61], vcc, exec
	v_cndmask_b32_e64 v17, 0, 1, s[0:1]
	v_cmp_gt_u32_e64 s[0:1], s86, v22
	v_alignbit_b32 v17, v17, v28, 16
	s_and_b64 s[0:1], s[0:1], exec
.LBB976_108:
	s_or_b64 exec, exec, s[84:85]
	s_and_b64 s[60:61], s[60:61], exec
	s_and_b64 s[0:1], s[0:1], exec
.LBB976_109:
	s_or_b64 exec, exec, s[54:55]
	s_and_b64 s[54:55], s[60:61], exec
	s_and_b64 s[0:1], s[0:1], exec
.LBB976_110:
	s_or_b64 exec, exec, s[52:53]
	s_and_b64 s[52:53], s[54:55], exec
	s_and_b64 s[0:1], s[0:1], exec
.LBB976_111:
	s_or_b64 exec, exec, s[50:51]
	s_and_b64 s[50:51], s[52:53], exec
	s_and_b64 s[0:1], s[0:1], exec
.LBB976_112:
	s_or_b64 exec, exec, s[48:49]
	s_and_b64 s[48:49], s[50:51], exec
	s_and_b64 s[0:1], s[0:1], exec
.LBB976_113:
	s_or_b64 exec, exec, s[18:19]
	s_and_b64 s[18:19], s[48:49], exec
	s_and_b64 s[0:1], s[0:1], exec
.LBB976_114:
	s_or_b64 exec, exec, s[16:17]
	s_and_b64 s[16:17], s[18:19], exec
	s_and_b64 s[0:1], s[0:1], exec
.LBB976_115:
	s_or_b64 exec, exec, s[14:15]
	s_and_b64 s[14:15], s[16:17], exec
	s_and_b64 s[0:1], s[0:1], exec
.LBB976_116:
	s_or_b64 exec, exec, s[12:13]
	s_and_b64 s[48:49], s[14:15], exec
	s_and_b64 s[0:1], s[0:1], exec
.LBB976_117:
	s_or_b64 exec, exec, s[46:47]
	s_and_b64 s[12:13], s[48:49], exec
	s_and_b64 s[0:1], s[0:1], exec
.LBB976_118:
	s_or_b64 exec, exec, s[44:45]
	s_and_b64 s[44:45], s[12:13], exec
	s_and_b64 s[0:1], s[0:1], exec
.LBB976_119:
	s_or_b64 exec, exec, s[42:43]
	s_and_b64 s[12:13], s[44:45], exec
	s_and_b64 s[0:1], s[0:1], exec
.LBB976_120:
	s_or_b64 exec, exec, s[40:41]
	s_and_b64 s[40:41], s[12:13], exec
	s_and_b64 s[0:1], s[0:1], exec
.LBB976_121:
	s_or_b64 exec, exec, s[38:39]
	s_and_b64 s[12:13], s[40:41], exec
	s_and_b64 s[0:1], s[0:1], exec
.LBB976_122:
	s_or_b64 exec, exec, s[36:37]
	s_and_b64 s[36:37], s[12:13], exec
	s_and_b64 s[0:1], s[0:1], exec
.LBB976_123:
	s_or_b64 exec, exec, s[34:35]
	s_and_b64 s[12:13], s[36:37], exec
	s_and_b64 s[0:1], s[0:1], exec
.LBB976_124:
	s_or_b64 exec, exec, s[30:31]
	s_and_b64 s[30:31], s[12:13], exec
	s_and_b64 s[0:1], s[0:1], exec
.LBB976_125:
	s_or_b64 exec, exec, s[28:29]
	s_and_b64 s[12:13], s[30:31], exec
	s_and_b64 s[0:1], s[0:1], exec
.LBB976_126:
	s_or_b64 exec, exec, s[26:27]
	s_and_b64 s[26:27], s[12:13], exec
	s_and_b64 s[0:1], s[0:1], exec
.LBB976_127:
	s_or_b64 exec, exec, s[24:25]
	s_and_b64 s[12:13], s[26:27], exec
	s_and_b64 s[0:1], s[0:1], exec
.LBB976_128:
	s_or_b64 exec, exec, s[22:23]
	s_and_b64 s[24:25], s[12:13], exec
	s_and_b64 s[22:23], s[0:1], exec
.LBB976_129:
	s_or_b64 exec, exec, s[20:21]
	s_and_b64 s[0:1], s[24:25], exec
	s_and_b64 s[12:13], s[22:23], exec
.LBB976_130:
	s_or_b64 exec, exec, s[10:11]
	s_and_b64 vcc, exec, s[6:7]
	v_lshlrev_b32_e32 v22, 1, v0
	s_cbranch_vccnz .LBB976_132
	s_branch .LBB976_140
.LBB976_131:
                                        ; implicit-def: $sgpr0_sgpr1
                                        ; implicit-def: $vgpr18_vgpr19_vgpr20_vgpr21
                                        ; implicit-def: $vgpr2_vgpr3_vgpr4_vgpr5_vgpr6_vgpr7_vgpr8_vgpr9
                                        ; implicit-def: $vgpr10_vgpr11_vgpr12_vgpr13_vgpr14_vgpr15_vgpr16_vgpr17
                                        ; implicit-def: $vgpr41
                                        ; implicit-def: $vgpr1
                                        ; implicit-def: $vgpr38
                                        ; implicit-def: $vgpr39
                                        ; implicit-def: $sgpr8
	s_and_b64 vcc, exec, s[6:7]
	v_lshlrev_b32_e32 v22, 1, v0
	s_cbranch_vccz .LBB976_140
.LBB976_132:
	v_mov_b32_e32 v23, 0
	v_lshl_add_u64 v[2:3], s[78:79], 0, v[22:23]
	v_add_co_u32_e32 v4, vcc, 0x1000, v2
	flat_load_ushort v1, v[2:3]
	flat_load_ushort v6, v[2:3] offset:512
	flat_load_ushort v7, v[2:3] offset:1024
	;; [unrolled: 1-line block ×7, first 2 shown]
	v_addc_co_u32_e32 v5, vcc, 0, v3, vcc
	v_add_co_u32_e32 v2, vcc, 0x2000, v2
	flat_load_ushort v13, v[4:5]
	flat_load_ushort v14, v[4:5] offset:512
	flat_load_ushort v15, v[4:5] offset:1024
	;; [unrolled: 1-line block ×7, first 2 shown]
	v_addc_co_u32_e32 v3, vcc, 0, v3, vcc
	flat_load_ushort v5, v[2:3]
	flat_load_ushort v21, v[2:3] offset:512
	flat_load_ushort v23, v[2:3] offset:1024
	;; [unrolled: 1-line block ×7, first 2 shown]
	v_mad_u32_u24 v4, v0, 46, v22
	s_cmp_eq_u64 s[82:83], 0
	s_waitcnt vmcnt(0) lgkmcnt(0)
	ds_write_b16 v22, v1
	ds_write_b16 v22, v6 offset:512
	ds_write_b16 v22, v7 offset:1024
	;; [unrolled: 1-line block ×23, first 2 shown]
	s_waitcnt lgkmcnt(0)
	s_barrier
	ds_read_b64 v[2:3], v4
	ds_read_u16 v5, v4 offset:8
	ds_read_b128 v[10:13], v4 offset:10
	ds_read_u16 v14, v4 offset:26
	ds_read_b32 v15, v4 offset:44
	ds_read2_b32 v[26:27], v4 offset0:9 offset1:10
	ds_read2_b32 v[24:25], v4 offset0:7 offset1:8
	s_cbranch_scc1 .LBB976_137
; %bb.133:
	s_andn2_b64 vcc, exec, s[80:81]
	s_cbranch_vccnz .LBB976_324
; %bb.134:
	s_lshl_b64 s[0:1], s[82:83], 1
	s_add_u32 s0, s66, s0
	s_addc_u32 s1, s67, s1
	s_add_u32 s0, s0, -2
	s_addc_u32 s1, s1, -1
	s_cbranch_execnz .LBB976_136
.LBB976_135:
	s_add_u32 s0, s78, -2
	s_addc_u32 s1, s79, -1
.LBB976_136:
	s_mov_b64 s[78:79], s[0:1]
.LBB976_137:
	v_mov_b64_e32 v[6:7], s[78:79]
	flat_load_ushort v1, v[6:7]
	s_movk_i32 s0, 0xffd2
	s_waitcnt lgkmcnt(0)
	v_lshrrev_b32_e32 v6, 16, v15
	v_mad_i32_i24 v7, v0, s0, v4
	ds_write_b16 v7, v6 offset:12288
	s_waitcnt lgkmcnt(0)
	s_barrier
	s_and_saveexec_b64 s[0:1], s[4:5]
	s_cbranch_execz .LBB976_139
; %bb.138:
	s_waitcnt vmcnt(0)
	v_mul_i32_i24_e32 v1, 0xffffffd2, v0
	v_add_u32_e32 v1, v4, v1
	ds_read_u16 v1, v1 offset:12286
.LBB976_139:
	s_or_b64 exec, exec, s[0:1]
	v_mov_b32_e32 v23, 0
	v_lshl_add_u64 v[8:9], s[76:77], 0, v[22:23]
	s_movk_i32 s0, 0x1000
	v_add_co_u32_e32 v16, vcc, s0, v8
	s_movk_i32 s0, 0x2000
	s_nop 0
	v_addc_co_u32_e32 v17, vcc, 0, v9, vcc
	v_add_co_u32_e32 v8, vcc, s0, v8
	s_waitcnt lgkmcnt(0)
	s_barrier
	global_load_ushort v7, v22, s[76:77]
	global_load_ushort v18, v22, s[76:77] offset:512
	global_load_ushort v19, v22, s[76:77] offset:1024
	;; [unrolled: 1-line block ×7, first 2 shown]
	v_addc_co_u32_e32 v9, vcc, 0, v9, vcc
	global_load_ushort v30, v[8:9], off offset:-4096
	global_load_ushort v31, v[16:17], off offset:512
	global_load_ushort v32, v[16:17], off offset:1024
	;; [unrolled: 1-line block ×7, first 2 shown]
	global_load_ushort v38, v[8:9], off
	global_load_ushort v39, v[8:9], off offset:512
	global_load_ushort v40, v[8:9], off offset:1024
	;; [unrolled: 1-line block ×6, first 2 shown]
                                        ; kill: killed $vgpr16 killed $vgpr17
	s_nop 0
	global_load_ushort v8, v[8:9], off offset:3584
	v_cmp_ne_u16_sdwa s[6:7], v3, v5 src0_sel:WORD_1 src1_sel:DWORD
	s_waitcnt vmcnt(0)
	v_cmp_ne_u16_e32 vcc, v1, v2
	v_cmp_ne_u16_e64 s[0:1], v15, v6
	s_mov_b64 s[12:13], -1
	v_cndmask_b32_e64 v1, 0, 1, vcc
	v_cmp_ne_u16_e32 vcc, v5, v10
                                        ; implicit-def: $sgpr8
	v_sub_u16_e32 v7, 0, v7
	v_sub_u16_e32 v9, 0, v18
	;; [unrolled: 1-line block ×8, first 2 shown]
	ds_write_b16 v22, v7
	ds_write_b16 v22, v9 offset:512
	ds_write_b16 v22, v16 offset:1024
	;; [unrolled: 1-line block ×7, first 2 shown]
	v_sub_u16_e32 v7, 0, v30
	v_sub_u16_e32 v16, 0, v32
	;; [unrolled: 1-line block ×16, first 2 shown]
	ds_write_b16 v22, v7 offset:4096
	ds_write_b16 v22, v9 offset:4608
	;; [unrolled: 1-line block ×16, first 2 shown]
	s_waitcnt lgkmcnt(0)
	s_barrier
	ds_read_b96 v[32:34], v4
	v_cndmask_b32_e64 v8, 0, 1, s[6:7]
	v_cmp_ne_u16_sdwa s[6:7], v2, v3 src0_sel:WORD_1 src1_sel:DWORD
	ds_read_b128 v[28:31], v4 offset:30
	ds_read_u16 v41, v4 offset:46
	ds_read2_b32 v[16:17], v4 offset0:3 offset1:4
	s_waitcnt lgkmcnt(3)
	v_and_b32_e32 v7, 0xffff, v34
	v_lshl_or_b32 v21, v8, 16, v7
	v_cndmask_b32_e64 v7, 0, 1, s[6:7]
	v_cmp_ne_u16_sdwa s[6:7], v3, v3 src0_sel:DWORD src1_sel:WORD_1
	v_and_b32_e32 v6, 0xffff, v32
	v_lshl_or_b32 v1, v1, 16, v6
	v_cndmask_b32_e64 v3, 0, 1, s[6:7]
	v_cmp_ne_u16_sdwa s[6:7], v2, v2 src0_sel:DWORD src1_sel:WORD_1
	v_and_b32_e32 v6, 0xffff, v33
	v_alignbit_b32 v20, v3, v33, 16
	v_cndmask_b32_e64 v2, 0, 1, s[6:7]
	v_alignbit_b32 v18, v2, v32, 16
	ds_read_u16 v23, v4 offset:28
	ds_read2_b32 v[32:33], v4 offset0:5 offset1:6
	v_cmp_ne_u16_sdwa s[6:7], v13, v13 src0_sel:DWORD src1_sel:WORD_1
	v_lshl_or_b32 v19, v7, 16, v6
	v_cndmask_b32_e64 v2, 0, 1, vcc
	v_cndmask_b32_e64 v6, 0, 1, s[6:7]
	s_waitcnt lgkmcnt(0)
	v_and_b32_e32 v5, 0xffff, v33
	v_cmp_ne_u16_sdwa s[6:7], v12, v12 src0_sel:DWORD src1_sel:WORD_1
	v_and_b32_e32 v4, 0xffff, v32
	v_lshl_or_b32 v8, v6, 16, v5
	v_cndmask_b32_e64 v5, 0, 1, s[6:7]
	v_cmp_ne_u16_sdwa s[6:7], v11, v11 src0_sel:DWORD src1_sel:WORD_1
	v_and_b32_e32 v3, 0xffff, v17
	v_lshl_or_b32 v6, v5, 16, v4
	v_cndmask_b32_e64 v4, 0, 1, s[6:7]
	v_cmp_ne_u16_sdwa s[6:7], v10, v10 src0_sel:DWORD src1_sel:WORD_1
	v_alignbit_b32 v38, v2, v34, 16
	v_and_b32_e32 v2, 0xffff, v16
	v_lshl_or_b32 v4, v4, 16, v3
	v_cndmask_b32_e64 v3, 0, 1, s[6:7]
	v_cmp_ne_u16_sdwa s[6:7], v13, v14 src0_sel:WORD_1 src1_sel:DWORD
	v_lshl_or_b32 v2, v3, 16, v2
	v_cmp_ne_u16_e32 vcc, v14, v24
	v_cndmask_b32_e64 v3, 0, 1, s[6:7]
	v_cmp_ne_u16_sdwa s[6:7], v12, v13 src0_sel:WORD_1 src1_sel:DWORD
	v_alignbit_b32 v9, v3, v33, 16
	v_and_b32_e32 v13, 0xffff, v31
	v_cndmask_b32_e64 v3, 0, 1, s[6:7]
	v_cmp_ne_u16_sdwa s[6:7], v11, v12 src0_sel:WORD_1 src1_sel:DWORD
	v_alignbit_b32 v7, v3, v32, 16
	v_and_b32_e32 v12, 0xffff, v30
	v_cndmask_b32_e64 v3, 0, 1, s[6:7]
	v_cmp_ne_u16_sdwa s[6:7], v10, v11 src0_sel:WORD_1 src1_sel:DWORD
	v_alignbit_b32 v5, v3, v17, 16
	v_cndmask_b32_e64 v10, 0, 1, vcc
	v_cndmask_b32_e64 v3, 0, 1, s[6:7]
	v_cmp_ne_u16_sdwa s[6:7], v27, v27 src0_sel:DWORD src1_sel:WORD_1
	v_alignbit_b32 v3, v3, v16, 16
	v_and_b32_e32 v11, 0xffff, v29
	v_cndmask_b32_e64 v14, 0, 1, s[6:7]
	v_cmp_ne_u16_sdwa s[6:7], v26, v26 src0_sel:DWORD src1_sel:WORD_1
	v_lshl_or_b32 v16, v14, 16, v13
	v_lshl_or_b32 v39, v10, 16, v23
	v_cndmask_b32_e64 v13, 0, 1, s[6:7]
	v_cmp_ne_u16_sdwa s[6:7], v25, v25 src0_sel:DWORD src1_sel:WORD_1
	v_lshl_or_b32 v14, v13, 16, v12
	v_and_b32_e32 v10, 0xffff, v28
	v_cndmask_b32_e64 v12, 0, 1, s[6:7]
	v_cmp_ne_u16_sdwa s[6:7], v24, v24 src0_sel:DWORD src1_sel:WORD_1
	v_lshl_or_b32 v12, v12, 16, v11
	s_nop 0
	v_cndmask_b32_e64 v11, 0, 1, s[6:7]
	v_cmp_ne_u16_sdwa s[6:7], v27, v15 src0_sel:WORD_1 src1_sel:DWORD
	v_lshl_or_b32 v10, v11, 16, v10
	s_nop 0
	v_cndmask_b32_e64 v11, 0, 1, s[6:7]
	v_cmp_ne_u16_sdwa s[6:7], v26, v27 src0_sel:WORD_1 src1_sel:DWORD
	v_alignbit_b32 v17, v11, v31, 16
	s_nop 0
	v_cndmask_b32_e64 v11, 0, 1, s[6:7]
	v_cmp_ne_u16_sdwa s[6:7], v25, v26 src0_sel:WORD_1 src1_sel:DWORD
	v_alignbit_b32 v15, v11, v30, 16
	;; [unrolled: 4-line block ×3, first 2 shown]
	s_nop 0
	v_cndmask_b32_e64 v11, 0, 1, s[6:7]
	v_alignbit_b32 v11, v11, v28, 16
.LBB976_140:
	v_mov_b32_e32 v23, s8
	s_and_saveexec_b64 s[6:7], s[12:13]
	s_cbranch_execz .LBB976_142
; %bb.141:
	v_mov_b32_e32 v23, 0x10000
	v_cndmask_b32_e64 v23, 0, v23, s[0:1]
	s_waitcnt lgkmcnt(0)
	v_or_b32_sdwa v23, v23, v41 dst_sel:DWORD dst_unused:UNUSED_PAD src0_sel:DWORD src1_sel:WORD_0
.LBB976_142:
	s_or_b64 exec, exec, s[6:7]
	s_cmp_lg_u32 s71, 0
	s_waitcnt vmcnt(0)
	v_mbcnt_lo_u32_b32 v34, -1, 0
	s_waitcnt lgkmcnt(0)
	s_barrier
	s_cbranch_scc0 .LBB976_213
; %bb.143:
	s_mov_b32 s0, 0x10000
	v_cmp_gt_u32_e64 s[6:7], s0, v18
	v_cmp_gt_u32_e64 s[8:9], s0, v19
	v_cmp_gt_u32_e64 s[10:11], s0, v20
	v_cndmask_b32_e64 v24, 0, v1, s[6:7]
	v_add_u16_e32 v24, v24, v18
	v_cndmask_b32_e64 v24, 0, v24, s[8:9]
	v_add_u16_e32 v24, v24, v19
	v_cndmask_b32_e64 v24, 0, v24, s[10:11]
	v_add_u16_e32 v24, v24, v20
	v_cmp_gt_u32_e64 s[12:13], s0, v21
	v_cmp_gt_u32_e64 s[14:15], s0, v38
	v_cmp_gt_u32_e64 s[16:17], s0, v2
	v_cndmask_b32_e64 v24, 0, v24, s[12:13]
	v_add_u16_e32 v24, v24, v21
	v_cndmask_b32_e64 v24, 0, v24, s[14:15]
	v_add_u16_e32 v24, v24, v38
	v_cndmask_b32_e64 v24, 0, v24, s[16:17]
	v_add_u16_e32 v24, v24, v2
	;; [unrolled: 9-line block ×5, first 2 shown]
	v_cmp_gt_u32_e64 s[38:39], s0, v11
	v_cmp_gt_u32_e64 s[40:41], s0, v12
	v_or3_b32 v25, v23, v17, v16
	v_cndmask_b32_e64 v24, 0, v24, s[38:39]
	v_add_u16_e32 v24, v24, v11
	v_cndmask_b32_e64 v24, 0, v24, s[40:41]
	v_add_u16_e32 v24, v24, v12
	v_cmp_gt_u32_e64 s[42:43], s0, v13
	v_or3_b32 v25, v25, v15, v14
	v_or3_b32 v25, v25, v13, v12
	v_cndmask_b32_e64 v24, 0, v24, s[42:43]
	v_add_u16_e32 v24, v24, v13
	v_cmp_gt_u32_e64 s[44:45], s0, v14
	v_or3_b32 v25, v25, v11, v10
	v_or3_b32 v25, v25, v39, v9
	;; [unrolled: 5-line block ×5, first 2 shown]
	v_cndmask_b32_e64 v24, 0, v24, s[50:51]
	v_add_u16_e32 v24, v24, v17
	v_cmp_gt_u32_e64 s[52:53], s0, v23
	v_and_b32_e32 v25, 0x10000, v25
	v_lshrrev_b32_e32 v35, 16, v1
	v_cndmask_b32_e64 v26, 0, v24, s[52:53]
	v_cmp_ne_u32_e32 vcc, 0, v25
	v_add_u16_e32 v24, v26, v23
	v_mbcnt_hi_u32_b32 v27, -1, v34
	v_cndmask_b32_e64 v25, v35, 1, vcc
	v_add_u16_e32 v26, v26, v23
	v_and_b32_e32 v29, 15, v27
	v_lshl_or_b32 v26, v25, 16, v26
	v_cmp_ne_u32_e32 vcc, 0, v29
	s_nop 0
	v_mov_b32_dpp v28, v26 row_shr:1 row_mask:0xf bank_mask:0xf
	s_and_saveexec_b64 s[0:1], vcc
	s_cbranch_execz .LBB976_145
; %bb.144:
	v_cmp_eq_u32_e32 vcc, 0, v25
	v_and_b32_e32 v25, 1, v25
	v_mov_b32_e32 v31, 1
	v_cndmask_b32_e32 v26, 0, v28, vcc
	v_and_b32_sdwa v28, v28, v31 dst_sel:DWORD dst_unused:UNUSED_PAD src0_sel:WORD_1 src1_sel:DWORD
	v_cmp_eq_u32_e32 vcc, 1, v25
	v_add_u16_e32 v30, v26, v24
	v_add_u16_e32 v24, v26, v24
	v_cndmask_b32_e64 v25, v28, 1, vcc
	v_lshlrev_b32_e32 v28, 16, v25
	v_or_b32_e32 v26, v28, v24
	v_mov_b32_e32 v24, v30
.LBB976_145:
	s_or_b64 exec, exec, s[0:1]
	v_lshrrev_b32_e32 v28, 16, v26
	v_mov_b32_dpp v30, v26 row_shr:2 row_mask:0xf bank_mask:0xf
	v_cmp_lt_u32_e32 vcc, 1, v29
	s_and_saveexec_b64 s[0:1], vcc
	s_cbranch_execz .LBB976_147
; %bb.146:
	s_mov_b32 s54, 0x10000
	v_cmp_gt_u32_e32 vcc, s54, v26
	v_and_b32_e32 v25, 0x10000, v26
	v_mov_b32_e32 v26, 1
	v_cndmask_b32_e32 v28, 0, v30, vcc
	v_and_b32_sdwa v26, v30, v26 dst_sel:DWORD dst_unused:UNUSED_PAD src0_sel:WORD_1 src1_sel:DWORD
	v_cmp_ne_u32_e32 vcc, 0, v25
	v_add_u16_e32 v31, v28, v24
	v_add_u16_e32 v24, v28, v24
	v_cndmask_b32_e64 v25, v26, 1, vcc
	v_lshlrev_b32_e32 v26, 16, v25
	v_or_b32_e32 v26, v26, v24
	v_mov_b32_e32 v28, v25
	v_mov_b32_e32 v24, v31
.LBB976_147:
	s_or_b64 exec, exec, s[0:1]
	v_mov_b32_dpp v30, v26 row_shr:4 row_mask:0xf bank_mask:0xf
	v_cmp_lt_u32_e32 vcc, 3, v29
	s_and_saveexec_b64 s[0:1], vcc
	s_cbranch_execz .LBB976_149
; %bb.148:
	v_mov_b32_e32 v25, 0
	v_cmp_eq_u16_sdwa vcc, v28, v25 src0_sel:BYTE_0 src1_sel:DWORD
	v_and_b32_e32 v25, 1, v28
	v_mov_b32_e32 v28, 1
	v_cndmask_b32_e32 v26, 0, v30, vcc
	v_and_b32_sdwa v28, v30, v28 dst_sel:DWORD dst_unused:UNUSED_PAD src0_sel:WORD_1 src1_sel:DWORD
	v_cmp_eq_u32_e32 vcc, 1, v25
	v_add_u16_e32 v31, v26, v24
	v_add_u16_e32 v24, v26, v24
	v_cndmask_b32_e64 v25, v28, 1, vcc
	v_lshlrev_b32_e32 v28, 16, v25
	v_or_b32_e32 v26, v28, v24
	v_mov_b32_e32 v28, v25
	v_mov_b32_e32 v24, v31
.LBB976_149:
	s_or_b64 exec, exec, s[0:1]
	v_mov_b32_dpp v30, v26 row_shr:8 row_mask:0xf bank_mask:0xf
	v_cmp_lt_u32_e32 vcc, 7, v29
	s_and_saveexec_b64 s[0:1], vcc
	s_cbranch_execz .LBB976_151
; %bb.150:
	v_mov_b32_e32 v25, 0
	v_cmp_eq_u16_sdwa vcc, v28, v25 src0_sel:BYTE_0 src1_sel:DWORD
	v_and_b32_e32 v25, 1, v28
	v_mov_b32_e32 v28, 1
	v_cndmask_b32_e32 v26, 0, v30, vcc
	v_and_b32_sdwa v28, v30, v28 dst_sel:DWORD dst_unused:UNUSED_PAD src0_sel:WORD_1 src1_sel:DWORD
	v_cmp_eq_u32_e32 vcc, 1, v25
	v_add_u16_e32 v29, v26, v24
	v_add_u16_e32 v24, v26, v24
	v_cndmask_b32_e64 v25, v28, 1, vcc
	v_lshlrev_b32_e32 v28, 16, v25
	v_or_b32_e32 v26, v28, v24
	v_mov_b32_e32 v28, v25
	v_mov_b32_e32 v24, v29
.LBB976_151:
	s_or_b64 exec, exec, s[0:1]
	v_and_b32_e32 v30, 16, v27
	v_mov_b32_dpp v29, v26 row_bcast:15 row_mask:0xf bank_mask:0xf
	v_cmp_ne_u32_e32 vcc, 0, v30
	s_and_saveexec_b64 s[0:1], vcc
	s_cbranch_execz .LBB976_153
; %bb.152:
	v_mov_b32_e32 v25, 0
	v_cmp_eq_u16_sdwa vcc, v28, v25 src0_sel:BYTE_0 src1_sel:DWORD
	v_and_b32_e32 v25, 1, v28
	v_mov_b32_e32 v28, 1
	v_cndmask_b32_e32 v26, 0, v29, vcc
	v_and_b32_sdwa v28, v29, v28 dst_sel:DWORD dst_unused:UNUSED_PAD src0_sel:WORD_1 src1_sel:DWORD
	v_cmp_eq_u32_e32 vcc, 1, v25
	v_add_u16_e32 v30, v26, v24
	v_add_u16_e32 v24, v26, v24
	v_cndmask_b32_e64 v25, v28, 1, vcc
	v_lshlrev_b32_e32 v28, 16, v25
	v_or_b32_e32 v26, v28, v24
	v_mov_b32_e32 v24, v30
	v_mov_b32_e32 v28, v25
.LBB976_153:
	s_or_b64 exec, exec, s[0:1]
	v_mov_b32_dpp v26, v26 row_bcast:31 row_mask:0xf bank_mask:0xf
	v_cmp_lt_u32_e32 vcc, 31, v27
	s_and_saveexec_b64 s[0:1], vcc
; %bb.154:
	v_mov_b32_e32 v25, 0
	v_cmp_eq_u16_sdwa vcc, v28, v25 src0_sel:BYTE_0 src1_sel:DWORD
	s_nop 1
	v_cndmask_b32_e32 v25, 0, v26, vcc
	v_add_u16_e32 v24, v25, v24
	v_and_b32_e32 v25, 1, v28
	v_mov_b32_e32 v28, 1
	v_and_b32_sdwa v26, v26, v28 dst_sel:DWORD dst_unused:UNUSED_PAD src0_sel:WORD_1 src1_sel:DWORD
	v_cmp_eq_u32_e32 vcc, 1, v25
	s_nop 1
	v_cndmask_b32_e64 v25, v26, 1, vcc
; %bb.155:
	s_or_b64 exec, exec, s[0:1]
	v_or_b32_e32 v28, 63, v0
	v_lshrrev_b32_e32 v26, 6, v0
	v_cmp_eq_u32_e32 vcc, v28, v0
	s_and_saveexec_b64 s[0:1], vcc
	s_cbranch_execz .LBB976_157
; %bb.156:
	v_lshlrev_b32_e32 v28, 2, v26
	ds_write_b16 v28, v24
	ds_write_b8 v28, v25 offset:2
.LBB976_157:
	s_or_b64 exec, exec, s[0:1]
	v_cmp_gt_u32_e32 vcc, 4, v0
	s_waitcnt lgkmcnt(0)
	s_barrier
	s_and_saveexec_b64 s[0:1], vcc
	s_cbranch_execz .LBB976_163
; %bb.158:
	v_lshlrev_b32_e32 v28, 2, v0
	ds_read_b32 v29, v28
	v_and_b32_e32 v32, 3, v27
	v_cmp_ne_u32_e32 vcc, 0, v32
	s_waitcnt lgkmcnt(0)
	v_lshrrev_b32_e32 v31, 16, v29
	v_mov_b32_dpp v33, v29 row_shr:1 row_mask:0xf bank_mask:0xf
	v_mov_b32_e32 v30, v29
	s_and_saveexec_b64 s[54:55], vcc
	s_cbranch_execz .LBB976_160
; %bb.159:
	v_mov_b32_e32 v30, 0
	v_cmp_eq_u16_sdwa vcc, v31, v30 src0_sel:BYTE_0 src1_sel:DWORD
	v_and_b32_e32 v31, 0x10000, v29
	v_mov_b32_e32 v40, 1
	v_cndmask_b32_e32 v37, 0, v33, vcc
	v_and_b32_sdwa v33, v33, v40 dst_sel:DWORD dst_unused:UNUSED_PAD src0_sel:WORD_1 src1_sel:DWORD
	v_cmp_ne_u32_e32 vcc, 0, v31
	v_and_b32_e32 v36, 0xff000000, v29
	v_add_u16_e32 v30, v37, v29
	v_cndmask_b32_e64 v31, v33, 1, vcc
	v_lshlrev_b32_e32 v33, 16, v31
	v_add_u16_e32 v29, v37, v29
	v_or3_b32 v29, v33, v36, v29
.LBB976_160:
	s_or_b64 exec, exec, s[54:55]
	s_nop 0
	v_mov_b32_dpp v33, v29 row_shr:2 row_mask:0xf bank_mask:0xf
	v_cmp_lt_u32_e32 vcc, 1, v32
	s_and_saveexec_b64 s[54:55], vcc
; %bb.161:
	v_and_b32_e32 v31, 0xff0000, v29
	v_cmp_eq_u32_e32 vcc, 0, v31
	v_and_b32_e32 v29, 0x10000, v29
	s_nop 0
	v_cndmask_b32_e32 v31, 0, v33, vcc
	v_add_u16_e32 v30, v31, v30
	v_mov_b32_e32 v31, 1
	v_and_b32_sdwa v31, v33, v31 dst_sel:DWORD dst_unused:UNUSED_PAD src0_sel:WORD_1 src1_sel:DWORD
	v_cmp_eq_u32_e32 vcc, 0, v29
	s_nop 1
	v_cndmask_b32_e32 v31, 1, v31, vcc
; %bb.162:
	s_or_b64 exec, exec, s[54:55]
	ds_write_b16 v28, v30
	ds_write_b8 v28, v31 offset:2
.LBB976_163:
	s_or_b64 exec, exec, s[0:1]
	v_cmp_gt_u32_e32 vcc, 64, v0
	v_cmp_lt_u32_e64 s[0:1], 63, v0
	v_mov_b32_e32 v36, 0
	v_mov_b32_e32 v37, 0
	s_waitcnt lgkmcnt(0)
	s_barrier
	s_and_saveexec_b64 s[54:55], s[0:1]
	s_cbranch_execz .LBB976_165
; %bb.164:
	v_lshl_add_u32 v26, v26, 2, -4
	ds_read_u16 v36, v26
	ds_read_u8 v37, v26 offset:2
	v_mov_b32_e32 v28, 0
	v_and_b32_e32 v29, 1, v25
	v_cmp_eq_u16_sdwa s[0:1], v25, v28 src0_sel:BYTE_0 src1_sel:DWORD
	s_waitcnt lgkmcnt(1)
	s_nop 0
	v_cndmask_b32_e64 v25, 0, v36, s[0:1]
	v_cmp_eq_u32_e64 s[0:1], 1, v29
	v_add_u16_e32 v24, v25, v24
	s_waitcnt lgkmcnt(0)
	v_cndmask_b32_e64 v25, v37, 1, s[0:1]
.LBB976_165:
	s_or_b64 exec, exec, s[54:55]
	v_and_b32_e32 v25, 0xff, v25
	v_and_b32_e32 v24, 0xffff, v24
	v_lshl_or_b32 v24, v25, 16, v24
	v_add_u32_e32 v25, -1, v27
	v_and_b32_e32 v26, 64, v27
	v_cmp_lt_i32_e64 s[0:1], v25, v26
	v_cmp_eq_u32_e64 s[54:55], 0, v27
	s_nop 0
	v_cndmask_b32_e64 v25, v25, v27, s[0:1]
	v_lshlrev_b32_e32 v25, 2, v25
	ds_bpermute_b32 v40, v25, v24
	s_and_saveexec_b64 s[0:1], vcc
	s_cbranch_execz .LBB976_212
; %bb.166:
	v_mov_b32_e32 v33, 0
	ds_read_b32 v24, v33 offset:12
	s_and_saveexec_b64 s[60:61], s[54:55]
	s_cbranch_execz .LBB976_168
; %bb.167:
	s_add_i32 s66, s71, 64
	s_mov_b32 s67, 0
	s_lshl_b64 s[66:67], s[66:67], 3
	s_add_u32 s66, s68, s66
	v_mov_b32_e32 v25, 1
	s_addc_u32 s67, s69, s67
	s_waitcnt lgkmcnt(0)
	global_store_dwordx2 v33, v[24:25], s[66:67] sc1
.LBB976_168:
	s_or_b64 exec, exec, s[60:61]
	v_xad_u32 v26, v27, -1, s71
	v_add_u32_e32 v32, 64, v26
	v_lshl_add_u64 v[30:31], v[32:33], 3, s[68:69]
	global_load_dwordx2 v[28:29], v[30:31], off sc1
	s_waitcnt vmcnt(0)
	v_cmp_eq_u16_sdwa s[66:67], v29, v33 src0_sel:BYTE_0 src1_sel:DWORD
	s_and_saveexec_b64 s[60:61], s[66:67]
	s_cbranch_execz .LBB976_174
; %bb.169:
	s_mov_b32 s76, 1
	s_mov_b64 s[66:67], 0
	v_mov_b32_e32 v25, 0
.LBB976_170:                            ; =>This Loop Header: Depth=1
                                        ;     Child Loop BB976_171 Depth 2
	s_max_u32 s77, s76, 1
.LBB976_171:                            ;   Parent Loop BB976_170 Depth=1
                                        ; =>  This Inner Loop Header: Depth=2
	s_add_i32 s77, s77, -1
	s_cmp_eq_u32 s77, 0
	s_sleep 1
	s_cbranch_scc0 .LBB976_171
; %bb.172:                              ;   in Loop: Header=BB976_170 Depth=1
	global_load_dwordx2 v[28:29], v[30:31], off sc1
	s_cmp_lt_u32 s76, 32
	s_cselect_b64 s[78:79], -1, 0
	s_cmp_lg_u64 s[78:79], 0
	s_addc_u32 s76, s76, 0
	s_waitcnt vmcnt(0)
	v_cmp_ne_u16_sdwa s[78:79], v29, v25 src0_sel:BYTE_0 src1_sel:DWORD
	s_or_b64 s[66:67], s[78:79], s[66:67]
	s_andn2_b64 exec, exec, s[66:67]
	s_cbranch_execnz .LBB976_170
; %bb.173:
	s_or_b64 exec, exec, s[66:67]
.LBB976_174:
	s_or_b64 exec, exec, s[60:61]
	v_mov_b32_e32 v25, 2
	v_cmp_eq_u16_sdwa s[60:61], v29, v25 src0_sel:BYTE_0 src1_sel:DWORD
	v_lshlrev_b64 v[30:31], v27, -1
	v_and_b32_e32 v52, 0xffffff, v28
	v_and_b32_e32 v25, s61, v31
	v_or_b32_e32 v25, 0x80000000, v25
	v_ffbl_b32_e32 v25, v25
	v_add_u32_e32 v33, 32, v25
	v_and_b32_e32 v25, 63, v27
	v_cmp_ne_u32_e32 vcc, 63, v25
	v_and_b32_e32 v32, s60, v30
	v_ffbl_b32_e32 v32, v32
	v_addc_co_u32_e32 v41, vcc, 0, v27, vcc
	v_lshlrev_b32_e32 v41, 2, v41
	ds_bpermute_b32 v42, v41, v52
	v_min_u32_e32 v33, v32, v33
	v_lshrrev_b32_e32 v32, 16, v28
	v_cmp_lt_u32_e32 vcc, v25, v33
	v_bfe_u32 v50, v28, 16, 8
	s_and_saveexec_b64 s[60:61], vcc
	s_cbranch_execz .LBB976_176
; %bb.175:
	v_and_b32_e32 v32, 0xff0000, v28
	v_cmp_eq_u32_e32 vcc, 0, v32
	v_and_b32_e32 v32, 0x10000, v32
	v_mov_b32_e32 v45, 1
	s_waitcnt lgkmcnt(0)
	v_cndmask_b32_e32 v43, 0, v42, vcc
	v_and_b32_sdwa v42, v42, v45 dst_sel:DWORD dst_unused:UNUSED_PAD src0_sel:WORD_1 src1_sel:DWORD
	v_cmp_ne_u32_e32 vcc, 0, v32
	v_add_u16_e32 v44, v43, v28
	v_add_u16_e32 v28, v43, v28
	v_cndmask_b32_e64 v32, v42, 1, vcc
	v_lshlrev_b32_e32 v42, 16, v32
	v_or_b32_e32 v52, v42, v28
	v_mov_b32_e32 v28, v44
	v_mov_b32_e32 v50, v32
.LBB976_176:
	s_or_b64 exec, exec, s[60:61]
	v_cmp_gt_u32_e32 vcc, 62, v25
	v_add_u32_e32 v43, 2, v25
	s_waitcnt lgkmcnt(0)
	v_cndmask_b32_e64 v42, 0, 1, vcc
	v_lshlrev_b32_e32 v42, 1, v42
	v_add_lshl_u32 v42, v42, v27, 2
	ds_bpermute_b32 v44, v42, v52
	v_cmp_le_u32_e32 vcc, v43, v33
	s_and_saveexec_b64 s[60:61], vcc
	s_cbranch_execz .LBB976_178
; %bb.177:
	v_cmp_eq_u16_e32 vcc, 0, v50
	v_and_b32_e32 v32, 1, v50
	v_mov_b32_e32 v47, 1
	s_waitcnt lgkmcnt(0)
	v_cndmask_b32_e32 v45, 0, v44, vcc
	v_and_b32_sdwa v44, v44, v47 dst_sel:DWORD dst_unused:UNUSED_PAD src0_sel:WORD_1 src1_sel:DWORD
	v_cmp_eq_u32_e32 vcc, 1, v32
	v_add_u16_e32 v46, v45, v28
	v_add_u16_e32 v28, v45, v28
	v_cndmask_b32_e64 v32, v44, 1, vcc
	v_lshlrev_b32_e32 v44, 16, v32
	v_or_b32_e32 v52, v44, v28
	v_mov_b32_e32 v28, v46
	v_mov_b32_e32 v50, v32
.LBB976_178:
	s_or_b64 exec, exec, s[60:61]
	v_cmp_gt_u32_e32 vcc, 60, v25
	v_add_u32_e32 v45, 4, v25
	s_waitcnt lgkmcnt(0)
	v_cndmask_b32_e64 v44, 0, 1, vcc
	v_lshlrev_b32_e32 v44, 2, v44
	v_add_lshl_u32 v44, v44, v27, 2
	ds_bpermute_b32 v46, v44, v52
	v_cmp_le_u32_e32 vcc, v45, v33
	s_and_saveexec_b64 s[60:61], vcc
	s_cbranch_execz .LBB976_180
; %bb.179:
	v_cmp_eq_u16_e32 vcc, 0, v50
	v_and_b32_e32 v32, 1, v50
	v_mov_b32_e32 v49, 1
	s_waitcnt lgkmcnt(0)
	v_cndmask_b32_e32 v47, 0, v46, vcc
	v_and_b32_sdwa v46, v46, v49 dst_sel:DWORD dst_unused:UNUSED_PAD src0_sel:WORD_1 src1_sel:DWORD
	v_cmp_eq_u32_e32 vcc, 1, v32
	v_add_u16_e32 v48, v47, v28
	v_add_u16_e32 v28, v47, v28
	v_cndmask_b32_e64 v32, v46, 1, vcc
	v_lshlrev_b32_e32 v46, 16, v32
	v_or_b32_e32 v52, v46, v28
	v_mov_b32_e32 v28, v48
	v_mov_b32_e32 v50, v32
.LBB976_180:
	s_or_b64 exec, exec, s[60:61]
	v_cmp_gt_u32_e32 vcc, 56, v25
	v_add_u32_e32 v47, 8, v25
	s_waitcnt lgkmcnt(0)
	v_cndmask_b32_e64 v46, 0, 1, vcc
	v_lshlrev_b32_e32 v46, 3, v46
	v_add_lshl_u32 v46, v46, v27, 2
	ds_bpermute_b32 v48, v46, v52
	v_cmp_le_u32_e32 vcc, v47, v33
	s_and_saveexec_b64 s[60:61], vcc
	s_cbranch_execz .LBB976_182
; %bb.181:
	v_cmp_eq_u16_e32 vcc, 0, v50
	v_and_b32_e32 v32, 1, v50
	v_mov_b32_e32 v50, 1
	s_waitcnt lgkmcnt(0)
	v_cndmask_b32_e32 v49, 0, v48, vcc
	v_and_b32_sdwa v48, v48, v50 dst_sel:DWORD dst_unused:UNUSED_PAD src0_sel:WORD_1 src1_sel:DWORD
	v_cmp_eq_u32_e32 vcc, 1, v32
	v_add_u16_e32 v51, v49, v28
	v_add_u16_e32 v28, v49, v28
	v_cndmask_b32_e64 v32, v48, 1, vcc
	v_lshlrev_b32_e32 v48, 16, v32
	v_or_b32_e32 v52, v48, v28
	v_mov_b32_e32 v28, v51
	v_mov_b32_e32 v50, v32
.LBB976_182:
	s_or_b64 exec, exec, s[60:61]
	v_cmp_gt_u32_e32 vcc, 48, v25
	v_add_u32_e32 v49, 16, v25
	s_waitcnt lgkmcnt(0)
	v_cndmask_b32_e64 v48, 0, 1, vcc
	v_lshlrev_b32_e32 v48, 4, v48
	v_add_lshl_u32 v48, v48, v27, 2
	ds_bpermute_b32 v51, v48, v52
	v_cmp_le_u32_e32 vcc, v49, v33
	s_and_saveexec_b64 s[60:61], vcc
	s_cbranch_execz .LBB976_184
; %bb.183:
	v_cmp_eq_u16_e32 vcc, 0, v50
	v_and_b32_e32 v32, 1, v50
	v_mov_b32_e32 v50, 1
	s_waitcnt lgkmcnt(0)
	v_cndmask_b32_e32 v52, 0, v51, vcc
	v_and_b32_sdwa v50, v51, v50 dst_sel:DWORD dst_unused:UNUSED_PAD src0_sel:WORD_1 src1_sel:DWORD
	v_cmp_eq_u32_e32 vcc, 1, v32
	v_add_u16_e32 v53, v52, v28
	v_add_u16_e32 v28, v52, v28
	v_cndmask_b32_e64 v32, v50, 1, vcc
	v_lshlrev_b32_e32 v50, 16, v32
	v_or_b32_e32 v52, v50, v28
	v_mov_b32_e32 v28, v53
	v_mov_b32_e32 v50, v32
.LBB976_184:
	s_or_b64 exec, exec, s[60:61]
	v_cmp_gt_u32_e32 vcc, 32, v25
	s_waitcnt lgkmcnt(0)
	s_nop 0
	v_cndmask_b32_e64 v51, 0, 1, vcc
	v_lshlrev_b32_e32 v51, 5, v51
	v_add_lshl_u32 v51, v51, v27, 2
	ds_bpermute_b32 v27, v51, v52
	v_add_u32_e32 v52, 32, v25
	v_cmp_le_u32_e32 vcc, v52, v33
	s_and_saveexec_b64 s[60:61], vcc
	s_cbranch_execz .LBB976_186
; %bb.185:
	v_cmp_eq_u16_e32 vcc, 0, v50
	v_mov_b32_e32 v33, 1
	s_waitcnt lgkmcnt(0)
	v_cndmask_b32_e32 v32, 0, v27, vcc
	v_add_u16_e32 v28, v32, v28
	v_and_b32_e32 v32, 1, v50
	v_and_b32_sdwa v27, v27, v33 dst_sel:DWORD dst_unused:UNUSED_PAD src0_sel:WORD_1 src1_sel:DWORD
	v_cmp_eq_u32_e32 vcc, 1, v32
	s_nop 1
	v_cndmask_b32_e64 v32, v27, 1, vcc
.LBB976_186:
	s_or_b64 exec, exec, s[60:61]
	s_waitcnt lgkmcnt(0)
	v_mov_b32_e32 v27, 0
	v_mov_b32_e32 v54, 2
	;; [unrolled: 1-line block ×3, first 2 shown]
	s_branch .LBB976_188
.LBB976_187:                            ;   in Loop: Header=BB976_188 Depth=1
	s_or_b64 exec, exec, s[60:61]
	v_cmp_eq_u16_sdwa vcc, v50, v27 src0_sel:BYTE_0 src1_sel:DWORD
	v_and_b32_e32 v32, 1, v50
	v_and_b32_e32 v33, 1, v33
	v_cndmask_b32_e32 v28, 0, v28, vcc
	v_cmp_eq_u32_e32 vcc, 1, v32
	v_subrev_u32_e32 v26, 64, v26
	v_add_u16_e32 v28, v28, v53
	v_cndmask_b32_e64 v32, v33, 1, vcc
.LBB976_188:                            ; =>This Loop Header: Depth=1
                                        ;     Child Loop BB976_191 Depth 2
                                        ;       Child Loop BB976_192 Depth 3
	v_cmp_ne_u16_sdwa s[60:61], v29, v54 src0_sel:BYTE_0 src1_sel:DWORD
	v_mov_b32_e32 v50, v32
	v_mov_b32_e32 v53, v28
	v_cndmask_b32_e64 v29, 0, 1, s[60:61]
	;;#ASMSTART
	;;#ASMEND
	s_nop 0
	v_cmp_ne_u32_e32 vcc, 0, v29
	s_cmp_lg_u64 vcc, exec
	s_cbranch_scc1 .LBB976_207
; %bb.189:                              ;   in Loop: Header=BB976_188 Depth=1
	v_lshl_add_u64 v[32:33], v[26:27], 3, s[68:69]
	global_load_dwordx2 v[28:29], v[32:33], off sc1
	s_waitcnt vmcnt(0)
	v_cmp_eq_u16_sdwa s[66:67], v29, v27 src0_sel:BYTE_0 src1_sel:DWORD
	s_and_saveexec_b64 s[60:61], s[66:67]
	s_cbranch_execz .LBB976_195
; %bb.190:                              ;   in Loop: Header=BB976_188 Depth=1
	s_mov_b32 s76, 1
	s_mov_b64 s[66:67], 0
.LBB976_191:                            ;   Parent Loop BB976_188 Depth=1
                                        ; =>  This Loop Header: Depth=2
                                        ;       Child Loop BB976_192 Depth 3
	s_max_u32 s77, s76, 1
.LBB976_192:                            ;   Parent Loop BB976_188 Depth=1
                                        ;     Parent Loop BB976_191 Depth=2
                                        ; =>    This Inner Loop Header: Depth=3
	s_add_i32 s77, s77, -1
	s_cmp_eq_u32 s77, 0
	s_sleep 1
	s_cbranch_scc0 .LBB976_192
; %bb.193:                              ;   in Loop: Header=BB976_191 Depth=2
	global_load_dwordx2 v[28:29], v[32:33], off sc1
	s_cmp_lt_u32 s76, 32
	s_cselect_b64 s[78:79], -1, 0
	s_cmp_lg_u64 s[78:79], 0
	s_addc_u32 s76, s76, 0
	s_waitcnt vmcnt(0)
	v_cmp_ne_u16_sdwa s[78:79], v29, v27 src0_sel:BYTE_0 src1_sel:DWORD
	s_or_b64 s[66:67], s[78:79], s[66:67]
	s_andn2_b64 exec, exec, s[66:67]
	s_cbranch_execnz .LBB976_191
; %bb.194:                              ;   in Loop: Header=BB976_188 Depth=1
	s_or_b64 exec, exec, s[66:67]
.LBB976_195:                            ;   in Loop: Header=BB976_188 Depth=1
	s_or_b64 exec, exec, s[60:61]
	v_cmp_eq_u16_sdwa s[60:61], v29, v54 src0_sel:BYTE_0 src1_sel:DWORD
	s_waitcnt lgkmcnt(0)
	v_and_b32_e32 v57, 0xffffff, v28
	ds_bpermute_b32 v58, v41, v57
	v_and_b32_e32 v32, s61, v31
	v_or_b32_e32 v32, 0x80000000, v32
	v_and_b32_e32 v33, s60, v30
	v_ffbl_b32_e32 v32, v32
	v_add_u32_e32 v32, 32, v32
	v_ffbl_b32_e32 v33, v33
	v_min_u32_e32 v32, v33, v32
	v_lshrrev_b32_e32 v33, 16, v28
	v_cmp_lt_u32_e32 vcc, v25, v32
	v_bfe_u32 v56, v28, 16, 8
	s_and_saveexec_b64 s[60:61], vcc
	s_cbranch_execz .LBB976_197
; %bb.196:                              ;   in Loop: Header=BB976_188 Depth=1
	v_and_b32_e32 v33, 0xff0000, v28
	v_cmp_eq_u32_e32 vcc, 0, v33
	v_and_b32_e32 v33, 0x10000, v33
	s_waitcnt lgkmcnt(0)
	v_and_b32_sdwa v57, v58, v55 dst_sel:DWORD dst_unused:UNUSED_PAD src0_sel:WORD_1 src1_sel:DWORD
	v_cndmask_b32_e32 v56, 0, v58, vcc
	v_cmp_ne_u32_e32 vcc, 0, v33
	v_add_u16_e32 v59, v56, v28
	v_add_u16_e32 v28, v56, v28
	v_cndmask_b32_e64 v33, v57, 1, vcc
	v_lshlrev_b32_e32 v57, 16, v33
	v_or_b32_e32 v57, v57, v28
	v_mov_b32_e32 v28, v59
	v_mov_b32_e32 v56, v33
.LBB976_197:                            ;   in Loop: Header=BB976_188 Depth=1
	s_or_b64 exec, exec, s[60:61]
	s_waitcnt lgkmcnt(0)
	ds_bpermute_b32 v58, v42, v57
	v_cmp_le_u32_e32 vcc, v43, v32
	s_and_saveexec_b64 s[60:61], vcc
	s_cbranch_execz .LBB976_199
; %bb.198:                              ;   in Loop: Header=BB976_188 Depth=1
	v_cmp_eq_u16_e32 vcc, 0, v56
	v_and_b32_e32 v33, 1, v56
	s_waitcnt lgkmcnt(0)
	v_and_b32_sdwa v56, v58, v55 dst_sel:DWORD dst_unused:UNUSED_PAD src0_sel:WORD_1 src1_sel:DWORD
	v_cndmask_b32_e32 v57, 0, v58, vcc
	v_cmp_eq_u32_e32 vcc, 1, v33
	v_add_u16_e32 v59, v57, v28
	v_add_u16_e32 v28, v57, v28
	v_cndmask_b32_e64 v33, v56, 1, vcc
	v_lshlrev_b32_e32 v56, 16, v33
	v_or_b32_e32 v57, v56, v28
	v_mov_b32_e32 v28, v59
	v_mov_b32_e32 v56, v33
.LBB976_199:                            ;   in Loop: Header=BB976_188 Depth=1
	s_or_b64 exec, exec, s[60:61]
	s_waitcnt lgkmcnt(0)
	ds_bpermute_b32 v58, v44, v57
	v_cmp_le_u32_e32 vcc, v45, v32
	s_and_saveexec_b64 s[60:61], vcc
	s_cbranch_execz .LBB976_201
; %bb.200:                              ;   in Loop: Header=BB976_188 Depth=1
	v_cmp_eq_u16_e32 vcc, 0, v56
	v_and_b32_e32 v33, 1, v56
	s_waitcnt lgkmcnt(0)
	v_and_b32_sdwa v56, v58, v55 dst_sel:DWORD dst_unused:UNUSED_PAD src0_sel:WORD_1 src1_sel:DWORD
	v_cndmask_b32_e32 v57, 0, v58, vcc
	v_cmp_eq_u32_e32 vcc, 1, v33
	v_add_u16_e32 v59, v57, v28
	v_add_u16_e32 v28, v57, v28
	v_cndmask_b32_e64 v33, v56, 1, vcc
	v_lshlrev_b32_e32 v56, 16, v33
	v_or_b32_e32 v57, v56, v28
	v_mov_b32_e32 v28, v59
	v_mov_b32_e32 v56, v33
.LBB976_201:                            ;   in Loop: Header=BB976_188 Depth=1
	;; [unrolled: 21-line block ×4, first 2 shown]
	s_or_b64 exec, exec, s[60:61]
	ds_bpermute_b32 v57, v51, v57
	v_cmp_le_u32_e32 vcc, v52, v32
	s_and_saveexec_b64 s[60:61], vcc
	s_cbranch_execz .LBB976_187
; %bb.206:                              ;   in Loop: Header=BB976_188 Depth=1
	v_cmp_eq_u16_e32 vcc, 0, v56
	s_waitcnt lgkmcnt(0)
	v_lshrrev_b32_e32 v33, 16, v57
	v_cndmask_b32_e32 v32, 0, v57, vcc
	v_add_u16_e32 v28, v32, v28
	v_and_b32_e32 v32, 1, v56
	v_cmp_eq_u32_e32 vcc, 1, v32
	s_nop 1
	v_cndmask_b32_e64 v33, v33, 1, vcc
	s_branch .LBB976_187
.LBB976_207:                            ;   in Loop: Header=BB976_188 Depth=1
                                        ; implicit-def: $vgpr32
                                        ; implicit-def: $vgpr28
	s_cbranch_execz .LBB976_188
; %bb.208:
	s_and_saveexec_b64 s[60:61], s[54:55]
	s_cbranch_execz .LBB976_210
; %bb.209:
	v_and_b32_e32 v25, 0xff0000, v24
	s_mov_b32 s67, 0
	v_cmp_eq_u32_e32 vcc, 0, v25
	v_and_b32_e32 v26, 0x10000, v24
	v_mov_b32_e32 v27, 1
	s_add_i32 s66, s71, 64
	v_cndmask_b32_e32 v25, 0, v53, vcc
	v_and_b32_sdwa v27, v50, v27 dst_sel:WORD_1 dst_unused:UNUSED_PAD src0_sel:DWORD src1_sel:DWORD
	v_mov_b32_e32 v28, 0x10000
	v_cmp_eq_u32_e32 vcc, 0, v26
	s_lshl_b64 s[66:67], s[66:67], 3
	s_add_u32 s66, s68, s66
	v_cndmask_b32_e32 v26, v28, v27, vcc
	v_add_u16_e32 v24, v25, v24
	s_addc_u32 s67, s69, s67
	v_mov_b32_e32 v27, 0
	v_or_b32_e32 v24, v26, v24
	v_mov_b32_e32 v25, 2
	global_store_dwordx2 v27, v[24:25], s[66:67] sc1
.LBB976_210:
	s_or_b64 exec, exec, s[60:61]
	s_and_b64 exec, exec, s[56:57]
	s_cbranch_execz .LBB976_212
; %bb.211:
	v_mov_b32_e32 v24, 0
	ds_write_b16 v24, v53 offset:12
	ds_write_b8 v24, v50 offset:14
.LBB976_212:
	s_or_b64 exec, exec, s[0:1]
	s_waitcnt lgkmcnt(0)
	v_lshrrev_b32_e32 v24, 16, v40
	v_mov_b32_e32 v26, 0
	s_mov_b32 s0, 0x10000
	v_cndmask_b32_e64 v24, v24, v37, s[54:55]
	v_cndmask_b32_e64 v25, v40, v36, s[54:55]
	s_barrier
	ds_read_b32 v27, v26 offset:12
	v_cmp_gt_u32_e32 vcc, s0, v1
	v_and_b32_e32 v28, 0x10000, v1
	v_and_b32_e32 v24, 1, v24
	v_cndmask_b32_e32 v25, 0, v25, vcc
	v_cmp_ne_u32_e32 vcc, 0, v28
	v_cndmask_b32_e64 v25, v25, 0, s[56:57]
	v_add_u16_e32 v25, v25, v1
	v_cndmask_b32_e64 v24, v24, 1, vcc
	v_cndmask_b32_e64 v24, v24, v35, s[56:57]
	v_cmp_eq_u16_sdwa vcc, v24, v26 src0_sel:BYTE_0 src1_sel:DWORD
	s_waitcnt lgkmcnt(0)
	s_nop 0
	v_cndmask_b32_e32 v24, 0, v27, vcc
	v_add_u16_e32 v50, v25, v24
	v_cndmask_b32_e64 v24, 0, v50, s[6:7]
	v_add_u16_e32 v24, v24, v18
	v_cndmask_b32_e64 v25, 0, v24, s[8:9]
	;; [unrolled: 2-line block ×23, first 2 shown]
	v_add_u16_e32 v49, v49, v23
	s_branch .LBB976_243
.LBB976_213:
                                        ; implicit-def: $vgpr50
                                        ; implicit-def: $vgpr24
                                        ; implicit-def: $vgpr25
                                        ; implicit-def: $vgpr26
                                        ; implicit-def: $vgpr27
                                        ; implicit-def: $vgpr28
                                        ; implicit-def: $vgpr29
                                        ; implicit-def: $vgpr31
                                        ; implicit-def: $vgpr30
                                        ; implicit-def: $vgpr32
                                        ; implicit-def: $vgpr33
                                        ; implicit-def: $vgpr35
                                        ; implicit-def: $vgpr36
                                        ; implicit-def: $vgpr37
                                        ; implicit-def: $vgpr40
                                        ; implicit-def: $vgpr42
                                        ; implicit-def: $vgpr41
                                        ; implicit-def: $vgpr43
                                        ; implicit-def: $vgpr44
                                        ; implicit-def: $vgpr45
                                        ; implicit-def: $vgpr46
                                        ; implicit-def: $vgpr47
                                        ; implicit-def: $vgpr48
                                        ; implicit-def: $vgpr49
	s_cbranch_execz .LBB976_243
; %bb.214:
	s_cmp_lg_u64 s[74:75], 0
	s_cselect_b32 s7, s63, 0
	s_cselect_b32 s6, s62, 0
	s_cmp_lg_u64 s[6:7], 0
	s_cselect_b64 s[0:1], -1, 0
	s_and_b64 s[8:9], s[56:57], s[0:1]
	s_and_saveexec_b64 s[0:1], s[8:9]
	s_cbranch_execz .LBB976_216
; %bb.215:
	v_mov_b32_e32 v24, 0
	global_load_ushort v25, v24, s[6:7]
	global_load_ubyte v26, v24, s[6:7] offset:2
	s_mov_b32 s6, 0x10000
	v_and_b32_e32 v24, 0x10000, v1
	v_mov_b32_e32 v27, 1
	v_cmp_gt_u32_e32 vcc, s6, v1
	v_mov_b32_e32 v28, 0x10000
	s_waitcnt vmcnt(0)
	v_and_b32_sdwa v26, v26, v27 dst_sel:WORD_1 dst_unused:UNUSED_PAD src0_sel:DWORD src1_sel:DWORD
	v_cndmask_b32_e32 v25, 0, v25, vcc
	v_cmp_eq_u32_e32 vcc, 0, v24
	v_add_u16_e32 v1, v25, v1
	s_nop 0
	v_cndmask_b32_e32 v24, v28, v26, vcc
	v_or_b32_e32 v1, v24, v1
.LBB976_216:
	s_or_b64 exec, exec, s[0:1]
	s_mov_b32 s50, 0x10000
	v_cmp_gt_u32_e32 vcc, s50, v18
	v_cmp_gt_u32_e64 s[6:7], s50, v19
	v_cmp_gt_u32_e64 s[8:9], s50, v20
	v_cndmask_b32_e32 v24, 0, v1, vcc
	v_add_u16_e32 v24, v24, v18
	v_cndmask_b32_e64 v25, 0, v24, s[6:7]
	v_add_u16_e32 v25, v25, v19
	v_bfe_u32 v28, v19, 16, 1
	v_mov_b32_e32 v53, 1
	v_cndmask_b32_e64 v26, 0, v25, s[8:9]
	v_lshlrev_b16_e32 v28, 1, v28
	v_and_b32_sdwa v29, v18, v53 dst_sel:DWORD dst_unused:UNUSED_PAD src0_sel:WORD_1 src1_sel:DWORD
	v_add_u16_e32 v26, v26, v20
	v_cmp_gt_u32_e64 s[10:11], s50, v21
	v_or_b32_e32 v28, v29, v28
	v_bfe_u32 v29, v21, 16, 1
	v_and_b32_sdwa v30, v20, v53 dst_sel:DWORD dst_unused:UNUSED_PAD src0_sel:WORD_1 src1_sel:DWORD
	v_cndmask_b32_e64 v27, 0, v26, s[10:11]
	v_lshlrev_b16_e32 v29, 3, v29
	v_lshlrev_b16_e32 v30, 2, v30
	v_add_u16_e32 v27, v27, v21
	v_or_b32_e32 v29, v29, v30
	v_cmp_gt_u32_e64 s[12:13], s50, v38
	v_or_b32_e32 v49, v28, v29
	v_and_b32_e32 v29, 0x10000, v38
	v_cndmask_b32_e64 v28, 0, v27, s[12:13]
	v_add_u16_e32 v28, v28, v38
	v_cmp_gt_u32_e64 s[14:15], s50, v2
	v_cmp_ne_u32_e64 s[0:1], 0, v29
	v_cmp_gt_u32_e64 s[16:17], s50, v3
	v_cndmask_b32_e64 v29, 0, v28, s[14:15]
	v_add_u16_e32 v29, v29, v2
	v_cndmask_b32_e64 v30, 0, v29, s[16:17]
	v_add_u16_e32 v31, v30, v3
	v_cmp_gt_u32_e64 s[18:19], s50, v4
	v_cmp_gt_u32_e64 s[20:21], s50, v5
	;; [unrolled: 1-line block ×3, first 2 shown]
	v_cndmask_b32_e64 v30, 0, v31, s[18:19]
	v_add_u16_e32 v30, v30, v4
	v_cndmask_b32_e64 v32, 0, v30, s[20:21]
	v_add_u16_e32 v32, v32, v5
	;; [unrolled: 2-line block ×3, first 2 shown]
	v_cmp_gt_u32_e64 s[24:25], s50, v7
	v_cmp_gt_u32_e64 s[26:27], s50, v8
	;; [unrolled: 1-line block ×3, first 2 shown]
	v_cndmask_b32_e64 v35, 0, v33, s[24:25]
	v_add_u16_e32 v35, v35, v7
	v_cndmask_b32_e64 v36, 0, v35, s[26:27]
	v_add_u16_e32 v36, v36, v8
	;; [unrolled: 2-line block ×3, first 2 shown]
	v_cmp_gt_u32_e64 s[30:31], s50, v39
	v_and_b32_e32 v41, 0x10000, v39
	v_cmp_gt_u32_e64 s[34:35], s50, v10
	v_cndmask_b32_e64 v40, 0, v37, s[30:31]
	v_add_u16_e32 v40, v40, v39
	v_cmp_ne_u32_e64 s[52:53], 0, v41
	v_cndmask_b32_e64 v41, 0, v40, s[34:35]
	v_add_u16_e32 v42, v41, v10
	v_cmp_gt_u32_e64 s[36:37], s50, v11
	v_cmp_gt_u32_e64 s[38:39], s50, v12
	v_and_b32_e32 v52, 0x10000, v23
	v_cndmask_b32_e64 v41, 0, v42, s[36:37]
	v_add_u16_e32 v41, v41, v11
	v_cndmask_b32_e64 v43, 0, v41, s[38:39]
	v_add_u16_e32 v43, v43, v12
	v_cmp_gt_u32_e64 s[40:41], s50, v13
	v_cmp_ne_u32_e64 s[54:55], 0, v52
	v_or_b32_e32 v52, v16, v8
	v_or_b32_e32 v55, v17, v9
	;; [unrolled: 1-line block ×3, first 2 shown]
	v_cndmask_b32_e64 v44, 0, v43, s[40:41]
	v_or_b32_e32 v56, v14, v6
	v_or_b32_e32 v58, v12, v4
	;; [unrolled: 1-line block ×4, first 2 shown]
	v_bfe_u32 v57, v57, 16, 1
	v_bfe_u32 v55, v55, 16, 1
	v_and_b32_sdwa v52, v52, v53 dst_sel:DWORD dst_unused:UNUSED_PAD src0_sel:WORD_1 src1_sel:DWORD
	v_add_u16_e32 v44, v44, v13
	v_cmp_gt_u32_e64 s[42:43], s50, v14
	v_or_b32_e32 v60, v10, v2
	v_bfe_u32 v61, v61, 16, 1
	v_bfe_u32 v59, v59, 16, 1
	v_and_b32_sdwa v58, v58, v53 dst_sel:DWORD dst_unused:UNUSED_PAD src0_sel:WORD_1 src1_sel:DWORD
	v_lshlrev_b16_e32 v57, 1, v57
	v_and_b32_sdwa v56, v56, v53 dst_sel:DWORD dst_unused:UNUSED_PAD src0_sel:WORD_1 src1_sel:DWORD
	v_lshlrev_b16_e32 v55, 3, v55
	v_lshlrev_b16_e32 v52, 2, v52
	v_cndmask_b32_e64 v45, 0, v44, s[42:43]
	v_lshlrev_b16_e32 v61, 1, v61
	v_and_b32_sdwa v60, v60, v53 dst_sel:DWORD dst_unused:UNUSED_PAD src0_sel:WORD_1 src1_sel:DWORD
	v_lshlrev_b16_e32 v59, 3, v59
	v_lshlrev_b16_e32 v58, 2, v58
	v_or_b32_e32 v56, v56, v57
	v_or_b32_e32 v52, v55, v52
	v_add_u16_e32 v45, v45, v14
	v_cmp_gt_u32_e64 s[44:45], s50, v15
	v_or_b32_e32 v60, v60, v61
	v_or_b32_e32 v58, v59, v58
	;; [unrolled: 1-line block ×3, first 2 shown]
	v_cndmask_b32_e64 v46, 0, v45, s[44:45]
	v_or_b32_e32 v58, v60, v58
	v_lshlrev_b16_e32 v52, 4, v52
	v_add_u16_e32 v46, v46, v15
	v_cmp_gt_u32_e64 s[46:47], s50, v16
	v_or_b32_e32 v52, v58, v52
	v_or_b32_e32 v49, v52, v49
	v_cndmask_b32_e64 v47, 0, v46, s[46:47]
	v_mov_b32_e32 v52, 0
	v_add_u16_e32 v47, v47, v16
	v_cmp_gt_u32_e64 s[48:49], s50, v17
	v_cmp_ne_u16_sdwa s[60:61], v49, v52 src0_sel:BYTE_0 src1_sel:DWORD
	s_or_b64 s[54:55], s[54:55], s[60:61]
	v_cndmask_b32_e64 v48, 0, v47, s[48:49]
	v_add_u16_e32 v48, v48, v17
	v_cmp_gt_u32_e64 s[50:51], s50, v23
	s_or_b64 s[52:53], s[54:55], s[52:53]
	v_lshrrev_b32_e32 v50, 16, v1
	v_cndmask_b32_e64 v54, 0, v48, s[50:51]
	s_or_b64 s[0:1], s[52:53], s[0:1]
	v_cndmask_b32_e64 v52, v50, 1, s[0:1]
	v_mbcnt_hi_u32_b32 v34, -1, v34
	v_add_u16_e32 v49, v54, v23
	v_add_u16_e32 v51, v54, v23
	v_and_b32_e32 v55, 15, v34
	v_lshl_or_b32 v54, v52, 16, v49
	v_cmp_ne_u32_e64 s[0:1], 0, v55
	s_nop 0
	v_mov_b32_dpp v56, v54 row_shr:1 row_mask:0xf bank_mask:0xf
	s_and_saveexec_b64 s[52:53], s[0:1]
; %bb.217:
	v_cmp_eq_u32_e64 s[0:1], 0, v52
	v_and_b32_e32 v52, 1, v52
	v_and_b32_sdwa v53, v56, v53 dst_sel:DWORD dst_unused:UNUSED_PAD src0_sel:WORD_1 src1_sel:DWORD
	v_cndmask_b32_e64 v54, 0, v56, s[0:1]
	v_cmp_eq_u32_e64 s[0:1], 1, v52
	v_add_u16_e32 v57, v51, v54
	v_add_u16_e32 v51, v51, v54
	v_cndmask_b32_e64 v52, v53, 1, s[0:1]
	v_lshlrev_b32_e32 v53, 16, v52
	v_or_b32_e32 v54, v53, v51
	v_mov_b32_e32 v51, v57
; %bb.218:
	s_or_b64 exec, exec, s[52:53]
	v_lshrrev_b32_e32 v53, 16, v54
	v_mov_b32_dpp v56, v54 row_shr:2 row_mask:0xf bank_mask:0xf
	v_cmp_lt_u32_e64 s[0:1], 1, v55
	s_and_saveexec_b64 s[52:53], s[0:1]
	s_cbranch_execz .LBB976_220
; %bb.219:
	s_mov_b32 s0, 0x10000
	v_cmp_gt_u32_e64 s[0:1], s0, v54
	v_and_b32_e32 v52, 0x10000, v54
	v_mov_b32_e32 v54, 1
	v_cndmask_b32_e64 v53, 0, v56, s[0:1]
	v_and_b32_sdwa v54, v56, v54 dst_sel:DWORD dst_unused:UNUSED_PAD src0_sel:WORD_1 src1_sel:DWORD
	v_cmp_ne_u32_e64 s[0:1], 0, v52
	v_add_u16_e32 v57, v53, v51
	v_add_u16_e32 v51, v53, v51
	v_cndmask_b32_e64 v52, v54, 1, s[0:1]
	v_lshlrev_b32_e32 v54, 16, v52
	v_or_b32_e32 v54, v54, v51
	v_mov_b32_e32 v53, v52
	v_mov_b32_e32 v51, v57
.LBB976_220:
	s_or_b64 exec, exec, s[52:53]
	v_mov_b32_dpp v56, v54 row_shr:4 row_mask:0xf bank_mask:0xf
	v_cmp_lt_u32_e64 s[0:1], 3, v55
	s_and_saveexec_b64 s[52:53], s[0:1]
	s_cbranch_execz .LBB976_222
; %bb.221:
	v_mov_b32_e32 v52, 0
	v_cmp_eq_u16_sdwa s[0:1], v53, v52 src0_sel:BYTE_0 src1_sel:DWORD
	v_and_b32_e32 v52, 1, v53
	v_mov_b32_e32 v53, 1
	v_cndmask_b32_e64 v54, 0, v56, s[0:1]
	v_and_b32_sdwa v53, v56, v53 dst_sel:DWORD dst_unused:UNUSED_PAD src0_sel:WORD_1 src1_sel:DWORD
	v_cmp_eq_u32_e64 s[0:1], 1, v52
	v_add_u16_e32 v57, v54, v51
	v_add_u16_e32 v51, v54, v51
	v_cndmask_b32_e64 v52, v53, 1, s[0:1]
	v_lshlrev_b32_e32 v53, 16, v52
	v_or_b32_e32 v54, v53, v51
	v_mov_b32_e32 v53, v52
	v_mov_b32_e32 v51, v57
.LBB976_222:
	s_or_b64 exec, exec, s[52:53]
	v_mov_b32_dpp v56, v54 row_shr:8 row_mask:0xf bank_mask:0xf
	v_cmp_lt_u32_e64 s[0:1], 7, v55
	s_and_saveexec_b64 s[52:53], s[0:1]
	s_cbranch_execz .LBB976_224
; %bb.223:
	v_mov_b32_e32 v52, 0
	v_cmp_eq_u16_sdwa s[0:1], v53, v52 src0_sel:BYTE_0 src1_sel:DWORD
	v_and_b32_e32 v52, 1, v53
	v_mov_b32_e32 v53, 1
	v_cndmask_b32_e64 v54, 0, v56, s[0:1]
	v_and_b32_sdwa v53, v56, v53 dst_sel:DWORD dst_unused:UNUSED_PAD src0_sel:WORD_1 src1_sel:DWORD
	v_cmp_eq_u32_e64 s[0:1], 1, v52
	v_add_u16_e32 v55, v54, v51
	v_add_u16_e32 v51, v54, v51
	v_cndmask_b32_e64 v52, v53, 1, s[0:1]
	v_lshlrev_b32_e32 v53, 16, v52
	v_or_b32_e32 v54, v53, v51
	v_mov_b32_e32 v53, v52
	v_mov_b32_e32 v51, v55
.LBB976_224:
	s_or_b64 exec, exec, s[52:53]
	v_and_b32_e32 v56, 16, v34
	v_mov_b32_dpp v55, v54 row_bcast:15 row_mask:0xf bank_mask:0xf
	v_cmp_ne_u32_e64 s[0:1], 0, v56
	s_and_saveexec_b64 s[52:53], s[0:1]
	s_cbranch_execz .LBB976_226
; %bb.225:
	v_mov_b32_e32 v52, 0
	v_cmp_eq_u16_sdwa s[0:1], v53, v52 src0_sel:BYTE_0 src1_sel:DWORD
	v_and_b32_e32 v52, 1, v53
	v_mov_b32_e32 v53, 1
	v_cndmask_b32_e64 v54, 0, v55, s[0:1]
	v_and_b32_sdwa v53, v55, v53 dst_sel:DWORD dst_unused:UNUSED_PAD src0_sel:WORD_1 src1_sel:DWORD
	v_cmp_eq_u32_e64 s[0:1], 1, v52
	v_add_u16_e32 v56, v54, v51
	v_add_u16_e32 v51, v54, v51
	v_cndmask_b32_e64 v52, v53, 1, s[0:1]
	v_lshlrev_b32_e32 v53, 16, v52
	v_or_b32_e32 v54, v53, v51
	v_mov_b32_e32 v51, v56
	v_mov_b32_e32 v53, v52
.LBB976_226:
	s_or_b64 exec, exec, s[52:53]
	v_mov_b32_dpp v54, v54 row_bcast:31 row_mask:0xf bank_mask:0xf
	v_cmp_lt_u32_e64 s[0:1], 31, v34
	s_and_saveexec_b64 s[52:53], s[0:1]
; %bb.227:
	v_mov_b32_e32 v52, 0
	v_cmp_eq_u16_sdwa s[0:1], v53, v52 src0_sel:BYTE_0 src1_sel:DWORD
	s_nop 1
	v_cndmask_b32_e64 v52, 0, v54, s[0:1]
	v_add_u16_e32 v51, v52, v51
	v_and_b32_e32 v52, 1, v53
	v_mov_b32_e32 v53, 1
	v_and_b32_sdwa v53, v54, v53 dst_sel:DWORD dst_unused:UNUSED_PAD src0_sel:WORD_1 src1_sel:DWORD
	v_cmp_eq_u32_e64 s[0:1], 1, v52
	s_nop 1
	v_cndmask_b32_e64 v52, v53, 1, s[0:1]
; %bb.228:
	s_or_b64 exec, exec, s[52:53]
	v_or_b32_e32 v54, 63, v0
	v_lshrrev_b32_e32 v53, 6, v0
	v_cmp_eq_u32_e64 s[0:1], v54, v0
	s_and_saveexec_b64 s[52:53], s[0:1]
	s_cbranch_execz .LBB976_230
; %bb.229:
	v_lshlrev_b32_e32 v54, 2, v53
	ds_write_b16 v54, v51
	ds_write_b8 v54, v52 offset:2
.LBB976_230:
	s_or_b64 exec, exec, s[52:53]
	v_cmp_gt_u32_e64 s[0:1], 4, v0
	s_waitcnt lgkmcnt(0)
	s_barrier
	s_and_saveexec_b64 s[52:53], s[0:1]
	s_cbranch_execz .LBB976_236
; %bb.231:
	v_lshlrev_b32_e32 v54, 2, v0
	ds_read_b32 v55, v54
	v_and_b32_e32 v58, 3, v34
	v_cmp_ne_u32_e64 s[0:1], 0, v58
	s_waitcnt lgkmcnt(0)
	v_lshrrev_b32_e32 v57, 16, v55
	v_mov_b32_dpp v59, v55 row_shr:1 row_mask:0xf bank_mask:0xf
	v_mov_b32_e32 v56, v55
	s_and_saveexec_b64 s[54:55], s[0:1]
	s_cbranch_execz .LBB976_233
; %bb.232:
	v_mov_b32_e32 v56, 0
	v_cmp_eq_u16_sdwa s[0:1], v57, v56 src0_sel:BYTE_0 src1_sel:DWORD
	v_and_b32_e32 v57, 0x10000, v55
	v_mov_b32_e32 v62, 1
	v_cndmask_b32_e64 v61, 0, v59, s[0:1]
	v_and_b32_sdwa v59, v59, v62 dst_sel:DWORD dst_unused:UNUSED_PAD src0_sel:WORD_1 src1_sel:DWORD
	v_cmp_ne_u32_e64 s[0:1], 0, v57
	v_and_b32_e32 v60, 0xff000000, v55
	v_add_u16_e32 v56, v61, v55
	v_cndmask_b32_e64 v57, v59, 1, s[0:1]
	v_lshlrev_b32_e32 v59, 16, v57
	v_add_u16_e32 v55, v61, v55
	v_or3_b32 v55, v59, v60, v55
.LBB976_233:
	s_or_b64 exec, exec, s[54:55]
	s_nop 0
	v_mov_b32_dpp v59, v55 row_shr:2 row_mask:0xf bank_mask:0xf
	v_cmp_lt_u32_e64 s[0:1], 1, v58
	s_and_saveexec_b64 s[54:55], s[0:1]
; %bb.234:
	v_and_b32_e32 v57, 0xff0000, v55
	v_cmp_eq_u32_e64 s[0:1], 0, v57
	v_and_b32_e32 v55, 0x10000, v55
	s_nop 0
	v_cndmask_b32_e64 v57, 0, v59, s[0:1]
	v_add_u16_e32 v56, v57, v56
	v_mov_b32_e32 v57, 1
	v_and_b32_sdwa v57, v59, v57 dst_sel:DWORD dst_unused:UNUSED_PAD src0_sel:WORD_1 src1_sel:DWORD
	v_cmp_eq_u32_e64 s[0:1], 0, v55
	s_nop 1
	v_cndmask_b32_e64 v57, 1, v57, s[0:1]
; %bb.235:
	s_or_b64 exec, exec, s[54:55]
	ds_write_b16 v54, v56
	ds_write_b8 v54, v57 offset:2
.LBB976_236:
	s_or_b64 exec, exec, s[52:53]
	v_cmp_lt_u32_e64 s[0:1], 63, v0
	v_mov_b32_e32 v54, 0
	s_waitcnt lgkmcnt(0)
	s_barrier
	s_and_saveexec_b64 s[52:53], s[0:1]
	s_cbranch_execz .LBB976_238
; %bb.237:
	v_lshl_add_u32 v53, v53, 2, -4
	ds_read_u16 v54, v53
	ds_read_u8 v53, v53 offset:2
	v_mov_b32_e32 v55, 0
	v_and_b32_e32 v56, 1, v52
	v_cmp_eq_u16_sdwa s[0:1], v52, v55 src0_sel:BYTE_0 src1_sel:DWORD
	s_waitcnt lgkmcnt(1)
	s_nop 0
	v_cndmask_b32_e64 v52, 0, v54, s[0:1]
	v_cmp_eq_u32_e64 s[0:1], 1, v56
	v_add_u16_e32 v51, v52, v51
	s_waitcnt lgkmcnt(0)
	v_cndmask_b32_e64 v52, v53, 1, s[0:1]
.LBB976_238:
	s_or_b64 exec, exec, s[52:53]
	v_and_b32_e32 v52, 0xff, v52
	v_and_b32_e32 v51, 0xffff, v51
	v_lshl_or_b32 v51, v52, 16, v51
	v_add_u32_e32 v52, -1, v34
	v_and_b32_e32 v53, 64, v34
	v_cmp_lt_i32_e64 s[0:1], v52, v53
	s_nop 1
	v_cndmask_b32_e64 v52, v52, v34, s[0:1]
	v_lshlrev_b32_e32 v52, 2, v52
	ds_bpermute_b32 v51, v52, v51
	s_and_saveexec_b64 s[52:53], s[4:5]
	s_cbranch_execz .LBB976_240
; %bb.239:
	v_cmp_eq_u32_e64 s[0:1], 0, v34
	v_and_b32_e32 v25, 0xff0000, v1
	v_mov_b32_e32 v50, 0
	s_waitcnt lgkmcnt(0)
	v_cndmask_b32_e64 v24, v51, v54, s[0:1]
	v_and_b32_e32 v24, 0xffff, v24
	v_cmp_eq_u32_e64 s[0:1], 0, v25
	;;#ASMSTART
	;;#ASMEND
	s_nop 1
	v_cndmask_b32_e64 v24, 0, v24, s[0:1]
	v_add_u32_e32 v1, v24, v1
	v_cndmask_b32_e32 v24, 0, v1, vcc
	v_add_u16_e32 v24, v24, v18
	v_cndmask_b32_e64 v18, 0, v24, s[6:7]
	v_add_u16_e32 v25, v18, v19
	v_cndmask_b32_e64 v18, 0, v25, s[8:9]
	;; [unrolled: 2-line block ×22, first 2 shown]
	v_add_u16_e32 v49, v2, v23
.LBB976_240:
	s_or_b64 exec, exec, s[52:53]
	s_and_saveexec_b64 s[0:1], s[56:57]
	s_cbranch_execz .LBB976_242
; %bb.241:
	v_mov_b32_e32 v4, 0
	ds_read_u8 v2, v4 offset:14
	ds_read_u16 v3, v4 offset:12
	s_waitcnt lgkmcnt(1)
	v_lshlrev_b32_e32 v2, 16, v2
	s_waitcnt lgkmcnt(0)
	v_or_b32_e32 v2, v2, v3
	v_mov_b32_e32 v3, 2
	global_store_dwordx2 v4, v[2:3], s[68:69] offset:512 sc1
.LBB976_242:
	s_or_b64 exec, exec, s[0:1]
	v_lshl_or_b32 v50, v50, 16, v1
.LBB976_243:
	s_add_u32 s0, s58, s72
	s_addc_u32 s1, s59, s73
	s_add_u32 s0, s0, s64
	s_addc_u32 s1, s1, s65
	s_and_b64 vcc, exec, s[2:3]
	v_mul_u32_u24_e32 v4, 24, v0
	s_cbranch_vccz .LBB976_295
; %bb.244:
	s_add_i32 s33, s33, s70
	v_cmp_le_u32_e32 vcc, s33, v4
                                        ; implicit-def: $vgpr1
                                        ; implicit-def: $vgpr2
                                        ; implicit-def: $vgpr3
                                        ; implicit-def: $vgpr5
                                        ; implicit-def: $vgpr6
                                        ; implicit-def: $vgpr7
                                        ; implicit-def: $vgpr8
	s_and_saveexec_b64 s[2:3], vcc
	s_xor_b64 s[2:3], exec, s[2:3]
; %bb.245:
	v_or_b32_e32 v1, 1, v4
	v_or_b32_e32 v2, 2, v4
	;; [unrolled: 1-line block ×7, first 2 shown]
; %bb.246:
	s_andn2_saveexec_b64 s[2:3], s[2:3]
; %bb.247:
	v_or_b32_e32 v1, 1, v4
	v_or_b32_e32 v2, 2, v4
	;; [unrolled: 1-line block ×7, first 2 shown]
; %bb.248:
	s_or_b64 exec, exec, s[2:3]
	v_lshlrev_b32_e32 v39, 1, v4
	v_lshlrev_b32_e32 v1, 1, v1
	s_waitcnt lgkmcnt(0)
	s_barrier
	ds_write_b16 v39, v50
	ds_write_b16 v1, v24
	v_lshlrev_b32_e32 v1, 1, v2
	ds_write_b16 v1, v25
	v_lshlrev_b32_e32 v1, 1, v3
	;; [unrolled: 2-line block ×5, first 2 shown]
	s_mov_b32 s2, 0x5040100
	ds_write_b16 v1, v29
	v_lshlrev_b32_e32 v1, 1, v8
	v_perm_b32 v9, v42, v40, s2
	v_perm_b32 v8, v37, v36, s2
	;; [unrolled: 1-line block ×4, first 2 shown]
	ds_write_b16 v1, v31
	ds_write_b128 v39, v[6:9] offset:16
	v_perm_b32 v9, v49, v48, s2
	v_perm_b32 v8, v47, v46, s2
	;; [unrolled: 1-line block ×4, first 2 shown]
	s_movk_i32 s2, 0xffd2
	v_mad_i32_i24 v2, v0, s2, v39
	ds_write_b128 v39, v[6:9] offset:32
	s_waitcnt lgkmcnt(0)
	s_barrier
	ds_read_u16 v53, v2 offset:512
	ds_read_u16 v52, v2 offset:1024
	;; [unrolled: 1-line block ×23, first 2 shown]
	v_mov_b32_e32 v23, 0
	v_lshl_add_u64 v[2:3], s[0:1], 0, v[22:23]
	v_cmp_gt_u32_e32 vcc, s33, v0
	s_and_saveexec_b64 s[2:3], vcc
	s_cbranch_execz .LBB976_250
; %bb.249:
	v_mul_i32_i24_e32 v54, 0xffffffd2, v0
	v_add_u32_e32 v39, v39, v54
	ds_read_u16 v39, v39
	s_waitcnt lgkmcnt(0)
	flat_store_short v[2:3], v39
.LBB976_250:
	s_or_b64 exec, exec, s[2:3]
	v_or_b32_e32 v39, 0x100, v0
	v_cmp_gt_u32_e32 vcc, s33, v39
	s_and_saveexec_b64 s[2:3], vcc
	s_cbranch_execz .LBB976_252
; %bb.251:
	s_waitcnt lgkmcnt(0)
	flat_store_short v[2:3], v53 offset:512
.LBB976_252:
	s_or_b64 exec, exec, s[2:3]
	v_or_b32_e32 v39, 0x200, v0
	v_cmp_gt_u32_e32 vcc, s33, v39
	s_and_saveexec_b64 s[2:3], vcc
	s_cbranch_execz .LBB976_254
; %bb.253:
	s_waitcnt lgkmcnt(0)
	flat_store_short v[2:3], v52 offset:1024
.LBB976_254:
	;; [unrolled: 9-line block ×4, first 2 shown]
	s_or_b64 exec, exec, s[2:3]
	s_waitcnt lgkmcnt(0)
	v_or_b32_e32 v38, 0x500, v0
	v_cmp_gt_u32_e32 vcc, s33, v38
	s_and_saveexec_b64 s[2:3], vcc
	s_cbranch_execz .LBB976_260
; %bb.259:
	flat_store_short v[2:3], v34 offset:2560
.LBB976_260:
	s_or_b64 exec, exec, s[2:3]
	v_or_b32_e32 v34, 0x600, v0
	v_cmp_gt_u32_e32 vcc, s33, v34
	s_and_saveexec_b64 s[2:3], vcc
	s_cbranch_execz .LBB976_262
; %bb.261:
	flat_store_short v[2:3], v21 offset:3072
.LBB976_262:
	s_or_b64 exec, exec, s[2:3]
	;; [unrolled: 8-line block ×3, first 2 shown]
	v_or_b32_e32 v20, 0x800, v0
	v_cmp_gt_u32_e32 vcc, s33, v20
	s_and_saveexec_b64 s[2:3], vcc
	s_cbranch_execz .LBB976_266
; %bb.265:
	v_add_co_u32_e32 v20, vcc, 0x1000, v2
	s_nop 1
	v_addc_co_u32_e32 v21, vcc, 0, v3, vcc
	flat_store_short v[20:21], v19
.LBB976_266:
	s_or_b64 exec, exec, s[2:3]
	v_or_b32_e32 v19, 0x900, v0
	v_cmp_gt_u32_e32 vcc, s33, v19
	s_and_saveexec_b64 s[2:3], vcc
	s_cbranch_execz .LBB976_268
; %bb.267:
	v_add_co_u32_e32 v20, vcc, 0x1000, v2
	s_nop 1
	v_addc_co_u32_e32 v21, vcc, 0, v3, vcc
	flat_store_short v[20:21], v18 offset:512
.LBB976_268:
	s_or_b64 exec, exec, s[2:3]
	v_or_b32_e32 v18, 0xa00, v0
	v_cmp_gt_u32_e32 vcc, s33, v18
	s_and_saveexec_b64 s[2:3], vcc
	s_cbranch_execz .LBB976_270
; %bb.269:
	v_add_co_u32_e32 v18, vcc, 0x1000, v2
	s_nop 1
	v_addc_co_u32_e32 v19, vcc, 0, v3, vcc
	flat_store_short v[18:19], v17 offset:1024
.LBB976_270:
	;; [unrolled: 11-line block ×7, first 2 shown]
	s_or_b64 exec, exec, s[2:3]
	v_or_b32_e32 v12, 0x1000, v0
	v_cmp_gt_u32_e32 vcc, s33, v12
	s_and_saveexec_b64 s[2:3], vcc
	s_cbranch_execz .LBB976_282
; %bb.281:
	v_add_co_u32_e32 v12, vcc, 0x2000, v2
	s_nop 1
	v_addc_co_u32_e32 v13, vcc, 0, v3, vcc
	flat_store_short v[12:13], v11
.LBB976_282:
	s_or_b64 exec, exec, s[2:3]
	v_or_b32_e32 v11, 0x1100, v0
	v_cmp_gt_u32_e32 vcc, s33, v11
	s_and_saveexec_b64 s[2:3], vcc
	s_cbranch_execz .LBB976_284
; %bb.283:
	v_add_co_u32_e32 v12, vcc, 0x2000, v2
	s_nop 1
	v_addc_co_u32_e32 v13, vcc, 0, v3, vcc
	flat_store_short v[12:13], v10 offset:512
.LBB976_284:
	s_or_b64 exec, exec, s[2:3]
	v_or_b32_e32 v10, 0x1200, v0
	v_cmp_gt_u32_e32 vcc, s33, v10
	s_and_saveexec_b64 s[2:3], vcc
	s_cbranch_execz .LBB976_286
; %bb.285:
	v_add_co_u32_e32 v10, vcc, 0x2000, v2
	s_nop 1
	v_addc_co_u32_e32 v11, vcc, 0, v3, vcc
	flat_store_short v[10:11], v9 offset:1024
.LBB976_286:
	;; [unrolled: 11-line block ×6, first 2 shown]
	s_or_b64 exec, exec, s[2:3]
	v_or_b32_e32 v2, 0x1700, v0
	v_mov_b32_e32 v1, v23
	v_cmp_gt_u32_e64 s[2:3], s33, v2
	s_branch .LBB976_297
.LBB976_295:
	s_mov_b64 s[2:3], 0
                                        ; implicit-def: $vgpr5
	s_cbranch_execz .LBB976_297
; %bb.296:
	s_mov_b32 s4, 0x5040100
	v_lshlrev_b32_e32 v6, 1, v4
	v_perm_b32 v5, v31, v29, s4
	v_perm_b32 v4, v28, v27, s4
	;; [unrolled: 1-line block ×4, first 2 shown]
	s_waitcnt lgkmcnt(0)
	s_barrier
	ds_write_b128 v6, v[2:5]
	v_perm_b32 v5, v42, v40, s4
	v_perm_b32 v4, v37, v36, s4
	;; [unrolled: 1-line block ×4, first 2 shown]
	ds_write_b128 v6, v[2:5] offset:16
	v_perm_b32 v4, v47, v46, s4
	v_perm_b32 v3, v45, v44, s4
	;; [unrolled: 1-line block ×4, first 2 shown]
	v_mov_b32_e32 v1, 0
	s_movk_i32 s4, 0xffd2
	ds_write_b128 v6, v[2:5] offset:32
	v_mad_i32_i24 v2, v0, s4, v6
	v_mov_b32_e32 v23, v1
	s_waitcnt lgkmcnt(0)
	s_barrier
	ds_read_u16 v4, v2
	ds_read_u16 v6, v2 offset:512
	ds_read_u16 v7, v2 offset:1024
	;; [unrolled: 1-line block ×23, first 2 shown]
	v_lshl_add_u64 v[2:3], s[0:1], 0, v[22:23]
	s_movk_i32 s4, 0x1000
	s_waitcnt lgkmcnt(0)
	flat_store_short v[2:3], v4
	flat_store_short v[2:3], v6 offset:512
	flat_store_short v[2:3], v7 offset:1024
	;; [unrolled: 1-line block ×7, first 2 shown]
	v_add_co_u32_e32 v6, vcc, s4, v2
	s_or_b64 s[2:3], s[2:3], exec
	s_nop 0
	v_addc_co_u32_e32 v7, vcc, 0, v3, vcc
	v_add_co_u32_e32 v2, vcc, 0x2000, v2
	flat_store_short v[6:7], v13
	flat_store_short v[6:7], v14 offset:512
	flat_store_short v[6:7], v15 offset:1024
	;; [unrolled: 1-line block ×7, first 2 shown]
	v_addc_co_u32_e32 v3, vcc, 0, v3, vcc
	flat_store_short v[2:3], v21
	flat_store_short v[2:3], v24 offset:512
	flat_store_short v[2:3], v25 offset:1024
	;; [unrolled: 1-line block ×6, first 2 shown]
.LBB976_297:
	s_and_saveexec_b64 s[4:5], s[2:3]
	s_cbranch_execnz .LBB976_299
; %bb.298:
	s_endpgm
.LBB976_299:
	v_lshl_add_u64 v[0:1], v[0:1], 1, s[0:1]
	v_add_co_u32_e32 v0, vcc, 0x2000, v0
	s_nop 1
	v_addc_co_u32_e32 v1, vcc, 0, v1, vcc
	flat_store_short v[0:1], v5 offset:3584
	s_endpgm
.LBB976_300:
	global_load_ushort v10, v15, s[76:77]
	s_waitcnt vmcnt(0)
	v_sub_u16_e32 v10, 0, v10
	s_or_b64 exec, exec, s[0:1]
                                        ; implicit-def: $vgpr17
	s_and_saveexec_b64 s[0:1], s[8:9]
	s_cbranch_execz .LBB976_61
.LBB976_301:
	global_load_ushort v17, v15, s[76:77] offset:512
	s_waitcnt vmcnt(0)
	v_sub_u16_e32 v17, 0, v17
	s_or_b64 exec, exec, s[0:1]
                                        ; implicit-def: $vgpr20
	s_and_saveexec_b64 s[0:1], s[10:11]
	s_cbranch_execz .LBB976_62
.LBB976_302:
	global_load_ushort v20, v15, s[76:77] offset:1024
	s_waitcnt vmcnt(0)
	v_sub_u16_e32 v20, 0, v20
	s_or_b64 exec, exec, s[0:1]
                                        ; implicit-def: $vgpr21
	s_and_saveexec_b64 s[0:1], s[12:13]
	s_cbranch_execz .LBB976_63
.LBB976_303:
	global_load_ushort v21, v15, s[76:77] offset:1536
	s_waitcnt vmcnt(0)
	v_sub_u16_e32 v21, 0, v21
	s_or_b64 exec, exec, s[0:1]
                                        ; implicit-def: $vgpr35
	s_and_saveexec_b64 s[0:1], s[14:15]
	s_cbranch_execz .LBB976_64
.LBB976_304:
	global_load_ushort v35, v15, s[76:77] offset:2048
	s_waitcnt vmcnt(0)
	v_sub_u16_e32 v35, 0, v35
	s_or_b64 exec, exec, s[0:1]
                                        ; implicit-def: $vgpr36
	s_and_saveexec_b64 s[0:1], s[16:17]
	s_cbranch_execz .LBB976_65
.LBB976_305:
	global_load_ushort v36, v15, s[76:77] offset:2560
	s_waitcnt vmcnt(0)
	v_sub_u16_e32 v36, 0, v36
	s_or_b64 exec, exec, s[0:1]
                                        ; implicit-def: $vgpr37
	s_and_saveexec_b64 s[0:1], s[18:19]
	s_cbranch_execz .LBB976_66
.LBB976_306:
	global_load_ushort v37, v15, s[76:77] offset:3072
	s_waitcnt vmcnt(0)
	v_sub_u16_e32 v37, 0, v37
	s_or_b64 exec, exec, s[0:1]
                                        ; implicit-def: $vgpr38
	s_and_saveexec_b64 s[0:1], s[20:21]
	s_cbranch_execz .LBB976_67
.LBB976_307:
	global_load_ushort v38, v15, s[76:77] offset:3584
	s_waitcnt vmcnt(0)
	v_sub_u16_e32 v38, 0, v38
	s_or_b64 exec, exec, s[0:1]
                                        ; implicit-def: $vgpr39
	s_and_saveexec_b64 s[0:1], s[22:23]
	s_cbranch_execz .LBB976_68
.LBB976_308:
	v_lshlrev_b32_e32 v1, 1, v1
	global_load_ushort v1, v1, s[76:77]
	s_waitcnt vmcnt(0)
	v_sub_u16_e32 v39, 0, v1
	s_or_b64 exec, exec, s[0:1]
                                        ; implicit-def: $vgpr1
	s_and_saveexec_b64 s[0:1], s[24:25]
	s_cbranch_execz .LBB976_69
.LBB976_309:
	v_lshlrev_b32_e32 v1, 1, v2
	global_load_ushort v1, v1, s[76:77]
	s_waitcnt vmcnt(0)
	v_sub_u16_e32 v1, 0, v1
	s_or_b64 exec, exec, s[0:1]
                                        ; implicit-def: $vgpr2
	s_and_saveexec_b64 s[0:1], s[26:27]
	s_cbranch_execz .LBB976_70
.LBB976_310:
	v_lshlrev_b32_e32 v2, 1, v3
	global_load_ushort v2, v2, s[76:77]
	s_waitcnt vmcnt(0)
	v_sub_u16_e32 v2, 0, v2
	s_or_b64 exec, exec, s[0:1]
                                        ; implicit-def: $vgpr3
	s_and_saveexec_b64 s[0:1], s[28:29]
	s_cbranch_execz .LBB976_71
.LBB976_311:
	v_lshlrev_b32_e32 v3, 1, v4
	global_load_ushort v3, v3, s[76:77]
	s_waitcnt vmcnt(0)
	v_sub_u16_e32 v3, 0, v3
	s_or_b64 exec, exec, s[0:1]
                                        ; implicit-def: $vgpr4
	s_and_saveexec_b64 s[0:1], s[30:31]
	s_cbranch_execz .LBB976_72
.LBB976_312:
	v_lshlrev_b32_e32 v4, 1, v5
	global_load_ushort v4, v4, s[76:77]
	s_waitcnt vmcnt(0)
	v_sub_u16_e32 v4, 0, v4
	s_or_b64 exec, exec, s[0:1]
                                        ; implicit-def: $vgpr5
	s_and_saveexec_b64 s[0:1], s[34:35]
	s_cbranch_execz .LBB976_73
.LBB976_313:
	v_lshlrev_b32_e32 v5, 1, v6
	global_load_ushort v5, v5, s[76:77]
	s_waitcnt vmcnt(0)
	v_sub_u16_e32 v5, 0, v5
	s_or_b64 exec, exec, s[0:1]
                                        ; implicit-def: $vgpr6
	s_and_saveexec_b64 s[0:1], s[36:37]
	s_cbranch_execz .LBB976_74
.LBB976_314:
	v_lshlrev_b32_e32 v6, 1, v7
	global_load_ushort v6, v6, s[76:77]
	s_waitcnt vmcnt(0)
	v_sub_u16_e32 v6, 0, v6
	s_or_b64 exec, exec, s[0:1]
                                        ; implicit-def: $vgpr7
	s_and_saveexec_b64 s[0:1], s[38:39]
	s_cbranch_execz .LBB976_75
.LBB976_315:
	v_lshlrev_b32_e32 v7, 1, v8
	global_load_ushort v7, v7, s[76:77]
	s_waitcnt vmcnt(0)
	v_sub_u16_e32 v7, 0, v7
	s_or_b64 exec, exec, s[0:1]
                                        ; implicit-def: $vgpr8
	s_and_saveexec_b64 s[0:1], s[40:41]
	s_cbranch_execz .LBB976_76
.LBB976_316:
	v_lshlrev_b32_e32 v8, 1, v9
	global_load_ushort v8, v8, s[76:77]
	s_waitcnt vmcnt(0)
	v_sub_u16_e32 v8, 0, v8
	s_or_b64 exec, exec, s[0:1]
                                        ; implicit-def: $vgpr9
	s_and_saveexec_b64 s[0:1], s[42:43]
	s_cbranch_execz .LBB976_77
.LBB976_317:
	v_lshlrev_b32_e32 v9, 1, v11
	global_load_ushort v9, v9, s[76:77]
	s_waitcnt vmcnt(0)
	v_sub_u16_e32 v9, 0, v9
	s_or_b64 exec, exec, s[0:1]
                                        ; implicit-def: $vgpr11
	s_and_saveexec_b64 s[0:1], s[44:45]
	s_cbranch_execz .LBB976_78
.LBB976_318:
	v_lshlrev_b32_e32 v11, 1, v12
	global_load_ushort v11, v11, s[76:77]
	s_waitcnt vmcnt(0)
	v_sub_u16_e32 v11, 0, v11
	s_or_b64 exec, exec, s[0:1]
                                        ; implicit-def: $vgpr12
	s_and_saveexec_b64 s[0:1], s[46:47]
	s_cbranch_execz .LBB976_79
.LBB976_319:
	v_lshlrev_b32_e32 v12, 1, v13
	global_load_ushort v12, v12, s[76:77]
	s_waitcnt vmcnt(0)
	v_sub_u16_e32 v12, 0, v12
	s_or_b64 exec, exec, s[0:1]
                                        ; implicit-def: $vgpr13
	s_and_saveexec_b64 s[0:1], s[48:49]
	s_cbranch_execz .LBB976_80
.LBB976_320:
	v_lshlrev_b32_e32 v13, 1, v14
	global_load_ushort v13, v13, s[76:77]
	s_waitcnt vmcnt(0)
	v_sub_u16_e32 v13, 0, v13
	s_or_b64 exec, exec, s[0:1]
                                        ; implicit-def: $vgpr14
	s_and_saveexec_b64 s[0:1], s[50:51]
	s_cbranch_execz .LBB976_81
.LBB976_321:
	v_lshlrev_b32_e32 v14, 1, v16
	global_load_ushort v14, v14, s[76:77]
	s_waitcnt vmcnt(0)
	v_sub_u16_e32 v14, 0, v14
	s_or_b64 exec, exec, s[0:1]
                                        ; implicit-def: $vgpr16
	s_and_saveexec_b64 s[0:1], s[52:53]
	s_cbranch_execz .LBB976_82
.LBB976_322:
	v_lshlrev_b32_e32 v16, 1, v18
	global_load_ushort v16, v16, s[76:77]
	s_waitcnt vmcnt(0)
	v_sub_u16_e32 v16, 0, v16
	s_or_b64 exec, exec, s[0:1]
                                        ; implicit-def: $vgpr18
	s_and_saveexec_b64 s[0:1], s[54:55]
	s_cbranch_execnz .LBB976_83
	s_branch .LBB976_84
.LBB976_323:
                                        ; implicit-def: $sgpr0_sgpr1
	s_branch .LBB976_56
.LBB976_324:
                                        ; implicit-def: $sgpr0_sgpr1
	s_branch .LBB976_135
	.section	.rodata,"a",@progbits
	.p2align	6, 0x0
	.amdhsa_kernel _ZN7rocprim17ROCPRIM_400000_NS6detail17trampoline_kernelINS0_14default_configENS1_27scan_by_key_config_selectorIssEEZZNS1_16scan_by_key_implILNS1_25lookback_scan_determinismE0ELb0ES3_N6thrust23THRUST_200600_302600_NS6detail15normal_iteratorINS9_10device_ptrIsEEEENS9_18transform_iteratorINS9_6negateIsEESE_NS9_11use_defaultESI_EESE_sNS9_4plusIvEENS9_8equal_toIvEEsEE10hipError_tPvRmT2_T3_T4_T5_mT6_T7_P12ihipStream_tbENKUlT_T0_E_clISt17integral_constantIbLb1EES14_EEDaSZ_S10_EUlSZ_E_NS1_11comp_targetILNS1_3genE5ELNS1_11target_archE942ELNS1_3gpuE9ELNS1_3repE0EEENS1_30default_config_static_selectorELNS0_4arch9wavefront6targetE1EEEvT1_
		.amdhsa_group_segment_fixed_size 13312
		.amdhsa_private_segment_fixed_size 0
		.amdhsa_kernarg_size 120
		.amdhsa_user_sgpr_count 2
		.amdhsa_user_sgpr_dispatch_ptr 0
		.amdhsa_user_sgpr_queue_ptr 0
		.amdhsa_user_sgpr_kernarg_segment_ptr 1
		.amdhsa_user_sgpr_dispatch_id 0
		.amdhsa_user_sgpr_kernarg_preload_length 0
		.amdhsa_user_sgpr_kernarg_preload_offset 0
		.amdhsa_user_sgpr_private_segment_size 0
		.amdhsa_uses_dynamic_stack 0
		.amdhsa_enable_private_segment 0
		.amdhsa_system_sgpr_workgroup_id_x 1
		.amdhsa_system_sgpr_workgroup_id_y 0
		.amdhsa_system_sgpr_workgroup_id_z 0
		.amdhsa_system_sgpr_workgroup_info 0
		.amdhsa_system_vgpr_workitem_id 0
		.amdhsa_next_free_vgpr 63
		.amdhsa_next_free_sgpr 87
		.amdhsa_accum_offset 64
		.amdhsa_reserve_vcc 1
		.amdhsa_float_round_mode_32 0
		.amdhsa_float_round_mode_16_64 0
		.amdhsa_float_denorm_mode_32 3
		.amdhsa_float_denorm_mode_16_64 3
		.amdhsa_dx10_clamp 1
		.amdhsa_ieee_mode 1
		.amdhsa_fp16_overflow 0
		.amdhsa_tg_split 0
		.amdhsa_exception_fp_ieee_invalid_op 0
		.amdhsa_exception_fp_denorm_src 0
		.amdhsa_exception_fp_ieee_div_zero 0
		.amdhsa_exception_fp_ieee_overflow 0
		.amdhsa_exception_fp_ieee_underflow 0
		.amdhsa_exception_fp_ieee_inexact 0
		.amdhsa_exception_int_div_zero 0
	.end_amdhsa_kernel
	.section	.text._ZN7rocprim17ROCPRIM_400000_NS6detail17trampoline_kernelINS0_14default_configENS1_27scan_by_key_config_selectorIssEEZZNS1_16scan_by_key_implILNS1_25lookback_scan_determinismE0ELb0ES3_N6thrust23THRUST_200600_302600_NS6detail15normal_iteratorINS9_10device_ptrIsEEEENS9_18transform_iteratorINS9_6negateIsEESE_NS9_11use_defaultESI_EESE_sNS9_4plusIvEENS9_8equal_toIvEEsEE10hipError_tPvRmT2_T3_T4_T5_mT6_T7_P12ihipStream_tbENKUlT_T0_E_clISt17integral_constantIbLb1EES14_EEDaSZ_S10_EUlSZ_E_NS1_11comp_targetILNS1_3genE5ELNS1_11target_archE942ELNS1_3gpuE9ELNS1_3repE0EEENS1_30default_config_static_selectorELNS0_4arch9wavefront6targetE1EEEvT1_,"axG",@progbits,_ZN7rocprim17ROCPRIM_400000_NS6detail17trampoline_kernelINS0_14default_configENS1_27scan_by_key_config_selectorIssEEZZNS1_16scan_by_key_implILNS1_25lookback_scan_determinismE0ELb0ES3_N6thrust23THRUST_200600_302600_NS6detail15normal_iteratorINS9_10device_ptrIsEEEENS9_18transform_iteratorINS9_6negateIsEESE_NS9_11use_defaultESI_EESE_sNS9_4plusIvEENS9_8equal_toIvEEsEE10hipError_tPvRmT2_T3_T4_T5_mT6_T7_P12ihipStream_tbENKUlT_T0_E_clISt17integral_constantIbLb1EES14_EEDaSZ_S10_EUlSZ_E_NS1_11comp_targetILNS1_3genE5ELNS1_11target_archE942ELNS1_3gpuE9ELNS1_3repE0EEENS1_30default_config_static_selectorELNS0_4arch9wavefront6targetE1EEEvT1_,comdat
.Lfunc_end976:
	.size	_ZN7rocprim17ROCPRIM_400000_NS6detail17trampoline_kernelINS0_14default_configENS1_27scan_by_key_config_selectorIssEEZZNS1_16scan_by_key_implILNS1_25lookback_scan_determinismE0ELb0ES3_N6thrust23THRUST_200600_302600_NS6detail15normal_iteratorINS9_10device_ptrIsEEEENS9_18transform_iteratorINS9_6negateIsEESE_NS9_11use_defaultESI_EESE_sNS9_4plusIvEENS9_8equal_toIvEEsEE10hipError_tPvRmT2_T3_T4_T5_mT6_T7_P12ihipStream_tbENKUlT_T0_E_clISt17integral_constantIbLb1EES14_EEDaSZ_S10_EUlSZ_E_NS1_11comp_targetILNS1_3genE5ELNS1_11target_archE942ELNS1_3gpuE9ELNS1_3repE0EEENS1_30default_config_static_selectorELNS0_4arch9wavefront6targetE1EEEvT1_, .Lfunc_end976-_ZN7rocprim17ROCPRIM_400000_NS6detail17trampoline_kernelINS0_14default_configENS1_27scan_by_key_config_selectorIssEEZZNS1_16scan_by_key_implILNS1_25lookback_scan_determinismE0ELb0ES3_N6thrust23THRUST_200600_302600_NS6detail15normal_iteratorINS9_10device_ptrIsEEEENS9_18transform_iteratorINS9_6negateIsEESE_NS9_11use_defaultESI_EESE_sNS9_4plusIvEENS9_8equal_toIvEEsEE10hipError_tPvRmT2_T3_T4_T5_mT6_T7_P12ihipStream_tbENKUlT_T0_E_clISt17integral_constantIbLb1EES14_EEDaSZ_S10_EUlSZ_E_NS1_11comp_targetILNS1_3genE5ELNS1_11target_archE942ELNS1_3gpuE9ELNS1_3repE0EEENS1_30default_config_static_selectorELNS0_4arch9wavefront6targetE1EEEvT1_
                                        ; -- End function
	.section	.AMDGPU.csdata,"",@progbits
; Kernel info:
; codeLenInByte = 16392
; NumSgprs: 93
; NumVgprs: 63
; NumAgprs: 0
; TotalNumVgprs: 63
; ScratchSize: 0
; MemoryBound: 0
; FloatMode: 240
; IeeeMode: 1
; LDSByteSize: 13312 bytes/workgroup (compile time only)
; SGPRBlocks: 11
; VGPRBlocks: 7
; NumSGPRsForWavesPerEU: 93
; NumVGPRsForWavesPerEU: 63
; AccumOffset: 64
; Occupancy: 4
; WaveLimiterHint : 1
; COMPUTE_PGM_RSRC2:SCRATCH_EN: 0
; COMPUTE_PGM_RSRC2:USER_SGPR: 2
; COMPUTE_PGM_RSRC2:TRAP_HANDLER: 0
; COMPUTE_PGM_RSRC2:TGID_X_EN: 1
; COMPUTE_PGM_RSRC2:TGID_Y_EN: 0
; COMPUTE_PGM_RSRC2:TGID_Z_EN: 0
; COMPUTE_PGM_RSRC2:TIDIG_COMP_CNT: 0
; COMPUTE_PGM_RSRC3_GFX90A:ACCUM_OFFSET: 15
; COMPUTE_PGM_RSRC3_GFX90A:TG_SPLIT: 0
	.section	.text._ZN7rocprim17ROCPRIM_400000_NS6detail17trampoline_kernelINS0_14default_configENS1_27scan_by_key_config_selectorIssEEZZNS1_16scan_by_key_implILNS1_25lookback_scan_determinismE0ELb0ES3_N6thrust23THRUST_200600_302600_NS6detail15normal_iteratorINS9_10device_ptrIsEEEENS9_18transform_iteratorINS9_6negateIsEESE_NS9_11use_defaultESI_EESE_sNS9_4plusIvEENS9_8equal_toIvEEsEE10hipError_tPvRmT2_T3_T4_T5_mT6_T7_P12ihipStream_tbENKUlT_T0_E_clISt17integral_constantIbLb1EES14_EEDaSZ_S10_EUlSZ_E_NS1_11comp_targetILNS1_3genE4ELNS1_11target_archE910ELNS1_3gpuE8ELNS1_3repE0EEENS1_30default_config_static_selectorELNS0_4arch9wavefront6targetE1EEEvT1_,"axG",@progbits,_ZN7rocprim17ROCPRIM_400000_NS6detail17trampoline_kernelINS0_14default_configENS1_27scan_by_key_config_selectorIssEEZZNS1_16scan_by_key_implILNS1_25lookback_scan_determinismE0ELb0ES3_N6thrust23THRUST_200600_302600_NS6detail15normal_iteratorINS9_10device_ptrIsEEEENS9_18transform_iteratorINS9_6negateIsEESE_NS9_11use_defaultESI_EESE_sNS9_4plusIvEENS9_8equal_toIvEEsEE10hipError_tPvRmT2_T3_T4_T5_mT6_T7_P12ihipStream_tbENKUlT_T0_E_clISt17integral_constantIbLb1EES14_EEDaSZ_S10_EUlSZ_E_NS1_11comp_targetILNS1_3genE4ELNS1_11target_archE910ELNS1_3gpuE8ELNS1_3repE0EEENS1_30default_config_static_selectorELNS0_4arch9wavefront6targetE1EEEvT1_,comdat
	.protected	_ZN7rocprim17ROCPRIM_400000_NS6detail17trampoline_kernelINS0_14default_configENS1_27scan_by_key_config_selectorIssEEZZNS1_16scan_by_key_implILNS1_25lookback_scan_determinismE0ELb0ES3_N6thrust23THRUST_200600_302600_NS6detail15normal_iteratorINS9_10device_ptrIsEEEENS9_18transform_iteratorINS9_6negateIsEESE_NS9_11use_defaultESI_EESE_sNS9_4plusIvEENS9_8equal_toIvEEsEE10hipError_tPvRmT2_T3_T4_T5_mT6_T7_P12ihipStream_tbENKUlT_T0_E_clISt17integral_constantIbLb1EES14_EEDaSZ_S10_EUlSZ_E_NS1_11comp_targetILNS1_3genE4ELNS1_11target_archE910ELNS1_3gpuE8ELNS1_3repE0EEENS1_30default_config_static_selectorELNS0_4arch9wavefront6targetE1EEEvT1_ ; -- Begin function _ZN7rocprim17ROCPRIM_400000_NS6detail17trampoline_kernelINS0_14default_configENS1_27scan_by_key_config_selectorIssEEZZNS1_16scan_by_key_implILNS1_25lookback_scan_determinismE0ELb0ES3_N6thrust23THRUST_200600_302600_NS6detail15normal_iteratorINS9_10device_ptrIsEEEENS9_18transform_iteratorINS9_6negateIsEESE_NS9_11use_defaultESI_EESE_sNS9_4plusIvEENS9_8equal_toIvEEsEE10hipError_tPvRmT2_T3_T4_T5_mT6_T7_P12ihipStream_tbENKUlT_T0_E_clISt17integral_constantIbLb1EES14_EEDaSZ_S10_EUlSZ_E_NS1_11comp_targetILNS1_3genE4ELNS1_11target_archE910ELNS1_3gpuE8ELNS1_3repE0EEENS1_30default_config_static_selectorELNS0_4arch9wavefront6targetE1EEEvT1_
	.globl	_ZN7rocprim17ROCPRIM_400000_NS6detail17trampoline_kernelINS0_14default_configENS1_27scan_by_key_config_selectorIssEEZZNS1_16scan_by_key_implILNS1_25lookback_scan_determinismE0ELb0ES3_N6thrust23THRUST_200600_302600_NS6detail15normal_iteratorINS9_10device_ptrIsEEEENS9_18transform_iteratorINS9_6negateIsEESE_NS9_11use_defaultESI_EESE_sNS9_4plusIvEENS9_8equal_toIvEEsEE10hipError_tPvRmT2_T3_T4_T5_mT6_T7_P12ihipStream_tbENKUlT_T0_E_clISt17integral_constantIbLb1EES14_EEDaSZ_S10_EUlSZ_E_NS1_11comp_targetILNS1_3genE4ELNS1_11target_archE910ELNS1_3gpuE8ELNS1_3repE0EEENS1_30default_config_static_selectorELNS0_4arch9wavefront6targetE1EEEvT1_
	.p2align	8
	.type	_ZN7rocprim17ROCPRIM_400000_NS6detail17trampoline_kernelINS0_14default_configENS1_27scan_by_key_config_selectorIssEEZZNS1_16scan_by_key_implILNS1_25lookback_scan_determinismE0ELb0ES3_N6thrust23THRUST_200600_302600_NS6detail15normal_iteratorINS9_10device_ptrIsEEEENS9_18transform_iteratorINS9_6negateIsEESE_NS9_11use_defaultESI_EESE_sNS9_4plusIvEENS9_8equal_toIvEEsEE10hipError_tPvRmT2_T3_T4_T5_mT6_T7_P12ihipStream_tbENKUlT_T0_E_clISt17integral_constantIbLb1EES14_EEDaSZ_S10_EUlSZ_E_NS1_11comp_targetILNS1_3genE4ELNS1_11target_archE910ELNS1_3gpuE8ELNS1_3repE0EEENS1_30default_config_static_selectorELNS0_4arch9wavefront6targetE1EEEvT1_,@function
_ZN7rocprim17ROCPRIM_400000_NS6detail17trampoline_kernelINS0_14default_configENS1_27scan_by_key_config_selectorIssEEZZNS1_16scan_by_key_implILNS1_25lookback_scan_determinismE0ELb0ES3_N6thrust23THRUST_200600_302600_NS6detail15normal_iteratorINS9_10device_ptrIsEEEENS9_18transform_iteratorINS9_6negateIsEESE_NS9_11use_defaultESI_EESE_sNS9_4plusIvEENS9_8equal_toIvEEsEE10hipError_tPvRmT2_T3_T4_T5_mT6_T7_P12ihipStream_tbENKUlT_T0_E_clISt17integral_constantIbLb1EES14_EEDaSZ_S10_EUlSZ_E_NS1_11comp_targetILNS1_3genE4ELNS1_11target_archE910ELNS1_3gpuE8ELNS1_3repE0EEENS1_30default_config_static_selectorELNS0_4arch9wavefront6targetE1EEEvT1_: ; @_ZN7rocprim17ROCPRIM_400000_NS6detail17trampoline_kernelINS0_14default_configENS1_27scan_by_key_config_selectorIssEEZZNS1_16scan_by_key_implILNS1_25lookback_scan_determinismE0ELb0ES3_N6thrust23THRUST_200600_302600_NS6detail15normal_iteratorINS9_10device_ptrIsEEEENS9_18transform_iteratorINS9_6negateIsEESE_NS9_11use_defaultESI_EESE_sNS9_4plusIvEENS9_8equal_toIvEEsEE10hipError_tPvRmT2_T3_T4_T5_mT6_T7_P12ihipStream_tbENKUlT_T0_E_clISt17integral_constantIbLb1EES14_EEDaSZ_S10_EUlSZ_E_NS1_11comp_targetILNS1_3genE4ELNS1_11target_archE910ELNS1_3gpuE8ELNS1_3repE0EEENS1_30default_config_static_selectorELNS0_4arch9wavefront6targetE1EEEvT1_
; %bb.0:
	.section	.rodata,"a",@progbits
	.p2align	6, 0x0
	.amdhsa_kernel _ZN7rocprim17ROCPRIM_400000_NS6detail17trampoline_kernelINS0_14default_configENS1_27scan_by_key_config_selectorIssEEZZNS1_16scan_by_key_implILNS1_25lookback_scan_determinismE0ELb0ES3_N6thrust23THRUST_200600_302600_NS6detail15normal_iteratorINS9_10device_ptrIsEEEENS9_18transform_iteratorINS9_6negateIsEESE_NS9_11use_defaultESI_EESE_sNS9_4plusIvEENS9_8equal_toIvEEsEE10hipError_tPvRmT2_T3_T4_T5_mT6_T7_P12ihipStream_tbENKUlT_T0_E_clISt17integral_constantIbLb1EES14_EEDaSZ_S10_EUlSZ_E_NS1_11comp_targetILNS1_3genE4ELNS1_11target_archE910ELNS1_3gpuE8ELNS1_3repE0EEENS1_30default_config_static_selectorELNS0_4arch9wavefront6targetE1EEEvT1_
		.amdhsa_group_segment_fixed_size 0
		.amdhsa_private_segment_fixed_size 0
		.amdhsa_kernarg_size 120
		.amdhsa_user_sgpr_count 2
		.amdhsa_user_sgpr_dispatch_ptr 0
		.amdhsa_user_sgpr_queue_ptr 0
		.amdhsa_user_sgpr_kernarg_segment_ptr 1
		.amdhsa_user_sgpr_dispatch_id 0
		.amdhsa_user_sgpr_kernarg_preload_length 0
		.amdhsa_user_sgpr_kernarg_preload_offset 0
		.amdhsa_user_sgpr_private_segment_size 0
		.amdhsa_uses_dynamic_stack 0
		.amdhsa_enable_private_segment 0
		.amdhsa_system_sgpr_workgroup_id_x 1
		.amdhsa_system_sgpr_workgroup_id_y 0
		.amdhsa_system_sgpr_workgroup_id_z 0
		.amdhsa_system_sgpr_workgroup_info 0
		.amdhsa_system_vgpr_workitem_id 0
		.amdhsa_next_free_vgpr 1
		.amdhsa_next_free_sgpr 0
		.amdhsa_accum_offset 4
		.amdhsa_reserve_vcc 0
		.amdhsa_float_round_mode_32 0
		.amdhsa_float_round_mode_16_64 0
		.amdhsa_float_denorm_mode_32 3
		.amdhsa_float_denorm_mode_16_64 3
		.amdhsa_dx10_clamp 1
		.amdhsa_ieee_mode 1
		.amdhsa_fp16_overflow 0
		.amdhsa_tg_split 0
		.amdhsa_exception_fp_ieee_invalid_op 0
		.amdhsa_exception_fp_denorm_src 0
		.amdhsa_exception_fp_ieee_div_zero 0
		.amdhsa_exception_fp_ieee_overflow 0
		.amdhsa_exception_fp_ieee_underflow 0
		.amdhsa_exception_fp_ieee_inexact 0
		.amdhsa_exception_int_div_zero 0
	.end_amdhsa_kernel
	.section	.text._ZN7rocprim17ROCPRIM_400000_NS6detail17trampoline_kernelINS0_14default_configENS1_27scan_by_key_config_selectorIssEEZZNS1_16scan_by_key_implILNS1_25lookback_scan_determinismE0ELb0ES3_N6thrust23THRUST_200600_302600_NS6detail15normal_iteratorINS9_10device_ptrIsEEEENS9_18transform_iteratorINS9_6negateIsEESE_NS9_11use_defaultESI_EESE_sNS9_4plusIvEENS9_8equal_toIvEEsEE10hipError_tPvRmT2_T3_T4_T5_mT6_T7_P12ihipStream_tbENKUlT_T0_E_clISt17integral_constantIbLb1EES14_EEDaSZ_S10_EUlSZ_E_NS1_11comp_targetILNS1_3genE4ELNS1_11target_archE910ELNS1_3gpuE8ELNS1_3repE0EEENS1_30default_config_static_selectorELNS0_4arch9wavefront6targetE1EEEvT1_,"axG",@progbits,_ZN7rocprim17ROCPRIM_400000_NS6detail17trampoline_kernelINS0_14default_configENS1_27scan_by_key_config_selectorIssEEZZNS1_16scan_by_key_implILNS1_25lookback_scan_determinismE0ELb0ES3_N6thrust23THRUST_200600_302600_NS6detail15normal_iteratorINS9_10device_ptrIsEEEENS9_18transform_iteratorINS9_6negateIsEESE_NS9_11use_defaultESI_EESE_sNS9_4plusIvEENS9_8equal_toIvEEsEE10hipError_tPvRmT2_T3_T4_T5_mT6_T7_P12ihipStream_tbENKUlT_T0_E_clISt17integral_constantIbLb1EES14_EEDaSZ_S10_EUlSZ_E_NS1_11comp_targetILNS1_3genE4ELNS1_11target_archE910ELNS1_3gpuE8ELNS1_3repE0EEENS1_30default_config_static_selectorELNS0_4arch9wavefront6targetE1EEEvT1_,comdat
.Lfunc_end977:
	.size	_ZN7rocprim17ROCPRIM_400000_NS6detail17trampoline_kernelINS0_14default_configENS1_27scan_by_key_config_selectorIssEEZZNS1_16scan_by_key_implILNS1_25lookback_scan_determinismE0ELb0ES3_N6thrust23THRUST_200600_302600_NS6detail15normal_iteratorINS9_10device_ptrIsEEEENS9_18transform_iteratorINS9_6negateIsEESE_NS9_11use_defaultESI_EESE_sNS9_4plusIvEENS9_8equal_toIvEEsEE10hipError_tPvRmT2_T3_T4_T5_mT6_T7_P12ihipStream_tbENKUlT_T0_E_clISt17integral_constantIbLb1EES14_EEDaSZ_S10_EUlSZ_E_NS1_11comp_targetILNS1_3genE4ELNS1_11target_archE910ELNS1_3gpuE8ELNS1_3repE0EEENS1_30default_config_static_selectorELNS0_4arch9wavefront6targetE1EEEvT1_, .Lfunc_end977-_ZN7rocprim17ROCPRIM_400000_NS6detail17trampoline_kernelINS0_14default_configENS1_27scan_by_key_config_selectorIssEEZZNS1_16scan_by_key_implILNS1_25lookback_scan_determinismE0ELb0ES3_N6thrust23THRUST_200600_302600_NS6detail15normal_iteratorINS9_10device_ptrIsEEEENS9_18transform_iteratorINS9_6negateIsEESE_NS9_11use_defaultESI_EESE_sNS9_4plusIvEENS9_8equal_toIvEEsEE10hipError_tPvRmT2_T3_T4_T5_mT6_T7_P12ihipStream_tbENKUlT_T0_E_clISt17integral_constantIbLb1EES14_EEDaSZ_S10_EUlSZ_E_NS1_11comp_targetILNS1_3genE4ELNS1_11target_archE910ELNS1_3gpuE8ELNS1_3repE0EEENS1_30default_config_static_selectorELNS0_4arch9wavefront6targetE1EEEvT1_
                                        ; -- End function
	.section	.AMDGPU.csdata,"",@progbits
; Kernel info:
; codeLenInByte = 0
; NumSgprs: 6
; NumVgprs: 0
; NumAgprs: 0
; TotalNumVgprs: 0
; ScratchSize: 0
; MemoryBound: 0
; FloatMode: 240
; IeeeMode: 1
; LDSByteSize: 0 bytes/workgroup (compile time only)
; SGPRBlocks: 0
; VGPRBlocks: 0
; NumSGPRsForWavesPerEU: 6
; NumVGPRsForWavesPerEU: 1
; AccumOffset: 4
; Occupancy: 8
; WaveLimiterHint : 0
; COMPUTE_PGM_RSRC2:SCRATCH_EN: 0
; COMPUTE_PGM_RSRC2:USER_SGPR: 2
; COMPUTE_PGM_RSRC2:TRAP_HANDLER: 0
; COMPUTE_PGM_RSRC2:TGID_X_EN: 1
; COMPUTE_PGM_RSRC2:TGID_Y_EN: 0
; COMPUTE_PGM_RSRC2:TGID_Z_EN: 0
; COMPUTE_PGM_RSRC2:TIDIG_COMP_CNT: 0
; COMPUTE_PGM_RSRC3_GFX90A:ACCUM_OFFSET: 0
; COMPUTE_PGM_RSRC3_GFX90A:TG_SPLIT: 0
	.section	.text._ZN7rocprim17ROCPRIM_400000_NS6detail17trampoline_kernelINS0_14default_configENS1_27scan_by_key_config_selectorIssEEZZNS1_16scan_by_key_implILNS1_25lookback_scan_determinismE0ELb0ES3_N6thrust23THRUST_200600_302600_NS6detail15normal_iteratorINS9_10device_ptrIsEEEENS9_18transform_iteratorINS9_6negateIsEESE_NS9_11use_defaultESI_EESE_sNS9_4plusIvEENS9_8equal_toIvEEsEE10hipError_tPvRmT2_T3_T4_T5_mT6_T7_P12ihipStream_tbENKUlT_T0_E_clISt17integral_constantIbLb1EES14_EEDaSZ_S10_EUlSZ_E_NS1_11comp_targetILNS1_3genE3ELNS1_11target_archE908ELNS1_3gpuE7ELNS1_3repE0EEENS1_30default_config_static_selectorELNS0_4arch9wavefront6targetE1EEEvT1_,"axG",@progbits,_ZN7rocprim17ROCPRIM_400000_NS6detail17trampoline_kernelINS0_14default_configENS1_27scan_by_key_config_selectorIssEEZZNS1_16scan_by_key_implILNS1_25lookback_scan_determinismE0ELb0ES3_N6thrust23THRUST_200600_302600_NS6detail15normal_iteratorINS9_10device_ptrIsEEEENS9_18transform_iteratorINS9_6negateIsEESE_NS9_11use_defaultESI_EESE_sNS9_4plusIvEENS9_8equal_toIvEEsEE10hipError_tPvRmT2_T3_T4_T5_mT6_T7_P12ihipStream_tbENKUlT_T0_E_clISt17integral_constantIbLb1EES14_EEDaSZ_S10_EUlSZ_E_NS1_11comp_targetILNS1_3genE3ELNS1_11target_archE908ELNS1_3gpuE7ELNS1_3repE0EEENS1_30default_config_static_selectorELNS0_4arch9wavefront6targetE1EEEvT1_,comdat
	.protected	_ZN7rocprim17ROCPRIM_400000_NS6detail17trampoline_kernelINS0_14default_configENS1_27scan_by_key_config_selectorIssEEZZNS1_16scan_by_key_implILNS1_25lookback_scan_determinismE0ELb0ES3_N6thrust23THRUST_200600_302600_NS6detail15normal_iteratorINS9_10device_ptrIsEEEENS9_18transform_iteratorINS9_6negateIsEESE_NS9_11use_defaultESI_EESE_sNS9_4plusIvEENS9_8equal_toIvEEsEE10hipError_tPvRmT2_T3_T4_T5_mT6_T7_P12ihipStream_tbENKUlT_T0_E_clISt17integral_constantIbLb1EES14_EEDaSZ_S10_EUlSZ_E_NS1_11comp_targetILNS1_3genE3ELNS1_11target_archE908ELNS1_3gpuE7ELNS1_3repE0EEENS1_30default_config_static_selectorELNS0_4arch9wavefront6targetE1EEEvT1_ ; -- Begin function _ZN7rocprim17ROCPRIM_400000_NS6detail17trampoline_kernelINS0_14default_configENS1_27scan_by_key_config_selectorIssEEZZNS1_16scan_by_key_implILNS1_25lookback_scan_determinismE0ELb0ES3_N6thrust23THRUST_200600_302600_NS6detail15normal_iteratorINS9_10device_ptrIsEEEENS9_18transform_iteratorINS9_6negateIsEESE_NS9_11use_defaultESI_EESE_sNS9_4plusIvEENS9_8equal_toIvEEsEE10hipError_tPvRmT2_T3_T4_T5_mT6_T7_P12ihipStream_tbENKUlT_T0_E_clISt17integral_constantIbLb1EES14_EEDaSZ_S10_EUlSZ_E_NS1_11comp_targetILNS1_3genE3ELNS1_11target_archE908ELNS1_3gpuE7ELNS1_3repE0EEENS1_30default_config_static_selectorELNS0_4arch9wavefront6targetE1EEEvT1_
	.globl	_ZN7rocprim17ROCPRIM_400000_NS6detail17trampoline_kernelINS0_14default_configENS1_27scan_by_key_config_selectorIssEEZZNS1_16scan_by_key_implILNS1_25lookback_scan_determinismE0ELb0ES3_N6thrust23THRUST_200600_302600_NS6detail15normal_iteratorINS9_10device_ptrIsEEEENS9_18transform_iteratorINS9_6negateIsEESE_NS9_11use_defaultESI_EESE_sNS9_4plusIvEENS9_8equal_toIvEEsEE10hipError_tPvRmT2_T3_T4_T5_mT6_T7_P12ihipStream_tbENKUlT_T0_E_clISt17integral_constantIbLb1EES14_EEDaSZ_S10_EUlSZ_E_NS1_11comp_targetILNS1_3genE3ELNS1_11target_archE908ELNS1_3gpuE7ELNS1_3repE0EEENS1_30default_config_static_selectorELNS0_4arch9wavefront6targetE1EEEvT1_
	.p2align	8
	.type	_ZN7rocprim17ROCPRIM_400000_NS6detail17trampoline_kernelINS0_14default_configENS1_27scan_by_key_config_selectorIssEEZZNS1_16scan_by_key_implILNS1_25lookback_scan_determinismE0ELb0ES3_N6thrust23THRUST_200600_302600_NS6detail15normal_iteratorINS9_10device_ptrIsEEEENS9_18transform_iteratorINS9_6negateIsEESE_NS9_11use_defaultESI_EESE_sNS9_4plusIvEENS9_8equal_toIvEEsEE10hipError_tPvRmT2_T3_T4_T5_mT6_T7_P12ihipStream_tbENKUlT_T0_E_clISt17integral_constantIbLb1EES14_EEDaSZ_S10_EUlSZ_E_NS1_11comp_targetILNS1_3genE3ELNS1_11target_archE908ELNS1_3gpuE7ELNS1_3repE0EEENS1_30default_config_static_selectorELNS0_4arch9wavefront6targetE1EEEvT1_,@function
_ZN7rocprim17ROCPRIM_400000_NS6detail17trampoline_kernelINS0_14default_configENS1_27scan_by_key_config_selectorIssEEZZNS1_16scan_by_key_implILNS1_25lookback_scan_determinismE0ELb0ES3_N6thrust23THRUST_200600_302600_NS6detail15normal_iteratorINS9_10device_ptrIsEEEENS9_18transform_iteratorINS9_6negateIsEESE_NS9_11use_defaultESI_EESE_sNS9_4plusIvEENS9_8equal_toIvEEsEE10hipError_tPvRmT2_T3_T4_T5_mT6_T7_P12ihipStream_tbENKUlT_T0_E_clISt17integral_constantIbLb1EES14_EEDaSZ_S10_EUlSZ_E_NS1_11comp_targetILNS1_3genE3ELNS1_11target_archE908ELNS1_3gpuE7ELNS1_3repE0EEENS1_30default_config_static_selectorELNS0_4arch9wavefront6targetE1EEEvT1_: ; @_ZN7rocprim17ROCPRIM_400000_NS6detail17trampoline_kernelINS0_14default_configENS1_27scan_by_key_config_selectorIssEEZZNS1_16scan_by_key_implILNS1_25lookback_scan_determinismE0ELb0ES3_N6thrust23THRUST_200600_302600_NS6detail15normal_iteratorINS9_10device_ptrIsEEEENS9_18transform_iteratorINS9_6negateIsEESE_NS9_11use_defaultESI_EESE_sNS9_4plusIvEENS9_8equal_toIvEEsEE10hipError_tPvRmT2_T3_T4_T5_mT6_T7_P12ihipStream_tbENKUlT_T0_E_clISt17integral_constantIbLb1EES14_EEDaSZ_S10_EUlSZ_E_NS1_11comp_targetILNS1_3genE3ELNS1_11target_archE908ELNS1_3gpuE7ELNS1_3repE0EEENS1_30default_config_static_selectorELNS0_4arch9wavefront6targetE1EEEvT1_
; %bb.0:
	.section	.rodata,"a",@progbits
	.p2align	6, 0x0
	.amdhsa_kernel _ZN7rocprim17ROCPRIM_400000_NS6detail17trampoline_kernelINS0_14default_configENS1_27scan_by_key_config_selectorIssEEZZNS1_16scan_by_key_implILNS1_25lookback_scan_determinismE0ELb0ES3_N6thrust23THRUST_200600_302600_NS6detail15normal_iteratorINS9_10device_ptrIsEEEENS9_18transform_iteratorINS9_6negateIsEESE_NS9_11use_defaultESI_EESE_sNS9_4plusIvEENS9_8equal_toIvEEsEE10hipError_tPvRmT2_T3_T4_T5_mT6_T7_P12ihipStream_tbENKUlT_T0_E_clISt17integral_constantIbLb1EES14_EEDaSZ_S10_EUlSZ_E_NS1_11comp_targetILNS1_3genE3ELNS1_11target_archE908ELNS1_3gpuE7ELNS1_3repE0EEENS1_30default_config_static_selectorELNS0_4arch9wavefront6targetE1EEEvT1_
		.amdhsa_group_segment_fixed_size 0
		.amdhsa_private_segment_fixed_size 0
		.amdhsa_kernarg_size 120
		.amdhsa_user_sgpr_count 2
		.amdhsa_user_sgpr_dispatch_ptr 0
		.amdhsa_user_sgpr_queue_ptr 0
		.amdhsa_user_sgpr_kernarg_segment_ptr 1
		.amdhsa_user_sgpr_dispatch_id 0
		.amdhsa_user_sgpr_kernarg_preload_length 0
		.amdhsa_user_sgpr_kernarg_preload_offset 0
		.amdhsa_user_sgpr_private_segment_size 0
		.amdhsa_uses_dynamic_stack 0
		.amdhsa_enable_private_segment 0
		.amdhsa_system_sgpr_workgroup_id_x 1
		.amdhsa_system_sgpr_workgroup_id_y 0
		.amdhsa_system_sgpr_workgroup_id_z 0
		.amdhsa_system_sgpr_workgroup_info 0
		.amdhsa_system_vgpr_workitem_id 0
		.amdhsa_next_free_vgpr 1
		.amdhsa_next_free_sgpr 0
		.amdhsa_accum_offset 4
		.amdhsa_reserve_vcc 0
		.amdhsa_float_round_mode_32 0
		.amdhsa_float_round_mode_16_64 0
		.amdhsa_float_denorm_mode_32 3
		.amdhsa_float_denorm_mode_16_64 3
		.amdhsa_dx10_clamp 1
		.amdhsa_ieee_mode 1
		.amdhsa_fp16_overflow 0
		.amdhsa_tg_split 0
		.amdhsa_exception_fp_ieee_invalid_op 0
		.amdhsa_exception_fp_denorm_src 0
		.amdhsa_exception_fp_ieee_div_zero 0
		.amdhsa_exception_fp_ieee_overflow 0
		.amdhsa_exception_fp_ieee_underflow 0
		.amdhsa_exception_fp_ieee_inexact 0
		.amdhsa_exception_int_div_zero 0
	.end_amdhsa_kernel
	.section	.text._ZN7rocprim17ROCPRIM_400000_NS6detail17trampoline_kernelINS0_14default_configENS1_27scan_by_key_config_selectorIssEEZZNS1_16scan_by_key_implILNS1_25lookback_scan_determinismE0ELb0ES3_N6thrust23THRUST_200600_302600_NS6detail15normal_iteratorINS9_10device_ptrIsEEEENS9_18transform_iteratorINS9_6negateIsEESE_NS9_11use_defaultESI_EESE_sNS9_4plusIvEENS9_8equal_toIvEEsEE10hipError_tPvRmT2_T3_T4_T5_mT6_T7_P12ihipStream_tbENKUlT_T0_E_clISt17integral_constantIbLb1EES14_EEDaSZ_S10_EUlSZ_E_NS1_11comp_targetILNS1_3genE3ELNS1_11target_archE908ELNS1_3gpuE7ELNS1_3repE0EEENS1_30default_config_static_selectorELNS0_4arch9wavefront6targetE1EEEvT1_,"axG",@progbits,_ZN7rocprim17ROCPRIM_400000_NS6detail17trampoline_kernelINS0_14default_configENS1_27scan_by_key_config_selectorIssEEZZNS1_16scan_by_key_implILNS1_25lookback_scan_determinismE0ELb0ES3_N6thrust23THRUST_200600_302600_NS6detail15normal_iteratorINS9_10device_ptrIsEEEENS9_18transform_iteratorINS9_6negateIsEESE_NS9_11use_defaultESI_EESE_sNS9_4plusIvEENS9_8equal_toIvEEsEE10hipError_tPvRmT2_T3_T4_T5_mT6_T7_P12ihipStream_tbENKUlT_T0_E_clISt17integral_constantIbLb1EES14_EEDaSZ_S10_EUlSZ_E_NS1_11comp_targetILNS1_3genE3ELNS1_11target_archE908ELNS1_3gpuE7ELNS1_3repE0EEENS1_30default_config_static_selectorELNS0_4arch9wavefront6targetE1EEEvT1_,comdat
.Lfunc_end978:
	.size	_ZN7rocprim17ROCPRIM_400000_NS6detail17trampoline_kernelINS0_14default_configENS1_27scan_by_key_config_selectorIssEEZZNS1_16scan_by_key_implILNS1_25lookback_scan_determinismE0ELb0ES3_N6thrust23THRUST_200600_302600_NS6detail15normal_iteratorINS9_10device_ptrIsEEEENS9_18transform_iteratorINS9_6negateIsEESE_NS9_11use_defaultESI_EESE_sNS9_4plusIvEENS9_8equal_toIvEEsEE10hipError_tPvRmT2_T3_T4_T5_mT6_T7_P12ihipStream_tbENKUlT_T0_E_clISt17integral_constantIbLb1EES14_EEDaSZ_S10_EUlSZ_E_NS1_11comp_targetILNS1_3genE3ELNS1_11target_archE908ELNS1_3gpuE7ELNS1_3repE0EEENS1_30default_config_static_selectorELNS0_4arch9wavefront6targetE1EEEvT1_, .Lfunc_end978-_ZN7rocprim17ROCPRIM_400000_NS6detail17trampoline_kernelINS0_14default_configENS1_27scan_by_key_config_selectorIssEEZZNS1_16scan_by_key_implILNS1_25lookback_scan_determinismE0ELb0ES3_N6thrust23THRUST_200600_302600_NS6detail15normal_iteratorINS9_10device_ptrIsEEEENS9_18transform_iteratorINS9_6negateIsEESE_NS9_11use_defaultESI_EESE_sNS9_4plusIvEENS9_8equal_toIvEEsEE10hipError_tPvRmT2_T3_T4_T5_mT6_T7_P12ihipStream_tbENKUlT_T0_E_clISt17integral_constantIbLb1EES14_EEDaSZ_S10_EUlSZ_E_NS1_11comp_targetILNS1_3genE3ELNS1_11target_archE908ELNS1_3gpuE7ELNS1_3repE0EEENS1_30default_config_static_selectorELNS0_4arch9wavefront6targetE1EEEvT1_
                                        ; -- End function
	.section	.AMDGPU.csdata,"",@progbits
; Kernel info:
; codeLenInByte = 0
; NumSgprs: 6
; NumVgprs: 0
; NumAgprs: 0
; TotalNumVgprs: 0
; ScratchSize: 0
; MemoryBound: 0
; FloatMode: 240
; IeeeMode: 1
; LDSByteSize: 0 bytes/workgroup (compile time only)
; SGPRBlocks: 0
; VGPRBlocks: 0
; NumSGPRsForWavesPerEU: 6
; NumVGPRsForWavesPerEU: 1
; AccumOffset: 4
; Occupancy: 8
; WaveLimiterHint : 0
; COMPUTE_PGM_RSRC2:SCRATCH_EN: 0
; COMPUTE_PGM_RSRC2:USER_SGPR: 2
; COMPUTE_PGM_RSRC2:TRAP_HANDLER: 0
; COMPUTE_PGM_RSRC2:TGID_X_EN: 1
; COMPUTE_PGM_RSRC2:TGID_Y_EN: 0
; COMPUTE_PGM_RSRC2:TGID_Z_EN: 0
; COMPUTE_PGM_RSRC2:TIDIG_COMP_CNT: 0
; COMPUTE_PGM_RSRC3_GFX90A:ACCUM_OFFSET: 0
; COMPUTE_PGM_RSRC3_GFX90A:TG_SPLIT: 0
	.section	.text._ZN7rocprim17ROCPRIM_400000_NS6detail17trampoline_kernelINS0_14default_configENS1_27scan_by_key_config_selectorIssEEZZNS1_16scan_by_key_implILNS1_25lookback_scan_determinismE0ELb0ES3_N6thrust23THRUST_200600_302600_NS6detail15normal_iteratorINS9_10device_ptrIsEEEENS9_18transform_iteratorINS9_6negateIsEESE_NS9_11use_defaultESI_EESE_sNS9_4plusIvEENS9_8equal_toIvEEsEE10hipError_tPvRmT2_T3_T4_T5_mT6_T7_P12ihipStream_tbENKUlT_T0_E_clISt17integral_constantIbLb1EES14_EEDaSZ_S10_EUlSZ_E_NS1_11comp_targetILNS1_3genE2ELNS1_11target_archE906ELNS1_3gpuE6ELNS1_3repE0EEENS1_30default_config_static_selectorELNS0_4arch9wavefront6targetE1EEEvT1_,"axG",@progbits,_ZN7rocprim17ROCPRIM_400000_NS6detail17trampoline_kernelINS0_14default_configENS1_27scan_by_key_config_selectorIssEEZZNS1_16scan_by_key_implILNS1_25lookback_scan_determinismE0ELb0ES3_N6thrust23THRUST_200600_302600_NS6detail15normal_iteratorINS9_10device_ptrIsEEEENS9_18transform_iteratorINS9_6negateIsEESE_NS9_11use_defaultESI_EESE_sNS9_4plusIvEENS9_8equal_toIvEEsEE10hipError_tPvRmT2_T3_T4_T5_mT6_T7_P12ihipStream_tbENKUlT_T0_E_clISt17integral_constantIbLb1EES14_EEDaSZ_S10_EUlSZ_E_NS1_11comp_targetILNS1_3genE2ELNS1_11target_archE906ELNS1_3gpuE6ELNS1_3repE0EEENS1_30default_config_static_selectorELNS0_4arch9wavefront6targetE1EEEvT1_,comdat
	.protected	_ZN7rocprim17ROCPRIM_400000_NS6detail17trampoline_kernelINS0_14default_configENS1_27scan_by_key_config_selectorIssEEZZNS1_16scan_by_key_implILNS1_25lookback_scan_determinismE0ELb0ES3_N6thrust23THRUST_200600_302600_NS6detail15normal_iteratorINS9_10device_ptrIsEEEENS9_18transform_iteratorINS9_6negateIsEESE_NS9_11use_defaultESI_EESE_sNS9_4plusIvEENS9_8equal_toIvEEsEE10hipError_tPvRmT2_T3_T4_T5_mT6_T7_P12ihipStream_tbENKUlT_T0_E_clISt17integral_constantIbLb1EES14_EEDaSZ_S10_EUlSZ_E_NS1_11comp_targetILNS1_3genE2ELNS1_11target_archE906ELNS1_3gpuE6ELNS1_3repE0EEENS1_30default_config_static_selectorELNS0_4arch9wavefront6targetE1EEEvT1_ ; -- Begin function _ZN7rocprim17ROCPRIM_400000_NS6detail17trampoline_kernelINS0_14default_configENS1_27scan_by_key_config_selectorIssEEZZNS1_16scan_by_key_implILNS1_25lookback_scan_determinismE0ELb0ES3_N6thrust23THRUST_200600_302600_NS6detail15normal_iteratorINS9_10device_ptrIsEEEENS9_18transform_iteratorINS9_6negateIsEESE_NS9_11use_defaultESI_EESE_sNS9_4plusIvEENS9_8equal_toIvEEsEE10hipError_tPvRmT2_T3_T4_T5_mT6_T7_P12ihipStream_tbENKUlT_T0_E_clISt17integral_constantIbLb1EES14_EEDaSZ_S10_EUlSZ_E_NS1_11comp_targetILNS1_3genE2ELNS1_11target_archE906ELNS1_3gpuE6ELNS1_3repE0EEENS1_30default_config_static_selectorELNS0_4arch9wavefront6targetE1EEEvT1_
	.globl	_ZN7rocprim17ROCPRIM_400000_NS6detail17trampoline_kernelINS0_14default_configENS1_27scan_by_key_config_selectorIssEEZZNS1_16scan_by_key_implILNS1_25lookback_scan_determinismE0ELb0ES3_N6thrust23THRUST_200600_302600_NS6detail15normal_iteratorINS9_10device_ptrIsEEEENS9_18transform_iteratorINS9_6negateIsEESE_NS9_11use_defaultESI_EESE_sNS9_4plusIvEENS9_8equal_toIvEEsEE10hipError_tPvRmT2_T3_T4_T5_mT6_T7_P12ihipStream_tbENKUlT_T0_E_clISt17integral_constantIbLb1EES14_EEDaSZ_S10_EUlSZ_E_NS1_11comp_targetILNS1_3genE2ELNS1_11target_archE906ELNS1_3gpuE6ELNS1_3repE0EEENS1_30default_config_static_selectorELNS0_4arch9wavefront6targetE1EEEvT1_
	.p2align	8
	.type	_ZN7rocprim17ROCPRIM_400000_NS6detail17trampoline_kernelINS0_14default_configENS1_27scan_by_key_config_selectorIssEEZZNS1_16scan_by_key_implILNS1_25lookback_scan_determinismE0ELb0ES3_N6thrust23THRUST_200600_302600_NS6detail15normal_iteratorINS9_10device_ptrIsEEEENS9_18transform_iteratorINS9_6negateIsEESE_NS9_11use_defaultESI_EESE_sNS9_4plusIvEENS9_8equal_toIvEEsEE10hipError_tPvRmT2_T3_T4_T5_mT6_T7_P12ihipStream_tbENKUlT_T0_E_clISt17integral_constantIbLb1EES14_EEDaSZ_S10_EUlSZ_E_NS1_11comp_targetILNS1_3genE2ELNS1_11target_archE906ELNS1_3gpuE6ELNS1_3repE0EEENS1_30default_config_static_selectorELNS0_4arch9wavefront6targetE1EEEvT1_,@function
_ZN7rocprim17ROCPRIM_400000_NS6detail17trampoline_kernelINS0_14default_configENS1_27scan_by_key_config_selectorIssEEZZNS1_16scan_by_key_implILNS1_25lookback_scan_determinismE0ELb0ES3_N6thrust23THRUST_200600_302600_NS6detail15normal_iteratorINS9_10device_ptrIsEEEENS9_18transform_iteratorINS9_6negateIsEESE_NS9_11use_defaultESI_EESE_sNS9_4plusIvEENS9_8equal_toIvEEsEE10hipError_tPvRmT2_T3_T4_T5_mT6_T7_P12ihipStream_tbENKUlT_T0_E_clISt17integral_constantIbLb1EES14_EEDaSZ_S10_EUlSZ_E_NS1_11comp_targetILNS1_3genE2ELNS1_11target_archE906ELNS1_3gpuE6ELNS1_3repE0EEENS1_30default_config_static_selectorELNS0_4arch9wavefront6targetE1EEEvT1_: ; @_ZN7rocprim17ROCPRIM_400000_NS6detail17trampoline_kernelINS0_14default_configENS1_27scan_by_key_config_selectorIssEEZZNS1_16scan_by_key_implILNS1_25lookback_scan_determinismE0ELb0ES3_N6thrust23THRUST_200600_302600_NS6detail15normal_iteratorINS9_10device_ptrIsEEEENS9_18transform_iteratorINS9_6negateIsEESE_NS9_11use_defaultESI_EESE_sNS9_4plusIvEENS9_8equal_toIvEEsEE10hipError_tPvRmT2_T3_T4_T5_mT6_T7_P12ihipStream_tbENKUlT_T0_E_clISt17integral_constantIbLb1EES14_EEDaSZ_S10_EUlSZ_E_NS1_11comp_targetILNS1_3genE2ELNS1_11target_archE906ELNS1_3gpuE6ELNS1_3repE0EEENS1_30default_config_static_selectorELNS0_4arch9wavefront6targetE1EEEvT1_
; %bb.0:
	.section	.rodata,"a",@progbits
	.p2align	6, 0x0
	.amdhsa_kernel _ZN7rocprim17ROCPRIM_400000_NS6detail17trampoline_kernelINS0_14default_configENS1_27scan_by_key_config_selectorIssEEZZNS1_16scan_by_key_implILNS1_25lookback_scan_determinismE0ELb0ES3_N6thrust23THRUST_200600_302600_NS6detail15normal_iteratorINS9_10device_ptrIsEEEENS9_18transform_iteratorINS9_6negateIsEESE_NS9_11use_defaultESI_EESE_sNS9_4plusIvEENS9_8equal_toIvEEsEE10hipError_tPvRmT2_T3_T4_T5_mT6_T7_P12ihipStream_tbENKUlT_T0_E_clISt17integral_constantIbLb1EES14_EEDaSZ_S10_EUlSZ_E_NS1_11comp_targetILNS1_3genE2ELNS1_11target_archE906ELNS1_3gpuE6ELNS1_3repE0EEENS1_30default_config_static_selectorELNS0_4arch9wavefront6targetE1EEEvT1_
		.amdhsa_group_segment_fixed_size 0
		.amdhsa_private_segment_fixed_size 0
		.amdhsa_kernarg_size 120
		.amdhsa_user_sgpr_count 2
		.amdhsa_user_sgpr_dispatch_ptr 0
		.amdhsa_user_sgpr_queue_ptr 0
		.amdhsa_user_sgpr_kernarg_segment_ptr 1
		.amdhsa_user_sgpr_dispatch_id 0
		.amdhsa_user_sgpr_kernarg_preload_length 0
		.amdhsa_user_sgpr_kernarg_preload_offset 0
		.amdhsa_user_sgpr_private_segment_size 0
		.amdhsa_uses_dynamic_stack 0
		.amdhsa_enable_private_segment 0
		.amdhsa_system_sgpr_workgroup_id_x 1
		.amdhsa_system_sgpr_workgroup_id_y 0
		.amdhsa_system_sgpr_workgroup_id_z 0
		.amdhsa_system_sgpr_workgroup_info 0
		.amdhsa_system_vgpr_workitem_id 0
		.amdhsa_next_free_vgpr 1
		.amdhsa_next_free_sgpr 0
		.amdhsa_accum_offset 4
		.amdhsa_reserve_vcc 0
		.amdhsa_float_round_mode_32 0
		.amdhsa_float_round_mode_16_64 0
		.amdhsa_float_denorm_mode_32 3
		.amdhsa_float_denorm_mode_16_64 3
		.amdhsa_dx10_clamp 1
		.amdhsa_ieee_mode 1
		.amdhsa_fp16_overflow 0
		.amdhsa_tg_split 0
		.amdhsa_exception_fp_ieee_invalid_op 0
		.amdhsa_exception_fp_denorm_src 0
		.amdhsa_exception_fp_ieee_div_zero 0
		.amdhsa_exception_fp_ieee_overflow 0
		.amdhsa_exception_fp_ieee_underflow 0
		.amdhsa_exception_fp_ieee_inexact 0
		.amdhsa_exception_int_div_zero 0
	.end_amdhsa_kernel
	.section	.text._ZN7rocprim17ROCPRIM_400000_NS6detail17trampoline_kernelINS0_14default_configENS1_27scan_by_key_config_selectorIssEEZZNS1_16scan_by_key_implILNS1_25lookback_scan_determinismE0ELb0ES3_N6thrust23THRUST_200600_302600_NS6detail15normal_iteratorINS9_10device_ptrIsEEEENS9_18transform_iteratorINS9_6negateIsEESE_NS9_11use_defaultESI_EESE_sNS9_4plusIvEENS9_8equal_toIvEEsEE10hipError_tPvRmT2_T3_T4_T5_mT6_T7_P12ihipStream_tbENKUlT_T0_E_clISt17integral_constantIbLb1EES14_EEDaSZ_S10_EUlSZ_E_NS1_11comp_targetILNS1_3genE2ELNS1_11target_archE906ELNS1_3gpuE6ELNS1_3repE0EEENS1_30default_config_static_selectorELNS0_4arch9wavefront6targetE1EEEvT1_,"axG",@progbits,_ZN7rocprim17ROCPRIM_400000_NS6detail17trampoline_kernelINS0_14default_configENS1_27scan_by_key_config_selectorIssEEZZNS1_16scan_by_key_implILNS1_25lookback_scan_determinismE0ELb0ES3_N6thrust23THRUST_200600_302600_NS6detail15normal_iteratorINS9_10device_ptrIsEEEENS9_18transform_iteratorINS9_6negateIsEESE_NS9_11use_defaultESI_EESE_sNS9_4plusIvEENS9_8equal_toIvEEsEE10hipError_tPvRmT2_T3_T4_T5_mT6_T7_P12ihipStream_tbENKUlT_T0_E_clISt17integral_constantIbLb1EES14_EEDaSZ_S10_EUlSZ_E_NS1_11comp_targetILNS1_3genE2ELNS1_11target_archE906ELNS1_3gpuE6ELNS1_3repE0EEENS1_30default_config_static_selectorELNS0_4arch9wavefront6targetE1EEEvT1_,comdat
.Lfunc_end979:
	.size	_ZN7rocprim17ROCPRIM_400000_NS6detail17trampoline_kernelINS0_14default_configENS1_27scan_by_key_config_selectorIssEEZZNS1_16scan_by_key_implILNS1_25lookback_scan_determinismE0ELb0ES3_N6thrust23THRUST_200600_302600_NS6detail15normal_iteratorINS9_10device_ptrIsEEEENS9_18transform_iteratorINS9_6negateIsEESE_NS9_11use_defaultESI_EESE_sNS9_4plusIvEENS9_8equal_toIvEEsEE10hipError_tPvRmT2_T3_T4_T5_mT6_T7_P12ihipStream_tbENKUlT_T0_E_clISt17integral_constantIbLb1EES14_EEDaSZ_S10_EUlSZ_E_NS1_11comp_targetILNS1_3genE2ELNS1_11target_archE906ELNS1_3gpuE6ELNS1_3repE0EEENS1_30default_config_static_selectorELNS0_4arch9wavefront6targetE1EEEvT1_, .Lfunc_end979-_ZN7rocprim17ROCPRIM_400000_NS6detail17trampoline_kernelINS0_14default_configENS1_27scan_by_key_config_selectorIssEEZZNS1_16scan_by_key_implILNS1_25lookback_scan_determinismE0ELb0ES3_N6thrust23THRUST_200600_302600_NS6detail15normal_iteratorINS9_10device_ptrIsEEEENS9_18transform_iteratorINS9_6negateIsEESE_NS9_11use_defaultESI_EESE_sNS9_4plusIvEENS9_8equal_toIvEEsEE10hipError_tPvRmT2_T3_T4_T5_mT6_T7_P12ihipStream_tbENKUlT_T0_E_clISt17integral_constantIbLb1EES14_EEDaSZ_S10_EUlSZ_E_NS1_11comp_targetILNS1_3genE2ELNS1_11target_archE906ELNS1_3gpuE6ELNS1_3repE0EEENS1_30default_config_static_selectorELNS0_4arch9wavefront6targetE1EEEvT1_
                                        ; -- End function
	.section	.AMDGPU.csdata,"",@progbits
; Kernel info:
; codeLenInByte = 0
; NumSgprs: 6
; NumVgprs: 0
; NumAgprs: 0
; TotalNumVgprs: 0
; ScratchSize: 0
; MemoryBound: 0
; FloatMode: 240
; IeeeMode: 1
; LDSByteSize: 0 bytes/workgroup (compile time only)
; SGPRBlocks: 0
; VGPRBlocks: 0
; NumSGPRsForWavesPerEU: 6
; NumVGPRsForWavesPerEU: 1
; AccumOffset: 4
; Occupancy: 8
; WaveLimiterHint : 0
; COMPUTE_PGM_RSRC2:SCRATCH_EN: 0
; COMPUTE_PGM_RSRC2:USER_SGPR: 2
; COMPUTE_PGM_RSRC2:TRAP_HANDLER: 0
; COMPUTE_PGM_RSRC2:TGID_X_EN: 1
; COMPUTE_PGM_RSRC2:TGID_Y_EN: 0
; COMPUTE_PGM_RSRC2:TGID_Z_EN: 0
; COMPUTE_PGM_RSRC2:TIDIG_COMP_CNT: 0
; COMPUTE_PGM_RSRC3_GFX90A:ACCUM_OFFSET: 0
; COMPUTE_PGM_RSRC3_GFX90A:TG_SPLIT: 0
	.section	.text._ZN7rocprim17ROCPRIM_400000_NS6detail17trampoline_kernelINS0_14default_configENS1_27scan_by_key_config_selectorIssEEZZNS1_16scan_by_key_implILNS1_25lookback_scan_determinismE0ELb0ES3_N6thrust23THRUST_200600_302600_NS6detail15normal_iteratorINS9_10device_ptrIsEEEENS9_18transform_iteratorINS9_6negateIsEESE_NS9_11use_defaultESI_EESE_sNS9_4plusIvEENS9_8equal_toIvEEsEE10hipError_tPvRmT2_T3_T4_T5_mT6_T7_P12ihipStream_tbENKUlT_T0_E_clISt17integral_constantIbLb1EES14_EEDaSZ_S10_EUlSZ_E_NS1_11comp_targetILNS1_3genE10ELNS1_11target_archE1200ELNS1_3gpuE4ELNS1_3repE0EEENS1_30default_config_static_selectorELNS0_4arch9wavefront6targetE1EEEvT1_,"axG",@progbits,_ZN7rocprim17ROCPRIM_400000_NS6detail17trampoline_kernelINS0_14default_configENS1_27scan_by_key_config_selectorIssEEZZNS1_16scan_by_key_implILNS1_25lookback_scan_determinismE0ELb0ES3_N6thrust23THRUST_200600_302600_NS6detail15normal_iteratorINS9_10device_ptrIsEEEENS9_18transform_iteratorINS9_6negateIsEESE_NS9_11use_defaultESI_EESE_sNS9_4plusIvEENS9_8equal_toIvEEsEE10hipError_tPvRmT2_T3_T4_T5_mT6_T7_P12ihipStream_tbENKUlT_T0_E_clISt17integral_constantIbLb1EES14_EEDaSZ_S10_EUlSZ_E_NS1_11comp_targetILNS1_3genE10ELNS1_11target_archE1200ELNS1_3gpuE4ELNS1_3repE0EEENS1_30default_config_static_selectorELNS0_4arch9wavefront6targetE1EEEvT1_,comdat
	.protected	_ZN7rocprim17ROCPRIM_400000_NS6detail17trampoline_kernelINS0_14default_configENS1_27scan_by_key_config_selectorIssEEZZNS1_16scan_by_key_implILNS1_25lookback_scan_determinismE0ELb0ES3_N6thrust23THRUST_200600_302600_NS6detail15normal_iteratorINS9_10device_ptrIsEEEENS9_18transform_iteratorINS9_6negateIsEESE_NS9_11use_defaultESI_EESE_sNS9_4plusIvEENS9_8equal_toIvEEsEE10hipError_tPvRmT2_T3_T4_T5_mT6_T7_P12ihipStream_tbENKUlT_T0_E_clISt17integral_constantIbLb1EES14_EEDaSZ_S10_EUlSZ_E_NS1_11comp_targetILNS1_3genE10ELNS1_11target_archE1200ELNS1_3gpuE4ELNS1_3repE0EEENS1_30default_config_static_selectorELNS0_4arch9wavefront6targetE1EEEvT1_ ; -- Begin function _ZN7rocprim17ROCPRIM_400000_NS6detail17trampoline_kernelINS0_14default_configENS1_27scan_by_key_config_selectorIssEEZZNS1_16scan_by_key_implILNS1_25lookback_scan_determinismE0ELb0ES3_N6thrust23THRUST_200600_302600_NS6detail15normal_iteratorINS9_10device_ptrIsEEEENS9_18transform_iteratorINS9_6negateIsEESE_NS9_11use_defaultESI_EESE_sNS9_4plusIvEENS9_8equal_toIvEEsEE10hipError_tPvRmT2_T3_T4_T5_mT6_T7_P12ihipStream_tbENKUlT_T0_E_clISt17integral_constantIbLb1EES14_EEDaSZ_S10_EUlSZ_E_NS1_11comp_targetILNS1_3genE10ELNS1_11target_archE1200ELNS1_3gpuE4ELNS1_3repE0EEENS1_30default_config_static_selectorELNS0_4arch9wavefront6targetE1EEEvT1_
	.globl	_ZN7rocprim17ROCPRIM_400000_NS6detail17trampoline_kernelINS0_14default_configENS1_27scan_by_key_config_selectorIssEEZZNS1_16scan_by_key_implILNS1_25lookback_scan_determinismE0ELb0ES3_N6thrust23THRUST_200600_302600_NS6detail15normal_iteratorINS9_10device_ptrIsEEEENS9_18transform_iteratorINS9_6negateIsEESE_NS9_11use_defaultESI_EESE_sNS9_4plusIvEENS9_8equal_toIvEEsEE10hipError_tPvRmT2_T3_T4_T5_mT6_T7_P12ihipStream_tbENKUlT_T0_E_clISt17integral_constantIbLb1EES14_EEDaSZ_S10_EUlSZ_E_NS1_11comp_targetILNS1_3genE10ELNS1_11target_archE1200ELNS1_3gpuE4ELNS1_3repE0EEENS1_30default_config_static_selectorELNS0_4arch9wavefront6targetE1EEEvT1_
	.p2align	8
	.type	_ZN7rocprim17ROCPRIM_400000_NS6detail17trampoline_kernelINS0_14default_configENS1_27scan_by_key_config_selectorIssEEZZNS1_16scan_by_key_implILNS1_25lookback_scan_determinismE0ELb0ES3_N6thrust23THRUST_200600_302600_NS6detail15normal_iteratorINS9_10device_ptrIsEEEENS9_18transform_iteratorINS9_6negateIsEESE_NS9_11use_defaultESI_EESE_sNS9_4plusIvEENS9_8equal_toIvEEsEE10hipError_tPvRmT2_T3_T4_T5_mT6_T7_P12ihipStream_tbENKUlT_T0_E_clISt17integral_constantIbLb1EES14_EEDaSZ_S10_EUlSZ_E_NS1_11comp_targetILNS1_3genE10ELNS1_11target_archE1200ELNS1_3gpuE4ELNS1_3repE0EEENS1_30default_config_static_selectorELNS0_4arch9wavefront6targetE1EEEvT1_,@function
_ZN7rocprim17ROCPRIM_400000_NS6detail17trampoline_kernelINS0_14default_configENS1_27scan_by_key_config_selectorIssEEZZNS1_16scan_by_key_implILNS1_25lookback_scan_determinismE0ELb0ES3_N6thrust23THRUST_200600_302600_NS6detail15normal_iteratorINS9_10device_ptrIsEEEENS9_18transform_iteratorINS9_6negateIsEESE_NS9_11use_defaultESI_EESE_sNS9_4plusIvEENS9_8equal_toIvEEsEE10hipError_tPvRmT2_T3_T4_T5_mT6_T7_P12ihipStream_tbENKUlT_T0_E_clISt17integral_constantIbLb1EES14_EEDaSZ_S10_EUlSZ_E_NS1_11comp_targetILNS1_3genE10ELNS1_11target_archE1200ELNS1_3gpuE4ELNS1_3repE0EEENS1_30default_config_static_selectorELNS0_4arch9wavefront6targetE1EEEvT1_: ; @_ZN7rocprim17ROCPRIM_400000_NS6detail17trampoline_kernelINS0_14default_configENS1_27scan_by_key_config_selectorIssEEZZNS1_16scan_by_key_implILNS1_25lookback_scan_determinismE0ELb0ES3_N6thrust23THRUST_200600_302600_NS6detail15normal_iteratorINS9_10device_ptrIsEEEENS9_18transform_iteratorINS9_6negateIsEESE_NS9_11use_defaultESI_EESE_sNS9_4plusIvEENS9_8equal_toIvEEsEE10hipError_tPvRmT2_T3_T4_T5_mT6_T7_P12ihipStream_tbENKUlT_T0_E_clISt17integral_constantIbLb1EES14_EEDaSZ_S10_EUlSZ_E_NS1_11comp_targetILNS1_3genE10ELNS1_11target_archE1200ELNS1_3gpuE4ELNS1_3repE0EEENS1_30default_config_static_selectorELNS0_4arch9wavefront6targetE1EEEvT1_
; %bb.0:
	.section	.rodata,"a",@progbits
	.p2align	6, 0x0
	.amdhsa_kernel _ZN7rocprim17ROCPRIM_400000_NS6detail17trampoline_kernelINS0_14default_configENS1_27scan_by_key_config_selectorIssEEZZNS1_16scan_by_key_implILNS1_25lookback_scan_determinismE0ELb0ES3_N6thrust23THRUST_200600_302600_NS6detail15normal_iteratorINS9_10device_ptrIsEEEENS9_18transform_iteratorINS9_6negateIsEESE_NS9_11use_defaultESI_EESE_sNS9_4plusIvEENS9_8equal_toIvEEsEE10hipError_tPvRmT2_T3_T4_T5_mT6_T7_P12ihipStream_tbENKUlT_T0_E_clISt17integral_constantIbLb1EES14_EEDaSZ_S10_EUlSZ_E_NS1_11comp_targetILNS1_3genE10ELNS1_11target_archE1200ELNS1_3gpuE4ELNS1_3repE0EEENS1_30default_config_static_selectorELNS0_4arch9wavefront6targetE1EEEvT1_
		.amdhsa_group_segment_fixed_size 0
		.amdhsa_private_segment_fixed_size 0
		.amdhsa_kernarg_size 120
		.amdhsa_user_sgpr_count 2
		.amdhsa_user_sgpr_dispatch_ptr 0
		.amdhsa_user_sgpr_queue_ptr 0
		.amdhsa_user_sgpr_kernarg_segment_ptr 1
		.amdhsa_user_sgpr_dispatch_id 0
		.amdhsa_user_sgpr_kernarg_preload_length 0
		.amdhsa_user_sgpr_kernarg_preload_offset 0
		.amdhsa_user_sgpr_private_segment_size 0
		.amdhsa_uses_dynamic_stack 0
		.amdhsa_enable_private_segment 0
		.amdhsa_system_sgpr_workgroup_id_x 1
		.amdhsa_system_sgpr_workgroup_id_y 0
		.amdhsa_system_sgpr_workgroup_id_z 0
		.amdhsa_system_sgpr_workgroup_info 0
		.amdhsa_system_vgpr_workitem_id 0
		.amdhsa_next_free_vgpr 1
		.amdhsa_next_free_sgpr 0
		.amdhsa_accum_offset 4
		.amdhsa_reserve_vcc 0
		.amdhsa_float_round_mode_32 0
		.amdhsa_float_round_mode_16_64 0
		.amdhsa_float_denorm_mode_32 3
		.amdhsa_float_denorm_mode_16_64 3
		.amdhsa_dx10_clamp 1
		.amdhsa_ieee_mode 1
		.amdhsa_fp16_overflow 0
		.amdhsa_tg_split 0
		.amdhsa_exception_fp_ieee_invalid_op 0
		.amdhsa_exception_fp_denorm_src 0
		.amdhsa_exception_fp_ieee_div_zero 0
		.amdhsa_exception_fp_ieee_overflow 0
		.amdhsa_exception_fp_ieee_underflow 0
		.amdhsa_exception_fp_ieee_inexact 0
		.amdhsa_exception_int_div_zero 0
	.end_amdhsa_kernel
	.section	.text._ZN7rocprim17ROCPRIM_400000_NS6detail17trampoline_kernelINS0_14default_configENS1_27scan_by_key_config_selectorIssEEZZNS1_16scan_by_key_implILNS1_25lookback_scan_determinismE0ELb0ES3_N6thrust23THRUST_200600_302600_NS6detail15normal_iteratorINS9_10device_ptrIsEEEENS9_18transform_iteratorINS9_6negateIsEESE_NS9_11use_defaultESI_EESE_sNS9_4plusIvEENS9_8equal_toIvEEsEE10hipError_tPvRmT2_T3_T4_T5_mT6_T7_P12ihipStream_tbENKUlT_T0_E_clISt17integral_constantIbLb1EES14_EEDaSZ_S10_EUlSZ_E_NS1_11comp_targetILNS1_3genE10ELNS1_11target_archE1200ELNS1_3gpuE4ELNS1_3repE0EEENS1_30default_config_static_selectorELNS0_4arch9wavefront6targetE1EEEvT1_,"axG",@progbits,_ZN7rocprim17ROCPRIM_400000_NS6detail17trampoline_kernelINS0_14default_configENS1_27scan_by_key_config_selectorIssEEZZNS1_16scan_by_key_implILNS1_25lookback_scan_determinismE0ELb0ES3_N6thrust23THRUST_200600_302600_NS6detail15normal_iteratorINS9_10device_ptrIsEEEENS9_18transform_iteratorINS9_6negateIsEESE_NS9_11use_defaultESI_EESE_sNS9_4plusIvEENS9_8equal_toIvEEsEE10hipError_tPvRmT2_T3_T4_T5_mT6_T7_P12ihipStream_tbENKUlT_T0_E_clISt17integral_constantIbLb1EES14_EEDaSZ_S10_EUlSZ_E_NS1_11comp_targetILNS1_3genE10ELNS1_11target_archE1200ELNS1_3gpuE4ELNS1_3repE0EEENS1_30default_config_static_selectorELNS0_4arch9wavefront6targetE1EEEvT1_,comdat
.Lfunc_end980:
	.size	_ZN7rocprim17ROCPRIM_400000_NS6detail17trampoline_kernelINS0_14default_configENS1_27scan_by_key_config_selectorIssEEZZNS1_16scan_by_key_implILNS1_25lookback_scan_determinismE0ELb0ES3_N6thrust23THRUST_200600_302600_NS6detail15normal_iteratorINS9_10device_ptrIsEEEENS9_18transform_iteratorINS9_6negateIsEESE_NS9_11use_defaultESI_EESE_sNS9_4plusIvEENS9_8equal_toIvEEsEE10hipError_tPvRmT2_T3_T4_T5_mT6_T7_P12ihipStream_tbENKUlT_T0_E_clISt17integral_constantIbLb1EES14_EEDaSZ_S10_EUlSZ_E_NS1_11comp_targetILNS1_3genE10ELNS1_11target_archE1200ELNS1_3gpuE4ELNS1_3repE0EEENS1_30default_config_static_selectorELNS0_4arch9wavefront6targetE1EEEvT1_, .Lfunc_end980-_ZN7rocprim17ROCPRIM_400000_NS6detail17trampoline_kernelINS0_14default_configENS1_27scan_by_key_config_selectorIssEEZZNS1_16scan_by_key_implILNS1_25lookback_scan_determinismE0ELb0ES3_N6thrust23THRUST_200600_302600_NS6detail15normal_iteratorINS9_10device_ptrIsEEEENS9_18transform_iteratorINS9_6negateIsEESE_NS9_11use_defaultESI_EESE_sNS9_4plusIvEENS9_8equal_toIvEEsEE10hipError_tPvRmT2_T3_T4_T5_mT6_T7_P12ihipStream_tbENKUlT_T0_E_clISt17integral_constantIbLb1EES14_EEDaSZ_S10_EUlSZ_E_NS1_11comp_targetILNS1_3genE10ELNS1_11target_archE1200ELNS1_3gpuE4ELNS1_3repE0EEENS1_30default_config_static_selectorELNS0_4arch9wavefront6targetE1EEEvT1_
                                        ; -- End function
	.section	.AMDGPU.csdata,"",@progbits
; Kernel info:
; codeLenInByte = 0
; NumSgprs: 6
; NumVgprs: 0
; NumAgprs: 0
; TotalNumVgprs: 0
; ScratchSize: 0
; MemoryBound: 0
; FloatMode: 240
; IeeeMode: 1
; LDSByteSize: 0 bytes/workgroup (compile time only)
; SGPRBlocks: 0
; VGPRBlocks: 0
; NumSGPRsForWavesPerEU: 6
; NumVGPRsForWavesPerEU: 1
; AccumOffset: 4
; Occupancy: 8
; WaveLimiterHint : 0
; COMPUTE_PGM_RSRC2:SCRATCH_EN: 0
; COMPUTE_PGM_RSRC2:USER_SGPR: 2
; COMPUTE_PGM_RSRC2:TRAP_HANDLER: 0
; COMPUTE_PGM_RSRC2:TGID_X_EN: 1
; COMPUTE_PGM_RSRC2:TGID_Y_EN: 0
; COMPUTE_PGM_RSRC2:TGID_Z_EN: 0
; COMPUTE_PGM_RSRC2:TIDIG_COMP_CNT: 0
; COMPUTE_PGM_RSRC3_GFX90A:ACCUM_OFFSET: 0
; COMPUTE_PGM_RSRC3_GFX90A:TG_SPLIT: 0
	.section	.text._ZN7rocprim17ROCPRIM_400000_NS6detail17trampoline_kernelINS0_14default_configENS1_27scan_by_key_config_selectorIssEEZZNS1_16scan_by_key_implILNS1_25lookback_scan_determinismE0ELb0ES3_N6thrust23THRUST_200600_302600_NS6detail15normal_iteratorINS9_10device_ptrIsEEEENS9_18transform_iteratorINS9_6negateIsEESE_NS9_11use_defaultESI_EESE_sNS9_4plusIvEENS9_8equal_toIvEEsEE10hipError_tPvRmT2_T3_T4_T5_mT6_T7_P12ihipStream_tbENKUlT_T0_E_clISt17integral_constantIbLb1EES14_EEDaSZ_S10_EUlSZ_E_NS1_11comp_targetILNS1_3genE9ELNS1_11target_archE1100ELNS1_3gpuE3ELNS1_3repE0EEENS1_30default_config_static_selectorELNS0_4arch9wavefront6targetE1EEEvT1_,"axG",@progbits,_ZN7rocprim17ROCPRIM_400000_NS6detail17trampoline_kernelINS0_14default_configENS1_27scan_by_key_config_selectorIssEEZZNS1_16scan_by_key_implILNS1_25lookback_scan_determinismE0ELb0ES3_N6thrust23THRUST_200600_302600_NS6detail15normal_iteratorINS9_10device_ptrIsEEEENS9_18transform_iteratorINS9_6negateIsEESE_NS9_11use_defaultESI_EESE_sNS9_4plusIvEENS9_8equal_toIvEEsEE10hipError_tPvRmT2_T3_T4_T5_mT6_T7_P12ihipStream_tbENKUlT_T0_E_clISt17integral_constantIbLb1EES14_EEDaSZ_S10_EUlSZ_E_NS1_11comp_targetILNS1_3genE9ELNS1_11target_archE1100ELNS1_3gpuE3ELNS1_3repE0EEENS1_30default_config_static_selectorELNS0_4arch9wavefront6targetE1EEEvT1_,comdat
	.protected	_ZN7rocprim17ROCPRIM_400000_NS6detail17trampoline_kernelINS0_14default_configENS1_27scan_by_key_config_selectorIssEEZZNS1_16scan_by_key_implILNS1_25lookback_scan_determinismE0ELb0ES3_N6thrust23THRUST_200600_302600_NS6detail15normal_iteratorINS9_10device_ptrIsEEEENS9_18transform_iteratorINS9_6negateIsEESE_NS9_11use_defaultESI_EESE_sNS9_4plusIvEENS9_8equal_toIvEEsEE10hipError_tPvRmT2_T3_T4_T5_mT6_T7_P12ihipStream_tbENKUlT_T0_E_clISt17integral_constantIbLb1EES14_EEDaSZ_S10_EUlSZ_E_NS1_11comp_targetILNS1_3genE9ELNS1_11target_archE1100ELNS1_3gpuE3ELNS1_3repE0EEENS1_30default_config_static_selectorELNS0_4arch9wavefront6targetE1EEEvT1_ ; -- Begin function _ZN7rocprim17ROCPRIM_400000_NS6detail17trampoline_kernelINS0_14default_configENS1_27scan_by_key_config_selectorIssEEZZNS1_16scan_by_key_implILNS1_25lookback_scan_determinismE0ELb0ES3_N6thrust23THRUST_200600_302600_NS6detail15normal_iteratorINS9_10device_ptrIsEEEENS9_18transform_iteratorINS9_6negateIsEESE_NS9_11use_defaultESI_EESE_sNS9_4plusIvEENS9_8equal_toIvEEsEE10hipError_tPvRmT2_T3_T4_T5_mT6_T7_P12ihipStream_tbENKUlT_T0_E_clISt17integral_constantIbLb1EES14_EEDaSZ_S10_EUlSZ_E_NS1_11comp_targetILNS1_3genE9ELNS1_11target_archE1100ELNS1_3gpuE3ELNS1_3repE0EEENS1_30default_config_static_selectorELNS0_4arch9wavefront6targetE1EEEvT1_
	.globl	_ZN7rocprim17ROCPRIM_400000_NS6detail17trampoline_kernelINS0_14default_configENS1_27scan_by_key_config_selectorIssEEZZNS1_16scan_by_key_implILNS1_25lookback_scan_determinismE0ELb0ES3_N6thrust23THRUST_200600_302600_NS6detail15normal_iteratorINS9_10device_ptrIsEEEENS9_18transform_iteratorINS9_6negateIsEESE_NS9_11use_defaultESI_EESE_sNS9_4plusIvEENS9_8equal_toIvEEsEE10hipError_tPvRmT2_T3_T4_T5_mT6_T7_P12ihipStream_tbENKUlT_T0_E_clISt17integral_constantIbLb1EES14_EEDaSZ_S10_EUlSZ_E_NS1_11comp_targetILNS1_3genE9ELNS1_11target_archE1100ELNS1_3gpuE3ELNS1_3repE0EEENS1_30default_config_static_selectorELNS0_4arch9wavefront6targetE1EEEvT1_
	.p2align	8
	.type	_ZN7rocprim17ROCPRIM_400000_NS6detail17trampoline_kernelINS0_14default_configENS1_27scan_by_key_config_selectorIssEEZZNS1_16scan_by_key_implILNS1_25lookback_scan_determinismE0ELb0ES3_N6thrust23THRUST_200600_302600_NS6detail15normal_iteratorINS9_10device_ptrIsEEEENS9_18transform_iteratorINS9_6negateIsEESE_NS9_11use_defaultESI_EESE_sNS9_4plusIvEENS9_8equal_toIvEEsEE10hipError_tPvRmT2_T3_T4_T5_mT6_T7_P12ihipStream_tbENKUlT_T0_E_clISt17integral_constantIbLb1EES14_EEDaSZ_S10_EUlSZ_E_NS1_11comp_targetILNS1_3genE9ELNS1_11target_archE1100ELNS1_3gpuE3ELNS1_3repE0EEENS1_30default_config_static_selectorELNS0_4arch9wavefront6targetE1EEEvT1_,@function
_ZN7rocprim17ROCPRIM_400000_NS6detail17trampoline_kernelINS0_14default_configENS1_27scan_by_key_config_selectorIssEEZZNS1_16scan_by_key_implILNS1_25lookback_scan_determinismE0ELb0ES3_N6thrust23THRUST_200600_302600_NS6detail15normal_iteratorINS9_10device_ptrIsEEEENS9_18transform_iteratorINS9_6negateIsEESE_NS9_11use_defaultESI_EESE_sNS9_4plusIvEENS9_8equal_toIvEEsEE10hipError_tPvRmT2_T3_T4_T5_mT6_T7_P12ihipStream_tbENKUlT_T0_E_clISt17integral_constantIbLb1EES14_EEDaSZ_S10_EUlSZ_E_NS1_11comp_targetILNS1_3genE9ELNS1_11target_archE1100ELNS1_3gpuE3ELNS1_3repE0EEENS1_30default_config_static_selectorELNS0_4arch9wavefront6targetE1EEEvT1_: ; @_ZN7rocprim17ROCPRIM_400000_NS6detail17trampoline_kernelINS0_14default_configENS1_27scan_by_key_config_selectorIssEEZZNS1_16scan_by_key_implILNS1_25lookback_scan_determinismE0ELb0ES3_N6thrust23THRUST_200600_302600_NS6detail15normal_iteratorINS9_10device_ptrIsEEEENS9_18transform_iteratorINS9_6negateIsEESE_NS9_11use_defaultESI_EESE_sNS9_4plusIvEENS9_8equal_toIvEEsEE10hipError_tPvRmT2_T3_T4_T5_mT6_T7_P12ihipStream_tbENKUlT_T0_E_clISt17integral_constantIbLb1EES14_EEDaSZ_S10_EUlSZ_E_NS1_11comp_targetILNS1_3genE9ELNS1_11target_archE1100ELNS1_3gpuE3ELNS1_3repE0EEENS1_30default_config_static_selectorELNS0_4arch9wavefront6targetE1EEEvT1_
; %bb.0:
	.section	.rodata,"a",@progbits
	.p2align	6, 0x0
	.amdhsa_kernel _ZN7rocprim17ROCPRIM_400000_NS6detail17trampoline_kernelINS0_14default_configENS1_27scan_by_key_config_selectorIssEEZZNS1_16scan_by_key_implILNS1_25lookback_scan_determinismE0ELb0ES3_N6thrust23THRUST_200600_302600_NS6detail15normal_iteratorINS9_10device_ptrIsEEEENS9_18transform_iteratorINS9_6negateIsEESE_NS9_11use_defaultESI_EESE_sNS9_4plusIvEENS9_8equal_toIvEEsEE10hipError_tPvRmT2_T3_T4_T5_mT6_T7_P12ihipStream_tbENKUlT_T0_E_clISt17integral_constantIbLb1EES14_EEDaSZ_S10_EUlSZ_E_NS1_11comp_targetILNS1_3genE9ELNS1_11target_archE1100ELNS1_3gpuE3ELNS1_3repE0EEENS1_30default_config_static_selectorELNS0_4arch9wavefront6targetE1EEEvT1_
		.amdhsa_group_segment_fixed_size 0
		.amdhsa_private_segment_fixed_size 0
		.amdhsa_kernarg_size 120
		.amdhsa_user_sgpr_count 2
		.amdhsa_user_sgpr_dispatch_ptr 0
		.amdhsa_user_sgpr_queue_ptr 0
		.amdhsa_user_sgpr_kernarg_segment_ptr 1
		.amdhsa_user_sgpr_dispatch_id 0
		.amdhsa_user_sgpr_kernarg_preload_length 0
		.amdhsa_user_sgpr_kernarg_preload_offset 0
		.amdhsa_user_sgpr_private_segment_size 0
		.amdhsa_uses_dynamic_stack 0
		.amdhsa_enable_private_segment 0
		.amdhsa_system_sgpr_workgroup_id_x 1
		.amdhsa_system_sgpr_workgroup_id_y 0
		.amdhsa_system_sgpr_workgroup_id_z 0
		.amdhsa_system_sgpr_workgroup_info 0
		.amdhsa_system_vgpr_workitem_id 0
		.amdhsa_next_free_vgpr 1
		.amdhsa_next_free_sgpr 0
		.amdhsa_accum_offset 4
		.amdhsa_reserve_vcc 0
		.amdhsa_float_round_mode_32 0
		.amdhsa_float_round_mode_16_64 0
		.amdhsa_float_denorm_mode_32 3
		.amdhsa_float_denorm_mode_16_64 3
		.amdhsa_dx10_clamp 1
		.amdhsa_ieee_mode 1
		.amdhsa_fp16_overflow 0
		.amdhsa_tg_split 0
		.amdhsa_exception_fp_ieee_invalid_op 0
		.amdhsa_exception_fp_denorm_src 0
		.amdhsa_exception_fp_ieee_div_zero 0
		.amdhsa_exception_fp_ieee_overflow 0
		.amdhsa_exception_fp_ieee_underflow 0
		.amdhsa_exception_fp_ieee_inexact 0
		.amdhsa_exception_int_div_zero 0
	.end_amdhsa_kernel
	.section	.text._ZN7rocprim17ROCPRIM_400000_NS6detail17trampoline_kernelINS0_14default_configENS1_27scan_by_key_config_selectorIssEEZZNS1_16scan_by_key_implILNS1_25lookback_scan_determinismE0ELb0ES3_N6thrust23THRUST_200600_302600_NS6detail15normal_iteratorINS9_10device_ptrIsEEEENS9_18transform_iteratorINS9_6negateIsEESE_NS9_11use_defaultESI_EESE_sNS9_4plusIvEENS9_8equal_toIvEEsEE10hipError_tPvRmT2_T3_T4_T5_mT6_T7_P12ihipStream_tbENKUlT_T0_E_clISt17integral_constantIbLb1EES14_EEDaSZ_S10_EUlSZ_E_NS1_11comp_targetILNS1_3genE9ELNS1_11target_archE1100ELNS1_3gpuE3ELNS1_3repE0EEENS1_30default_config_static_selectorELNS0_4arch9wavefront6targetE1EEEvT1_,"axG",@progbits,_ZN7rocprim17ROCPRIM_400000_NS6detail17trampoline_kernelINS0_14default_configENS1_27scan_by_key_config_selectorIssEEZZNS1_16scan_by_key_implILNS1_25lookback_scan_determinismE0ELb0ES3_N6thrust23THRUST_200600_302600_NS6detail15normal_iteratorINS9_10device_ptrIsEEEENS9_18transform_iteratorINS9_6negateIsEESE_NS9_11use_defaultESI_EESE_sNS9_4plusIvEENS9_8equal_toIvEEsEE10hipError_tPvRmT2_T3_T4_T5_mT6_T7_P12ihipStream_tbENKUlT_T0_E_clISt17integral_constantIbLb1EES14_EEDaSZ_S10_EUlSZ_E_NS1_11comp_targetILNS1_3genE9ELNS1_11target_archE1100ELNS1_3gpuE3ELNS1_3repE0EEENS1_30default_config_static_selectorELNS0_4arch9wavefront6targetE1EEEvT1_,comdat
.Lfunc_end981:
	.size	_ZN7rocprim17ROCPRIM_400000_NS6detail17trampoline_kernelINS0_14default_configENS1_27scan_by_key_config_selectorIssEEZZNS1_16scan_by_key_implILNS1_25lookback_scan_determinismE0ELb0ES3_N6thrust23THRUST_200600_302600_NS6detail15normal_iteratorINS9_10device_ptrIsEEEENS9_18transform_iteratorINS9_6negateIsEESE_NS9_11use_defaultESI_EESE_sNS9_4plusIvEENS9_8equal_toIvEEsEE10hipError_tPvRmT2_T3_T4_T5_mT6_T7_P12ihipStream_tbENKUlT_T0_E_clISt17integral_constantIbLb1EES14_EEDaSZ_S10_EUlSZ_E_NS1_11comp_targetILNS1_3genE9ELNS1_11target_archE1100ELNS1_3gpuE3ELNS1_3repE0EEENS1_30default_config_static_selectorELNS0_4arch9wavefront6targetE1EEEvT1_, .Lfunc_end981-_ZN7rocprim17ROCPRIM_400000_NS6detail17trampoline_kernelINS0_14default_configENS1_27scan_by_key_config_selectorIssEEZZNS1_16scan_by_key_implILNS1_25lookback_scan_determinismE0ELb0ES3_N6thrust23THRUST_200600_302600_NS6detail15normal_iteratorINS9_10device_ptrIsEEEENS9_18transform_iteratorINS9_6negateIsEESE_NS9_11use_defaultESI_EESE_sNS9_4plusIvEENS9_8equal_toIvEEsEE10hipError_tPvRmT2_T3_T4_T5_mT6_T7_P12ihipStream_tbENKUlT_T0_E_clISt17integral_constantIbLb1EES14_EEDaSZ_S10_EUlSZ_E_NS1_11comp_targetILNS1_3genE9ELNS1_11target_archE1100ELNS1_3gpuE3ELNS1_3repE0EEENS1_30default_config_static_selectorELNS0_4arch9wavefront6targetE1EEEvT1_
                                        ; -- End function
	.section	.AMDGPU.csdata,"",@progbits
; Kernel info:
; codeLenInByte = 0
; NumSgprs: 6
; NumVgprs: 0
; NumAgprs: 0
; TotalNumVgprs: 0
; ScratchSize: 0
; MemoryBound: 0
; FloatMode: 240
; IeeeMode: 1
; LDSByteSize: 0 bytes/workgroup (compile time only)
; SGPRBlocks: 0
; VGPRBlocks: 0
; NumSGPRsForWavesPerEU: 6
; NumVGPRsForWavesPerEU: 1
; AccumOffset: 4
; Occupancy: 8
; WaveLimiterHint : 0
; COMPUTE_PGM_RSRC2:SCRATCH_EN: 0
; COMPUTE_PGM_RSRC2:USER_SGPR: 2
; COMPUTE_PGM_RSRC2:TRAP_HANDLER: 0
; COMPUTE_PGM_RSRC2:TGID_X_EN: 1
; COMPUTE_PGM_RSRC2:TGID_Y_EN: 0
; COMPUTE_PGM_RSRC2:TGID_Z_EN: 0
; COMPUTE_PGM_RSRC2:TIDIG_COMP_CNT: 0
; COMPUTE_PGM_RSRC3_GFX90A:ACCUM_OFFSET: 0
; COMPUTE_PGM_RSRC3_GFX90A:TG_SPLIT: 0
	.section	.text._ZN7rocprim17ROCPRIM_400000_NS6detail17trampoline_kernelINS0_14default_configENS1_27scan_by_key_config_selectorIssEEZZNS1_16scan_by_key_implILNS1_25lookback_scan_determinismE0ELb0ES3_N6thrust23THRUST_200600_302600_NS6detail15normal_iteratorINS9_10device_ptrIsEEEENS9_18transform_iteratorINS9_6negateIsEESE_NS9_11use_defaultESI_EESE_sNS9_4plusIvEENS9_8equal_toIvEEsEE10hipError_tPvRmT2_T3_T4_T5_mT6_T7_P12ihipStream_tbENKUlT_T0_E_clISt17integral_constantIbLb1EES14_EEDaSZ_S10_EUlSZ_E_NS1_11comp_targetILNS1_3genE8ELNS1_11target_archE1030ELNS1_3gpuE2ELNS1_3repE0EEENS1_30default_config_static_selectorELNS0_4arch9wavefront6targetE1EEEvT1_,"axG",@progbits,_ZN7rocprim17ROCPRIM_400000_NS6detail17trampoline_kernelINS0_14default_configENS1_27scan_by_key_config_selectorIssEEZZNS1_16scan_by_key_implILNS1_25lookback_scan_determinismE0ELb0ES3_N6thrust23THRUST_200600_302600_NS6detail15normal_iteratorINS9_10device_ptrIsEEEENS9_18transform_iteratorINS9_6negateIsEESE_NS9_11use_defaultESI_EESE_sNS9_4plusIvEENS9_8equal_toIvEEsEE10hipError_tPvRmT2_T3_T4_T5_mT6_T7_P12ihipStream_tbENKUlT_T0_E_clISt17integral_constantIbLb1EES14_EEDaSZ_S10_EUlSZ_E_NS1_11comp_targetILNS1_3genE8ELNS1_11target_archE1030ELNS1_3gpuE2ELNS1_3repE0EEENS1_30default_config_static_selectorELNS0_4arch9wavefront6targetE1EEEvT1_,comdat
	.protected	_ZN7rocprim17ROCPRIM_400000_NS6detail17trampoline_kernelINS0_14default_configENS1_27scan_by_key_config_selectorIssEEZZNS1_16scan_by_key_implILNS1_25lookback_scan_determinismE0ELb0ES3_N6thrust23THRUST_200600_302600_NS6detail15normal_iteratorINS9_10device_ptrIsEEEENS9_18transform_iteratorINS9_6negateIsEESE_NS9_11use_defaultESI_EESE_sNS9_4plusIvEENS9_8equal_toIvEEsEE10hipError_tPvRmT2_T3_T4_T5_mT6_T7_P12ihipStream_tbENKUlT_T0_E_clISt17integral_constantIbLb1EES14_EEDaSZ_S10_EUlSZ_E_NS1_11comp_targetILNS1_3genE8ELNS1_11target_archE1030ELNS1_3gpuE2ELNS1_3repE0EEENS1_30default_config_static_selectorELNS0_4arch9wavefront6targetE1EEEvT1_ ; -- Begin function _ZN7rocprim17ROCPRIM_400000_NS6detail17trampoline_kernelINS0_14default_configENS1_27scan_by_key_config_selectorIssEEZZNS1_16scan_by_key_implILNS1_25lookback_scan_determinismE0ELb0ES3_N6thrust23THRUST_200600_302600_NS6detail15normal_iteratorINS9_10device_ptrIsEEEENS9_18transform_iteratorINS9_6negateIsEESE_NS9_11use_defaultESI_EESE_sNS9_4plusIvEENS9_8equal_toIvEEsEE10hipError_tPvRmT2_T3_T4_T5_mT6_T7_P12ihipStream_tbENKUlT_T0_E_clISt17integral_constantIbLb1EES14_EEDaSZ_S10_EUlSZ_E_NS1_11comp_targetILNS1_3genE8ELNS1_11target_archE1030ELNS1_3gpuE2ELNS1_3repE0EEENS1_30default_config_static_selectorELNS0_4arch9wavefront6targetE1EEEvT1_
	.globl	_ZN7rocprim17ROCPRIM_400000_NS6detail17trampoline_kernelINS0_14default_configENS1_27scan_by_key_config_selectorIssEEZZNS1_16scan_by_key_implILNS1_25lookback_scan_determinismE0ELb0ES3_N6thrust23THRUST_200600_302600_NS6detail15normal_iteratorINS9_10device_ptrIsEEEENS9_18transform_iteratorINS9_6negateIsEESE_NS9_11use_defaultESI_EESE_sNS9_4plusIvEENS9_8equal_toIvEEsEE10hipError_tPvRmT2_T3_T4_T5_mT6_T7_P12ihipStream_tbENKUlT_T0_E_clISt17integral_constantIbLb1EES14_EEDaSZ_S10_EUlSZ_E_NS1_11comp_targetILNS1_3genE8ELNS1_11target_archE1030ELNS1_3gpuE2ELNS1_3repE0EEENS1_30default_config_static_selectorELNS0_4arch9wavefront6targetE1EEEvT1_
	.p2align	8
	.type	_ZN7rocprim17ROCPRIM_400000_NS6detail17trampoline_kernelINS0_14default_configENS1_27scan_by_key_config_selectorIssEEZZNS1_16scan_by_key_implILNS1_25lookback_scan_determinismE0ELb0ES3_N6thrust23THRUST_200600_302600_NS6detail15normal_iteratorINS9_10device_ptrIsEEEENS9_18transform_iteratorINS9_6negateIsEESE_NS9_11use_defaultESI_EESE_sNS9_4plusIvEENS9_8equal_toIvEEsEE10hipError_tPvRmT2_T3_T4_T5_mT6_T7_P12ihipStream_tbENKUlT_T0_E_clISt17integral_constantIbLb1EES14_EEDaSZ_S10_EUlSZ_E_NS1_11comp_targetILNS1_3genE8ELNS1_11target_archE1030ELNS1_3gpuE2ELNS1_3repE0EEENS1_30default_config_static_selectorELNS0_4arch9wavefront6targetE1EEEvT1_,@function
_ZN7rocprim17ROCPRIM_400000_NS6detail17trampoline_kernelINS0_14default_configENS1_27scan_by_key_config_selectorIssEEZZNS1_16scan_by_key_implILNS1_25lookback_scan_determinismE0ELb0ES3_N6thrust23THRUST_200600_302600_NS6detail15normal_iteratorINS9_10device_ptrIsEEEENS9_18transform_iteratorINS9_6negateIsEESE_NS9_11use_defaultESI_EESE_sNS9_4plusIvEENS9_8equal_toIvEEsEE10hipError_tPvRmT2_T3_T4_T5_mT6_T7_P12ihipStream_tbENKUlT_T0_E_clISt17integral_constantIbLb1EES14_EEDaSZ_S10_EUlSZ_E_NS1_11comp_targetILNS1_3genE8ELNS1_11target_archE1030ELNS1_3gpuE2ELNS1_3repE0EEENS1_30default_config_static_selectorELNS0_4arch9wavefront6targetE1EEEvT1_: ; @_ZN7rocprim17ROCPRIM_400000_NS6detail17trampoline_kernelINS0_14default_configENS1_27scan_by_key_config_selectorIssEEZZNS1_16scan_by_key_implILNS1_25lookback_scan_determinismE0ELb0ES3_N6thrust23THRUST_200600_302600_NS6detail15normal_iteratorINS9_10device_ptrIsEEEENS9_18transform_iteratorINS9_6negateIsEESE_NS9_11use_defaultESI_EESE_sNS9_4plusIvEENS9_8equal_toIvEEsEE10hipError_tPvRmT2_T3_T4_T5_mT6_T7_P12ihipStream_tbENKUlT_T0_E_clISt17integral_constantIbLb1EES14_EEDaSZ_S10_EUlSZ_E_NS1_11comp_targetILNS1_3genE8ELNS1_11target_archE1030ELNS1_3gpuE2ELNS1_3repE0EEENS1_30default_config_static_selectorELNS0_4arch9wavefront6targetE1EEEvT1_
; %bb.0:
	.section	.rodata,"a",@progbits
	.p2align	6, 0x0
	.amdhsa_kernel _ZN7rocprim17ROCPRIM_400000_NS6detail17trampoline_kernelINS0_14default_configENS1_27scan_by_key_config_selectorIssEEZZNS1_16scan_by_key_implILNS1_25lookback_scan_determinismE0ELb0ES3_N6thrust23THRUST_200600_302600_NS6detail15normal_iteratorINS9_10device_ptrIsEEEENS9_18transform_iteratorINS9_6negateIsEESE_NS9_11use_defaultESI_EESE_sNS9_4plusIvEENS9_8equal_toIvEEsEE10hipError_tPvRmT2_T3_T4_T5_mT6_T7_P12ihipStream_tbENKUlT_T0_E_clISt17integral_constantIbLb1EES14_EEDaSZ_S10_EUlSZ_E_NS1_11comp_targetILNS1_3genE8ELNS1_11target_archE1030ELNS1_3gpuE2ELNS1_3repE0EEENS1_30default_config_static_selectorELNS0_4arch9wavefront6targetE1EEEvT1_
		.amdhsa_group_segment_fixed_size 0
		.amdhsa_private_segment_fixed_size 0
		.amdhsa_kernarg_size 120
		.amdhsa_user_sgpr_count 2
		.amdhsa_user_sgpr_dispatch_ptr 0
		.amdhsa_user_sgpr_queue_ptr 0
		.amdhsa_user_sgpr_kernarg_segment_ptr 1
		.amdhsa_user_sgpr_dispatch_id 0
		.amdhsa_user_sgpr_kernarg_preload_length 0
		.amdhsa_user_sgpr_kernarg_preload_offset 0
		.amdhsa_user_sgpr_private_segment_size 0
		.amdhsa_uses_dynamic_stack 0
		.amdhsa_enable_private_segment 0
		.amdhsa_system_sgpr_workgroup_id_x 1
		.amdhsa_system_sgpr_workgroup_id_y 0
		.amdhsa_system_sgpr_workgroup_id_z 0
		.amdhsa_system_sgpr_workgroup_info 0
		.amdhsa_system_vgpr_workitem_id 0
		.amdhsa_next_free_vgpr 1
		.amdhsa_next_free_sgpr 0
		.amdhsa_accum_offset 4
		.amdhsa_reserve_vcc 0
		.amdhsa_float_round_mode_32 0
		.amdhsa_float_round_mode_16_64 0
		.amdhsa_float_denorm_mode_32 3
		.amdhsa_float_denorm_mode_16_64 3
		.amdhsa_dx10_clamp 1
		.amdhsa_ieee_mode 1
		.amdhsa_fp16_overflow 0
		.amdhsa_tg_split 0
		.amdhsa_exception_fp_ieee_invalid_op 0
		.amdhsa_exception_fp_denorm_src 0
		.amdhsa_exception_fp_ieee_div_zero 0
		.amdhsa_exception_fp_ieee_overflow 0
		.amdhsa_exception_fp_ieee_underflow 0
		.amdhsa_exception_fp_ieee_inexact 0
		.amdhsa_exception_int_div_zero 0
	.end_amdhsa_kernel
	.section	.text._ZN7rocprim17ROCPRIM_400000_NS6detail17trampoline_kernelINS0_14default_configENS1_27scan_by_key_config_selectorIssEEZZNS1_16scan_by_key_implILNS1_25lookback_scan_determinismE0ELb0ES3_N6thrust23THRUST_200600_302600_NS6detail15normal_iteratorINS9_10device_ptrIsEEEENS9_18transform_iteratorINS9_6negateIsEESE_NS9_11use_defaultESI_EESE_sNS9_4plusIvEENS9_8equal_toIvEEsEE10hipError_tPvRmT2_T3_T4_T5_mT6_T7_P12ihipStream_tbENKUlT_T0_E_clISt17integral_constantIbLb1EES14_EEDaSZ_S10_EUlSZ_E_NS1_11comp_targetILNS1_3genE8ELNS1_11target_archE1030ELNS1_3gpuE2ELNS1_3repE0EEENS1_30default_config_static_selectorELNS0_4arch9wavefront6targetE1EEEvT1_,"axG",@progbits,_ZN7rocprim17ROCPRIM_400000_NS6detail17trampoline_kernelINS0_14default_configENS1_27scan_by_key_config_selectorIssEEZZNS1_16scan_by_key_implILNS1_25lookback_scan_determinismE0ELb0ES3_N6thrust23THRUST_200600_302600_NS6detail15normal_iteratorINS9_10device_ptrIsEEEENS9_18transform_iteratorINS9_6negateIsEESE_NS9_11use_defaultESI_EESE_sNS9_4plusIvEENS9_8equal_toIvEEsEE10hipError_tPvRmT2_T3_T4_T5_mT6_T7_P12ihipStream_tbENKUlT_T0_E_clISt17integral_constantIbLb1EES14_EEDaSZ_S10_EUlSZ_E_NS1_11comp_targetILNS1_3genE8ELNS1_11target_archE1030ELNS1_3gpuE2ELNS1_3repE0EEENS1_30default_config_static_selectorELNS0_4arch9wavefront6targetE1EEEvT1_,comdat
.Lfunc_end982:
	.size	_ZN7rocprim17ROCPRIM_400000_NS6detail17trampoline_kernelINS0_14default_configENS1_27scan_by_key_config_selectorIssEEZZNS1_16scan_by_key_implILNS1_25lookback_scan_determinismE0ELb0ES3_N6thrust23THRUST_200600_302600_NS6detail15normal_iteratorINS9_10device_ptrIsEEEENS9_18transform_iteratorINS9_6negateIsEESE_NS9_11use_defaultESI_EESE_sNS9_4plusIvEENS9_8equal_toIvEEsEE10hipError_tPvRmT2_T3_T4_T5_mT6_T7_P12ihipStream_tbENKUlT_T0_E_clISt17integral_constantIbLb1EES14_EEDaSZ_S10_EUlSZ_E_NS1_11comp_targetILNS1_3genE8ELNS1_11target_archE1030ELNS1_3gpuE2ELNS1_3repE0EEENS1_30default_config_static_selectorELNS0_4arch9wavefront6targetE1EEEvT1_, .Lfunc_end982-_ZN7rocprim17ROCPRIM_400000_NS6detail17trampoline_kernelINS0_14default_configENS1_27scan_by_key_config_selectorIssEEZZNS1_16scan_by_key_implILNS1_25lookback_scan_determinismE0ELb0ES3_N6thrust23THRUST_200600_302600_NS6detail15normal_iteratorINS9_10device_ptrIsEEEENS9_18transform_iteratorINS9_6negateIsEESE_NS9_11use_defaultESI_EESE_sNS9_4plusIvEENS9_8equal_toIvEEsEE10hipError_tPvRmT2_T3_T4_T5_mT6_T7_P12ihipStream_tbENKUlT_T0_E_clISt17integral_constantIbLb1EES14_EEDaSZ_S10_EUlSZ_E_NS1_11comp_targetILNS1_3genE8ELNS1_11target_archE1030ELNS1_3gpuE2ELNS1_3repE0EEENS1_30default_config_static_selectorELNS0_4arch9wavefront6targetE1EEEvT1_
                                        ; -- End function
	.section	.AMDGPU.csdata,"",@progbits
; Kernel info:
; codeLenInByte = 0
; NumSgprs: 6
; NumVgprs: 0
; NumAgprs: 0
; TotalNumVgprs: 0
; ScratchSize: 0
; MemoryBound: 0
; FloatMode: 240
; IeeeMode: 1
; LDSByteSize: 0 bytes/workgroup (compile time only)
; SGPRBlocks: 0
; VGPRBlocks: 0
; NumSGPRsForWavesPerEU: 6
; NumVGPRsForWavesPerEU: 1
; AccumOffset: 4
; Occupancy: 8
; WaveLimiterHint : 0
; COMPUTE_PGM_RSRC2:SCRATCH_EN: 0
; COMPUTE_PGM_RSRC2:USER_SGPR: 2
; COMPUTE_PGM_RSRC2:TRAP_HANDLER: 0
; COMPUTE_PGM_RSRC2:TGID_X_EN: 1
; COMPUTE_PGM_RSRC2:TGID_Y_EN: 0
; COMPUTE_PGM_RSRC2:TGID_Z_EN: 0
; COMPUTE_PGM_RSRC2:TIDIG_COMP_CNT: 0
; COMPUTE_PGM_RSRC3_GFX90A:ACCUM_OFFSET: 0
; COMPUTE_PGM_RSRC3_GFX90A:TG_SPLIT: 0
	.section	.text._ZN7rocprim17ROCPRIM_400000_NS6detail17trampoline_kernelINS0_14default_configENS1_27scan_by_key_config_selectorIssEEZZNS1_16scan_by_key_implILNS1_25lookback_scan_determinismE0ELb0ES3_N6thrust23THRUST_200600_302600_NS6detail15normal_iteratorINS9_10device_ptrIsEEEENS9_18transform_iteratorINS9_6negateIsEESE_NS9_11use_defaultESI_EESE_sNS9_4plusIvEENS9_8equal_toIvEEsEE10hipError_tPvRmT2_T3_T4_T5_mT6_T7_P12ihipStream_tbENKUlT_T0_E_clISt17integral_constantIbLb1EES13_IbLb0EEEEDaSZ_S10_EUlSZ_E_NS1_11comp_targetILNS1_3genE0ELNS1_11target_archE4294967295ELNS1_3gpuE0ELNS1_3repE0EEENS1_30default_config_static_selectorELNS0_4arch9wavefront6targetE1EEEvT1_,"axG",@progbits,_ZN7rocprim17ROCPRIM_400000_NS6detail17trampoline_kernelINS0_14default_configENS1_27scan_by_key_config_selectorIssEEZZNS1_16scan_by_key_implILNS1_25lookback_scan_determinismE0ELb0ES3_N6thrust23THRUST_200600_302600_NS6detail15normal_iteratorINS9_10device_ptrIsEEEENS9_18transform_iteratorINS9_6negateIsEESE_NS9_11use_defaultESI_EESE_sNS9_4plusIvEENS9_8equal_toIvEEsEE10hipError_tPvRmT2_T3_T4_T5_mT6_T7_P12ihipStream_tbENKUlT_T0_E_clISt17integral_constantIbLb1EES13_IbLb0EEEEDaSZ_S10_EUlSZ_E_NS1_11comp_targetILNS1_3genE0ELNS1_11target_archE4294967295ELNS1_3gpuE0ELNS1_3repE0EEENS1_30default_config_static_selectorELNS0_4arch9wavefront6targetE1EEEvT1_,comdat
	.protected	_ZN7rocprim17ROCPRIM_400000_NS6detail17trampoline_kernelINS0_14default_configENS1_27scan_by_key_config_selectorIssEEZZNS1_16scan_by_key_implILNS1_25lookback_scan_determinismE0ELb0ES3_N6thrust23THRUST_200600_302600_NS6detail15normal_iteratorINS9_10device_ptrIsEEEENS9_18transform_iteratorINS9_6negateIsEESE_NS9_11use_defaultESI_EESE_sNS9_4plusIvEENS9_8equal_toIvEEsEE10hipError_tPvRmT2_T3_T4_T5_mT6_T7_P12ihipStream_tbENKUlT_T0_E_clISt17integral_constantIbLb1EES13_IbLb0EEEEDaSZ_S10_EUlSZ_E_NS1_11comp_targetILNS1_3genE0ELNS1_11target_archE4294967295ELNS1_3gpuE0ELNS1_3repE0EEENS1_30default_config_static_selectorELNS0_4arch9wavefront6targetE1EEEvT1_ ; -- Begin function _ZN7rocprim17ROCPRIM_400000_NS6detail17trampoline_kernelINS0_14default_configENS1_27scan_by_key_config_selectorIssEEZZNS1_16scan_by_key_implILNS1_25lookback_scan_determinismE0ELb0ES3_N6thrust23THRUST_200600_302600_NS6detail15normal_iteratorINS9_10device_ptrIsEEEENS9_18transform_iteratorINS9_6negateIsEESE_NS9_11use_defaultESI_EESE_sNS9_4plusIvEENS9_8equal_toIvEEsEE10hipError_tPvRmT2_T3_T4_T5_mT6_T7_P12ihipStream_tbENKUlT_T0_E_clISt17integral_constantIbLb1EES13_IbLb0EEEEDaSZ_S10_EUlSZ_E_NS1_11comp_targetILNS1_3genE0ELNS1_11target_archE4294967295ELNS1_3gpuE0ELNS1_3repE0EEENS1_30default_config_static_selectorELNS0_4arch9wavefront6targetE1EEEvT1_
	.globl	_ZN7rocprim17ROCPRIM_400000_NS6detail17trampoline_kernelINS0_14default_configENS1_27scan_by_key_config_selectorIssEEZZNS1_16scan_by_key_implILNS1_25lookback_scan_determinismE0ELb0ES3_N6thrust23THRUST_200600_302600_NS6detail15normal_iteratorINS9_10device_ptrIsEEEENS9_18transform_iteratorINS9_6negateIsEESE_NS9_11use_defaultESI_EESE_sNS9_4plusIvEENS9_8equal_toIvEEsEE10hipError_tPvRmT2_T3_T4_T5_mT6_T7_P12ihipStream_tbENKUlT_T0_E_clISt17integral_constantIbLb1EES13_IbLb0EEEEDaSZ_S10_EUlSZ_E_NS1_11comp_targetILNS1_3genE0ELNS1_11target_archE4294967295ELNS1_3gpuE0ELNS1_3repE0EEENS1_30default_config_static_selectorELNS0_4arch9wavefront6targetE1EEEvT1_
	.p2align	8
	.type	_ZN7rocprim17ROCPRIM_400000_NS6detail17trampoline_kernelINS0_14default_configENS1_27scan_by_key_config_selectorIssEEZZNS1_16scan_by_key_implILNS1_25lookback_scan_determinismE0ELb0ES3_N6thrust23THRUST_200600_302600_NS6detail15normal_iteratorINS9_10device_ptrIsEEEENS9_18transform_iteratorINS9_6negateIsEESE_NS9_11use_defaultESI_EESE_sNS9_4plusIvEENS9_8equal_toIvEEsEE10hipError_tPvRmT2_T3_T4_T5_mT6_T7_P12ihipStream_tbENKUlT_T0_E_clISt17integral_constantIbLb1EES13_IbLb0EEEEDaSZ_S10_EUlSZ_E_NS1_11comp_targetILNS1_3genE0ELNS1_11target_archE4294967295ELNS1_3gpuE0ELNS1_3repE0EEENS1_30default_config_static_selectorELNS0_4arch9wavefront6targetE1EEEvT1_,@function
_ZN7rocprim17ROCPRIM_400000_NS6detail17trampoline_kernelINS0_14default_configENS1_27scan_by_key_config_selectorIssEEZZNS1_16scan_by_key_implILNS1_25lookback_scan_determinismE0ELb0ES3_N6thrust23THRUST_200600_302600_NS6detail15normal_iteratorINS9_10device_ptrIsEEEENS9_18transform_iteratorINS9_6negateIsEESE_NS9_11use_defaultESI_EESE_sNS9_4plusIvEENS9_8equal_toIvEEsEE10hipError_tPvRmT2_T3_T4_T5_mT6_T7_P12ihipStream_tbENKUlT_T0_E_clISt17integral_constantIbLb1EES13_IbLb0EEEEDaSZ_S10_EUlSZ_E_NS1_11comp_targetILNS1_3genE0ELNS1_11target_archE4294967295ELNS1_3gpuE0ELNS1_3repE0EEENS1_30default_config_static_selectorELNS0_4arch9wavefront6targetE1EEEvT1_: ; @_ZN7rocprim17ROCPRIM_400000_NS6detail17trampoline_kernelINS0_14default_configENS1_27scan_by_key_config_selectorIssEEZZNS1_16scan_by_key_implILNS1_25lookback_scan_determinismE0ELb0ES3_N6thrust23THRUST_200600_302600_NS6detail15normal_iteratorINS9_10device_ptrIsEEEENS9_18transform_iteratorINS9_6negateIsEESE_NS9_11use_defaultESI_EESE_sNS9_4plusIvEENS9_8equal_toIvEEsEE10hipError_tPvRmT2_T3_T4_T5_mT6_T7_P12ihipStream_tbENKUlT_T0_E_clISt17integral_constantIbLb1EES13_IbLb0EEEEDaSZ_S10_EUlSZ_E_NS1_11comp_targetILNS1_3genE0ELNS1_11target_archE4294967295ELNS1_3gpuE0ELNS1_3repE0EEENS1_30default_config_static_selectorELNS0_4arch9wavefront6targetE1EEEvT1_
; %bb.0:
	.section	.rodata,"a",@progbits
	.p2align	6, 0x0
	.amdhsa_kernel _ZN7rocprim17ROCPRIM_400000_NS6detail17trampoline_kernelINS0_14default_configENS1_27scan_by_key_config_selectorIssEEZZNS1_16scan_by_key_implILNS1_25lookback_scan_determinismE0ELb0ES3_N6thrust23THRUST_200600_302600_NS6detail15normal_iteratorINS9_10device_ptrIsEEEENS9_18transform_iteratorINS9_6negateIsEESE_NS9_11use_defaultESI_EESE_sNS9_4plusIvEENS9_8equal_toIvEEsEE10hipError_tPvRmT2_T3_T4_T5_mT6_T7_P12ihipStream_tbENKUlT_T0_E_clISt17integral_constantIbLb1EES13_IbLb0EEEEDaSZ_S10_EUlSZ_E_NS1_11comp_targetILNS1_3genE0ELNS1_11target_archE4294967295ELNS1_3gpuE0ELNS1_3repE0EEENS1_30default_config_static_selectorELNS0_4arch9wavefront6targetE1EEEvT1_
		.amdhsa_group_segment_fixed_size 0
		.amdhsa_private_segment_fixed_size 0
		.amdhsa_kernarg_size 120
		.amdhsa_user_sgpr_count 2
		.amdhsa_user_sgpr_dispatch_ptr 0
		.amdhsa_user_sgpr_queue_ptr 0
		.amdhsa_user_sgpr_kernarg_segment_ptr 1
		.amdhsa_user_sgpr_dispatch_id 0
		.amdhsa_user_sgpr_kernarg_preload_length 0
		.amdhsa_user_sgpr_kernarg_preload_offset 0
		.amdhsa_user_sgpr_private_segment_size 0
		.amdhsa_uses_dynamic_stack 0
		.amdhsa_enable_private_segment 0
		.amdhsa_system_sgpr_workgroup_id_x 1
		.amdhsa_system_sgpr_workgroup_id_y 0
		.amdhsa_system_sgpr_workgroup_id_z 0
		.amdhsa_system_sgpr_workgroup_info 0
		.amdhsa_system_vgpr_workitem_id 0
		.amdhsa_next_free_vgpr 1
		.amdhsa_next_free_sgpr 0
		.amdhsa_accum_offset 4
		.amdhsa_reserve_vcc 0
		.amdhsa_float_round_mode_32 0
		.amdhsa_float_round_mode_16_64 0
		.amdhsa_float_denorm_mode_32 3
		.amdhsa_float_denorm_mode_16_64 3
		.amdhsa_dx10_clamp 1
		.amdhsa_ieee_mode 1
		.amdhsa_fp16_overflow 0
		.amdhsa_tg_split 0
		.amdhsa_exception_fp_ieee_invalid_op 0
		.amdhsa_exception_fp_denorm_src 0
		.amdhsa_exception_fp_ieee_div_zero 0
		.amdhsa_exception_fp_ieee_overflow 0
		.amdhsa_exception_fp_ieee_underflow 0
		.amdhsa_exception_fp_ieee_inexact 0
		.amdhsa_exception_int_div_zero 0
	.end_amdhsa_kernel
	.section	.text._ZN7rocprim17ROCPRIM_400000_NS6detail17trampoline_kernelINS0_14default_configENS1_27scan_by_key_config_selectorIssEEZZNS1_16scan_by_key_implILNS1_25lookback_scan_determinismE0ELb0ES3_N6thrust23THRUST_200600_302600_NS6detail15normal_iteratorINS9_10device_ptrIsEEEENS9_18transform_iteratorINS9_6negateIsEESE_NS9_11use_defaultESI_EESE_sNS9_4plusIvEENS9_8equal_toIvEEsEE10hipError_tPvRmT2_T3_T4_T5_mT6_T7_P12ihipStream_tbENKUlT_T0_E_clISt17integral_constantIbLb1EES13_IbLb0EEEEDaSZ_S10_EUlSZ_E_NS1_11comp_targetILNS1_3genE0ELNS1_11target_archE4294967295ELNS1_3gpuE0ELNS1_3repE0EEENS1_30default_config_static_selectorELNS0_4arch9wavefront6targetE1EEEvT1_,"axG",@progbits,_ZN7rocprim17ROCPRIM_400000_NS6detail17trampoline_kernelINS0_14default_configENS1_27scan_by_key_config_selectorIssEEZZNS1_16scan_by_key_implILNS1_25lookback_scan_determinismE0ELb0ES3_N6thrust23THRUST_200600_302600_NS6detail15normal_iteratorINS9_10device_ptrIsEEEENS9_18transform_iteratorINS9_6negateIsEESE_NS9_11use_defaultESI_EESE_sNS9_4plusIvEENS9_8equal_toIvEEsEE10hipError_tPvRmT2_T3_T4_T5_mT6_T7_P12ihipStream_tbENKUlT_T0_E_clISt17integral_constantIbLb1EES13_IbLb0EEEEDaSZ_S10_EUlSZ_E_NS1_11comp_targetILNS1_3genE0ELNS1_11target_archE4294967295ELNS1_3gpuE0ELNS1_3repE0EEENS1_30default_config_static_selectorELNS0_4arch9wavefront6targetE1EEEvT1_,comdat
.Lfunc_end983:
	.size	_ZN7rocprim17ROCPRIM_400000_NS6detail17trampoline_kernelINS0_14default_configENS1_27scan_by_key_config_selectorIssEEZZNS1_16scan_by_key_implILNS1_25lookback_scan_determinismE0ELb0ES3_N6thrust23THRUST_200600_302600_NS6detail15normal_iteratorINS9_10device_ptrIsEEEENS9_18transform_iteratorINS9_6negateIsEESE_NS9_11use_defaultESI_EESE_sNS9_4plusIvEENS9_8equal_toIvEEsEE10hipError_tPvRmT2_T3_T4_T5_mT6_T7_P12ihipStream_tbENKUlT_T0_E_clISt17integral_constantIbLb1EES13_IbLb0EEEEDaSZ_S10_EUlSZ_E_NS1_11comp_targetILNS1_3genE0ELNS1_11target_archE4294967295ELNS1_3gpuE0ELNS1_3repE0EEENS1_30default_config_static_selectorELNS0_4arch9wavefront6targetE1EEEvT1_, .Lfunc_end983-_ZN7rocprim17ROCPRIM_400000_NS6detail17trampoline_kernelINS0_14default_configENS1_27scan_by_key_config_selectorIssEEZZNS1_16scan_by_key_implILNS1_25lookback_scan_determinismE0ELb0ES3_N6thrust23THRUST_200600_302600_NS6detail15normal_iteratorINS9_10device_ptrIsEEEENS9_18transform_iteratorINS9_6negateIsEESE_NS9_11use_defaultESI_EESE_sNS9_4plusIvEENS9_8equal_toIvEEsEE10hipError_tPvRmT2_T3_T4_T5_mT6_T7_P12ihipStream_tbENKUlT_T0_E_clISt17integral_constantIbLb1EES13_IbLb0EEEEDaSZ_S10_EUlSZ_E_NS1_11comp_targetILNS1_3genE0ELNS1_11target_archE4294967295ELNS1_3gpuE0ELNS1_3repE0EEENS1_30default_config_static_selectorELNS0_4arch9wavefront6targetE1EEEvT1_
                                        ; -- End function
	.section	.AMDGPU.csdata,"",@progbits
; Kernel info:
; codeLenInByte = 0
; NumSgprs: 6
; NumVgprs: 0
; NumAgprs: 0
; TotalNumVgprs: 0
; ScratchSize: 0
; MemoryBound: 0
; FloatMode: 240
; IeeeMode: 1
; LDSByteSize: 0 bytes/workgroup (compile time only)
; SGPRBlocks: 0
; VGPRBlocks: 0
; NumSGPRsForWavesPerEU: 6
; NumVGPRsForWavesPerEU: 1
; AccumOffset: 4
; Occupancy: 8
; WaveLimiterHint : 0
; COMPUTE_PGM_RSRC2:SCRATCH_EN: 0
; COMPUTE_PGM_RSRC2:USER_SGPR: 2
; COMPUTE_PGM_RSRC2:TRAP_HANDLER: 0
; COMPUTE_PGM_RSRC2:TGID_X_EN: 1
; COMPUTE_PGM_RSRC2:TGID_Y_EN: 0
; COMPUTE_PGM_RSRC2:TGID_Z_EN: 0
; COMPUTE_PGM_RSRC2:TIDIG_COMP_CNT: 0
; COMPUTE_PGM_RSRC3_GFX90A:ACCUM_OFFSET: 0
; COMPUTE_PGM_RSRC3_GFX90A:TG_SPLIT: 0
	.section	.text._ZN7rocprim17ROCPRIM_400000_NS6detail17trampoline_kernelINS0_14default_configENS1_27scan_by_key_config_selectorIssEEZZNS1_16scan_by_key_implILNS1_25lookback_scan_determinismE0ELb0ES3_N6thrust23THRUST_200600_302600_NS6detail15normal_iteratorINS9_10device_ptrIsEEEENS9_18transform_iteratorINS9_6negateIsEESE_NS9_11use_defaultESI_EESE_sNS9_4plusIvEENS9_8equal_toIvEEsEE10hipError_tPvRmT2_T3_T4_T5_mT6_T7_P12ihipStream_tbENKUlT_T0_E_clISt17integral_constantIbLb1EES13_IbLb0EEEEDaSZ_S10_EUlSZ_E_NS1_11comp_targetILNS1_3genE10ELNS1_11target_archE1201ELNS1_3gpuE5ELNS1_3repE0EEENS1_30default_config_static_selectorELNS0_4arch9wavefront6targetE1EEEvT1_,"axG",@progbits,_ZN7rocprim17ROCPRIM_400000_NS6detail17trampoline_kernelINS0_14default_configENS1_27scan_by_key_config_selectorIssEEZZNS1_16scan_by_key_implILNS1_25lookback_scan_determinismE0ELb0ES3_N6thrust23THRUST_200600_302600_NS6detail15normal_iteratorINS9_10device_ptrIsEEEENS9_18transform_iteratorINS9_6negateIsEESE_NS9_11use_defaultESI_EESE_sNS9_4plusIvEENS9_8equal_toIvEEsEE10hipError_tPvRmT2_T3_T4_T5_mT6_T7_P12ihipStream_tbENKUlT_T0_E_clISt17integral_constantIbLb1EES13_IbLb0EEEEDaSZ_S10_EUlSZ_E_NS1_11comp_targetILNS1_3genE10ELNS1_11target_archE1201ELNS1_3gpuE5ELNS1_3repE0EEENS1_30default_config_static_selectorELNS0_4arch9wavefront6targetE1EEEvT1_,comdat
	.protected	_ZN7rocprim17ROCPRIM_400000_NS6detail17trampoline_kernelINS0_14default_configENS1_27scan_by_key_config_selectorIssEEZZNS1_16scan_by_key_implILNS1_25lookback_scan_determinismE0ELb0ES3_N6thrust23THRUST_200600_302600_NS6detail15normal_iteratorINS9_10device_ptrIsEEEENS9_18transform_iteratorINS9_6negateIsEESE_NS9_11use_defaultESI_EESE_sNS9_4plusIvEENS9_8equal_toIvEEsEE10hipError_tPvRmT2_T3_T4_T5_mT6_T7_P12ihipStream_tbENKUlT_T0_E_clISt17integral_constantIbLb1EES13_IbLb0EEEEDaSZ_S10_EUlSZ_E_NS1_11comp_targetILNS1_3genE10ELNS1_11target_archE1201ELNS1_3gpuE5ELNS1_3repE0EEENS1_30default_config_static_selectorELNS0_4arch9wavefront6targetE1EEEvT1_ ; -- Begin function _ZN7rocprim17ROCPRIM_400000_NS6detail17trampoline_kernelINS0_14default_configENS1_27scan_by_key_config_selectorIssEEZZNS1_16scan_by_key_implILNS1_25lookback_scan_determinismE0ELb0ES3_N6thrust23THRUST_200600_302600_NS6detail15normal_iteratorINS9_10device_ptrIsEEEENS9_18transform_iteratorINS9_6negateIsEESE_NS9_11use_defaultESI_EESE_sNS9_4plusIvEENS9_8equal_toIvEEsEE10hipError_tPvRmT2_T3_T4_T5_mT6_T7_P12ihipStream_tbENKUlT_T0_E_clISt17integral_constantIbLb1EES13_IbLb0EEEEDaSZ_S10_EUlSZ_E_NS1_11comp_targetILNS1_3genE10ELNS1_11target_archE1201ELNS1_3gpuE5ELNS1_3repE0EEENS1_30default_config_static_selectorELNS0_4arch9wavefront6targetE1EEEvT1_
	.globl	_ZN7rocprim17ROCPRIM_400000_NS6detail17trampoline_kernelINS0_14default_configENS1_27scan_by_key_config_selectorIssEEZZNS1_16scan_by_key_implILNS1_25lookback_scan_determinismE0ELb0ES3_N6thrust23THRUST_200600_302600_NS6detail15normal_iteratorINS9_10device_ptrIsEEEENS9_18transform_iteratorINS9_6negateIsEESE_NS9_11use_defaultESI_EESE_sNS9_4plusIvEENS9_8equal_toIvEEsEE10hipError_tPvRmT2_T3_T4_T5_mT6_T7_P12ihipStream_tbENKUlT_T0_E_clISt17integral_constantIbLb1EES13_IbLb0EEEEDaSZ_S10_EUlSZ_E_NS1_11comp_targetILNS1_3genE10ELNS1_11target_archE1201ELNS1_3gpuE5ELNS1_3repE0EEENS1_30default_config_static_selectorELNS0_4arch9wavefront6targetE1EEEvT1_
	.p2align	8
	.type	_ZN7rocprim17ROCPRIM_400000_NS6detail17trampoline_kernelINS0_14default_configENS1_27scan_by_key_config_selectorIssEEZZNS1_16scan_by_key_implILNS1_25lookback_scan_determinismE0ELb0ES3_N6thrust23THRUST_200600_302600_NS6detail15normal_iteratorINS9_10device_ptrIsEEEENS9_18transform_iteratorINS9_6negateIsEESE_NS9_11use_defaultESI_EESE_sNS9_4plusIvEENS9_8equal_toIvEEsEE10hipError_tPvRmT2_T3_T4_T5_mT6_T7_P12ihipStream_tbENKUlT_T0_E_clISt17integral_constantIbLb1EES13_IbLb0EEEEDaSZ_S10_EUlSZ_E_NS1_11comp_targetILNS1_3genE10ELNS1_11target_archE1201ELNS1_3gpuE5ELNS1_3repE0EEENS1_30default_config_static_selectorELNS0_4arch9wavefront6targetE1EEEvT1_,@function
_ZN7rocprim17ROCPRIM_400000_NS6detail17trampoline_kernelINS0_14default_configENS1_27scan_by_key_config_selectorIssEEZZNS1_16scan_by_key_implILNS1_25lookback_scan_determinismE0ELb0ES3_N6thrust23THRUST_200600_302600_NS6detail15normal_iteratorINS9_10device_ptrIsEEEENS9_18transform_iteratorINS9_6negateIsEESE_NS9_11use_defaultESI_EESE_sNS9_4plusIvEENS9_8equal_toIvEEsEE10hipError_tPvRmT2_T3_T4_T5_mT6_T7_P12ihipStream_tbENKUlT_T0_E_clISt17integral_constantIbLb1EES13_IbLb0EEEEDaSZ_S10_EUlSZ_E_NS1_11comp_targetILNS1_3genE10ELNS1_11target_archE1201ELNS1_3gpuE5ELNS1_3repE0EEENS1_30default_config_static_selectorELNS0_4arch9wavefront6targetE1EEEvT1_: ; @_ZN7rocprim17ROCPRIM_400000_NS6detail17trampoline_kernelINS0_14default_configENS1_27scan_by_key_config_selectorIssEEZZNS1_16scan_by_key_implILNS1_25lookback_scan_determinismE0ELb0ES3_N6thrust23THRUST_200600_302600_NS6detail15normal_iteratorINS9_10device_ptrIsEEEENS9_18transform_iteratorINS9_6negateIsEESE_NS9_11use_defaultESI_EESE_sNS9_4plusIvEENS9_8equal_toIvEEsEE10hipError_tPvRmT2_T3_T4_T5_mT6_T7_P12ihipStream_tbENKUlT_T0_E_clISt17integral_constantIbLb1EES13_IbLb0EEEEDaSZ_S10_EUlSZ_E_NS1_11comp_targetILNS1_3genE10ELNS1_11target_archE1201ELNS1_3gpuE5ELNS1_3repE0EEENS1_30default_config_static_selectorELNS0_4arch9wavefront6targetE1EEEvT1_
; %bb.0:
	.section	.rodata,"a",@progbits
	.p2align	6, 0x0
	.amdhsa_kernel _ZN7rocprim17ROCPRIM_400000_NS6detail17trampoline_kernelINS0_14default_configENS1_27scan_by_key_config_selectorIssEEZZNS1_16scan_by_key_implILNS1_25lookback_scan_determinismE0ELb0ES3_N6thrust23THRUST_200600_302600_NS6detail15normal_iteratorINS9_10device_ptrIsEEEENS9_18transform_iteratorINS9_6negateIsEESE_NS9_11use_defaultESI_EESE_sNS9_4plusIvEENS9_8equal_toIvEEsEE10hipError_tPvRmT2_T3_T4_T5_mT6_T7_P12ihipStream_tbENKUlT_T0_E_clISt17integral_constantIbLb1EES13_IbLb0EEEEDaSZ_S10_EUlSZ_E_NS1_11comp_targetILNS1_3genE10ELNS1_11target_archE1201ELNS1_3gpuE5ELNS1_3repE0EEENS1_30default_config_static_selectorELNS0_4arch9wavefront6targetE1EEEvT1_
		.amdhsa_group_segment_fixed_size 0
		.amdhsa_private_segment_fixed_size 0
		.amdhsa_kernarg_size 120
		.amdhsa_user_sgpr_count 2
		.amdhsa_user_sgpr_dispatch_ptr 0
		.amdhsa_user_sgpr_queue_ptr 0
		.amdhsa_user_sgpr_kernarg_segment_ptr 1
		.amdhsa_user_sgpr_dispatch_id 0
		.amdhsa_user_sgpr_kernarg_preload_length 0
		.amdhsa_user_sgpr_kernarg_preload_offset 0
		.amdhsa_user_sgpr_private_segment_size 0
		.amdhsa_uses_dynamic_stack 0
		.amdhsa_enable_private_segment 0
		.amdhsa_system_sgpr_workgroup_id_x 1
		.amdhsa_system_sgpr_workgroup_id_y 0
		.amdhsa_system_sgpr_workgroup_id_z 0
		.amdhsa_system_sgpr_workgroup_info 0
		.amdhsa_system_vgpr_workitem_id 0
		.amdhsa_next_free_vgpr 1
		.amdhsa_next_free_sgpr 0
		.amdhsa_accum_offset 4
		.amdhsa_reserve_vcc 0
		.amdhsa_float_round_mode_32 0
		.amdhsa_float_round_mode_16_64 0
		.amdhsa_float_denorm_mode_32 3
		.amdhsa_float_denorm_mode_16_64 3
		.amdhsa_dx10_clamp 1
		.amdhsa_ieee_mode 1
		.amdhsa_fp16_overflow 0
		.amdhsa_tg_split 0
		.amdhsa_exception_fp_ieee_invalid_op 0
		.amdhsa_exception_fp_denorm_src 0
		.amdhsa_exception_fp_ieee_div_zero 0
		.amdhsa_exception_fp_ieee_overflow 0
		.amdhsa_exception_fp_ieee_underflow 0
		.amdhsa_exception_fp_ieee_inexact 0
		.amdhsa_exception_int_div_zero 0
	.end_amdhsa_kernel
	.section	.text._ZN7rocprim17ROCPRIM_400000_NS6detail17trampoline_kernelINS0_14default_configENS1_27scan_by_key_config_selectorIssEEZZNS1_16scan_by_key_implILNS1_25lookback_scan_determinismE0ELb0ES3_N6thrust23THRUST_200600_302600_NS6detail15normal_iteratorINS9_10device_ptrIsEEEENS9_18transform_iteratorINS9_6negateIsEESE_NS9_11use_defaultESI_EESE_sNS9_4plusIvEENS9_8equal_toIvEEsEE10hipError_tPvRmT2_T3_T4_T5_mT6_T7_P12ihipStream_tbENKUlT_T0_E_clISt17integral_constantIbLb1EES13_IbLb0EEEEDaSZ_S10_EUlSZ_E_NS1_11comp_targetILNS1_3genE10ELNS1_11target_archE1201ELNS1_3gpuE5ELNS1_3repE0EEENS1_30default_config_static_selectorELNS0_4arch9wavefront6targetE1EEEvT1_,"axG",@progbits,_ZN7rocprim17ROCPRIM_400000_NS6detail17trampoline_kernelINS0_14default_configENS1_27scan_by_key_config_selectorIssEEZZNS1_16scan_by_key_implILNS1_25lookback_scan_determinismE0ELb0ES3_N6thrust23THRUST_200600_302600_NS6detail15normal_iteratorINS9_10device_ptrIsEEEENS9_18transform_iteratorINS9_6negateIsEESE_NS9_11use_defaultESI_EESE_sNS9_4plusIvEENS9_8equal_toIvEEsEE10hipError_tPvRmT2_T3_T4_T5_mT6_T7_P12ihipStream_tbENKUlT_T0_E_clISt17integral_constantIbLb1EES13_IbLb0EEEEDaSZ_S10_EUlSZ_E_NS1_11comp_targetILNS1_3genE10ELNS1_11target_archE1201ELNS1_3gpuE5ELNS1_3repE0EEENS1_30default_config_static_selectorELNS0_4arch9wavefront6targetE1EEEvT1_,comdat
.Lfunc_end984:
	.size	_ZN7rocprim17ROCPRIM_400000_NS6detail17trampoline_kernelINS0_14default_configENS1_27scan_by_key_config_selectorIssEEZZNS1_16scan_by_key_implILNS1_25lookback_scan_determinismE0ELb0ES3_N6thrust23THRUST_200600_302600_NS6detail15normal_iteratorINS9_10device_ptrIsEEEENS9_18transform_iteratorINS9_6negateIsEESE_NS9_11use_defaultESI_EESE_sNS9_4plusIvEENS9_8equal_toIvEEsEE10hipError_tPvRmT2_T3_T4_T5_mT6_T7_P12ihipStream_tbENKUlT_T0_E_clISt17integral_constantIbLb1EES13_IbLb0EEEEDaSZ_S10_EUlSZ_E_NS1_11comp_targetILNS1_3genE10ELNS1_11target_archE1201ELNS1_3gpuE5ELNS1_3repE0EEENS1_30default_config_static_selectorELNS0_4arch9wavefront6targetE1EEEvT1_, .Lfunc_end984-_ZN7rocprim17ROCPRIM_400000_NS6detail17trampoline_kernelINS0_14default_configENS1_27scan_by_key_config_selectorIssEEZZNS1_16scan_by_key_implILNS1_25lookback_scan_determinismE0ELb0ES3_N6thrust23THRUST_200600_302600_NS6detail15normal_iteratorINS9_10device_ptrIsEEEENS9_18transform_iteratorINS9_6negateIsEESE_NS9_11use_defaultESI_EESE_sNS9_4plusIvEENS9_8equal_toIvEEsEE10hipError_tPvRmT2_T3_T4_T5_mT6_T7_P12ihipStream_tbENKUlT_T0_E_clISt17integral_constantIbLb1EES13_IbLb0EEEEDaSZ_S10_EUlSZ_E_NS1_11comp_targetILNS1_3genE10ELNS1_11target_archE1201ELNS1_3gpuE5ELNS1_3repE0EEENS1_30default_config_static_selectorELNS0_4arch9wavefront6targetE1EEEvT1_
                                        ; -- End function
	.section	.AMDGPU.csdata,"",@progbits
; Kernel info:
; codeLenInByte = 0
; NumSgprs: 6
; NumVgprs: 0
; NumAgprs: 0
; TotalNumVgprs: 0
; ScratchSize: 0
; MemoryBound: 0
; FloatMode: 240
; IeeeMode: 1
; LDSByteSize: 0 bytes/workgroup (compile time only)
; SGPRBlocks: 0
; VGPRBlocks: 0
; NumSGPRsForWavesPerEU: 6
; NumVGPRsForWavesPerEU: 1
; AccumOffset: 4
; Occupancy: 8
; WaveLimiterHint : 0
; COMPUTE_PGM_RSRC2:SCRATCH_EN: 0
; COMPUTE_PGM_RSRC2:USER_SGPR: 2
; COMPUTE_PGM_RSRC2:TRAP_HANDLER: 0
; COMPUTE_PGM_RSRC2:TGID_X_EN: 1
; COMPUTE_PGM_RSRC2:TGID_Y_EN: 0
; COMPUTE_PGM_RSRC2:TGID_Z_EN: 0
; COMPUTE_PGM_RSRC2:TIDIG_COMP_CNT: 0
; COMPUTE_PGM_RSRC3_GFX90A:ACCUM_OFFSET: 0
; COMPUTE_PGM_RSRC3_GFX90A:TG_SPLIT: 0
	.section	.text._ZN7rocprim17ROCPRIM_400000_NS6detail17trampoline_kernelINS0_14default_configENS1_27scan_by_key_config_selectorIssEEZZNS1_16scan_by_key_implILNS1_25lookback_scan_determinismE0ELb0ES3_N6thrust23THRUST_200600_302600_NS6detail15normal_iteratorINS9_10device_ptrIsEEEENS9_18transform_iteratorINS9_6negateIsEESE_NS9_11use_defaultESI_EESE_sNS9_4plusIvEENS9_8equal_toIvEEsEE10hipError_tPvRmT2_T3_T4_T5_mT6_T7_P12ihipStream_tbENKUlT_T0_E_clISt17integral_constantIbLb1EES13_IbLb0EEEEDaSZ_S10_EUlSZ_E_NS1_11comp_targetILNS1_3genE5ELNS1_11target_archE942ELNS1_3gpuE9ELNS1_3repE0EEENS1_30default_config_static_selectorELNS0_4arch9wavefront6targetE1EEEvT1_,"axG",@progbits,_ZN7rocprim17ROCPRIM_400000_NS6detail17trampoline_kernelINS0_14default_configENS1_27scan_by_key_config_selectorIssEEZZNS1_16scan_by_key_implILNS1_25lookback_scan_determinismE0ELb0ES3_N6thrust23THRUST_200600_302600_NS6detail15normal_iteratorINS9_10device_ptrIsEEEENS9_18transform_iteratorINS9_6negateIsEESE_NS9_11use_defaultESI_EESE_sNS9_4plusIvEENS9_8equal_toIvEEsEE10hipError_tPvRmT2_T3_T4_T5_mT6_T7_P12ihipStream_tbENKUlT_T0_E_clISt17integral_constantIbLb1EES13_IbLb0EEEEDaSZ_S10_EUlSZ_E_NS1_11comp_targetILNS1_3genE5ELNS1_11target_archE942ELNS1_3gpuE9ELNS1_3repE0EEENS1_30default_config_static_selectorELNS0_4arch9wavefront6targetE1EEEvT1_,comdat
	.protected	_ZN7rocprim17ROCPRIM_400000_NS6detail17trampoline_kernelINS0_14default_configENS1_27scan_by_key_config_selectorIssEEZZNS1_16scan_by_key_implILNS1_25lookback_scan_determinismE0ELb0ES3_N6thrust23THRUST_200600_302600_NS6detail15normal_iteratorINS9_10device_ptrIsEEEENS9_18transform_iteratorINS9_6negateIsEESE_NS9_11use_defaultESI_EESE_sNS9_4plusIvEENS9_8equal_toIvEEsEE10hipError_tPvRmT2_T3_T4_T5_mT6_T7_P12ihipStream_tbENKUlT_T0_E_clISt17integral_constantIbLb1EES13_IbLb0EEEEDaSZ_S10_EUlSZ_E_NS1_11comp_targetILNS1_3genE5ELNS1_11target_archE942ELNS1_3gpuE9ELNS1_3repE0EEENS1_30default_config_static_selectorELNS0_4arch9wavefront6targetE1EEEvT1_ ; -- Begin function _ZN7rocprim17ROCPRIM_400000_NS6detail17trampoline_kernelINS0_14default_configENS1_27scan_by_key_config_selectorIssEEZZNS1_16scan_by_key_implILNS1_25lookback_scan_determinismE0ELb0ES3_N6thrust23THRUST_200600_302600_NS6detail15normal_iteratorINS9_10device_ptrIsEEEENS9_18transform_iteratorINS9_6negateIsEESE_NS9_11use_defaultESI_EESE_sNS9_4plusIvEENS9_8equal_toIvEEsEE10hipError_tPvRmT2_T3_T4_T5_mT6_T7_P12ihipStream_tbENKUlT_T0_E_clISt17integral_constantIbLb1EES13_IbLb0EEEEDaSZ_S10_EUlSZ_E_NS1_11comp_targetILNS1_3genE5ELNS1_11target_archE942ELNS1_3gpuE9ELNS1_3repE0EEENS1_30default_config_static_selectorELNS0_4arch9wavefront6targetE1EEEvT1_
	.globl	_ZN7rocprim17ROCPRIM_400000_NS6detail17trampoline_kernelINS0_14default_configENS1_27scan_by_key_config_selectorIssEEZZNS1_16scan_by_key_implILNS1_25lookback_scan_determinismE0ELb0ES3_N6thrust23THRUST_200600_302600_NS6detail15normal_iteratorINS9_10device_ptrIsEEEENS9_18transform_iteratorINS9_6negateIsEESE_NS9_11use_defaultESI_EESE_sNS9_4plusIvEENS9_8equal_toIvEEsEE10hipError_tPvRmT2_T3_T4_T5_mT6_T7_P12ihipStream_tbENKUlT_T0_E_clISt17integral_constantIbLb1EES13_IbLb0EEEEDaSZ_S10_EUlSZ_E_NS1_11comp_targetILNS1_3genE5ELNS1_11target_archE942ELNS1_3gpuE9ELNS1_3repE0EEENS1_30default_config_static_selectorELNS0_4arch9wavefront6targetE1EEEvT1_
	.p2align	8
	.type	_ZN7rocprim17ROCPRIM_400000_NS6detail17trampoline_kernelINS0_14default_configENS1_27scan_by_key_config_selectorIssEEZZNS1_16scan_by_key_implILNS1_25lookback_scan_determinismE0ELb0ES3_N6thrust23THRUST_200600_302600_NS6detail15normal_iteratorINS9_10device_ptrIsEEEENS9_18transform_iteratorINS9_6negateIsEESE_NS9_11use_defaultESI_EESE_sNS9_4plusIvEENS9_8equal_toIvEEsEE10hipError_tPvRmT2_T3_T4_T5_mT6_T7_P12ihipStream_tbENKUlT_T0_E_clISt17integral_constantIbLb1EES13_IbLb0EEEEDaSZ_S10_EUlSZ_E_NS1_11comp_targetILNS1_3genE5ELNS1_11target_archE942ELNS1_3gpuE9ELNS1_3repE0EEENS1_30default_config_static_selectorELNS0_4arch9wavefront6targetE1EEEvT1_,@function
_ZN7rocprim17ROCPRIM_400000_NS6detail17trampoline_kernelINS0_14default_configENS1_27scan_by_key_config_selectorIssEEZZNS1_16scan_by_key_implILNS1_25lookback_scan_determinismE0ELb0ES3_N6thrust23THRUST_200600_302600_NS6detail15normal_iteratorINS9_10device_ptrIsEEEENS9_18transform_iteratorINS9_6negateIsEESE_NS9_11use_defaultESI_EESE_sNS9_4plusIvEENS9_8equal_toIvEEsEE10hipError_tPvRmT2_T3_T4_T5_mT6_T7_P12ihipStream_tbENKUlT_T0_E_clISt17integral_constantIbLb1EES13_IbLb0EEEEDaSZ_S10_EUlSZ_E_NS1_11comp_targetILNS1_3genE5ELNS1_11target_archE942ELNS1_3gpuE9ELNS1_3repE0EEENS1_30default_config_static_selectorELNS0_4arch9wavefront6targetE1EEEvT1_: ; @_ZN7rocprim17ROCPRIM_400000_NS6detail17trampoline_kernelINS0_14default_configENS1_27scan_by_key_config_selectorIssEEZZNS1_16scan_by_key_implILNS1_25lookback_scan_determinismE0ELb0ES3_N6thrust23THRUST_200600_302600_NS6detail15normal_iteratorINS9_10device_ptrIsEEEENS9_18transform_iteratorINS9_6negateIsEESE_NS9_11use_defaultESI_EESE_sNS9_4plusIvEENS9_8equal_toIvEEsEE10hipError_tPvRmT2_T3_T4_T5_mT6_T7_P12ihipStream_tbENKUlT_T0_E_clISt17integral_constantIbLb1EES13_IbLb0EEEEDaSZ_S10_EUlSZ_E_NS1_11comp_targetILNS1_3genE5ELNS1_11target_archE942ELNS1_3gpuE9ELNS1_3repE0EEENS1_30default_config_static_selectorELNS0_4arch9wavefront6targetE1EEEvT1_
; %bb.0:
	s_load_dwordx4 s[4:7], s[0:1], 0x0
	s_load_dwordx2 s[8:9], s[0:1], 0x10
	s_load_dwordx4 s[64:67], s[0:1], 0x30
	s_load_dwordx2 s[70:71], s[0:1], 0x40
	s_load_dword s3, s[0:1], 0x48
	s_load_dwordx8 s[56:63], s[0:1], 0x50
	s_waitcnt lgkmcnt(0)
	s_lshl_b64 s[68:69], s[6:7], 1
	s_add_u32 s6, s4, s68
	s_addc_u32 s7, s5, s69
	s_add_u32 s8, s8, s68
	s_mul_i32 s4, s71, s3
	s_mul_hi_u32 s5, s70, s3
	s_addc_u32 s9, s9, s69
	s_add_i32 s10, s5, s4
	s_cmp_lg_u64 s[60:61], 0
	s_mul_i32 s4, s2, 0x1800
	s_mov_b32 s5, 0
	s_cselect_b64 s[76:77], -1, 0
	s_lshl_b64 s[60:61], s[4:5], 1
	s_add_u32 s74, s6, s60
	s_addc_u32 s75, s7, s61
	s_add_u32 s72, s8, s60
	s_mul_i32 s3, s70, s3
	s_addc_u32 s73, s9, s61
	s_add_u32 s78, s3, s2
	s_addc_u32 s79, s10, 0
	s_add_u32 s4, s56, -1
	s_addc_u32 s5, s57, -1
	v_mov_b64_e32 v[2:3], s[4:5]
	v_cmp_ge_u64_e64 s[54:55], s[78:79], v[2:3]
	s_mov_b64 s[12:13], 0
	s_mov_b64 s[6:7], -1
	s_and_b64 vcc, exec, s[54:55]
	s_mul_i32 s33, s4, 0xffffe800
	s_barrier
	s_cbranch_vccz .LBB985_127
; %bb.1:
	v_mov_b64_e32 v[2:3], s[74:75]
	flat_load_ushort v10, v[2:3]
	s_add_i32 s3, s33, s66
	v_cmp_gt_u32_e64 s[4:5], s3, v0
	s_waitcnt vmcnt(0) lgkmcnt(0)
	v_mov_b32_e32 v18, v10
	s_and_saveexec_b64 s[6:7], s[4:5]
	s_cbranch_execz .LBB985_3
; %bb.2:
	v_lshlrev_b32_e32 v2, 1, v0
	v_mov_b32_e32 v3, 0
	v_lshl_add_u64 v[2:3], s[74:75], 0, v[2:3]
	flat_load_ushort v18, v[2:3]
.LBB985_3:
	s_or_b64 exec, exec, s[6:7]
	v_or_b32_e32 v1, 0x100, v0
	v_cmp_gt_u32_e64 s[6:7], s3, v1
	v_mov_b32_e32 v20, v10
	s_and_saveexec_b64 s[8:9], s[6:7]
	s_cbranch_execz .LBB985_5
; %bb.4:
	v_lshlrev_b32_e32 v2, 1, v0
	v_mov_b32_e32 v3, 0
	v_lshl_add_u64 v[2:3], s[74:75], 0, v[2:3]
	flat_load_ushort v20, v[2:3] offset:512
.LBB985_5:
	s_or_b64 exec, exec, s[8:9]
	v_or_b32_e32 v1, 0x200, v0
	v_cmp_gt_u32_e64 s[8:9], s3, v1
	v_mov_b32_e32 v21, v10
	s_and_saveexec_b64 s[10:11], s[8:9]
	s_cbranch_execz .LBB985_7
; %bb.6:
	v_lshlrev_b32_e32 v2, 1, v0
	v_mov_b32_e32 v3, 0
	v_lshl_add_u64 v[2:3], s[74:75], 0, v[2:3]
	flat_load_ushort v21, v[2:3] offset:1024
.LBB985_7:
	;; [unrolled: 12-line block ×7, first 2 shown]
	s_or_b64 exec, exec, s[20:21]
	v_or_b32_e32 v1, 0x800, v0
	v_cmp_gt_u32_e64 s[20:21], s3, v1
	v_mov_b32_e32 v27, v10
	s_and_saveexec_b64 s[22:23], s[20:21]
	s_cbranch_execz .LBB985_19
; %bb.18:
	v_lshlrev_b32_e32 v2, 1, v1
	v_mov_b32_e32 v3, 0
	v_lshl_add_u64 v[2:3], s[74:75], 0, v[2:3]
	flat_load_ushort v27, v[2:3]
.LBB985_19:
	s_or_b64 exec, exec, s[22:23]
	v_or_b32_e32 v2, 0x900, v0
	v_cmp_gt_u32_e64 s[22:23], s3, v2
	v_mov_b32_e32 v28, v10
	s_and_saveexec_b64 s[24:25], s[22:23]
	s_cbranch_execz .LBB985_21
; %bb.20:
	v_lshlrev_b32_e32 v4, 1, v2
	v_mov_b32_e32 v5, 0
	v_lshl_add_u64 v[4:5], s[74:75], 0, v[4:5]
	flat_load_ushort v28, v[4:5]
.LBB985_21:
	;; [unrolled: 12-line block ×15, first 2 shown]
	s_or_b64 exec, exec, s[52:53]
	v_or_b32_e32 v19, 0x1700, v0
	v_cmp_gt_u32_e64 s[52:53], s3, v19
	s_and_saveexec_b64 s[56:57], s[52:53]
	s_cbranch_execz .LBB985_49
; %bb.48:
	v_lshlrev_b32_e32 v42, 1, v19
	v_mov_b32_e32 v43, 0
	v_lshl_add_u64 v[42:43], s[74:75], 0, v[42:43]
	flat_load_ushort v10, v[42:43]
.LBB985_49:
	s_or_b64 exec, exec, s[56:57]
	v_lshlrev_b32_e32 v15, 1, v0
	s_waitcnt vmcnt(0) lgkmcnt(0)
	ds_write_b16 v15, v18
	ds_write_b16 v15, v20 offset:512
	ds_write_b16 v15, v21 offset:1024
	;; [unrolled: 1-line block ×23, first 2 shown]
	v_mad_u32_u24 v40, v0, 46, v15
	s_waitcnt lgkmcnt(0)
	s_barrier
	ds_read_b128 v[30:33], v40
	ds_read_b128 v[26:29], v40 offset:16
	ds_read_b128 v[22:25], v40 offset:32
	s_cmp_eq_u64 s[78:79], 0
	s_mov_b64 s[56:57], s[74:75]
	s_cbranch_scc1 .LBB985_53
; %bb.50:
	s_andn2_b64 vcc, exec, s[76:77]
	s_cbranch_vccnz .LBB985_319
; %bb.51:
	s_lshl_b64 s[56:57], s[78:79], 1
	s_add_u32 s56, s62, s56
	s_addc_u32 s57, s63, s57
	s_add_u32 s56, s56, -2
	s_addc_u32 s57, s57, -1
	s_cbranch_execnz .LBB985_53
.LBB985_52:
	s_add_u32 s56, s74, -2
	s_addc_u32 s57, s75, -1
.LBB985_53:
	v_mov_b64_e32 v[20:21], s[56:57]
	flat_load_ushort v34, v[20:21]
	s_movk_i32 s56, 0xffd2
	s_waitcnt lgkmcnt(0)
	v_lshrrev_b32_e32 v42, 16, v25
	v_mad_i32_i24 v10, v0, s56, v40
	v_cmp_ne_u32_e32 vcc, 0, v0
	ds_write_b16 v10, v42 offset:12288
	s_waitcnt lgkmcnt(0)
	s_barrier
	s_and_saveexec_b64 s[56:57], vcc
	s_cbranch_execz .LBB985_55
; %bb.54:
	v_mul_i32_i24_e32 v10, 0xffffffd2, v0
	v_add_u32_e32 v10, v40, v10
	s_waitcnt vmcnt(0)
	ds_read_u16 v34, v10 offset:12286
.LBB985_55:
	s_or_b64 exec, exec, s[56:57]
	s_waitcnt lgkmcnt(0)
	s_barrier
	s_waitcnt lgkmcnt(0)
                                        ; implicit-def: $vgpr10
	s_and_saveexec_b64 s[56:57], s[4:5]
	s_cbranch_execnz .LBB985_296
; %bb.56:
	s_or_b64 exec, exec, s[56:57]
                                        ; implicit-def: $vgpr18
	s_and_saveexec_b64 s[4:5], s[6:7]
	s_cbranch_execnz .LBB985_297
.LBB985_57:
	s_or_b64 exec, exec, s[4:5]
                                        ; implicit-def: $vgpr20
	s_and_saveexec_b64 s[4:5], s[8:9]
	s_cbranch_execnz .LBB985_298
.LBB985_58:
	s_or_b64 exec, exec, s[4:5]
                                        ; implicit-def: $vgpr21
	s_and_saveexec_b64 s[4:5], s[10:11]
	s_cbranch_execnz .LBB985_299
.LBB985_59:
	s_or_b64 exec, exec, s[4:5]
                                        ; implicit-def: $vgpr35
	s_and_saveexec_b64 s[4:5], s[12:13]
	s_cbranch_execnz .LBB985_300
.LBB985_60:
	s_or_b64 exec, exec, s[4:5]
                                        ; implicit-def: $vgpr36
	s_and_saveexec_b64 s[4:5], s[14:15]
	s_cbranch_execnz .LBB985_301
.LBB985_61:
	s_or_b64 exec, exec, s[4:5]
                                        ; implicit-def: $vgpr37
	s_and_saveexec_b64 s[4:5], s[16:17]
	s_cbranch_execnz .LBB985_302
.LBB985_62:
	s_or_b64 exec, exec, s[4:5]
                                        ; implicit-def: $vgpr38
	s_and_saveexec_b64 s[4:5], s[18:19]
	s_cbranch_execnz .LBB985_303
.LBB985_63:
	s_or_b64 exec, exec, s[4:5]
                                        ; implicit-def: $vgpr39
	s_and_saveexec_b64 s[4:5], s[20:21]
	s_cbranch_execnz .LBB985_304
.LBB985_64:
	s_or_b64 exec, exec, s[4:5]
                                        ; implicit-def: $vgpr1
	s_and_saveexec_b64 s[4:5], s[22:23]
	s_cbranch_execnz .LBB985_305
.LBB985_65:
	s_or_b64 exec, exec, s[4:5]
                                        ; implicit-def: $vgpr2
	s_and_saveexec_b64 s[4:5], s[24:25]
	s_cbranch_execnz .LBB985_306
.LBB985_66:
	s_or_b64 exec, exec, s[4:5]
                                        ; implicit-def: $vgpr3
	s_and_saveexec_b64 s[4:5], s[26:27]
	s_cbranch_execnz .LBB985_307
.LBB985_67:
	s_or_b64 exec, exec, s[4:5]
                                        ; implicit-def: $vgpr4
	s_and_saveexec_b64 s[4:5], s[28:29]
	s_cbranch_execnz .LBB985_308
.LBB985_68:
	s_or_b64 exec, exec, s[4:5]
                                        ; implicit-def: $vgpr5
	s_and_saveexec_b64 s[4:5], s[30:31]
	s_cbranch_execnz .LBB985_309
.LBB985_69:
	s_or_b64 exec, exec, s[4:5]
                                        ; implicit-def: $vgpr6
	s_and_saveexec_b64 s[4:5], s[34:35]
	s_cbranch_execnz .LBB985_310
.LBB985_70:
	s_or_b64 exec, exec, s[4:5]
                                        ; implicit-def: $vgpr7
	s_and_saveexec_b64 s[4:5], s[36:37]
	s_cbranch_execnz .LBB985_311
.LBB985_71:
	s_or_b64 exec, exec, s[4:5]
                                        ; implicit-def: $vgpr8
	s_and_saveexec_b64 s[4:5], s[38:39]
	s_cbranch_execnz .LBB985_312
.LBB985_72:
	s_or_b64 exec, exec, s[4:5]
                                        ; implicit-def: $vgpr9
	s_and_saveexec_b64 s[4:5], s[40:41]
	s_cbranch_execnz .LBB985_313
.LBB985_73:
	s_or_b64 exec, exec, s[4:5]
                                        ; implicit-def: $vgpr11
	s_and_saveexec_b64 s[4:5], s[42:43]
	s_cbranch_execnz .LBB985_314
.LBB985_74:
	s_or_b64 exec, exec, s[4:5]
                                        ; implicit-def: $vgpr12
	s_and_saveexec_b64 s[4:5], s[44:45]
	s_cbranch_execnz .LBB985_315
.LBB985_75:
	s_or_b64 exec, exec, s[4:5]
                                        ; implicit-def: $vgpr13
	s_and_saveexec_b64 s[4:5], s[46:47]
	s_cbranch_execnz .LBB985_316
.LBB985_76:
	s_or_b64 exec, exec, s[4:5]
                                        ; implicit-def: $vgpr14
	s_and_saveexec_b64 s[4:5], s[48:49]
	s_cbranch_execnz .LBB985_317
.LBB985_77:
	s_or_b64 exec, exec, s[4:5]
                                        ; implicit-def: $vgpr16
	s_and_saveexec_b64 s[4:5], s[50:51]
	s_cbranch_execnz .LBB985_318
.LBB985_78:
	s_or_b64 exec, exec, s[4:5]
                                        ; implicit-def: $vgpr17
	s_and_saveexec_b64 s[4:5], s[52:53]
	s_cbranch_execz .LBB985_80
.LBB985_79:
	v_lshlrev_b32_e32 v17, 1, v19
	global_load_ushort v17, v17, s[72:73]
	s_waitcnt vmcnt(0)
	v_sub_u16_e32 v17, 0, v17
.LBB985_80:
	s_or_b64 exec, exec, s[4:5]
	s_mov_b32 s8, 0
	s_mov_b32 s9, s8
	ds_write_b16 v15, v10
	ds_write_b16 v15, v18 offset:512
	ds_write_b16 v15, v20 offset:1024
	;; [unrolled: 1-line block ×23, first 2 shown]
	s_mov_b32 s10, s8
	s_mov_b32 s11, s8
	;; [unrolled: 1-line block ×6, first 2 shown]
	v_mov_b64_e32 v[2:3], s[8:9]
	s_mov_b32 s18, s8
	s_mov_b32 s19, s8
	v_mov_b64_e32 v[8:9], s[14:15]
	v_mul_u32_u24_e32 v43, 24, v0
	s_mov_b32 s16, s8
	s_mov_b32 s17, s8
	v_mov_b64_e32 v[20:21], s[18:19]
	v_mov_b64_e32 v[4:5], s[10:11]
	;; [unrolled: 1-line block ×4, first 2 shown]
	v_cmp_gt_u32_e32 vcc, s3, v43
	s_mov_b64 s[6:7], 0
	v_mov_b64_e32 v[18:19], s[16:17]
	v_mov_b32_e32 v1, 0
	s_mov_b64 s[12:13], 0
	v_mov_b64_e32 v[14:15], v[6:7]
	v_mov_b64_e32 v[12:13], v[4:5]
	;; [unrolled: 1-line block ×3, first 2 shown]
	v_mov_b32_e32 v38, 0
	v_mov_b32_e32 v39, 0
	s_waitcnt lgkmcnt(0)
	s_barrier
	s_waitcnt lgkmcnt(0)
                                        ; implicit-def: $sgpr4_sgpr5
                                        ; implicit-def: $vgpr41
	s_and_saveexec_b64 s[10:11], vcc
	s_cbranch_execz .LBB985_126
; %bb.81:
	ds_read_u16 v1, v40
	s_waitcnt vmcnt(0)
	v_cmp_ne_u16_e32 vcc, v34, v30
	s_mov_b32 s12, 0
	v_or_b32_e32 v2, 1, v43
	v_cndmask_b32_e64 v3, 0, 1, vcc
	s_mov_b32 s13, s12
	v_cmp_gt_u32_e32 vcc, s3, v2
	s_waitcnt lgkmcnt(0)
	v_lshl_or_b32 v1, v3, 16, v1
	s_mov_b32 s14, s12
	s_mov_b32 s15, s12
	;; [unrolled: 1-line block ×6, first 2 shown]
	v_mov_b64_e32 v[2:3], s[12:13]
	s_mov_b32 s24, s12
	s_mov_b32 s25, s12
	v_mov_b64_e32 v[8:9], s[18:19]
	s_mov_b32 s26, s12
	s_mov_b32 s27, s12
	v_mov_b64_e32 v[18:19], s[24:25]
	v_mov_b64_e32 v[4:5], s[14:15]
	;; [unrolled: 1-line block ×4, first 2 shown]
	s_mov_b64 s[22:23], 0
	v_mov_b64_e32 v[20:21], s[26:27]
	v_mov_b32_e32 v38, 0
	v_mov_b64_e32 v[14:15], v[6:7]
	v_mov_b64_e32 v[12:13], v[4:5]
	;; [unrolled: 1-line block ×3, first 2 shown]
	v_mov_b32_e32 v39, 0
                                        ; implicit-def: $sgpr24_sgpr25
                                        ; implicit-def: $vgpr41
	s_and_saveexec_b64 s[20:21], vcc
	s_cbranch_execz .LBB985_125
; %bb.82:
	ds_read_b128 v[34:37], v40 offset:2
	v_or_b32_e32 v2, 2, v43
	v_cmp_ne_u16_sdwa s[4:5], v30, v30 src0_sel:DWORD src1_sel:WORD_1
	v_cmp_gt_u32_e32 vcc, s3, v2
	v_mov_b32_e32 v19, 0
	v_cndmask_b32_e64 v3, 0, 1, s[4:5]
	s_waitcnt lgkmcnt(0)
	v_and_b32_e32 v2, 0xffff, v34
	v_lshl_or_b32 v18, v3, 16, v2
	v_mov_b64_e32 v[2:3], s[12:13]
	v_mov_b64_e32 v[8:9], s[18:19]
	;; [unrolled: 1-line block ×5, first 2 shown]
	v_mov_b32_e32 v20, v19
	v_mov_b32_e32 v21, v19
	s_mov_b64 s[4:5], 0
	v_mov_b64_e32 v[14:15], v[6:7]
	v_mov_b64_e32 v[12:13], v[4:5]
	;; [unrolled: 1-line block ×3, first 2 shown]
	v_mov_b32_e32 v38, v19
	v_mov_b32_e32 v39, v19
                                        ; implicit-def: $sgpr12_sgpr13
                                        ; implicit-def: $vgpr41
	s_and_saveexec_b64 s[22:23], vcc
	s_cbranch_execz .LBB985_124
; %bb.83:
	v_cmp_ne_u16_sdwa s[4:5], v30, v31 src0_sel:WORD_1 src1_sel:DWORD
	s_mov_b32 s12, 0
	v_or_b32_e32 v2, 3, v43
	v_cndmask_b32_e64 v3, 0, 1, s[4:5]
	s_mov_b32 s13, s12
	v_alignbit_b32 v19, v3, v34, 16
	v_cmp_gt_u32_e32 vcc, s3, v2
	s_mov_b32 s14, s12
	s_mov_b32 s15, s12
	;; [unrolled: 1-line block ×6, first 2 shown]
	v_mov_b64_e32 v[2:3], s[12:13]
	v_mov_b64_e32 v[8:9], s[18:19]
	v_mov_b32_e32 v20, 0
	v_mov_b64_e32 v[4:5], s[14:15]
	v_mov_b64_e32 v[6:7], s[16:17]
	;; [unrolled: 1-line block ×3, first 2 shown]
	v_mov_b32_e32 v21, v20
	s_mov_b64 s[4:5], 0
	v_mov_b64_e32 v[14:15], v[6:7]
	v_mov_b64_e32 v[12:13], v[4:5]
	;; [unrolled: 1-line block ×3, first 2 shown]
	v_mov_b32_e32 v38, v20
	v_mov_b32_e32 v39, v20
                                        ; implicit-def: $sgpr26_sgpr27
                                        ; implicit-def: $vgpr41
	s_and_saveexec_b64 s[24:25], vcc
	s_cbranch_execz .LBB985_123
; %bb.84:
	v_cmp_ne_u16_sdwa s[4:5], v31, v31 src0_sel:DWORD src1_sel:WORD_1
	v_and_b32_e32 v2, 0xffff, v35
	v_or_b32_e32 v3, 4, v43
	v_cndmask_b32_e64 v4, 0, 1, s[4:5]
	v_lshl_or_b32 v20, v4, 16, v2
	v_cmp_gt_u32_e32 vcc, s3, v3
	v_mov_b64_e32 v[2:3], s[12:13]
	v_mov_b64_e32 v[8:9], s[18:19]
	;; [unrolled: 1-line block ×5, first 2 shown]
	v_mov_b32_e32 v21, s12
	s_mov_b64 s[4:5], 0
	v_mov_b32_e32 v38, 0
	v_mov_b64_e32 v[14:15], v[6:7]
	v_mov_b64_e32 v[12:13], v[4:5]
	;; [unrolled: 1-line block ×3, first 2 shown]
	v_mov_b32_e32 v39, 0
                                        ; implicit-def: $sgpr12_sgpr13
                                        ; implicit-def: $vgpr41
	s_and_saveexec_b64 s[26:27], vcc
	s_cbranch_execz .LBB985_122
; %bb.85:
	v_cmp_ne_u16_sdwa s[4:5], v31, v32 src0_sel:WORD_1 src1_sel:DWORD
	s_mov_b32 s12, 0
	v_or_b32_e32 v2, 5, v43
	v_cndmask_b32_e64 v3, 0, 1, s[4:5]
	s_mov_b32 s13, s12
	v_alignbit_b32 v21, v3, v35, 16
	v_cmp_gt_u32_e32 vcc, s3, v2
	s_mov_b32 s14, s12
	s_mov_b32 s15, s12
	;; [unrolled: 1-line block ×6, first 2 shown]
	v_mov_b64_e32 v[2:3], s[12:13]
	v_mov_b64_e32 v[8:9], s[18:19]
	;; [unrolled: 1-line block ×5, first 2 shown]
	s_mov_b64 s[4:5], 0
	v_mov_b32_e32 v38, 0
	v_mov_b64_e32 v[14:15], v[6:7]
	v_mov_b64_e32 v[12:13], v[4:5]
	;; [unrolled: 1-line block ×3, first 2 shown]
	v_mov_b32_e32 v39, 0
                                        ; implicit-def: $sgpr30_sgpr31
                                        ; implicit-def: $vgpr41
	s_and_saveexec_b64 s[28:29], vcc
	s_cbranch_execz .LBB985_121
; %bb.86:
	v_cmp_ne_u16_sdwa s[4:5], v32, v32 src0_sel:DWORD src1_sel:WORD_1
	v_and_b32_e32 v2, 0xffff, v36
	v_or_b32_e32 v3, 6, v43
	v_cndmask_b32_e64 v4, 0, 1, s[4:5]
	v_lshl_or_b32 v38, v4, 16, v2
	v_cmp_gt_u32_e32 vcc, s3, v3
	v_mov_b64_e32 v[2:3], s[12:13]
	v_mov_b64_e32 v[8:9], s[18:19]
	;; [unrolled: 1-line block ×5, first 2 shown]
	s_mov_b64 s[4:5], 0
	v_mov_b32_e32 v39, 0
	v_mov_b64_e32 v[14:15], v[6:7]
	v_mov_b64_e32 v[12:13], v[4:5]
	;; [unrolled: 1-line block ×3, first 2 shown]
                                        ; implicit-def: $sgpr12_sgpr13
                                        ; implicit-def: $vgpr41
	s_and_saveexec_b64 s[30:31], vcc
	s_cbranch_execz .LBB985_120
; %bb.87:
	s_mov_b32 s12, 0
	v_or_b32_e32 v3, 7, v43
	v_cmp_ne_u16_sdwa s[4:5], v32, v33 src0_sel:WORD_1 src1_sel:DWORD
	s_mov_b32 s13, s12
	v_cmp_gt_u32_e32 vcc, s3, v3
	v_cndmask_b32_e64 v2, 0, 1, s[4:5]
	v_mov_b32_e32 v3, 0
	s_mov_b32 s14, s12
	s_mov_b32 s15, s12
	;; [unrolled: 1-line block ×6, first 2 shown]
	v_mov_b64_e32 v[10:11], s[12:13]
	v_alignbit_b32 v2, v2, v36, 16
	v_mov_b32_e32 v4, v3
	v_mov_b32_e32 v5, v3
	;; [unrolled: 1-line block ×6, first 2 shown]
	s_mov_b64 s[4:5], 0
	v_mov_b64_e32 v[12:13], s[14:15]
	v_mov_b64_e32 v[14:15], s[16:17]
	;; [unrolled: 1-line block ×3, first 2 shown]
	v_mov_b32_e32 v39, v3
                                        ; implicit-def: $sgpr36_sgpr37
                                        ; implicit-def: $vgpr41
	s_and_saveexec_b64 s[34:35], vcc
	s_cbranch_execz .LBB985_119
; %bb.88:
	v_add_u32_e32 v4, 8, v43
	v_cmp_ne_u16_sdwa s[4:5], v33, v33 src0_sel:DWORD src1_sel:WORD_1
	v_and_b32_e32 v3, 0xffff, v37
	v_cmp_gt_u32_e32 vcc, s3, v4
	v_cndmask_b32_e64 v5, 0, 1, s[4:5]
	v_mov_b32_e32 v4, 0
	v_mov_b64_e32 v[10:11], s[12:13]
	v_lshl_or_b32 v3, v5, 16, v3
	v_mov_b32_e32 v5, v4
	v_mov_b32_e32 v6, v4
	;; [unrolled: 1-line block ×5, first 2 shown]
	s_mov_b64 s[4:5], 0
	v_mov_b64_e32 v[12:13], s[14:15]
	v_mov_b64_e32 v[14:15], s[16:17]
	;; [unrolled: 1-line block ×3, first 2 shown]
	v_mov_b32_e32 v39, v4
                                        ; implicit-def: $sgpr12_sgpr13
                                        ; implicit-def: $vgpr41
	s_and_saveexec_b64 s[36:37], vcc
	s_cbranch_execz .LBB985_118
; %bb.89:
	s_mov_b32 s12, 0
	v_add_u32_e32 v5, 9, v43
	v_cmp_ne_u16_sdwa s[4:5], v33, v26 src0_sel:WORD_1 src1_sel:DWORD
	s_mov_b32 s13, s12
	v_cmp_gt_u32_e32 vcc, s3, v5
	v_cndmask_b32_e64 v4, 0, 1, s[4:5]
	v_mov_b32_e32 v5, 0
	s_mov_b32 s14, s12
	s_mov_b32 s15, s12
	s_mov_b32 s16, s12
	s_mov_b32 s17, s12
	s_mov_b32 s18, s12
	s_mov_b32 s19, s12
	v_mov_b64_e32 v[10:11], s[12:13]
	v_alignbit_b32 v4, v4, v37, 16
	v_mov_b32_e32 v6, v5
	v_mov_b32_e32 v7, v5
	;; [unrolled: 1-line block ×4, first 2 shown]
	s_mov_b64 s[4:5], 0
	v_mov_b64_e32 v[12:13], s[14:15]
	v_mov_b64_e32 v[14:15], s[16:17]
	;; [unrolled: 1-line block ×3, first 2 shown]
	v_mov_b32_e32 v39, v5
                                        ; implicit-def: $sgpr40_sgpr41
                                        ; implicit-def: $vgpr41
	s_and_saveexec_b64 s[38:39], vcc
	s_cbranch_execz .LBB985_117
; %bb.90:
	ds_read_b128 v[30:33], v40 offset:18
	v_add_u32_e32 v5, 10, v43
	v_cmp_ne_u16_sdwa s[4:5], v26, v26 src0_sel:DWORD src1_sel:WORD_1
	v_cmp_gt_u32_e32 vcc, s3, v5
	v_mov_b64_e32 v[10:11], s[12:13]
	v_cndmask_b32_e64 v6, 0, 1, s[4:5]
	s_waitcnt lgkmcnt(0)
	v_and_b32_e32 v5, 0xffff, v30
	v_lshl_or_b32 v5, v6, 16, v5
	v_mov_b32_e32 v6, 0
	v_mov_b32_e32 v7, v6
	;; [unrolled: 1-line block ×4, first 2 shown]
	s_mov_b64 s[4:5], 0
	v_mov_b64_e32 v[12:13], s[14:15]
	v_mov_b64_e32 v[14:15], s[16:17]
	;; [unrolled: 1-line block ×3, first 2 shown]
	v_mov_b32_e32 v39, v6
                                        ; implicit-def: $sgpr12_sgpr13
                                        ; implicit-def: $vgpr41
	s_and_saveexec_b64 s[40:41], vcc
	s_cbranch_execz .LBB985_116
; %bb.91:
	s_mov_b32 s12, 0
	v_add_u32_e32 v7, 11, v43
	v_cmp_ne_u16_sdwa s[4:5], v26, v27 src0_sel:WORD_1 src1_sel:DWORD
	s_mov_b32 s13, s12
	v_cmp_gt_u32_e32 vcc, s3, v7
	v_cndmask_b32_e64 v6, 0, 1, s[4:5]
	v_mov_b32_e32 v7, 0
	s_mov_b32 s14, s12
	s_mov_b32 s15, s12
	;; [unrolled: 1-line block ×6, first 2 shown]
	v_mov_b64_e32 v[10:11], s[12:13]
	v_alignbit_b32 v6, v6, v30, 16
	v_mov_b32_e32 v8, v7
	v_mov_b32_e32 v9, v7
	s_mov_b64 s[4:5], 0
	v_mov_b64_e32 v[12:13], s[14:15]
	v_mov_b64_e32 v[14:15], s[16:17]
	;; [unrolled: 1-line block ×3, first 2 shown]
	v_mov_b32_e32 v39, v7
                                        ; implicit-def: $sgpr44_sgpr45
                                        ; implicit-def: $vgpr41
	s_and_saveexec_b64 s[42:43], vcc
	s_cbranch_execz .LBB985_115
; %bb.92:
	v_add_u32_e32 v8, 12, v43
	v_cmp_ne_u16_sdwa s[4:5], v27, v27 src0_sel:DWORD src1_sel:WORD_1
	v_and_b32_e32 v7, 0xffff, v31
	v_cmp_gt_u32_e32 vcc, s3, v8
	v_cndmask_b32_e64 v9, 0, 1, s[4:5]
	v_mov_b32_e32 v8, 0
	v_mov_b64_e32 v[10:11], s[12:13]
	v_lshl_or_b32 v7, v9, 16, v7
	v_mov_b32_e32 v9, v8
	s_mov_b64 s[4:5], 0
	v_mov_b64_e32 v[12:13], s[14:15]
	v_mov_b64_e32 v[14:15], s[16:17]
	;; [unrolled: 1-line block ×3, first 2 shown]
	v_mov_b32_e32 v39, v8
                                        ; implicit-def: $sgpr12_sgpr13
                                        ; implicit-def: $vgpr41
	s_and_saveexec_b64 s[44:45], vcc
	s_cbranch_execz .LBB985_114
; %bb.93:
	s_mov_b32 s12, 0
	v_cmp_ne_u16_sdwa s[4:5], v27, v28 src0_sel:WORD_1 src1_sel:DWORD
	s_mov_b32 s13, s12
	v_add_u32_e32 v9, 13, v43
	v_cndmask_b32_e64 v8, 0, 1, s[4:5]
	s_mov_b32 s14, s12
	s_mov_b32 s15, s12
	;; [unrolled: 1-line block ×6, first 2 shown]
	v_mov_b64_e32 v[10:11], s[12:13]
	v_alignbit_b32 v8, v8, v31, 16
	v_cmp_gt_u32_e32 vcc, s3, v9
	v_mov_b32_e32 v9, s12
	s_mov_b64 s[4:5], 0
	v_mov_b64_e32 v[12:13], s[14:15]
	v_mov_b64_e32 v[14:15], s[16:17]
	;; [unrolled: 1-line block ×3, first 2 shown]
	v_mov_b32_e32 v39, 0
                                        ; implicit-def: $sgpr48_sgpr49
                                        ; implicit-def: $vgpr41
	s_and_saveexec_b64 s[46:47], vcc
	s_cbranch_execz .LBB985_113
; %bb.94:
	v_cmp_ne_u16_sdwa s[4:5], v28, v28 src0_sel:DWORD src1_sel:WORD_1
	v_and_b32_e32 v9, 0xffff, v32
	v_add_u32_e32 v10, 14, v43
	v_cndmask_b32_e64 v11, 0, 1, s[4:5]
	v_lshl_or_b32 v9, v11, 16, v9
	v_cmp_gt_u32_e32 vcc, s3, v10
	v_mov_b64_e32 v[10:11], s[12:13]
	s_mov_b64 s[4:5], 0
	v_mov_b64_e32 v[12:13], s[14:15]
	v_mov_b64_e32 v[14:15], s[16:17]
	;; [unrolled: 1-line block ×3, first 2 shown]
	v_mov_b32_e32 v39, 0
                                        ; implicit-def: $sgpr14_sgpr15
                                        ; implicit-def: $vgpr41
	s_and_saveexec_b64 s[12:13], vcc
	s_cbranch_execz .LBB985_112
; %bb.95:
	v_cmp_ne_u16_sdwa s[4:5], v28, v29 src0_sel:WORD_1 src1_sel:DWORD
	s_mov_b32 s80, 0
	v_add_u32_e32 v10, 15, v43
	v_cndmask_b32_e64 v11, 0, 1, s[4:5]
	s_mov_b32 s81, s80
	v_alignbit_b32 v39, v11, v32, 16
	v_cmp_gt_u32_e32 vcc, s3, v10
	s_mov_b32 s82, s80
	s_mov_b32 s83, s80
	;; [unrolled: 1-line block ×6, first 2 shown]
	v_mov_b64_e32 v[10:11], s[80:81]
	s_mov_b64 s[4:5], 0
	v_mov_b64_e32 v[12:13], s[82:83]
	v_mov_b64_e32 v[14:15], s[84:85]
	;; [unrolled: 1-line block ×3, first 2 shown]
                                        ; implicit-def: $sgpr16_sgpr17
                                        ; implicit-def: $vgpr41
	s_and_saveexec_b64 s[14:15], vcc
	s_cbranch_execz .LBB985_111
; %bb.96:
	v_cmp_ne_u16_sdwa s[4:5], v29, v29 src0_sel:DWORD src1_sel:WORD_1
	v_and_b32_e32 v10, 0xffff, v33
	v_add_u32_e32 v11, 16, v43
	v_cndmask_b32_e64 v12, 0, 1, s[4:5]
	v_lshl_or_b32 v10, v12, 16, v10
	v_mov_b32_e32 v12, 0
	v_cmp_gt_u32_e32 vcc, s3, v11
	v_mov_b32_e32 v11, v12
	v_mov_b32_e32 v13, v12
	;; [unrolled: 1-line block ×6, first 2 shown]
	s_mov_b64 s[4:5], 0
                                        ; implicit-def: $sgpr18_sgpr19
                                        ; implicit-def: $vgpr41
	s_and_saveexec_b64 s[16:17], vcc
	s_cbranch_execz .LBB985_110
; %bb.97:
	v_cmp_ne_u16_sdwa s[4:5], v29, v22 src0_sel:WORD_1 src1_sel:DWORD
	v_add_u32_e32 v13, 17, v43
	v_cmp_gt_u32_e32 vcc, s3, v13
	v_cndmask_b32_e64 v11, 0, 1, s[4:5]
	v_alignbit_b32 v11, v11, v33, 16
	v_mov_b32_e32 v13, v12
	v_mov_b32_e32 v14, v12
	;; [unrolled: 1-line block ×5, first 2 shown]
	s_mov_b64 s[4:5], 0
                                        ; implicit-def: $sgpr48_sgpr49
                                        ; implicit-def: $vgpr41
	s_and_saveexec_b64 s[18:19], vcc
	s_cbranch_execz .LBB985_109
; %bb.98:
	ds_read_b96 v[26:28], v40 offset:34
	v_add_u32_e32 v12, 18, v43
	v_cmp_ne_u16_sdwa s[4:5], v22, v22 src0_sel:DWORD src1_sel:WORD_1
	v_cmp_gt_u32_e32 vcc, s3, v12
	v_mov_b32_e32 v14, 0
	v_cndmask_b32_e64 v13, 0, 1, s[4:5]
	s_waitcnt lgkmcnt(0)
	v_and_b32_e32 v12, 0xffff, v26
	v_lshl_or_b32 v12, v13, 16, v12
	v_mov_b32_e32 v13, v14
	v_mov_b32_e32 v15, v14
	v_mov_b32_e32 v16, v14
	v_mov_b32_e32 v17, v14
	s_mov_b64 s[4:5], 0
                                        ; implicit-def: $sgpr50_sgpr51
                                        ; implicit-def: $vgpr41
	s_and_saveexec_b64 s[48:49], vcc
	s_cbranch_execz .LBB985_108
; %bb.99:
	v_cmp_ne_u16_sdwa s[4:5], v22, v23 src0_sel:WORD_1 src1_sel:DWORD
	v_add_u32_e32 v15, 19, v43
	v_cmp_gt_u32_e32 vcc, s3, v15
	v_cndmask_b32_e64 v13, 0, 1, s[4:5]
	v_alignbit_b32 v13, v13, v26, 16
	v_mov_b32_e32 v15, v14
	v_mov_b32_e32 v16, v14
	v_mov_b32_e32 v17, v14
	s_mov_b64 s[4:5], 0
                                        ; implicit-def: $sgpr52_sgpr53
                                        ; implicit-def: $vgpr41
	s_and_saveexec_b64 s[50:51], vcc
	s_cbranch_execz .LBB985_107
; %bb.100:
	v_cmp_ne_u16_sdwa s[4:5], v23, v23 src0_sel:DWORD src1_sel:WORD_1
	v_and_b32_e32 v14, 0xffff, v27
	v_add_u32_e32 v15, 20, v43
	v_cndmask_b32_e64 v16, 0, 1, s[4:5]
	v_lshl_or_b32 v14, v16, 16, v14
	v_mov_b32_e32 v16, 0
	v_cmp_gt_u32_e32 vcc, s3, v15
	v_mov_b32_e32 v15, v16
	v_mov_b32_e32 v17, v16
	s_mov_b64 s[4:5], 0
                                        ; implicit-def: $sgpr56_sgpr57
                                        ; implicit-def: $vgpr41
	s_and_saveexec_b64 s[52:53], vcc
	s_cbranch_execz .LBB985_106
; %bb.101:
	v_cmp_ne_u16_sdwa s[4:5], v23, v24 src0_sel:WORD_1 src1_sel:DWORD
	v_add_u32_e32 v17, 21, v43
	v_cmp_gt_u32_e32 vcc, s3, v17
	v_cndmask_b32_e64 v15, 0, 1, s[4:5]
	v_alignbit_b32 v15, v15, v27, 16
	s_mov_b32 s9, 0
	v_mov_b32_e32 v17, v16
	s_mov_b64 s[4:5], 0
                                        ; implicit-def: $sgpr80_sgpr81
                                        ; implicit-def: $vgpr41
	s_and_saveexec_b64 s[56:57], vcc
	s_cbranch_execz .LBB985_105
; %bb.102:
	v_cmp_ne_u16_sdwa s[4:5], v24, v24 src0_sel:DWORD src1_sel:WORD_1
	v_and_b32_e32 v16, 0xffff, v28
	v_add_u32_e32 v17, 22, v43
	v_cndmask_b32_e64 v22, 0, 1, s[4:5]
	v_lshl_or_b32 v16, v22, 16, v16
	v_cmp_gt_u32_e32 vcc, s3, v17
	v_mov_b32_e32 v17, s9
	s_mov_b64 s[4:5], 0
                                        ; implicit-def: $sgpr80_sgpr81
                                        ; implicit-def: $vgpr41
	s_and_saveexec_b64 s[82:83], vcc
	s_xor_b64 s[82:83], exec, s[82:83]
	s_cbranch_execz .LBB985_104
; %bb.103:
	ds_read_u16 v41, v40 offset:46
	v_add_u32_e32 v22, 23, v43
	v_cmp_ne_u16_sdwa s[4:5], v24, v25 src0_sel:WORD_1 src1_sel:DWORD
	v_cmp_ne_u16_e32 vcc, v25, v42
	s_and_b64 s[80:81], vcc, exec
	v_cndmask_b32_e64 v17, 0, 1, s[4:5]
	v_cmp_gt_u32_e64 s[4:5], s3, v22
	v_alignbit_b32 v17, v17, v28, 16
	s_and_b64 s[4:5], s[4:5], exec
.LBB985_104:
	s_or_b64 exec, exec, s[82:83]
	s_and_b64 s[80:81], s[80:81], exec
	s_and_b64 s[4:5], s[4:5], exec
.LBB985_105:
	s_or_b64 exec, exec, s[56:57]
	s_and_b64 s[56:57], s[80:81], exec
	s_and_b64 s[4:5], s[4:5], exec
.LBB985_106:
	s_or_b64 exec, exec, s[52:53]
	s_and_b64 s[52:53], s[56:57], exec
	s_and_b64 s[4:5], s[4:5], exec
.LBB985_107:
	s_or_b64 exec, exec, s[50:51]
	s_and_b64 s[50:51], s[52:53], exec
	s_and_b64 s[4:5], s[4:5], exec
.LBB985_108:
	s_or_b64 exec, exec, s[48:49]
	s_and_b64 s[48:49], s[50:51], exec
	s_and_b64 s[4:5], s[4:5], exec
.LBB985_109:
	s_or_b64 exec, exec, s[18:19]
	s_and_b64 s[18:19], s[48:49], exec
	s_and_b64 s[4:5], s[4:5], exec
.LBB985_110:
	s_or_b64 exec, exec, s[16:17]
	s_and_b64 s[16:17], s[18:19], exec
	s_and_b64 s[4:5], s[4:5], exec
.LBB985_111:
	s_or_b64 exec, exec, s[14:15]
	s_and_b64 s[14:15], s[16:17], exec
	s_and_b64 s[4:5], s[4:5], exec
.LBB985_112:
	s_or_b64 exec, exec, s[12:13]
	s_and_b64 s[48:49], s[14:15], exec
	s_and_b64 s[4:5], s[4:5], exec
.LBB985_113:
	s_or_b64 exec, exec, s[46:47]
	s_and_b64 s[12:13], s[48:49], exec
	s_and_b64 s[4:5], s[4:5], exec
.LBB985_114:
	s_or_b64 exec, exec, s[44:45]
	s_and_b64 s[44:45], s[12:13], exec
	s_and_b64 s[4:5], s[4:5], exec
.LBB985_115:
	s_or_b64 exec, exec, s[42:43]
	s_and_b64 s[12:13], s[44:45], exec
	s_and_b64 s[4:5], s[4:5], exec
.LBB985_116:
	s_or_b64 exec, exec, s[40:41]
	s_and_b64 s[40:41], s[12:13], exec
	s_and_b64 s[4:5], s[4:5], exec
.LBB985_117:
	s_or_b64 exec, exec, s[38:39]
	s_and_b64 s[12:13], s[40:41], exec
	s_and_b64 s[4:5], s[4:5], exec
.LBB985_118:
	s_or_b64 exec, exec, s[36:37]
	s_and_b64 s[36:37], s[12:13], exec
	s_and_b64 s[4:5], s[4:5], exec
.LBB985_119:
	s_or_b64 exec, exec, s[34:35]
	s_and_b64 s[12:13], s[36:37], exec
	s_and_b64 s[4:5], s[4:5], exec
.LBB985_120:
	s_or_b64 exec, exec, s[30:31]
	s_and_b64 s[30:31], s[12:13], exec
	s_and_b64 s[4:5], s[4:5], exec
.LBB985_121:
	s_or_b64 exec, exec, s[28:29]
	s_and_b64 s[12:13], s[30:31], exec
	s_and_b64 s[4:5], s[4:5], exec
.LBB985_122:
	s_or_b64 exec, exec, s[26:27]
	s_and_b64 s[26:27], s[12:13], exec
	s_and_b64 s[4:5], s[4:5], exec
.LBB985_123:
	s_or_b64 exec, exec, s[24:25]
	s_and_b64 s[12:13], s[26:27], exec
	s_and_b64 s[4:5], s[4:5], exec
.LBB985_124:
	s_or_b64 exec, exec, s[22:23]
	s_and_b64 s[24:25], s[12:13], exec
	s_and_b64 s[22:23], s[4:5], exec
.LBB985_125:
	s_or_b64 exec, exec, s[20:21]
	s_and_b64 s[4:5], s[24:25], exec
	s_and_b64 s[12:13], s[22:23], exec
.LBB985_126:
	s_or_b64 exec, exec, s[10:11]
	s_and_b64 vcc, exec, s[6:7]
	v_lshlrev_b32_e32 v22, 1, v0
	s_cbranch_vccnz .LBB985_128
	s_branch .LBB985_136
.LBB985_127:
                                        ; implicit-def: $sgpr4_sgpr5
                                        ; implicit-def: $vgpr18_vgpr19_vgpr20_vgpr21
                                        ; implicit-def: $vgpr2_vgpr3_vgpr4_vgpr5_vgpr6_vgpr7_vgpr8_vgpr9
                                        ; implicit-def: $vgpr10_vgpr11_vgpr12_vgpr13_vgpr14_vgpr15_vgpr16_vgpr17
                                        ; implicit-def: $vgpr41
                                        ; implicit-def: $vgpr1
                                        ; implicit-def: $vgpr38
                                        ; implicit-def: $vgpr39
                                        ; implicit-def: $sgpr8
	s_and_b64 vcc, exec, s[6:7]
	v_lshlrev_b32_e32 v22, 1, v0
	s_cbranch_vccz .LBB985_136
.LBB985_128:
	v_mov_b32_e32 v23, 0
	v_lshl_add_u64 v[2:3], s[74:75], 0, v[22:23]
	v_add_co_u32_e32 v4, vcc, 0x1000, v2
	flat_load_ushort v1, v[2:3]
	flat_load_ushort v6, v[2:3] offset:512
	flat_load_ushort v7, v[2:3] offset:1024
	;; [unrolled: 1-line block ×7, first 2 shown]
	v_addc_co_u32_e32 v5, vcc, 0, v3, vcc
	v_add_co_u32_e32 v2, vcc, 0x2000, v2
	flat_load_ushort v13, v[4:5]
	flat_load_ushort v14, v[4:5] offset:512
	flat_load_ushort v15, v[4:5] offset:1024
	;; [unrolled: 1-line block ×7, first 2 shown]
	v_addc_co_u32_e32 v3, vcc, 0, v3, vcc
	flat_load_ushort v5, v[2:3]
	flat_load_ushort v21, v[2:3] offset:512
	flat_load_ushort v23, v[2:3] offset:1024
	;; [unrolled: 1-line block ×7, first 2 shown]
	v_mad_u32_u24 v4, v0, 46, v22
	s_cmp_eq_u64 s[78:79], 0
	s_waitcnt vmcnt(0) lgkmcnt(0)
	ds_write_b16 v22, v1
	ds_write_b16 v22, v6 offset:512
	ds_write_b16 v22, v7 offset:1024
	;; [unrolled: 1-line block ×23, first 2 shown]
	s_waitcnt lgkmcnt(0)
	s_barrier
	ds_read_b64 v[2:3], v4
	ds_read_u16 v5, v4 offset:8
	ds_read_b128 v[10:13], v4 offset:10
	ds_read_u16 v14, v4 offset:26
	ds_read_b32 v15, v4 offset:44
	ds_read2_b32 v[26:27], v4 offset0:9 offset1:10
	ds_read2_b32 v[24:25], v4 offset0:7 offset1:8
	s_cbranch_scc1 .LBB985_133
; %bb.129:
	s_andn2_b64 vcc, exec, s[76:77]
	s_cbranch_vccnz .LBB985_320
; %bb.130:
	s_lshl_b64 s[4:5], s[78:79], 1
	s_add_u32 s3, s62, s4
	s_addc_u32 s5, s63, s5
	s_add_u32 s4, s3, -2
	s_addc_u32 s5, s5, -1
	s_cbranch_execnz .LBB985_132
.LBB985_131:
	s_add_u32 s4, s74, -2
	s_addc_u32 s5, s75, -1
.LBB985_132:
	s_mov_b64 s[74:75], s[4:5]
.LBB985_133:
	v_mov_b64_e32 v[6:7], s[74:75]
	flat_load_ushort v1, v[6:7]
	s_movk_i32 s3, 0xffd2
	s_waitcnt lgkmcnt(0)
	v_lshrrev_b32_e32 v6, 16, v15
	v_mad_i32_i24 v7, v0, s3, v4
	v_cmp_ne_u32_e32 vcc, 0, v0
	ds_write_b16 v7, v6 offset:12288
	s_waitcnt lgkmcnt(0)
	s_barrier
	s_and_saveexec_b64 s[4:5], vcc
	s_cbranch_execz .LBB985_135
; %bb.134:
	s_waitcnt vmcnt(0)
	v_mul_i32_i24_e32 v1, 0xffffffd2, v0
	v_add_u32_e32 v1, v4, v1
	ds_read_u16 v1, v1 offset:12286
.LBB985_135:
	s_or_b64 exec, exec, s[4:5]
	v_mov_b32_e32 v23, 0
	v_lshl_add_u64 v[8:9], s[72:73], 0, v[22:23]
	s_movk_i32 s3, 0x1000
	v_add_co_u32_e32 v16, vcc, s3, v8
	s_movk_i32 s3, 0x2000
	s_nop 0
	v_addc_co_u32_e32 v17, vcc, 0, v9, vcc
	v_add_co_u32_e32 v8, vcc, s3, v8
	s_waitcnt lgkmcnt(0)
	s_barrier
	global_load_ushort v7, v22, s[72:73]
	global_load_ushort v18, v22, s[72:73] offset:512
	global_load_ushort v19, v22, s[72:73] offset:1024
	global_load_ushort v20, v22, s[72:73] offset:1536
	global_load_ushort v21, v22, s[72:73] offset:2048
	global_load_ushort v23, v22, s[72:73] offset:2560
	global_load_ushort v28, v22, s[72:73] offset:3072
	global_load_ushort v29, v22, s[72:73] offset:3584
	v_addc_co_u32_e32 v9, vcc, 0, v9, vcc
	global_load_ushort v30, v[8:9], off offset:-4096
	global_load_ushort v31, v[16:17], off offset:512
	global_load_ushort v32, v[16:17], off offset:1024
	;; [unrolled: 1-line block ×7, first 2 shown]
	global_load_ushort v38, v[8:9], off
	global_load_ushort v39, v[8:9], off offset:512
	global_load_ushort v40, v[8:9], off offset:1024
	;; [unrolled: 1-line block ×6, first 2 shown]
                                        ; kill: killed $vgpr16 killed $vgpr17
	s_nop 0
	global_load_ushort v8, v[8:9], off offset:3584
	v_cmp_ne_u16_sdwa s[6:7], v3, v5 src0_sel:WORD_1 src1_sel:DWORD
	s_waitcnt vmcnt(0)
	v_cmp_ne_u16_e32 vcc, v1, v2
	v_cmp_ne_u16_e64 s[4:5], v15, v6
	s_mov_b64 s[12:13], -1
	v_cndmask_b32_e64 v1, 0, 1, vcc
	v_cmp_ne_u16_e32 vcc, v5, v10
                                        ; implicit-def: $sgpr8
	v_sub_u16_e32 v7, 0, v7
	v_sub_u16_e32 v9, 0, v18
	;; [unrolled: 1-line block ×8, first 2 shown]
	ds_write_b16 v22, v7
	ds_write_b16 v22, v9 offset:512
	ds_write_b16 v22, v16 offset:1024
	;; [unrolled: 1-line block ×7, first 2 shown]
	v_sub_u16_e32 v7, 0, v30
	v_sub_u16_e32 v16, 0, v32
	;; [unrolled: 1-line block ×16, first 2 shown]
	ds_write_b16 v22, v7 offset:4096
	ds_write_b16 v22, v9 offset:4608
	;; [unrolled: 1-line block ×16, first 2 shown]
	s_waitcnt lgkmcnt(0)
	s_barrier
	ds_read_b96 v[32:34], v4
	v_cndmask_b32_e64 v8, 0, 1, s[6:7]
	v_cmp_ne_u16_sdwa s[6:7], v2, v3 src0_sel:WORD_1 src1_sel:DWORD
	ds_read_b128 v[28:31], v4 offset:30
	ds_read_u16 v41, v4 offset:46
	ds_read2_b32 v[16:17], v4 offset0:3 offset1:4
	s_waitcnt lgkmcnt(3)
	v_and_b32_e32 v7, 0xffff, v34
	v_lshl_or_b32 v21, v8, 16, v7
	v_cndmask_b32_e64 v7, 0, 1, s[6:7]
	v_cmp_ne_u16_sdwa s[6:7], v3, v3 src0_sel:DWORD src1_sel:WORD_1
	v_and_b32_e32 v6, 0xffff, v32
	v_lshl_or_b32 v1, v1, 16, v6
	v_cndmask_b32_e64 v3, 0, 1, s[6:7]
	v_cmp_ne_u16_sdwa s[6:7], v2, v2 src0_sel:DWORD src1_sel:WORD_1
	v_and_b32_e32 v6, 0xffff, v33
	v_alignbit_b32 v20, v3, v33, 16
	v_cndmask_b32_e64 v2, 0, 1, s[6:7]
	v_alignbit_b32 v18, v2, v32, 16
	ds_read_u16 v23, v4 offset:28
	ds_read2_b32 v[32:33], v4 offset0:5 offset1:6
	v_cmp_ne_u16_sdwa s[6:7], v13, v13 src0_sel:DWORD src1_sel:WORD_1
	v_lshl_or_b32 v19, v7, 16, v6
	v_cndmask_b32_e64 v2, 0, 1, vcc
	v_cndmask_b32_e64 v6, 0, 1, s[6:7]
	s_waitcnt lgkmcnt(0)
	v_and_b32_e32 v5, 0xffff, v33
	v_cmp_ne_u16_sdwa s[6:7], v12, v12 src0_sel:DWORD src1_sel:WORD_1
	v_and_b32_e32 v4, 0xffff, v32
	v_lshl_or_b32 v8, v6, 16, v5
	v_cndmask_b32_e64 v5, 0, 1, s[6:7]
	v_cmp_ne_u16_sdwa s[6:7], v11, v11 src0_sel:DWORD src1_sel:WORD_1
	v_and_b32_e32 v3, 0xffff, v17
	v_lshl_or_b32 v6, v5, 16, v4
	v_cndmask_b32_e64 v4, 0, 1, s[6:7]
	v_cmp_ne_u16_sdwa s[6:7], v10, v10 src0_sel:DWORD src1_sel:WORD_1
	v_alignbit_b32 v38, v2, v34, 16
	v_and_b32_e32 v2, 0xffff, v16
	v_lshl_or_b32 v4, v4, 16, v3
	v_cndmask_b32_e64 v3, 0, 1, s[6:7]
	v_cmp_ne_u16_sdwa s[6:7], v13, v14 src0_sel:WORD_1 src1_sel:DWORD
	v_lshl_or_b32 v2, v3, 16, v2
	v_cmp_ne_u16_e32 vcc, v14, v24
	v_cndmask_b32_e64 v3, 0, 1, s[6:7]
	v_cmp_ne_u16_sdwa s[6:7], v12, v13 src0_sel:WORD_1 src1_sel:DWORD
	v_alignbit_b32 v9, v3, v33, 16
	v_and_b32_e32 v13, 0xffff, v31
	v_cndmask_b32_e64 v3, 0, 1, s[6:7]
	v_cmp_ne_u16_sdwa s[6:7], v11, v12 src0_sel:WORD_1 src1_sel:DWORD
	v_alignbit_b32 v7, v3, v32, 16
	v_and_b32_e32 v12, 0xffff, v30
	v_cndmask_b32_e64 v3, 0, 1, s[6:7]
	v_cmp_ne_u16_sdwa s[6:7], v10, v11 src0_sel:WORD_1 src1_sel:DWORD
	v_alignbit_b32 v5, v3, v17, 16
	v_cndmask_b32_e64 v10, 0, 1, vcc
	v_cndmask_b32_e64 v3, 0, 1, s[6:7]
	v_cmp_ne_u16_sdwa s[6:7], v27, v27 src0_sel:DWORD src1_sel:WORD_1
	v_alignbit_b32 v3, v3, v16, 16
	v_and_b32_e32 v11, 0xffff, v29
	v_cndmask_b32_e64 v14, 0, 1, s[6:7]
	v_cmp_ne_u16_sdwa s[6:7], v26, v26 src0_sel:DWORD src1_sel:WORD_1
	v_lshl_or_b32 v16, v14, 16, v13
	v_lshl_or_b32 v39, v10, 16, v23
	v_cndmask_b32_e64 v13, 0, 1, s[6:7]
	v_cmp_ne_u16_sdwa s[6:7], v25, v25 src0_sel:DWORD src1_sel:WORD_1
	v_lshl_or_b32 v14, v13, 16, v12
	v_and_b32_e32 v10, 0xffff, v28
	v_cndmask_b32_e64 v12, 0, 1, s[6:7]
	v_cmp_ne_u16_sdwa s[6:7], v24, v24 src0_sel:DWORD src1_sel:WORD_1
	v_lshl_or_b32 v12, v12, 16, v11
	s_nop 0
	v_cndmask_b32_e64 v11, 0, 1, s[6:7]
	v_cmp_ne_u16_sdwa s[6:7], v27, v15 src0_sel:WORD_1 src1_sel:DWORD
	v_lshl_or_b32 v10, v11, 16, v10
	s_nop 0
	v_cndmask_b32_e64 v11, 0, 1, s[6:7]
	v_cmp_ne_u16_sdwa s[6:7], v26, v27 src0_sel:WORD_1 src1_sel:DWORD
	v_alignbit_b32 v17, v11, v31, 16
	s_nop 0
	v_cndmask_b32_e64 v11, 0, 1, s[6:7]
	v_cmp_ne_u16_sdwa s[6:7], v25, v26 src0_sel:WORD_1 src1_sel:DWORD
	v_alignbit_b32 v15, v11, v30, 16
	s_nop 0
	v_cndmask_b32_e64 v11, 0, 1, s[6:7]
	v_cmp_ne_u16_sdwa s[6:7], v24, v25 src0_sel:WORD_1 src1_sel:DWORD
	v_alignbit_b32 v13, v11, v29, 16
	s_nop 0
	v_cndmask_b32_e64 v11, 0, 1, s[6:7]
	v_alignbit_b32 v11, v11, v28, 16
.LBB985_136:
	v_mov_b32_e32 v23, s8
	s_and_saveexec_b64 s[6:7], s[12:13]
	s_cbranch_execz .LBB985_138
; %bb.137:
	v_mov_b32_e32 v23, 0x10000
	v_cndmask_b32_e64 v23, 0, v23, s[4:5]
	s_waitcnt lgkmcnt(0)
	v_or_b32_sdwa v23, v23, v41 dst_sel:DWORD dst_unused:UNUSED_PAD src0_sel:DWORD src1_sel:WORD_0
.LBB985_138:
	s_or_b64 exec, exec, s[6:7]
	s_cmp_lg_u32 s2, 0
	s_waitcnt vmcnt(0)
	v_mbcnt_lo_u32_b32 v34, -1, 0
	s_waitcnt lgkmcnt(0)
	s_barrier
	s_cbranch_scc0 .LBB985_209
; %bb.139:
	s_mov_b32 s3, 0x10000
	v_cmp_gt_u32_e64 s[4:5], s3, v18
	v_cmp_gt_u32_e64 s[6:7], s3, v19
	v_cmp_gt_u32_e64 s[8:9], s3, v20
	v_cndmask_b32_e64 v24, 0, v1, s[4:5]
	v_add_u16_e32 v24, v24, v18
	v_cndmask_b32_e64 v24, 0, v24, s[6:7]
	v_add_u16_e32 v24, v24, v19
	v_cndmask_b32_e64 v24, 0, v24, s[8:9]
	v_add_u16_e32 v24, v24, v20
	v_cmp_gt_u32_e64 s[10:11], s3, v21
	v_cmp_gt_u32_e64 s[12:13], s3, v38
	v_cmp_gt_u32_e64 s[14:15], s3, v2
	v_cndmask_b32_e64 v24, 0, v24, s[10:11]
	v_add_u16_e32 v24, v24, v21
	v_cndmask_b32_e64 v24, 0, v24, s[12:13]
	v_add_u16_e32 v24, v24, v38
	v_cndmask_b32_e64 v24, 0, v24, s[14:15]
	v_add_u16_e32 v24, v24, v2
	;; [unrolled: 9-line block ×5, first 2 shown]
	v_cmp_gt_u32_e64 s[36:37], s3, v11
	v_cmp_gt_u32_e64 s[38:39], s3, v12
	v_or3_b32 v25, v23, v17, v16
	v_cndmask_b32_e64 v24, 0, v24, s[36:37]
	v_add_u16_e32 v24, v24, v11
	v_cndmask_b32_e64 v24, 0, v24, s[38:39]
	v_add_u16_e32 v24, v24, v12
	v_cmp_gt_u32_e64 s[40:41], s3, v13
	v_or3_b32 v25, v25, v15, v14
	v_or3_b32 v25, v25, v13, v12
	v_cndmask_b32_e64 v24, 0, v24, s[40:41]
	v_add_u16_e32 v24, v24, v13
	v_cmp_gt_u32_e64 s[42:43], s3, v14
	v_or3_b32 v25, v25, v11, v10
	v_or3_b32 v25, v25, v39, v9
	;; [unrolled: 5-line block ×5, first 2 shown]
	v_cndmask_b32_e64 v24, 0, v24, s[48:49]
	v_add_u16_e32 v24, v24, v17
	v_cmp_gt_u32_e64 s[50:51], s3, v23
	v_and_b32_e32 v25, 0x10000, v25
	v_lshrrev_b32_e32 v35, 16, v1
	v_cndmask_b32_e64 v26, 0, v24, s[50:51]
	v_cmp_ne_u32_e32 vcc, 0, v25
	v_add_u16_e32 v24, v26, v23
	v_mbcnt_hi_u32_b32 v27, -1, v34
	v_cndmask_b32_e64 v25, v35, 1, vcc
	v_add_u16_e32 v26, v26, v23
	v_and_b32_e32 v29, 15, v27
	v_lshl_or_b32 v26, v25, 16, v26
	v_cmp_ne_u32_e32 vcc, 0, v29
	s_nop 0
	v_mov_b32_dpp v28, v26 row_shr:1 row_mask:0xf bank_mask:0xf
	s_and_saveexec_b64 s[52:53], vcc
	s_cbranch_execz .LBB985_141
; %bb.140:
	v_cmp_eq_u32_e32 vcc, 0, v25
	v_and_b32_e32 v25, 1, v25
	v_mov_b32_e32 v31, 1
	v_cndmask_b32_e32 v26, 0, v28, vcc
	v_and_b32_sdwa v28, v28, v31 dst_sel:DWORD dst_unused:UNUSED_PAD src0_sel:WORD_1 src1_sel:DWORD
	v_cmp_eq_u32_e32 vcc, 1, v25
	v_add_u16_e32 v30, v26, v24
	v_add_u16_e32 v24, v26, v24
	v_cndmask_b32_e64 v25, v28, 1, vcc
	v_lshlrev_b32_e32 v28, 16, v25
	v_or_b32_e32 v26, v28, v24
	v_mov_b32_e32 v24, v30
.LBB985_141:
	s_or_b64 exec, exec, s[52:53]
	v_lshrrev_b32_e32 v28, 16, v26
	v_mov_b32_dpp v30, v26 row_shr:2 row_mask:0xf bank_mask:0xf
	v_cmp_lt_u32_e32 vcc, 1, v29
	s_and_saveexec_b64 s[52:53], vcc
	s_cbranch_execz .LBB985_143
; %bb.142:
	v_cmp_gt_u32_e32 vcc, s3, v26
	v_and_b32_e32 v25, 0x10000, v26
	v_mov_b32_e32 v26, 1
	v_cndmask_b32_e32 v28, 0, v30, vcc
	v_and_b32_sdwa v26, v30, v26 dst_sel:DWORD dst_unused:UNUSED_PAD src0_sel:WORD_1 src1_sel:DWORD
	v_cmp_ne_u32_e32 vcc, 0, v25
	v_add_u16_e32 v31, v28, v24
	v_add_u16_e32 v24, v28, v24
	v_cndmask_b32_e64 v25, v26, 1, vcc
	v_lshlrev_b32_e32 v26, 16, v25
	v_or_b32_e32 v26, v26, v24
	v_mov_b32_e32 v28, v25
	v_mov_b32_e32 v24, v31
.LBB985_143:
	s_or_b64 exec, exec, s[52:53]
	v_mov_b32_dpp v30, v26 row_shr:4 row_mask:0xf bank_mask:0xf
	v_cmp_lt_u32_e32 vcc, 3, v29
	s_and_saveexec_b64 s[52:53], vcc
	s_cbranch_execz .LBB985_145
; %bb.144:
	v_mov_b32_e32 v25, 0
	v_cmp_eq_u16_sdwa vcc, v28, v25 src0_sel:BYTE_0 src1_sel:DWORD
	v_and_b32_e32 v25, 1, v28
	v_mov_b32_e32 v28, 1
	v_cndmask_b32_e32 v26, 0, v30, vcc
	v_and_b32_sdwa v28, v30, v28 dst_sel:DWORD dst_unused:UNUSED_PAD src0_sel:WORD_1 src1_sel:DWORD
	v_cmp_eq_u32_e32 vcc, 1, v25
	v_add_u16_e32 v31, v26, v24
	v_add_u16_e32 v24, v26, v24
	v_cndmask_b32_e64 v25, v28, 1, vcc
	v_lshlrev_b32_e32 v28, 16, v25
	v_or_b32_e32 v26, v28, v24
	v_mov_b32_e32 v28, v25
	v_mov_b32_e32 v24, v31
.LBB985_145:
	s_or_b64 exec, exec, s[52:53]
	v_mov_b32_dpp v30, v26 row_shr:8 row_mask:0xf bank_mask:0xf
	v_cmp_lt_u32_e32 vcc, 7, v29
	s_and_saveexec_b64 s[52:53], vcc
	s_cbranch_execz .LBB985_147
; %bb.146:
	v_mov_b32_e32 v25, 0
	v_cmp_eq_u16_sdwa vcc, v28, v25 src0_sel:BYTE_0 src1_sel:DWORD
	v_and_b32_e32 v25, 1, v28
	v_mov_b32_e32 v28, 1
	v_cndmask_b32_e32 v26, 0, v30, vcc
	v_and_b32_sdwa v28, v30, v28 dst_sel:DWORD dst_unused:UNUSED_PAD src0_sel:WORD_1 src1_sel:DWORD
	v_cmp_eq_u32_e32 vcc, 1, v25
	v_add_u16_e32 v29, v26, v24
	v_add_u16_e32 v24, v26, v24
	v_cndmask_b32_e64 v25, v28, 1, vcc
	v_lshlrev_b32_e32 v28, 16, v25
	v_or_b32_e32 v26, v28, v24
	v_mov_b32_e32 v28, v25
	v_mov_b32_e32 v24, v29
.LBB985_147:
	s_or_b64 exec, exec, s[52:53]
	v_and_b32_e32 v30, 16, v27
	v_mov_b32_dpp v29, v26 row_bcast:15 row_mask:0xf bank_mask:0xf
	v_cmp_ne_u32_e32 vcc, 0, v30
	s_and_saveexec_b64 s[52:53], vcc
	s_cbranch_execz .LBB985_149
; %bb.148:
	v_mov_b32_e32 v25, 0
	v_cmp_eq_u16_sdwa vcc, v28, v25 src0_sel:BYTE_0 src1_sel:DWORD
	v_and_b32_e32 v25, 1, v28
	v_mov_b32_e32 v28, 1
	v_cndmask_b32_e32 v26, 0, v29, vcc
	v_and_b32_sdwa v28, v29, v28 dst_sel:DWORD dst_unused:UNUSED_PAD src0_sel:WORD_1 src1_sel:DWORD
	v_cmp_eq_u32_e32 vcc, 1, v25
	v_add_u16_e32 v30, v26, v24
	v_add_u16_e32 v24, v26, v24
	v_cndmask_b32_e64 v25, v28, 1, vcc
	v_lshlrev_b32_e32 v28, 16, v25
	v_or_b32_e32 v26, v28, v24
	v_mov_b32_e32 v24, v30
	v_mov_b32_e32 v28, v25
.LBB985_149:
	s_or_b64 exec, exec, s[52:53]
	v_mov_b32_dpp v26, v26 row_bcast:31 row_mask:0xf bank_mask:0xf
	v_cmp_lt_u32_e32 vcc, 31, v27
	s_and_saveexec_b64 s[52:53], vcc
; %bb.150:
	v_mov_b32_e32 v25, 0
	v_cmp_eq_u16_sdwa vcc, v28, v25 src0_sel:BYTE_0 src1_sel:DWORD
	s_nop 1
	v_cndmask_b32_e32 v25, 0, v26, vcc
	v_add_u16_e32 v24, v25, v24
	v_and_b32_e32 v25, 1, v28
	v_mov_b32_e32 v28, 1
	v_and_b32_sdwa v26, v26, v28 dst_sel:DWORD dst_unused:UNUSED_PAD src0_sel:WORD_1 src1_sel:DWORD
	v_cmp_eq_u32_e32 vcc, 1, v25
	s_nop 1
	v_cndmask_b32_e64 v25, v26, 1, vcc
; %bb.151:
	s_or_b64 exec, exec, s[52:53]
	v_or_b32_e32 v28, 63, v0
	v_lshrrev_b32_e32 v26, 6, v0
	v_cmp_eq_u32_e32 vcc, v28, v0
	s_and_saveexec_b64 s[52:53], vcc
	s_cbranch_execz .LBB985_153
; %bb.152:
	v_lshlrev_b32_e32 v28, 2, v26
	ds_write_b16 v28, v24
	ds_write_b8 v28, v25 offset:2
.LBB985_153:
	s_or_b64 exec, exec, s[52:53]
	v_cmp_gt_u32_e32 vcc, 4, v0
	s_waitcnt lgkmcnt(0)
	s_barrier
	s_and_saveexec_b64 s[52:53], vcc
	s_cbranch_execz .LBB985_159
; %bb.154:
	v_lshlrev_b32_e32 v28, 2, v0
	ds_read_b32 v29, v28
	v_and_b32_e32 v32, 3, v27
	v_cmp_ne_u32_e32 vcc, 0, v32
	s_waitcnt lgkmcnt(0)
	v_lshrrev_b32_e32 v31, 16, v29
	v_mov_b32_dpp v33, v29 row_shr:1 row_mask:0xf bank_mask:0xf
	v_mov_b32_e32 v30, v29
	s_and_saveexec_b64 s[56:57], vcc
	s_cbranch_execz .LBB985_156
; %bb.155:
	v_mov_b32_e32 v30, 0
	v_cmp_eq_u16_sdwa vcc, v31, v30 src0_sel:BYTE_0 src1_sel:DWORD
	v_and_b32_e32 v31, 0x10000, v29
	v_mov_b32_e32 v40, 1
	v_cndmask_b32_e32 v37, 0, v33, vcc
	v_and_b32_sdwa v33, v33, v40 dst_sel:DWORD dst_unused:UNUSED_PAD src0_sel:WORD_1 src1_sel:DWORD
	v_cmp_ne_u32_e32 vcc, 0, v31
	v_and_b32_e32 v36, 0xff000000, v29
	v_add_u16_e32 v30, v37, v29
	v_cndmask_b32_e64 v31, v33, 1, vcc
	v_lshlrev_b32_e32 v33, 16, v31
	v_add_u16_e32 v29, v37, v29
	v_or3_b32 v29, v33, v36, v29
.LBB985_156:
	s_or_b64 exec, exec, s[56:57]
	s_nop 0
	v_mov_b32_dpp v33, v29 row_shr:2 row_mask:0xf bank_mask:0xf
	v_cmp_lt_u32_e32 vcc, 1, v32
	s_and_saveexec_b64 s[56:57], vcc
; %bb.157:
	v_and_b32_e32 v31, 0xff0000, v29
	v_cmp_eq_u32_e32 vcc, 0, v31
	v_and_b32_e32 v29, 0x10000, v29
	s_nop 0
	v_cndmask_b32_e32 v31, 0, v33, vcc
	v_add_u16_e32 v30, v31, v30
	v_mov_b32_e32 v31, 1
	v_and_b32_sdwa v31, v33, v31 dst_sel:DWORD dst_unused:UNUSED_PAD src0_sel:WORD_1 src1_sel:DWORD
	v_cmp_eq_u32_e32 vcc, 0, v29
	s_nop 1
	v_cndmask_b32_e32 v31, 1, v31, vcc
; %bb.158:
	s_or_b64 exec, exec, s[56:57]
	ds_write_b16 v28, v30
	ds_write_b8 v28, v31 offset:2
.LBB985_159:
	s_or_b64 exec, exec, s[52:53]
	v_cmp_gt_u32_e32 vcc, 64, v0
	v_cmp_lt_u32_e64 s[52:53], 63, v0
	v_mov_b32_e32 v36, 0
	v_mov_b32_e32 v37, 0
	s_waitcnt lgkmcnt(0)
	s_barrier
	s_and_saveexec_b64 s[56:57], s[52:53]
	s_cbranch_execz .LBB985_161
; %bb.160:
	v_lshl_add_u32 v26, v26, 2, -4
	ds_read_u16 v36, v26
	ds_read_u8 v37, v26 offset:2
	v_mov_b32_e32 v28, 0
	v_and_b32_e32 v29, 1, v25
	v_cmp_eq_u16_sdwa s[52:53], v25, v28 src0_sel:BYTE_0 src1_sel:DWORD
	s_waitcnt lgkmcnt(1)
	s_nop 0
	v_cndmask_b32_e64 v25, 0, v36, s[52:53]
	v_cmp_eq_u32_e64 s[52:53], 1, v29
	v_add_u16_e32 v24, v25, v24
	s_waitcnt lgkmcnt(0)
	v_cndmask_b32_e64 v25, v37, 1, s[52:53]
.LBB985_161:
	s_or_b64 exec, exec, s[56:57]
	v_and_b32_e32 v25, 0xff, v25
	v_and_b32_e32 v24, 0xffff, v24
	v_lshl_or_b32 v24, v25, 16, v24
	v_add_u32_e32 v25, -1, v27
	v_and_b32_e32 v26, 64, v27
	v_cmp_lt_i32_e64 s[52:53], v25, v26
	s_nop 1
	v_cndmask_b32_e64 v25, v25, v27, s[52:53]
	v_lshlrev_b32_e32 v25, 2, v25
	ds_bpermute_b32 v40, v25, v24
	v_cmp_eq_u32_e64 s[52:53], 0, v27
	s_and_saveexec_b64 s[56:57], vcc
	s_cbranch_execz .LBB985_208
; %bb.162:
	v_mov_b32_e32 v33, 0
	ds_read_b32 v24, v33 offset:12
	s_and_saveexec_b64 s[62:63], s[52:53]
	s_cbranch_execz .LBB985_164
; %bb.163:
	s_add_i32 s72, s2, 64
	s_mov_b32 s73, 0
	s_lshl_b64 s[72:73], s[72:73], 3
	s_add_u32 s72, s64, s72
	v_mov_b32_e32 v25, 1
	s_addc_u32 s73, s65, s73
	s_waitcnt lgkmcnt(0)
	global_store_dwordx2 v33, v[24:25], s[72:73] sc1
.LBB985_164:
	s_or_b64 exec, exec, s[62:63]
	v_xad_u32 v26, v27, -1, s2
	v_add_u32_e32 v32, 64, v26
	v_lshl_add_u64 v[30:31], v[32:33], 3, s[64:65]
	global_load_dwordx2 v[28:29], v[30:31], off sc1
	s_waitcnt vmcnt(0)
	v_cmp_eq_u16_sdwa s[72:73], v29, v33 src0_sel:BYTE_0 src1_sel:DWORD
	s_and_saveexec_b64 s[62:63], s[72:73]
	s_cbranch_execz .LBB985_170
; %bb.165:
	s_mov_b32 s3, 1
	s_mov_b64 s[72:73], 0
	v_mov_b32_e32 v25, 0
.LBB985_166:                            ; =>This Loop Header: Depth=1
                                        ;     Child Loop BB985_167 Depth 2
	s_max_u32 s67, s3, 1
.LBB985_167:                            ;   Parent Loop BB985_166 Depth=1
                                        ; =>  This Inner Loop Header: Depth=2
	s_add_i32 s67, s67, -1
	s_cmp_eq_u32 s67, 0
	s_sleep 1
	s_cbranch_scc0 .LBB985_167
; %bb.168:                              ;   in Loop: Header=BB985_166 Depth=1
	global_load_dwordx2 v[28:29], v[30:31], off sc1
	s_cmp_lt_u32 s3, 32
	s_cselect_b64 s[74:75], -1, 0
	s_cmp_lg_u64 s[74:75], 0
	s_addc_u32 s3, s3, 0
	s_waitcnt vmcnt(0)
	v_cmp_ne_u16_sdwa s[74:75], v29, v25 src0_sel:BYTE_0 src1_sel:DWORD
	s_or_b64 s[72:73], s[74:75], s[72:73]
	s_andn2_b64 exec, exec, s[72:73]
	s_cbranch_execnz .LBB985_166
; %bb.169:
	s_or_b64 exec, exec, s[72:73]
.LBB985_170:
	s_or_b64 exec, exec, s[62:63]
	v_mov_b32_e32 v25, 2
	v_cmp_eq_u16_sdwa s[62:63], v29, v25 src0_sel:BYTE_0 src1_sel:DWORD
	v_lshlrev_b64 v[30:31], v27, -1
	v_and_b32_e32 v52, 0xffffff, v28
	v_and_b32_e32 v25, s63, v31
	v_or_b32_e32 v25, 0x80000000, v25
	v_ffbl_b32_e32 v25, v25
	v_add_u32_e32 v33, 32, v25
	v_and_b32_e32 v25, 63, v27
	v_cmp_ne_u32_e32 vcc, 63, v25
	v_and_b32_e32 v32, s62, v30
	v_ffbl_b32_e32 v32, v32
	v_addc_co_u32_e32 v41, vcc, 0, v27, vcc
	v_lshlrev_b32_e32 v41, 2, v41
	ds_bpermute_b32 v42, v41, v52
	v_min_u32_e32 v33, v32, v33
	v_lshrrev_b32_e32 v32, 16, v28
	v_cmp_lt_u32_e32 vcc, v25, v33
	v_bfe_u32 v50, v28, 16, 8
	s_and_saveexec_b64 s[62:63], vcc
	s_cbranch_execz .LBB985_172
; %bb.171:
	v_and_b32_e32 v32, 0xff0000, v28
	v_cmp_eq_u32_e32 vcc, 0, v32
	v_and_b32_e32 v32, 0x10000, v32
	v_mov_b32_e32 v45, 1
	s_waitcnt lgkmcnt(0)
	v_cndmask_b32_e32 v43, 0, v42, vcc
	v_and_b32_sdwa v42, v42, v45 dst_sel:DWORD dst_unused:UNUSED_PAD src0_sel:WORD_1 src1_sel:DWORD
	v_cmp_ne_u32_e32 vcc, 0, v32
	v_add_u16_e32 v44, v43, v28
	v_add_u16_e32 v28, v43, v28
	v_cndmask_b32_e64 v32, v42, 1, vcc
	v_lshlrev_b32_e32 v42, 16, v32
	v_or_b32_e32 v52, v42, v28
	v_mov_b32_e32 v28, v44
	v_mov_b32_e32 v50, v32
.LBB985_172:
	s_or_b64 exec, exec, s[62:63]
	v_cmp_gt_u32_e32 vcc, 62, v25
	v_add_u32_e32 v43, 2, v25
	s_waitcnt lgkmcnt(0)
	v_cndmask_b32_e64 v42, 0, 1, vcc
	v_lshlrev_b32_e32 v42, 1, v42
	v_add_lshl_u32 v42, v42, v27, 2
	ds_bpermute_b32 v44, v42, v52
	v_cmp_le_u32_e32 vcc, v43, v33
	s_and_saveexec_b64 s[62:63], vcc
	s_cbranch_execz .LBB985_174
; %bb.173:
	v_cmp_eq_u16_e32 vcc, 0, v50
	v_and_b32_e32 v32, 1, v50
	v_mov_b32_e32 v47, 1
	s_waitcnt lgkmcnt(0)
	v_cndmask_b32_e32 v45, 0, v44, vcc
	v_and_b32_sdwa v44, v44, v47 dst_sel:DWORD dst_unused:UNUSED_PAD src0_sel:WORD_1 src1_sel:DWORD
	v_cmp_eq_u32_e32 vcc, 1, v32
	v_add_u16_e32 v46, v45, v28
	v_add_u16_e32 v28, v45, v28
	v_cndmask_b32_e64 v32, v44, 1, vcc
	v_lshlrev_b32_e32 v44, 16, v32
	v_or_b32_e32 v52, v44, v28
	v_mov_b32_e32 v28, v46
	v_mov_b32_e32 v50, v32
.LBB985_174:
	s_or_b64 exec, exec, s[62:63]
	v_cmp_gt_u32_e32 vcc, 60, v25
	v_add_u32_e32 v45, 4, v25
	s_waitcnt lgkmcnt(0)
	v_cndmask_b32_e64 v44, 0, 1, vcc
	v_lshlrev_b32_e32 v44, 2, v44
	v_add_lshl_u32 v44, v44, v27, 2
	ds_bpermute_b32 v46, v44, v52
	v_cmp_le_u32_e32 vcc, v45, v33
	s_and_saveexec_b64 s[62:63], vcc
	s_cbranch_execz .LBB985_176
; %bb.175:
	v_cmp_eq_u16_e32 vcc, 0, v50
	v_and_b32_e32 v32, 1, v50
	v_mov_b32_e32 v49, 1
	s_waitcnt lgkmcnt(0)
	v_cndmask_b32_e32 v47, 0, v46, vcc
	v_and_b32_sdwa v46, v46, v49 dst_sel:DWORD dst_unused:UNUSED_PAD src0_sel:WORD_1 src1_sel:DWORD
	v_cmp_eq_u32_e32 vcc, 1, v32
	v_add_u16_e32 v48, v47, v28
	v_add_u16_e32 v28, v47, v28
	v_cndmask_b32_e64 v32, v46, 1, vcc
	v_lshlrev_b32_e32 v46, 16, v32
	v_or_b32_e32 v52, v46, v28
	v_mov_b32_e32 v28, v48
	v_mov_b32_e32 v50, v32
.LBB985_176:
	;; [unrolled: 27-line block ×4, first 2 shown]
	s_or_b64 exec, exec, s[62:63]
	v_cmp_gt_u32_e32 vcc, 32, v25
	v_add_u32_e32 v53, 32, v25
	s_waitcnt lgkmcnt(0)
	v_cndmask_b32_e64 v51, 0, 1, vcc
	v_lshlrev_b32_e32 v51, 5, v51
	v_add_lshl_u32 v51, v51, v27, 2
	ds_bpermute_b32 v27, v51, v52
	v_cmp_le_u32_e32 vcc, v53, v33
	s_and_saveexec_b64 s[62:63], vcc
	s_cbranch_execz .LBB985_182
; %bb.181:
	v_cmp_eq_u16_e32 vcc, 0, v50
	v_mov_b32_e32 v33, 1
	s_waitcnt lgkmcnt(0)
	v_cndmask_b32_e32 v32, 0, v27, vcc
	v_add_u16_e32 v28, v32, v28
	v_and_b32_e32 v32, 1, v50
	v_and_b32_sdwa v27, v27, v33 dst_sel:DWORD dst_unused:UNUSED_PAD src0_sel:WORD_1 src1_sel:DWORD
	v_cmp_eq_u32_e32 vcc, 1, v32
	s_nop 1
	v_cndmask_b32_e64 v32, v27, 1, vcc
.LBB985_182:
	s_or_b64 exec, exec, s[62:63]
	s_waitcnt lgkmcnt(0)
	v_mov_b32_e32 v27, 0
	v_mov_b32_e32 v54, 2
	;; [unrolled: 1-line block ×3, first 2 shown]
	s_branch .LBB985_184
.LBB985_183:                            ;   in Loop: Header=BB985_184 Depth=1
	s_or_b64 exec, exec, s[62:63]
	v_cmp_eq_u16_sdwa vcc, v50, v27 src0_sel:BYTE_0 src1_sel:DWORD
	v_and_b32_e32 v32, 1, v50
	v_and_b32_e32 v33, 1, v33
	v_cndmask_b32_e32 v28, 0, v28, vcc
	v_cmp_eq_u32_e32 vcc, 1, v32
	v_subrev_u32_e32 v26, 64, v26
	v_add_u16_e32 v28, v28, v52
	v_cndmask_b32_e64 v32, v33, 1, vcc
.LBB985_184:                            ; =>This Loop Header: Depth=1
                                        ;     Child Loop BB985_187 Depth 2
                                        ;       Child Loop BB985_188 Depth 3
	v_cmp_ne_u16_sdwa s[62:63], v29, v54 src0_sel:BYTE_0 src1_sel:DWORD
	v_mov_b32_e32 v50, v32
	v_mov_b32_e32 v52, v28
	v_cndmask_b32_e64 v29, 0, 1, s[62:63]
	;;#ASMSTART
	;;#ASMEND
	s_nop 0
	v_cmp_ne_u32_e32 vcc, 0, v29
	s_cmp_lg_u64 vcc, exec
	s_cbranch_scc1 .LBB985_203
; %bb.185:                              ;   in Loop: Header=BB985_184 Depth=1
	v_lshl_add_u64 v[32:33], v[26:27], 3, s[64:65]
	global_load_dwordx2 v[28:29], v[32:33], off sc1
	s_waitcnt vmcnt(0)
	v_cmp_eq_u16_sdwa s[72:73], v29, v27 src0_sel:BYTE_0 src1_sel:DWORD
	s_and_saveexec_b64 s[62:63], s[72:73]
	s_cbranch_execz .LBB985_191
; %bb.186:                              ;   in Loop: Header=BB985_184 Depth=1
	s_mov_b32 s3, 1
	s_mov_b64 s[72:73], 0
.LBB985_187:                            ;   Parent Loop BB985_184 Depth=1
                                        ; =>  This Loop Header: Depth=2
                                        ;       Child Loop BB985_188 Depth 3
	s_max_u32 s67, s3, 1
.LBB985_188:                            ;   Parent Loop BB985_184 Depth=1
                                        ;     Parent Loop BB985_187 Depth=2
                                        ; =>    This Inner Loop Header: Depth=3
	s_add_i32 s67, s67, -1
	s_cmp_eq_u32 s67, 0
	s_sleep 1
	s_cbranch_scc0 .LBB985_188
; %bb.189:                              ;   in Loop: Header=BB985_187 Depth=2
	global_load_dwordx2 v[28:29], v[32:33], off sc1
	s_cmp_lt_u32 s3, 32
	s_cselect_b64 s[74:75], -1, 0
	s_cmp_lg_u64 s[74:75], 0
	s_addc_u32 s3, s3, 0
	s_waitcnt vmcnt(0)
	v_cmp_ne_u16_sdwa s[74:75], v29, v27 src0_sel:BYTE_0 src1_sel:DWORD
	s_or_b64 s[72:73], s[74:75], s[72:73]
	s_andn2_b64 exec, exec, s[72:73]
	s_cbranch_execnz .LBB985_187
; %bb.190:                              ;   in Loop: Header=BB985_184 Depth=1
	s_or_b64 exec, exec, s[72:73]
.LBB985_191:                            ;   in Loop: Header=BB985_184 Depth=1
	s_or_b64 exec, exec, s[62:63]
	v_cmp_eq_u16_sdwa s[62:63], v29, v54 src0_sel:BYTE_0 src1_sel:DWORD
	s_waitcnt lgkmcnt(0)
	v_and_b32_e32 v57, 0xffffff, v28
	ds_bpermute_b32 v58, v41, v57
	v_and_b32_e32 v32, s63, v31
	v_or_b32_e32 v32, 0x80000000, v32
	v_and_b32_e32 v33, s62, v30
	v_ffbl_b32_e32 v32, v32
	v_add_u32_e32 v32, 32, v32
	v_ffbl_b32_e32 v33, v33
	v_min_u32_e32 v32, v33, v32
	v_lshrrev_b32_e32 v33, 16, v28
	v_cmp_lt_u32_e32 vcc, v25, v32
	v_bfe_u32 v56, v28, 16, 8
	s_and_saveexec_b64 s[62:63], vcc
	s_cbranch_execz .LBB985_193
; %bb.192:                              ;   in Loop: Header=BB985_184 Depth=1
	v_and_b32_e32 v33, 0xff0000, v28
	v_cmp_eq_u32_e32 vcc, 0, v33
	v_and_b32_e32 v33, 0x10000, v33
	s_waitcnt lgkmcnt(0)
	v_and_b32_sdwa v57, v58, v55 dst_sel:DWORD dst_unused:UNUSED_PAD src0_sel:WORD_1 src1_sel:DWORD
	v_cndmask_b32_e32 v56, 0, v58, vcc
	v_cmp_ne_u32_e32 vcc, 0, v33
	v_add_u16_e32 v59, v56, v28
	v_add_u16_e32 v28, v56, v28
	v_cndmask_b32_e64 v33, v57, 1, vcc
	v_lshlrev_b32_e32 v57, 16, v33
	v_or_b32_e32 v57, v57, v28
	v_mov_b32_e32 v28, v59
	v_mov_b32_e32 v56, v33
.LBB985_193:                            ;   in Loop: Header=BB985_184 Depth=1
	s_or_b64 exec, exec, s[62:63]
	s_waitcnt lgkmcnt(0)
	ds_bpermute_b32 v58, v42, v57
	v_cmp_le_u32_e32 vcc, v43, v32
	s_and_saveexec_b64 s[62:63], vcc
	s_cbranch_execz .LBB985_195
; %bb.194:                              ;   in Loop: Header=BB985_184 Depth=1
	v_cmp_eq_u16_e32 vcc, 0, v56
	v_and_b32_e32 v33, 1, v56
	s_waitcnt lgkmcnt(0)
	v_and_b32_sdwa v56, v58, v55 dst_sel:DWORD dst_unused:UNUSED_PAD src0_sel:WORD_1 src1_sel:DWORD
	v_cndmask_b32_e32 v57, 0, v58, vcc
	v_cmp_eq_u32_e32 vcc, 1, v33
	v_add_u16_e32 v59, v57, v28
	v_add_u16_e32 v28, v57, v28
	v_cndmask_b32_e64 v33, v56, 1, vcc
	v_lshlrev_b32_e32 v56, 16, v33
	v_or_b32_e32 v57, v56, v28
	v_mov_b32_e32 v28, v59
	v_mov_b32_e32 v56, v33
.LBB985_195:                            ;   in Loop: Header=BB985_184 Depth=1
	s_or_b64 exec, exec, s[62:63]
	s_waitcnt lgkmcnt(0)
	ds_bpermute_b32 v58, v44, v57
	v_cmp_le_u32_e32 vcc, v45, v32
	s_and_saveexec_b64 s[62:63], vcc
	s_cbranch_execz .LBB985_197
; %bb.196:                              ;   in Loop: Header=BB985_184 Depth=1
	v_cmp_eq_u16_e32 vcc, 0, v56
	v_and_b32_e32 v33, 1, v56
	s_waitcnt lgkmcnt(0)
	v_and_b32_sdwa v56, v58, v55 dst_sel:DWORD dst_unused:UNUSED_PAD src0_sel:WORD_1 src1_sel:DWORD
	v_cndmask_b32_e32 v57, 0, v58, vcc
	v_cmp_eq_u32_e32 vcc, 1, v33
	v_add_u16_e32 v59, v57, v28
	v_add_u16_e32 v28, v57, v28
	v_cndmask_b32_e64 v33, v56, 1, vcc
	v_lshlrev_b32_e32 v56, 16, v33
	v_or_b32_e32 v57, v56, v28
	v_mov_b32_e32 v28, v59
	v_mov_b32_e32 v56, v33
.LBB985_197:                            ;   in Loop: Header=BB985_184 Depth=1
	;; [unrolled: 21-line block ×4, first 2 shown]
	s_or_b64 exec, exec, s[62:63]
	ds_bpermute_b32 v57, v51, v57
	v_cmp_le_u32_e32 vcc, v53, v32
	s_and_saveexec_b64 s[62:63], vcc
	s_cbranch_execz .LBB985_183
; %bb.202:                              ;   in Loop: Header=BB985_184 Depth=1
	v_cmp_eq_u16_e32 vcc, 0, v56
	s_waitcnt lgkmcnt(0)
	v_lshrrev_b32_e32 v33, 16, v57
	v_cndmask_b32_e32 v32, 0, v57, vcc
	v_add_u16_e32 v28, v32, v28
	v_and_b32_e32 v32, 1, v56
	v_cmp_eq_u32_e32 vcc, 1, v32
	s_nop 1
	v_cndmask_b32_e64 v33, v33, 1, vcc
	s_branch .LBB985_183
.LBB985_203:                            ;   in Loop: Header=BB985_184 Depth=1
                                        ; implicit-def: $vgpr32
                                        ; implicit-def: $vgpr28
	s_cbranch_execz .LBB985_184
; %bb.204:
	s_and_saveexec_b64 s[62:63], s[52:53]
	s_cbranch_execz .LBB985_206
; %bb.205:
	v_and_b32_e32 v25, 0xff0000, v24
	s_mov_b32 s3, 0
	v_cmp_eq_u32_e32 vcc, 0, v25
	v_and_b32_e32 v26, 0x10000, v24
	v_mov_b32_e32 v27, 1
	s_add_i32 s2, s2, 64
	v_cndmask_b32_e32 v25, 0, v52, vcc
	v_and_b32_sdwa v27, v50, v27 dst_sel:WORD_1 dst_unused:UNUSED_PAD src0_sel:DWORD src1_sel:DWORD
	v_mov_b32_e32 v28, 0x10000
	v_cmp_eq_u32_e32 vcc, 0, v26
	s_lshl_b64 s[2:3], s[2:3], 3
	s_add_u32 s2, s64, s2
	v_cndmask_b32_e32 v26, v28, v27, vcc
	v_add_u16_e32 v24, v25, v24
	s_addc_u32 s3, s65, s3
	v_mov_b32_e32 v27, 0
	v_or_b32_e32 v24, v26, v24
	v_mov_b32_e32 v25, 2
	global_store_dwordx2 v27, v[24:25], s[2:3] sc1
.LBB985_206:
	s_or_b64 exec, exec, s[62:63]
	v_cmp_eq_u32_e32 vcc, 0, v0
	s_and_b64 exec, exec, vcc
	s_cbranch_execz .LBB985_208
; %bb.207:
	v_mov_b32_e32 v24, 0
	ds_write_b16 v24, v52 offset:12
	ds_write_b8 v24, v50 offset:14
.LBB985_208:
	s_or_b64 exec, exec, s[56:57]
	s_waitcnt lgkmcnt(0)
	v_lshrrev_b32_e32 v24, 16, v40
	v_mov_b32_e32 v26, 0
	s_mov_b32 s2, 0x10000
	v_cndmask_b32_e64 v24, v24, v37, s[52:53]
	v_cndmask_b32_e64 v25, v40, v36, s[52:53]
	s_barrier
	ds_read_b32 v27, v26 offset:12
	v_cmp_gt_u32_e32 vcc, s2, v1
	v_and_b32_e32 v28, 0x10000, v1
	v_and_b32_e32 v24, 1, v24
	v_cndmask_b32_e32 v25, 0, v25, vcc
	v_cmp_ne_u32_e32 vcc, 0, v28
	s_nop 1
	v_cndmask_b32_e64 v24, v24, 1, vcc
	v_cmp_eq_u32_e32 vcc, 0, v0
	s_nop 1
	v_cndmask_b32_e32 v24, v24, v35, vcc
	v_cndmask_b32_e64 v25, v25, 0, vcc
	v_cmp_eq_u16_sdwa vcc, v24, v26 src0_sel:BYTE_0 src1_sel:DWORD
	v_add_u16_e32 v25, v25, v1
	s_waitcnt lgkmcnt(0)
	v_cndmask_b32_e32 v24, 0, v27, vcc
	v_add_u16_e32 v50, v25, v24
	v_cndmask_b32_e64 v24, 0, v50, s[4:5]
	v_add_u16_e32 v24, v24, v18
	v_cndmask_b32_e64 v25, 0, v24, s[6:7]
	;; [unrolled: 2-line block ×23, first 2 shown]
	v_add_u16_e32 v49, v49, v23
	s_load_dwordx2 s[62:63], s[0:1], 0x20
	s_branch .LBB985_239
.LBB985_209:
                                        ; implicit-def: $vgpr50
                                        ; implicit-def: $vgpr24
                                        ; implicit-def: $vgpr25
                                        ; implicit-def: $vgpr26
                                        ; implicit-def: $vgpr27
                                        ; implicit-def: $vgpr28
                                        ; implicit-def: $vgpr29
                                        ; implicit-def: $vgpr31
                                        ; implicit-def: $vgpr30
                                        ; implicit-def: $vgpr32
                                        ; implicit-def: $vgpr33
                                        ; implicit-def: $vgpr35
                                        ; implicit-def: $vgpr36
                                        ; implicit-def: $vgpr37
                                        ; implicit-def: $vgpr40
                                        ; implicit-def: $vgpr42
                                        ; implicit-def: $vgpr41
                                        ; implicit-def: $vgpr43
                                        ; implicit-def: $vgpr44
                                        ; implicit-def: $vgpr45
                                        ; implicit-def: $vgpr46
                                        ; implicit-def: $vgpr47
                                        ; implicit-def: $vgpr48
                                        ; implicit-def: $vgpr49
	s_load_dwordx2 s[62:63], s[0:1], 0x20
	s_cbranch_execz .LBB985_239
; %bb.210:
	s_cmp_lg_u64 s[70:71], 0
	s_cselect_b32 s3, s59, 0
	s_cselect_b32 s2, s58, 0
	s_cmp_lg_u64 s[2:3], 0
	s_cselect_b64 s[4:5], -1, 0
	v_cmp_eq_u32_e32 vcc, 0, v0
	v_cmp_ne_u32_e64 s[0:1], 0, v0
	s_and_b64 s[6:7], vcc, s[4:5]
	s_and_saveexec_b64 s[4:5], s[6:7]
	s_cbranch_execz .LBB985_212
; %bb.211:
	v_mov_b32_e32 v24, 0
	global_load_ushort v25, v24, s[2:3]
	global_load_ubyte v26, v24, s[2:3] offset:2
	s_mov_b32 s2, 0x10000
	v_and_b32_e32 v24, 0x10000, v1
	v_mov_b32_e32 v27, 1
	v_cmp_gt_u32_e64 s[2:3], s2, v1
	v_mov_b32_e32 v28, 0x10000
	s_waitcnt vmcnt(0)
	v_and_b32_sdwa v26, v26, v27 dst_sel:WORD_1 dst_unused:UNUSED_PAD src0_sel:DWORD src1_sel:DWORD
	v_cndmask_b32_e64 v25, 0, v25, s[2:3]
	v_cmp_eq_u32_e64 s[2:3], 0, v24
	v_add_u16_e32 v1, v25, v1
	s_nop 0
	v_cndmask_b32_e64 v24, v28, v26, s[2:3]
	v_or_b32_e32 v1, v24, v1
.LBB985_212:
	s_or_b64 exec, exec, s[4:5]
	s_mov_b32 s50, 0x10000
	v_cmp_gt_u32_e64 s[4:5], s50, v18
	v_cmp_gt_u32_e64 s[6:7], s50, v19
	;; [unrolled: 1-line block ×3, first 2 shown]
	v_cndmask_b32_e64 v24, 0, v1, s[4:5]
	v_add_u16_e32 v24, v24, v18
	v_cndmask_b32_e64 v25, 0, v24, s[6:7]
	v_add_u16_e32 v25, v25, v19
	v_bfe_u32 v28, v19, 16, 1
	v_mov_b32_e32 v53, 1
	v_cndmask_b32_e64 v26, 0, v25, s[8:9]
	v_lshlrev_b16_e32 v28, 1, v28
	v_and_b32_sdwa v29, v18, v53 dst_sel:DWORD dst_unused:UNUSED_PAD src0_sel:WORD_1 src1_sel:DWORD
	v_add_u16_e32 v26, v26, v20
	v_cmp_gt_u32_e64 s[10:11], s50, v21
	v_or_b32_e32 v28, v29, v28
	v_bfe_u32 v29, v21, 16, 1
	v_and_b32_sdwa v30, v20, v53 dst_sel:DWORD dst_unused:UNUSED_PAD src0_sel:WORD_1 src1_sel:DWORD
	v_cndmask_b32_e64 v27, 0, v26, s[10:11]
	v_lshlrev_b16_e32 v29, 3, v29
	v_lshlrev_b16_e32 v30, 2, v30
	v_add_u16_e32 v27, v27, v21
	v_or_b32_e32 v29, v29, v30
	v_cmp_gt_u32_e64 s[12:13], s50, v38
	v_or_b32_e32 v49, v28, v29
	v_and_b32_e32 v29, 0x10000, v38
	v_cndmask_b32_e64 v28, 0, v27, s[12:13]
	v_add_u16_e32 v28, v28, v38
	v_cmp_gt_u32_e64 s[14:15], s50, v2
	v_cmp_ne_u32_e64 s[2:3], 0, v29
	v_cmp_gt_u32_e64 s[16:17], s50, v3
	v_cndmask_b32_e64 v29, 0, v28, s[14:15]
	v_add_u16_e32 v29, v29, v2
	v_cndmask_b32_e64 v30, 0, v29, s[16:17]
	v_add_u16_e32 v31, v30, v3
	v_cmp_gt_u32_e64 s[18:19], s50, v4
	v_cmp_gt_u32_e64 s[20:21], s50, v5
	;; [unrolled: 1-line block ×3, first 2 shown]
	v_cndmask_b32_e64 v30, 0, v31, s[18:19]
	v_add_u16_e32 v30, v30, v4
	v_cndmask_b32_e64 v32, 0, v30, s[20:21]
	v_add_u16_e32 v32, v32, v5
	;; [unrolled: 2-line block ×3, first 2 shown]
	v_cmp_gt_u32_e64 s[24:25], s50, v7
	v_cmp_gt_u32_e64 s[26:27], s50, v8
	;; [unrolled: 1-line block ×3, first 2 shown]
	v_cndmask_b32_e64 v35, 0, v33, s[24:25]
	v_add_u16_e32 v35, v35, v7
	v_cndmask_b32_e64 v36, 0, v35, s[26:27]
	v_add_u16_e32 v36, v36, v8
	;; [unrolled: 2-line block ×3, first 2 shown]
	v_cmp_gt_u32_e64 s[30:31], s50, v39
	v_and_b32_e32 v41, 0x10000, v39
	v_cmp_gt_u32_e64 s[34:35], s50, v10
	v_cndmask_b32_e64 v40, 0, v37, s[30:31]
	v_add_u16_e32 v40, v40, v39
	v_cmp_ne_u32_e64 s[52:53], 0, v41
	v_cndmask_b32_e64 v41, 0, v40, s[34:35]
	v_add_u16_e32 v42, v41, v10
	v_cmp_gt_u32_e64 s[36:37], s50, v11
	v_cmp_gt_u32_e64 s[38:39], s50, v12
	v_and_b32_e32 v52, 0x10000, v23
	v_cndmask_b32_e64 v41, 0, v42, s[36:37]
	v_add_u16_e32 v41, v41, v11
	v_cndmask_b32_e64 v43, 0, v41, s[38:39]
	v_add_u16_e32 v43, v43, v12
	v_cmp_gt_u32_e64 s[40:41], s50, v13
	v_cmp_ne_u32_e64 s[56:57], 0, v52
	v_or_b32_e32 v52, v16, v8
	v_or_b32_e32 v55, v17, v9
	;; [unrolled: 1-line block ×3, first 2 shown]
	v_cndmask_b32_e64 v44, 0, v43, s[40:41]
	v_or_b32_e32 v56, v14, v6
	v_or_b32_e32 v58, v12, v4
	;; [unrolled: 1-line block ×4, first 2 shown]
	v_bfe_u32 v57, v57, 16, 1
	v_bfe_u32 v55, v55, 16, 1
	v_and_b32_sdwa v52, v52, v53 dst_sel:DWORD dst_unused:UNUSED_PAD src0_sel:WORD_1 src1_sel:DWORD
	v_add_u16_e32 v44, v44, v13
	v_cmp_gt_u32_e64 s[42:43], s50, v14
	v_or_b32_e32 v60, v10, v2
	v_bfe_u32 v61, v61, 16, 1
	v_bfe_u32 v59, v59, 16, 1
	v_and_b32_sdwa v58, v58, v53 dst_sel:DWORD dst_unused:UNUSED_PAD src0_sel:WORD_1 src1_sel:DWORD
	v_lshlrev_b16_e32 v57, 1, v57
	v_and_b32_sdwa v56, v56, v53 dst_sel:DWORD dst_unused:UNUSED_PAD src0_sel:WORD_1 src1_sel:DWORD
	v_lshlrev_b16_e32 v55, 3, v55
	v_lshlrev_b16_e32 v52, 2, v52
	v_cndmask_b32_e64 v45, 0, v44, s[42:43]
	v_lshlrev_b16_e32 v61, 1, v61
	v_and_b32_sdwa v60, v60, v53 dst_sel:DWORD dst_unused:UNUSED_PAD src0_sel:WORD_1 src1_sel:DWORD
	v_lshlrev_b16_e32 v59, 3, v59
	v_lshlrev_b16_e32 v58, 2, v58
	v_or_b32_e32 v56, v56, v57
	v_or_b32_e32 v52, v55, v52
	v_add_u16_e32 v45, v45, v14
	v_cmp_gt_u32_e64 s[44:45], s50, v15
	v_or_b32_e32 v60, v60, v61
	v_or_b32_e32 v58, v59, v58
	;; [unrolled: 1-line block ×3, first 2 shown]
	v_cndmask_b32_e64 v46, 0, v45, s[44:45]
	v_or_b32_e32 v58, v60, v58
	v_lshlrev_b16_e32 v52, 4, v52
	v_add_u16_e32 v46, v46, v15
	v_cmp_gt_u32_e64 s[46:47], s50, v16
	v_or_b32_e32 v52, v58, v52
	v_or_b32_e32 v49, v52, v49
	v_cndmask_b32_e64 v47, 0, v46, s[46:47]
	v_mov_b32_e32 v52, 0
	v_add_u16_e32 v47, v47, v16
	v_cmp_gt_u32_e64 s[48:49], s50, v17
	v_cmp_ne_u16_sdwa s[58:59], v49, v52 src0_sel:BYTE_0 src1_sel:DWORD
	s_or_b64 s[56:57], s[56:57], s[58:59]
	v_cndmask_b32_e64 v48, 0, v47, s[48:49]
	v_add_u16_e32 v48, v48, v17
	v_cmp_gt_u32_e64 s[50:51], s50, v23
	s_or_b64 s[52:53], s[56:57], s[52:53]
	v_lshrrev_b32_e32 v50, 16, v1
	v_cndmask_b32_e64 v54, 0, v48, s[50:51]
	s_or_b64 s[2:3], s[52:53], s[2:3]
	v_cndmask_b32_e64 v52, v50, 1, s[2:3]
	v_mbcnt_hi_u32_b32 v34, -1, v34
	v_add_u16_e32 v49, v54, v23
	v_add_u16_e32 v51, v54, v23
	v_and_b32_e32 v55, 15, v34
	v_lshl_or_b32 v54, v52, 16, v49
	v_cmp_ne_u32_e64 s[2:3], 0, v55
	s_nop 0
	v_mov_b32_dpp v56, v54 row_shr:1 row_mask:0xf bank_mask:0xf
	s_and_saveexec_b64 s[52:53], s[2:3]
; %bb.213:
	v_cmp_eq_u32_e64 s[2:3], 0, v52
	v_and_b32_e32 v52, 1, v52
	v_and_b32_sdwa v53, v56, v53 dst_sel:DWORD dst_unused:UNUSED_PAD src0_sel:WORD_1 src1_sel:DWORD
	v_cndmask_b32_e64 v54, 0, v56, s[2:3]
	v_cmp_eq_u32_e64 s[2:3], 1, v52
	v_add_u16_e32 v57, v51, v54
	v_add_u16_e32 v51, v51, v54
	v_cndmask_b32_e64 v52, v53, 1, s[2:3]
	v_lshlrev_b32_e32 v53, 16, v52
	v_or_b32_e32 v54, v53, v51
	v_mov_b32_e32 v51, v57
; %bb.214:
	s_or_b64 exec, exec, s[52:53]
	v_lshrrev_b32_e32 v53, 16, v54
	v_mov_b32_dpp v56, v54 row_shr:2 row_mask:0xf bank_mask:0xf
	v_cmp_lt_u32_e64 s[2:3], 1, v55
	s_and_saveexec_b64 s[52:53], s[2:3]
	s_cbranch_execz .LBB985_216
; %bb.215:
	s_mov_b32 s2, 0x10000
	v_cmp_gt_u32_e64 s[2:3], s2, v54
	v_and_b32_e32 v52, 0x10000, v54
	v_mov_b32_e32 v54, 1
	v_cndmask_b32_e64 v53, 0, v56, s[2:3]
	v_and_b32_sdwa v54, v56, v54 dst_sel:DWORD dst_unused:UNUSED_PAD src0_sel:WORD_1 src1_sel:DWORD
	v_cmp_ne_u32_e64 s[2:3], 0, v52
	v_add_u16_e32 v57, v53, v51
	v_add_u16_e32 v51, v53, v51
	v_cndmask_b32_e64 v52, v54, 1, s[2:3]
	v_lshlrev_b32_e32 v54, 16, v52
	v_or_b32_e32 v54, v54, v51
	v_mov_b32_e32 v53, v52
	v_mov_b32_e32 v51, v57
.LBB985_216:
	s_or_b64 exec, exec, s[52:53]
	v_mov_b32_dpp v56, v54 row_shr:4 row_mask:0xf bank_mask:0xf
	v_cmp_lt_u32_e64 s[2:3], 3, v55
	s_and_saveexec_b64 s[52:53], s[2:3]
	s_cbranch_execz .LBB985_218
; %bb.217:
	v_mov_b32_e32 v52, 0
	v_cmp_eq_u16_sdwa s[2:3], v53, v52 src0_sel:BYTE_0 src1_sel:DWORD
	v_and_b32_e32 v52, 1, v53
	v_mov_b32_e32 v53, 1
	v_cndmask_b32_e64 v54, 0, v56, s[2:3]
	v_and_b32_sdwa v53, v56, v53 dst_sel:DWORD dst_unused:UNUSED_PAD src0_sel:WORD_1 src1_sel:DWORD
	v_cmp_eq_u32_e64 s[2:3], 1, v52
	v_add_u16_e32 v57, v54, v51
	v_add_u16_e32 v51, v54, v51
	v_cndmask_b32_e64 v52, v53, 1, s[2:3]
	v_lshlrev_b32_e32 v53, 16, v52
	v_or_b32_e32 v54, v53, v51
	v_mov_b32_e32 v53, v52
	v_mov_b32_e32 v51, v57
.LBB985_218:
	s_or_b64 exec, exec, s[52:53]
	v_mov_b32_dpp v56, v54 row_shr:8 row_mask:0xf bank_mask:0xf
	v_cmp_lt_u32_e64 s[2:3], 7, v55
	s_and_saveexec_b64 s[52:53], s[2:3]
	s_cbranch_execz .LBB985_220
; %bb.219:
	v_mov_b32_e32 v52, 0
	v_cmp_eq_u16_sdwa s[2:3], v53, v52 src0_sel:BYTE_0 src1_sel:DWORD
	v_and_b32_e32 v52, 1, v53
	v_mov_b32_e32 v53, 1
	v_cndmask_b32_e64 v54, 0, v56, s[2:3]
	v_and_b32_sdwa v53, v56, v53 dst_sel:DWORD dst_unused:UNUSED_PAD src0_sel:WORD_1 src1_sel:DWORD
	v_cmp_eq_u32_e64 s[2:3], 1, v52
	v_add_u16_e32 v55, v54, v51
	v_add_u16_e32 v51, v54, v51
	v_cndmask_b32_e64 v52, v53, 1, s[2:3]
	v_lshlrev_b32_e32 v53, 16, v52
	v_or_b32_e32 v54, v53, v51
	v_mov_b32_e32 v53, v52
	v_mov_b32_e32 v51, v55
.LBB985_220:
	s_or_b64 exec, exec, s[52:53]
	v_and_b32_e32 v56, 16, v34
	v_mov_b32_dpp v55, v54 row_bcast:15 row_mask:0xf bank_mask:0xf
	v_cmp_ne_u32_e64 s[2:3], 0, v56
	s_and_saveexec_b64 s[52:53], s[2:3]
	s_cbranch_execz .LBB985_222
; %bb.221:
	v_mov_b32_e32 v52, 0
	v_cmp_eq_u16_sdwa s[2:3], v53, v52 src0_sel:BYTE_0 src1_sel:DWORD
	v_and_b32_e32 v52, 1, v53
	v_mov_b32_e32 v53, 1
	v_cndmask_b32_e64 v54, 0, v55, s[2:3]
	v_and_b32_sdwa v53, v55, v53 dst_sel:DWORD dst_unused:UNUSED_PAD src0_sel:WORD_1 src1_sel:DWORD
	v_cmp_eq_u32_e64 s[2:3], 1, v52
	v_add_u16_e32 v56, v54, v51
	v_add_u16_e32 v51, v54, v51
	v_cndmask_b32_e64 v52, v53, 1, s[2:3]
	v_lshlrev_b32_e32 v53, 16, v52
	v_or_b32_e32 v54, v53, v51
	v_mov_b32_e32 v51, v56
	v_mov_b32_e32 v53, v52
.LBB985_222:
	s_or_b64 exec, exec, s[52:53]
	v_mov_b32_dpp v54, v54 row_bcast:31 row_mask:0xf bank_mask:0xf
	v_cmp_lt_u32_e64 s[2:3], 31, v34
	s_and_saveexec_b64 s[52:53], s[2:3]
; %bb.223:
	v_mov_b32_e32 v52, 0
	v_cmp_eq_u16_sdwa s[2:3], v53, v52 src0_sel:BYTE_0 src1_sel:DWORD
	s_nop 1
	v_cndmask_b32_e64 v52, 0, v54, s[2:3]
	v_add_u16_e32 v51, v52, v51
	v_and_b32_e32 v52, 1, v53
	v_mov_b32_e32 v53, 1
	v_and_b32_sdwa v53, v54, v53 dst_sel:DWORD dst_unused:UNUSED_PAD src0_sel:WORD_1 src1_sel:DWORD
	v_cmp_eq_u32_e64 s[2:3], 1, v52
	s_nop 1
	v_cndmask_b32_e64 v52, v53, 1, s[2:3]
; %bb.224:
	s_or_b64 exec, exec, s[52:53]
	v_or_b32_e32 v54, 63, v0
	v_lshrrev_b32_e32 v53, 6, v0
	v_cmp_eq_u32_e64 s[2:3], v54, v0
	s_and_saveexec_b64 s[52:53], s[2:3]
	s_cbranch_execz .LBB985_226
; %bb.225:
	v_lshlrev_b32_e32 v54, 2, v53
	ds_write_b16 v54, v51
	ds_write_b8 v54, v52 offset:2
.LBB985_226:
	s_or_b64 exec, exec, s[52:53]
	v_cmp_gt_u32_e64 s[2:3], 4, v0
	s_waitcnt lgkmcnt(0)
	s_barrier
	s_and_saveexec_b64 s[52:53], s[2:3]
	s_cbranch_execz .LBB985_232
; %bb.227:
	v_lshlrev_b32_e32 v54, 2, v0
	ds_read_b32 v55, v54
	v_and_b32_e32 v58, 3, v34
	v_cmp_ne_u32_e64 s[2:3], 0, v58
	s_waitcnt lgkmcnt(0)
	v_lshrrev_b32_e32 v57, 16, v55
	v_mov_b32_dpp v59, v55 row_shr:1 row_mask:0xf bank_mask:0xf
	v_mov_b32_e32 v56, v55
	s_and_saveexec_b64 s[56:57], s[2:3]
	s_cbranch_execz .LBB985_229
; %bb.228:
	v_mov_b32_e32 v56, 0
	v_cmp_eq_u16_sdwa s[2:3], v57, v56 src0_sel:BYTE_0 src1_sel:DWORD
	v_and_b32_e32 v57, 0x10000, v55
	v_mov_b32_e32 v62, 1
	v_cndmask_b32_e64 v61, 0, v59, s[2:3]
	v_and_b32_sdwa v59, v59, v62 dst_sel:DWORD dst_unused:UNUSED_PAD src0_sel:WORD_1 src1_sel:DWORD
	v_cmp_ne_u32_e64 s[2:3], 0, v57
	v_and_b32_e32 v60, 0xff000000, v55
	v_add_u16_e32 v56, v61, v55
	v_cndmask_b32_e64 v57, v59, 1, s[2:3]
	v_lshlrev_b32_e32 v59, 16, v57
	v_add_u16_e32 v55, v61, v55
	v_or3_b32 v55, v59, v60, v55
.LBB985_229:
	s_or_b64 exec, exec, s[56:57]
	s_nop 0
	v_mov_b32_dpp v59, v55 row_shr:2 row_mask:0xf bank_mask:0xf
	v_cmp_lt_u32_e64 s[2:3], 1, v58
	s_and_saveexec_b64 s[56:57], s[2:3]
; %bb.230:
	v_and_b32_e32 v57, 0xff0000, v55
	v_cmp_eq_u32_e64 s[2:3], 0, v57
	v_and_b32_e32 v55, 0x10000, v55
	s_nop 0
	v_cndmask_b32_e64 v57, 0, v59, s[2:3]
	v_add_u16_e32 v56, v57, v56
	v_mov_b32_e32 v57, 1
	v_and_b32_sdwa v57, v59, v57 dst_sel:DWORD dst_unused:UNUSED_PAD src0_sel:WORD_1 src1_sel:DWORD
	v_cmp_eq_u32_e64 s[2:3], 0, v55
	s_nop 1
	v_cndmask_b32_e64 v57, 1, v57, s[2:3]
; %bb.231:
	s_or_b64 exec, exec, s[56:57]
	ds_write_b16 v54, v56
	ds_write_b8 v54, v57 offset:2
.LBB985_232:
	s_or_b64 exec, exec, s[52:53]
	v_cmp_lt_u32_e64 s[2:3], 63, v0
	v_mov_b32_e32 v54, 0
	s_waitcnt lgkmcnt(0)
	s_barrier
	s_and_saveexec_b64 s[52:53], s[2:3]
	s_cbranch_execz .LBB985_234
; %bb.233:
	v_lshl_add_u32 v53, v53, 2, -4
	ds_read_u16 v54, v53
	ds_read_u8 v53, v53 offset:2
	v_mov_b32_e32 v55, 0
	v_and_b32_e32 v56, 1, v52
	v_cmp_eq_u16_sdwa s[2:3], v52, v55 src0_sel:BYTE_0 src1_sel:DWORD
	s_waitcnt lgkmcnt(1)
	s_nop 0
	v_cndmask_b32_e64 v52, 0, v54, s[2:3]
	v_cmp_eq_u32_e64 s[2:3], 1, v56
	v_add_u16_e32 v51, v52, v51
	s_waitcnt lgkmcnt(0)
	v_cndmask_b32_e64 v52, v53, 1, s[2:3]
.LBB985_234:
	s_or_b64 exec, exec, s[52:53]
	v_and_b32_e32 v52, 0xff, v52
	v_and_b32_e32 v51, 0xffff, v51
	v_lshl_or_b32 v51, v52, 16, v51
	v_add_u32_e32 v52, -1, v34
	v_and_b32_e32 v53, 64, v34
	v_cmp_lt_i32_e64 s[2:3], v52, v53
	s_nop 1
	v_cndmask_b32_e64 v52, v52, v34, s[2:3]
	v_lshlrev_b32_e32 v52, 2, v52
	ds_bpermute_b32 v51, v52, v51
	s_and_saveexec_b64 s[2:3], s[0:1]
	s_cbranch_execz .LBB985_236
; %bb.235:
	v_cmp_eq_u32_e64 s[0:1], 0, v34
	v_and_b32_e32 v25, 0xff0000, v1
	v_mov_b32_e32 v50, 0
	s_waitcnt lgkmcnt(0)
	v_cndmask_b32_e64 v24, v51, v54, s[0:1]
	v_and_b32_e32 v24, 0xffff, v24
	v_cmp_eq_u32_e64 s[0:1], 0, v25
	;;#ASMSTART
	;;#ASMEND
	s_nop 1
	v_cndmask_b32_e64 v24, 0, v24, s[0:1]
	v_add_u32_e32 v1, v24, v1
	v_cndmask_b32_e64 v24, 0, v1, s[4:5]
	v_add_u16_e32 v24, v24, v18
	v_cndmask_b32_e64 v18, 0, v24, s[6:7]
	v_add_u16_e32 v25, v18, v19
	;; [unrolled: 2-line block ×23, first 2 shown]
.LBB985_236:
	s_or_b64 exec, exec, s[2:3]
	s_and_saveexec_b64 s[0:1], vcc
	s_cbranch_execz .LBB985_238
; %bb.237:
	v_mov_b32_e32 v4, 0
	ds_read_u8 v2, v4 offset:14
	ds_read_u16 v3, v4 offset:12
	s_waitcnt lgkmcnt(1)
	v_lshlrev_b32_e32 v2, 16, v2
	s_waitcnt lgkmcnt(0)
	v_or_b32_e32 v2, v2, v3
	v_mov_b32_e32 v3, 2
	global_store_dwordx2 v4, v[2:3], s[64:65] offset:512 sc1
.LBB985_238:
	s_or_b64 exec, exec, s[0:1]
	v_lshl_or_b32 v50, v50, 16, v1
.LBB985_239:
	s_waitcnt lgkmcnt(0)
	s_add_u32 s0, s62, s68
	s_addc_u32 s1, s63, s69
	s_add_u32 s0, s0, s60
	s_addc_u32 s1, s1, s61
	s_and_b64 vcc, exec, s[54:55]
	v_mul_u32_u24_e32 v4, 24, v0
	s_cbranch_vccz .LBB985_291
; %bb.240:
	s_add_i32 s33, s33, s66
	v_cmp_le_u32_e32 vcc, s33, v4
                                        ; implicit-def: $vgpr1
                                        ; implicit-def: $vgpr2
                                        ; implicit-def: $vgpr3
                                        ; implicit-def: $vgpr5
                                        ; implicit-def: $vgpr6
                                        ; implicit-def: $vgpr7
                                        ; implicit-def: $vgpr8
	s_and_saveexec_b64 s[2:3], vcc
	s_xor_b64 s[2:3], exec, s[2:3]
; %bb.241:
	v_or_b32_e32 v1, 1, v4
	v_or_b32_e32 v2, 2, v4
	;; [unrolled: 1-line block ×7, first 2 shown]
; %bb.242:
	s_andn2_saveexec_b64 s[2:3], s[2:3]
; %bb.243:
	v_or_b32_e32 v1, 1, v4
	v_or_b32_e32 v2, 2, v4
	;; [unrolled: 1-line block ×7, first 2 shown]
; %bb.244:
	s_or_b64 exec, exec, s[2:3]
	v_lshlrev_b32_e32 v39, 1, v4
	v_lshlrev_b32_e32 v1, 1, v1
	s_barrier
	ds_write_b16 v39, v50
	ds_write_b16 v1, v24
	v_lshlrev_b32_e32 v1, 1, v2
	ds_write_b16 v1, v25
	v_lshlrev_b32_e32 v1, 1, v3
	;; [unrolled: 2-line block ×5, first 2 shown]
	s_mov_b32 s2, 0x5040100
	ds_write_b16 v1, v29
	v_lshlrev_b32_e32 v1, 1, v8
	v_perm_b32 v9, v42, v40, s2
	v_perm_b32 v8, v37, v36, s2
	v_perm_b32 v7, v35, v33, s2
	v_perm_b32 v6, v32, v30, s2
	ds_write_b16 v1, v31
	ds_write_b128 v39, v[6:9] offset:16
	v_perm_b32 v9, v49, v48, s2
	v_perm_b32 v8, v47, v46, s2
	;; [unrolled: 1-line block ×4, first 2 shown]
	s_movk_i32 s2, 0xffd2
	v_mad_i32_i24 v2, v0, s2, v39
	ds_write_b128 v39, v[6:9] offset:32
	s_waitcnt lgkmcnt(0)
	s_barrier
	ds_read_u16 v53, v2 offset:512
	ds_read_u16 v52, v2 offset:1024
	;; [unrolled: 1-line block ×23, first 2 shown]
	v_mov_b32_e32 v23, 0
	v_lshl_add_u64 v[2:3], s[0:1], 0, v[22:23]
	v_cmp_gt_u32_e32 vcc, s33, v0
	s_and_saveexec_b64 s[2:3], vcc
	s_cbranch_execz .LBB985_246
; %bb.245:
	v_mul_i32_i24_e32 v54, 0xffffffd2, v0
	v_add_u32_e32 v39, v39, v54
	ds_read_u16 v39, v39
	s_waitcnt lgkmcnt(0)
	flat_store_short v[2:3], v39
.LBB985_246:
	s_or_b64 exec, exec, s[2:3]
	v_or_b32_e32 v39, 0x100, v0
	v_cmp_gt_u32_e32 vcc, s33, v39
	s_and_saveexec_b64 s[2:3], vcc
	s_cbranch_execz .LBB985_248
; %bb.247:
	s_waitcnt lgkmcnt(0)
	flat_store_short v[2:3], v53 offset:512
.LBB985_248:
	s_or_b64 exec, exec, s[2:3]
	v_or_b32_e32 v39, 0x200, v0
	v_cmp_gt_u32_e32 vcc, s33, v39
	s_and_saveexec_b64 s[2:3], vcc
	s_cbranch_execz .LBB985_250
; %bb.249:
	s_waitcnt lgkmcnt(0)
	flat_store_short v[2:3], v52 offset:1024
.LBB985_250:
	;; [unrolled: 9-line block ×4, first 2 shown]
	s_or_b64 exec, exec, s[2:3]
	s_waitcnt lgkmcnt(0)
	v_or_b32_e32 v38, 0x500, v0
	v_cmp_gt_u32_e32 vcc, s33, v38
	s_and_saveexec_b64 s[2:3], vcc
	s_cbranch_execz .LBB985_256
; %bb.255:
	flat_store_short v[2:3], v34 offset:2560
.LBB985_256:
	s_or_b64 exec, exec, s[2:3]
	v_or_b32_e32 v34, 0x600, v0
	v_cmp_gt_u32_e32 vcc, s33, v34
	s_and_saveexec_b64 s[2:3], vcc
	s_cbranch_execz .LBB985_258
; %bb.257:
	flat_store_short v[2:3], v21 offset:3072
.LBB985_258:
	s_or_b64 exec, exec, s[2:3]
	;; [unrolled: 8-line block ×3, first 2 shown]
	v_or_b32_e32 v20, 0x800, v0
	v_cmp_gt_u32_e32 vcc, s33, v20
	s_and_saveexec_b64 s[2:3], vcc
	s_cbranch_execz .LBB985_262
; %bb.261:
	v_add_co_u32_e32 v20, vcc, 0x1000, v2
	s_nop 1
	v_addc_co_u32_e32 v21, vcc, 0, v3, vcc
	flat_store_short v[20:21], v19
.LBB985_262:
	s_or_b64 exec, exec, s[2:3]
	v_or_b32_e32 v19, 0x900, v0
	v_cmp_gt_u32_e32 vcc, s33, v19
	s_and_saveexec_b64 s[2:3], vcc
	s_cbranch_execz .LBB985_264
; %bb.263:
	v_add_co_u32_e32 v20, vcc, 0x1000, v2
	s_nop 1
	v_addc_co_u32_e32 v21, vcc, 0, v3, vcc
	flat_store_short v[20:21], v18 offset:512
.LBB985_264:
	s_or_b64 exec, exec, s[2:3]
	v_or_b32_e32 v18, 0xa00, v0
	v_cmp_gt_u32_e32 vcc, s33, v18
	s_and_saveexec_b64 s[2:3], vcc
	s_cbranch_execz .LBB985_266
; %bb.265:
	v_add_co_u32_e32 v18, vcc, 0x1000, v2
	s_nop 1
	v_addc_co_u32_e32 v19, vcc, 0, v3, vcc
	flat_store_short v[18:19], v17 offset:1024
.LBB985_266:
	;; [unrolled: 11-line block ×7, first 2 shown]
	s_or_b64 exec, exec, s[2:3]
	v_or_b32_e32 v12, 0x1000, v0
	v_cmp_gt_u32_e32 vcc, s33, v12
	s_and_saveexec_b64 s[2:3], vcc
	s_cbranch_execz .LBB985_278
; %bb.277:
	v_add_co_u32_e32 v12, vcc, 0x2000, v2
	s_nop 1
	v_addc_co_u32_e32 v13, vcc, 0, v3, vcc
	flat_store_short v[12:13], v11
.LBB985_278:
	s_or_b64 exec, exec, s[2:3]
	v_or_b32_e32 v11, 0x1100, v0
	v_cmp_gt_u32_e32 vcc, s33, v11
	s_and_saveexec_b64 s[2:3], vcc
	s_cbranch_execz .LBB985_280
; %bb.279:
	v_add_co_u32_e32 v12, vcc, 0x2000, v2
	s_nop 1
	v_addc_co_u32_e32 v13, vcc, 0, v3, vcc
	flat_store_short v[12:13], v10 offset:512
.LBB985_280:
	s_or_b64 exec, exec, s[2:3]
	v_or_b32_e32 v10, 0x1200, v0
	v_cmp_gt_u32_e32 vcc, s33, v10
	s_and_saveexec_b64 s[2:3], vcc
	s_cbranch_execz .LBB985_282
; %bb.281:
	v_add_co_u32_e32 v10, vcc, 0x2000, v2
	s_nop 1
	v_addc_co_u32_e32 v11, vcc, 0, v3, vcc
	flat_store_short v[10:11], v9 offset:1024
.LBB985_282:
	;; [unrolled: 11-line block ×6, first 2 shown]
	s_or_b64 exec, exec, s[2:3]
	v_or_b32_e32 v2, 0x1700, v0
	v_mov_b32_e32 v1, v23
	v_cmp_gt_u32_e64 s[2:3], s33, v2
	s_branch .LBB985_293
.LBB985_291:
	s_mov_b64 s[2:3], 0
                                        ; implicit-def: $vgpr5
	s_cbranch_execz .LBB985_293
; %bb.292:
	s_mov_b32 s4, 0x5040100
	v_lshlrev_b32_e32 v6, 1, v4
	v_perm_b32 v5, v31, v29, s4
	v_perm_b32 v4, v28, v27, s4
	;; [unrolled: 1-line block ×4, first 2 shown]
	s_waitcnt lgkmcnt(0)
	s_barrier
	ds_write_b128 v6, v[2:5]
	v_perm_b32 v5, v42, v40, s4
	v_perm_b32 v4, v37, v36, s4
	v_perm_b32 v3, v35, v33, s4
	v_perm_b32 v2, v32, v30, s4
	ds_write_b128 v6, v[2:5] offset:16
	v_perm_b32 v4, v47, v46, s4
	v_perm_b32 v3, v45, v44, s4
	;; [unrolled: 1-line block ×4, first 2 shown]
	v_mov_b32_e32 v1, 0
	s_movk_i32 s4, 0xffd2
	ds_write_b128 v6, v[2:5] offset:32
	v_mad_i32_i24 v2, v0, s4, v6
	v_mov_b32_e32 v23, v1
	s_waitcnt lgkmcnt(0)
	s_barrier
	ds_read_u16 v4, v2
	ds_read_u16 v6, v2 offset:512
	ds_read_u16 v7, v2 offset:1024
	ds_read_u16 v8, v2 offset:1536
	ds_read_u16 v9, v2 offset:2048
	ds_read_u16 v10, v2 offset:2560
	ds_read_u16 v11, v2 offset:3072
	ds_read_u16 v12, v2 offset:3584
	ds_read_u16 v13, v2 offset:4096
	ds_read_u16 v14, v2 offset:4608
	ds_read_u16 v15, v2 offset:5120
	ds_read_u16 v16, v2 offset:5632
	ds_read_u16 v17, v2 offset:6144
	ds_read_u16 v18, v2 offset:6656
	ds_read_u16 v19, v2 offset:7168
	ds_read_u16 v20, v2 offset:7680
	ds_read_u16 v21, v2 offset:8192
	ds_read_u16 v24, v2 offset:8704
	ds_read_u16 v25, v2 offset:9216
	ds_read_u16 v26, v2 offset:9728
	ds_read_u16 v27, v2 offset:10240
	ds_read_u16 v28, v2 offset:10752
	ds_read_u16 v29, v2 offset:11264
	ds_read_u16 v5, v2 offset:11776
	v_lshl_add_u64 v[2:3], s[0:1], 0, v[22:23]
	s_movk_i32 s4, 0x1000
	s_waitcnt lgkmcnt(0)
	flat_store_short v[2:3], v4
	flat_store_short v[2:3], v6 offset:512
	flat_store_short v[2:3], v7 offset:1024
	;; [unrolled: 1-line block ×7, first 2 shown]
	v_add_co_u32_e32 v6, vcc, s4, v2
	s_or_b64 s[2:3], s[2:3], exec
	s_nop 0
	v_addc_co_u32_e32 v7, vcc, 0, v3, vcc
	v_add_co_u32_e32 v2, vcc, 0x2000, v2
	flat_store_short v[6:7], v13
	flat_store_short v[6:7], v14 offset:512
	flat_store_short v[6:7], v15 offset:1024
	;; [unrolled: 1-line block ×7, first 2 shown]
	v_addc_co_u32_e32 v3, vcc, 0, v3, vcc
	flat_store_short v[2:3], v21
	flat_store_short v[2:3], v24 offset:512
	flat_store_short v[2:3], v25 offset:1024
	;; [unrolled: 1-line block ×6, first 2 shown]
.LBB985_293:
	s_and_saveexec_b64 s[4:5], s[2:3]
	s_cbranch_execnz .LBB985_295
; %bb.294:
	s_endpgm
.LBB985_295:
	v_lshl_add_u64 v[0:1], v[0:1], 1, s[0:1]
	v_add_co_u32_e32 v0, vcc, 0x2000, v0
	s_nop 1
	v_addc_co_u32_e32 v1, vcc, 0, v1, vcc
	flat_store_short v[0:1], v5 offset:3584
	s_endpgm
.LBB985_296:
	global_load_ushort v10, v15, s[72:73]
	s_waitcnt vmcnt(0)
	v_sub_u16_e32 v10, 0, v10
	s_or_b64 exec, exec, s[56:57]
                                        ; implicit-def: $vgpr18
	s_and_saveexec_b64 s[4:5], s[6:7]
	s_cbranch_execz .LBB985_57
.LBB985_297:
	global_load_ushort v18, v15, s[72:73] offset:512
	s_waitcnt vmcnt(0)
	v_sub_u16_e32 v18, 0, v18
	s_or_b64 exec, exec, s[4:5]
                                        ; implicit-def: $vgpr20
	s_and_saveexec_b64 s[4:5], s[8:9]
	s_cbranch_execz .LBB985_58
.LBB985_298:
	global_load_ushort v20, v15, s[72:73] offset:1024
	s_waitcnt vmcnt(0)
	v_sub_u16_e32 v20, 0, v20
	s_or_b64 exec, exec, s[4:5]
                                        ; implicit-def: $vgpr21
	s_and_saveexec_b64 s[4:5], s[10:11]
	s_cbranch_execz .LBB985_59
.LBB985_299:
	global_load_ushort v21, v15, s[72:73] offset:1536
	s_waitcnt vmcnt(0)
	v_sub_u16_e32 v21, 0, v21
	s_or_b64 exec, exec, s[4:5]
                                        ; implicit-def: $vgpr35
	s_and_saveexec_b64 s[4:5], s[12:13]
	s_cbranch_execz .LBB985_60
.LBB985_300:
	global_load_ushort v35, v15, s[72:73] offset:2048
	s_waitcnt vmcnt(0)
	v_sub_u16_e32 v35, 0, v35
	s_or_b64 exec, exec, s[4:5]
                                        ; implicit-def: $vgpr36
	s_and_saveexec_b64 s[4:5], s[14:15]
	s_cbranch_execz .LBB985_61
.LBB985_301:
	global_load_ushort v36, v15, s[72:73] offset:2560
	s_waitcnt vmcnt(0)
	v_sub_u16_e32 v36, 0, v36
	s_or_b64 exec, exec, s[4:5]
                                        ; implicit-def: $vgpr37
	s_and_saveexec_b64 s[4:5], s[16:17]
	s_cbranch_execz .LBB985_62
.LBB985_302:
	global_load_ushort v37, v15, s[72:73] offset:3072
	s_waitcnt vmcnt(0)
	v_sub_u16_e32 v37, 0, v37
	s_or_b64 exec, exec, s[4:5]
                                        ; implicit-def: $vgpr38
	s_and_saveexec_b64 s[4:5], s[18:19]
	s_cbranch_execz .LBB985_63
.LBB985_303:
	global_load_ushort v38, v15, s[72:73] offset:3584
	s_waitcnt vmcnt(0)
	v_sub_u16_e32 v38, 0, v38
	s_or_b64 exec, exec, s[4:5]
                                        ; implicit-def: $vgpr39
	s_and_saveexec_b64 s[4:5], s[20:21]
	s_cbranch_execz .LBB985_64
.LBB985_304:
	v_lshlrev_b32_e32 v1, 1, v1
	global_load_ushort v1, v1, s[72:73]
	s_waitcnt vmcnt(0)
	v_sub_u16_e32 v39, 0, v1
	s_or_b64 exec, exec, s[4:5]
                                        ; implicit-def: $vgpr1
	s_and_saveexec_b64 s[4:5], s[22:23]
	s_cbranch_execz .LBB985_65
.LBB985_305:
	v_lshlrev_b32_e32 v1, 1, v2
	global_load_ushort v1, v1, s[72:73]
	s_waitcnt vmcnt(0)
	v_sub_u16_e32 v1, 0, v1
	s_or_b64 exec, exec, s[4:5]
                                        ; implicit-def: $vgpr2
	s_and_saveexec_b64 s[4:5], s[24:25]
	s_cbranch_execz .LBB985_66
.LBB985_306:
	v_lshlrev_b32_e32 v2, 1, v3
	global_load_ushort v2, v2, s[72:73]
	s_waitcnt vmcnt(0)
	v_sub_u16_e32 v2, 0, v2
	s_or_b64 exec, exec, s[4:5]
                                        ; implicit-def: $vgpr3
	s_and_saveexec_b64 s[4:5], s[26:27]
	s_cbranch_execz .LBB985_67
.LBB985_307:
	v_lshlrev_b32_e32 v3, 1, v4
	global_load_ushort v3, v3, s[72:73]
	s_waitcnt vmcnt(0)
	v_sub_u16_e32 v3, 0, v3
	s_or_b64 exec, exec, s[4:5]
                                        ; implicit-def: $vgpr4
	s_and_saveexec_b64 s[4:5], s[28:29]
	s_cbranch_execz .LBB985_68
.LBB985_308:
	v_lshlrev_b32_e32 v4, 1, v5
	global_load_ushort v4, v4, s[72:73]
	s_waitcnt vmcnt(0)
	v_sub_u16_e32 v4, 0, v4
	s_or_b64 exec, exec, s[4:5]
                                        ; implicit-def: $vgpr5
	s_and_saveexec_b64 s[4:5], s[30:31]
	s_cbranch_execz .LBB985_69
.LBB985_309:
	v_lshlrev_b32_e32 v5, 1, v6
	global_load_ushort v5, v5, s[72:73]
	s_waitcnt vmcnt(0)
	v_sub_u16_e32 v5, 0, v5
	s_or_b64 exec, exec, s[4:5]
                                        ; implicit-def: $vgpr6
	s_and_saveexec_b64 s[4:5], s[34:35]
	s_cbranch_execz .LBB985_70
.LBB985_310:
	v_lshlrev_b32_e32 v6, 1, v7
	global_load_ushort v6, v6, s[72:73]
	s_waitcnt vmcnt(0)
	v_sub_u16_e32 v6, 0, v6
	s_or_b64 exec, exec, s[4:5]
                                        ; implicit-def: $vgpr7
	s_and_saveexec_b64 s[4:5], s[36:37]
	s_cbranch_execz .LBB985_71
.LBB985_311:
	v_lshlrev_b32_e32 v7, 1, v8
	global_load_ushort v7, v7, s[72:73]
	s_waitcnt vmcnt(0)
	v_sub_u16_e32 v7, 0, v7
	s_or_b64 exec, exec, s[4:5]
                                        ; implicit-def: $vgpr8
	s_and_saveexec_b64 s[4:5], s[38:39]
	s_cbranch_execz .LBB985_72
.LBB985_312:
	v_lshlrev_b32_e32 v8, 1, v9
	global_load_ushort v8, v8, s[72:73]
	s_waitcnt vmcnt(0)
	v_sub_u16_e32 v8, 0, v8
	s_or_b64 exec, exec, s[4:5]
                                        ; implicit-def: $vgpr9
	s_and_saveexec_b64 s[4:5], s[40:41]
	s_cbranch_execz .LBB985_73
.LBB985_313:
	v_lshlrev_b32_e32 v9, 1, v11
	global_load_ushort v9, v9, s[72:73]
	s_waitcnt vmcnt(0)
	v_sub_u16_e32 v9, 0, v9
	s_or_b64 exec, exec, s[4:5]
                                        ; implicit-def: $vgpr11
	s_and_saveexec_b64 s[4:5], s[42:43]
	s_cbranch_execz .LBB985_74
.LBB985_314:
	v_lshlrev_b32_e32 v11, 1, v12
	global_load_ushort v11, v11, s[72:73]
	s_waitcnt vmcnt(0)
	v_sub_u16_e32 v11, 0, v11
	s_or_b64 exec, exec, s[4:5]
                                        ; implicit-def: $vgpr12
	s_and_saveexec_b64 s[4:5], s[44:45]
	s_cbranch_execz .LBB985_75
.LBB985_315:
	v_lshlrev_b32_e32 v12, 1, v13
	global_load_ushort v12, v12, s[72:73]
	s_waitcnt vmcnt(0)
	v_sub_u16_e32 v12, 0, v12
	s_or_b64 exec, exec, s[4:5]
                                        ; implicit-def: $vgpr13
	s_and_saveexec_b64 s[4:5], s[46:47]
	s_cbranch_execz .LBB985_76
.LBB985_316:
	v_lshlrev_b32_e32 v13, 1, v14
	global_load_ushort v13, v13, s[72:73]
	s_waitcnt vmcnt(0)
	v_sub_u16_e32 v13, 0, v13
	s_or_b64 exec, exec, s[4:5]
                                        ; implicit-def: $vgpr14
	s_and_saveexec_b64 s[4:5], s[48:49]
	s_cbranch_execz .LBB985_77
.LBB985_317:
	v_lshlrev_b32_e32 v14, 1, v16
	global_load_ushort v14, v14, s[72:73]
	s_waitcnt vmcnt(0)
	v_sub_u16_e32 v14, 0, v14
	s_or_b64 exec, exec, s[4:5]
                                        ; implicit-def: $vgpr16
	s_and_saveexec_b64 s[4:5], s[50:51]
	s_cbranch_execz .LBB985_78
.LBB985_318:
	v_lshlrev_b32_e32 v16, 1, v17
	global_load_ushort v16, v16, s[72:73]
	s_waitcnt vmcnt(0)
	v_sub_u16_e32 v16, 0, v16
	s_or_b64 exec, exec, s[4:5]
                                        ; implicit-def: $vgpr17
	s_and_saveexec_b64 s[4:5], s[52:53]
	s_cbranch_execnz .LBB985_79
	s_branch .LBB985_80
.LBB985_319:
                                        ; implicit-def: $sgpr56_sgpr57
	s_branch .LBB985_52
.LBB985_320:
                                        ; implicit-def: $sgpr4_sgpr5
	s_branch .LBB985_131
	.section	.rodata,"a",@progbits
	.p2align	6, 0x0
	.amdhsa_kernel _ZN7rocprim17ROCPRIM_400000_NS6detail17trampoline_kernelINS0_14default_configENS1_27scan_by_key_config_selectorIssEEZZNS1_16scan_by_key_implILNS1_25lookback_scan_determinismE0ELb0ES3_N6thrust23THRUST_200600_302600_NS6detail15normal_iteratorINS9_10device_ptrIsEEEENS9_18transform_iteratorINS9_6negateIsEESE_NS9_11use_defaultESI_EESE_sNS9_4plusIvEENS9_8equal_toIvEEsEE10hipError_tPvRmT2_T3_T4_T5_mT6_T7_P12ihipStream_tbENKUlT_T0_E_clISt17integral_constantIbLb1EES13_IbLb0EEEEDaSZ_S10_EUlSZ_E_NS1_11comp_targetILNS1_3genE5ELNS1_11target_archE942ELNS1_3gpuE9ELNS1_3repE0EEENS1_30default_config_static_selectorELNS0_4arch9wavefront6targetE1EEEvT1_
		.amdhsa_group_segment_fixed_size 13312
		.amdhsa_private_segment_fixed_size 0
		.amdhsa_kernarg_size 120
		.amdhsa_user_sgpr_count 2
		.amdhsa_user_sgpr_dispatch_ptr 0
		.amdhsa_user_sgpr_queue_ptr 0
		.amdhsa_user_sgpr_kernarg_segment_ptr 1
		.amdhsa_user_sgpr_dispatch_id 0
		.amdhsa_user_sgpr_kernarg_preload_length 0
		.amdhsa_user_sgpr_kernarg_preload_offset 0
		.amdhsa_user_sgpr_private_segment_size 0
		.amdhsa_uses_dynamic_stack 0
		.amdhsa_enable_private_segment 0
		.amdhsa_system_sgpr_workgroup_id_x 1
		.amdhsa_system_sgpr_workgroup_id_y 0
		.amdhsa_system_sgpr_workgroup_id_z 0
		.amdhsa_system_sgpr_workgroup_info 0
		.amdhsa_system_vgpr_workitem_id 0
		.amdhsa_next_free_vgpr 63
		.amdhsa_next_free_sgpr 88
		.amdhsa_accum_offset 64
		.amdhsa_reserve_vcc 1
		.amdhsa_float_round_mode_32 0
		.amdhsa_float_round_mode_16_64 0
		.amdhsa_float_denorm_mode_32 3
		.amdhsa_float_denorm_mode_16_64 3
		.amdhsa_dx10_clamp 1
		.amdhsa_ieee_mode 1
		.amdhsa_fp16_overflow 0
		.amdhsa_tg_split 0
		.amdhsa_exception_fp_ieee_invalid_op 0
		.amdhsa_exception_fp_denorm_src 0
		.amdhsa_exception_fp_ieee_div_zero 0
		.amdhsa_exception_fp_ieee_overflow 0
		.amdhsa_exception_fp_ieee_underflow 0
		.amdhsa_exception_fp_ieee_inexact 0
		.amdhsa_exception_int_div_zero 0
	.end_amdhsa_kernel
	.section	.text._ZN7rocprim17ROCPRIM_400000_NS6detail17trampoline_kernelINS0_14default_configENS1_27scan_by_key_config_selectorIssEEZZNS1_16scan_by_key_implILNS1_25lookback_scan_determinismE0ELb0ES3_N6thrust23THRUST_200600_302600_NS6detail15normal_iteratorINS9_10device_ptrIsEEEENS9_18transform_iteratorINS9_6negateIsEESE_NS9_11use_defaultESI_EESE_sNS9_4plusIvEENS9_8equal_toIvEEsEE10hipError_tPvRmT2_T3_T4_T5_mT6_T7_P12ihipStream_tbENKUlT_T0_E_clISt17integral_constantIbLb1EES13_IbLb0EEEEDaSZ_S10_EUlSZ_E_NS1_11comp_targetILNS1_3genE5ELNS1_11target_archE942ELNS1_3gpuE9ELNS1_3repE0EEENS1_30default_config_static_selectorELNS0_4arch9wavefront6targetE1EEEvT1_,"axG",@progbits,_ZN7rocprim17ROCPRIM_400000_NS6detail17trampoline_kernelINS0_14default_configENS1_27scan_by_key_config_selectorIssEEZZNS1_16scan_by_key_implILNS1_25lookback_scan_determinismE0ELb0ES3_N6thrust23THRUST_200600_302600_NS6detail15normal_iteratorINS9_10device_ptrIsEEEENS9_18transform_iteratorINS9_6negateIsEESE_NS9_11use_defaultESI_EESE_sNS9_4plusIvEENS9_8equal_toIvEEsEE10hipError_tPvRmT2_T3_T4_T5_mT6_T7_P12ihipStream_tbENKUlT_T0_E_clISt17integral_constantIbLb1EES13_IbLb0EEEEDaSZ_S10_EUlSZ_E_NS1_11comp_targetILNS1_3genE5ELNS1_11target_archE942ELNS1_3gpuE9ELNS1_3repE0EEENS1_30default_config_static_selectorELNS0_4arch9wavefront6targetE1EEEvT1_,comdat
.Lfunc_end985:
	.size	_ZN7rocprim17ROCPRIM_400000_NS6detail17trampoline_kernelINS0_14default_configENS1_27scan_by_key_config_selectorIssEEZZNS1_16scan_by_key_implILNS1_25lookback_scan_determinismE0ELb0ES3_N6thrust23THRUST_200600_302600_NS6detail15normal_iteratorINS9_10device_ptrIsEEEENS9_18transform_iteratorINS9_6negateIsEESE_NS9_11use_defaultESI_EESE_sNS9_4plusIvEENS9_8equal_toIvEEsEE10hipError_tPvRmT2_T3_T4_T5_mT6_T7_P12ihipStream_tbENKUlT_T0_E_clISt17integral_constantIbLb1EES13_IbLb0EEEEDaSZ_S10_EUlSZ_E_NS1_11comp_targetILNS1_3genE5ELNS1_11target_archE942ELNS1_3gpuE9ELNS1_3repE0EEENS1_30default_config_static_selectorELNS0_4arch9wavefront6targetE1EEEvT1_, .Lfunc_end985-_ZN7rocprim17ROCPRIM_400000_NS6detail17trampoline_kernelINS0_14default_configENS1_27scan_by_key_config_selectorIssEEZZNS1_16scan_by_key_implILNS1_25lookback_scan_determinismE0ELb0ES3_N6thrust23THRUST_200600_302600_NS6detail15normal_iteratorINS9_10device_ptrIsEEEENS9_18transform_iteratorINS9_6negateIsEESE_NS9_11use_defaultESI_EESE_sNS9_4plusIvEENS9_8equal_toIvEEsEE10hipError_tPvRmT2_T3_T4_T5_mT6_T7_P12ihipStream_tbENKUlT_T0_E_clISt17integral_constantIbLb1EES13_IbLb0EEEEDaSZ_S10_EUlSZ_E_NS1_11comp_targetILNS1_3genE5ELNS1_11target_archE942ELNS1_3gpuE9ELNS1_3repE0EEENS1_30default_config_static_selectorELNS0_4arch9wavefront6targetE1EEEvT1_
                                        ; -- End function
	.section	.AMDGPU.csdata,"",@progbits
; Kernel info:
; codeLenInByte = 16292
; NumSgprs: 94
; NumVgprs: 63
; NumAgprs: 0
; TotalNumVgprs: 63
; ScratchSize: 0
; MemoryBound: 0
; FloatMode: 240
; IeeeMode: 1
; LDSByteSize: 13312 bytes/workgroup (compile time only)
; SGPRBlocks: 11
; VGPRBlocks: 7
; NumSGPRsForWavesPerEU: 94
; NumVGPRsForWavesPerEU: 63
; AccumOffset: 64
; Occupancy: 4
; WaveLimiterHint : 1
; COMPUTE_PGM_RSRC2:SCRATCH_EN: 0
; COMPUTE_PGM_RSRC2:USER_SGPR: 2
; COMPUTE_PGM_RSRC2:TRAP_HANDLER: 0
; COMPUTE_PGM_RSRC2:TGID_X_EN: 1
; COMPUTE_PGM_RSRC2:TGID_Y_EN: 0
; COMPUTE_PGM_RSRC2:TGID_Z_EN: 0
; COMPUTE_PGM_RSRC2:TIDIG_COMP_CNT: 0
; COMPUTE_PGM_RSRC3_GFX90A:ACCUM_OFFSET: 15
; COMPUTE_PGM_RSRC3_GFX90A:TG_SPLIT: 0
	.section	.text._ZN7rocprim17ROCPRIM_400000_NS6detail17trampoline_kernelINS0_14default_configENS1_27scan_by_key_config_selectorIssEEZZNS1_16scan_by_key_implILNS1_25lookback_scan_determinismE0ELb0ES3_N6thrust23THRUST_200600_302600_NS6detail15normal_iteratorINS9_10device_ptrIsEEEENS9_18transform_iteratorINS9_6negateIsEESE_NS9_11use_defaultESI_EESE_sNS9_4plusIvEENS9_8equal_toIvEEsEE10hipError_tPvRmT2_T3_T4_T5_mT6_T7_P12ihipStream_tbENKUlT_T0_E_clISt17integral_constantIbLb1EES13_IbLb0EEEEDaSZ_S10_EUlSZ_E_NS1_11comp_targetILNS1_3genE4ELNS1_11target_archE910ELNS1_3gpuE8ELNS1_3repE0EEENS1_30default_config_static_selectorELNS0_4arch9wavefront6targetE1EEEvT1_,"axG",@progbits,_ZN7rocprim17ROCPRIM_400000_NS6detail17trampoline_kernelINS0_14default_configENS1_27scan_by_key_config_selectorIssEEZZNS1_16scan_by_key_implILNS1_25lookback_scan_determinismE0ELb0ES3_N6thrust23THRUST_200600_302600_NS6detail15normal_iteratorINS9_10device_ptrIsEEEENS9_18transform_iteratorINS9_6negateIsEESE_NS9_11use_defaultESI_EESE_sNS9_4plusIvEENS9_8equal_toIvEEsEE10hipError_tPvRmT2_T3_T4_T5_mT6_T7_P12ihipStream_tbENKUlT_T0_E_clISt17integral_constantIbLb1EES13_IbLb0EEEEDaSZ_S10_EUlSZ_E_NS1_11comp_targetILNS1_3genE4ELNS1_11target_archE910ELNS1_3gpuE8ELNS1_3repE0EEENS1_30default_config_static_selectorELNS0_4arch9wavefront6targetE1EEEvT1_,comdat
	.protected	_ZN7rocprim17ROCPRIM_400000_NS6detail17trampoline_kernelINS0_14default_configENS1_27scan_by_key_config_selectorIssEEZZNS1_16scan_by_key_implILNS1_25lookback_scan_determinismE0ELb0ES3_N6thrust23THRUST_200600_302600_NS6detail15normal_iteratorINS9_10device_ptrIsEEEENS9_18transform_iteratorINS9_6negateIsEESE_NS9_11use_defaultESI_EESE_sNS9_4plusIvEENS9_8equal_toIvEEsEE10hipError_tPvRmT2_T3_T4_T5_mT6_T7_P12ihipStream_tbENKUlT_T0_E_clISt17integral_constantIbLb1EES13_IbLb0EEEEDaSZ_S10_EUlSZ_E_NS1_11comp_targetILNS1_3genE4ELNS1_11target_archE910ELNS1_3gpuE8ELNS1_3repE0EEENS1_30default_config_static_selectorELNS0_4arch9wavefront6targetE1EEEvT1_ ; -- Begin function _ZN7rocprim17ROCPRIM_400000_NS6detail17trampoline_kernelINS0_14default_configENS1_27scan_by_key_config_selectorIssEEZZNS1_16scan_by_key_implILNS1_25lookback_scan_determinismE0ELb0ES3_N6thrust23THRUST_200600_302600_NS6detail15normal_iteratorINS9_10device_ptrIsEEEENS9_18transform_iteratorINS9_6negateIsEESE_NS9_11use_defaultESI_EESE_sNS9_4plusIvEENS9_8equal_toIvEEsEE10hipError_tPvRmT2_T3_T4_T5_mT6_T7_P12ihipStream_tbENKUlT_T0_E_clISt17integral_constantIbLb1EES13_IbLb0EEEEDaSZ_S10_EUlSZ_E_NS1_11comp_targetILNS1_3genE4ELNS1_11target_archE910ELNS1_3gpuE8ELNS1_3repE0EEENS1_30default_config_static_selectorELNS0_4arch9wavefront6targetE1EEEvT1_
	.globl	_ZN7rocprim17ROCPRIM_400000_NS6detail17trampoline_kernelINS0_14default_configENS1_27scan_by_key_config_selectorIssEEZZNS1_16scan_by_key_implILNS1_25lookback_scan_determinismE0ELb0ES3_N6thrust23THRUST_200600_302600_NS6detail15normal_iteratorINS9_10device_ptrIsEEEENS9_18transform_iteratorINS9_6negateIsEESE_NS9_11use_defaultESI_EESE_sNS9_4plusIvEENS9_8equal_toIvEEsEE10hipError_tPvRmT2_T3_T4_T5_mT6_T7_P12ihipStream_tbENKUlT_T0_E_clISt17integral_constantIbLb1EES13_IbLb0EEEEDaSZ_S10_EUlSZ_E_NS1_11comp_targetILNS1_3genE4ELNS1_11target_archE910ELNS1_3gpuE8ELNS1_3repE0EEENS1_30default_config_static_selectorELNS0_4arch9wavefront6targetE1EEEvT1_
	.p2align	8
	.type	_ZN7rocprim17ROCPRIM_400000_NS6detail17trampoline_kernelINS0_14default_configENS1_27scan_by_key_config_selectorIssEEZZNS1_16scan_by_key_implILNS1_25lookback_scan_determinismE0ELb0ES3_N6thrust23THRUST_200600_302600_NS6detail15normal_iteratorINS9_10device_ptrIsEEEENS9_18transform_iteratorINS9_6negateIsEESE_NS9_11use_defaultESI_EESE_sNS9_4plusIvEENS9_8equal_toIvEEsEE10hipError_tPvRmT2_T3_T4_T5_mT6_T7_P12ihipStream_tbENKUlT_T0_E_clISt17integral_constantIbLb1EES13_IbLb0EEEEDaSZ_S10_EUlSZ_E_NS1_11comp_targetILNS1_3genE4ELNS1_11target_archE910ELNS1_3gpuE8ELNS1_3repE0EEENS1_30default_config_static_selectorELNS0_4arch9wavefront6targetE1EEEvT1_,@function
_ZN7rocprim17ROCPRIM_400000_NS6detail17trampoline_kernelINS0_14default_configENS1_27scan_by_key_config_selectorIssEEZZNS1_16scan_by_key_implILNS1_25lookback_scan_determinismE0ELb0ES3_N6thrust23THRUST_200600_302600_NS6detail15normal_iteratorINS9_10device_ptrIsEEEENS9_18transform_iteratorINS9_6negateIsEESE_NS9_11use_defaultESI_EESE_sNS9_4plusIvEENS9_8equal_toIvEEsEE10hipError_tPvRmT2_T3_T4_T5_mT6_T7_P12ihipStream_tbENKUlT_T0_E_clISt17integral_constantIbLb1EES13_IbLb0EEEEDaSZ_S10_EUlSZ_E_NS1_11comp_targetILNS1_3genE4ELNS1_11target_archE910ELNS1_3gpuE8ELNS1_3repE0EEENS1_30default_config_static_selectorELNS0_4arch9wavefront6targetE1EEEvT1_: ; @_ZN7rocprim17ROCPRIM_400000_NS6detail17trampoline_kernelINS0_14default_configENS1_27scan_by_key_config_selectorIssEEZZNS1_16scan_by_key_implILNS1_25lookback_scan_determinismE0ELb0ES3_N6thrust23THRUST_200600_302600_NS6detail15normal_iteratorINS9_10device_ptrIsEEEENS9_18transform_iteratorINS9_6negateIsEESE_NS9_11use_defaultESI_EESE_sNS9_4plusIvEENS9_8equal_toIvEEsEE10hipError_tPvRmT2_T3_T4_T5_mT6_T7_P12ihipStream_tbENKUlT_T0_E_clISt17integral_constantIbLb1EES13_IbLb0EEEEDaSZ_S10_EUlSZ_E_NS1_11comp_targetILNS1_3genE4ELNS1_11target_archE910ELNS1_3gpuE8ELNS1_3repE0EEENS1_30default_config_static_selectorELNS0_4arch9wavefront6targetE1EEEvT1_
; %bb.0:
	.section	.rodata,"a",@progbits
	.p2align	6, 0x0
	.amdhsa_kernel _ZN7rocprim17ROCPRIM_400000_NS6detail17trampoline_kernelINS0_14default_configENS1_27scan_by_key_config_selectorIssEEZZNS1_16scan_by_key_implILNS1_25lookback_scan_determinismE0ELb0ES3_N6thrust23THRUST_200600_302600_NS6detail15normal_iteratorINS9_10device_ptrIsEEEENS9_18transform_iteratorINS9_6negateIsEESE_NS9_11use_defaultESI_EESE_sNS9_4plusIvEENS9_8equal_toIvEEsEE10hipError_tPvRmT2_T3_T4_T5_mT6_T7_P12ihipStream_tbENKUlT_T0_E_clISt17integral_constantIbLb1EES13_IbLb0EEEEDaSZ_S10_EUlSZ_E_NS1_11comp_targetILNS1_3genE4ELNS1_11target_archE910ELNS1_3gpuE8ELNS1_3repE0EEENS1_30default_config_static_selectorELNS0_4arch9wavefront6targetE1EEEvT1_
		.amdhsa_group_segment_fixed_size 0
		.amdhsa_private_segment_fixed_size 0
		.amdhsa_kernarg_size 120
		.amdhsa_user_sgpr_count 2
		.amdhsa_user_sgpr_dispatch_ptr 0
		.amdhsa_user_sgpr_queue_ptr 0
		.amdhsa_user_sgpr_kernarg_segment_ptr 1
		.amdhsa_user_sgpr_dispatch_id 0
		.amdhsa_user_sgpr_kernarg_preload_length 0
		.amdhsa_user_sgpr_kernarg_preload_offset 0
		.amdhsa_user_sgpr_private_segment_size 0
		.amdhsa_uses_dynamic_stack 0
		.amdhsa_enable_private_segment 0
		.amdhsa_system_sgpr_workgroup_id_x 1
		.amdhsa_system_sgpr_workgroup_id_y 0
		.amdhsa_system_sgpr_workgroup_id_z 0
		.amdhsa_system_sgpr_workgroup_info 0
		.amdhsa_system_vgpr_workitem_id 0
		.amdhsa_next_free_vgpr 1
		.amdhsa_next_free_sgpr 0
		.amdhsa_accum_offset 4
		.amdhsa_reserve_vcc 0
		.amdhsa_float_round_mode_32 0
		.amdhsa_float_round_mode_16_64 0
		.amdhsa_float_denorm_mode_32 3
		.amdhsa_float_denorm_mode_16_64 3
		.amdhsa_dx10_clamp 1
		.amdhsa_ieee_mode 1
		.amdhsa_fp16_overflow 0
		.amdhsa_tg_split 0
		.amdhsa_exception_fp_ieee_invalid_op 0
		.amdhsa_exception_fp_denorm_src 0
		.amdhsa_exception_fp_ieee_div_zero 0
		.amdhsa_exception_fp_ieee_overflow 0
		.amdhsa_exception_fp_ieee_underflow 0
		.amdhsa_exception_fp_ieee_inexact 0
		.amdhsa_exception_int_div_zero 0
	.end_amdhsa_kernel
	.section	.text._ZN7rocprim17ROCPRIM_400000_NS6detail17trampoline_kernelINS0_14default_configENS1_27scan_by_key_config_selectorIssEEZZNS1_16scan_by_key_implILNS1_25lookback_scan_determinismE0ELb0ES3_N6thrust23THRUST_200600_302600_NS6detail15normal_iteratorINS9_10device_ptrIsEEEENS9_18transform_iteratorINS9_6negateIsEESE_NS9_11use_defaultESI_EESE_sNS9_4plusIvEENS9_8equal_toIvEEsEE10hipError_tPvRmT2_T3_T4_T5_mT6_T7_P12ihipStream_tbENKUlT_T0_E_clISt17integral_constantIbLb1EES13_IbLb0EEEEDaSZ_S10_EUlSZ_E_NS1_11comp_targetILNS1_3genE4ELNS1_11target_archE910ELNS1_3gpuE8ELNS1_3repE0EEENS1_30default_config_static_selectorELNS0_4arch9wavefront6targetE1EEEvT1_,"axG",@progbits,_ZN7rocprim17ROCPRIM_400000_NS6detail17trampoline_kernelINS0_14default_configENS1_27scan_by_key_config_selectorIssEEZZNS1_16scan_by_key_implILNS1_25lookback_scan_determinismE0ELb0ES3_N6thrust23THRUST_200600_302600_NS6detail15normal_iteratorINS9_10device_ptrIsEEEENS9_18transform_iteratorINS9_6negateIsEESE_NS9_11use_defaultESI_EESE_sNS9_4plusIvEENS9_8equal_toIvEEsEE10hipError_tPvRmT2_T3_T4_T5_mT6_T7_P12ihipStream_tbENKUlT_T0_E_clISt17integral_constantIbLb1EES13_IbLb0EEEEDaSZ_S10_EUlSZ_E_NS1_11comp_targetILNS1_3genE4ELNS1_11target_archE910ELNS1_3gpuE8ELNS1_3repE0EEENS1_30default_config_static_selectorELNS0_4arch9wavefront6targetE1EEEvT1_,comdat
.Lfunc_end986:
	.size	_ZN7rocprim17ROCPRIM_400000_NS6detail17trampoline_kernelINS0_14default_configENS1_27scan_by_key_config_selectorIssEEZZNS1_16scan_by_key_implILNS1_25lookback_scan_determinismE0ELb0ES3_N6thrust23THRUST_200600_302600_NS6detail15normal_iteratorINS9_10device_ptrIsEEEENS9_18transform_iteratorINS9_6negateIsEESE_NS9_11use_defaultESI_EESE_sNS9_4plusIvEENS9_8equal_toIvEEsEE10hipError_tPvRmT2_T3_T4_T5_mT6_T7_P12ihipStream_tbENKUlT_T0_E_clISt17integral_constantIbLb1EES13_IbLb0EEEEDaSZ_S10_EUlSZ_E_NS1_11comp_targetILNS1_3genE4ELNS1_11target_archE910ELNS1_3gpuE8ELNS1_3repE0EEENS1_30default_config_static_selectorELNS0_4arch9wavefront6targetE1EEEvT1_, .Lfunc_end986-_ZN7rocprim17ROCPRIM_400000_NS6detail17trampoline_kernelINS0_14default_configENS1_27scan_by_key_config_selectorIssEEZZNS1_16scan_by_key_implILNS1_25lookback_scan_determinismE0ELb0ES3_N6thrust23THRUST_200600_302600_NS6detail15normal_iteratorINS9_10device_ptrIsEEEENS9_18transform_iteratorINS9_6negateIsEESE_NS9_11use_defaultESI_EESE_sNS9_4plusIvEENS9_8equal_toIvEEsEE10hipError_tPvRmT2_T3_T4_T5_mT6_T7_P12ihipStream_tbENKUlT_T0_E_clISt17integral_constantIbLb1EES13_IbLb0EEEEDaSZ_S10_EUlSZ_E_NS1_11comp_targetILNS1_3genE4ELNS1_11target_archE910ELNS1_3gpuE8ELNS1_3repE0EEENS1_30default_config_static_selectorELNS0_4arch9wavefront6targetE1EEEvT1_
                                        ; -- End function
	.section	.AMDGPU.csdata,"",@progbits
; Kernel info:
; codeLenInByte = 0
; NumSgprs: 6
; NumVgprs: 0
; NumAgprs: 0
; TotalNumVgprs: 0
; ScratchSize: 0
; MemoryBound: 0
; FloatMode: 240
; IeeeMode: 1
; LDSByteSize: 0 bytes/workgroup (compile time only)
; SGPRBlocks: 0
; VGPRBlocks: 0
; NumSGPRsForWavesPerEU: 6
; NumVGPRsForWavesPerEU: 1
; AccumOffset: 4
; Occupancy: 8
; WaveLimiterHint : 0
; COMPUTE_PGM_RSRC2:SCRATCH_EN: 0
; COMPUTE_PGM_RSRC2:USER_SGPR: 2
; COMPUTE_PGM_RSRC2:TRAP_HANDLER: 0
; COMPUTE_PGM_RSRC2:TGID_X_EN: 1
; COMPUTE_PGM_RSRC2:TGID_Y_EN: 0
; COMPUTE_PGM_RSRC2:TGID_Z_EN: 0
; COMPUTE_PGM_RSRC2:TIDIG_COMP_CNT: 0
; COMPUTE_PGM_RSRC3_GFX90A:ACCUM_OFFSET: 0
; COMPUTE_PGM_RSRC3_GFX90A:TG_SPLIT: 0
	.section	.text._ZN7rocprim17ROCPRIM_400000_NS6detail17trampoline_kernelINS0_14default_configENS1_27scan_by_key_config_selectorIssEEZZNS1_16scan_by_key_implILNS1_25lookback_scan_determinismE0ELb0ES3_N6thrust23THRUST_200600_302600_NS6detail15normal_iteratorINS9_10device_ptrIsEEEENS9_18transform_iteratorINS9_6negateIsEESE_NS9_11use_defaultESI_EESE_sNS9_4plusIvEENS9_8equal_toIvEEsEE10hipError_tPvRmT2_T3_T4_T5_mT6_T7_P12ihipStream_tbENKUlT_T0_E_clISt17integral_constantIbLb1EES13_IbLb0EEEEDaSZ_S10_EUlSZ_E_NS1_11comp_targetILNS1_3genE3ELNS1_11target_archE908ELNS1_3gpuE7ELNS1_3repE0EEENS1_30default_config_static_selectorELNS0_4arch9wavefront6targetE1EEEvT1_,"axG",@progbits,_ZN7rocprim17ROCPRIM_400000_NS6detail17trampoline_kernelINS0_14default_configENS1_27scan_by_key_config_selectorIssEEZZNS1_16scan_by_key_implILNS1_25lookback_scan_determinismE0ELb0ES3_N6thrust23THRUST_200600_302600_NS6detail15normal_iteratorINS9_10device_ptrIsEEEENS9_18transform_iteratorINS9_6negateIsEESE_NS9_11use_defaultESI_EESE_sNS9_4plusIvEENS9_8equal_toIvEEsEE10hipError_tPvRmT2_T3_T4_T5_mT6_T7_P12ihipStream_tbENKUlT_T0_E_clISt17integral_constantIbLb1EES13_IbLb0EEEEDaSZ_S10_EUlSZ_E_NS1_11comp_targetILNS1_3genE3ELNS1_11target_archE908ELNS1_3gpuE7ELNS1_3repE0EEENS1_30default_config_static_selectorELNS0_4arch9wavefront6targetE1EEEvT1_,comdat
	.protected	_ZN7rocprim17ROCPRIM_400000_NS6detail17trampoline_kernelINS0_14default_configENS1_27scan_by_key_config_selectorIssEEZZNS1_16scan_by_key_implILNS1_25lookback_scan_determinismE0ELb0ES3_N6thrust23THRUST_200600_302600_NS6detail15normal_iteratorINS9_10device_ptrIsEEEENS9_18transform_iteratorINS9_6negateIsEESE_NS9_11use_defaultESI_EESE_sNS9_4plusIvEENS9_8equal_toIvEEsEE10hipError_tPvRmT2_T3_T4_T5_mT6_T7_P12ihipStream_tbENKUlT_T0_E_clISt17integral_constantIbLb1EES13_IbLb0EEEEDaSZ_S10_EUlSZ_E_NS1_11comp_targetILNS1_3genE3ELNS1_11target_archE908ELNS1_3gpuE7ELNS1_3repE0EEENS1_30default_config_static_selectorELNS0_4arch9wavefront6targetE1EEEvT1_ ; -- Begin function _ZN7rocprim17ROCPRIM_400000_NS6detail17trampoline_kernelINS0_14default_configENS1_27scan_by_key_config_selectorIssEEZZNS1_16scan_by_key_implILNS1_25lookback_scan_determinismE0ELb0ES3_N6thrust23THRUST_200600_302600_NS6detail15normal_iteratorINS9_10device_ptrIsEEEENS9_18transform_iteratorINS9_6negateIsEESE_NS9_11use_defaultESI_EESE_sNS9_4plusIvEENS9_8equal_toIvEEsEE10hipError_tPvRmT2_T3_T4_T5_mT6_T7_P12ihipStream_tbENKUlT_T0_E_clISt17integral_constantIbLb1EES13_IbLb0EEEEDaSZ_S10_EUlSZ_E_NS1_11comp_targetILNS1_3genE3ELNS1_11target_archE908ELNS1_3gpuE7ELNS1_3repE0EEENS1_30default_config_static_selectorELNS0_4arch9wavefront6targetE1EEEvT1_
	.globl	_ZN7rocprim17ROCPRIM_400000_NS6detail17trampoline_kernelINS0_14default_configENS1_27scan_by_key_config_selectorIssEEZZNS1_16scan_by_key_implILNS1_25lookback_scan_determinismE0ELb0ES3_N6thrust23THRUST_200600_302600_NS6detail15normal_iteratorINS9_10device_ptrIsEEEENS9_18transform_iteratorINS9_6negateIsEESE_NS9_11use_defaultESI_EESE_sNS9_4plusIvEENS9_8equal_toIvEEsEE10hipError_tPvRmT2_T3_T4_T5_mT6_T7_P12ihipStream_tbENKUlT_T0_E_clISt17integral_constantIbLb1EES13_IbLb0EEEEDaSZ_S10_EUlSZ_E_NS1_11comp_targetILNS1_3genE3ELNS1_11target_archE908ELNS1_3gpuE7ELNS1_3repE0EEENS1_30default_config_static_selectorELNS0_4arch9wavefront6targetE1EEEvT1_
	.p2align	8
	.type	_ZN7rocprim17ROCPRIM_400000_NS6detail17trampoline_kernelINS0_14default_configENS1_27scan_by_key_config_selectorIssEEZZNS1_16scan_by_key_implILNS1_25lookback_scan_determinismE0ELb0ES3_N6thrust23THRUST_200600_302600_NS6detail15normal_iteratorINS9_10device_ptrIsEEEENS9_18transform_iteratorINS9_6negateIsEESE_NS9_11use_defaultESI_EESE_sNS9_4plusIvEENS9_8equal_toIvEEsEE10hipError_tPvRmT2_T3_T4_T5_mT6_T7_P12ihipStream_tbENKUlT_T0_E_clISt17integral_constantIbLb1EES13_IbLb0EEEEDaSZ_S10_EUlSZ_E_NS1_11comp_targetILNS1_3genE3ELNS1_11target_archE908ELNS1_3gpuE7ELNS1_3repE0EEENS1_30default_config_static_selectorELNS0_4arch9wavefront6targetE1EEEvT1_,@function
_ZN7rocprim17ROCPRIM_400000_NS6detail17trampoline_kernelINS0_14default_configENS1_27scan_by_key_config_selectorIssEEZZNS1_16scan_by_key_implILNS1_25lookback_scan_determinismE0ELb0ES3_N6thrust23THRUST_200600_302600_NS6detail15normal_iteratorINS9_10device_ptrIsEEEENS9_18transform_iteratorINS9_6negateIsEESE_NS9_11use_defaultESI_EESE_sNS9_4plusIvEENS9_8equal_toIvEEsEE10hipError_tPvRmT2_T3_T4_T5_mT6_T7_P12ihipStream_tbENKUlT_T0_E_clISt17integral_constantIbLb1EES13_IbLb0EEEEDaSZ_S10_EUlSZ_E_NS1_11comp_targetILNS1_3genE3ELNS1_11target_archE908ELNS1_3gpuE7ELNS1_3repE0EEENS1_30default_config_static_selectorELNS0_4arch9wavefront6targetE1EEEvT1_: ; @_ZN7rocprim17ROCPRIM_400000_NS6detail17trampoline_kernelINS0_14default_configENS1_27scan_by_key_config_selectorIssEEZZNS1_16scan_by_key_implILNS1_25lookback_scan_determinismE0ELb0ES3_N6thrust23THRUST_200600_302600_NS6detail15normal_iteratorINS9_10device_ptrIsEEEENS9_18transform_iteratorINS9_6negateIsEESE_NS9_11use_defaultESI_EESE_sNS9_4plusIvEENS9_8equal_toIvEEsEE10hipError_tPvRmT2_T3_T4_T5_mT6_T7_P12ihipStream_tbENKUlT_T0_E_clISt17integral_constantIbLb1EES13_IbLb0EEEEDaSZ_S10_EUlSZ_E_NS1_11comp_targetILNS1_3genE3ELNS1_11target_archE908ELNS1_3gpuE7ELNS1_3repE0EEENS1_30default_config_static_selectorELNS0_4arch9wavefront6targetE1EEEvT1_
; %bb.0:
	.section	.rodata,"a",@progbits
	.p2align	6, 0x0
	.amdhsa_kernel _ZN7rocprim17ROCPRIM_400000_NS6detail17trampoline_kernelINS0_14default_configENS1_27scan_by_key_config_selectorIssEEZZNS1_16scan_by_key_implILNS1_25lookback_scan_determinismE0ELb0ES3_N6thrust23THRUST_200600_302600_NS6detail15normal_iteratorINS9_10device_ptrIsEEEENS9_18transform_iteratorINS9_6negateIsEESE_NS9_11use_defaultESI_EESE_sNS9_4plusIvEENS9_8equal_toIvEEsEE10hipError_tPvRmT2_T3_T4_T5_mT6_T7_P12ihipStream_tbENKUlT_T0_E_clISt17integral_constantIbLb1EES13_IbLb0EEEEDaSZ_S10_EUlSZ_E_NS1_11comp_targetILNS1_3genE3ELNS1_11target_archE908ELNS1_3gpuE7ELNS1_3repE0EEENS1_30default_config_static_selectorELNS0_4arch9wavefront6targetE1EEEvT1_
		.amdhsa_group_segment_fixed_size 0
		.amdhsa_private_segment_fixed_size 0
		.amdhsa_kernarg_size 120
		.amdhsa_user_sgpr_count 2
		.amdhsa_user_sgpr_dispatch_ptr 0
		.amdhsa_user_sgpr_queue_ptr 0
		.amdhsa_user_sgpr_kernarg_segment_ptr 1
		.amdhsa_user_sgpr_dispatch_id 0
		.amdhsa_user_sgpr_kernarg_preload_length 0
		.amdhsa_user_sgpr_kernarg_preload_offset 0
		.amdhsa_user_sgpr_private_segment_size 0
		.amdhsa_uses_dynamic_stack 0
		.amdhsa_enable_private_segment 0
		.amdhsa_system_sgpr_workgroup_id_x 1
		.amdhsa_system_sgpr_workgroup_id_y 0
		.amdhsa_system_sgpr_workgroup_id_z 0
		.amdhsa_system_sgpr_workgroup_info 0
		.amdhsa_system_vgpr_workitem_id 0
		.amdhsa_next_free_vgpr 1
		.amdhsa_next_free_sgpr 0
		.amdhsa_accum_offset 4
		.amdhsa_reserve_vcc 0
		.amdhsa_float_round_mode_32 0
		.amdhsa_float_round_mode_16_64 0
		.amdhsa_float_denorm_mode_32 3
		.amdhsa_float_denorm_mode_16_64 3
		.amdhsa_dx10_clamp 1
		.amdhsa_ieee_mode 1
		.amdhsa_fp16_overflow 0
		.amdhsa_tg_split 0
		.amdhsa_exception_fp_ieee_invalid_op 0
		.amdhsa_exception_fp_denorm_src 0
		.amdhsa_exception_fp_ieee_div_zero 0
		.amdhsa_exception_fp_ieee_overflow 0
		.amdhsa_exception_fp_ieee_underflow 0
		.amdhsa_exception_fp_ieee_inexact 0
		.amdhsa_exception_int_div_zero 0
	.end_amdhsa_kernel
	.section	.text._ZN7rocprim17ROCPRIM_400000_NS6detail17trampoline_kernelINS0_14default_configENS1_27scan_by_key_config_selectorIssEEZZNS1_16scan_by_key_implILNS1_25lookback_scan_determinismE0ELb0ES3_N6thrust23THRUST_200600_302600_NS6detail15normal_iteratorINS9_10device_ptrIsEEEENS9_18transform_iteratorINS9_6negateIsEESE_NS9_11use_defaultESI_EESE_sNS9_4plusIvEENS9_8equal_toIvEEsEE10hipError_tPvRmT2_T3_T4_T5_mT6_T7_P12ihipStream_tbENKUlT_T0_E_clISt17integral_constantIbLb1EES13_IbLb0EEEEDaSZ_S10_EUlSZ_E_NS1_11comp_targetILNS1_3genE3ELNS1_11target_archE908ELNS1_3gpuE7ELNS1_3repE0EEENS1_30default_config_static_selectorELNS0_4arch9wavefront6targetE1EEEvT1_,"axG",@progbits,_ZN7rocprim17ROCPRIM_400000_NS6detail17trampoline_kernelINS0_14default_configENS1_27scan_by_key_config_selectorIssEEZZNS1_16scan_by_key_implILNS1_25lookback_scan_determinismE0ELb0ES3_N6thrust23THRUST_200600_302600_NS6detail15normal_iteratorINS9_10device_ptrIsEEEENS9_18transform_iteratorINS9_6negateIsEESE_NS9_11use_defaultESI_EESE_sNS9_4plusIvEENS9_8equal_toIvEEsEE10hipError_tPvRmT2_T3_T4_T5_mT6_T7_P12ihipStream_tbENKUlT_T0_E_clISt17integral_constantIbLb1EES13_IbLb0EEEEDaSZ_S10_EUlSZ_E_NS1_11comp_targetILNS1_3genE3ELNS1_11target_archE908ELNS1_3gpuE7ELNS1_3repE0EEENS1_30default_config_static_selectorELNS0_4arch9wavefront6targetE1EEEvT1_,comdat
.Lfunc_end987:
	.size	_ZN7rocprim17ROCPRIM_400000_NS6detail17trampoline_kernelINS0_14default_configENS1_27scan_by_key_config_selectorIssEEZZNS1_16scan_by_key_implILNS1_25lookback_scan_determinismE0ELb0ES3_N6thrust23THRUST_200600_302600_NS6detail15normal_iteratorINS9_10device_ptrIsEEEENS9_18transform_iteratorINS9_6negateIsEESE_NS9_11use_defaultESI_EESE_sNS9_4plusIvEENS9_8equal_toIvEEsEE10hipError_tPvRmT2_T3_T4_T5_mT6_T7_P12ihipStream_tbENKUlT_T0_E_clISt17integral_constantIbLb1EES13_IbLb0EEEEDaSZ_S10_EUlSZ_E_NS1_11comp_targetILNS1_3genE3ELNS1_11target_archE908ELNS1_3gpuE7ELNS1_3repE0EEENS1_30default_config_static_selectorELNS0_4arch9wavefront6targetE1EEEvT1_, .Lfunc_end987-_ZN7rocprim17ROCPRIM_400000_NS6detail17trampoline_kernelINS0_14default_configENS1_27scan_by_key_config_selectorIssEEZZNS1_16scan_by_key_implILNS1_25lookback_scan_determinismE0ELb0ES3_N6thrust23THRUST_200600_302600_NS6detail15normal_iteratorINS9_10device_ptrIsEEEENS9_18transform_iteratorINS9_6negateIsEESE_NS9_11use_defaultESI_EESE_sNS9_4plusIvEENS9_8equal_toIvEEsEE10hipError_tPvRmT2_T3_T4_T5_mT6_T7_P12ihipStream_tbENKUlT_T0_E_clISt17integral_constantIbLb1EES13_IbLb0EEEEDaSZ_S10_EUlSZ_E_NS1_11comp_targetILNS1_3genE3ELNS1_11target_archE908ELNS1_3gpuE7ELNS1_3repE0EEENS1_30default_config_static_selectorELNS0_4arch9wavefront6targetE1EEEvT1_
                                        ; -- End function
	.section	.AMDGPU.csdata,"",@progbits
; Kernel info:
; codeLenInByte = 0
; NumSgprs: 6
; NumVgprs: 0
; NumAgprs: 0
; TotalNumVgprs: 0
; ScratchSize: 0
; MemoryBound: 0
; FloatMode: 240
; IeeeMode: 1
; LDSByteSize: 0 bytes/workgroup (compile time only)
; SGPRBlocks: 0
; VGPRBlocks: 0
; NumSGPRsForWavesPerEU: 6
; NumVGPRsForWavesPerEU: 1
; AccumOffset: 4
; Occupancy: 8
; WaveLimiterHint : 0
; COMPUTE_PGM_RSRC2:SCRATCH_EN: 0
; COMPUTE_PGM_RSRC2:USER_SGPR: 2
; COMPUTE_PGM_RSRC2:TRAP_HANDLER: 0
; COMPUTE_PGM_RSRC2:TGID_X_EN: 1
; COMPUTE_PGM_RSRC2:TGID_Y_EN: 0
; COMPUTE_PGM_RSRC2:TGID_Z_EN: 0
; COMPUTE_PGM_RSRC2:TIDIG_COMP_CNT: 0
; COMPUTE_PGM_RSRC3_GFX90A:ACCUM_OFFSET: 0
; COMPUTE_PGM_RSRC3_GFX90A:TG_SPLIT: 0
	.section	.text._ZN7rocprim17ROCPRIM_400000_NS6detail17trampoline_kernelINS0_14default_configENS1_27scan_by_key_config_selectorIssEEZZNS1_16scan_by_key_implILNS1_25lookback_scan_determinismE0ELb0ES3_N6thrust23THRUST_200600_302600_NS6detail15normal_iteratorINS9_10device_ptrIsEEEENS9_18transform_iteratorINS9_6negateIsEESE_NS9_11use_defaultESI_EESE_sNS9_4plusIvEENS9_8equal_toIvEEsEE10hipError_tPvRmT2_T3_T4_T5_mT6_T7_P12ihipStream_tbENKUlT_T0_E_clISt17integral_constantIbLb1EES13_IbLb0EEEEDaSZ_S10_EUlSZ_E_NS1_11comp_targetILNS1_3genE2ELNS1_11target_archE906ELNS1_3gpuE6ELNS1_3repE0EEENS1_30default_config_static_selectorELNS0_4arch9wavefront6targetE1EEEvT1_,"axG",@progbits,_ZN7rocprim17ROCPRIM_400000_NS6detail17trampoline_kernelINS0_14default_configENS1_27scan_by_key_config_selectorIssEEZZNS1_16scan_by_key_implILNS1_25lookback_scan_determinismE0ELb0ES3_N6thrust23THRUST_200600_302600_NS6detail15normal_iteratorINS9_10device_ptrIsEEEENS9_18transform_iteratorINS9_6negateIsEESE_NS9_11use_defaultESI_EESE_sNS9_4plusIvEENS9_8equal_toIvEEsEE10hipError_tPvRmT2_T3_T4_T5_mT6_T7_P12ihipStream_tbENKUlT_T0_E_clISt17integral_constantIbLb1EES13_IbLb0EEEEDaSZ_S10_EUlSZ_E_NS1_11comp_targetILNS1_3genE2ELNS1_11target_archE906ELNS1_3gpuE6ELNS1_3repE0EEENS1_30default_config_static_selectorELNS0_4arch9wavefront6targetE1EEEvT1_,comdat
	.protected	_ZN7rocprim17ROCPRIM_400000_NS6detail17trampoline_kernelINS0_14default_configENS1_27scan_by_key_config_selectorIssEEZZNS1_16scan_by_key_implILNS1_25lookback_scan_determinismE0ELb0ES3_N6thrust23THRUST_200600_302600_NS6detail15normal_iteratorINS9_10device_ptrIsEEEENS9_18transform_iteratorINS9_6negateIsEESE_NS9_11use_defaultESI_EESE_sNS9_4plusIvEENS9_8equal_toIvEEsEE10hipError_tPvRmT2_T3_T4_T5_mT6_T7_P12ihipStream_tbENKUlT_T0_E_clISt17integral_constantIbLb1EES13_IbLb0EEEEDaSZ_S10_EUlSZ_E_NS1_11comp_targetILNS1_3genE2ELNS1_11target_archE906ELNS1_3gpuE6ELNS1_3repE0EEENS1_30default_config_static_selectorELNS0_4arch9wavefront6targetE1EEEvT1_ ; -- Begin function _ZN7rocprim17ROCPRIM_400000_NS6detail17trampoline_kernelINS0_14default_configENS1_27scan_by_key_config_selectorIssEEZZNS1_16scan_by_key_implILNS1_25lookback_scan_determinismE0ELb0ES3_N6thrust23THRUST_200600_302600_NS6detail15normal_iteratorINS9_10device_ptrIsEEEENS9_18transform_iteratorINS9_6negateIsEESE_NS9_11use_defaultESI_EESE_sNS9_4plusIvEENS9_8equal_toIvEEsEE10hipError_tPvRmT2_T3_T4_T5_mT6_T7_P12ihipStream_tbENKUlT_T0_E_clISt17integral_constantIbLb1EES13_IbLb0EEEEDaSZ_S10_EUlSZ_E_NS1_11comp_targetILNS1_3genE2ELNS1_11target_archE906ELNS1_3gpuE6ELNS1_3repE0EEENS1_30default_config_static_selectorELNS0_4arch9wavefront6targetE1EEEvT1_
	.globl	_ZN7rocprim17ROCPRIM_400000_NS6detail17trampoline_kernelINS0_14default_configENS1_27scan_by_key_config_selectorIssEEZZNS1_16scan_by_key_implILNS1_25lookback_scan_determinismE0ELb0ES3_N6thrust23THRUST_200600_302600_NS6detail15normal_iteratorINS9_10device_ptrIsEEEENS9_18transform_iteratorINS9_6negateIsEESE_NS9_11use_defaultESI_EESE_sNS9_4plusIvEENS9_8equal_toIvEEsEE10hipError_tPvRmT2_T3_T4_T5_mT6_T7_P12ihipStream_tbENKUlT_T0_E_clISt17integral_constantIbLb1EES13_IbLb0EEEEDaSZ_S10_EUlSZ_E_NS1_11comp_targetILNS1_3genE2ELNS1_11target_archE906ELNS1_3gpuE6ELNS1_3repE0EEENS1_30default_config_static_selectorELNS0_4arch9wavefront6targetE1EEEvT1_
	.p2align	8
	.type	_ZN7rocprim17ROCPRIM_400000_NS6detail17trampoline_kernelINS0_14default_configENS1_27scan_by_key_config_selectorIssEEZZNS1_16scan_by_key_implILNS1_25lookback_scan_determinismE0ELb0ES3_N6thrust23THRUST_200600_302600_NS6detail15normal_iteratorINS9_10device_ptrIsEEEENS9_18transform_iteratorINS9_6negateIsEESE_NS9_11use_defaultESI_EESE_sNS9_4plusIvEENS9_8equal_toIvEEsEE10hipError_tPvRmT2_T3_T4_T5_mT6_T7_P12ihipStream_tbENKUlT_T0_E_clISt17integral_constantIbLb1EES13_IbLb0EEEEDaSZ_S10_EUlSZ_E_NS1_11comp_targetILNS1_3genE2ELNS1_11target_archE906ELNS1_3gpuE6ELNS1_3repE0EEENS1_30default_config_static_selectorELNS0_4arch9wavefront6targetE1EEEvT1_,@function
_ZN7rocprim17ROCPRIM_400000_NS6detail17trampoline_kernelINS0_14default_configENS1_27scan_by_key_config_selectorIssEEZZNS1_16scan_by_key_implILNS1_25lookback_scan_determinismE0ELb0ES3_N6thrust23THRUST_200600_302600_NS6detail15normal_iteratorINS9_10device_ptrIsEEEENS9_18transform_iteratorINS9_6negateIsEESE_NS9_11use_defaultESI_EESE_sNS9_4plusIvEENS9_8equal_toIvEEsEE10hipError_tPvRmT2_T3_T4_T5_mT6_T7_P12ihipStream_tbENKUlT_T0_E_clISt17integral_constantIbLb1EES13_IbLb0EEEEDaSZ_S10_EUlSZ_E_NS1_11comp_targetILNS1_3genE2ELNS1_11target_archE906ELNS1_3gpuE6ELNS1_3repE0EEENS1_30default_config_static_selectorELNS0_4arch9wavefront6targetE1EEEvT1_: ; @_ZN7rocprim17ROCPRIM_400000_NS6detail17trampoline_kernelINS0_14default_configENS1_27scan_by_key_config_selectorIssEEZZNS1_16scan_by_key_implILNS1_25lookback_scan_determinismE0ELb0ES3_N6thrust23THRUST_200600_302600_NS6detail15normal_iteratorINS9_10device_ptrIsEEEENS9_18transform_iteratorINS9_6negateIsEESE_NS9_11use_defaultESI_EESE_sNS9_4plusIvEENS9_8equal_toIvEEsEE10hipError_tPvRmT2_T3_T4_T5_mT6_T7_P12ihipStream_tbENKUlT_T0_E_clISt17integral_constantIbLb1EES13_IbLb0EEEEDaSZ_S10_EUlSZ_E_NS1_11comp_targetILNS1_3genE2ELNS1_11target_archE906ELNS1_3gpuE6ELNS1_3repE0EEENS1_30default_config_static_selectorELNS0_4arch9wavefront6targetE1EEEvT1_
; %bb.0:
	.section	.rodata,"a",@progbits
	.p2align	6, 0x0
	.amdhsa_kernel _ZN7rocprim17ROCPRIM_400000_NS6detail17trampoline_kernelINS0_14default_configENS1_27scan_by_key_config_selectorIssEEZZNS1_16scan_by_key_implILNS1_25lookback_scan_determinismE0ELb0ES3_N6thrust23THRUST_200600_302600_NS6detail15normal_iteratorINS9_10device_ptrIsEEEENS9_18transform_iteratorINS9_6negateIsEESE_NS9_11use_defaultESI_EESE_sNS9_4plusIvEENS9_8equal_toIvEEsEE10hipError_tPvRmT2_T3_T4_T5_mT6_T7_P12ihipStream_tbENKUlT_T0_E_clISt17integral_constantIbLb1EES13_IbLb0EEEEDaSZ_S10_EUlSZ_E_NS1_11comp_targetILNS1_3genE2ELNS1_11target_archE906ELNS1_3gpuE6ELNS1_3repE0EEENS1_30default_config_static_selectorELNS0_4arch9wavefront6targetE1EEEvT1_
		.amdhsa_group_segment_fixed_size 0
		.amdhsa_private_segment_fixed_size 0
		.amdhsa_kernarg_size 120
		.amdhsa_user_sgpr_count 2
		.amdhsa_user_sgpr_dispatch_ptr 0
		.amdhsa_user_sgpr_queue_ptr 0
		.amdhsa_user_sgpr_kernarg_segment_ptr 1
		.amdhsa_user_sgpr_dispatch_id 0
		.amdhsa_user_sgpr_kernarg_preload_length 0
		.amdhsa_user_sgpr_kernarg_preload_offset 0
		.amdhsa_user_sgpr_private_segment_size 0
		.amdhsa_uses_dynamic_stack 0
		.amdhsa_enable_private_segment 0
		.amdhsa_system_sgpr_workgroup_id_x 1
		.amdhsa_system_sgpr_workgroup_id_y 0
		.amdhsa_system_sgpr_workgroup_id_z 0
		.amdhsa_system_sgpr_workgroup_info 0
		.amdhsa_system_vgpr_workitem_id 0
		.amdhsa_next_free_vgpr 1
		.amdhsa_next_free_sgpr 0
		.amdhsa_accum_offset 4
		.amdhsa_reserve_vcc 0
		.amdhsa_float_round_mode_32 0
		.amdhsa_float_round_mode_16_64 0
		.amdhsa_float_denorm_mode_32 3
		.amdhsa_float_denorm_mode_16_64 3
		.amdhsa_dx10_clamp 1
		.amdhsa_ieee_mode 1
		.amdhsa_fp16_overflow 0
		.amdhsa_tg_split 0
		.amdhsa_exception_fp_ieee_invalid_op 0
		.amdhsa_exception_fp_denorm_src 0
		.amdhsa_exception_fp_ieee_div_zero 0
		.amdhsa_exception_fp_ieee_overflow 0
		.amdhsa_exception_fp_ieee_underflow 0
		.amdhsa_exception_fp_ieee_inexact 0
		.amdhsa_exception_int_div_zero 0
	.end_amdhsa_kernel
	.section	.text._ZN7rocprim17ROCPRIM_400000_NS6detail17trampoline_kernelINS0_14default_configENS1_27scan_by_key_config_selectorIssEEZZNS1_16scan_by_key_implILNS1_25lookback_scan_determinismE0ELb0ES3_N6thrust23THRUST_200600_302600_NS6detail15normal_iteratorINS9_10device_ptrIsEEEENS9_18transform_iteratorINS9_6negateIsEESE_NS9_11use_defaultESI_EESE_sNS9_4plusIvEENS9_8equal_toIvEEsEE10hipError_tPvRmT2_T3_T4_T5_mT6_T7_P12ihipStream_tbENKUlT_T0_E_clISt17integral_constantIbLb1EES13_IbLb0EEEEDaSZ_S10_EUlSZ_E_NS1_11comp_targetILNS1_3genE2ELNS1_11target_archE906ELNS1_3gpuE6ELNS1_3repE0EEENS1_30default_config_static_selectorELNS0_4arch9wavefront6targetE1EEEvT1_,"axG",@progbits,_ZN7rocprim17ROCPRIM_400000_NS6detail17trampoline_kernelINS0_14default_configENS1_27scan_by_key_config_selectorIssEEZZNS1_16scan_by_key_implILNS1_25lookback_scan_determinismE0ELb0ES3_N6thrust23THRUST_200600_302600_NS6detail15normal_iteratorINS9_10device_ptrIsEEEENS9_18transform_iteratorINS9_6negateIsEESE_NS9_11use_defaultESI_EESE_sNS9_4plusIvEENS9_8equal_toIvEEsEE10hipError_tPvRmT2_T3_T4_T5_mT6_T7_P12ihipStream_tbENKUlT_T0_E_clISt17integral_constantIbLb1EES13_IbLb0EEEEDaSZ_S10_EUlSZ_E_NS1_11comp_targetILNS1_3genE2ELNS1_11target_archE906ELNS1_3gpuE6ELNS1_3repE0EEENS1_30default_config_static_selectorELNS0_4arch9wavefront6targetE1EEEvT1_,comdat
.Lfunc_end988:
	.size	_ZN7rocprim17ROCPRIM_400000_NS6detail17trampoline_kernelINS0_14default_configENS1_27scan_by_key_config_selectorIssEEZZNS1_16scan_by_key_implILNS1_25lookback_scan_determinismE0ELb0ES3_N6thrust23THRUST_200600_302600_NS6detail15normal_iteratorINS9_10device_ptrIsEEEENS9_18transform_iteratorINS9_6negateIsEESE_NS9_11use_defaultESI_EESE_sNS9_4plusIvEENS9_8equal_toIvEEsEE10hipError_tPvRmT2_T3_T4_T5_mT6_T7_P12ihipStream_tbENKUlT_T0_E_clISt17integral_constantIbLb1EES13_IbLb0EEEEDaSZ_S10_EUlSZ_E_NS1_11comp_targetILNS1_3genE2ELNS1_11target_archE906ELNS1_3gpuE6ELNS1_3repE0EEENS1_30default_config_static_selectorELNS0_4arch9wavefront6targetE1EEEvT1_, .Lfunc_end988-_ZN7rocprim17ROCPRIM_400000_NS6detail17trampoline_kernelINS0_14default_configENS1_27scan_by_key_config_selectorIssEEZZNS1_16scan_by_key_implILNS1_25lookback_scan_determinismE0ELb0ES3_N6thrust23THRUST_200600_302600_NS6detail15normal_iteratorINS9_10device_ptrIsEEEENS9_18transform_iteratorINS9_6negateIsEESE_NS9_11use_defaultESI_EESE_sNS9_4plusIvEENS9_8equal_toIvEEsEE10hipError_tPvRmT2_T3_T4_T5_mT6_T7_P12ihipStream_tbENKUlT_T0_E_clISt17integral_constantIbLb1EES13_IbLb0EEEEDaSZ_S10_EUlSZ_E_NS1_11comp_targetILNS1_3genE2ELNS1_11target_archE906ELNS1_3gpuE6ELNS1_3repE0EEENS1_30default_config_static_selectorELNS0_4arch9wavefront6targetE1EEEvT1_
                                        ; -- End function
	.section	.AMDGPU.csdata,"",@progbits
; Kernel info:
; codeLenInByte = 0
; NumSgprs: 6
; NumVgprs: 0
; NumAgprs: 0
; TotalNumVgprs: 0
; ScratchSize: 0
; MemoryBound: 0
; FloatMode: 240
; IeeeMode: 1
; LDSByteSize: 0 bytes/workgroup (compile time only)
; SGPRBlocks: 0
; VGPRBlocks: 0
; NumSGPRsForWavesPerEU: 6
; NumVGPRsForWavesPerEU: 1
; AccumOffset: 4
; Occupancy: 8
; WaveLimiterHint : 0
; COMPUTE_PGM_RSRC2:SCRATCH_EN: 0
; COMPUTE_PGM_RSRC2:USER_SGPR: 2
; COMPUTE_PGM_RSRC2:TRAP_HANDLER: 0
; COMPUTE_PGM_RSRC2:TGID_X_EN: 1
; COMPUTE_PGM_RSRC2:TGID_Y_EN: 0
; COMPUTE_PGM_RSRC2:TGID_Z_EN: 0
; COMPUTE_PGM_RSRC2:TIDIG_COMP_CNT: 0
; COMPUTE_PGM_RSRC3_GFX90A:ACCUM_OFFSET: 0
; COMPUTE_PGM_RSRC3_GFX90A:TG_SPLIT: 0
	.section	.text._ZN7rocprim17ROCPRIM_400000_NS6detail17trampoline_kernelINS0_14default_configENS1_27scan_by_key_config_selectorIssEEZZNS1_16scan_by_key_implILNS1_25lookback_scan_determinismE0ELb0ES3_N6thrust23THRUST_200600_302600_NS6detail15normal_iteratorINS9_10device_ptrIsEEEENS9_18transform_iteratorINS9_6negateIsEESE_NS9_11use_defaultESI_EESE_sNS9_4plusIvEENS9_8equal_toIvEEsEE10hipError_tPvRmT2_T3_T4_T5_mT6_T7_P12ihipStream_tbENKUlT_T0_E_clISt17integral_constantIbLb1EES13_IbLb0EEEEDaSZ_S10_EUlSZ_E_NS1_11comp_targetILNS1_3genE10ELNS1_11target_archE1200ELNS1_3gpuE4ELNS1_3repE0EEENS1_30default_config_static_selectorELNS0_4arch9wavefront6targetE1EEEvT1_,"axG",@progbits,_ZN7rocprim17ROCPRIM_400000_NS6detail17trampoline_kernelINS0_14default_configENS1_27scan_by_key_config_selectorIssEEZZNS1_16scan_by_key_implILNS1_25lookback_scan_determinismE0ELb0ES3_N6thrust23THRUST_200600_302600_NS6detail15normal_iteratorINS9_10device_ptrIsEEEENS9_18transform_iteratorINS9_6negateIsEESE_NS9_11use_defaultESI_EESE_sNS9_4plusIvEENS9_8equal_toIvEEsEE10hipError_tPvRmT2_T3_T4_T5_mT6_T7_P12ihipStream_tbENKUlT_T0_E_clISt17integral_constantIbLb1EES13_IbLb0EEEEDaSZ_S10_EUlSZ_E_NS1_11comp_targetILNS1_3genE10ELNS1_11target_archE1200ELNS1_3gpuE4ELNS1_3repE0EEENS1_30default_config_static_selectorELNS0_4arch9wavefront6targetE1EEEvT1_,comdat
	.protected	_ZN7rocprim17ROCPRIM_400000_NS6detail17trampoline_kernelINS0_14default_configENS1_27scan_by_key_config_selectorIssEEZZNS1_16scan_by_key_implILNS1_25lookback_scan_determinismE0ELb0ES3_N6thrust23THRUST_200600_302600_NS6detail15normal_iteratorINS9_10device_ptrIsEEEENS9_18transform_iteratorINS9_6negateIsEESE_NS9_11use_defaultESI_EESE_sNS9_4plusIvEENS9_8equal_toIvEEsEE10hipError_tPvRmT2_T3_T4_T5_mT6_T7_P12ihipStream_tbENKUlT_T0_E_clISt17integral_constantIbLb1EES13_IbLb0EEEEDaSZ_S10_EUlSZ_E_NS1_11comp_targetILNS1_3genE10ELNS1_11target_archE1200ELNS1_3gpuE4ELNS1_3repE0EEENS1_30default_config_static_selectorELNS0_4arch9wavefront6targetE1EEEvT1_ ; -- Begin function _ZN7rocprim17ROCPRIM_400000_NS6detail17trampoline_kernelINS0_14default_configENS1_27scan_by_key_config_selectorIssEEZZNS1_16scan_by_key_implILNS1_25lookback_scan_determinismE0ELb0ES3_N6thrust23THRUST_200600_302600_NS6detail15normal_iteratorINS9_10device_ptrIsEEEENS9_18transform_iteratorINS9_6negateIsEESE_NS9_11use_defaultESI_EESE_sNS9_4plusIvEENS9_8equal_toIvEEsEE10hipError_tPvRmT2_T3_T4_T5_mT6_T7_P12ihipStream_tbENKUlT_T0_E_clISt17integral_constantIbLb1EES13_IbLb0EEEEDaSZ_S10_EUlSZ_E_NS1_11comp_targetILNS1_3genE10ELNS1_11target_archE1200ELNS1_3gpuE4ELNS1_3repE0EEENS1_30default_config_static_selectorELNS0_4arch9wavefront6targetE1EEEvT1_
	.globl	_ZN7rocprim17ROCPRIM_400000_NS6detail17trampoline_kernelINS0_14default_configENS1_27scan_by_key_config_selectorIssEEZZNS1_16scan_by_key_implILNS1_25lookback_scan_determinismE0ELb0ES3_N6thrust23THRUST_200600_302600_NS6detail15normal_iteratorINS9_10device_ptrIsEEEENS9_18transform_iteratorINS9_6negateIsEESE_NS9_11use_defaultESI_EESE_sNS9_4plusIvEENS9_8equal_toIvEEsEE10hipError_tPvRmT2_T3_T4_T5_mT6_T7_P12ihipStream_tbENKUlT_T0_E_clISt17integral_constantIbLb1EES13_IbLb0EEEEDaSZ_S10_EUlSZ_E_NS1_11comp_targetILNS1_3genE10ELNS1_11target_archE1200ELNS1_3gpuE4ELNS1_3repE0EEENS1_30default_config_static_selectorELNS0_4arch9wavefront6targetE1EEEvT1_
	.p2align	8
	.type	_ZN7rocprim17ROCPRIM_400000_NS6detail17trampoline_kernelINS0_14default_configENS1_27scan_by_key_config_selectorIssEEZZNS1_16scan_by_key_implILNS1_25lookback_scan_determinismE0ELb0ES3_N6thrust23THRUST_200600_302600_NS6detail15normal_iteratorINS9_10device_ptrIsEEEENS9_18transform_iteratorINS9_6negateIsEESE_NS9_11use_defaultESI_EESE_sNS9_4plusIvEENS9_8equal_toIvEEsEE10hipError_tPvRmT2_T3_T4_T5_mT6_T7_P12ihipStream_tbENKUlT_T0_E_clISt17integral_constantIbLb1EES13_IbLb0EEEEDaSZ_S10_EUlSZ_E_NS1_11comp_targetILNS1_3genE10ELNS1_11target_archE1200ELNS1_3gpuE4ELNS1_3repE0EEENS1_30default_config_static_selectorELNS0_4arch9wavefront6targetE1EEEvT1_,@function
_ZN7rocprim17ROCPRIM_400000_NS6detail17trampoline_kernelINS0_14default_configENS1_27scan_by_key_config_selectorIssEEZZNS1_16scan_by_key_implILNS1_25lookback_scan_determinismE0ELb0ES3_N6thrust23THRUST_200600_302600_NS6detail15normal_iteratorINS9_10device_ptrIsEEEENS9_18transform_iteratorINS9_6negateIsEESE_NS9_11use_defaultESI_EESE_sNS9_4plusIvEENS9_8equal_toIvEEsEE10hipError_tPvRmT2_T3_T4_T5_mT6_T7_P12ihipStream_tbENKUlT_T0_E_clISt17integral_constantIbLb1EES13_IbLb0EEEEDaSZ_S10_EUlSZ_E_NS1_11comp_targetILNS1_3genE10ELNS1_11target_archE1200ELNS1_3gpuE4ELNS1_3repE0EEENS1_30default_config_static_selectorELNS0_4arch9wavefront6targetE1EEEvT1_: ; @_ZN7rocprim17ROCPRIM_400000_NS6detail17trampoline_kernelINS0_14default_configENS1_27scan_by_key_config_selectorIssEEZZNS1_16scan_by_key_implILNS1_25lookback_scan_determinismE0ELb0ES3_N6thrust23THRUST_200600_302600_NS6detail15normal_iteratorINS9_10device_ptrIsEEEENS9_18transform_iteratorINS9_6negateIsEESE_NS9_11use_defaultESI_EESE_sNS9_4plusIvEENS9_8equal_toIvEEsEE10hipError_tPvRmT2_T3_T4_T5_mT6_T7_P12ihipStream_tbENKUlT_T0_E_clISt17integral_constantIbLb1EES13_IbLb0EEEEDaSZ_S10_EUlSZ_E_NS1_11comp_targetILNS1_3genE10ELNS1_11target_archE1200ELNS1_3gpuE4ELNS1_3repE0EEENS1_30default_config_static_selectorELNS0_4arch9wavefront6targetE1EEEvT1_
; %bb.0:
	.section	.rodata,"a",@progbits
	.p2align	6, 0x0
	.amdhsa_kernel _ZN7rocprim17ROCPRIM_400000_NS6detail17trampoline_kernelINS0_14default_configENS1_27scan_by_key_config_selectorIssEEZZNS1_16scan_by_key_implILNS1_25lookback_scan_determinismE0ELb0ES3_N6thrust23THRUST_200600_302600_NS6detail15normal_iteratorINS9_10device_ptrIsEEEENS9_18transform_iteratorINS9_6negateIsEESE_NS9_11use_defaultESI_EESE_sNS9_4plusIvEENS9_8equal_toIvEEsEE10hipError_tPvRmT2_T3_T4_T5_mT6_T7_P12ihipStream_tbENKUlT_T0_E_clISt17integral_constantIbLb1EES13_IbLb0EEEEDaSZ_S10_EUlSZ_E_NS1_11comp_targetILNS1_3genE10ELNS1_11target_archE1200ELNS1_3gpuE4ELNS1_3repE0EEENS1_30default_config_static_selectorELNS0_4arch9wavefront6targetE1EEEvT1_
		.amdhsa_group_segment_fixed_size 0
		.amdhsa_private_segment_fixed_size 0
		.amdhsa_kernarg_size 120
		.amdhsa_user_sgpr_count 2
		.amdhsa_user_sgpr_dispatch_ptr 0
		.amdhsa_user_sgpr_queue_ptr 0
		.amdhsa_user_sgpr_kernarg_segment_ptr 1
		.amdhsa_user_sgpr_dispatch_id 0
		.amdhsa_user_sgpr_kernarg_preload_length 0
		.amdhsa_user_sgpr_kernarg_preload_offset 0
		.amdhsa_user_sgpr_private_segment_size 0
		.amdhsa_uses_dynamic_stack 0
		.amdhsa_enable_private_segment 0
		.amdhsa_system_sgpr_workgroup_id_x 1
		.amdhsa_system_sgpr_workgroup_id_y 0
		.amdhsa_system_sgpr_workgroup_id_z 0
		.amdhsa_system_sgpr_workgroup_info 0
		.amdhsa_system_vgpr_workitem_id 0
		.amdhsa_next_free_vgpr 1
		.amdhsa_next_free_sgpr 0
		.amdhsa_accum_offset 4
		.amdhsa_reserve_vcc 0
		.amdhsa_float_round_mode_32 0
		.amdhsa_float_round_mode_16_64 0
		.amdhsa_float_denorm_mode_32 3
		.amdhsa_float_denorm_mode_16_64 3
		.amdhsa_dx10_clamp 1
		.amdhsa_ieee_mode 1
		.amdhsa_fp16_overflow 0
		.amdhsa_tg_split 0
		.amdhsa_exception_fp_ieee_invalid_op 0
		.amdhsa_exception_fp_denorm_src 0
		.amdhsa_exception_fp_ieee_div_zero 0
		.amdhsa_exception_fp_ieee_overflow 0
		.amdhsa_exception_fp_ieee_underflow 0
		.amdhsa_exception_fp_ieee_inexact 0
		.amdhsa_exception_int_div_zero 0
	.end_amdhsa_kernel
	.section	.text._ZN7rocprim17ROCPRIM_400000_NS6detail17trampoline_kernelINS0_14default_configENS1_27scan_by_key_config_selectorIssEEZZNS1_16scan_by_key_implILNS1_25lookback_scan_determinismE0ELb0ES3_N6thrust23THRUST_200600_302600_NS6detail15normal_iteratorINS9_10device_ptrIsEEEENS9_18transform_iteratorINS9_6negateIsEESE_NS9_11use_defaultESI_EESE_sNS9_4plusIvEENS9_8equal_toIvEEsEE10hipError_tPvRmT2_T3_T4_T5_mT6_T7_P12ihipStream_tbENKUlT_T0_E_clISt17integral_constantIbLb1EES13_IbLb0EEEEDaSZ_S10_EUlSZ_E_NS1_11comp_targetILNS1_3genE10ELNS1_11target_archE1200ELNS1_3gpuE4ELNS1_3repE0EEENS1_30default_config_static_selectorELNS0_4arch9wavefront6targetE1EEEvT1_,"axG",@progbits,_ZN7rocprim17ROCPRIM_400000_NS6detail17trampoline_kernelINS0_14default_configENS1_27scan_by_key_config_selectorIssEEZZNS1_16scan_by_key_implILNS1_25lookback_scan_determinismE0ELb0ES3_N6thrust23THRUST_200600_302600_NS6detail15normal_iteratorINS9_10device_ptrIsEEEENS9_18transform_iteratorINS9_6negateIsEESE_NS9_11use_defaultESI_EESE_sNS9_4plusIvEENS9_8equal_toIvEEsEE10hipError_tPvRmT2_T3_T4_T5_mT6_T7_P12ihipStream_tbENKUlT_T0_E_clISt17integral_constantIbLb1EES13_IbLb0EEEEDaSZ_S10_EUlSZ_E_NS1_11comp_targetILNS1_3genE10ELNS1_11target_archE1200ELNS1_3gpuE4ELNS1_3repE0EEENS1_30default_config_static_selectorELNS0_4arch9wavefront6targetE1EEEvT1_,comdat
.Lfunc_end989:
	.size	_ZN7rocprim17ROCPRIM_400000_NS6detail17trampoline_kernelINS0_14default_configENS1_27scan_by_key_config_selectorIssEEZZNS1_16scan_by_key_implILNS1_25lookback_scan_determinismE0ELb0ES3_N6thrust23THRUST_200600_302600_NS6detail15normal_iteratorINS9_10device_ptrIsEEEENS9_18transform_iteratorINS9_6negateIsEESE_NS9_11use_defaultESI_EESE_sNS9_4plusIvEENS9_8equal_toIvEEsEE10hipError_tPvRmT2_T3_T4_T5_mT6_T7_P12ihipStream_tbENKUlT_T0_E_clISt17integral_constantIbLb1EES13_IbLb0EEEEDaSZ_S10_EUlSZ_E_NS1_11comp_targetILNS1_3genE10ELNS1_11target_archE1200ELNS1_3gpuE4ELNS1_3repE0EEENS1_30default_config_static_selectorELNS0_4arch9wavefront6targetE1EEEvT1_, .Lfunc_end989-_ZN7rocprim17ROCPRIM_400000_NS6detail17trampoline_kernelINS0_14default_configENS1_27scan_by_key_config_selectorIssEEZZNS1_16scan_by_key_implILNS1_25lookback_scan_determinismE0ELb0ES3_N6thrust23THRUST_200600_302600_NS6detail15normal_iteratorINS9_10device_ptrIsEEEENS9_18transform_iteratorINS9_6negateIsEESE_NS9_11use_defaultESI_EESE_sNS9_4plusIvEENS9_8equal_toIvEEsEE10hipError_tPvRmT2_T3_T4_T5_mT6_T7_P12ihipStream_tbENKUlT_T0_E_clISt17integral_constantIbLb1EES13_IbLb0EEEEDaSZ_S10_EUlSZ_E_NS1_11comp_targetILNS1_3genE10ELNS1_11target_archE1200ELNS1_3gpuE4ELNS1_3repE0EEENS1_30default_config_static_selectorELNS0_4arch9wavefront6targetE1EEEvT1_
                                        ; -- End function
	.section	.AMDGPU.csdata,"",@progbits
; Kernel info:
; codeLenInByte = 0
; NumSgprs: 6
; NumVgprs: 0
; NumAgprs: 0
; TotalNumVgprs: 0
; ScratchSize: 0
; MemoryBound: 0
; FloatMode: 240
; IeeeMode: 1
; LDSByteSize: 0 bytes/workgroup (compile time only)
; SGPRBlocks: 0
; VGPRBlocks: 0
; NumSGPRsForWavesPerEU: 6
; NumVGPRsForWavesPerEU: 1
; AccumOffset: 4
; Occupancy: 8
; WaveLimiterHint : 0
; COMPUTE_PGM_RSRC2:SCRATCH_EN: 0
; COMPUTE_PGM_RSRC2:USER_SGPR: 2
; COMPUTE_PGM_RSRC2:TRAP_HANDLER: 0
; COMPUTE_PGM_RSRC2:TGID_X_EN: 1
; COMPUTE_PGM_RSRC2:TGID_Y_EN: 0
; COMPUTE_PGM_RSRC2:TGID_Z_EN: 0
; COMPUTE_PGM_RSRC2:TIDIG_COMP_CNT: 0
; COMPUTE_PGM_RSRC3_GFX90A:ACCUM_OFFSET: 0
; COMPUTE_PGM_RSRC3_GFX90A:TG_SPLIT: 0
	.section	.text._ZN7rocprim17ROCPRIM_400000_NS6detail17trampoline_kernelINS0_14default_configENS1_27scan_by_key_config_selectorIssEEZZNS1_16scan_by_key_implILNS1_25lookback_scan_determinismE0ELb0ES3_N6thrust23THRUST_200600_302600_NS6detail15normal_iteratorINS9_10device_ptrIsEEEENS9_18transform_iteratorINS9_6negateIsEESE_NS9_11use_defaultESI_EESE_sNS9_4plusIvEENS9_8equal_toIvEEsEE10hipError_tPvRmT2_T3_T4_T5_mT6_T7_P12ihipStream_tbENKUlT_T0_E_clISt17integral_constantIbLb1EES13_IbLb0EEEEDaSZ_S10_EUlSZ_E_NS1_11comp_targetILNS1_3genE9ELNS1_11target_archE1100ELNS1_3gpuE3ELNS1_3repE0EEENS1_30default_config_static_selectorELNS0_4arch9wavefront6targetE1EEEvT1_,"axG",@progbits,_ZN7rocprim17ROCPRIM_400000_NS6detail17trampoline_kernelINS0_14default_configENS1_27scan_by_key_config_selectorIssEEZZNS1_16scan_by_key_implILNS1_25lookback_scan_determinismE0ELb0ES3_N6thrust23THRUST_200600_302600_NS6detail15normal_iteratorINS9_10device_ptrIsEEEENS9_18transform_iteratorINS9_6negateIsEESE_NS9_11use_defaultESI_EESE_sNS9_4plusIvEENS9_8equal_toIvEEsEE10hipError_tPvRmT2_T3_T4_T5_mT6_T7_P12ihipStream_tbENKUlT_T0_E_clISt17integral_constantIbLb1EES13_IbLb0EEEEDaSZ_S10_EUlSZ_E_NS1_11comp_targetILNS1_3genE9ELNS1_11target_archE1100ELNS1_3gpuE3ELNS1_3repE0EEENS1_30default_config_static_selectorELNS0_4arch9wavefront6targetE1EEEvT1_,comdat
	.protected	_ZN7rocprim17ROCPRIM_400000_NS6detail17trampoline_kernelINS0_14default_configENS1_27scan_by_key_config_selectorIssEEZZNS1_16scan_by_key_implILNS1_25lookback_scan_determinismE0ELb0ES3_N6thrust23THRUST_200600_302600_NS6detail15normal_iteratorINS9_10device_ptrIsEEEENS9_18transform_iteratorINS9_6negateIsEESE_NS9_11use_defaultESI_EESE_sNS9_4plusIvEENS9_8equal_toIvEEsEE10hipError_tPvRmT2_T3_T4_T5_mT6_T7_P12ihipStream_tbENKUlT_T0_E_clISt17integral_constantIbLb1EES13_IbLb0EEEEDaSZ_S10_EUlSZ_E_NS1_11comp_targetILNS1_3genE9ELNS1_11target_archE1100ELNS1_3gpuE3ELNS1_3repE0EEENS1_30default_config_static_selectorELNS0_4arch9wavefront6targetE1EEEvT1_ ; -- Begin function _ZN7rocprim17ROCPRIM_400000_NS6detail17trampoline_kernelINS0_14default_configENS1_27scan_by_key_config_selectorIssEEZZNS1_16scan_by_key_implILNS1_25lookback_scan_determinismE0ELb0ES3_N6thrust23THRUST_200600_302600_NS6detail15normal_iteratorINS9_10device_ptrIsEEEENS9_18transform_iteratorINS9_6negateIsEESE_NS9_11use_defaultESI_EESE_sNS9_4plusIvEENS9_8equal_toIvEEsEE10hipError_tPvRmT2_T3_T4_T5_mT6_T7_P12ihipStream_tbENKUlT_T0_E_clISt17integral_constantIbLb1EES13_IbLb0EEEEDaSZ_S10_EUlSZ_E_NS1_11comp_targetILNS1_3genE9ELNS1_11target_archE1100ELNS1_3gpuE3ELNS1_3repE0EEENS1_30default_config_static_selectorELNS0_4arch9wavefront6targetE1EEEvT1_
	.globl	_ZN7rocprim17ROCPRIM_400000_NS6detail17trampoline_kernelINS0_14default_configENS1_27scan_by_key_config_selectorIssEEZZNS1_16scan_by_key_implILNS1_25lookback_scan_determinismE0ELb0ES3_N6thrust23THRUST_200600_302600_NS6detail15normal_iteratorINS9_10device_ptrIsEEEENS9_18transform_iteratorINS9_6negateIsEESE_NS9_11use_defaultESI_EESE_sNS9_4plusIvEENS9_8equal_toIvEEsEE10hipError_tPvRmT2_T3_T4_T5_mT6_T7_P12ihipStream_tbENKUlT_T0_E_clISt17integral_constantIbLb1EES13_IbLb0EEEEDaSZ_S10_EUlSZ_E_NS1_11comp_targetILNS1_3genE9ELNS1_11target_archE1100ELNS1_3gpuE3ELNS1_3repE0EEENS1_30default_config_static_selectorELNS0_4arch9wavefront6targetE1EEEvT1_
	.p2align	8
	.type	_ZN7rocprim17ROCPRIM_400000_NS6detail17trampoline_kernelINS0_14default_configENS1_27scan_by_key_config_selectorIssEEZZNS1_16scan_by_key_implILNS1_25lookback_scan_determinismE0ELb0ES3_N6thrust23THRUST_200600_302600_NS6detail15normal_iteratorINS9_10device_ptrIsEEEENS9_18transform_iteratorINS9_6negateIsEESE_NS9_11use_defaultESI_EESE_sNS9_4plusIvEENS9_8equal_toIvEEsEE10hipError_tPvRmT2_T3_T4_T5_mT6_T7_P12ihipStream_tbENKUlT_T0_E_clISt17integral_constantIbLb1EES13_IbLb0EEEEDaSZ_S10_EUlSZ_E_NS1_11comp_targetILNS1_3genE9ELNS1_11target_archE1100ELNS1_3gpuE3ELNS1_3repE0EEENS1_30default_config_static_selectorELNS0_4arch9wavefront6targetE1EEEvT1_,@function
_ZN7rocprim17ROCPRIM_400000_NS6detail17trampoline_kernelINS0_14default_configENS1_27scan_by_key_config_selectorIssEEZZNS1_16scan_by_key_implILNS1_25lookback_scan_determinismE0ELb0ES3_N6thrust23THRUST_200600_302600_NS6detail15normal_iteratorINS9_10device_ptrIsEEEENS9_18transform_iteratorINS9_6negateIsEESE_NS9_11use_defaultESI_EESE_sNS9_4plusIvEENS9_8equal_toIvEEsEE10hipError_tPvRmT2_T3_T4_T5_mT6_T7_P12ihipStream_tbENKUlT_T0_E_clISt17integral_constantIbLb1EES13_IbLb0EEEEDaSZ_S10_EUlSZ_E_NS1_11comp_targetILNS1_3genE9ELNS1_11target_archE1100ELNS1_3gpuE3ELNS1_3repE0EEENS1_30default_config_static_selectorELNS0_4arch9wavefront6targetE1EEEvT1_: ; @_ZN7rocprim17ROCPRIM_400000_NS6detail17trampoline_kernelINS0_14default_configENS1_27scan_by_key_config_selectorIssEEZZNS1_16scan_by_key_implILNS1_25lookback_scan_determinismE0ELb0ES3_N6thrust23THRUST_200600_302600_NS6detail15normal_iteratorINS9_10device_ptrIsEEEENS9_18transform_iteratorINS9_6negateIsEESE_NS9_11use_defaultESI_EESE_sNS9_4plusIvEENS9_8equal_toIvEEsEE10hipError_tPvRmT2_T3_T4_T5_mT6_T7_P12ihipStream_tbENKUlT_T0_E_clISt17integral_constantIbLb1EES13_IbLb0EEEEDaSZ_S10_EUlSZ_E_NS1_11comp_targetILNS1_3genE9ELNS1_11target_archE1100ELNS1_3gpuE3ELNS1_3repE0EEENS1_30default_config_static_selectorELNS0_4arch9wavefront6targetE1EEEvT1_
; %bb.0:
	.section	.rodata,"a",@progbits
	.p2align	6, 0x0
	.amdhsa_kernel _ZN7rocprim17ROCPRIM_400000_NS6detail17trampoline_kernelINS0_14default_configENS1_27scan_by_key_config_selectorIssEEZZNS1_16scan_by_key_implILNS1_25lookback_scan_determinismE0ELb0ES3_N6thrust23THRUST_200600_302600_NS6detail15normal_iteratorINS9_10device_ptrIsEEEENS9_18transform_iteratorINS9_6negateIsEESE_NS9_11use_defaultESI_EESE_sNS9_4plusIvEENS9_8equal_toIvEEsEE10hipError_tPvRmT2_T3_T4_T5_mT6_T7_P12ihipStream_tbENKUlT_T0_E_clISt17integral_constantIbLb1EES13_IbLb0EEEEDaSZ_S10_EUlSZ_E_NS1_11comp_targetILNS1_3genE9ELNS1_11target_archE1100ELNS1_3gpuE3ELNS1_3repE0EEENS1_30default_config_static_selectorELNS0_4arch9wavefront6targetE1EEEvT1_
		.amdhsa_group_segment_fixed_size 0
		.amdhsa_private_segment_fixed_size 0
		.amdhsa_kernarg_size 120
		.amdhsa_user_sgpr_count 2
		.amdhsa_user_sgpr_dispatch_ptr 0
		.amdhsa_user_sgpr_queue_ptr 0
		.amdhsa_user_sgpr_kernarg_segment_ptr 1
		.amdhsa_user_sgpr_dispatch_id 0
		.amdhsa_user_sgpr_kernarg_preload_length 0
		.amdhsa_user_sgpr_kernarg_preload_offset 0
		.amdhsa_user_sgpr_private_segment_size 0
		.amdhsa_uses_dynamic_stack 0
		.amdhsa_enable_private_segment 0
		.amdhsa_system_sgpr_workgroup_id_x 1
		.amdhsa_system_sgpr_workgroup_id_y 0
		.amdhsa_system_sgpr_workgroup_id_z 0
		.amdhsa_system_sgpr_workgroup_info 0
		.amdhsa_system_vgpr_workitem_id 0
		.amdhsa_next_free_vgpr 1
		.amdhsa_next_free_sgpr 0
		.amdhsa_accum_offset 4
		.amdhsa_reserve_vcc 0
		.amdhsa_float_round_mode_32 0
		.amdhsa_float_round_mode_16_64 0
		.amdhsa_float_denorm_mode_32 3
		.amdhsa_float_denorm_mode_16_64 3
		.amdhsa_dx10_clamp 1
		.amdhsa_ieee_mode 1
		.amdhsa_fp16_overflow 0
		.amdhsa_tg_split 0
		.amdhsa_exception_fp_ieee_invalid_op 0
		.amdhsa_exception_fp_denorm_src 0
		.amdhsa_exception_fp_ieee_div_zero 0
		.amdhsa_exception_fp_ieee_overflow 0
		.amdhsa_exception_fp_ieee_underflow 0
		.amdhsa_exception_fp_ieee_inexact 0
		.amdhsa_exception_int_div_zero 0
	.end_amdhsa_kernel
	.section	.text._ZN7rocprim17ROCPRIM_400000_NS6detail17trampoline_kernelINS0_14default_configENS1_27scan_by_key_config_selectorIssEEZZNS1_16scan_by_key_implILNS1_25lookback_scan_determinismE0ELb0ES3_N6thrust23THRUST_200600_302600_NS6detail15normal_iteratorINS9_10device_ptrIsEEEENS9_18transform_iteratorINS9_6negateIsEESE_NS9_11use_defaultESI_EESE_sNS9_4plusIvEENS9_8equal_toIvEEsEE10hipError_tPvRmT2_T3_T4_T5_mT6_T7_P12ihipStream_tbENKUlT_T0_E_clISt17integral_constantIbLb1EES13_IbLb0EEEEDaSZ_S10_EUlSZ_E_NS1_11comp_targetILNS1_3genE9ELNS1_11target_archE1100ELNS1_3gpuE3ELNS1_3repE0EEENS1_30default_config_static_selectorELNS0_4arch9wavefront6targetE1EEEvT1_,"axG",@progbits,_ZN7rocprim17ROCPRIM_400000_NS6detail17trampoline_kernelINS0_14default_configENS1_27scan_by_key_config_selectorIssEEZZNS1_16scan_by_key_implILNS1_25lookback_scan_determinismE0ELb0ES3_N6thrust23THRUST_200600_302600_NS6detail15normal_iteratorINS9_10device_ptrIsEEEENS9_18transform_iteratorINS9_6negateIsEESE_NS9_11use_defaultESI_EESE_sNS9_4plusIvEENS9_8equal_toIvEEsEE10hipError_tPvRmT2_T3_T4_T5_mT6_T7_P12ihipStream_tbENKUlT_T0_E_clISt17integral_constantIbLb1EES13_IbLb0EEEEDaSZ_S10_EUlSZ_E_NS1_11comp_targetILNS1_3genE9ELNS1_11target_archE1100ELNS1_3gpuE3ELNS1_3repE0EEENS1_30default_config_static_selectorELNS0_4arch9wavefront6targetE1EEEvT1_,comdat
.Lfunc_end990:
	.size	_ZN7rocprim17ROCPRIM_400000_NS6detail17trampoline_kernelINS0_14default_configENS1_27scan_by_key_config_selectorIssEEZZNS1_16scan_by_key_implILNS1_25lookback_scan_determinismE0ELb0ES3_N6thrust23THRUST_200600_302600_NS6detail15normal_iteratorINS9_10device_ptrIsEEEENS9_18transform_iteratorINS9_6negateIsEESE_NS9_11use_defaultESI_EESE_sNS9_4plusIvEENS9_8equal_toIvEEsEE10hipError_tPvRmT2_T3_T4_T5_mT6_T7_P12ihipStream_tbENKUlT_T0_E_clISt17integral_constantIbLb1EES13_IbLb0EEEEDaSZ_S10_EUlSZ_E_NS1_11comp_targetILNS1_3genE9ELNS1_11target_archE1100ELNS1_3gpuE3ELNS1_3repE0EEENS1_30default_config_static_selectorELNS0_4arch9wavefront6targetE1EEEvT1_, .Lfunc_end990-_ZN7rocprim17ROCPRIM_400000_NS6detail17trampoline_kernelINS0_14default_configENS1_27scan_by_key_config_selectorIssEEZZNS1_16scan_by_key_implILNS1_25lookback_scan_determinismE0ELb0ES3_N6thrust23THRUST_200600_302600_NS6detail15normal_iteratorINS9_10device_ptrIsEEEENS9_18transform_iteratorINS9_6negateIsEESE_NS9_11use_defaultESI_EESE_sNS9_4plusIvEENS9_8equal_toIvEEsEE10hipError_tPvRmT2_T3_T4_T5_mT6_T7_P12ihipStream_tbENKUlT_T0_E_clISt17integral_constantIbLb1EES13_IbLb0EEEEDaSZ_S10_EUlSZ_E_NS1_11comp_targetILNS1_3genE9ELNS1_11target_archE1100ELNS1_3gpuE3ELNS1_3repE0EEENS1_30default_config_static_selectorELNS0_4arch9wavefront6targetE1EEEvT1_
                                        ; -- End function
	.section	.AMDGPU.csdata,"",@progbits
; Kernel info:
; codeLenInByte = 0
; NumSgprs: 6
; NumVgprs: 0
; NumAgprs: 0
; TotalNumVgprs: 0
; ScratchSize: 0
; MemoryBound: 0
; FloatMode: 240
; IeeeMode: 1
; LDSByteSize: 0 bytes/workgroup (compile time only)
; SGPRBlocks: 0
; VGPRBlocks: 0
; NumSGPRsForWavesPerEU: 6
; NumVGPRsForWavesPerEU: 1
; AccumOffset: 4
; Occupancy: 8
; WaveLimiterHint : 0
; COMPUTE_PGM_RSRC2:SCRATCH_EN: 0
; COMPUTE_PGM_RSRC2:USER_SGPR: 2
; COMPUTE_PGM_RSRC2:TRAP_HANDLER: 0
; COMPUTE_PGM_RSRC2:TGID_X_EN: 1
; COMPUTE_PGM_RSRC2:TGID_Y_EN: 0
; COMPUTE_PGM_RSRC2:TGID_Z_EN: 0
; COMPUTE_PGM_RSRC2:TIDIG_COMP_CNT: 0
; COMPUTE_PGM_RSRC3_GFX90A:ACCUM_OFFSET: 0
; COMPUTE_PGM_RSRC3_GFX90A:TG_SPLIT: 0
	.section	.text._ZN7rocprim17ROCPRIM_400000_NS6detail17trampoline_kernelINS0_14default_configENS1_27scan_by_key_config_selectorIssEEZZNS1_16scan_by_key_implILNS1_25lookback_scan_determinismE0ELb0ES3_N6thrust23THRUST_200600_302600_NS6detail15normal_iteratorINS9_10device_ptrIsEEEENS9_18transform_iteratorINS9_6negateIsEESE_NS9_11use_defaultESI_EESE_sNS9_4plusIvEENS9_8equal_toIvEEsEE10hipError_tPvRmT2_T3_T4_T5_mT6_T7_P12ihipStream_tbENKUlT_T0_E_clISt17integral_constantIbLb1EES13_IbLb0EEEEDaSZ_S10_EUlSZ_E_NS1_11comp_targetILNS1_3genE8ELNS1_11target_archE1030ELNS1_3gpuE2ELNS1_3repE0EEENS1_30default_config_static_selectorELNS0_4arch9wavefront6targetE1EEEvT1_,"axG",@progbits,_ZN7rocprim17ROCPRIM_400000_NS6detail17trampoline_kernelINS0_14default_configENS1_27scan_by_key_config_selectorIssEEZZNS1_16scan_by_key_implILNS1_25lookback_scan_determinismE0ELb0ES3_N6thrust23THRUST_200600_302600_NS6detail15normal_iteratorINS9_10device_ptrIsEEEENS9_18transform_iteratorINS9_6negateIsEESE_NS9_11use_defaultESI_EESE_sNS9_4plusIvEENS9_8equal_toIvEEsEE10hipError_tPvRmT2_T3_T4_T5_mT6_T7_P12ihipStream_tbENKUlT_T0_E_clISt17integral_constantIbLb1EES13_IbLb0EEEEDaSZ_S10_EUlSZ_E_NS1_11comp_targetILNS1_3genE8ELNS1_11target_archE1030ELNS1_3gpuE2ELNS1_3repE0EEENS1_30default_config_static_selectorELNS0_4arch9wavefront6targetE1EEEvT1_,comdat
	.protected	_ZN7rocprim17ROCPRIM_400000_NS6detail17trampoline_kernelINS0_14default_configENS1_27scan_by_key_config_selectorIssEEZZNS1_16scan_by_key_implILNS1_25lookback_scan_determinismE0ELb0ES3_N6thrust23THRUST_200600_302600_NS6detail15normal_iteratorINS9_10device_ptrIsEEEENS9_18transform_iteratorINS9_6negateIsEESE_NS9_11use_defaultESI_EESE_sNS9_4plusIvEENS9_8equal_toIvEEsEE10hipError_tPvRmT2_T3_T4_T5_mT6_T7_P12ihipStream_tbENKUlT_T0_E_clISt17integral_constantIbLb1EES13_IbLb0EEEEDaSZ_S10_EUlSZ_E_NS1_11comp_targetILNS1_3genE8ELNS1_11target_archE1030ELNS1_3gpuE2ELNS1_3repE0EEENS1_30default_config_static_selectorELNS0_4arch9wavefront6targetE1EEEvT1_ ; -- Begin function _ZN7rocprim17ROCPRIM_400000_NS6detail17trampoline_kernelINS0_14default_configENS1_27scan_by_key_config_selectorIssEEZZNS1_16scan_by_key_implILNS1_25lookback_scan_determinismE0ELb0ES3_N6thrust23THRUST_200600_302600_NS6detail15normal_iteratorINS9_10device_ptrIsEEEENS9_18transform_iteratorINS9_6negateIsEESE_NS9_11use_defaultESI_EESE_sNS9_4plusIvEENS9_8equal_toIvEEsEE10hipError_tPvRmT2_T3_T4_T5_mT6_T7_P12ihipStream_tbENKUlT_T0_E_clISt17integral_constantIbLb1EES13_IbLb0EEEEDaSZ_S10_EUlSZ_E_NS1_11comp_targetILNS1_3genE8ELNS1_11target_archE1030ELNS1_3gpuE2ELNS1_3repE0EEENS1_30default_config_static_selectorELNS0_4arch9wavefront6targetE1EEEvT1_
	.globl	_ZN7rocprim17ROCPRIM_400000_NS6detail17trampoline_kernelINS0_14default_configENS1_27scan_by_key_config_selectorIssEEZZNS1_16scan_by_key_implILNS1_25lookback_scan_determinismE0ELb0ES3_N6thrust23THRUST_200600_302600_NS6detail15normal_iteratorINS9_10device_ptrIsEEEENS9_18transform_iteratorINS9_6negateIsEESE_NS9_11use_defaultESI_EESE_sNS9_4plusIvEENS9_8equal_toIvEEsEE10hipError_tPvRmT2_T3_T4_T5_mT6_T7_P12ihipStream_tbENKUlT_T0_E_clISt17integral_constantIbLb1EES13_IbLb0EEEEDaSZ_S10_EUlSZ_E_NS1_11comp_targetILNS1_3genE8ELNS1_11target_archE1030ELNS1_3gpuE2ELNS1_3repE0EEENS1_30default_config_static_selectorELNS0_4arch9wavefront6targetE1EEEvT1_
	.p2align	8
	.type	_ZN7rocprim17ROCPRIM_400000_NS6detail17trampoline_kernelINS0_14default_configENS1_27scan_by_key_config_selectorIssEEZZNS1_16scan_by_key_implILNS1_25lookback_scan_determinismE0ELb0ES3_N6thrust23THRUST_200600_302600_NS6detail15normal_iteratorINS9_10device_ptrIsEEEENS9_18transform_iteratorINS9_6negateIsEESE_NS9_11use_defaultESI_EESE_sNS9_4plusIvEENS9_8equal_toIvEEsEE10hipError_tPvRmT2_T3_T4_T5_mT6_T7_P12ihipStream_tbENKUlT_T0_E_clISt17integral_constantIbLb1EES13_IbLb0EEEEDaSZ_S10_EUlSZ_E_NS1_11comp_targetILNS1_3genE8ELNS1_11target_archE1030ELNS1_3gpuE2ELNS1_3repE0EEENS1_30default_config_static_selectorELNS0_4arch9wavefront6targetE1EEEvT1_,@function
_ZN7rocprim17ROCPRIM_400000_NS6detail17trampoline_kernelINS0_14default_configENS1_27scan_by_key_config_selectorIssEEZZNS1_16scan_by_key_implILNS1_25lookback_scan_determinismE0ELb0ES3_N6thrust23THRUST_200600_302600_NS6detail15normal_iteratorINS9_10device_ptrIsEEEENS9_18transform_iteratorINS9_6negateIsEESE_NS9_11use_defaultESI_EESE_sNS9_4plusIvEENS9_8equal_toIvEEsEE10hipError_tPvRmT2_T3_T4_T5_mT6_T7_P12ihipStream_tbENKUlT_T0_E_clISt17integral_constantIbLb1EES13_IbLb0EEEEDaSZ_S10_EUlSZ_E_NS1_11comp_targetILNS1_3genE8ELNS1_11target_archE1030ELNS1_3gpuE2ELNS1_3repE0EEENS1_30default_config_static_selectorELNS0_4arch9wavefront6targetE1EEEvT1_: ; @_ZN7rocprim17ROCPRIM_400000_NS6detail17trampoline_kernelINS0_14default_configENS1_27scan_by_key_config_selectorIssEEZZNS1_16scan_by_key_implILNS1_25lookback_scan_determinismE0ELb0ES3_N6thrust23THRUST_200600_302600_NS6detail15normal_iteratorINS9_10device_ptrIsEEEENS9_18transform_iteratorINS9_6negateIsEESE_NS9_11use_defaultESI_EESE_sNS9_4plusIvEENS9_8equal_toIvEEsEE10hipError_tPvRmT2_T3_T4_T5_mT6_T7_P12ihipStream_tbENKUlT_T0_E_clISt17integral_constantIbLb1EES13_IbLb0EEEEDaSZ_S10_EUlSZ_E_NS1_11comp_targetILNS1_3genE8ELNS1_11target_archE1030ELNS1_3gpuE2ELNS1_3repE0EEENS1_30default_config_static_selectorELNS0_4arch9wavefront6targetE1EEEvT1_
; %bb.0:
	.section	.rodata,"a",@progbits
	.p2align	6, 0x0
	.amdhsa_kernel _ZN7rocprim17ROCPRIM_400000_NS6detail17trampoline_kernelINS0_14default_configENS1_27scan_by_key_config_selectorIssEEZZNS1_16scan_by_key_implILNS1_25lookback_scan_determinismE0ELb0ES3_N6thrust23THRUST_200600_302600_NS6detail15normal_iteratorINS9_10device_ptrIsEEEENS9_18transform_iteratorINS9_6negateIsEESE_NS9_11use_defaultESI_EESE_sNS9_4plusIvEENS9_8equal_toIvEEsEE10hipError_tPvRmT2_T3_T4_T5_mT6_T7_P12ihipStream_tbENKUlT_T0_E_clISt17integral_constantIbLb1EES13_IbLb0EEEEDaSZ_S10_EUlSZ_E_NS1_11comp_targetILNS1_3genE8ELNS1_11target_archE1030ELNS1_3gpuE2ELNS1_3repE0EEENS1_30default_config_static_selectorELNS0_4arch9wavefront6targetE1EEEvT1_
		.amdhsa_group_segment_fixed_size 0
		.amdhsa_private_segment_fixed_size 0
		.amdhsa_kernarg_size 120
		.amdhsa_user_sgpr_count 2
		.amdhsa_user_sgpr_dispatch_ptr 0
		.amdhsa_user_sgpr_queue_ptr 0
		.amdhsa_user_sgpr_kernarg_segment_ptr 1
		.amdhsa_user_sgpr_dispatch_id 0
		.amdhsa_user_sgpr_kernarg_preload_length 0
		.amdhsa_user_sgpr_kernarg_preload_offset 0
		.amdhsa_user_sgpr_private_segment_size 0
		.amdhsa_uses_dynamic_stack 0
		.amdhsa_enable_private_segment 0
		.amdhsa_system_sgpr_workgroup_id_x 1
		.amdhsa_system_sgpr_workgroup_id_y 0
		.amdhsa_system_sgpr_workgroup_id_z 0
		.amdhsa_system_sgpr_workgroup_info 0
		.amdhsa_system_vgpr_workitem_id 0
		.amdhsa_next_free_vgpr 1
		.amdhsa_next_free_sgpr 0
		.amdhsa_accum_offset 4
		.amdhsa_reserve_vcc 0
		.amdhsa_float_round_mode_32 0
		.amdhsa_float_round_mode_16_64 0
		.amdhsa_float_denorm_mode_32 3
		.amdhsa_float_denorm_mode_16_64 3
		.amdhsa_dx10_clamp 1
		.amdhsa_ieee_mode 1
		.amdhsa_fp16_overflow 0
		.amdhsa_tg_split 0
		.amdhsa_exception_fp_ieee_invalid_op 0
		.amdhsa_exception_fp_denorm_src 0
		.amdhsa_exception_fp_ieee_div_zero 0
		.amdhsa_exception_fp_ieee_overflow 0
		.amdhsa_exception_fp_ieee_underflow 0
		.amdhsa_exception_fp_ieee_inexact 0
		.amdhsa_exception_int_div_zero 0
	.end_amdhsa_kernel
	.section	.text._ZN7rocprim17ROCPRIM_400000_NS6detail17trampoline_kernelINS0_14default_configENS1_27scan_by_key_config_selectorIssEEZZNS1_16scan_by_key_implILNS1_25lookback_scan_determinismE0ELb0ES3_N6thrust23THRUST_200600_302600_NS6detail15normal_iteratorINS9_10device_ptrIsEEEENS9_18transform_iteratorINS9_6negateIsEESE_NS9_11use_defaultESI_EESE_sNS9_4plusIvEENS9_8equal_toIvEEsEE10hipError_tPvRmT2_T3_T4_T5_mT6_T7_P12ihipStream_tbENKUlT_T0_E_clISt17integral_constantIbLb1EES13_IbLb0EEEEDaSZ_S10_EUlSZ_E_NS1_11comp_targetILNS1_3genE8ELNS1_11target_archE1030ELNS1_3gpuE2ELNS1_3repE0EEENS1_30default_config_static_selectorELNS0_4arch9wavefront6targetE1EEEvT1_,"axG",@progbits,_ZN7rocprim17ROCPRIM_400000_NS6detail17trampoline_kernelINS0_14default_configENS1_27scan_by_key_config_selectorIssEEZZNS1_16scan_by_key_implILNS1_25lookback_scan_determinismE0ELb0ES3_N6thrust23THRUST_200600_302600_NS6detail15normal_iteratorINS9_10device_ptrIsEEEENS9_18transform_iteratorINS9_6negateIsEESE_NS9_11use_defaultESI_EESE_sNS9_4plusIvEENS9_8equal_toIvEEsEE10hipError_tPvRmT2_T3_T4_T5_mT6_T7_P12ihipStream_tbENKUlT_T0_E_clISt17integral_constantIbLb1EES13_IbLb0EEEEDaSZ_S10_EUlSZ_E_NS1_11comp_targetILNS1_3genE8ELNS1_11target_archE1030ELNS1_3gpuE2ELNS1_3repE0EEENS1_30default_config_static_selectorELNS0_4arch9wavefront6targetE1EEEvT1_,comdat
.Lfunc_end991:
	.size	_ZN7rocprim17ROCPRIM_400000_NS6detail17trampoline_kernelINS0_14default_configENS1_27scan_by_key_config_selectorIssEEZZNS1_16scan_by_key_implILNS1_25lookback_scan_determinismE0ELb0ES3_N6thrust23THRUST_200600_302600_NS6detail15normal_iteratorINS9_10device_ptrIsEEEENS9_18transform_iteratorINS9_6negateIsEESE_NS9_11use_defaultESI_EESE_sNS9_4plusIvEENS9_8equal_toIvEEsEE10hipError_tPvRmT2_T3_T4_T5_mT6_T7_P12ihipStream_tbENKUlT_T0_E_clISt17integral_constantIbLb1EES13_IbLb0EEEEDaSZ_S10_EUlSZ_E_NS1_11comp_targetILNS1_3genE8ELNS1_11target_archE1030ELNS1_3gpuE2ELNS1_3repE0EEENS1_30default_config_static_selectorELNS0_4arch9wavefront6targetE1EEEvT1_, .Lfunc_end991-_ZN7rocprim17ROCPRIM_400000_NS6detail17trampoline_kernelINS0_14default_configENS1_27scan_by_key_config_selectorIssEEZZNS1_16scan_by_key_implILNS1_25lookback_scan_determinismE0ELb0ES3_N6thrust23THRUST_200600_302600_NS6detail15normal_iteratorINS9_10device_ptrIsEEEENS9_18transform_iteratorINS9_6negateIsEESE_NS9_11use_defaultESI_EESE_sNS9_4plusIvEENS9_8equal_toIvEEsEE10hipError_tPvRmT2_T3_T4_T5_mT6_T7_P12ihipStream_tbENKUlT_T0_E_clISt17integral_constantIbLb1EES13_IbLb0EEEEDaSZ_S10_EUlSZ_E_NS1_11comp_targetILNS1_3genE8ELNS1_11target_archE1030ELNS1_3gpuE2ELNS1_3repE0EEENS1_30default_config_static_selectorELNS0_4arch9wavefront6targetE1EEEvT1_
                                        ; -- End function
	.section	.AMDGPU.csdata,"",@progbits
; Kernel info:
; codeLenInByte = 0
; NumSgprs: 6
; NumVgprs: 0
; NumAgprs: 0
; TotalNumVgprs: 0
; ScratchSize: 0
; MemoryBound: 0
; FloatMode: 240
; IeeeMode: 1
; LDSByteSize: 0 bytes/workgroup (compile time only)
; SGPRBlocks: 0
; VGPRBlocks: 0
; NumSGPRsForWavesPerEU: 6
; NumVGPRsForWavesPerEU: 1
; AccumOffset: 4
; Occupancy: 8
; WaveLimiterHint : 0
; COMPUTE_PGM_RSRC2:SCRATCH_EN: 0
; COMPUTE_PGM_RSRC2:USER_SGPR: 2
; COMPUTE_PGM_RSRC2:TRAP_HANDLER: 0
; COMPUTE_PGM_RSRC2:TGID_X_EN: 1
; COMPUTE_PGM_RSRC2:TGID_Y_EN: 0
; COMPUTE_PGM_RSRC2:TGID_Z_EN: 0
; COMPUTE_PGM_RSRC2:TIDIG_COMP_CNT: 0
; COMPUTE_PGM_RSRC3_GFX90A:ACCUM_OFFSET: 0
; COMPUTE_PGM_RSRC3_GFX90A:TG_SPLIT: 0
	.section	.text._ZN7rocprim17ROCPRIM_400000_NS6detail17trampoline_kernelINS0_14default_configENS1_27scan_by_key_config_selectorIssEEZZNS1_16scan_by_key_implILNS1_25lookback_scan_determinismE0ELb0ES3_N6thrust23THRUST_200600_302600_NS6detail15normal_iteratorINS9_10device_ptrIsEEEENS9_18transform_iteratorINS9_6negateIsEESE_NS9_11use_defaultESI_EESE_sNS9_4plusIvEENS9_8equal_toIvEEsEE10hipError_tPvRmT2_T3_T4_T5_mT6_T7_P12ihipStream_tbENKUlT_T0_E_clISt17integral_constantIbLb0EES13_IbLb1EEEEDaSZ_S10_EUlSZ_E_NS1_11comp_targetILNS1_3genE0ELNS1_11target_archE4294967295ELNS1_3gpuE0ELNS1_3repE0EEENS1_30default_config_static_selectorELNS0_4arch9wavefront6targetE1EEEvT1_,"axG",@progbits,_ZN7rocprim17ROCPRIM_400000_NS6detail17trampoline_kernelINS0_14default_configENS1_27scan_by_key_config_selectorIssEEZZNS1_16scan_by_key_implILNS1_25lookback_scan_determinismE0ELb0ES3_N6thrust23THRUST_200600_302600_NS6detail15normal_iteratorINS9_10device_ptrIsEEEENS9_18transform_iteratorINS9_6negateIsEESE_NS9_11use_defaultESI_EESE_sNS9_4plusIvEENS9_8equal_toIvEEsEE10hipError_tPvRmT2_T3_T4_T5_mT6_T7_P12ihipStream_tbENKUlT_T0_E_clISt17integral_constantIbLb0EES13_IbLb1EEEEDaSZ_S10_EUlSZ_E_NS1_11comp_targetILNS1_3genE0ELNS1_11target_archE4294967295ELNS1_3gpuE0ELNS1_3repE0EEENS1_30default_config_static_selectorELNS0_4arch9wavefront6targetE1EEEvT1_,comdat
	.protected	_ZN7rocprim17ROCPRIM_400000_NS6detail17trampoline_kernelINS0_14default_configENS1_27scan_by_key_config_selectorIssEEZZNS1_16scan_by_key_implILNS1_25lookback_scan_determinismE0ELb0ES3_N6thrust23THRUST_200600_302600_NS6detail15normal_iteratorINS9_10device_ptrIsEEEENS9_18transform_iteratorINS9_6negateIsEESE_NS9_11use_defaultESI_EESE_sNS9_4plusIvEENS9_8equal_toIvEEsEE10hipError_tPvRmT2_T3_T4_T5_mT6_T7_P12ihipStream_tbENKUlT_T0_E_clISt17integral_constantIbLb0EES13_IbLb1EEEEDaSZ_S10_EUlSZ_E_NS1_11comp_targetILNS1_3genE0ELNS1_11target_archE4294967295ELNS1_3gpuE0ELNS1_3repE0EEENS1_30default_config_static_selectorELNS0_4arch9wavefront6targetE1EEEvT1_ ; -- Begin function _ZN7rocprim17ROCPRIM_400000_NS6detail17trampoline_kernelINS0_14default_configENS1_27scan_by_key_config_selectorIssEEZZNS1_16scan_by_key_implILNS1_25lookback_scan_determinismE0ELb0ES3_N6thrust23THRUST_200600_302600_NS6detail15normal_iteratorINS9_10device_ptrIsEEEENS9_18transform_iteratorINS9_6negateIsEESE_NS9_11use_defaultESI_EESE_sNS9_4plusIvEENS9_8equal_toIvEEsEE10hipError_tPvRmT2_T3_T4_T5_mT6_T7_P12ihipStream_tbENKUlT_T0_E_clISt17integral_constantIbLb0EES13_IbLb1EEEEDaSZ_S10_EUlSZ_E_NS1_11comp_targetILNS1_3genE0ELNS1_11target_archE4294967295ELNS1_3gpuE0ELNS1_3repE0EEENS1_30default_config_static_selectorELNS0_4arch9wavefront6targetE1EEEvT1_
	.globl	_ZN7rocprim17ROCPRIM_400000_NS6detail17trampoline_kernelINS0_14default_configENS1_27scan_by_key_config_selectorIssEEZZNS1_16scan_by_key_implILNS1_25lookback_scan_determinismE0ELb0ES3_N6thrust23THRUST_200600_302600_NS6detail15normal_iteratorINS9_10device_ptrIsEEEENS9_18transform_iteratorINS9_6negateIsEESE_NS9_11use_defaultESI_EESE_sNS9_4plusIvEENS9_8equal_toIvEEsEE10hipError_tPvRmT2_T3_T4_T5_mT6_T7_P12ihipStream_tbENKUlT_T0_E_clISt17integral_constantIbLb0EES13_IbLb1EEEEDaSZ_S10_EUlSZ_E_NS1_11comp_targetILNS1_3genE0ELNS1_11target_archE4294967295ELNS1_3gpuE0ELNS1_3repE0EEENS1_30default_config_static_selectorELNS0_4arch9wavefront6targetE1EEEvT1_
	.p2align	8
	.type	_ZN7rocprim17ROCPRIM_400000_NS6detail17trampoline_kernelINS0_14default_configENS1_27scan_by_key_config_selectorIssEEZZNS1_16scan_by_key_implILNS1_25lookback_scan_determinismE0ELb0ES3_N6thrust23THRUST_200600_302600_NS6detail15normal_iteratorINS9_10device_ptrIsEEEENS9_18transform_iteratorINS9_6negateIsEESE_NS9_11use_defaultESI_EESE_sNS9_4plusIvEENS9_8equal_toIvEEsEE10hipError_tPvRmT2_T3_T4_T5_mT6_T7_P12ihipStream_tbENKUlT_T0_E_clISt17integral_constantIbLb0EES13_IbLb1EEEEDaSZ_S10_EUlSZ_E_NS1_11comp_targetILNS1_3genE0ELNS1_11target_archE4294967295ELNS1_3gpuE0ELNS1_3repE0EEENS1_30default_config_static_selectorELNS0_4arch9wavefront6targetE1EEEvT1_,@function
_ZN7rocprim17ROCPRIM_400000_NS6detail17trampoline_kernelINS0_14default_configENS1_27scan_by_key_config_selectorIssEEZZNS1_16scan_by_key_implILNS1_25lookback_scan_determinismE0ELb0ES3_N6thrust23THRUST_200600_302600_NS6detail15normal_iteratorINS9_10device_ptrIsEEEENS9_18transform_iteratorINS9_6negateIsEESE_NS9_11use_defaultESI_EESE_sNS9_4plusIvEENS9_8equal_toIvEEsEE10hipError_tPvRmT2_T3_T4_T5_mT6_T7_P12ihipStream_tbENKUlT_T0_E_clISt17integral_constantIbLb0EES13_IbLb1EEEEDaSZ_S10_EUlSZ_E_NS1_11comp_targetILNS1_3genE0ELNS1_11target_archE4294967295ELNS1_3gpuE0ELNS1_3repE0EEENS1_30default_config_static_selectorELNS0_4arch9wavefront6targetE1EEEvT1_: ; @_ZN7rocprim17ROCPRIM_400000_NS6detail17trampoline_kernelINS0_14default_configENS1_27scan_by_key_config_selectorIssEEZZNS1_16scan_by_key_implILNS1_25lookback_scan_determinismE0ELb0ES3_N6thrust23THRUST_200600_302600_NS6detail15normal_iteratorINS9_10device_ptrIsEEEENS9_18transform_iteratorINS9_6negateIsEESE_NS9_11use_defaultESI_EESE_sNS9_4plusIvEENS9_8equal_toIvEEsEE10hipError_tPvRmT2_T3_T4_T5_mT6_T7_P12ihipStream_tbENKUlT_T0_E_clISt17integral_constantIbLb0EES13_IbLb1EEEEDaSZ_S10_EUlSZ_E_NS1_11comp_targetILNS1_3genE0ELNS1_11target_archE4294967295ELNS1_3gpuE0ELNS1_3repE0EEENS1_30default_config_static_selectorELNS0_4arch9wavefront6targetE1EEEvT1_
; %bb.0:
	.section	.rodata,"a",@progbits
	.p2align	6, 0x0
	.amdhsa_kernel _ZN7rocprim17ROCPRIM_400000_NS6detail17trampoline_kernelINS0_14default_configENS1_27scan_by_key_config_selectorIssEEZZNS1_16scan_by_key_implILNS1_25lookback_scan_determinismE0ELb0ES3_N6thrust23THRUST_200600_302600_NS6detail15normal_iteratorINS9_10device_ptrIsEEEENS9_18transform_iteratorINS9_6negateIsEESE_NS9_11use_defaultESI_EESE_sNS9_4plusIvEENS9_8equal_toIvEEsEE10hipError_tPvRmT2_T3_T4_T5_mT6_T7_P12ihipStream_tbENKUlT_T0_E_clISt17integral_constantIbLb0EES13_IbLb1EEEEDaSZ_S10_EUlSZ_E_NS1_11comp_targetILNS1_3genE0ELNS1_11target_archE4294967295ELNS1_3gpuE0ELNS1_3repE0EEENS1_30default_config_static_selectorELNS0_4arch9wavefront6targetE1EEEvT1_
		.amdhsa_group_segment_fixed_size 0
		.amdhsa_private_segment_fixed_size 0
		.amdhsa_kernarg_size 120
		.amdhsa_user_sgpr_count 2
		.amdhsa_user_sgpr_dispatch_ptr 0
		.amdhsa_user_sgpr_queue_ptr 0
		.amdhsa_user_sgpr_kernarg_segment_ptr 1
		.amdhsa_user_sgpr_dispatch_id 0
		.amdhsa_user_sgpr_kernarg_preload_length 0
		.amdhsa_user_sgpr_kernarg_preload_offset 0
		.amdhsa_user_sgpr_private_segment_size 0
		.amdhsa_uses_dynamic_stack 0
		.amdhsa_enable_private_segment 0
		.amdhsa_system_sgpr_workgroup_id_x 1
		.amdhsa_system_sgpr_workgroup_id_y 0
		.amdhsa_system_sgpr_workgroup_id_z 0
		.amdhsa_system_sgpr_workgroup_info 0
		.amdhsa_system_vgpr_workitem_id 0
		.amdhsa_next_free_vgpr 1
		.amdhsa_next_free_sgpr 0
		.amdhsa_accum_offset 4
		.amdhsa_reserve_vcc 0
		.amdhsa_float_round_mode_32 0
		.amdhsa_float_round_mode_16_64 0
		.amdhsa_float_denorm_mode_32 3
		.amdhsa_float_denorm_mode_16_64 3
		.amdhsa_dx10_clamp 1
		.amdhsa_ieee_mode 1
		.amdhsa_fp16_overflow 0
		.amdhsa_tg_split 0
		.amdhsa_exception_fp_ieee_invalid_op 0
		.amdhsa_exception_fp_denorm_src 0
		.amdhsa_exception_fp_ieee_div_zero 0
		.amdhsa_exception_fp_ieee_overflow 0
		.amdhsa_exception_fp_ieee_underflow 0
		.amdhsa_exception_fp_ieee_inexact 0
		.amdhsa_exception_int_div_zero 0
	.end_amdhsa_kernel
	.section	.text._ZN7rocprim17ROCPRIM_400000_NS6detail17trampoline_kernelINS0_14default_configENS1_27scan_by_key_config_selectorIssEEZZNS1_16scan_by_key_implILNS1_25lookback_scan_determinismE0ELb0ES3_N6thrust23THRUST_200600_302600_NS6detail15normal_iteratorINS9_10device_ptrIsEEEENS9_18transform_iteratorINS9_6negateIsEESE_NS9_11use_defaultESI_EESE_sNS9_4plusIvEENS9_8equal_toIvEEsEE10hipError_tPvRmT2_T3_T4_T5_mT6_T7_P12ihipStream_tbENKUlT_T0_E_clISt17integral_constantIbLb0EES13_IbLb1EEEEDaSZ_S10_EUlSZ_E_NS1_11comp_targetILNS1_3genE0ELNS1_11target_archE4294967295ELNS1_3gpuE0ELNS1_3repE0EEENS1_30default_config_static_selectorELNS0_4arch9wavefront6targetE1EEEvT1_,"axG",@progbits,_ZN7rocprim17ROCPRIM_400000_NS6detail17trampoline_kernelINS0_14default_configENS1_27scan_by_key_config_selectorIssEEZZNS1_16scan_by_key_implILNS1_25lookback_scan_determinismE0ELb0ES3_N6thrust23THRUST_200600_302600_NS6detail15normal_iteratorINS9_10device_ptrIsEEEENS9_18transform_iteratorINS9_6negateIsEESE_NS9_11use_defaultESI_EESE_sNS9_4plusIvEENS9_8equal_toIvEEsEE10hipError_tPvRmT2_T3_T4_T5_mT6_T7_P12ihipStream_tbENKUlT_T0_E_clISt17integral_constantIbLb0EES13_IbLb1EEEEDaSZ_S10_EUlSZ_E_NS1_11comp_targetILNS1_3genE0ELNS1_11target_archE4294967295ELNS1_3gpuE0ELNS1_3repE0EEENS1_30default_config_static_selectorELNS0_4arch9wavefront6targetE1EEEvT1_,comdat
.Lfunc_end992:
	.size	_ZN7rocprim17ROCPRIM_400000_NS6detail17trampoline_kernelINS0_14default_configENS1_27scan_by_key_config_selectorIssEEZZNS1_16scan_by_key_implILNS1_25lookback_scan_determinismE0ELb0ES3_N6thrust23THRUST_200600_302600_NS6detail15normal_iteratorINS9_10device_ptrIsEEEENS9_18transform_iteratorINS9_6negateIsEESE_NS9_11use_defaultESI_EESE_sNS9_4plusIvEENS9_8equal_toIvEEsEE10hipError_tPvRmT2_T3_T4_T5_mT6_T7_P12ihipStream_tbENKUlT_T0_E_clISt17integral_constantIbLb0EES13_IbLb1EEEEDaSZ_S10_EUlSZ_E_NS1_11comp_targetILNS1_3genE0ELNS1_11target_archE4294967295ELNS1_3gpuE0ELNS1_3repE0EEENS1_30default_config_static_selectorELNS0_4arch9wavefront6targetE1EEEvT1_, .Lfunc_end992-_ZN7rocprim17ROCPRIM_400000_NS6detail17trampoline_kernelINS0_14default_configENS1_27scan_by_key_config_selectorIssEEZZNS1_16scan_by_key_implILNS1_25lookback_scan_determinismE0ELb0ES3_N6thrust23THRUST_200600_302600_NS6detail15normal_iteratorINS9_10device_ptrIsEEEENS9_18transform_iteratorINS9_6negateIsEESE_NS9_11use_defaultESI_EESE_sNS9_4plusIvEENS9_8equal_toIvEEsEE10hipError_tPvRmT2_T3_T4_T5_mT6_T7_P12ihipStream_tbENKUlT_T0_E_clISt17integral_constantIbLb0EES13_IbLb1EEEEDaSZ_S10_EUlSZ_E_NS1_11comp_targetILNS1_3genE0ELNS1_11target_archE4294967295ELNS1_3gpuE0ELNS1_3repE0EEENS1_30default_config_static_selectorELNS0_4arch9wavefront6targetE1EEEvT1_
                                        ; -- End function
	.section	.AMDGPU.csdata,"",@progbits
; Kernel info:
; codeLenInByte = 0
; NumSgprs: 6
; NumVgprs: 0
; NumAgprs: 0
; TotalNumVgprs: 0
; ScratchSize: 0
; MemoryBound: 0
; FloatMode: 240
; IeeeMode: 1
; LDSByteSize: 0 bytes/workgroup (compile time only)
; SGPRBlocks: 0
; VGPRBlocks: 0
; NumSGPRsForWavesPerEU: 6
; NumVGPRsForWavesPerEU: 1
; AccumOffset: 4
; Occupancy: 8
; WaveLimiterHint : 0
; COMPUTE_PGM_RSRC2:SCRATCH_EN: 0
; COMPUTE_PGM_RSRC2:USER_SGPR: 2
; COMPUTE_PGM_RSRC2:TRAP_HANDLER: 0
; COMPUTE_PGM_RSRC2:TGID_X_EN: 1
; COMPUTE_PGM_RSRC2:TGID_Y_EN: 0
; COMPUTE_PGM_RSRC2:TGID_Z_EN: 0
; COMPUTE_PGM_RSRC2:TIDIG_COMP_CNT: 0
; COMPUTE_PGM_RSRC3_GFX90A:ACCUM_OFFSET: 0
; COMPUTE_PGM_RSRC3_GFX90A:TG_SPLIT: 0
	.section	.text._ZN7rocprim17ROCPRIM_400000_NS6detail17trampoline_kernelINS0_14default_configENS1_27scan_by_key_config_selectorIssEEZZNS1_16scan_by_key_implILNS1_25lookback_scan_determinismE0ELb0ES3_N6thrust23THRUST_200600_302600_NS6detail15normal_iteratorINS9_10device_ptrIsEEEENS9_18transform_iteratorINS9_6negateIsEESE_NS9_11use_defaultESI_EESE_sNS9_4plusIvEENS9_8equal_toIvEEsEE10hipError_tPvRmT2_T3_T4_T5_mT6_T7_P12ihipStream_tbENKUlT_T0_E_clISt17integral_constantIbLb0EES13_IbLb1EEEEDaSZ_S10_EUlSZ_E_NS1_11comp_targetILNS1_3genE10ELNS1_11target_archE1201ELNS1_3gpuE5ELNS1_3repE0EEENS1_30default_config_static_selectorELNS0_4arch9wavefront6targetE1EEEvT1_,"axG",@progbits,_ZN7rocprim17ROCPRIM_400000_NS6detail17trampoline_kernelINS0_14default_configENS1_27scan_by_key_config_selectorIssEEZZNS1_16scan_by_key_implILNS1_25lookback_scan_determinismE0ELb0ES3_N6thrust23THRUST_200600_302600_NS6detail15normal_iteratorINS9_10device_ptrIsEEEENS9_18transform_iteratorINS9_6negateIsEESE_NS9_11use_defaultESI_EESE_sNS9_4plusIvEENS9_8equal_toIvEEsEE10hipError_tPvRmT2_T3_T4_T5_mT6_T7_P12ihipStream_tbENKUlT_T0_E_clISt17integral_constantIbLb0EES13_IbLb1EEEEDaSZ_S10_EUlSZ_E_NS1_11comp_targetILNS1_3genE10ELNS1_11target_archE1201ELNS1_3gpuE5ELNS1_3repE0EEENS1_30default_config_static_selectorELNS0_4arch9wavefront6targetE1EEEvT1_,comdat
	.protected	_ZN7rocprim17ROCPRIM_400000_NS6detail17trampoline_kernelINS0_14default_configENS1_27scan_by_key_config_selectorIssEEZZNS1_16scan_by_key_implILNS1_25lookback_scan_determinismE0ELb0ES3_N6thrust23THRUST_200600_302600_NS6detail15normal_iteratorINS9_10device_ptrIsEEEENS9_18transform_iteratorINS9_6negateIsEESE_NS9_11use_defaultESI_EESE_sNS9_4plusIvEENS9_8equal_toIvEEsEE10hipError_tPvRmT2_T3_T4_T5_mT6_T7_P12ihipStream_tbENKUlT_T0_E_clISt17integral_constantIbLb0EES13_IbLb1EEEEDaSZ_S10_EUlSZ_E_NS1_11comp_targetILNS1_3genE10ELNS1_11target_archE1201ELNS1_3gpuE5ELNS1_3repE0EEENS1_30default_config_static_selectorELNS0_4arch9wavefront6targetE1EEEvT1_ ; -- Begin function _ZN7rocprim17ROCPRIM_400000_NS6detail17trampoline_kernelINS0_14default_configENS1_27scan_by_key_config_selectorIssEEZZNS1_16scan_by_key_implILNS1_25lookback_scan_determinismE0ELb0ES3_N6thrust23THRUST_200600_302600_NS6detail15normal_iteratorINS9_10device_ptrIsEEEENS9_18transform_iteratorINS9_6negateIsEESE_NS9_11use_defaultESI_EESE_sNS9_4plusIvEENS9_8equal_toIvEEsEE10hipError_tPvRmT2_T3_T4_T5_mT6_T7_P12ihipStream_tbENKUlT_T0_E_clISt17integral_constantIbLb0EES13_IbLb1EEEEDaSZ_S10_EUlSZ_E_NS1_11comp_targetILNS1_3genE10ELNS1_11target_archE1201ELNS1_3gpuE5ELNS1_3repE0EEENS1_30default_config_static_selectorELNS0_4arch9wavefront6targetE1EEEvT1_
	.globl	_ZN7rocprim17ROCPRIM_400000_NS6detail17trampoline_kernelINS0_14default_configENS1_27scan_by_key_config_selectorIssEEZZNS1_16scan_by_key_implILNS1_25lookback_scan_determinismE0ELb0ES3_N6thrust23THRUST_200600_302600_NS6detail15normal_iteratorINS9_10device_ptrIsEEEENS9_18transform_iteratorINS9_6negateIsEESE_NS9_11use_defaultESI_EESE_sNS9_4plusIvEENS9_8equal_toIvEEsEE10hipError_tPvRmT2_T3_T4_T5_mT6_T7_P12ihipStream_tbENKUlT_T0_E_clISt17integral_constantIbLb0EES13_IbLb1EEEEDaSZ_S10_EUlSZ_E_NS1_11comp_targetILNS1_3genE10ELNS1_11target_archE1201ELNS1_3gpuE5ELNS1_3repE0EEENS1_30default_config_static_selectorELNS0_4arch9wavefront6targetE1EEEvT1_
	.p2align	8
	.type	_ZN7rocprim17ROCPRIM_400000_NS6detail17trampoline_kernelINS0_14default_configENS1_27scan_by_key_config_selectorIssEEZZNS1_16scan_by_key_implILNS1_25lookback_scan_determinismE0ELb0ES3_N6thrust23THRUST_200600_302600_NS6detail15normal_iteratorINS9_10device_ptrIsEEEENS9_18transform_iteratorINS9_6negateIsEESE_NS9_11use_defaultESI_EESE_sNS9_4plusIvEENS9_8equal_toIvEEsEE10hipError_tPvRmT2_T3_T4_T5_mT6_T7_P12ihipStream_tbENKUlT_T0_E_clISt17integral_constantIbLb0EES13_IbLb1EEEEDaSZ_S10_EUlSZ_E_NS1_11comp_targetILNS1_3genE10ELNS1_11target_archE1201ELNS1_3gpuE5ELNS1_3repE0EEENS1_30default_config_static_selectorELNS0_4arch9wavefront6targetE1EEEvT1_,@function
_ZN7rocprim17ROCPRIM_400000_NS6detail17trampoline_kernelINS0_14default_configENS1_27scan_by_key_config_selectorIssEEZZNS1_16scan_by_key_implILNS1_25lookback_scan_determinismE0ELb0ES3_N6thrust23THRUST_200600_302600_NS6detail15normal_iteratorINS9_10device_ptrIsEEEENS9_18transform_iteratorINS9_6negateIsEESE_NS9_11use_defaultESI_EESE_sNS9_4plusIvEENS9_8equal_toIvEEsEE10hipError_tPvRmT2_T3_T4_T5_mT6_T7_P12ihipStream_tbENKUlT_T0_E_clISt17integral_constantIbLb0EES13_IbLb1EEEEDaSZ_S10_EUlSZ_E_NS1_11comp_targetILNS1_3genE10ELNS1_11target_archE1201ELNS1_3gpuE5ELNS1_3repE0EEENS1_30default_config_static_selectorELNS0_4arch9wavefront6targetE1EEEvT1_: ; @_ZN7rocprim17ROCPRIM_400000_NS6detail17trampoline_kernelINS0_14default_configENS1_27scan_by_key_config_selectorIssEEZZNS1_16scan_by_key_implILNS1_25lookback_scan_determinismE0ELb0ES3_N6thrust23THRUST_200600_302600_NS6detail15normal_iteratorINS9_10device_ptrIsEEEENS9_18transform_iteratorINS9_6negateIsEESE_NS9_11use_defaultESI_EESE_sNS9_4plusIvEENS9_8equal_toIvEEsEE10hipError_tPvRmT2_T3_T4_T5_mT6_T7_P12ihipStream_tbENKUlT_T0_E_clISt17integral_constantIbLb0EES13_IbLb1EEEEDaSZ_S10_EUlSZ_E_NS1_11comp_targetILNS1_3genE10ELNS1_11target_archE1201ELNS1_3gpuE5ELNS1_3repE0EEENS1_30default_config_static_selectorELNS0_4arch9wavefront6targetE1EEEvT1_
; %bb.0:
	.section	.rodata,"a",@progbits
	.p2align	6, 0x0
	.amdhsa_kernel _ZN7rocprim17ROCPRIM_400000_NS6detail17trampoline_kernelINS0_14default_configENS1_27scan_by_key_config_selectorIssEEZZNS1_16scan_by_key_implILNS1_25lookback_scan_determinismE0ELb0ES3_N6thrust23THRUST_200600_302600_NS6detail15normal_iteratorINS9_10device_ptrIsEEEENS9_18transform_iteratorINS9_6negateIsEESE_NS9_11use_defaultESI_EESE_sNS9_4plusIvEENS9_8equal_toIvEEsEE10hipError_tPvRmT2_T3_T4_T5_mT6_T7_P12ihipStream_tbENKUlT_T0_E_clISt17integral_constantIbLb0EES13_IbLb1EEEEDaSZ_S10_EUlSZ_E_NS1_11comp_targetILNS1_3genE10ELNS1_11target_archE1201ELNS1_3gpuE5ELNS1_3repE0EEENS1_30default_config_static_selectorELNS0_4arch9wavefront6targetE1EEEvT1_
		.amdhsa_group_segment_fixed_size 0
		.amdhsa_private_segment_fixed_size 0
		.amdhsa_kernarg_size 120
		.amdhsa_user_sgpr_count 2
		.amdhsa_user_sgpr_dispatch_ptr 0
		.amdhsa_user_sgpr_queue_ptr 0
		.amdhsa_user_sgpr_kernarg_segment_ptr 1
		.amdhsa_user_sgpr_dispatch_id 0
		.amdhsa_user_sgpr_kernarg_preload_length 0
		.amdhsa_user_sgpr_kernarg_preload_offset 0
		.amdhsa_user_sgpr_private_segment_size 0
		.amdhsa_uses_dynamic_stack 0
		.amdhsa_enable_private_segment 0
		.amdhsa_system_sgpr_workgroup_id_x 1
		.amdhsa_system_sgpr_workgroup_id_y 0
		.amdhsa_system_sgpr_workgroup_id_z 0
		.amdhsa_system_sgpr_workgroup_info 0
		.amdhsa_system_vgpr_workitem_id 0
		.amdhsa_next_free_vgpr 1
		.amdhsa_next_free_sgpr 0
		.amdhsa_accum_offset 4
		.amdhsa_reserve_vcc 0
		.amdhsa_float_round_mode_32 0
		.amdhsa_float_round_mode_16_64 0
		.amdhsa_float_denorm_mode_32 3
		.amdhsa_float_denorm_mode_16_64 3
		.amdhsa_dx10_clamp 1
		.amdhsa_ieee_mode 1
		.amdhsa_fp16_overflow 0
		.amdhsa_tg_split 0
		.amdhsa_exception_fp_ieee_invalid_op 0
		.amdhsa_exception_fp_denorm_src 0
		.amdhsa_exception_fp_ieee_div_zero 0
		.amdhsa_exception_fp_ieee_overflow 0
		.amdhsa_exception_fp_ieee_underflow 0
		.amdhsa_exception_fp_ieee_inexact 0
		.amdhsa_exception_int_div_zero 0
	.end_amdhsa_kernel
	.section	.text._ZN7rocprim17ROCPRIM_400000_NS6detail17trampoline_kernelINS0_14default_configENS1_27scan_by_key_config_selectorIssEEZZNS1_16scan_by_key_implILNS1_25lookback_scan_determinismE0ELb0ES3_N6thrust23THRUST_200600_302600_NS6detail15normal_iteratorINS9_10device_ptrIsEEEENS9_18transform_iteratorINS9_6negateIsEESE_NS9_11use_defaultESI_EESE_sNS9_4plusIvEENS9_8equal_toIvEEsEE10hipError_tPvRmT2_T3_T4_T5_mT6_T7_P12ihipStream_tbENKUlT_T0_E_clISt17integral_constantIbLb0EES13_IbLb1EEEEDaSZ_S10_EUlSZ_E_NS1_11comp_targetILNS1_3genE10ELNS1_11target_archE1201ELNS1_3gpuE5ELNS1_3repE0EEENS1_30default_config_static_selectorELNS0_4arch9wavefront6targetE1EEEvT1_,"axG",@progbits,_ZN7rocprim17ROCPRIM_400000_NS6detail17trampoline_kernelINS0_14default_configENS1_27scan_by_key_config_selectorIssEEZZNS1_16scan_by_key_implILNS1_25lookback_scan_determinismE0ELb0ES3_N6thrust23THRUST_200600_302600_NS6detail15normal_iteratorINS9_10device_ptrIsEEEENS9_18transform_iteratorINS9_6negateIsEESE_NS9_11use_defaultESI_EESE_sNS9_4plusIvEENS9_8equal_toIvEEsEE10hipError_tPvRmT2_T3_T4_T5_mT6_T7_P12ihipStream_tbENKUlT_T0_E_clISt17integral_constantIbLb0EES13_IbLb1EEEEDaSZ_S10_EUlSZ_E_NS1_11comp_targetILNS1_3genE10ELNS1_11target_archE1201ELNS1_3gpuE5ELNS1_3repE0EEENS1_30default_config_static_selectorELNS0_4arch9wavefront6targetE1EEEvT1_,comdat
.Lfunc_end993:
	.size	_ZN7rocprim17ROCPRIM_400000_NS6detail17trampoline_kernelINS0_14default_configENS1_27scan_by_key_config_selectorIssEEZZNS1_16scan_by_key_implILNS1_25lookback_scan_determinismE0ELb0ES3_N6thrust23THRUST_200600_302600_NS6detail15normal_iteratorINS9_10device_ptrIsEEEENS9_18transform_iteratorINS9_6negateIsEESE_NS9_11use_defaultESI_EESE_sNS9_4plusIvEENS9_8equal_toIvEEsEE10hipError_tPvRmT2_T3_T4_T5_mT6_T7_P12ihipStream_tbENKUlT_T0_E_clISt17integral_constantIbLb0EES13_IbLb1EEEEDaSZ_S10_EUlSZ_E_NS1_11comp_targetILNS1_3genE10ELNS1_11target_archE1201ELNS1_3gpuE5ELNS1_3repE0EEENS1_30default_config_static_selectorELNS0_4arch9wavefront6targetE1EEEvT1_, .Lfunc_end993-_ZN7rocprim17ROCPRIM_400000_NS6detail17trampoline_kernelINS0_14default_configENS1_27scan_by_key_config_selectorIssEEZZNS1_16scan_by_key_implILNS1_25lookback_scan_determinismE0ELb0ES3_N6thrust23THRUST_200600_302600_NS6detail15normal_iteratorINS9_10device_ptrIsEEEENS9_18transform_iteratorINS9_6negateIsEESE_NS9_11use_defaultESI_EESE_sNS9_4plusIvEENS9_8equal_toIvEEsEE10hipError_tPvRmT2_T3_T4_T5_mT6_T7_P12ihipStream_tbENKUlT_T0_E_clISt17integral_constantIbLb0EES13_IbLb1EEEEDaSZ_S10_EUlSZ_E_NS1_11comp_targetILNS1_3genE10ELNS1_11target_archE1201ELNS1_3gpuE5ELNS1_3repE0EEENS1_30default_config_static_selectorELNS0_4arch9wavefront6targetE1EEEvT1_
                                        ; -- End function
	.section	.AMDGPU.csdata,"",@progbits
; Kernel info:
; codeLenInByte = 0
; NumSgprs: 6
; NumVgprs: 0
; NumAgprs: 0
; TotalNumVgprs: 0
; ScratchSize: 0
; MemoryBound: 0
; FloatMode: 240
; IeeeMode: 1
; LDSByteSize: 0 bytes/workgroup (compile time only)
; SGPRBlocks: 0
; VGPRBlocks: 0
; NumSGPRsForWavesPerEU: 6
; NumVGPRsForWavesPerEU: 1
; AccumOffset: 4
; Occupancy: 8
; WaveLimiterHint : 0
; COMPUTE_PGM_RSRC2:SCRATCH_EN: 0
; COMPUTE_PGM_RSRC2:USER_SGPR: 2
; COMPUTE_PGM_RSRC2:TRAP_HANDLER: 0
; COMPUTE_PGM_RSRC2:TGID_X_EN: 1
; COMPUTE_PGM_RSRC2:TGID_Y_EN: 0
; COMPUTE_PGM_RSRC2:TGID_Z_EN: 0
; COMPUTE_PGM_RSRC2:TIDIG_COMP_CNT: 0
; COMPUTE_PGM_RSRC3_GFX90A:ACCUM_OFFSET: 0
; COMPUTE_PGM_RSRC3_GFX90A:TG_SPLIT: 0
	.section	.text._ZN7rocprim17ROCPRIM_400000_NS6detail17trampoline_kernelINS0_14default_configENS1_27scan_by_key_config_selectorIssEEZZNS1_16scan_by_key_implILNS1_25lookback_scan_determinismE0ELb0ES3_N6thrust23THRUST_200600_302600_NS6detail15normal_iteratorINS9_10device_ptrIsEEEENS9_18transform_iteratorINS9_6negateIsEESE_NS9_11use_defaultESI_EESE_sNS9_4plusIvEENS9_8equal_toIvEEsEE10hipError_tPvRmT2_T3_T4_T5_mT6_T7_P12ihipStream_tbENKUlT_T0_E_clISt17integral_constantIbLb0EES13_IbLb1EEEEDaSZ_S10_EUlSZ_E_NS1_11comp_targetILNS1_3genE5ELNS1_11target_archE942ELNS1_3gpuE9ELNS1_3repE0EEENS1_30default_config_static_selectorELNS0_4arch9wavefront6targetE1EEEvT1_,"axG",@progbits,_ZN7rocprim17ROCPRIM_400000_NS6detail17trampoline_kernelINS0_14default_configENS1_27scan_by_key_config_selectorIssEEZZNS1_16scan_by_key_implILNS1_25lookback_scan_determinismE0ELb0ES3_N6thrust23THRUST_200600_302600_NS6detail15normal_iteratorINS9_10device_ptrIsEEEENS9_18transform_iteratorINS9_6negateIsEESE_NS9_11use_defaultESI_EESE_sNS9_4plusIvEENS9_8equal_toIvEEsEE10hipError_tPvRmT2_T3_T4_T5_mT6_T7_P12ihipStream_tbENKUlT_T0_E_clISt17integral_constantIbLb0EES13_IbLb1EEEEDaSZ_S10_EUlSZ_E_NS1_11comp_targetILNS1_3genE5ELNS1_11target_archE942ELNS1_3gpuE9ELNS1_3repE0EEENS1_30default_config_static_selectorELNS0_4arch9wavefront6targetE1EEEvT1_,comdat
	.protected	_ZN7rocprim17ROCPRIM_400000_NS6detail17trampoline_kernelINS0_14default_configENS1_27scan_by_key_config_selectorIssEEZZNS1_16scan_by_key_implILNS1_25lookback_scan_determinismE0ELb0ES3_N6thrust23THRUST_200600_302600_NS6detail15normal_iteratorINS9_10device_ptrIsEEEENS9_18transform_iteratorINS9_6negateIsEESE_NS9_11use_defaultESI_EESE_sNS9_4plusIvEENS9_8equal_toIvEEsEE10hipError_tPvRmT2_T3_T4_T5_mT6_T7_P12ihipStream_tbENKUlT_T0_E_clISt17integral_constantIbLb0EES13_IbLb1EEEEDaSZ_S10_EUlSZ_E_NS1_11comp_targetILNS1_3genE5ELNS1_11target_archE942ELNS1_3gpuE9ELNS1_3repE0EEENS1_30default_config_static_selectorELNS0_4arch9wavefront6targetE1EEEvT1_ ; -- Begin function _ZN7rocprim17ROCPRIM_400000_NS6detail17trampoline_kernelINS0_14default_configENS1_27scan_by_key_config_selectorIssEEZZNS1_16scan_by_key_implILNS1_25lookback_scan_determinismE0ELb0ES3_N6thrust23THRUST_200600_302600_NS6detail15normal_iteratorINS9_10device_ptrIsEEEENS9_18transform_iteratorINS9_6negateIsEESE_NS9_11use_defaultESI_EESE_sNS9_4plusIvEENS9_8equal_toIvEEsEE10hipError_tPvRmT2_T3_T4_T5_mT6_T7_P12ihipStream_tbENKUlT_T0_E_clISt17integral_constantIbLb0EES13_IbLb1EEEEDaSZ_S10_EUlSZ_E_NS1_11comp_targetILNS1_3genE5ELNS1_11target_archE942ELNS1_3gpuE9ELNS1_3repE0EEENS1_30default_config_static_selectorELNS0_4arch9wavefront6targetE1EEEvT1_
	.globl	_ZN7rocprim17ROCPRIM_400000_NS6detail17trampoline_kernelINS0_14default_configENS1_27scan_by_key_config_selectorIssEEZZNS1_16scan_by_key_implILNS1_25lookback_scan_determinismE0ELb0ES3_N6thrust23THRUST_200600_302600_NS6detail15normal_iteratorINS9_10device_ptrIsEEEENS9_18transform_iteratorINS9_6negateIsEESE_NS9_11use_defaultESI_EESE_sNS9_4plusIvEENS9_8equal_toIvEEsEE10hipError_tPvRmT2_T3_T4_T5_mT6_T7_P12ihipStream_tbENKUlT_T0_E_clISt17integral_constantIbLb0EES13_IbLb1EEEEDaSZ_S10_EUlSZ_E_NS1_11comp_targetILNS1_3genE5ELNS1_11target_archE942ELNS1_3gpuE9ELNS1_3repE0EEENS1_30default_config_static_selectorELNS0_4arch9wavefront6targetE1EEEvT1_
	.p2align	8
	.type	_ZN7rocprim17ROCPRIM_400000_NS6detail17trampoline_kernelINS0_14default_configENS1_27scan_by_key_config_selectorIssEEZZNS1_16scan_by_key_implILNS1_25lookback_scan_determinismE0ELb0ES3_N6thrust23THRUST_200600_302600_NS6detail15normal_iteratorINS9_10device_ptrIsEEEENS9_18transform_iteratorINS9_6negateIsEESE_NS9_11use_defaultESI_EESE_sNS9_4plusIvEENS9_8equal_toIvEEsEE10hipError_tPvRmT2_T3_T4_T5_mT6_T7_P12ihipStream_tbENKUlT_T0_E_clISt17integral_constantIbLb0EES13_IbLb1EEEEDaSZ_S10_EUlSZ_E_NS1_11comp_targetILNS1_3genE5ELNS1_11target_archE942ELNS1_3gpuE9ELNS1_3repE0EEENS1_30default_config_static_selectorELNS0_4arch9wavefront6targetE1EEEvT1_,@function
_ZN7rocprim17ROCPRIM_400000_NS6detail17trampoline_kernelINS0_14default_configENS1_27scan_by_key_config_selectorIssEEZZNS1_16scan_by_key_implILNS1_25lookback_scan_determinismE0ELb0ES3_N6thrust23THRUST_200600_302600_NS6detail15normal_iteratorINS9_10device_ptrIsEEEENS9_18transform_iteratorINS9_6negateIsEESE_NS9_11use_defaultESI_EESE_sNS9_4plusIvEENS9_8equal_toIvEEsEE10hipError_tPvRmT2_T3_T4_T5_mT6_T7_P12ihipStream_tbENKUlT_T0_E_clISt17integral_constantIbLb0EES13_IbLb1EEEEDaSZ_S10_EUlSZ_E_NS1_11comp_targetILNS1_3genE5ELNS1_11target_archE942ELNS1_3gpuE9ELNS1_3repE0EEENS1_30default_config_static_selectorELNS0_4arch9wavefront6targetE1EEEvT1_: ; @_ZN7rocprim17ROCPRIM_400000_NS6detail17trampoline_kernelINS0_14default_configENS1_27scan_by_key_config_selectorIssEEZZNS1_16scan_by_key_implILNS1_25lookback_scan_determinismE0ELb0ES3_N6thrust23THRUST_200600_302600_NS6detail15normal_iteratorINS9_10device_ptrIsEEEENS9_18transform_iteratorINS9_6negateIsEESE_NS9_11use_defaultESI_EESE_sNS9_4plusIvEENS9_8equal_toIvEEsEE10hipError_tPvRmT2_T3_T4_T5_mT6_T7_P12ihipStream_tbENKUlT_T0_E_clISt17integral_constantIbLb0EES13_IbLb1EEEEDaSZ_S10_EUlSZ_E_NS1_11comp_targetILNS1_3genE5ELNS1_11target_archE942ELNS1_3gpuE9ELNS1_3repE0EEENS1_30default_config_static_selectorELNS0_4arch9wavefront6targetE1EEEvT1_
; %bb.0:
	s_load_dwordx4 s[8:11], s[0:1], 0x0
	s_load_dwordx2 s[2:3], s[0:1], 0x10
	s_load_dwordx2 s[58:59], s[0:1], 0x20
	s_load_dwordx4 s[68:71], s[0:1], 0x30
	s_load_dwordx2 s[74:75], s[0:1], 0x40
	v_cmp_ne_u32_e64 s[4:5], 0, v0
	v_cmp_eq_u32_e64 s[56:57], 0, v0
	s_and_saveexec_b64 s[6:7], s[56:57]
	s_cbranch_execz .LBB994_4
; %bb.1:
	s_mov_b64 s[14:15], exec
	v_mbcnt_lo_u32_b32 v1, s14, 0
	v_mbcnt_hi_u32_b32 v1, s15, v1
	v_cmp_eq_u32_e32 vcc, 0, v1
                                        ; implicit-def: $vgpr2
	s_and_saveexec_b64 s[12:13], vcc
	s_cbranch_execz .LBB994_3
; %bb.2:
	s_load_dwordx2 s[16:17], s[0:1], 0x70
	s_bcnt1_i32_b64 s14, s[14:15]
	v_mov_b32_e32 v2, 0
	v_mov_b32_e32 v3, s14
	s_waitcnt lgkmcnt(0)
	global_atomic_add v2, v2, v3, s[16:17] sc0
.LBB994_3:
	s_or_b64 exec, exec, s[12:13]
	s_waitcnt vmcnt(0)
	v_readfirstlane_b32 s12, v2
	v_mov_b32_e32 v2, 0
	s_nop 0
	v_add_u32_e32 v1, s12, v1
	ds_write_b32 v2, v1
.LBB994_4:
	s_or_b64 exec, exec, s[6:7]
	v_mov_b32_e32 v1, 0
	s_load_dword s6, s[0:1], 0x48
	s_load_dwordx8 s[60:67], s[0:1], 0x50
	s_waitcnt lgkmcnt(0)
	s_barrier
	ds_read_b32 v1, v1
	s_lshl_b64 s[72:73], s[10:11], 1
	s_add_u32 s7, s8, s72
	s_addc_u32 s8, s9, s73
	s_add_u32 s2, s2, s72
	s_mul_i32 s0, s75, s6
	s_mul_hi_u32 s1, s74, s6
	s_addc_u32 s3, s3, s73
	s_add_i32 s9, s1, s0
	s_waitcnt lgkmcnt(0)
	v_readfirstlane_b32 s71, v1
	s_cmp_lg_u64 s[64:65], 0
	s_mov_b32 s1, 0
	s_mul_i32 s0, s71, 0x1800
	s_cselect_b64 s[80:81], -1, 0
	s_lshl_b64 s[64:65], s[0:1], 1
	s_add_u32 s78, s7, s64
	s_addc_u32 s79, s8, s65
	s_add_u32 s76, s2, s64
	s_mul_i32 s6, s74, s6
	s_addc_u32 s77, s3, s65
	s_add_u32 s82, s6, s71
	s_addc_u32 s83, s9, 0
	s_add_u32 s0, s60, -1
	s_addc_u32 s1, s61, -1
	v_mov_b64_e32 v[2:3], s[0:1]
	v_cmp_ge_u64_e64 s[2:3], s[82:83], v[2:3]
	s_mov_b64 s[12:13], 0
	s_mov_b64 s[6:7], -1
	s_and_b64 vcc, exec, s[2:3]
	s_mul_i32 s33, s0, 0xffffe800
	s_barrier
	s_barrier
	s_cbranch_vccz .LBB994_131
; %bb.5:
	v_mov_b64_e32 v[2:3], s[78:79]
	flat_load_ushort v1, v[2:3]
	s_add_i32 s86, s33, s70
	v_cmp_gt_u32_e64 s[6:7], s86, v0
	s_waitcnt vmcnt(0) lgkmcnt(0)
	v_mov_b32_e32 v22, v1
	s_and_saveexec_b64 s[0:1], s[6:7]
	s_cbranch_execz .LBB994_7
; %bb.6:
	v_lshlrev_b32_e32 v2, 1, v0
	v_mov_b32_e32 v3, 0
	v_lshl_add_u64 v[2:3], s[78:79], 0, v[2:3]
	flat_load_ushort v22, v[2:3]
.LBB994_7:
	s_or_b64 exec, exec, s[0:1]
	v_or_b32_e32 v2, 0x100, v0
	v_cmp_gt_u32_e64 s[8:9], s86, v2
	v_mov_b32_e32 v23, v1
	s_and_saveexec_b64 s[0:1], s[8:9]
	s_cbranch_execz .LBB994_9
; %bb.8:
	v_lshlrev_b32_e32 v2, 1, v0
	v_mov_b32_e32 v3, 0
	v_lshl_add_u64 v[2:3], s[78:79], 0, v[2:3]
	flat_load_ushort v23, v[2:3] offset:512
.LBB994_9:
	s_or_b64 exec, exec, s[0:1]
	v_or_b32_e32 v2, 0x200, v0
	v_cmp_gt_u32_e64 s[10:11], s86, v2
	v_mov_b32_e32 v24, v1
	s_and_saveexec_b64 s[0:1], s[10:11]
	s_cbranch_execz .LBB994_11
; %bb.10:
	v_lshlrev_b32_e32 v2, 1, v0
	v_mov_b32_e32 v3, 0
	v_lshl_add_u64 v[2:3], s[78:79], 0, v[2:3]
	flat_load_ushort v24, v[2:3] offset:1024
.LBB994_11:
	;; [unrolled: 12-line block ×7, first 2 shown]
	s_or_b64 exec, exec, s[0:1]
	v_or_b32_e32 v2, 0x800, v0
	v_cmp_gt_u32_e64 s[22:23], s86, v2
	v_lshlrev_b32_e32 v2, 1, v2
	v_mov_b32_e32 v30, v1
	s_and_saveexec_b64 s[0:1], s[22:23]
	s_cbranch_execz .LBB994_23
; %bb.22:
	v_mov_b32_e32 v3, 0
	v_lshl_add_u64 v[4:5], s[78:79], 0, v[2:3]
	flat_load_ushort v30, v[4:5]
.LBB994_23:
	s_or_b64 exec, exec, s[0:1]
	v_or_b32_e32 v3, 0x900, v0
	v_cmp_gt_u32_e64 s[24:25], s86, v3
	v_lshlrev_b32_e32 v4, 1, v3
	v_mov_b32_e32 v5, v1
	s_and_saveexec_b64 s[0:1], s[24:25]
	s_cbranch_execz .LBB994_25
; %bb.24:
	v_mov_b32_e32 v5, 0
	v_lshl_add_u64 v[6:7], s[78:79], 0, v[4:5]
	flat_load_ushort v5, v[6:7]
.LBB994_25:
	;; [unrolled: 12-line block ×15, first 2 shown]
	s_or_b64 exec, exec, s[0:1]
	v_or_b32_e32 v3, 0x1700, v0
	v_cmp_gt_u32_e64 s[54:55], s86, v3
	v_lshlrev_b32_e32 v44, 1, v3
	s_and_saveexec_b64 s[0:1], s[54:55]
	s_cbranch_execz .LBB994_53
; %bb.52:
	v_mov_b32_e32 v45, 0
	v_lshl_add_u64 v[46:47], s[78:79], 0, v[44:45]
	flat_load_ushort v1, v[46:47]
.LBB994_53:
	s_or_b64 exec, exec, s[0:1]
	v_lshlrev_b32_e32 v3, 1, v0
	v_mad_u32_u24 v41, v0, 46, v3
	s_waitcnt vmcnt(0) lgkmcnt(0)
	ds_write_b16 v3, v22
	ds_write_b16 v3, v23 offset:512
	ds_write_b16 v3, v24 offset:1024
	;; [unrolled: 1-line block ×23, first 2 shown]
	s_waitcnt lgkmcnt(0)
	s_barrier
	ds_read_b128 v[30:33], v41
	ds_read_b128 v[26:29], v41 offset:16
	ds_read_b128 v[22:25], v41 offset:32
	s_cmp_eq_u64 s[82:83], 0
	s_mov_b64 s[0:1], s[78:79]
	s_cbranch_scc1 .LBB994_57
; %bb.54:
	s_andn2_b64 vcc, exec, s[80:81]
	s_cbranch_vccnz .LBB994_317
; %bb.55:
	s_lshl_b64 s[0:1], s[82:83], 1
	s_add_u32 s0, s66, s0
	s_addc_u32 s1, s67, s1
	s_add_u32 s0, s0, -2
	s_addc_u32 s1, s1, -1
	s_cbranch_execnz .LBB994_57
.LBB994_56:
	s_add_u32 s0, s78, -2
	s_addc_u32 s1, s79, -1
.LBB994_57:
	v_mov_b64_e32 v[46:47], s[0:1]
	flat_load_ushort v35, v[46:47]
	s_movk_i32 s0, 0xffd2
	s_waitcnt lgkmcnt(0)
	v_lshrrev_b32_e32 v43, 16, v25
	v_mad_i32_i24 v1, v0, s0, v41
	ds_write_b16 v1, v43 offset:12288
	s_waitcnt lgkmcnt(0)
	s_barrier
	s_and_saveexec_b64 s[0:1], s[4:5]
	s_cbranch_execz .LBB994_59
; %bb.58:
	v_mul_i32_i24_e32 v1, 0xffffffd2, v0
	v_add_u32_e32 v1, v41, v1
	s_waitcnt vmcnt(0)
	ds_read_u16 v35, v1 offset:12286
.LBB994_59:
	s_or_b64 exec, exec, s[0:1]
	s_waitcnt lgkmcnt(0)
	s_barrier
	s_waitcnt lgkmcnt(0)
                                        ; implicit-def: $vgpr1
	s_and_saveexec_b64 s[0:1], s[6:7]
	s_cbranch_execnz .LBB994_294
; %bb.60:
	s_or_b64 exec, exec, s[0:1]
                                        ; implicit-def: $vgpr5
	s_and_saveexec_b64 s[0:1], s[8:9]
	s_cbranch_execnz .LBB994_295
.LBB994_61:
	s_or_b64 exec, exec, s[0:1]
                                        ; implicit-def: $vgpr7
	s_and_saveexec_b64 s[0:1], s[10:11]
	s_cbranch_execnz .LBB994_296
.LBB994_62:
	s_or_b64 exec, exec, s[0:1]
                                        ; implicit-def: $vgpr9
	s_and_saveexec_b64 s[0:1], s[12:13]
	s_cbranch_execnz .LBB994_297
.LBB994_63:
	s_or_b64 exec, exec, s[0:1]
                                        ; implicit-def: $vgpr11
	s_and_saveexec_b64 s[0:1], s[14:15]
	s_cbranch_execnz .LBB994_298
.LBB994_64:
	s_or_b64 exec, exec, s[0:1]
                                        ; implicit-def: $vgpr13
	s_and_saveexec_b64 s[0:1], s[16:17]
	s_cbranch_execnz .LBB994_299
.LBB994_65:
	s_or_b64 exec, exec, s[0:1]
                                        ; implicit-def: $vgpr15
	s_and_saveexec_b64 s[0:1], s[18:19]
	s_cbranch_execnz .LBB994_300
.LBB994_66:
	s_or_b64 exec, exec, s[0:1]
                                        ; implicit-def: $vgpr17
	s_and_saveexec_b64 s[0:1], s[20:21]
	s_cbranch_execnz .LBB994_301
.LBB994_67:
	s_or_b64 exec, exec, s[0:1]
                                        ; implicit-def: $vgpr19
	s_and_saveexec_b64 s[0:1], s[22:23]
	s_cbranch_execnz .LBB994_302
.LBB994_68:
	s_or_b64 exec, exec, s[0:1]
                                        ; implicit-def: $vgpr2
	s_and_saveexec_b64 s[0:1], s[24:25]
	s_cbranch_execnz .LBB994_303
.LBB994_69:
	s_or_b64 exec, exec, s[0:1]
                                        ; implicit-def: $vgpr4
	s_and_saveexec_b64 s[0:1], s[26:27]
	s_cbranch_execnz .LBB994_304
.LBB994_70:
	s_or_b64 exec, exec, s[0:1]
                                        ; implicit-def: $vgpr6
	s_and_saveexec_b64 s[0:1], s[28:29]
	s_cbranch_execnz .LBB994_305
.LBB994_71:
	s_or_b64 exec, exec, s[0:1]
                                        ; implicit-def: $vgpr8
	s_and_saveexec_b64 s[0:1], s[30:31]
	s_cbranch_execnz .LBB994_306
.LBB994_72:
	s_or_b64 exec, exec, s[0:1]
                                        ; implicit-def: $vgpr10
	s_and_saveexec_b64 s[0:1], s[34:35]
	s_cbranch_execnz .LBB994_307
.LBB994_73:
	s_or_b64 exec, exec, s[0:1]
                                        ; implicit-def: $vgpr12
	s_and_saveexec_b64 s[0:1], s[36:37]
	s_cbranch_execnz .LBB994_308
.LBB994_74:
	s_or_b64 exec, exec, s[0:1]
                                        ; implicit-def: $vgpr14
	s_and_saveexec_b64 s[0:1], s[38:39]
	s_cbranch_execnz .LBB994_309
.LBB994_75:
	s_or_b64 exec, exec, s[0:1]
                                        ; implicit-def: $vgpr16
	s_and_saveexec_b64 s[0:1], s[40:41]
	s_cbranch_execnz .LBB994_310
.LBB994_76:
	s_or_b64 exec, exec, s[0:1]
                                        ; implicit-def: $vgpr18
	s_and_saveexec_b64 s[0:1], s[42:43]
	s_cbranch_execnz .LBB994_311
.LBB994_77:
	s_or_b64 exec, exec, s[0:1]
                                        ; implicit-def: $vgpr20
	s_and_saveexec_b64 s[0:1], s[44:45]
	s_cbranch_execnz .LBB994_312
.LBB994_78:
	s_or_b64 exec, exec, s[0:1]
                                        ; implicit-def: $vgpr21
	s_and_saveexec_b64 s[0:1], s[46:47]
	s_cbranch_execnz .LBB994_313
.LBB994_79:
	s_or_b64 exec, exec, s[0:1]
                                        ; implicit-def: $vgpr34
	s_and_saveexec_b64 s[0:1], s[48:49]
	s_cbranch_execnz .LBB994_314
.LBB994_80:
	s_or_b64 exec, exec, s[0:1]
                                        ; implicit-def: $vgpr36
	s_and_saveexec_b64 s[0:1], s[50:51]
	s_cbranch_execnz .LBB994_315
.LBB994_81:
	s_or_b64 exec, exec, s[0:1]
                                        ; implicit-def: $vgpr37
	s_and_saveexec_b64 s[0:1], s[52:53]
	s_cbranch_execnz .LBB994_316
.LBB994_82:
	s_or_b64 exec, exec, s[0:1]
                                        ; implicit-def: $vgpr38
	s_and_saveexec_b64 s[0:1], s[54:55]
	s_cbranch_execz .LBB994_84
.LBB994_83:
	global_load_ushort v38, v44, s[76:77]
	s_waitcnt vmcnt(0)
	v_sub_u16_e32 v38, 0, v38
.LBB994_84:
	s_or_b64 exec, exec, s[0:1]
	s_mov_b32 s8, 0
	s_mov_b32 s9, s8
	ds_write_b16 v3, v1
	ds_write_b16 v3, v5 offset:512
	ds_write_b16 v3, v7 offset:1024
	;; [unrolled: 1-line block ×23, first 2 shown]
	s_mov_b32 s10, s8
	s_mov_b32 s11, s8
	;; [unrolled: 1-line block ×6, first 2 shown]
	v_mov_b64_e32 v[2:3], s[8:9]
	s_mov_b32 s18, s8
	s_mov_b32 s19, s8
	v_mov_b64_e32 v[8:9], s[14:15]
	v_mul_u32_u24_e32 v42, 24, v0
	s_mov_b32 s16, s8
	s_mov_b32 s17, s8
	v_mov_b64_e32 v[20:21], s[18:19]
	v_mov_b64_e32 v[4:5], s[10:11]
	;; [unrolled: 1-line block ×4, first 2 shown]
	v_cmp_gt_u32_e32 vcc, s86, v42
	s_mov_b64 s[6:7], 0
	v_mov_b64_e32 v[18:19], s[16:17]
	v_mov_b32_e32 v1, 0
	s_mov_b64 s[12:13], 0
	v_mov_b64_e32 v[14:15], v[6:7]
	v_mov_b64_e32 v[12:13], v[4:5]
	;; [unrolled: 1-line block ×3, first 2 shown]
	v_mov_b32_e32 v38, 0
	v_mov_b32_e32 v39, 0
	s_waitcnt lgkmcnt(0)
	s_barrier
	s_waitcnt lgkmcnt(0)
                                        ; implicit-def: $sgpr0_sgpr1
                                        ; implicit-def: $vgpr40
	s_and_saveexec_b64 s[10:11], vcc
	s_cbranch_execz .LBB994_130
; %bb.85:
	ds_read_u16 v1, v41
	s_waitcnt vmcnt(0)
	v_cmp_ne_u16_e32 vcc, v35, v30
	s_mov_b32 s12, 0
	v_or_b32_e32 v2, 1, v42
	v_cndmask_b32_e64 v3, 0, 1, vcc
	s_mov_b32 s13, s12
	v_cmp_gt_u32_e32 vcc, s86, v2
	s_waitcnt lgkmcnt(0)
	v_lshl_or_b32 v1, v3, 16, v1
	s_mov_b32 s14, s12
	s_mov_b32 s15, s12
	;; [unrolled: 1-line block ×6, first 2 shown]
	v_mov_b64_e32 v[2:3], s[12:13]
	s_mov_b32 s24, s12
	s_mov_b32 s25, s12
	v_mov_b64_e32 v[8:9], s[18:19]
	s_mov_b32 s26, s12
	s_mov_b32 s27, s12
	v_mov_b64_e32 v[18:19], s[24:25]
	v_mov_b64_e32 v[4:5], s[14:15]
	;; [unrolled: 1-line block ×4, first 2 shown]
	s_mov_b64 s[22:23], 0
	v_mov_b64_e32 v[20:21], s[26:27]
	v_mov_b32_e32 v38, 0
	v_mov_b64_e32 v[14:15], v[6:7]
	v_mov_b64_e32 v[12:13], v[4:5]
	;; [unrolled: 1-line block ×3, first 2 shown]
	v_mov_b32_e32 v39, 0
                                        ; implicit-def: $sgpr24_sgpr25
                                        ; implicit-def: $vgpr40
	s_and_saveexec_b64 s[20:21], vcc
	s_cbranch_execz .LBB994_129
; %bb.86:
	ds_read_b128 v[34:37], v41 offset:2
	v_or_b32_e32 v2, 2, v42
	v_cmp_ne_u16_sdwa s[0:1], v30, v30 src0_sel:DWORD src1_sel:WORD_1
	v_cmp_gt_u32_e32 vcc, s86, v2
	v_mov_b32_e32 v19, 0
	v_cndmask_b32_e64 v3, 0, 1, s[0:1]
	s_waitcnt lgkmcnt(0)
	v_and_b32_e32 v2, 0xffff, v34
	v_lshl_or_b32 v18, v3, 16, v2
	v_mov_b64_e32 v[2:3], s[12:13]
	v_mov_b64_e32 v[8:9], s[18:19]
	;; [unrolled: 1-line block ×5, first 2 shown]
	v_mov_b32_e32 v20, v19
	v_mov_b32_e32 v21, v19
	s_mov_b64 s[0:1], 0
	v_mov_b64_e32 v[14:15], v[6:7]
	v_mov_b64_e32 v[12:13], v[4:5]
	;; [unrolled: 1-line block ×3, first 2 shown]
	v_mov_b32_e32 v38, v19
	v_mov_b32_e32 v39, v19
                                        ; implicit-def: $sgpr12_sgpr13
                                        ; implicit-def: $vgpr40
	s_and_saveexec_b64 s[22:23], vcc
	s_cbranch_execz .LBB994_128
; %bb.87:
	v_cmp_ne_u16_sdwa s[0:1], v30, v31 src0_sel:WORD_1 src1_sel:DWORD
	s_mov_b32 s12, 0
	v_or_b32_e32 v2, 3, v42
	v_cndmask_b32_e64 v3, 0, 1, s[0:1]
	s_mov_b32 s13, s12
	v_alignbit_b32 v19, v3, v34, 16
	v_cmp_gt_u32_e32 vcc, s86, v2
	s_mov_b32 s14, s12
	s_mov_b32 s15, s12
	;; [unrolled: 1-line block ×6, first 2 shown]
	v_mov_b64_e32 v[2:3], s[12:13]
	v_mov_b64_e32 v[8:9], s[18:19]
	v_mov_b32_e32 v20, 0
	v_mov_b64_e32 v[4:5], s[14:15]
	v_mov_b64_e32 v[6:7], s[16:17]
	;; [unrolled: 1-line block ×3, first 2 shown]
	v_mov_b32_e32 v21, v20
	s_mov_b64 s[0:1], 0
	v_mov_b64_e32 v[14:15], v[6:7]
	v_mov_b64_e32 v[12:13], v[4:5]
	;; [unrolled: 1-line block ×3, first 2 shown]
	v_mov_b32_e32 v38, v20
	v_mov_b32_e32 v39, v20
                                        ; implicit-def: $sgpr26_sgpr27
                                        ; implicit-def: $vgpr40
	s_and_saveexec_b64 s[24:25], vcc
	s_cbranch_execz .LBB994_127
; %bb.88:
	v_cmp_ne_u16_sdwa s[0:1], v31, v31 src0_sel:DWORD src1_sel:WORD_1
	v_and_b32_e32 v2, 0xffff, v35
	v_or_b32_e32 v3, 4, v42
	v_cndmask_b32_e64 v4, 0, 1, s[0:1]
	v_lshl_or_b32 v20, v4, 16, v2
	v_cmp_gt_u32_e32 vcc, s86, v3
	v_mov_b64_e32 v[2:3], s[12:13]
	v_mov_b64_e32 v[8:9], s[18:19]
	;; [unrolled: 1-line block ×5, first 2 shown]
	v_mov_b32_e32 v21, s12
	s_mov_b64 s[0:1], 0
	v_mov_b32_e32 v38, 0
	v_mov_b64_e32 v[14:15], v[6:7]
	v_mov_b64_e32 v[12:13], v[4:5]
	;; [unrolled: 1-line block ×3, first 2 shown]
	v_mov_b32_e32 v39, 0
                                        ; implicit-def: $sgpr12_sgpr13
                                        ; implicit-def: $vgpr40
	s_and_saveexec_b64 s[26:27], vcc
	s_cbranch_execz .LBB994_126
; %bb.89:
	v_cmp_ne_u16_sdwa s[0:1], v31, v32 src0_sel:WORD_1 src1_sel:DWORD
	s_mov_b32 s12, 0
	v_or_b32_e32 v2, 5, v42
	v_cndmask_b32_e64 v3, 0, 1, s[0:1]
	s_mov_b32 s13, s12
	v_alignbit_b32 v21, v3, v35, 16
	v_cmp_gt_u32_e32 vcc, s86, v2
	s_mov_b32 s14, s12
	s_mov_b32 s15, s12
	;; [unrolled: 1-line block ×6, first 2 shown]
	v_mov_b64_e32 v[2:3], s[12:13]
	v_mov_b64_e32 v[8:9], s[18:19]
	;; [unrolled: 1-line block ×5, first 2 shown]
	s_mov_b64 s[0:1], 0
	v_mov_b32_e32 v38, 0
	v_mov_b64_e32 v[14:15], v[6:7]
	v_mov_b64_e32 v[12:13], v[4:5]
	;; [unrolled: 1-line block ×3, first 2 shown]
	v_mov_b32_e32 v39, 0
                                        ; implicit-def: $sgpr30_sgpr31
                                        ; implicit-def: $vgpr40
	s_and_saveexec_b64 s[28:29], vcc
	s_cbranch_execz .LBB994_125
; %bb.90:
	v_cmp_ne_u16_sdwa s[0:1], v32, v32 src0_sel:DWORD src1_sel:WORD_1
	v_and_b32_e32 v2, 0xffff, v36
	v_or_b32_e32 v3, 6, v42
	v_cndmask_b32_e64 v4, 0, 1, s[0:1]
	v_lshl_or_b32 v38, v4, 16, v2
	v_cmp_gt_u32_e32 vcc, s86, v3
	v_mov_b64_e32 v[2:3], s[12:13]
	v_mov_b64_e32 v[8:9], s[18:19]
	;; [unrolled: 1-line block ×5, first 2 shown]
	s_mov_b64 s[0:1], 0
	v_mov_b32_e32 v39, 0
	v_mov_b64_e32 v[14:15], v[6:7]
	v_mov_b64_e32 v[12:13], v[4:5]
	;; [unrolled: 1-line block ×3, first 2 shown]
                                        ; implicit-def: $sgpr12_sgpr13
                                        ; implicit-def: $vgpr40
	s_and_saveexec_b64 s[30:31], vcc
	s_cbranch_execz .LBB994_124
; %bb.91:
	s_mov_b32 s12, 0
	v_or_b32_e32 v3, 7, v42
	v_cmp_ne_u16_sdwa s[0:1], v32, v33 src0_sel:WORD_1 src1_sel:DWORD
	s_mov_b32 s13, s12
	v_cmp_gt_u32_e32 vcc, s86, v3
	v_cndmask_b32_e64 v2, 0, 1, s[0:1]
	v_mov_b32_e32 v3, 0
	s_mov_b32 s14, s12
	s_mov_b32 s15, s12
	;; [unrolled: 1-line block ×6, first 2 shown]
	v_mov_b64_e32 v[10:11], s[12:13]
	v_alignbit_b32 v2, v2, v36, 16
	v_mov_b32_e32 v4, v3
	v_mov_b32_e32 v5, v3
	;; [unrolled: 1-line block ×6, first 2 shown]
	s_mov_b64 s[0:1], 0
	v_mov_b64_e32 v[12:13], s[14:15]
	v_mov_b64_e32 v[14:15], s[16:17]
	;; [unrolled: 1-line block ×3, first 2 shown]
	v_mov_b32_e32 v39, v3
                                        ; implicit-def: $sgpr36_sgpr37
                                        ; implicit-def: $vgpr40
	s_and_saveexec_b64 s[34:35], vcc
	s_cbranch_execz .LBB994_123
; %bb.92:
	v_add_u32_e32 v4, 8, v42
	v_cmp_ne_u16_sdwa s[0:1], v33, v33 src0_sel:DWORD src1_sel:WORD_1
	v_and_b32_e32 v3, 0xffff, v37
	v_cmp_gt_u32_e32 vcc, s86, v4
	v_cndmask_b32_e64 v5, 0, 1, s[0:1]
	v_mov_b32_e32 v4, 0
	v_mov_b64_e32 v[10:11], s[12:13]
	v_lshl_or_b32 v3, v5, 16, v3
	v_mov_b32_e32 v5, v4
	v_mov_b32_e32 v6, v4
	;; [unrolled: 1-line block ×5, first 2 shown]
	s_mov_b64 s[0:1], 0
	v_mov_b64_e32 v[12:13], s[14:15]
	v_mov_b64_e32 v[14:15], s[16:17]
	;; [unrolled: 1-line block ×3, first 2 shown]
	v_mov_b32_e32 v39, v4
                                        ; implicit-def: $sgpr12_sgpr13
                                        ; implicit-def: $vgpr40
	s_and_saveexec_b64 s[36:37], vcc
	s_cbranch_execz .LBB994_122
; %bb.93:
	s_mov_b32 s12, 0
	v_add_u32_e32 v5, 9, v42
	v_cmp_ne_u16_sdwa s[0:1], v33, v26 src0_sel:WORD_1 src1_sel:DWORD
	s_mov_b32 s13, s12
	v_cmp_gt_u32_e32 vcc, s86, v5
	v_cndmask_b32_e64 v4, 0, 1, s[0:1]
	v_mov_b32_e32 v5, 0
	s_mov_b32 s14, s12
	s_mov_b32 s15, s12
	;; [unrolled: 1-line block ×6, first 2 shown]
	v_mov_b64_e32 v[10:11], s[12:13]
	v_alignbit_b32 v4, v4, v37, 16
	v_mov_b32_e32 v6, v5
	v_mov_b32_e32 v7, v5
	;; [unrolled: 1-line block ×4, first 2 shown]
	s_mov_b64 s[0:1], 0
	v_mov_b64_e32 v[12:13], s[14:15]
	v_mov_b64_e32 v[14:15], s[16:17]
	v_mov_b64_e32 v[16:17], s[18:19]
	v_mov_b32_e32 v39, v5
                                        ; implicit-def: $sgpr40_sgpr41
                                        ; implicit-def: $vgpr40
	s_and_saveexec_b64 s[38:39], vcc
	s_cbranch_execz .LBB994_121
; %bb.94:
	ds_read_b128 v[30:33], v41 offset:18
	v_add_u32_e32 v5, 10, v42
	v_cmp_ne_u16_sdwa s[0:1], v26, v26 src0_sel:DWORD src1_sel:WORD_1
	v_cmp_gt_u32_e32 vcc, s86, v5
	v_mov_b64_e32 v[10:11], s[12:13]
	v_cndmask_b32_e64 v6, 0, 1, s[0:1]
	s_waitcnt lgkmcnt(0)
	v_and_b32_e32 v5, 0xffff, v30
	v_lshl_or_b32 v5, v6, 16, v5
	v_mov_b32_e32 v6, 0
	v_mov_b32_e32 v7, v6
	;; [unrolled: 1-line block ×4, first 2 shown]
	s_mov_b64 s[0:1], 0
	v_mov_b64_e32 v[12:13], s[14:15]
	v_mov_b64_e32 v[14:15], s[16:17]
	;; [unrolled: 1-line block ×3, first 2 shown]
	v_mov_b32_e32 v39, v6
                                        ; implicit-def: $sgpr12_sgpr13
                                        ; implicit-def: $vgpr40
	s_and_saveexec_b64 s[40:41], vcc
	s_cbranch_execz .LBB994_120
; %bb.95:
	s_mov_b32 s12, 0
	v_add_u32_e32 v7, 11, v42
	v_cmp_ne_u16_sdwa s[0:1], v26, v27 src0_sel:WORD_1 src1_sel:DWORD
	s_mov_b32 s13, s12
	v_cmp_gt_u32_e32 vcc, s86, v7
	v_cndmask_b32_e64 v6, 0, 1, s[0:1]
	v_mov_b32_e32 v7, 0
	s_mov_b32 s14, s12
	s_mov_b32 s15, s12
	;; [unrolled: 1-line block ×6, first 2 shown]
	v_mov_b64_e32 v[10:11], s[12:13]
	v_alignbit_b32 v6, v6, v30, 16
	v_mov_b32_e32 v8, v7
	v_mov_b32_e32 v9, v7
	s_mov_b64 s[0:1], 0
	v_mov_b64_e32 v[12:13], s[14:15]
	v_mov_b64_e32 v[14:15], s[16:17]
	;; [unrolled: 1-line block ×3, first 2 shown]
	v_mov_b32_e32 v39, v7
                                        ; implicit-def: $sgpr44_sgpr45
                                        ; implicit-def: $vgpr40
	s_and_saveexec_b64 s[42:43], vcc
	s_cbranch_execz .LBB994_119
; %bb.96:
	v_add_u32_e32 v8, 12, v42
	v_cmp_ne_u16_sdwa s[0:1], v27, v27 src0_sel:DWORD src1_sel:WORD_1
	v_and_b32_e32 v7, 0xffff, v31
	v_cmp_gt_u32_e32 vcc, s86, v8
	v_cndmask_b32_e64 v9, 0, 1, s[0:1]
	v_mov_b32_e32 v8, 0
	v_mov_b64_e32 v[10:11], s[12:13]
	v_lshl_or_b32 v7, v9, 16, v7
	v_mov_b32_e32 v9, v8
	s_mov_b64 s[0:1], 0
	v_mov_b64_e32 v[12:13], s[14:15]
	v_mov_b64_e32 v[14:15], s[16:17]
	;; [unrolled: 1-line block ×3, first 2 shown]
	v_mov_b32_e32 v39, v8
                                        ; implicit-def: $sgpr12_sgpr13
                                        ; implicit-def: $vgpr40
	s_and_saveexec_b64 s[44:45], vcc
	s_cbranch_execz .LBB994_118
; %bb.97:
	s_mov_b32 s12, 0
	v_cmp_ne_u16_sdwa s[0:1], v27, v28 src0_sel:WORD_1 src1_sel:DWORD
	s_mov_b32 s13, s12
	v_add_u32_e32 v9, 13, v42
	v_cndmask_b32_e64 v8, 0, 1, s[0:1]
	s_mov_b32 s14, s12
	s_mov_b32 s15, s12
	;; [unrolled: 1-line block ×6, first 2 shown]
	v_mov_b64_e32 v[10:11], s[12:13]
	v_alignbit_b32 v8, v8, v31, 16
	v_cmp_gt_u32_e32 vcc, s86, v9
	v_mov_b32_e32 v9, s12
	s_mov_b64 s[0:1], 0
	v_mov_b64_e32 v[12:13], s[14:15]
	v_mov_b64_e32 v[14:15], s[16:17]
	;; [unrolled: 1-line block ×3, first 2 shown]
	v_mov_b32_e32 v39, 0
                                        ; implicit-def: $sgpr48_sgpr49
                                        ; implicit-def: $vgpr40
	s_and_saveexec_b64 s[46:47], vcc
	s_cbranch_execz .LBB994_117
; %bb.98:
	v_cmp_ne_u16_sdwa s[0:1], v28, v28 src0_sel:DWORD src1_sel:WORD_1
	v_and_b32_e32 v9, 0xffff, v32
	v_add_u32_e32 v10, 14, v42
	v_cndmask_b32_e64 v11, 0, 1, s[0:1]
	v_lshl_or_b32 v9, v11, 16, v9
	v_cmp_gt_u32_e32 vcc, s86, v10
	v_mov_b64_e32 v[10:11], s[12:13]
	s_mov_b64 s[0:1], 0
	v_mov_b64_e32 v[12:13], s[14:15]
	v_mov_b64_e32 v[14:15], s[16:17]
	;; [unrolled: 1-line block ×3, first 2 shown]
	v_mov_b32_e32 v39, 0
                                        ; implicit-def: $sgpr14_sgpr15
                                        ; implicit-def: $vgpr40
	s_and_saveexec_b64 s[12:13], vcc
	s_cbranch_execz .LBB994_116
; %bb.99:
	v_cmp_ne_u16_sdwa s[0:1], v28, v29 src0_sel:WORD_1 src1_sel:DWORD
	s_mov_b32 s48, 0
	v_add_u32_e32 v10, 15, v42
	v_cndmask_b32_e64 v11, 0, 1, s[0:1]
	s_mov_b32 s49, s48
	v_alignbit_b32 v39, v11, v32, 16
	v_cmp_gt_u32_e32 vcc, s86, v10
	s_mov_b32 s50, s48
	s_mov_b32 s51, s48
	;; [unrolled: 1-line block ×6, first 2 shown]
	v_mov_b64_e32 v[10:11], s[48:49]
	s_mov_b64 s[0:1], 0
	v_mov_b64_e32 v[12:13], s[50:51]
	v_mov_b64_e32 v[14:15], s[52:53]
	v_mov_b64_e32 v[16:17], s[54:55]
                                        ; implicit-def: $sgpr16_sgpr17
                                        ; implicit-def: $vgpr40
	s_and_saveexec_b64 s[14:15], vcc
	s_cbranch_execz .LBB994_115
; %bb.100:
	v_cmp_ne_u16_sdwa s[0:1], v29, v29 src0_sel:DWORD src1_sel:WORD_1
	v_and_b32_e32 v10, 0xffff, v33
	v_add_u32_e32 v11, 16, v42
	v_cndmask_b32_e64 v12, 0, 1, s[0:1]
	v_lshl_or_b32 v10, v12, 16, v10
	v_mov_b32_e32 v12, 0
	v_cmp_gt_u32_e32 vcc, s86, v11
	v_mov_b32_e32 v11, v12
	v_mov_b32_e32 v13, v12
	;; [unrolled: 1-line block ×6, first 2 shown]
	s_mov_b64 s[0:1], 0
                                        ; implicit-def: $sgpr18_sgpr19
                                        ; implicit-def: $vgpr40
	s_and_saveexec_b64 s[16:17], vcc
	s_cbranch_execz .LBB994_114
; %bb.101:
	v_cmp_ne_u16_sdwa s[0:1], v29, v22 src0_sel:WORD_1 src1_sel:DWORD
	v_add_u32_e32 v13, 17, v42
	v_cmp_gt_u32_e32 vcc, s86, v13
	v_cndmask_b32_e64 v11, 0, 1, s[0:1]
	v_alignbit_b32 v11, v11, v33, 16
	v_mov_b32_e32 v13, v12
	v_mov_b32_e32 v14, v12
	;; [unrolled: 1-line block ×5, first 2 shown]
	s_mov_b64 s[0:1], 0
                                        ; implicit-def: $sgpr48_sgpr49
                                        ; implicit-def: $vgpr40
	s_and_saveexec_b64 s[18:19], vcc
	s_cbranch_execz .LBB994_113
; %bb.102:
	ds_read_b96 v[26:28], v41 offset:34
	v_add_u32_e32 v12, 18, v42
	v_cmp_ne_u16_sdwa s[0:1], v22, v22 src0_sel:DWORD src1_sel:WORD_1
	v_cmp_gt_u32_e32 vcc, s86, v12
	v_mov_b32_e32 v14, 0
	v_cndmask_b32_e64 v13, 0, 1, s[0:1]
	s_waitcnt lgkmcnt(0)
	v_and_b32_e32 v12, 0xffff, v26
	v_lshl_or_b32 v12, v13, 16, v12
	v_mov_b32_e32 v13, v14
	v_mov_b32_e32 v15, v14
	;; [unrolled: 1-line block ×4, first 2 shown]
	s_mov_b64 s[0:1], 0
                                        ; implicit-def: $sgpr50_sgpr51
                                        ; implicit-def: $vgpr40
	s_and_saveexec_b64 s[48:49], vcc
	s_cbranch_execz .LBB994_112
; %bb.103:
	v_cmp_ne_u16_sdwa s[0:1], v22, v23 src0_sel:WORD_1 src1_sel:DWORD
	v_add_u32_e32 v15, 19, v42
	v_cmp_gt_u32_e32 vcc, s86, v15
	v_cndmask_b32_e64 v13, 0, 1, s[0:1]
	v_alignbit_b32 v13, v13, v26, 16
	v_mov_b32_e32 v15, v14
	v_mov_b32_e32 v16, v14
	;; [unrolled: 1-line block ×3, first 2 shown]
	s_mov_b64 s[0:1], 0
                                        ; implicit-def: $sgpr52_sgpr53
                                        ; implicit-def: $vgpr40
	s_and_saveexec_b64 s[50:51], vcc
	s_cbranch_execz .LBB994_111
; %bb.104:
	v_cmp_ne_u16_sdwa s[0:1], v23, v23 src0_sel:DWORD src1_sel:WORD_1
	v_and_b32_e32 v14, 0xffff, v27
	v_add_u32_e32 v15, 20, v42
	v_cndmask_b32_e64 v16, 0, 1, s[0:1]
	v_lshl_or_b32 v14, v16, 16, v14
	v_mov_b32_e32 v16, 0
	v_cmp_gt_u32_e32 vcc, s86, v15
	v_mov_b32_e32 v15, v16
	v_mov_b32_e32 v17, v16
	s_mov_b64 s[0:1], 0
                                        ; implicit-def: $sgpr54_sgpr55
                                        ; implicit-def: $vgpr40
	s_and_saveexec_b64 s[52:53], vcc
	s_cbranch_execz .LBB994_110
; %bb.105:
	v_cmp_ne_u16_sdwa s[0:1], v23, v24 src0_sel:WORD_1 src1_sel:DWORD
	v_add_u32_e32 v17, 21, v42
	v_cmp_gt_u32_e32 vcc, s86, v17
	v_cndmask_b32_e64 v15, 0, 1, s[0:1]
	v_alignbit_b32 v15, v15, v27, 16
	s_mov_b32 s9, 0
	v_mov_b32_e32 v17, v16
	s_mov_b64 s[0:1], 0
                                        ; implicit-def: $sgpr60_sgpr61
                                        ; implicit-def: $vgpr40
	s_and_saveexec_b64 s[54:55], vcc
	s_cbranch_execz .LBB994_109
; %bb.106:
	v_cmp_ne_u16_sdwa s[0:1], v24, v24 src0_sel:DWORD src1_sel:WORD_1
	v_and_b32_e32 v16, 0xffff, v28
	v_add_u32_e32 v17, 22, v42
	v_cndmask_b32_e64 v22, 0, 1, s[0:1]
	v_lshl_or_b32 v16, v22, 16, v16
	v_cmp_gt_u32_e32 vcc, s86, v17
	v_mov_b32_e32 v17, s9
	s_mov_b64 s[0:1], 0
                                        ; implicit-def: $sgpr60_sgpr61
                                        ; implicit-def: $vgpr40
	s_and_saveexec_b64 s[84:85], vcc
	s_xor_b64 s[84:85], exec, s[84:85]
	s_cbranch_execz .LBB994_108
; %bb.107:
	ds_read_u16 v40, v41 offset:46
	v_add_u32_e32 v22, 23, v42
	v_cmp_ne_u16_sdwa s[0:1], v24, v25 src0_sel:WORD_1 src1_sel:DWORD
	v_cmp_ne_u16_e32 vcc, v25, v43
	s_and_b64 s[60:61], vcc, exec
	v_cndmask_b32_e64 v17, 0, 1, s[0:1]
	v_cmp_gt_u32_e64 s[0:1], s86, v22
	v_alignbit_b32 v17, v17, v28, 16
	s_and_b64 s[0:1], s[0:1], exec
.LBB994_108:
	s_or_b64 exec, exec, s[84:85]
	s_and_b64 s[60:61], s[60:61], exec
	s_and_b64 s[0:1], s[0:1], exec
.LBB994_109:
	s_or_b64 exec, exec, s[54:55]
	s_and_b64 s[54:55], s[60:61], exec
	s_and_b64 s[0:1], s[0:1], exec
.LBB994_110:
	s_or_b64 exec, exec, s[52:53]
	s_and_b64 s[52:53], s[54:55], exec
	s_and_b64 s[0:1], s[0:1], exec
.LBB994_111:
	s_or_b64 exec, exec, s[50:51]
	s_and_b64 s[50:51], s[52:53], exec
	s_and_b64 s[0:1], s[0:1], exec
.LBB994_112:
	s_or_b64 exec, exec, s[48:49]
	s_and_b64 s[48:49], s[50:51], exec
	s_and_b64 s[0:1], s[0:1], exec
.LBB994_113:
	s_or_b64 exec, exec, s[18:19]
	s_and_b64 s[18:19], s[48:49], exec
	s_and_b64 s[0:1], s[0:1], exec
.LBB994_114:
	s_or_b64 exec, exec, s[16:17]
	s_and_b64 s[16:17], s[18:19], exec
	s_and_b64 s[0:1], s[0:1], exec
.LBB994_115:
	s_or_b64 exec, exec, s[14:15]
	s_and_b64 s[14:15], s[16:17], exec
	s_and_b64 s[0:1], s[0:1], exec
.LBB994_116:
	s_or_b64 exec, exec, s[12:13]
	s_and_b64 s[48:49], s[14:15], exec
	s_and_b64 s[0:1], s[0:1], exec
.LBB994_117:
	s_or_b64 exec, exec, s[46:47]
	s_and_b64 s[12:13], s[48:49], exec
	s_and_b64 s[0:1], s[0:1], exec
.LBB994_118:
	s_or_b64 exec, exec, s[44:45]
	s_and_b64 s[44:45], s[12:13], exec
	s_and_b64 s[0:1], s[0:1], exec
.LBB994_119:
	s_or_b64 exec, exec, s[42:43]
	s_and_b64 s[12:13], s[44:45], exec
	s_and_b64 s[0:1], s[0:1], exec
.LBB994_120:
	s_or_b64 exec, exec, s[40:41]
	s_and_b64 s[40:41], s[12:13], exec
	s_and_b64 s[0:1], s[0:1], exec
.LBB994_121:
	s_or_b64 exec, exec, s[38:39]
	s_and_b64 s[12:13], s[40:41], exec
	s_and_b64 s[0:1], s[0:1], exec
.LBB994_122:
	s_or_b64 exec, exec, s[36:37]
	s_and_b64 s[36:37], s[12:13], exec
	s_and_b64 s[0:1], s[0:1], exec
.LBB994_123:
	s_or_b64 exec, exec, s[34:35]
	s_and_b64 s[12:13], s[36:37], exec
	s_and_b64 s[0:1], s[0:1], exec
.LBB994_124:
	s_or_b64 exec, exec, s[30:31]
	s_and_b64 s[30:31], s[12:13], exec
	s_and_b64 s[0:1], s[0:1], exec
.LBB994_125:
	s_or_b64 exec, exec, s[28:29]
	s_and_b64 s[12:13], s[30:31], exec
	s_and_b64 s[0:1], s[0:1], exec
.LBB994_126:
	s_or_b64 exec, exec, s[26:27]
	s_and_b64 s[26:27], s[12:13], exec
	s_and_b64 s[0:1], s[0:1], exec
.LBB994_127:
	s_or_b64 exec, exec, s[24:25]
	s_and_b64 s[12:13], s[26:27], exec
	s_and_b64 s[0:1], s[0:1], exec
.LBB994_128:
	s_or_b64 exec, exec, s[22:23]
	s_and_b64 s[24:25], s[12:13], exec
	s_and_b64 s[22:23], s[0:1], exec
.LBB994_129:
	s_or_b64 exec, exec, s[20:21]
	s_and_b64 s[0:1], s[24:25], exec
	s_and_b64 s[12:13], s[22:23], exec
.LBB994_130:
	s_or_b64 exec, exec, s[10:11]
	s_and_b64 vcc, exec, s[6:7]
	v_lshlrev_b32_e32 v22, 1, v0
	s_cbranch_vccnz .LBB994_132
	s_branch .LBB994_140
.LBB994_131:
                                        ; implicit-def: $sgpr0_sgpr1
                                        ; implicit-def: $vgpr18_vgpr19_vgpr20_vgpr21
                                        ; implicit-def: $vgpr2_vgpr3_vgpr4_vgpr5_vgpr6_vgpr7_vgpr8_vgpr9
                                        ; implicit-def: $vgpr10_vgpr11_vgpr12_vgpr13_vgpr14_vgpr15_vgpr16_vgpr17
                                        ; implicit-def: $vgpr40
                                        ; implicit-def: $vgpr1
                                        ; implicit-def: $vgpr38
                                        ; implicit-def: $vgpr39
                                        ; implicit-def: $sgpr8
	s_and_b64 vcc, exec, s[6:7]
	v_lshlrev_b32_e32 v22, 1, v0
	s_cbranch_vccz .LBB994_140
.LBB994_132:
	v_mov_b32_e32 v23, 0
	v_lshl_add_u64 v[2:3], s[78:79], 0, v[22:23]
	v_add_co_u32_e32 v4, vcc, 0x1000, v2
	flat_load_ushort v1, v[2:3]
	flat_load_ushort v6, v[2:3] offset:512
	flat_load_ushort v7, v[2:3] offset:1024
	;; [unrolled: 1-line block ×7, first 2 shown]
	v_addc_co_u32_e32 v5, vcc, 0, v3, vcc
	v_add_co_u32_e32 v2, vcc, 0x2000, v2
	flat_load_ushort v13, v[4:5]
	flat_load_ushort v14, v[4:5] offset:512
	flat_load_ushort v15, v[4:5] offset:1024
	;; [unrolled: 1-line block ×7, first 2 shown]
	v_addc_co_u32_e32 v3, vcc, 0, v3, vcc
	flat_load_ushort v5, v[2:3]
	flat_load_ushort v21, v[2:3] offset:512
	flat_load_ushort v23, v[2:3] offset:1024
	;; [unrolled: 1-line block ×7, first 2 shown]
	v_mad_u32_u24 v4, v0, 46, v22
	s_cmp_eq_u64 s[82:83], 0
	s_waitcnt vmcnt(0) lgkmcnt(0)
	ds_write_b16 v22, v1
	ds_write_b16 v22, v6 offset:512
	ds_write_b16 v22, v7 offset:1024
	;; [unrolled: 1-line block ×23, first 2 shown]
	s_waitcnt lgkmcnt(0)
	s_barrier
	ds_read_b64 v[2:3], v4
	ds_read_u16 v5, v4 offset:8
	ds_read_b128 v[10:13], v4 offset:10
	ds_read_u16 v14, v4 offset:26
	ds_read_b32 v15, v4 offset:44
	ds_read2_b32 v[26:27], v4 offset0:9 offset1:10
	ds_read2_b32 v[24:25], v4 offset0:7 offset1:8
	s_cbranch_scc1 .LBB994_137
; %bb.133:
	s_andn2_b64 vcc, exec, s[80:81]
	s_cbranch_vccnz .LBB994_318
; %bb.134:
	s_lshl_b64 s[0:1], s[82:83], 1
	s_add_u32 s0, s66, s0
	s_addc_u32 s1, s67, s1
	s_add_u32 s0, s0, -2
	s_addc_u32 s1, s1, -1
	s_cbranch_execnz .LBB994_136
.LBB994_135:
	s_add_u32 s0, s78, -2
	s_addc_u32 s1, s79, -1
.LBB994_136:
	s_mov_b64 s[78:79], s[0:1]
.LBB994_137:
	v_mov_b64_e32 v[6:7], s[78:79]
	flat_load_ushort v1, v[6:7]
	s_movk_i32 s0, 0xffd2
	s_waitcnt lgkmcnt(0)
	v_lshrrev_b32_e32 v6, 16, v15
	v_mad_i32_i24 v7, v0, s0, v4
	ds_write_b16 v7, v6 offset:12288
	s_waitcnt lgkmcnt(0)
	s_barrier
	s_and_saveexec_b64 s[0:1], s[4:5]
	s_cbranch_execz .LBB994_139
; %bb.138:
	s_waitcnt vmcnt(0)
	v_mul_i32_i24_e32 v1, 0xffffffd2, v0
	v_add_u32_e32 v1, v4, v1
	ds_read_u16 v1, v1 offset:12286
.LBB994_139:
	s_or_b64 exec, exec, s[0:1]
	v_mov_b32_e32 v23, 0
	v_lshl_add_u64 v[8:9], s[76:77], 0, v[22:23]
	s_movk_i32 s0, 0x1000
	v_add_co_u32_e32 v16, vcc, s0, v8
	s_movk_i32 s0, 0x2000
	s_nop 0
	v_addc_co_u32_e32 v17, vcc, 0, v9, vcc
	v_add_co_u32_e32 v8, vcc, s0, v8
	s_waitcnt lgkmcnt(0)
	s_barrier
	global_load_ushort v7, v22, s[76:77]
	global_load_ushort v18, v22, s[76:77] offset:512
	global_load_ushort v19, v22, s[76:77] offset:1024
	;; [unrolled: 1-line block ×7, first 2 shown]
	v_addc_co_u32_e32 v9, vcc, 0, v9, vcc
	global_load_ushort v30, v[8:9], off offset:-4096
	global_load_ushort v31, v[16:17], off offset:512
	global_load_ushort v32, v[16:17], off offset:1024
	;; [unrolled: 1-line block ×7, first 2 shown]
	global_load_ushort v38, v[8:9], off
	global_load_ushort v39, v[8:9], off offset:512
	global_load_ushort v40, v[8:9], off offset:1024
	;; [unrolled: 1-line block ×6, first 2 shown]
                                        ; kill: killed $vgpr16 killed $vgpr17
	s_nop 0
	global_load_ushort v8, v[8:9], off offset:3584
	v_cmp_ne_u16_sdwa s[6:7], v3, v5 src0_sel:WORD_1 src1_sel:DWORD
	s_waitcnt vmcnt(0)
	v_cmp_ne_u16_e32 vcc, v1, v2
	v_cmp_ne_u16_e64 s[0:1], v15, v6
	s_mov_b64 s[12:13], -1
	v_cndmask_b32_e64 v1, 0, 1, vcc
	v_cmp_ne_u16_e32 vcc, v5, v10
                                        ; implicit-def: $sgpr8
	v_sub_u16_e32 v7, 0, v7
	v_sub_u16_e32 v9, 0, v18
	;; [unrolled: 1-line block ×8, first 2 shown]
	ds_write_b16 v22, v7
	ds_write_b16 v22, v9 offset:512
	ds_write_b16 v22, v16 offset:1024
	;; [unrolled: 1-line block ×7, first 2 shown]
	v_sub_u16_e32 v7, 0, v30
	v_sub_u16_e32 v16, 0, v32
	;; [unrolled: 1-line block ×16, first 2 shown]
	ds_write_b16 v22, v7 offset:4096
	ds_write_b16 v22, v9 offset:4608
	;; [unrolled: 1-line block ×16, first 2 shown]
	s_waitcnt lgkmcnt(0)
	s_barrier
	ds_read_b96 v[32:34], v4
	v_cndmask_b32_e64 v8, 0, 1, s[6:7]
	v_cmp_ne_u16_sdwa s[6:7], v2, v3 src0_sel:WORD_1 src1_sel:DWORD
	ds_read_b128 v[28:31], v4 offset:30
	ds_read_u16 v40, v4 offset:46
	ds_read2_b32 v[16:17], v4 offset0:3 offset1:4
	s_waitcnt lgkmcnt(3)
	v_and_b32_e32 v7, 0xffff, v34
	v_lshl_or_b32 v21, v8, 16, v7
	v_cndmask_b32_e64 v7, 0, 1, s[6:7]
	v_cmp_ne_u16_sdwa s[6:7], v3, v3 src0_sel:DWORD src1_sel:WORD_1
	v_and_b32_e32 v6, 0xffff, v32
	v_lshl_or_b32 v1, v1, 16, v6
	v_cndmask_b32_e64 v3, 0, 1, s[6:7]
	v_cmp_ne_u16_sdwa s[6:7], v2, v2 src0_sel:DWORD src1_sel:WORD_1
	v_and_b32_e32 v6, 0xffff, v33
	v_alignbit_b32 v20, v3, v33, 16
	v_cndmask_b32_e64 v2, 0, 1, s[6:7]
	v_alignbit_b32 v18, v2, v32, 16
	ds_read_u16 v23, v4 offset:28
	ds_read2_b32 v[32:33], v4 offset0:5 offset1:6
	v_cmp_ne_u16_sdwa s[6:7], v13, v13 src0_sel:DWORD src1_sel:WORD_1
	v_lshl_or_b32 v19, v7, 16, v6
	v_cndmask_b32_e64 v2, 0, 1, vcc
	v_cndmask_b32_e64 v6, 0, 1, s[6:7]
	s_waitcnt lgkmcnt(0)
	v_and_b32_e32 v5, 0xffff, v33
	v_cmp_ne_u16_sdwa s[6:7], v12, v12 src0_sel:DWORD src1_sel:WORD_1
	v_and_b32_e32 v4, 0xffff, v32
	v_lshl_or_b32 v8, v6, 16, v5
	v_cndmask_b32_e64 v5, 0, 1, s[6:7]
	v_cmp_ne_u16_sdwa s[6:7], v11, v11 src0_sel:DWORD src1_sel:WORD_1
	v_and_b32_e32 v3, 0xffff, v17
	v_lshl_or_b32 v6, v5, 16, v4
	v_cndmask_b32_e64 v4, 0, 1, s[6:7]
	v_cmp_ne_u16_sdwa s[6:7], v10, v10 src0_sel:DWORD src1_sel:WORD_1
	v_alignbit_b32 v38, v2, v34, 16
	v_and_b32_e32 v2, 0xffff, v16
	v_lshl_or_b32 v4, v4, 16, v3
	v_cndmask_b32_e64 v3, 0, 1, s[6:7]
	v_cmp_ne_u16_sdwa s[6:7], v13, v14 src0_sel:WORD_1 src1_sel:DWORD
	v_lshl_or_b32 v2, v3, 16, v2
	v_cmp_ne_u16_e32 vcc, v14, v24
	v_cndmask_b32_e64 v3, 0, 1, s[6:7]
	v_cmp_ne_u16_sdwa s[6:7], v12, v13 src0_sel:WORD_1 src1_sel:DWORD
	v_alignbit_b32 v9, v3, v33, 16
	v_and_b32_e32 v13, 0xffff, v31
	v_cndmask_b32_e64 v3, 0, 1, s[6:7]
	v_cmp_ne_u16_sdwa s[6:7], v11, v12 src0_sel:WORD_1 src1_sel:DWORD
	v_alignbit_b32 v7, v3, v32, 16
	v_and_b32_e32 v12, 0xffff, v30
	v_cndmask_b32_e64 v3, 0, 1, s[6:7]
	v_cmp_ne_u16_sdwa s[6:7], v10, v11 src0_sel:WORD_1 src1_sel:DWORD
	v_alignbit_b32 v5, v3, v17, 16
	v_cndmask_b32_e64 v10, 0, 1, vcc
	v_cndmask_b32_e64 v3, 0, 1, s[6:7]
	v_cmp_ne_u16_sdwa s[6:7], v27, v27 src0_sel:DWORD src1_sel:WORD_1
	v_alignbit_b32 v3, v3, v16, 16
	v_and_b32_e32 v11, 0xffff, v29
	v_cndmask_b32_e64 v14, 0, 1, s[6:7]
	v_cmp_ne_u16_sdwa s[6:7], v26, v26 src0_sel:DWORD src1_sel:WORD_1
	v_lshl_or_b32 v16, v14, 16, v13
	v_lshl_or_b32 v39, v10, 16, v23
	v_cndmask_b32_e64 v13, 0, 1, s[6:7]
	v_cmp_ne_u16_sdwa s[6:7], v25, v25 src0_sel:DWORD src1_sel:WORD_1
	v_lshl_or_b32 v14, v13, 16, v12
	v_and_b32_e32 v10, 0xffff, v28
	v_cndmask_b32_e64 v12, 0, 1, s[6:7]
	v_cmp_ne_u16_sdwa s[6:7], v24, v24 src0_sel:DWORD src1_sel:WORD_1
	v_lshl_or_b32 v12, v12, 16, v11
	s_nop 0
	v_cndmask_b32_e64 v11, 0, 1, s[6:7]
	v_cmp_ne_u16_sdwa s[6:7], v27, v15 src0_sel:WORD_1 src1_sel:DWORD
	v_lshl_or_b32 v10, v11, 16, v10
	s_nop 0
	v_cndmask_b32_e64 v11, 0, 1, s[6:7]
	v_cmp_ne_u16_sdwa s[6:7], v26, v27 src0_sel:WORD_1 src1_sel:DWORD
	v_alignbit_b32 v17, v11, v31, 16
	s_nop 0
	v_cndmask_b32_e64 v11, 0, 1, s[6:7]
	v_cmp_ne_u16_sdwa s[6:7], v25, v26 src0_sel:WORD_1 src1_sel:DWORD
	v_alignbit_b32 v15, v11, v30, 16
	;; [unrolled: 4-line block ×3, first 2 shown]
	s_nop 0
	v_cndmask_b32_e64 v11, 0, 1, s[6:7]
	v_alignbit_b32 v11, v11, v28, 16
.LBB994_140:
	v_mov_b32_e32 v23, s8
	s_and_saveexec_b64 s[6:7], s[12:13]
	s_cbranch_execz .LBB994_142
; %bb.141:
	v_mov_b32_e32 v23, 0x10000
	v_cndmask_b32_e64 v23, 0, v23, s[0:1]
	s_waitcnt lgkmcnt(0)
	v_or_b32_sdwa v23, v23, v40 dst_sel:DWORD dst_unused:UNUSED_PAD src0_sel:DWORD src1_sel:WORD_0
.LBB994_142:
	s_or_b64 exec, exec, s[6:7]
	s_cmp_lg_u32 s71, 0
	v_mbcnt_lo_u32_b32 v34, -1, 0
	s_waitcnt lgkmcnt(0)
	s_barrier
	s_cbranch_scc0 .LBB994_209
; %bb.143:
	s_mov_b32 s0, 0x10000
	v_cmp_gt_u32_e64 s[6:7], s0, v18
	v_cmp_gt_u32_e64 s[8:9], s0, v19
	v_cmp_gt_u32_e64 s[10:11], s0, v20
	v_cndmask_b32_e64 v24, 0, v1, s[6:7]
	v_add_u16_e32 v24, v24, v18
	v_cndmask_b32_e64 v24, 0, v24, s[8:9]
	v_add_u16_e32 v24, v24, v19
	v_cndmask_b32_e64 v24, 0, v24, s[10:11]
	v_add_u16_e32 v24, v24, v20
	v_cmp_gt_u32_e64 s[12:13], s0, v21
	v_cmp_gt_u32_e64 s[14:15], s0, v38
	v_cmp_gt_u32_e64 s[16:17], s0, v2
	v_cndmask_b32_e64 v24, 0, v24, s[12:13]
	v_add_u16_e32 v24, v24, v21
	v_cndmask_b32_e64 v24, 0, v24, s[14:15]
	v_add_u16_e32 v24, v24, v38
	v_cndmask_b32_e64 v24, 0, v24, s[16:17]
	v_add_u16_e32 v24, v24, v2
	;; [unrolled: 9-line block ×5, first 2 shown]
	v_cmp_gt_u32_e64 s[38:39], s0, v11
	v_cmp_gt_u32_e64 s[40:41], s0, v12
	v_or3_b32 v25, v23, v17, v16
	v_cndmask_b32_e64 v24, 0, v24, s[38:39]
	v_add_u16_e32 v24, v24, v11
	v_cndmask_b32_e64 v24, 0, v24, s[40:41]
	v_add_u16_e32 v24, v24, v12
	v_cmp_gt_u32_e64 s[42:43], s0, v13
	v_or3_b32 v25, v25, v15, v14
	v_or3_b32 v25, v25, v13, v12
	v_cndmask_b32_e64 v24, 0, v24, s[42:43]
	v_add_u16_e32 v24, v24, v13
	v_cmp_gt_u32_e64 s[44:45], s0, v14
	v_or3_b32 v25, v25, v11, v10
	v_or3_b32 v25, v25, v39, v9
	;; [unrolled: 5-line block ×5, first 2 shown]
	v_cndmask_b32_e64 v24, 0, v24, s[50:51]
	v_add_u16_e32 v24, v24, v17
	v_cmp_gt_u32_e64 s[52:53], s0, v23
	v_and_b32_e32 v25, 0x10000, v25
	s_waitcnt vmcnt(0)
	v_lshrrev_b32_e32 v35, 16, v1
	v_cndmask_b32_e64 v26, 0, v24, s[52:53]
	v_cmp_ne_u32_e32 vcc, 0, v25
	v_add_u16_e32 v24, v26, v23
	v_mbcnt_hi_u32_b32 v27, -1, v34
	v_cndmask_b32_e64 v25, v35, 1, vcc
	v_add_u16_e32 v26, v26, v23
	v_and_b32_e32 v29, 15, v27
	v_lshl_or_b32 v26, v25, 16, v26
	v_cmp_ne_u32_e32 vcc, 0, v29
	s_nop 0
	v_mov_b32_dpp v28, v26 row_shr:1 row_mask:0xf bank_mask:0xf
	s_and_saveexec_b64 s[0:1], vcc
	s_cbranch_execz .LBB994_145
; %bb.144:
	v_cmp_eq_u32_e32 vcc, 0, v25
	v_and_b32_e32 v25, 1, v25
	v_mov_b32_e32 v31, 1
	v_cndmask_b32_e32 v26, 0, v28, vcc
	v_and_b32_sdwa v28, v28, v31 dst_sel:DWORD dst_unused:UNUSED_PAD src0_sel:WORD_1 src1_sel:DWORD
	v_cmp_eq_u32_e32 vcc, 1, v25
	v_add_u16_e32 v30, v26, v24
	v_add_u16_e32 v24, v26, v24
	v_cndmask_b32_e64 v25, v28, 1, vcc
	v_lshlrev_b32_e32 v28, 16, v25
	v_or_b32_e32 v26, v28, v24
	v_mov_b32_e32 v24, v30
.LBB994_145:
	s_or_b64 exec, exec, s[0:1]
	v_lshrrev_b32_e32 v28, 16, v26
	v_mov_b32_dpp v30, v26 row_shr:2 row_mask:0xf bank_mask:0xf
	v_cmp_lt_u32_e32 vcc, 1, v29
	s_and_saveexec_b64 s[0:1], vcc
	s_cbranch_execz .LBB994_147
; %bb.146:
	s_mov_b32 s54, 0x10000
	v_cmp_gt_u32_e32 vcc, s54, v26
	v_and_b32_e32 v25, 0x10000, v26
	v_mov_b32_e32 v26, 1
	v_cndmask_b32_e32 v28, 0, v30, vcc
	v_and_b32_sdwa v26, v30, v26 dst_sel:DWORD dst_unused:UNUSED_PAD src0_sel:WORD_1 src1_sel:DWORD
	v_cmp_ne_u32_e32 vcc, 0, v25
	v_add_u16_e32 v31, v28, v24
	v_add_u16_e32 v24, v28, v24
	v_cndmask_b32_e64 v25, v26, 1, vcc
	v_lshlrev_b32_e32 v26, 16, v25
	v_or_b32_e32 v26, v26, v24
	v_mov_b32_e32 v28, v25
	v_mov_b32_e32 v24, v31
.LBB994_147:
	s_or_b64 exec, exec, s[0:1]
	v_mov_b32_dpp v30, v26 row_shr:4 row_mask:0xf bank_mask:0xf
	v_cmp_lt_u32_e32 vcc, 3, v29
	s_and_saveexec_b64 s[0:1], vcc
	s_cbranch_execz .LBB994_149
; %bb.148:
	v_mov_b32_e32 v25, 0
	v_cmp_eq_u16_sdwa vcc, v28, v25 src0_sel:BYTE_0 src1_sel:DWORD
	v_and_b32_e32 v25, 1, v28
	v_mov_b32_e32 v28, 1
	v_cndmask_b32_e32 v26, 0, v30, vcc
	v_and_b32_sdwa v28, v30, v28 dst_sel:DWORD dst_unused:UNUSED_PAD src0_sel:WORD_1 src1_sel:DWORD
	v_cmp_eq_u32_e32 vcc, 1, v25
	v_add_u16_e32 v31, v26, v24
	v_add_u16_e32 v24, v26, v24
	v_cndmask_b32_e64 v25, v28, 1, vcc
	v_lshlrev_b32_e32 v28, 16, v25
	v_or_b32_e32 v26, v28, v24
	v_mov_b32_e32 v28, v25
	v_mov_b32_e32 v24, v31
.LBB994_149:
	s_or_b64 exec, exec, s[0:1]
	v_mov_b32_dpp v30, v26 row_shr:8 row_mask:0xf bank_mask:0xf
	v_cmp_lt_u32_e32 vcc, 7, v29
	s_and_saveexec_b64 s[0:1], vcc
	s_cbranch_execz .LBB994_151
; %bb.150:
	v_mov_b32_e32 v25, 0
	v_cmp_eq_u16_sdwa vcc, v28, v25 src0_sel:BYTE_0 src1_sel:DWORD
	v_and_b32_e32 v25, 1, v28
	v_mov_b32_e32 v28, 1
	v_cndmask_b32_e32 v26, 0, v30, vcc
	v_and_b32_sdwa v28, v30, v28 dst_sel:DWORD dst_unused:UNUSED_PAD src0_sel:WORD_1 src1_sel:DWORD
	v_cmp_eq_u32_e32 vcc, 1, v25
	v_add_u16_e32 v29, v26, v24
	v_add_u16_e32 v24, v26, v24
	v_cndmask_b32_e64 v25, v28, 1, vcc
	v_lshlrev_b32_e32 v28, 16, v25
	v_or_b32_e32 v26, v28, v24
	v_mov_b32_e32 v28, v25
	v_mov_b32_e32 v24, v29
.LBB994_151:
	s_or_b64 exec, exec, s[0:1]
	v_and_b32_e32 v30, 16, v27
	v_mov_b32_dpp v29, v26 row_bcast:15 row_mask:0xf bank_mask:0xf
	v_cmp_ne_u32_e32 vcc, 0, v30
	s_and_saveexec_b64 s[0:1], vcc
	s_cbranch_execz .LBB994_153
; %bb.152:
	v_mov_b32_e32 v25, 0
	v_cmp_eq_u16_sdwa vcc, v28, v25 src0_sel:BYTE_0 src1_sel:DWORD
	v_and_b32_e32 v25, 1, v28
	v_mov_b32_e32 v28, 1
	v_cndmask_b32_e32 v26, 0, v29, vcc
	v_and_b32_sdwa v28, v29, v28 dst_sel:DWORD dst_unused:UNUSED_PAD src0_sel:WORD_1 src1_sel:DWORD
	v_cmp_eq_u32_e32 vcc, 1, v25
	v_add_u16_e32 v30, v26, v24
	v_add_u16_e32 v24, v26, v24
	v_cndmask_b32_e64 v25, v28, 1, vcc
	v_lshlrev_b32_e32 v28, 16, v25
	v_or_b32_e32 v26, v28, v24
	v_mov_b32_e32 v24, v30
	v_mov_b32_e32 v28, v25
.LBB994_153:
	s_or_b64 exec, exec, s[0:1]
	v_mov_b32_dpp v26, v26 row_bcast:31 row_mask:0xf bank_mask:0xf
	v_cmp_lt_u32_e32 vcc, 31, v27
	s_and_saveexec_b64 s[0:1], vcc
; %bb.154:
	v_mov_b32_e32 v25, 0
	v_cmp_eq_u16_sdwa vcc, v28, v25 src0_sel:BYTE_0 src1_sel:DWORD
	s_nop 1
	v_cndmask_b32_e32 v25, 0, v26, vcc
	v_add_u16_e32 v24, v25, v24
	v_and_b32_e32 v25, 1, v28
	v_mov_b32_e32 v28, 1
	v_and_b32_sdwa v26, v26, v28 dst_sel:DWORD dst_unused:UNUSED_PAD src0_sel:WORD_1 src1_sel:DWORD
	v_cmp_eq_u32_e32 vcc, 1, v25
	s_nop 1
	v_cndmask_b32_e64 v25, v26, 1, vcc
; %bb.155:
	s_or_b64 exec, exec, s[0:1]
	v_or_b32_e32 v28, 63, v0
	v_lshrrev_b32_e32 v26, 6, v0
	v_cmp_eq_u32_e32 vcc, v28, v0
	s_and_saveexec_b64 s[0:1], vcc
	s_cbranch_execz .LBB994_157
; %bb.156:
	v_lshlrev_b32_e32 v28, 2, v26
	ds_write_b16 v28, v24
	ds_write_b8 v28, v25 offset:2
.LBB994_157:
	s_or_b64 exec, exec, s[0:1]
	v_cmp_gt_u32_e32 vcc, 4, v0
	s_waitcnt lgkmcnt(0)
	s_barrier
	s_and_saveexec_b64 s[0:1], vcc
	s_cbranch_execz .LBB994_163
; %bb.158:
	v_lshlrev_b32_e32 v28, 2, v0
	ds_read_b32 v29, v28
	v_and_b32_e32 v32, 3, v27
	v_cmp_ne_u32_e32 vcc, 0, v32
	s_waitcnt lgkmcnt(0)
	v_lshrrev_b32_e32 v31, 16, v29
	v_mov_b32_dpp v33, v29 row_shr:1 row_mask:0xf bank_mask:0xf
	v_mov_b32_e32 v30, v29
	s_and_saveexec_b64 s[54:55], vcc
	s_cbranch_execz .LBB994_160
; %bb.159:
	v_mov_b32_e32 v30, 0
	v_cmp_eq_u16_sdwa vcc, v31, v30 src0_sel:BYTE_0 src1_sel:DWORD
	v_and_b32_e32 v31, 0x10000, v29
	v_mov_b32_e32 v40, 1
	v_cndmask_b32_e32 v37, 0, v33, vcc
	v_and_b32_sdwa v33, v33, v40 dst_sel:DWORD dst_unused:UNUSED_PAD src0_sel:WORD_1 src1_sel:DWORD
	v_cmp_ne_u32_e32 vcc, 0, v31
	v_and_b32_e32 v36, 0xff000000, v29
	v_add_u16_e32 v30, v37, v29
	v_cndmask_b32_e64 v31, v33, 1, vcc
	v_lshlrev_b32_e32 v33, 16, v31
	v_add_u16_e32 v29, v37, v29
	v_or3_b32 v29, v33, v36, v29
.LBB994_160:
	s_or_b64 exec, exec, s[54:55]
	s_nop 0
	v_mov_b32_dpp v33, v29 row_shr:2 row_mask:0xf bank_mask:0xf
	v_cmp_lt_u32_e32 vcc, 1, v32
	s_and_saveexec_b64 s[54:55], vcc
; %bb.161:
	v_and_b32_e32 v31, 0xff0000, v29
	v_cmp_eq_u32_e32 vcc, 0, v31
	v_and_b32_e32 v29, 0x10000, v29
	s_nop 0
	v_cndmask_b32_e32 v31, 0, v33, vcc
	v_add_u16_e32 v30, v31, v30
	v_mov_b32_e32 v31, 1
	v_and_b32_sdwa v31, v33, v31 dst_sel:DWORD dst_unused:UNUSED_PAD src0_sel:WORD_1 src1_sel:DWORD
	v_cmp_eq_u32_e32 vcc, 0, v29
	s_nop 1
	v_cndmask_b32_e32 v31, 1, v31, vcc
; %bb.162:
	s_or_b64 exec, exec, s[54:55]
	ds_write_b16 v28, v30
	ds_write_b8 v28, v31 offset:2
.LBB994_163:
	s_or_b64 exec, exec, s[0:1]
	v_cmp_gt_u32_e32 vcc, 64, v0
	v_cmp_lt_u32_e64 s[0:1], 63, v0
	v_mov_b32_e32 v36, 0
	v_mov_b32_e32 v37, 0
	s_waitcnt lgkmcnt(0)
	s_barrier
	s_and_saveexec_b64 s[54:55], s[0:1]
	s_cbranch_execz .LBB994_165
; %bb.164:
	v_lshl_add_u32 v26, v26, 2, -4
	ds_read_u16 v36, v26
	ds_read_u8 v37, v26 offset:2
	v_mov_b32_e32 v28, 0
	v_and_b32_e32 v29, 1, v25
	v_cmp_eq_u16_sdwa s[0:1], v25, v28 src0_sel:BYTE_0 src1_sel:DWORD
	s_waitcnt lgkmcnt(1)
	s_nop 0
	v_cndmask_b32_e64 v25, 0, v36, s[0:1]
	v_cmp_eq_u32_e64 s[0:1], 1, v29
	v_add_u16_e32 v24, v25, v24
	s_waitcnt lgkmcnt(0)
	v_cndmask_b32_e64 v25, v37, 1, s[0:1]
.LBB994_165:
	s_or_b64 exec, exec, s[54:55]
	v_and_b32_e32 v25, 0xff, v25
	v_and_b32_e32 v24, 0xffff, v24
	v_lshl_or_b32 v24, v25, 16, v24
	v_add_u32_e32 v25, -1, v27
	v_and_b32_e32 v26, 64, v27
	v_cmp_lt_i32_e64 s[0:1], v25, v26
	v_cmp_eq_u32_e64 s[54:55], 0, v27
	s_nop 0
	v_cndmask_b32_e64 v25, v25, v27, s[0:1]
	v_lshlrev_b32_e32 v25, 2, v25
	ds_bpermute_b32 v40, v25, v24
	s_and_saveexec_b64 s[0:1], vcc
	s_cbranch_execz .LBB994_208
; %bb.166:
	v_mov_b32_e32 v31, 0
	ds_read_b32 v24, v31 offset:12
	s_and_saveexec_b64 s[60:61], s[54:55]
	s_cbranch_execz .LBB994_168
; %bb.167:
	s_add_i32 s66, s71, 64
	s_mov_b32 s67, 0
	s_lshl_b64 s[66:67], s[66:67], 3
	s_add_u32 s66, s68, s66
	v_mov_b32_e32 v25, 1
	s_addc_u32 s67, s69, s67
	s_waitcnt lgkmcnt(0)
	global_store_dwordx2 v31, v[24:25], s[66:67] sc1
.LBB994_168:
	s_or_b64 exec, exec, s[60:61]
	v_xad_u32 v26, v27, -1, s71
	v_add_u32_e32 v30, 64, v26
	v_lshl_add_u64 v[32:33], v[30:31], 3, s[68:69]
	global_load_dwordx2 v[28:29], v[32:33], off sc1
	s_waitcnt vmcnt(0)
	v_cmp_eq_u16_sdwa s[66:67], v29, v31 src0_sel:BYTE_0 src1_sel:DWORD
	s_and_saveexec_b64 s[60:61], s[66:67]
	s_cbranch_execz .LBB994_172
; %bb.169:
	s_mov_b64 s[66:67], 0
	v_mov_b32_e32 v25, 0
.LBB994_170:                            ; =>This Inner Loop Header: Depth=1
	global_load_dwordx2 v[28:29], v[32:33], off sc1
	s_waitcnt vmcnt(0)
	v_cmp_ne_u16_sdwa s[76:77], v29, v25 src0_sel:BYTE_0 src1_sel:DWORD
	s_or_b64 s[66:67], s[76:77], s[66:67]
	s_andn2_b64 exec, exec, s[66:67]
	s_cbranch_execnz .LBB994_170
; %bb.171:
	s_or_b64 exec, exec, s[66:67]
.LBB994_172:
	s_or_b64 exec, exec, s[60:61]
	v_mov_b32_e32 v25, 2
	v_cmp_eq_u16_sdwa s[60:61], v29, v25 src0_sel:BYTE_0 src1_sel:DWORD
	v_lshlrev_b64 v[30:31], v27, -1
	v_and_b32_e32 v52, 0xffffff, v28
	v_and_b32_e32 v25, s61, v31
	v_or_b32_e32 v25, 0x80000000, v25
	v_ffbl_b32_e32 v25, v25
	v_add_u32_e32 v33, 32, v25
	v_and_b32_e32 v25, 63, v27
	v_cmp_ne_u32_e32 vcc, 63, v25
	v_and_b32_e32 v32, s60, v30
	v_ffbl_b32_e32 v32, v32
	v_addc_co_u32_e32 v41, vcc, 0, v27, vcc
	v_lshlrev_b32_e32 v41, 2, v41
	ds_bpermute_b32 v42, v41, v52
	v_min_u32_e32 v33, v32, v33
	v_lshrrev_b32_e32 v32, 16, v28
	v_cmp_lt_u32_e32 vcc, v25, v33
	v_bfe_u32 v50, v28, 16, 8
	s_and_saveexec_b64 s[60:61], vcc
	s_cbranch_execz .LBB994_174
; %bb.173:
	v_and_b32_e32 v32, 0xff0000, v28
	v_cmp_eq_u32_e32 vcc, 0, v32
	v_and_b32_e32 v32, 0x10000, v32
	v_mov_b32_e32 v45, 1
	s_waitcnt lgkmcnt(0)
	v_cndmask_b32_e32 v43, 0, v42, vcc
	v_and_b32_sdwa v42, v42, v45 dst_sel:DWORD dst_unused:UNUSED_PAD src0_sel:WORD_1 src1_sel:DWORD
	v_cmp_ne_u32_e32 vcc, 0, v32
	v_add_u16_e32 v44, v43, v28
	v_add_u16_e32 v28, v43, v28
	v_cndmask_b32_e64 v32, v42, 1, vcc
	v_lshlrev_b32_e32 v42, 16, v32
	v_or_b32_e32 v52, v42, v28
	v_mov_b32_e32 v28, v44
	v_mov_b32_e32 v50, v32
.LBB994_174:
	s_or_b64 exec, exec, s[60:61]
	v_cmp_gt_u32_e32 vcc, 62, v25
	v_add_u32_e32 v43, 2, v25
	s_waitcnt lgkmcnt(0)
	v_cndmask_b32_e64 v42, 0, 1, vcc
	v_lshlrev_b32_e32 v42, 1, v42
	v_add_lshl_u32 v42, v42, v27, 2
	ds_bpermute_b32 v44, v42, v52
	v_cmp_le_u32_e32 vcc, v43, v33
	s_and_saveexec_b64 s[60:61], vcc
	s_cbranch_execz .LBB994_176
; %bb.175:
	v_cmp_eq_u16_e32 vcc, 0, v50
	v_and_b32_e32 v32, 1, v50
	v_mov_b32_e32 v47, 1
	s_waitcnt lgkmcnt(0)
	v_cndmask_b32_e32 v45, 0, v44, vcc
	v_and_b32_sdwa v44, v44, v47 dst_sel:DWORD dst_unused:UNUSED_PAD src0_sel:WORD_1 src1_sel:DWORD
	v_cmp_eq_u32_e32 vcc, 1, v32
	v_add_u16_e32 v46, v45, v28
	v_add_u16_e32 v28, v45, v28
	v_cndmask_b32_e64 v32, v44, 1, vcc
	v_lshlrev_b32_e32 v44, 16, v32
	v_or_b32_e32 v52, v44, v28
	v_mov_b32_e32 v28, v46
	v_mov_b32_e32 v50, v32
.LBB994_176:
	s_or_b64 exec, exec, s[60:61]
	v_cmp_gt_u32_e32 vcc, 60, v25
	v_add_u32_e32 v45, 4, v25
	s_waitcnt lgkmcnt(0)
	v_cndmask_b32_e64 v44, 0, 1, vcc
	v_lshlrev_b32_e32 v44, 2, v44
	v_add_lshl_u32 v44, v44, v27, 2
	ds_bpermute_b32 v46, v44, v52
	v_cmp_le_u32_e32 vcc, v45, v33
	s_and_saveexec_b64 s[60:61], vcc
	s_cbranch_execz .LBB994_178
; %bb.177:
	v_cmp_eq_u16_e32 vcc, 0, v50
	v_and_b32_e32 v32, 1, v50
	v_mov_b32_e32 v49, 1
	s_waitcnt lgkmcnt(0)
	v_cndmask_b32_e32 v47, 0, v46, vcc
	v_and_b32_sdwa v46, v46, v49 dst_sel:DWORD dst_unused:UNUSED_PAD src0_sel:WORD_1 src1_sel:DWORD
	v_cmp_eq_u32_e32 vcc, 1, v32
	v_add_u16_e32 v48, v47, v28
	v_add_u16_e32 v28, v47, v28
	v_cndmask_b32_e64 v32, v46, 1, vcc
	v_lshlrev_b32_e32 v46, 16, v32
	v_or_b32_e32 v52, v46, v28
	v_mov_b32_e32 v28, v48
	v_mov_b32_e32 v50, v32
.LBB994_178:
	;; [unrolled: 27-line block ×4, first 2 shown]
	s_or_b64 exec, exec, s[60:61]
	v_cmp_gt_u32_e32 vcc, 32, v25
	s_waitcnt lgkmcnt(0)
	s_nop 0
	v_cndmask_b32_e64 v51, 0, 1, vcc
	v_lshlrev_b32_e32 v51, 5, v51
	v_add_lshl_u32 v51, v51, v27, 2
	ds_bpermute_b32 v27, v51, v52
	v_add_u32_e32 v52, 32, v25
	v_cmp_le_u32_e32 vcc, v52, v33
	s_and_saveexec_b64 s[60:61], vcc
	s_cbranch_execz .LBB994_184
; %bb.183:
	v_cmp_eq_u16_e32 vcc, 0, v50
	v_mov_b32_e32 v33, 1
	s_waitcnt lgkmcnt(0)
	v_cndmask_b32_e32 v32, 0, v27, vcc
	v_add_u16_e32 v28, v32, v28
	v_and_b32_e32 v32, 1, v50
	v_and_b32_sdwa v27, v27, v33 dst_sel:DWORD dst_unused:UNUSED_PAD src0_sel:WORD_1 src1_sel:DWORD
	v_cmp_eq_u32_e32 vcc, 1, v32
	s_nop 1
	v_cndmask_b32_e64 v32, v27, 1, vcc
.LBB994_184:
	s_or_b64 exec, exec, s[60:61]
	s_waitcnt lgkmcnt(0)
	v_mov_b32_e32 v27, 0
	v_mov_b32_e32 v54, 2
	;; [unrolled: 1-line block ×3, first 2 shown]
	s_branch .LBB994_186
.LBB994_185:                            ;   in Loop: Header=BB994_186 Depth=1
	s_or_b64 exec, exec, s[60:61]
	v_cmp_eq_u16_sdwa vcc, v50, v27 src0_sel:BYTE_0 src1_sel:DWORD
	v_and_b32_e32 v32, 1, v50
	v_and_b32_e32 v33, 1, v33
	v_cndmask_b32_e32 v28, 0, v28, vcc
	v_cmp_eq_u32_e32 vcc, 1, v32
	v_subrev_u32_e32 v26, 64, v26
	v_add_u16_e32 v28, v28, v53
	v_cndmask_b32_e64 v32, v33, 1, vcc
.LBB994_186:                            ; =>This Loop Header: Depth=1
                                        ;     Child Loop BB994_189 Depth 2
	v_cmp_ne_u16_sdwa s[60:61], v29, v54 src0_sel:BYTE_0 src1_sel:DWORD
	v_mov_b32_e32 v50, v32
	v_mov_b32_e32 v53, v28
	v_cndmask_b32_e64 v29, 0, 1, s[60:61]
	;;#ASMSTART
	;;#ASMEND
	s_nop 0
	v_cmp_ne_u32_e32 vcc, 0, v29
	s_cmp_lg_u64 vcc, exec
	s_cbranch_scc1 .LBB994_203
; %bb.187:                              ;   in Loop: Header=BB994_186 Depth=1
	v_lshl_add_u64 v[32:33], v[26:27], 3, s[68:69]
	global_load_dwordx2 v[28:29], v[32:33], off sc1
	s_waitcnt vmcnt(0)
	v_cmp_eq_u16_sdwa s[66:67], v29, v27 src0_sel:BYTE_0 src1_sel:DWORD
	s_and_saveexec_b64 s[60:61], s[66:67]
	s_cbranch_execz .LBB994_191
; %bb.188:                              ;   in Loop: Header=BB994_186 Depth=1
	s_mov_b64 s[66:67], 0
.LBB994_189:                            ;   Parent Loop BB994_186 Depth=1
                                        ; =>  This Inner Loop Header: Depth=2
	global_load_dwordx2 v[28:29], v[32:33], off sc1
	s_waitcnt vmcnt(0)
	v_cmp_ne_u16_sdwa s[76:77], v29, v27 src0_sel:BYTE_0 src1_sel:DWORD
	s_or_b64 s[66:67], s[76:77], s[66:67]
	s_andn2_b64 exec, exec, s[66:67]
	s_cbranch_execnz .LBB994_189
; %bb.190:                              ;   in Loop: Header=BB994_186 Depth=1
	s_or_b64 exec, exec, s[66:67]
.LBB994_191:                            ;   in Loop: Header=BB994_186 Depth=1
	s_or_b64 exec, exec, s[60:61]
	v_cmp_eq_u16_sdwa s[60:61], v29, v54 src0_sel:BYTE_0 src1_sel:DWORD
	s_waitcnt lgkmcnt(0)
	v_and_b32_e32 v57, 0xffffff, v28
	ds_bpermute_b32 v58, v41, v57
	v_and_b32_e32 v32, s61, v31
	v_or_b32_e32 v32, 0x80000000, v32
	v_and_b32_e32 v33, s60, v30
	v_ffbl_b32_e32 v32, v32
	v_add_u32_e32 v32, 32, v32
	v_ffbl_b32_e32 v33, v33
	v_min_u32_e32 v32, v33, v32
	v_lshrrev_b32_e32 v33, 16, v28
	v_cmp_lt_u32_e32 vcc, v25, v32
	v_bfe_u32 v56, v28, 16, 8
	s_and_saveexec_b64 s[60:61], vcc
	s_cbranch_execz .LBB994_193
; %bb.192:                              ;   in Loop: Header=BB994_186 Depth=1
	v_and_b32_e32 v33, 0xff0000, v28
	v_cmp_eq_u32_e32 vcc, 0, v33
	v_and_b32_e32 v33, 0x10000, v33
	s_waitcnt lgkmcnt(0)
	v_and_b32_sdwa v57, v58, v55 dst_sel:DWORD dst_unused:UNUSED_PAD src0_sel:WORD_1 src1_sel:DWORD
	v_cndmask_b32_e32 v56, 0, v58, vcc
	v_cmp_ne_u32_e32 vcc, 0, v33
	v_add_u16_e32 v59, v56, v28
	v_add_u16_e32 v28, v56, v28
	v_cndmask_b32_e64 v33, v57, 1, vcc
	v_lshlrev_b32_e32 v57, 16, v33
	v_or_b32_e32 v57, v57, v28
	v_mov_b32_e32 v28, v59
	v_mov_b32_e32 v56, v33
.LBB994_193:                            ;   in Loop: Header=BB994_186 Depth=1
	s_or_b64 exec, exec, s[60:61]
	s_waitcnt lgkmcnt(0)
	ds_bpermute_b32 v58, v42, v57
	v_cmp_le_u32_e32 vcc, v43, v32
	s_and_saveexec_b64 s[60:61], vcc
	s_cbranch_execz .LBB994_195
; %bb.194:                              ;   in Loop: Header=BB994_186 Depth=1
	v_cmp_eq_u16_e32 vcc, 0, v56
	v_and_b32_e32 v33, 1, v56
	s_waitcnt lgkmcnt(0)
	v_and_b32_sdwa v56, v58, v55 dst_sel:DWORD dst_unused:UNUSED_PAD src0_sel:WORD_1 src1_sel:DWORD
	v_cndmask_b32_e32 v57, 0, v58, vcc
	v_cmp_eq_u32_e32 vcc, 1, v33
	v_add_u16_e32 v59, v57, v28
	v_add_u16_e32 v28, v57, v28
	v_cndmask_b32_e64 v33, v56, 1, vcc
	v_lshlrev_b32_e32 v56, 16, v33
	v_or_b32_e32 v57, v56, v28
	v_mov_b32_e32 v28, v59
	v_mov_b32_e32 v56, v33
.LBB994_195:                            ;   in Loop: Header=BB994_186 Depth=1
	s_or_b64 exec, exec, s[60:61]
	s_waitcnt lgkmcnt(0)
	ds_bpermute_b32 v58, v44, v57
	v_cmp_le_u32_e32 vcc, v45, v32
	s_and_saveexec_b64 s[60:61], vcc
	s_cbranch_execz .LBB994_197
; %bb.196:                              ;   in Loop: Header=BB994_186 Depth=1
	v_cmp_eq_u16_e32 vcc, 0, v56
	v_and_b32_e32 v33, 1, v56
	s_waitcnt lgkmcnt(0)
	v_and_b32_sdwa v56, v58, v55 dst_sel:DWORD dst_unused:UNUSED_PAD src0_sel:WORD_1 src1_sel:DWORD
	v_cndmask_b32_e32 v57, 0, v58, vcc
	v_cmp_eq_u32_e32 vcc, 1, v33
	v_add_u16_e32 v59, v57, v28
	v_add_u16_e32 v28, v57, v28
	v_cndmask_b32_e64 v33, v56, 1, vcc
	v_lshlrev_b32_e32 v56, 16, v33
	v_or_b32_e32 v57, v56, v28
	v_mov_b32_e32 v28, v59
	v_mov_b32_e32 v56, v33
.LBB994_197:                            ;   in Loop: Header=BB994_186 Depth=1
	;; [unrolled: 21-line block ×4, first 2 shown]
	s_or_b64 exec, exec, s[60:61]
	ds_bpermute_b32 v57, v51, v57
	v_cmp_le_u32_e32 vcc, v52, v32
	s_and_saveexec_b64 s[60:61], vcc
	s_cbranch_execz .LBB994_185
; %bb.202:                              ;   in Loop: Header=BB994_186 Depth=1
	v_cmp_eq_u16_e32 vcc, 0, v56
	s_waitcnt lgkmcnt(0)
	v_lshrrev_b32_e32 v33, 16, v57
	v_cndmask_b32_e32 v32, 0, v57, vcc
	v_add_u16_e32 v28, v32, v28
	v_and_b32_e32 v32, 1, v56
	v_cmp_eq_u32_e32 vcc, 1, v32
	s_nop 1
	v_cndmask_b32_e64 v33, v33, 1, vcc
	s_branch .LBB994_185
.LBB994_203:                            ;   in Loop: Header=BB994_186 Depth=1
                                        ; implicit-def: $vgpr32
                                        ; implicit-def: $vgpr28
	s_cbranch_execz .LBB994_186
; %bb.204:
	s_and_saveexec_b64 s[60:61], s[54:55]
	s_cbranch_execz .LBB994_206
; %bb.205:
	v_and_b32_e32 v25, 0xff0000, v24
	s_mov_b32 s67, 0
	v_cmp_eq_u32_e32 vcc, 0, v25
	v_and_b32_e32 v26, 0x10000, v24
	v_mov_b32_e32 v27, 1
	s_add_i32 s66, s71, 64
	v_cndmask_b32_e32 v25, 0, v53, vcc
	v_and_b32_sdwa v27, v50, v27 dst_sel:WORD_1 dst_unused:UNUSED_PAD src0_sel:DWORD src1_sel:DWORD
	v_mov_b32_e32 v28, 0x10000
	v_cmp_eq_u32_e32 vcc, 0, v26
	s_lshl_b64 s[66:67], s[66:67], 3
	s_add_u32 s66, s68, s66
	v_cndmask_b32_e32 v26, v28, v27, vcc
	v_add_u16_e32 v24, v25, v24
	s_addc_u32 s67, s69, s67
	v_mov_b32_e32 v27, 0
	v_or_b32_e32 v24, v26, v24
	v_mov_b32_e32 v25, 2
	global_store_dwordx2 v27, v[24:25], s[66:67] sc1
.LBB994_206:
	s_or_b64 exec, exec, s[60:61]
	s_and_b64 exec, exec, s[56:57]
	s_cbranch_execz .LBB994_208
; %bb.207:
	v_mov_b32_e32 v24, 0
	ds_write_b16 v24, v53 offset:12
	ds_write_b8 v24, v50 offset:14
.LBB994_208:
	s_or_b64 exec, exec, s[0:1]
	s_waitcnt lgkmcnt(0)
	v_lshrrev_b32_e32 v24, 16, v40
	v_mov_b32_e32 v26, 0
	s_mov_b32 s0, 0x10000
	v_cndmask_b32_e64 v24, v24, v37, s[54:55]
	v_cndmask_b32_e64 v25, v40, v36, s[54:55]
	s_barrier
	ds_read_b32 v27, v26 offset:12
	v_cmp_gt_u32_e32 vcc, s0, v1
	v_and_b32_e32 v28, 0x10000, v1
	v_and_b32_e32 v24, 1, v24
	v_cndmask_b32_e32 v25, 0, v25, vcc
	v_cmp_ne_u32_e32 vcc, 0, v28
	v_cndmask_b32_e64 v25, v25, 0, s[56:57]
	v_add_u16_e32 v25, v25, v1
	v_cndmask_b32_e64 v24, v24, 1, vcc
	v_cndmask_b32_e64 v24, v24, v35, s[56:57]
	v_cmp_eq_u16_sdwa vcc, v24, v26 src0_sel:BYTE_0 src1_sel:DWORD
	s_waitcnt lgkmcnt(0)
	s_nop 0
	v_cndmask_b32_e32 v24, 0, v27, vcc
	v_add_u16_e32 v50, v25, v24
	v_cndmask_b32_e64 v24, 0, v50, s[6:7]
	v_add_u16_e32 v24, v24, v18
	v_cndmask_b32_e64 v25, 0, v24, s[8:9]
	;; [unrolled: 2-line block ×23, first 2 shown]
	v_add_u16_e32 v49, v49, v23
	s_branch .LBB994_239
.LBB994_209:
                                        ; implicit-def: $vgpr50
                                        ; implicit-def: $vgpr24
                                        ; implicit-def: $vgpr25
                                        ; implicit-def: $vgpr26
                                        ; implicit-def: $vgpr27
                                        ; implicit-def: $vgpr28
                                        ; implicit-def: $vgpr29
                                        ; implicit-def: $vgpr31
                                        ; implicit-def: $vgpr30
                                        ; implicit-def: $vgpr32
                                        ; implicit-def: $vgpr33
                                        ; implicit-def: $vgpr35
                                        ; implicit-def: $vgpr36
                                        ; implicit-def: $vgpr37
                                        ; implicit-def: $vgpr40
                                        ; implicit-def: $vgpr42
                                        ; implicit-def: $vgpr41
                                        ; implicit-def: $vgpr43
                                        ; implicit-def: $vgpr44
                                        ; implicit-def: $vgpr45
                                        ; implicit-def: $vgpr46
                                        ; implicit-def: $vgpr47
                                        ; implicit-def: $vgpr48
                                        ; implicit-def: $vgpr49
	s_cbranch_execz .LBB994_239
; %bb.210:
	s_cmp_lg_u64 s[74:75], 0
	s_cselect_b32 s7, s63, 0
	s_cselect_b32 s6, s62, 0
	s_cmp_lg_u64 s[6:7], 0
	s_cselect_b64 s[0:1], -1, 0
	s_and_b64 s[8:9], s[56:57], s[0:1]
	s_and_saveexec_b64 s[0:1], s[8:9]
	s_cbranch_execz .LBB994_212
; %bb.211:
	v_mov_b32_e32 v24, 0
	global_load_ushort v25, v24, s[6:7]
	global_load_ubyte v26, v24, s[6:7] offset:2
	s_mov_b32 s6, 0x10000
	v_and_b32_e32 v24, 0x10000, v1
	v_mov_b32_e32 v27, 1
	v_cmp_gt_u32_e32 vcc, s6, v1
	v_mov_b32_e32 v28, 0x10000
	s_waitcnt vmcnt(0)
	v_and_b32_sdwa v26, v26, v27 dst_sel:WORD_1 dst_unused:UNUSED_PAD src0_sel:DWORD src1_sel:DWORD
	v_cndmask_b32_e32 v25, 0, v25, vcc
	v_cmp_eq_u32_e32 vcc, 0, v24
	v_add_u16_e32 v1, v25, v1
	s_nop 0
	v_cndmask_b32_e32 v24, v28, v26, vcc
	v_or_b32_e32 v1, v24, v1
.LBB994_212:
	s_or_b64 exec, exec, s[0:1]
	s_mov_b32 s50, 0x10000
	v_cmp_gt_u32_e32 vcc, s50, v18
	v_cmp_gt_u32_e64 s[6:7], s50, v19
	v_cmp_gt_u32_e64 s[8:9], s50, v20
	v_cndmask_b32_e32 v24, 0, v1, vcc
	v_add_u16_e32 v24, v24, v18
	v_cndmask_b32_e64 v25, 0, v24, s[6:7]
	v_add_u16_e32 v25, v25, v19
	v_bfe_u32 v28, v19, 16, 1
	v_mov_b32_e32 v53, 1
	v_cndmask_b32_e64 v26, 0, v25, s[8:9]
	v_lshlrev_b16_e32 v28, 1, v28
	v_and_b32_sdwa v29, v18, v53 dst_sel:DWORD dst_unused:UNUSED_PAD src0_sel:WORD_1 src1_sel:DWORD
	v_add_u16_e32 v26, v26, v20
	v_cmp_gt_u32_e64 s[10:11], s50, v21
	v_or_b32_e32 v28, v29, v28
	v_bfe_u32 v29, v21, 16, 1
	v_and_b32_sdwa v30, v20, v53 dst_sel:DWORD dst_unused:UNUSED_PAD src0_sel:WORD_1 src1_sel:DWORD
	v_cndmask_b32_e64 v27, 0, v26, s[10:11]
	v_lshlrev_b16_e32 v29, 3, v29
	v_lshlrev_b16_e32 v30, 2, v30
	v_add_u16_e32 v27, v27, v21
	v_or_b32_e32 v29, v29, v30
	v_cmp_gt_u32_e64 s[12:13], s50, v38
	v_or_b32_e32 v49, v28, v29
	v_and_b32_e32 v29, 0x10000, v38
	v_cndmask_b32_e64 v28, 0, v27, s[12:13]
	v_add_u16_e32 v28, v28, v38
	v_cmp_gt_u32_e64 s[14:15], s50, v2
	v_cmp_ne_u32_e64 s[0:1], 0, v29
	v_cmp_gt_u32_e64 s[16:17], s50, v3
	v_cndmask_b32_e64 v29, 0, v28, s[14:15]
	v_add_u16_e32 v29, v29, v2
	v_cndmask_b32_e64 v30, 0, v29, s[16:17]
	v_add_u16_e32 v31, v30, v3
	v_cmp_gt_u32_e64 s[18:19], s50, v4
	v_cmp_gt_u32_e64 s[20:21], s50, v5
	;; [unrolled: 1-line block ×3, first 2 shown]
	v_cndmask_b32_e64 v30, 0, v31, s[18:19]
	v_add_u16_e32 v30, v30, v4
	v_cndmask_b32_e64 v32, 0, v30, s[20:21]
	v_add_u16_e32 v32, v32, v5
	;; [unrolled: 2-line block ×3, first 2 shown]
	v_cmp_gt_u32_e64 s[24:25], s50, v7
	v_cmp_gt_u32_e64 s[26:27], s50, v8
	;; [unrolled: 1-line block ×3, first 2 shown]
	s_waitcnt vmcnt(0)
	v_cndmask_b32_e64 v35, 0, v33, s[24:25]
	v_add_u16_e32 v35, v35, v7
	v_cndmask_b32_e64 v36, 0, v35, s[26:27]
	v_add_u16_e32 v36, v36, v8
	;; [unrolled: 2-line block ×3, first 2 shown]
	v_cmp_gt_u32_e64 s[30:31], s50, v39
	v_and_b32_e32 v41, 0x10000, v39
	v_cmp_gt_u32_e64 s[34:35], s50, v10
	v_cndmask_b32_e64 v40, 0, v37, s[30:31]
	v_add_u16_e32 v40, v40, v39
	v_cmp_ne_u32_e64 s[52:53], 0, v41
	v_cndmask_b32_e64 v41, 0, v40, s[34:35]
	v_add_u16_e32 v42, v41, v10
	v_cmp_gt_u32_e64 s[36:37], s50, v11
	v_cmp_gt_u32_e64 s[38:39], s50, v12
	v_and_b32_e32 v52, 0x10000, v23
	v_cndmask_b32_e64 v41, 0, v42, s[36:37]
	v_add_u16_e32 v41, v41, v11
	v_cndmask_b32_e64 v43, 0, v41, s[38:39]
	v_add_u16_e32 v43, v43, v12
	v_cmp_gt_u32_e64 s[40:41], s50, v13
	v_cmp_ne_u32_e64 s[54:55], 0, v52
	v_or_b32_e32 v52, v16, v8
	v_or_b32_e32 v55, v17, v9
	;; [unrolled: 1-line block ×3, first 2 shown]
	v_cndmask_b32_e64 v44, 0, v43, s[40:41]
	v_or_b32_e32 v56, v14, v6
	v_or_b32_e32 v58, v12, v4
	;; [unrolled: 1-line block ×4, first 2 shown]
	v_bfe_u32 v57, v57, 16, 1
	v_bfe_u32 v55, v55, 16, 1
	v_and_b32_sdwa v52, v52, v53 dst_sel:DWORD dst_unused:UNUSED_PAD src0_sel:WORD_1 src1_sel:DWORD
	v_add_u16_e32 v44, v44, v13
	v_cmp_gt_u32_e64 s[42:43], s50, v14
	v_or_b32_e32 v60, v10, v2
	v_bfe_u32 v61, v61, 16, 1
	v_bfe_u32 v59, v59, 16, 1
	v_and_b32_sdwa v58, v58, v53 dst_sel:DWORD dst_unused:UNUSED_PAD src0_sel:WORD_1 src1_sel:DWORD
	v_lshlrev_b16_e32 v57, 1, v57
	v_and_b32_sdwa v56, v56, v53 dst_sel:DWORD dst_unused:UNUSED_PAD src0_sel:WORD_1 src1_sel:DWORD
	v_lshlrev_b16_e32 v55, 3, v55
	v_lshlrev_b16_e32 v52, 2, v52
	v_cndmask_b32_e64 v45, 0, v44, s[42:43]
	v_lshlrev_b16_e32 v61, 1, v61
	v_and_b32_sdwa v60, v60, v53 dst_sel:DWORD dst_unused:UNUSED_PAD src0_sel:WORD_1 src1_sel:DWORD
	v_lshlrev_b16_e32 v59, 3, v59
	v_lshlrev_b16_e32 v58, 2, v58
	v_or_b32_e32 v56, v56, v57
	v_or_b32_e32 v52, v55, v52
	v_add_u16_e32 v45, v45, v14
	v_cmp_gt_u32_e64 s[44:45], s50, v15
	v_or_b32_e32 v60, v60, v61
	v_or_b32_e32 v58, v59, v58
	;; [unrolled: 1-line block ×3, first 2 shown]
	v_cndmask_b32_e64 v46, 0, v45, s[44:45]
	v_or_b32_e32 v58, v60, v58
	v_lshlrev_b16_e32 v52, 4, v52
	v_add_u16_e32 v46, v46, v15
	v_cmp_gt_u32_e64 s[46:47], s50, v16
	v_or_b32_e32 v52, v58, v52
	v_or_b32_e32 v49, v52, v49
	v_cndmask_b32_e64 v47, 0, v46, s[46:47]
	v_mov_b32_e32 v52, 0
	v_add_u16_e32 v47, v47, v16
	v_cmp_gt_u32_e64 s[48:49], s50, v17
	v_cmp_ne_u16_sdwa s[60:61], v49, v52 src0_sel:BYTE_0 src1_sel:DWORD
	s_or_b64 s[54:55], s[54:55], s[60:61]
	v_cndmask_b32_e64 v48, 0, v47, s[48:49]
	v_add_u16_e32 v48, v48, v17
	v_cmp_gt_u32_e64 s[50:51], s50, v23
	s_or_b64 s[52:53], s[54:55], s[52:53]
	v_lshrrev_b32_e32 v50, 16, v1
	v_cndmask_b32_e64 v54, 0, v48, s[50:51]
	s_or_b64 s[0:1], s[52:53], s[0:1]
	v_cndmask_b32_e64 v52, v50, 1, s[0:1]
	v_mbcnt_hi_u32_b32 v34, -1, v34
	v_add_u16_e32 v49, v54, v23
	v_add_u16_e32 v51, v54, v23
	v_and_b32_e32 v55, 15, v34
	v_lshl_or_b32 v54, v52, 16, v49
	v_cmp_ne_u32_e64 s[0:1], 0, v55
	s_nop 0
	v_mov_b32_dpp v56, v54 row_shr:1 row_mask:0xf bank_mask:0xf
	s_and_saveexec_b64 s[52:53], s[0:1]
; %bb.213:
	v_cmp_eq_u32_e64 s[0:1], 0, v52
	v_and_b32_e32 v52, 1, v52
	v_and_b32_sdwa v53, v56, v53 dst_sel:DWORD dst_unused:UNUSED_PAD src0_sel:WORD_1 src1_sel:DWORD
	v_cndmask_b32_e64 v54, 0, v56, s[0:1]
	v_cmp_eq_u32_e64 s[0:1], 1, v52
	v_add_u16_e32 v57, v51, v54
	v_add_u16_e32 v51, v51, v54
	v_cndmask_b32_e64 v52, v53, 1, s[0:1]
	v_lshlrev_b32_e32 v53, 16, v52
	v_or_b32_e32 v54, v53, v51
	v_mov_b32_e32 v51, v57
; %bb.214:
	s_or_b64 exec, exec, s[52:53]
	v_lshrrev_b32_e32 v53, 16, v54
	v_mov_b32_dpp v56, v54 row_shr:2 row_mask:0xf bank_mask:0xf
	v_cmp_lt_u32_e64 s[0:1], 1, v55
	s_and_saveexec_b64 s[52:53], s[0:1]
	s_cbranch_execz .LBB994_216
; %bb.215:
	s_mov_b32 s0, 0x10000
	v_cmp_gt_u32_e64 s[0:1], s0, v54
	v_and_b32_e32 v52, 0x10000, v54
	v_mov_b32_e32 v54, 1
	v_cndmask_b32_e64 v53, 0, v56, s[0:1]
	v_and_b32_sdwa v54, v56, v54 dst_sel:DWORD dst_unused:UNUSED_PAD src0_sel:WORD_1 src1_sel:DWORD
	v_cmp_ne_u32_e64 s[0:1], 0, v52
	v_add_u16_e32 v57, v53, v51
	v_add_u16_e32 v51, v53, v51
	v_cndmask_b32_e64 v52, v54, 1, s[0:1]
	v_lshlrev_b32_e32 v54, 16, v52
	v_or_b32_e32 v54, v54, v51
	v_mov_b32_e32 v53, v52
	v_mov_b32_e32 v51, v57
.LBB994_216:
	s_or_b64 exec, exec, s[52:53]
	v_mov_b32_dpp v56, v54 row_shr:4 row_mask:0xf bank_mask:0xf
	v_cmp_lt_u32_e64 s[0:1], 3, v55
	s_and_saveexec_b64 s[52:53], s[0:1]
	s_cbranch_execz .LBB994_218
; %bb.217:
	v_mov_b32_e32 v52, 0
	v_cmp_eq_u16_sdwa s[0:1], v53, v52 src0_sel:BYTE_0 src1_sel:DWORD
	v_and_b32_e32 v52, 1, v53
	v_mov_b32_e32 v53, 1
	v_cndmask_b32_e64 v54, 0, v56, s[0:1]
	v_and_b32_sdwa v53, v56, v53 dst_sel:DWORD dst_unused:UNUSED_PAD src0_sel:WORD_1 src1_sel:DWORD
	v_cmp_eq_u32_e64 s[0:1], 1, v52
	v_add_u16_e32 v57, v54, v51
	v_add_u16_e32 v51, v54, v51
	v_cndmask_b32_e64 v52, v53, 1, s[0:1]
	v_lshlrev_b32_e32 v53, 16, v52
	v_or_b32_e32 v54, v53, v51
	v_mov_b32_e32 v53, v52
	v_mov_b32_e32 v51, v57
.LBB994_218:
	s_or_b64 exec, exec, s[52:53]
	v_mov_b32_dpp v56, v54 row_shr:8 row_mask:0xf bank_mask:0xf
	v_cmp_lt_u32_e64 s[0:1], 7, v55
	s_and_saveexec_b64 s[52:53], s[0:1]
	s_cbranch_execz .LBB994_220
; %bb.219:
	v_mov_b32_e32 v52, 0
	v_cmp_eq_u16_sdwa s[0:1], v53, v52 src0_sel:BYTE_0 src1_sel:DWORD
	v_and_b32_e32 v52, 1, v53
	v_mov_b32_e32 v53, 1
	v_cndmask_b32_e64 v54, 0, v56, s[0:1]
	v_and_b32_sdwa v53, v56, v53 dst_sel:DWORD dst_unused:UNUSED_PAD src0_sel:WORD_1 src1_sel:DWORD
	v_cmp_eq_u32_e64 s[0:1], 1, v52
	v_add_u16_e32 v55, v54, v51
	v_add_u16_e32 v51, v54, v51
	v_cndmask_b32_e64 v52, v53, 1, s[0:1]
	v_lshlrev_b32_e32 v53, 16, v52
	v_or_b32_e32 v54, v53, v51
	v_mov_b32_e32 v53, v52
	v_mov_b32_e32 v51, v55
.LBB994_220:
	s_or_b64 exec, exec, s[52:53]
	v_and_b32_e32 v56, 16, v34
	v_mov_b32_dpp v55, v54 row_bcast:15 row_mask:0xf bank_mask:0xf
	v_cmp_ne_u32_e64 s[0:1], 0, v56
	s_and_saveexec_b64 s[52:53], s[0:1]
	s_cbranch_execz .LBB994_222
; %bb.221:
	v_mov_b32_e32 v52, 0
	v_cmp_eq_u16_sdwa s[0:1], v53, v52 src0_sel:BYTE_0 src1_sel:DWORD
	v_and_b32_e32 v52, 1, v53
	v_mov_b32_e32 v53, 1
	v_cndmask_b32_e64 v54, 0, v55, s[0:1]
	v_and_b32_sdwa v53, v55, v53 dst_sel:DWORD dst_unused:UNUSED_PAD src0_sel:WORD_1 src1_sel:DWORD
	v_cmp_eq_u32_e64 s[0:1], 1, v52
	v_add_u16_e32 v56, v54, v51
	v_add_u16_e32 v51, v54, v51
	v_cndmask_b32_e64 v52, v53, 1, s[0:1]
	v_lshlrev_b32_e32 v53, 16, v52
	v_or_b32_e32 v54, v53, v51
	v_mov_b32_e32 v51, v56
	v_mov_b32_e32 v53, v52
.LBB994_222:
	s_or_b64 exec, exec, s[52:53]
	v_mov_b32_dpp v54, v54 row_bcast:31 row_mask:0xf bank_mask:0xf
	v_cmp_lt_u32_e64 s[0:1], 31, v34
	s_and_saveexec_b64 s[52:53], s[0:1]
; %bb.223:
	v_mov_b32_e32 v52, 0
	v_cmp_eq_u16_sdwa s[0:1], v53, v52 src0_sel:BYTE_0 src1_sel:DWORD
	s_nop 1
	v_cndmask_b32_e64 v52, 0, v54, s[0:1]
	v_add_u16_e32 v51, v52, v51
	v_and_b32_e32 v52, 1, v53
	v_mov_b32_e32 v53, 1
	v_and_b32_sdwa v53, v54, v53 dst_sel:DWORD dst_unused:UNUSED_PAD src0_sel:WORD_1 src1_sel:DWORD
	v_cmp_eq_u32_e64 s[0:1], 1, v52
	s_nop 1
	v_cndmask_b32_e64 v52, v53, 1, s[0:1]
; %bb.224:
	s_or_b64 exec, exec, s[52:53]
	v_or_b32_e32 v54, 63, v0
	v_lshrrev_b32_e32 v53, 6, v0
	v_cmp_eq_u32_e64 s[0:1], v54, v0
	s_and_saveexec_b64 s[52:53], s[0:1]
	s_cbranch_execz .LBB994_226
; %bb.225:
	v_lshlrev_b32_e32 v54, 2, v53
	ds_write_b16 v54, v51
	ds_write_b8 v54, v52 offset:2
.LBB994_226:
	s_or_b64 exec, exec, s[52:53]
	v_cmp_gt_u32_e64 s[0:1], 4, v0
	s_waitcnt lgkmcnt(0)
	s_barrier
	s_and_saveexec_b64 s[52:53], s[0:1]
	s_cbranch_execz .LBB994_232
; %bb.227:
	v_lshlrev_b32_e32 v54, 2, v0
	ds_read_b32 v55, v54
	v_and_b32_e32 v58, 3, v34
	v_cmp_ne_u32_e64 s[0:1], 0, v58
	s_waitcnt lgkmcnt(0)
	v_lshrrev_b32_e32 v57, 16, v55
	v_mov_b32_dpp v59, v55 row_shr:1 row_mask:0xf bank_mask:0xf
	v_mov_b32_e32 v56, v55
	s_and_saveexec_b64 s[54:55], s[0:1]
	s_cbranch_execz .LBB994_229
; %bb.228:
	v_mov_b32_e32 v56, 0
	v_cmp_eq_u16_sdwa s[0:1], v57, v56 src0_sel:BYTE_0 src1_sel:DWORD
	v_and_b32_e32 v57, 0x10000, v55
	v_mov_b32_e32 v62, 1
	v_cndmask_b32_e64 v61, 0, v59, s[0:1]
	v_and_b32_sdwa v59, v59, v62 dst_sel:DWORD dst_unused:UNUSED_PAD src0_sel:WORD_1 src1_sel:DWORD
	v_cmp_ne_u32_e64 s[0:1], 0, v57
	v_and_b32_e32 v60, 0xff000000, v55
	v_add_u16_e32 v56, v61, v55
	v_cndmask_b32_e64 v57, v59, 1, s[0:1]
	v_lshlrev_b32_e32 v59, 16, v57
	v_add_u16_e32 v55, v61, v55
	v_or3_b32 v55, v59, v60, v55
.LBB994_229:
	s_or_b64 exec, exec, s[54:55]
	s_nop 0
	v_mov_b32_dpp v59, v55 row_shr:2 row_mask:0xf bank_mask:0xf
	v_cmp_lt_u32_e64 s[0:1], 1, v58
	s_and_saveexec_b64 s[54:55], s[0:1]
; %bb.230:
	v_and_b32_e32 v57, 0xff0000, v55
	v_cmp_eq_u32_e64 s[0:1], 0, v57
	v_and_b32_e32 v55, 0x10000, v55
	s_nop 0
	v_cndmask_b32_e64 v57, 0, v59, s[0:1]
	v_add_u16_e32 v56, v57, v56
	v_mov_b32_e32 v57, 1
	v_and_b32_sdwa v57, v59, v57 dst_sel:DWORD dst_unused:UNUSED_PAD src0_sel:WORD_1 src1_sel:DWORD
	v_cmp_eq_u32_e64 s[0:1], 0, v55
	s_nop 1
	v_cndmask_b32_e64 v57, 1, v57, s[0:1]
; %bb.231:
	s_or_b64 exec, exec, s[54:55]
	ds_write_b16 v54, v56
	ds_write_b8 v54, v57 offset:2
.LBB994_232:
	s_or_b64 exec, exec, s[52:53]
	v_cmp_lt_u32_e64 s[0:1], 63, v0
	v_mov_b32_e32 v54, 0
	s_waitcnt lgkmcnt(0)
	s_barrier
	s_and_saveexec_b64 s[52:53], s[0:1]
	s_cbranch_execz .LBB994_234
; %bb.233:
	v_lshl_add_u32 v53, v53, 2, -4
	ds_read_u16 v54, v53
	ds_read_u8 v53, v53 offset:2
	v_mov_b32_e32 v55, 0
	v_and_b32_e32 v56, 1, v52
	v_cmp_eq_u16_sdwa s[0:1], v52, v55 src0_sel:BYTE_0 src1_sel:DWORD
	s_waitcnt lgkmcnt(1)
	s_nop 0
	v_cndmask_b32_e64 v52, 0, v54, s[0:1]
	v_cmp_eq_u32_e64 s[0:1], 1, v56
	v_add_u16_e32 v51, v52, v51
	s_waitcnt lgkmcnt(0)
	v_cndmask_b32_e64 v52, v53, 1, s[0:1]
.LBB994_234:
	s_or_b64 exec, exec, s[52:53]
	v_and_b32_e32 v52, 0xff, v52
	v_and_b32_e32 v51, 0xffff, v51
	v_lshl_or_b32 v51, v52, 16, v51
	v_add_u32_e32 v52, -1, v34
	v_and_b32_e32 v53, 64, v34
	v_cmp_lt_i32_e64 s[0:1], v52, v53
	s_nop 1
	v_cndmask_b32_e64 v52, v52, v34, s[0:1]
	v_lshlrev_b32_e32 v52, 2, v52
	ds_bpermute_b32 v51, v52, v51
	s_and_saveexec_b64 s[52:53], s[4:5]
	s_cbranch_execz .LBB994_236
; %bb.235:
	v_cmp_eq_u32_e64 s[0:1], 0, v34
	v_and_b32_e32 v25, 0xff0000, v1
	v_mov_b32_e32 v50, 0
	s_waitcnt lgkmcnt(0)
	v_cndmask_b32_e64 v24, v51, v54, s[0:1]
	v_and_b32_e32 v24, 0xffff, v24
	v_cmp_eq_u32_e64 s[0:1], 0, v25
	;;#ASMSTART
	;;#ASMEND
	s_nop 1
	v_cndmask_b32_e64 v24, 0, v24, s[0:1]
	v_add_u32_e32 v1, v24, v1
	v_cndmask_b32_e32 v24, 0, v1, vcc
	v_add_u16_e32 v24, v24, v18
	v_cndmask_b32_e64 v18, 0, v24, s[6:7]
	v_add_u16_e32 v25, v18, v19
	v_cndmask_b32_e64 v18, 0, v25, s[8:9]
	;; [unrolled: 2-line block ×22, first 2 shown]
	v_add_u16_e32 v49, v2, v23
.LBB994_236:
	s_or_b64 exec, exec, s[52:53]
	s_and_saveexec_b64 s[0:1], s[56:57]
	s_cbranch_execz .LBB994_238
; %bb.237:
	v_mov_b32_e32 v4, 0
	ds_read_u8 v2, v4 offset:14
	ds_read_u16 v3, v4 offset:12
	s_waitcnt lgkmcnt(1)
	v_lshlrev_b32_e32 v2, 16, v2
	s_waitcnt lgkmcnt(0)
	v_or_b32_e32 v2, v2, v3
	v_mov_b32_e32 v3, 2
	global_store_dwordx2 v4, v[2:3], s[68:69] offset:512 sc1
.LBB994_238:
	s_or_b64 exec, exec, s[0:1]
	v_lshl_or_b32 v50, v50, 16, v1
.LBB994_239:
	s_add_u32 s0, s58, s72
	s_addc_u32 s1, s59, s73
	s_add_u32 s0, s0, s64
	s_addc_u32 s1, s1, s65
	s_and_b64 vcc, exec, s[2:3]
	v_mul_u32_u24_e32 v4, 24, v0
	s_cbranch_vccz .LBB994_289
; %bb.240:
	s_add_i32 s33, s33, s70
	v_cmp_le_u32_e32 vcc, s33, v4
	v_or_b32_e32 v8, 1, v4
	v_or_b32_e32 v7, 2, v4
	;; [unrolled: 1-line block ×7, first 2 shown]
	s_and_saveexec_b64 s[2:3], vcc
	s_xor_b64 s[2:3], exec, s[2:3]
; %bb.241:
	v_or_b32_e32 v8, 1, v4
	v_or_b32_e32 v7, 2, v4
	;; [unrolled: 1-line block ×7, first 2 shown]
; %bb.242:
	s_andn2_saveexec_b64 s[2:3], s[2:3]
	s_or_b64 exec, exec, s[2:3]
	v_lshlrev_b32_e32 v39, 1, v4
	v_lshlrev_b32_e32 v8, 1, v8
	;; [unrolled: 1-line block ×4, first 2 shown]
	s_mov_b32 s2, 0x5040100
	s_waitcnt lgkmcnt(0)
	s_barrier
	ds_write_b16 v39, v50
	ds_write_b16 v8, v24
	;; [unrolled: 1-line block ×4, first 2 shown]
	v_lshlrev_b32_e32 v5, 1, v5
	v_lshlrev_b32_e32 v3, 1, v3
	;; [unrolled: 1-line block ×4, first 2 shown]
	v_perm_b32 v9, v42, v40, s2
	v_perm_b32 v8, v37, v36, s2
	s_waitcnt vmcnt(0)
	v_perm_b32 v7, v35, v33, s2
	v_perm_b32 v6, v32, v30, s2
	ds_write_b16 v5, v27
	ds_write_b16 v3, v28
	;; [unrolled: 1-line block ×4, first 2 shown]
	ds_write_b128 v39, v[6:9] offset:16
	v_perm_b32 v9, v49, v48, s2
	v_perm_b32 v8, v47, v46, s2
	v_perm_b32 v7, v45, v44, s2
	v_perm_b32 v6, v43, v41, s2
	s_movk_i32 s2, 0xffd2
	v_mad_i32_i24 v2, v0, s2, v39
	ds_write_b128 v39, v[6:9] offset:32
	s_waitcnt lgkmcnt(0)
	s_barrier
	ds_read_u16 v53, v2 offset:512
	ds_read_u16 v52, v2 offset:1024
	;; [unrolled: 1-line block ×23, first 2 shown]
	v_mov_b32_e32 v23, 0
	v_lshl_add_u64 v[2:3], s[0:1], 0, v[22:23]
	v_cmp_gt_u32_e32 vcc, s33, v0
	s_and_saveexec_b64 s[2:3], vcc
	s_cbranch_execz .LBB994_244
; %bb.243:
	v_mul_i32_i24_e32 v54, 0xffffffd2, v0
	v_add_u32_e32 v39, v39, v54
	ds_read_u16 v39, v39
	s_waitcnt lgkmcnt(0)
	flat_store_short v[2:3], v39
.LBB994_244:
	s_or_b64 exec, exec, s[2:3]
	v_or_b32_e32 v39, 0x100, v0
	v_cmp_gt_u32_e32 vcc, s33, v39
	s_and_saveexec_b64 s[2:3], vcc
	s_cbranch_execz .LBB994_246
; %bb.245:
	s_waitcnt lgkmcnt(0)
	flat_store_short v[2:3], v53 offset:512
.LBB994_246:
	s_or_b64 exec, exec, s[2:3]
	v_or_b32_e32 v39, 0x200, v0
	v_cmp_gt_u32_e32 vcc, s33, v39
	s_and_saveexec_b64 s[2:3], vcc
	s_cbranch_execz .LBB994_248
; %bb.247:
	s_waitcnt lgkmcnt(0)
	flat_store_short v[2:3], v52 offset:1024
.LBB994_248:
	;; [unrolled: 9-line block ×4, first 2 shown]
	s_or_b64 exec, exec, s[2:3]
	s_waitcnt lgkmcnt(0)
	v_or_b32_e32 v38, 0x500, v0
	v_cmp_gt_u32_e32 vcc, s33, v38
	s_and_saveexec_b64 s[2:3], vcc
	s_cbranch_execz .LBB994_254
; %bb.253:
	flat_store_short v[2:3], v34 offset:2560
.LBB994_254:
	s_or_b64 exec, exec, s[2:3]
	v_or_b32_e32 v34, 0x600, v0
	v_cmp_gt_u32_e32 vcc, s33, v34
	s_and_saveexec_b64 s[2:3], vcc
	s_cbranch_execz .LBB994_256
; %bb.255:
	flat_store_short v[2:3], v21 offset:3072
.LBB994_256:
	s_or_b64 exec, exec, s[2:3]
	;; [unrolled: 8-line block ×3, first 2 shown]
	v_or_b32_e32 v20, 0x800, v0
	v_cmp_gt_u32_e32 vcc, s33, v20
	s_and_saveexec_b64 s[2:3], vcc
	s_cbranch_execz .LBB994_260
; %bb.259:
	v_add_co_u32_e32 v20, vcc, 0x1000, v2
	s_nop 1
	v_addc_co_u32_e32 v21, vcc, 0, v3, vcc
	flat_store_short v[20:21], v19
.LBB994_260:
	s_or_b64 exec, exec, s[2:3]
	v_or_b32_e32 v19, 0x900, v0
	v_cmp_gt_u32_e32 vcc, s33, v19
	s_and_saveexec_b64 s[2:3], vcc
	s_cbranch_execz .LBB994_262
; %bb.261:
	v_add_co_u32_e32 v20, vcc, 0x1000, v2
	s_nop 1
	v_addc_co_u32_e32 v21, vcc, 0, v3, vcc
	flat_store_short v[20:21], v18 offset:512
.LBB994_262:
	s_or_b64 exec, exec, s[2:3]
	v_or_b32_e32 v18, 0xa00, v0
	v_cmp_gt_u32_e32 vcc, s33, v18
	s_and_saveexec_b64 s[2:3], vcc
	s_cbranch_execz .LBB994_264
; %bb.263:
	v_add_co_u32_e32 v18, vcc, 0x1000, v2
	s_nop 1
	v_addc_co_u32_e32 v19, vcc, 0, v3, vcc
	flat_store_short v[18:19], v17 offset:1024
.LBB994_264:
	;; [unrolled: 11-line block ×7, first 2 shown]
	s_or_b64 exec, exec, s[2:3]
	v_or_b32_e32 v12, 0x1000, v0
	v_cmp_gt_u32_e32 vcc, s33, v12
	s_and_saveexec_b64 s[2:3], vcc
	s_cbranch_execz .LBB994_276
; %bb.275:
	v_add_co_u32_e32 v12, vcc, 0x2000, v2
	s_nop 1
	v_addc_co_u32_e32 v13, vcc, 0, v3, vcc
	flat_store_short v[12:13], v11
.LBB994_276:
	s_or_b64 exec, exec, s[2:3]
	v_or_b32_e32 v11, 0x1100, v0
	v_cmp_gt_u32_e32 vcc, s33, v11
	s_and_saveexec_b64 s[2:3], vcc
	s_cbranch_execz .LBB994_278
; %bb.277:
	v_add_co_u32_e32 v12, vcc, 0x2000, v2
	s_nop 1
	v_addc_co_u32_e32 v13, vcc, 0, v3, vcc
	flat_store_short v[12:13], v10 offset:512
.LBB994_278:
	s_or_b64 exec, exec, s[2:3]
	v_or_b32_e32 v10, 0x1200, v0
	v_cmp_gt_u32_e32 vcc, s33, v10
	s_and_saveexec_b64 s[2:3], vcc
	s_cbranch_execz .LBB994_280
; %bb.279:
	v_add_co_u32_e32 v10, vcc, 0x2000, v2
	s_nop 1
	v_addc_co_u32_e32 v11, vcc, 0, v3, vcc
	flat_store_short v[10:11], v9 offset:1024
.LBB994_280:
	;; [unrolled: 11-line block ×6, first 2 shown]
	s_or_b64 exec, exec, s[2:3]
	v_or_b32_e32 v2, 0x1700, v0
	v_mov_b32_e32 v1, v23
	v_cmp_gt_u32_e64 s[2:3], s33, v2
	s_branch .LBB994_291
.LBB994_289:
	s_mov_b64 s[2:3], 0
                                        ; implicit-def: $vgpr5
	s_cbranch_execz .LBB994_291
; %bb.290:
	s_mov_b32 s4, 0x5040100
	v_lshlrev_b32_e32 v6, 1, v4
	v_perm_b32 v5, v31, v29, s4
	v_perm_b32 v4, v28, v27, s4
	v_perm_b32 v3, v26, v25, s4
	v_perm_b32 v2, v24, v50, s4
	s_waitcnt lgkmcnt(0)
	s_barrier
	ds_write_b128 v6, v[2:5]
	v_perm_b32 v5, v42, v40, s4
	v_perm_b32 v4, v37, v36, s4
	s_waitcnt vmcnt(0)
	v_perm_b32 v3, v35, v33, s4
	v_perm_b32 v2, v32, v30, s4
	ds_write_b128 v6, v[2:5] offset:16
	v_perm_b32 v4, v47, v46, s4
	v_perm_b32 v3, v45, v44, s4
	;; [unrolled: 1-line block ×4, first 2 shown]
	v_mov_b32_e32 v1, 0
	s_movk_i32 s4, 0xffd2
	ds_write_b128 v6, v[2:5] offset:32
	v_mad_i32_i24 v2, v0, s4, v6
	v_mov_b32_e32 v23, v1
	s_waitcnt lgkmcnt(0)
	s_barrier
	ds_read_u16 v4, v2
	ds_read_u16 v6, v2 offset:512
	ds_read_u16 v7, v2 offset:1024
	;; [unrolled: 1-line block ×23, first 2 shown]
	v_lshl_add_u64 v[2:3], s[0:1], 0, v[22:23]
	s_movk_i32 s4, 0x1000
	s_waitcnt lgkmcnt(14)
	flat_store_short v[2:3], v4
	flat_store_short v[2:3], v6 offset:512
	flat_store_short v[2:3], v7 offset:1024
	;; [unrolled: 1-line block ×7, first 2 shown]
	v_add_co_u32_e32 v6, vcc, s4, v2
	s_or_b64 s[2:3], s[2:3], exec
	s_nop 0
	v_addc_co_u32_e32 v7, vcc, 0, v3, vcc
	v_add_co_u32_e32 v2, vcc, 0x2000, v2
	flat_store_short v[6:7], v13
	flat_store_short v[6:7], v14 offset:512
	s_waitcnt lgkmcnt(0)
	flat_store_short v[6:7], v15 offset:1024
	flat_store_short v[6:7], v16 offset:1536
	flat_store_short v[6:7], v17 offset:2048
	flat_store_short v[6:7], v18 offset:2560
	flat_store_short v[6:7], v19 offset:3072
	flat_store_short v[6:7], v20 offset:3584
	v_addc_co_u32_e32 v3, vcc, 0, v3, vcc
	flat_store_short v[2:3], v21
	flat_store_short v[2:3], v24 offset:512
	flat_store_short v[2:3], v25 offset:1024
	flat_store_short v[2:3], v26 offset:1536
	flat_store_short v[2:3], v27 offset:2048
	flat_store_short v[2:3], v28 offset:2560
	flat_store_short v[2:3], v29 offset:3072
.LBB994_291:
	s_and_saveexec_b64 s[4:5], s[2:3]
	s_cbranch_execnz .LBB994_293
; %bb.292:
	s_endpgm
.LBB994_293:
	v_lshl_add_u64 v[0:1], v[0:1], 1, s[0:1]
	v_add_co_u32_e32 v0, vcc, 0x2000, v0
	s_nop 1
	v_addc_co_u32_e32 v1, vcc, 0, v1, vcc
	flat_store_short v[0:1], v5 offset:3584
	s_endpgm
.LBB994_294:
	global_load_ushort v1, v3, s[76:77]
	s_waitcnt vmcnt(0)
	v_sub_u16_e32 v1, 0, v1
	s_or_b64 exec, exec, s[0:1]
                                        ; implicit-def: $vgpr5
	s_and_saveexec_b64 s[0:1], s[8:9]
	s_cbranch_execz .LBB994_61
.LBB994_295:
	global_load_ushort v5, v3, s[76:77] offset:512
	s_waitcnt vmcnt(0)
	v_sub_u16_e32 v5, 0, v5
	s_or_b64 exec, exec, s[0:1]
                                        ; implicit-def: $vgpr7
	s_and_saveexec_b64 s[0:1], s[10:11]
	s_cbranch_execz .LBB994_62
.LBB994_296:
	global_load_ushort v7, v3, s[76:77] offset:1024
	s_waitcnt vmcnt(0)
	v_sub_u16_e32 v7, 0, v7
	s_or_b64 exec, exec, s[0:1]
                                        ; implicit-def: $vgpr9
	s_and_saveexec_b64 s[0:1], s[12:13]
	s_cbranch_execz .LBB994_63
.LBB994_297:
	global_load_ushort v9, v3, s[76:77] offset:1536
	s_waitcnt vmcnt(0)
	v_sub_u16_e32 v9, 0, v9
	s_or_b64 exec, exec, s[0:1]
                                        ; implicit-def: $vgpr11
	s_and_saveexec_b64 s[0:1], s[14:15]
	s_cbranch_execz .LBB994_64
.LBB994_298:
	global_load_ushort v11, v3, s[76:77] offset:2048
	s_waitcnt vmcnt(0)
	v_sub_u16_e32 v11, 0, v11
	s_or_b64 exec, exec, s[0:1]
                                        ; implicit-def: $vgpr13
	s_and_saveexec_b64 s[0:1], s[16:17]
	s_cbranch_execz .LBB994_65
.LBB994_299:
	global_load_ushort v13, v3, s[76:77] offset:2560
	s_waitcnt vmcnt(0)
	v_sub_u16_e32 v13, 0, v13
	s_or_b64 exec, exec, s[0:1]
                                        ; implicit-def: $vgpr15
	s_and_saveexec_b64 s[0:1], s[18:19]
	s_cbranch_execz .LBB994_66
.LBB994_300:
	global_load_ushort v15, v3, s[76:77] offset:3072
	s_waitcnt vmcnt(0)
	v_sub_u16_e32 v15, 0, v15
	s_or_b64 exec, exec, s[0:1]
                                        ; implicit-def: $vgpr17
	s_and_saveexec_b64 s[0:1], s[20:21]
	s_cbranch_execz .LBB994_67
.LBB994_301:
	global_load_ushort v17, v3, s[76:77] offset:3584
	s_waitcnt vmcnt(0)
	v_sub_u16_e32 v17, 0, v17
	s_or_b64 exec, exec, s[0:1]
                                        ; implicit-def: $vgpr19
	s_and_saveexec_b64 s[0:1], s[22:23]
	s_cbranch_execz .LBB994_68
.LBB994_302:
	global_load_ushort v2, v2, s[76:77]
	s_waitcnt vmcnt(0)
	v_sub_u16_e32 v19, 0, v2
	s_or_b64 exec, exec, s[0:1]
                                        ; implicit-def: $vgpr2
	s_and_saveexec_b64 s[0:1], s[24:25]
	s_cbranch_execz .LBB994_69
.LBB994_303:
	global_load_ushort v2, v4, s[76:77]
	s_waitcnt vmcnt(0)
	v_sub_u16_e32 v2, 0, v2
	s_or_b64 exec, exec, s[0:1]
                                        ; implicit-def: $vgpr4
	s_and_saveexec_b64 s[0:1], s[26:27]
	s_cbranch_execz .LBB994_70
.LBB994_304:
	global_load_ushort v4, v6, s[76:77]
	s_waitcnt vmcnt(0)
	v_sub_u16_e32 v4, 0, v4
	s_or_b64 exec, exec, s[0:1]
                                        ; implicit-def: $vgpr6
	s_and_saveexec_b64 s[0:1], s[28:29]
	s_cbranch_execz .LBB994_71
.LBB994_305:
	global_load_ushort v6, v8, s[76:77]
	s_waitcnt vmcnt(0)
	v_sub_u16_e32 v6, 0, v6
	s_or_b64 exec, exec, s[0:1]
                                        ; implicit-def: $vgpr8
	s_and_saveexec_b64 s[0:1], s[30:31]
	s_cbranch_execz .LBB994_72
.LBB994_306:
	global_load_ushort v8, v10, s[76:77]
	s_waitcnt vmcnt(0)
	v_sub_u16_e32 v8, 0, v8
	s_or_b64 exec, exec, s[0:1]
                                        ; implicit-def: $vgpr10
	s_and_saveexec_b64 s[0:1], s[34:35]
	s_cbranch_execz .LBB994_73
.LBB994_307:
	global_load_ushort v10, v12, s[76:77]
	s_waitcnt vmcnt(0)
	v_sub_u16_e32 v10, 0, v10
	s_or_b64 exec, exec, s[0:1]
                                        ; implicit-def: $vgpr12
	s_and_saveexec_b64 s[0:1], s[36:37]
	s_cbranch_execz .LBB994_74
.LBB994_308:
	global_load_ushort v12, v14, s[76:77]
	s_waitcnt vmcnt(0)
	v_sub_u16_e32 v12, 0, v12
	s_or_b64 exec, exec, s[0:1]
                                        ; implicit-def: $vgpr14
	s_and_saveexec_b64 s[0:1], s[38:39]
	s_cbranch_execz .LBB994_75
.LBB994_309:
	global_load_ushort v14, v16, s[76:77]
	s_waitcnt vmcnt(0)
	v_sub_u16_e32 v14, 0, v14
	s_or_b64 exec, exec, s[0:1]
                                        ; implicit-def: $vgpr16
	s_and_saveexec_b64 s[0:1], s[40:41]
	s_cbranch_execz .LBB994_76
.LBB994_310:
	global_load_ushort v16, v18, s[76:77]
	s_waitcnt vmcnt(0)
	v_sub_u16_e32 v16, 0, v16
	s_or_b64 exec, exec, s[0:1]
                                        ; implicit-def: $vgpr18
	s_and_saveexec_b64 s[0:1], s[42:43]
	s_cbranch_execz .LBB994_77
.LBB994_311:
	global_load_ushort v18, v20, s[76:77]
	s_waitcnt vmcnt(0)
	v_sub_u16_e32 v18, 0, v18
	s_or_b64 exec, exec, s[0:1]
                                        ; implicit-def: $vgpr20
	s_and_saveexec_b64 s[0:1], s[44:45]
	s_cbranch_execz .LBB994_78
.LBB994_312:
	global_load_ushort v20, v34, s[76:77]
	s_waitcnt vmcnt(0)
	v_sub_u16_e32 v20, 0, v20
	s_or_b64 exec, exec, s[0:1]
                                        ; implicit-def: $vgpr21
	s_and_saveexec_b64 s[0:1], s[46:47]
	s_cbranch_execz .LBB994_79
.LBB994_313:
	global_load_ushort v21, v36, s[76:77]
	s_waitcnt vmcnt(0)
	v_sub_u16_e32 v21, 0, v21
	s_or_b64 exec, exec, s[0:1]
                                        ; implicit-def: $vgpr34
	s_and_saveexec_b64 s[0:1], s[48:49]
	s_cbranch_execz .LBB994_80
.LBB994_314:
	global_load_ushort v34, v38, s[76:77]
	s_waitcnt vmcnt(0)
	v_sub_u16_e32 v34, 0, v34
	s_or_b64 exec, exec, s[0:1]
                                        ; implicit-def: $vgpr36
	s_and_saveexec_b64 s[0:1], s[50:51]
	s_cbranch_execz .LBB994_81
.LBB994_315:
	global_load_ushort v36, v40, s[76:77]
	s_waitcnt vmcnt(0)
	v_sub_u16_e32 v36, 0, v36
	s_or_b64 exec, exec, s[0:1]
                                        ; implicit-def: $vgpr37
	s_and_saveexec_b64 s[0:1], s[52:53]
	s_cbranch_execz .LBB994_82
.LBB994_316:
	global_load_ushort v37, v42, s[76:77]
	s_waitcnt vmcnt(0)
	v_sub_u16_e32 v37, 0, v37
	s_or_b64 exec, exec, s[0:1]
                                        ; implicit-def: $vgpr38
	s_and_saveexec_b64 s[0:1], s[54:55]
	s_cbranch_execnz .LBB994_83
	s_branch .LBB994_84
.LBB994_317:
                                        ; implicit-def: $sgpr0_sgpr1
	s_branch .LBB994_56
.LBB994_318:
                                        ; implicit-def: $sgpr0_sgpr1
	s_branch .LBB994_135
	.section	.rodata,"a",@progbits
	.p2align	6, 0x0
	.amdhsa_kernel _ZN7rocprim17ROCPRIM_400000_NS6detail17trampoline_kernelINS0_14default_configENS1_27scan_by_key_config_selectorIssEEZZNS1_16scan_by_key_implILNS1_25lookback_scan_determinismE0ELb0ES3_N6thrust23THRUST_200600_302600_NS6detail15normal_iteratorINS9_10device_ptrIsEEEENS9_18transform_iteratorINS9_6negateIsEESE_NS9_11use_defaultESI_EESE_sNS9_4plusIvEENS9_8equal_toIvEEsEE10hipError_tPvRmT2_T3_T4_T5_mT6_T7_P12ihipStream_tbENKUlT_T0_E_clISt17integral_constantIbLb0EES13_IbLb1EEEEDaSZ_S10_EUlSZ_E_NS1_11comp_targetILNS1_3genE5ELNS1_11target_archE942ELNS1_3gpuE9ELNS1_3repE0EEENS1_30default_config_static_selectorELNS0_4arch9wavefront6targetE1EEEvT1_
		.amdhsa_group_segment_fixed_size 13312
		.amdhsa_private_segment_fixed_size 0
		.amdhsa_kernarg_size 120
		.amdhsa_user_sgpr_count 2
		.amdhsa_user_sgpr_dispatch_ptr 0
		.amdhsa_user_sgpr_queue_ptr 0
		.amdhsa_user_sgpr_kernarg_segment_ptr 1
		.amdhsa_user_sgpr_dispatch_id 0
		.amdhsa_user_sgpr_kernarg_preload_length 0
		.amdhsa_user_sgpr_kernarg_preload_offset 0
		.amdhsa_user_sgpr_private_segment_size 0
		.amdhsa_uses_dynamic_stack 0
		.amdhsa_enable_private_segment 0
		.amdhsa_system_sgpr_workgroup_id_x 1
		.amdhsa_system_sgpr_workgroup_id_y 0
		.amdhsa_system_sgpr_workgroup_id_z 0
		.amdhsa_system_sgpr_workgroup_info 0
		.amdhsa_system_vgpr_workitem_id 0
		.amdhsa_next_free_vgpr 63
		.amdhsa_next_free_sgpr 87
		.amdhsa_accum_offset 64
		.amdhsa_reserve_vcc 1
		.amdhsa_float_round_mode_32 0
		.amdhsa_float_round_mode_16_64 0
		.amdhsa_float_denorm_mode_32 3
		.amdhsa_float_denorm_mode_16_64 3
		.amdhsa_dx10_clamp 1
		.amdhsa_ieee_mode 1
		.amdhsa_fp16_overflow 0
		.amdhsa_tg_split 0
		.amdhsa_exception_fp_ieee_invalid_op 0
		.amdhsa_exception_fp_denorm_src 0
		.amdhsa_exception_fp_ieee_div_zero 0
		.amdhsa_exception_fp_ieee_overflow 0
		.amdhsa_exception_fp_ieee_underflow 0
		.amdhsa_exception_fp_ieee_inexact 0
		.amdhsa_exception_int_div_zero 0
	.end_amdhsa_kernel
	.section	.text._ZN7rocprim17ROCPRIM_400000_NS6detail17trampoline_kernelINS0_14default_configENS1_27scan_by_key_config_selectorIssEEZZNS1_16scan_by_key_implILNS1_25lookback_scan_determinismE0ELb0ES3_N6thrust23THRUST_200600_302600_NS6detail15normal_iteratorINS9_10device_ptrIsEEEENS9_18transform_iteratorINS9_6negateIsEESE_NS9_11use_defaultESI_EESE_sNS9_4plusIvEENS9_8equal_toIvEEsEE10hipError_tPvRmT2_T3_T4_T5_mT6_T7_P12ihipStream_tbENKUlT_T0_E_clISt17integral_constantIbLb0EES13_IbLb1EEEEDaSZ_S10_EUlSZ_E_NS1_11comp_targetILNS1_3genE5ELNS1_11target_archE942ELNS1_3gpuE9ELNS1_3repE0EEENS1_30default_config_static_selectorELNS0_4arch9wavefront6targetE1EEEvT1_,"axG",@progbits,_ZN7rocprim17ROCPRIM_400000_NS6detail17trampoline_kernelINS0_14default_configENS1_27scan_by_key_config_selectorIssEEZZNS1_16scan_by_key_implILNS1_25lookback_scan_determinismE0ELb0ES3_N6thrust23THRUST_200600_302600_NS6detail15normal_iteratorINS9_10device_ptrIsEEEENS9_18transform_iteratorINS9_6negateIsEESE_NS9_11use_defaultESI_EESE_sNS9_4plusIvEENS9_8equal_toIvEEsEE10hipError_tPvRmT2_T3_T4_T5_mT6_T7_P12ihipStream_tbENKUlT_T0_E_clISt17integral_constantIbLb0EES13_IbLb1EEEEDaSZ_S10_EUlSZ_E_NS1_11comp_targetILNS1_3genE5ELNS1_11target_archE942ELNS1_3gpuE9ELNS1_3repE0EEENS1_30default_config_static_selectorELNS0_4arch9wavefront6targetE1EEEvT1_,comdat
.Lfunc_end994:
	.size	_ZN7rocprim17ROCPRIM_400000_NS6detail17trampoline_kernelINS0_14default_configENS1_27scan_by_key_config_selectorIssEEZZNS1_16scan_by_key_implILNS1_25lookback_scan_determinismE0ELb0ES3_N6thrust23THRUST_200600_302600_NS6detail15normal_iteratorINS9_10device_ptrIsEEEENS9_18transform_iteratorINS9_6negateIsEESE_NS9_11use_defaultESI_EESE_sNS9_4plusIvEENS9_8equal_toIvEEsEE10hipError_tPvRmT2_T3_T4_T5_mT6_T7_P12ihipStream_tbENKUlT_T0_E_clISt17integral_constantIbLb0EES13_IbLb1EEEEDaSZ_S10_EUlSZ_E_NS1_11comp_targetILNS1_3genE5ELNS1_11target_archE942ELNS1_3gpuE9ELNS1_3repE0EEENS1_30default_config_static_selectorELNS0_4arch9wavefront6targetE1EEEvT1_, .Lfunc_end994-_ZN7rocprim17ROCPRIM_400000_NS6detail17trampoline_kernelINS0_14default_configENS1_27scan_by_key_config_selectorIssEEZZNS1_16scan_by_key_implILNS1_25lookback_scan_determinismE0ELb0ES3_N6thrust23THRUST_200600_302600_NS6detail15normal_iteratorINS9_10device_ptrIsEEEENS9_18transform_iteratorINS9_6negateIsEESE_NS9_11use_defaultESI_EESE_sNS9_4plusIvEENS9_8equal_toIvEEsEE10hipError_tPvRmT2_T3_T4_T5_mT6_T7_P12ihipStream_tbENKUlT_T0_E_clISt17integral_constantIbLb0EES13_IbLb1EEEEDaSZ_S10_EUlSZ_E_NS1_11comp_targetILNS1_3genE5ELNS1_11target_archE942ELNS1_3gpuE9ELNS1_3repE0EEENS1_30default_config_static_selectorELNS0_4arch9wavefront6targetE1EEEvT1_
                                        ; -- End function
	.section	.AMDGPU.csdata,"",@progbits
; Kernel info:
; codeLenInByte = 16264
; NumSgprs: 93
; NumVgprs: 63
; NumAgprs: 0
; TotalNumVgprs: 63
; ScratchSize: 0
; MemoryBound: 0
; FloatMode: 240
; IeeeMode: 1
; LDSByteSize: 13312 bytes/workgroup (compile time only)
; SGPRBlocks: 11
; VGPRBlocks: 7
; NumSGPRsForWavesPerEU: 93
; NumVGPRsForWavesPerEU: 63
; AccumOffset: 64
; Occupancy: 4
; WaveLimiterHint : 1
; COMPUTE_PGM_RSRC2:SCRATCH_EN: 0
; COMPUTE_PGM_RSRC2:USER_SGPR: 2
; COMPUTE_PGM_RSRC2:TRAP_HANDLER: 0
; COMPUTE_PGM_RSRC2:TGID_X_EN: 1
; COMPUTE_PGM_RSRC2:TGID_Y_EN: 0
; COMPUTE_PGM_RSRC2:TGID_Z_EN: 0
; COMPUTE_PGM_RSRC2:TIDIG_COMP_CNT: 0
; COMPUTE_PGM_RSRC3_GFX90A:ACCUM_OFFSET: 15
; COMPUTE_PGM_RSRC3_GFX90A:TG_SPLIT: 0
	.section	.text._ZN7rocprim17ROCPRIM_400000_NS6detail17trampoline_kernelINS0_14default_configENS1_27scan_by_key_config_selectorIssEEZZNS1_16scan_by_key_implILNS1_25lookback_scan_determinismE0ELb0ES3_N6thrust23THRUST_200600_302600_NS6detail15normal_iteratorINS9_10device_ptrIsEEEENS9_18transform_iteratorINS9_6negateIsEESE_NS9_11use_defaultESI_EESE_sNS9_4plusIvEENS9_8equal_toIvEEsEE10hipError_tPvRmT2_T3_T4_T5_mT6_T7_P12ihipStream_tbENKUlT_T0_E_clISt17integral_constantIbLb0EES13_IbLb1EEEEDaSZ_S10_EUlSZ_E_NS1_11comp_targetILNS1_3genE4ELNS1_11target_archE910ELNS1_3gpuE8ELNS1_3repE0EEENS1_30default_config_static_selectorELNS0_4arch9wavefront6targetE1EEEvT1_,"axG",@progbits,_ZN7rocprim17ROCPRIM_400000_NS6detail17trampoline_kernelINS0_14default_configENS1_27scan_by_key_config_selectorIssEEZZNS1_16scan_by_key_implILNS1_25lookback_scan_determinismE0ELb0ES3_N6thrust23THRUST_200600_302600_NS6detail15normal_iteratorINS9_10device_ptrIsEEEENS9_18transform_iteratorINS9_6negateIsEESE_NS9_11use_defaultESI_EESE_sNS9_4plusIvEENS9_8equal_toIvEEsEE10hipError_tPvRmT2_T3_T4_T5_mT6_T7_P12ihipStream_tbENKUlT_T0_E_clISt17integral_constantIbLb0EES13_IbLb1EEEEDaSZ_S10_EUlSZ_E_NS1_11comp_targetILNS1_3genE4ELNS1_11target_archE910ELNS1_3gpuE8ELNS1_3repE0EEENS1_30default_config_static_selectorELNS0_4arch9wavefront6targetE1EEEvT1_,comdat
	.protected	_ZN7rocprim17ROCPRIM_400000_NS6detail17trampoline_kernelINS0_14default_configENS1_27scan_by_key_config_selectorIssEEZZNS1_16scan_by_key_implILNS1_25lookback_scan_determinismE0ELb0ES3_N6thrust23THRUST_200600_302600_NS6detail15normal_iteratorINS9_10device_ptrIsEEEENS9_18transform_iteratorINS9_6negateIsEESE_NS9_11use_defaultESI_EESE_sNS9_4plusIvEENS9_8equal_toIvEEsEE10hipError_tPvRmT2_T3_T4_T5_mT6_T7_P12ihipStream_tbENKUlT_T0_E_clISt17integral_constantIbLb0EES13_IbLb1EEEEDaSZ_S10_EUlSZ_E_NS1_11comp_targetILNS1_3genE4ELNS1_11target_archE910ELNS1_3gpuE8ELNS1_3repE0EEENS1_30default_config_static_selectorELNS0_4arch9wavefront6targetE1EEEvT1_ ; -- Begin function _ZN7rocprim17ROCPRIM_400000_NS6detail17trampoline_kernelINS0_14default_configENS1_27scan_by_key_config_selectorIssEEZZNS1_16scan_by_key_implILNS1_25lookback_scan_determinismE0ELb0ES3_N6thrust23THRUST_200600_302600_NS6detail15normal_iteratorINS9_10device_ptrIsEEEENS9_18transform_iteratorINS9_6negateIsEESE_NS9_11use_defaultESI_EESE_sNS9_4plusIvEENS9_8equal_toIvEEsEE10hipError_tPvRmT2_T3_T4_T5_mT6_T7_P12ihipStream_tbENKUlT_T0_E_clISt17integral_constantIbLb0EES13_IbLb1EEEEDaSZ_S10_EUlSZ_E_NS1_11comp_targetILNS1_3genE4ELNS1_11target_archE910ELNS1_3gpuE8ELNS1_3repE0EEENS1_30default_config_static_selectorELNS0_4arch9wavefront6targetE1EEEvT1_
	.globl	_ZN7rocprim17ROCPRIM_400000_NS6detail17trampoline_kernelINS0_14default_configENS1_27scan_by_key_config_selectorIssEEZZNS1_16scan_by_key_implILNS1_25lookback_scan_determinismE0ELb0ES3_N6thrust23THRUST_200600_302600_NS6detail15normal_iteratorINS9_10device_ptrIsEEEENS9_18transform_iteratorINS9_6negateIsEESE_NS9_11use_defaultESI_EESE_sNS9_4plusIvEENS9_8equal_toIvEEsEE10hipError_tPvRmT2_T3_T4_T5_mT6_T7_P12ihipStream_tbENKUlT_T0_E_clISt17integral_constantIbLb0EES13_IbLb1EEEEDaSZ_S10_EUlSZ_E_NS1_11comp_targetILNS1_3genE4ELNS1_11target_archE910ELNS1_3gpuE8ELNS1_3repE0EEENS1_30default_config_static_selectorELNS0_4arch9wavefront6targetE1EEEvT1_
	.p2align	8
	.type	_ZN7rocprim17ROCPRIM_400000_NS6detail17trampoline_kernelINS0_14default_configENS1_27scan_by_key_config_selectorIssEEZZNS1_16scan_by_key_implILNS1_25lookback_scan_determinismE0ELb0ES3_N6thrust23THRUST_200600_302600_NS6detail15normal_iteratorINS9_10device_ptrIsEEEENS9_18transform_iteratorINS9_6negateIsEESE_NS9_11use_defaultESI_EESE_sNS9_4plusIvEENS9_8equal_toIvEEsEE10hipError_tPvRmT2_T3_T4_T5_mT6_T7_P12ihipStream_tbENKUlT_T0_E_clISt17integral_constantIbLb0EES13_IbLb1EEEEDaSZ_S10_EUlSZ_E_NS1_11comp_targetILNS1_3genE4ELNS1_11target_archE910ELNS1_3gpuE8ELNS1_3repE0EEENS1_30default_config_static_selectorELNS0_4arch9wavefront6targetE1EEEvT1_,@function
_ZN7rocprim17ROCPRIM_400000_NS6detail17trampoline_kernelINS0_14default_configENS1_27scan_by_key_config_selectorIssEEZZNS1_16scan_by_key_implILNS1_25lookback_scan_determinismE0ELb0ES3_N6thrust23THRUST_200600_302600_NS6detail15normal_iteratorINS9_10device_ptrIsEEEENS9_18transform_iteratorINS9_6negateIsEESE_NS9_11use_defaultESI_EESE_sNS9_4plusIvEENS9_8equal_toIvEEsEE10hipError_tPvRmT2_T3_T4_T5_mT6_T7_P12ihipStream_tbENKUlT_T0_E_clISt17integral_constantIbLb0EES13_IbLb1EEEEDaSZ_S10_EUlSZ_E_NS1_11comp_targetILNS1_3genE4ELNS1_11target_archE910ELNS1_3gpuE8ELNS1_3repE0EEENS1_30default_config_static_selectorELNS0_4arch9wavefront6targetE1EEEvT1_: ; @_ZN7rocprim17ROCPRIM_400000_NS6detail17trampoline_kernelINS0_14default_configENS1_27scan_by_key_config_selectorIssEEZZNS1_16scan_by_key_implILNS1_25lookback_scan_determinismE0ELb0ES3_N6thrust23THRUST_200600_302600_NS6detail15normal_iteratorINS9_10device_ptrIsEEEENS9_18transform_iteratorINS9_6negateIsEESE_NS9_11use_defaultESI_EESE_sNS9_4plusIvEENS9_8equal_toIvEEsEE10hipError_tPvRmT2_T3_T4_T5_mT6_T7_P12ihipStream_tbENKUlT_T0_E_clISt17integral_constantIbLb0EES13_IbLb1EEEEDaSZ_S10_EUlSZ_E_NS1_11comp_targetILNS1_3genE4ELNS1_11target_archE910ELNS1_3gpuE8ELNS1_3repE0EEENS1_30default_config_static_selectorELNS0_4arch9wavefront6targetE1EEEvT1_
; %bb.0:
	.section	.rodata,"a",@progbits
	.p2align	6, 0x0
	.amdhsa_kernel _ZN7rocprim17ROCPRIM_400000_NS6detail17trampoline_kernelINS0_14default_configENS1_27scan_by_key_config_selectorIssEEZZNS1_16scan_by_key_implILNS1_25lookback_scan_determinismE0ELb0ES3_N6thrust23THRUST_200600_302600_NS6detail15normal_iteratorINS9_10device_ptrIsEEEENS9_18transform_iteratorINS9_6negateIsEESE_NS9_11use_defaultESI_EESE_sNS9_4plusIvEENS9_8equal_toIvEEsEE10hipError_tPvRmT2_T3_T4_T5_mT6_T7_P12ihipStream_tbENKUlT_T0_E_clISt17integral_constantIbLb0EES13_IbLb1EEEEDaSZ_S10_EUlSZ_E_NS1_11comp_targetILNS1_3genE4ELNS1_11target_archE910ELNS1_3gpuE8ELNS1_3repE0EEENS1_30default_config_static_selectorELNS0_4arch9wavefront6targetE1EEEvT1_
		.amdhsa_group_segment_fixed_size 0
		.amdhsa_private_segment_fixed_size 0
		.amdhsa_kernarg_size 120
		.amdhsa_user_sgpr_count 2
		.amdhsa_user_sgpr_dispatch_ptr 0
		.amdhsa_user_sgpr_queue_ptr 0
		.amdhsa_user_sgpr_kernarg_segment_ptr 1
		.amdhsa_user_sgpr_dispatch_id 0
		.amdhsa_user_sgpr_kernarg_preload_length 0
		.amdhsa_user_sgpr_kernarg_preload_offset 0
		.amdhsa_user_sgpr_private_segment_size 0
		.amdhsa_uses_dynamic_stack 0
		.amdhsa_enable_private_segment 0
		.amdhsa_system_sgpr_workgroup_id_x 1
		.amdhsa_system_sgpr_workgroup_id_y 0
		.amdhsa_system_sgpr_workgroup_id_z 0
		.amdhsa_system_sgpr_workgroup_info 0
		.amdhsa_system_vgpr_workitem_id 0
		.amdhsa_next_free_vgpr 1
		.amdhsa_next_free_sgpr 0
		.amdhsa_accum_offset 4
		.amdhsa_reserve_vcc 0
		.amdhsa_float_round_mode_32 0
		.amdhsa_float_round_mode_16_64 0
		.amdhsa_float_denorm_mode_32 3
		.amdhsa_float_denorm_mode_16_64 3
		.amdhsa_dx10_clamp 1
		.amdhsa_ieee_mode 1
		.amdhsa_fp16_overflow 0
		.amdhsa_tg_split 0
		.amdhsa_exception_fp_ieee_invalid_op 0
		.amdhsa_exception_fp_denorm_src 0
		.amdhsa_exception_fp_ieee_div_zero 0
		.amdhsa_exception_fp_ieee_overflow 0
		.amdhsa_exception_fp_ieee_underflow 0
		.amdhsa_exception_fp_ieee_inexact 0
		.amdhsa_exception_int_div_zero 0
	.end_amdhsa_kernel
	.section	.text._ZN7rocprim17ROCPRIM_400000_NS6detail17trampoline_kernelINS0_14default_configENS1_27scan_by_key_config_selectorIssEEZZNS1_16scan_by_key_implILNS1_25lookback_scan_determinismE0ELb0ES3_N6thrust23THRUST_200600_302600_NS6detail15normal_iteratorINS9_10device_ptrIsEEEENS9_18transform_iteratorINS9_6negateIsEESE_NS9_11use_defaultESI_EESE_sNS9_4plusIvEENS9_8equal_toIvEEsEE10hipError_tPvRmT2_T3_T4_T5_mT6_T7_P12ihipStream_tbENKUlT_T0_E_clISt17integral_constantIbLb0EES13_IbLb1EEEEDaSZ_S10_EUlSZ_E_NS1_11comp_targetILNS1_3genE4ELNS1_11target_archE910ELNS1_3gpuE8ELNS1_3repE0EEENS1_30default_config_static_selectorELNS0_4arch9wavefront6targetE1EEEvT1_,"axG",@progbits,_ZN7rocprim17ROCPRIM_400000_NS6detail17trampoline_kernelINS0_14default_configENS1_27scan_by_key_config_selectorIssEEZZNS1_16scan_by_key_implILNS1_25lookback_scan_determinismE0ELb0ES3_N6thrust23THRUST_200600_302600_NS6detail15normal_iteratorINS9_10device_ptrIsEEEENS9_18transform_iteratorINS9_6negateIsEESE_NS9_11use_defaultESI_EESE_sNS9_4plusIvEENS9_8equal_toIvEEsEE10hipError_tPvRmT2_T3_T4_T5_mT6_T7_P12ihipStream_tbENKUlT_T0_E_clISt17integral_constantIbLb0EES13_IbLb1EEEEDaSZ_S10_EUlSZ_E_NS1_11comp_targetILNS1_3genE4ELNS1_11target_archE910ELNS1_3gpuE8ELNS1_3repE0EEENS1_30default_config_static_selectorELNS0_4arch9wavefront6targetE1EEEvT1_,comdat
.Lfunc_end995:
	.size	_ZN7rocprim17ROCPRIM_400000_NS6detail17trampoline_kernelINS0_14default_configENS1_27scan_by_key_config_selectorIssEEZZNS1_16scan_by_key_implILNS1_25lookback_scan_determinismE0ELb0ES3_N6thrust23THRUST_200600_302600_NS6detail15normal_iteratorINS9_10device_ptrIsEEEENS9_18transform_iteratorINS9_6negateIsEESE_NS9_11use_defaultESI_EESE_sNS9_4plusIvEENS9_8equal_toIvEEsEE10hipError_tPvRmT2_T3_T4_T5_mT6_T7_P12ihipStream_tbENKUlT_T0_E_clISt17integral_constantIbLb0EES13_IbLb1EEEEDaSZ_S10_EUlSZ_E_NS1_11comp_targetILNS1_3genE4ELNS1_11target_archE910ELNS1_3gpuE8ELNS1_3repE0EEENS1_30default_config_static_selectorELNS0_4arch9wavefront6targetE1EEEvT1_, .Lfunc_end995-_ZN7rocprim17ROCPRIM_400000_NS6detail17trampoline_kernelINS0_14default_configENS1_27scan_by_key_config_selectorIssEEZZNS1_16scan_by_key_implILNS1_25lookback_scan_determinismE0ELb0ES3_N6thrust23THRUST_200600_302600_NS6detail15normal_iteratorINS9_10device_ptrIsEEEENS9_18transform_iteratorINS9_6negateIsEESE_NS9_11use_defaultESI_EESE_sNS9_4plusIvEENS9_8equal_toIvEEsEE10hipError_tPvRmT2_T3_T4_T5_mT6_T7_P12ihipStream_tbENKUlT_T0_E_clISt17integral_constantIbLb0EES13_IbLb1EEEEDaSZ_S10_EUlSZ_E_NS1_11comp_targetILNS1_3genE4ELNS1_11target_archE910ELNS1_3gpuE8ELNS1_3repE0EEENS1_30default_config_static_selectorELNS0_4arch9wavefront6targetE1EEEvT1_
                                        ; -- End function
	.section	.AMDGPU.csdata,"",@progbits
; Kernel info:
; codeLenInByte = 0
; NumSgprs: 6
; NumVgprs: 0
; NumAgprs: 0
; TotalNumVgprs: 0
; ScratchSize: 0
; MemoryBound: 0
; FloatMode: 240
; IeeeMode: 1
; LDSByteSize: 0 bytes/workgroup (compile time only)
; SGPRBlocks: 0
; VGPRBlocks: 0
; NumSGPRsForWavesPerEU: 6
; NumVGPRsForWavesPerEU: 1
; AccumOffset: 4
; Occupancy: 8
; WaveLimiterHint : 0
; COMPUTE_PGM_RSRC2:SCRATCH_EN: 0
; COMPUTE_PGM_RSRC2:USER_SGPR: 2
; COMPUTE_PGM_RSRC2:TRAP_HANDLER: 0
; COMPUTE_PGM_RSRC2:TGID_X_EN: 1
; COMPUTE_PGM_RSRC2:TGID_Y_EN: 0
; COMPUTE_PGM_RSRC2:TGID_Z_EN: 0
; COMPUTE_PGM_RSRC2:TIDIG_COMP_CNT: 0
; COMPUTE_PGM_RSRC3_GFX90A:ACCUM_OFFSET: 0
; COMPUTE_PGM_RSRC3_GFX90A:TG_SPLIT: 0
	.section	.text._ZN7rocprim17ROCPRIM_400000_NS6detail17trampoline_kernelINS0_14default_configENS1_27scan_by_key_config_selectorIssEEZZNS1_16scan_by_key_implILNS1_25lookback_scan_determinismE0ELb0ES3_N6thrust23THRUST_200600_302600_NS6detail15normal_iteratorINS9_10device_ptrIsEEEENS9_18transform_iteratorINS9_6negateIsEESE_NS9_11use_defaultESI_EESE_sNS9_4plusIvEENS9_8equal_toIvEEsEE10hipError_tPvRmT2_T3_T4_T5_mT6_T7_P12ihipStream_tbENKUlT_T0_E_clISt17integral_constantIbLb0EES13_IbLb1EEEEDaSZ_S10_EUlSZ_E_NS1_11comp_targetILNS1_3genE3ELNS1_11target_archE908ELNS1_3gpuE7ELNS1_3repE0EEENS1_30default_config_static_selectorELNS0_4arch9wavefront6targetE1EEEvT1_,"axG",@progbits,_ZN7rocprim17ROCPRIM_400000_NS6detail17trampoline_kernelINS0_14default_configENS1_27scan_by_key_config_selectorIssEEZZNS1_16scan_by_key_implILNS1_25lookback_scan_determinismE0ELb0ES3_N6thrust23THRUST_200600_302600_NS6detail15normal_iteratorINS9_10device_ptrIsEEEENS9_18transform_iteratorINS9_6negateIsEESE_NS9_11use_defaultESI_EESE_sNS9_4plusIvEENS9_8equal_toIvEEsEE10hipError_tPvRmT2_T3_T4_T5_mT6_T7_P12ihipStream_tbENKUlT_T0_E_clISt17integral_constantIbLb0EES13_IbLb1EEEEDaSZ_S10_EUlSZ_E_NS1_11comp_targetILNS1_3genE3ELNS1_11target_archE908ELNS1_3gpuE7ELNS1_3repE0EEENS1_30default_config_static_selectorELNS0_4arch9wavefront6targetE1EEEvT1_,comdat
	.protected	_ZN7rocprim17ROCPRIM_400000_NS6detail17trampoline_kernelINS0_14default_configENS1_27scan_by_key_config_selectorIssEEZZNS1_16scan_by_key_implILNS1_25lookback_scan_determinismE0ELb0ES3_N6thrust23THRUST_200600_302600_NS6detail15normal_iteratorINS9_10device_ptrIsEEEENS9_18transform_iteratorINS9_6negateIsEESE_NS9_11use_defaultESI_EESE_sNS9_4plusIvEENS9_8equal_toIvEEsEE10hipError_tPvRmT2_T3_T4_T5_mT6_T7_P12ihipStream_tbENKUlT_T0_E_clISt17integral_constantIbLb0EES13_IbLb1EEEEDaSZ_S10_EUlSZ_E_NS1_11comp_targetILNS1_3genE3ELNS1_11target_archE908ELNS1_3gpuE7ELNS1_3repE0EEENS1_30default_config_static_selectorELNS0_4arch9wavefront6targetE1EEEvT1_ ; -- Begin function _ZN7rocprim17ROCPRIM_400000_NS6detail17trampoline_kernelINS0_14default_configENS1_27scan_by_key_config_selectorIssEEZZNS1_16scan_by_key_implILNS1_25lookback_scan_determinismE0ELb0ES3_N6thrust23THRUST_200600_302600_NS6detail15normal_iteratorINS9_10device_ptrIsEEEENS9_18transform_iteratorINS9_6negateIsEESE_NS9_11use_defaultESI_EESE_sNS9_4plusIvEENS9_8equal_toIvEEsEE10hipError_tPvRmT2_T3_T4_T5_mT6_T7_P12ihipStream_tbENKUlT_T0_E_clISt17integral_constantIbLb0EES13_IbLb1EEEEDaSZ_S10_EUlSZ_E_NS1_11comp_targetILNS1_3genE3ELNS1_11target_archE908ELNS1_3gpuE7ELNS1_3repE0EEENS1_30default_config_static_selectorELNS0_4arch9wavefront6targetE1EEEvT1_
	.globl	_ZN7rocprim17ROCPRIM_400000_NS6detail17trampoline_kernelINS0_14default_configENS1_27scan_by_key_config_selectorIssEEZZNS1_16scan_by_key_implILNS1_25lookback_scan_determinismE0ELb0ES3_N6thrust23THRUST_200600_302600_NS6detail15normal_iteratorINS9_10device_ptrIsEEEENS9_18transform_iteratorINS9_6negateIsEESE_NS9_11use_defaultESI_EESE_sNS9_4plusIvEENS9_8equal_toIvEEsEE10hipError_tPvRmT2_T3_T4_T5_mT6_T7_P12ihipStream_tbENKUlT_T0_E_clISt17integral_constantIbLb0EES13_IbLb1EEEEDaSZ_S10_EUlSZ_E_NS1_11comp_targetILNS1_3genE3ELNS1_11target_archE908ELNS1_3gpuE7ELNS1_3repE0EEENS1_30default_config_static_selectorELNS0_4arch9wavefront6targetE1EEEvT1_
	.p2align	8
	.type	_ZN7rocprim17ROCPRIM_400000_NS6detail17trampoline_kernelINS0_14default_configENS1_27scan_by_key_config_selectorIssEEZZNS1_16scan_by_key_implILNS1_25lookback_scan_determinismE0ELb0ES3_N6thrust23THRUST_200600_302600_NS6detail15normal_iteratorINS9_10device_ptrIsEEEENS9_18transform_iteratorINS9_6negateIsEESE_NS9_11use_defaultESI_EESE_sNS9_4plusIvEENS9_8equal_toIvEEsEE10hipError_tPvRmT2_T3_T4_T5_mT6_T7_P12ihipStream_tbENKUlT_T0_E_clISt17integral_constantIbLb0EES13_IbLb1EEEEDaSZ_S10_EUlSZ_E_NS1_11comp_targetILNS1_3genE3ELNS1_11target_archE908ELNS1_3gpuE7ELNS1_3repE0EEENS1_30default_config_static_selectorELNS0_4arch9wavefront6targetE1EEEvT1_,@function
_ZN7rocprim17ROCPRIM_400000_NS6detail17trampoline_kernelINS0_14default_configENS1_27scan_by_key_config_selectorIssEEZZNS1_16scan_by_key_implILNS1_25lookback_scan_determinismE0ELb0ES3_N6thrust23THRUST_200600_302600_NS6detail15normal_iteratorINS9_10device_ptrIsEEEENS9_18transform_iteratorINS9_6negateIsEESE_NS9_11use_defaultESI_EESE_sNS9_4plusIvEENS9_8equal_toIvEEsEE10hipError_tPvRmT2_T3_T4_T5_mT6_T7_P12ihipStream_tbENKUlT_T0_E_clISt17integral_constantIbLb0EES13_IbLb1EEEEDaSZ_S10_EUlSZ_E_NS1_11comp_targetILNS1_3genE3ELNS1_11target_archE908ELNS1_3gpuE7ELNS1_3repE0EEENS1_30default_config_static_selectorELNS0_4arch9wavefront6targetE1EEEvT1_: ; @_ZN7rocprim17ROCPRIM_400000_NS6detail17trampoline_kernelINS0_14default_configENS1_27scan_by_key_config_selectorIssEEZZNS1_16scan_by_key_implILNS1_25lookback_scan_determinismE0ELb0ES3_N6thrust23THRUST_200600_302600_NS6detail15normal_iteratorINS9_10device_ptrIsEEEENS9_18transform_iteratorINS9_6negateIsEESE_NS9_11use_defaultESI_EESE_sNS9_4plusIvEENS9_8equal_toIvEEsEE10hipError_tPvRmT2_T3_T4_T5_mT6_T7_P12ihipStream_tbENKUlT_T0_E_clISt17integral_constantIbLb0EES13_IbLb1EEEEDaSZ_S10_EUlSZ_E_NS1_11comp_targetILNS1_3genE3ELNS1_11target_archE908ELNS1_3gpuE7ELNS1_3repE0EEENS1_30default_config_static_selectorELNS0_4arch9wavefront6targetE1EEEvT1_
; %bb.0:
	.section	.rodata,"a",@progbits
	.p2align	6, 0x0
	.amdhsa_kernel _ZN7rocprim17ROCPRIM_400000_NS6detail17trampoline_kernelINS0_14default_configENS1_27scan_by_key_config_selectorIssEEZZNS1_16scan_by_key_implILNS1_25lookback_scan_determinismE0ELb0ES3_N6thrust23THRUST_200600_302600_NS6detail15normal_iteratorINS9_10device_ptrIsEEEENS9_18transform_iteratorINS9_6negateIsEESE_NS9_11use_defaultESI_EESE_sNS9_4plusIvEENS9_8equal_toIvEEsEE10hipError_tPvRmT2_T3_T4_T5_mT6_T7_P12ihipStream_tbENKUlT_T0_E_clISt17integral_constantIbLb0EES13_IbLb1EEEEDaSZ_S10_EUlSZ_E_NS1_11comp_targetILNS1_3genE3ELNS1_11target_archE908ELNS1_3gpuE7ELNS1_3repE0EEENS1_30default_config_static_selectorELNS0_4arch9wavefront6targetE1EEEvT1_
		.amdhsa_group_segment_fixed_size 0
		.amdhsa_private_segment_fixed_size 0
		.amdhsa_kernarg_size 120
		.amdhsa_user_sgpr_count 2
		.amdhsa_user_sgpr_dispatch_ptr 0
		.amdhsa_user_sgpr_queue_ptr 0
		.amdhsa_user_sgpr_kernarg_segment_ptr 1
		.amdhsa_user_sgpr_dispatch_id 0
		.amdhsa_user_sgpr_kernarg_preload_length 0
		.amdhsa_user_sgpr_kernarg_preload_offset 0
		.amdhsa_user_sgpr_private_segment_size 0
		.amdhsa_uses_dynamic_stack 0
		.amdhsa_enable_private_segment 0
		.amdhsa_system_sgpr_workgroup_id_x 1
		.amdhsa_system_sgpr_workgroup_id_y 0
		.amdhsa_system_sgpr_workgroup_id_z 0
		.amdhsa_system_sgpr_workgroup_info 0
		.amdhsa_system_vgpr_workitem_id 0
		.amdhsa_next_free_vgpr 1
		.amdhsa_next_free_sgpr 0
		.amdhsa_accum_offset 4
		.amdhsa_reserve_vcc 0
		.amdhsa_float_round_mode_32 0
		.amdhsa_float_round_mode_16_64 0
		.amdhsa_float_denorm_mode_32 3
		.amdhsa_float_denorm_mode_16_64 3
		.amdhsa_dx10_clamp 1
		.amdhsa_ieee_mode 1
		.amdhsa_fp16_overflow 0
		.amdhsa_tg_split 0
		.amdhsa_exception_fp_ieee_invalid_op 0
		.amdhsa_exception_fp_denorm_src 0
		.amdhsa_exception_fp_ieee_div_zero 0
		.amdhsa_exception_fp_ieee_overflow 0
		.amdhsa_exception_fp_ieee_underflow 0
		.amdhsa_exception_fp_ieee_inexact 0
		.amdhsa_exception_int_div_zero 0
	.end_amdhsa_kernel
	.section	.text._ZN7rocprim17ROCPRIM_400000_NS6detail17trampoline_kernelINS0_14default_configENS1_27scan_by_key_config_selectorIssEEZZNS1_16scan_by_key_implILNS1_25lookback_scan_determinismE0ELb0ES3_N6thrust23THRUST_200600_302600_NS6detail15normal_iteratorINS9_10device_ptrIsEEEENS9_18transform_iteratorINS9_6negateIsEESE_NS9_11use_defaultESI_EESE_sNS9_4plusIvEENS9_8equal_toIvEEsEE10hipError_tPvRmT2_T3_T4_T5_mT6_T7_P12ihipStream_tbENKUlT_T0_E_clISt17integral_constantIbLb0EES13_IbLb1EEEEDaSZ_S10_EUlSZ_E_NS1_11comp_targetILNS1_3genE3ELNS1_11target_archE908ELNS1_3gpuE7ELNS1_3repE0EEENS1_30default_config_static_selectorELNS0_4arch9wavefront6targetE1EEEvT1_,"axG",@progbits,_ZN7rocprim17ROCPRIM_400000_NS6detail17trampoline_kernelINS0_14default_configENS1_27scan_by_key_config_selectorIssEEZZNS1_16scan_by_key_implILNS1_25lookback_scan_determinismE0ELb0ES3_N6thrust23THRUST_200600_302600_NS6detail15normal_iteratorINS9_10device_ptrIsEEEENS9_18transform_iteratorINS9_6negateIsEESE_NS9_11use_defaultESI_EESE_sNS9_4plusIvEENS9_8equal_toIvEEsEE10hipError_tPvRmT2_T3_T4_T5_mT6_T7_P12ihipStream_tbENKUlT_T0_E_clISt17integral_constantIbLb0EES13_IbLb1EEEEDaSZ_S10_EUlSZ_E_NS1_11comp_targetILNS1_3genE3ELNS1_11target_archE908ELNS1_3gpuE7ELNS1_3repE0EEENS1_30default_config_static_selectorELNS0_4arch9wavefront6targetE1EEEvT1_,comdat
.Lfunc_end996:
	.size	_ZN7rocprim17ROCPRIM_400000_NS6detail17trampoline_kernelINS0_14default_configENS1_27scan_by_key_config_selectorIssEEZZNS1_16scan_by_key_implILNS1_25lookback_scan_determinismE0ELb0ES3_N6thrust23THRUST_200600_302600_NS6detail15normal_iteratorINS9_10device_ptrIsEEEENS9_18transform_iteratorINS9_6negateIsEESE_NS9_11use_defaultESI_EESE_sNS9_4plusIvEENS9_8equal_toIvEEsEE10hipError_tPvRmT2_T3_T4_T5_mT6_T7_P12ihipStream_tbENKUlT_T0_E_clISt17integral_constantIbLb0EES13_IbLb1EEEEDaSZ_S10_EUlSZ_E_NS1_11comp_targetILNS1_3genE3ELNS1_11target_archE908ELNS1_3gpuE7ELNS1_3repE0EEENS1_30default_config_static_selectorELNS0_4arch9wavefront6targetE1EEEvT1_, .Lfunc_end996-_ZN7rocprim17ROCPRIM_400000_NS6detail17trampoline_kernelINS0_14default_configENS1_27scan_by_key_config_selectorIssEEZZNS1_16scan_by_key_implILNS1_25lookback_scan_determinismE0ELb0ES3_N6thrust23THRUST_200600_302600_NS6detail15normal_iteratorINS9_10device_ptrIsEEEENS9_18transform_iteratorINS9_6negateIsEESE_NS9_11use_defaultESI_EESE_sNS9_4plusIvEENS9_8equal_toIvEEsEE10hipError_tPvRmT2_T3_T4_T5_mT6_T7_P12ihipStream_tbENKUlT_T0_E_clISt17integral_constantIbLb0EES13_IbLb1EEEEDaSZ_S10_EUlSZ_E_NS1_11comp_targetILNS1_3genE3ELNS1_11target_archE908ELNS1_3gpuE7ELNS1_3repE0EEENS1_30default_config_static_selectorELNS0_4arch9wavefront6targetE1EEEvT1_
                                        ; -- End function
	.section	.AMDGPU.csdata,"",@progbits
; Kernel info:
; codeLenInByte = 0
; NumSgprs: 6
; NumVgprs: 0
; NumAgprs: 0
; TotalNumVgprs: 0
; ScratchSize: 0
; MemoryBound: 0
; FloatMode: 240
; IeeeMode: 1
; LDSByteSize: 0 bytes/workgroup (compile time only)
; SGPRBlocks: 0
; VGPRBlocks: 0
; NumSGPRsForWavesPerEU: 6
; NumVGPRsForWavesPerEU: 1
; AccumOffset: 4
; Occupancy: 8
; WaveLimiterHint : 0
; COMPUTE_PGM_RSRC2:SCRATCH_EN: 0
; COMPUTE_PGM_RSRC2:USER_SGPR: 2
; COMPUTE_PGM_RSRC2:TRAP_HANDLER: 0
; COMPUTE_PGM_RSRC2:TGID_X_EN: 1
; COMPUTE_PGM_RSRC2:TGID_Y_EN: 0
; COMPUTE_PGM_RSRC2:TGID_Z_EN: 0
; COMPUTE_PGM_RSRC2:TIDIG_COMP_CNT: 0
; COMPUTE_PGM_RSRC3_GFX90A:ACCUM_OFFSET: 0
; COMPUTE_PGM_RSRC3_GFX90A:TG_SPLIT: 0
	.section	.text._ZN7rocprim17ROCPRIM_400000_NS6detail17trampoline_kernelINS0_14default_configENS1_27scan_by_key_config_selectorIssEEZZNS1_16scan_by_key_implILNS1_25lookback_scan_determinismE0ELb0ES3_N6thrust23THRUST_200600_302600_NS6detail15normal_iteratorINS9_10device_ptrIsEEEENS9_18transform_iteratorINS9_6negateIsEESE_NS9_11use_defaultESI_EESE_sNS9_4plusIvEENS9_8equal_toIvEEsEE10hipError_tPvRmT2_T3_T4_T5_mT6_T7_P12ihipStream_tbENKUlT_T0_E_clISt17integral_constantIbLb0EES13_IbLb1EEEEDaSZ_S10_EUlSZ_E_NS1_11comp_targetILNS1_3genE2ELNS1_11target_archE906ELNS1_3gpuE6ELNS1_3repE0EEENS1_30default_config_static_selectorELNS0_4arch9wavefront6targetE1EEEvT1_,"axG",@progbits,_ZN7rocprim17ROCPRIM_400000_NS6detail17trampoline_kernelINS0_14default_configENS1_27scan_by_key_config_selectorIssEEZZNS1_16scan_by_key_implILNS1_25lookback_scan_determinismE0ELb0ES3_N6thrust23THRUST_200600_302600_NS6detail15normal_iteratorINS9_10device_ptrIsEEEENS9_18transform_iteratorINS9_6negateIsEESE_NS9_11use_defaultESI_EESE_sNS9_4plusIvEENS9_8equal_toIvEEsEE10hipError_tPvRmT2_T3_T4_T5_mT6_T7_P12ihipStream_tbENKUlT_T0_E_clISt17integral_constantIbLb0EES13_IbLb1EEEEDaSZ_S10_EUlSZ_E_NS1_11comp_targetILNS1_3genE2ELNS1_11target_archE906ELNS1_3gpuE6ELNS1_3repE0EEENS1_30default_config_static_selectorELNS0_4arch9wavefront6targetE1EEEvT1_,comdat
	.protected	_ZN7rocprim17ROCPRIM_400000_NS6detail17trampoline_kernelINS0_14default_configENS1_27scan_by_key_config_selectorIssEEZZNS1_16scan_by_key_implILNS1_25lookback_scan_determinismE0ELb0ES3_N6thrust23THRUST_200600_302600_NS6detail15normal_iteratorINS9_10device_ptrIsEEEENS9_18transform_iteratorINS9_6negateIsEESE_NS9_11use_defaultESI_EESE_sNS9_4plusIvEENS9_8equal_toIvEEsEE10hipError_tPvRmT2_T3_T4_T5_mT6_T7_P12ihipStream_tbENKUlT_T0_E_clISt17integral_constantIbLb0EES13_IbLb1EEEEDaSZ_S10_EUlSZ_E_NS1_11comp_targetILNS1_3genE2ELNS1_11target_archE906ELNS1_3gpuE6ELNS1_3repE0EEENS1_30default_config_static_selectorELNS0_4arch9wavefront6targetE1EEEvT1_ ; -- Begin function _ZN7rocprim17ROCPRIM_400000_NS6detail17trampoline_kernelINS0_14default_configENS1_27scan_by_key_config_selectorIssEEZZNS1_16scan_by_key_implILNS1_25lookback_scan_determinismE0ELb0ES3_N6thrust23THRUST_200600_302600_NS6detail15normal_iteratorINS9_10device_ptrIsEEEENS9_18transform_iteratorINS9_6negateIsEESE_NS9_11use_defaultESI_EESE_sNS9_4plusIvEENS9_8equal_toIvEEsEE10hipError_tPvRmT2_T3_T4_T5_mT6_T7_P12ihipStream_tbENKUlT_T0_E_clISt17integral_constantIbLb0EES13_IbLb1EEEEDaSZ_S10_EUlSZ_E_NS1_11comp_targetILNS1_3genE2ELNS1_11target_archE906ELNS1_3gpuE6ELNS1_3repE0EEENS1_30default_config_static_selectorELNS0_4arch9wavefront6targetE1EEEvT1_
	.globl	_ZN7rocprim17ROCPRIM_400000_NS6detail17trampoline_kernelINS0_14default_configENS1_27scan_by_key_config_selectorIssEEZZNS1_16scan_by_key_implILNS1_25lookback_scan_determinismE0ELb0ES3_N6thrust23THRUST_200600_302600_NS6detail15normal_iteratorINS9_10device_ptrIsEEEENS9_18transform_iteratorINS9_6negateIsEESE_NS9_11use_defaultESI_EESE_sNS9_4plusIvEENS9_8equal_toIvEEsEE10hipError_tPvRmT2_T3_T4_T5_mT6_T7_P12ihipStream_tbENKUlT_T0_E_clISt17integral_constantIbLb0EES13_IbLb1EEEEDaSZ_S10_EUlSZ_E_NS1_11comp_targetILNS1_3genE2ELNS1_11target_archE906ELNS1_3gpuE6ELNS1_3repE0EEENS1_30default_config_static_selectorELNS0_4arch9wavefront6targetE1EEEvT1_
	.p2align	8
	.type	_ZN7rocprim17ROCPRIM_400000_NS6detail17trampoline_kernelINS0_14default_configENS1_27scan_by_key_config_selectorIssEEZZNS1_16scan_by_key_implILNS1_25lookback_scan_determinismE0ELb0ES3_N6thrust23THRUST_200600_302600_NS6detail15normal_iteratorINS9_10device_ptrIsEEEENS9_18transform_iteratorINS9_6negateIsEESE_NS9_11use_defaultESI_EESE_sNS9_4plusIvEENS9_8equal_toIvEEsEE10hipError_tPvRmT2_T3_T4_T5_mT6_T7_P12ihipStream_tbENKUlT_T0_E_clISt17integral_constantIbLb0EES13_IbLb1EEEEDaSZ_S10_EUlSZ_E_NS1_11comp_targetILNS1_3genE2ELNS1_11target_archE906ELNS1_3gpuE6ELNS1_3repE0EEENS1_30default_config_static_selectorELNS0_4arch9wavefront6targetE1EEEvT1_,@function
_ZN7rocprim17ROCPRIM_400000_NS6detail17trampoline_kernelINS0_14default_configENS1_27scan_by_key_config_selectorIssEEZZNS1_16scan_by_key_implILNS1_25lookback_scan_determinismE0ELb0ES3_N6thrust23THRUST_200600_302600_NS6detail15normal_iteratorINS9_10device_ptrIsEEEENS9_18transform_iteratorINS9_6negateIsEESE_NS9_11use_defaultESI_EESE_sNS9_4plusIvEENS9_8equal_toIvEEsEE10hipError_tPvRmT2_T3_T4_T5_mT6_T7_P12ihipStream_tbENKUlT_T0_E_clISt17integral_constantIbLb0EES13_IbLb1EEEEDaSZ_S10_EUlSZ_E_NS1_11comp_targetILNS1_3genE2ELNS1_11target_archE906ELNS1_3gpuE6ELNS1_3repE0EEENS1_30default_config_static_selectorELNS0_4arch9wavefront6targetE1EEEvT1_: ; @_ZN7rocprim17ROCPRIM_400000_NS6detail17trampoline_kernelINS0_14default_configENS1_27scan_by_key_config_selectorIssEEZZNS1_16scan_by_key_implILNS1_25lookback_scan_determinismE0ELb0ES3_N6thrust23THRUST_200600_302600_NS6detail15normal_iteratorINS9_10device_ptrIsEEEENS9_18transform_iteratorINS9_6negateIsEESE_NS9_11use_defaultESI_EESE_sNS9_4plusIvEENS9_8equal_toIvEEsEE10hipError_tPvRmT2_T3_T4_T5_mT6_T7_P12ihipStream_tbENKUlT_T0_E_clISt17integral_constantIbLb0EES13_IbLb1EEEEDaSZ_S10_EUlSZ_E_NS1_11comp_targetILNS1_3genE2ELNS1_11target_archE906ELNS1_3gpuE6ELNS1_3repE0EEENS1_30default_config_static_selectorELNS0_4arch9wavefront6targetE1EEEvT1_
; %bb.0:
	.section	.rodata,"a",@progbits
	.p2align	6, 0x0
	.amdhsa_kernel _ZN7rocprim17ROCPRIM_400000_NS6detail17trampoline_kernelINS0_14default_configENS1_27scan_by_key_config_selectorIssEEZZNS1_16scan_by_key_implILNS1_25lookback_scan_determinismE0ELb0ES3_N6thrust23THRUST_200600_302600_NS6detail15normal_iteratorINS9_10device_ptrIsEEEENS9_18transform_iteratorINS9_6negateIsEESE_NS9_11use_defaultESI_EESE_sNS9_4plusIvEENS9_8equal_toIvEEsEE10hipError_tPvRmT2_T3_T4_T5_mT6_T7_P12ihipStream_tbENKUlT_T0_E_clISt17integral_constantIbLb0EES13_IbLb1EEEEDaSZ_S10_EUlSZ_E_NS1_11comp_targetILNS1_3genE2ELNS1_11target_archE906ELNS1_3gpuE6ELNS1_3repE0EEENS1_30default_config_static_selectorELNS0_4arch9wavefront6targetE1EEEvT1_
		.amdhsa_group_segment_fixed_size 0
		.amdhsa_private_segment_fixed_size 0
		.amdhsa_kernarg_size 120
		.amdhsa_user_sgpr_count 2
		.amdhsa_user_sgpr_dispatch_ptr 0
		.amdhsa_user_sgpr_queue_ptr 0
		.amdhsa_user_sgpr_kernarg_segment_ptr 1
		.amdhsa_user_sgpr_dispatch_id 0
		.amdhsa_user_sgpr_kernarg_preload_length 0
		.amdhsa_user_sgpr_kernarg_preload_offset 0
		.amdhsa_user_sgpr_private_segment_size 0
		.amdhsa_uses_dynamic_stack 0
		.amdhsa_enable_private_segment 0
		.amdhsa_system_sgpr_workgroup_id_x 1
		.amdhsa_system_sgpr_workgroup_id_y 0
		.amdhsa_system_sgpr_workgroup_id_z 0
		.amdhsa_system_sgpr_workgroup_info 0
		.amdhsa_system_vgpr_workitem_id 0
		.amdhsa_next_free_vgpr 1
		.amdhsa_next_free_sgpr 0
		.amdhsa_accum_offset 4
		.amdhsa_reserve_vcc 0
		.amdhsa_float_round_mode_32 0
		.amdhsa_float_round_mode_16_64 0
		.amdhsa_float_denorm_mode_32 3
		.amdhsa_float_denorm_mode_16_64 3
		.amdhsa_dx10_clamp 1
		.amdhsa_ieee_mode 1
		.amdhsa_fp16_overflow 0
		.amdhsa_tg_split 0
		.amdhsa_exception_fp_ieee_invalid_op 0
		.amdhsa_exception_fp_denorm_src 0
		.amdhsa_exception_fp_ieee_div_zero 0
		.amdhsa_exception_fp_ieee_overflow 0
		.amdhsa_exception_fp_ieee_underflow 0
		.amdhsa_exception_fp_ieee_inexact 0
		.amdhsa_exception_int_div_zero 0
	.end_amdhsa_kernel
	.section	.text._ZN7rocprim17ROCPRIM_400000_NS6detail17trampoline_kernelINS0_14default_configENS1_27scan_by_key_config_selectorIssEEZZNS1_16scan_by_key_implILNS1_25lookback_scan_determinismE0ELb0ES3_N6thrust23THRUST_200600_302600_NS6detail15normal_iteratorINS9_10device_ptrIsEEEENS9_18transform_iteratorINS9_6negateIsEESE_NS9_11use_defaultESI_EESE_sNS9_4plusIvEENS9_8equal_toIvEEsEE10hipError_tPvRmT2_T3_T4_T5_mT6_T7_P12ihipStream_tbENKUlT_T0_E_clISt17integral_constantIbLb0EES13_IbLb1EEEEDaSZ_S10_EUlSZ_E_NS1_11comp_targetILNS1_3genE2ELNS1_11target_archE906ELNS1_3gpuE6ELNS1_3repE0EEENS1_30default_config_static_selectorELNS0_4arch9wavefront6targetE1EEEvT1_,"axG",@progbits,_ZN7rocprim17ROCPRIM_400000_NS6detail17trampoline_kernelINS0_14default_configENS1_27scan_by_key_config_selectorIssEEZZNS1_16scan_by_key_implILNS1_25lookback_scan_determinismE0ELb0ES3_N6thrust23THRUST_200600_302600_NS6detail15normal_iteratorINS9_10device_ptrIsEEEENS9_18transform_iteratorINS9_6negateIsEESE_NS9_11use_defaultESI_EESE_sNS9_4plusIvEENS9_8equal_toIvEEsEE10hipError_tPvRmT2_T3_T4_T5_mT6_T7_P12ihipStream_tbENKUlT_T0_E_clISt17integral_constantIbLb0EES13_IbLb1EEEEDaSZ_S10_EUlSZ_E_NS1_11comp_targetILNS1_3genE2ELNS1_11target_archE906ELNS1_3gpuE6ELNS1_3repE0EEENS1_30default_config_static_selectorELNS0_4arch9wavefront6targetE1EEEvT1_,comdat
.Lfunc_end997:
	.size	_ZN7rocprim17ROCPRIM_400000_NS6detail17trampoline_kernelINS0_14default_configENS1_27scan_by_key_config_selectorIssEEZZNS1_16scan_by_key_implILNS1_25lookback_scan_determinismE0ELb0ES3_N6thrust23THRUST_200600_302600_NS6detail15normal_iteratorINS9_10device_ptrIsEEEENS9_18transform_iteratorINS9_6negateIsEESE_NS9_11use_defaultESI_EESE_sNS9_4plusIvEENS9_8equal_toIvEEsEE10hipError_tPvRmT2_T3_T4_T5_mT6_T7_P12ihipStream_tbENKUlT_T0_E_clISt17integral_constantIbLb0EES13_IbLb1EEEEDaSZ_S10_EUlSZ_E_NS1_11comp_targetILNS1_3genE2ELNS1_11target_archE906ELNS1_3gpuE6ELNS1_3repE0EEENS1_30default_config_static_selectorELNS0_4arch9wavefront6targetE1EEEvT1_, .Lfunc_end997-_ZN7rocprim17ROCPRIM_400000_NS6detail17trampoline_kernelINS0_14default_configENS1_27scan_by_key_config_selectorIssEEZZNS1_16scan_by_key_implILNS1_25lookback_scan_determinismE0ELb0ES3_N6thrust23THRUST_200600_302600_NS6detail15normal_iteratorINS9_10device_ptrIsEEEENS9_18transform_iteratorINS9_6negateIsEESE_NS9_11use_defaultESI_EESE_sNS9_4plusIvEENS9_8equal_toIvEEsEE10hipError_tPvRmT2_T3_T4_T5_mT6_T7_P12ihipStream_tbENKUlT_T0_E_clISt17integral_constantIbLb0EES13_IbLb1EEEEDaSZ_S10_EUlSZ_E_NS1_11comp_targetILNS1_3genE2ELNS1_11target_archE906ELNS1_3gpuE6ELNS1_3repE0EEENS1_30default_config_static_selectorELNS0_4arch9wavefront6targetE1EEEvT1_
                                        ; -- End function
	.section	.AMDGPU.csdata,"",@progbits
; Kernel info:
; codeLenInByte = 0
; NumSgprs: 6
; NumVgprs: 0
; NumAgprs: 0
; TotalNumVgprs: 0
; ScratchSize: 0
; MemoryBound: 0
; FloatMode: 240
; IeeeMode: 1
; LDSByteSize: 0 bytes/workgroup (compile time only)
; SGPRBlocks: 0
; VGPRBlocks: 0
; NumSGPRsForWavesPerEU: 6
; NumVGPRsForWavesPerEU: 1
; AccumOffset: 4
; Occupancy: 8
; WaveLimiterHint : 0
; COMPUTE_PGM_RSRC2:SCRATCH_EN: 0
; COMPUTE_PGM_RSRC2:USER_SGPR: 2
; COMPUTE_PGM_RSRC2:TRAP_HANDLER: 0
; COMPUTE_PGM_RSRC2:TGID_X_EN: 1
; COMPUTE_PGM_RSRC2:TGID_Y_EN: 0
; COMPUTE_PGM_RSRC2:TGID_Z_EN: 0
; COMPUTE_PGM_RSRC2:TIDIG_COMP_CNT: 0
; COMPUTE_PGM_RSRC3_GFX90A:ACCUM_OFFSET: 0
; COMPUTE_PGM_RSRC3_GFX90A:TG_SPLIT: 0
	.section	.text._ZN7rocprim17ROCPRIM_400000_NS6detail17trampoline_kernelINS0_14default_configENS1_27scan_by_key_config_selectorIssEEZZNS1_16scan_by_key_implILNS1_25lookback_scan_determinismE0ELb0ES3_N6thrust23THRUST_200600_302600_NS6detail15normal_iteratorINS9_10device_ptrIsEEEENS9_18transform_iteratorINS9_6negateIsEESE_NS9_11use_defaultESI_EESE_sNS9_4plusIvEENS9_8equal_toIvEEsEE10hipError_tPvRmT2_T3_T4_T5_mT6_T7_P12ihipStream_tbENKUlT_T0_E_clISt17integral_constantIbLb0EES13_IbLb1EEEEDaSZ_S10_EUlSZ_E_NS1_11comp_targetILNS1_3genE10ELNS1_11target_archE1200ELNS1_3gpuE4ELNS1_3repE0EEENS1_30default_config_static_selectorELNS0_4arch9wavefront6targetE1EEEvT1_,"axG",@progbits,_ZN7rocprim17ROCPRIM_400000_NS6detail17trampoline_kernelINS0_14default_configENS1_27scan_by_key_config_selectorIssEEZZNS1_16scan_by_key_implILNS1_25lookback_scan_determinismE0ELb0ES3_N6thrust23THRUST_200600_302600_NS6detail15normal_iteratorINS9_10device_ptrIsEEEENS9_18transform_iteratorINS9_6negateIsEESE_NS9_11use_defaultESI_EESE_sNS9_4plusIvEENS9_8equal_toIvEEsEE10hipError_tPvRmT2_T3_T4_T5_mT6_T7_P12ihipStream_tbENKUlT_T0_E_clISt17integral_constantIbLb0EES13_IbLb1EEEEDaSZ_S10_EUlSZ_E_NS1_11comp_targetILNS1_3genE10ELNS1_11target_archE1200ELNS1_3gpuE4ELNS1_3repE0EEENS1_30default_config_static_selectorELNS0_4arch9wavefront6targetE1EEEvT1_,comdat
	.protected	_ZN7rocprim17ROCPRIM_400000_NS6detail17trampoline_kernelINS0_14default_configENS1_27scan_by_key_config_selectorIssEEZZNS1_16scan_by_key_implILNS1_25lookback_scan_determinismE0ELb0ES3_N6thrust23THRUST_200600_302600_NS6detail15normal_iteratorINS9_10device_ptrIsEEEENS9_18transform_iteratorINS9_6negateIsEESE_NS9_11use_defaultESI_EESE_sNS9_4plusIvEENS9_8equal_toIvEEsEE10hipError_tPvRmT2_T3_T4_T5_mT6_T7_P12ihipStream_tbENKUlT_T0_E_clISt17integral_constantIbLb0EES13_IbLb1EEEEDaSZ_S10_EUlSZ_E_NS1_11comp_targetILNS1_3genE10ELNS1_11target_archE1200ELNS1_3gpuE4ELNS1_3repE0EEENS1_30default_config_static_selectorELNS0_4arch9wavefront6targetE1EEEvT1_ ; -- Begin function _ZN7rocprim17ROCPRIM_400000_NS6detail17trampoline_kernelINS0_14default_configENS1_27scan_by_key_config_selectorIssEEZZNS1_16scan_by_key_implILNS1_25lookback_scan_determinismE0ELb0ES3_N6thrust23THRUST_200600_302600_NS6detail15normal_iteratorINS9_10device_ptrIsEEEENS9_18transform_iteratorINS9_6negateIsEESE_NS9_11use_defaultESI_EESE_sNS9_4plusIvEENS9_8equal_toIvEEsEE10hipError_tPvRmT2_T3_T4_T5_mT6_T7_P12ihipStream_tbENKUlT_T0_E_clISt17integral_constantIbLb0EES13_IbLb1EEEEDaSZ_S10_EUlSZ_E_NS1_11comp_targetILNS1_3genE10ELNS1_11target_archE1200ELNS1_3gpuE4ELNS1_3repE0EEENS1_30default_config_static_selectorELNS0_4arch9wavefront6targetE1EEEvT1_
	.globl	_ZN7rocprim17ROCPRIM_400000_NS6detail17trampoline_kernelINS0_14default_configENS1_27scan_by_key_config_selectorIssEEZZNS1_16scan_by_key_implILNS1_25lookback_scan_determinismE0ELb0ES3_N6thrust23THRUST_200600_302600_NS6detail15normal_iteratorINS9_10device_ptrIsEEEENS9_18transform_iteratorINS9_6negateIsEESE_NS9_11use_defaultESI_EESE_sNS9_4plusIvEENS9_8equal_toIvEEsEE10hipError_tPvRmT2_T3_T4_T5_mT6_T7_P12ihipStream_tbENKUlT_T0_E_clISt17integral_constantIbLb0EES13_IbLb1EEEEDaSZ_S10_EUlSZ_E_NS1_11comp_targetILNS1_3genE10ELNS1_11target_archE1200ELNS1_3gpuE4ELNS1_3repE0EEENS1_30default_config_static_selectorELNS0_4arch9wavefront6targetE1EEEvT1_
	.p2align	8
	.type	_ZN7rocprim17ROCPRIM_400000_NS6detail17trampoline_kernelINS0_14default_configENS1_27scan_by_key_config_selectorIssEEZZNS1_16scan_by_key_implILNS1_25lookback_scan_determinismE0ELb0ES3_N6thrust23THRUST_200600_302600_NS6detail15normal_iteratorINS9_10device_ptrIsEEEENS9_18transform_iteratorINS9_6negateIsEESE_NS9_11use_defaultESI_EESE_sNS9_4plusIvEENS9_8equal_toIvEEsEE10hipError_tPvRmT2_T3_T4_T5_mT6_T7_P12ihipStream_tbENKUlT_T0_E_clISt17integral_constantIbLb0EES13_IbLb1EEEEDaSZ_S10_EUlSZ_E_NS1_11comp_targetILNS1_3genE10ELNS1_11target_archE1200ELNS1_3gpuE4ELNS1_3repE0EEENS1_30default_config_static_selectorELNS0_4arch9wavefront6targetE1EEEvT1_,@function
_ZN7rocprim17ROCPRIM_400000_NS6detail17trampoline_kernelINS0_14default_configENS1_27scan_by_key_config_selectorIssEEZZNS1_16scan_by_key_implILNS1_25lookback_scan_determinismE0ELb0ES3_N6thrust23THRUST_200600_302600_NS6detail15normal_iteratorINS9_10device_ptrIsEEEENS9_18transform_iteratorINS9_6negateIsEESE_NS9_11use_defaultESI_EESE_sNS9_4plusIvEENS9_8equal_toIvEEsEE10hipError_tPvRmT2_T3_T4_T5_mT6_T7_P12ihipStream_tbENKUlT_T0_E_clISt17integral_constantIbLb0EES13_IbLb1EEEEDaSZ_S10_EUlSZ_E_NS1_11comp_targetILNS1_3genE10ELNS1_11target_archE1200ELNS1_3gpuE4ELNS1_3repE0EEENS1_30default_config_static_selectorELNS0_4arch9wavefront6targetE1EEEvT1_: ; @_ZN7rocprim17ROCPRIM_400000_NS6detail17trampoline_kernelINS0_14default_configENS1_27scan_by_key_config_selectorIssEEZZNS1_16scan_by_key_implILNS1_25lookback_scan_determinismE0ELb0ES3_N6thrust23THRUST_200600_302600_NS6detail15normal_iteratorINS9_10device_ptrIsEEEENS9_18transform_iteratorINS9_6negateIsEESE_NS9_11use_defaultESI_EESE_sNS9_4plusIvEENS9_8equal_toIvEEsEE10hipError_tPvRmT2_T3_T4_T5_mT6_T7_P12ihipStream_tbENKUlT_T0_E_clISt17integral_constantIbLb0EES13_IbLb1EEEEDaSZ_S10_EUlSZ_E_NS1_11comp_targetILNS1_3genE10ELNS1_11target_archE1200ELNS1_3gpuE4ELNS1_3repE0EEENS1_30default_config_static_selectorELNS0_4arch9wavefront6targetE1EEEvT1_
; %bb.0:
	.section	.rodata,"a",@progbits
	.p2align	6, 0x0
	.amdhsa_kernel _ZN7rocprim17ROCPRIM_400000_NS6detail17trampoline_kernelINS0_14default_configENS1_27scan_by_key_config_selectorIssEEZZNS1_16scan_by_key_implILNS1_25lookback_scan_determinismE0ELb0ES3_N6thrust23THRUST_200600_302600_NS6detail15normal_iteratorINS9_10device_ptrIsEEEENS9_18transform_iteratorINS9_6negateIsEESE_NS9_11use_defaultESI_EESE_sNS9_4plusIvEENS9_8equal_toIvEEsEE10hipError_tPvRmT2_T3_T4_T5_mT6_T7_P12ihipStream_tbENKUlT_T0_E_clISt17integral_constantIbLb0EES13_IbLb1EEEEDaSZ_S10_EUlSZ_E_NS1_11comp_targetILNS1_3genE10ELNS1_11target_archE1200ELNS1_3gpuE4ELNS1_3repE0EEENS1_30default_config_static_selectorELNS0_4arch9wavefront6targetE1EEEvT1_
		.amdhsa_group_segment_fixed_size 0
		.amdhsa_private_segment_fixed_size 0
		.amdhsa_kernarg_size 120
		.amdhsa_user_sgpr_count 2
		.amdhsa_user_sgpr_dispatch_ptr 0
		.amdhsa_user_sgpr_queue_ptr 0
		.amdhsa_user_sgpr_kernarg_segment_ptr 1
		.amdhsa_user_sgpr_dispatch_id 0
		.amdhsa_user_sgpr_kernarg_preload_length 0
		.amdhsa_user_sgpr_kernarg_preload_offset 0
		.amdhsa_user_sgpr_private_segment_size 0
		.amdhsa_uses_dynamic_stack 0
		.amdhsa_enable_private_segment 0
		.amdhsa_system_sgpr_workgroup_id_x 1
		.amdhsa_system_sgpr_workgroup_id_y 0
		.amdhsa_system_sgpr_workgroup_id_z 0
		.amdhsa_system_sgpr_workgroup_info 0
		.amdhsa_system_vgpr_workitem_id 0
		.amdhsa_next_free_vgpr 1
		.amdhsa_next_free_sgpr 0
		.amdhsa_accum_offset 4
		.amdhsa_reserve_vcc 0
		.amdhsa_float_round_mode_32 0
		.amdhsa_float_round_mode_16_64 0
		.amdhsa_float_denorm_mode_32 3
		.amdhsa_float_denorm_mode_16_64 3
		.amdhsa_dx10_clamp 1
		.amdhsa_ieee_mode 1
		.amdhsa_fp16_overflow 0
		.amdhsa_tg_split 0
		.amdhsa_exception_fp_ieee_invalid_op 0
		.amdhsa_exception_fp_denorm_src 0
		.amdhsa_exception_fp_ieee_div_zero 0
		.amdhsa_exception_fp_ieee_overflow 0
		.amdhsa_exception_fp_ieee_underflow 0
		.amdhsa_exception_fp_ieee_inexact 0
		.amdhsa_exception_int_div_zero 0
	.end_amdhsa_kernel
	.section	.text._ZN7rocprim17ROCPRIM_400000_NS6detail17trampoline_kernelINS0_14default_configENS1_27scan_by_key_config_selectorIssEEZZNS1_16scan_by_key_implILNS1_25lookback_scan_determinismE0ELb0ES3_N6thrust23THRUST_200600_302600_NS6detail15normal_iteratorINS9_10device_ptrIsEEEENS9_18transform_iteratorINS9_6negateIsEESE_NS9_11use_defaultESI_EESE_sNS9_4plusIvEENS9_8equal_toIvEEsEE10hipError_tPvRmT2_T3_T4_T5_mT6_T7_P12ihipStream_tbENKUlT_T0_E_clISt17integral_constantIbLb0EES13_IbLb1EEEEDaSZ_S10_EUlSZ_E_NS1_11comp_targetILNS1_3genE10ELNS1_11target_archE1200ELNS1_3gpuE4ELNS1_3repE0EEENS1_30default_config_static_selectorELNS0_4arch9wavefront6targetE1EEEvT1_,"axG",@progbits,_ZN7rocprim17ROCPRIM_400000_NS6detail17trampoline_kernelINS0_14default_configENS1_27scan_by_key_config_selectorIssEEZZNS1_16scan_by_key_implILNS1_25lookback_scan_determinismE0ELb0ES3_N6thrust23THRUST_200600_302600_NS6detail15normal_iteratorINS9_10device_ptrIsEEEENS9_18transform_iteratorINS9_6negateIsEESE_NS9_11use_defaultESI_EESE_sNS9_4plusIvEENS9_8equal_toIvEEsEE10hipError_tPvRmT2_T3_T4_T5_mT6_T7_P12ihipStream_tbENKUlT_T0_E_clISt17integral_constantIbLb0EES13_IbLb1EEEEDaSZ_S10_EUlSZ_E_NS1_11comp_targetILNS1_3genE10ELNS1_11target_archE1200ELNS1_3gpuE4ELNS1_3repE0EEENS1_30default_config_static_selectorELNS0_4arch9wavefront6targetE1EEEvT1_,comdat
.Lfunc_end998:
	.size	_ZN7rocprim17ROCPRIM_400000_NS6detail17trampoline_kernelINS0_14default_configENS1_27scan_by_key_config_selectorIssEEZZNS1_16scan_by_key_implILNS1_25lookback_scan_determinismE0ELb0ES3_N6thrust23THRUST_200600_302600_NS6detail15normal_iteratorINS9_10device_ptrIsEEEENS9_18transform_iteratorINS9_6negateIsEESE_NS9_11use_defaultESI_EESE_sNS9_4plusIvEENS9_8equal_toIvEEsEE10hipError_tPvRmT2_T3_T4_T5_mT6_T7_P12ihipStream_tbENKUlT_T0_E_clISt17integral_constantIbLb0EES13_IbLb1EEEEDaSZ_S10_EUlSZ_E_NS1_11comp_targetILNS1_3genE10ELNS1_11target_archE1200ELNS1_3gpuE4ELNS1_3repE0EEENS1_30default_config_static_selectorELNS0_4arch9wavefront6targetE1EEEvT1_, .Lfunc_end998-_ZN7rocprim17ROCPRIM_400000_NS6detail17trampoline_kernelINS0_14default_configENS1_27scan_by_key_config_selectorIssEEZZNS1_16scan_by_key_implILNS1_25lookback_scan_determinismE0ELb0ES3_N6thrust23THRUST_200600_302600_NS6detail15normal_iteratorINS9_10device_ptrIsEEEENS9_18transform_iteratorINS9_6negateIsEESE_NS9_11use_defaultESI_EESE_sNS9_4plusIvEENS9_8equal_toIvEEsEE10hipError_tPvRmT2_T3_T4_T5_mT6_T7_P12ihipStream_tbENKUlT_T0_E_clISt17integral_constantIbLb0EES13_IbLb1EEEEDaSZ_S10_EUlSZ_E_NS1_11comp_targetILNS1_3genE10ELNS1_11target_archE1200ELNS1_3gpuE4ELNS1_3repE0EEENS1_30default_config_static_selectorELNS0_4arch9wavefront6targetE1EEEvT1_
                                        ; -- End function
	.section	.AMDGPU.csdata,"",@progbits
; Kernel info:
; codeLenInByte = 0
; NumSgprs: 6
; NumVgprs: 0
; NumAgprs: 0
; TotalNumVgprs: 0
; ScratchSize: 0
; MemoryBound: 0
; FloatMode: 240
; IeeeMode: 1
; LDSByteSize: 0 bytes/workgroup (compile time only)
; SGPRBlocks: 0
; VGPRBlocks: 0
; NumSGPRsForWavesPerEU: 6
; NumVGPRsForWavesPerEU: 1
; AccumOffset: 4
; Occupancy: 8
; WaveLimiterHint : 0
; COMPUTE_PGM_RSRC2:SCRATCH_EN: 0
; COMPUTE_PGM_RSRC2:USER_SGPR: 2
; COMPUTE_PGM_RSRC2:TRAP_HANDLER: 0
; COMPUTE_PGM_RSRC2:TGID_X_EN: 1
; COMPUTE_PGM_RSRC2:TGID_Y_EN: 0
; COMPUTE_PGM_RSRC2:TGID_Z_EN: 0
; COMPUTE_PGM_RSRC2:TIDIG_COMP_CNT: 0
; COMPUTE_PGM_RSRC3_GFX90A:ACCUM_OFFSET: 0
; COMPUTE_PGM_RSRC3_GFX90A:TG_SPLIT: 0
	.section	.text._ZN7rocprim17ROCPRIM_400000_NS6detail17trampoline_kernelINS0_14default_configENS1_27scan_by_key_config_selectorIssEEZZNS1_16scan_by_key_implILNS1_25lookback_scan_determinismE0ELb0ES3_N6thrust23THRUST_200600_302600_NS6detail15normal_iteratorINS9_10device_ptrIsEEEENS9_18transform_iteratorINS9_6negateIsEESE_NS9_11use_defaultESI_EESE_sNS9_4plusIvEENS9_8equal_toIvEEsEE10hipError_tPvRmT2_T3_T4_T5_mT6_T7_P12ihipStream_tbENKUlT_T0_E_clISt17integral_constantIbLb0EES13_IbLb1EEEEDaSZ_S10_EUlSZ_E_NS1_11comp_targetILNS1_3genE9ELNS1_11target_archE1100ELNS1_3gpuE3ELNS1_3repE0EEENS1_30default_config_static_selectorELNS0_4arch9wavefront6targetE1EEEvT1_,"axG",@progbits,_ZN7rocprim17ROCPRIM_400000_NS6detail17trampoline_kernelINS0_14default_configENS1_27scan_by_key_config_selectorIssEEZZNS1_16scan_by_key_implILNS1_25lookback_scan_determinismE0ELb0ES3_N6thrust23THRUST_200600_302600_NS6detail15normal_iteratorINS9_10device_ptrIsEEEENS9_18transform_iteratorINS9_6negateIsEESE_NS9_11use_defaultESI_EESE_sNS9_4plusIvEENS9_8equal_toIvEEsEE10hipError_tPvRmT2_T3_T4_T5_mT6_T7_P12ihipStream_tbENKUlT_T0_E_clISt17integral_constantIbLb0EES13_IbLb1EEEEDaSZ_S10_EUlSZ_E_NS1_11comp_targetILNS1_3genE9ELNS1_11target_archE1100ELNS1_3gpuE3ELNS1_3repE0EEENS1_30default_config_static_selectorELNS0_4arch9wavefront6targetE1EEEvT1_,comdat
	.protected	_ZN7rocprim17ROCPRIM_400000_NS6detail17trampoline_kernelINS0_14default_configENS1_27scan_by_key_config_selectorIssEEZZNS1_16scan_by_key_implILNS1_25lookback_scan_determinismE0ELb0ES3_N6thrust23THRUST_200600_302600_NS6detail15normal_iteratorINS9_10device_ptrIsEEEENS9_18transform_iteratorINS9_6negateIsEESE_NS9_11use_defaultESI_EESE_sNS9_4plusIvEENS9_8equal_toIvEEsEE10hipError_tPvRmT2_T3_T4_T5_mT6_T7_P12ihipStream_tbENKUlT_T0_E_clISt17integral_constantIbLb0EES13_IbLb1EEEEDaSZ_S10_EUlSZ_E_NS1_11comp_targetILNS1_3genE9ELNS1_11target_archE1100ELNS1_3gpuE3ELNS1_3repE0EEENS1_30default_config_static_selectorELNS0_4arch9wavefront6targetE1EEEvT1_ ; -- Begin function _ZN7rocprim17ROCPRIM_400000_NS6detail17trampoline_kernelINS0_14default_configENS1_27scan_by_key_config_selectorIssEEZZNS1_16scan_by_key_implILNS1_25lookback_scan_determinismE0ELb0ES3_N6thrust23THRUST_200600_302600_NS6detail15normal_iteratorINS9_10device_ptrIsEEEENS9_18transform_iteratorINS9_6negateIsEESE_NS9_11use_defaultESI_EESE_sNS9_4plusIvEENS9_8equal_toIvEEsEE10hipError_tPvRmT2_T3_T4_T5_mT6_T7_P12ihipStream_tbENKUlT_T0_E_clISt17integral_constantIbLb0EES13_IbLb1EEEEDaSZ_S10_EUlSZ_E_NS1_11comp_targetILNS1_3genE9ELNS1_11target_archE1100ELNS1_3gpuE3ELNS1_3repE0EEENS1_30default_config_static_selectorELNS0_4arch9wavefront6targetE1EEEvT1_
	.globl	_ZN7rocprim17ROCPRIM_400000_NS6detail17trampoline_kernelINS0_14default_configENS1_27scan_by_key_config_selectorIssEEZZNS1_16scan_by_key_implILNS1_25lookback_scan_determinismE0ELb0ES3_N6thrust23THRUST_200600_302600_NS6detail15normal_iteratorINS9_10device_ptrIsEEEENS9_18transform_iteratorINS9_6negateIsEESE_NS9_11use_defaultESI_EESE_sNS9_4plusIvEENS9_8equal_toIvEEsEE10hipError_tPvRmT2_T3_T4_T5_mT6_T7_P12ihipStream_tbENKUlT_T0_E_clISt17integral_constantIbLb0EES13_IbLb1EEEEDaSZ_S10_EUlSZ_E_NS1_11comp_targetILNS1_3genE9ELNS1_11target_archE1100ELNS1_3gpuE3ELNS1_3repE0EEENS1_30default_config_static_selectorELNS0_4arch9wavefront6targetE1EEEvT1_
	.p2align	8
	.type	_ZN7rocprim17ROCPRIM_400000_NS6detail17trampoline_kernelINS0_14default_configENS1_27scan_by_key_config_selectorIssEEZZNS1_16scan_by_key_implILNS1_25lookback_scan_determinismE0ELb0ES3_N6thrust23THRUST_200600_302600_NS6detail15normal_iteratorINS9_10device_ptrIsEEEENS9_18transform_iteratorINS9_6negateIsEESE_NS9_11use_defaultESI_EESE_sNS9_4plusIvEENS9_8equal_toIvEEsEE10hipError_tPvRmT2_T3_T4_T5_mT6_T7_P12ihipStream_tbENKUlT_T0_E_clISt17integral_constantIbLb0EES13_IbLb1EEEEDaSZ_S10_EUlSZ_E_NS1_11comp_targetILNS1_3genE9ELNS1_11target_archE1100ELNS1_3gpuE3ELNS1_3repE0EEENS1_30default_config_static_selectorELNS0_4arch9wavefront6targetE1EEEvT1_,@function
_ZN7rocprim17ROCPRIM_400000_NS6detail17trampoline_kernelINS0_14default_configENS1_27scan_by_key_config_selectorIssEEZZNS1_16scan_by_key_implILNS1_25lookback_scan_determinismE0ELb0ES3_N6thrust23THRUST_200600_302600_NS6detail15normal_iteratorINS9_10device_ptrIsEEEENS9_18transform_iteratorINS9_6negateIsEESE_NS9_11use_defaultESI_EESE_sNS9_4plusIvEENS9_8equal_toIvEEsEE10hipError_tPvRmT2_T3_T4_T5_mT6_T7_P12ihipStream_tbENKUlT_T0_E_clISt17integral_constantIbLb0EES13_IbLb1EEEEDaSZ_S10_EUlSZ_E_NS1_11comp_targetILNS1_3genE9ELNS1_11target_archE1100ELNS1_3gpuE3ELNS1_3repE0EEENS1_30default_config_static_selectorELNS0_4arch9wavefront6targetE1EEEvT1_: ; @_ZN7rocprim17ROCPRIM_400000_NS6detail17trampoline_kernelINS0_14default_configENS1_27scan_by_key_config_selectorIssEEZZNS1_16scan_by_key_implILNS1_25lookback_scan_determinismE0ELb0ES3_N6thrust23THRUST_200600_302600_NS6detail15normal_iteratorINS9_10device_ptrIsEEEENS9_18transform_iteratorINS9_6negateIsEESE_NS9_11use_defaultESI_EESE_sNS9_4plusIvEENS9_8equal_toIvEEsEE10hipError_tPvRmT2_T3_T4_T5_mT6_T7_P12ihipStream_tbENKUlT_T0_E_clISt17integral_constantIbLb0EES13_IbLb1EEEEDaSZ_S10_EUlSZ_E_NS1_11comp_targetILNS1_3genE9ELNS1_11target_archE1100ELNS1_3gpuE3ELNS1_3repE0EEENS1_30default_config_static_selectorELNS0_4arch9wavefront6targetE1EEEvT1_
; %bb.0:
	.section	.rodata,"a",@progbits
	.p2align	6, 0x0
	.amdhsa_kernel _ZN7rocprim17ROCPRIM_400000_NS6detail17trampoline_kernelINS0_14default_configENS1_27scan_by_key_config_selectorIssEEZZNS1_16scan_by_key_implILNS1_25lookback_scan_determinismE0ELb0ES3_N6thrust23THRUST_200600_302600_NS6detail15normal_iteratorINS9_10device_ptrIsEEEENS9_18transform_iteratorINS9_6negateIsEESE_NS9_11use_defaultESI_EESE_sNS9_4plusIvEENS9_8equal_toIvEEsEE10hipError_tPvRmT2_T3_T4_T5_mT6_T7_P12ihipStream_tbENKUlT_T0_E_clISt17integral_constantIbLb0EES13_IbLb1EEEEDaSZ_S10_EUlSZ_E_NS1_11comp_targetILNS1_3genE9ELNS1_11target_archE1100ELNS1_3gpuE3ELNS1_3repE0EEENS1_30default_config_static_selectorELNS0_4arch9wavefront6targetE1EEEvT1_
		.amdhsa_group_segment_fixed_size 0
		.amdhsa_private_segment_fixed_size 0
		.amdhsa_kernarg_size 120
		.amdhsa_user_sgpr_count 2
		.amdhsa_user_sgpr_dispatch_ptr 0
		.amdhsa_user_sgpr_queue_ptr 0
		.amdhsa_user_sgpr_kernarg_segment_ptr 1
		.amdhsa_user_sgpr_dispatch_id 0
		.amdhsa_user_sgpr_kernarg_preload_length 0
		.amdhsa_user_sgpr_kernarg_preload_offset 0
		.amdhsa_user_sgpr_private_segment_size 0
		.amdhsa_uses_dynamic_stack 0
		.amdhsa_enable_private_segment 0
		.amdhsa_system_sgpr_workgroup_id_x 1
		.amdhsa_system_sgpr_workgroup_id_y 0
		.amdhsa_system_sgpr_workgroup_id_z 0
		.amdhsa_system_sgpr_workgroup_info 0
		.amdhsa_system_vgpr_workitem_id 0
		.amdhsa_next_free_vgpr 1
		.amdhsa_next_free_sgpr 0
		.amdhsa_accum_offset 4
		.amdhsa_reserve_vcc 0
		.amdhsa_float_round_mode_32 0
		.amdhsa_float_round_mode_16_64 0
		.amdhsa_float_denorm_mode_32 3
		.amdhsa_float_denorm_mode_16_64 3
		.amdhsa_dx10_clamp 1
		.amdhsa_ieee_mode 1
		.amdhsa_fp16_overflow 0
		.amdhsa_tg_split 0
		.amdhsa_exception_fp_ieee_invalid_op 0
		.amdhsa_exception_fp_denorm_src 0
		.amdhsa_exception_fp_ieee_div_zero 0
		.amdhsa_exception_fp_ieee_overflow 0
		.amdhsa_exception_fp_ieee_underflow 0
		.amdhsa_exception_fp_ieee_inexact 0
		.amdhsa_exception_int_div_zero 0
	.end_amdhsa_kernel
	.section	.text._ZN7rocprim17ROCPRIM_400000_NS6detail17trampoline_kernelINS0_14default_configENS1_27scan_by_key_config_selectorIssEEZZNS1_16scan_by_key_implILNS1_25lookback_scan_determinismE0ELb0ES3_N6thrust23THRUST_200600_302600_NS6detail15normal_iteratorINS9_10device_ptrIsEEEENS9_18transform_iteratorINS9_6negateIsEESE_NS9_11use_defaultESI_EESE_sNS9_4plusIvEENS9_8equal_toIvEEsEE10hipError_tPvRmT2_T3_T4_T5_mT6_T7_P12ihipStream_tbENKUlT_T0_E_clISt17integral_constantIbLb0EES13_IbLb1EEEEDaSZ_S10_EUlSZ_E_NS1_11comp_targetILNS1_3genE9ELNS1_11target_archE1100ELNS1_3gpuE3ELNS1_3repE0EEENS1_30default_config_static_selectorELNS0_4arch9wavefront6targetE1EEEvT1_,"axG",@progbits,_ZN7rocprim17ROCPRIM_400000_NS6detail17trampoline_kernelINS0_14default_configENS1_27scan_by_key_config_selectorIssEEZZNS1_16scan_by_key_implILNS1_25lookback_scan_determinismE0ELb0ES3_N6thrust23THRUST_200600_302600_NS6detail15normal_iteratorINS9_10device_ptrIsEEEENS9_18transform_iteratorINS9_6negateIsEESE_NS9_11use_defaultESI_EESE_sNS9_4plusIvEENS9_8equal_toIvEEsEE10hipError_tPvRmT2_T3_T4_T5_mT6_T7_P12ihipStream_tbENKUlT_T0_E_clISt17integral_constantIbLb0EES13_IbLb1EEEEDaSZ_S10_EUlSZ_E_NS1_11comp_targetILNS1_3genE9ELNS1_11target_archE1100ELNS1_3gpuE3ELNS1_3repE0EEENS1_30default_config_static_selectorELNS0_4arch9wavefront6targetE1EEEvT1_,comdat
.Lfunc_end999:
	.size	_ZN7rocprim17ROCPRIM_400000_NS6detail17trampoline_kernelINS0_14default_configENS1_27scan_by_key_config_selectorIssEEZZNS1_16scan_by_key_implILNS1_25lookback_scan_determinismE0ELb0ES3_N6thrust23THRUST_200600_302600_NS6detail15normal_iteratorINS9_10device_ptrIsEEEENS9_18transform_iteratorINS9_6negateIsEESE_NS9_11use_defaultESI_EESE_sNS9_4plusIvEENS9_8equal_toIvEEsEE10hipError_tPvRmT2_T3_T4_T5_mT6_T7_P12ihipStream_tbENKUlT_T0_E_clISt17integral_constantIbLb0EES13_IbLb1EEEEDaSZ_S10_EUlSZ_E_NS1_11comp_targetILNS1_3genE9ELNS1_11target_archE1100ELNS1_3gpuE3ELNS1_3repE0EEENS1_30default_config_static_selectorELNS0_4arch9wavefront6targetE1EEEvT1_, .Lfunc_end999-_ZN7rocprim17ROCPRIM_400000_NS6detail17trampoline_kernelINS0_14default_configENS1_27scan_by_key_config_selectorIssEEZZNS1_16scan_by_key_implILNS1_25lookback_scan_determinismE0ELb0ES3_N6thrust23THRUST_200600_302600_NS6detail15normal_iteratorINS9_10device_ptrIsEEEENS9_18transform_iteratorINS9_6negateIsEESE_NS9_11use_defaultESI_EESE_sNS9_4plusIvEENS9_8equal_toIvEEsEE10hipError_tPvRmT2_T3_T4_T5_mT6_T7_P12ihipStream_tbENKUlT_T0_E_clISt17integral_constantIbLb0EES13_IbLb1EEEEDaSZ_S10_EUlSZ_E_NS1_11comp_targetILNS1_3genE9ELNS1_11target_archE1100ELNS1_3gpuE3ELNS1_3repE0EEENS1_30default_config_static_selectorELNS0_4arch9wavefront6targetE1EEEvT1_
                                        ; -- End function
	.section	.AMDGPU.csdata,"",@progbits
; Kernel info:
; codeLenInByte = 0
; NumSgprs: 6
; NumVgprs: 0
; NumAgprs: 0
; TotalNumVgprs: 0
; ScratchSize: 0
; MemoryBound: 0
; FloatMode: 240
; IeeeMode: 1
; LDSByteSize: 0 bytes/workgroup (compile time only)
; SGPRBlocks: 0
; VGPRBlocks: 0
; NumSGPRsForWavesPerEU: 6
; NumVGPRsForWavesPerEU: 1
; AccumOffset: 4
; Occupancy: 8
; WaveLimiterHint : 0
; COMPUTE_PGM_RSRC2:SCRATCH_EN: 0
; COMPUTE_PGM_RSRC2:USER_SGPR: 2
; COMPUTE_PGM_RSRC2:TRAP_HANDLER: 0
; COMPUTE_PGM_RSRC2:TGID_X_EN: 1
; COMPUTE_PGM_RSRC2:TGID_Y_EN: 0
; COMPUTE_PGM_RSRC2:TGID_Z_EN: 0
; COMPUTE_PGM_RSRC2:TIDIG_COMP_CNT: 0
; COMPUTE_PGM_RSRC3_GFX90A:ACCUM_OFFSET: 0
; COMPUTE_PGM_RSRC3_GFX90A:TG_SPLIT: 0
	.section	.text._ZN7rocprim17ROCPRIM_400000_NS6detail17trampoline_kernelINS0_14default_configENS1_27scan_by_key_config_selectorIssEEZZNS1_16scan_by_key_implILNS1_25lookback_scan_determinismE0ELb0ES3_N6thrust23THRUST_200600_302600_NS6detail15normal_iteratorINS9_10device_ptrIsEEEENS9_18transform_iteratorINS9_6negateIsEESE_NS9_11use_defaultESI_EESE_sNS9_4plusIvEENS9_8equal_toIvEEsEE10hipError_tPvRmT2_T3_T4_T5_mT6_T7_P12ihipStream_tbENKUlT_T0_E_clISt17integral_constantIbLb0EES13_IbLb1EEEEDaSZ_S10_EUlSZ_E_NS1_11comp_targetILNS1_3genE8ELNS1_11target_archE1030ELNS1_3gpuE2ELNS1_3repE0EEENS1_30default_config_static_selectorELNS0_4arch9wavefront6targetE1EEEvT1_,"axG",@progbits,_ZN7rocprim17ROCPRIM_400000_NS6detail17trampoline_kernelINS0_14default_configENS1_27scan_by_key_config_selectorIssEEZZNS1_16scan_by_key_implILNS1_25lookback_scan_determinismE0ELb0ES3_N6thrust23THRUST_200600_302600_NS6detail15normal_iteratorINS9_10device_ptrIsEEEENS9_18transform_iteratorINS9_6negateIsEESE_NS9_11use_defaultESI_EESE_sNS9_4plusIvEENS9_8equal_toIvEEsEE10hipError_tPvRmT2_T3_T4_T5_mT6_T7_P12ihipStream_tbENKUlT_T0_E_clISt17integral_constantIbLb0EES13_IbLb1EEEEDaSZ_S10_EUlSZ_E_NS1_11comp_targetILNS1_3genE8ELNS1_11target_archE1030ELNS1_3gpuE2ELNS1_3repE0EEENS1_30default_config_static_selectorELNS0_4arch9wavefront6targetE1EEEvT1_,comdat
	.protected	_ZN7rocprim17ROCPRIM_400000_NS6detail17trampoline_kernelINS0_14default_configENS1_27scan_by_key_config_selectorIssEEZZNS1_16scan_by_key_implILNS1_25lookback_scan_determinismE0ELb0ES3_N6thrust23THRUST_200600_302600_NS6detail15normal_iteratorINS9_10device_ptrIsEEEENS9_18transform_iteratorINS9_6negateIsEESE_NS9_11use_defaultESI_EESE_sNS9_4plusIvEENS9_8equal_toIvEEsEE10hipError_tPvRmT2_T3_T4_T5_mT6_T7_P12ihipStream_tbENKUlT_T0_E_clISt17integral_constantIbLb0EES13_IbLb1EEEEDaSZ_S10_EUlSZ_E_NS1_11comp_targetILNS1_3genE8ELNS1_11target_archE1030ELNS1_3gpuE2ELNS1_3repE0EEENS1_30default_config_static_selectorELNS0_4arch9wavefront6targetE1EEEvT1_ ; -- Begin function _ZN7rocprim17ROCPRIM_400000_NS6detail17trampoline_kernelINS0_14default_configENS1_27scan_by_key_config_selectorIssEEZZNS1_16scan_by_key_implILNS1_25lookback_scan_determinismE0ELb0ES3_N6thrust23THRUST_200600_302600_NS6detail15normal_iteratorINS9_10device_ptrIsEEEENS9_18transform_iteratorINS9_6negateIsEESE_NS9_11use_defaultESI_EESE_sNS9_4plusIvEENS9_8equal_toIvEEsEE10hipError_tPvRmT2_T3_T4_T5_mT6_T7_P12ihipStream_tbENKUlT_T0_E_clISt17integral_constantIbLb0EES13_IbLb1EEEEDaSZ_S10_EUlSZ_E_NS1_11comp_targetILNS1_3genE8ELNS1_11target_archE1030ELNS1_3gpuE2ELNS1_3repE0EEENS1_30default_config_static_selectorELNS0_4arch9wavefront6targetE1EEEvT1_
	.globl	_ZN7rocprim17ROCPRIM_400000_NS6detail17trampoline_kernelINS0_14default_configENS1_27scan_by_key_config_selectorIssEEZZNS1_16scan_by_key_implILNS1_25lookback_scan_determinismE0ELb0ES3_N6thrust23THRUST_200600_302600_NS6detail15normal_iteratorINS9_10device_ptrIsEEEENS9_18transform_iteratorINS9_6negateIsEESE_NS9_11use_defaultESI_EESE_sNS9_4plusIvEENS9_8equal_toIvEEsEE10hipError_tPvRmT2_T3_T4_T5_mT6_T7_P12ihipStream_tbENKUlT_T0_E_clISt17integral_constantIbLb0EES13_IbLb1EEEEDaSZ_S10_EUlSZ_E_NS1_11comp_targetILNS1_3genE8ELNS1_11target_archE1030ELNS1_3gpuE2ELNS1_3repE0EEENS1_30default_config_static_selectorELNS0_4arch9wavefront6targetE1EEEvT1_
	.p2align	8
	.type	_ZN7rocprim17ROCPRIM_400000_NS6detail17trampoline_kernelINS0_14default_configENS1_27scan_by_key_config_selectorIssEEZZNS1_16scan_by_key_implILNS1_25lookback_scan_determinismE0ELb0ES3_N6thrust23THRUST_200600_302600_NS6detail15normal_iteratorINS9_10device_ptrIsEEEENS9_18transform_iteratorINS9_6negateIsEESE_NS9_11use_defaultESI_EESE_sNS9_4plusIvEENS9_8equal_toIvEEsEE10hipError_tPvRmT2_T3_T4_T5_mT6_T7_P12ihipStream_tbENKUlT_T0_E_clISt17integral_constantIbLb0EES13_IbLb1EEEEDaSZ_S10_EUlSZ_E_NS1_11comp_targetILNS1_3genE8ELNS1_11target_archE1030ELNS1_3gpuE2ELNS1_3repE0EEENS1_30default_config_static_selectorELNS0_4arch9wavefront6targetE1EEEvT1_,@function
_ZN7rocprim17ROCPRIM_400000_NS6detail17trampoline_kernelINS0_14default_configENS1_27scan_by_key_config_selectorIssEEZZNS1_16scan_by_key_implILNS1_25lookback_scan_determinismE0ELb0ES3_N6thrust23THRUST_200600_302600_NS6detail15normal_iteratorINS9_10device_ptrIsEEEENS9_18transform_iteratorINS9_6negateIsEESE_NS9_11use_defaultESI_EESE_sNS9_4plusIvEENS9_8equal_toIvEEsEE10hipError_tPvRmT2_T3_T4_T5_mT6_T7_P12ihipStream_tbENKUlT_T0_E_clISt17integral_constantIbLb0EES13_IbLb1EEEEDaSZ_S10_EUlSZ_E_NS1_11comp_targetILNS1_3genE8ELNS1_11target_archE1030ELNS1_3gpuE2ELNS1_3repE0EEENS1_30default_config_static_selectorELNS0_4arch9wavefront6targetE1EEEvT1_: ; @_ZN7rocprim17ROCPRIM_400000_NS6detail17trampoline_kernelINS0_14default_configENS1_27scan_by_key_config_selectorIssEEZZNS1_16scan_by_key_implILNS1_25lookback_scan_determinismE0ELb0ES3_N6thrust23THRUST_200600_302600_NS6detail15normal_iteratorINS9_10device_ptrIsEEEENS9_18transform_iteratorINS9_6negateIsEESE_NS9_11use_defaultESI_EESE_sNS9_4plusIvEENS9_8equal_toIvEEsEE10hipError_tPvRmT2_T3_T4_T5_mT6_T7_P12ihipStream_tbENKUlT_T0_E_clISt17integral_constantIbLb0EES13_IbLb1EEEEDaSZ_S10_EUlSZ_E_NS1_11comp_targetILNS1_3genE8ELNS1_11target_archE1030ELNS1_3gpuE2ELNS1_3repE0EEENS1_30default_config_static_selectorELNS0_4arch9wavefront6targetE1EEEvT1_
; %bb.0:
	.section	.rodata,"a",@progbits
	.p2align	6, 0x0
	.amdhsa_kernel _ZN7rocprim17ROCPRIM_400000_NS6detail17trampoline_kernelINS0_14default_configENS1_27scan_by_key_config_selectorIssEEZZNS1_16scan_by_key_implILNS1_25lookback_scan_determinismE0ELb0ES3_N6thrust23THRUST_200600_302600_NS6detail15normal_iteratorINS9_10device_ptrIsEEEENS9_18transform_iteratorINS9_6negateIsEESE_NS9_11use_defaultESI_EESE_sNS9_4plusIvEENS9_8equal_toIvEEsEE10hipError_tPvRmT2_T3_T4_T5_mT6_T7_P12ihipStream_tbENKUlT_T0_E_clISt17integral_constantIbLb0EES13_IbLb1EEEEDaSZ_S10_EUlSZ_E_NS1_11comp_targetILNS1_3genE8ELNS1_11target_archE1030ELNS1_3gpuE2ELNS1_3repE0EEENS1_30default_config_static_selectorELNS0_4arch9wavefront6targetE1EEEvT1_
		.amdhsa_group_segment_fixed_size 0
		.amdhsa_private_segment_fixed_size 0
		.amdhsa_kernarg_size 120
		.amdhsa_user_sgpr_count 2
		.amdhsa_user_sgpr_dispatch_ptr 0
		.amdhsa_user_sgpr_queue_ptr 0
		.amdhsa_user_sgpr_kernarg_segment_ptr 1
		.amdhsa_user_sgpr_dispatch_id 0
		.amdhsa_user_sgpr_kernarg_preload_length 0
		.amdhsa_user_sgpr_kernarg_preload_offset 0
		.amdhsa_user_sgpr_private_segment_size 0
		.amdhsa_uses_dynamic_stack 0
		.amdhsa_enable_private_segment 0
		.amdhsa_system_sgpr_workgroup_id_x 1
		.amdhsa_system_sgpr_workgroup_id_y 0
		.amdhsa_system_sgpr_workgroup_id_z 0
		.amdhsa_system_sgpr_workgroup_info 0
		.amdhsa_system_vgpr_workitem_id 0
		.amdhsa_next_free_vgpr 1
		.amdhsa_next_free_sgpr 0
		.amdhsa_accum_offset 4
		.amdhsa_reserve_vcc 0
		.amdhsa_float_round_mode_32 0
		.amdhsa_float_round_mode_16_64 0
		.amdhsa_float_denorm_mode_32 3
		.amdhsa_float_denorm_mode_16_64 3
		.amdhsa_dx10_clamp 1
		.amdhsa_ieee_mode 1
		.amdhsa_fp16_overflow 0
		.amdhsa_tg_split 0
		.amdhsa_exception_fp_ieee_invalid_op 0
		.amdhsa_exception_fp_denorm_src 0
		.amdhsa_exception_fp_ieee_div_zero 0
		.amdhsa_exception_fp_ieee_overflow 0
		.amdhsa_exception_fp_ieee_underflow 0
		.amdhsa_exception_fp_ieee_inexact 0
		.amdhsa_exception_int_div_zero 0
	.end_amdhsa_kernel
	.section	.text._ZN7rocprim17ROCPRIM_400000_NS6detail17trampoline_kernelINS0_14default_configENS1_27scan_by_key_config_selectorIssEEZZNS1_16scan_by_key_implILNS1_25lookback_scan_determinismE0ELb0ES3_N6thrust23THRUST_200600_302600_NS6detail15normal_iteratorINS9_10device_ptrIsEEEENS9_18transform_iteratorINS9_6negateIsEESE_NS9_11use_defaultESI_EESE_sNS9_4plusIvEENS9_8equal_toIvEEsEE10hipError_tPvRmT2_T3_T4_T5_mT6_T7_P12ihipStream_tbENKUlT_T0_E_clISt17integral_constantIbLb0EES13_IbLb1EEEEDaSZ_S10_EUlSZ_E_NS1_11comp_targetILNS1_3genE8ELNS1_11target_archE1030ELNS1_3gpuE2ELNS1_3repE0EEENS1_30default_config_static_selectorELNS0_4arch9wavefront6targetE1EEEvT1_,"axG",@progbits,_ZN7rocprim17ROCPRIM_400000_NS6detail17trampoline_kernelINS0_14default_configENS1_27scan_by_key_config_selectorIssEEZZNS1_16scan_by_key_implILNS1_25lookback_scan_determinismE0ELb0ES3_N6thrust23THRUST_200600_302600_NS6detail15normal_iteratorINS9_10device_ptrIsEEEENS9_18transform_iteratorINS9_6negateIsEESE_NS9_11use_defaultESI_EESE_sNS9_4plusIvEENS9_8equal_toIvEEsEE10hipError_tPvRmT2_T3_T4_T5_mT6_T7_P12ihipStream_tbENKUlT_T0_E_clISt17integral_constantIbLb0EES13_IbLb1EEEEDaSZ_S10_EUlSZ_E_NS1_11comp_targetILNS1_3genE8ELNS1_11target_archE1030ELNS1_3gpuE2ELNS1_3repE0EEENS1_30default_config_static_selectorELNS0_4arch9wavefront6targetE1EEEvT1_,comdat
.Lfunc_end1000:
	.size	_ZN7rocprim17ROCPRIM_400000_NS6detail17trampoline_kernelINS0_14default_configENS1_27scan_by_key_config_selectorIssEEZZNS1_16scan_by_key_implILNS1_25lookback_scan_determinismE0ELb0ES3_N6thrust23THRUST_200600_302600_NS6detail15normal_iteratorINS9_10device_ptrIsEEEENS9_18transform_iteratorINS9_6negateIsEESE_NS9_11use_defaultESI_EESE_sNS9_4plusIvEENS9_8equal_toIvEEsEE10hipError_tPvRmT2_T3_T4_T5_mT6_T7_P12ihipStream_tbENKUlT_T0_E_clISt17integral_constantIbLb0EES13_IbLb1EEEEDaSZ_S10_EUlSZ_E_NS1_11comp_targetILNS1_3genE8ELNS1_11target_archE1030ELNS1_3gpuE2ELNS1_3repE0EEENS1_30default_config_static_selectorELNS0_4arch9wavefront6targetE1EEEvT1_, .Lfunc_end1000-_ZN7rocprim17ROCPRIM_400000_NS6detail17trampoline_kernelINS0_14default_configENS1_27scan_by_key_config_selectorIssEEZZNS1_16scan_by_key_implILNS1_25lookback_scan_determinismE0ELb0ES3_N6thrust23THRUST_200600_302600_NS6detail15normal_iteratorINS9_10device_ptrIsEEEENS9_18transform_iteratorINS9_6negateIsEESE_NS9_11use_defaultESI_EESE_sNS9_4plusIvEENS9_8equal_toIvEEsEE10hipError_tPvRmT2_T3_T4_T5_mT6_T7_P12ihipStream_tbENKUlT_T0_E_clISt17integral_constantIbLb0EES13_IbLb1EEEEDaSZ_S10_EUlSZ_E_NS1_11comp_targetILNS1_3genE8ELNS1_11target_archE1030ELNS1_3gpuE2ELNS1_3repE0EEENS1_30default_config_static_selectorELNS0_4arch9wavefront6targetE1EEEvT1_
                                        ; -- End function
	.section	.AMDGPU.csdata,"",@progbits
; Kernel info:
; codeLenInByte = 0
; NumSgprs: 6
; NumVgprs: 0
; NumAgprs: 0
; TotalNumVgprs: 0
; ScratchSize: 0
; MemoryBound: 0
; FloatMode: 240
; IeeeMode: 1
; LDSByteSize: 0 bytes/workgroup (compile time only)
; SGPRBlocks: 0
; VGPRBlocks: 0
; NumSGPRsForWavesPerEU: 6
; NumVGPRsForWavesPerEU: 1
; AccumOffset: 4
; Occupancy: 8
; WaveLimiterHint : 0
; COMPUTE_PGM_RSRC2:SCRATCH_EN: 0
; COMPUTE_PGM_RSRC2:USER_SGPR: 2
; COMPUTE_PGM_RSRC2:TRAP_HANDLER: 0
; COMPUTE_PGM_RSRC2:TGID_X_EN: 1
; COMPUTE_PGM_RSRC2:TGID_Y_EN: 0
; COMPUTE_PGM_RSRC2:TGID_Z_EN: 0
; COMPUTE_PGM_RSRC2:TIDIG_COMP_CNT: 0
; COMPUTE_PGM_RSRC3_GFX90A:ACCUM_OFFSET: 0
; COMPUTE_PGM_RSRC3_GFX90A:TG_SPLIT: 0
	.section	.text._ZN7rocprim17ROCPRIM_400000_NS6detail30init_device_scan_by_key_kernelINS1_19lookback_scan_stateINS0_5tupleIJibEEELb0ELb1EEEN6thrust23THRUST_200600_302600_NS6detail15normal_iteratorINS8_10device_ptrIxEEEEjNS1_16block_id_wrapperIjLb0EEEEEvT_jjPNSG_10value_typeET0_PNSt15iterator_traitsISJ_E10value_typeEmT1_T2_,"axG",@progbits,_ZN7rocprim17ROCPRIM_400000_NS6detail30init_device_scan_by_key_kernelINS1_19lookback_scan_stateINS0_5tupleIJibEEELb0ELb1EEEN6thrust23THRUST_200600_302600_NS6detail15normal_iteratorINS8_10device_ptrIxEEEEjNS1_16block_id_wrapperIjLb0EEEEEvT_jjPNSG_10value_typeET0_PNSt15iterator_traitsISJ_E10value_typeEmT1_T2_,comdat
	.protected	_ZN7rocprim17ROCPRIM_400000_NS6detail30init_device_scan_by_key_kernelINS1_19lookback_scan_stateINS0_5tupleIJibEEELb0ELb1EEEN6thrust23THRUST_200600_302600_NS6detail15normal_iteratorINS8_10device_ptrIxEEEEjNS1_16block_id_wrapperIjLb0EEEEEvT_jjPNSG_10value_typeET0_PNSt15iterator_traitsISJ_E10value_typeEmT1_T2_ ; -- Begin function _ZN7rocprim17ROCPRIM_400000_NS6detail30init_device_scan_by_key_kernelINS1_19lookback_scan_stateINS0_5tupleIJibEEELb0ELb1EEEN6thrust23THRUST_200600_302600_NS6detail15normal_iteratorINS8_10device_ptrIxEEEEjNS1_16block_id_wrapperIjLb0EEEEEvT_jjPNSG_10value_typeET0_PNSt15iterator_traitsISJ_E10value_typeEmT1_T2_
	.globl	_ZN7rocprim17ROCPRIM_400000_NS6detail30init_device_scan_by_key_kernelINS1_19lookback_scan_stateINS0_5tupleIJibEEELb0ELb1EEEN6thrust23THRUST_200600_302600_NS6detail15normal_iteratorINS8_10device_ptrIxEEEEjNS1_16block_id_wrapperIjLb0EEEEEvT_jjPNSG_10value_typeET0_PNSt15iterator_traitsISJ_E10value_typeEmT1_T2_
	.p2align	8
	.type	_ZN7rocprim17ROCPRIM_400000_NS6detail30init_device_scan_by_key_kernelINS1_19lookback_scan_stateINS0_5tupleIJibEEELb0ELb1EEEN6thrust23THRUST_200600_302600_NS6detail15normal_iteratorINS8_10device_ptrIxEEEEjNS1_16block_id_wrapperIjLb0EEEEEvT_jjPNSG_10value_typeET0_PNSt15iterator_traitsISJ_E10value_typeEmT1_T2_,@function
_ZN7rocprim17ROCPRIM_400000_NS6detail30init_device_scan_by_key_kernelINS1_19lookback_scan_stateINS0_5tupleIJibEEELb0ELb1EEEN6thrust23THRUST_200600_302600_NS6detail15normal_iteratorINS8_10device_ptrIxEEEEjNS1_16block_id_wrapperIjLb0EEEEEvT_jjPNSG_10value_typeET0_PNSt15iterator_traitsISJ_E10value_typeEmT1_T2_: ; @_ZN7rocprim17ROCPRIM_400000_NS6detail30init_device_scan_by_key_kernelINS1_19lookback_scan_stateINS0_5tupleIJibEEELb0ELb1EEEN6thrust23THRUST_200600_302600_NS6detail15normal_iteratorINS8_10device_ptrIxEEEEjNS1_16block_id_wrapperIjLb0EEEEEvT_jjPNSG_10value_typeET0_PNSt15iterator_traitsISJ_E10value_typeEmT1_T2_
; %bb.0:
	s_load_dword s3, s[0:1], 0x44
	s_load_dwordx8 s[4:11], s[0:1], 0x0
	s_load_dword s18, s[0:1], 0x38
	s_waitcnt lgkmcnt(0)
	s_and_b32 s19, s3, 0xffff
	s_mul_i32 s2, s2, s19
	s_cmp_eq_u64 s[8:9], 0
	v_add_u32_e32 v4, s2, v0
	s_cbranch_scc1 .LBB1001_8
; %bb.1:
	s_cmp_lt_u32 s7, s6
	s_cselect_b32 s2, s7, 0
	s_mov_b32 s13, 0
	v_cmp_eq_u32_e32 vcc, s2, v4
	s_and_saveexec_b64 s[2:3], vcc
	s_cbranch_execz .LBB1001_7
; %bb.2:
	s_add_i32 s12, s7, 64
	s_lshl_b64 s[12:13], s[12:13], 4
	s_add_u32 s16, s4, s12
	s_addc_u32 s17, s5, s13
	v_mov_b64_e32 v[0:1], s[16:17]
	;;#ASMSTART
	global_load_dwordx4 v[0:3], v[0:1] off sc1	
s_waitcnt vmcnt(0)
	;;#ASMEND
	v_mov_b32_e32 v7, 0
	v_and_b32_e32 v6, 0xff, v2
	s_mov_b64 s[14:15], 0
	v_cmp_eq_u64_e32 vcc, 0, v[6:7]
	s_and_saveexec_b64 s[12:13], vcc
	s_cbranch_execz .LBB1001_6
; %bb.3:
	v_mov_b64_e32 v[8:9], s[16:17]
.LBB1001_4:                             ; =>This Inner Loop Header: Depth=1
	;;#ASMSTART
	global_load_dwordx4 v[0:3], v[8:9] off sc1	
s_waitcnt vmcnt(0)
	;;#ASMEND
	s_nop 0
	v_and_b32_e32 v6, 0xff, v2
	v_cmp_ne_u64_e32 vcc, 0, v[6:7]
	s_or_b64 s[14:15], vcc, s[14:15]
	s_andn2_b64 exec, exec, s[14:15]
	s_cbranch_execnz .LBB1001_4
; %bb.5:
	s_or_b64 exec, exec, s[14:15]
.LBB1001_6:
	s_or_b64 exec, exec, s[12:13]
	v_mov_b32_e32 v2, 0
	global_store_dword v2, v0, s[8:9]
	global_store_byte v2, v1, s[8:9] offset:4
.LBB1001_7:
	s_or_b64 exec, exec, s[2:3]
.LBB1001_8:
	v_cmp_gt_u32_e32 vcc, s6, v4
	s_and_saveexec_b64 s[2:3], vcc
	s_cbranch_execz .LBB1001_10
; %bb.9:
	v_add_u32_e32 v0, 64, v4
	v_mov_b32_e32 v1, 0
	v_lshl_add_u64 v[6:7], v[0:1], 4, s[4:5]
	v_mov_b32_e32 v0, v1
	v_mov_b32_e32 v2, v1
	;; [unrolled: 1-line block ×3, first 2 shown]
	global_store_dwordx4 v[6:7], v[0:3], off
.LBB1001_10:
	s_or_b64 exec, exec, s[2:3]
	v_cmp_gt_u32_e32 vcc, 64, v4
	v_mov_b32_e32 v5, 0
	s_and_saveexec_b64 s[2:3], vcc
	s_cbranch_execz .LBB1001_12
; %bb.11:
	v_lshl_add_u64 v[6:7], v[4:5], 4, s[4:5]
	v_mov_b32_e32 v2, 0xff
	v_mov_b32_e32 v0, v5
	;; [unrolled: 1-line block ×4, first 2 shown]
	global_store_dwordx4 v[6:7], v[0:3], off
.LBB1001_12:
	s_or_b64 exec, exec, s[2:3]
	s_load_dwordx2 s[2:3], s[0:1], 0x28
	s_waitcnt lgkmcnt(0)
	v_cmp_gt_u64_e32 vcc, s[2:3], v[4:5]
	s_and_saveexec_b64 s[4:5], vcc
	s_cbranch_execz .LBB1001_15
; %bb.13:
	s_load_dword s12, s[0:1], 0x30
	s_load_dwordx2 s[6:7], s[0:1], 0x20
	s_mov_b32 s5, 0
	s_mov_b32 s1, s5
	s_mul_i32 s0, s18, s19
	s_waitcnt lgkmcnt(0)
	s_add_i32 s4, s12, -1
	s_lshl_b64 s[4:5], s[4:5], 3
	s_add_u32 s4, s10, s4
	v_mad_u64_u32 v[0:1], s[8:9], s12, v4, 0
	s_addc_u32 s5, s11, s5
	v_lshl_add_u64 v[0:1], v[0:1], 3, s[4:5]
	s_mul_hi_u32 s5, s12, s0
	s_mul_i32 s4, s12, s0
	s_lshl_b64 s[4:5], s[4:5], 3
	v_lshl_add_u64 v[2:3], v[4:5], 3, s[6:7]
	s_lshl_b64 s[6:7], s[0:1], 3
	s_mov_b64 s[8:9], 0
.LBB1001_14:                            ; =>This Inner Loop Header: Depth=1
	global_load_dwordx2 v[6:7], v[0:1], off
	v_lshl_add_u64 v[4:5], v[4:5], 0, s[0:1]
	v_cmp_le_u64_e32 vcc, s[2:3], v[4:5]
	v_lshl_add_u64 v[0:1], v[0:1], 0, s[4:5]
	s_or_b64 s[8:9], vcc, s[8:9]
	s_waitcnt vmcnt(0)
	global_store_dwordx2 v[2:3], v[6:7], off
	v_lshl_add_u64 v[2:3], v[2:3], 0, s[6:7]
	s_andn2_b64 exec, exec, s[8:9]
	s_cbranch_execnz .LBB1001_14
.LBB1001_15:
	s_endpgm
	.section	.rodata,"a",@progbits
	.p2align	6, 0x0
	.amdhsa_kernel _ZN7rocprim17ROCPRIM_400000_NS6detail30init_device_scan_by_key_kernelINS1_19lookback_scan_stateINS0_5tupleIJibEEELb0ELb1EEEN6thrust23THRUST_200600_302600_NS6detail15normal_iteratorINS8_10device_ptrIxEEEEjNS1_16block_id_wrapperIjLb0EEEEEvT_jjPNSG_10value_typeET0_PNSt15iterator_traitsISJ_E10value_typeEmT1_T2_
		.amdhsa_group_segment_fixed_size 0
		.amdhsa_private_segment_fixed_size 0
		.amdhsa_kernarg_size 312
		.amdhsa_user_sgpr_count 2
		.amdhsa_user_sgpr_dispatch_ptr 0
		.amdhsa_user_sgpr_queue_ptr 0
		.amdhsa_user_sgpr_kernarg_segment_ptr 1
		.amdhsa_user_sgpr_dispatch_id 0
		.amdhsa_user_sgpr_kernarg_preload_length 0
		.amdhsa_user_sgpr_kernarg_preload_offset 0
		.amdhsa_user_sgpr_private_segment_size 0
		.amdhsa_uses_dynamic_stack 0
		.amdhsa_enable_private_segment 0
		.amdhsa_system_sgpr_workgroup_id_x 1
		.amdhsa_system_sgpr_workgroup_id_y 0
		.amdhsa_system_sgpr_workgroup_id_z 0
		.amdhsa_system_sgpr_workgroup_info 0
		.amdhsa_system_vgpr_workitem_id 0
		.amdhsa_next_free_vgpr 10
		.amdhsa_next_free_sgpr 20
		.amdhsa_accum_offset 12
		.amdhsa_reserve_vcc 1
		.amdhsa_float_round_mode_32 0
		.amdhsa_float_round_mode_16_64 0
		.amdhsa_float_denorm_mode_32 3
		.amdhsa_float_denorm_mode_16_64 3
		.amdhsa_dx10_clamp 1
		.amdhsa_ieee_mode 1
		.amdhsa_fp16_overflow 0
		.amdhsa_tg_split 0
		.amdhsa_exception_fp_ieee_invalid_op 0
		.amdhsa_exception_fp_denorm_src 0
		.amdhsa_exception_fp_ieee_div_zero 0
		.amdhsa_exception_fp_ieee_overflow 0
		.amdhsa_exception_fp_ieee_underflow 0
		.amdhsa_exception_fp_ieee_inexact 0
		.amdhsa_exception_int_div_zero 0
	.end_amdhsa_kernel
	.section	.text._ZN7rocprim17ROCPRIM_400000_NS6detail30init_device_scan_by_key_kernelINS1_19lookback_scan_stateINS0_5tupleIJibEEELb0ELb1EEEN6thrust23THRUST_200600_302600_NS6detail15normal_iteratorINS8_10device_ptrIxEEEEjNS1_16block_id_wrapperIjLb0EEEEEvT_jjPNSG_10value_typeET0_PNSt15iterator_traitsISJ_E10value_typeEmT1_T2_,"axG",@progbits,_ZN7rocprim17ROCPRIM_400000_NS6detail30init_device_scan_by_key_kernelINS1_19lookback_scan_stateINS0_5tupleIJibEEELb0ELb1EEEN6thrust23THRUST_200600_302600_NS6detail15normal_iteratorINS8_10device_ptrIxEEEEjNS1_16block_id_wrapperIjLb0EEEEEvT_jjPNSG_10value_typeET0_PNSt15iterator_traitsISJ_E10value_typeEmT1_T2_,comdat
.Lfunc_end1001:
	.size	_ZN7rocprim17ROCPRIM_400000_NS6detail30init_device_scan_by_key_kernelINS1_19lookback_scan_stateINS0_5tupleIJibEEELb0ELb1EEEN6thrust23THRUST_200600_302600_NS6detail15normal_iteratorINS8_10device_ptrIxEEEEjNS1_16block_id_wrapperIjLb0EEEEEvT_jjPNSG_10value_typeET0_PNSt15iterator_traitsISJ_E10value_typeEmT1_T2_, .Lfunc_end1001-_ZN7rocprim17ROCPRIM_400000_NS6detail30init_device_scan_by_key_kernelINS1_19lookback_scan_stateINS0_5tupleIJibEEELb0ELb1EEEN6thrust23THRUST_200600_302600_NS6detail15normal_iteratorINS8_10device_ptrIxEEEEjNS1_16block_id_wrapperIjLb0EEEEEvT_jjPNSG_10value_typeET0_PNSt15iterator_traitsISJ_E10value_typeEmT1_T2_
                                        ; -- End function
	.section	.AMDGPU.csdata,"",@progbits
; Kernel info:
; codeLenInByte = 508
; NumSgprs: 26
; NumVgprs: 10
; NumAgprs: 0
; TotalNumVgprs: 10
; ScratchSize: 0
; MemoryBound: 0
; FloatMode: 240
; IeeeMode: 1
; LDSByteSize: 0 bytes/workgroup (compile time only)
; SGPRBlocks: 3
; VGPRBlocks: 1
; NumSGPRsForWavesPerEU: 26
; NumVGPRsForWavesPerEU: 10
; AccumOffset: 12
; Occupancy: 8
; WaveLimiterHint : 0
; COMPUTE_PGM_RSRC2:SCRATCH_EN: 0
; COMPUTE_PGM_RSRC2:USER_SGPR: 2
; COMPUTE_PGM_RSRC2:TRAP_HANDLER: 0
; COMPUTE_PGM_RSRC2:TGID_X_EN: 1
; COMPUTE_PGM_RSRC2:TGID_Y_EN: 0
; COMPUTE_PGM_RSRC2:TGID_Z_EN: 0
; COMPUTE_PGM_RSRC2:TIDIG_COMP_CNT: 0
; COMPUTE_PGM_RSRC3_GFX90A:ACCUM_OFFSET: 2
; COMPUTE_PGM_RSRC3_GFX90A:TG_SPLIT: 0
	.section	.text._ZN7rocprim17ROCPRIM_400000_NS6detail17trampoline_kernelINS0_14default_configENS1_27scan_by_key_config_selectorIxiEEZZNS1_16scan_by_key_implILNS1_25lookback_scan_determinismE0ELb1ES3_N6thrust23THRUST_200600_302600_NS6detail15normal_iteratorINS9_10device_ptrIxEEEESE_SE_iNS9_4plusIvEENS9_8equal_toIvEEiEE10hipError_tPvRmT2_T3_T4_T5_mT6_T7_P12ihipStream_tbENKUlT_T0_E_clISt17integral_constantIbLb0EESZ_EEDaSU_SV_EUlSU_E_NS1_11comp_targetILNS1_3genE0ELNS1_11target_archE4294967295ELNS1_3gpuE0ELNS1_3repE0EEENS1_30default_config_static_selectorELNS0_4arch9wavefront6targetE1EEEvT1_,"axG",@progbits,_ZN7rocprim17ROCPRIM_400000_NS6detail17trampoline_kernelINS0_14default_configENS1_27scan_by_key_config_selectorIxiEEZZNS1_16scan_by_key_implILNS1_25lookback_scan_determinismE0ELb1ES3_N6thrust23THRUST_200600_302600_NS6detail15normal_iteratorINS9_10device_ptrIxEEEESE_SE_iNS9_4plusIvEENS9_8equal_toIvEEiEE10hipError_tPvRmT2_T3_T4_T5_mT6_T7_P12ihipStream_tbENKUlT_T0_E_clISt17integral_constantIbLb0EESZ_EEDaSU_SV_EUlSU_E_NS1_11comp_targetILNS1_3genE0ELNS1_11target_archE4294967295ELNS1_3gpuE0ELNS1_3repE0EEENS1_30default_config_static_selectorELNS0_4arch9wavefront6targetE1EEEvT1_,comdat
	.protected	_ZN7rocprim17ROCPRIM_400000_NS6detail17trampoline_kernelINS0_14default_configENS1_27scan_by_key_config_selectorIxiEEZZNS1_16scan_by_key_implILNS1_25lookback_scan_determinismE0ELb1ES3_N6thrust23THRUST_200600_302600_NS6detail15normal_iteratorINS9_10device_ptrIxEEEESE_SE_iNS9_4plusIvEENS9_8equal_toIvEEiEE10hipError_tPvRmT2_T3_T4_T5_mT6_T7_P12ihipStream_tbENKUlT_T0_E_clISt17integral_constantIbLb0EESZ_EEDaSU_SV_EUlSU_E_NS1_11comp_targetILNS1_3genE0ELNS1_11target_archE4294967295ELNS1_3gpuE0ELNS1_3repE0EEENS1_30default_config_static_selectorELNS0_4arch9wavefront6targetE1EEEvT1_ ; -- Begin function _ZN7rocprim17ROCPRIM_400000_NS6detail17trampoline_kernelINS0_14default_configENS1_27scan_by_key_config_selectorIxiEEZZNS1_16scan_by_key_implILNS1_25lookback_scan_determinismE0ELb1ES3_N6thrust23THRUST_200600_302600_NS6detail15normal_iteratorINS9_10device_ptrIxEEEESE_SE_iNS9_4plusIvEENS9_8equal_toIvEEiEE10hipError_tPvRmT2_T3_T4_T5_mT6_T7_P12ihipStream_tbENKUlT_T0_E_clISt17integral_constantIbLb0EESZ_EEDaSU_SV_EUlSU_E_NS1_11comp_targetILNS1_3genE0ELNS1_11target_archE4294967295ELNS1_3gpuE0ELNS1_3repE0EEENS1_30default_config_static_selectorELNS0_4arch9wavefront6targetE1EEEvT1_
	.globl	_ZN7rocprim17ROCPRIM_400000_NS6detail17trampoline_kernelINS0_14default_configENS1_27scan_by_key_config_selectorIxiEEZZNS1_16scan_by_key_implILNS1_25lookback_scan_determinismE0ELb1ES3_N6thrust23THRUST_200600_302600_NS6detail15normal_iteratorINS9_10device_ptrIxEEEESE_SE_iNS9_4plusIvEENS9_8equal_toIvEEiEE10hipError_tPvRmT2_T3_T4_T5_mT6_T7_P12ihipStream_tbENKUlT_T0_E_clISt17integral_constantIbLb0EESZ_EEDaSU_SV_EUlSU_E_NS1_11comp_targetILNS1_3genE0ELNS1_11target_archE4294967295ELNS1_3gpuE0ELNS1_3repE0EEENS1_30default_config_static_selectorELNS0_4arch9wavefront6targetE1EEEvT1_
	.p2align	8
	.type	_ZN7rocprim17ROCPRIM_400000_NS6detail17trampoline_kernelINS0_14default_configENS1_27scan_by_key_config_selectorIxiEEZZNS1_16scan_by_key_implILNS1_25lookback_scan_determinismE0ELb1ES3_N6thrust23THRUST_200600_302600_NS6detail15normal_iteratorINS9_10device_ptrIxEEEESE_SE_iNS9_4plusIvEENS9_8equal_toIvEEiEE10hipError_tPvRmT2_T3_T4_T5_mT6_T7_P12ihipStream_tbENKUlT_T0_E_clISt17integral_constantIbLb0EESZ_EEDaSU_SV_EUlSU_E_NS1_11comp_targetILNS1_3genE0ELNS1_11target_archE4294967295ELNS1_3gpuE0ELNS1_3repE0EEENS1_30default_config_static_selectorELNS0_4arch9wavefront6targetE1EEEvT1_,@function
_ZN7rocprim17ROCPRIM_400000_NS6detail17trampoline_kernelINS0_14default_configENS1_27scan_by_key_config_selectorIxiEEZZNS1_16scan_by_key_implILNS1_25lookback_scan_determinismE0ELb1ES3_N6thrust23THRUST_200600_302600_NS6detail15normal_iteratorINS9_10device_ptrIxEEEESE_SE_iNS9_4plusIvEENS9_8equal_toIvEEiEE10hipError_tPvRmT2_T3_T4_T5_mT6_T7_P12ihipStream_tbENKUlT_T0_E_clISt17integral_constantIbLb0EESZ_EEDaSU_SV_EUlSU_E_NS1_11comp_targetILNS1_3genE0ELNS1_11target_archE4294967295ELNS1_3gpuE0ELNS1_3repE0EEENS1_30default_config_static_selectorELNS0_4arch9wavefront6targetE1EEEvT1_: ; @_ZN7rocprim17ROCPRIM_400000_NS6detail17trampoline_kernelINS0_14default_configENS1_27scan_by_key_config_selectorIxiEEZZNS1_16scan_by_key_implILNS1_25lookback_scan_determinismE0ELb1ES3_N6thrust23THRUST_200600_302600_NS6detail15normal_iteratorINS9_10device_ptrIxEEEESE_SE_iNS9_4plusIvEENS9_8equal_toIvEEiEE10hipError_tPvRmT2_T3_T4_T5_mT6_T7_P12ihipStream_tbENKUlT_T0_E_clISt17integral_constantIbLb0EESZ_EEDaSU_SV_EUlSU_E_NS1_11comp_targetILNS1_3genE0ELNS1_11target_archE4294967295ELNS1_3gpuE0ELNS1_3repE0EEENS1_30default_config_static_selectorELNS0_4arch9wavefront6targetE1EEEvT1_
; %bb.0:
	.section	.rodata,"a",@progbits
	.p2align	6, 0x0
	.amdhsa_kernel _ZN7rocprim17ROCPRIM_400000_NS6detail17trampoline_kernelINS0_14default_configENS1_27scan_by_key_config_selectorIxiEEZZNS1_16scan_by_key_implILNS1_25lookback_scan_determinismE0ELb1ES3_N6thrust23THRUST_200600_302600_NS6detail15normal_iteratorINS9_10device_ptrIxEEEESE_SE_iNS9_4plusIvEENS9_8equal_toIvEEiEE10hipError_tPvRmT2_T3_T4_T5_mT6_T7_P12ihipStream_tbENKUlT_T0_E_clISt17integral_constantIbLb0EESZ_EEDaSU_SV_EUlSU_E_NS1_11comp_targetILNS1_3genE0ELNS1_11target_archE4294967295ELNS1_3gpuE0ELNS1_3repE0EEENS1_30default_config_static_selectorELNS0_4arch9wavefront6targetE1EEEvT1_
		.amdhsa_group_segment_fixed_size 0
		.amdhsa_private_segment_fixed_size 0
		.amdhsa_kernarg_size 112
		.amdhsa_user_sgpr_count 2
		.amdhsa_user_sgpr_dispatch_ptr 0
		.amdhsa_user_sgpr_queue_ptr 0
		.amdhsa_user_sgpr_kernarg_segment_ptr 1
		.amdhsa_user_sgpr_dispatch_id 0
		.amdhsa_user_sgpr_kernarg_preload_length 0
		.amdhsa_user_sgpr_kernarg_preload_offset 0
		.amdhsa_user_sgpr_private_segment_size 0
		.amdhsa_uses_dynamic_stack 0
		.amdhsa_enable_private_segment 0
		.amdhsa_system_sgpr_workgroup_id_x 1
		.amdhsa_system_sgpr_workgroup_id_y 0
		.amdhsa_system_sgpr_workgroup_id_z 0
		.amdhsa_system_sgpr_workgroup_info 0
		.amdhsa_system_vgpr_workitem_id 0
		.amdhsa_next_free_vgpr 1
		.amdhsa_next_free_sgpr 0
		.amdhsa_accum_offset 4
		.amdhsa_reserve_vcc 0
		.amdhsa_float_round_mode_32 0
		.amdhsa_float_round_mode_16_64 0
		.amdhsa_float_denorm_mode_32 3
		.amdhsa_float_denorm_mode_16_64 3
		.amdhsa_dx10_clamp 1
		.amdhsa_ieee_mode 1
		.amdhsa_fp16_overflow 0
		.amdhsa_tg_split 0
		.amdhsa_exception_fp_ieee_invalid_op 0
		.amdhsa_exception_fp_denorm_src 0
		.amdhsa_exception_fp_ieee_div_zero 0
		.amdhsa_exception_fp_ieee_overflow 0
		.amdhsa_exception_fp_ieee_underflow 0
		.amdhsa_exception_fp_ieee_inexact 0
		.amdhsa_exception_int_div_zero 0
	.end_amdhsa_kernel
	.section	.text._ZN7rocprim17ROCPRIM_400000_NS6detail17trampoline_kernelINS0_14default_configENS1_27scan_by_key_config_selectorIxiEEZZNS1_16scan_by_key_implILNS1_25lookback_scan_determinismE0ELb1ES3_N6thrust23THRUST_200600_302600_NS6detail15normal_iteratorINS9_10device_ptrIxEEEESE_SE_iNS9_4plusIvEENS9_8equal_toIvEEiEE10hipError_tPvRmT2_T3_T4_T5_mT6_T7_P12ihipStream_tbENKUlT_T0_E_clISt17integral_constantIbLb0EESZ_EEDaSU_SV_EUlSU_E_NS1_11comp_targetILNS1_3genE0ELNS1_11target_archE4294967295ELNS1_3gpuE0ELNS1_3repE0EEENS1_30default_config_static_selectorELNS0_4arch9wavefront6targetE1EEEvT1_,"axG",@progbits,_ZN7rocprim17ROCPRIM_400000_NS6detail17trampoline_kernelINS0_14default_configENS1_27scan_by_key_config_selectorIxiEEZZNS1_16scan_by_key_implILNS1_25lookback_scan_determinismE0ELb1ES3_N6thrust23THRUST_200600_302600_NS6detail15normal_iteratorINS9_10device_ptrIxEEEESE_SE_iNS9_4plusIvEENS9_8equal_toIvEEiEE10hipError_tPvRmT2_T3_T4_T5_mT6_T7_P12ihipStream_tbENKUlT_T0_E_clISt17integral_constantIbLb0EESZ_EEDaSU_SV_EUlSU_E_NS1_11comp_targetILNS1_3genE0ELNS1_11target_archE4294967295ELNS1_3gpuE0ELNS1_3repE0EEENS1_30default_config_static_selectorELNS0_4arch9wavefront6targetE1EEEvT1_,comdat
.Lfunc_end1002:
	.size	_ZN7rocprim17ROCPRIM_400000_NS6detail17trampoline_kernelINS0_14default_configENS1_27scan_by_key_config_selectorIxiEEZZNS1_16scan_by_key_implILNS1_25lookback_scan_determinismE0ELb1ES3_N6thrust23THRUST_200600_302600_NS6detail15normal_iteratorINS9_10device_ptrIxEEEESE_SE_iNS9_4plusIvEENS9_8equal_toIvEEiEE10hipError_tPvRmT2_T3_T4_T5_mT6_T7_P12ihipStream_tbENKUlT_T0_E_clISt17integral_constantIbLb0EESZ_EEDaSU_SV_EUlSU_E_NS1_11comp_targetILNS1_3genE0ELNS1_11target_archE4294967295ELNS1_3gpuE0ELNS1_3repE0EEENS1_30default_config_static_selectorELNS0_4arch9wavefront6targetE1EEEvT1_, .Lfunc_end1002-_ZN7rocprim17ROCPRIM_400000_NS6detail17trampoline_kernelINS0_14default_configENS1_27scan_by_key_config_selectorIxiEEZZNS1_16scan_by_key_implILNS1_25lookback_scan_determinismE0ELb1ES3_N6thrust23THRUST_200600_302600_NS6detail15normal_iteratorINS9_10device_ptrIxEEEESE_SE_iNS9_4plusIvEENS9_8equal_toIvEEiEE10hipError_tPvRmT2_T3_T4_T5_mT6_T7_P12ihipStream_tbENKUlT_T0_E_clISt17integral_constantIbLb0EESZ_EEDaSU_SV_EUlSU_E_NS1_11comp_targetILNS1_3genE0ELNS1_11target_archE4294967295ELNS1_3gpuE0ELNS1_3repE0EEENS1_30default_config_static_selectorELNS0_4arch9wavefront6targetE1EEEvT1_
                                        ; -- End function
	.section	.AMDGPU.csdata,"",@progbits
; Kernel info:
; codeLenInByte = 0
; NumSgprs: 6
; NumVgprs: 0
; NumAgprs: 0
; TotalNumVgprs: 0
; ScratchSize: 0
; MemoryBound: 0
; FloatMode: 240
; IeeeMode: 1
; LDSByteSize: 0 bytes/workgroup (compile time only)
; SGPRBlocks: 0
; VGPRBlocks: 0
; NumSGPRsForWavesPerEU: 6
; NumVGPRsForWavesPerEU: 1
; AccumOffset: 4
; Occupancy: 8
; WaveLimiterHint : 0
; COMPUTE_PGM_RSRC2:SCRATCH_EN: 0
; COMPUTE_PGM_RSRC2:USER_SGPR: 2
; COMPUTE_PGM_RSRC2:TRAP_HANDLER: 0
; COMPUTE_PGM_RSRC2:TGID_X_EN: 1
; COMPUTE_PGM_RSRC2:TGID_Y_EN: 0
; COMPUTE_PGM_RSRC2:TGID_Z_EN: 0
; COMPUTE_PGM_RSRC2:TIDIG_COMP_CNT: 0
; COMPUTE_PGM_RSRC3_GFX90A:ACCUM_OFFSET: 0
; COMPUTE_PGM_RSRC3_GFX90A:TG_SPLIT: 0
	.section	.text._ZN7rocprim17ROCPRIM_400000_NS6detail17trampoline_kernelINS0_14default_configENS1_27scan_by_key_config_selectorIxiEEZZNS1_16scan_by_key_implILNS1_25lookback_scan_determinismE0ELb1ES3_N6thrust23THRUST_200600_302600_NS6detail15normal_iteratorINS9_10device_ptrIxEEEESE_SE_iNS9_4plusIvEENS9_8equal_toIvEEiEE10hipError_tPvRmT2_T3_T4_T5_mT6_T7_P12ihipStream_tbENKUlT_T0_E_clISt17integral_constantIbLb0EESZ_EEDaSU_SV_EUlSU_E_NS1_11comp_targetILNS1_3genE10ELNS1_11target_archE1201ELNS1_3gpuE5ELNS1_3repE0EEENS1_30default_config_static_selectorELNS0_4arch9wavefront6targetE1EEEvT1_,"axG",@progbits,_ZN7rocprim17ROCPRIM_400000_NS6detail17trampoline_kernelINS0_14default_configENS1_27scan_by_key_config_selectorIxiEEZZNS1_16scan_by_key_implILNS1_25lookback_scan_determinismE0ELb1ES3_N6thrust23THRUST_200600_302600_NS6detail15normal_iteratorINS9_10device_ptrIxEEEESE_SE_iNS9_4plusIvEENS9_8equal_toIvEEiEE10hipError_tPvRmT2_T3_T4_T5_mT6_T7_P12ihipStream_tbENKUlT_T0_E_clISt17integral_constantIbLb0EESZ_EEDaSU_SV_EUlSU_E_NS1_11comp_targetILNS1_3genE10ELNS1_11target_archE1201ELNS1_3gpuE5ELNS1_3repE0EEENS1_30default_config_static_selectorELNS0_4arch9wavefront6targetE1EEEvT1_,comdat
	.protected	_ZN7rocprim17ROCPRIM_400000_NS6detail17trampoline_kernelINS0_14default_configENS1_27scan_by_key_config_selectorIxiEEZZNS1_16scan_by_key_implILNS1_25lookback_scan_determinismE0ELb1ES3_N6thrust23THRUST_200600_302600_NS6detail15normal_iteratorINS9_10device_ptrIxEEEESE_SE_iNS9_4plusIvEENS9_8equal_toIvEEiEE10hipError_tPvRmT2_T3_T4_T5_mT6_T7_P12ihipStream_tbENKUlT_T0_E_clISt17integral_constantIbLb0EESZ_EEDaSU_SV_EUlSU_E_NS1_11comp_targetILNS1_3genE10ELNS1_11target_archE1201ELNS1_3gpuE5ELNS1_3repE0EEENS1_30default_config_static_selectorELNS0_4arch9wavefront6targetE1EEEvT1_ ; -- Begin function _ZN7rocprim17ROCPRIM_400000_NS6detail17trampoline_kernelINS0_14default_configENS1_27scan_by_key_config_selectorIxiEEZZNS1_16scan_by_key_implILNS1_25lookback_scan_determinismE0ELb1ES3_N6thrust23THRUST_200600_302600_NS6detail15normal_iteratorINS9_10device_ptrIxEEEESE_SE_iNS9_4plusIvEENS9_8equal_toIvEEiEE10hipError_tPvRmT2_T3_T4_T5_mT6_T7_P12ihipStream_tbENKUlT_T0_E_clISt17integral_constantIbLb0EESZ_EEDaSU_SV_EUlSU_E_NS1_11comp_targetILNS1_3genE10ELNS1_11target_archE1201ELNS1_3gpuE5ELNS1_3repE0EEENS1_30default_config_static_selectorELNS0_4arch9wavefront6targetE1EEEvT1_
	.globl	_ZN7rocprim17ROCPRIM_400000_NS6detail17trampoline_kernelINS0_14default_configENS1_27scan_by_key_config_selectorIxiEEZZNS1_16scan_by_key_implILNS1_25lookback_scan_determinismE0ELb1ES3_N6thrust23THRUST_200600_302600_NS6detail15normal_iteratorINS9_10device_ptrIxEEEESE_SE_iNS9_4plusIvEENS9_8equal_toIvEEiEE10hipError_tPvRmT2_T3_T4_T5_mT6_T7_P12ihipStream_tbENKUlT_T0_E_clISt17integral_constantIbLb0EESZ_EEDaSU_SV_EUlSU_E_NS1_11comp_targetILNS1_3genE10ELNS1_11target_archE1201ELNS1_3gpuE5ELNS1_3repE0EEENS1_30default_config_static_selectorELNS0_4arch9wavefront6targetE1EEEvT1_
	.p2align	8
	.type	_ZN7rocprim17ROCPRIM_400000_NS6detail17trampoline_kernelINS0_14default_configENS1_27scan_by_key_config_selectorIxiEEZZNS1_16scan_by_key_implILNS1_25lookback_scan_determinismE0ELb1ES3_N6thrust23THRUST_200600_302600_NS6detail15normal_iteratorINS9_10device_ptrIxEEEESE_SE_iNS9_4plusIvEENS9_8equal_toIvEEiEE10hipError_tPvRmT2_T3_T4_T5_mT6_T7_P12ihipStream_tbENKUlT_T0_E_clISt17integral_constantIbLb0EESZ_EEDaSU_SV_EUlSU_E_NS1_11comp_targetILNS1_3genE10ELNS1_11target_archE1201ELNS1_3gpuE5ELNS1_3repE0EEENS1_30default_config_static_selectorELNS0_4arch9wavefront6targetE1EEEvT1_,@function
_ZN7rocprim17ROCPRIM_400000_NS6detail17trampoline_kernelINS0_14default_configENS1_27scan_by_key_config_selectorIxiEEZZNS1_16scan_by_key_implILNS1_25lookback_scan_determinismE0ELb1ES3_N6thrust23THRUST_200600_302600_NS6detail15normal_iteratorINS9_10device_ptrIxEEEESE_SE_iNS9_4plusIvEENS9_8equal_toIvEEiEE10hipError_tPvRmT2_T3_T4_T5_mT6_T7_P12ihipStream_tbENKUlT_T0_E_clISt17integral_constantIbLb0EESZ_EEDaSU_SV_EUlSU_E_NS1_11comp_targetILNS1_3genE10ELNS1_11target_archE1201ELNS1_3gpuE5ELNS1_3repE0EEENS1_30default_config_static_selectorELNS0_4arch9wavefront6targetE1EEEvT1_: ; @_ZN7rocprim17ROCPRIM_400000_NS6detail17trampoline_kernelINS0_14default_configENS1_27scan_by_key_config_selectorIxiEEZZNS1_16scan_by_key_implILNS1_25lookback_scan_determinismE0ELb1ES3_N6thrust23THRUST_200600_302600_NS6detail15normal_iteratorINS9_10device_ptrIxEEEESE_SE_iNS9_4plusIvEENS9_8equal_toIvEEiEE10hipError_tPvRmT2_T3_T4_T5_mT6_T7_P12ihipStream_tbENKUlT_T0_E_clISt17integral_constantIbLb0EESZ_EEDaSU_SV_EUlSU_E_NS1_11comp_targetILNS1_3genE10ELNS1_11target_archE1201ELNS1_3gpuE5ELNS1_3repE0EEENS1_30default_config_static_selectorELNS0_4arch9wavefront6targetE1EEEvT1_
; %bb.0:
	.section	.rodata,"a",@progbits
	.p2align	6, 0x0
	.amdhsa_kernel _ZN7rocprim17ROCPRIM_400000_NS6detail17trampoline_kernelINS0_14default_configENS1_27scan_by_key_config_selectorIxiEEZZNS1_16scan_by_key_implILNS1_25lookback_scan_determinismE0ELb1ES3_N6thrust23THRUST_200600_302600_NS6detail15normal_iteratorINS9_10device_ptrIxEEEESE_SE_iNS9_4plusIvEENS9_8equal_toIvEEiEE10hipError_tPvRmT2_T3_T4_T5_mT6_T7_P12ihipStream_tbENKUlT_T0_E_clISt17integral_constantIbLb0EESZ_EEDaSU_SV_EUlSU_E_NS1_11comp_targetILNS1_3genE10ELNS1_11target_archE1201ELNS1_3gpuE5ELNS1_3repE0EEENS1_30default_config_static_selectorELNS0_4arch9wavefront6targetE1EEEvT1_
		.amdhsa_group_segment_fixed_size 0
		.amdhsa_private_segment_fixed_size 0
		.amdhsa_kernarg_size 112
		.amdhsa_user_sgpr_count 2
		.amdhsa_user_sgpr_dispatch_ptr 0
		.amdhsa_user_sgpr_queue_ptr 0
		.amdhsa_user_sgpr_kernarg_segment_ptr 1
		.amdhsa_user_sgpr_dispatch_id 0
		.amdhsa_user_sgpr_kernarg_preload_length 0
		.amdhsa_user_sgpr_kernarg_preload_offset 0
		.amdhsa_user_sgpr_private_segment_size 0
		.amdhsa_uses_dynamic_stack 0
		.amdhsa_enable_private_segment 0
		.amdhsa_system_sgpr_workgroup_id_x 1
		.amdhsa_system_sgpr_workgroup_id_y 0
		.amdhsa_system_sgpr_workgroup_id_z 0
		.amdhsa_system_sgpr_workgroup_info 0
		.amdhsa_system_vgpr_workitem_id 0
		.amdhsa_next_free_vgpr 1
		.amdhsa_next_free_sgpr 0
		.amdhsa_accum_offset 4
		.amdhsa_reserve_vcc 0
		.amdhsa_float_round_mode_32 0
		.amdhsa_float_round_mode_16_64 0
		.amdhsa_float_denorm_mode_32 3
		.amdhsa_float_denorm_mode_16_64 3
		.amdhsa_dx10_clamp 1
		.amdhsa_ieee_mode 1
		.amdhsa_fp16_overflow 0
		.amdhsa_tg_split 0
		.amdhsa_exception_fp_ieee_invalid_op 0
		.amdhsa_exception_fp_denorm_src 0
		.amdhsa_exception_fp_ieee_div_zero 0
		.amdhsa_exception_fp_ieee_overflow 0
		.amdhsa_exception_fp_ieee_underflow 0
		.amdhsa_exception_fp_ieee_inexact 0
		.amdhsa_exception_int_div_zero 0
	.end_amdhsa_kernel
	.section	.text._ZN7rocprim17ROCPRIM_400000_NS6detail17trampoline_kernelINS0_14default_configENS1_27scan_by_key_config_selectorIxiEEZZNS1_16scan_by_key_implILNS1_25lookback_scan_determinismE0ELb1ES3_N6thrust23THRUST_200600_302600_NS6detail15normal_iteratorINS9_10device_ptrIxEEEESE_SE_iNS9_4plusIvEENS9_8equal_toIvEEiEE10hipError_tPvRmT2_T3_T4_T5_mT6_T7_P12ihipStream_tbENKUlT_T0_E_clISt17integral_constantIbLb0EESZ_EEDaSU_SV_EUlSU_E_NS1_11comp_targetILNS1_3genE10ELNS1_11target_archE1201ELNS1_3gpuE5ELNS1_3repE0EEENS1_30default_config_static_selectorELNS0_4arch9wavefront6targetE1EEEvT1_,"axG",@progbits,_ZN7rocprim17ROCPRIM_400000_NS6detail17trampoline_kernelINS0_14default_configENS1_27scan_by_key_config_selectorIxiEEZZNS1_16scan_by_key_implILNS1_25lookback_scan_determinismE0ELb1ES3_N6thrust23THRUST_200600_302600_NS6detail15normal_iteratorINS9_10device_ptrIxEEEESE_SE_iNS9_4plusIvEENS9_8equal_toIvEEiEE10hipError_tPvRmT2_T3_T4_T5_mT6_T7_P12ihipStream_tbENKUlT_T0_E_clISt17integral_constantIbLb0EESZ_EEDaSU_SV_EUlSU_E_NS1_11comp_targetILNS1_3genE10ELNS1_11target_archE1201ELNS1_3gpuE5ELNS1_3repE0EEENS1_30default_config_static_selectorELNS0_4arch9wavefront6targetE1EEEvT1_,comdat
.Lfunc_end1003:
	.size	_ZN7rocprim17ROCPRIM_400000_NS6detail17trampoline_kernelINS0_14default_configENS1_27scan_by_key_config_selectorIxiEEZZNS1_16scan_by_key_implILNS1_25lookback_scan_determinismE0ELb1ES3_N6thrust23THRUST_200600_302600_NS6detail15normal_iteratorINS9_10device_ptrIxEEEESE_SE_iNS9_4plusIvEENS9_8equal_toIvEEiEE10hipError_tPvRmT2_T3_T4_T5_mT6_T7_P12ihipStream_tbENKUlT_T0_E_clISt17integral_constantIbLb0EESZ_EEDaSU_SV_EUlSU_E_NS1_11comp_targetILNS1_3genE10ELNS1_11target_archE1201ELNS1_3gpuE5ELNS1_3repE0EEENS1_30default_config_static_selectorELNS0_4arch9wavefront6targetE1EEEvT1_, .Lfunc_end1003-_ZN7rocprim17ROCPRIM_400000_NS6detail17trampoline_kernelINS0_14default_configENS1_27scan_by_key_config_selectorIxiEEZZNS1_16scan_by_key_implILNS1_25lookback_scan_determinismE0ELb1ES3_N6thrust23THRUST_200600_302600_NS6detail15normal_iteratorINS9_10device_ptrIxEEEESE_SE_iNS9_4plusIvEENS9_8equal_toIvEEiEE10hipError_tPvRmT2_T3_T4_T5_mT6_T7_P12ihipStream_tbENKUlT_T0_E_clISt17integral_constantIbLb0EESZ_EEDaSU_SV_EUlSU_E_NS1_11comp_targetILNS1_3genE10ELNS1_11target_archE1201ELNS1_3gpuE5ELNS1_3repE0EEENS1_30default_config_static_selectorELNS0_4arch9wavefront6targetE1EEEvT1_
                                        ; -- End function
	.section	.AMDGPU.csdata,"",@progbits
; Kernel info:
; codeLenInByte = 0
; NumSgprs: 6
; NumVgprs: 0
; NumAgprs: 0
; TotalNumVgprs: 0
; ScratchSize: 0
; MemoryBound: 0
; FloatMode: 240
; IeeeMode: 1
; LDSByteSize: 0 bytes/workgroup (compile time only)
; SGPRBlocks: 0
; VGPRBlocks: 0
; NumSGPRsForWavesPerEU: 6
; NumVGPRsForWavesPerEU: 1
; AccumOffset: 4
; Occupancy: 8
; WaveLimiterHint : 0
; COMPUTE_PGM_RSRC2:SCRATCH_EN: 0
; COMPUTE_PGM_RSRC2:USER_SGPR: 2
; COMPUTE_PGM_RSRC2:TRAP_HANDLER: 0
; COMPUTE_PGM_RSRC2:TGID_X_EN: 1
; COMPUTE_PGM_RSRC2:TGID_Y_EN: 0
; COMPUTE_PGM_RSRC2:TGID_Z_EN: 0
; COMPUTE_PGM_RSRC2:TIDIG_COMP_CNT: 0
; COMPUTE_PGM_RSRC3_GFX90A:ACCUM_OFFSET: 0
; COMPUTE_PGM_RSRC3_GFX90A:TG_SPLIT: 0
	.section	.text._ZN7rocprim17ROCPRIM_400000_NS6detail17trampoline_kernelINS0_14default_configENS1_27scan_by_key_config_selectorIxiEEZZNS1_16scan_by_key_implILNS1_25lookback_scan_determinismE0ELb1ES3_N6thrust23THRUST_200600_302600_NS6detail15normal_iteratorINS9_10device_ptrIxEEEESE_SE_iNS9_4plusIvEENS9_8equal_toIvEEiEE10hipError_tPvRmT2_T3_T4_T5_mT6_T7_P12ihipStream_tbENKUlT_T0_E_clISt17integral_constantIbLb0EESZ_EEDaSU_SV_EUlSU_E_NS1_11comp_targetILNS1_3genE5ELNS1_11target_archE942ELNS1_3gpuE9ELNS1_3repE0EEENS1_30default_config_static_selectorELNS0_4arch9wavefront6targetE1EEEvT1_,"axG",@progbits,_ZN7rocprim17ROCPRIM_400000_NS6detail17trampoline_kernelINS0_14default_configENS1_27scan_by_key_config_selectorIxiEEZZNS1_16scan_by_key_implILNS1_25lookback_scan_determinismE0ELb1ES3_N6thrust23THRUST_200600_302600_NS6detail15normal_iteratorINS9_10device_ptrIxEEEESE_SE_iNS9_4plusIvEENS9_8equal_toIvEEiEE10hipError_tPvRmT2_T3_T4_T5_mT6_T7_P12ihipStream_tbENKUlT_T0_E_clISt17integral_constantIbLb0EESZ_EEDaSU_SV_EUlSU_E_NS1_11comp_targetILNS1_3genE5ELNS1_11target_archE942ELNS1_3gpuE9ELNS1_3repE0EEENS1_30default_config_static_selectorELNS0_4arch9wavefront6targetE1EEEvT1_,comdat
	.protected	_ZN7rocprim17ROCPRIM_400000_NS6detail17trampoline_kernelINS0_14default_configENS1_27scan_by_key_config_selectorIxiEEZZNS1_16scan_by_key_implILNS1_25lookback_scan_determinismE0ELb1ES3_N6thrust23THRUST_200600_302600_NS6detail15normal_iteratorINS9_10device_ptrIxEEEESE_SE_iNS9_4plusIvEENS9_8equal_toIvEEiEE10hipError_tPvRmT2_T3_T4_T5_mT6_T7_P12ihipStream_tbENKUlT_T0_E_clISt17integral_constantIbLb0EESZ_EEDaSU_SV_EUlSU_E_NS1_11comp_targetILNS1_3genE5ELNS1_11target_archE942ELNS1_3gpuE9ELNS1_3repE0EEENS1_30default_config_static_selectorELNS0_4arch9wavefront6targetE1EEEvT1_ ; -- Begin function _ZN7rocprim17ROCPRIM_400000_NS6detail17trampoline_kernelINS0_14default_configENS1_27scan_by_key_config_selectorIxiEEZZNS1_16scan_by_key_implILNS1_25lookback_scan_determinismE0ELb1ES3_N6thrust23THRUST_200600_302600_NS6detail15normal_iteratorINS9_10device_ptrIxEEEESE_SE_iNS9_4plusIvEENS9_8equal_toIvEEiEE10hipError_tPvRmT2_T3_T4_T5_mT6_T7_P12ihipStream_tbENKUlT_T0_E_clISt17integral_constantIbLb0EESZ_EEDaSU_SV_EUlSU_E_NS1_11comp_targetILNS1_3genE5ELNS1_11target_archE942ELNS1_3gpuE9ELNS1_3repE0EEENS1_30default_config_static_selectorELNS0_4arch9wavefront6targetE1EEEvT1_
	.globl	_ZN7rocprim17ROCPRIM_400000_NS6detail17trampoline_kernelINS0_14default_configENS1_27scan_by_key_config_selectorIxiEEZZNS1_16scan_by_key_implILNS1_25lookback_scan_determinismE0ELb1ES3_N6thrust23THRUST_200600_302600_NS6detail15normal_iteratorINS9_10device_ptrIxEEEESE_SE_iNS9_4plusIvEENS9_8equal_toIvEEiEE10hipError_tPvRmT2_T3_T4_T5_mT6_T7_P12ihipStream_tbENKUlT_T0_E_clISt17integral_constantIbLb0EESZ_EEDaSU_SV_EUlSU_E_NS1_11comp_targetILNS1_3genE5ELNS1_11target_archE942ELNS1_3gpuE9ELNS1_3repE0EEENS1_30default_config_static_selectorELNS0_4arch9wavefront6targetE1EEEvT1_
	.p2align	8
	.type	_ZN7rocprim17ROCPRIM_400000_NS6detail17trampoline_kernelINS0_14default_configENS1_27scan_by_key_config_selectorIxiEEZZNS1_16scan_by_key_implILNS1_25lookback_scan_determinismE0ELb1ES3_N6thrust23THRUST_200600_302600_NS6detail15normal_iteratorINS9_10device_ptrIxEEEESE_SE_iNS9_4plusIvEENS9_8equal_toIvEEiEE10hipError_tPvRmT2_T3_T4_T5_mT6_T7_P12ihipStream_tbENKUlT_T0_E_clISt17integral_constantIbLb0EESZ_EEDaSU_SV_EUlSU_E_NS1_11comp_targetILNS1_3genE5ELNS1_11target_archE942ELNS1_3gpuE9ELNS1_3repE0EEENS1_30default_config_static_selectorELNS0_4arch9wavefront6targetE1EEEvT1_,@function
_ZN7rocprim17ROCPRIM_400000_NS6detail17trampoline_kernelINS0_14default_configENS1_27scan_by_key_config_selectorIxiEEZZNS1_16scan_by_key_implILNS1_25lookback_scan_determinismE0ELb1ES3_N6thrust23THRUST_200600_302600_NS6detail15normal_iteratorINS9_10device_ptrIxEEEESE_SE_iNS9_4plusIvEENS9_8equal_toIvEEiEE10hipError_tPvRmT2_T3_T4_T5_mT6_T7_P12ihipStream_tbENKUlT_T0_E_clISt17integral_constantIbLb0EESZ_EEDaSU_SV_EUlSU_E_NS1_11comp_targetILNS1_3genE5ELNS1_11target_archE942ELNS1_3gpuE9ELNS1_3repE0EEENS1_30default_config_static_selectorELNS0_4arch9wavefront6targetE1EEEvT1_: ; @_ZN7rocprim17ROCPRIM_400000_NS6detail17trampoline_kernelINS0_14default_configENS1_27scan_by_key_config_selectorIxiEEZZNS1_16scan_by_key_implILNS1_25lookback_scan_determinismE0ELb1ES3_N6thrust23THRUST_200600_302600_NS6detail15normal_iteratorINS9_10device_ptrIxEEEESE_SE_iNS9_4plusIvEENS9_8equal_toIvEEiEE10hipError_tPvRmT2_T3_T4_T5_mT6_T7_P12ihipStream_tbENKUlT_T0_E_clISt17integral_constantIbLb0EESZ_EEDaSU_SV_EUlSU_E_NS1_11comp_targetILNS1_3genE5ELNS1_11target_archE942ELNS1_3gpuE9ELNS1_3repE0EEENS1_30default_config_static_selectorELNS0_4arch9wavefront6targetE1EEEvT1_
; %bb.0:
	s_load_dwordx8 s[36:43], s[0:1], 0x0
	s_load_dword s58, s[0:1], 0x20
	s_load_dwordx4 s[44:47], s[0:1], 0x28
	s_load_dwordx2 s[52:53], s[0:1], 0x38
	s_load_dword s3, s[0:1], 0x40
	s_load_dwordx4 s[48:51], s[0:1], 0x48
	s_waitcnt lgkmcnt(0)
	s_lshl_b64 s[38:39], s[38:39], 3
	s_add_u32 s4, s36, s38
	s_addc_u32 s5, s37, s39
	s_add_u32 s6, s40, s38
	s_mul_i32 s0, s53, s3
	s_mul_hi_u32 s1, s52, s3
	s_addc_u32 s7, s41, s39
	s_add_i32 s8, s1, s0
	s_mul_i32 s0, s2, 0xe00
	s_mov_b32 s1, 0
	s_lshl_b64 s[36:37], s[0:1], 3
	s_add_u32 s40, s4, s36
	s_addc_u32 s41, s5, s37
	s_add_u32 s34, s6, s36
	s_mul_i32 s3, s52, s3
	s_addc_u32 s35, s7, s37
	s_add_u32 s0, s3, s2
	s_addc_u32 s1, s8, 0
	s_add_u32 s6, s48, -1
	s_addc_u32 s7, s49, -1
	v_mov_b64_e32 v[2:3], s[6:7]
	v_cmp_ge_u64_e64 s[0:1], s[0:1], v[2:3]
	s_mov_b64 s[4:5], -1
	s_and_b64 vcc, exec, s[0:1]
	s_mul_i32 s33, s6, 0xfffff200
	s_barrier
	s_cbranch_vccz .LBB1004_76
; %bb.1:
	v_mov_b64_e32 v[2:3], s[40:41]
	flat_load_dwordx2 v[2:3], v[2:3]
	s_add_i32 s3, s33, s46
	v_cmp_gt_u32_e32 vcc, s3, v0
	s_waitcnt vmcnt(0) lgkmcnt(0)
	v_mov_b64_e32 v[4:5], v[2:3]
	s_and_saveexec_b64 s[4:5], vcc
	s_cbranch_execz .LBB1004_3
; %bb.2:
	v_lshlrev_b32_e32 v4, 3, v0
	v_mov_b32_e32 v5, 0
	v_lshl_add_u64 v[4:5], s[40:41], 0, v[4:5]
	flat_load_dwordx2 v[4:5], v[4:5]
.LBB1004_3:
	s_or_b64 exec, exec, s[4:5]
	v_or_b32_e32 v1, 0x100, v0
	v_cmp_gt_u32_e64 s[28:29], s3, v1
	v_mov_b64_e32 v[6:7], v[2:3]
	s_and_saveexec_b64 s[4:5], s[28:29]
	s_cbranch_execz .LBB1004_5
; %bb.4:
	v_lshlrev_b32_e32 v6, 3, v0
	v_mov_b32_e32 v7, 0
	v_lshl_add_u64 v[6:7], s[40:41], 0, v[6:7]
	flat_load_dwordx2 v[6:7], v[6:7] offset:2048
.LBB1004_5:
	s_or_b64 exec, exec, s[4:5]
	v_or_b32_e32 v1, 0x200, v0
	v_cmp_gt_u32_e64 s[4:5], s3, v1
	v_lshlrev_b32_e32 v30, 3, v1
	v_mov_b64_e32 v[8:9], v[2:3]
	s_and_saveexec_b64 s[6:7], s[4:5]
	s_cbranch_execz .LBB1004_7
; %bb.6:
	v_mov_b32_e32 v31, 0
	v_lshl_add_u64 v[8:9], s[40:41], 0, v[30:31]
	flat_load_dwordx2 v[8:9], v[8:9]
.LBB1004_7:
	s_or_b64 exec, exec, s[6:7]
	v_or_b32_e32 v1, 0x300, v0
	v_cmp_gt_u32_e64 s[6:7], s3, v1
	v_lshlrev_b32_e32 v32, 3, v1
	v_mov_b64_e32 v[10:11], v[2:3]
	s_and_saveexec_b64 s[8:9], s[6:7]
	s_cbranch_execz .LBB1004_9
; %bb.8:
	v_mov_b32_e32 v33, 0
	v_lshl_add_u64 v[10:11], s[40:41], 0, v[32:33]
	flat_load_dwordx2 v[10:11], v[10:11]
.LBB1004_9:
	;; [unrolled: 12-line block ×11, first 2 shown]
	s_or_b64 exec, exec, s[26:27]
	v_or_b32_e32 v1, 0xd00, v0
	v_cmp_gt_u32_e64 s[26:27], s3, v1
	v_lshlrev_b32_e32 v52, 3, v1
	s_and_saveexec_b64 s[30:31], s[26:27]
	s_cbranch_execz .LBB1004_29
; %bb.28:
	v_mov_b32_e32 v53, 0
	v_lshl_add_u64 v[2:3], s[40:41], 0, v[52:53]
	flat_load_dwordx2 v[2:3], v[2:3]
.LBB1004_29:
	s_or_b64 exec, exec, s[30:31]
	v_lshlrev_b32_e32 v54, 3, v0
	s_waitcnt vmcnt(0) lgkmcnt(0)
	ds_write2st64_b64 v54, v[4:5], v[6:7] offset1:4
	ds_write2st64_b64 v54, v[8:9], v[10:11] offset0:8 offset1:12
	ds_write2st64_b64 v54, v[12:13], v[14:15] offset0:16 offset1:20
	;; [unrolled: 1-line block ×6, first 2 shown]
	v_mov_b64_e32 v[2:3], s[40:41]
	s_waitcnt lgkmcnt(0)
	s_barrier
	flat_load_dwordx2 v[56:57], v[2:3]
	s_movk_i32 s30, 0x68
	v_mad_u32_u24 v1, v0, s30, v54
	s_movk_i32 s30, 0xff98
	v_mad_i32_i24 v58, v0, s30, v1
	s_movk_i32 s30, 0xff
	v_cmp_ne_u32_e64 s[30:31], s30, v0
	ds_read_b128 v[26:29], v1
	ds_read_b128 v[22:25], v1 offset:16
	ds_read_b128 v[18:21], v1 offset:32
	;; [unrolled: 1-line block ×6, first 2 shown]
	s_waitcnt lgkmcnt(0)
	ds_write_b64 v58, v[26:27] offset:30720
	s_waitcnt lgkmcnt(0)
	s_barrier
	s_and_saveexec_b64 s[48:49], s[30:31]
	s_cbranch_execz .LBB1004_31
; %bb.30:
	s_waitcnt vmcnt(0)
	ds_read_b64 v[56:57], v54 offset:30728
.LBB1004_31:
	s_or_b64 exec, exec, s[48:49]
	v_mov_b32_e32 v55, 0
	s_waitcnt lgkmcnt(0)
	s_barrier
	s_waitcnt lgkmcnt(0)
                                        ; implicit-def: $vgpr59
	s_and_saveexec_b64 s[30:31], vcc
	s_cbranch_execz .LBB1004_119
; %bb.32:
	v_lshl_add_u64 v[60:61], s[34:35], 0, v[54:55]
	flat_load_dword v59, v[60:61]
	s_or_b64 exec, exec, s[30:31]
                                        ; implicit-def: $vgpr55
	s_and_saveexec_b64 s[30:31], s[28:29]
	s_cbranch_execnz .LBB1004_120
.LBB1004_33:
	s_or_b64 exec, exec, s[30:31]
                                        ; implicit-def: $vgpr31
	s_and_saveexec_b64 s[28:29], s[4:5]
	s_cbranch_execz .LBB1004_121
.LBB1004_34:
	v_mov_b32_e32 v31, 0
	v_lshl_add_u64 v[30:31], s[34:35], 0, v[30:31]
	flat_load_dword v31, v[30:31]
	s_or_b64 exec, exec, s[28:29]
                                        ; implicit-def: $vgpr30
	s_and_saveexec_b64 s[4:5], s[6:7]
	s_cbranch_execnz .LBB1004_122
.LBB1004_35:
	s_or_b64 exec, exec, s[4:5]
                                        ; implicit-def: $vgpr32
	s_and_saveexec_b64 s[4:5], s[8:9]
	s_cbranch_execz .LBB1004_123
.LBB1004_36:
	v_mov_b32_e32 v35, 0
	v_lshl_add_u64 v[32:33], s[34:35], 0, v[34:35]
	flat_load_dword v32, v[32:33]
	s_or_b64 exec, exec, s[4:5]
                                        ; implicit-def: $vgpr33
	s_and_saveexec_b64 s[4:5], s[10:11]
	s_cbranch_execnz .LBB1004_124
.LBB1004_37:
	s_or_b64 exec, exec, s[4:5]
                                        ; implicit-def: $vgpr34
	s_and_saveexec_b64 s[4:5], s[12:13]
	s_cbranch_execz .LBB1004_125
.LBB1004_38:
	v_mov_b32_e32 v39, 0
	v_lshl_add_u64 v[34:35], s[34:35], 0, v[38:39]
	flat_load_dword v34, v[34:35]
	s_or_b64 exec, exec, s[4:5]
                                        ; implicit-def: $vgpr35
	s_and_saveexec_b64 s[4:5], s[14:15]
	s_cbranch_execnz .LBB1004_126
.LBB1004_39:
	s_or_b64 exec, exec, s[4:5]
                                        ; implicit-def: $vgpr36
	s_and_saveexec_b64 s[4:5], s[16:17]
	s_cbranch_execz .LBB1004_127
.LBB1004_40:
	v_mov_b32_e32 v43, 0
	v_lshl_add_u64 v[36:37], s[34:35], 0, v[42:43]
	flat_load_dword v36, v[36:37]
	s_or_b64 exec, exec, s[4:5]
                                        ; implicit-def: $vgpr37
	s_and_saveexec_b64 s[4:5], s[18:19]
	s_cbranch_execnz .LBB1004_128
.LBB1004_41:
	s_or_b64 exec, exec, s[4:5]
                                        ; implicit-def: $vgpr38
	s_and_saveexec_b64 s[4:5], s[20:21]
	s_cbranch_execz .LBB1004_129
.LBB1004_42:
	v_mov_b32_e32 v47, 0
	v_lshl_add_u64 v[38:39], s[34:35], 0, v[46:47]
	flat_load_dword v38, v[38:39]
	s_or_b64 exec, exec, s[4:5]
                                        ; implicit-def: $vgpr39
	s_and_saveexec_b64 s[4:5], s[22:23]
	s_cbranch_execnz .LBB1004_130
.LBB1004_43:
	s_or_b64 exec, exec, s[4:5]
                                        ; implicit-def: $vgpr40
	s_and_saveexec_b64 s[4:5], s[24:25]
	s_cbranch_execz .LBB1004_45
.LBB1004_44:
	v_mov_b32_e32 v51, 0
	v_lshl_add_u64 v[40:41], s[34:35], 0, v[50:51]
	flat_load_dword v40, v[40:41]
.LBB1004_45:
	s_or_b64 exec, exec, s[4:5]
	v_mul_u32_u24_e32 v1, 14, v0
                                        ; implicit-def: $vgpr41
	s_and_saveexec_b64 s[4:5], s[26:27]
	s_cbranch_execz .LBB1004_47
; %bb.46:
	v_mov_b32_e32 v53, 0
	v_lshl_add_u64 v[42:43], s[34:35], 0, v[52:53]
	flat_load_dword v41, v[42:43]
.LBB1004_47:
	s_or_b64 exec, exec, s[4:5]
	v_lshlrev_b32_e32 v42, 2, v0
	v_sub_u32_e32 v60, v58, v42
	s_waitcnt vmcnt(0) lgkmcnt(0)
	ds_write2st64_b32 v60, v59, v55 offset1:4
	ds_write2st64_b32 v60, v31, v30 offset0:8 offset1:12
	ds_write2st64_b32 v60, v32, v33 offset0:16 offset1:20
	ds_write2st64_b32 v60, v34, v35 offset0:24 offset1:28
	ds_write2st64_b32 v60, v36, v37 offset0:32 offset1:36
	ds_write2st64_b32 v60, v38, v39 offset0:40 offset1:44
	ds_write2st64_b32 v60, v40, v41 offset0:48 offset1:52
	v_mov_b64_e32 v[30:31], 0
	v_cmp_gt_u32_e32 vcc, s3, v1
	s_mov_b64 s[10:11], 0
	s_mov_b64 s[4:5], 0
	v_mov_b64_e32 v[32:33], v[30:31]
	v_mov_b64_e32 v[34:35], v[30:31]
	;; [unrolled: 1-line block ×12, first 2 shown]
	s_waitcnt lgkmcnt(0)
	s_barrier
	s_waitcnt lgkmcnt(0)
                                        ; implicit-def: $sgpr8_sgpr9
                                        ; implicit-def: $vgpr58
	s_and_saveexec_b64 s[6:7], vcc
	s_cbranch_execz .LBB1004_75
; %bb.48:
	v_mad_u32_u24 v30, v0, 52, v60
	ds_read_b32 v30, v30
	v_mov_b32_e32 v31, s58
	v_cmp_eq_u64_e32 vcc, v[26:27], v[28:29]
	v_or_b32_e32 v32, 1, v1
	s_mov_b64 s[12:13], 0
	s_waitcnt lgkmcnt(0)
	v_cndmask_b32_e32 v30, v31, v30, vcc
	v_cmp_ne_u64_e32 vcc, v[26:27], v[28:29]
                                        ; implicit-def: $sgpr14_sgpr15
                                        ; implicit-def: $vgpr58
	s_nop 1
	v_cndmask_b32_e64 v31, 0, 1, vcc
	v_cmp_gt_u32_e32 vcc, s3, v32
	v_mov_b64_e32 v[32:33], 0
	v_mov_b64_e32 v[34:35], v[32:33]
	;; [unrolled: 1-line block ×12, first 2 shown]
	s_and_saveexec_b64 s[8:9], vcc
	s_cbranch_execz .LBB1004_74
; %bb.49:
	v_mul_u32_u24_e32 v26, 52, v0
	v_add_u32_e32 v59, v60, v26
	ds_read2_b32 v[26:27], v59 offset0:1 offset1:2
	v_mov_b32_e32 v32, s58
	v_cmp_eq_u64_e32 vcc, v[28:29], v[22:23]
	v_add_u32_e32 v34, 2, v1
	s_mov_b64 s[14:15], 0
	s_waitcnt lgkmcnt(0)
	v_cndmask_b32_e32 v32, v32, v26, vcc
	v_cmp_ne_u64_e32 vcc, v[28:29], v[22:23]
                                        ; implicit-def: $sgpr16_sgpr17
                                        ; implicit-def: $vgpr58
	s_nop 1
	v_cndmask_b32_e64 v33, 0, 1, vcc
	v_cmp_gt_u32_e32 vcc, s3, v34
	v_mov_b64_e32 v[34:35], 0
	v_mov_b64_e32 v[36:37], v[34:35]
	;; [unrolled: 1-line block ×11, first 2 shown]
	s_and_saveexec_b64 s[10:11], vcc
	s_cbranch_execz .LBB1004_73
; %bb.50:
	v_mov_b32_e32 v28, s58
	v_cmp_eq_u64_e32 vcc, v[22:23], v[24:25]
	v_add_u32_e32 v26, 3, v1
	v_mov_b64_e32 v[36:37], 0
	v_cndmask_b32_e32 v34, v28, v27, vcc
	v_cmp_ne_u64_e32 vcc, v[22:23], v[24:25]
	s_mov_b64 s[16:17], 0
	v_mov_b64_e32 v[38:39], v[36:37]
	v_cndmask_b32_e64 v35, 0, 1, vcc
	v_cmp_gt_u32_e32 vcc, s3, v26
	v_mov_b64_e32 v[40:41], v[36:37]
	v_mov_b64_e32 v[42:43], v[36:37]
	v_mov_b64_e32 v[44:45], v[36:37]
	v_mov_b64_e32 v[46:47], v[36:37]
	v_mov_b64_e32 v[48:49], v[36:37]
	v_mov_b64_e32 v[50:51], v[36:37]
	v_mov_b64_e32 v[52:53], v[36:37]
	v_mov_b64_e32 v[54:55], v[36:37]
                                        ; implicit-def: $sgpr18_sgpr19
                                        ; implicit-def: $vgpr58
	s_and_saveexec_b64 s[12:13], vcc
	s_cbranch_execz .LBB1004_72
; %bb.51:
	ds_read2_b32 v[22:23], v59 offset0:3 offset1:4
	v_mov_b32_e32 v27, s58
	v_cmp_eq_u64_e32 vcc, v[24:25], v[18:19]
	v_add_u32_e32 v26, 4, v1
	v_mov_b64_e32 v[38:39], 0
	s_waitcnt lgkmcnt(0)
	v_cndmask_b32_e32 v36, v27, v22, vcc
	v_cmp_ne_u64_e32 vcc, v[24:25], v[18:19]
	s_mov_b64 s[18:19], 0
	v_mov_b64_e32 v[40:41], v[38:39]
	v_cndmask_b32_e64 v37, 0, 1, vcc
	v_cmp_gt_u32_e32 vcc, s3, v26
	v_mov_b64_e32 v[42:43], v[38:39]
	v_mov_b64_e32 v[44:45], v[38:39]
	;; [unrolled: 1-line block ×7, first 2 shown]
                                        ; implicit-def: $sgpr20_sgpr21
                                        ; implicit-def: $vgpr58
	s_and_saveexec_b64 s[14:15], vcc
	s_cbranch_execz .LBB1004_71
; %bb.52:
	v_mov_b32_e32 v24, s58
	v_cmp_eq_u64_e32 vcc, v[18:19], v[20:21]
	v_add_u32_e32 v22, 5, v1
	v_mov_b64_e32 v[40:41], 0
	v_cndmask_b32_e32 v38, v24, v23, vcc
	v_cmp_ne_u64_e32 vcc, v[18:19], v[20:21]
	s_mov_b64 s[20:21], 0
	v_mov_b64_e32 v[42:43], v[40:41]
	v_cndmask_b32_e64 v39, 0, 1, vcc
	v_cmp_gt_u32_e32 vcc, s3, v22
	v_mov_b64_e32 v[44:45], v[40:41]
	v_mov_b64_e32 v[46:47], v[40:41]
	;; [unrolled: 1-line block ×6, first 2 shown]
                                        ; implicit-def: $sgpr22_sgpr23
                                        ; implicit-def: $vgpr58
	s_and_saveexec_b64 s[16:17], vcc
	s_cbranch_execz .LBB1004_70
; %bb.53:
	ds_read2_b32 v[18:19], v59 offset0:5 offset1:6
	v_mov_b32_e32 v23, s58
	v_cmp_eq_u64_e32 vcc, v[20:21], v[14:15]
	v_add_u32_e32 v22, 6, v1
	v_mov_b64_e32 v[42:43], 0
	s_waitcnt lgkmcnt(0)
	v_cndmask_b32_e32 v40, v23, v18, vcc
	v_cmp_ne_u64_e32 vcc, v[20:21], v[14:15]
	s_mov_b64 s[22:23], 0
	v_mov_b64_e32 v[44:45], v[42:43]
	v_cndmask_b32_e64 v41, 0, 1, vcc
	v_cmp_gt_u32_e32 vcc, s3, v22
	v_mov_b64_e32 v[46:47], v[42:43]
	v_mov_b64_e32 v[48:49], v[42:43]
	;; [unrolled: 1-line block ×5, first 2 shown]
                                        ; implicit-def: $sgpr24_sgpr25
                                        ; implicit-def: $vgpr58
	s_and_saveexec_b64 s[18:19], vcc
	s_cbranch_execz .LBB1004_69
; %bb.54:
	v_mov_b32_e32 v20, s58
	v_cmp_eq_u64_e32 vcc, v[14:15], v[16:17]
	v_add_u32_e32 v18, 7, v1
	v_mov_b64_e32 v[44:45], 0
	v_cndmask_b32_e32 v42, v20, v19, vcc
	v_cmp_ne_u64_e32 vcc, v[14:15], v[16:17]
	s_mov_b64 s[24:25], 0
	v_mov_b64_e32 v[46:47], v[44:45]
	v_cndmask_b32_e64 v43, 0, 1, vcc
	v_cmp_gt_u32_e32 vcc, s3, v18
	v_mov_b64_e32 v[48:49], v[44:45]
	v_mov_b64_e32 v[50:51], v[44:45]
	;; [unrolled: 1-line block ×4, first 2 shown]
                                        ; implicit-def: $sgpr26_sgpr27
                                        ; implicit-def: $vgpr58
	s_and_saveexec_b64 s[20:21], vcc
	s_cbranch_execz .LBB1004_68
; %bb.55:
	ds_read2_b32 v[14:15], v59 offset0:7 offset1:8
	v_mov_b32_e32 v19, s58
	v_cmp_eq_u64_e32 vcc, v[16:17], v[10:11]
	v_add_u32_e32 v18, 8, v1
	v_mov_b64_e32 v[46:47], 0
	s_waitcnt lgkmcnt(0)
	v_cndmask_b32_e32 v44, v19, v14, vcc
	v_cmp_ne_u64_e32 vcc, v[16:17], v[10:11]
	s_mov_b64 s[26:27], 0
	v_mov_b64_e32 v[48:49], v[46:47]
	v_cndmask_b32_e64 v45, 0, 1, vcc
	v_cmp_gt_u32_e32 vcc, s3, v18
	v_mov_b64_e32 v[50:51], v[46:47]
	v_mov_b64_e32 v[52:53], v[46:47]
	;; [unrolled: 1-line block ×3, first 2 shown]
                                        ; implicit-def: $sgpr28_sgpr29
                                        ; implicit-def: $vgpr58
	s_and_saveexec_b64 s[22:23], vcc
	s_cbranch_execz .LBB1004_67
; %bb.56:
	v_mov_b32_e32 v16, s58
	v_cmp_eq_u64_e32 vcc, v[10:11], v[12:13]
	v_add_u32_e32 v14, 9, v1
	v_mov_b64_e32 v[48:49], 0
	v_cndmask_b32_e32 v46, v16, v15, vcc
	v_cmp_ne_u64_e32 vcc, v[10:11], v[12:13]
	s_mov_b64 s[28:29], 0
	v_mov_b64_e32 v[50:51], v[48:49]
	v_cndmask_b32_e64 v47, 0, 1, vcc
	v_cmp_gt_u32_e32 vcc, s3, v14
	v_mov_b64_e32 v[52:53], v[48:49]
	v_mov_b64_e32 v[54:55], v[48:49]
                                        ; implicit-def: $sgpr30_sgpr31
                                        ; implicit-def: $vgpr58
	s_and_saveexec_b64 s[24:25], vcc
	s_cbranch_execz .LBB1004_66
; %bb.57:
	ds_read2_b32 v[10:11], v59 offset0:9 offset1:10
	v_mov_b32_e32 v15, s58
	v_cmp_eq_u64_e32 vcc, v[12:13], v[6:7]
	v_add_u32_e32 v14, 10, v1
	v_mov_b64_e32 v[50:51], 0
	s_waitcnt lgkmcnt(0)
	v_cndmask_b32_e32 v48, v15, v10, vcc
	v_cmp_ne_u64_e32 vcc, v[12:13], v[6:7]
	s_mov_b64 s[30:31], 0
	v_mov_b64_e32 v[52:53], v[50:51]
	v_cndmask_b32_e64 v49, 0, 1, vcc
	v_cmp_gt_u32_e32 vcc, s3, v14
	v_mov_b64_e32 v[54:55], v[50:51]
                                        ; implicit-def: $sgpr48_sgpr49
                                        ; implicit-def: $vgpr58
	s_and_saveexec_b64 s[26:27], vcc
	s_cbranch_execz .LBB1004_65
; %bb.58:
	v_mov_b32_e32 v12, s58
	v_cmp_eq_u64_e32 vcc, v[6:7], v[8:9]
	v_add_u32_e32 v10, 11, v1
	v_mov_b64_e32 v[52:53], 0
	v_cndmask_b32_e32 v50, v12, v11, vcc
	v_cmp_ne_u64_e32 vcc, v[6:7], v[8:9]
	s_mov_b64 s[48:49], 0
	v_mov_b64_e32 v[54:55], v[52:53]
	v_cndmask_b32_e64 v51, 0, 1, vcc
	v_cmp_gt_u32_e32 vcc, s3, v10
                                        ; implicit-def: $sgpr54_sgpr55
                                        ; implicit-def: $vgpr58
	s_and_saveexec_b64 s[28:29], vcc
	s_cbranch_execz .LBB1004_64
; %bb.59:
	ds_read2_b32 v[6:7], v59 offset0:11 offset1:12
	v_mov_b32_e32 v11, s58
	v_cmp_eq_u64_e32 vcc, v[8:9], v[2:3]
	v_add_u32_e32 v10, 12, v1
	v_mov_b64_e32 v[54:55], 0
	s_waitcnt lgkmcnt(0)
	v_cndmask_b32_e32 v52, v11, v6, vcc
	v_cmp_ne_u64_e32 vcc, v[8:9], v[2:3]
                                        ; implicit-def: $sgpr54_sgpr55
                                        ; implicit-def: $vgpr58
	s_nop 1
	v_cndmask_b32_e64 v53, 0, 1, vcc
	v_cmp_gt_u32_e32 vcc, s3, v10
	s_and_saveexec_b64 s[30:31], vcc
	s_cbranch_execz .LBB1004_63
; %bb.60:
	v_mov_b32_e32 v6, s58
	v_cmp_eq_u64_e32 vcc, v[2:3], v[4:5]
	v_add_u32_e32 v1, 13, v1
                                        ; implicit-def: $sgpr54_sgpr55
                                        ; implicit-def: $vgpr58
	s_nop 0
	v_cndmask_b32_e32 v54, v6, v7, vcc
	v_cmp_ne_u64_e32 vcc, v[2:3], v[4:5]
	s_nop 1
	v_cndmask_b32_e64 v55, 0, 1, vcc
	v_cmp_gt_u32_e32 vcc, s3, v1
	s_and_saveexec_b64 s[56:57], vcc
	s_xor_b64 s[56:57], exec, s[56:57]
	s_cbranch_execz .LBB1004_62
; %bb.61:
	ds_read_b32 v1, v59 offset:52
	v_mov_b32_e32 v2, s58
	v_cmp_ne_u64_e32 vcc, v[4:5], v[56:57]
	s_mov_b64 s[48:49], exec
	s_and_b64 s[54:55], vcc, exec
	s_waitcnt lgkmcnt(0)
	v_cndmask_b32_e32 v58, v1, v2, vcc
.LBB1004_62:
	s_or_b64 exec, exec, s[56:57]
	s_and_b64 s[54:55], s[54:55], exec
	s_and_b64 s[48:49], s[48:49], exec
.LBB1004_63:
	s_or_b64 exec, exec, s[30:31]
	s_and_b64 s[54:55], s[54:55], exec
	s_and_b64 s[30:31], s[48:49], exec
.LBB1004_64:
	s_or_b64 exec, exec, s[28:29]
	s_and_b64 s[48:49], s[54:55], exec
	s_and_b64 s[28:29], s[30:31], exec
.LBB1004_65:
	s_or_b64 exec, exec, s[26:27]
	s_and_b64 s[30:31], s[48:49], exec
	s_and_b64 s[26:27], s[28:29], exec
.LBB1004_66:
	s_or_b64 exec, exec, s[24:25]
	s_and_b64 s[28:29], s[30:31], exec
	s_and_b64 s[24:25], s[26:27], exec
.LBB1004_67:
	s_or_b64 exec, exec, s[22:23]
	s_and_b64 s[26:27], s[28:29], exec
	s_and_b64 s[22:23], s[24:25], exec
.LBB1004_68:
	s_or_b64 exec, exec, s[20:21]
	s_and_b64 s[24:25], s[26:27], exec
	s_and_b64 s[20:21], s[22:23], exec
.LBB1004_69:
	s_or_b64 exec, exec, s[18:19]
	s_and_b64 s[22:23], s[24:25], exec
	s_and_b64 s[18:19], s[20:21], exec
.LBB1004_70:
	s_or_b64 exec, exec, s[16:17]
	s_and_b64 s[20:21], s[22:23], exec
	s_and_b64 s[16:17], s[18:19], exec
.LBB1004_71:
	s_or_b64 exec, exec, s[14:15]
	s_and_b64 s[18:19], s[20:21], exec
	s_and_b64 s[14:15], s[16:17], exec
.LBB1004_72:
	s_or_b64 exec, exec, s[12:13]
	s_and_b64 s[16:17], s[18:19], exec
	s_and_b64 s[12:13], s[14:15], exec
.LBB1004_73:
	s_or_b64 exec, exec, s[10:11]
	s_and_b64 s[14:15], s[16:17], exec
	s_and_b64 s[10:11], s[12:13], exec
.LBB1004_74:
	s_or_b64 exec, exec, s[8:9]
	s_and_b64 s[8:9], s[14:15], exec
	s_and_b64 s[10:11], s[10:11], exec
.LBB1004_75:
	s_or_b64 exec, exec, s[6:7]
	s_mov_b64 s[6:7], 0
	s_and_b64 vcc, exec, s[4:5]
	v_lshlrev_b32_e32 v56, 3, v0
	s_cbranch_vccnz .LBB1004_77
	s_branch .LBB1004_82
.LBB1004_76:
	s_mov_b64 s[10:11], 0
                                        ; implicit-def: $sgpr8_sgpr9
                                        ; implicit-def: $vgpr58
                                        ; implicit-def: $vgpr30_vgpr31
                                        ; implicit-def: $vgpr32_vgpr33
                                        ; implicit-def: $vgpr34_vgpr35
                                        ; implicit-def: $vgpr36_vgpr37
                                        ; implicit-def: $vgpr38_vgpr39
                                        ; implicit-def: $vgpr40_vgpr41
                                        ; implicit-def: $vgpr42_vgpr43
                                        ; implicit-def: $vgpr44_vgpr45
                                        ; implicit-def: $vgpr46_vgpr47
                                        ; implicit-def: $vgpr48_vgpr49
                                        ; implicit-def: $vgpr50_vgpr51
                                        ; implicit-def: $vgpr52_vgpr53
                                        ; implicit-def: $vgpr54_vgpr55
                                        ; implicit-def: $sgpr6_sgpr7
	s_and_b64 vcc, exec, s[4:5]
	v_lshlrev_b32_e32 v56, 3, v0
	s_cbranch_vccz .LBB1004_82
.LBB1004_77:
	v_mov_b32_e32 v57, 0
	v_lshl_add_u64 v[2:3], s[40:41], 0, v[56:57]
	v_add_co_u32_e32 v4, vcc, 0x1000, v2
	s_movk_i32 s3, 0x7000
	s_nop 0
	v_addc_co_u32_e32 v5, vcc, 0, v3, vcc
	flat_load_dwordx2 v[6:7], v[2:3]
	flat_load_dwordx2 v[8:9], v[2:3] offset:2048
	flat_load_dwordx2 v[10:11], v[4:5]
	flat_load_dwordx2 v[12:13], v[4:5] offset:2048
	v_add_co_u32_e32 v4, vcc, 0x2000, v2
	v_mov_b32_e32 v1, s40
	s_nop 0
	v_addc_co_u32_e32 v5, vcc, 0, v3, vcc
	v_add_co_u32_e32 v14, vcc, 0x3000, v2
	s_movk_i32 s6, 0x68
	s_nop 0
	v_addc_co_u32_e32 v15, vcc, 0, v3, vcc
	flat_load_dwordx2 v[16:17], v[4:5]
	flat_load_dwordx2 v[18:19], v[4:5] offset:2048
	flat_load_dwordx2 v[20:21], v[14:15]
	flat_load_dwordx2 v[22:23], v[14:15] offset:2048
	v_add_co_u32_e32 v4, vcc, 0x4000, v2
	s_movk_i32 s11, 0x1000
	s_nop 0
	v_addc_co_u32_e32 v5, vcc, 0, v3, vcc
	v_add_co_u32_e32 v14, vcc, 0x5000, v2
	s_mov_b32 s4, 0
	s_nop 0
	v_addc_co_u32_e32 v15, vcc, 0, v3, vcc
	v_add_co_u32_e32 v2, vcc, 0x6000, v2
	flat_load_dwordx2 v[24:25], v[4:5]
	flat_load_dwordx2 v[26:27], v[4:5] offset:2048
	flat_load_dwordx2 v[28:29], v[14:15]
	flat_load_dwordx2 v[30:31], v[14:15] offset:2048
	v_addc_co_u32_e32 v3, vcc, 0, v3, vcc
	flat_load_dwordx2 v[4:5], v[2:3]
	flat_load_dwordx2 v[14:15], v[2:3] offset:2048
	v_mov_b32_e32 v3, s41
	v_add_co_u32_e32 v2, vcc, s3, v1
	v_mad_u32_u24 v1, v0, s6, v56
	s_nop 0
	v_addc_co_u32_e32 v3, vcc, 0, v3, vcc
	s_movk_i32 s6, 0xff98
	s_movk_i32 s10, 0x2000
	;; [unrolled: 1-line block ×6, first 2 shown]
	s_waitcnt vmcnt(0) lgkmcnt(0)
	ds_write2st64_b64 v56, v[6:7], v[8:9] offset1:4
	ds_write2st64_b64 v56, v[10:11], v[12:13] offset0:8 offset1:12
	ds_write2st64_b64 v56, v[16:17], v[18:19] offset0:16 offset1:20
	ds_write2st64_b64 v56, v[20:21], v[22:23] offset0:24 offset1:28
	ds_write2st64_b64 v56, v[24:25], v[26:27] offset0:32 offset1:36
	ds_write2st64_b64 v56, v[28:29], v[30:31] offset0:40 offset1:44
	ds_write2st64_b64 v56, v[4:5], v[14:15] offset0:48 offset1:52
	s_waitcnt lgkmcnt(0)
	s_barrier
	flat_load_dwordx2 v[58:59], v[2:3]
	ds_read_b128 v[26:29], v1
	ds_read_b128 v[22:25], v1 offset:16
	ds_read_b128 v[18:21], v1 offset:32
	;; [unrolled: 1-line block ×6, first 2 shown]
	v_mad_i32_i24 v1, v0, s6, v1
	s_movk_i32 s6, 0xff
	v_cmp_ne_u32_e32 vcc, s6, v0
	s_waitcnt lgkmcnt(0)
	ds_write_b64 v1, v[26:27] offset:30720
	s_waitcnt lgkmcnt(0)
	s_barrier
	s_and_saveexec_b64 s[6:7], vcc
	s_cbranch_execz .LBB1004_79
; %bb.78:
	s_waitcnt vmcnt(0)
	ds_read_b64 v[58:59], v56 offset:30728
.LBB1004_79:
	s_or_b64 exec, exec, s[6:7]
	v_lshl_add_u64 v[30:31], s[34:35], 0, v[56:57]
	v_add_co_u32_e32 v32, vcc, s11, v30
	s_waitcnt lgkmcnt(0)
	s_nop 0
	v_addc_co_u32_e32 v33, vcc, 0, v31, vcc
	v_add_co_u32_e32 v34, vcc, s10, v30
	s_barrier
	s_nop 0
	v_addc_co_u32_e32 v35, vcc, 0, v31, vcc
	v_add_co_u32_e32 v36, vcc, s9, v30
	s_nop 1
	v_addc_co_u32_e32 v37, vcc, 0, v31, vcc
	flat_load_dword v38, v[30:31]
	flat_load_dword v39, v[30:31] offset:2048
	flat_load_dword v40, v[32:33]
	flat_load_dword v41, v[32:33] offset:2048
	;; [unrolled: 2-line block ×4, first 2 shown]
	v_add_co_u32_e32 v32, vcc, s8, v30
	s_nop 1
	v_addc_co_u32_e32 v33, vcc, 0, v31, vcc
	v_add_co_u32_e32 v34, vcc, s5, v30
	s_mov_b32 s5, 1
	s_nop 0
	v_addc_co_u32_e32 v35, vcc, 0, v31, vcc
	v_add_co_u32_e32 v30, vcc, s3, v30
	s_nop 1
	v_addc_co_u32_e32 v31, vcc, 0, v31, vcc
	flat_load_dword v36, v[32:33]
	flat_load_dword v37, v[32:33] offset:2048
	flat_load_dword v46, v[34:35]
	flat_load_dword v47, v[34:35] offset:2048
	;; [unrolled: 2-line block ×3, first 2 shown]
	v_lshlrev_b32_e32 v30, 2, v0
	v_sub_u32_e32 v32, v1, v30
	v_mad_u32_u24 v1, v0, 52, v32
	v_cmp_eq_u64_e32 vcc, v[26:27], v[28:29]
	v_mov_b64_e32 v[30:31], s[4:5]
	v_mov_b32_e32 v26, s58
	s_waitcnt vmcnt(0) lgkmcnt(0)
	ds_write2st64_b32 v32, v38, v39 offset1:4
	ds_write2st64_b32 v32, v40, v41 offset0:8 offset1:12
	ds_write2st64_b32 v32, v42, v43 offset0:16 offset1:20
	;; [unrolled: 1-line block ×6, first 2 shown]
	s_waitcnt lgkmcnt(0)
	s_barrier
	ds_read2_b32 v[34:35], v1 offset0:1 offset1:2
	ds_read2_b32 v[38:39], v1 offset0:3 offset1:4
	;; [unrolled: 1-line block ×6, first 2 shown]
	ds_read_b32 v1, v1 offset:52
	s_and_saveexec_b64 s[4:5], vcc
	s_cbranch_execz .LBB1004_81
; %bb.80:
	v_mul_u32_u24_e32 v26, 52, v0
	v_add_u32_e32 v26, v32, v26
	ds_read_b32 v26, v26
	v_mov_b64_e32 v[30:31], 0
.LBB1004_81:
	s_or_b64 exec, exec, s[4:5]
	s_waitcnt lgkmcnt(0)
	v_or_b32_e32 v30, v30, v26
	v_mov_b32_e32 v26, s58
	v_cmp_eq_u64_e32 vcc, v[28:29], v[22:23]
	v_cmp_ne_u64_e64 s[8:9], v[4:5], v[58:59]
	s_mov_b64 s[10:11], -1
	v_cndmask_b32_e32 v32, v26, v34, vcc
	v_cmp_ne_u64_e32 vcc, v[28:29], v[22:23]
	v_cndmask_b32_e64 v58, v1, v26, s[8:9]
                                        ; implicit-def: $sgpr6_sgpr7
	s_nop 0
	v_cndmask_b32_e64 v33, 0, 1, vcc
	v_cmp_eq_u64_e32 vcc, v[22:23], v[24:25]
	s_nop 1
	v_cndmask_b32_e32 v34, v26, v35, vcc
	v_cmp_ne_u64_e32 vcc, v[22:23], v[24:25]
	s_nop 1
	v_cndmask_b32_e64 v35, 0, 1, vcc
	v_cmp_eq_u64_e32 vcc, v[24:25], v[18:19]
	s_nop 1
	v_cndmask_b32_e32 v36, v26, v38, vcc
	v_cmp_ne_u64_e32 vcc, v[24:25], v[18:19]
	;; [unrolled: 6-line block ×11, first 2 shown]
	s_nop 1
	v_cndmask_b32_e64 v55, 0, 1, vcc
.LBB1004_82:
	v_mov_b64_e32 v[14:15], s[6:7]
	s_and_saveexec_b64 s[4:5], s[10:11]
; %bb.83:
	v_cndmask_b32_e64 v59, 0, 1, s[8:9]
	v_mov_b64_e32 v[14:15], v[58:59]
; %bb.84:
	s_or_b64 exec, exec, s[4:5]
	s_mov_b32 s26, 0
	s_cmp_lg_u32 s2, 0
	v_or3_b32 v24, v15, v55, v53
	v_lshrrev_b32_e32 v1, 5, v0
	v_cmp_gt_u32_e32 vcc, 64, v0
	s_barrier
	s_cbranch_scc0 .LBB1004_131
; %bb.85:
	s_mov_b32 s27, 1
	v_cmp_gt_u64_e64 s[30:31], s[26:27], v[32:33]
	v_cmp_gt_u64_e64 s[4:5], s[26:27], v[34:35]
	v_cmp_gt_u64_e64 s[6:7], s[26:27], v[36:37]
	v_cndmask_b32_e64 v2, 0, v30, s[30:31]
	v_add_u32_e32 v2, v2, v32
	v_cndmask_b32_e64 v2, 0, v2, s[4:5]
	v_add_u32_e32 v2, v2, v34
	v_cndmask_b32_e64 v2, 0, v2, s[6:7]
	v_add_u32_e32 v2, v2, v36
	v_cmp_gt_u64_e64 s[8:9], s[26:27], v[38:39]
	v_cmp_gt_u64_e64 s[10:11], s[26:27], v[40:41]
	v_cmp_gt_u64_e64 s[12:13], s[26:27], v[42:43]
	v_cndmask_b32_e64 v2, 0, v2, s[8:9]
	v_add_u32_e32 v2, v2, v38
	v_cndmask_b32_e64 v2, 0, v2, s[10:11]
	v_add_u32_e32 v2, v2, v40
	v_cndmask_b32_e64 v2, 0, v2, s[12:13]
	v_add_u32_e32 v2, v2, v42
	;; [unrolled: 9-line block ×4, first 2 shown]
	v_cmp_gt_u64_e64 s[26:27], s[26:27], v[14:15]
	s_nop 1
	v_cndmask_b32_e64 v2, 0, v2, s[26:27]
	v_add_u32_e32 v16, v2, v14
	v_or3_b32 v2, v24, v51, v49
	v_or3_b32 v2, v2, v47, v45
	;; [unrolled: 1-line block ×5, first 2 shown]
	v_and_b32_e32 v2, 1, v2
	v_cmp_eq_u32_e64 s[26:27], 1, v2
	v_add_lshl_u32 v2, v1, v0, 3
	s_nop 0
	v_cndmask_b32_e64 v17, v31, 1, s[26:27]
	ds_write_b32 v2, v16
	ds_write_b8 v2, v17 offset:4
	s_waitcnt lgkmcnt(0)
	s_barrier
	s_and_saveexec_b64 s[28:29], vcc
	s_cbranch_execz .LBB1004_97
; %bb.86:
	v_lshlrev_b32_e32 v2, 2, v0
	v_lshrrev_b32_e32 v3, 3, v0
	v_add_lshl_u32 v4, v3, v2, 3
	ds_read2_b32 v[6:7], v4 offset0:2 offset1:4
	ds_read_b64 v[2:3], v4
	ds_read_u8 v8, v4 offset:12
	ds_read_u8 v9, v4 offset:20
	ds_read_b32 v10, v4 offset:24
	ds_read_u8 v11, v4 offset:28
	v_mov_b32_e32 v12, 0
	s_waitcnt lgkmcnt(3)
	v_cmp_eq_u16_sdwa s[26:27], v8, v12 src0_sel:BYTE_0 src1_sel:DWORD
	v_and_b32_e32 v5, 1, v3
	s_nop 0
	v_cndmask_b32_e64 v13, 0, v2, s[26:27]
	v_add_u32_e32 v6, v13, v6
	s_waitcnt lgkmcnt(2)
	v_cmp_eq_u16_sdwa s[26:27], v9, v12 src0_sel:BYTE_0 src1_sel:DWORD
	s_nop 1
	v_cndmask_b32_e64 v6, 0, v6, s[26:27]
	v_add_u32_e32 v6, v6, v7
	s_waitcnt lgkmcnt(0)
	v_cmp_eq_u16_e64 s[26:27], 0, v11
	s_nop 1
	v_cndmask_b32_e64 v6, 0, v6, s[26:27]
	v_add_u32_e32 v7, v6, v10
	v_or_b32_e32 v6, v11, v9
	v_or_b32_e32 v6, v6, v8
	v_and_b32_e32 v6, 1, v6
	v_cmp_eq_u32_e64 s[26:27], 1, v6
	v_mbcnt_lo_u32_b32 v8, -1, 0
	v_and_b32_e32 v6, 0xffffff00, v3
	v_cndmask_b32_e64 v9, v5, 1, s[26:27]
	v_mbcnt_hi_u32_b32 v8, -1, v8
	v_and_b32_e32 v11, 15, v8
	v_or_b32_sdwa v10, v6, v9 dst_sel:DWORD dst_unused:UNUSED_PAD src0_sel:DWORD src1_sel:WORD_0
	v_mov_b32_dpp v12, v7 row_shr:1 row_mask:0xf bank_mask:0xf
	v_cmp_ne_u32_e64 s[26:27], 0, v11
	v_mov_b32_dpp v13, v10 row_shr:1 row_mask:0xf bank_mask:0xf
	s_and_saveexec_b64 s[34:35], s[26:27]
; %bb.87:
	v_and_b32_e32 v10, 1, v9
	v_and_b32_e32 v13, 1, v13
	v_cmp_eq_u32_e64 s[26:27], 1, v10
	s_nop 1
	v_cndmask_b32_e64 v13, v13, 1, s[26:27]
	v_cmp_eq_u16_e64 s[26:27], 0, v9
	v_or_b32_sdwa v10, v6, v13 dst_sel:DWORD dst_unused:UNUSED_PAD src0_sel:DWORD src1_sel:WORD_0
	s_nop 0
	v_cndmask_b32_e64 v9, 0, v12, s[26:27]
	v_add_u32_e32 v7, v9, v7
	v_mov_b32_e32 v9, v13
; %bb.88:
	s_or_b64 exec, exec, s[34:35]
	v_mov_b32_dpp v12, v7 row_shr:2 row_mask:0xf bank_mask:0xf
	v_mov_b32_dpp v13, v10 row_shr:2 row_mask:0xf bank_mask:0xf
	v_cmp_lt_u32_e64 s[26:27], 1, v11
	s_and_saveexec_b64 s[34:35], s[26:27]
; %bb.89:
	v_and_b32_e32 v10, 1, v9
	v_and_b32_e32 v13, 1, v13
	v_cmp_eq_u32_e64 s[26:27], 1, v10
	s_nop 1
	v_cndmask_b32_e64 v13, v13, 1, s[26:27]
	v_cmp_eq_u16_e64 s[26:27], 0, v9
	v_or_b32_sdwa v10, v6, v13 dst_sel:DWORD dst_unused:UNUSED_PAD src0_sel:DWORD src1_sel:WORD_0
	s_nop 0
	v_cndmask_b32_e64 v9, 0, v12, s[26:27]
	v_add_u32_e32 v7, v9, v7
	v_mov_b32_e32 v9, v13
; %bb.90:
	s_or_b64 exec, exec, s[34:35]
	v_mov_b32_dpp v12, v7 row_shr:4 row_mask:0xf bank_mask:0xf
	v_mov_b32_dpp v13, v10 row_shr:4 row_mask:0xf bank_mask:0xf
	v_cmp_lt_u32_e64 s[26:27], 3, v11
	;; [unrolled: 18-line block ×3, first 2 shown]
	s_and_saveexec_b64 s[34:35], s[26:27]
; %bb.93:
	v_and_b32_e32 v10, 1, v9
	v_and_b32_e32 v11, 1, v13
	v_cmp_eq_u32_e64 s[26:27], 1, v10
	s_nop 1
	v_cndmask_b32_e64 v11, v11, 1, s[26:27]
	v_cmp_eq_u16_e64 s[26:27], 0, v9
	v_or_b32_sdwa v10, v6, v11 dst_sel:DWORD dst_unused:UNUSED_PAD src0_sel:DWORD src1_sel:WORD_0
	s_nop 0
	v_cndmask_b32_e64 v9, 0, v12, s[26:27]
	v_add_u32_e32 v7, v9, v7
	v_mov_b32_e32 v9, v11
; %bb.94:
	s_or_b64 exec, exec, s[34:35]
	v_and_b32_e32 v13, 16, v8
	v_mov_b32_dpp v11, v7 row_bcast:15 row_mask:0xf bank_mask:0xf
	v_mov_b32_dpp v12, v10 row_bcast:15 row_mask:0xf bank_mask:0xf
	v_cmp_ne_u32_e64 s[26:27], 0, v13
	s_and_saveexec_b64 s[34:35], s[26:27]
; %bb.95:
	v_and_b32_e32 v10, 1, v9
	v_and_b32_e32 v12, 1, v12
	v_cmp_eq_u32_e64 s[26:27], 1, v10
	s_nop 1
	v_cndmask_b32_e64 v12, v12, 1, s[26:27]
	v_cmp_eq_u16_e64 s[26:27], 0, v9
	v_or_b32_sdwa v10, v6, v12 dst_sel:DWORD dst_unused:UNUSED_PAD src0_sel:DWORD src1_sel:WORD_0
	s_nop 0
	v_cndmask_b32_e64 v9, 0, v11, s[26:27]
	v_add_u32_e32 v7, v9, v7
	v_mov_b32_e32 v9, v12
; %bb.96:
	s_or_b64 exec, exec, s[34:35]
	v_mov_b32_dpp v10, v10 row_bcast:31 row_mask:0xf bank_mask:0xf
	v_and_b32_e32 v12, 1, v9
	v_and_b32_e32 v10, 1, v10
	v_cmp_eq_u32_e64 s[26:27], 1, v12
	v_mov_b32_e32 v12, 0
	v_cmp_eq_u16_sdwa s[34:35], v9, v12 src0_sel:BYTE_0 src1_sel:DWORD
	v_cndmask_b32_e64 v10, v10, 1, s[26:27]
	v_cmp_lt_u32_e64 s[26:27], 31, v8
	v_mov_b32_dpp v11, v7 row_bcast:31 row_mask:0xf bank_mask:0xf
	s_movk_i32 s3, 0xff
	v_cndmask_b32_e64 v9, v9, v10, s[26:27]
	s_and_b64 s[26:27], s[26:27], s[34:35]
	v_cndmask_b32_e64 v10, 0, v11, s[26:27]
	v_add_u32_e32 v7, v10, v7
	v_add_u32_e32 v10, -1, v8
	v_and_b32_e32 v11, 64, v8
	v_cmp_lt_i32_e64 s[26:27], v10, v11
	v_and_or_b32 v6, v9, s3, v6
	s_nop 0
	v_cndmask_b32_e64 v8, v10, v8, s[26:27]
	v_lshlrev_b32_e32 v8, 2, v8
	ds_bpermute_b32 v7, v8, v7
	ds_bpermute_b32 v6, v8, v6
	v_cmp_eq_u16_sdwa s[26:27], v3, v12 src0_sel:BYTE_0 src1_sel:DWORD
	; wave barrier
	s_waitcnt lgkmcnt(1)
	s_nop 0
	v_cndmask_b32_e64 v3, 0, v7, s[26:27]
	v_add_u32_e32 v2, v3, v2
	s_waitcnt lgkmcnt(0)
	v_and_b32_e32 v3, 1, v6
	v_cmp_eq_u32_e64 s[26:27], 1, v5
	s_nop 1
	v_cndmask_b32_e64 v3, v3, 1, s[26:27]
	v_cmp_eq_u32_e64 s[26:27], 0, v0
	s_nop 1
	v_cndmask_b32_e64 v5, v2, v16, s[26:27]
	v_cndmask_b32_e64 v6, v3, v17, s[26:27]
	ds_write_b32 v4, v5
	ds_write_b8 v4, v6 offset:4
	; wave barrier
	ds_read_u8 v7, v4 offset:12
	ds_read2_b32 v[2:3], v4 offset0:2 offset1:4
	ds_read_u8 v8, v4 offset:20
	ds_read_b32 v9, v4 offset:24
	ds_read_u8 v10, v4 offset:28
	s_waitcnt lgkmcnt(4)
	v_cmp_eq_u16_e64 s[26:27], 0, v7
	s_nop 1
	v_cndmask_b32_e64 v5, 0, v5, s[26:27]
	s_waitcnt lgkmcnt(3)
	v_add_u32_e32 v2, v5, v2
	v_and_b32_e32 v5, 1, v7
	v_cmp_eq_u32_e64 s[26:27], 1, v5
	s_nop 1
	v_cndmask_b32_e64 v5, v6, 1, s[26:27]
	s_waitcnt lgkmcnt(2)
	v_cmp_eq_u16_e64 s[26:27], 0, v8
	ds_write_b8 v4, v5 offset:12
	s_nop 0
	v_cndmask_b32_e64 v6, 0, v2, s[26:27]
	v_add_u32_e32 v3, v6, v3
	v_and_b32_e32 v6, 1, v8
	v_cmp_eq_u32_e64 s[26:27], 1, v6
	s_nop 1
	v_cndmask_b32_e64 v5, v5, 1, s[26:27]
	s_waitcnt lgkmcnt(1)
	v_cmp_eq_u16_e64 s[26:27], 0, v10
	ds_write2_b32 v4, v2, v3 offset0:2 offset1:4
	ds_write_b8 v4, v5 offset:20
	v_cndmask_b32_e64 v2, 0, v3, s[26:27]
	v_and_b32_e32 v3, 1, v10
	v_add_u32_e32 v2, v2, v9
	v_cmp_eq_u32_e64 s[26:27], 1, v3
	s_nop 1
	v_cndmask_b32_e64 v3, v5, 1, s[26:27]
	ds_write_b32 v4, v2 offset:24
	ds_write_b8 v4, v3 offset:28
.LBB1004_97:
	s_or_b64 exec, exec, s[28:29]
	v_cmp_eq_u32_e64 s[26:27], 0, v0
	v_cmp_ne_u32_e64 s[28:29], 0, v0
	s_waitcnt lgkmcnt(0)
	s_barrier
	s_and_saveexec_b64 s[34:35], s[28:29]
	s_cbranch_execz .LBB1004_99
; %bb.98:
	v_add_u32_e32 v2, -1, v0
	v_lshrrev_b32_e32 v3, 5, v2
	v_add_lshl_u32 v2, v3, v2, 3
	ds_read_b32 v16, v2
	ds_read_u8 v17, v2 offset:4
.LBB1004_99:
	s_or_b64 exec, exec, s[34:35]
	s_and_saveexec_b64 s[40:41], vcc
	s_cbranch_execz .LBB1004_118
; %bb.100:
	v_mov_b32_e32 v5, 0
	ds_read_b64 v[2:3], v5 offset:2096
	v_mbcnt_lo_u32_b32 v4, -1, 0
	v_mbcnt_hi_u32_b32 v28, -1, v4
	s_mov_b32 s49, 0
	v_cmp_eq_u32_e64 s[28:29], 0, v28
	s_waitcnt lgkmcnt(0)
	v_readfirstlane_b32 s3, v3
	s_and_saveexec_b64 s[34:35], s[28:29]
	s_cbranch_execz .LBB1004_102
; %bb.101:
	s_add_i32 s48, s2, 64
	s_lshl_b64 s[54:55], s[48:49], 4
	s_add_u32 s54, s44, s54
	s_addc_u32 s55, s45, s55
	s_and_b32 s57, s3, 0xff000000
	s_mov_b32 s56, s49
	s_and_b32 s61, s3, 0xff0000
	s_mov_b32 s60, s49
	s_or_b64 s[56:57], s[60:61], s[56:57]
	s_and_b32 s61, s3, 0xff00
	s_or_b64 s[56:57], s[56:57], s[60:61]
	s_and_b32 s61, s3, 0xff
	s_or_b64 s[48:49], s[56:57], s[60:61]
	v_mov_b32_e32 v3, s49
	v_mov_b32_e32 v4, 1
	v_mov_b64_e32 v[6:7], s[54:55]
	;;#ASMSTART
	global_store_dwordx4 v[6:7], v[2:5] off sc1	
s_waitcnt vmcnt(0)
	;;#ASMEND
.LBB1004_102:
	s_or_b64 exec, exec, s[34:35]
	v_xad_u32 v10, v28, -1, s2
	v_add_u32_e32 v4, 64, v10
	v_lshl_add_u64 v[12:13], v[4:5], 4, s[44:45]
	;;#ASMSTART
	global_load_dwordx4 v[6:9], v[12:13] off sc1	
s_waitcnt vmcnt(0)
	;;#ASMEND
	s_nop 0
	v_and_b32_e32 v3, 0xff0000, v6
	v_and_b32_e32 v4, 0xff000000, v6
	v_and_b32_e32 v7, 0xff, v7
	v_or_b32_sdwa v3, v6, v3 dst_sel:DWORD dst_unused:UNUSED_PAD src0_sel:WORD_0 src1_sel:DWORD
	v_or3_b32 v7, 0, 0, v7
	v_or3_b32 v6, v3, v4, 0
	v_cmp_eq_u16_sdwa s[48:49], v8, v5 src0_sel:BYTE_0 src1_sel:DWORD
	s_and_saveexec_b64 s[34:35], s[48:49]
	s_cbranch_execz .LBB1004_106
; %bb.103:
	s_mov_b64 s[48:49], 0
	v_mov_b32_e32 v3, 0
.LBB1004_104:                           ; =>This Inner Loop Header: Depth=1
	;;#ASMSTART
	global_load_dwordx4 v[6:9], v[12:13] off sc1	
s_waitcnt vmcnt(0)
	;;#ASMEND
	s_nop 0
	v_cmp_ne_u16_sdwa s[54:55], v8, v3 src0_sel:BYTE_0 src1_sel:DWORD
	s_or_b64 s[48:49], s[54:55], s[48:49]
	s_andn2_b64 exec, exec, s[48:49]
	s_cbranch_execnz .LBB1004_104
; %bb.105:
	s_or_b64 exec, exec, s[48:49]
	v_and_b32_e32 v7, 0xff, v7
.LBB1004_106:
	s_or_b64 exec, exec, s[34:35]
	v_mov_b32_e32 v3, 2
	v_cmp_eq_u16_sdwa s[34:35], v8, v3 src0_sel:BYTE_0 src1_sel:DWORD
	v_lshlrev_b64 v[4:5], v28, -1
	v_and_b32_e32 v18, 63, v28
	v_and_b32_e32 v9, s35, v5
	v_or_b32_e32 v9, 0x80000000, v9
	v_and_b32_e32 v11, s34, v4
	v_ffbl_b32_e32 v9, v9
	v_add_u32_e32 v9, 32, v9
	v_ffbl_b32_e32 v11, v11
	v_cmp_ne_u32_e32 vcc, 63, v18
	v_min_u32_e32 v9, v11, v9
	s_mov_b32 s48, 0
	v_addc_co_u32_e32 v11, vcc, 0, v28, vcc
	v_lshlrev_b32_e32 v19, 2, v11
	ds_bpermute_b32 v11, v19, v7
	ds_bpermute_b32 v12, v19, v6
	v_and_b32_e32 v13, 1, v7
	s_mov_b32 s49, 1
	v_cmp_eq_u32_e32 vcc, 1, v13
	s_waitcnt lgkmcnt(1)
	v_and_b32_e32 v11, 1, v11
	v_cmp_lt_u32_e64 s[34:35], v18, v9
	v_cndmask_b32_e64 v11, v11, 1, vcc
	v_cmp_gt_u64_e32 vcc, s[48:49], v[6:7]
	s_and_b64 vcc, s[34:35], vcc
	v_and_b32_e32 v13, 0xffff, v11
	v_cndmask_b32_e64 v22, v7, v11, s[34:35]
	s_waitcnt lgkmcnt(0)
	v_cndmask_b32_e32 v11, 0, v12, vcc
	v_cmp_gt_u32_e32 vcc, 62, v18
	v_cndmask_b32_e64 v7, v7, v13, s[34:35]
	v_add_u32_e32 v6, v11, v6
	v_cndmask_b32_e64 v12, 0, 1, vcc
	v_lshlrev_b32_e32 v12, 1, v12
	v_add_lshl_u32 v20, v12, v28, 2
	ds_bpermute_b32 v12, v20, v7
	ds_bpermute_b32 v13, v20, v6
	v_and_b32_e32 v11, 1, v22
	v_cmp_eq_u32_e32 vcc, 1, v11
	v_mov_b32_e32 v11, 0
	s_waitcnt lgkmcnt(1)
	v_and_b32_e32 v12, 1, v12
	v_add_u32_e32 v21, 2, v18
	v_cndmask_b32_e64 v12, v12, 1, vcc
	v_cmp_eq_u16_sdwa vcc, v22, v11 src0_sel:BYTE_0 src1_sel:DWORD
	v_and_b32_e32 v23, 0xffff, v12
	v_add_u32_e32 v59, 32, v18
	s_waitcnt lgkmcnt(0)
	v_cndmask_b32_e32 v13, 0, v13, vcc
	v_cmp_gt_u32_e32 vcc, v21, v9
	s_nop 1
	v_cndmask_b32_e32 v12, v12, v22, vcc
	v_cndmask_b32_e64 v13, v13, 0, vcc
	v_cndmask_b32_e32 v7, v23, v7, vcc
	v_cmp_gt_u32_e32 vcc, 60, v18
	v_add_u32_e32 v6, v13, v6
	v_and_b32_e32 v26, 1, v12
	v_cndmask_b32_e64 v22, 0, 1, vcc
	v_lshlrev_b32_e32 v22, 2, v22
	v_add_lshl_u32 v22, v22, v28, 2
	ds_bpermute_b32 v25, v22, v7
	ds_bpermute_b32 v13, v22, v6
	v_cmp_eq_u32_e32 vcc, 1, v26
	v_add_u32_e32 v23, 4, v18
	s_waitcnt lgkmcnt(1)
	v_and_b32_e32 v25, 1, v25
	v_cndmask_b32_e64 v25, v25, 1, vcc
	v_cmp_eq_u16_sdwa vcc, v12, v11 src0_sel:BYTE_0 src1_sel:DWORD
	v_and_b32_e32 v26, 0xffff, v25
	s_waitcnt lgkmcnt(0)
	v_cndmask_b32_e32 v13, 0, v13, vcc
	v_cmp_gt_u32_e32 vcc, v23, v9
	s_nop 1
	v_cndmask_b32_e32 v12, v25, v12, vcc
	v_cndmask_b32_e64 v13, v13, 0, vcc
	v_cndmask_b32_e32 v7, v26, v7, vcc
	v_cmp_gt_u32_e32 vcc, 56, v18
	v_add_u32_e32 v6, v13, v6
	v_and_b32_e32 v29, 1, v12
	v_cndmask_b32_e64 v25, 0, 1, vcc
	v_lshlrev_b32_e32 v25, 3, v25
	v_add_lshl_u32 v25, v25, v28, 2
	ds_bpermute_b32 v27, v25, v7
	ds_bpermute_b32 v13, v25, v6
	v_cmp_eq_u32_e32 vcc, 1, v29
	v_add_u32_e32 v26, 8, v18
	s_waitcnt lgkmcnt(1)
	v_and_b32_e32 v27, 1, v27
	v_cndmask_b32_e64 v27, v27, 1, vcc
	v_cmp_eq_u16_sdwa vcc, v12, v11 src0_sel:BYTE_0 src1_sel:DWORD
	v_and_b32_e32 v29, 0xffff, v27
	;; [unrolled: 22-line block ×3, first 2 shown]
	s_waitcnt lgkmcnt(0)
	v_cndmask_b32_e32 v13, 0, v13, vcc
	v_cmp_gt_u32_e32 vcc, v29, v9
	s_nop 1
	v_cndmask_b32_e32 v12, v57, v12, vcc
	v_cndmask_b32_e64 v13, v13, 0, vcc
	v_cndmask_b32_e32 v7, v58, v7, vcc
	v_cmp_gt_u32_e32 vcc, 32, v18
	v_add_u32_e32 v6, v13, v6
	s_nop 0
	v_cndmask_b32_e64 v57, 0, 1, vcc
	v_lshlrev_b32_e32 v57, 5, v57
	v_add_lshl_u32 v58, v57, v28, 2
	ds_bpermute_b32 v7, v58, v7
	ds_bpermute_b32 v13, v58, v6
	v_and_b32_e32 v28, 1, v12
	v_cmp_eq_u32_e32 vcc, 1, v28
	s_waitcnt lgkmcnt(1)
	v_and_b32_e32 v7, 1, v7
	v_cndmask_b32_e64 v7, v7, 1, vcc
	v_cmp_eq_u16_sdwa vcc, v12, v11 src0_sel:BYTE_0 src1_sel:DWORD
	s_waitcnt lgkmcnt(0)
	s_nop 0
	v_cndmask_b32_e32 v13, 0, v13, vcc
	v_cmp_gt_u32_e32 vcc, v59, v9
	s_nop 1
	v_cndmask_b32_e64 v9, v13, 0, vcc
	v_cndmask_b32_e32 v7, v7, v12, vcc
	v_add_u32_e32 v6, v9, v6
	s_branch .LBB1004_108
.LBB1004_107:                           ;   in Loop: Header=BB1004_108 Depth=1
	s_or_b64 exec, exec, s[34:35]
	v_cmp_eq_u16_sdwa s[34:35], v8, v3 src0_sel:BYTE_0 src1_sel:DWORD
	ds_bpermute_b32 v13, v19, v7
	v_and_b32_e32 v60, 1, v7
	v_and_b32_e32 v9, s35, v5
	v_or_b32_e32 v9, 0x80000000, v9
	v_and_b32_e32 v12, s34, v4
	v_ffbl_b32_e32 v9, v9
	v_add_u32_e32 v9, 32, v9
	v_ffbl_b32_e32 v12, v12
	v_min_u32_e32 v9, v12, v9
	ds_bpermute_b32 v12, v19, v6
	s_waitcnt lgkmcnt(1)
	v_and_b32_e32 v13, 1, v13
	v_cmp_eq_u32_e32 vcc, 1, v60
	v_cmp_lt_u32_e64 s[34:35], v18, v9
	v_subrev_u32_e32 v10, 64, v10
	v_cndmask_b32_e64 v13, v13, 1, vcc
	v_cmp_gt_u64_e32 vcc, s[48:49], v[6:7]
	v_and_b32_e32 v60, 0xffff, v13
	v_cndmask_b32_e64 v13, v7, v13, s[34:35]
	v_cndmask_b32_e64 v7, v7, v60, s[34:35]
	s_and_b64 vcc, s[34:35], vcc
	ds_bpermute_b32 v60, v20, v7
	s_waitcnt lgkmcnt(1)
	v_cndmask_b32_e32 v12, 0, v12, vcc
	v_add_u32_e32 v6, v12, v6
	ds_bpermute_b32 v12, v20, v6
	v_and_b32_e32 v61, 1, v13
	s_waitcnt lgkmcnt(1)
	v_and_b32_e32 v60, 1, v60
	v_cmp_eq_u32_e32 vcc, 1, v61
	s_nop 1
	v_cndmask_b32_e64 v60, v60, 1, vcc
	v_cmp_eq_u16_sdwa vcc, v13, v11 src0_sel:BYTE_0 src1_sel:DWORD
	v_and_b32_e32 v61, 0xffff, v60
	s_waitcnt lgkmcnt(0)
	v_cndmask_b32_e32 v12, 0, v12, vcc
	v_cmp_gt_u32_e32 vcc, v21, v9
	s_nop 1
	v_cndmask_b32_e32 v7, v61, v7, vcc
	v_cndmask_b32_e32 v13, v60, v13, vcc
	ds_bpermute_b32 v60, v22, v7
	v_cndmask_b32_e64 v12, v12, 0, vcc
	v_add_u32_e32 v6, v12, v6
	ds_bpermute_b32 v12, v22, v6
	v_and_b32_e32 v61, 1, v13
	s_waitcnt lgkmcnt(1)
	v_and_b32_e32 v60, 1, v60
	v_cmp_eq_u32_e32 vcc, 1, v61
	s_nop 1
	v_cndmask_b32_e64 v60, v60, 1, vcc
	v_cmp_eq_u16_sdwa vcc, v13, v11 src0_sel:BYTE_0 src1_sel:DWORD
	v_and_b32_e32 v61, 0xffff, v60
	s_waitcnt lgkmcnt(0)
	v_cndmask_b32_e32 v12, 0, v12, vcc
	v_cmp_gt_u32_e32 vcc, v23, v9
	s_nop 1
	v_cndmask_b32_e32 v7, v61, v7, vcc
	v_cndmask_b32_e32 v13, v60, v13, vcc
	ds_bpermute_b32 v60, v25, v7
	v_cndmask_b32_e64 v12, v12, 0, vcc
	;; [unrolled: 18-line block ×3, first 2 shown]
	v_add_u32_e32 v6, v12, v6
	ds_bpermute_b32 v12, v27, v6
	v_and_b32_e32 v61, 1, v13
	s_waitcnt lgkmcnt(1)
	v_and_b32_e32 v60, 1, v60
	v_cmp_eq_u32_e32 vcc, 1, v61
	s_nop 1
	v_cndmask_b32_e64 v60, v60, 1, vcc
	v_cmp_eq_u16_sdwa vcc, v13, v11 src0_sel:BYTE_0 src1_sel:DWORD
	v_and_b32_e32 v61, 0xffff, v60
	s_waitcnt lgkmcnt(0)
	v_cndmask_b32_e32 v12, 0, v12, vcc
	v_cmp_gt_u32_e32 vcc, v29, v9
	s_nop 1
	v_cndmask_b32_e64 v12, v12, 0, vcc
	v_cndmask_b32_e32 v7, v61, v7, vcc
	ds_bpermute_b32 v7, v58, v7
	v_add_u32_e32 v6, v12, v6
	ds_bpermute_b32 v12, v58, v6
	v_cndmask_b32_e32 v13, v60, v13, vcc
	v_and_b32_e32 v60, 1, v13
	v_cmp_eq_u32_e32 vcc, 1, v60
	s_waitcnt lgkmcnt(1)
	s_nop 0
	v_cndmask_b32_e64 v7, v7, 1, vcc
	v_cmp_eq_u16_sdwa vcc, v13, v11 src0_sel:BYTE_0 src1_sel:DWORD
	s_waitcnt lgkmcnt(0)
	s_nop 0
	v_cndmask_b32_e32 v12, 0, v12, vcc
	v_cmp_gt_u32_e32 vcc, v59, v9
	s_nop 1
	v_cndmask_b32_e64 v9, v12, 0, vcc
	v_cndmask_b32_e32 v7, v7, v13, vcc
	v_add_u32_e32 v6, v9, v6
	v_cmp_eq_u16_sdwa vcc, v28, v11 src0_sel:BYTE_0 src1_sel:DWORD
	v_and_b32_e32 v9, 1, v28
	v_and_b32_e32 v7, 1, v7
	v_cndmask_b32_e32 v6, 0, v6, vcc
	v_cmp_eq_u32_e32 vcc, 1, v9
	v_add_u32_e32 v6, v6, v57
	s_nop 0
	v_cndmask_b32_e64 v7, v7, 1, vcc
.LBB1004_108:                           ; =>This Loop Header: Depth=1
                                        ;     Child Loop BB1004_111 Depth 2
	v_cmp_ne_u16_sdwa s[34:35], v8, v3 src0_sel:BYTE_0 src1_sel:DWORD
	v_mov_b32_e32 v28, v7
	v_mov_b32_e32 v57, v6
	v_cndmask_b32_e64 v7, 0, 1, s[34:35]
	;;#ASMSTART
	;;#ASMEND
	s_nop 0
	v_cmp_ne_u32_e32 vcc, 0, v7
	s_cmp_lg_u64 vcc, exec
	s_cbranch_scc1 .LBB1004_113
; %bb.109:                              ;   in Loop: Header=BB1004_108 Depth=1
	v_lshl_add_u64 v[12:13], v[10:11], 4, s[44:45]
	;;#ASMSTART
	global_load_dwordx4 v[6:9], v[12:13] off sc1	
s_waitcnt vmcnt(0)
	;;#ASMEND
	s_nop 0
	v_and_b32_e32 v9, 0xff0000, v6
	v_and_b32_e32 v60, 0xff000000, v6
	;; [unrolled: 1-line block ×3, first 2 shown]
	v_or_b32_sdwa v6, v6, v9 dst_sel:DWORD dst_unused:UNUSED_PAD src0_sel:WORD_0 src1_sel:DWORD
	v_or3_b32 v7, 0, 0, v7
	v_or3_b32 v6, v6, v60, 0
	v_cmp_eq_u16_sdwa s[54:55], v8, v11 src0_sel:BYTE_0 src1_sel:DWORD
	s_and_saveexec_b64 s[34:35], s[54:55]
	s_cbranch_execz .LBB1004_107
; %bb.110:                              ;   in Loop: Header=BB1004_108 Depth=1
	s_mov_b64 s[54:55], 0
.LBB1004_111:                           ;   Parent Loop BB1004_108 Depth=1
                                        ; =>  This Inner Loop Header: Depth=2
	;;#ASMSTART
	global_load_dwordx4 v[6:9], v[12:13] off sc1	
s_waitcnt vmcnt(0)
	;;#ASMEND
	s_nop 0
	v_cmp_ne_u16_sdwa s[56:57], v8, v11 src0_sel:BYTE_0 src1_sel:DWORD
	s_or_b64 s[54:55], s[56:57], s[54:55]
	s_andn2_b64 exec, exec, s[54:55]
	s_cbranch_execnz .LBB1004_111
; %bb.112:                              ;   in Loop: Header=BB1004_108 Depth=1
	s_or_b64 exec, exec, s[54:55]
	v_and_b32_e32 v7, 0xff, v7
	s_branch .LBB1004_107
.LBB1004_113:                           ;   in Loop: Header=BB1004_108 Depth=1
                                        ; implicit-def: $vgpr7
                                        ; implicit-def: $vgpr6
                                        ; implicit-def: $vgpr8
	s_cbranch_execz .LBB1004_108
; %bb.114:
	s_and_saveexec_b64 s[34:35], s[28:29]
	s_cbranch_execz .LBB1004_116
; %bb.115:
	s_and_b32 s28, s3, 0xff
	s_cmp_eq_u32 s28, 0
	s_cselect_b64 vcc, -1, 0
	s_bitcmp1_b32 s3, 0
	s_mov_b32 s29, 0
	s_cselect_b64 s[48:49], -1, 0
	s_add_i32 s28, s2, 64
	s_lshl_b64 s[2:3], s[28:29], 4
	v_cndmask_b32_e32 v3, 0, v57, vcc
	s_add_u32 s2, s44, s2
	v_add_u32_e32 v2, v3, v2
	v_and_b32_e32 v3, 1, v28
	s_addc_u32 s3, s45, s3
	v_mov_b32_e32 v5, 0
	v_cndmask_b32_e64 v3, v3, 1, s[48:49]
	v_mov_b32_e32 v4, 2
	v_mov_b64_e32 v[6:7], s[2:3]
	;;#ASMSTART
	global_store_dwordx4 v[6:7], v[2:5] off sc1	
s_waitcnt vmcnt(0)
	;;#ASMEND
.LBB1004_116:
	s_or_b64 exec, exec, s[34:35]
	s_and_b64 exec, exec, s[26:27]
	s_cbranch_execz .LBB1004_118
; %bb.117:
	v_mov_b32_e32 v2, 0
	ds_write_b32 v2, v57
	ds_write_b8 v2, v28 offset:4
.LBB1004_118:
	s_or_b64 exec, exec, s[40:41]
	v_mov_b32_e32 v4, 0
	s_waitcnt lgkmcnt(0)
	s_barrier
	ds_read_b32 v2, v4
	v_cmp_eq_u16_sdwa vcc, v17, v4 src0_sel:BYTE_0 src1_sel:DWORD
	v_and_b32_e32 v5, 0xff, v31
	s_waitcnt lgkmcnt(0)
	v_cndmask_b32_e32 v3, 0, v2, vcc
	v_add_u32_e32 v3, v3, v16
	v_cndmask_b32_e64 v2, v3, v2, s[26:27]
	v_cmp_eq_u64_e32 vcc, 0, v[4:5]
	s_nop 1
	v_cndmask_b32_e32 v3, 0, v2, vcc
	v_add_u32_e32 v3, v3, v30
	v_cndmask_b32_e64 v4, 0, v3, s[30:31]
	v_add_u32_e32 v16, v4, v32
	v_cndmask_b32_e64 v4, 0, v16, s[4:5]
	;; [unrolled: 2-line block ×12, first 2 shown]
	v_add_u32_e32 v23, v4, v54
	s_branch .LBB1004_151
.LBB1004_119:
	s_or_b64 exec, exec, s[30:31]
                                        ; implicit-def: $vgpr55
	s_and_saveexec_b64 s[30:31], s[28:29]
	s_cbranch_execz .LBB1004_33
.LBB1004_120:
	v_mov_b32_e32 v55, 0
	v_lshl_add_u64 v[54:55], s[34:35], 0, v[54:55]
	flat_load_dword v55, v[54:55] offset:2048
	s_or_b64 exec, exec, s[30:31]
                                        ; implicit-def: $vgpr31
	s_and_saveexec_b64 s[28:29], s[4:5]
	s_cbranch_execnz .LBB1004_34
.LBB1004_121:
	s_or_b64 exec, exec, s[28:29]
                                        ; implicit-def: $vgpr30
	s_and_saveexec_b64 s[4:5], s[6:7]
	s_cbranch_execz .LBB1004_35
.LBB1004_122:
	v_mov_b32_e32 v33, 0
	v_lshl_add_u64 v[32:33], s[34:35], 0, v[32:33]
	flat_load_dword v30, v[32:33]
	s_or_b64 exec, exec, s[4:5]
                                        ; implicit-def: $vgpr32
	s_and_saveexec_b64 s[4:5], s[8:9]
	s_cbranch_execnz .LBB1004_36
.LBB1004_123:
	s_or_b64 exec, exec, s[4:5]
                                        ; implicit-def: $vgpr33
	s_and_saveexec_b64 s[4:5], s[10:11]
	s_cbranch_execz .LBB1004_37
.LBB1004_124:
	v_mov_b32_e32 v37, 0
	v_lshl_add_u64 v[34:35], s[34:35], 0, v[36:37]
	flat_load_dword v33, v[34:35]
	s_or_b64 exec, exec, s[4:5]
                                        ; implicit-def: $vgpr34
	s_and_saveexec_b64 s[4:5], s[12:13]
	s_cbranch_execnz .LBB1004_38
.LBB1004_125:
	s_or_b64 exec, exec, s[4:5]
                                        ; implicit-def: $vgpr35
	s_and_saveexec_b64 s[4:5], s[14:15]
	s_cbranch_execz .LBB1004_39
.LBB1004_126:
	v_mov_b32_e32 v41, 0
	v_lshl_add_u64 v[36:37], s[34:35], 0, v[40:41]
	flat_load_dword v35, v[36:37]
	s_or_b64 exec, exec, s[4:5]
                                        ; implicit-def: $vgpr36
	s_and_saveexec_b64 s[4:5], s[16:17]
	s_cbranch_execnz .LBB1004_40
.LBB1004_127:
	s_or_b64 exec, exec, s[4:5]
                                        ; implicit-def: $vgpr37
	s_and_saveexec_b64 s[4:5], s[18:19]
	s_cbranch_execz .LBB1004_41
.LBB1004_128:
	v_mov_b32_e32 v45, 0
	v_lshl_add_u64 v[38:39], s[34:35], 0, v[44:45]
	flat_load_dword v37, v[38:39]
	s_or_b64 exec, exec, s[4:5]
                                        ; implicit-def: $vgpr38
	s_and_saveexec_b64 s[4:5], s[20:21]
	s_cbranch_execnz .LBB1004_42
.LBB1004_129:
	s_or_b64 exec, exec, s[4:5]
                                        ; implicit-def: $vgpr39
	s_and_saveexec_b64 s[4:5], s[22:23]
	s_cbranch_execz .LBB1004_43
.LBB1004_130:
	v_mov_b32_e32 v49, 0
	v_lshl_add_u64 v[40:41], s[34:35], 0, v[48:49]
	flat_load_dword v39, v[40:41]
	s_or_b64 exec, exec, s[4:5]
                                        ; implicit-def: $vgpr40
	s_and_saveexec_b64 s[4:5], s[24:25]
	s_cbranch_execz .LBB1004_45
	s_branch .LBB1004_44
.LBB1004_131:
                                        ; implicit-def: $vgpr23
                                        ; implicit-def: $vgpr21
                                        ; implicit-def: $vgpr19
                                        ; implicit-def: $vgpr17
                                        ; implicit-def: $vgpr10_vgpr11_vgpr12_vgpr13
                                        ; implicit-def: $vgpr6_vgpr7_vgpr8_vgpr9
                                        ; implicit-def: $vgpr2_vgpr3_vgpr4_vgpr5
	s_cbranch_execz .LBB1004_151
; %bb.132:
	s_cmp_lg_u64 s[52:53], 0
	s_cselect_b32 s3, s51, 0
	s_cselect_b32 s2, s50, 0
	s_mov_b32 s24, 0
	s_cmp_eq_u64 s[2:3], 0
	v_mov_b32_e32 v8, s58
	s_cbranch_scc1 .LBB1004_134
; %bb.133:
	v_mov_b32_e32 v2, 0
	global_load_dword v8, v2, s[2:3]
.LBB1004_134:
	s_mov_b32 s25, 1
	v_cmp_gt_u64_e32 vcc, s[24:25], v[32:33]
	v_cmp_gt_u64_e64 s[2:3], s[24:25], v[34:35]
	v_cmp_gt_u64_e64 s[4:5], s[24:25], v[36:37]
	v_cndmask_b32_e32 v2, 0, v30, vcc
	v_add_u32_e32 v2, v2, v32
	v_cndmask_b32_e64 v2, 0, v2, s[2:3]
	v_add_u32_e32 v2, v2, v34
	v_cndmask_b32_e64 v2, 0, v2, s[4:5]
	v_add_u32_e32 v2, v2, v36
	v_cmp_gt_u64_e64 s[6:7], s[24:25], v[38:39]
	v_cmp_gt_u64_e64 s[8:9], s[24:25], v[40:41]
	v_cmp_gt_u64_e64 s[10:11], s[24:25], v[42:43]
	v_cndmask_b32_e64 v2, 0, v2, s[6:7]
	v_add_u32_e32 v2, v2, v38
	v_cndmask_b32_e64 v2, 0, v2, s[8:9]
	v_add_u32_e32 v2, v2, v40
	v_cndmask_b32_e64 v2, 0, v2, s[10:11]
	v_add_u32_e32 v2, v2, v42
	v_cmp_gt_u64_e64 s[12:13], s[24:25], v[44:45]
	v_cmp_gt_u64_e64 s[14:15], s[24:25], v[46:47]
	v_cmp_gt_u64_e64 s[16:17], s[24:25], v[48:49]
	v_cndmask_b32_e64 v2, 0, v2, s[12:13]
	;; [unrolled: 9-line block ×3, first 2 shown]
	v_add_u32_e32 v2, v2, v50
	v_cndmask_b32_e64 v2, 0, v2, s[20:21]
	v_add_u32_e32 v2, v2, v52
	v_cndmask_b32_e64 v2, 0, v2, s[22:23]
	v_add_u32_e32 v2, v2, v54
	v_cmp_gt_u64_e64 s[24:25], s[24:25], v[14:15]
	v_add_lshl_u32 v1, v1, v0, 3
	s_nop 0
	v_cndmask_b32_e64 v2, 0, v2, s[24:25]
	v_add_u32_e32 v4, v2, v14
	v_or3_b32 v2, v24, v51, v49
	v_or3_b32 v2, v2, v47, v45
	v_or3_b32 v2, v2, v43, v41
	v_or3_b32 v2, v2, v39, v37
	v_or3_b32 v2, v2, v35, v33
	v_and_b32_e32 v2, 1, v2
	v_cmp_eq_u32_e64 s[24:25], 1, v2
	s_nop 1
	v_cndmask_b32_e64 v5, v31, 1, s[24:25]
	v_cmp_gt_u32_e64 s[24:25], 64, v0
	ds_write_b32 v1, v4
	ds_write_b8 v1, v5 offset:4
	s_waitcnt lgkmcnt(0)
	s_barrier
	s_and_saveexec_b64 s[26:27], s[24:25]
	s_cbranch_execz .LBB1004_146
; %bb.135:
	v_lshlrev_b32_e32 v1, 2, v0
	v_lshrrev_b32_e32 v2, 3, v0
	v_add_lshl_u32 v1, v2, v1, 3
	ds_read2_b32 v[10:11], v1 offset0:2 offset1:4
	ds_read_b64 v[2:3], v1
	ds_read_u8 v7, v1 offset:12
	ds_read_u8 v12, v1 offset:20
	ds_read_b32 v9, v1 offset:24
	ds_read_u8 v13, v1 offset:28
	v_mov_b32_e32 v14, 0
	s_waitcnt lgkmcnt(3)
	v_cmp_eq_u16_sdwa s[24:25], v7, v14 src0_sel:BYTE_0 src1_sel:DWORD
	v_and_b32_e32 v6, 1, v3
	s_nop 0
	v_cndmask_b32_e64 v15, 0, v2, s[24:25]
	v_add_u32_e32 v10, v15, v10
	s_waitcnt lgkmcnt(2)
	v_cmp_eq_u16_sdwa s[24:25], v12, v14 src0_sel:BYTE_0 src1_sel:DWORD
	s_nop 1
	v_cndmask_b32_e64 v10, 0, v10, s[24:25]
	v_add_u32_e32 v10, v10, v11
	s_waitcnt lgkmcnt(0)
	v_cmp_eq_u16_e64 s[24:25], 0, v13
	s_nop 1
	v_cndmask_b32_e64 v10, 0, v10, s[24:25]
	v_add_u32_e32 v9, v10, v9
	v_or_b32_e32 v10, v13, v12
	v_or_b32_e32 v7, v10, v7
	v_and_b32_e32 v7, 1, v7
	v_cmp_eq_u32_e64 s[24:25], 1, v7
	v_mbcnt_lo_u32_b32 v10, -1, 0
	v_and_b32_e32 v7, 0xffffff00, v3
	v_cndmask_b32_e64 v11, v6, 1, s[24:25]
	v_mbcnt_hi_u32_b32 v10, -1, v10
	v_and_b32_e32 v13, 15, v10
	v_or_b32_sdwa v12, v7, v11 dst_sel:DWORD dst_unused:UNUSED_PAD src0_sel:DWORD src1_sel:WORD_0
	v_mov_b32_dpp v14, v9 row_shr:1 row_mask:0xf bank_mask:0xf
	v_cmp_ne_u32_e64 s[24:25], 0, v13
	v_mov_b32_dpp v15, v12 row_shr:1 row_mask:0xf bank_mask:0xf
	s_and_saveexec_b64 s[28:29], s[24:25]
; %bb.136:
	v_and_b32_e32 v12, 1, v11
	v_and_b32_e32 v15, 1, v15
	v_cmp_eq_u32_e64 s[24:25], 1, v12
	s_nop 1
	v_cndmask_b32_e64 v15, v15, 1, s[24:25]
	v_cmp_eq_u16_e64 s[24:25], 0, v11
	v_or_b32_sdwa v12, v7, v15 dst_sel:DWORD dst_unused:UNUSED_PAD src0_sel:DWORD src1_sel:WORD_0
	s_nop 0
	v_cndmask_b32_e64 v11, 0, v14, s[24:25]
	v_add_u32_e32 v9, v11, v9
	v_mov_b32_e32 v11, v15
; %bb.137:
	s_or_b64 exec, exec, s[28:29]
	v_mov_b32_dpp v14, v9 row_shr:2 row_mask:0xf bank_mask:0xf
	v_mov_b32_dpp v15, v12 row_shr:2 row_mask:0xf bank_mask:0xf
	v_cmp_lt_u32_e64 s[24:25], 1, v13
	s_and_saveexec_b64 s[28:29], s[24:25]
; %bb.138:
	v_and_b32_e32 v12, 1, v11
	v_and_b32_e32 v15, 1, v15
	v_cmp_eq_u32_e64 s[24:25], 1, v12
	s_nop 1
	v_cndmask_b32_e64 v15, v15, 1, s[24:25]
	v_cmp_eq_u16_e64 s[24:25], 0, v11
	v_or_b32_sdwa v12, v7, v15 dst_sel:DWORD dst_unused:UNUSED_PAD src0_sel:DWORD src1_sel:WORD_0
	s_nop 0
	v_cndmask_b32_e64 v11, 0, v14, s[24:25]
	v_add_u32_e32 v9, v11, v9
	v_mov_b32_e32 v11, v15
; %bb.139:
	s_or_b64 exec, exec, s[28:29]
	v_mov_b32_dpp v14, v9 row_shr:4 row_mask:0xf bank_mask:0xf
	v_mov_b32_dpp v15, v12 row_shr:4 row_mask:0xf bank_mask:0xf
	v_cmp_lt_u32_e64 s[24:25], 3, v13
	;; [unrolled: 18-line block ×3, first 2 shown]
	s_and_saveexec_b64 s[28:29], s[24:25]
; %bb.142:
	v_and_b32_e32 v12, 1, v11
	v_and_b32_e32 v13, 1, v15
	v_cmp_eq_u32_e64 s[24:25], 1, v12
	s_nop 1
	v_cndmask_b32_e64 v13, v13, 1, s[24:25]
	v_cmp_eq_u16_e64 s[24:25], 0, v11
	v_or_b32_sdwa v12, v7, v13 dst_sel:DWORD dst_unused:UNUSED_PAD src0_sel:DWORD src1_sel:WORD_0
	s_nop 0
	v_cndmask_b32_e64 v11, 0, v14, s[24:25]
	v_add_u32_e32 v9, v11, v9
	v_mov_b32_e32 v11, v13
; %bb.143:
	s_or_b64 exec, exec, s[28:29]
	v_and_b32_e32 v15, 16, v10
	v_mov_b32_dpp v13, v9 row_bcast:15 row_mask:0xf bank_mask:0xf
	v_mov_b32_dpp v14, v12 row_bcast:15 row_mask:0xf bank_mask:0xf
	v_cmp_ne_u32_e64 s[24:25], 0, v15
	s_and_saveexec_b64 s[28:29], s[24:25]
; %bb.144:
	v_and_b32_e32 v12, 1, v11
	v_and_b32_e32 v14, 1, v14
	v_cmp_eq_u32_e64 s[24:25], 1, v12
	s_nop 1
	v_cndmask_b32_e64 v14, v14, 1, s[24:25]
	v_cmp_eq_u16_e64 s[24:25], 0, v11
	v_or_b32_sdwa v12, v7, v14 dst_sel:DWORD dst_unused:UNUSED_PAD src0_sel:DWORD src1_sel:WORD_0
	s_nop 0
	v_cndmask_b32_e64 v11, 0, v13, s[24:25]
	v_add_u32_e32 v9, v11, v9
	v_mov_b32_e32 v11, v14
; %bb.145:
	s_or_b64 exec, exec, s[28:29]
	v_mov_b32_dpp v12, v12 row_bcast:31 row_mask:0xf bank_mask:0xf
	v_and_b32_e32 v14, 1, v11
	v_and_b32_e32 v12, 1, v12
	v_cmp_eq_u32_e64 s[24:25], 1, v14
	v_mov_b32_e32 v14, 0
	v_cmp_eq_u16_sdwa s[28:29], v11, v14 src0_sel:BYTE_0 src1_sel:DWORD
	v_cndmask_b32_e64 v12, v12, 1, s[24:25]
	v_cmp_lt_u32_e64 s[24:25], 31, v10
	v_mov_b32_dpp v13, v9 row_bcast:31 row_mask:0xf bank_mask:0xf
	s_movk_i32 s30, 0xff
	v_cndmask_b32_e64 v11, v11, v12, s[24:25]
	s_and_b64 s[24:25], s[24:25], s[28:29]
	v_cndmask_b32_e64 v12, 0, v13, s[24:25]
	v_add_u32_e32 v9, v12, v9
	v_add_u32_e32 v12, -1, v10
	v_and_b32_e32 v13, 64, v10
	v_cmp_lt_i32_e64 s[24:25], v12, v13
	v_and_or_b32 v7, v11, s30, v7
	s_nop 0
	v_cndmask_b32_e64 v10, v12, v10, s[24:25]
	v_lshlrev_b32_e32 v10, 2, v10
	ds_bpermute_b32 v9, v10, v9
	ds_bpermute_b32 v7, v10, v7
	v_cmp_eq_u16_sdwa s[24:25], v3, v14 src0_sel:BYTE_0 src1_sel:DWORD
	; wave barrier
	s_waitcnt lgkmcnt(1)
	s_nop 0
	v_cndmask_b32_e64 v3, 0, v9, s[24:25]
	v_add_u32_e32 v2, v3, v2
	s_waitcnt lgkmcnt(0)
	v_and_b32_e32 v3, 1, v7
	v_cmp_eq_u32_e64 s[24:25], 1, v6
	s_nop 1
	v_cndmask_b32_e64 v3, v3, 1, s[24:25]
	v_cmp_eq_u32_e64 s[24:25], 0, v0
	s_nop 1
	v_cndmask_b32_e64 v4, v2, v4, s[24:25]
	v_cndmask_b32_e64 v5, v3, v5, s[24:25]
	ds_write_b32 v1, v4
	ds_write_b8 v1, v5 offset:4
	; wave barrier
	ds_read_u8 v6, v1 offset:12
	ds_read2_b32 v[2:3], v1 offset0:2 offset1:4
	ds_read_u8 v7, v1 offset:20
	ds_read_b32 v9, v1 offset:24
	ds_read_u8 v10, v1 offset:28
	s_waitcnt lgkmcnt(4)
	v_cmp_eq_u16_e64 s[24:25], 0, v6
	s_nop 1
	v_cndmask_b32_e64 v4, 0, v4, s[24:25]
	s_waitcnt lgkmcnt(3)
	v_add_u32_e32 v2, v4, v2
	v_and_b32_e32 v4, 1, v6
	v_cmp_eq_u32_e64 s[24:25], 1, v4
	s_nop 1
	v_cndmask_b32_e64 v4, v5, 1, s[24:25]
	s_waitcnt lgkmcnt(2)
	v_cmp_eq_u16_e64 s[24:25], 0, v7
	ds_write_b8 v1, v4 offset:12
	s_nop 0
	v_cndmask_b32_e64 v5, 0, v2, s[24:25]
	v_add_u32_e32 v3, v5, v3
	v_and_b32_e32 v5, 1, v7
	v_cmp_eq_u32_e64 s[24:25], 1, v5
	s_nop 1
	v_cndmask_b32_e64 v4, v4, 1, s[24:25]
	s_waitcnt lgkmcnt(1)
	v_cmp_eq_u16_e64 s[24:25], 0, v10
	ds_write2_b32 v1, v2, v3 offset0:2 offset1:4
	ds_write_b8 v1, v4 offset:20
	v_cndmask_b32_e64 v2, 0, v3, s[24:25]
	v_and_b32_e32 v3, 1, v10
	v_add_u32_e32 v2, v2, v9
	v_cmp_eq_u32_e64 s[24:25], 1, v3
	s_nop 1
	v_cndmask_b32_e64 v3, v4, 1, s[24:25]
	ds_write_b32 v1, v2 offset:24
	ds_write_b8 v1, v3 offset:28
.LBB1004_146:
	s_or_b64 exec, exec, s[26:27]
	v_cmp_eq_u32_e64 s[24:25], 0, v0
	v_cmp_ne_u32_e64 s[26:27], 0, v0
	s_waitcnt vmcnt(0)
	v_mov_b32_e32 v2, v8
	s_waitcnt lgkmcnt(0)
	s_barrier
	s_and_saveexec_b64 s[28:29], s[26:27]
	s_cbranch_execz .LBB1004_148
; %bb.147:
	v_add_u32_e32 v1, -1, v0
	v_lshrrev_b32_e32 v2, 5, v1
	v_add_lshl_u32 v1, v2, v1, 3
	ds_read_u8 v2, v1 offset:4
	ds_read_b32 v1, v1
	s_waitcnt lgkmcnt(1)
	v_cmp_eq_u16_e64 s[26:27], 0, v2
	s_nop 1
	v_cndmask_b32_e64 v2, 0, v8, s[26:27]
	s_waitcnt lgkmcnt(0)
	v_add_u32_e32 v2, v2, v1
.LBB1004_148:
	s_or_b64 exec, exec, s[28:29]
	v_and_b32_e32 v5, 0xff, v31
	v_mov_b32_e32 v4, 0
	v_cmp_eq_u64_e64 s[26:27], 0, v[4:5]
	s_nop 1
	v_cndmask_b32_e64 v1, 0, v2, s[26:27]
	v_add_u32_e32 v3, v1, v30
	v_cndmask_b32_e32 v1, 0, v3, vcc
	v_add_u32_e32 v16, v1, v32
	v_cndmask_b32_e64 v1, 0, v16, s[2:3]
	v_add_u32_e32 v17, v1, v34
	v_cndmask_b32_e64 v1, 0, v17, s[4:5]
	;; [unrolled: 2-line block ×11, first 2 shown]
	s_and_saveexec_b64 s[2:3], s[24:25]
	s_cbranch_execz .LBB1004_150
; %bb.149:
	ds_read_u8 v5, v4 offset:2100
	ds_read_b32 v9, v4 offset:2096
	s_add_u32 s4, s44, 0x400
	s_addc_u32 s5, s45, 0
	v_mov_b32_e32 v14, 2
	s_waitcnt lgkmcnt(1)
	v_cmp_eq_u16_e32 vcc, 0, v5
	v_and_b32_e32 v13, 0xffff, v5
	v_mov_b32_e32 v15, v4
	v_cndmask_b32_e32 v8, 0, v8, vcc
	s_waitcnt lgkmcnt(0)
	v_add_u32_e32 v12, v8, v9
	v_mov_b64_e32 v[4:5], s[4:5]
	;;#ASMSTART
	global_store_dwordx4 v[4:5], v[12:15] off sc1	
s_waitcnt vmcnt(0)
	;;#ASMEND
.LBB1004_150:
	s_or_b64 exec, exec, s[2:3]
	v_add_u32_e32 v23, v1, v54
.LBB1004_151:
	s_add_u32 s2, s42, s38
	s_addc_u32 s3, s43, s39
	s_add_u32 s2, s2, s36
	v_mul_u32_u24_e32 v1, 14, v0
	s_addc_u32 s3, s3, s37
	s_and_b64 vcc, exec, s[0:1]
	v_lshlrev_b32_e32 v4, 2, v1
	s_cbranch_vccz .LBB1004_179
; %bb.152:
	s_movk_i32 s0, 0xffcc
	v_mad_i32_i24 v1, v0, s0, v4
	s_barrier
	ds_write2_b64 v4, v[2:3], v[16:17] offset1:1
	ds_write2_b64 v4, v[6:7], v[18:19] offset0:2 offset1:3
	ds_write2_b64 v4, v[10:11], v[20:21] offset0:4 offset1:5
	ds_write_b64 v4, v[22:23] offset:48
	s_waitcnt lgkmcnt(0)
	s_barrier
	ds_read2st64_b32 v[30:31], v1 offset0:4 offset1:8
	ds_read2st64_b32 v[28:29], v1 offset0:12 offset1:16
	;; [unrolled: 1-line block ×6, first 2 shown]
	ds_read_b32 v5, v1 offset:13312
	s_add_i32 s33, s33, s46
	v_mov_b32_e32 v57, 0
	v_lshl_add_u64 v[12:13], s[2:3], 0, v[56:57]
	v_cmp_gt_u32_e32 vcc, s33, v0
	s_and_saveexec_b64 s[0:1], vcc
	s_cbranch_execz .LBB1004_154
; %bb.153:
	v_mul_i32_i24_e32 v1, 0xffffffcc, v0
	v_add_u32_e32 v1, v4, v1
	ds_read_b32 v32, v1
	s_waitcnt lgkmcnt(0)
	v_ashrrev_i32_e32 v33, 31, v32
	flat_store_dwordx2 v[12:13], v[32:33]
.LBB1004_154:
	s_or_b64 exec, exec, s[0:1]
	v_or_b32_e32 v1, 0x100, v0
	v_cmp_gt_u32_e32 vcc, s33, v1
	s_and_saveexec_b64 s[0:1], vcc
	s_cbranch_execz .LBB1004_156
; %bb.155:
	s_waitcnt lgkmcnt(0)
	v_ashrrev_i32_e32 v33, 31, v30
	v_mov_b32_e32 v32, v30
	flat_store_dwordx2 v[12:13], v[32:33] offset:2048
.LBB1004_156:
	s_or_b64 exec, exec, s[0:1]
	v_or_b32_e32 v1, 0x200, v0
	v_cmp_gt_u32_e32 vcc, s33, v1
	s_and_saveexec_b64 s[0:1], vcc
	s_cbranch_execz .LBB1004_158
; %bb.157:
	s_waitcnt lgkmcnt(0)
	v_add_co_u32_e32 v30, vcc, 0x1000, v12
	v_ashrrev_i32_e32 v33, 31, v31
	v_mov_b32_e32 v32, v31
	v_addc_co_u32_e32 v31, vcc, 0, v13, vcc
	flat_store_dwordx2 v[30:31], v[32:33]
.LBB1004_158:
	s_or_b64 exec, exec, s[0:1]
	v_or_b32_e32 v1, 0x300, v0
	v_cmp_gt_u32_e32 vcc, s33, v1
	s_and_saveexec_b64 s[0:1], vcc
	s_cbranch_execz .LBB1004_160
; %bb.159:
	v_add_co_u32_e32 v32, vcc, 0x1000, v12
	s_waitcnt lgkmcnt(0)
	v_ashrrev_i32_e32 v31, 31, v28
	v_mov_b32_e32 v30, v28
	v_addc_co_u32_e32 v33, vcc, 0, v13, vcc
	flat_store_dwordx2 v[32:33], v[30:31] offset:2048
.LBB1004_160:
	s_or_b64 exec, exec, s[0:1]
	v_or_b32_e32 v1, 0x400, v0
	v_cmp_gt_u32_e32 vcc, s33, v1
	s_and_saveexec_b64 s[0:1], vcc
	s_cbranch_execz .LBB1004_162
; %bb.161:
	s_waitcnt lgkmcnt(0)
	v_add_co_u32_e32 v28, vcc, 0x2000, v12
	v_ashrrev_i32_e32 v31, 31, v29
	v_mov_b32_e32 v30, v29
	v_addc_co_u32_e32 v29, vcc, 0, v13, vcc
	flat_store_dwordx2 v[28:29], v[30:31]
.LBB1004_162:
	s_or_b64 exec, exec, s[0:1]
	v_or_b32_e32 v1, 0x500, v0
	v_cmp_gt_u32_e32 vcc, s33, v1
	s_and_saveexec_b64 s[0:1], vcc
	s_cbranch_execz .LBB1004_164
; %bb.163:
	s_waitcnt lgkmcnt(0)
	v_add_co_u32_e32 v30, vcc, 0x2000, v12
	v_ashrrev_i32_e32 v29, 31, v26
	v_mov_b32_e32 v28, v26
	v_addc_co_u32_e32 v31, vcc, 0, v13, vcc
	flat_store_dwordx2 v[30:31], v[28:29] offset:2048
.LBB1004_164:
	s_or_b64 exec, exec, s[0:1]
	v_or_b32_e32 v1, 0x600, v0
	v_cmp_gt_u32_e32 vcc, s33, v1
	s_and_saveexec_b64 s[0:1], vcc
	s_cbranch_execz .LBB1004_166
; %bb.165:
	s_waitcnt lgkmcnt(0)
	v_add_co_u32_e32 v26, vcc, 0x3000, v12
	v_ashrrev_i32_e32 v29, 31, v27
	v_mov_b32_e32 v28, v27
	v_addc_co_u32_e32 v27, vcc, 0, v13, vcc
	flat_store_dwordx2 v[26:27], v[28:29]
.LBB1004_166:
	s_or_b64 exec, exec, s[0:1]
	v_or_b32_e32 v1, 0x700, v0
	v_cmp_gt_u32_e32 vcc, s33, v1
	s_and_saveexec_b64 s[0:1], vcc
	s_cbranch_execz .LBB1004_168
; %bb.167:
	s_waitcnt lgkmcnt(0)
	v_add_co_u32_e32 v28, vcc, 0x3000, v12
	v_ashrrev_i32_e32 v27, 31, v24
	v_mov_b32_e32 v26, v24
	v_addc_co_u32_e32 v29, vcc, 0, v13, vcc
	flat_store_dwordx2 v[28:29], v[26:27] offset:2048
.LBB1004_168:
	;; [unrolled: 26-line block ×4, first 2 shown]
	s_or_b64 exec, exec, s[0:1]
	v_or_b32_e32 v1, 0xc00, v0
	v_cmp_gt_u32_e32 vcc, s33, v1
	s_and_saveexec_b64 s[0:1], vcc
	s_cbranch_execz .LBB1004_178
; %bb.177:
	s_waitcnt lgkmcnt(0)
	v_add_co_u32_e32 v8, vcc, 0x6000, v12
	v_ashrrev_i32_e32 v15, 31, v9
	v_mov_b32_e32 v14, v9
	v_addc_co_u32_e32 v9, vcc, 0, v13, vcc
	flat_store_dwordx2 v[8:9], v[14:15]
.LBB1004_178:
	s_or_b64 exec, exec, s[0:1]
	s_waitcnt lgkmcnt(0)
	v_or_b32_e32 v8, 0xd00, v0
	v_mov_b32_e32 v1, v57
	v_cmp_gt_u32_e64 s[0:1], s33, v8
	s_branch .LBB1004_181
.LBB1004_179:
	s_mov_b64 s[0:1], 0
                                        ; implicit-def: $vgpr5
	s_cbranch_execz .LBB1004_181
; %bb.180:
	s_movk_i32 s4, 0xffcc
	v_mad_i32_i24 v28, v0, s4, v4
	s_barrier
	ds_write2_b64 v4, v[2:3], v[16:17] offset1:1
	ds_write2_b64 v4, v[6:7], v[18:19] offset0:2 offset1:3
	ds_write2_b64 v4, v[10:11], v[20:21] offset0:4 offset1:5
	ds_write_b64 v4, v[22:23] offset:48
	s_waitcnt lgkmcnt(0)
	s_barrier
	ds_read2st64_b32 v[2:3], v28 offset1:4
	ds_read2st64_b32 v[4:5], v28 offset0:8 offset1:12
	v_mov_b32_e32 v1, 0
	v_mov_b32_e32 v57, v1
	v_lshl_add_u64 v[30:31], s[2:3], 0, v[56:57]
	s_waitcnt lgkmcnt(0)
	v_ashrrev_i32_e32 v7, 31, v2
	v_mov_b32_e32 v6, v2
	v_ashrrev_i32_e32 v9, 31, v3
	v_mov_b32_e32 v8, v3
	ds_read2st64_b32 v[2:3], v28 offset0:16 offset1:20
	v_ashrrev_i32_e32 v11, 31, v4
	v_mov_b32_e32 v10, v4
	v_ashrrev_i32_e32 v13, 31, v5
	v_mov_b32_e32 v12, v5
	ds_read2st64_b32 v[4:5], v28 offset0:24 offset1:28
	s_movk_i32 s4, 0x1000
	s_waitcnt lgkmcnt(0)
	v_ashrrev_i32_e32 v15, 31, v2
	v_mov_b32_e32 v14, v2
	v_ashrrev_i32_e32 v17, 31, v3
	v_mov_b32_e32 v16, v3
	ds_read2st64_b32 v[2:3], v28 offset0:32 offset1:36
	v_ashrrev_i32_e32 v19, 31, v4
	v_mov_b32_e32 v18, v4
	v_ashrrev_i32_e32 v21, 31, v5
	v_mov_b32_e32 v20, v5
	ds_read2st64_b32 v[24:25], v28 offset0:40 offset1:44
	ds_read2st64_b32 v[4:5], v28 offset0:48 offset1:52
	flat_store_dwordx2 v[30:31], v[6:7]
	flat_store_dwordx2 v[30:31], v[8:9] offset:2048
	v_add_co_u32_e32 v6, vcc, s4, v30
	s_movk_i32 s4, 0x2000
	s_nop 0
	v_addc_co_u32_e32 v7, vcc, 0, v31, vcc
	flat_store_dwordx2 v[6:7], v[10:11]
	flat_store_dwordx2 v[6:7], v[12:13] offset:2048
	v_add_co_u32_e32 v6, vcc, s4, v30
	s_movk_i32 s4, 0x3000
	s_nop 0
	v_addc_co_u32_e32 v7, vcc, 0, v31, vcc
	;; [unrolled: 6-line block ×3, first 2 shown]
	flat_store_dwordx2 v[6:7], v[18:19]
	flat_store_dwordx2 v[6:7], v[20:21] offset:2048
	v_add_co_u32_e32 v6, vcc, s4, v30
	s_waitcnt lgkmcnt(0)
	v_ashrrev_i32_e32 v23, 31, v2
	v_mov_b32_e32 v22, v2
	v_addc_co_u32_e32 v7, vcc, 0, v31, vcc
	v_ashrrev_i32_e32 v27, 31, v3
	v_mov_b32_e32 v26, v3
	flat_store_dwordx2 v[6:7], v[22:23]
	flat_store_dwordx2 v[6:7], v[26:27] offset:2048
	v_add_co_u32_e32 v6, vcc, 0x5000, v30
	v_ashrrev_i32_e32 v3, 31, v24
	v_mov_b32_e32 v2, v24
	v_addc_co_u32_e32 v7, vcc, 0, v31, vcc
	v_ashrrev_i32_e32 v29, 31, v25
	v_mov_b32_e32 v28, v25
	flat_store_dwordx2 v[6:7], v[2:3]
	flat_store_dwordx2 v[6:7], v[28:29] offset:2048
	v_add_co_u32_e32 v2, vcc, 0x6000, v30
	v_ashrrev_i32_e32 v25, 31, v4
	v_mov_b32_e32 v24, v4
	v_addc_co_u32_e32 v3, vcc, 0, v31, vcc
	s_or_b64 s[0:1], s[0:1], exec
	flat_store_dwordx2 v[2:3], v[24:25]
.LBB1004_181:
	s_and_saveexec_b64 s[4:5], s[0:1]
	s_cbranch_execz .LBB1004_183
; %bb.182:
	v_lshl_add_u64 v[0:1], v[0:1], 3, s[2:3]
	v_add_co_u32_e32 v0, vcc, 0x6000, v0
	v_ashrrev_i32_e32 v3, 31, v5
	v_mov_b32_e32 v2, v5
	v_addc_co_u32_e32 v1, vcc, 0, v1, vcc
	flat_store_dwordx2 v[0:1], v[2:3] offset:2048
	s_endpgm
.LBB1004_183:
	s_endpgm
	.section	.rodata,"a",@progbits
	.p2align	6, 0x0
	.amdhsa_kernel _ZN7rocprim17ROCPRIM_400000_NS6detail17trampoline_kernelINS0_14default_configENS1_27scan_by_key_config_selectorIxiEEZZNS1_16scan_by_key_implILNS1_25lookback_scan_determinismE0ELb1ES3_N6thrust23THRUST_200600_302600_NS6detail15normal_iteratorINS9_10device_ptrIxEEEESE_SE_iNS9_4plusIvEENS9_8equal_toIvEEiEE10hipError_tPvRmT2_T3_T4_T5_mT6_T7_P12ihipStream_tbENKUlT_T0_E_clISt17integral_constantIbLb0EESZ_EEDaSU_SV_EUlSU_E_NS1_11comp_targetILNS1_3genE5ELNS1_11target_archE942ELNS1_3gpuE9ELNS1_3repE0EEENS1_30default_config_static_selectorELNS0_4arch9wavefront6targetE1EEEvT1_
		.amdhsa_group_segment_fixed_size 32768
		.amdhsa_private_segment_fixed_size 0
		.amdhsa_kernarg_size 112
		.amdhsa_user_sgpr_count 2
		.amdhsa_user_sgpr_dispatch_ptr 0
		.amdhsa_user_sgpr_queue_ptr 0
		.amdhsa_user_sgpr_kernarg_segment_ptr 1
		.amdhsa_user_sgpr_dispatch_id 0
		.amdhsa_user_sgpr_kernarg_preload_length 0
		.amdhsa_user_sgpr_kernarg_preload_offset 0
		.amdhsa_user_sgpr_private_segment_size 0
		.amdhsa_uses_dynamic_stack 0
		.amdhsa_enable_private_segment 0
		.amdhsa_system_sgpr_workgroup_id_x 1
		.amdhsa_system_sgpr_workgroup_id_y 0
		.amdhsa_system_sgpr_workgroup_id_z 0
		.amdhsa_system_sgpr_workgroup_info 0
		.amdhsa_system_vgpr_workitem_id 0
		.amdhsa_next_free_vgpr 62
		.amdhsa_next_free_sgpr 62
		.amdhsa_accum_offset 64
		.amdhsa_reserve_vcc 1
		.amdhsa_float_round_mode_32 0
		.amdhsa_float_round_mode_16_64 0
		.amdhsa_float_denorm_mode_32 3
		.amdhsa_float_denorm_mode_16_64 3
		.amdhsa_dx10_clamp 1
		.amdhsa_ieee_mode 1
		.amdhsa_fp16_overflow 0
		.amdhsa_tg_split 0
		.amdhsa_exception_fp_ieee_invalid_op 0
		.amdhsa_exception_fp_denorm_src 0
		.amdhsa_exception_fp_ieee_div_zero 0
		.amdhsa_exception_fp_ieee_overflow 0
		.amdhsa_exception_fp_ieee_underflow 0
		.amdhsa_exception_fp_ieee_inexact 0
		.amdhsa_exception_int_div_zero 0
	.end_amdhsa_kernel
	.section	.text._ZN7rocprim17ROCPRIM_400000_NS6detail17trampoline_kernelINS0_14default_configENS1_27scan_by_key_config_selectorIxiEEZZNS1_16scan_by_key_implILNS1_25lookback_scan_determinismE0ELb1ES3_N6thrust23THRUST_200600_302600_NS6detail15normal_iteratorINS9_10device_ptrIxEEEESE_SE_iNS9_4plusIvEENS9_8equal_toIvEEiEE10hipError_tPvRmT2_T3_T4_T5_mT6_T7_P12ihipStream_tbENKUlT_T0_E_clISt17integral_constantIbLb0EESZ_EEDaSU_SV_EUlSU_E_NS1_11comp_targetILNS1_3genE5ELNS1_11target_archE942ELNS1_3gpuE9ELNS1_3repE0EEENS1_30default_config_static_selectorELNS0_4arch9wavefront6targetE1EEEvT1_,"axG",@progbits,_ZN7rocprim17ROCPRIM_400000_NS6detail17trampoline_kernelINS0_14default_configENS1_27scan_by_key_config_selectorIxiEEZZNS1_16scan_by_key_implILNS1_25lookback_scan_determinismE0ELb1ES3_N6thrust23THRUST_200600_302600_NS6detail15normal_iteratorINS9_10device_ptrIxEEEESE_SE_iNS9_4plusIvEENS9_8equal_toIvEEiEE10hipError_tPvRmT2_T3_T4_T5_mT6_T7_P12ihipStream_tbENKUlT_T0_E_clISt17integral_constantIbLb0EESZ_EEDaSU_SV_EUlSU_E_NS1_11comp_targetILNS1_3genE5ELNS1_11target_archE942ELNS1_3gpuE9ELNS1_3repE0EEENS1_30default_config_static_selectorELNS0_4arch9wavefront6targetE1EEEvT1_,comdat
.Lfunc_end1004:
	.size	_ZN7rocprim17ROCPRIM_400000_NS6detail17trampoline_kernelINS0_14default_configENS1_27scan_by_key_config_selectorIxiEEZZNS1_16scan_by_key_implILNS1_25lookback_scan_determinismE0ELb1ES3_N6thrust23THRUST_200600_302600_NS6detail15normal_iteratorINS9_10device_ptrIxEEEESE_SE_iNS9_4plusIvEENS9_8equal_toIvEEiEE10hipError_tPvRmT2_T3_T4_T5_mT6_T7_P12ihipStream_tbENKUlT_T0_E_clISt17integral_constantIbLb0EESZ_EEDaSU_SV_EUlSU_E_NS1_11comp_targetILNS1_3genE5ELNS1_11target_archE942ELNS1_3gpuE9ELNS1_3repE0EEENS1_30default_config_static_selectorELNS0_4arch9wavefront6targetE1EEEvT1_, .Lfunc_end1004-_ZN7rocprim17ROCPRIM_400000_NS6detail17trampoline_kernelINS0_14default_configENS1_27scan_by_key_config_selectorIxiEEZZNS1_16scan_by_key_implILNS1_25lookback_scan_determinismE0ELb1ES3_N6thrust23THRUST_200600_302600_NS6detail15normal_iteratorINS9_10device_ptrIxEEEESE_SE_iNS9_4plusIvEENS9_8equal_toIvEEiEE10hipError_tPvRmT2_T3_T4_T5_mT6_T7_P12ihipStream_tbENKUlT_T0_E_clISt17integral_constantIbLb0EESZ_EEDaSU_SV_EUlSU_E_NS1_11comp_targetILNS1_3genE5ELNS1_11target_archE942ELNS1_3gpuE9ELNS1_3repE0EEENS1_30default_config_static_selectorELNS0_4arch9wavefront6targetE1EEEvT1_
                                        ; -- End function
	.section	.AMDGPU.csdata,"",@progbits
; Kernel info:
; codeLenInByte = 11768
; NumSgprs: 68
; NumVgprs: 62
; NumAgprs: 0
; TotalNumVgprs: 62
; ScratchSize: 0
; MemoryBound: 0
; FloatMode: 240
; IeeeMode: 1
; LDSByteSize: 32768 bytes/workgroup (compile time only)
; SGPRBlocks: 8
; VGPRBlocks: 7
; NumSGPRsForWavesPerEU: 68
; NumVGPRsForWavesPerEU: 62
; AccumOffset: 64
; Occupancy: 2
; WaveLimiterHint : 1
; COMPUTE_PGM_RSRC2:SCRATCH_EN: 0
; COMPUTE_PGM_RSRC2:USER_SGPR: 2
; COMPUTE_PGM_RSRC2:TRAP_HANDLER: 0
; COMPUTE_PGM_RSRC2:TGID_X_EN: 1
; COMPUTE_PGM_RSRC2:TGID_Y_EN: 0
; COMPUTE_PGM_RSRC2:TGID_Z_EN: 0
; COMPUTE_PGM_RSRC2:TIDIG_COMP_CNT: 0
; COMPUTE_PGM_RSRC3_GFX90A:ACCUM_OFFSET: 15
; COMPUTE_PGM_RSRC3_GFX90A:TG_SPLIT: 0
	.section	.text._ZN7rocprim17ROCPRIM_400000_NS6detail17trampoline_kernelINS0_14default_configENS1_27scan_by_key_config_selectorIxiEEZZNS1_16scan_by_key_implILNS1_25lookback_scan_determinismE0ELb1ES3_N6thrust23THRUST_200600_302600_NS6detail15normal_iteratorINS9_10device_ptrIxEEEESE_SE_iNS9_4plusIvEENS9_8equal_toIvEEiEE10hipError_tPvRmT2_T3_T4_T5_mT6_T7_P12ihipStream_tbENKUlT_T0_E_clISt17integral_constantIbLb0EESZ_EEDaSU_SV_EUlSU_E_NS1_11comp_targetILNS1_3genE4ELNS1_11target_archE910ELNS1_3gpuE8ELNS1_3repE0EEENS1_30default_config_static_selectorELNS0_4arch9wavefront6targetE1EEEvT1_,"axG",@progbits,_ZN7rocprim17ROCPRIM_400000_NS6detail17trampoline_kernelINS0_14default_configENS1_27scan_by_key_config_selectorIxiEEZZNS1_16scan_by_key_implILNS1_25lookback_scan_determinismE0ELb1ES3_N6thrust23THRUST_200600_302600_NS6detail15normal_iteratorINS9_10device_ptrIxEEEESE_SE_iNS9_4plusIvEENS9_8equal_toIvEEiEE10hipError_tPvRmT2_T3_T4_T5_mT6_T7_P12ihipStream_tbENKUlT_T0_E_clISt17integral_constantIbLb0EESZ_EEDaSU_SV_EUlSU_E_NS1_11comp_targetILNS1_3genE4ELNS1_11target_archE910ELNS1_3gpuE8ELNS1_3repE0EEENS1_30default_config_static_selectorELNS0_4arch9wavefront6targetE1EEEvT1_,comdat
	.protected	_ZN7rocprim17ROCPRIM_400000_NS6detail17trampoline_kernelINS0_14default_configENS1_27scan_by_key_config_selectorIxiEEZZNS1_16scan_by_key_implILNS1_25lookback_scan_determinismE0ELb1ES3_N6thrust23THRUST_200600_302600_NS6detail15normal_iteratorINS9_10device_ptrIxEEEESE_SE_iNS9_4plusIvEENS9_8equal_toIvEEiEE10hipError_tPvRmT2_T3_T4_T5_mT6_T7_P12ihipStream_tbENKUlT_T0_E_clISt17integral_constantIbLb0EESZ_EEDaSU_SV_EUlSU_E_NS1_11comp_targetILNS1_3genE4ELNS1_11target_archE910ELNS1_3gpuE8ELNS1_3repE0EEENS1_30default_config_static_selectorELNS0_4arch9wavefront6targetE1EEEvT1_ ; -- Begin function _ZN7rocprim17ROCPRIM_400000_NS6detail17trampoline_kernelINS0_14default_configENS1_27scan_by_key_config_selectorIxiEEZZNS1_16scan_by_key_implILNS1_25lookback_scan_determinismE0ELb1ES3_N6thrust23THRUST_200600_302600_NS6detail15normal_iteratorINS9_10device_ptrIxEEEESE_SE_iNS9_4plusIvEENS9_8equal_toIvEEiEE10hipError_tPvRmT2_T3_T4_T5_mT6_T7_P12ihipStream_tbENKUlT_T0_E_clISt17integral_constantIbLb0EESZ_EEDaSU_SV_EUlSU_E_NS1_11comp_targetILNS1_3genE4ELNS1_11target_archE910ELNS1_3gpuE8ELNS1_3repE0EEENS1_30default_config_static_selectorELNS0_4arch9wavefront6targetE1EEEvT1_
	.globl	_ZN7rocprim17ROCPRIM_400000_NS6detail17trampoline_kernelINS0_14default_configENS1_27scan_by_key_config_selectorIxiEEZZNS1_16scan_by_key_implILNS1_25lookback_scan_determinismE0ELb1ES3_N6thrust23THRUST_200600_302600_NS6detail15normal_iteratorINS9_10device_ptrIxEEEESE_SE_iNS9_4plusIvEENS9_8equal_toIvEEiEE10hipError_tPvRmT2_T3_T4_T5_mT6_T7_P12ihipStream_tbENKUlT_T0_E_clISt17integral_constantIbLb0EESZ_EEDaSU_SV_EUlSU_E_NS1_11comp_targetILNS1_3genE4ELNS1_11target_archE910ELNS1_3gpuE8ELNS1_3repE0EEENS1_30default_config_static_selectorELNS0_4arch9wavefront6targetE1EEEvT1_
	.p2align	8
	.type	_ZN7rocprim17ROCPRIM_400000_NS6detail17trampoline_kernelINS0_14default_configENS1_27scan_by_key_config_selectorIxiEEZZNS1_16scan_by_key_implILNS1_25lookback_scan_determinismE0ELb1ES3_N6thrust23THRUST_200600_302600_NS6detail15normal_iteratorINS9_10device_ptrIxEEEESE_SE_iNS9_4plusIvEENS9_8equal_toIvEEiEE10hipError_tPvRmT2_T3_T4_T5_mT6_T7_P12ihipStream_tbENKUlT_T0_E_clISt17integral_constantIbLb0EESZ_EEDaSU_SV_EUlSU_E_NS1_11comp_targetILNS1_3genE4ELNS1_11target_archE910ELNS1_3gpuE8ELNS1_3repE0EEENS1_30default_config_static_selectorELNS0_4arch9wavefront6targetE1EEEvT1_,@function
_ZN7rocprim17ROCPRIM_400000_NS6detail17trampoline_kernelINS0_14default_configENS1_27scan_by_key_config_selectorIxiEEZZNS1_16scan_by_key_implILNS1_25lookback_scan_determinismE0ELb1ES3_N6thrust23THRUST_200600_302600_NS6detail15normal_iteratorINS9_10device_ptrIxEEEESE_SE_iNS9_4plusIvEENS9_8equal_toIvEEiEE10hipError_tPvRmT2_T3_T4_T5_mT6_T7_P12ihipStream_tbENKUlT_T0_E_clISt17integral_constantIbLb0EESZ_EEDaSU_SV_EUlSU_E_NS1_11comp_targetILNS1_3genE4ELNS1_11target_archE910ELNS1_3gpuE8ELNS1_3repE0EEENS1_30default_config_static_selectorELNS0_4arch9wavefront6targetE1EEEvT1_: ; @_ZN7rocprim17ROCPRIM_400000_NS6detail17trampoline_kernelINS0_14default_configENS1_27scan_by_key_config_selectorIxiEEZZNS1_16scan_by_key_implILNS1_25lookback_scan_determinismE0ELb1ES3_N6thrust23THRUST_200600_302600_NS6detail15normal_iteratorINS9_10device_ptrIxEEEESE_SE_iNS9_4plusIvEENS9_8equal_toIvEEiEE10hipError_tPvRmT2_T3_T4_T5_mT6_T7_P12ihipStream_tbENKUlT_T0_E_clISt17integral_constantIbLb0EESZ_EEDaSU_SV_EUlSU_E_NS1_11comp_targetILNS1_3genE4ELNS1_11target_archE910ELNS1_3gpuE8ELNS1_3repE0EEENS1_30default_config_static_selectorELNS0_4arch9wavefront6targetE1EEEvT1_
; %bb.0:
	.section	.rodata,"a",@progbits
	.p2align	6, 0x0
	.amdhsa_kernel _ZN7rocprim17ROCPRIM_400000_NS6detail17trampoline_kernelINS0_14default_configENS1_27scan_by_key_config_selectorIxiEEZZNS1_16scan_by_key_implILNS1_25lookback_scan_determinismE0ELb1ES3_N6thrust23THRUST_200600_302600_NS6detail15normal_iteratorINS9_10device_ptrIxEEEESE_SE_iNS9_4plusIvEENS9_8equal_toIvEEiEE10hipError_tPvRmT2_T3_T4_T5_mT6_T7_P12ihipStream_tbENKUlT_T0_E_clISt17integral_constantIbLb0EESZ_EEDaSU_SV_EUlSU_E_NS1_11comp_targetILNS1_3genE4ELNS1_11target_archE910ELNS1_3gpuE8ELNS1_3repE0EEENS1_30default_config_static_selectorELNS0_4arch9wavefront6targetE1EEEvT1_
		.amdhsa_group_segment_fixed_size 0
		.amdhsa_private_segment_fixed_size 0
		.amdhsa_kernarg_size 112
		.amdhsa_user_sgpr_count 2
		.amdhsa_user_sgpr_dispatch_ptr 0
		.amdhsa_user_sgpr_queue_ptr 0
		.amdhsa_user_sgpr_kernarg_segment_ptr 1
		.amdhsa_user_sgpr_dispatch_id 0
		.amdhsa_user_sgpr_kernarg_preload_length 0
		.amdhsa_user_sgpr_kernarg_preload_offset 0
		.amdhsa_user_sgpr_private_segment_size 0
		.amdhsa_uses_dynamic_stack 0
		.amdhsa_enable_private_segment 0
		.amdhsa_system_sgpr_workgroup_id_x 1
		.amdhsa_system_sgpr_workgroup_id_y 0
		.amdhsa_system_sgpr_workgroup_id_z 0
		.amdhsa_system_sgpr_workgroup_info 0
		.amdhsa_system_vgpr_workitem_id 0
		.amdhsa_next_free_vgpr 1
		.amdhsa_next_free_sgpr 0
		.amdhsa_accum_offset 4
		.amdhsa_reserve_vcc 0
		.amdhsa_float_round_mode_32 0
		.amdhsa_float_round_mode_16_64 0
		.amdhsa_float_denorm_mode_32 3
		.amdhsa_float_denorm_mode_16_64 3
		.amdhsa_dx10_clamp 1
		.amdhsa_ieee_mode 1
		.amdhsa_fp16_overflow 0
		.amdhsa_tg_split 0
		.amdhsa_exception_fp_ieee_invalid_op 0
		.amdhsa_exception_fp_denorm_src 0
		.amdhsa_exception_fp_ieee_div_zero 0
		.amdhsa_exception_fp_ieee_overflow 0
		.amdhsa_exception_fp_ieee_underflow 0
		.amdhsa_exception_fp_ieee_inexact 0
		.amdhsa_exception_int_div_zero 0
	.end_amdhsa_kernel
	.section	.text._ZN7rocprim17ROCPRIM_400000_NS6detail17trampoline_kernelINS0_14default_configENS1_27scan_by_key_config_selectorIxiEEZZNS1_16scan_by_key_implILNS1_25lookback_scan_determinismE0ELb1ES3_N6thrust23THRUST_200600_302600_NS6detail15normal_iteratorINS9_10device_ptrIxEEEESE_SE_iNS9_4plusIvEENS9_8equal_toIvEEiEE10hipError_tPvRmT2_T3_T4_T5_mT6_T7_P12ihipStream_tbENKUlT_T0_E_clISt17integral_constantIbLb0EESZ_EEDaSU_SV_EUlSU_E_NS1_11comp_targetILNS1_3genE4ELNS1_11target_archE910ELNS1_3gpuE8ELNS1_3repE0EEENS1_30default_config_static_selectorELNS0_4arch9wavefront6targetE1EEEvT1_,"axG",@progbits,_ZN7rocprim17ROCPRIM_400000_NS6detail17trampoline_kernelINS0_14default_configENS1_27scan_by_key_config_selectorIxiEEZZNS1_16scan_by_key_implILNS1_25lookback_scan_determinismE0ELb1ES3_N6thrust23THRUST_200600_302600_NS6detail15normal_iteratorINS9_10device_ptrIxEEEESE_SE_iNS9_4plusIvEENS9_8equal_toIvEEiEE10hipError_tPvRmT2_T3_T4_T5_mT6_T7_P12ihipStream_tbENKUlT_T0_E_clISt17integral_constantIbLb0EESZ_EEDaSU_SV_EUlSU_E_NS1_11comp_targetILNS1_3genE4ELNS1_11target_archE910ELNS1_3gpuE8ELNS1_3repE0EEENS1_30default_config_static_selectorELNS0_4arch9wavefront6targetE1EEEvT1_,comdat
.Lfunc_end1005:
	.size	_ZN7rocprim17ROCPRIM_400000_NS6detail17trampoline_kernelINS0_14default_configENS1_27scan_by_key_config_selectorIxiEEZZNS1_16scan_by_key_implILNS1_25lookback_scan_determinismE0ELb1ES3_N6thrust23THRUST_200600_302600_NS6detail15normal_iteratorINS9_10device_ptrIxEEEESE_SE_iNS9_4plusIvEENS9_8equal_toIvEEiEE10hipError_tPvRmT2_T3_T4_T5_mT6_T7_P12ihipStream_tbENKUlT_T0_E_clISt17integral_constantIbLb0EESZ_EEDaSU_SV_EUlSU_E_NS1_11comp_targetILNS1_3genE4ELNS1_11target_archE910ELNS1_3gpuE8ELNS1_3repE0EEENS1_30default_config_static_selectorELNS0_4arch9wavefront6targetE1EEEvT1_, .Lfunc_end1005-_ZN7rocprim17ROCPRIM_400000_NS6detail17trampoline_kernelINS0_14default_configENS1_27scan_by_key_config_selectorIxiEEZZNS1_16scan_by_key_implILNS1_25lookback_scan_determinismE0ELb1ES3_N6thrust23THRUST_200600_302600_NS6detail15normal_iteratorINS9_10device_ptrIxEEEESE_SE_iNS9_4plusIvEENS9_8equal_toIvEEiEE10hipError_tPvRmT2_T3_T4_T5_mT6_T7_P12ihipStream_tbENKUlT_T0_E_clISt17integral_constantIbLb0EESZ_EEDaSU_SV_EUlSU_E_NS1_11comp_targetILNS1_3genE4ELNS1_11target_archE910ELNS1_3gpuE8ELNS1_3repE0EEENS1_30default_config_static_selectorELNS0_4arch9wavefront6targetE1EEEvT1_
                                        ; -- End function
	.section	.AMDGPU.csdata,"",@progbits
; Kernel info:
; codeLenInByte = 0
; NumSgprs: 6
; NumVgprs: 0
; NumAgprs: 0
; TotalNumVgprs: 0
; ScratchSize: 0
; MemoryBound: 0
; FloatMode: 240
; IeeeMode: 1
; LDSByteSize: 0 bytes/workgroup (compile time only)
; SGPRBlocks: 0
; VGPRBlocks: 0
; NumSGPRsForWavesPerEU: 6
; NumVGPRsForWavesPerEU: 1
; AccumOffset: 4
; Occupancy: 8
; WaveLimiterHint : 0
; COMPUTE_PGM_RSRC2:SCRATCH_EN: 0
; COMPUTE_PGM_RSRC2:USER_SGPR: 2
; COMPUTE_PGM_RSRC2:TRAP_HANDLER: 0
; COMPUTE_PGM_RSRC2:TGID_X_EN: 1
; COMPUTE_PGM_RSRC2:TGID_Y_EN: 0
; COMPUTE_PGM_RSRC2:TGID_Z_EN: 0
; COMPUTE_PGM_RSRC2:TIDIG_COMP_CNT: 0
; COMPUTE_PGM_RSRC3_GFX90A:ACCUM_OFFSET: 0
; COMPUTE_PGM_RSRC3_GFX90A:TG_SPLIT: 0
	.section	.text._ZN7rocprim17ROCPRIM_400000_NS6detail17trampoline_kernelINS0_14default_configENS1_27scan_by_key_config_selectorIxiEEZZNS1_16scan_by_key_implILNS1_25lookback_scan_determinismE0ELb1ES3_N6thrust23THRUST_200600_302600_NS6detail15normal_iteratorINS9_10device_ptrIxEEEESE_SE_iNS9_4plusIvEENS9_8equal_toIvEEiEE10hipError_tPvRmT2_T3_T4_T5_mT6_T7_P12ihipStream_tbENKUlT_T0_E_clISt17integral_constantIbLb0EESZ_EEDaSU_SV_EUlSU_E_NS1_11comp_targetILNS1_3genE3ELNS1_11target_archE908ELNS1_3gpuE7ELNS1_3repE0EEENS1_30default_config_static_selectorELNS0_4arch9wavefront6targetE1EEEvT1_,"axG",@progbits,_ZN7rocprim17ROCPRIM_400000_NS6detail17trampoline_kernelINS0_14default_configENS1_27scan_by_key_config_selectorIxiEEZZNS1_16scan_by_key_implILNS1_25lookback_scan_determinismE0ELb1ES3_N6thrust23THRUST_200600_302600_NS6detail15normal_iteratorINS9_10device_ptrIxEEEESE_SE_iNS9_4plusIvEENS9_8equal_toIvEEiEE10hipError_tPvRmT2_T3_T4_T5_mT6_T7_P12ihipStream_tbENKUlT_T0_E_clISt17integral_constantIbLb0EESZ_EEDaSU_SV_EUlSU_E_NS1_11comp_targetILNS1_3genE3ELNS1_11target_archE908ELNS1_3gpuE7ELNS1_3repE0EEENS1_30default_config_static_selectorELNS0_4arch9wavefront6targetE1EEEvT1_,comdat
	.protected	_ZN7rocprim17ROCPRIM_400000_NS6detail17trampoline_kernelINS0_14default_configENS1_27scan_by_key_config_selectorIxiEEZZNS1_16scan_by_key_implILNS1_25lookback_scan_determinismE0ELb1ES3_N6thrust23THRUST_200600_302600_NS6detail15normal_iteratorINS9_10device_ptrIxEEEESE_SE_iNS9_4plusIvEENS9_8equal_toIvEEiEE10hipError_tPvRmT2_T3_T4_T5_mT6_T7_P12ihipStream_tbENKUlT_T0_E_clISt17integral_constantIbLb0EESZ_EEDaSU_SV_EUlSU_E_NS1_11comp_targetILNS1_3genE3ELNS1_11target_archE908ELNS1_3gpuE7ELNS1_3repE0EEENS1_30default_config_static_selectorELNS0_4arch9wavefront6targetE1EEEvT1_ ; -- Begin function _ZN7rocprim17ROCPRIM_400000_NS6detail17trampoline_kernelINS0_14default_configENS1_27scan_by_key_config_selectorIxiEEZZNS1_16scan_by_key_implILNS1_25lookback_scan_determinismE0ELb1ES3_N6thrust23THRUST_200600_302600_NS6detail15normal_iteratorINS9_10device_ptrIxEEEESE_SE_iNS9_4plusIvEENS9_8equal_toIvEEiEE10hipError_tPvRmT2_T3_T4_T5_mT6_T7_P12ihipStream_tbENKUlT_T0_E_clISt17integral_constantIbLb0EESZ_EEDaSU_SV_EUlSU_E_NS1_11comp_targetILNS1_3genE3ELNS1_11target_archE908ELNS1_3gpuE7ELNS1_3repE0EEENS1_30default_config_static_selectorELNS0_4arch9wavefront6targetE1EEEvT1_
	.globl	_ZN7rocprim17ROCPRIM_400000_NS6detail17trampoline_kernelINS0_14default_configENS1_27scan_by_key_config_selectorIxiEEZZNS1_16scan_by_key_implILNS1_25lookback_scan_determinismE0ELb1ES3_N6thrust23THRUST_200600_302600_NS6detail15normal_iteratorINS9_10device_ptrIxEEEESE_SE_iNS9_4plusIvEENS9_8equal_toIvEEiEE10hipError_tPvRmT2_T3_T4_T5_mT6_T7_P12ihipStream_tbENKUlT_T0_E_clISt17integral_constantIbLb0EESZ_EEDaSU_SV_EUlSU_E_NS1_11comp_targetILNS1_3genE3ELNS1_11target_archE908ELNS1_3gpuE7ELNS1_3repE0EEENS1_30default_config_static_selectorELNS0_4arch9wavefront6targetE1EEEvT1_
	.p2align	8
	.type	_ZN7rocprim17ROCPRIM_400000_NS6detail17trampoline_kernelINS0_14default_configENS1_27scan_by_key_config_selectorIxiEEZZNS1_16scan_by_key_implILNS1_25lookback_scan_determinismE0ELb1ES3_N6thrust23THRUST_200600_302600_NS6detail15normal_iteratorINS9_10device_ptrIxEEEESE_SE_iNS9_4plusIvEENS9_8equal_toIvEEiEE10hipError_tPvRmT2_T3_T4_T5_mT6_T7_P12ihipStream_tbENKUlT_T0_E_clISt17integral_constantIbLb0EESZ_EEDaSU_SV_EUlSU_E_NS1_11comp_targetILNS1_3genE3ELNS1_11target_archE908ELNS1_3gpuE7ELNS1_3repE0EEENS1_30default_config_static_selectorELNS0_4arch9wavefront6targetE1EEEvT1_,@function
_ZN7rocprim17ROCPRIM_400000_NS6detail17trampoline_kernelINS0_14default_configENS1_27scan_by_key_config_selectorIxiEEZZNS1_16scan_by_key_implILNS1_25lookback_scan_determinismE0ELb1ES3_N6thrust23THRUST_200600_302600_NS6detail15normal_iteratorINS9_10device_ptrIxEEEESE_SE_iNS9_4plusIvEENS9_8equal_toIvEEiEE10hipError_tPvRmT2_T3_T4_T5_mT6_T7_P12ihipStream_tbENKUlT_T0_E_clISt17integral_constantIbLb0EESZ_EEDaSU_SV_EUlSU_E_NS1_11comp_targetILNS1_3genE3ELNS1_11target_archE908ELNS1_3gpuE7ELNS1_3repE0EEENS1_30default_config_static_selectorELNS0_4arch9wavefront6targetE1EEEvT1_: ; @_ZN7rocprim17ROCPRIM_400000_NS6detail17trampoline_kernelINS0_14default_configENS1_27scan_by_key_config_selectorIxiEEZZNS1_16scan_by_key_implILNS1_25lookback_scan_determinismE0ELb1ES3_N6thrust23THRUST_200600_302600_NS6detail15normal_iteratorINS9_10device_ptrIxEEEESE_SE_iNS9_4plusIvEENS9_8equal_toIvEEiEE10hipError_tPvRmT2_T3_T4_T5_mT6_T7_P12ihipStream_tbENKUlT_T0_E_clISt17integral_constantIbLb0EESZ_EEDaSU_SV_EUlSU_E_NS1_11comp_targetILNS1_3genE3ELNS1_11target_archE908ELNS1_3gpuE7ELNS1_3repE0EEENS1_30default_config_static_selectorELNS0_4arch9wavefront6targetE1EEEvT1_
; %bb.0:
	.section	.rodata,"a",@progbits
	.p2align	6, 0x0
	.amdhsa_kernel _ZN7rocprim17ROCPRIM_400000_NS6detail17trampoline_kernelINS0_14default_configENS1_27scan_by_key_config_selectorIxiEEZZNS1_16scan_by_key_implILNS1_25lookback_scan_determinismE0ELb1ES3_N6thrust23THRUST_200600_302600_NS6detail15normal_iteratorINS9_10device_ptrIxEEEESE_SE_iNS9_4plusIvEENS9_8equal_toIvEEiEE10hipError_tPvRmT2_T3_T4_T5_mT6_T7_P12ihipStream_tbENKUlT_T0_E_clISt17integral_constantIbLb0EESZ_EEDaSU_SV_EUlSU_E_NS1_11comp_targetILNS1_3genE3ELNS1_11target_archE908ELNS1_3gpuE7ELNS1_3repE0EEENS1_30default_config_static_selectorELNS0_4arch9wavefront6targetE1EEEvT1_
		.amdhsa_group_segment_fixed_size 0
		.amdhsa_private_segment_fixed_size 0
		.amdhsa_kernarg_size 112
		.amdhsa_user_sgpr_count 2
		.amdhsa_user_sgpr_dispatch_ptr 0
		.amdhsa_user_sgpr_queue_ptr 0
		.amdhsa_user_sgpr_kernarg_segment_ptr 1
		.amdhsa_user_sgpr_dispatch_id 0
		.amdhsa_user_sgpr_kernarg_preload_length 0
		.amdhsa_user_sgpr_kernarg_preload_offset 0
		.amdhsa_user_sgpr_private_segment_size 0
		.amdhsa_uses_dynamic_stack 0
		.amdhsa_enable_private_segment 0
		.amdhsa_system_sgpr_workgroup_id_x 1
		.amdhsa_system_sgpr_workgroup_id_y 0
		.amdhsa_system_sgpr_workgroup_id_z 0
		.amdhsa_system_sgpr_workgroup_info 0
		.amdhsa_system_vgpr_workitem_id 0
		.amdhsa_next_free_vgpr 1
		.amdhsa_next_free_sgpr 0
		.amdhsa_accum_offset 4
		.amdhsa_reserve_vcc 0
		.amdhsa_float_round_mode_32 0
		.amdhsa_float_round_mode_16_64 0
		.amdhsa_float_denorm_mode_32 3
		.amdhsa_float_denorm_mode_16_64 3
		.amdhsa_dx10_clamp 1
		.amdhsa_ieee_mode 1
		.amdhsa_fp16_overflow 0
		.amdhsa_tg_split 0
		.amdhsa_exception_fp_ieee_invalid_op 0
		.amdhsa_exception_fp_denorm_src 0
		.amdhsa_exception_fp_ieee_div_zero 0
		.amdhsa_exception_fp_ieee_overflow 0
		.amdhsa_exception_fp_ieee_underflow 0
		.amdhsa_exception_fp_ieee_inexact 0
		.amdhsa_exception_int_div_zero 0
	.end_amdhsa_kernel
	.section	.text._ZN7rocprim17ROCPRIM_400000_NS6detail17trampoline_kernelINS0_14default_configENS1_27scan_by_key_config_selectorIxiEEZZNS1_16scan_by_key_implILNS1_25lookback_scan_determinismE0ELb1ES3_N6thrust23THRUST_200600_302600_NS6detail15normal_iteratorINS9_10device_ptrIxEEEESE_SE_iNS9_4plusIvEENS9_8equal_toIvEEiEE10hipError_tPvRmT2_T3_T4_T5_mT6_T7_P12ihipStream_tbENKUlT_T0_E_clISt17integral_constantIbLb0EESZ_EEDaSU_SV_EUlSU_E_NS1_11comp_targetILNS1_3genE3ELNS1_11target_archE908ELNS1_3gpuE7ELNS1_3repE0EEENS1_30default_config_static_selectorELNS0_4arch9wavefront6targetE1EEEvT1_,"axG",@progbits,_ZN7rocprim17ROCPRIM_400000_NS6detail17trampoline_kernelINS0_14default_configENS1_27scan_by_key_config_selectorIxiEEZZNS1_16scan_by_key_implILNS1_25lookback_scan_determinismE0ELb1ES3_N6thrust23THRUST_200600_302600_NS6detail15normal_iteratorINS9_10device_ptrIxEEEESE_SE_iNS9_4plusIvEENS9_8equal_toIvEEiEE10hipError_tPvRmT2_T3_T4_T5_mT6_T7_P12ihipStream_tbENKUlT_T0_E_clISt17integral_constantIbLb0EESZ_EEDaSU_SV_EUlSU_E_NS1_11comp_targetILNS1_3genE3ELNS1_11target_archE908ELNS1_3gpuE7ELNS1_3repE0EEENS1_30default_config_static_selectorELNS0_4arch9wavefront6targetE1EEEvT1_,comdat
.Lfunc_end1006:
	.size	_ZN7rocprim17ROCPRIM_400000_NS6detail17trampoline_kernelINS0_14default_configENS1_27scan_by_key_config_selectorIxiEEZZNS1_16scan_by_key_implILNS1_25lookback_scan_determinismE0ELb1ES3_N6thrust23THRUST_200600_302600_NS6detail15normal_iteratorINS9_10device_ptrIxEEEESE_SE_iNS9_4plusIvEENS9_8equal_toIvEEiEE10hipError_tPvRmT2_T3_T4_T5_mT6_T7_P12ihipStream_tbENKUlT_T0_E_clISt17integral_constantIbLb0EESZ_EEDaSU_SV_EUlSU_E_NS1_11comp_targetILNS1_3genE3ELNS1_11target_archE908ELNS1_3gpuE7ELNS1_3repE0EEENS1_30default_config_static_selectorELNS0_4arch9wavefront6targetE1EEEvT1_, .Lfunc_end1006-_ZN7rocprim17ROCPRIM_400000_NS6detail17trampoline_kernelINS0_14default_configENS1_27scan_by_key_config_selectorIxiEEZZNS1_16scan_by_key_implILNS1_25lookback_scan_determinismE0ELb1ES3_N6thrust23THRUST_200600_302600_NS6detail15normal_iteratorINS9_10device_ptrIxEEEESE_SE_iNS9_4plusIvEENS9_8equal_toIvEEiEE10hipError_tPvRmT2_T3_T4_T5_mT6_T7_P12ihipStream_tbENKUlT_T0_E_clISt17integral_constantIbLb0EESZ_EEDaSU_SV_EUlSU_E_NS1_11comp_targetILNS1_3genE3ELNS1_11target_archE908ELNS1_3gpuE7ELNS1_3repE0EEENS1_30default_config_static_selectorELNS0_4arch9wavefront6targetE1EEEvT1_
                                        ; -- End function
	.section	.AMDGPU.csdata,"",@progbits
; Kernel info:
; codeLenInByte = 0
; NumSgprs: 6
; NumVgprs: 0
; NumAgprs: 0
; TotalNumVgprs: 0
; ScratchSize: 0
; MemoryBound: 0
; FloatMode: 240
; IeeeMode: 1
; LDSByteSize: 0 bytes/workgroup (compile time only)
; SGPRBlocks: 0
; VGPRBlocks: 0
; NumSGPRsForWavesPerEU: 6
; NumVGPRsForWavesPerEU: 1
; AccumOffset: 4
; Occupancy: 8
; WaveLimiterHint : 0
; COMPUTE_PGM_RSRC2:SCRATCH_EN: 0
; COMPUTE_PGM_RSRC2:USER_SGPR: 2
; COMPUTE_PGM_RSRC2:TRAP_HANDLER: 0
; COMPUTE_PGM_RSRC2:TGID_X_EN: 1
; COMPUTE_PGM_RSRC2:TGID_Y_EN: 0
; COMPUTE_PGM_RSRC2:TGID_Z_EN: 0
; COMPUTE_PGM_RSRC2:TIDIG_COMP_CNT: 0
; COMPUTE_PGM_RSRC3_GFX90A:ACCUM_OFFSET: 0
; COMPUTE_PGM_RSRC3_GFX90A:TG_SPLIT: 0
	.section	.text._ZN7rocprim17ROCPRIM_400000_NS6detail17trampoline_kernelINS0_14default_configENS1_27scan_by_key_config_selectorIxiEEZZNS1_16scan_by_key_implILNS1_25lookback_scan_determinismE0ELb1ES3_N6thrust23THRUST_200600_302600_NS6detail15normal_iteratorINS9_10device_ptrIxEEEESE_SE_iNS9_4plusIvEENS9_8equal_toIvEEiEE10hipError_tPvRmT2_T3_T4_T5_mT6_T7_P12ihipStream_tbENKUlT_T0_E_clISt17integral_constantIbLb0EESZ_EEDaSU_SV_EUlSU_E_NS1_11comp_targetILNS1_3genE2ELNS1_11target_archE906ELNS1_3gpuE6ELNS1_3repE0EEENS1_30default_config_static_selectorELNS0_4arch9wavefront6targetE1EEEvT1_,"axG",@progbits,_ZN7rocprim17ROCPRIM_400000_NS6detail17trampoline_kernelINS0_14default_configENS1_27scan_by_key_config_selectorIxiEEZZNS1_16scan_by_key_implILNS1_25lookback_scan_determinismE0ELb1ES3_N6thrust23THRUST_200600_302600_NS6detail15normal_iteratorINS9_10device_ptrIxEEEESE_SE_iNS9_4plusIvEENS9_8equal_toIvEEiEE10hipError_tPvRmT2_T3_T4_T5_mT6_T7_P12ihipStream_tbENKUlT_T0_E_clISt17integral_constantIbLb0EESZ_EEDaSU_SV_EUlSU_E_NS1_11comp_targetILNS1_3genE2ELNS1_11target_archE906ELNS1_3gpuE6ELNS1_3repE0EEENS1_30default_config_static_selectorELNS0_4arch9wavefront6targetE1EEEvT1_,comdat
	.protected	_ZN7rocprim17ROCPRIM_400000_NS6detail17trampoline_kernelINS0_14default_configENS1_27scan_by_key_config_selectorIxiEEZZNS1_16scan_by_key_implILNS1_25lookback_scan_determinismE0ELb1ES3_N6thrust23THRUST_200600_302600_NS6detail15normal_iteratorINS9_10device_ptrIxEEEESE_SE_iNS9_4plusIvEENS9_8equal_toIvEEiEE10hipError_tPvRmT2_T3_T4_T5_mT6_T7_P12ihipStream_tbENKUlT_T0_E_clISt17integral_constantIbLb0EESZ_EEDaSU_SV_EUlSU_E_NS1_11comp_targetILNS1_3genE2ELNS1_11target_archE906ELNS1_3gpuE6ELNS1_3repE0EEENS1_30default_config_static_selectorELNS0_4arch9wavefront6targetE1EEEvT1_ ; -- Begin function _ZN7rocprim17ROCPRIM_400000_NS6detail17trampoline_kernelINS0_14default_configENS1_27scan_by_key_config_selectorIxiEEZZNS1_16scan_by_key_implILNS1_25lookback_scan_determinismE0ELb1ES3_N6thrust23THRUST_200600_302600_NS6detail15normal_iteratorINS9_10device_ptrIxEEEESE_SE_iNS9_4plusIvEENS9_8equal_toIvEEiEE10hipError_tPvRmT2_T3_T4_T5_mT6_T7_P12ihipStream_tbENKUlT_T0_E_clISt17integral_constantIbLb0EESZ_EEDaSU_SV_EUlSU_E_NS1_11comp_targetILNS1_3genE2ELNS1_11target_archE906ELNS1_3gpuE6ELNS1_3repE0EEENS1_30default_config_static_selectorELNS0_4arch9wavefront6targetE1EEEvT1_
	.globl	_ZN7rocprim17ROCPRIM_400000_NS6detail17trampoline_kernelINS0_14default_configENS1_27scan_by_key_config_selectorIxiEEZZNS1_16scan_by_key_implILNS1_25lookback_scan_determinismE0ELb1ES3_N6thrust23THRUST_200600_302600_NS6detail15normal_iteratorINS9_10device_ptrIxEEEESE_SE_iNS9_4plusIvEENS9_8equal_toIvEEiEE10hipError_tPvRmT2_T3_T4_T5_mT6_T7_P12ihipStream_tbENKUlT_T0_E_clISt17integral_constantIbLb0EESZ_EEDaSU_SV_EUlSU_E_NS1_11comp_targetILNS1_3genE2ELNS1_11target_archE906ELNS1_3gpuE6ELNS1_3repE0EEENS1_30default_config_static_selectorELNS0_4arch9wavefront6targetE1EEEvT1_
	.p2align	8
	.type	_ZN7rocprim17ROCPRIM_400000_NS6detail17trampoline_kernelINS0_14default_configENS1_27scan_by_key_config_selectorIxiEEZZNS1_16scan_by_key_implILNS1_25lookback_scan_determinismE0ELb1ES3_N6thrust23THRUST_200600_302600_NS6detail15normal_iteratorINS9_10device_ptrIxEEEESE_SE_iNS9_4plusIvEENS9_8equal_toIvEEiEE10hipError_tPvRmT2_T3_T4_T5_mT6_T7_P12ihipStream_tbENKUlT_T0_E_clISt17integral_constantIbLb0EESZ_EEDaSU_SV_EUlSU_E_NS1_11comp_targetILNS1_3genE2ELNS1_11target_archE906ELNS1_3gpuE6ELNS1_3repE0EEENS1_30default_config_static_selectorELNS0_4arch9wavefront6targetE1EEEvT1_,@function
_ZN7rocprim17ROCPRIM_400000_NS6detail17trampoline_kernelINS0_14default_configENS1_27scan_by_key_config_selectorIxiEEZZNS1_16scan_by_key_implILNS1_25lookback_scan_determinismE0ELb1ES3_N6thrust23THRUST_200600_302600_NS6detail15normal_iteratorINS9_10device_ptrIxEEEESE_SE_iNS9_4plusIvEENS9_8equal_toIvEEiEE10hipError_tPvRmT2_T3_T4_T5_mT6_T7_P12ihipStream_tbENKUlT_T0_E_clISt17integral_constantIbLb0EESZ_EEDaSU_SV_EUlSU_E_NS1_11comp_targetILNS1_3genE2ELNS1_11target_archE906ELNS1_3gpuE6ELNS1_3repE0EEENS1_30default_config_static_selectorELNS0_4arch9wavefront6targetE1EEEvT1_: ; @_ZN7rocprim17ROCPRIM_400000_NS6detail17trampoline_kernelINS0_14default_configENS1_27scan_by_key_config_selectorIxiEEZZNS1_16scan_by_key_implILNS1_25lookback_scan_determinismE0ELb1ES3_N6thrust23THRUST_200600_302600_NS6detail15normal_iteratorINS9_10device_ptrIxEEEESE_SE_iNS9_4plusIvEENS9_8equal_toIvEEiEE10hipError_tPvRmT2_T3_T4_T5_mT6_T7_P12ihipStream_tbENKUlT_T0_E_clISt17integral_constantIbLb0EESZ_EEDaSU_SV_EUlSU_E_NS1_11comp_targetILNS1_3genE2ELNS1_11target_archE906ELNS1_3gpuE6ELNS1_3repE0EEENS1_30default_config_static_selectorELNS0_4arch9wavefront6targetE1EEEvT1_
; %bb.0:
	.section	.rodata,"a",@progbits
	.p2align	6, 0x0
	.amdhsa_kernel _ZN7rocprim17ROCPRIM_400000_NS6detail17trampoline_kernelINS0_14default_configENS1_27scan_by_key_config_selectorIxiEEZZNS1_16scan_by_key_implILNS1_25lookback_scan_determinismE0ELb1ES3_N6thrust23THRUST_200600_302600_NS6detail15normal_iteratorINS9_10device_ptrIxEEEESE_SE_iNS9_4plusIvEENS9_8equal_toIvEEiEE10hipError_tPvRmT2_T3_T4_T5_mT6_T7_P12ihipStream_tbENKUlT_T0_E_clISt17integral_constantIbLb0EESZ_EEDaSU_SV_EUlSU_E_NS1_11comp_targetILNS1_3genE2ELNS1_11target_archE906ELNS1_3gpuE6ELNS1_3repE0EEENS1_30default_config_static_selectorELNS0_4arch9wavefront6targetE1EEEvT1_
		.amdhsa_group_segment_fixed_size 0
		.amdhsa_private_segment_fixed_size 0
		.amdhsa_kernarg_size 112
		.amdhsa_user_sgpr_count 2
		.amdhsa_user_sgpr_dispatch_ptr 0
		.amdhsa_user_sgpr_queue_ptr 0
		.amdhsa_user_sgpr_kernarg_segment_ptr 1
		.amdhsa_user_sgpr_dispatch_id 0
		.amdhsa_user_sgpr_kernarg_preload_length 0
		.amdhsa_user_sgpr_kernarg_preload_offset 0
		.amdhsa_user_sgpr_private_segment_size 0
		.amdhsa_uses_dynamic_stack 0
		.amdhsa_enable_private_segment 0
		.amdhsa_system_sgpr_workgroup_id_x 1
		.amdhsa_system_sgpr_workgroup_id_y 0
		.amdhsa_system_sgpr_workgroup_id_z 0
		.amdhsa_system_sgpr_workgroup_info 0
		.amdhsa_system_vgpr_workitem_id 0
		.amdhsa_next_free_vgpr 1
		.amdhsa_next_free_sgpr 0
		.amdhsa_accum_offset 4
		.amdhsa_reserve_vcc 0
		.amdhsa_float_round_mode_32 0
		.amdhsa_float_round_mode_16_64 0
		.amdhsa_float_denorm_mode_32 3
		.amdhsa_float_denorm_mode_16_64 3
		.amdhsa_dx10_clamp 1
		.amdhsa_ieee_mode 1
		.amdhsa_fp16_overflow 0
		.amdhsa_tg_split 0
		.amdhsa_exception_fp_ieee_invalid_op 0
		.amdhsa_exception_fp_denorm_src 0
		.amdhsa_exception_fp_ieee_div_zero 0
		.amdhsa_exception_fp_ieee_overflow 0
		.amdhsa_exception_fp_ieee_underflow 0
		.amdhsa_exception_fp_ieee_inexact 0
		.amdhsa_exception_int_div_zero 0
	.end_amdhsa_kernel
	.section	.text._ZN7rocprim17ROCPRIM_400000_NS6detail17trampoline_kernelINS0_14default_configENS1_27scan_by_key_config_selectorIxiEEZZNS1_16scan_by_key_implILNS1_25lookback_scan_determinismE0ELb1ES3_N6thrust23THRUST_200600_302600_NS6detail15normal_iteratorINS9_10device_ptrIxEEEESE_SE_iNS9_4plusIvEENS9_8equal_toIvEEiEE10hipError_tPvRmT2_T3_T4_T5_mT6_T7_P12ihipStream_tbENKUlT_T0_E_clISt17integral_constantIbLb0EESZ_EEDaSU_SV_EUlSU_E_NS1_11comp_targetILNS1_3genE2ELNS1_11target_archE906ELNS1_3gpuE6ELNS1_3repE0EEENS1_30default_config_static_selectorELNS0_4arch9wavefront6targetE1EEEvT1_,"axG",@progbits,_ZN7rocprim17ROCPRIM_400000_NS6detail17trampoline_kernelINS0_14default_configENS1_27scan_by_key_config_selectorIxiEEZZNS1_16scan_by_key_implILNS1_25lookback_scan_determinismE0ELb1ES3_N6thrust23THRUST_200600_302600_NS6detail15normal_iteratorINS9_10device_ptrIxEEEESE_SE_iNS9_4plusIvEENS9_8equal_toIvEEiEE10hipError_tPvRmT2_T3_T4_T5_mT6_T7_P12ihipStream_tbENKUlT_T0_E_clISt17integral_constantIbLb0EESZ_EEDaSU_SV_EUlSU_E_NS1_11comp_targetILNS1_3genE2ELNS1_11target_archE906ELNS1_3gpuE6ELNS1_3repE0EEENS1_30default_config_static_selectorELNS0_4arch9wavefront6targetE1EEEvT1_,comdat
.Lfunc_end1007:
	.size	_ZN7rocprim17ROCPRIM_400000_NS6detail17trampoline_kernelINS0_14default_configENS1_27scan_by_key_config_selectorIxiEEZZNS1_16scan_by_key_implILNS1_25lookback_scan_determinismE0ELb1ES3_N6thrust23THRUST_200600_302600_NS6detail15normal_iteratorINS9_10device_ptrIxEEEESE_SE_iNS9_4plusIvEENS9_8equal_toIvEEiEE10hipError_tPvRmT2_T3_T4_T5_mT6_T7_P12ihipStream_tbENKUlT_T0_E_clISt17integral_constantIbLb0EESZ_EEDaSU_SV_EUlSU_E_NS1_11comp_targetILNS1_3genE2ELNS1_11target_archE906ELNS1_3gpuE6ELNS1_3repE0EEENS1_30default_config_static_selectorELNS0_4arch9wavefront6targetE1EEEvT1_, .Lfunc_end1007-_ZN7rocprim17ROCPRIM_400000_NS6detail17trampoline_kernelINS0_14default_configENS1_27scan_by_key_config_selectorIxiEEZZNS1_16scan_by_key_implILNS1_25lookback_scan_determinismE0ELb1ES3_N6thrust23THRUST_200600_302600_NS6detail15normal_iteratorINS9_10device_ptrIxEEEESE_SE_iNS9_4plusIvEENS9_8equal_toIvEEiEE10hipError_tPvRmT2_T3_T4_T5_mT6_T7_P12ihipStream_tbENKUlT_T0_E_clISt17integral_constantIbLb0EESZ_EEDaSU_SV_EUlSU_E_NS1_11comp_targetILNS1_3genE2ELNS1_11target_archE906ELNS1_3gpuE6ELNS1_3repE0EEENS1_30default_config_static_selectorELNS0_4arch9wavefront6targetE1EEEvT1_
                                        ; -- End function
	.section	.AMDGPU.csdata,"",@progbits
; Kernel info:
; codeLenInByte = 0
; NumSgprs: 6
; NumVgprs: 0
; NumAgprs: 0
; TotalNumVgprs: 0
; ScratchSize: 0
; MemoryBound: 0
; FloatMode: 240
; IeeeMode: 1
; LDSByteSize: 0 bytes/workgroup (compile time only)
; SGPRBlocks: 0
; VGPRBlocks: 0
; NumSGPRsForWavesPerEU: 6
; NumVGPRsForWavesPerEU: 1
; AccumOffset: 4
; Occupancy: 8
; WaveLimiterHint : 0
; COMPUTE_PGM_RSRC2:SCRATCH_EN: 0
; COMPUTE_PGM_RSRC2:USER_SGPR: 2
; COMPUTE_PGM_RSRC2:TRAP_HANDLER: 0
; COMPUTE_PGM_RSRC2:TGID_X_EN: 1
; COMPUTE_PGM_RSRC2:TGID_Y_EN: 0
; COMPUTE_PGM_RSRC2:TGID_Z_EN: 0
; COMPUTE_PGM_RSRC2:TIDIG_COMP_CNT: 0
; COMPUTE_PGM_RSRC3_GFX90A:ACCUM_OFFSET: 0
; COMPUTE_PGM_RSRC3_GFX90A:TG_SPLIT: 0
	.section	.text._ZN7rocprim17ROCPRIM_400000_NS6detail17trampoline_kernelINS0_14default_configENS1_27scan_by_key_config_selectorIxiEEZZNS1_16scan_by_key_implILNS1_25lookback_scan_determinismE0ELb1ES3_N6thrust23THRUST_200600_302600_NS6detail15normal_iteratorINS9_10device_ptrIxEEEESE_SE_iNS9_4plusIvEENS9_8equal_toIvEEiEE10hipError_tPvRmT2_T3_T4_T5_mT6_T7_P12ihipStream_tbENKUlT_T0_E_clISt17integral_constantIbLb0EESZ_EEDaSU_SV_EUlSU_E_NS1_11comp_targetILNS1_3genE10ELNS1_11target_archE1200ELNS1_3gpuE4ELNS1_3repE0EEENS1_30default_config_static_selectorELNS0_4arch9wavefront6targetE1EEEvT1_,"axG",@progbits,_ZN7rocprim17ROCPRIM_400000_NS6detail17trampoline_kernelINS0_14default_configENS1_27scan_by_key_config_selectorIxiEEZZNS1_16scan_by_key_implILNS1_25lookback_scan_determinismE0ELb1ES3_N6thrust23THRUST_200600_302600_NS6detail15normal_iteratorINS9_10device_ptrIxEEEESE_SE_iNS9_4plusIvEENS9_8equal_toIvEEiEE10hipError_tPvRmT2_T3_T4_T5_mT6_T7_P12ihipStream_tbENKUlT_T0_E_clISt17integral_constantIbLb0EESZ_EEDaSU_SV_EUlSU_E_NS1_11comp_targetILNS1_3genE10ELNS1_11target_archE1200ELNS1_3gpuE4ELNS1_3repE0EEENS1_30default_config_static_selectorELNS0_4arch9wavefront6targetE1EEEvT1_,comdat
	.protected	_ZN7rocprim17ROCPRIM_400000_NS6detail17trampoline_kernelINS0_14default_configENS1_27scan_by_key_config_selectorIxiEEZZNS1_16scan_by_key_implILNS1_25lookback_scan_determinismE0ELb1ES3_N6thrust23THRUST_200600_302600_NS6detail15normal_iteratorINS9_10device_ptrIxEEEESE_SE_iNS9_4plusIvEENS9_8equal_toIvEEiEE10hipError_tPvRmT2_T3_T4_T5_mT6_T7_P12ihipStream_tbENKUlT_T0_E_clISt17integral_constantIbLb0EESZ_EEDaSU_SV_EUlSU_E_NS1_11comp_targetILNS1_3genE10ELNS1_11target_archE1200ELNS1_3gpuE4ELNS1_3repE0EEENS1_30default_config_static_selectorELNS0_4arch9wavefront6targetE1EEEvT1_ ; -- Begin function _ZN7rocprim17ROCPRIM_400000_NS6detail17trampoline_kernelINS0_14default_configENS1_27scan_by_key_config_selectorIxiEEZZNS1_16scan_by_key_implILNS1_25lookback_scan_determinismE0ELb1ES3_N6thrust23THRUST_200600_302600_NS6detail15normal_iteratorINS9_10device_ptrIxEEEESE_SE_iNS9_4plusIvEENS9_8equal_toIvEEiEE10hipError_tPvRmT2_T3_T4_T5_mT6_T7_P12ihipStream_tbENKUlT_T0_E_clISt17integral_constantIbLb0EESZ_EEDaSU_SV_EUlSU_E_NS1_11comp_targetILNS1_3genE10ELNS1_11target_archE1200ELNS1_3gpuE4ELNS1_3repE0EEENS1_30default_config_static_selectorELNS0_4arch9wavefront6targetE1EEEvT1_
	.globl	_ZN7rocprim17ROCPRIM_400000_NS6detail17trampoline_kernelINS0_14default_configENS1_27scan_by_key_config_selectorIxiEEZZNS1_16scan_by_key_implILNS1_25lookback_scan_determinismE0ELb1ES3_N6thrust23THRUST_200600_302600_NS6detail15normal_iteratorINS9_10device_ptrIxEEEESE_SE_iNS9_4plusIvEENS9_8equal_toIvEEiEE10hipError_tPvRmT2_T3_T4_T5_mT6_T7_P12ihipStream_tbENKUlT_T0_E_clISt17integral_constantIbLb0EESZ_EEDaSU_SV_EUlSU_E_NS1_11comp_targetILNS1_3genE10ELNS1_11target_archE1200ELNS1_3gpuE4ELNS1_3repE0EEENS1_30default_config_static_selectorELNS0_4arch9wavefront6targetE1EEEvT1_
	.p2align	8
	.type	_ZN7rocprim17ROCPRIM_400000_NS6detail17trampoline_kernelINS0_14default_configENS1_27scan_by_key_config_selectorIxiEEZZNS1_16scan_by_key_implILNS1_25lookback_scan_determinismE0ELb1ES3_N6thrust23THRUST_200600_302600_NS6detail15normal_iteratorINS9_10device_ptrIxEEEESE_SE_iNS9_4plusIvEENS9_8equal_toIvEEiEE10hipError_tPvRmT2_T3_T4_T5_mT6_T7_P12ihipStream_tbENKUlT_T0_E_clISt17integral_constantIbLb0EESZ_EEDaSU_SV_EUlSU_E_NS1_11comp_targetILNS1_3genE10ELNS1_11target_archE1200ELNS1_3gpuE4ELNS1_3repE0EEENS1_30default_config_static_selectorELNS0_4arch9wavefront6targetE1EEEvT1_,@function
_ZN7rocprim17ROCPRIM_400000_NS6detail17trampoline_kernelINS0_14default_configENS1_27scan_by_key_config_selectorIxiEEZZNS1_16scan_by_key_implILNS1_25lookback_scan_determinismE0ELb1ES3_N6thrust23THRUST_200600_302600_NS6detail15normal_iteratorINS9_10device_ptrIxEEEESE_SE_iNS9_4plusIvEENS9_8equal_toIvEEiEE10hipError_tPvRmT2_T3_T4_T5_mT6_T7_P12ihipStream_tbENKUlT_T0_E_clISt17integral_constantIbLb0EESZ_EEDaSU_SV_EUlSU_E_NS1_11comp_targetILNS1_3genE10ELNS1_11target_archE1200ELNS1_3gpuE4ELNS1_3repE0EEENS1_30default_config_static_selectorELNS0_4arch9wavefront6targetE1EEEvT1_: ; @_ZN7rocprim17ROCPRIM_400000_NS6detail17trampoline_kernelINS0_14default_configENS1_27scan_by_key_config_selectorIxiEEZZNS1_16scan_by_key_implILNS1_25lookback_scan_determinismE0ELb1ES3_N6thrust23THRUST_200600_302600_NS6detail15normal_iteratorINS9_10device_ptrIxEEEESE_SE_iNS9_4plusIvEENS9_8equal_toIvEEiEE10hipError_tPvRmT2_T3_T4_T5_mT6_T7_P12ihipStream_tbENKUlT_T0_E_clISt17integral_constantIbLb0EESZ_EEDaSU_SV_EUlSU_E_NS1_11comp_targetILNS1_3genE10ELNS1_11target_archE1200ELNS1_3gpuE4ELNS1_3repE0EEENS1_30default_config_static_selectorELNS0_4arch9wavefront6targetE1EEEvT1_
; %bb.0:
	.section	.rodata,"a",@progbits
	.p2align	6, 0x0
	.amdhsa_kernel _ZN7rocprim17ROCPRIM_400000_NS6detail17trampoline_kernelINS0_14default_configENS1_27scan_by_key_config_selectorIxiEEZZNS1_16scan_by_key_implILNS1_25lookback_scan_determinismE0ELb1ES3_N6thrust23THRUST_200600_302600_NS6detail15normal_iteratorINS9_10device_ptrIxEEEESE_SE_iNS9_4plusIvEENS9_8equal_toIvEEiEE10hipError_tPvRmT2_T3_T4_T5_mT6_T7_P12ihipStream_tbENKUlT_T0_E_clISt17integral_constantIbLb0EESZ_EEDaSU_SV_EUlSU_E_NS1_11comp_targetILNS1_3genE10ELNS1_11target_archE1200ELNS1_3gpuE4ELNS1_3repE0EEENS1_30default_config_static_selectorELNS0_4arch9wavefront6targetE1EEEvT1_
		.amdhsa_group_segment_fixed_size 0
		.amdhsa_private_segment_fixed_size 0
		.amdhsa_kernarg_size 112
		.amdhsa_user_sgpr_count 2
		.amdhsa_user_sgpr_dispatch_ptr 0
		.amdhsa_user_sgpr_queue_ptr 0
		.amdhsa_user_sgpr_kernarg_segment_ptr 1
		.amdhsa_user_sgpr_dispatch_id 0
		.amdhsa_user_sgpr_kernarg_preload_length 0
		.amdhsa_user_sgpr_kernarg_preload_offset 0
		.amdhsa_user_sgpr_private_segment_size 0
		.amdhsa_uses_dynamic_stack 0
		.amdhsa_enable_private_segment 0
		.amdhsa_system_sgpr_workgroup_id_x 1
		.amdhsa_system_sgpr_workgroup_id_y 0
		.amdhsa_system_sgpr_workgroup_id_z 0
		.amdhsa_system_sgpr_workgroup_info 0
		.amdhsa_system_vgpr_workitem_id 0
		.amdhsa_next_free_vgpr 1
		.amdhsa_next_free_sgpr 0
		.amdhsa_accum_offset 4
		.amdhsa_reserve_vcc 0
		.amdhsa_float_round_mode_32 0
		.amdhsa_float_round_mode_16_64 0
		.amdhsa_float_denorm_mode_32 3
		.amdhsa_float_denorm_mode_16_64 3
		.amdhsa_dx10_clamp 1
		.amdhsa_ieee_mode 1
		.amdhsa_fp16_overflow 0
		.amdhsa_tg_split 0
		.amdhsa_exception_fp_ieee_invalid_op 0
		.amdhsa_exception_fp_denorm_src 0
		.amdhsa_exception_fp_ieee_div_zero 0
		.amdhsa_exception_fp_ieee_overflow 0
		.amdhsa_exception_fp_ieee_underflow 0
		.amdhsa_exception_fp_ieee_inexact 0
		.amdhsa_exception_int_div_zero 0
	.end_amdhsa_kernel
	.section	.text._ZN7rocprim17ROCPRIM_400000_NS6detail17trampoline_kernelINS0_14default_configENS1_27scan_by_key_config_selectorIxiEEZZNS1_16scan_by_key_implILNS1_25lookback_scan_determinismE0ELb1ES3_N6thrust23THRUST_200600_302600_NS6detail15normal_iteratorINS9_10device_ptrIxEEEESE_SE_iNS9_4plusIvEENS9_8equal_toIvEEiEE10hipError_tPvRmT2_T3_T4_T5_mT6_T7_P12ihipStream_tbENKUlT_T0_E_clISt17integral_constantIbLb0EESZ_EEDaSU_SV_EUlSU_E_NS1_11comp_targetILNS1_3genE10ELNS1_11target_archE1200ELNS1_3gpuE4ELNS1_3repE0EEENS1_30default_config_static_selectorELNS0_4arch9wavefront6targetE1EEEvT1_,"axG",@progbits,_ZN7rocprim17ROCPRIM_400000_NS6detail17trampoline_kernelINS0_14default_configENS1_27scan_by_key_config_selectorIxiEEZZNS1_16scan_by_key_implILNS1_25lookback_scan_determinismE0ELb1ES3_N6thrust23THRUST_200600_302600_NS6detail15normal_iteratorINS9_10device_ptrIxEEEESE_SE_iNS9_4plusIvEENS9_8equal_toIvEEiEE10hipError_tPvRmT2_T3_T4_T5_mT6_T7_P12ihipStream_tbENKUlT_T0_E_clISt17integral_constantIbLb0EESZ_EEDaSU_SV_EUlSU_E_NS1_11comp_targetILNS1_3genE10ELNS1_11target_archE1200ELNS1_3gpuE4ELNS1_3repE0EEENS1_30default_config_static_selectorELNS0_4arch9wavefront6targetE1EEEvT1_,comdat
.Lfunc_end1008:
	.size	_ZN7rocprim17ROCPRIM_400000_NS6detail17trampoline_kernelINS0_14default_configENS1_27scan_by_key_config_selectorIxiEEZZNS1_16scan_by_key_implILNS1_25lookback_scan_determinismE0ELb1ES3_N6thrust23THRUST_200600_302600_NS6detail15normal_iteratorINS9_10device_ptrIxEEEESE_SE_iNS9_4plusIvEENS9_8equal_toIvEEiEE10hipError_tPvRmT2_T3_T4_T5_mT6_T7_P12ihipStream_tbENKUlT_T0_E_clISt17integral_constantIbLb0EESZ_EEDaSU_SV_EUlSU_E_NS1_11comp_targetILNS1_3genE10ELNS1_11target_archE1200ELNS1_3gpuE4ELNS1_3repE0EEENS1_30default_config_static_selectorELNS0_4arch9wavefront6targetE1EEEvT1_, .Lfunc_end1008-_ZN7rocprim17ROCPRIM_400000_NS6detail17trampoline_kernelINS0_14default_configENS1_27scan_by_key_config_selectorIxiEEZZNS1_16scan_by_key_implILNS1_25lookback_scan_determinismE0ELb1ES3_N6thrust23THRUST_200600_302600_NS6detail15normal_iteratorINS9_10device_ptrIxEEEESE_SE_iNS9_4plusIvEENS9_8equal_toIvEEiEE10hipError_tPvRmT2_T3_T4_T5_mT6_T7_P12ihipStream_tbENKUlT_T0_E_clISt17integral_constantIbLb0EESZ_EEDaSU_SV_EUlSU_E_NS1_11comp_targetILNS1_3genE10ELNS1_11target_archE1200ELNS1_3gpuE4ELNS1_3repE0EEENS1_30default_config_static_selectorELNS0_4arch9wavefront6targetE1EEEvT1_
                                        ; -- End function
	.section	.AMDGPU.csdata,"",@progbits
; Kernel info:
; codeLenInByte = 0
; NumSgprs: 6
; NumVgprs: 0
; NumAgprs: 0
; TotalNumVgprs: 0
; ScratchSize: 0
; MemoryBound: 0
; FloatMode: 240
; IeeeMode: 1
; LDSByteSize: 0 bytes/workgroup (compile time only)
; SGPRBlocks: 0
; VGPRBlocks: 0
; NumSGPRsForWavesPerEU: 6
; NumVGPRsForWavesPerEU: 1
; AccumOffset: 4
; Occupancy: 8
; WaveLimiterHint : 0
; COMPUTE_PGM_RSRC2:SCRATCH_EN: 0
; COMPUTE_PGM_RSRC2:USER_SGPR: 2
; COMPUTE_PGM_RSRC2:TRAP_HANDLER: 0
; COMPUTE_PGM_RSRC2:TGID_X_EN: 1
; COMPUTE_PGM_RSRC2:TGID_Y_EN: 0
; COMPUTE_PGM_RSRC2:TGID_Z_EN: 0
; COMPUTE_PGM_RSRC2:TIDIG_COMP_CNT: 0
; COMPUTE_PGM_RSRC3_GFX90A:ACCUM_OFFSET: 0
; COMPUTE_PGM_RSRC3_GFX90A:TG_SPLIT: 0
	.section	.text._ZN7rocprim17ROCPRIM_400000_NS6detail17trampoline_kernelINS0_14default_configENS1_27scan_by_key_config_selectorIxiEEZZNS1_16scan_by_key_implILNS1_25lookback_scan_determinismE0ELb1ES3_N6thrust23THRUST_200600_302600_NS6detail15normal_iteratorINS9_10device_ptrIxEEEESE_SE_iNS9_4plusIvEENS9_8equal_toIvEEiEE10hipError_tPvRmT2_T3_T4_T5_mT6_T7_P12ihipStream_tbENKUlT_T0_E_clISt17integral_constantIbLb0EESZ_EEDaSU_SV_EUlSU_E_NS1_11comp_targetILNS1_3genE9ELNS1_11target_archE1100ELNS1_3gpuE3ELNS1_3repE0EEENS1_30default_config_static_selectorELNS0_4arch9wavefront6targetE1EEEvT1_,"axG",@progbits,_ZN7rocprim17ROCPRIM_400000_NS6detail17trampoline_kernelINS0_14default_configENS1_27scan_by_key_config_selectorIxiEEZZNS1_16scan_by_key_implILNS1_25lookback_scan_determinismE0ELb1ES3_N6thrust23THRUST_200600_302600_NS6detail15normal_iteratorINS9_10device_ptrIxEEEESE_SE_iNS9_4plusIvEENS9_8equal_toIvEEiEE10hipError_tPvRmT2_T3_T4_T5_mT6_T7_P12ihipStream_tbENKUlT_T0_E_clISt17integral_constantIbLb0EESZ_EEDaSU_SV_EUlSU_E_NS1_11comp_targetILNS1_3genE9ELNS1_11target_archE1100ELNS1_3gpuE3ELNS1_3repE0EEENS1_30default_config_static_selectorELNS0_4arch9wavefront6targetE1EEEvT1_,comdat
	.protected	_ZN7rocprim17ROCPRIM_400000_NS6detail17trampoline_kernelINS0_14default_configENS1_27scan_by_key_config_selectorIxiEEZZNS1_16scan_by_key_implILNS1_25lookback_scan_determinismE0ELb1ES3_N6thrust23THRUST_200600_302600_NS6detail15normal_iteratorINS9_10device_ptrIxEEEESE_SE_iNS9_4plusIvEENS9_8equal_toIvEEiEE10hipError_tPvRmT2_T3_T4_T5_mT6_T7_P12ihipStream_tbENKUlT_T0_E_clISt17integral_constantIbLb0EESZ_EEDaSU_SV_EUlSU_E_NS1_11comp_targetILNS1_3genE9ELNS1_11target_archE1100ELNS1_3gpuE3ELNS1_3repE0EEENS1_30default_config_static_selectorELNS0_4arch9wavefront6targetE1EEEvT1_ ; -- Begin function _ZN7rocprim17ROCPRIM_400000_NS6detail17trampoline_kernelINS0_14default_configENS1_27scan_by_key_config_selectorIxiEEZZNS1_16scan_by_key_implILNS1_25lookback_scan_determinismE0ELb1ES3_N6thrust23THRUST_200600_302600_NS6detail15normal_iteratorINS9_10device_ptrIxEEEESE_SE_iNS9_4plusIvEENS9_8equal_toIvEEiEE10hipError_tPvRmT2_T3_T4_T5_mT6_T7_P12ihipStream_tbENKUlT_T0_E_clISt17integral_constantIbLb0EESZ_EEDaSU_SV_EUlSU_E_NS1_11comp_targetILNS1_3genE9ELNS1_11target_archE1100ELNS1_3gpuE3ELNS1_3repE0EEENS1_30default_config_static_selectorELNS0_4arch9wavefront6targetE1EEEvT1_
	.globl	_ZN7rocprim17ROCPRIM_400000_NS6detail17trampoline_kernelINS0_14default_configENS1_27scan_by_key_config_selectorIxiEEZZNS1_16scan_by_key_implILNS1_25lookback_scan_determinismE0ELb1ES3_N6thrust23THRUST_200600_302600_NS6detail15normal_iteratorINS9_10device_ptrIxEEEESE_SE_iNS9_4plusIvEENS9_8equal_toIvEEiEE10hipError_tPvRmT2_T3_T4_T5_mT6_T7_P12ihipStream_tbENKUlT_T0_E_clISt17integral_constantIbLb0EESZ_EEDaSU_SV_EUlSU_E_NS1_11comp_targetILNS1_3genE9ELNS1_11target_archE1100ELNS1_3gpuE3ELNS1_3repE0EEENS1_30default_config_static_selectorELNS0_4arch9wavefront6targetE1EEEvT1_
	.p2align	8
	.type	_ZN7rocprim17ROCPRIM_400000_NS6detail17trampoline_kernelINS0_14default_configENS1_27scan_by_key_config_selectorIxiEEZZNS1_16scan_by_key_implILNS1_25lookback_scan_determinismE0ELb1ES3_N6thrust23THRUST_200600_302600_NS6detail15normal_iteratorINS9_10device_ptrIxEEEESE_SE_iNS9_4plusIvEENS9_8equal_toIvEEiEE10hipError_tPvRmT2_T3_T4_T5_mT6_T7_P12ihipStream_tbENKUlT_T0_E_clISt17integral_constantIbLb0EESZ_EEDaSU_SV_EUlSU_E_NS1_11comp_targetILNS1_3genE9ELNS1_11target_archE1100ELNS1_3gpuE3ELNS1_3repE0EEENS1_30default_config_static_selectorELNS0_4arch9wavefront6targetE1EEEvT1_,@function
_ZN7rocprim17ROCPRIM_400000_NS6detail17trampoline_kernelINS0_14default_configENS1_27scan_by_key_config_selectorIxiEEZZNS1_16scan_by_key_implILNS1_25lookback_scan_determinismE0ELb1ES3_N6thrust23THRUST_200600_302600_NS6detail15normal_iteratorINS9_10device_ptrIxEEEESE_SE_iNS9_4plusIvEENS9_8equal_toIvEEiEE10hipError_tPvRmT2_T3_T4_T5_mT6_T7_P12ihipStream_tbENKUlT_T0_E_clISt17integral_constantIbLb0EESZ_EEDaSU_SV_EUlSU_E_NS1_11comp_targetILNS1_3genE9ELNS1_11target_archE1100ELNS1_3gpuE3ELNS1_3repE0EEENS1_30default_config_static_selectorELNS0_4arch9wavefront6targetE1EEEvT1_: ; @_ZN7rocprim17ROCPRIM_400000_NS6detail17trampoline_kernelINS0_14default_configENS1_27scan_by_key_config_selectorIxiEEZZNS1_16scan_by_key_implILNS1_25lookback_scan_determinismE0ELb1ES3_N6thrust23THRUST_200600_302600_NS6detail15normal_iteratorINS9_10device_ptrIxEEEESE_SE_iNS9_4plusIvEENS9_8equal_toIvEEiEE10hipError_tPvRmT2_T3_T4_T5_mT6_T7_P12ihipStream_tbENKUlT_T0_E_clISt17integral_constantIbLb0EESZ_EEDaSU_SV_EUlSU_E_NS1_11comp_targetILNS1_3genE9ELNS1_11target_archE1100ELNS1_3gpuE3ELNS1_3repE0EEENS1_30default_config_static_selectorELNS0_4arch9wavefront6targetE1EEEvT1_
; %bb.0:
	.section	.rodata,"a",@progbits
	.p2align	6, 0x0
	.amdhsa_kernel _ZN7rocprim17ROCPRIM_400000_NS6detail17trampoline_kernelINS0_14default_configENS1_27scan_by_key_config_selectorIxiEEZZNS1_16scan_by_key_implILNS1_25lookback_scan_determinismE0ELb1ES3_N6thrust23THRUST_200600_302600_NS6detail15normal_iteratorINS9_10device_ptrIxEEEESE_SE_iNS9_4plusIvEENS9_8equal_toIvEEiEE10hipError_tPvRmT2_T3_T4_T5_mT6_T7_P12ihipStream_tbENKUlT_T0_E_clISt17integral_constantIbLb0EESZ_EEDaSU_SV_EUlSU_E_NS1_11comp_targetILNS1_3genE9ELNS1_11target_archE1100ELNS1_3gpuE3ELNS1_3repE0EEENS1_30default_config_static_selectorELNS0_4arch9wavefront6targetE1EEEvT1_
		.amdhsa_group_segment_fixed_size 0
		.amdhsa_private_segment_fixed_size 0
		.amdhsa_kernarg_size 112
		.amdhsa_user_sgpr_count 2
		.amdhsa_user_sgpr_dispatch_ptr 0
		.amdhsa_user_sgpr_queue_ptr 0
		.amdhsa_user_sgpr_kernarg_segment_ptr 1
		.amdhsa_user_sgpr_dispatch_id 0
		.amdhsa_user_sgpr_kernarg_preload_length 0
		.amdhsa_user_sgpr_kernarg_preload_offset 0
		.amdhsa_user_sgpr_private_segment_size 0
		.amdhsa_uses_dynamic_stack 0
		.amdhsa_enable_private_segment 0
		.amdhsa_system_sgpr_workgroup_id_x 1
		.amdhsa_system_sgpr_workgroup_id_y 0
		.amdhsa_system_sgpr_workgroup_id_z 0
		.amdhsa_system_sgpr_workgroup_info 0
		.amdhsa_system_vgpr_workitem_id 0
		.amdhsa_next_free_vgpr 1
		.amdhsa_next_free_sgpr 0
		.amdhsa_accum_offset 4
		.amdhsa_reserve_vcc 0
		.amdhsa_float_round_mode_32 0
		.amdhsa_float_round_mode_16_64 0
		.amdhsa_float_denorm_mode_32 3
		.amdhsa_float_denorm_mode_16_64 3
		.amdhsa_dx10_clamp 1
		.amdhsa_ieee_mode 1
		.amdhsa_fp16_overflow 0
		.amdhsa_tg_split 0
		.amdhsa_exception_fp_ieee_invalid_op 0
		.amdhsa_exception_fp_denorm_src 0
		.amdhsa_exception_fp_ieee_div_zero 0
		.amdhsa_exception_fp_ieee_overflow 0
		.amdhsa_exception_fp_ieee_underflow 0
		.amdhsa_exception_fp_ieee_inexact 0
		.amdhsa_exception_int_div_zero 0
	.end_amdhsa_kernel
	.section	.text._ZN7rocprim17ROCPRIM_400000_NS6detail17trampoline_kernelINS0_14default_configENS1_27scan_by_key_config_selectorIxiEEZZNS1_16scan_by_key_implILNS1_25lookback_scan_determinismE0ELb1ES3_N6thrust23THRUST_200600_302600_NS6detail15normal_iteratorINS9_10device_ptrIxEEEESE_SE_iNS9_4plusIvEENS9_8equal_toIvEEiEE10hipError_tPvRmT2_T3_T4_T5_mT6_T7_P12ihipStream_tbENKUlT_T0_E_clISt17integral_constantIbLb0EESZ_EEDaSU_SV_EUlSU_E_NS1_11comp_targetILNS1_3genE9ELNS1_11target_archE1100ELNS1_3gpuE3ELNS1_3repE0EEENS1_30default_config_static_selectorELNS0_4arch9wavefront6targetE1EEEvT1_,"axG",@progbits,_ZN7rocprim17ROCPRIM_400000_NS6detail17trampoline_kernelINS0_14default_configENS1_27scan_by_key_config_selectorIxiEEZZNS1_16scan_by_key_implILNS1_25lookback_scan_determinismE0ELb1ES3_N6thrust23THRUST_200600_302600_NS6detail15normal_iteratorINS9_10device_ptrIxEEEESE_SE_iNS9_4plusIvEENS9_8equal_toIvEEiEE10hipError_tPvRmT2_T3_T4_T5_mT6_T7_P12ihipStream_tbENKUlT_T0_E_clISt17integral_constantIbLb0EESZ_EEDaSU_SV_EUlSU_E_NS1_11comp_targetILNS1_3genE9ELNS1_11target_archE1100ELNS1_3gpuE3ELNS1_3repE0EEENS1_30default_config_static_selectorELNS0_4arch9wavefront6targetE1EEEvT1_,comdat
.Lfunc_end1009:
	.size	_ZN7rocprim17ROCPRIM_400000_NS6detail17trampoline_kernelINS0_14default_configENS1_27scan_by_key_config_selectorIxiEEZZNS1_16scan_by_key_implILNS1_25lookback_scan_determinismE0ELb1ES3_N6thrust23THRUST_200600_302600_NS6detail15normal_iteratorINS9_10device_ptrIxEEEESE_SE_iNS9_4plusIvEENS9_8equal_toIvEEiEE10hipError_tPvRmT2_T3_T4_T5_mT6_T7_P12ihipStream_tbENKUlT_T0_E_clISt17integral_constantIbLb0EESZ_EEDaSU_SV_EUlSU_E_NS1_11comp_targetILNS1_3genE9ELNS1_11target_archE1100ELNS1_3gpuE3ELNS1_3repE0EEENS1_30default_config_static_selectorELNS0_4arch9wavefront6targetE1EEEvT1_, .Lfunc_end1009-_ZN7rocprim17ROCPRIM_400000_NS6detail17trampoline_kernelINS0_14default_configENS1_27scan_by_key_config_selectorIxiEEZZNS1_16scan_by_key_implILNS1_25lookback_scan_determinismE0ELb1ES3_N6thrust23THRUST_200600_302600_NS6detail15normal_iteratorINS9_10device_ptrIxEEEESE_SE_iNS9_4plusIvEENS9_8equal_toIvEEiEE10hipError_tPvRmT2_T3_T4_T5_mT6_T7_P12ihipStream_tbENKUlT_T0_E_clISt17integral_constantIbLb0EESZ_EEDaSU_SV_EUlSU_E_NS1_11comp_targetILNS1_3genE9ELNS1_11target_archE1100ELNS1_3gpuE3ELNS1_3repE0EEENS1_30default_config_static_selectorELNS0_4arch9wavefront6targetE1EEEvT1_
                                        ; -- End function
	.section	.AMDGPU.csdata,"",@progbits
; Kernel info:
; codeLenInByte = 0
; NumSgprs: 6
; NumVgprs: 0
; NumAgprs: 0
; TotalNumVgprs: 0
; ScratchSize: 0
; MemoryBound: 0
; FloatMode: 240
; IeeeMode: 1
; LDSByteSize: 0 bytes/workgroup (compile time only)
; SGPRBlocks: 0
; VGPRBlocks: 0
; NumSGPRsForWavesPerEU: 6
; NumVGPRsForWavesPerEU: 1
; AccumOffset: 4
; Occupancy: 8
; WaveLimiterHint : 0
; COMPUTE_PGM_RSRC2:SCRATCH_EN: 0
; COMPUTE_PGM_RSRC2:USER_SGPR: 2
; COMPUTE_PGM_RSRC2:TRAP_HANDLER: 0
; COMPUTE_PGM_RSRC2:TGID_X_EN: 1
; COMPUTE_PGM_RSRC2:TGID_Y_EN: 0
; COMPUTE_PGM_RSRC2:TGID_Z_EN: 0
; COMPUTE_PGM_RSRC2:TIDIG_COMP_CNT: 0
; COMPUTE_PGM_RSRC3_GFX90A:ACCUM_OFFSET: 0
; COMPUTE_PGM_RSRC3_GFX90A:TG_SPLIT: 0
	.section	.text._ZN7rocprim17ROCPRIM_400000_NS6detail17trampoline_kernelINS0_14default_configENS1_27scan_by_key_config_selectorIxiEEZZNS1_16scan_by_key_implILNS1_25lookback_scan_determinismE0ELb1ES3_N6thrust23THRUST_200600_302600_NS6detail15normal_iteratorINS9_10device_ptrIxEEEESE_SE_iNS9_4plusIvEENS9_8equal_toIvEEiEE10hipError_tPvRmT2_T3_T4_T5_mT6_T7_P12ihipStream_tbENKUlT_T0_E_clISt17integral_constantIbLb0EESZ_EEDaSU_SV_EUlSU_E_NS1_11comp_targetILNS1_3genE8ELNS1_11target_archE1030ELNS1_3gpuE2ELNS1_3repE0EEENS1_30default_config_static_selectorELNS0_4arch9wavefront6targetE1EEEvT1_,"axG",@progbits,_ZN7rocprim17ROCPRIM_400000_NS6detail17trampoline_kernelINS0_14default_configENS1_27scan_by_key_config_selectorIxiEEZZNS1_16scan_by_key_implILNS1_25lookback_scan_determinismE0ELb1ES3_N6thrust23THRUST_200600_302600_NS6detail15normal_iteratorINS9_10device_ptrIxEEEESE_SE_iNS9_4plusIvEENS9_8equal_toIvEEiEE10hipError_tPvRmT2_T3_T4_T5_mT6_T7_P12ihipStream_tbENKUlT_T0_E_clISt17integral_constantIbLb0EESZ_EEDaSU_SV_EUlSU_E_NS1_11comp_targetILNS1_3genE8ELNS1_11target_archE1030ELNS1_3gpuE2ELNS1_3repE0EEENS1_30default_config_static_selectorELNS0_4arch9wavefront6targetE1EEEvT1_,comdat
	.protected	_ZN7rocprim17ROCPRIM_400000_NS6detail17trampoline_kernelINS0_14default_configENS1_27scan_by_key_config_selectorIxiEEZZNS1_16scan_by_key_implILNS1_25lookback_scan_determinismE0ELb1ES3_N6thrust23THRUST_200600_302600_NS6detail15normal_iteratorINS9_10device_ptrIxEEEESE_SE_iNS9_4plusIvEENS9_8equal_toIvEEiEE10hipError_tPvRmT2_T3_T4_T5_mT6_T7_P12ihipStream_tbENKUlT_T0_E_clISt17integral_constantIbLb0EESZ_EEDaSU_SV_EUlSU_E_NS1_11comp_targetILNS1_3genE8ELNS1_11target_archE1030ELNS1_3gpuE2ELNS1_3repE0EEENS1_30default_config_static_selectorELNS0_4arch9wavefront6targetE1EEEvT1_ ; -- Begin function _ZN7rocprim17ROCPRIM_400000_NS6detail17trampoline_kernelINS0_14default_configENS1_27scan_by_key_config_selectorIxiEEZZNS1_16scan_by_key_implILNS1_25lookback_scan_determinismE0ELb1ES3_N6thrust23THRUST_200600_302600_NS6detail15normal_iteratorINS9_10device_ptrIxEEEESE_SE_iNS9_4plusIvEENS9_8equal_toIvEEiEE10hipError_tPvRmT2_T3_T4_T5_mT6_T7_P12ihipStream_tbENKUlT_T0_E_clISt17integral_constantIbLb0EESZ_EEDaSU_SV_EUlSU_E_NS1_11comp_targetILNS1_3genE8ELNS1_11target_archE1030ELNS1_3gpuE2ELNS1_3repE0EEENS1_30default_config_static_selectorELNS0_4arch9wavefront6targetE1EEEvT1_
	.globl	_ZN7rocprim17ROCPRIM_400000_NS6detail17trampoline_kernelINS0_14default_configENS1_27scan_by_key_config_selectorIxiEEZZNS1_16scan_by_key_implILNS1_25lookback_scan_determinismE0ELb1ES3_N6thrust23THRUST_200600_302600_NS6detail15normal_iteratorINS9_10device_ptrIxEEEESE_SE_iNS9_4plusIvEENS9_8equal_toIvEEiEE10hipError_tPvRmT2_T3_T4_T5_mT6_T7_P12ihipStream_tbENKUlT_T0_E_clISt17integral_constantIbLb0EESZ_EEDaSU_SV_EUlSU_E_NS1_11comp_targetILNS1_3genE8ELNS1_11target_archE1030ELNS1_3gpuE2ELNS1_3repE0EEENS1_30default_config_static_selectorELNS0_4arch9wavefront6targetE1EEEvT1_
	.p2align	8
	.type	_ZN7rocprim17ROCPRIM_400000_NS6detail17trampoline_kernelINS0_14default_configENS1_27scan_by_key_config_selectorIxiEEZZNS1_16scan_by_key_implILNS1_25lookback_scan_determinismE0ELb1ES3_N6thrust23THRUST_200600_302600_NS6detail15normal_iteratorINS9_10device_ptrIxEEEESE_SE_iNS9_4plusIvEENS9_8equal_toIvEEiEE10hipError_tPvRmT2_T3_T4_T5_mT6_T7_P12ihipStream_tbENKUlT_T0_E_clISt17integral_constantIbLb0EESZ_EEDaSU_SV_EUlSU_E_NS1_11comp_targetILNS1_3genE8ELNS1_11target_archE1030ELNS1_3gpuE2ELNS1_3repE0EEENS1_30default_config_static_selectorELNS0_4arch9wavefront6targetE1EEEvT1_,@function
_ZN7rocprim17ROCPRIM_400000_NS6detail17trampoline_kernelINS0_14default_configENS1_27scan_by_key_config_selectorIxiEEZZNS1_16scan_by_key_implILNS1_25lookback_scan_determinismE0ELb1ES3_N6thrust23THRUST_200600_302600_NS6detail15normal_iteratorINS9_10device_ptrIxEEEESE_SE_iNS9_4plusIvEENS9_8equal_toIvEEiEE10hipError_tPvRmT2_T3_T4_T5_mT6_T7_P12ihipStream_tbENKUlT_T0_E_clISt17integral_constantIbLb0EESZ_EEDaSU_SV_EUlSU_E_NS1_11comp_targetILNS1_3genE8ELNS1_11target_archE1030ELNS1_3gpuE2ELNS1_3repE0EEENS1_30default_config_static_selectorELNS0_4arch9wavefront6targetE1EEEvT1_: ; @_ZN7rocprim17ROCPRIM_400000_NS6detail17trampoline_kernelINS0_14default_configENS1_27scan_by_key_config_selectorIxiEEZZNS1_16scan_by_key_implILNS1_25lookback_scan_determinismE0ELb1ES3_N6thrust23THRUST_200600_302600_NS6detail15normal_iteratorINS9_10device_ptrIxEEEESE_SE_iNS9_4plusIvEENS9_8equal_toIvEEiEE10hipError_tPvRmT2_T3_T4_T5_mT6_T7_P12ihipStream_tbENKUlT_T0_E_clISt17integral_constantIbLb0EESZ_EEDaSU_SV_EUlSU_E_NS1_11comp_targetILNS1_3genE8ELNS1_11target_archE1030ELNS1_3gpuE2ELNS1_3repE0EEENS1_30default_config_static_selectorELNS0_4arch9wavefront6targetE1EEEvT1_
; %bb.0:
	.section	.rodata,"a",@progbits
	.p2align	6, 0x0
	.amdhsa_kernel _ZN7rocprim17ROCPRIM_400000_NS6detail17trampoline_kernelINS0_14default_configENS1_27scan_by_key_config_selectorIxiEEZZNS1_16scan_by_key_implILNS1_25lookback_scan_determinismE0ELb1ES3_N6thrust23THRUST_200600_302600_NS6detail15normal_iteratorINS9_10device_ptrIxEEEESE_SE_iNS9_4plusIvEENS9_8equal_toIvEEiEE10hipError_tPvRmT2_T3_T4_T5_mT6_T7_P12ihipStream_tbENKUlT_T0_E_clISt17integral_constantIbLb0EESZ_EEDaSU_SV_EUlSU_E_NS1_11comp_targetILNS1_3genE8ELNS1_11target_archE1030ELNS1_3gpuE2ELNS1_3repE0EEENS1_30default_config_static_selectorELNS0_4arch9wavefront6targetE1EEEvT1_
		.amdhsa_group_segment_fixed_size 0
		.amdhsa_private_segment_fixed_size 0
		.amdhsa_kernarg_size 112
		.amdhsa_user_sgpr_count 2
		.amdhsa_user_sgpr_dispatch_ptr 0
		.amdhsa_user_sgpr_queue_ptr 0
		.amdhsa_user_sgpr_kernarg_segment_ptr 1
		.amdhsa_user_sgpr_dispatch_id 0
		.amdhsa_user_sgpr_kernarg_preload_length 0
		.amdhsa_user_sgpr_kernarg_preload_offset 0
		.amdhsa_user_sgpr_private_segment_size 0
		.amdhsa_uses_dynamic_stack 0
		.amdhsa_enable_private_segment 0
		.amdhsa_system_sgpr_workgroup_id_x 1
		.amdhsa_system_sgpr_workgroup_id_y 0
		.amdhsa_system_sgpr_workgroup_id_z 0
		.amdhsa_system_sgpr_workgroup_info 0
		.amdhsa_system_vgpr_workitem_id 0
		.amdhsa_next_free_vgpr 1
		.amdhsa_next_free_sgpr 0
		.amdhsa_accum_offset 4
		.amdhsa_reserve_vcc 0
		.amdhsa_float_round_mode_32 0
		.amdhsa_float_round_mode_16_64 0
		.amdhsa_float_denorm_mode_32 3
		.amdhsa_float_denorm_mode_16_64 3
		.amdhsa_dx10_clamp 1
		.amdhsa_ieee_mode 1
		.amdhsa_fp16_overflow 0
		.amdhsa_tg_split 0
		.amdhsa_exception_fp_ieee_invalid_op 0
		.amdhsa_exception_fp_denorm_src 0
		.amdhsa_exception_fp_ieee_div_zero 0
		.amdhsa_exception_fp_ieee_overflow 0
		.amdhsa_exception_fp_ieee_underflow 0
		.amdhsa_exception_fp_ieee_inexact 0
		.amdhsa_exception_int_div_zero 0
	.end_amdhsa_kernel
	.section	.text._ZN7rocprim17ROCPRIM_400000_NS6detail17trampoline_kernelINS0_14default_configENS1_27scan_by_key_config_selectorIxiEEZZNS1_16scan_by_key_implILNS1_25lookback_scan_determinismE0ELb1ES3_N6thrust23THRUST_200600_302600_NS6detail15normal_iteratorINS9_10device_ptrIxEEEESE_SE_iNS9_4plusIvEENS9_8equal_toIvEEiEE10hipError_tPvRmT2_T3_T4_T5_mT6_T7_P12ihipStream_tbENKUlT_T0_E_clISt17integral_constantIbLb0EESZ_EEDaSU_SV_EUlSU_E_NS1_11comp_targetILNS1_3genE8ELNS1_11target_archE1030ELNS1_3gpuE2ELNS1_3repE0EEENS1_30default_config_static_selectorELNS0_4arch9wavefront6targetE1EEEvT1_,"axG",@progbits,_ZN7rocprim17ROCPRIM_400000_NS6detail17trampoline_kernelINS0_14default_configENS1_27scan_by_key_config_selectorIxiEEZZNS1_16scan_by_key_implILNS1_25lookback_scan_determinismE0ELb1ES3_N6thrust23THRUST_200600_302600_NS6detail15normal_iteratorINS9_10device_ptrIxEEEESE_SE_iNS9_4plusIvEENS9_8equal_toIvEEiEE10hipError_tPvRmT2_T3_T4_T5_mT6_T7_P12ihipStream_tbENKUlT_T0_E_clISt17integral_constantIbLb0EESZ_EEDaSU_SV_EUlSU_E_NS1_11comp_targetILNS1_3genE8ELNS1_11target_archE1030ELNS1_3gpuE2ELNS1_3repE0EEENS1_30default_config_static_selectorELNS0_4arch9wavefront6targetE1EEEvT1_,comdat
.Lfunc_end1010:
	.size	_ZN7rocprim17ROCPRIM_400000_NS6detail17trampoline_kernelINS0_14default_configENS1_27scan_by_key_config_selectorIxiEEZZNS1_16scan_by_key_implILNS1_25lookback_scan_determinismE0ELb1ES3_N6thrust23THRUST_200600_302600_NS6detail15normal_iteratorINS9_10device_ptrIxEEEESE_SE_iNS9_4plusIvEENS9_8equal_toIvEEiEE10hipError_tPvRmT2_T3_T4_T5_mT6_T7_P12ihipStream_tbENKUlT_T0_E_clISt17integral_constantIbLb0EESZ_EEDaSU_SV_EUlSU_E_NS1_11comp_targetILNS1_3genE8ELNS1_11target_archE1030ELNS1_3gpuE2ELNS1_3repE0EEENS1_30default_config_static_selectorELNS0_4arch9wavefront6targetE1EEEvT1_, .Lfunc_end1010-_ZN7rocprim17ROCPRIM_400000_NS6detail17trampoline_kernelINS0_14default_configENS1_27scan_by_key_config_selectorIxiEEZZNS1_16scan_by_key_implILNS1_25lookback_scan_determinismE0ELb1ES3_N6thrust23THRUST_200600_302600_NS6detail15normal_iteratorINS9_10device_ptrIxEEEESE_SE_iNS9_4plusIvEENS9_8equal_toIvEEiEE10hipError_tPvRmT2_T3_T4_T5_mT6_T7_P12ihipStream_tbENKUlT_T0_E_clISt17integral_constantIbLb0EESZ_EEDaSU_SV_EUlSU_E_NS1_11comp_targetILNS1_3genE8ELNS1_11target_archE1030ELNS1_3gpuE2ELNS1_3repE0EEENS1_30default_config_static_selectorELNS0_4arch9wavefront6targetE1EEEvT1_
                                        ; -- End function
	.section	.AMDGPU.csdata,"",@progbits
; Kernel info:
; codeLenInByte = 0
; NumSgprs: 6
; NumVgprs: 0
; NumAgprs: 0
; TotalNumVgprs: 0
; ScratchSize: 0
; MemoryBound: 0
; FloatMode: 240
; IeeeMode: 1
; LDSByteSize: 0 bytes/workgroup (compile time only)
; SGPRBlocks: 0
; VGPRBlocks: 0
; NumSGPRsForWavesPerEU: 6
; NumVGPRsForWavesPerEU: 1
; AccumOffset: 4
; Occupancy: 8
; WaveLimiterHint : 0
; COMPUTE_PGM_RSRC2:SCRATCH_EN: 0
; COMPUTE_PGM_RSRC2:USER_SGPR: 2
; COMPUTE_PGM_RSRC2:TRAP_HANDLER: 0
; COMPUTE_PGM_RSRC2:TGID_X_EN: 1
; COMPUTE_PGM_RSRC2:TGID_Y_EN: 0
; COMPUTE_PGM_RSRC2:TGID_Z_EN: 0
; COMPUTE_PGM_RSRC2:TIDIG_COMP_CNT: 0
; COMPUTE_PGM_RSRC3_GFX90A:ACCUM_OFFSET: 0
; COMPUTE_PGM_RSRC3_GFX90A:TG_SPLIT: 0
	.section	.text._ZN7rocprim17ROCPRIM_400000_NS6detail30init_device_scan_by_key_kernelINS1_19lookback_scan_stateINS0_5tupleIJibEEELb1ELb1EEEN6thrust23THRUST_200600_302600_NS6detail15normal_iteratorINS8_10device_ptrIxEEEEjNS1_16block_id_wrapperIjLb1EEEEEvT_jjPNSG_10value_typeET0_PNSt15iterator_traitsISJ_E10value_typeEmT1_T2_,"axG",@progbits,_ZN7rocprim17ROCPRIM_400000_NS6detail30init_device_scan_by_key_kernelINS1_19lookback_scan_stateINS0_5tupleIJibEEELb1ELb1EEEN6thrust23THRUST_200600_302600_NS6detail15normal_iteratorINS8_10device_ptrIxEEEEjNS1_16block_id_wrapperIjLb1EEEEEvT_jjPNSG_10value_typeET0_PNSt15iterator_traitsISJ_E10value_typeEmT1_T2_,comdat
	.protected	_ZN7rocprim17ROCPRIM_400000_NS6detail30init_device_scan_by_key_kernelINS1_19lookback_scan_stateINS0_5tupleIJibEEELb1ELb1EEEN6thrust23THRUST_200600_302600_NS6detail15normal_iteratorINS8_10device_ptrIxEEEEjNS1_16block_id_wrapperIjLb1EEEEEvT_jjPNSG_10value_typeET0_PNSt15iterator_traitsISJ_E10value_typeEmT1_T2_ ; -- Begin function _ZN7rocprim17ROCPRIM_400000_NS6detail30init_device_scan_by_key_kernelINS1_19lookback_scan_stateINS0_5tupleIJibEEELb1ELb1EEEN6thrust23THRUST_200600_302600_NS6detail15normal_iteratorINS8_10device_ptrIxEEEEjNS1_16block_id_wrapperIjLb1EEEEEvT_jjPNSG_10value_typeET0_PNSt15iterator_traitsISJ_E10value_typeEmT1_T2_
	.globl	_ZN7rocprim17ROCPRIM_400000_NS6detail30init_device_scan_by_key_kernelINS1_19lookback_scan_stateINS0_5tupleIJibEEELb1ELb1EEEN6thrust23THRUST_200600_302600_NS6detail15normal_iteratorINS8_10device_ptrIxEEEEjNS1_16block_id_wrapperIjLb1EEEEEvT_jjPNSG_10value_typeET0_PNSt15iterator_traitsISJ_E10value_typeEmT1_T2_
	.p2align	8
	.type	_ZN7rocprim17ROCPRIM_400000_NS6detail30init_device_scan_by_key_kernelINS1_19lookback_scan_stateINS0_5tupleIJibEEELb1ELb1EEEN6thrust23THRUST_200600_302600_NS6detail15normal_iteratorINS8_10device_ptrIxEEEEjNS1_16block_id_wrapperIjLb1EEEEEvT_jjPNSG_10value_typeET0_PNSt15iterator_traitsISJ_E10value_typeEmT1_T2_,@function
_ZN7rocprim17ROCPRIM_400000_NS6detail30init_device_scan_by_key_kernelINS1_19lookback_scan_stateINS0_5tupleIJibEEELb1ELb1EEEN6thrust23THRUST_200600_302600_NS6detail15normal_iteratorINS8_10device_ptrIxEEEEjNS1_16block_id_wrapperIjLb1EEEEEvT_jjPNSG_10value_typeET0_PNSt15iterator_traitsISJ_E10value_typeEmT1_T2_: ; @_ZN7rocprim17ROCPRIM_400000_NS6detail30init_device_scan_by_key_kernelINS1_19lookback_scan_stateINS0_5tupleIJibEEELb1ELb1EEEN6thrust23THRUST_200600_302600_NS6detail15normal_iteratorINS8_10device_ptrIxEEEEjNS1_16block_id_wrapperIjLb1EEEEEvT_jjPNSG_10value_typeET0_PNSt15iterator_traitsISJ_E10value_typeEmT1_T2_
; %bb.0:
	s_load_dword s3, s[0:1], 0x4c
	s_load_dwordx8 s[4:11], s[0:1], 0x0
	s_load_dword s18, s[0:1], 0x40
	s_waitcnt lgkmcnt(0)
	s_and_b32 s19, s3, 0xffff
	s_mul_i32 s2, s2, s19
	s_cmp_eq_u64 s[8:9], 0
	v_add_u32_e32 v4, s2, v0
	s_cbranch_scc1 .LBB1011_10
; %bb.1:
	s_cmp_lt_u32 s7, s6
	s_cselect_b32 s2, s7, 0
	s_mov_b32 s13, 0
	v_cmp_eq_u32_e32 vcc, s2, v4
	s_and_saveexec_b64 s[2:3], vcc
	s_cbranch_execz .LBB1011_9
; %bb.2:
	s_add_i32 s12, s7, 64
	s_lshl_b64 s[12:13], s[12:13], 4
	s_add_u32 s16, s4, s12
	s_addc_u32 s17, s5, s13
	v_mov_b64_e32 v[0:1], s[16:17]
	;;#ASMSTART
	global_load_dwordx4 v[0:3], v[0:1] off sc1	
s_waitcnt vmcnt(0)
	;;#ASMEND
	v_mov_b32_e32 v7, 0
	v_and_b32_e32 v6, 0xff, v2
	s_mov_b64 s[14:15], 0
	v_cmp_eq_u64_e32 vcc, 0, v[6:7]
	s_and_saveexec_b64 s[12:13], vcc
	s_cbranch_execz .LBB1011_8
; %bb.3:
	s_mov_b32 s7, 1
	v_mov_b64_e32 v[8:9], s[16:17]
.LBB1011_4:                             ; =>This Loop Header: Depth=1
                                        ;     Child Loop BB1011_5 Depth 2
	s_max_u32 s16, s7, 1
.LBB1011_5:                             ;   Parent Loop BB1011_4 Depth=1
                                        ; =>  This Inner Loop Header: Depth=2
	s_add_i32 s16, s16, -1
	s_cmp_eq_u32 s16, 0
	s_sleep 1
	s_cbranch_scc0 .LBB1011_5
; %bb.6:                                ;   in Loop: Header=BB1011_4 Depth=1
	s_cmp_lt_u32 s7, 32
	s_cselect_b64 s[16:17], -1, 0
	s_cmp_lg_u64 s[16:17], 0
	;;#ASMSTART
	global_load_dwordx4 v[0:3], v[8:9] off sc1	
s_waitcnt vmcnt(0)
	;;#ASMEND
	s_addc_u32 s7, s7, 0
	v_and_b32_e32 v6, 0xff, v2
	v_cmp_ne_u64_e32 vcc, 0, v[6:7]
	s_or_b64 s[14:15], vcc, s[14:15]
	s_andn2_b64 exec, exec, s[14:15]
	s_cbranch_execnz .LBB1011_4
; %bb.7:
	s_or_b64 exec, exec, s[14:15]
.LBB1011_8:
	s_or_b64 exec, exec, s[12:13]
	v_mov_b32_e32 v2, 0
	global_store_dword v2, v0, s[8:9]
	global_store_byte v2, v1, s[8:9] offset:4
.LBB1011_9:
	s_or_b64 exec, exec, s[2:3]
.LBB1011_10:
	v_cmp_eq_u32_e32 vcc, 0, v4
	s_and_saveexec_b64 s[2:3], vcc
	s_cbranch_execz .LBB1011_12
; %bb.11:
	s_load_dwordx2 s[8:9], s[0:1], 0x38
	v_mov_b32_e32 v0, 0
	s_waitcnt lgkmcnt(0)
	global_store_dword v0, v0, s[8:9]
.LBB1011_12:
	s_or_b64 exec, exec, s[2:3]
	v_cmp_gt_u32_e32 vcc, s6, v4
	s_and_saveexec_b64 s[2:3], vcc
	s_cbranch_execz .LBB1011_14
; %bb.13:
	v_add_u32_e32 v0, 64, v4
	v_mov_b32_e32 v1, 0
	v_lshl_add_u64 v[6:7], v[0:1], 4, s[4:5]
	v_mov_b32_e32 v0, v1
	v_mov_b32_e32 v2, v1
	;; [unrolled: 1-line block ×3, first 2 shown]
	global_store_dwordx4 v[6:7], v[0:3], off
.LBB1011_14:
	s_or_b64 exec, exec, s[2:3]
	v_cmp_gt_u32_e32 vcc, 64, v4
	v_mov_b32_e32 v5, 0
	s_and_saveexec_b64 s[2:3], vcc
	s_cbranch_execz .LBB1011_16
; %bb.15:
	v_lshl_add_u64 v[6:7], v[4:5], 4, s[4:5]
	v_mov_b32_e32 v2, 0xff
	v_mov_b32_e32 v0, v5
	;; [unrolled: 1-line block ×4, first 2 shown]
	global_store_dwordx4 v[6:7], v[0:3], off
.LBB1011_16:
	s_or_b64 exec, exec, s[2:3]
	s_load_dwordx2 s[2:3], s[0:1], 0x28
	s_waitcnt lgkmcnt(0)
	v_cmp_gt_u64_e32 vcc, s[2:3], v[4:5]
	s_and_saveexec_b64 s[4:5], vcc
	s_cbranch_execz .LBB1011_19
; %bb.17:
	s_load_dword s12, s[0:1], 0x30
	s_load_dwordx2 s[6:7], s[0:1], 0x20
	s_mov_b32 s5, 0
	s_mov_b32 s1, s5
	s_mul_i32 s0, s18, s19
	s_waitcnt lgkmcnt(0)
	s_add_i32 s4, s12, -1
	s_lshl_b64 s[4:5], s[4:5], 3
	s_add_u32 s4, s10, s4
	v_mad_u64_u32 v[0:1], s[8:9], s12, v4, 0
	s_addc_u32 s5, s11, s5
	v_lshl_add_u64 v[0:1], v[0:1], 3, s[4:5]
	s_mul_hi_u32 s5, s12, s0
	s_mul_i32 s4, s12, s0
	s_lshl_b64 s[4:5], s[4:5], 3
	v_lshl_add_u64 v[2:3], v[4:5], 3, s[6:7]
	s_lshl_b64 s[6:7], s[0:1], 3
	s_mov_b64 s[8:9], 0
.LBB1011_18:                            ; =>This Inner Loop Header: Depth=1
	global_load_dwordx2 v[6:7], v[0:1], off
	v_lshl_add_u64 v[4:5], v[4:5], 0, s[0:1]
	v_cmp_le_u64_e32 vcc, s[2:3], v[4:5]
	v_lshl_add_u64 v[0:1], v[0:1], 0, s[4:5]
	s_or_b64 s[8:9], vcc, s[8:9]
	s_waitcnt vmcnt(0)
	global_store_dwordx2 v[2:3], v[6:7], off
	v_lshl_add_u64 v[2:3], v[2:3], 0, s[6:7]
	s_andn2_b64 exec, exec, s[8:9]
	s_cbranch_execnz .LBB1011_18
.LBB1011_19:
	s_endpgm
	.section	.rodata,"a",@progbits
	.p2align	6, 0x0
	.amdhsa_kernel _ZN7rocprim17ROCPRIM_400000_NS6detail30init_device_scan_by_key_kernelINS1_19lookback_scan_stateINS0_5tupleIJibEEELb1ELb1EEEN6thrust23THRUST_200600_302600_NS6detail15normal_iteratorINS8_10device_ptrIxEEEEjNS1_16block_id_wrapperIjLb1EEEEEvT_jjPNSG_10value_typeET0_PNSt15iterator_traitsISJ_E10value_typeEmT1_T2_
		.amdhsa_group_segment_fixed_size 0
		.amdhsa_private_segment_fixed_size 0
		.amdhsa_kernarg_size 320
		.amdhsa_user_sgpr_count 2
		.amdhsa_user_sgpr_dispatch_ptr 0
		.amdhsa_user_sgpr_queue_ptr 0
		.amdhsa_user_sgpr_kernarg_segment_ptr 1
		.amdhsa_user_sgpr_dispatch_id 0
		.amdhsa_user_sgpr_kernarg_preload_length 0
		.amdhsa_user_sgpr_kernarg_preload_offset 0
		.amdhsa_user_sgpr_private_segment_size 0
		.amdhsa_uses_dynamic_stack 0
		.amdhsa_enable_private_segment 0
		.amdhsa_system_sgpr_workgroup_id_x 1
		.amdhsa_system_sgpr_workgroup_id_y 0
		.amdhsa_system_sgpr_workgroup_id_z 0
		.amdhsa_system_sgpr_workgroup_info 0
		.amdhsa_system_vgpr_workitem_id 0
		.amdhsa_next_free_vgpr 10
		.amdhsa_next_free_sgpr 20
		.amdhsa_accum_offset 12
		.amdhsa_reserve_vcc 1
		.amdhsa_float_round_mode_32 0
		.amdhsa_float_round_mode_16_64 0
		.amdhsa_float_denorm_mode_32 3
		.amdhsa_float_denorm_mode_16_64 3
		.amdhsa_dx10_clamp 1
		.amdhsa_ieee_mode 1
		.amdhsa_fp16_overflow 0
		.amdhsa_tg_split 0
		.amdhsa_exception_fp_ieee_invalid_op 0
		.amdhsa_exception_fp_denorm_src 0
		.amdhsa_exception_fp_ieee_div_zero 0
		.amdhsa_exception_fp_ieee_overflow 0
		.amdhsa_exception_fp_ieee_underflow 0
		.amdhsa_exception_fp_ieee_inexact 0
		.amdhsa_exception_int_div_zero 0
	.end_amdhsa_kernel
	.section	.text._ZN7rocprim17ROCPRIM_400000_NS6detail30init_device_scan_by_key_kernelINS1_19lookback_scan_stateINS0_5tupleIJibEEELb1ELb1EEEN6thrust23THRUST_200600_302600_NS6detail15normal_iteratorINS8_10device_ptrIxEEEEjNS1_16block_id_wrapperIjLb1EEEEEvT_jjPNSG_10value_typeET0_PNSt15iterator_traitsISJ_E10value_typeEmT1_T2_,"axG",@progbits,_ZN7rocprim17ROCPRIM_400000_NS6detail30init_device_scan_by_key_kernelINS1_19lookback_scan_stateINS0_5tupleIJibEEELb1ELb1EEEN6thrust23THRUST_200600_302600_NS6detail15normal_iteratorINS8_10device_ptrIxEEEEjNS1_16block_id_wrapperIjLb1EEEEEvT_jjPNSG_10value_typeET0_PNSt15iterator_traitsISJ_E10value_typeEmT1_T2_,comdat
.Lfunc_end1011:
	.size	_ZN7rocprim17ROCPRIM_400000_NS6detail30init_device_scan_by_key_kernelINS1_19lookback_scan_stateINS0_5tupleIJibEEELb1ELb1EEEN6thrust23THRUST_200600_302600_NS6detail15normal_iteratorINS8_10device_ptrIxEEEEjNS1_16block_id_wrapperIjLb1EEEEEvT_jjPNSG_10value_typeET0_PNSt15iterator_traitsISJ_E10value_typeEmT1_T2_, .Lfunc_end1011-_ZN7rocprim17ROCPRIM_400000_NS6detail30init_device_scan_by_key_kernelINS1_19lookback_scan_stateINS0_5tupleIJibEEELb1ELb1EEEN6thrust23THRUST_200600_302600_NS6detail15normal_iteratorINS8_10device_ptrIxEEEEjNS1_16block_id_wrapperIjLb1EEEEEvT_jjPNSG_10value_typeET0_PNSt15iterator_traitsISJ_E10value_typeEmT1_T2_
                                        ; -- End function
	.section	.AMDGPU.csdata,"",@progbits
; Kernel info:
; codeLenInByte = 584
; NumSgprs: 26
; NumVgprs: 10
; NumAgprs: 0
; TotalNumVgprs: 10
; ScratchSize: 0
; MemoryBound: 0
; FloatMode: 240
; IeeeMode: 1
; LDSByteSize: 0 bytes/workgroup (compile time only)
; SGPRBlocks: 3
; VGPRBlocks: 1
; NumSGPRsForWavesPerEU: 26
; NumVGPRsForWavesPerEU: 10
; AccumOffset: 12
; Occupancy: 8
; WaveLimiterHint : 0
; COMPUTE_PGM_RSRC2:SCRATCH_EN: 0
; COMPUTE_PGM_RSRC2:USER_SGPR: 2
; COMPUTE_PGM_RSRC2:TRAP_HANDLER: 0
; COMPUTE_PGM_RSRC2:TGID_X_EN: 1
; COMPUTE_PGM_RSRC2:TGID_Y_EN: 0
; COMPUTE_PGM_RSRC2:TGID_Z_EN: 0
; COMPUTE_PGM_RSRC2:TIDIG_COMP_CNT: 0
; COMPUTE_PGM_RSRC3_GFX90A:ACCUM_OFFSET: 2
; COMPUTE_PGM_RSRC3_GFX90A:TG_SPLIT: 0
	.section	.text._ZN7rocprim17ROCPRIM_400000_NS6detail17trampoline_kernelINS0_14default_configENS1_27scan_by_key_config_selectorIxiEEZZNS1_16scan_by_key_implILNS1_25lookback_scan_determinismE0ELb1ES3_N6thrust23THRUST_200600_302600_NS6detail15normal_iteratorINS9_10device_ptrIxEEEESE_SE_iNS9_4plusIvEENS9_8equal_toIvEEiEE10hipError_tPvRmT2_T3_T4_T5_mT6_T7_P12ihipStream_tbENKUlT_T0_E_clISt17integral_constantIbLb1EESZ_EEDaSU_SV_EUlSU_E_NS1_11comp_targetILNS1_3genE0ELNS1_11target_archE4294967295ELNS1_3gpuE0ELNS1_3repE0EEENS1_30default_config_static_selectorELNS0_4arch9wavefront6targetE1EEEvT1_,"axG",@progbits,_ZN7rocprim17ROCPRIM_400000_NS6detail17trampoline_kernelINS0_14default_configENS1_27scan_by_key_config_selectorIxiEEZZNS1_16scan_by_key_implILNS1_25lookback_scan_determinismE0ELb1ES3_N6thrust23THRUST_200600_302600_NS6detail15normal_iteratorINS9_10device_ptrIxEEEESE_SE_iNS9_4plusIvEENS9_8equal_toIvEEiEE10hipError_tPvRmT2_T3_T4_T5_mT6_T7_P12ihipStream_tbENKUlT_T0_E_clISt17integral_constantIbLb1EESZ_EEDaSU_SV_EUlSU_E_NS1_11comp_targetILNS1_3genE0ELNS1_11target_archE4294967295ELNS1_3gpuE0ELNS1_3repE0EEENS1_30default_config_static_selectorELNS0_4arch9wavefront6targetE1EEEvT1_,comdat
	.protected	_ZN7rocprim17ROCPRIM_400000_NS6detail17trampoline_kernelINS0_14default_configENS1_27scan_by_key_config_selectorIxiEEZZNS1_16scan_by_key_implILNS1_25lookback_scan_determinismE0ELb1ES3_N6thrust23THRUST_200600_302600_NS6detail15normal_iteratorINS9_10device_ptrIxEEEESE_SE_iNS9_4plusIvEENS9_8equal_toIvEEiEE10hipError_tPvRmT2_T3_T4_T5_mT6_T7_P12ihipStream_tbENKUlT_T0_E_clISt17integral_constantIbLb1EESZ_EEDaSU_SV_EUlSU_E_NS1_11comp_targetILNS1_3genE0ELNS1_11target_archE4294967295ELNS1_3gpuE0ELNS1_3repE0EEENS1_30default_config_static_selectorELNS0_4arch9wavefront6targetE1EEEvT1_ ; -- Begin function _ZN7rocprim17ROCPRIM_400000_NS6detail17trampoline_kernelINS0_14default_configENS1_27scan_by_key_config_selectorIxiEEZZNS1_16scan_by_key_implILNS1_25lookback_scan_determinismE0ELb1ES3_N6thrust23THRUST_200600_302600_NS6detail15normal_iteratorINS9_10device_ptrIxEEEESE_SE_iNS9_4plusIvEENS9_8equal_toIvEEiEE10hipError_tPvRmT2_T3_T4_T5_mT6_T7_P12ihipStream_tbENKUlT_T0_E_clISt17integral_constantIbLb1EESZ_EEDaSU_SV_EUlSU_E_NS1_11comp_targetILNS1_3genE0ELNS1_11target_archE4294967295ELNS1_3gpuE0ELNS1_3repE0EEENS1_30default_config_static_selectorELNS0_4arch9wavefront6targetE1EEEvT1_
	.globl	_ZN7rocprim17ROCPRIM_400000_NS6detail17trampoline_kernelINS0_14default_configENS1_27scan_by_key_config_selectorIxiEEZZNS1_16scan_by_key_implILNS1_25lookback_scan_determinismE0ELb1ES3_N6thrust23THRUST_200600_302600_NS6detail15normal_iteratorINS9_10device_ptrIxEEEESE_SE_iNS9_4plusIvEENS9_8equal_toIvEEiEE10hipError_tPvRmT2_T3_T4_T5_mT6_T7_P12ihipStream_tbENKUlT_T0_E_clISt17integral_constantIbLb1EESZ_EEDaSU_SV_EUlSU_E_NS1_11comp_targetILNS1_3genE0ELNS1_11target_archE4294967295ELNS1_3gpuE0ELNS1_3repE0EEENS1_30default_config_static_selectorELNS0_4arch9wavefront6targetE1EEEvT1_
	.p2align	8
	.type	_ZN7rocprim17ROCPRIM_400000_NS6detail17trampoline_kernelINS0_14default_configENS1_27scan_by_key_config_selectorIxiEEZZNS1_16scan_by_key_implILNS1_25lookback_scan_determinismE0ELb1ES3_N6thrust23THRUST_200600_302600_NS6detail15normal_iteratorINS9_10device_ptrIxEEEESE_SE_iNS9_4plusIvEENS9_8equal_toIvEEiEE10hipError_tPvRmT2_T3_T4_T5_mT6_T7_P12ihipStream_tbENKUlT_T0_E_clISt17integral_constantIbLb1EESZ_EEDaSU_SV_EUlSU_E_NS1_11comp_targetILNS1_3genE0ELNS1_11target_archE4294967295ELNS1_3gpuE0ELNS1_3repE0EEENS1_30default_config_static_selectorELNS0_4arch9wavefront6targetE1EEEvT1_,@function
_ZN7rocprim17ROCPRIM_400000_NS6detail17trampoline_kernelINS0_14default_configENS1_27scan_by_key_config_selectorIxiEEZZNS1_16scan_by_key_implILNS1_25lookback_scan_determinismE0ELb1ES3_N6thrust23THRUST_200600_302600_NS6detail15normal_iteratorINS9_10device_ptrIxEEEESE_SE_iNS9_4plusIvEENS9_8equal_toIvEEiEE10hipError_tPvRmT2_T3_T4_T5_mT6_T7_P12ihipStream_tbENKUlT_T0_E_clISt17integral_constantIbLb1EESZ_EEDaSU_SV_EUlSU_E_NS1_11comp_targetILNS1_3genE0ELNS1_11target_archE4294967295ELNS1_3gpuE0ELNS1_3repE0EEENS1_30default_config_static_selectorELNS0_4arch9wavefront6targetE1EEEvT1_: ; @_ZN7rocprim17ROCPRIM_400000_NS6detail17trampoline_kernelINS0_14default_configENS1_27scan_by_key_config_selectorIxiEEZZNS1_16scan_by_key_implILNS1_25lookback_scan_determinismE0ELb1ES3_N6thrust23THRUST_200600_302600_NS6detail15normal_iteratorINS9_10device_ptrIxEEEESE_SE_iNS9_4plusIvEENS9_8equal_toIvEEiEE10hipError_tPvRmT2_T3_T4_T5_mT6_T7_P12ihipStream_tbENKUlT_T0_E_clISt17integral_constantIbLb1EESZ_EEDaSU_SV_EUlSU_E_NS1_11comp_targetILNS1_3genE0ELNS1_11target_archE4294967295ELNS1_3gpuE0ELNS1_3repE0EEENS1_30default_config_static_selectorELNS0_4arch9wavefront6targetE1EEEvT1_
; %bb.0:
	.section	.rodata,"a",@progbits
	.p2align	6, 0x0
	.amdhsa_kernel _ZN7rocprim17ROCPRIM_400000_NS6detail17trampoline_kernelINS0_14default_configENS1_27scan_by_key_config_selectorIxiEEZZNS1_16scan_by_key_implILNS1_25lookback_scan_determinismE0ELb1ES3_N6thrust23THRUST_200600_302600_NS6detail15normal_iteratorINS9_10device_ptrIxEEEESE_SE_iNS9_4plusIvEENS9_8equal_toIvEEiEE10hipError_tPvRmT2_T3_T4_T5_mT6_T7_P12ihipStream_tbENKUlT_T0_E_clISt17integral_constantIbLb1EESZ_EEDaSU_SV_EUlSU_E_NS1_11comp_targetILNS1_3genE0ELNS1_11target_archE4294967295ELNS1_3gpuE0ELNS1_3repE0EEENS1_30default_config_static_selectorELNS0_4arch9wavefront6targetE1EEEvT1_
		.amdhsa_group_segment_fixed_size 0
		.amdhsa_private_segment_fixed_size 0
		.amdhsa_kernarg_size 112
		.amdhsa_user_sgpr_count 2
		.amdhsa_user_sgpr_dispatch_ptr 0
		.amdhsa_user_sgpr_queue_ptr 0
		.amdhsa_user_sgpr_kernarg_segment_ptr 1
		.amdhsa_user_sgpr_dispatch_id 0
		.amdhsa_user_sgpr_kernarg_preload_length 0
		.amdhsa_user_sgpr_kernarg_preload_offset 0
		.amdhsa_user_sgpr_private_segment_size 0
		.amdhsa_uses_dynamic_stack 0
		.amdhsa_enable_private_segment 0
		.amdhsa_system_sgpr_workgroup_id_x 1
		.amdhsa_system_sgpr_workgroup_id_y 0
		.amdhsa_system_sgpr_workgroup_id_z 0
		.amdhsa_system_sgpr_workgroup_info 0
		.amdhsa_system_vgpr_workitem_id 0
		.amdhsa_next_free_vgpr 1
		.amdhsa_next_free_sgpr 0
		.amdhsa_accum_offset 4
		.amdhsa_reserve_vcc 0
		.amdhsa_float_round_mode_32 0
		.amdhsa_float_round_mode_16_64 0
		.amdhsa_float_denorm_mode_32 3
		.amdhsa_float_denorm_mode_16_64 3
		.amdhsa_dx10_clamp 1
		.amdhsa_ieee_mode 1
		.amdhsa_fp16_overflow 0
		.amdhsa_tg_split 0
		.amdhsa_exception_fp_ieee_invalid_op 0
		.amdhsa_exception_fp_denorm_src 0
		.amdhsa_exception_fp_ieee_div_zero 0
		.amdhsa_exception_fp_ieee_overflow 0
		.amdhsa_exception_fp_ieee_underflow 0
		.amdhsa_exception_fp_ieee_inexact 0
		.amdhsa_exception_int_div_zero 0
	.end_amdhsa_kernel
	.section	.text._ZN7rocprim17ROCPRIM_400000_NS6detail17trampoline_kernelINS0_14default_configENS1_27scan_by_key_config_selectorIxiEEZZNS1_16scan_by_key_implILNS1_25lookback_scan_determinismE0ELb1ES3_N6thrust23THRUST_200600_302600_NS6detail15normal_iteratorINS9_10device_ptrIxEEEESE_SE_iNS9_4plusIvEENS9_8equal_toIvEEiEE10hipError_tPvRmT2_T3_T4_T5_mT6_T7_P12ihipStream_tbENKUlT_T0_E_clISt17integral_constantIbLb1EESZ_EEDaSU_SV_EUlSU_E_NS1_11comp_targetILNS1_3genE0ELNS1_11target_archE4294967295ELNS1_3gpuE0ELNS1_3repE0EEENS1_30default_config_static_selectorELNS0_4arch9wavefront6targetE1EEEvT1_,"axG",@progbits,_ZN7rocprim17ROCPRIM_400000_NS6detail17trampoline_kernelINS0_14default_configENS1_27scan_by_key_config_selectorIxiEEZZNS1_16scan_by_key_implILNS1_25lookback_scan_determinismE0ELb1ES3_N6thrust23THRUST_200600_302600_NS6detail15normal_iteratorINS9_10device_ptrIxEEEESE_SE_iNS9_4plusIvEENS9_8equal_toIvEEiEE10hipError_tPvRmT2_T3_T4_T5_mT6_T7_P12ihipStream_tbENKUlT_T0_E_clISt17integral_constantIbLb1EESZ_EEDaSU_SV_EUlSU_E_NS1_11comp_targetILNS1_3genE0ELNS1_11target_archE4294967295ELNS1_3gpuE0ELNS1_3repE0EEENS1_30default_config_static_selectorELNS0_4arch9wavefront6targetE1EEEvT1_,comdat
.Lfunc_end1012:
	.size	_ZN7rocprim17ROCPRIM_400000_NS6detail17trampoline_kernelINS0_14default_configENS1_27scan_by_key_config_selectorIxiEEZZNS1_16scan_by_key_implILNS1_25lookback_scan_determinismE0ELb1ES3_N6thrust23THRUST_200600_302600_NS6detail15normal_iteratorINS9_10device_ptrIxEEEESE_SE_iNS9_4plusIvEENS9_8equal_toIvEEiEE10hipError_tPvRmT2_T3_T4_T5_mT6_T7_P12ihipStream_tbENKUlT_T0_E_clISt17integral_constantIbLb1EESZ_EEDaSU_SV_EUlSU_E_NS1_11comp_targetILNS1_3genE0ELNS1_11target_archE4294967295ELNS1_3gpuE0ELNS1_3repE0EEENS1_30default_config_static_selectorELNS0_4arch9wavefront6targetE1EEEvT1_, .Lfunc_end1012-_ZN7rocprim17ROCPRIM_400000_NS6detail17trampoline_kernelINS0_14default_configENS1_27scan_by_key_config_selectorIxiEEZZNS1_16scan_by_key_implILNS1_25lookback_scan_determinismE0ELb1ES3_N6thrust23THRUST_200600_302600_NS6detail15normal_iteratorINS9_10device_ptrIxEEEESE_SE_iNS9_4plusIvEENS9_8equal_toIvEEiEE10hipError_tPvRmT2_T3_T4_T5_mT6_T7_P12ihipStream_tbENKUlT_T0_E_clISt17integral_constantIbLb1EESZ_EEDaSU_SV_EUlSU_E_NS1_11comp_targetILNS1_3genE0ELNS1_11target_archE4294967295ELNS1_3gpuE0ELNS1_3repE0EEENS1_30default_config_static_selectorELNS0_4arch9wavefront6targetE1EEEvT1_
                                        ; -- End function
	.section	.AMDGPU.csdata,"",@progbits
; Kernel info:
; codeLenInByte = 0
; NumSgprs: 6
; NumVgprs: 0
; NumAgprs: 0
; TotalNumVgprs: 0
; ScratchSize: 0
; MemoryBound: 0
; FloatMode: 240
; IeeeMode: 1
; LDSByteSize: 0 bytes/workgroup (compile time only)
; SGPRBlocks: 0
; VGPRBlocks: 0
; NumSGPRsForWavesPerEU: 6
; NumVGPRsForWavesPerEU: 1
; AccumOffset: 4
; Occupancy: 8
; WaveLimiterHint : 0
; COMPUTE_PGM_RSRC2:SCRATCH_EN: 0
; COMPUTE_PGM_RSRC2:USER_SGPR: 2
; COMPUTE_PGM_RSRC2:TRAP_HANDLER: 0
; COMPUTE_PGM_RSRC2:TGID_X_EN: 1
; COMPUTE_PGM_RSRC2:TGID_Y_EN: 0
; COMPUTE_PGM_RSRC2:TGID_Z_EN: 0
; COMPUTE_PGM_RSRC2:TIDIG_COMP_CNT: 0
; COMPUTE_PGM_RSRC3_GFX90A:ACCUM_OFFSET: 0
; COMPUTE_PGM_RSRC3_GFX90A:TG_SPLIT: 0
	.section	.text._ZN7rocprim17ROCPRIM_400000_NS6detail17trampoline_kernelINS0_14default_configENS1_27scan_by_key_config_selectorIxiEEZZNS1_16scan_by_key_implILNS1_25lookback_scan_determinismE0ELb1ES3_N6thrust23THRUST_200600_302600_NS6detail15normal_iteratorINS9_10device_ptrIxEEEESE_SE_iNS9_4plusIvEENS9_8equal_toIvEEiEE10hipError_tPvRmT2_T3_T4_T5_mT6_T7_P12ihipStream_tbENKUlT_T0_E_clISt17integral_constantIbLb1EESZ_EEDaSU_SV_EUlSU_E_NS1_11comp_targetILNS1_3genE10ELNS1_11target_archE1201ELNS1_3gpuE5ELNS1_3repE0EEENS1_30default_config_static_selectorELNS0_4arch9wavefront6targetE1EEEvT1_,"axG",@progbits,_ZN7rocprim17ROCPRIM_400000_NS6detail17trampoline_kernelINS0_14default_configENS1_27scan_by_key_config_selectorIxiEEZZNS1_16scan_by_key_implILNS1_25lookback_scan_determinismE0ELb1ES3_N6thrust23THRUST_200600_302600_NS6detail15normal_iteratorINS9_10device_ptrIxEEEESE_SE_iNS9_4plusIvEENS9_8equal_toIvEEiEE10hipError_tPvRmT2_T3_T4_T5_mT6_T7_P12ihipStream_tbENKUlT_T0_E_clISt17integral_constantIbLb1EESZ_EEDaSU_SV_EUlSU_E_NS1_11comp_targetILNS1_3genE10ELNS1_11target_archE1201ELNS1_3gpuE5ELNS1_3repE0EEENS1_30default_config_static_selectorELNS0_4arch9wavefront6targetE1EEEvT1_,comdat
	.protected	_ZN7rocprim17ROCPRIM_400000_NS6detail17trampoline_kernelINS0_14default_configENS1_27scan_by_key_config_selectorIxiEEZZNS1_16scan_by_key_implILNS1_25lookback_scan_determinismE0ELb1ES3_N6thrust23THRUST_200600_302600_NS6detail15normal_iteratorINS9_10device_ptrIxEEEESE_SE_iNS9_4plusIvEENS9_8equal_toIvEEiEE10hipError_tPvRmT2_T3_T4_T5_mT6_T7_P12ihipStream_tbENKUlT_T0_E_clISt17integral_constantIbLb1EESZ_EEDaSU_SV_EUlSU_E_NS1_11comp_targetILNS1_3genE10ELNS1_11target_archE1201ELNS1_3gpuE5ELNS1_3repE0EEENS1_30default_config_static_selectorELNS0_4arch9wavefront6targetE1EEEvT1_ ; -- Begin function _ZN7rocprim17ROCPRIM_400000_NS6detail17trampoline_kernelINS0_14default_configENS1_27scan_by_key_config_selectorIxiEEZZNS1_16scan_by_key_implILNS1_25lookback_scan_determinismE0ELb1ES3_N6thrust23THRUST_200600_302600_NS6detail15normal_iteratorINS9_10device_ptrIxEEEESE_SE_iNS9_4plusIvEENS9_8equal_toIvEEiEE10hipError_tPvRmT2_T3_T4_T5_mT6_T7_P12ihipStream_tbENKUlT_T0_E_clISt17integral_constantIbLb1EESZ_EEDaSU_SV_EUlSU_E_NS1_11comp_targetILNS1_3genE10ELNS1_11target_archE1201ELNS1_3gpuE5ELNS1_3repE0EEENS1_30default_config_static_selectorELNS0_4arch9wavefront6targetE1EEEvT1_
	.globl	_ZN7rocprim17ROCPRIM_400000_NS6detail17trampoline_kernelINS0_14default_configENS1_27scan_by_key_config_selectorIxiEEZZNS1_16scan_by_key_implILNS1_25lookback_scan_determinismE0ELb1ES3_N6thrust23THRUST_200600_302600_NS6detail15normal_iteratorINS9_10device_ptrIxEEEESE_SE_iNS9_4plusIvEENS9_8equal_toIvEEiEE10hipError_tPvRmT2_T3_T4_T5_mT6_T7_P12ihipStream_tbENKUlT_T0_E_clISt17integral_constantIbLb1EESZ_EEDaSU_SV_EUlSU_E_NS1_11comp_targetILNS1_3genE10ELNS1_11target_archE1201ELNS1_3gpuE5ELNS1_3repE0EEENS1_30default_config_static_selectorELNS0_4arch9wavefront6targetE1EEEvT1_
	.p2align	8
	.type	_ZN7rocprim17ROCPRIM_400000_NS6detail17trampoline_kernelINS0_14default_configENS1_27scan_by_key_config_selectorIxiEEZZNS1_16scan_by_key_implILNS1_25lookback_scan_determinismE0ELb1ES3_N6thrust23THRUST_200600_302600_NS6detail15normal_iteratorINS9_10device_ptrIxEEEESE_SE_iNS9_4plusIvEENS9_8equal_toIvEEiEE10hipError_tPvRmT2_T3_T4_T5_mT6_T7_P12ihipStream_tbENKUlT_T0_E_clISt17integral_constantIbLb1EESZ_EEDaSU_SV_EUlSU_E_NS1_11comp_targetILNS1_3genE10ELNS1_11target_archE1201ELNS1_3gpuE5ELNS1_3repE0EEENS1_30default_config_static_selectorELNS0_4arch9wavefront6targetE1EEEvT1_,@function
_ZN7rocprim17ROCPRIM_400000_NS6detail17trampoline_kernelINS0_14default_configENS1_27scan_by_key_config_selectorIxiEEZZNS1_16scan_by_key_implILNS1_25lookback_scan_determinismE0ELb1ES3_N6thrust23THRUST_200600_302600_NS6detail15normal_iteratorINS9_10device_ptrIxEEEESE_SE_iNS9_4plusIvEENS9_8equal_toIvEEiEE10hipError_tPvRmT2_T3_T4_T5_mT6_T7_P12ihipStream_tbENKUlT_T0_E_clISt17integral_constantIbLb1EESZ_EEDaSU_SV_EUlSU_E_NS1_11comp_targetILNS1_3genE10ELNS1_11target_archE1201ELNS1_3gpuE5ELNS1_3repE0EEENS1_30default_config_static_selectorELNS0_4arch9wavefront6targetE1EEEvT1_: ; @_ZN7rocprim17ROCPRIM_400000_NS6detail17trampoline_kernelINS0_14default_configENS1_27scan_by_key_config_selectorIxiEEZZNS1_16scan_by_key_implILNS1_25lookback_scan_determinismE0ELb1ES3_N6thrust23THRUST_200600_302600_NS6detail15normal_iteratorINS9_10device_ptrIxEEEESE_SE_iNS9_4plusIvEENS9_8equal_toIvEEiEE10hipError_tPvRmT2_T3_T4_T5_mT6_T7_P12ihipStream_tbENKUlT_T0_E_clISt17integral_constantIbLb1EESZ_EEDaSU_SV_EUlSU_E_NS1_11comp_targetILNS1_3genE10ELNS1_11target_archE1201ELNS1_3gpuE5ELNS1_3repE0EEENS1_30default_config_static_selectorELNS0_4arch9wavefront6targetE1EEEvT1_
; %bb.0:
	.section	.rodata,"a",@progbits
	.p2align	6, 0x0
	.amdhsa_kernel _ZN7rocprim17ROCPRIM_400000_NS6detail17trampoline_kernelINS0_14default_configENS1_27scan_by_key_config_selectorIxiEEZZNS1_16scan_by_key_implILNS1_25lookback_scan_determinismE0ELb1ES3_N6thrust23THRUST_200600_302600_NS6detail15normal_iteratorINS9_10device_ptrIxEEEESE_SE_iNS9_4plusIvEENS9_8equal_toIvEEiEE10hipError_tPvRmT2_T3_T4_T5_mT6_T7_P12ihipStream_tbENKUlT_T0_E_clISt17integral_constantIbLb1EESZ_EEDaSU_SV_EUlSU_E_NS1_11comp_targetILNS1_3genE10ELNS1_11target_archE1201ELNS1_3gpuE5ELNS1_3repE0EEENS1_30default_config_static_selectorELNS0_4arch9wavefront6targetE1EEEvT1_
		.amdhsa_group_segment_fixed_size 0
		.amdhsa_private_segment_fixed_size 0
		.amdhsa_kernarg_size 112
		.amdhsa_user_sgpr_count 2
		.amdhsa_user_sgpr_dispatch_ptr 0
		.amdhsa_user_sgpr_queue_ptr 0
		.amdhsa_user_sgpr_kernarg_segment_ptr 1
		.amdhsa_user_sgpr_dispatch_id 0
		.amdhsa_user_sgpr_kernarg_preload_length 0
		.amdhsa_user_sgpr_kernarg_preload_offset 0
		.amdhsa_user_sgpr_private_segment_size 0
		.amdhsa_uses_dynamic_stack 0
		.amdhsa_enable_private_segment 0
		.amdhsa_system_sgpr_workgroup_id_x 1
		.amdhsa_system_sgpr_workgroup_id_y 0
		.amdhsa_system_sgpr_workgroup_id_z 0
		.amdhsa_system_sgpr_workgroup_info 0
		.amdhsa_system_vgpr_workitem_id 0
		.amdhsa_next_free_vgpr 1
		.amdhsa_next_free_sgpr 0
		.amdhsa_accum_offset 4
		.amdhsa_reserve_vcc 0
		.amdhsa_float_round_mode_32 0
		.amdhsa_float_round_mode_16_64 0
		.amdhsa_float_denorm_mode_32 3
		.amdhsa_float_denorm_mode_16_64 3
		.amdhsa_dx10_clamp 1
		.amdhsa_ieee_mode 1
		.amdhsa_fp16_overflow 0
		.amdhsa_tg_split 0
		.amdhsa_exception_fp_ieee_invalid_op 0
		.amdhsa_exception_fp_denorm_src 0
		.amdhsa_exception_fp_ieee_div_zero 0
		.amdhsa_exception_fp_ieee_overflow 0
		.amdhsa_exception_fp_ieee_underflow 0
		.amdhsa_exception_fp_ieee_inexact 0
		.amdhsa_exception_int_div_zero 0
	.end_amdhsa_kernel
	.section	.text._ZN7rocprim17ROCPRIM_400000_NS6detail17trampoline_kernelINS0_14default_configENS1_27scan_by_key_config_selectorIxiEEZZNS1_16scan_by_key_implILNS1_25lookback_scan_determinismE0ELb1ES3_N6thrust23THRUST_200600_302600_NS6detail15normal_iteratorINS9_10device_ptrIxEEEESE_SE_iNS9_4plusIvEENS9_8equal_toIvEEiEE10hipError_tPvRmT2_T3_T4_T5_mT6_T7_P12ihipStream_tbENKUlT_T0_E_clISt17integral_constantIbLb1EESZ_EEDaSU_SV_EUlSU_E_NS1_11comp_targetILNS1_3genE10ELNS1_11target_archE1201ELNS1_3gpuE5ELNS1_3repE0EEENS1_30default_config_static_selectorELNS0_4arch9wavefront6targetE1EEEvT1_,"axG",@progbits,_ZN7rocprim17ROCPRIM_400000_NS6detail17trampoline_kernelINS0_14default_configENS1_27scan_by_key_config_selectorIxiEEZZNS1_16scan_by_key_implILNS1_25lookback_scan_determinismE0ELb1ES3_N6thrust23THRUST_200600_302600_NS6detail15normal_iteratorINS9_10device_ptrIxEEEESE_SE_iNS9_4plusIvEENS9_8equal_toIvEEiEE10hipError_tPvRmT2_T3_T4_T5_mT6_T7_P12ihipStream_tbENKUlT_T0_E_clISt17integral_constantIbLb1EESZ_EEDaSU_SV_EUlSU_E_NS1_11comp_targetILNS1_3genE10ELNS1_11target_archE1201ELNS1_3gpuE5ELNS1_3repE0EEENS1_30default_config_static_selectorELNS0_4arch9wavefront6targetE1EEEvT1_,comdat
.Lfunc_end1013:
	.size	_ZN7rocprim17ROCPRIM_400000_NS6detail17trampoline_kernelINS0_14default_configENS1_27scan_by_key_config_selectorIxiEEZZNS1_16scan_by_key_implILNS1_25lookback_scan_determinismE0ELb1ES3_N6thrust23THRUST_200600_302600_NS6detail15normal_iteratorINS9_10device_ptrIxEEEESE_SE_iNS9_4plusIvEENS9_8equal_toIvEEiEE10hipError_tPvRmT2_T3_T4_T5_mT6_T7_P12ihipStream_tbENKUlT_T0_E_clISt17integral_constantIbLb1EESZ_EEDaSU_SV_EUlSU_E_NS1_11comp_targetILNS1_3genE10ELNS1_11target_archE1201ELNS1_3gpuE5ELNS1_3repE0EEENS1_30default_config_static_selectorELNS0_4arch9wavefront6targetE1EEEvT1_, .Lfunc_end1013-_ZN7rocprim17ROCPRIM_400000_NS6detail17trampoline_kernelINS0_14default_configENS1_27scan_by_key_config_selectorIxiEEZZNS1_16scan_by_key_implILNS1_25lookback_scan_determinismE0ELb1ES3_N6thrust23THRUST_200600_302600_NS6detail15normal_iteratorINS9_10device_ptrIxEEEESE_SE_iNS9_4plusIvEENS9_8equal_toIvEEiEE10hipError_tPvRmT2_T3_T4_T5_mT6_T7_P12ihipStream_tbENKUlT_T0_E_clISt17integral_constantIbLb1EESZ_EEDaSU_SV_EUlSU_E_NS1_11comp_targetILNS1_3genE10ELNS1_11target_archE1201ELNS1_3gpuE5ELNS1_3repE0EEENS1_30default_config_static_selectorELNS0_4arch9wavefront6targetE1EEEvT1_
                                        ; -- End function
	.section	.AMDGPU.csdata,"",@progbits
; Kernel info:
; codeLenInByte = 0
; NumSgprs: 6
; NumVgprs: 0
; NumAgprs: 0
; TotalNumVgprs: 0
; ScratchSize: 0
; MemoryBound: 0
; FloatMode: 240
; IeeeMode: 1
; LDSByteSize: 0 bytes/workgroup (compile time only)
; SGPRBlocks: 0
; VGPRBlocks: 0
; NumSGPRsForWavesPerEU: 6
; NumVGPRsForWavesPerEU: 1
; AccumOffset: 4
; Occupancy: 8
; WaveLimiterHint : 0
; COMPUTE_PGM_RSRC2:SCRATCH_EN: 0
; COMPUTE_PGM_RSRC2:USER_SGPR: 2
; COMPUTE_PGM_RSRC2:TRAP_HANDLER: 0
; COMPUTE_PGM_RSRC2:TGID_X_EN: 1
; COMPUTE_PGM_RSRC2:TGID_Y_EN: 0
; COMPUTE_PGM_RSRC2:TGID_Z_EN: 0
; COMPUTE_PGM_RSRC2:TIDIG_COMP_CNT: 0
; COMPUTE_PGM_RSRC3_GFX90A:ACCUM_OFFSET: 0
; COMPUTE_PGM_RSRC3_GFX90A:TG_SPLIT: 0
	.section	.text._ZN7rocprim17ROCPRIM_400000_NS6detail17trampoline_kernelINS0_14default_configENS1_27scan_by_key_config_selectorIxiEEZZNS1_16scan_by_key_implILNS1_25lookback_scan_determinismE0ELb1ES3_N6thrust23THRUST_200600_302600_NS6detail15normal_iteratorINS9_10device_ptrIxEEEESE_SE_iNS9_4plusIvEENS9_8equal_toIvEEiEE10hipError_tPvRmT2_T3_T4_T5_mT6_T7_P12ihipStream_tbENKUlT_T0_E_clISt17integral_constantIbLb1EESZ_EEDaSU_SV_EUlSU_E_NS1_11comp_targetILNS1_3genE5ELNS1_11target_archE942ELNS1_3gpuE9ELNS1_3repE0EEENS1_30default_config_static_selectorELNS0_4arch9wavefront6targetE1EEEvT1_,"axG",@progbits,_ZN7rocprim17ROCPRIM_400000_NS6detail17trampoline_kernelINS0_14default_configENS1_27scan_by_key_config_selectorIxiEEZZNS1_16scan_by_key_implILNS1_25lookback_scan_determinismE0ELb1ES3_N6thrust23THRUST_200600_302600_NS6detail15normal_iteratorINS9_10device_ptrIxEEEESE_SE_iNS9_4plusIvEENS9_8equal_toIvEEiEE10hipError_tPvRmT2_T3_T4_T5_mT6_T7_P12ihipStream_tbENKUlT_T0_E_clISt17integral_constantIbLb1EESZ_EEDaSU_SV_EUlSU_E_NS1_11comp_targetILNS1_3genE5ELNS1_11target_archE942ELNS1_3gpuE9ELNS1_3repE0EEENS1_30default_config_static_selectorELNS0_4arch9wavefront6targetE1EEEvT1_,comdat
	.protected	_ZN7rocprim17ROCPRIM_400000_NS6detail17trampoline_kernelINS0_14default_configENS1_27scan_by_key_config_selectorIxiEEZZNS1_16scan_by_key_implILNS1_25lookback_scan_determinismE0ELb1ES3_N6thrust23THRUST_200600_302600_NS6detail15normal_iteratorINS9_10device_ptrIxEEEESE_SE_iNS9_4plusIvEENS9_8equal_toIvEEiEE10hipError_tPvRmT2_T3_T4_T5_mT6_T7_P12ihipStream_tbENKUlT_T0_E_clISt17integral_constantIbLb1EESZ_EEDaSU_SV_EUlSU_E_NS1_11comp_targetILNS1_3genE5ELNS1_11target_archE942ELNS1_3gpuE9ELNS1_3repE0EEENS1_30default_config_static_selectorELNS0_4arch9wavefront6targetE1EEEvT1_ ; -- Begin function _ZN7rocprim17ROCPRIM_400000_NS6detail17trampoline_kernelINS0_14default_configENS1_27scan_by_key_config_selectorIxiEEZZNS1_16scan_by_key_implILNS1_25lookback_scan_determinismE0ELb1ES3_N6thrust23THRUST_200600_302600_NS6detail15normal_iteratorINS9_10device_ptrIxEEEESE_SE_iNS9_4plusIvEENS9_8equal_toIvEEiEE10hipError_tPvRmT2_T3_T4_T5_mT6_T7_P12ihipStream_tbENKUlT_T0_E_clISt17integral_constantIbLb1EESZ_EEDaSU_SV_EUlSU_E_NS1_11comp_targetILNS1_3genE5ELNS1_11target_archE942ELNS1_3gpuE9ELNS1_3repE0EEENS1_30default_config_static_selectorELNS0_4arch9wavefront6targetE1EEEvT1_
	.globl	_ZN7rocprim17ROCPRIM_400000_NS6detail17trampoline_kernelINS0_14default_configENS1_27scan_by_key_config_selectorIxiEEZZNS1_16scan_by_key_implILNS1_25lookback_scan_determinismE0ELb1ES3_N6thrust23THRUST_200600_302600_NS6detail15normal_iteratorINS9_10device_ptrIxEEEESE_SE_iNS9_4plusIvEENS9_8equal_toIvEEiEE10hipError_tPvRmT2_T3_T4_T5_mT6_T7_P12ihipStream_tbENKUlT_T0_E_clISt17integral_constantIbLb1EESZ_EEDaSU_SV_EUlSU_E_NS1_11comp_targetILNS1_3genE5ELNS1_11target_archE942ELNS1_3gpuE9ELNS1_3repE0EEENS1_30default_config_static_selectorELNS0_4arch9wavefront6targetE1EEEvT1_
	.p2align	8
	.type	_ZN7rocprim17ROCPRIM_400000_NS6detail17trampoline_kernelINS0_14default_configENS1_27scan_by_key_config_selectorIxiEEZZNS1_16scan_by_key_implILNS1_25lookback_scan_determinismE0ELb1ES3_N6thrust23THRUST_200600_302600_NS6detail15normal_iteratorINS9_10device_ptrIxEEEESE_SE_iNS9_4plusIvEENS9_8equal_toIvEEiEE10hipError_tPvRmT2_T3_T4_T5_mT6_T7_P12ihipStream_tbENKUlT_T0_E_clISt17integral_constantIbLb1EESZ_EEDaSU_SV_EUlSU_E_NS1_11comp_targetILNS1_3genE5ELNS1_11target_archE942ELNS1_3gpuE9ELNS1_3repE0EEENS1_30default_config_static_selectorELNS0_4arch9wavefront6targetE1EEEvT1_,@function
_ZN7rocprim17ROCPRIM_400000_NS6detail17trampoline_kernelINS0_14default_configENS1_27scan_by_key_config_selectorIxiEEZZNS1_16scan_by_key_implILNS1_25lookback_scan_determinismE0ELb1ES3_N6thrust23THRUST_200600_302600_NS6detail15normal_iteratorINS9_10device_ptrIxEEEESE_SE_iNS9_4plusIvEENS9_8equal_toIvEEiEE10hipError_tPvRmT2_T3_T4_T5_mT6_T7_P12ihipStream_tbENKUlT_T0_E_clISt17integral_constantIbLb1EESZ_EEDaSU_SV_EUlSU_E_NS1_11comp_targetILNS1_3genE5ELNS1_11target_archE942ELNS1_3gpuE9ELNS1_3repE0EEENS1_30default_config_static_selectorELNS0_4arch9wavefront6targetE1EEEvT1_: ; @_ZN7rocprim17ROCPRIM_400000_NS6detail17trampoline_kernelINS0_14default_configENS1_27scan_by_key_config_selectorIxiEEZZNS1_16scan_by_key_implILNS1_25lookback_scan_determinismE0ELb1ES3_N6thrust23THRUST_200600_302600_NS6detail15normal_iteratorINS9_10device_ptrIxEEEESE_SE_iNS9_4plusIvEENS9_8equal_toIvEEiEE10hipError_tPvRmT2_T3_T4_T5_mT6_T7_P12ihipStream_tbENKUlT_T0_E_clISt17integral_constantIbLb1EESZ_EEDaSU_SV_EUlSU_E_NS1_11comp_targetILNS1_3genE5ELNS1_11target_archE942ELNS1_3gpuE9ELNS1_3repE0EEENS1_30default_config_static_selectorELNS0_4arch9wavefront6targetE1EEEvT1_
; %bb.0:
	s_load_dword s54, s[0:1], 0x20
	s_load_dwordx4 s[44:47], s[0:1], 0x28
	s_load_dwordx2 s[52:53], s[0:1], 0x38
	v_cmp_ne_u32_e64 s[4:5], 0, v0
	v_cmp_eq_u32_e64 s[34:35], 0, v0
	s_and_saveexec_b64 s[2:3], s[34:35]
	s_cbranch_execz .LBB1014_4
; %bb.1:
	s_mov_b64 s[8:9], exec
	v_mbcnt_lo_u32_b32 v1, s8, 0
	v_mbcnt_hi_u32_b32 v1, s9, v1
	v_cmp_eq_u32_e32 vcc, 0, v1
                                        ; implicit-def: $vgpr2
	s_and_saveexec_b64 s[6:7], vcc
	s_cbranch_execz .LBB1014_3
; %bb.2:
	s_load_dwordx2 s[10:11], s[0:1], 0x68
	s_bcnt1_i32_b64 s8, s[8:9]
	v_mov_b32_e32 v2, 0
	v_mov_b32_e32 v3, s8
	s_waitcnt lgkmcnt(0)
	global_atomic_add v2, v2, v3, s[10:11] sc0
.LBB1014_3:
	s_or_b64 exec, exec, s[6:7]
	s_waitcnt vmcnt(0)
	v_readfirstlane_b32 s6, v2
	v_mov_b32_e32 v2, 0
	s_nop 0
	v_add_u32_e32 v1, s6, v1
	ds_write_b32 v2, v1
.LBB1014_4:
	s_or_b64 exec, exec, s[2:3]
	s_load_dwordx8 s[36:43], s[0:1], 0x0
	s_load_dword s2, s[0:1], 0x40
	s_load_dwordx4 s[48:51], s[0:1], 0x48
	v_mov_b32_e32 v3, 0
	s_waitcnt lgkmcnt(0)
	s_lshl_b64 s[38:39], s[38:39], 3
	s_barrier
	ds_read_b32 v2, v3
	s_add_u32 s0, s36, s38
	s_addc_u32 s1, s37, s39
	s_add_u32 s6, s40, s38
	s_mul_i32 s3, s53, s2
	s_mul_hi_u32 s8, s52, s2
	s_addc_u32 s7, s41, s39
	s_add_i32 s3, s8, s3
	s_movk_i32 s8, 0xe00
	s_waitcnt lgkmcnt(0)
	v_mul_lo_u32 v4, v2, s8
	v_mov_b32_e32 v5, v3
	v_lshlrev_b64 v[30:31], 3, v[4:5]
	s_mul_i32 s2, s52, s2
	v_lshl_add_u64 v[60:61], s[6:7], 0, v[30:31]
	s_add_u32 s6, s48, -1
	v_readfirstlane_b32 s47, v2
	v_lshl_add_u64 v[2:3], s[2:3], 0, v[2:3]
	s_addc_u32 s7, s49, -1
	v_cmp_le_u64_e64 s[2:3], s[6:7], v[2:3]
	v_lshl_add_u64 v[62:63], s[0:1], 0, v[30:31]
	s_mov_b64 s[0:1], -1
	s_and_b64 vcc, exec, s[2:3]
	s_mul_i32 s33, s6, 0xfffff200
	s_barrier
	s_barrier
	s_cbranch_vccz .LBB1014_80
; %bb.5:
	flat_load_dwordx2 v[2:3], v[62:63]
	s_add_i32 s48, s33, s46
	v_cmp_gt_u32_e32 vcc, s48, v0
	s_waitcnt vmcnt(0) lgkmcnt(0)
	v_mov_b64_e32 v[4:5], v[2:3]
	s_and_saveexec_b64 s[0:1], vcc
	s_cbranch_execz .LBB1014_7
; %bb.6:
	v_lshlrev_b32_e32 v4, 3, v0
	v_mov_b32_e32 v5, 0
	v_lshl_add_u64 v[4:5], v[62:63], 0, v[4:5]
	flat_load_dwordx2 v[4:5], v[4:5]
.LBB1014_7:
	s_or_b64 exec, exec, s[0:1]
	v_or_b32_e32 v1, 0x100, v0
	v_cmp_gt_u32_e64 s[6:7], s48, v1
	v_mov_b64_e32 v[6:7], v[2:3]
	s_and_saveexec_b64 s[0:1], s[6:7]
	s_cbranch_execz .LBB1014_9
; %bb.8:
	v_lshlrev_b32_e32 v6, 3, v0
	v_mov_b32_e32 v7, 0
	v_lshl_add_u64 v[6:7], v[62:63], 0, v[6:7]
	flat_load_dwordx2 v[6:7], v[6:7] offset:2048
.LBB1014_9:
	s_or_b64 exec, exec, s[0:1]
	v_or_b32_e32 v1, 0x200, v0
	v_cmp_gt_u32_e64 s[8:9], s48, v1
	v_mov_b64_e32 v[8:9], v[2:3]
	s_and_saveexec_b64 s[0:1], s[8:9]
	s_cbranch_execz .LBB1014_11
; %bb.10:
	v_lshlrev_b32_e32 v8, 3, v1
	v_mov_b32_e32 v9, 0
	v_lshl_add_u64 v[8:9], v[62:63], 0, v[8:9]
	flat_load_dwordx2 v[8:9], v[8:9]
.LBB1014_11:
	s_or_b64 exec, exec, s[0:1]
	v_or_b32_e32 v34, 0x300, v0
	v_cmp_gt_u32_e64 s[10:11], s48, v34
	v_mov_b64_e32 v[10:11], v[2:3]
	s_and_saveexec_b64 s[0:1], s[10:11]
	s_cbranch_execz .LBB1014_13
; %bb.12:
	v_lshlrev_b32_e32 v10, 3, v34
	v_mov_b32_e32 v11, 0
	v_lshl_add_u64 v[10:11], v[62:63], 0, v[10:11]
	flat_load_dwordx2 v[10:11], v[10:11]
.LBB1014_13:
	;; [unrolled: 12-line block ×11, first 2 shown]
	s_or_b64 exec, exec, s[0:1]
	v_or_b32_e32 v44, 0xd00, v0
	v_cmp_gt_u32_e64 s[30:31], s48, v44
	s_and_saveexec_b64 s[0:1], s[30:31]
	s_cbranch_execz .LBB1014_33
; %bb.32:
	v_lshlrev_b32_e32 v2, 3, v44
	v_mov_b32_e32 v3, 0
	v_lshl_add_u64 v[2:3], v[62:63], 0, v[2:3]
	flat_load_dwordx2 v[2:3], v[2:3]
.LBB1014_33:
	s_or_b64 exec, exec, s[0:1]
	v_lshlrev_b32_e32 v32, 3, v0
	s_waitcnt vmcnt(0) lgkmcnt(0)
	ds_write2st64_b64 v32, v[4:5], v[6:7] offset1:4
	ds_write2st64_b64 v32, v[8:9], v[10:11] offset0:8 offset1:12
	ds_write2st64_b64 v32, v[12:13], v[14:15] offset0:16 offset1:20
	;; [unrolled: 1-line block ×6, first 2 shown]
	s_waitcnt lgkmcnt(0)
	s_barrier
	flat_load_dwordx2 v[58:59], v[62:63]
	s_movk_i32 s0, 0x68
	v_mad_u32_u24 v33, v0, s0, v32
	s_movk_i32 s0, 0xff98
	v_mad_i32_i24 v45, v0, s0, v33
	s_movk_i32 s0, 0xff
	v_cmp_ne_u32_e64 s[0:1], s0, v0
	ds_read_b128 v[26:29], v33
	ds_read_b128 v[22:25], v33 offset:16
	ds_read_b128 v[18:21], v33 offset:32
	;; [unrolled: 1-line block ×6, first 2 shown]
	s_waitcnt lgkmcnt(0)
	ds_write_b64 v45, v[26:27] offset:30720
	s_waitcnt lgkmcnt(0)
	s_barrier
	s_and_saveexec_b64 s[36:37], s[0:1]
	s_cbranch_execz .LBB1014_35
; %bb.34:
	s_waitcnt vmcnt(0)
	ds_read_b64 v[58:59], v32 offset:30728
.LBB1014_35:
	s_or_b64 exec, exec, s[36:37]
	v_mov_b32_e32 v33, 0
	s_waitcnt lgkmcnt(0)
	s_barrier
	s_waitcnt lgkmcnt(0)
                                        ; implicit-def: $vgpr46
	s_and_saveexec_b64 s[0:1], vcc
	s_cbranch_execz .LBB1014_127
; %bb.36:
	v_lshl_add_u64 v[46:47], v[60:61], 0, v[32:33]
	flat_load_dword v46, v[46:47]
	s_or_b64 exec, exec, s[0:1]
                                        ; implicit-def: $vgpr33
	s_and_saveexec_b64 s[0:1], s[6:7]
	s_cbranch_execnz .LBB1014_128
.LBB1014_37:
	s_or_b64 exec, exec, s[0:1]
                                        ; implicit-def: $vgpr32
	s_and_saveexec_b64 s[0:1], s[8:9]
	s_cbranch_execz .LBB1014_129
.LBB1014_38:
	v_lshlrev_b32_e32 v48, 3, v1
	v_mov_b32_e32 v49, 0
	v_lshl_add_u64 v[48:49], v[60:61], 0, v[48:49]
	flat_load_dword v32, v[48:49]
	s_or_b64 exec, exec, s[0:1]
                                        ; implicit-def: $vgpr47
	s_and_saveexec_b64 s[0:1], s[10:11]
	s_cbranch_execnz .LBB1014_130
.LBB1014_39:
	s_or_b64 exec, exec, s[0:1]
                                        ; implicit-def: $vgpr34
	s_and_saveexec_b64 s[0:1], s[12:13]
	s_cbranch_execz .LBB1014_131
.LBB1014_40:
	v_lshlrev_b32_e32 v34, 3, v35
	v_mov_b32_e32 v35, 0
	v_lshl_add_u64 v[34:35], v[60:61], 0, v[34:35]
	flat_load_dword v34, v[34:35]
	s_or_b64 exec, exec, s[0:1]
                                        ; implicit-def: $vgpr35
	s_and_saveexec_b64 s[0:1], s[14:15]
	s_cbranch_execnz .LBB1014_132
.LBB1014_41:
	s_or_b64 exec, exec, s[0:1]
                                        ; implicit-def: $vgpr36
	s_and_saveexec_b64 s[0:1], s[16:17]
	s_cbranch_execz .LBB1014_133
.LBB1014_42:
	v_lshlrev_b32_e32 v36, 3, v37
	v_mov_b32_e32 v37, 0
	v_lshl_add_u64 v[36:37], v[60:61], 0, v[36:37]
	flat_load_dword v36, v[36:37]
	s_or_b64 exec, exec, s[0:1]
                                        ; implicit-def: $vgpr37
	s_and_saveexec_b64 s[0:1], s[18:19]
	s_cbranch_execnz .LBB1014_134
.LBB1014_43:
	s_or_b64 exec, exec, s[0:1]
                                        ; implicit-def: $vgpr38
	s_and_saveexec_b64 s[0:1], s[20:21]
	s_cbranch_execz .LBB1014_135
.LBB1014_44:
	v_lshlrev_b32_e32 v38, 3, v39
	v_mov_b32_e32 v39, 0
	v_lshl_add_u64 v[38:39], v[60:61], 0, v[38:39]
	flat_load_dword v38, v[38:39]
	s_or_b64 exec, exec, s[0:1]
                                        ; implicit-def: $vgpr39
	s_and_saveexec_b64 s[0:1], s[22:23]
	s_cbranch_execnz .LBB1014_136
.LBB1014_45:
	s_or_b64 exec, exec, s[0:1]
                                        ; implicit-def: $vgpr40
	s_and_saveexec_b64 s[0:1], s[24:25]
	s_cbranch_execz .LBB1014_137
.LBB1014_46:
	v_lshlrev_b32_e32 v40, 3, v41
	v_mov_b32_e32 v41, 0
	v_lshl_add_u64 v[40:41], v[60:61], 0, v[40:41]
	flat_load_dword v40, v[40:41]
	s_or_b64 exec, exec, s[0:1]
                                        ; implicit-def: $vgpr41
	s_and_saveexec_b64 s[0:1], s[26:27]
	s_cbranch_execnz .LBB1014_138
.LBB1014_47:
	s_or_b64 exec, exec, s[0:1]
                                        ; implicit-def: $vgpr42
	s_and_saveexec_b64 s[0:1], s[28:29]
	s_cbranch_execz .LBB1014_49
.LBB1014_48:
	v_lshlrev_b32_e32 v42, 3, v43
	v_mov_b32_e32 v43, 0
	v_lshl_add_u64 v[42:43], v[60:61], 0, v[42:43]
	flat_load_dword v42, v[42:43]
.LBB1014_49:
	s_or_b64 exec, exec, s[0:1]
	v_mul_u32_u24_e32 v1, 14, v0
                                        ; implicit-def: $vgpr43
	s_and_saveexec_b64 s[0:1], s[30:31]
	s_cbranch_execz .LBB1014_51
; %bb.50:
	v_lshlrev_b32_e32 v48, 3, v44
	v_mov_b32_e32 v49, 0
	v_lshl_add_u64 v[48:49], v[60:61], 0, v[48:49]
	flat_load_dword v43, v[48:49]
.LBB1014_51:
	s_or_b64 exec, exec, s[0:1]
	v_lshlrev_b32_e32 v44, 2, v0
	v_sub_u32_e32 v65, v45, v44
	s_waitcnt vmcnt(0) lgkmcnt(0)
	ds_write2st64_b32 v65, v46, v33 offset1:4
	ds_write2st64_b32 v65, v32, v47 offset0:8 offset1:12
	ds_write2st64_b32 v65, v34, v35 offset0:16 offset1:20
	;; [unrolled: 1-line block ×6, first 2 shown]
	v_mov_b64_e32 v[32:33], 0
	v_cmp_gt_u32_e32 vcc, s48, v1
	s_mov_b64 s[10:11], 0
	s_mov_b64 s[0:1], 0
	v_mov_b64_e32 v[34:35], v[32:33]
	v_mov_b64_e32 v[36:37], v[32:33]
	;; [unrolled: 1-line block ×12, first 2 shown]
	s_waitcnt lgkmcnt(0)
	s_barrier
	s_waitcnt lgkmcnt(0)
                                        ; implicit-def: $sgpr8_sgpr9
                                        ; implicit-def: $vgpr64
	s_and_saveexec_b64 s[6:7], vcc
	s_cbranch_execz .LBB1014_79
; %bb.52:
	v_mad_u32_u24 v32, v0, 52, v65
	ds_read_b32 v32, v32
	v_mov_b32_e32 v33, s54
	v_cmp_eq_u64_e32 vcc, v[26:27], v[28:29]
	v_or_b32_e32 v34, 1, v1
	s_mov_b64 s[12:13], 0
	s_waitcnt lgkmcnt(0)
	v_cndmask_b32_e32 v32, v33, v32, vcc
	v_cmp_ne_u64_e32 vcc, v[26:27], v[28:29]
                                        ; implicit-def: $sgpr14_sgpr15
                                        ; implicit-def: $vgpr64
	s_nop 1
	v_cndmask_b32_e64 v33, 0, 1, vcc
	v_cmp_gt_u32_e32 vcc, s48, v34
	v_mov_b64_e32 v[34:35], 0
	v_mov_b64_e32 v[36:37], v[34:35]
	v_mov_b64_e32 v[38:39], v[34:35]
	v_mov_b64_e32 v[40:41], v[34:35]
	v_mov_b64_e32 v[42:43], v[34:35]
	v_mov_b64_e32 v[44:45], v[34:35]
	v_mov_b64_e32 v[46:47], v[34:35]
	v_mov_b64_e32 v[48:49], v[34:35]
	v_mov_b64_e32 v[50:51], v[34:35]
	v_mov_b64_e32 v[52:53], v[34:35]
	v_mov_b64_e32 v[54:55], v[34:35]
	v_mov_b64_e32 v[56:57], v[34:35]
	s_and_saveexec_b64 s[8:9], vcc
	s_cbranch_execz .LBB1014_78
; %bb.53:
	v_mul_u32_u24_e32 v26, 52, v0
	v_add_u32_e32 v65, v65, v26
	ds_read2_b32 v[26:27], v65 offset0:1 offset1:2
	v_mov_b32_e32 v34, s54
	v_cmp_eq_u64_e32 vcc, v[28:29], v[22:23]
	v_add_u32_e32 v36, 2, v1
	s_mov_b64 s[14:15], 0
	s_waitcnt lgkmcnt(0)
	v_cndmask_b32_e32 v34, v34, v26, vcc
	v_cmp_ne_u64_e32 vcc, v[28:29], v[22:23]
                                        ; implicit-def: $sgpr16_sgpr17
                                        ; implicit-def: $vgpr64
	s_nop 1
	v_cndmask_b32_e64 v35, 0, 1, vcc
	v_cmp_gt_u32_e32 vcc, s48, v36
	v_mov_b64_e32 v[36:37], 0
	v_mov_b64_e32 v[38:39], v[36:37]
	;; [unrolled: 1-line block ×11, first 2 shown]
	s_and_saveexec_b64 s[10:11], vcc
	s_cbranch_execz .LBB1014_77
; %bb.54:
	v_mov_b32_e32 v28, s54
	v_cmp_eq_u64_e32 vcc, v[22:23], v[24:25]
	v_add_u32_e32 v26, 3, v1
	v_mov_b64_e32 v[38:39], 0
	v_cndmask_b32_e32 v36, v28, v27, vcc
	v_cmp_ne_u64_e32 vcc, v[22:23], v[24:25]
	s_mov_b64 s[16:17], 0
	v_mov_b64_e32 v[40:41], v[38:39]
	v_cndmask_b32_e64 v37, 0, 1, vcc
	v_cmp_gt_u32_e32 vcc, s48, v26
	v_mov_b64_e32 v[42:43], v[38:39]
	v_mov_b64_e32 v[44:45], v[38:39]
	;; [unrolled: 1-line block ×8, first 2 shown]
                                        ; implicit-def: $sgpr18_sgpr19
                                        ; implicit-def: $vgpr64
	s_and_saveexec_b64 s[12:13], vcc
	s_cbranch_execz .LBB1014_76
; %bb.55:
	ds_read2_b32 v[22:23], v65 offset0:3 offset1:4
	v_mov_b32_e32 v27, s54
	v_cmp_eq_u64_e32 vcc, v[24:25], v[18:19]
	v_add_u32_e32 v26, 4, v1
	v_mov_b64_e32 v[40:41], 0
	s_waitcnt lgkmcnt(0)
	v_cndmask_b32_e32 v38, v27, v22, vcc
	v_cmp_ne_u64_e32 vcc, v[24:25], v[18:19]
	s_mov_b64 s[18:19], 0
	v_mov_b64_e32 v[42:43], v[40:41]
	v_cndmask_b32_e64 v39, 0, 1, vcc
	v_cmp_gt_u32_e32 vcc, s48, v26
	v_mov_b64_e32 v[44:45], v[40:41]
	v_mov_b64_e32 v[46:47], v[40:41]
	;; [unrolled: 1-line block ×7, first 2 shown]
                                        ; implicit-def: $sgpr20_sgpr21
                                        ; implicit-def: $vgpr64
	s_and_saveexec_b64 s[14:15], vcc
	s_cbranch_execz .LBB1014_75
; %bb.56:
	v_mov_b32_e32 v24, s54
	v_cmp_eq_u64_e32 vcc, v[18:19], v[20:21]
	v_add_u32_e32 v22, 5, v1
	v_mov_b64_e32 v[42:43], 0
	v_cndmask_b32_e32 v40, v24, v23, vcc
	v_cmp_ne_u64_e32 vcc, v[18:19], v[20:21]
	s_mov_b64 s[20:21], 0
	v_mov_b64_e32 v[44:45], v[42:43]
	v_cndmask_b32_e64 v41, 0, 1, vcc
	v_cmp_gt_u32_e32 vcc, s48, v22
	v_mov_b64_e32 v[46:47], v[42:43]
	v_mov_b64_e32 v[48:49], v[42:43]
	;; [unrolled: 1-line block ×6, first 2 shown]
                                        ; implicit-def: $sgpr22_sgpr23
                                        ; implicit-def: $vgpr64
	s_and_saveexec_b64 s[16:17], vcc
	s_cbranch_execz .LBB1014_74
; %bb.57:
	ds_read2_b32 v[18:19], v65 offset0:5 offset1:6
	v_mov_b32_e32 v23, s54
	v_cmp_eq_u64_e32 vcc, v[20:21], v[14:15]
	v_add_u32_e32 v22, 6, v1
	v_mov_b64_e32 v[44:45], 0
	s_waitcnt lgkmcnt(0)
	v_cndmask_b32_e32 v42, v23, v18, vcc
	v_cmp_ne_u64_e32 vcc, v[20:21], v[14:15]
	s_mov_b64 s[22:23], 0
	v_mov_b64_e32 v[46:47], v[44:45]
	v_cndmask_b32_e64 v43, 0, 1, vcc
	v_cmp_gt_u32_e32 vcc, s48, v22
	v_mov_b64_e32 v[48:49], v[44:45]
	v_mov_b64_e32 v[50:51], v[44:45]
	;; [unrolled: 1-line block ×5, first 2 shown]
                                        ; implicit-def: $sgpr24_sgpr25
                                        ; implicit-def: $vgpr64
	s_and_saveexec_b64 s[18:19], vcc
	s_cbranch_execz .LBB1014_73
; %bb.58:
	v_mov_b32_e32 v20, s54
	v_cmp_eq_u64_e32 vcc, v[14:15], v[16:17]
	v_add_u32_e32 v18, 7, v1
	v_mov_b64_e32 v[46:47], 0
	v_cndmask_b32_e32 v44, v20, v19, vcc
	v_cmp_ne_u64_e32 vcc, v[14:15], v[16:17]
	s_mov_b64 s[24:25], 0
	v_mov_b64_e32 v[48:49], v[46:47]
	v_cndmask_b32_e64 v45, 0, 1, vcc
	v_cmp_gt_u32_e32 vcc, s48, v18
	v_mov_b64_e32 v[50:51], v[46:47]
	v_mov_b64_e32 v[52:53], v[46:47]
	;; [unrolled: 1-line block ×4, first 2 shown]
                                        ; implicit-def: $sgpr26_sgpr27
                                        ; implicit-def: $vgpr64
	s_and_saveexec_b64 s[20:21], vcc
	s_cbranch_execz .LBB1014_72
; %bb.59:
	ds_read2_b32 v[14:15], v65 offset0:7 offset1:8
	v_mov_b32_e32 v19, s54
	v_cmp_eq_u64_e32 vcc, v[16:17], v[10:11]
	v_add_u32_e32 v18, 8, v1
	v_mov_b64_e32 v[48:49], 0
	s_waitcnt lgkmcnt(0)
	v_cndmask_b32_e32 v46, v19, v14, vcc
	v_cmp_ne_u64_e32 vcc, v[16:17], v[10:11]
	s_mov_b64 s[26:27], 0
	v_mov_b64_e32 v[50:51], v[48:49]
	v_cndmask_b32_e64 v47, 0, 1, vcc
	v_cmp_gt_u32_e32 vcc, s48, v18
	v_mov_b64_e32 v[52:53], v[48:49]
	v_mov_b64_e32 v[54:55], v[48:49]
	;; [unrolled: 1-line block ×3, first 2 shown]
                                        ; implicit-def: $sgpr28_sgpr29
                                        ; implicit-def: $vgpr64
	s_and_saveexec_b64 s[22:23], vcc
	s_cbranch_execz .LBB1014_71
; %bb.60:
	v_mov_b32_e32 v16, s54
	v_cmp_eq_u64_e32 vcc, v[10:11], v[12:13]
	v_add_u32_e32 v14, 9, v1
	v_mov_b64_e32 v[50:51], 0
	v_cndmask_b32_e32 v48, v16, v15, vcc
	v_cmp_ne_u64_e32 vcc, v[10:11], v[12:13]
	s_mov_b64 s[28:29], 0
	v_mov_b64_e32 v[52:53], v[50:51]
	v_cndmask_b32_e64 v49, 0, 1, vcc
	v_cmp_gt_u32_e32 vcc, s48, v14
	v_mov_b64_e32 v[54:55], v[50:51]
	v_mov_b64_e32 v[56:57], v[50:51]
                                        ; implicit-def: $sgpr30_sgpr31
                                        ; implicit-def: $vgpr64
	s_and_saveexec_b64 s[24:25], vcc
	s_cbranch_execz .LBB1014_70
; %bb.61:
	ds_read2_b32 v[10:11], v65 offset0:9 offset1:10
	v_mov_b32_e32 v15, s54
	v_cmp_eq_u64_e32 vcc, v[12:13], v[6:7]
	v_add_u32_e32 v14, 10, v1
	v_mov_b64_e32 v[52:53], 0
	s_waitcnt lgkmcnt(0)
	v_cndmask_b32_e32 v50, v15, v10, vcc
	v_cmp_ne_u64_e32 vcc, v[12:13], v[6:7]
	s_mov_b64 s[30:31], 0
	v_mov_b64_e32 v[54:55], v[52:53]
	v_cndmask_b32_e64 v51, 0, 1, vcc
	v_cmp_gt_u32_e32 vcc, s48, v14
	v_mov_b64_e32 v[56:57], v[52:53]
                                        ; implicit-def: $sgpr36_sgpr37
                                        ; implicit-def: $vgpr64
	s_and_saveexec_b64 s[26:27], vcc
	s_cbranch_execz .LBB1014_69
; %bb.62:
	v_mov_b32_e32 v12, s54
	v_cmp_eq_u64_e32 vcc, v[6:7], v[8:9]
	v_add_u32_e32 v10, 11, v1
	v_mov_b64_e32 v[54:55], 0
	v_cndmask_b32_e32 v52, v12, v11, vcc
	v_cmp_ne_u64_e32 vcc, v[6:7], v[8:9]
	s_mov_b64 s[36:37], 0
	v_mov_b64_e32 v[56:57], v[54:55]
	v_cndmask_b32_e64 v53, 0, 1, vcc
	v_cmp_gt_u32_e32 vcc, s48, v10
                                        ; implicit-def: $sgpr40_sgpr41
                                        ; implicit-def: $vgpr64
	s_and_saveexec_b64 s[28:29], vcc
	s_cbranch_execz .LBB1014_68
; %bb.63:
	ds_read2_b32 v[6:7], v65 offset0:11 offset1:12
	v_mov_b32_e32 v11, s54
	v_cmp_eq_u64_e32 vcc, v[8:9], v[2:3]
	v_add_u32_e32 v10, 12, v1
	v_mov_b64_e32 v[56:57], 0
	s_waitcnt lgkmcnt(0)
	v_cndmask_b32_e32 v54, v11, v6, vcc
	v_cmp_ne_u64_e32 vcc, v[8:9], v[2:3]
                                        ; implicit-def: $sgpr40_sgpr41
                                        ; implicit-def: $vgpr64
	s_nop 1
	v_cndmask_b32_e64 v55, 0, 1, vcc
	v_cmp_gt_u32_e32 vcc, s48, v10
	s_and_saveexec_b64 s[30:31], vcc
	s_cbranch_execz .LBB1014_67
; %bb.64:
	v_mov_b32_e32 v6, s54
	v_cmp_eq_u64_e32 vcc, v[2:3], v[4:5]
	v_add_u32_e32 v1, 13, v1
                                        ; implicit-def: $sgpr40_sgpr41
                                        ; implicit-def: $vgpr64
	s_nop 0
	v_cndmask_b32_e32 v56, v6, v7, vcc
	v_cmp_ne_u64_e32 vcc, v[2:3], v[4:5]
	s_nop 1
	v_cndmask_b32_e64 v57, 0, 1, vcc
	v_cmp_gt_u32_e32 vcc, s48, v1
	s_and_saveexec_b64 s[48:49], vcc
	s_xor_b64 s[48:49], exec, s[48:49]
	s_cbranch_execz .LBB1014_66
; %bb.65:
	ds_read_b32 v1, v65 offset:52
	v_mov_b32_e32 v2, s54
	v_cmp_ne_u64_e32 vcc, v[4:5], v[58:59]
	s_mov_b64 s[36:37], exec
	s_and_b64 s[40:41], vcc, exec
	s_waitcnt lgkmcnt(0)
	v_cndmask_b32_e32 v64, v1, v2, vcc
.LBB1014_66:
	s_or_b64 exec, exec, s[48:49]
	s_and_b64 s[40:41], s[40:41], exec
	s_and_b64 s[36:37], s[36:37], exec
.LBB1014_67:
	s_or_b64 exec, exec, s[30:31]
	s_and_b64 s[40:41], s[40:41], exec
	s_and_b64 s[30:31], s[36:37], exec
.LBB1014_68:
	s_or_b64 exec, exec, s[28:29]
	s_and_b64 s[36:37], s[40:41], exec
	s_and_b64 s[28:29], s[30:31], exec
.LBB1014_69:
	s_or_b64 exec, exec, s[26:27]
	s_and_b64 s[30:31], s[36:37], exec
	s_and_b64 s[26:27], s[28:29], exec
.LBB1014_70:
	s_or_b64 exec, exec, s[24:25]
	s_and_b64 s[28:29], s[30:31], exec
	s_and_b64 s[24:25], s[26:27], exec
.LBB1014_71:
	s_or_b64 exec, exec, s[22:23]
	s_and_b64 s[26:27], s[28:29], exec
	s_and_b64 s[22:23], s[24:25], exec
.LBB1014_72:
	s_or_b64 exec, exec, s[20:21]
	s_and_b64 s[24:25], s[26:27], exec
	s_and_b64 s[20:21], s[22:23], exec
.LBB1014_73:
	s_or_b64 exec, exec, s[18:19]
	s_and_b64 s[22:23], s[24:25], exec
	s_and_b64 s[18:19], s[20:21], exec
.LBB1014_74:
	s_or_b64 exec, exec, s[16:17]
	s_and_b64 s[20:21], s[22:23], exec
	s_and_b64 s[16:17], s[18:19], exec
.LBB1014_75:
	s_or_b64 exec, exec, s[14:15]
	s_and_b64 s[18:19], s[20:21], exec
	s_and_b64 s[14:15], s[16:17], exec
.LBB1014_76:
	s_or_b64 exec, exec, s[12:13]
	s_and_b64 s[16:17], s[18:19], exec
	s_and_b64 s[12:13], s[14:15], exec
.LBB1014_77:
	s_or_b64 exec, exec, s[10:11]
	s_and_b64 s[14:15], s[16:17], exec
	s_and_b64 s[10:11], s[12:13], exec
.LBB1014_78:
	s_or_b64 exec, exec, s[8:9]
	s_and_b64 s[8:9], s[14:15], exec
	s_and_b64 s[10:11], s[10:11], exec
.LBB1014_79:
	s_or_b64 exec, exec, s[6:7]
	s_mov_b64 s[6:7], 0
	s_and_b64 vcc, exec, s[0:1]
	v_lshlrev_b32_e32 v58, 3, v0
	s_cbranch_vccnz .LBB1014_81
	s_branch .LBB1014_86
.LBB1014_80:
	s_mov_b64 s[10:11], 0
                                        ; implicit-def: $sgpr8_sgpr9
                                        ; implicit-def: $vgpr64
                                        ; implicit-def: $vgpr32_vgpr33
                                        ; implicit-def: $vgpr34_vgpr35
                                        ; implicit-def: $vgpr36_vgpr37
                                        ; implicit-def: $vgpr38_vgpr39
                                        ; implicit-def: $vgpr40_vgpr41
                                        ; implicit-def: $vgpr42_vgpr43
                                        ; implicit-def: $vgpr44_vgpr45
                                        ; implicit-def: $vgpr46_vgpr47
                                        ; implicit-def: $vgpr48_vgpr49
                                        ; implicit-def: $vgpr50_vgpr51
                                        ; implicit-def: $vgpr52_vgpr53
                                        ; implicit-def: $vgpr54_vgpr55
                                        ; implicit-def: $vgpr56_vgpr57
                                        ; implicit-def: $sgpr6_sgpr7
	s_and_b64 vcc, exec, s[0:1]
	v_lshlrev_b32_e32 v58, 3, v0
	s_cbranch_vccz .LBB1014_86
.LBB1014_81:
	v_mov_b32_e32 v59, 0
	v_lshl_add_u64 v[2:3], v[62:63], 0, v[58:59]
	v_add_co_u32_e32 v4, vcc, 0x1000, v2
	s_movk_i32 s0, 0x7000
	s_nop 0
	v_addc_co_u32_e32 v5, vcc, 0, v3, vcc
	flat_load_dwordx2 v[6:7], v[2:3]
	flat_load_dwordx2 v[8:9], v[2:3] offset:2048
	flat_load_dwordx2 v[10:11], v[4:5]
	flat_load_dwordx2 v[12:13], v[4:5] offset:2048
	v_add_co_u32_e32 v4, vcc, 0x2000, v2
	s_movk_i32 s6, 0x68
	s_nop 0
	v_addc_co_u32_e32 v5, vcc, 0, v3, vcc
	v_add_co_u32_e32 v14, vcc, 0x3000, v2
	v_mad_u32_u24 v1, v0, s6, v58
	s_nop 0
	v_addc_co_u32_e32 v15, vcc, 0, v3, vcc
	flat_load_dwordx2 v[16:17], v[4:5]
	flat_load_dwordx2 v[18:19], v[4:5] offset:2048
	flat_load_dwordx2 v[20:21], v[14:15]
	flat_load_dwordx2 v[22:23], v[14:15] offset:2048
	v_add_co_u32_e32 v4, vcc, 0x4000, v2
	s_movk_i32 s6, 0xff98
	s_nop 0
	v_addc_co_u32_e32 v5, vcc, 0, v3, vcc
	v_add_co_u32_e32 v14, vcc, 0x5000, v2
	s_movk_i32 s12, 0x1000
	s_nop 0
	v_addc_co_u32_e32 v15, vcc, 0, v3, vcc
	v_add_co_u32_e32 v2, vcc, 0x6000, v2
	flat_load_dwordx2 v[24:25], v[4:5]
	flat_load_dwordx2 v[26:27], v[4:5] offset:2048
	flat_load_dwordx2 v[28:29], v[14:15]
	flat_load_dwordx2 v[32:33], v[14:15] offset:2048
	v_addc_co_u32_e32 v3, vcc, 0, v3, vcc
	flat_load_dwordx2 v[4:5], v[2:3]
	flat_load_dwordx2 v[14:15], v[2:3] offset:2048
	v_add_co_u32_e32 v2, vcc, s0, v62
	s_mov_b32 s0, 0
	s_nop 0
	v_addc_co_u32_e32 v3, vcc, 0, v63, vcc
	s_movk_i32 s11, 0x2000
	s_movk_i32 s10, 0x3000
	;; [unrolled: 1-line block ×5, first 2 shown]
	s_waitcnt vmcnt(0) lgkmcnt(0)
	ds_write2st64_b64 v58, v[6:7], v[8:9] offset1:4
	ds_write2st64_b64 v58, v[10:11], v[12:13] offset0:8 offset1:12
	ds_write2st64_b64 v58, v[16:17], v[18:19] offset0:16 offset1:20
	;; [unrolled: 1-line block ×6, first 2 shown]
	s_waitcnt lgkmcnt(0)
	s_barrier
	flat_load_dwordx2 v[62:63], v[2:3]
	ds_read_b128 v[26:29], v1
	ds_read_b128 v[22:25], v1 offset:16
	ds_read_b128 v[18:21], v1 offset:32
	;; [unrolled: 1-line block ×6, first 2 shown]
	v_mad_i32_i24 v1, v0, s6, v1
	s_movk_i32 s6, 0xff
	v_cmp_ne_u32_e32 vcc, s6, v0
	s_waitcnt lgkmcnt(0)
	ds_write_b64 v1, v[26:27] offset:30720
	s_waitcnt lgkmcnt(0)
	s_barrier
	s_and_saveexec_b64 s[6:7], vcc
	s_cbranch_execz .LBB1014_83
; %bb.82:
	s_waitcnt vmcnt(0)
	ds_read_b64 v[62:63], v58 offset:30728
.LBB1014_83:
	s_or_b64 exec, exec, s[6:7]
	v_lshl_add_u64 v[32:33], v[60:61], 0, v[58:59]
	v_add_co_u32_e32 v34, vcc, s12, v32
	s_waitcnt lgkmcnt(0)
	s_nop 0
	v_addc_co_u32_e32 v35, vcc, 0, v33, vcc
	v_add_co_u32_e32 v36, vcc, s11, v32
	s_barrier
	s_nop 0
	v_addc_co_u32_e32 v37, vcc, 0, v33, vcc
	v_add_co_u32_e32 v38, vcc, s10, v32
	s_nop 1
	v_addc_co_u32_e32 v39, vcc, 0, v33, vcc
	flat_load_dword v40, v[32:33]
	flat_load_dword v41, v[32:33] offset:2048
	flat_load_dword v42, v[34:35]
	flat_load_dword v43, v[34:35] offset:2048
	;; [unrolled: 2-line block ×4, first 2 shown]
	v_add_co_u32_e32 v34, vcc, s9, v32
	s_nop 1
	v_addc_co_u32_e32 v35, vcc, 0, v33, vcc
	v_add_co_u32_e32 v36, vcc, s8, v32
	s_nop 1
	v_addc_co_u32_e32 v37, vcc, 0, v33, vcc
	v_add_co_u32_e32 v32, vcc, s1, v32
	s_mov_b32 s1, 1
	s_nop 0
	v_addc_co_u32_e32 v33, vcc, 0, v33, vcc
	flat_load_dword v38, v[34:35]
	flat_load_dword v39, v[34:35] offset:2048
	flat_load_dword v48, v[36:37]
	flat_load_dword v49, v[36:37] offset:2048
	;; [unrolled: 2-line block ×3, first 2 shown]
	v_lshlrev_b32_e32 v32, 2, v0
	v_sub_u32_e32 v34, v1, v32
	v_mad_u32_u24 v1, v0, 52, v34
	v_cmp_eq_u64_e32 vcc, v[26:27], v[28:29]
	v_mov_b64_e32 v[32:33], s[0:1]
	v_mov_b32_e32 v26, s54
	s_waitcnt vmcnt(0) lgkmcnt(0)
	ds_write2st64_b32 v34, v40, v41 offset1:4
	ds_write2st64_b32 v34, v42, v43 offset0:8 offset1:12
	ds_write2st64_b32 v34, v44, v45 offset0:16 offset1:20
	;; [unrolled: 1-line block ×6, first 2 shown]
	s_waitcnt lgkmcnt(0)
	s_barrier
	ds_read2_b32 v[36:37], v1 offset0:1 offset1:2
	ds_read2_b32 v[40:41], v1 offset0:3 offset1:4
	;; [unrolled: 1-line block ×6, first 2 shown]
	ds_read_b32 v1, v1 offset:52
	s_and_saveexec_b64 s[0:1], vcc
	s_cbranch_execz .LBB1014_85
; %bb.84:
	v_mul_u32_u24_e32 v26, 52, v0
	v_add_u32_e32 v26, v34, v26
	ds_read_b32 v26, v26
	v_mov_b64_e32 v[32:33], 0
.LBB1014_85:
	s_or_b64 exec, exec, s[0:1]
	s_waitcnt lgkmcnt(0)
	v_or_b32_e32 v32, v32, v26
	v_mov_b32_e32 v26, s54
	v_cmp_eq_u64_e32 vcc, v[28:29], v[22:23]
	v_cmp_ne_u64_e64 s[8:9], v[4:5], v[62:63]
	s_mov_b64 s[10:11], -1
	v_cndmask_b32_e32 v34, v26, v36, vcc
	v_cmp_ne_u64_e32 vcc, v[28:29], v[22:23]
	v_cndmask_b32_e64 v64, v1, v26, s[8:9]
                                        ; implicit-def: $sgpr6_sgpr7
	s_nop 0
	v_cndmask_b32_e64 v35, 0, 1, vcc
	v_cmp_eq_u64_e32 vcc, v[22:23], v[24:25]
	s_nop 1
	v_cndmask_b32_e32 v36, v26, v37, vcc
	v_cmp_ne_u64_e32 vcc, v[22:23], v[24:25]
	s_nop 1
	v_cndmask_b32_e64 v37, 0, 1, vcc
	v_cmp_eq_u64_e32 vcc, v[24:25], v[18:19]
	s_nop 1
	v_cndmask_b32_e32 v38, v26, v40, vcc
	v_cmp_ne_u64_e32 vcc, v[24:25], v[18:19]
	;; [unrolled: 6-line block ×11, first 2 shown]
	s_nop 1
	v_cndmask_b32_e64 v57, 0, 1, vcc
.LBB1014_86:
	v_mov_b64_e32 v[14:15], s[6:7]
	s_and_saveexec_b64 s[0:1], s[10:11]
; %bb.87:
	v_cndmask_b32_e64 v65, 0, 1, s[8:9]
	v_mov_b64_e32 v[14:15], v[64:65]
; %bb.88:
	s_or_b64 exec, exec, s[0:1]
	s_mov_b32 s0, 0
	s_cmp_lg_u32 s47, 0
	v_or3_b32 v24, v15, v57, v55
	v_lshrrev_b32_e32 v1, 5, v0
	v_cmp_gt_u32_e32 vcc, 64, v0
	s_barrier
	s_cbranch_scc0 .LBB1014_139
; %bb.89:
	s_mov_b32 s1, 1
	v_cmp_gt_u64_e64 s[6:7], s[0:1], v[34:35]
	v_cmp_gt_u64_e64 s[8:9], s[0:1], v[36:37]
	v_cmp_gt_u64_e64 s[10:11], s[0:1], v[38:39]
	v_cndmask_b32_e64 v2, 0, v32, s[6:7]
	v_add_u32_e32 v2, v2, v34
	v_cndmask_b32_e64 v2, 0, v2, s[8:9]
	v_add_u32_e32 v2, v2, v36
	v_cndmask_b32_e64 v2, 0, v2, s[10:11]
	v_add_u32_e32 v2, v2, v38
	v_cmp_gt_u64_e64 s[12:13], s[0:1], v[40:41]
	v_cmp_gt_u64_e64 s[14:15], s[0:1], v[42:43]
	v_cmp_gt_u64_e64 s[16:17], s[0:1], v[44:45]
	v_cndmask_b32_e64 v2, 0, v2, s[12:13]
	v_add_u32_e32 v2, v2, v40
	v_cndmask_b32_e64 v2, 0, v2, s[14:15]
	v_add_u32_e32 v2, v2, v42
	v_cndmask_b32_e64 v2, 0, v2, s[16:17]
	v_add_u32_e32 v2, v2, v44
	;; [unrolled: 9-line block ×4, first 2 shown]
	v_cmp_gt_u64_e64 s[0:1], s[0:1], v[14:15]
	s_nop 1
	v_cndmask_b32_e64 v2, 0, v2, s[0:1]
	v_add_u32_e32 v16, v2, v14
	v_or3_b32 v2, v24, v53, v51
	v_or3_b32 v2, v2, v49, v47
	;; [unrolled: 1-line block ×5, first 2 shown]
	v_and_b32_e32 v2, 1, v2
	v_cmp_eq_u32_e64 s[0:1], 1, v2
	v_add_lshl_u32 v2, v1, v0, 3
	s_nop 0
	v_cndmask_b32_e64 v17, v33, 1, s[0:1]
	ds_write_b32 v2, v16
	ds_write_b8 v2, v17 offset:4
	s_waitcnt lgkmcnt(0)
	s_barrier
	s_and_saveexec_b64 s[30:31], vcc
	s_cbranch_execz .LBB1014_101
; %bb.90:
	v_lshlrev_b32_e32 v2, 2, v0
	v_lshrrev_b32_e32 v3, 3, v0
	v_add_lshl_u32 v4, v3, v2, 3
	ds_read2_b32 v[6:7], v4 offset0:2 offset1:4
	ds_read_b64 v[2:3], v4
	ds_read_u8 v8, v4 offset:12
	ds_read_u8 v9, v4 offset:20
	ds_read_b32 v10, v4 offset:24
	ds_read_u8 v11, v4 offset:28
	v_mov_b32_e32 v12, 0
	s_waitcnt lgkmcnt(3)
	v_cmp_eq_u16_sdwa s[0:1], v8, v12 src0_sel:BYTE_0 src1_sel:DWORD
	v_and_b32_e32 v5, 1, v3
	s_nop 0
	v_cndmask_b32_e64 v13, 0, v2, s[0:1]
	v_add_u32_e32 v6, v13, v6
	s_waitcnt lgkmcnt(2)
	v_cmp_eq_u16_sdwa s[0:1], v9, v12 src0_sel:BYTE_0 src1_sel:DWORD
	s_nop 1
	v_cndmask_b32_e64 v6, 0, v6, s[0:1]
	v_add_u32_e32 v6, v6, v7
	s_waitcnt lgkmcnt(0)
	v_cmp_eq_u16_e64 s[0:1], 0, v11
	s_nop 1
	v_cndmask_b32_e64 v6, 0, v6, s[0:1]
	v_add_u32_e32 v7, v6, v10
	v_or_b32_e32 v6, v11, v9
	v_or_b32_e32 v6, v6, v8
	v_and_b32_e32 v6, 1, v6
	v_cmp_eq_u32_e64 s[0:1], 1, v6
	v_mbcnt_lo_u32_b32 v8, -1, 0
	v_and_b32_e32 v6, 0xffffff00, v3
	v_cndmask_b32_e64 v9, v5, 1, s[0:1]
	v_mbcnt_hi_u32_b32 v8, -1, v8
	v_and_b32_e32 v11, 15, v8
	v_or_b32_sdwa v10, v6, v9 dst_sel:DWORD dst_unused:UNUSED_PAD src0_sel:DWORD src1_sel:WORD_0
	v_mov_b32_dpp v12, v7 row_shr:1 row_mask:0xf bank_mask:0xf
	v_cmp_ne_u32_e64 s[0:1], 0, v11
	v_mov_b32_dpp v13, v10 row_shr:1 row_mask:0xf bank_mask:0xf
	s_and_saveexec_b64 s[36:37], s[0:1]
; %bb.91:
	v_and_b32_e32 v10, 1, v9
	v_and_b32_e32 v13, 1, v13
	v_cmp_eq_u32_e64 s[0:1], 1, v10
	s_nop 1
	v_cndmask_b32_e64 v13, v13, 1, s[0:1]
	v_cmp_eq_u16_e64 s[0:1], 0, v9
	v_or_b32_sdwa v10, v6, v13 dst_sel:DWORD dst_unused:UNUSED_PAD src0_sel:DWORD src1_sel:WORD_0
	s_nop 0
	v_cndmask_b32_e64 v9, 0, v12, s[0:1]
	v_add_u32_e32 v7, v9, v7
	v_mov_b32_e32 v9, v13
; %bb.92:
	s_or_b64 exec, exec, s[36:37]
	v_mov_b32_dpp v12, v7 row_shr:2 row_mask:0xf bank_mask:0xf
	v_mov_b32_dpp v13, v10 row_shr:2 row_mask:0xf bank_mask:0xf
	v_cmp_lt_u32_e64 s[0:1], 1, v11
	s_and_saveexec_b64 s[36:37], s[0:1]
; %bb.93:
	v_and_b32_e32 v10, 1, v9
	v_and_b32_e32 v13, 1, v13
	v_cmp_eq_u32_e64 s[0:1], 1, v10
	s_nop 1
	v_cndmask_b32_e64 v13, v13, 1, s[0:1]
	v_cmp_eq_u16_e64 s[0:1], 0, v9
	v_or_b32_sdwa v10, v6, v13 dst_sel:DWORD dst_unused:UNUSED_PAD src0_sel:DWORD src1_sel:WORD_0
	s_nop 0
	v_cndmask_b32_e64 v9, 0, v12, s[0:1]
	v_add_u32_e32 v7, v9, v7
	v_mov_b32_e32 v9, v13
; %bb.94:
	s_or_b64 exec, exec, s[36:37]
	v_mov_b32_dpp v12, v7 row_shr:4 row_mask:0xf bank_mask:0xf
	v_mov_b32_dpp v13, v10 row_shr:4 row_mask:0xf bank_mask:0xf
	v_cmp_lt_u32_e64 s[0:1], 3, v11
	;; [unrolled: 18-line block ×3, first 2 shown]
	s_and_saveexec_b64 s[36:37], s[0:1]
; %bb.97:
	v_and_b32_e32 v10, 1, v9
	v_and_b32_e32 v11, 1, v13
	v_cmp_eq_u32_e64 s[0:1], 1, v10
	s_nop 1
	v_cndmask_b32_e64 v11, v11, 1, s[0:1]
	v_cmp_eq_u16_e64 s[0:1], 0, v9
	v_or_b32_sdwa v10, v6, v11 dst_sel:DWORD dst_unused:UNUSED_PAD src0_sel:DWORD src1_sel:WORD_0
	s_nop 0
	v_cndmask_b32_e64 v9, 0, v12, s[0:1]
	v_add_u32_e32 v7, v9, v7
	v_mov_b32_e32 v9, v11
; %bb.98:
	s_or_b64 exec, exec, s[36:37]
	v_and_b32_e32 v13, 16, v8
	v_mov_b32_dpp v11, v7 row_bcast:15 row_mask:0xf bank_mask:0xf
	v_mov_b32_dpp v12, v10 row_bcast:15 row_mask:0xf bank_mask:0xf
	v_cmp_ne_u32_e64 s[0:1], 0, v13
	s_and_saveexec_b64 s[36:37], s[0:1]
; %bb.99:
	v_and_b32_e32 v10, 1, v9
	v_and_b32_e32 v12, 1, v12
	v_cmp_eq_u32_e64 s[0:1], 1, v10
	s_nop 1
	v_cndmask_b32_e64 v12, v12, 1, s[0:1]
	v_cmp_eq_u16_e64 s[0:1], 0, v9
	v_or_b32_sdwa v10, v6, v12 dst_sel:DWORD dst_unused:UNUSED_PAD src0_sel:DWORD src1_sel:WORD_0
	s_nop 0
	v_cndmask_b32_e64 v9, 0, v11, s[0:1]
	v_add_u32_e32 v7, v9, v7
	v_mov_b32_e32 v9, v12
; %bb.100:
	s_or_b64 exec, exec, s[36:37]
	v_mov_b32_dpp v10, v10 row_bcast:31 row_mask:0xf bank_mask:0xf
	v_and_b32_e32 v12, 1, v9
	v_and_b32_e32 v10, 1, v10
	v_cmp_eq_u32_e64 s[0:1], 1, v12
	v_mov_b32_e32 v12, 0
	v_cmp_eq_u16_sdwa s[36:37], v9, v12 src0_sel:BYTE_0 src1_sel:DWORD
	v_cndmask_b32_e64 v10, v10, 1, s[0:1]
	v_cmp_lt_u32_e64 s[0:1], 31, v8
	v_mov_b32_dpp v11, v7 row_bcast:31 row_mask:0xf bank_mask:0xf
	s_movk_i32 s40, 0xff
	v_cndmask_b32_e64 v9, v9, v10, s[0:1]
	s_and_b64 s[0:1], s[0:1], s[36:37]
	v_cndmask_b32_e64 v10, 0, v11, s[0:1]
	v_add_u32_e32 v7, v10, v7
	v_add_u32_e32 v10, -1, v8
	v_and_b32_e32 v11, 64, v8
	v_cmp_lt_i32_e64 s[0:1], v10, v11
	v_and_or_b32 v6, v9, s40, v6
	s_nop 0
	v_cndmask_b32_e64 v8, v10, v8, s[0:1]
	v_lshlrev_b32_e32 v8, 2, v8
	ds_bpermute_b32 v7, v8, v7
	ds_bpermute_b32 v6, v8, v6
	v_cmp_eq_u16_sdwa s[0:1], v3, v12 src0_sel:BYTE_0 src1_sel:DWORD
	; wave barrier
	s_waitcnt lgkmcnt(1)
	s_nop 0
	v_cndmask_b32_e64 v3, 0, v7, s[0:1]
	v_add_u32_e32 v2, v3, v2
	s_waitcnt lgkmcnt(0)
	v_and_b32_e32 v3, 1, v6
	v_cmp_eq_u32_e64 s[0:1], 1, v5
	v_cndmask_b32_e64 v5, v2, v16, s[34:35]
	s_nop 0
	v_cndmask_b32_e64 v3, v3, 1, s[0:1]
	v_cndmask_b32_e64 v6, v3, v17, s[34:35]
	ds_write_b32 v4, v5
	ds_write_b8 v4, v6 offset:4
	; wave barrier
	ds_read_u8 v7, v4 offset:12
	ds_read2_b32 v[2:3], v4 offset0:2 offset1:4
	ds_read_u8 v8, v4 offset:20
	ds_read_b32 v9, v4 offset:24
	ds_read_u8 v10, v4 offset:28
	s_waitcnt lgkmcnt(4)
	v_cmp_eq_u16_e64 s[0:1], 0, v7
	s_nop 1
	v_cndmask_b32_e64 v5, 0, v5, s[0:1]
	s_waitcnt lgkmcnt(3)
	v_add_u32_e32 v2, v5, v2
	v_and_b32_e32 v5, 1, v7
	v_cmp_eq_u32_e64 s[0:1], 1, v5
	s_nop 1
	v_cndmask_b32_e64 v5, v6, 1, s[0:1]
	s_waitcnt lgkmcnt(2)
	v_cmp_eq_u16_e64 s[0:1], 0, v8
	ds_write_b8 v4, v5 offset:12
	s_nop 0
	v_cndmask_b32_e64 v6, 0, v2, s[0:1]
	v_add_u32_e32 v3, v6, v3
	v_and_b32_e32 v6, 1, v8
	v_cmp_eq_u32_e64 s[0:1], 1, v6
	s_nop 1
	v_cndmask_b32_e64 v5, v5, 1, s[0:1]
	s_waitcnt lgkmcnt(1)
	v_cmp_eq_u16_e64 s[0:1], 0, v10
	ds_write2_b32 v4, v2, v3 offset0:2 offset1:4
	ds_write_b8 v4, v5 offset:20
	v_cndmask_b32_e64 v2, 0, v3, s[0:1]
	v_and_b32_e32 v3, 1, v10
	v_add_u32_e32 v2, v2, v9
	v_cmp_eq_u32_e64 s[0:1], 1, v3
	s_nop 1
	v_cndmask_b32_e64 v3, v5, 1, s[0:1]
	ds_write_b32 v4, v2 offset:24
	ds_write_b8 v4, v3 offset:28
.LBB1014_101:
	s_or_b64 exec, exec, s[30:31]
	s_waitcnt lgkmcnt(0)
	s_barrier
	s_and_saveexec_b64 s[0:1], s[4:5]
	s_cbranch_execz .LBB1014_103
; %bb.102:
	v_add_u32_e32 v2, -1, v0
	v_lshrrev_b32_e32 v3, 5, v2
	v_add_lshl_u32 v2, v3, v2, 3
	ds_read_b32 v16, v2
	ds_read_u8 v17, v2 offset:4
.LBB1014_103:
	s_or_b64 exec, exec, s[0:1]
	s_and_saveexec_b64 s[36:37], vcc
	s_cbranch_execz .LBB1014_126
; %bb.104:
	v_mov_b32_e32 v5, 0
	ds_read_b64 v[2:3], v5 offset:2096
	v_mbcnt_lo_u32_b32 v4, -1, 0
	v_mbcnt_hi_u32_b32 v28, -1, v4
	s_mov_b32 s41, 0
	v_cmp_eq_u32_e64 s[30:31], 0, v28
	s_waitcnt lgkmcnt(0)
	v_readfirstlane_b32 s55, v3
	s_and_saveexec_b64 s[0:1], s[30:31]
	s_cbranch_execz .LBB1014_106
; %bb.105:
	s_add_i32 s40, s47, 64
	s_lshl_b64 s[48:49], s[40:41], 4
	s_add_u32 s48, s44, s48
	s_addc_u32 s49, s45, s49
	s_and_b32 s57, s55, 0xff000000
	s_mov_b32 s56, s41
	s_and_b32 s59, s55, 0xff0000
	s_mov_b32 s58, s41
	s_or_b64 s[56:57], s[58:59], s[56:57]
	s_and_b32 s59, s55, 0xff00
	s_or_b64 s[56:57], s[56:57], s[58:59]
	s_and_b32 s59, s55, 0xff
	s_or_b64 s[40:41], s[56:57], s[58:59]
	v_mov_b32_e32 v3, s41
	v_mov_b32_e32 v4, 1
	v_mov_b64_e32 v[6:7], s[48:49]
	;;#ASMSTART
	global_store_dwordx4 v[6:7], v[2:5] off sc1	
s_waitcnt vmcnt(0)
	;;#ASMEND
.LBB1014_106:
	s_or_b64 exec, exec, s[0:1]
	v_xad_u32 v10, v28, -1, s47
	v_add_u32_e32 v4, 64, v10
	v_lshl_add_u64 v[12:13], v[4:5], 4, s[44:45]
	;;#ASMSTART
	global_load_dwordx4 v[6:9], v[12:13] off sc1	
s_waitcnt vmcnt(0)
	;;#ASMEND
	s_nop 0
	v_and_b32_e32 v3, 0xff0000, v6
	v_and_b32_e32 v4, 0xff000000, v6
	;; [unrolled: 1-line block ×3, first 2 shown]
	v_or_b32_sdwa v3, v6, v3 dst_sel:DWORD dst_unused:UNUSED_PAD src0_sel:WORD_0 src1_sel:DWORD
	v_or3_b32 v7, 0, 0, v7
	v_or3_b32 v6, v3, v4, 0
	v_cmp_eq_u16_sdwa s[40:41], v8, v5 src0_sel:BYTE_0 src1_sel:DWORD
	s_and_saveexec_b64 s[0:1], s[40:41]
	s_cbranch_execz .LBB1014_112
; %bb.107:
	s_mov_b32 s48, 1
	s_mov_b64 s[40:41], 0
	v_mov_b32_e32 v3, 0
.LBB1014_108:                           ; =>This Loop Header: Depth=1
                                        ;     Child Loop BB1014_109 Depth 2
	s_max_u32 s49, s48, 1
.LBB1014_109:                           ;   Parent Loop BB1014_108 Depth=1
                                        ; =>  This Inner Loop Header: Depth=2
	s_add_i32 s49, s49, -1
	s_cmp_eq_u32 s49, 0
	s_sleep 1
	s_cbranch_scc0 .LBB1014_109
; %bb.110:                              ;   in Loop: Header=BB1014_108 Depth=1
	s_cmp_lt_u32 s48, 32
	s_cselect_b64 s[56:57], -1, 0
	s_cmp_lg_u64 s[56:57], 0
	s_addc_u32 s48, s48, 0
	;;#ASMSTART
	global_load_dwordx4 v[6:9], v[12:13] off sc1	
s_waitcnt vmcnt(0)
	;;#ASMEND
	s_nop 0
	v_cmp_ne_u16_sdwa s[56:57], v8, v3 src0_sel:BYTE_0 src1_sel:DWORD
	s_or_b64 s[40:41], s[56:57], s[40:41]
	s_andn2_b64 exec, exec, s[40:41]
	s_cbranch_execnz .LBB1014_108
; %bb.111:
	s_or_b64 exec, exec, s[40:41]
	v_and_b32_e32 v7, 0xff, v7
.LBB1014_112:
	s_or_b64 exec, exec, s[0:1]
	v_mov_b32_e32 v3, 2
	v_cmp_eq_u16_sdwa s[0:1], v8, v3 src0_sel:BYTE_0 src1_sel:DWORD
	v_lshlrev_b64 v[4:5], v28, -1
	v_and_b32_e32 v18, 63, v28
	v_and_b32_e32 v9, s1, v5
	v_or_b32_e32 v9, 0x80000000, v9
	v_and_b32_e32 v11, s0, v4
	v_ffbl_b32_e32 v9, v9
	v_add_u32_e32 v9, 32, v9
	v_ffbl_b32_e32 v11, v11
	v_cmp_ne_u32_e32 vcc, 63, v18
	v_min_u32_e32 v9, v11, v9
	s_mov_b32 s40, 0
	v_addc_co_u32_e32 v11, vcc, 0, v28, vcc
	v_lshlrev_b32_e32 v19, 2, v11
	ds_bpermute_b32 v11, v19, v7
	ds_bpermute_b32 v12, v19, v6
	v_and_b32_e32 v13, 1, v7
	s_mov_b32 s41, 1
	v_cmp_eq_u32_e32 vcc, 1, v13
	s_waitcnt lgkmcnt(1)
	v_and_b32_e32 v11, 1, v11
	v_cmp_lt_u32_e64 s[0:1], v18, v9
	v_cndmask_b32_e64 v11, v11, 1, vcc
	v_cmp_gt_u64_e32 vcc, s[40:41], v[6:7]
	s_and_b64 vcc, s[0:1], vcc
	v_and_b32_e32 v13, 0xffff, v11
	v_cndmask_b32_e64 v22, v7, v11, s[0:1]
	s_waitcnt lgkmcnt(0)
	v_cndmask_b32_e32 v11, 0, v12, vcc
	v_cmp_gt_u32_e32 vcc, 62, v18
	v_cndmask_b32_e64 v7, v7, v13, s[0:1]
	v_add_u32_e32 v6, v11, v6
	v_cndmask_b32_e64 v12, 0, 1, vcc
	v_lshlrev_b32_e32 v12, 1, v12
	v_add_lshl_u32 v20, v12, v28, 2
	ds_bpermute_b32 v12, v20, v7
	ds_bpermute_b32 v13, v20, v6
	v_and_b32_e32 v11, 1, v22
	v_cmp_eq_u32_e32 vcc, 1, v11
	v_mov_b32_e32 v11, 0
	s_waitcnt lgkmcnt(1)
	v_and_b32_e32 v12, 1, v12
	v_add_u32_e32 v21, 2, v18
	v_cndmask_b32_e64 v12, v12, 1, vcc
	v_cmp_eq_u16_sdwa vcc, v22, v11 src0_sel:BYTE_0 src1_sel:DWORD
	v_and_b32_e32 v23, 0xffff, v12
	v_add_u32_e32 v61, 32, v18
	s_waitcnt lgkmcnt(0)
	v_cndmask_b32_e32 v13, 0, v13, vcc
	v_cmp_gt_u32_e32 vcc, v21, v9
	s_nop 1
	v_cndmask_b32_e32 v12, v12, v22, vcc
	v_cndmask_b32_e64 v13, v13, 0, vcc
	v_cndmask_b32_e32 v7, v23, v7, vcc
	v_cmp_gt_u32_e32 vcc, 60, v18
	v_add_u32_e32 v6, v13, v6
	v_and_b32_e32 v26, 1, v12
	v_cndmask_b32_e64 v22, 0, 1, vcc
	v_lshlrev_b32_e32 v22, 2, v22
	v_add_lshl_u32 v22, v22, v28, 2
	ds_bpermute_b32 v25, v22, v7
	ds_bpermute_b32 v13, v22, v6
	v_cmp_eq_u32_e32 vcc, 1, v26
	v_add_u32_e32 v23, 4, v18
	s_waitcnt lgkmcnt(1)
	v_and_b32_e32 v25, 1, v25
	v_cndmask_b32_e64 v25, v25, 1, vcc
	v_cmp_eq_u16_sdwa vcc, v12, v11 src0_sel:BYTE_0 src1_sel:DWORD
	v_and_b32_e32 v26, 0xffff, v25
	s_waitcnt lgkmcnt(0)
	v_cndmask_b32_e32 v13, 0, v13, vcc
	v_cmp_gt_u32_e32 vcc, v23, v9
	s_nop 1
	v_cndmask_b32_e32 v12, v25, v12, vcc
	v_cndmask_b32_e64 v13, v13, 0, vcc
	v_cndmask_b32_e32 v7, v26, v7, vcc
	v_cmp_gt_u32_e32 vcc, 56, v18
	v_add_u32_e32 v6, v13, v6
	v_and_b32_e32 v29, 1, v12
	v_cndmask_b32_e64 v25, 0, 1, vcc
	v_lshlrev_b32_e32 v25, 3, v25
	v_add_lshl_u32 v25, v25, v28, 2
	ds_bpermute_b32 v27, v25, v7
	ds_bpermute_b32 v13, v25, v6
	v_cmp_eq_u32_e32 vcc, 1, v29
	v_add_u32_e32 v26, 8, v18
	s_waitcnt lgkmcnt(1)
	v_and_b32_e32 v27, 1, v27
	v_cndmask_b32_e64 v27, v27, 1, vcc
	v_cmp_eq_u16_sdwa vcc, v12, v11 src0_sel:BYTE_0 src1_sel:DWORD
	v_and_b32_e32 v29, 0xffff, v27
	;; [unrolled: 22-line block ×3, first 2 shown]
	s_waitcnt lgkmcnt(0)
	v_cndmask_b32_e32 v13, 0, v13, vcc
	v_cmp_gt_u32_e32 vcc, v29, v9
	s_nop 1
	v_cndmask_b32_e32 v12, v59, v12, vcc
	v_cndmask_b32_e64 v13, v13, 0, vcc
	v_cndmask_b32_e32 v7, v60, v7, vcc
	v_cmp_gt_u32_e32 vcc, 32, v18
	v_add_u32_e32 v6, v13, v6
	s_nop 0
	v_cndmask_b32_e64 v59, 0, 1, vcc
	v_lshlrev_b32_e32 v59, 5, v59
	v_add_lshl_u32 v60, v59, v28, 2
	ds_bpermute_b32 v7, v60, v7
	ds_bpermute_b32 v13, v60, v6
	v_and_b32_e32 v28, 1, v12
	v_cmp_eq_u32_e32 vcc, 1, v28
	s_waitcnt lgkmcnt(1)
	v_and_b32_e32 v7, 1, v7
	v_cndmask_b32_e64 v7, v7, 1, vcc
	v_cmp_eq_u16_sdwa vcc, v12, v11 src0_sel:BYTE_0 src1_sel:DWORD
	s_waitcnt lgkmcnt(0)
	s_nop 0
	v_cndmask_b32_e32 v13, 0, v13, vcc
	v_cmp_gt_u32_e32 vcc, v61, v9
	s_nop 1
	v_cndmask_b32_e64 v9, v13, 0, vcc
	v_cndmask_b32_e32 v7, v7, v12, vcc
	v_add_u32_e32 v6, v9, v6
	s_branch .LBB1014_114
.LBB1014_113:                           ;   in Loop: Header=BB1014_114 Depth=1
	s_or_b64 exec, exec, s[0:1]
	v_cmp_eq_u16_sdwa s[0:1], v8, v3 src0_sel:BYTE_0 src1_sel:DWORD
	ds_bpermute_b32 v13, v19, v7
	v_and_b32_e32 v62, 1, v7
	v_and_b32_e32 v9, s1, v5
	v_or_b32_e32 v9, 0x80000000, v9
	v_and_b32_e32 v12, s0, v4
	v_ffbl_b32_e32 v9, v9
	v_add_u32_e32 v9, 32, v9
	v_ffbl_b32_e32 v12, v12
	v_min_u32_e32 v9, v12, v9
	ds_bpermute_b32 v12, v19, v6
	s_waitcnt lgkmcnt(1)
	v_and_b32_e32 v13, 1, v13
	v_cmp_eq_u32_e32 vcc, 1, v62
	v_cmp_lt_u32_e64 s[0:1], v18, v9
	v_subrev_u32_e32 v10, 64, v10
	v_cndmask_b32_e64 v13, v13, 1, vcc
	v_cmp_gt_u64_e32 vcc, s[40:41], v[6:7]
	v_and_b32_e32 v62, 0xffff, v13
	v_cndmask_b32_e64 v13, v7, v13, s[0:1]
	v_cndmask_b32_e64 v7, v7, v62, s[0:1]
	s_and_b64 vcc, s[0:1], vcc
	ds_bpermute_b32 v62, v20, v7
	s_waitcnt lgkmcnt(1)
	v_cndmask_b32_e32 v12, 0, v12, vcc
	v_add_u32_e32 v6, v12, v6
	ds_bpermute_b32 v12, v20, v6
	v_and_b32_e32 v63, 1, v13
	s_waitcnt lgkmcnt(1)
	v_and_b32_e32 v62, 1, v62
	v_cmp_eq_u32_e32 vcc, 1, v63
	s_nop 1
	v_cndmask_b32_e64 v62, v62, 1, vcc
	v_cmp_eq_u16_sdwa vcc, v13, v11 src0_sel:BYTE_0 src1_sel:DWORD
	v_and_b32_e32 v63, 0xffff, v62
	s_waitcnt lgkmcnt(0)
	v_cndmask_b32_e32 v12, 0, v12, vcc
	v_cmp_gt_u32_e32 vcc, v21, v9
	s_nop 1
	v_cndmask_b32_e32 v7, v63, v7, vcc
	v_cndmask_b32_e32 v13, v62, v13, vcc
	ds_bpermute_b32 v62, v22, v7
	v_cndmask_b32_e64 v12, v12, 0, vcc
	v_add_u32_e32 v6, v12, v6
	ds_bpermute_b32 v12, v22, v6
	v_and_b32_e32 v63, 1, v13
	s_waitcnt lgkmcnt(1)
	v_and_b32_e32 v62, 1, v62
	v_cmp_eq_u32_e32 vcc, 1, v63
	s_nop 1
	v_cndmask_b32_e64 v62, v62, 1, vcc
	v_cmp_eq_u16_sdwa vcc, v13, v11 src0_sel:BYTE_0 src1_sel:DWORD
	v_and_b32_e32 v63, 0xffff, v62
	s_waitcnt lgkmcnt(0)
	v_cndmask_b32_e32 v12, 0, v12, vcc
	v_cmp_gt_u32_e32 vcc, v23, v9
	s_nop 1
	v_cndmask_b32_e32 v7, v63, v7, vcc
	v_cndmask_b32_e32 v13, v62, v13, vcc
	ds_bpermute_b32 v62, v25, v7
	v_cndmask_b32_e64 v12, v12, 0, vcc
	;; [unrolled: 18-line block ×3, first 2 shown]
	v_add_u32_e32 v6, v12, v6
	ds_bpermute_b32 v12, v27, v6
	v_and_b32_e32 v63, 1, v13
	s_waitcnt lgkmcnt(1)
	v_and_b32_e32 v62, 1, v62
	v_cmp_eq_u32_e32 vcc, 1, v63
	s_nop 1
	v_cndmask_b32_e64 v62, v62, 1, vcc
	v_cmp_eq_u16_sdwa vcc, v13, v11 src0_sel:BYTE_0 src1_sel:DWORD
	v_and_b32_e32 v63, 0xffff, v62
	s_waitcnt lgkmcnt(0)
	v_cndmask_b32_e32 v12, 0, v12, vcc
	v_cmp_gt_u32_e32 vcc, v29, v9
	s_nop 1
	v_cndmask_b32_e64 v12, v12, 0, vcc
	v_cndmask_b32_e32 v7, v63, v7, vcc
	ds_bpermute_b32 v7, v60, v7
	v_add_u32_e32 v6, v12, v6
	ds_bpermute_b32 v12, v60, v6
	v_cndmask_b32_e32 v13, v62, v13, vcc
	v_and_b32_e32 v62, 1, v13
	v_cmp_eq_u32_e32 vcc, 1, v62
	s_waitcnt lgkmcnt(1)
	s_nop 0
	v_cndmask_b32_e64 v7, v7, 1, vcc
	v_cmp_eq_u16_sdwa vcc, v13, v11 src0_sel:BYTE_0 src1_sel:DWORD
	s_waitcnt lgkmcnt(0)
	s_nop 0
	v_cndmask_b32_e32 v12, 0, v12, vcc
	v_cmp_gt_u32_e32 vcc, v61, v9
	s_nop 1
	v_cndmask_b32_e64 v9, v12, 0, vcc
	v_cndmask_b32_e32 v7, v7, v13, vcc
	v_add_u32_e32 v6, v9, v6
	v_cmp_eq_u16_sdwa vcc, v28, v11 src0_sel:BYTE_0 src1_sel:DWORD
	v_and_b32_e32 v9, 1, v28
	v_and_b32_e32 v7, 1, v7
	v_cndmask_b32_e32 v6, 0, v6, vcc
	v_cmp_eq_u32_e32 vcc, 1, v9
	v_add_u32_e32 v6, v6, v59
	s_nop 0
	v_cndmask_b32_e64 v7, v7, 1, vcc
.LBB1014_114:                           ; =>This Loop Header: Depth=1
                                        ;     Child Loop BB1014_117 Depth 2
                                        ;       Child Loop BB1014_118 Depth 3
	v_cmp_ne_u16_sdwa s[0:1], v8, v3 src0_sel:BYTE_0 src1_sel:DWORD
	v_mov_b32_e32 v28, v7
	v_mov_b32_e32 v59, v6
	v_cndmask_b32_e64 v7, 0, 1, s[0:1]
	;;#ASMSTART
	;;#ASMEND
	s_nop 0
	v_cmp_ne_u32_e32 vcc, 0, v7
	s_cmp_lg_u64 vcc, exec
	s_cbranch_scc1 .LBB1014_121
; %bb.115:                              ;   in Loop: Header=BB1014_114 Depth=1
	v_lshl_add_u64 v[12:13], v[10:11], 4, s[44:45]
	;;#ASMSTART
	global_load_dwordx4 v[6:9], v[12:13] off sc1	
s_waitcnt vmcnt(0)
	;;#ASMEND
	s_nop 0
	v_and_b32_e32 v9, 0xff0000, v6
	v_and_b32_e32 v62, 0xff000000, v6
	;; [unrolled: 1-line block ×3, first 2 shown]
	v_or_b32_sdwa v6, v6, v9 dst_sel:DWORD dst_unused:UNUSED_PAD src0_sel:WORD_0 src1_sel:DWORD
	v_or3_b32 v7, 0, 0, v7
	v_or3_b32 v6, v6, v62, 0
	v_cmp_eq_u16_sdwa s[48:49], v8, v11 src0_sel:BYTE_0 src1_sel:DWORD
	s_and_saveexec_b64 s[0:1], s[48:49]
	s_cbranch_execz .LBB1014_113
; %bb.116:                              ;   in Loop: Header=BB1014_114 Depth=1
	s_mov_b32 s56, 1
	s_mov_b64 s[48:49], 0
.LBB1014_117:                           ;   Parent Loop BB1014_114 Depth=1
                                        ; =>  This Loop Header: Depth=2
                                        ;       Child Loop BB1014_118 Depth 3
	s_max_u32 s57, s56, 1
.LBB1014_118:                           ;   Parent Loop BB1014_114 Depth=1
                                        ;     Parent Loop BB1014_117 Depth=2
                                        ; =>    This Inner Loop Header: Depth=3
	s_add_i32 s57, s57, -1
	s_cmp_eq_u32 s57, 0
	s_sleep 1
	s_cbranch_scc0 .LBB1014_118
; %bb.119:                              ;   in Loop: Header=BB1014_117 Depth=2
	s_cmp_lt_u32 s56, 32
	s_cselect_b64 s[58:59], -1, 0
	s_cmp_lg_u64 s[58:59], 0
	s_addc_u32 s56, s56, 0
	;;#ASMSTART
	global_load_dwordx4 v[6:9], v[12:13] off sc1	
s_waitcnt vmcnt(0)
	;;#ASMEND
	s_nop 0
	v_cmp_ne_u16_sdwa s[58:59], v8, v11 src0_sel:BYTE_0 src1_sel:DWORD
	s_or_b64 s[48:49], s[58:59], s[48:49]
	s_andn2_b64 exec, exec, s[48:49]
	s_cbranch_execnz .LBB1014_117
; %bb.120:                              ;   in Loop: Header=BB1014_114 Depth=1
	s_or_b64 exec, exec, s[48:49]
	v_and_b32_e32 v7, 0xff, v7
	s_branch .LBB1014_113
.LBB1014_121:                           ;   in Loop: Header=BB1014_114 Depth=1
                                        ; implicit-def: $vgpr7
                                        ; implicit-def: $vgpr6
                                        ; implicit-def: $vgpr8
	s_cbranch_execz .LBB1014_114
; %bb.122:
	s_and_saveexec_b64 s[0:1], s[30:31]
	s_cbranch_execz .LBB1014_124
; %bb.123:
	s_and_b32 s30, s55, 0xff
	s_cmp_eq_u32 s30, 0
	s_cselect_b64 vcc, -1, 0
	s_bitcmp1_b32 s55, 0
	s_mov_b32 s31, 0
	s_cselect_b64 s[40:41], -1, 0
	s_add_i32 s30, s47, 64
	s_lshl_b64 s[30:31], s[30:31], 4
	v_cndmask_b32_e32 v3, 0, v59, vcc
	s_add_u32 s30, s44, s30
	v_add_u32_e32 v2, v3, v2
	v_and_b32_e32 v3, 1, v28
	s_addc_u32 s31, s45, s31
	v_mov_b32_e32 v5, 0
	v_cndmask_b32_e64 v3, v3, 1, s[40:41]
	v_mov_b32_e32 v4, 2
	v_mov_b64_e32 v[6:7], s[30:31]
	;;#ASMSTART
	global_store_dwordx4 v[6:7], v[2:5] off sc1	
s_waitcnt vmcnt(0)
	;;#ASMEND
.LBB1014_124:
	s_or_b64 exec, exec, s[0:1]
	s_and_b64 exec, exec, s[34:35]
	s_cbranch_execz .LBB1014_126
; %bb.125:
	v_mov_b32_e32 v2, 0
	ds_write_b32 v2, v59
	ds_write_b8 v2, v28 offset:4
.LBB1014_126:
	s_or_b64 exec, exec, s[36:37]
	v_mov_b32_e32 v4, 0
	s_waitcnt lgkmcnt(0)
	s_barrier
	ds_read_b32 v2, v4
	v_cmp_eq_u16_sdwa vcc, v17, v4 src0_sel:BYTE_0 src1_sel:DWORD
	v_and_b32_e32 v5, 0xff, v33
	s_waitcnt lgkmcnt(0)
	v_cndmask_b32_e32 v3, 0, v2, vcc
	v_add_u32_e32 v3, v3, v16
	v_cndmask_b32_e64 v2, v3, v2, s[34:35]
	v_cmp_eq_u64_e32 vcc, 0, v[4:5]
	s_nop 1
	v_cndmask_b32_e32 v3, 0, v2, vcc
	v_add_u32_e32 v3, v3, v32
	v_cndmask_b32_e64 v4, 0, v3, s[6:7]
	v_add_u32_e32 v16, v4, v34
	v_cndmask_b32_e64 v4, 0, v16, s[8:9]
	;; [unrolled: 2-line block ×12, first 2 shown]
	v_add_u32_e32 v23, v4, v56
	s_branch .LBB1014_159
.LBB1014_127:
	s_or_b64 exec, exec, s[0:1]
                                        ; implicit-def: $vgpr33
	s_and_saveexec_b64 s[0:1], s[6:7]
	s_cbranch_execz .LBB1014_37
.LBB1014_128:
	v_mov_b32_e32 v33, 0
	v_lshl_add_u64 v[32:33], v[60:61], 0, v[32:33]
	flat_load_dword v33, v[32:33] offset:2048
	s_or_b64 exec, exec, s[0:1]
                                        ; implicit-def: $vgpr32
	s_and_saveexec_b64 s[0:1], s[8:9]
	s_cbranch_execnz .LBB1014_38
.LBB1014_129:
	s_or_b64 exec, exec, s[0:1]
                                        ; implicit-def: $vgpr47
	s_and_saveexec_b64 s[0:1], s[10:11]
	s_cbranch_execz .LBB1014_39
.LBB1014_130:
	v_lshlrev_b32_e32 v48, 3, v34
	v_mov_b32_e32 v49, 0
	v_lshl_add_u64 v[48:49], v[60:61], 0, v[48:49]
	flat_load_dword v47, v[48:49]
	s_or_b64 exec, exec, s[0:1]
                                        ; implicit-def: $vgpr34
	s_and_saveexec_b64 s[0:1], s[12:13]
	s_cbranch_execnz .LBB1014_40
.LBB1014_131:
	s_or_b64 exec, exec, s[0:1]
                                        ; implicit-def: $vgpr35
	s_and_saveexec_b64 s[0:1], s[14:15]
	s_cbranch_execz .LBB1014_41
.LBB1014_132:
	v_lshlrev_b32_e32 v48, 3, v36
	v_mov_b32_e32 v49, 0
	v_lshl_add_u64 v[48:49], v[60:61], 0, v[48:49]
	flat_load_dword v35, v[48:49]
	s_or_b64 exec, exec, s[0:1]
                                        ; implicit-def: $vgpr36
	s_and_saveexec_b64 s[0:1], s[16:17]
	s_cbranch_execnz .LBB1014_42
.LBB1014_133:
	s_or_b64 exec, exec, s[0:1]
                                        ; implicit-def: $vgpr37
	s_and_saveexec_b64 s[0:1], s[18:19]
	s_cbranch_execz .LBB1014_43
.LBB1014_134:
	v_lshlrev_b32_e32 v48, 3, v38
	v_mov_b32_e32 v49, 0
	v_lshl_add_u64 v[48:49], v[60:61], 0, v[48:49]
	flat_load_dword v37, v[48:49]
	s_or_b64 exec, exec, s[0:1]
                                        ; implicit-def: $vgpr38
	s_and_saveexec_b64 s[0:1], s[20:21]
	s_cbranch_execnz .LBB1014_44
.LBB1014_135:
	s_or_b64 exec, exec, s[0:1]
                                        ; implicit-def: $vgpr39
	s_and_saveexec_b64 s[0:1], s[22:23]
	s_cbranch_execz .LBB1014_45
.LBB1014_136:
	v_lshlrev_b32_e32 v48, 3, v40
	v_mov_b32_e32 v49, 0
	v_lshl_add_u64 v[48:49], v[60:61], 0, v[48:49]
	flat_load_dword v39, v[48:49]
	s_or_b64 exec, exec, s[0:1]
                                        ; implicit-def: $vgpr40
	s_and_saveexec_b64 s[0:1], s[24:25]
	s_cbranch_execnz .LBB1014_46
.LBB1014_137:
	s_or_b64 exec, exec, s[0:1]
                                        ; implicit-def: $vgpr41
	s_and_saveexec_b64 s[0:1], s[26:27]
	s_cbranch_execz .LBB1014_47
.LBB1014_138:
	v_lshlrev_b32_e32 v48, 3, v42
	v_mov_b32_e32 v49, 0
	v_lshl_add_u64 v[48:49], v[60:61], 0, v[48:49]
	flat_load_dword v41, v[48:49]
	s_or_b64 exec, exec, s[0:1]
                                        ; implicit-def: $vgpr42
	s_and_saveexec_b64 s[0:1], s[28:29]
	s_cbranch_execz .LBB1014_49
	s_branch .LBB1014_48
.LBB1014_139:
                                        ; implicit-def: $vgpr23
                                        ; implicit-def: $vgpr21
                                        ; implicit-def: $vgpr19
                                        ; implicit-def: $vgpr17
                                        ; implicit-def: $vgpr10_vgpr11_vgpr12_vgpr13
                                        ; implicit-def: $vgpr6_vgpr7_vgpr8_vgpr9
                                        ; implicit-def: $vgpr2_vgpr3_vgpr4_vgpr5
	s_cbranch_execz .LBB1014_159
; %bb.140:
	s_cmp_lg_u64 s[52:53], 0
	s_cselect_b32 s7, s51, 0
	s_cselect_b32 s6, s50, 0
	s_mov_b32 s0, 0
	s_cmp_eq_u64 s[6:7], 0
	v_mov_b32_e32 v8, s54
	s_cbranch_scc1 .LBB1014_142
; %bb.141:
	v_mov_b32_e32 v2, 0
	global_load_dword v8, v2, s[6:7]
.LBB1014_142:
	s_mov_b32 s1, 1
	v_cmp_gt_u64_e32 vcc, s[0:1], v[34:35]
	v_cmp_gt_u64_e64 s[6:7], s[0:1], v[36:37]
	v_cmp_gt_u64_e64 s[8:9], s[0:1], v[38:39]
	v_cndmask_b32_e32 v2, 0, v32, vcc
	v_add_u32_e32 v2, v2, v34
	v_cndmask_b32_e64 v2, 0, v2, s[6:7]
	v_add_u32_e32 v2, v2, v36
	v_cndmask_b32_e64 v2, 0, v2, s[8:9]
	v_add_u32_e32 v2, v2, v38
	v_cmp_gt_u64_e64 s[10:11], s[0:1], v[40:41]
	v_cmp_gt_u64_e64 s[12:13], s[0:1], v[42:43]
	v_cmp_gt_u64_e64 s[14:15], s[0:1], v[44:45]
	v_cndmask_b32_e64 v2, 0, v2, s[10:11]
	v_add_u32_e32 v2, v2, v40
	v_cndmask_b32_e64 v2, 0, v2, s[12:13]
	v_add_u32_e32 v2, v2, v42
	v_cndmask_b32_e64 v2, 0, v2, s[14:15]
	v_add_u32_e32 v2, v2, v44
	v_cmp_gt_u64_e64 s[16:17], s[0:1], v[46:47]
	v_cmp_gt_u64_e64 s[18:19], s[0:1], v[48:49]
	v_cmp_gt_u64_e64 s[20:21], s[0:1], v[50:51]
	v_cndmask_b32_e64 v2, 0, v2, s[16:17]
	;; [unrolled: 9-line block ×3, first 2 shown]
	v_add_u32_e32 v2, v2, v52
	v_cndmask_b32_e64 v2, 0, v2, s[24:25]
	v_add_u32_e32 v2, v2, v54
	v_cndmask_b32_e64 v2, 0, v2, s[26:27]
	v_add_u32_e32 v2, v2, v56
	v_cmp_gt_u64_e64 s[0:1], s[0:1], v[14:15]
	v_add_lshl_u32 v1, v1, v0, 3
	s_nop 0
	v_cndmask_b32_e64 v2, 0, v2, s[0:1]
	v_add_u32_e32 v4, v2, v14
	v_or3_b32 v2, v24, v53, v51
	v_or3_b32 v2, v2, v49, v47
	;; [unrolled: 1-line block ×5, first 2 shown]
	v_and_b32_e32 v2, 1, v2
	v_cmp_eq_u32_e64 s[0:1], 1, v2
	s_nop 1
	v_cndmask_b32_e64 v5, v33, 1, s[0:1]
	v_cmp_gt_u32_e64 s[0:1], 64, v0
	ds_write_b32 v1, v4
	ds_write_b8 v1, v5 offset:4
	s_waitcnt lgkmcnt(0)
	s_barrier
	s_and_saveexec_b64 s[28:29], s[0:1]
	s_cbranch_execz .LBB1014_154
; %bb.143:
	v_lshlrev_b32_e32 v1, 2, v0
	v_lshrrev_b32_e32 v2, 3, v0
	v_add_lshl_u32 v1, v2, v1, 3
	ds_read2_b32 v[10:11], v1 offset0:2 offset1:4
	ds_read_b64 v[2:3], v1
	ds_read_u8 v7, v1 offset:12
	ds_read_u8 v12, v1 offset:20
	ds_read_b32 v9, v1 offset:24
	ds_read_u8 v13, v1 offset:28
	v_mov_b32_e32 v14, 0
	s_waitcnt lgkmcnt(3)
	v_cmp_eq_u16_sdwa s[0:1], v7, v14 src0_sel:BYTE_0 src1_sel:DWORD
	v_and_b32_e32 v6, 1, v3
	s_nop 0
	v_cndmask_b32_e64 v15, 0, v2, s[0:1]
	v_add_u32_e32 v10, v15, v10
	s_waitcnt lgkmcnt(2)
	v_cmp_eq_u16_sdwa s[0:1], v12, v14 src0_sel:BYTE_0 src1_sel:DWORD
	s_nop 1
	v_cndmask_b32_e64 v10, 0, v10, s[0:1]
	v_add_u32_e32 v10, v10, v11
	s_waitcnt lgkmcnt(0)
	v_cmp_eq_u16_e64 s[0:1], 0, v13
	s_nop 1
	v_cndmask_b32_e64 v10, 0, v10, s[0:1]
	v_add_u32_e32 v9, v10, v9
	v_or_b32_e32 v10, v13, v12
	v_or_b32_e32 v7, v10, v7
	v_and_b32_e32 v7, 1, v7
	v_cmp_eq_u32_e64 s[0:1], 1, v7
	v_mbcnt_lo_u32_b32 v10, -1, 0
	v_and_b32_e32 v7, 0xffffff00, v3
	v_cndmask_b32_e64 v11, v6, 1, s[0:1]
	v_mbcnt_hi_u32_b32 v10, -1, v10
	v_and_b32_e32 v13, 15, v10
	v_or_b32_sdwa v12, v7, v11 dst_sel:DWORD dst_unused:UNUSED_PAD src0_sel:DWORD src1_sel:WORD_0
	v_mov_b32_dpp v14, v9 row_shr:1 row_mask:0xf bank_mask:0xf
	v_cmp_ne_u32_e64 s[0:1], 0, v13
	v_mov_b32_dpp v15, v12 row_shr:1 row_mask:0xf bank_mask:0xf
	s_and_saveexec_b64 s[30:31], s[0:1]
; %bb.144:
	v_and_b32_e32 v12, 1, v11
	v_and_b32_e32 v15, 1, v15
	v_cmp_eq_u32_e64 s[0:1], 1, v12
	s_nop 1
	v_cndmask_b32_e64 v15, v15, 1, s[0:1]
	v_cmp_eq_u16_e64 s[0:1], 0, v11
	v_or_b32_sdwa v12, v7, v15 dst_sel:DWORD dst_unused:UNUSED_PAD src0_sel:DWORD src1_sel:WORD_0
	s_nop 0
	v_cndmask_b32_e64 v11, 0, v14, s[0:1]
	v_add_u32_e32 v9, v11, v9
	v_mov_b32_e32 v11, v15
; %bb.145:
	s_or_b64 exec, exec, s[30:31]
	v_mov_b32_dpp v14, v9 row_shr:2 row_mask:0xf bank_mask:0xf
	v_mov_b32_dpp v15, v12 row_shr:2 row_mask:0xf bank_mask:0xf
	v_cmp_lt_u32_e64 s[0:1], 1, v13
	s_and_saveexec_b64 s[30:31], s[0:1]
; %bb.146:
	v_and_b32_e32 v12, 1, v11
	v_and_b32_e32 v15, 1, v15
	v_cmp_eq_u32_e64 s[0:1], 1, v12
	s_nop 1
	v_cndmask_b32_e64 v15, v15, 1, s[0:1]
	v_cmp_eq_u16_e64 s[0:1], 0, v11
	v_or_b32_sdwa v12, v7, v15 dst_sel:DWORD dst_unused:UNUSED_PAD src0_sel:DWORD src1_sel:WORD_0
	s_nop 0
	v_cndmask_b32_e64 v11, 0, v14, s[0:1]
	v_add_u32_e32 v9, v11, v9
	v_mov_b32_e32 v11, v15
; %bb.147:
	s_or_b64 exec, exec, s[30:31]
	v_mov_b32_dpp v14, v9 row_shr:4 row_mask:0xf bank_mask:0xf
	v_mov_b32_dpp v15, v12 row_shr:4 row_mask:0xf bank_mask:0xf
	v_cmp_lt_u32_e64 s[0:1], 3, v13
	;; [unrolled: 18-line block ×3, first 2 shown]
	s_and_saveexec_b64 s[30:31], s[0:1]
; %bb.150:
	v_and_b32_e32 v12, 1, v11
	v_and_b32_e32 v13, 1, v15
	v_cmp_eq_u32_e64 s[0:1], 1, v12
	s_nop 1
	v_cndmask_b32_e64 v13, v13, 1, s[0:1]
	v_cmp_eq_u16_e64 s[0:1], 0, v11
	v_or_b32_sdwa v12, v7, v13 dst_sel:DWORD dst_unused:UNUSED_PAD src0_sel:DWORD src1_sel:WORD_0
	s_nop 0
	v_cndmask_b32_e64 v11, 0, v14, s[0:1]
	v_add_u32_e32 v9, v11, v9
	v_mov_b32_e32 v11, v13
; %bb.151:
	s_or_b64 exec, exec, s[30:31]
	v_and_b32_e32 v15, 16, v10
	v_mov_b32_dpp v13, v9 row_bcast:15 row_mask:0xf bank_mask:0xf
	v_mov_b32_dpp v14, v12 row_bcast:15 row_mask:0xf bank_mask:0xf
	v_cmp_ne_u32_e64 s[0:1], 0, v15
	s_and_saveexec_b64 s[30:31], s[0:1]
; %bb.152:
	v_and_b32_e32 v12, 1, v11
	v_and_b32_e32 v14, 1, v14
	v_cmp_eq_u32_e64 s[0:1], 1, v12
	s_nop 1
	v_cndmask_b32_e64 v14, v14, 1, s[0:1]
	v_cmp_eq_u16_e64 s[0:1], 0, v11
	v_or_b32_sdwa v12, v7, v14 dst_sel:DWORD dst_unused:UNUSED_PAD src0_sel:DWORD src1_sel:WORD_0
	s_nop 0
	v_cndmask_b32_e64 v11, 0, v13, s[0:1]
	v_add_u32_e32 v9, v11, v9
	v_mov_b32_e32 v11, v14
; %bb.153:
	s_or_b64 exec, exec, s[30:31]
	v_mov_b32_dpp v12, v12 row_bcast:31 row_mask:0xf bank_mask:0xf
	v_and_b32_e32 v14, 1, v11
	v_and_b32_e32 v12, 1, v12
	v_cmp_eq_u32_e64 s[0:1], 1, v14
	v_mov_b32_e32 v14, 0
	v_cmp_eq_u16_sdwa s[30:31], v11, v14 src0_sel:BYTE_0 src1_sel:DWORD
	v_cndmask_b32_e64 v12, v12, 1, s[0:1]
	v_cmp_lt_u32_e64 s[0:1], 31, v10
	v_mov_b32_dpp v13, v9 row_bcast:31 row_mask:0xf bank_mask:0xf
	s_movk_i32 s36, 0xff
	v_cndmask_b32_e64 v11, v11, v12, s[0:1]
	s_and_b64 s[0:1], s[0:1], s[30:31]
	v_cndmask_b32_e64 v12, 0, v13, s[0:1]
	v_add_u32_e32 v9, v12, v9
	v_add_u32_e32 v12, -1, v10
	v_and_b32_e32 v13, 64, v10
	v_cmp_lt_i32_e64 s[0:1], v12, v13
	v_and_or_b32 v7, v11, s36, v7
	s_nop 0
	v_cndmask_b32_e64 v10, v12, v10, s[0:1]
	v_lshlrev_b32_e32 v10, 2, v10
	ds_bpermute_b32 v9, v10, v9
	ds_bpermute_b32 v7, v10, v7
	v_cmp_eq_u16_sdwa s[0:1], v3, v14 src0_sel:BYTE_0 src1_sel:DWORD
	; wave barrier
	s_waitcnt lgkmcnt(1)
	s_nop 0
	v_cndmask_b32_e64 v3, 0, v9, s[0:1]
	v_add_u32_e32 v2, v3, v2
	s_waitcnt lgkmcnt(0)
	v_and_b32_e32 v3, 1, v7
	v_cmp_eq_u32_e64 s[0:1], 1, v6
	v_cndmask_b32_e64 v4, v2, v4, s[34:35]
	s_nop 0
	v_cndmask_b32_e64 v3, v3, 1, s[0:1]
	v_cndmask_b32_e64 v5, v3, v5, s[34:35]
	ds_write_b32 v1, v4
	ds_write_b8 v1, v5 offset:4
	; wave barrier
	ds_read_u8 v6, v1 offset:12
	ds_read2_b32 v[2:3], v1 offset0:2 offset1:4
	ds_read_u8 v7, v1 offset:20
	ds_read_b32 v9, v1 offset:24
	ds_read_u8 v10, v1 offset:28
	s_waitcnt lgkmcnt(4)
	v_cmp_eq_u16_e64 s[0:1], 0, v6
	s_nop 1
	v_cndmask_b32_e64 v4, 0, v4, s[0:1]
	s_waitcnt lgkmcnt(3)
	v_add_u32_e32 v2, v4, v2
	v_and_b32_e32 v4, 1, v6
	v_cmp_eq_u32_e64 s[0:1], 1, v4
	s_nop 1
	v_cndmask_b32_e64 v4, v5, 1, s[0:1]
	s_waitcnt lgkmcnt(2)
	v_cmp_eq_u16_e64 s[0:1], 0, v7
	ds_write_b8 v1, v4 offset:12
	s_nop 0
	v_cndmask_b32_e64 v5, 0, v2, s[0:1]
	v_add_u32_e32 v3, v5, v3
	v_and_b32_e32 v5, 1, v7
	v_cmp_eq_u32_e64 s[0:1], 1, v5
	s_nop 1
	v_cndmask_b32_e64 v4, v4, 1, s[0:1]
	s_waitcnt lgkmcnt(1)
	v_cmp_eq_u16_e64 s[0:1], 0, v10
	ds_write2_b32 v1, v2, v3 offset0:2 offset1:4
	ds_write_b8 v1, v4 offset:20
	v_cndmask_b32_e64 v2, 0, v3, s[0:1]
	v_and_b32_e32 v3, 1, v10
	v_add_u32_e32 v2, v2, v9
	v_cmp_eq_u32_e64 s[0:1], 1, v3
	s_nop 1
	v_cndmask_b32_e64 v3, v4, 1, s[0:1]
	ds_write_b32 v1, v2 offset:24
	ds_write_b8 v1, v3 offset:28
.LBB1014_154:
	s_or_b64 exec, exec, s[28:29]
	s_waitcnt vmcnt(0)
	v_mov_b32_e32 v2, v8
	s_waitcnt lgkmcnt(0)
	s_barrier
	s_and_saveexec_b64 s[28:29], s[4:5]
	s_cbranch_execz .LBB1014_156
; %bb.155:
	v_add_u32_e32 v1, -1, v0
	v_lshrrev_b32_e32 v2, 5, v1
	v_add_lshl_u32 v1, v2, v1, 3
	ds_read_u8 v2, v1 offset:4
	ds_read_b32 v1, v1
	s_waitcnt lgkmcnt(1)
	v_cmp_eq_u16_e64 s[0:1], 0, v2
	s_nop 1
	v_cndmask_b32_e64 v2, 0, v8, s[0:1]
	s_waitcnt lgkmcnt(0)
	v_add_u32_e32 v2, v2, v1
.LBB1014_156:
	s_or_b64 exec, exec, s[28:29]
	v_and_b32_e32 v5, 0xff, v33
	v_mov_b32_e32 v4, 0
	v_cmp_eq_u64_e64 s[0:1], 0, v[4:5]
	s_nop 1
	v_cndmask_b32_e64 v1, 0, v2, s[0:1]
	v_add_u32_e32 v3, v1, v32
	v_cndmask_b32_e32 v1, 0, v3, vcc
	v_add_u32_e32 v16, v1, v34
	v_cndmask_b32_e64 v1, 0, v16, s[6:7]
	v_add_u32_e32 v17, v1, v36
	v_cndmask_b32_e64 v1, 0, v17, s[8:9]
	;; [unrolled: 2-line block ×11, first 2 shown]
	s_and_saveexec_b64 s[0:1], s[34:35]
	s_cbranch_execz .LBB1014_158
; %bb.157:
	ds_read_u8 v5, v4 offset:2100
	ds_read_b32 v9, v4 offset:2096
	s_add_u32 s4, s44, 0x400
	s_addc_u32 s5, s45, 0
	v_mov_b32_e32 v14, 2
	s_waitcnt lgkmcnt(1)
	v_cmp_eq_u16_e32 vcc, 0, v5
	v_and_b32_e32 v13, 0xffff, v5
	v_mov_b32_e32 v15, v4
	v_cndmask_b32_e32 v8, 0, v8, vcc
	s_waitcnt lgkmcnt(0)
	v_add_u32_e32 v12, v8, v9
	v_mov_b64_e32 v[4:5], s[4:5]
	;;#ASMSTART
	global_store_dwordx4 v[4:5], v[12:15] off sc1	
s_waitcnt vmcnt(0)
	;;#ASMEND
.LBB1014_158:
	s_or_b64 exec, exec, s[0:1]
	v_add_u32_e32 v23, v1, v56
.LBB1014_159:
	s_add_u32 s0, s42, s38
	s_addc_u32 s1, s43, s39
	v_mul_u32_u24_e32 v1, 14, v0
	v_lshl_add_u64 v[4:5], s[0:1], 0, v[30:31]
	s_and_b64 vcc, exec, s[2:3]
	v_lshlrev_b32_e32 v8, 2, v1
	s_cbranch_vccz .LBB1014_187
; %bb.160:
	s_movk_i32 s0, 0xffcc
	v_mad_i32_i24 v1, v0, s0, v8
	s_barrier
	ds_write2_b64 v8, v[2:3], v[16:17] offset1:1
	ds_write2_b64 v8, v[6:7], v[18:19] offset0:2 offset1:3
	ds_write2_b64 v8, v[10:11], v[20:21] offset0:4 offset1:5
	ds_write_b64 v8, v[22:23] offset:48
	s_waitcnt lgkmcnt(0)
	s_barrier
	ds_read2st64_b32 v[32:33], v1 offset0:4 offset1:8
	ds_read2st64_b32 v[30:31], v1 offset0:12 offset1:16
	;; [unrolled: 1-line block ×6, first 2 shown]
	ds_read_b32 v9, v1 offset:13312
	s_add_i32 s33, s33, s46
	v_mov_b32_e32 v59, 0
	v_lshl_add_u64 v[14:15], v[4:5], 0, v[58:59]
	v_cmp_gt_u32_e32 vcc, s33, v0
	s_and_saveexec_b64 s[0:1], vcc
	s_cbranch_execz .LBB1014_162
; %bb.161:
	v_mul_i32_i24_e32 v1, 0xffffffcc, v0
	v_add_u32_e32 v1, v8, v1
	ds_read_b32 v34, v1
	s_waitcnt lgkmcnt(0)
	v_ashrrev_i32_e32 v35, 31, v34
	flat_store_dwordx2 v[14:15], v[34:35]
.LBB1014_162:
	s_or_b64 exec, exec, s[0:1]
	v_or_b32_e32 v1, 0x100, v0
	v_cmp_gt_u32_e32 vcc, s33, v1
	s_and_saveexec_b64 s[0:1], vcc
	s_cbranch_execz .LBB1014_164
; %bb.163:
	s_waitcnt lgkmcnt(0)
	v_ashrrev_i32_e32 v35, 31, v32
	v_mov_b32_e32 v34, v32
	flat_store_dwordx2 v[14:15], v[34:35] offset:2048
.LBB1014_164:
	s_or_b64 exec, exec, s[0:1]
	v_or_b32_e32 v1, 0x200, v0
	v_cmp_gt_u32_e32 vcc, s33, v1
	s_and_saveexec_b64 s[0:1], vcc
	s_cbranch_execz .LBB1014_166
; %bb.165:
	s_waitcnt lgkmcnt(0)
	v_add_co_u32_e32 v32, vcc, 0x1000, v14
	v_ashrrev_i32_e32 v35, 31, v33
	v_mov_b32_e32 v34, v33
	v_addc_co_u32_e32 v33, vcc, 0, v15, vcc
	flat_store_dwordx2 v[32:33], v[34:35]
.LBB1014_166:
	s_or_b64 exec, exec, s[0:1]
	v_or_b32_e32 v1, 0x300, v0
	v_cmp_gt_u32_e32 vcc, s33, v1
	s_and_saveexec_b64 s[0:1], vcc
	s_cbranch_execz .LBB1014_168
; %bb.167:
	v_add_co_u32_e32 v34, vcc, 0x1000, v14
	s_waitcnt lgkmcnt(0)
	v_ashrrev_i32_e32 v33, 31, v30
	v_mov_b32_e32 v32, v30
	v_addc_co_u32_e32 v35, vcc, 0, v15, vcc
	flat_store_dwordx2 v[34:35], v[32:33] offset:2048
.LBB1014_168:
	s_or_b64 exec, exec, s[0:1]
	v_or_b32_e32 v1, 0x400, v0
	v_cmp_gt_u32_e32 vcc, s33, v1
	s_and_saveexec_b64 s[0:1], vcc
	s_cbranch_execz .LBB1014_170
; %bb.169:
	s_waitcnt lgkmcnt(0)
	v_add_co_u32_e32 v30, vcc, 0x2000, v14
	v_ashrrev_i32_e32 v33, 31, v31
	v_mov_b32_e32 v32, v31
	v_addc_co_u32_e32 v31, vcc, 0, v15, vcc
	flat_store_dwordx2 v[30:31], v[32:33]
.LBB1014_170:
	s_or_b64 exec, exec, s[0:1]
	v_or_b32_e32 v1, 0x500, v0
	v_cmp_gt_u32_e32 vcc, s33, v1
	s_and_saveexec_b64 s[0:1], vcc
	s_cbranch_execz .LBB1014_172
; %bb.171:
	s_waitcnt lgkmcnt(0)
	v_add_co_u32_e32 v32, vcc, 0x2000, v14
	v_ashrrev_i32_e32 v31, 31, v28
	v_mov_b32_e32 v30, v28
	v_addc_co_u32_e32 v33, vcc, 0, v15, vcc
	flat_store_dwordx2 v[32:33], v[30:31] offset:2048
.LBB1014_172:
	s_or_b64 exec, exec, s[0:1]
	v_or_b32_e32 v1, 0x600, v0
	v_cmp_gt_u32_e32 vcc, s33, v1
	s_and_saveexec_b64 s[0:1], vcc
	s_cbranch_execz .LBB1014_174
; %bb.173:
	s_waitcnt lgkmcnt(0)
	v_add_co_u32_e32 v28, vcc, 0x3000, v14
	v_ashrrev_i32_e32 v31, 31, v29
	v_mov_b32_e32 v30, v29
	v_addc_co_u32_e32 v29, vcc, 0, v15, vcc
	flat_store_dwordx2 v[28:29], v[30:31]
.LBB1014_174:
	s_or_b64 exec, exec, s[0:1]
	v_or_b32_e32 v1, 0x700, v0
	v_cmp_gt_u32_e32 vcc, s33, v1
	s_and_saveexec_b64 s[0:1], vcc
	s_cbranch_execz .LBB1014_176
; %bb.175:
	s_waitcnt lgkmcnt(0)
	v_add_co_u32_e32 v30, vcc, 0x3000, v14
	v_ashrrev_i32_e32 v29, 31, v26
	v_mov_b32_e32 v28, v26
	v_addc_co_u32_e32 v31, vcc, 0, v15, vcc
	flat_store_dwordx2 v[30:31], v[28:29] offset:2048
.LBB1014_176:
	;; [unrolled: 26-line block ×4, first 2 shown]
	s_or_b64 exec, exec, s[0:1]
	v_or_b32_e32 v1, 0xc00, v0
	v_cmp_gt_u32_e32 vcc, s33, v1
	s_and_saveexec_b64 s[0:1], vcc
	s_cbranch_execz .LBB1014_186
; %bb.185:
	s_waitcnt lgkmcnt(0)
	v_add_co_u32_e32 v12, vcc, 0x6000, v14
	v_ashrrev_i32_e32 v25, 31, v13
	v_mov_b32_e32 v24, v13
	v_addc_co_u32_e32 v13, vcc, 0, v15, vcc
	flat_store_dwordx2 v[12:13], v[24:25]
.LBB1014_186:
	s_or_b64 exec, exec, s[0:1]
	s_waitcnt lgkmcnt(0)
	v_or_b32_e32 v12, 0xd00, v0
	v_mov_b32_e32 v1, v59
	v_cmp_gt_u32_e64 s[0:1], s33, v12
	s_branch .LBB1014_189
.LBB1014_187:
	s_mov_b64 s[0:1], 0
                                        ; implicit-def: $vgpr9
	s_cbranch_execz .LBB1014_189
; %bb.188:
	s_movk_i32 s2, 0xffcc
	v_mad_i32_i24 v30, v0, s2, v8
	s_barrier
	ds_write2_b64 v8, v[2:3], v[16:17] offset1:1
	ds_write2_b64 v8, v[6:7], v[18:19] offset0:2 offset1:3
	ds_write2_b64 v8, v[10:11], v[20:21] offset0:4 offset1:5
	ds_write_b64 v8, v[22:23] offset:48
	s_waitcnt lgkmcnt(0)
	s_barrier
	ds_read2st64_b32 v[2:3], v30 offset1:4
	ds_read2st64_b32 v[8:9], v30 offset0:8 offset1:12
	v_mov_b32_e32 v1, 0
	v_mov_b32_e32 v59, v1
	v_lshl_add_u64 v[32:33], v[4:5], 0, v[58:59]
	s_waitcnt lgkmcnt(0)
	v_ashrrev_i32_e32 v7, 31, v2
	v_mov_b32_e32 v6, v2
	v_ashrrev_i32_e32 v11, 31, v3
	v_mov_b32_e32 v10, v3
	ds_read2st64_b32 v[2:3], v30 offset0:16 offset1:20
	v_ashrrev_i32_e32 v13, 31, v8
	v_mov_b32_e32 v12, v8
	v_ashrrev_i32_e32 v15, 31, v9
	v_mov_b32_e32 v14, v9
	ds_read2st64_b32 v[8:9], v30 offset0:24 offset1:28
	s_movk_i32 s2, 0x1000
	s_waitcnt lgkmcnt(0)
	v_ashrrev_i32_e32 v17, 31, v2
	v_mov_b32_e32 v16, v2
	v_ashrrev_i32_e32 v19, 31, v3
	v_mov_b32_e32 v18, v3
	ds_read2st64_b32 v[2:3], v30 offset0:32 offset1:36
	v_ashrrev_i32_e32 v21, 31, v8
	v_mov_b32_e32 v20, v8
	v_ashrrev_i32_e32 v23, 31, v9
	v_mov_b32_e32 v22, v9
	ds_read2st64_b32 v[26:27], v30 offset0:40 offset1:44
	ds_read2st64_b32 v[8:9], v30 offset0:48 offset1:52
	flat_store_dwordx2 v[32:33], v[6:7]
	flat_store_dwordx2 v[32:33], v[10:11] offset:2048
	v_add_co_u32_e32 v6, vcc, s2, v32
	s_movk_i32 s2, 0x2000
	s_nop 0
	v_addc_co_u32_e32 v7, vcc, 0, v33, vcc
	flat_store_dwordx2 v[6:7], v[12:13]
	flat_store_dwordx2 v[6:7], v[14:15] offset:2048
	v_add_co_u32_e32 v6, vcc, s2, v32
	s_movk_i32 s2, 0x3000
	s_nop 0
	v_addc_co_u32_e32 v7, vcc, 0, v33, vcc
	;; [unrolled: 6-line block ×3, first 2 shown]
	flat_store_dwordx2 v[6:7], v[20:21]
	flat_store_dwordx2 v[6:7], v[22:23] offset:2048
	v_add_co_u32_e32 v6, vcc, s2, v32
	s_waitcnt lgkmcnt(0)
	v_ashrrev_i32_e32 v25, 31, v2
	v_mov_b32_e32 v24, v2
	v_addc_co_u32_e32 v7, vcc, 0, v33, vcc
	v_ashrrev_i32_e32 v29, 31, v3
	v_mov_b32_e32 v28, v3
	flat_store_dwordx2 v[6:7], v[24:25]
	flat_store_dwordx2 v[6:7], v[28:29] offset:2048
	v_add_co_u32_e32 v6, vcc, 0x5000, v32
	v_ashrrev_i32_e32 v3, 31, v26
	v_mov_b32_e32 v2, v26
	v_addc_co_u32_e32 v7, vcc, 0, v33, vcc
	v_ashrrev_i32_e32 v31, 31, v27
	v_mov_b32_e32 v30, v27
	flat_store_dwordx2 v[6:7], v[2:3]
	flat_store_dwordx2 v[6:7], v[30:31] offset:2048
	v_add_co_u32_e32 v2, vcc, 0x6000, v32
	v_ashrrev_i32_e32 v27, 31, v8
	v_mov_b32_e32 v26, v8
	v_addc_co_u32_e32 v3, vcc, 0, v33, vcc
	s_or_b64 s[0:1], s[0:1], exec
	flat_store_dwordx2 v[2:3], v[26:27]
.LBB1014_189:
	s_and_saveexec_b64 s[2:3], s[0:1]
	s_cbranch_execz .LBB1014_191
; %bb.190:
	v_lshl_add_u64 v[0:1], v[0:1], 3, v[4:5]
	v_add_co_u32_e32 v0, vcc, 0x6000, v0
	v_ashrrev_i32_e32 v3, 31, v9
	v_mov_b32_e32 v2, v9
	v_addc_co_u32_e32 v1, vcc, 0, v1, vcc
	flat_store_dwordx2 v[0:1], v[2:3] offset:2048
	s_endpgm
.LBB1014_191:
	s_endpgm
	.section	.rodata,"a",@progbits
	.p2align	6, 0x0
	.amdhsa_kernel _ZN7rocprim17ROCPRIM_400000_NS6detail17trampoline_kernelINS0_14default_configENS1_27scan_by_key_config_selectorIxiEEZZNS1_16scan_by_key_implILNS1_25lookback_scan_determinismE0ELb1ES3_N6thrust23THRUST_200600_302600_NS6detail15normal_iteratorINS9_10device_ptrIxEEEESE_SE_iNS9_4plusIvEENS9_8equal_toIvEEiEE10hipError_tPvRmT2_T3_T4_T5_mT6_T7_P12ihipStream_tbENKUlT_T0_E_clISt17integral_constantIbLb1EESZ_EEDaSU_SV_EUlSU_E_NS1_11comp_targetILNS1_3genE5ELNS1_11target_archE942ELNS1_3gpuE9ELNS1_3repE0EEENS1_30default_config_static_selectorELNS0_4arch9wavefront6targetE1EEEvT1_
		.amdhsa_group_segment_fixed_size 32768
		.amdhsa_private_segment_fixed_size 0
		.amdhsa_kernarg_size 112
		.amdhsa_user_sgpr_count 2
		.amdhsa_user_sgpr_dispatch_ptr 0
		.amdhsa_user_sgpr_queue_ptr 0
		.amdhsa_user_sgpr_kernarg_segment_ptr 1
		.amdhsa_user_sgpr_dispatch_id 0
		.amdhsa_user_sgpr_kernarg_preload_length 0
		.amdhsa_user_sgpr_kernarg_preload_offset 0
		.amdhsa_user_sgpr_private_segment_size 0
		.amdhsa_uses_dynamic_stack 0
		.amdhsa_enable_private_segment 0
		.amdhsa_system_sgpr_workgroup_id_x 1
		.amdhsa_system_sgpr_workgroup_id_y 0
		.amdhsa_system_sgpr_workgroup_id_z 0
		.amdhsa_system_sgpr_workgroup_info 0
		.amdhsa_system_vgpr_workitem_id 0
		.amdhsa_next_free_vgpr 66
		.amdhsa_next_free_sgpr 60
		.amdhsa_accum_offset 68
		.amdhsa_reserve_vcc 1
		.amdhsa_float_round_mode_32 0
		.amdhsa_float_round_mode_16_64 0
		.amdhsa_float_denorm_mode_32 3
		.amdhsa_float_denorm_mode_16_64 3
		.amdhsa_dx10_clamp 1
		.amdhsa_ieee_mode 1
		.amdhsa_fp16_overflow 0
		.amdhsa_tg_split 0
		.amdhsa_exception_fp_ieee_invalid_op 0
		.amdhsa_exception_fp_denorm_src 0
		.amdhsa_exception_fp_ieee_div_zero 0
		.amdhsa_exception_fp_ieee_overflow 0
		.amdhsa_exception_fp_ieee_underflow 0
		.amdhsa_exception_fp_ieee_inexact 0
		.amdhsa_exception_int_div_zero 0
	.end_amdhsa_kernel
	.section	.text._ZN7rocprim17ROCPRIM_400000_NS6detail17trampoline_kernelINS0_14default_configENS1_27scan_by_key_config_selectorIxiEEZZNS1_16scan_by_key_implILNS1_25lookback_scan_determinismE0ELb1ES3_N6thrust23THRUST_200600_302600_NS6detail15normal_iteratorINS9_10device_ptrIxEEEESE_SE_iNS9_4plusIvEENS9_8equal_toIvEEiEE10hipError_tPvRmT2_T3_T4_T5_mT6_T7_P12ihipStream_tbENKUlT_T0_E_clISt17integral_constantIbLb1EESZ_EEDaSU_SV_EUlSU_E_NS1_11comp_targetILNS1_3genE5ELNS1_11target_archE942ELNS1_3gpuE9ELNS1_3repE0EEENS1_30default_config_static_selectorELNS0_4arch9wavefront6targetE1EEEvT1_,"axG",@progbits,_ZN7rocprim17ROCPRIM_400000_NS6detail17trampoline_kernelINS0_14default_configENS1_27scan_by_key_config_selectorIxiEEZZNS1_16scan_by_key_implILNS1_25lookback_scan_determinismE0ELb1ES3_N6thrust23THRUST_200600_302600_NS6detail15normal_iteratorINS9_10device_ptrIxEEEESE_SE_iNS9_4plusIvEENS9_8equal_toIvEEiEE10hipError_tPvRmT2_T3_T4_T5_mT6_T7_P12ihipStream_tbENKUlT_T0_E_clISt17integral_constantIbLb1EESZ_EEDaSU_SV_EUlSU_E_NS1_11comp_targetILNS1_3genE5ELNS1_11target_archE942ELNS1_3gpuE9ELNS1_3repE0EEENS1_30default_config_static_selectorELNS0_4arch9wavefront6targetE1EEEvT1_,comdat
.Lfunc_end1014:
	.size	_ZN7rocprim17ROCPRIM_400000_NS6detail17trampoline_kernelINS0_14default_configENS1_27scan_by_key_config_selectorIxiEEZZNS1_16scan_by_key_implILNS1_25lookback_scan_determinismE0ELb1ES3_N6thrust23THRUST_200600_302600_NS6detail15normal_iteratorINS9_10device_ptrIxEEEESE_SE_iNS9_4plusIvEENS9_8equal_toIvEEiEE10hipError_tPvRmT2_T3_T4_T5_mT6_T7_P12ihipStream_tbENKUlT_T0_E_clISt17integral_constantIbLb1EESZ_EEDaSU_SV_EUlSU_E_NS1_11comp_targetILNS1_3genE5ELNS1_11target_archE942ELNS1_3gpuE9ELNS1_3repE0EEENS1_30default_config_static_selectorELNS0_4arch9wavefront6targetE1EEEvT1_, .Lfunc_end1014-_ZN7rocprim17ROCPRIM_400000_NS6detail17trampoline_kernelINS0_14default_configENS1_27scan_by_key_config_selectorIxiEEZZNS1_16scan_by_key_implILNS1_25lookback_scan_determinismE0ELb1ES3_N6thrust23THRUST_200600_302600_NS6detail15normal_iteratorINS9_10device_ptrIxEEEESE_SE_iNS9_4plusIvEENS9_8equal_toIvEEiEE10hipError_tPvRmT2_T3_T4_T5_mT6_T7_P12ihipStream_tbENKUlT_T0_E_clISt17integral_constantIbLb1EESZ_EEDaSU_SV_EUlSU_E_NS1_11comp_targetILNS1_3genE5ELNS1_11target_archE942ELNS1_3gpuE9ELNS1_3repE0EEENS1_30default_config_static_selectorELNS0_4arch9wavefront6targetE1EEEvT1_
                                        ; -- End function
	.section	.AMDGPU.csdata,"",@progbits
; Kernel info:
; codeLenInByte = 11980
; NumSgprs: 66
; NumVgprs: 66
; NumAgprs: 0
; TotalNumVgprs: 66
; ScratchSize: 0
; MemoryBound: 0
; FloatMode: 240
; IeeeMode: 1
; LDSByteSize: 32768 bytes/workgroup (compile time only)
; SGPRBlocks: 8
; VGPRBlocks: 8
; NumSGPRsForWavesPerEU: 66
; NumVGPRsForWavesPerEU: 66
; AccumOffset: 68
; Occupancy: 2
; WaveLimiterHint : 1
; COMPUTE_PGM_RSRC2:SCRATCH_EN: 0
; COMPUTE_PGM_RSRC2:USER_SGPR: 2
; COMPUTE_PGM_RSRC2:TRAP_HANDLER: 0
; COMPUTE_PGM_RSRC2:TGID_X_EN: 1
; COMPUTE_PGM_RSRC2:TGID_Y_EN: 0
; COMPUTE_PGM_RSRC2:TGID_Z_EN: 0
; COMPUTE_PGM_RSRC2:TIDIG_COMP_CNT: 0
; COMPUTE_PGM_RSRC3_GFX90A:ACCUM_OFFSET: 16
; COMPUTE_PGM_RSRC3_GFX90A:TG_SPLIT: 0
	.section	.text._ZN7rocprim17ROCPRIM_400000_NS6detail17trampoline_kernelINS0_14default_configENS1_27scan_by_key_config_selectorIxiEEZZNS1_16scan_by_key_implILNS1_25lookback_scan_determinismE0ELb1ES3_N6thrust23THRUST_200600_302600_NS6detail15normal_iteratorINS9_10device_ptrIxEEEESE_SE_iNS9_4plusIvEENS9_8equal_toIvEEiEE10hipError_tPvRmT2_T3_T4_T5_mT6_T7_P12ihipStream_tbENKUlT_T0_E_clISt17integral_constantIbLb1EESZ_EEDaSU_SV_EUlSU_E_NS1_11comp_targetILNS1_3genE4ELNS1_11target_archE910ELNS1_3gpuE8ELNS1_3repE0EEENS1_30default_config_static_selectorELNS0_4arch9wavefront6targetE1EEEvT1_,"axG",@progbits,_ZN7rocprim17ROCPRIM_400000_NS6detail17trampoline_kernelINS0_14default_configENS1_27scan_by_key_config_selectorIxiEEZZNS1_16scan_by_key_implILNS1_25lookback_scan_determinismE0ELb1ES3_N6thrust23THRUST_200600_302600_NS6detail15normal_iteratorINS9_10device_ptrIxEEEESE_SE_iNS9_4plusIvEENS9_8equal_toIvEEiEE10hipError_tPvRmT2_T3_T4_T5_mT6_T7_P12ihipStream_tbENKUlT_T0_E_clISt17integral_constantIbLb1EESZ_EEDaSU_SV_EUlSU_E_NS1_11comp_targetILNS1_3genE4ELNS1_11target_archE910ELNS1_3gpuE8ELNS1_3repE0EEENS1_30default_config_static_selectorELNS0_4arch9wavefront6targetE1EEEvT1_,comdat
	.protected	_ZN7rocprim17ROCPRIM_400000_NS6detail17trampoline_kernelINS0_14default_configENS1_27scan_by_key_config_selectorIxiEEZZNS1_16scan_by_key_implILNS1_25lookback_scan_determinismE0ELb1ES3_N6thrust23THRUST_200600_302600_NS6detail15normal_iteratorINS9_10device_ptrIxEEEESE_SE_iNS9_4plusIvEENS9_8equal_toIvEEiEE10hipError_tPvRmT2_T3_T4_T5_mT6_T7_P12ihipStream_tbENKUlT_T0_E_clISt17integral_constantIbLb1EESZ_EEDaSU_SV_EUlSU_E_NS1_11comp_targetILNS1_3genE4ELNS1_11target_archE910ELNS1_3gpuE8ELNS1_3repE0EEENS1_30default_config_static_selectorELNS0_4arch9wavefront6targetE1EEEvT1_ ; -- Begin function _ZN7rocprim17ROCPRIM_400000_NS6detail17trampoline_kernelINS0_14default_configENS1_27scan_by_key_config_selectorIxiEEZZNS1_16scan_by_key_implILNS1_25lookback_scan_determinismE0ELb1ES3_N6thrust23THRUST_200600_302600_NS6detail15normal_iteratorINS9_10device_ptrIxEEEESE_SE_iNS9_4plusIvEENS9_8equal_toIvEEiEE10hipError_tPvRmT2_T3_T4_T5_mT6_T7_P12ihipStream_tbENKUlT_T0_E_clISt17integral_constantIbLb1EESZ_EEDaSU_SV_EUlSU_E_NS1_11comp_targetILNS1_3genE4ELNS1_11target_archE910ELNS1_3gpuE8ELNS1_3repE0EEENS1_30default_config_static_selectorELNS0_4arch9wavefront6targetE1EEEvT1_
	.globl	_ZN7rocprim17ROCPRIM_400000_NS6detail17trampoline_kernelINS0_14default_configENS1_27scan_by_key_config_selectorIxiEEZZNS1_16scan_by_key_implILNS1_25lookback_scan_determinismE0ELb1ES3_N6thrust23THRUST_200600_302600_NS6detail15normal_iteratorINS9_10device_ptrIxEEEESE_SE_iNS9_4plusIvEENS9_8equal_toIvEEiEE10hipError_tPvRmT2_T3_T4_T5_mT6_T7_P12ihipStream_tbENKUlT_T0_E_clISt17integral_constantIbLb1EESZ_EEDaSU_SV_EUlSU_E_NS1_11comp_targetILNS1_3genE4ELNS1_11target_archE910ELNS1_3gpuE8ELNS1_3repE0EEENS1_30default_config_static_selectorELNS0_4arch9wavefront6targetE1EEEvT1_
	.p2align	8
	.type	_ZN7rocprim17ROCPRIM_400000_NS6detail17trampoline_kernelINS0_14default_configENS1_27scan_by_key_config_selectorIxiEEZZNS1_16scan_by_key_implILNS1_25lookback_scan_determinismE0ELb1ES3_N6thrust23THRUST_200600_302600_NS6detail15normal_iteratorINS9_10device_ptrIxEEEESE_SE_iNS9_4plusIvEENS9_8equal_toIvEEiEE10hipError_tPvRmT2_T3_T4_T5_mT6_T7_P12ihipStream_tbENKUlT_T0_E_clISt17integral_constantIbLb1EESZ_EEDaSU_SV_EUlSU_E_NS1_11comp_targetILNS1_3genE4ELNS1_11target_archE910ELNS1_3gpuE8ELNS1_3repE0EEENS1_30default_config_static_selectorELNS0_4arch9wavefront6targetE1EEEvT1_,@function
_ZN7rocprim17ROCPRIM_400000_NS6detail17trampoline_kernelINS0_14default_configENS1_27scan_by_key_config_selectorIxiEEZZNS1_16scan_by_key_implILNS1_25lookback_scan_determinismE0ELb1ES3_N6thrust23THRUST_200600_302600_NS6detail15normal_iteratorINS9_10device_ptrIxEEEESE_SE_iNS9_4plusIvEENS9_8equal_toIvEEiEE10hipError_tPvRmT2_T3_T4_T5_mT6_T7_P12ihipStream_tbENKUlT_T0_E_clISt17integral_constantIbLb1EESZ_EEDaSU_SV_EUlSU_E_NS1_11comp_targetILNS1_3genE4ELNS1_11target_archE910ELNS1_3gpuE8ELNS1_3repE0EEENS1_30default_config_static_selectorELNS0_4arch9wavefront6targetE1EEEvT1_: ; @_ZN7rocprim17ROCPRIM_400000_NS6detail17trampoline_kernelINS0_14default_configENS1_27scan_by_key_config_selectorIxiEEZZNS1_16scan_by_key_implILNS1_25lookback_scan_determinismE0ELb1ES3_N6thrust23THRUST_200600_302600_NS6detail15normal_iteratorINS9_10device_ptrIxEEEESE_SE_iNS9_4plusIvEENS9_8equal_toIvEEiEE10hipError_tPvRmT2_T3_T4_T5_mT6_T7_P12ihipStream_tbENKUlT_T0_E_clISt17integral_constantIbLb1EESZ_EEDaSU_SV_EUlSU_E_NS1_11comp_targetILNS1_3genE4ELNS1_11target_archE910ELNS1_3gpuE8ELNS1_3repE0EEENS1_30default_config_static_selectorELNS0_4arch9wavefront6targetE1EEEvT1_
; %bb.0:
	.section	.rodata,"a",@progbits
	.p2align	6, 0x0
	.amdhsa_kernel _ZN7rocprim17ROCPRIM_400000_NS6detail17trampoline_kernelINS0_14default_configENS1_27scan_by_key_config_selectorIxiEEZZNS1_16scan_by_key_implILNS1_25lookback_scan_determinismE0ELb1ES3_N6thrust23THRUST_200600_302600_NS6detail15normal_iteratorINS9_10device_ptrIxEEEESE_SE_iNS9_4plusIvEENS9_8equal_toIvEEiEE10hipError_tPvRmT2_T3_T4_T5_mT6_T7_P12ihipStream_tbENKUlT_T0_E_clISt17integral_constantIbLb1EESZ_EEDaSU_SV_EUlSU_E_NS1_11comp_targetILNS1_3genE4ELNS1_11target_archE910ELNS1_3gpuE8ELNS1_3repE0EEENS1_30default_config_static_selectorELNS0_4arch9wavefront6targetE1EEEvT1_
		.amdhsa_group_segment_fixed_size 0
		.amdhsa_private_segment_fixed_size 0
		.amdhsa_kernarg_size 112
		.amdhsa_user_sgpr_count 2
		.amdhsa_user_sgpr_dispatch_ptr 0
		.amdhsa_user_sgpr_queue_ptr 0
		.amdhsa_user_sgpr_kernarg_segment_ptr 1
		.amdhsa_user_sgpr_dispatch_id 0
		.amdhsa_user_sgpr_kernarg_preload_length 0
		.amdhsa_user_sgpr_kernarg_preload_offset 0
		.amdhsa_user_sgpr_private_segment_size 0
		.amdhsa_uses_dynamic_stack 0
		.amdhsa_enable_private_segment 0
		.amdhsa_system_sgpr_workgroup_id_x 1
		.amdhsa_system_sgpr_workgroup_id_y 0
		.amdhsa_system_sgpr_workgroup_id_z 0
		.amdhsa_system_sgpr_workgroup_info 0
		.amdhsa_system_vgpr_workitem_id 0
		.amdhsa_next_free_vgpr 1
		.amdhsa_next_free_sgpr 0
		.amdhsa_accum_offset 4
		.amdhsa_reserve_vcc 0
		.amdhsa_float_round_mode_32 0
		.amdhsa_float_round_mode_16_64 0
		.amdhsa_float_denorm_mode_32 3
		.amdhsa_float_denorm_mode_16_64 3
		.amdhsa_dx10_clamp 1
		.amdhsa_ieee_mode 1
		.amdhsa_fp16_overflow 0
		.amdhsa_tg_split 0
		.amdhsa_exception_fp_ieee_invalid_op 0
		.amdhsa_exception_fp_denorm_src 0
		.amdhsa_exception_fp_ieee_div_zero 0
		.amdhsa_exception_fp_ieee_overflow 0
		.amdhsa_exception_fp_ieee_underflow 0
		.amdhsa_exception_fp_ieee_inexact 0
		.amdhsa_exception_int_div_zero 0
	.end_amdhsa_kernel
	.section	.text._ZN7rocprim17ROCPRIM_400000_NS6detail17trampoline_kernelINS0_14default_configENS1_27scan_by_key_config_selectorIxiEEZZNS1_16scan_by_key_implILNS1_25lookback_scan_determinismE0ELb1ES3_N6thrust23THRUST_200600_302600_NS6detail15normal_iteratorINS9_10device_ptrIxEEEESE_SE_iNS9_4plusIvEENS9_8equal_toIvEEiEE10hipError_tPvRmT2_T3_T4_T5_mT6_T7_P12ihipStream_tbENKUlT_T0_E_clISt17integral_constantIbLb1EESZ_EEDaSU_SV_EUlSU_E_NS1_11comp_targetILNS1_3genE4ELNS1_11target_archE910ELNS1_3gpuE8ELNS1_3repE0EEENS1_30default_config_static_selectorELNS0_4arch9wavefront6targetE1EEEvT1_,"axG",@progbits,_ZN7rocprim17ROCPRIM_400000_NS6detail17trampoline_kernelINS0_14default_configENS1_27scan_by_key_config_selectorIxiEEZZNS1_16scan_by_key_implILNS1_25lookback_scan_determinismE0ELb1ES3_N6thrust23THRUST_200600_302600_NS6detail15normal_iteratorINS9_10device_ptrIxEEEESE_SE_iNS9_4plusIvEENS9_8equal_toIvEEiEE10hipError_tPvRmT2_T3_T4_T5_mT6_T7_P12ihipStream_tbENKUlT_T0_E_clISt17integral_constantIbLb1EESZ_EEDaSU_SV_EUlSU_E_NS1_11comp_targetILNS1_3genE4ELNS1_11target_archE910ELNS1_3gpuE8ELNS1_3repE0EEENS1_30default_config_static_selectorELNS0_4arch9wavefront6targetE1EEEvT1_,comdat
.Lfunc_end1015:
	.size	_ZN7rocprim17ROCPRIM_400000_NS6detail17trampoline_kernelINS0_14default_configENS1_27scan_by_key_config_selectorIxiEEZZNS1_16scan_by_key_implILNS1_25lookback_scan_determinismE0ELb1ES3_N6thrust23THRUST_200600_302600_NS6detail15normal_iteratorINS9_10device_ptrIxEEEESE_SE_iNS9_4plusIvEENS9_8equal_toIvEEiEE10hipError_tPvRmT2_T3_T4_T5_mT6_T7_P12ihipStream_tbENKUlT_T0_E_clISt17integral_constantIbLb1EESZ_EEDaSU_SV_EUlSU_E_NS1_11comp_targetILNS1_3genE4ELNS1_11target_archE910ELNS1_3gpuE8ELNS1_3repE0EEENS1_30default_config_static_selectorELNS0_4arch9wavefront6targetE1EEEvT1_, .Lfunc_end1015-_ZN7rocprim17ROCPRIM_400000_NS6detail17trampoline_kernelINS0_14default_configENS1_27scan_by_key_config_selectorIxiEEZZNS1_16scan_by_key_implILNS1_25lookback_scan_determinismE0ELb1ES3_N6thrust23THRUST_200600_302600_NS6detail15normal_iteratorINS9_10device_ptrIxEEEESE_SE_iNS9_4plusIvEENS9_8equal_toIvEEiEE10hipError_tPvRmT2_T3_T4_T5_mT6_T7_P12ihipStream_tbENKUlT_T0_E_clISt17integral_constantIbLb1EESZ_EEDaSU_SV_EUlSU_E_NS1_11comp_targetILNS1_3genE4ELNS1_11target_archE910ELNS1_3gpuE8ELNS1_3repE0EEENS1_30default_config_static_selectorELNS0_4arch9wavefront6targetE1EEEvT1_
                                        ; -- End function
	.section	.AMDGPU.csdata,"",@progbits
; Kernel info:
; codeLenInByte = 0
; NumSgprs: 6
; NumVgprs: 0
; NumAgprs: 0
; TotalNumVgprs: 0
; ScratchSize: 0
; MemoryBound: 0
; FloatMode: 240
; IeeeMode: 1
; LDSByteSize: 0 bytes/workgroup (compile time only)
; SGPRBlocks: 0
; VGPRBlocks: 0
; NumSGPRsForWavesPerEU: 6
; NumVGPRsForWavesPerEU: 1
; AccumOffset: 4
; Occupancy: 8
; WaveLimiterHint : 0
; COMPUTE_PGM_RSRC2:SCRATCH_EN: 0
; COMPUTE_PGM_RSRC2:USER_SGPR: 2
; COMPUTE_PGM_RSRC2:TRAP_HANDLER: 0
; COMPUTE_PGM_RSRC2:TGID_X_EN: 1
; COMPUTE_PGM_RSRC2:TGID_Y_EN: 0
; COMPUTE_PGM_RSRC2:TGID_Z_EN: 0
; COMPUTE_PGM_RSRC2:TIDIG_COMP_CNT: 0
; COMPUTE_PGM_RSRC3_GFX90A:ACCUM_OFFSET: 0
; COMPUTE_PGM_RSRC3_GFX90A:TG_SPLIT: 0
	.section	.text._ZN7rocprim17ROCPRIM_400000_NS6detail17trampoline_kernelINS0_14default_configENS1_27scan_by_key_config_selectorIxiEEZZNS1_16scan_by_key_implILNS1_25lookback_scan_determinismE0ELb1ES3_N6thrust23THRUST_200600_302600_NS6detail15normal_iteratorINS9_10device_ptrIxEEEESE_SE_iNS9_4plusIvEENS9_8equal_toIvEEiEE10hipError_tPvRmT2_T3_T4_T5_mT6_T7_P12ihipStream_tbENKUlT_T0_E_clISt17integral_constantIbLb1EESZ_EEDaSU_SV_EUlSU_E_NS1_11comp_targetILNS1_3genE3ELNS1_11target_archE908ELNS1_3gpuE7ELNS1_3repE0EEENS1_30default_config_static_selectorELNS0_4arch9wavefront6targetE1EEEvT1_,"axG",@progbits,_ZN7rocprim17ROCPRIM_400000_NS6detail17trampoline_kernelINS0_14default_configENS1_27scan_by_key_config_selectorIxiEEZZNS1_16scan_by_key_implILNS1_25lookback_scan_determinismE0ELb1ES3_N6thrust23THRUST_200600_302600_NS6detail15normal_iteratorINS9_10device_ptrIxEEEESE_SE_iNS9_4plusIvEENS9_8equal_toIvEEiEE10hipError_tPvRmT2_T3_T4_T5_mT6_T7_P12ihipStream_tbENKUlT_T0_E_clISt17integral_constantIbLb1EESZ_EEDaSU_SV_EUlSU_E_NS1_11comp_targetILNS1_3genE3ELNS1_11target_archE908ELNS1_3gpuE7ELNS1_3repE0EEENS1_30default_config_static_selectorELNS0_4arch9wavefront6targetE1EEEvT1_,comdat
	.protected	_ZN7rocprim17ROCPRIM_400000_NS6detail17trampoline_kernelINS0_14default_configENS1_27scan_by_key_config_selectorIxiEEZZNS1_16scan_by_key_implILNS1_25lookback_scan_determinismE0ELb1ES3_N6thrust23THRUST_200600_302600_NS6detail15normal_iteratorINS9_10device_ptrIxEEEESE_SE_iNS9_4plusIvEENS9_8equal_toIvEEiEE10hipError_tPvRmT2_T3_T4_T5_mT6_T7_P12ihipStream_tbENKUlT_T0_E_clISt17integral_constantIbLb1EESZ_EEDaSU_SV_EUlSU_E_NS1_11comp_targetILNS1_3genE3ELNS1_11target_archE908ELNS1_3gpuE7ELNS1_3repE0EEENS1_30default_config_static_selectorELNS0_4arch9wavefront6targetE1EEEvT1_ ; -- Begin function _ZN7rocprim17ROCPRIM_400000_NS6detail17trampoline_kernelINS0_14default_configENS1_27scan_by_key_config_selectorIxiEEZZNS1_16scan_by_key_implILNS1_25lookback_scan_determinismE0ELb1ES3_N6thrust23THRUST_200600_302600_NS6detail15normal_iteratorINS9_10device_ptrIxEEEESE_SE_iNS9_4plusIvEENS9_8equal_toIvEEiEE10hipError_tPvRmT2_T3_T4_T5_mT6_T7_P12ihipStream_tbENKUlT_T0_E_clISt17integral_constantIbLb1EESZ_EEDaSU_SV_EUlSU_E_NS1_11comp_targetILNS1_3genE3ELNS1_11target_archE908ELNS1_3gpuE7ELNS1_3repE0EEENS1_30default_config_static_selectorELNS0_4arch9wavefront6targetE1EEEvT1_
	.globl	_ZN7rocprim17ROCPRIM_400000_NS6detail17trampoline_kernelINS0_14default_configENS1_27scan_by_key_config_selectorIxiEEZZNS1_16scan_by_key_implILNS1_25lookback_scan_determinismE0ELb1ES3_N6thrust23THRUST_200600_302600_NS6detail15normal_iteratorINS9_10device_ptrIxEEEESE_SE_iNS9_4plusIvEENS9_8equal_toIvEEiEE10hipError_tPvRmT2_T3_T4_T5_mT6_T7_P12ihipStream_tbENKUlT_T0_E_clISt17integral_constantIbLb1EESZ_EEDaSU_SV_EUlSU_E_NS1_11comp_targetILNS1_3genE3ELNS1_11target_archE908ELNS1_3gpuE7ELNS1_3repE0EEENS1_30default_config_static_selectorELNS0_4arch9wavefront6targetE1EEEvT1_
	.p2align	8
	.type	_ZN7rocprim17ROCPRIM_400000_NS6detail17trampoline_kernelINS0_14default_configENS1_27scan_by_key_config_selectorIxiEEZZNS1_16scan_by_key_implILNS1_25lookback_scan_determinismE0ELb1ES3_N6thrust23THRUST_200600_302600_NS6detail15normal_iteratorINS9_10device_ptrIxEEEESE_SE_iNS9_4plusIvEENS9_8equal_toIvEEiEE10hipError_tPvRmT2_T3_T4_T5_mT6_T7_P12ihipStream_tbENKUlT_T0_E_clISt17integral_constantIbLb1EESZ_EEDaSU_SV_EUlSU_E_NS1_11comp_targetILNS1_3genE3ELNS1_11target_archE908ELNS1_3gpuE7ELNS1_3repE0EEENS1_30default_config_static_selectorELNS0_4arch9wavefront6targetE1EEEvT1_,@function
_ZN7rocprim17ROCPRIM_400000_NS6detail17trampoline_kernelINS0_14default_configENS1_27scan_by_key_config_selectorIxiEEZZNS1_16scan_by_key_implILNS1_25lookback_scan_determinismE0ELb1ES3_N6thrust23THRUST_200600_302600_NS6detail15normal_iteratorINS9_10device_ptrIxEEEESE_SE_iNS9_4plusIvEENS9_8equal_toIvEEiEE10hipError_tPvRmT2_T3_T4_T5_mT6_T7_P12ihipStream_tbENKUlT_T0_E_clISt17integral_constantIbLb1EESZ_EEDaSU_SV_EUlSU_E_NS1_11comp_targetILNS1_3genE3ELNS1_11target_archE908ELNS1_3gpuE7ELNS1_3repE0EEENS1_30default_config_static_selectorELNS0_4arch9wavefront6targetE1EEEvT1_: ; @_ZN7rocprim17ROCPRIM_400000_NS6detail17trampoline_kernelINS0_14default_configENS1_27scan_by_key_config_selectorIxiEEZZNS1_16scan_by_key_implILNS1_25lookback_scan_determinismE0ELb1ES3_N6thrust23THRUST_200600_302600_NS6detail15normal_iteratorINS9_10device_ptrIxEEEESE_SE_iNS9_4plusIvEENS9_8equal_toIvEEiEE10hipError_tPvRmT2_T3_T4_T5_mT6_T7_P12ihipStream_tbENKUlT_T0_E_clISt17integral_constantIbLb1EESZ_EEDaSU_SV_EUlSU_E_NS1_11comp_targetILNS1_3genE3ELNS1_11target_archE908ELNS1_3gpuE7ELNS1_3repE0EEENS1_30default_config_static_selectorELNS0_4arch9wavefront6targetE1EEEvT1_
; %bb.0:
	.section	.rodata,"a",@progbits
	.p2align	6, 0x0
	.amdhsa_kernel _ZN7rocprim17ROCPRIM_400000_NS6detail17trampoline_kernelINS0_14default_configENS1_27scan_by_key_config_selectorIxiEEZZNS1_16scan_by_key_implILNS1_25lookback_scan_determinismE0ELb1ES3_N6thrust23THRUST_200600_302600_NS6detail15normal_iteratorINS9_10device_ptrIxEEEESE_SE_iNS9_4plusIvEENS9_8equal_toIvEEiEE10hipError_tPvRmT2_T3_T4_T5_mT6_T7_P12ihipStream_tbENKUlT_T0_E_clISt17integral_constantIbLb1EESZ_EEDaSU_SV_EUlSU_E_NS1_11comp_targetILNS1_3genE3ELNS1_11target_archE908ELNS1_3gpuE7ELNS1_3repE0EEENS1_30default_config_static_selectorELNS0_4arch9wavefront6targetE1EEEvT1_
		.amdhsa_group_segment_fixed_size 0
		.amdhsa_private_segment_fixed_size 0
		.amdhsa_kernarg_size 112
		.amdhsa_user_sgpr_count 2
		.amdhsa_user_sgpr_dispatch_ptr 0
		.amdhsa_user_sgpr_queue_ptr 0
		.amdhsa_user_sgpr_kernarg_segment_ptr 1
		.amdhsa_user_sgpr_dispatch_id 0
		.amdhsa_user_sgpr_kernarg_preload_length 0
		.amdhsa_user_sgpr_kernarg_preload_offset 0
		.amdhsa_user_sgpr_private_segment_size 0
		.amdhsa_uses_dynamic_stack 0
		.amdhsa_enable_private_segment 0
		.amdhsa_system_sgpr_workgroup_id_x 1
		.amdhsa_system_sgpr_workgroup_id_y 0
		.amdhsa_system_sgpr_workgroup_id_z 0
		.amdhsa_system_sgpr_workgroup_info 0
		.amdhsa_system_vgpr_workitem_id 0
		.amdhsa_next_free_vgpr 1
		.amdhsa_next_free_sgpr 0
		.amdhsa_accum_offset 4
		.amdhsa_reserve_vcc 0
		.amdhsa_float_round_mode_32 0
		.amdhsa_float_round_mode_16_64 0
		.amdhsa_float_denorm_mode_32 3
		.amdhsa_float_denorm_mode_16_64 3
		.amdhsa_dx10_clamp 1
		.amdhsa_ieee_mode 1
		.amdhsa_fp16_overflow 0
		.amdhsa_tg_split 0
		.amdhsa_exception_fp_ieee_invalid_op 0
		.amdhsa_exception_fp_denorm_src 0
		.amdhsa_exception_fp_ieee_div_zero 0
		.amdhsa_exception_fp_ieee_overflow 0
		.amdhsa_exception_fp_ieee_underflow 0
		.amdhsa_exception_fp_ieee_inexact 0
		.amdhsa_exception_int_div_zero 0
	.end_amdhsa_kernel
	.section	.text._ZN7rocprim17ROCPRIM_400000_NS6detail17trampoline_kernelINS0_14default_configENS1_27scan_by_key_config_selectorIxiEEZZNS1_16scan_by_key_implILNS1_25lookback_scan_determinismE0ELb1ES3_N6thrust23THRUST_200600_302600_NS6detail15normal_iteratorINS9_10device_ptrIxEEEESE_SE_iNS9_4plusIvEENS9_8equal_toIvEEiEE10hipError_tPvRmT2_T3_T4_T5_mT6_T7_P12ihipStream_tbENKUlT_T0_E_clISt17integral_constantIbLb1EESZ_EEDaSU_SV_EUlSU_E_NS1_11comp_targetILNS1_3genE3ELNS1_11target_archE908ELNS1_3gpuE7ELNS1_3repE0EEENS1_30default_config_static_selectorELNS0_4arch9wavefront6targetE1EEEvT1_,"axG",@progbits,_ZN7rocprim17ROCPRIM_400000_NS6detail17trampoline_kernelINS0_14default_configENS1_27scan_by_key_config_selectorIxiEEZZNS1_16scan_by_key_implILNS1_25lookback_scan_determinismE0ELb1ES3_N6thrust23THRUST_200600_302600_NS6detail15normal_iteratorINS9_10device_ptrIxEEEESE_SE_iNS9_4plusIvEENS9_8equal_toIvEEiEE10hipError_tPvRmT2_T3_T4_T5_mT6_T7_P12ihipStream_tbENKUlT_T0_E_clISt17integral_constantIbLb1EESZ_EEDaSU_SV_EUlSU_E_NS1_11comp_targetILNS1_3genE3ELNS1_11target_archE908ELNS1_3gpuE7ELNS1_3repE0EEENS1_30default_config_static_selectorELNS0_4arch9wavefront6targetE1EEEvT1_,comdat
.Lfunc_end1016:
	.size	_ZN7rocprim17ROCPRIM_400000_NS6detail17trampoline_kernelINS0_14default_configENS1_27scan_by_key_config_selectorIxiEEZZNS1_16scan_by_key_implILNS1_25lookback_scan_determinismE0ELb1ES3_N6thrust23THRUST_200600_302600_NS6detail15normal_iteratorINS9_10device_ptrIxEEEESE_SE_iNS9_4plusIvEENS9_8equal_toIvEEiEE10hipError_tPvRmT2_T3_T4_T5_mT6_T7_P12ihipStream_tbENKUlT_T0_E_clISt17integral_constantIbLb1EESZ_EEDaSU_SV_EUlSU_E_NS1_11comp_targetILNS1_3genE3ELNS1_11target_archE908ELNS1_3gpuE7ELNS1_3repE0EEENS1_30default_config_static_selectorELNS0_4arch9wavefront6targetE1EEEvT1_, .Lfunc_end1016-_ZN7rocprim17ROCPRIM_400000_NS6detail17trampoline_kernelINS0_14default_configENS1_27scan_by_key_config_selectorIxiEEZZNS1_16scan_by_key_implILNS1_25lookback_scan_determinismE0ELb1ES3_N6thrust23THRUST_200600_302600_NS6detail15normal_iteratorINS9_10device_ptrIxEEEESE_SE_iNS9_4plusIvEENS9_8equal_toIvEEiEE10hipError_tPvRmT2_T3_T4_T5_mT6_T7_P12ihipStream_tbENKUlT_T0_E_clISt17integral_constantIbLb1EESZ_EEDaSU_SV_EUlSU_E_NS1_11comp_targetILNS1_3genE3ELNS1_11target_archE908ELNS1_3gpuE7ELNS1_3repE0EEENS1_30default_config_static_selectorELNS0_4arch9wavefront6targetE1EEEvT1_
                                        ; -- End function
	.section	.AMDGPU.csdata,"",@progbits
; Kernel info:
; codeLenInByte = 0
; NumSgprs: 6
; NumVgprs: 0
; NumAgprs: 0
; TotalNumVgprs: 0
; ScratchSize: 0
; MemoryBound: 0
; FloatMode: 240
; IeeeMode: 1
; LDSByteSize: 0 bytes/workgroup (compile time only)
; SGPRBlocks: 0
; VGPRBlocks: 0
; NumSGPRsForWavesPerEU: 6
; NumVGPRsForWavesPerEU: 1
; AccumOffset: 4
; Occupancy: 8
; WaveLimiterHint : 0
; COMPUTE_PGM_RSRC2:SCRATCH_EN: 0
; COMPUTE_PGM_RSRC2:USER_SGPR: 2
; COMPUTE_PGM_RSRC2:TRAP_HANDLER: 0
; COMPUTE_PGM_RSRC2:TGID_X_EN: 1
; COMPUTE_PGM_RSRC2:TGID_Y_EN: 0
; COMPUTE_PGM_RSRC2:TGID_Z_EN: 0
; COMPUTE_PGM_RSRC2:TIDIG_COMP_CNT: 0
; COMPUTE_PGM_RSRC3_GFX90A:ACCUM_OFFSET: 0
; COMPUTE_PGM_RSRC3_GFX90A:TG_SPLIT: 0
	.section	.text._ZN7rocprim17ROCPRIM_400000_NS6detail17trampoline_kernelINS0_14default_configENS1_27scan_by_key_config_selectorIxiEEZZNS1_16scan_by_key_implILNS1_25lookback_scan_determinismE0ELb1ES3_N6thrust23THRUST_200600_302600_NS6detail15normal_iteratorINS9_10device_ptrIxEEEESE_SE_iNS9_4plusIvEENS9_8equal_toIvEEiEE10hipError_tPvRmT2_T3_T4_T5_mT6_T7_P12ihipStream_tbENKUlT_T0_E_clISt17integral_constantIbLb1EESZ_EEDaSU_SV_EUlSU_E_NS1_11comp_targetILNS1_3genE2ELNS1_11target_archE906ELNS1_3gpuE6ELNS1_3repE0EEENS1_30default_config_static_selectorELNS0_4arch9wavefront6targetE1EEEvT1_,"axG",@progbits,_ZN7rocprim17ROCPRIM_400000_NS6detail17trampoline_kernelINS0_14default_configENS1_27scan_by_key_config_selectorIxiEEZZNS1_16scan_by_key_implILNS1_25lookback_scan_determinismE0ELb1ES3_N6thrust23THRUST_200600_302600_NS6detail15normal_iteratorINS9_10device_ptrIxEEEESE_SE_iNS9_4plusIvEENS9_8equal_toIvEEiEE10hipError_tPvRmT2_T3_T4_T5_mT6_T7_P12ihipStream_tbENKUlT_T0_E_clISt17integral_constantIbLb1EESZ_EEDaSU_SV_EUlSU_E_NS1_11comp_targetILNS1_3genE2ELNS1_11target_archE906ELNS1_3gpuE6ELNS1_3repE0EEENS1_30default_config_static_selectorELNS0_4arch9wavefront6targetE1EEEvT1_,comdat
	.protected	_ZN7rocprim17ROCPRIM_400000_NS6detail17trampoline_kernelINS0_14default_configENS1_27scan_by_key_config_selectorIxiEEZZNS1_16scan_by_key_implILNS1_25lookback_scan_determinismE0ELb1ES3_N6thrust23THRUST_200600_302600_NS6detail15normal_iteratorINS9_10device_ptrIxEEEESE_SE_iNS9_4plusIvEENS9_8equal_toIvEEiEE10hipError_tPvRmT2_T3_T4_T5_mT6_T7_P12ihipStream_tbENKUlT_T0_E_clISt17integral_constantIbLb1EESZ_EEDaSU_SV_EUlSU_E_NS1_11comp_targetILNS1_3genE2ELNS1_11target_archE906ELNS1_3gpuE6ELNS1_3repE0EEENS1_30default_config_static_selectorELNS0_4arch9wavefront6targetE1EEEvT1_ ; -- Begin function _ZN7rocprim17ROCPRIM_400000_NS6detail17trampoline_kernelINS0_14default_configENS1_27scan_by_key_config_selectorIxiEEZZNS1_16scan_by_key_implILNS1_25lookback_scan_determinismE0ELb1ES3_N6thrust23THRUST_200600_302600_NS6detail15normal_iteratorINS9_10device_ptrIxEEEESE_SE_iNS9_4plusIvEENS9_8equal_toIvEEiEE10hipError_tPvRmT2_T3_T4_T5_mT6_T7_P12ihipStream_tbENKUlT_T0_E_clISt17integral_constantIbLb1EESZ_EEDaSU_SV_EUlSU_E_NS1_11comp_targetILNS1_3genE2ELNS1_11target_archE906ELNS1_3gpuE6ELNS1_3repE0EEENS1_30default_config_static_selectorELNS0_4arch9wavefront6targetE1EEEvT1_
	.globl	_ZN7rocprim17ROCPRIM_400000_NS6detail17trampoline_kernelINS0_14default_configENS1_27scan_by_key_config_selectorIxiEEZZNS1_16scan_by_key_implILNS1_25lookback_scan_determinismE0ELb1ES3_N6thrust23THRUST_200600_302600_NS6detail15normal_iteratorINS9_10device_ptrIxEEEESE_SE_iNS9_4plusIvEENS9_8equal_toIvEEiEE10hipError_tPvRmT2_T3_T4_T5_mT6_T7_P12ihipStream_tbENKUlT_T0_E_clISt17integral_constantIbLb1EESZ_EEDaSU_SV_EUlSU_E_NS1_11comp_targetILNS1_3genE2ELNS1_11target_archE906ELNS1_3gpuE6ELNS1_3repE0EEENS1_30default_config_static_selectorELNS0_4arch9wavefront6targetE1EEEvT1_
	.p2align	8
	.type	_ZN7rocprim17ROCPRIM_400000_NS6detail17trampoline_kernelINS0_14default_configENS1_27scan_by_key_config_selectorIxiEEZZNS1_16scan_by_key_implILNS1_25lookback_scan_determinismE0ELb1ES3_N6thrust23THRUST_200600_302600_NS6detail15normal_iteratorINS9_10device_ptrIxEEEESE_SE_iNS9_4plusIvEENS9_8equal_toIvEEiEE10hipError_tPvRmT2_T3_T4_T5_mT6_T7_P12ihipStream_tbENKUlT_T0_E_clISt17integral_constantIbLb1EESZ_EEDaSU_SV_EUlSU_E_NS1_11comp_targetILNS1_3genE2ELNS1_11target_archE906ELNS1_3gpuE6ELNS1_3repE0EEENS1_30default_config_static_selectorELNS0_4arch9wavefront6targetE1EEEvT1_,@function
_ZN7rocprim17ROCPRIM_400000_NS6detail17trampoline_kernelINS0_14default_configENS1_27scan_by_key_config_selectorIxiEEZZNS1_16scan_by_key_implILNS1_25lookback_scan_determinismE0ELb1ES3_N6thrust23THRUST_200600_302600_NS6detail15normal_iteratorINS9_10device_ptrIxEEEESE_SE_iNS9_4plusIvEENS9_8equal_toIvEEiEE10hipError_tPvRmT2_T3_T4_T5_mT6_T7_P12ihipStream_tbENKUlT_T0_E_clISt17integral_constantIbLb1EESZ_EEDaSU_SV_EUlSU_E_NS1_11comp_targetILNS1_3genE2ELNS1_11target_archE906ELNS1_3gpuE6ELNS1_3repE0EEENS1_30default_config_static_selectorELNS0_4arch9wavefront6targetE1EEEvT1_: ; @_ZN7rocprim17ROCPRIM_400000_NS6detail17trampoline_kernelINS0_14default_configENS1_27scan_by_key_config_selectorIxiEEZZNS1_16scan_by_key_implILNS1_25lookback_scan_determinismE0ELb1ES3_N6thrust23THRUST_200600_302600_NS6detail15normal_iteratorINS9_10device_ptrIxEEEESE_SE_iNS9_4plusIvEENS9_8equal_toIvEEiEE10hipError_tPvRmT2_T3_T4_T5_mT6_T7_P12ihipStream_tbENKUlT_T0_E_clISt17integral_constantIbLb1EESZ_EEDaSU_SV_EUlSU_E_NS1_11comp_targetILNS1_3genE2ELNS1_11target_archE906ELNS1_3gpuE6ELNS1_3repE0EEENS1_30default_config_static_selectorELNS0_4arch9wavefront6targetE1EEEvT1_
; %bb.0:
	.section	.rodata,"a",@progbits
	.p2align	6, 0x0
	.amdhsa_kernel _ZN7rocprim17ROCPRIM_400000_NS6detail17trampoline_kernelINS0_14default_configENS1_27scan_by_key_config_selectorIxiEEZZNS1_16scan_by_key_implILNS1_25lookback_scan_determinismE0ELb1ES3_N6thrust23THRUST_200600_302600_NS6detail15normal_iteratorINS9_10device_ptrIxEEEESE_SE_iNS9_4plusIvEENS9_8equal_toIvEEiEE10hipError_tPvRmT2_T3_T4_T5_mT6_T7_P12ihipStream_tbENKUlT_T0_E_clISt17integral_constantIbLb1EESZ_EEDaSU_SV_EUlSU_E_NS1_11comp_targetILNS1_3genE2ELNS1_11target_archE906ELNS1_3gpuE6ELNS1_3repE0EEENS1_30default_config_static_selectorELNS0_4arch9wavefront6targetE1EEEvT1_
		.amdhsa_group_segment_fixed_size 0
		.amdhsa_private_segment_fixed_size 0
		.amdhsa_kernarg_size 112
		.amdhsa_user_sgpr_count 2
		.amdhsa_user_sgpr_dispatch_ptr 0
		.amdhsa_user_sgpr_queue_ptr 0
		.amdhsa_user_sgpr_kernarg_segment_ptr 1
		.amdhsa_user_sgpr_dispatch_id 0
		.amdhsa_user_sgpr_kernarg_preload_length 0
		.amdhsa_user_sgpr_kernarg_preload_offset 0
		.amdhsa_user_sgpr_private_segment_size 0
		.amdhsa_uses_dynamic_stack 0
		.amdhsa_enable_private_segment 0
		.amdhsa_system_sgpr_workgroup_id_x 1
		.amdhsa_system_sgpr_workgroup_id_y 0
		.amdhsa_system_sgpr_workgroup_id_z 0
		.amdhsa_system_sgpr_workgroup_info 0
		.amdhsa_system_vgpr_workitem_id 0
		.amdhsa_next_free_vgpr 1
		.amdhsa_next_free_sgpr 0
		.amdhsa_accum_offset 4
		.amdhsa_reserve_vcc 0
		.amdhsa_float_round_mode_32 0
		.amdhsa_float_round_mode_16_64 0
		.amdhsa_float_denorm_mode_32 3
		.amdhsa_float_denorm_mode_16_64 3
		.amdhsa_dx10_clamp 1
		.amdhsa_ieee_mode 1
		.amdhsa_fp16_overflow 0
		.amdhsa_tg_split 0
		.amdhsa_exception_fp_ieee_invalid_op 0
		.amdhsa_exception_fp_denorm_src 0
		.amdhsa_exception_fp_ieee_div_zero 0
		.amdhsa_exception_fp_ieee_overflow 0
		.amdhsa_exception_fp_ieee_underflow 0
		.amdhsa_exception_fp_ieee_inexact 0
		.amdhsa_exception_int_div_zero 0
	.end_amdhsa_kernel
	.section	.text._ZN7rocprim17ROCPRIM_400000_NS6detail17trampoline_kernelINS0_14default_configENS1_27scan_by_key_config_selectorIxiEEZZNS1_16scan_by_key_implILNS1_25lookback_scan_determinismE0ELb1ES3_N6thrust23THRUST_200600_302600_NS6detail15normal_iteratorINS9_10device_ptrIxEEEESE_SE_iNS9_4plusIvEENS9_8equal_toIvEEiEE10hipError_tPvRmT2_T3_T4_T5_mT6_T7_P12ihipStream_tbENKUlT_T0_E_clISt17integral_constantIbLb1EESZ_EEDaSU_SV_EUlSU_E_NS1_11comp_targetILNS1_3genE2ELNS1_11target_archE906ELNS1_3gpuE6ELNS1_3repE0EEENS1_30default_config_static_selectorELNS0_4arch9wavefront6targetE1EEEvT1_,"axG",@progbits,_ZN7rocprim17ROCPRIM_400000_NS6detail17trampoline_kernelINS0_14default_configENS1_27scan_by_key_config_selectorIxiEEZZNS1_16scan_by_key_implILNS1_25lookback_scan_determinismE0ELb1ES3_N6thrust23THRUST_200600_302600_NS6detail15normal_iteratorINS9_10device_ptrIxEEEESE_SE_iNS9_4plusIvEENS9_8equal_toIvEEiEE10hipError_tPvRmT2_T3_T4_T5_mT6_T7_P12ihipStream_tbENKUlT_T0_E_clISt17integral_constantIbLb1EESZ_EEDaSU_SV_EUlSU_E_NS1_11comp_targetILNS1_3genE2ELNS1_11target_archE906ELNS1_3gpuE6ELNS1_3repE0EEENS1_30default_config_static_selectorELNS0_4arch9wavefront6targetE1EEEvT1_,comdat
.Lfunc_end1017:
	.size	_ZN7rocprim17ROCPRIM_400000_NS6detail17trampoline_kernelINS0_14default_configENS1_27scan_by_key_config_selectorIxiEEZZNS1_16scan_by_key_implILNS1_25lookback_scan_determinismE0ELb1ES3_N6thrust23THRUST_200600_302600_NS6detail15normal_iteratorINS9_10device_ptrIxEEEESE_SE_iNS9_4plusIvEENS9_8equal_toIvEEiEE10hipError_tPvRmT2_T3_T4_T5_mT6_T7_P12ihipStream_tbENKUlT_T0_E_clISt17integral_constantIbLb1EESZ_EEDaSU_SV_EUlSU_E_NS1_11comp_targetILNS1_3genE2ELNS1_11target_archE906ELNS1_3gpuE6ELNS1_3repE0EEENS1_30default_config_static_selectorELNS0_4arch9wavefront6targetE1EEEvT1_, .Lfunc_end1017-_ZN7rocprim17ROCPRIM_400000_NS6detail17trampoline_kernelINS0_14default_configENS1_27scan_by_key_config_selectorIxiEEZZNS1_16scan_by_key_implILNS1_25lookback_scan_determinismE0ELb1ES3_N6thrust23THRUST_200600_302600_NS6detail15normal_iteratorINS9_10device_ptrIxEEEESE_SE_iNS9_4plusIvEENS9_8equal_toIvEEiEE10hipError_tPvRmT2_T3_T4_T5_mT6_T7_P12ihipStream_tbENKUlT_T0_E_clISt17integral_constantIbLb1EESZ_EEDaSU_SV_EUlSU_E_NS1_11comp_targetILNS1_3genE2ELNS1_11target_archE906ELNS1_3gpuE6ELNS1_3repE0EEENS1_30default_config_static_selectorELNS0_4arch9wavefront6targetE1EEEvT1_
                                        ; -- End function
	.section	.AMDGPU.csdata,"",@progbits
; Kernel info:
; codeLenInByte = 0
; NumSgprs: 6
; NumVgprs: 0
; NumAgprs: 0
; TotalNumVgprs: 0
; ScratchSize: 0
; MemoryBound: 0
; FloatMode: 240
; IeeeMode: 1
; LDSByteSize: 0 bytes/workgroup (compile time only)
; SGPRBlocks: 0
; VGPRBlocks: 0
; NumSGPRsForWavesPerEU: 6
; NumVGPRsForWavesPerEU: 1
; AccumOffset: 4
; Occupancy: 8
; WaveLimiterHint : 0
; COMPUTE_PGM_RSRC2:SCRATCH_EN: 0
; COMPUTE_PGM_RSRC2:USER_SGPR: 2
; COMPUTE_PGM_RSRC2:TRAP_HANDLER: 0
; COMPUTE_PGM_RSRC2:TGID_X_EN: 1
; COMPUTE_PGM_RSRC2:TGID_Y_EN: 0
; COMPUTE_PGM_RSRC2:TGID_Z_EN: 0
; COMPUTE_PGM_RSRC2:TIDIG_COMP_CNT: 0
; COMPUTE_PGM_RSRC3_GFX90A:ACCUM_OFFSET: 0
; COMPUTE_PGM_RSRC3_GFX90A:TG_SPLIT: 0
	.section	.text._ZN7rocprim17ROCPRIM_400000_NS6detail17trampoline_kernelINS0_14default_configENS1_27scan_by_key_config_selectorIxiEEZZNS1_16scan_by_key_implILNS1_25lookback_scan_determinismE0ELb1ES3_N6thrust23THRUST_200600_302600_NS6detail15normal_iteratorINS9_10device_ptrIxEEEESE_SE_iNS9_4plusIvEENS9_8equal_toIvEEiEE10hipError_tPvRmT2_T3_T4_T5_mT6_T7_P12ihipStream_tbENKUlT_T0_E_clISt17integral_constantIbLb1EESZ_EEDaSU_SV_EUlSU_E_NS1_11comp_targetILNS1_3genE10ELNS1_11target_archE1200ELNS1_3gpuE4ELNS1_3repE0EEENS1_30default_config_static_selectorELNS0_4arch9wavefront6targetE1EEEvT1_,"axG",@progbits,_ZN7rocprim17ROCPRIM_400000_NS6detail17trampoline_kernelINS0_14default_configENS1_27scan_by_key_config_selectorIxiEEZZNS1_16scan_by_key_implILNS1_25lookback_scan_determinismE0ELb1ES3_N6thrust23THRUST_200600_302600_NS6detail15normal_iteratorINS9_10device_ptrIxEEEESE_SE_iNS9_4plusIvEENS9_8equal_toIvEEiEE10hipError_tPvRmT2_T3_T4_T5_mT6_T7_P12ihipStream_tbENKUlT_T0_E_clISt17integral_constantIbLb1EESZ_EEDaSU_SV_EUlSU_E_NS1_11comp_targetILNS1_3genE10ELNS1_11target_archE1200ELNS1_3gpuE4ELNS1_3repE0EEENS1_30default_config_static_selectorELNS0_4arch9wavefront6targetE1EEEvT1_,comdat
	.protected	_ZN7rocprim17ROCPRIM_400000_NS6detail17trampoline_kernelINS0_14default_configENS1_27scan_by_key_config_selectorIxiEEZZNS1_16scan_by_key_implILNS1_25lookback_scan_determinismE0ELb1ES3_N6thrust23THRUST_200600_302600_NS6detail15normal_iteratorINS9_10device_ptrIxEEEESE_SE_iNS9_4plusIvEENS9_8equal_toIvEEiEE10hipError_tPvRmT2_T3_T4_T5_mT6_T7_P12ihipStream_tbENKUlT_T0_E_clISt17integral_constantIbLb1EESZ_EEDaSU_SV_EUlSU_E_NS1_11comp_targetILNS1_3genE10ELNS1_11target_archE1200ELNS1_3gpuE4ELNS1_3repE0EEENS1_30default_config_static_selectorELNS0_4arch9wavefront6targetE1EEEvT1_ ; -- Begin function _ZN7rocprim17ROCPRIM_400000_NS6detail17trampoline_kernelINS0_14default_configENS1_27scan_by_key_config_selectorIxiEEZZNS1_16scan_by_key_implILNS1_25lookback_scan_determinismE0ELb1ES3_N6thrust23THRUST_200600_302600_NS6detail15normal_iteratorINS9_10device_ptrIxEEEESE_SE_iNS9_4plusIvEENS9_8equal_toIvEEiEE10hipError_tPvRmT2_T3_T4_T5_mT6_T7_P12ihipStream_tbENKUlT_T0_E_clISt17integral_constantIbLb1EESZ_EEDaSU_SV_EUlSU_E_NS1_11comp_targetILNS1_3genE10ELNS1_11target_archE1200ELNS1_3gpuE4ELNS1_3repE0EEENS1_30default_config_static_selectorELNS0_4arch9wavefront6targetE1EEEvT1_
	.globl	_ZN7rocprim17ROCPRIM_400000_NS6detail17trampoline_kernelINS0_14default_configENS1_27scan_by_key_config_selectorIxiEEZZNS1_16scan_by_key_implILNS1_25lookback_scan_determinismE0ELb1ES3_N6thrust23THRUST_200600_302600_NS6detail15normal_iteratorINS9_10device_ptrIxEEEESE_SE_iNS9_4plusIvEENS9_8equal_toIvEEiEE10hipError_tPvRmT2_T3_T4_T5_mT6_T7_P12ihipStream_tbENKUlT_T0_E_clISt17integral_constantIbLb1EESZ_EEDaSU_SV_EUlSU_E_NS1_11comp_targetILNS1_3genE10ELNS1_11target_archE1200ELNS1_3gpuE4ELNS1_3repE0EEENS1_30default_config_static_selectorELNS0_4arch9wavefront6targetE1EEEvT1_
	.p2align	8
	.type	_ZN7rocprim17ROCPRIM_400000_NS6detail17trampoline_kernelINS0_14default_configENS1_27scan_by_key_config_selectorIxiEEZZNS1_16scan_by_key_implILNS1_25lookback_scan_determinismE0ELb1ES3_N6thrust23THRUST_200600_302600_NS6detail15normal_iteratorINS9_10device_ptrIxEEEESE_SE_iNS9_4plusIvEENS9_8equal_toIvEEiEE10hipError_tPvRmT2_T3_T4_T5_mT6_T7_P12ihipStream_tbENKUlT_T0_E_clISt17integral_constantIbLb1EESZ_EEDaSU_SV_EUlSU_E_NS1_11comp_targetILNS1_3genE10ELNS1_11target_archE1200ELNS1_3gpuE4ELNS1_3repE0EEENS1_30default_config_static_selectorELNS0_4arch9wavefront6targetE1EEEvT1_,@function
_ZN7rocprim17ROCPRIM_400000_NS6detail17trampoline_kernelINS0_14default_configENS1_27scan_by_key_config_selectorIxiEEZZNS1_16scan_by_key_implILNS1_25lookback_scan_determinismE0ELb1ES3_N6thrust23THRUST_200600_302600_NS6detail15normal_iteratorINS9_10device_ptrIxEEEESE_SE_iNS9_4plusIvEENS9_8equal_toIvEEiEE10hipError_tPvRmT2_T3_T4_T5_mT6_T7_P12ihipStream_tbENKUlT_T0_E_clISt17integral_constantIbLb1EESZ_EEDaSU_SV_EUlSU_E_NS1_11comp_targetILNS1_3genE10ELNS1_11target_archE1200ELNS1_3gpuE4ELNS1_3repE0EEENS1_30default_config_static_selectorELNS0_4arch9wavefront6targetE1EEEvT1_: ; @_ZN7rocprim17ROCPRIM_400000_NS6detail17trampoline_kernelINS0_14default_configENS1_27scan_by_key_config_selectorIxiEEZZNS1_16scan_by_key_implILNS1_25lookback_scan_determinismE0ELb1ES3_N6thrust23THRUST_200600_302600_NS6detail15normal_iteratorINS9_10device_ptrIxEEEESE_SE_iNS9_4plusIvEENS9_8equal_toIvEEiEE10hipError_tPvRmT2_T3_T4_T5_mT6_T7_P12ihipStream_tbENKUlT_T0_E_clISt17integral_constantIbLb1EESZ_EEDaSU_SV_EUlSU_E_NS1_11comp_targetILNS1_3genE10ELNS1_11target_archE1200ELNS1_3gpuE4ELNS1_3repE0EEENS1_30default_config_static_selectorELNS0_4arch9wavefront6targetE1EEEvT1_
; %bb.0:
	.section	.rodata,"a",@progbits
	.p2align	6, 0x0
	.amdhsa_kernel _ZN7rocprim17ROCPRIM_400000_NS6detail17trampoline_kernelINS0_14default_configENS1_27scan_by_key_config_selectorIxiEEZZNS1_16scan_by_key_implILNS1_25lookback_scan_determinismE0ELb1ES3_N6thrust23THRUST_200600_302600_NS6detail15normal_iteratorINS9_10device_ptrIxEEEESE_SE_iNS9_4plusIvEENS9_8equal_toIvEEiEE10hipError_tPvRmT2_T3_T4_T5_mT6_T7_P12ihipStream_tbENKUlT_T0_E_clISt17integral_constantIbLb1EESZ_EEDaSU_SV_EUlSU_E_NS1_11comp_targetILNS1_3genE10ELNS1_11target_archE1200ELNS1_3gpuE4ELNS1_3repE0EEENS1_30default_config_static_selectorELNS0_4arch9wavefront6targetE1EEEvT1_
		.amdhsa_group_segment_fixed_size 0
		.amdhsa_private_segment_fixed_size 0
		.amdhsa_kernarg_size 112
		.amdhsa_user_sgpr_count 2
		.amdhsa_user_sgpr_dispatch_ptr 0
		.amdhsa_user_sgpr_queue_ptr 0
		.amdhsa_user_sgpr_kernarg_segment_ptr 1
		.amdhsa_user_sgpr_dispatch_id 0
		.amdhsa_user_sgpr_kernarg_preload_length 0
		.amdhsa_user_sgpr_kernarg_preload_offset 0
		.amdhsa_user_sgpr_private_segment_size 0
		.amdhsa_uses_dynamic_stack 0
		.amdhsa_enable_private_segment 0
		.amdhsa_system_sgpr_workgroup_id_x 1
		.amdhsa_system_sgpr_workgroup_id_y 0
		.amdhsa_system_sgpr_workgroup_id_z 0
		.amdhsa_system_sgpr_workgroup_info 0
		.amdhsa_system_vgpr_workitem_id 0
		.amdhsa_next_free_vgpr 1
		.amdhsa_next_free_sgpr 0
		.amdhsa_accum_offset 4
		.amdhsa_reserve_vcc 0
		.amdhsa_float_round_mode_32 0
		.amdhsa_float_round_mode_16_64 0
		.amdhsa_float_denorm_mode_32 3
		.amdhsa_float_denorm_mode_16_64 3
		.amdhsa_dx10_clamp 1
		.amdhsa_ieee_mode 1
		.amdhsa_fp16_overflow 0
		.amdhsa_tg_split 0
		.amdhsa_exception_fp_ieee_invalid_op 0
		.amdhsa_exception_fp_denorm_src 0
		.amdhsa_exception_fp_ieee_div_zero 0
		.amdhsa_exception_fp_ieee_overflow 0
		.amdhsa_exception_fp_ieee_underflow 0
		.amdhsa_exception_fp_ieee_inexact 0
		.amdhsa_exception_int_div_zero 0
	.end_amdhsa_kernel
	.section	.text._ZN7rocprim17ROCPRIM_400000_NS6detail17trampoline_kernelINS0_14default_configENS1_27scan_by_key_config_selectorIxiEEZZNS1_16scan_by_key_implILNS1_25lookback_scan_determinismE0ELb1ES3_N6thrust23THRUST_200600_302600_NS6detail15normal_iteratorINS9_10device_ptrIxEEEESE_SE_iNS9_4plusIvEENS9_8equal_toIvEEiEE10hipError_tPvRmT2_T3_T4_T5_mT6_T7_P12ihipStream_tbENKUlT_T0_E_clISt17integral_constantIbLb1EESZ_EEDaSU_SV_EUlSU_E_NS1_11comp_targetILNS1_3genE10ELNS1_11target_archE1200ELNS1_3gpuE4ELNS1_3repE0EEENS1_30default_config_static_selectorELNS0_4arch9wavefront6targetE1EEEvT1_,"axG",@progbits,_ZN7rocprim17ROCPRIM_400000_NS6detail17trampoline_kernelINS0_14default_configENS1_27scan_by_key_config_selectorIxiEEZZNS1_16scan_by_key_implILNS1_25lookback_scan_determinismE0ELb1ES3_N6thrust23THRUST_200600_302600_NS6detail15normal_iteratorINS9_10device_ptrIxEEEESE_SE_iNS9_4plusIvEENS9_8equal_toIvEEiEE10hipError_tPvRmT2_T3_T4_T5_mT6_T7_P12ihipStream_tbENKUlT_T0_E_clISt17integral_constantIbLb1EESZ_EEDaSU_SV_EUlSU_E_NS1_11comp_targetILNS1_3genE10ELNS1_11target_archE1200ELNS1_3gpuE4ELNS1_3repE0EEENS1_30default_config_static_selectorELNS0_4arch9wavefront6targetE1EEEvT1_,comdat
.Lfunc_end1018:
	.size	_ZN7rocprim17ROCPRIM_400000_NS6detail17trampoline_kernelINS0_14default_configENS1_27scan_by_key_config_selectorIxiEEZZNS1_16scan_by_key_implILNS1_25lookback_scan_determinismE0ELb1ES3_N6thrust23THRUST_200600_302600_NS6detail15normal_iteratorINS9_10device_ptrIxEEEESE_SE_iNS9_4plusIvEENS9_8equal_toIvEEiEE10hipError_tPvRmT2_T3_T4_T5_mT6_T7_P12ihipStream_tbENKUlT_T0_E_clISt17integral_constantIbLb1EESZ_EEDaSU_SV_EUlSU_E_NS1_11comp_targetILNS1_3genE10ELNS1_11target_archE1200ELNS1_3gpuE4ELNS1_3repE0EEENS1_30default_config_static_selectorELNS0_4arch9wavefront6targetE1EEEvT1_, .Lfunc_end1018-_ZN7rocprim17ROCPRIM_400000_NS6detail17trampoline_kernelINS0_14default_configENS1_27scan_by_key_config_selectorIxiEEZZNS1_16scan_by_key_implILNS1_25lookback_scan_determinismE0ELb1ES3_N6thrust23THRUST_200600_302600_NS6detail15normal_iteratorINS9_10device_ptrIxEEEESE_SE_iNS9_4plusIvEENS9_8equal_toIvEEiEE10hipError_tPvRmT2_T3_T4_T5_mT6_T7_P12ihipStream_tbENKUlT_T0_E_clISt17integral_constantIbLb1EESZ_EEDaSU_SV_EUlSU_E_NS1_11comp_targetILNS1_3genE10ELNS1_11target_archE1200ELNS1_3gpuE4ELNS1_3repE0EEENS1_30default_config_static_selectorELNS0_4arch9wavefront6targetE1EEEvT1_
                                        ; -- End function
	.section	.AMDGPU.csdata,"",@progbits
; Kernel info:
; codeLenInByte = 0
; NumSgprs: 6
; NumVgprs: 0
; NumAgprs: 0
; TotalNumVgprs: 0
; ScratchSize: 0
; MemoryBound: 0
; FloatMode: 240
; IeeeMode: 1
; LDSByteSize: 0 bytes/workgroup (compile time only)
; SGPRBlocks: 0
; VGPRBlocks: 0
; NumSGPRsForWavesPerEU: 6
; NumVGPRsForWavesPerEU: 1
; AccumOffset: 4
; Occupancy: 8
; WaveLimiterHint : 0
; COMPUTE_PGM_RSRC2:SCRATCH_EN: 0
; COMPUTE_PGM_RSRC2:USER_SGPR: 2
; COMPUTE_PGM_RSRC2:TRAP_HANDLER: 0
; COMPUTE_PGM_RSRC2:TGID_X_EN: 1
; COMPUTE_PGM_RSRC2:TGID_Y_EN: 0
; COMPUTE_PGM_RSRC2:TGID_Z_EN: 0
; COMPUTE_PGM_RSRC2:TIDIG_COMP_CNT: 0
; COMPUTE_PGM_RSRC3_GFX90A:ACCUM_OFFSET: 0
; COMPUTE_PGM_RSRC3_GFX90A:TG_SPLIT: 0
	.section	.text._ZN7rocprim17ROCPRIM_400000_NS6detail17trampoline_kernelINS0_14default_configENS1_27scan_by_key_config_selectorIxiEEZZNS1_16scan_by_key_implILNS1_25lookback_scan_determinismE0ELb1ES3_N6thrust23THRUST_200600_302600_NS6detail15normal_iteratorINS9_10device_ptrIxEEEESE_SE_iNS9_4plusIvEENS9_8equal_toIvEEiEE10hipError_tPvRmT2_T3_T4_T5_mT6_T7_P12ihipStream_tbENKUlT_T0_E_clISt17integral_constantIbLb1EESZ_EEDaSU_SV_EUlSU_E_NS1_11comp_targetILNS1_3genE9ELNS1_11target_archE1100ELNS1_3gpuE3ELNS1_3repE0EEENS1_30default_config_static_selectorELNS0_4arch9wavefront6targetE1EEEvT1_,"axG",@progbits,_ZN7rocprim17ROCPRIM_400000_NS6detail17trampoline_kernelINS0_14default_configENS1_27scan_by_key_config_selectorIxiEEZZNS1_16scan_by_key_implILNS1_25lookback_scan_determinismE0ELb1ES3_N6thrust23THRUST_200600_302600_NS6detail15normal_iteratorINS9_10device_ptrIxEEEESE_SE_iNS9_4plusIvEENS9_8equal_toIvEEiEE10hipError_tPvRmT2_T3_T4_T5_mT6_T7_P12ihipStream_tbENKUlT_T0_E_clISt17integral_constantIbLb1EESZ_EEDaSU_SV_EUlSU_E_NS1_11comp_targetILNS1_3genE9ELNS1_11target_archE1100ELNS1_3gpuE3ELNS1_3repE0EEENS1_30default_config_static_selectorELNS0_4arch9wavefront6targetE1EEEvT1_,comdat
	.protected	_ZN7rocprim17ROCPRIM_400000_NS6detail17trampoline_kernelINS0_14default_configENS1_27scan_by_key_config_selectorIxiEEZZNS1_16scan_by_key_implILNS1_25lookback_scan_determinismE0ELb1ES3_N6thrust23THRUST_200600_302600_NS6detail15normal_iteratorINS9_10device_ptrIxEEEESE_SE_iNS9_4plusIvEENS9_8equal_toIvEEiEE10hipError_tPvRmT2_T3_T4_T5_mT6_T7_P12ihipStream_tbENKUlT_T0_E_clISt17integral_constantIbLb1EESZ_EEDaSU_SV_EUlSU_E_NS1_11comp_targetILNS1_3genE9ELNS1_11target_archE1100ELNS1_3gpuE3ELNS1_3repE0EEENS1_30default_config_static_selectorELNS0_4arch9wavefront6targetE1EEEvT1_ ; -- Begin function _ZN7rocprim17ROCPRIM_400000_NS6detail17trampoline_kernelINS0_14default_configENS1_27scan_by_key_config_selectorIxiEEZZNS1_16scan_by_key_implILNS1_25lookback_scan_determinismE0ELb1ES3_N6thrust23THRUST_200600_302600_NS6detail15normal_iteratorINS9_10device_ptrIxEEEESE_SE_iNS9_4plusIvEENS9_8equal_toIvEEiEE10hipError_tPvRmT2_T3_T4_T5_mT6_T7_P12ihipStream_tbENKUlT_T0_E_clISt17integral_constantIbLb1EESZ_EEDaSU_SV_EUlSU_E_NS1_11comp_targetILNS1_3genE9ELNS1_11target_archE1100ELNS1_3gpuE3ELNS1_3repE0EEENS1_30default_config_static_selectorELNS0_4arch9wavefront6targetE1EEEvT1_
	.globl	_ZN7rocprim17ROCPRIM_400000_NS6detail17trampoline_kernelINS0_14default_configENS1_27scan_by_key_config_selectorIxiEEZZNS1_16scan_by_key_implILNS1_25lookback_scan_determinismE0ELb1ES3_N6thrust23THRUST_200600_302600_NS6detail15normal_iteratorINS9_10device_ptrIxEEEESE_SE_iNS9_4plusIvEENS9_8equal_toIvEEiEE10hipError_tPvRmT2_T3_T4_T5_mT6_T7_P12ihipStream_tbENKUlT_T0_E_clISt17integral_constantIbLb1EESZ_EEDaSU_SV_EUlSU_E_NS1_11comp_targetILNS1_3genE9ELNS1_11target_archE1100ELNS1_3gpuE3ELNS1_3repE0EEENS1_30default_config_static_selectorELNS0_4arch9wavefront6targetE1EEEvT1_
	.p2align	8
	.type	_ZN7rocprim17ROCPRIM_400000_NS6detail17trampoline_kernelINS0_14default_configENS1_27scan_by_key_config_selectorIxiEEZZNS1_16scan_by_key_implILNS1_25lookback_scan_determinismE0ELb1ES3_N6thrust23THRUST_200600_302600_NS6detail15normal_iteratorINS9_10device_ptrIxEEEESE_SE_iNS9_4plusIvEENS9_8equal_toIvEEiEE10hipError_tPvRmT2_T3_T4_T5_mT6_T7_P12ihipStream_tbENKUlT_T0_E_clISt17integral_constantIbLb1EESZ_EEDaSU_SV_EUlSU_E_NS1_11comp_targetILNS1_3genE9ELNS1_11target_archE1100ELNS1_3gpuE3ELNS1_3repE0EEENS1_30default_config_static_selectorELNS0_4arch9wavefront6targetE1EEEvT1_,@function
_ZN7rocprim17ROCPRIM_400000_NS6detail17trampoline_kernelINS0_14default_configENS1_27scan_by_key_config_selectorIxiEEZZNS1_16scan_by_key_implILNS1_25lookback_scan_determinismE0ELb1ES3_N6thrust23THRUST_200600_302600_NS6detail15normal_iteratorINS9_10device_ptrIxEEEESE_SE_iNS9_4plusIvEENS9_8equal_toIvEEiEE10hipError_tPvRmT2_T3_T4_T5_mT6_T7_P12ihipStream_tbENKUlT_T0_E_clISt17integral_constantIbLb1EESZ_EEDaSU_SV_EUlSU_E_NS1_11comp_targetILNS1_3genE9ELNS1_11target_archE1100ELNS1_3gpuE3ELNS1_3repE0EEENS1_30default_config_static_selectorELNS0_4arch9wavefront6targetE1EEEvT1_: ; @_ZN7rocprim17ROCPRIM_400000_NS6detail17trampoline_kernelINS0_14default_configENS1_27scan_by_key_config_selectorIxiEEZZNS1_16scan_by_key_implILNS1_25lookback_scan_determinismE0ELb1ES3_N6thrust23THRUST_200600_302600_NS6detail15normal_iteratorINS9_10device_ptrIxEEEESE_SE_iNS9_4plusIvEENS9_8equal_toIvEEiEE10hipError_tPvRmT2_T3_T4_T5_mT6_T7_P12ihipStream_tbENKUlT_T0_E_clISt17integral_constantIbLb1EESZ_EEDaSU_SV_EUlSU_E_NS1_11comp_targetILNS1_3genE9ELNS1_11target_archE1100ELNS1_3gpuE3ELNS1_3repE0EEENS1_30default_config_static_selectorELNS0_4arch9wavefront6targetE1EEEvT1_
; %bb.0:
	.section	.rodata,"a",@progbits
	.p2align	6, 0x0
	.amdhsa_kernel _ZN7rocprim17ROCPRIM_400000_NS6detail17trampoline_kernelINS0_14default_configENS1_27scan_by_key_config_selectorIxiEEZZNS1_16scan_by_key_implILNS1_25lookback_scan_determinismE0ELb1ES3_N6thrust23THRUST_200600_302600_NS6detail15normal_iteratorINS9_10device_ptrIxEEEESE_SE_iNS9_4plusIvEENS9_8equal_toIvEEiEE10hipError_tPvRmT2_T3_T4_T5_mT6_T7_P12ihipStream_tbENKUlT_T0_E_clISt17integral_constantIbLb1EESZ_EEDaSU_SV_EUlSU_E_NS1_11comp_targetILNS1_3genE9ELNS1_11target_archE1100ELNS1_3gpuE3ELNS1_3repE0EEENS1_30default_config_static_selectorELNS0_4arch9wavefront6targetE1EEEvT1_
		.amdhsa_group_segment_fixed_size 0
		.amdhsa_private_segment_fixed_size 0
		.amdhsa_kernarg_size 112
		.amdhsa_user_sgpr_count 2
		.amdhsa_user_sgpr_dispatch_ptr 0
		.amdhsa_user_sgpr_queue_ptr 0
		.amdhsa_user_sgpr_kernarg_segment_ptr 1
		.amdhsa_user_sgpr_dispatch_id 0
		.amdhsa_user_sgpr_kernarg_preload_length 0
		.amdhsa_user_sgpr_kernarg_preload_offset 0
		.amdhsa_user_sgpr_private_segment_size 0
		.amdhsa_uses_dynamic_stack 0
		.amdhsa_enable_private_segment 0
		.amdhsa_system_sgpr_workgroup_id_x 1
		.amdhsa_system_sgpr_workgroup_id_y 0
		.amdhsa_system_sgpr_workgroup_id_z 0
		.amdhsa_system_sgpr_workgroup_info 0
		.amdhsa_system_vgpr_workitem_id 0
		.amdhsa_next_free_vgpr 1
		.amdhsa_next_free_sgpr 0
		.amdhsa_accum_offset 4
		.amdhsa_reserve_vcc 0
		.amdhsa_float_round_mode_32 0
		.amdhsa_float_round_mode_16_64 0
		.amdhsa_float_denorm_mode_32 3
		.amdhsa_float_denorm_mode_16_64 3
		.amdhsa_dx10_clamp 1
		.amdhsa_ieee_mode 1
		.amdhsa_fp16_overflow 0
		.amdhsa_tg_split 0
		.amdhsa_exception_fp_ieee_invalid_op 0
		.amdhsa_exception_fp_denorm_src 0
		.amdhsa_exception_fp_ieee_div_zero 0
		.amdhsa_exception_fp_ieee_overflow 0
		.amdhsa_exception_fp_ieee_underflow 0
		.amdhsa_exception_fp_ieee_inexact 0
		.amdhsa_exception_int_div_zero 0
	.end_amdhsa_kernel
	.section	.text._ZN7rocprim17ROCPRIM_400000_NS6detail17trampoline_kernelINS0_14default_configENS1_27scan_by_key_config_selectorIxiEEZZNS1_16scan_by_key_implILNS1_25lookback_scan_determinismE0ELb1ES3_N6thrust23THRUST_200600_302600_NS6detail15normal_iteratorINS9_10device_ptrIxEEEESE_SE_iNS9_4plusIvEENS9_8equal_toIvEEiEE10hipError_tPvRmT2_T3_T4_T5_mT6_T7_P12ihipStream_tbENKUlT_T0_E_clISt17integral_constantIbLb1EESZ_EEDaSU_SV_EUlSU_E_NS1_11comp_targetILNS1_3genE9ELNS1_11target_archE1100ELNS1_3gpuE3ELNS1_3repE0EEENS1_30default_config_static_selectorELNS0_4arch9wavefront6targetE1EEEvT1_,"axG",@progbits,_ZN7rocprim17ROCPRIM_400000_NS6detail17trampoline_kernelINS0_14default_configENS1_27scan_by_key_config_selectorIxiEEZZNS1_16scan_by_key_implILNS1_25lookback_scan_determinismE0ELb1ES3_N6thrust23THRUST_200600_302600_NS6detail15normal_iteratorINS9_10device_ptrIxEEEESE_SE_iNS9_4plusIvEENS9_8equal_toIvEEiEE10hipError_tPvRmT2_T3_T4_T5_mT6_T7_P12ihipStream_tbENKUlT_T0_E_clISt17integral_constantIbLb1EESZ_EEDaSU_SV_EUlSU_E_NS1_11comp_targetILNS1_3genE9ELNS1_11target_archE1100ELNS1_3gpuE3ELNS1_3repE0EEENS1_30default_config_static_selectorELNS0_4arch9wavefront6targetE1EEEvT1_,comdat
.Lfunc_end1019:
	.size	_ZN7rocprim17ROCPRIM_400000_NS6detail17trampoline_kernelINS0_14default_configENS1_27scan_by_key_config_selectorIxiEEZZNS1_16scan_by_key_implILNS1_25lookback_scan_determinismE0ELb1ES3_N6thrust23THRUST_200600_302600_NS6detail15normal_iteratorINS9_10device_ptrIxEEEESE_SE_iNS9_4plusIvEENS9_8equal_toIvEEiEE10hipError_tPvRmT2_T3_T4_T5_mT6_T7_P12ihipStream_tbENKUlT_T0_E_clISt17integral_constantIbLb1EESZ_EEDaSU_SV_EUlSU_E_NS1_11comp_targetILNS1_3genE9ELNS1_11target_archE1100ELNS1_3gpuE3ELNS1_3repE0EEENS1_30default_config_static_selectorELNS0_4arch9wavefront6targetE1EEEvT1_, .Lfunc_end1019-_ZN7rocprim17ROCPRIM_400000_NS6detail17trampoline_kernelINS0_14default_configENS1_27scan_by_key_config_selectorIxiEEZZNS1_16scan_by_key_implILNS1_25lookback_scan_determinismE0ELb1ES3_N6thrust23THRUST_200600_302600_NS6detail15normal_iteratorINS9_10device_ptrIxEEEESE_SE_iNS9_4plusIvEENS9_8equal_toIvEEiEE10hipError_tPvRmT2_T3_T4_T5_mT6_T7_P12ihipStream_tbENKUlT_T0_E_clISt17integral_constantIbLb1EESZ_EEDaSU_SV_EUlSU_E_NS1_11comp_targetILNS1_3genE9ELNS1_11target_archE1100ELNS1_3gpuE3ELNS1_3repE0EEENS1_30default_config_static_selectorELNS0_4arch9wavefront6targetE1EEEvT1_
                                        ; -- End function
	.section	.AMDGPU.csdata,"",@progbits
; Kernel info:
; codeLenInByte = 0
; NumSgprs: 6
; NumVgprs: 0
; NumAgprs: 0
; TotalNumVgprs: 0
; ScratchSize: 0
; MemoryBound: 0
; FloatMode: 240
; IeeeMode: 1
; LDSByteSize: 0 bytes/workgroup (compile time only)
; SGPRBlocks: 0
; VGPRBlocks: 0
; NumSGPRsForWavesPerEU: 6
; NumVGPRsForWavesPerEU: 1
; AccumOffset: 4
; Occupancy: 8
; WaveLimiterHint : 0
; COMPUTE_PGM_RSRC2:SCRATCH_EN: 0
; COMPUTE_PGM_RSRC2:USER_SGPR: 2
; COMPUTE_PGM_RSRC2:TRAP_HANDLER: 0
; COMPUTE_PGM_RSRC2:TGID_X_EN: 1
; COMPUTE_PGM_RSRC2:TGID_Y_EN: 0
; COMPUTE_PGM_RSRC2:TGID_Z_EN: 0
; COMPUTE_PGM_RSRC2:TIDIG_COMP_CNT: 0
; COMPUTE_PGM_RSRC3_GFX90A:ACCUM_OFFSET: 0
; COMPUTE_PGM_RSRC3_GFX90A:TG_SPLIT: 0
	.section	.text._ZN7rocprim17ROCPRIM_400000_NS6detail17trampoline_kernelINS0_14default_configENS1_27scan_by_key_config_selectorIxiEEZZNS1_16scan_by_key_implILNS1_25lookback_scan_determinismE0ELb1ES3_N6thrust23THRUST_200600_302600_NS6detail15normal_iteratorINS9_10device_ptrIxEEEESE_SE_iNS9_4plusIvEENS9_8equal_toIvEEiEE10hipError_tPvRmT2_T3_T4_T5_mT6_T7_P12ihipStream_tbENKUlT_T0_E_clISt17integral_constantIbLb1EESZ_EEDaSU_SV_EUlSU_E_NS1_11comp_targetILNS1_3genE8ELNS1_11target_archE1030ELNS1_3gpuE2ELNS1_3repE0EEENS1_30default_config_static_selectorELNS0_4arch9wavefront6targetE1EEEvT1_,"axG",@progbits,_ZN7rocprim17ROCPRIM_400000_NS6detail17trampoline_kernelINS0_14default_configENS1_27scan_by_key_config_selectorIxiEEZZNS1_16scan_by_key_implILNS1_25lookback_scan_determinismE0ELb1ES3_N6thrust23THRUST_200600_302600_NS6detail15normal_iteratorINS9_10device_ptrIxEEEESE_SE_iNS9_4plusIvEENS9_8equal_toIvEEiEE10hipError_tPvRmT2_T3_T4_T5_mT6_T7_P12ihipStream_tbENKUlT_T0_E_clISt17integral_constantIbLb1EESZ_EEDaSU_SV_EUlSU_E_NS1_11comp_targetILNS1_3genE8ELNS1_11target_archE1030ELNS1_3gpuE2ELNS1_3repE0EEENS1_30default_config_static_selectorELNS0_4arch9wavefront6targetE1EEEvT1_,comdat
	.protected	_ZN7rocprim17ROCPRIM_400000_NS6detail17trampoline_kernelINS0_14default_configENS1_27scan_by_key_config_selectorIxiEEZZNS1_16scan_by_key_implILNS1_25lookback_scan_determinismE0ELb1ES3_N6thrust23THRUST_200600_302600_NS6detail15normal_iteratorINS9_10device_ptrIxEEEESE_SE_iNS9_4plusIvEENS9_8equal_toIvEEiEE10hipError_tPvRmT2_T3_T4_T5_mT6_T7_P12ihipStream_tbENKUlT_T0_E_clISt17integral_constantIbLb1EESZ_EEDaSU_SV_EUlSU_E_NS1_11comp_targetILNS1_3genE8ELNS1_11target_archE1030ELNS1_3gpuE2ELNS1_3repE0EEENS1_30default_config_static_selectorELNS0_4arch9wavefront6targetE1EEEvT1_ ; -- Begin function _ZN7rocprim17ROCPRIM_400000_NS6detail17trampoline_kernelINS0_14default_configENS1_27scan_by_key_config_selectorIxiEEZZNS1_16scan_by_key_implILNS1_25lookback_scan_determinismE0ELb1ES3_N6thrust23THRUST_200600_302600_NS6detail15normal_iteratorINS9_10device_ptrIxEEEESE_SE_iNS9_4plusIvEENS9_8equal_toIvEEiEE10hipError_tPvRmT2_T3_T4_T5_mT6_T7_P12ihipStream_tbENKUlT_T0_E_clISt17integral_constantIbLb1EESZ_EEDaSU_SV_EUlSU_E_NS1_11comp_targetILNS1_3genE8ELNS1_11target_archE1030ELNS1_3gpuE2ELNS1_3repE0EEENS1_30default_config_static_selectorELNS0_4arch9wavefront6targetE1EEEvT1_
	.globl	_ZN7rocprim17ROCPRIM_400000_NS6detail17trampoline_kernelINS0_14default_configENS1_27scan_by_key_config_selectorIxiEEZZNS1_16scan_by_key_implILNS1_25lookback_scan_determinismE0ELb1ES3_N6thrust23THRUST_200600_302600_NS6detail15normal_iteratorINS9_10device_ptrIxEEEESE_SE_iNS9_4plusIvEENS9_8equal_toIvEEiEE10hipError_tPvRmT2_T3_T4_T5_mT6_T7_P12ihipStream_tbENKUlT_T0_E_clISt17integral_constantIbLb1EESZ_EEDaSU_SV_EUlSU_E_NS1_11comp_targetILNS1_3genE8ELNS1_11target_archE1030ELNS1_3gpuE2ELNS1_3repE0EEENS1_30default_config_static_selectorELNS0_4arch9wavefront6targetE1EEEvT1_
	.p2align	8
	.type	_ZN7rocprim17ROCPRIM_400000_NS6detail17trampoline_kernelINS0_14default_configENS1_27scan_by_key_config_selectorIxiEEZZNS1_16scan_by_key_implILNS1_25lookback_scan_determinismE0ELb1ES3_N6thrust23THRUST_200600_302600_NS6detail15normal_iteratorINS9_10device_ptrIxEEEESE_SE_iNS9_4plusIvEENS9_8equal_toIvEEiEE10hipError_tPvRmT2_T3_T4_T5_mT6_T7_P12ihipStream_tbENKUlT_T0_E_clISt17integral_constantIbLb1EESZ_EEDaSU_SV_EUlSU_E_NS1_11comp_targetILNS1_3genE8ELNS1_11target_archE1030ELNS1_3gpuE2ELNS1_3repE0EEENS1_30default_config_static_selectorELNS0_4arch9wavefront6targetE1EEEvT1_,@function
_ZN7rocprim17ROCPRIM_400000_NS6detail17trampoline_kernelINS0_14default_configENS1_27scan_by_key_config_selectorIxiEEZZNS1_16scan_by_key_implILNS1_25lookback_scan_determinismE0ELb1ES3_N6thrust23THRUST_200600_302600_NS6detail15normal_iteratorINS9_10device_ptrIxEEEESE_SE_iNS9_4plusIvEENS9_8equal_toIvEEiEE10hipError_tPvRmT2_T3_T4_T5_mT6_T7_P12ihipStream_tbENKUlT_T0_E_clISt17integral_constantIbLb1EESZ_EEDaSU_SV_EUlSU_E_NS1_11comp_targetILNS1_3genE8ELNS1_11target_archE1030ELNS1_3gpuE2ELNS1_3repE0EEENS1_30default_config_static_selectorELNS0_4arch9wavefront6targetE1EEEvT1_: ; @_ZN7rocprim17ROCPRIM_400000_NS6detail17trampoline_kernelINS0_14default_configENS1_27scan_by_key_config_selectorIxiEEZZNS1_16scan_by_key_implILNS1_25lookback_scan_determinismE0ELb1ES3_N6thrust23THRUST_200600_302600_NS6detail15normal_iteratorINS9_10device_ptrIxEEEESE_SE_iNS9_4plusIvEENS9_8equal_toIvEEiEE10hipError_tPvRmT2_T3_T4_T5_mT6_T7_P12ihipStream_tbENKUlT_T0_E_clISt17integral_constantIbLb1EESZ_EEDaSU_SV_EUlSU_E_NS1_11comp_targetILNS1_3genE8ELNS1_11target_archE1030ELNS1_3gpuE2ELNS1_3repE0EEENS1_30default_config_static_selectorELNS0_4arch9wavefront6targetE1EEEvT1_
; %bb.0:
	.section	.rodata,"a",@progbits
	.p2align	6, 0x0
	.amdhsa_kernel _ZN7rocprim17ROCPRIM_400000_NS6detail17trampoline_kernelINS0_14default_configENS1_27scan_by_key_config_selectorIxiEEZZNS1_16scan_by_key_implILNS1_25lookback_scan_determinismE0ELb1ES3_N6thrust23THRUST_200600_302600_NS6detail15normal_iteratorINS9_10device_ptrIxEEEESE_SE_iNS9_4plusIvEENS9_8equal_toIvEEiEE10hipError_tPvRmT2_T3_T4_T5_mT6_T7_P12ihipStream_tbENKUlT_T0_E_clISt17integral_constantIbLb1EESZ_EEDaSU_SV_EUlSU_E_NS1_11comp_targetILNS1_3genE8ELNS1_11target_archE1030ELNS1_3gpuE2ELNS1_3repE0EEENS1_30default_config_static_selectorELNS0_4arch9wavefront6targetE1EEEvT1_
		.amdhsa_group_segment_fixed_size 0
		.amdhsa_private_segment_fixed_size 0
		.amdhsa_kernarg_size 112
		.amdhsa_user_sgpr_count 2
		.amdhsa_user_sgpr_dispatch_ptr 0
		.amdhsa_user_sgpr_queue_ptr 0
		.amdhsa_user_sgpr_kernarg_segment_ptr 1
		.amdhsa_user_sgpr_dispatch_id 0
		.amdhsa_user_sgpr_kernarg_preload_length 0
		.amdhsa_user_sgpr_kernarg_preload_offset 0
		.amdhsa_user_sgpr_private_segment_size 0
		.amdhsa_uses_dynamic_stack 0
		.amdhsa_enable_private_segment 0
		.amdhsa_system_sgpr_workgroup_id_x 1
		.amdhsa_system_sgpr_workgroup_id_y 0
		.amdhsa_system_sgpr_workgroup_id_z 0
		.amdhsa_system_sgpr_workgroup_info 0
		.amdhsa_system_vgpr_workitem_id 0
		.amdhsa_next_free_vgpr 1
		.amdhsa_next_free_sgpr 0
		.amdhsa_accum_offset 4
		.amdhsa_reserve_vcc 0
		.amdhsa_float_round_mode_32 0
		.amdhsa_float_round_mode_16_64 0
		.amdhsa_float_denorm_mode_32 3
		.amdhsa_float_denorm_mode_16_64 3
		.amdhsa_dx10_clamp 1
		.amdhsa_ieee_mode 1
		.amdhsa_fp16_overflow 0
		.amdhsa_tg_split 0
		.amdhsa_exception_fp_ieee_invalid_op 0
		.amdhsa_exception_fp_denorm_src 0
		.amdhsa_exception_fp_ieee_div_zero 0
		.amdhsa_exception_fp_ieee_overflow 0
		.amdhsa_exception_fp_ieee_underflow 0
		.amdhsa_exception_fp_ieee_inexact 0
		.amdhsa_exception_int_div_zero 0
	.end_amdhsa_kernel
	.section	.text._ZN7rocprim17ROCPRIM_400000_NS6detail17trampoline_kernelINS0_14default_configENS1_27scan_by_key_config_selectorIxiEEZZNS1_16scan_by_key_implILNS1_25lookback_scan_determinismE0ELb1ES3_N6thrust23THRUST_200600_302600_NS6detail15normal_iteratorINS9_10device_ptrIxEEEESE_SE_iNS9_4plusIvEENS9_8equal_toIvEEiEE10hipError_tPvRmT2_T3_T4_T5_mT6_T7_P12ihipStream_tbENKUlT_T0_E_clISt17integral_constantIbLb1EESZ_EEDaSU_SV_EUlSU_E_NS1_11comp_targetILNS1_3genE8ELNS1_11target_archE1030ELNS1_3gpuE2ELNS1_3repE0EEENS1_30default_config_static_selectorELNS0_4arch9wavefront6targetE1EEEvT1_,"axG",@progbits,_ZN7rocprim17ROCPRIM_400000_NS6detail17trampoline_kernelINS0_14default_configENS1_27scan_by_key_config_selectorIxiEEZZNS1_16scan_by_key_implILNS1_25lookback_scan_determinismE0ELb1ES3_N6thrust23THRUST_200600_302600_NS6detail15normal_iteratorINS9_10device_ptrIxEEEESE_SE_iNS9_4plusIvEENS9_8equal_toIvEEiEE10hipError_tPvRmT2_T3_T4_T5_mT6_T7_P12ihipStream_tbENKUlT_T0_E_clISt17integral_constantIbLb1EESZ_EEDaSU_SV_EUlSU_E_NS1_11comp_targetILNS1_3genE8ELNS1_11target_archE1030ELNS1_3gpuE2ELNS1_3repE0EEENS1_30default_config_static_selectorELNS0_4arch9wavefront6targetE1EEEvT1_,comdat
.Lfunc_end1020:
	.size	_ZN7rocprim17ROCPRIM_400000_NS6detail17trampoline_kernelINS0_14default_configENS1_27scan_by_key_config_selectorIxiEEZZNS1_16scan_by_key_implILNS1_25lookback_scan_determinismE0ELb1ES3_N6thrust23THRUST_200600_302600_NS6detail15normal_iteratorINS9_10device_ptrIxEEEESE_SE_iNS9_4plusIvEENS9_8equal_toIvEEiEE10hipError_tPvRmT2_T3_T4_T5_mT6_T7_P12ihipStream_tbENKUlT_T0_E_clISt17integral_constantIbLb1EESZ_EEDaSU_SV_EUlSU_E_NS1_11comp_targetILNS1_3genE8ELNS1_11target_archE1030ELNS1_3gpuE2ELNS1_3repE0EEENS1_30default_config_static_selectorELNS0_4arch9wavefront6targetE1EEEvT1_, .Lfunc_end1020-_ZN7rocprim17ROCPRIM_400000_NS6detail17trampoline_kernelINS0_14default_configENS1_27scan_by_key_config_selectorIxiEEZZNS1_16scan_by_key_implILNS1_25lookback_scan_determinismE0ELb1ES3_N6thrust23THRUST_200600_302600_NS6detail15normal_iteratorINS9_10device_ptrIxEEEESE_SE_iNS9_4plusIvEENS9_8equal_toIvEEiEE10hipError_tPvRmT2_T3_T4_T5_mT6_T7_P12ihipStream_tbENKUlT_T0_E_clISt17integral_constantIbLb1EESZ_EEDaSU_SV_EUlSU_E_NS1_11comp_targetILNS1_3genE8ELNS1_11target_archE1030ELNS1_3gpuE2ELNS1_3repE0EEENS1_30default_config_static_selectorELNS0_4arch9wavefront6targetE1EEEvT1_
                                        ; -- End function
	.section	.AMDGPU.csdata,"",@progbits
; Kernel info:
; codeLenInByte = 0
; NumSgprs: 6
; NumVgprs: 0
; NumAgprs: 0
; TotalNumVgprs: 0
; ScratchSize: 0
; MemoryBound: 0
; FloatMode: 240
; IeeeMode: 1
; LDSByteSize: 0 bytes/workgroup (compile time only)
; SGPRBlocks: 0
; VGPRBlocks: 0
; NumSGPRsForWavesPerEU: 6
; NumVGPRsForWavesPerEU: 1
; AccumOffset: 4
; Occupancy: 8
; WaveLimiterHint : 0
; COMPUTE_PGM_RSRC2:SCRATCH_EN: 0
; COMPUTE_PGM_RSRC2:USER_SGPR: 2
; COMPUTE_PGM_RSRC2:TRAP_HANDLER: 0
; COMPUTE_PGM_RSRC2:TGID_X_EN: 1
; COMPUTE_PGM_RSRC2:TGID_Y_EN: 0
; COMPUTE_PGM_RSRC2:TGID_Z_EN: 0
; COMPUTE_PGM_RSRC2:TIDIG_COMP_CNT: 0
; COMPUTE_PGM_RSRC3_GFX90A:ACCUM_OFFSET: 0
; COMPUTE_PGM_RSRC3_GFX90A:TG_SPLIT: 0
	.section	.text._ZN7rocprim17ROCPRIM_400000_NS6detail30init_device_scan_by_key_kernelINS1_19lookback_scan_stateINS0_5tupleIJibEEELb1ELb1EEEN6thrust23THRUST_200600_302600_NS6detail15normal_iteratorINS8_10device_ptrIxEEEEjNS1_16block_id_wrapperIjLb0EEEEEvT_jjPNSG_10value_typeET0_PNSt15iterator_traitsISJ_E10value_typeEmT1_T2_,"axG",@progbits,_ZN7rocprim17ROCPRIM_400000_NS6detail30init_device_scan_by_key_kernelINS1_19lookback_scan_stateINS0_5tupleIJibEEELb1ELb1EEEN6thrust23THRUST_200600_302600_NS6detail15normal_iteratorINS8_10device_ptrIxEEEEjNS1_16block_id_wrapperIjLb0EEEEEvT_jjPNSG_10value_typeET0_PNSt15iterator_traitsISJ_E10value_typeEmT1_T2_,comdat
	.protected	_ZN7rocprim17ROCPRIM_400000_NS6detail30init_device_scan_by_key_kernelINS1_19lookback_scan_stateINS0_5tupleIJibEEELb1ELb1EEEN6thrust23THRUST_200600_302600_NS6detail15normal_iteratorINS8_10device_ptrIxEEEEjNS1_16block_id_wrapperIjLb0EEEEEvT_jjPNSG_10value_typeET0_PNSt15iterator_traitsISJ_E10value_typeEmT1_T2_ ; -- Begin function _ZN7rocprim17ROCPRIM_400000_NS6detail30init_device_scan_by_key_kernelINS1_19lookback_scan_stateINS0_5tupleIJibEEELb1ELb1EEEN6thrust23THRUST_200600_302600_NS6detail15normal_iteratorINS8_10device_ptrIxEEEEjNS1_16block_id_wrapperIjLb0EEEEEvT_jjPNSG_10value_typeET0_PNSt15iterator_traitsISJ_E10value_typeEmT1_T2_
	.globl	_ZN7rocprim17ROCPRIM_400000_NS6detail30init_device_scan_by_key_kernelINS1_19lookback_scan_stateINS0_5tupleIJibEEELb1ELb1EEEN6thrust23THRUST_200600_302600_NS6detail15normal_iteratorINS8_10device_ptrIxEEEEjNS1_16block_id_wrapperIjLb0EEEEEvT_jjPNSG_10value_typeET0_PNSt15iterator_traitsISJ_E10value_typeEmT1_T2_
	.p2align	8
	.type	_ZN7rocprim17ROCPRIM_400000_NS6detail30init_device_scan_by_key_kernelINS1_19lookback_scan_stateINS0_5tupleIJibEEELb1ELb1EEEN6thrust23THRUST_200600_302600_NS6detail15normal_iteratorINS8_10device_ptrIxEEEEjNS1_16block_id_wrapperIjLb0EEEEEvT_jjPNSG_10value_typeET0_PNSt15iterator_traitsISJ_E10value_typeEmT1_T2_,@function
_ZN7rocprim17ROCPRIM_400000_NS6detail30init_device_scan_by_key_kernelINS1_19lookback_scan_stateINS0_5tupleIJibEEELb1ELb1EEEN6thrust23THRUST_200600_302600_NS6detail15normal_iteratorINS8_10device_ptrIxEEEEjNS1_16block_id_wrapperIjLb0EEEEEvT_jjPNSG_10value_typeET0_PNSt15iterator_traitsISJ_E10value_typeEmT1_T2_: ; @_ZN7rocprim17ROCPRIM_400000_NS6detail30init_device_scan_by_key_kernelINS1_19lookback_scan_stateINS0_5tupleIJibEEELb1ELb1EEEN6thrust23THRUST_200600_302600_NS6detail15normal_iteratorINS8_10device_ptrIxEEEEjNS1_16block_id_wrapperIjLb0EEEEEvT_jjPNSG_10value_typeET0_PNSt15iterator_traitsISJ_E10value_typeEmT1_T2_
; %bb.0:
	s_load_dword s3, s[0:1], 0x44
	s_load_dwordx8 s[4:11], s[0:1], 0x0
	s_load_dword s18, s[0:1], 0x38
	s_waitcnt lgkmcnt(0)
	s_and_b32 s19, s3, 0xffff
	s_mul_i32 s2, s2, s19
	s_cmp_eq_u64 s[8:9], 0
	v_add_u32_e32 v4, s2, v0
	s_cbranch_scc1 .LBB1021_10
; %bb.1:
	s_cmp_lt_u32 s7, s6
	s_cselect_b32 s2, s7, 0
	s_mov_b32 s13, 0
	v_cmp_eq_u32_e32 vcc, s2, v4
	s_and_saveexec_b64 s[2:3], vcc
	s_cbranch_execz .LBB1021_9
; %bb.2:
	s_add_i32 s12, s7, 64
	s_lshl_b64 s[12:13], s[12:13], 4
	s_add_u32 s16, s4, s12
	s_addc_u32 s17, s5, s13
	v_mov_b64_e32 v[0:1], s[16:17]
	;;#ASMSTART
	global_load_dwordx4 v[0:3], v[0:1] off sc1	
s_waitcnt vmcnt(0)
	;;#ASMEND
	v_mov_b32_e32 v7, 0
	v_and_b32_e32 v6, 0xff, v2
	s_mov_b64 s[14:15], 0
	v_cmp_eq_u64_e32 vcc, 0, v[6:7]
	s_and_saveexec_b64 s[12:13], vcc
	s_cbranch_execz .LBB1021_8
; %bb.3:
	s_mov_b32 s7, 1
	v_mov_b64_e32 v[8:9], s[16:17]
.LBB1021_4:                             ; =>This Loop Header: Depth=1
                                        ;     Child Loop BB1021_5 Depth 2
	s_max_u32 s16, s7, 1
.LBB1021_5:                             ;   Parent Loop BB1021_4 Depth=1
                                        ; =>  This Inner Loop Header: Depth=2
	s_add_i32 s16, s16, -1
	s_cmp_eq_u32 s16, 0
	s_sleep 1
	s_cbranch_scc0 .LBB1021_5
; %bb.6:                                ;   in Loop: Header=BB1021_4 Depth=1
	s_cmp_lt_u32 s7, 32
	s_cselect_b64 s[16:17], -1, 0
	s_cmp_lg_u64 s[16:17], 0
	;;#ASMSTART
	global_load_dwordx4 v[0:3], v[8:9] off sc1	
s_waitcnt vmcnt(0)
	;;#ASMEND
	s_addc_u32 s7, s7, 0
	v_and_b32_e32 v6, 0xff, v2
	v_cmp_ne_u64_e32 vcc, 0, v[6:7]
	s_or_b64 s[14:15], vcc, s[14:15]
	s_andn2_b64 exec, exec, s[14:15]
	s_cbranch_execnz .LBB1021_4
; %bb.7:
	s_or_b64 exec, exec, s[14:15]
.LBB1021_8:
	s_or_b64 exec, exec, s[12:13]
	v_mov_b32_e32 v2, 0
	global_store_dword v2, v0, s[8:9]
	global_store_byte v2, v1, s[8:9] offset:4
.LBB1021_9:
	s_or_b64 exec, exec, s[2:3]
.LBB1021_10:
	v_cmp_gt_u32_e32 vcc, s6, v4
	s_and_saveexec_b64 s[2:3], vcc
	s_cbranch_execz .LBB1021_12
; %bb.11:
	v_add_u32_e32 v0, 64, v4
	v_mov_b32_e32 v1, 0
	v_lshl_add_u64 v[6:7], v[0:1], 4, s[4:5]
	v_mov_b32_e32 v0, v1
	v_mov_b32_e32 v2, v1
	;; [unrolled: 1-line block ×3, first 2 shown]
	global_store_dwordx4 v[6:7], v[0:3], off
.LBB1021_12:
	s_or_b64 exec, exec, s[2:3]
	v_cmp_gt_u32_e32 vcc, 64, v4
	v_mov_b32_e32 v5, 0
	s_and_saveexec_b64 s[2:3], vcc
	s_cbranch_execz .LBB1021_14
; %bb.13:
	v_lshl_add_u64 v[6:7], v[4:5], 4, s[4:5]
	v_mov_b32_e32 v2, 0xff
	v_mov_b32_e32 v0, v5
	;; [unrolled: 1-line block ×4, first 2 shown]
	global_store_dwordx4 v[6:7], v[0:3], off
.LBB1021_14:
	s_or_b64 exec, exec, s[2:3]
	s_load_dwordx2 s[2:3], s[0:1], 0x28
	s_waitcnt lgkmcnt(0)
	v_cmp_gt_u64_e32 vcc, s[2:3], v[4:5]
	s_and_saveexec_b64 s[4:5], vcc
	s_cbranch_execz .LBB1021_17
; %bb.15:
	s_load_dword s12, s[0:1], 0x30
	s_load_dwordx2 s[6:7], s[0:1], 0x20
	s_mov_b32 s5, 0
	s_mov_b32 s1, s5
	s_mul_i32 s0, s18, s19
	s_waitcnt lgkmcnt(0)
	s_add_i32 s4, s12, -1
	s_lshl_b64 s[4:5], s[4:5], 3
	s_add_u32 s4, s10, s4
	v_mad_u64_u32 v[0:1], s[8:9], s12, v4, 0
	s_addc_u32 s5, s11, s5
	v_lshl_add_u64 v[0:1], v[0:1], 3, s[4:5]
	s_mul_hi_u32 s5, s12, s0
	s_mul_i32 s4, s12, s0
	s_lshl_b64 s[4:5], s[4:5], 3
	v_lshl_add_u64 v[2:3], v[4:5], 3, s[6:7]
	s_lshl_b64 s[6:7], s[0:1], 3
	s_mov_b64 s[8:9], 0
.LBB1021_16:                            ; =>This Inner Loop Header: Depth=1
	global_load_dwordx2 v[6:7], v[0:1], off
	v_lshl_add_u64 v[4:5], v[4:5], 0, s[0:1]
	v_cmp_le_u64_e32 vcc, s[2:3], v[4:5]
	v_lshl_add_u64 v[0:1], v[0:1], 0, s[4:5]
	s_or_b64 s[8:9], vcc, s[8:9]
	s_waitcnt vmcnt(0)
	global_store_dwordx2 v[2:3], v[6:7], off
	v_lshl_add_u64 v[2:3], v[2:3], 0, s[6:7]
	s_andn2_b64 exec, exec, s[8:9]
	s_cbranch_execnz .LBB1021_16
.LBB1021_17:
	s_endpgm
	.section	.rodata,"a",@progbits
	.p2align	6, 0x0
	.amdhsa_kernel _ZN7rocprim17ROCPRIM_400000_NS6detail30init_device_scan_by_key_kernelINS1_19lookback_scan_stateINS0_5tupleIJibEEELb1ELb1EEEN6thrust23THRUST_200600_302600_NS6detail15normal_iteratorINS8_10device_ptrIxEEEEjNS1_16block_id_wrapperIjLb0EEEEEvT_jjPNSG_10value_typeET0_PNSt15iterator_traitsISJ_E10value_typeEmT1_T2_
		.amdhsa_group_segment_fixed_size 0
		.amdhsa_private_segment_fixed_size 0
		.amdhsa_kernarg_size 312
		.amdhsa_user_sgpr_count 2
		.amdhsa_user_sgpr_dispatch_ptr 0
		.amdhsa_user_sgpr_queue_ptr 0
		.amdhsa_user_sgpr_kernarg_segment_ptr 1
		.amdhsa_user_sgpr_dispatch_id 0
		.amdhsa_user_sgpr_kernarg_preload_length 0
		.amdhsa_user_sgpr_kernarg_preload_offset 0
		.amdhsa_user_sgpr_private_segment_size 0
		.amdhsa_uses_dynamic_stack 0
		.amdhsa_enable_private_segment 0
		.amdhsa_system_sgpr_workgroup_id_x 1
		.amdhsa_system_sgpr_workgroup_id_y 0
		.amdhsa_system_sgpr_workgroup_id_z 0
		.amdhsa_system_sgpr_workgroup_info 0
		.amdhsa_system_vgpr_workitem_id 0
		.amdhsa_next_free_vgpr 10
		.amdhsa_next_free_sgpr 20
		.amdhsa_accum_offset 12
		.amdhsa_reserve_vcc 1
		.amdhsa_float_round_mode_32 0
		.amdhsa_float_round_mode_16_64 0
		.amdhsa_float_denorm_mode_32 3
		.amdhsa_float_denorm_mode_16_64 3
		.amdhsa_dx10_clamp 1
		.amdhsa_ieee_mode 1
		.amdhsa_fp16_overflow 0
		.amdhsa_tg_split 0
		.amdhsa_exception_fp_ieee_invalid_op 0
		.amdhsa_exception_fp_denorm_src 0
		.amdhsa_exception_fp_ieee_div_zero 0
		.amdhsa_exception_fp_ieee_overflow 0
		.amdhsa_exception_fp_ieee_underflow 0
		.amdhsa_exception_fp_ieee_inexact 0
		.amdhsa_exception_int_div_zero 0
	.end_amdhsa_kernel
	.section	.text._ZN7rocprim17ROCPRIM_400000_NS6detail30init_device_scan_by_key_kernelINS1_19lookback_scan_stateINS0_5tupleIJibEEELb1ELb1EEEN6thrust23THRUST_200600_302600_NS6detail15normal_iteratorINS8_10device_ptrIxEEEEjNS1_16block_id_wrapperIjLb0EEEEEvT_jjPNSG_10value_typeET0_PNSt15iterator_traitsISJ_E10value_typeEmT1_T2_,"axG",@progbits,_ZN7rocprim17ROCPRIM_400000_NS6detail30init_device_scan_by_key_kernelINS1_19lookback_scan_stateINS0_5tupleIJibEEELb1ELb1EEEN6thrust23THRUST_200600_302600_NS6detail15normal_iteratorINS8_10device_ptrIxEEEEjNS1_16block_id_wrapperIjLb0EEEEEvT_jjPNSG_10value_typeET0_PNSt15iterator_traitsISJ_E10value_typeEmT1_T2_,comdat
.Lfunc_end1021:
	.size	_ZN7rocprim17ROCPRIM_400000_NS6detail30init_device_scan_by_key_kernelINS1_19lookback_scan_stateINS0_5tupleIJibEEELb1ELb1EEEN6thrust23THRUST_200600_302600_NS6detail15normal_iteratorINS8_10device_ptrIxEEEEjNS1_16block_id_wrapperIjLb0EEEEEvT_jjPNSG_10value_typeET0_PNSt15iterator_traitsISJ_E10value_typeEmT1_T2_, .Lfunc_end1021-_ZN7rocprim17ROCPRIM_400000_NS6detail30init_device_scan_by_key_kernelINS1_19lookback_scan_stateINS0_5tupleIJibEEELb1ELb1EEEN6thrust23THRUST_200600_302600_NS6detail15normal_iteratorINS8_10device_ptrIxEEEEjNS1_16block_id_wrapperIjLb0EEEEEvT_jjPNSG_10value_typeET0_PNSt15iterator_traitsISJ_E10value_typeEmT1_T2_
                                        ; -- End function
	.section	.AMDGPU.csdata,"",@progbits
; Kernel info:
; codeLenInByte = 544
; NumSgprs: 26
; NumVgprs: 10
; NumAgprs: 0
; TotalNumVgprs: 10
; ScratchSize: 0
; MemoryBound: 0
; FloatMode: 240
; IeeeMode: 1
; LDSByteSize: 0 bytes/workgroup (compile time only)
; SGPRBlocks: 3
; VGPRBlocks: 1
; NumSGPRsForWavesPerEU: 26
; NumVGPRsForWavesPerEU: 10
; AccumOffset: 12
; Occupancy: 8
; WaveLimiterHint : 0
; COMPUTE_PGM_RSRC2:SCRATCH_EN: 0
; COMPUTE_PGM_RSRC2:USER_SGPR: 2
; COMPUTE_PGM_RSRC2:TRAP_HANDLER: 0
; COMPUTE_PGM_RSRC2:TGID_X_EN: 1
; COMPUTE_PGM_RSRC2:TGID_Y_EN: 0
; COMPUTE_PGM_RSRC2:TGID_Z_EN: 0
; COMPUTE_PGM_RSRC2:TIDIG_COMP_CNT: 0
; COMPUTE_PGM_RSRC3_GFX90A:ACCUM_OFFSET: 2
; COMPUTE_PGM_RSRC3_GFX90A:TG_SPLIT: 0
	.section	.text._ZN7rocprim17ROCPRIM_400000_NS6detail17trampoline_kernelINS0_14default_configENS1_27scan_by_key_config_selectorIxiEEZZNS1_16scan_by_key_implILNS1_25lookback_scan_determinismE0ELb1ES3_N6thrust23THRUST_200600_302600_NS6detail15normal_iteratorINS9_10device_ptrIxEEEESE_SE_iNS9_4plusIvEENS9_8equal_toIvEEiEE10hipError_tPvRmT2_T3_T4_T5_mT6_T7_P12ihipStream_tbENKUlT_T0_E_clISt17integral_constantIbLb1EESY_IbLb0EEEEDaSU_SV_EUlSU_E_NS1_11comp_targetILNS1_3genE0ELNS1_11target_archE4294967295ELNS1_3gpuE0ELNS1_3repE0EEENS1_30default_config_static_selectorELNS0_4arch9wavefront6targetE1EEEvT1_,"axG",@progbits,_ZN7rocprim17ROCPRIM_400000_NS6detail17trampoline_kernelINS0_14default_configENS1_27scan_by_key_config_selectorIxiEEZZNS1_16scan_by_key_implILNS1_25lookback_scan_determinismE0ELb1ES3_N6thrust23THRUST_200600_302600_NS6detail15normal_iteratorINS9_10device_ptrIxEEEESE_SE_iNS9_4plusIvEENS9_8equal_toIvEEiEE10hipError_tPvRmT2_T3_T4_T5_mT6_T7_P12ihipStream_tbENKUlT_T0_E_clISt17integral_constantIbLb1EESY_IbLb0EEEEDaSU_SV_EUlSU_E_NS1_11comp_targetILNS1_3genE0ELNS1_11target_archE4294967295ELNS1_3gpuE0ELNS1_3repE0EEENS1_30default_config_static_selectorELNS0_4arch9wavefront6targetE1EEEvT1_,comdat
	.protected	_ZN7rocprim17ROCPRIM_400000_NS6detail17trampoline_kernelINS0_14default_configENS1_27scan_by_key_config_selectorIxiEEZZNS1_16scan_by_key_implILNS1_25lookback_scan_determinismE0ELb1ES3_N6thrust23THRUST_200600_302600_NS6detail15normal_iteratorINS9_10device_ptrIxEEEESE_SE_iNS9_4plusIvEENS9_8equal_toIvEEiEE10hipError_tPvRmT2_T3_T4_T5_mT6_T7_P12ihipStream_tbENKUlT_T0_E_clISt17integral_constantIbLb1EESY_IbLb0EEEEDaSU_SV_EUlSU_E_NS1_11comp_targetILNS1_3genE0ELNS1_11target_archE4294967295ELNS1_3gpuE0ELNS1_3repE0EEENS1_30default_config_static_selectorELNS0_4arch9wavefront6targetE1EEEvT1_ ; -- Begin function _ZN7rocprim17ROCPRIM_400000_NS6detail17trampoline_kernelINS0_14default_configENS1_27scan_by_key_config_selectorIxiEEZZNS1_16scan_by_key_implILNS1_25lookback_scan_determinismE0ELb1ES3_N6thrust23THRUST_200600_302600_NS6detail15normal_iteratorINS9_10device_ptrIxEEEESE_SE_iNS9_4plusIvEENS9_8equal_toIvEEiEE10hipError_tPvRmT2_T3_T4_T5_mT6_T7_P12ihipStream_tbENKUlT_T0_E_clISt17integral_constantIbLb1EESY_IbLb0EEEEDaSU_SV_EUlSU_E_NS1_11comp_targetILNS1_3genE0ELNS1_11target_archE4294967295ELNS1_3gpuE0ELNS1_3repE0EEENS1_30default_config_static_selectorELNS0_4arch9wavefront6targetE1EEEvT1_
	.globl	_ZN7rocprim17ROCPRIM_400000_NS6detail17trampoline_kernelINS0_14default_configENS1_27scan_by_key_config_selectorIxiEEZZNS1_16scan_by_key_implILNS1_25lookback_scan_determinismE0ELb1ES3_N6thrust23THRUST_200600_302600_NS6detail15normal_iteratorINS9_10device_ptrIxEEEESE_SE_iNS9_4plusIvEENS9_8equal_toIvEEiEE10hipError_tPvRmT2_T3_T4_T5_mT6_T7_P12ihipStream_tbENKUlT_T0_E_clISt17integral_constantIbLb1EESY_IbLb0EEEEDaSU_SV_EUlSU_E_NS1_11comp_targetILNS1_3genE0ELNS1_11target_archE4294967295ELNS1_3gpuE0ELNS1_3repE0EEENS1_30default_config_static_selectorELNS0_4arch9wavefront6targetE1EEEvT1_
	.p2align	8
	.type	_ZN7rocprim17ROCPRIM_400000_NS6detail17trampoline_kernelINS0_14default_configENS1_27scan_by_key_config_selectorIxiEEZZNS1_16scan_by_key_implILNS1_25lookback_scan_determinismE0ELb1ES3_N6thrust23THRUST_200600_302600_NS6detail15normal_iteratorINS9_10device_ptrIxEEEESE_SE_iNS9_4plusIvEENS9_8equal_toIvEEiEE10hipError_tPvRmT2_T3_T4_T5_mT6_T7_P12ihipStream_tbENKUlT_T0_E_clISt17integral_constantIbLb1EESY_IbLb0EEEEDaSU_SV_EUlSU_E_NS1_11comp_targetILNS1_3genE0ELNS1_11target_archE4294967295ELNS1_3gpuE0ELNS1_3repE0EEENS1_30default_config_static_selectorELNS0_4arch9wavefront6targetE1EEEvT1_,@function
_ZN7rocprim17ROCPRIM_400000_NS6detail17trampoline_kernelINS0_14default_configENS1_27scan_by_key_config_selectorIxiEEZZNS1_16scan_by_key_implILNS1_25lookback_scan_determinismE0ELb1ES3_N6thrust23THRUST_200600_302600_NS6detail15normal_iteratorINS9_10device_ptrIxEEEESE_SE_iNS9_4plusIvEENS9_8equal_toIvEEiEE10hipError_tPvRmT2_T3_T4_T5_mT6_T7_P12ihipStream_tbENKUlT_T0_E_clISt17integral_constantIbLb1EESY_IbLb0EEEEDaSU_SV_EUlSU_E_NS1_11comp_targetILNS1_3genE0ELNS1_11target_archE4294967295ELNS1_3gpuE0ELNS1_3repE0EEENS1_30default_config_static_selectorELNS0_4arch9wavefront6targetE1EEEvT1_: ; @_ZN7rocprim17ROCPRIM_400000_NS6detail17trampoline_kernelINS0_14default_configENS1_27scan_by_key_config_selectorIxiEEZZNS1_16scan_by_key_implILNS1_25lookback_scan_determinismE0ELb1ES3_N6thrust23THRUST_200600_302600_NS6detail15normal_iteratorINS9_10device_ptrIxEEEESE_SE_iNS9_4plusIvEENS9_8equal_toIvEEiEE10hipError_tPvRmT2_T3_T4_T5_mT6_T7_P12ihipStream_tbENKUlT_T0_E_clISt17integral_constantIbLb1EESY_IbLb0EEEEDaSU_SV_EUlSU_E_NS1_11comp_targetILNS1_3genE0ELNS1_11target_archE4294967295ELNS1_3gpuE0ELNS1_3repE0EEENS1_30default_config_static_selectorELNS0_4arch9wavefront6targetE1EEEvT1_
; %bb.0:
	.section	.rodata,"a",@progbits
	.p2align	6, 0x0
	.amdhsa_kernel _ZN7rocprim17ROCPRIM_400000_NS6detail17trampoline_kernelINS0_14default_configENS1_27scan_by_key_config_selectorIxiEEZZNS1_16scan_by_key_implILNS1_25lookback_scan_determinismE0ELb1ES3_N6thrust23THRUST_200600_302600_NS6detail15normal_iteratorINS9_10device_ptrIxEEEESE_SE_iNS9_4plusIvEENS9_8equal_toIvEEiEE10hipError_tPvRmT2_T3_T4_T5_mT6_T7_P12ihipStream_tbENKUlT_T0_E_clISt17integral_constantIbLb1EESY_IbLb0EEEEDaSU_SV_EUlSU_E_NS1_11comp_targetILNS1_3genE0ELNS1_11target_archE4294967295ELNS1_3gpuE0ELNS1_3repE0EEENS1_30default_config_static_selectorELNS0_4arch9wavefront6targetE1EEEvT1_
		.amdhsa_group_segment_fixed_size 0
		.amdhsa_private_segment_fixed_size 0
		.amdhsa_kernarg_size 112
		.amdhsa_user_sgpr_count 2
		.amdhsa_user_sgpr_dispatch_ptr 0
		.amdhsa_user_sgpr_queue_ptr 0
		.amdhsa_user_sgpr_kernarg_segment_ptr 1
		.amdhsa_user_sgpr_dispatch_id 0
		.amdhsa_user_sgpr_kernarg_preload_length 0
		.amdhsa_user_sgpr_kernarg_preload_offset 0
		.amdhsa_user_sgpr_private_segment_size 0
		.amdhsa_uses_dynamic_stack 0
		.amdhsa_enable_private_segment 0
		.amdhsa_system_sgpr_workgroup_id_x 1
		.amdhsa_system_sgpr_workgroup_id_y 0
		.amdhsa_system_sgpr_workgroup_id_z 0
		.amdhsa_system_sgpr_workgroup_info 0
		.amdhsa_system_vgpr_workitem_id 0
		.amdhsa_next_free_vgpr 1
		.amdhsa_next_free_sgpr 0
		.amdhsa_accum_offset 4
		.amdhsa_reserve_vcc 0
		.amdhsa_float_round_mode_32 0
		.amdhsa_float_round_mode_16_64 0
		.amdhsa_float_denorm_mode_32 3
		.amdhsa_float_denorm_mode_16_64 3
		.amdhsa_dx10_clamp 1
		.amdhsa_ieee_mode 1
		.amdhsa_fp16_overflow 0
		.amdhsa_tg_split 0
		.amdhsa_exception_fp_ieee_invalid_op 0
		.amdhsa_exception_fp_denorm_src 0
		.amdhsa_exception_fp_ieee_div_zero 0
		.amdhsa_exception_fp_ieee_overflow 0
		.amdhsa_exception_fp_ieee_underflow 0
		.amdhsa_exception_fp_ieee_inexact 0
		.amdhsa_exception_int_div_zero 0
	.end_amdhsa_kernel
	.section	.text._ZN7rocprim17ROCPRIM_400000_NS6detail17trampoline_kernelINS0_14default_configENS1_27scan_by_key_config_selectorIxiEEZZNS1_16scan_by_key_implILNS1_25lookback_scan_determinismE0ELb1ES3_N6thrust23THRUST_200600_302600_NS6detail15normal_iteratorINS9_10device_ptrIxEEEESE_SE_iNS9_4plusIvEENS9_8equal_toIvEEiEE10hipError_tPvRmT2_T3_T4_T5_mT6_T7_P12ihipStream_tbENKUlT_T0_E_clISt17integral_constantIbLb1EESY_IbLb0EEEEDaSU_SV_EUlSU_E_NS1_11comp_targetILNS1_3genE0ELNS1_11target_archE4294967295ELNS1_3gpuE0ELNS1_3repE0EEENS1_30default_config_static_selectorELNS0_4arch9wavefront6targetE1EEEvT1_,"axG",@progbits,_ZN7rocprim17ROCPRIM_400000_NS6detail17trampoline_kernelINS0_14default_configENS1_27scan_by_key_config_selectorIxiEEZZNS1_16scan_by_key_implILNS1_25lookback_scan_determinismE0ELb1ES3_N6thrust23THRUST_200600_302600_NS6detail15normal_iteratorINS9_10device_ptrIxEEEESE_SE_iNS9_4plusIvEENS9_8equal_toIvEEiEE10hipError_tPvRmT2_T3_T4_T5_mT6_T7_P12ihipStream_tbENKUlT_T0_E_clISt17integral_constantIbLb1EESY_IbLb0EEEEDaSU_SV_EUlSU_E_NS1_11comp_targetILNS1_3genE0ELNS1_11target_archE4294967295ELNS1_3gpuE0ELNS1_3repE0EEENS1_30default_config_static_selectorELNS0_4arch9wavefront6targetE1EEEvT1_,comdat
.Lfunc_end1022:
	.size	_ZN7rocprim17ROCPRIM_400000_NS6detail17trampoline_kernelINS0_14default_configENS1_27scan_by_key_config_selectorIxiEEZZNS1_16scan_by_key_implILNS1_25lookback_scan_determinismE0ELb1ES3_N6thrust23THRUST_200600_302600_NS6detail15normal_iteratorINS9_10device_ptrIxEEEESE_SE_iNS9_4plusIvEENS9_8equal_toIvEEiEE10hipError_tPvRmT2_T3_T4_T5_mT6_T7_P12ihipStream_tbENKUlT_T0_E_clISt17integral_constantIbLb1EESY_IbLb0EEEEDaSU_SV_EUlSU_E_NS1_11comp_targetILNS1_3genE0ELNS1_11target_archE4294967295ELNS1_3gpuE0ELNS1_3repE0EEENS1_30default_config_static_selectorELNS0_4arch9wavefront6targetE1EEEvT1_, .Lfunc_end1022-_ZN7rocprim17ROCPRIM_400000_NS6detail17trampoline_kernelINS0_14default_configENS1_27scan_by_key_config_selectorIxiEEZZNS1_16scan_by_key_implILNS1_25lookback_scan_determinismE0ELb1ES3_N6thrust23THRUST_200600_302600_NS6detail15normal_iteratorINS9_10device_ptrIxEEEESE_SE_iNS9_4plusIvEENS9_8equal_toIvEEiEE10hipError_tPvRmT2_T3_T4_T5_mT6_T7_P12ihipStream_tbENKUlT_T0_E_clISt17integral_constantIbLb1EESY_IbLb0EEEEDaSU_SV_EUlSU_E_NS1_11comp_targetILNS1_3genE0ELNS1_11target_archE4294967295ELNS1_3gpuE0ELNS1_3repE0EEENS1_30default_config_static_selectorELNS0_4arch9wavefront6targetE1EEEvT1_
                                        ; -- End function
	.section	.AMDGPU.csdata,"",@progbits
; Kernel info:
; codeLenInByte = 0
; NumSgprs: 6
; NumVgprs: 0
; NumAgprs: 0
; TotalNumVgprs: 0
; ScratchSize: 0
; MemoryBound: 0
; FloatMode: 240
; IeeeMode: 1
; LDSByteSize: 0 bytes/workgroup (compile time only)
; SGPRBlocks: 0
; VGPRBlocks: 0
; NumSGPRsForWavesPerEU: 6
; NumVGPRsForWavesPerEU: 1
; AccumOffset: 4
; Occupancy: 8
; WaveLimiterHint : 0
; COMPUTE_PGM_RSRC2:SCRATCH_EN: 0
; COMPUTE_PGM_RSRC2:USER_SGPR: 2
; COMPUTE_PGM_RSRC2:TRAP_HANDLER: 0
; COMPUTE_PGM_RSRC2:TGID_X_EN: 1
; COMPUTE_PGM_RSRC2:TGID_Y_EN: 0
; COMPUTE_PGM_RSRC2:TGID_Z_EN: 0
; COMPUTE_PGM_RSRC2:TIDIG_COMP_CNT: 0
; COMPUTE_PGM_RSRC3_GFX90A:ACCUM_OFFSET: 0
; COMPUTE_PGM_RSRC3_GFX90A:TG_SPLIT: 0
	.section	.text._ZN7rocprim17ROCPRIM_400000_NS6detail17trampoline_kernelINS0_14default_configENS1_27scan_by_key_config_selectorIxiEEZZNS1_16scan_by_key_implILNS1_25lookback_scan_determinismE0ELb1ES3_N6thrust23THRUST_200600_302600_NS6detail15normal_iteratorINS9_10device_ptrIxEEEESE_SE_iNS9_4plusIvEENS9_8equal_toIvEEiEE10hipError_tPvRmT2_T3_T4_T5_mT6_T7_P12ihipStream_tbENKUlT_T0_E_clISt17integral_constantIbLb1EESY_IbLb0EEEEDaSU_SV_EUlSU_E_NS1_11comp_targetILNS1_3genE10ELNS1_11target_archE1201ELNS1_3gpuE5ELNS1_3repE0EEENS1_30default_config_static_selectorELNS0_4arch9wavefront6targetE1EEEvT1_,"axG",@progbits,_ZN7rocprim17ROCPRIM_400000_NS6detail17trampoline_kernelINS0_14default_configENS1_27scan_by_key_config_selectorIxiEEZZNS1_16scan_by_key_implILNS1_25lookback_scan_determinismE0ELb1ES3_N6thrust23THRUST_200600_302600_NS6detail15normal_iteratorINS9_10device_ptrIxEEEESE_SE_iNS9_4plusIvEENS9_8equal_toIvEEiEE10hipError_tPvRmT2_T3_T4_T5_mT6_T7_P12ihipStream_tbENKUlT_T0_E_clISt17integral_constantIbLb1EESY_IbLb0EEEEDaSU_SV_EUlSU_E_NS1_11comp_targetILNS1_3genE10ELNS1_11target_archE1201ELNS1_3gpuE5ELNS1_3repE0EEENS1_30default_config_static_selectorELNS0_4arch9wavefront6targetE1EEEvT1_,comdat
	.protected	_ZN7rocprim17ROCPRIM_400000_NS6detail17trampoline_kernelINS0_14default_configENS1_27scan_by_key_config_selectorIxiEEZZNS1_16scan_by_key_implILNS1_25lookback_scan_determinismE0ELb1ES3_N6thrust23THRUST_200600_302600_NS6detail15normal_iteratorINS9_10device_ptrIxEEEESE_SE_iNS9_4plusIvEENS9_8equal_toIvEEiEE10hipError_tPvRmT2_T3_T4_T5_mT6_T7_P12ihipStream_tbENKUlT_T0_E_clISt17integral_constantIbLb1EESY_IbLb0EEEEDaSU_SV_EUlSU_E_NS1_11comp_targetILNS1_3genE10ELNS1_11target_archE1201ELNS1_3gpuE5ELNS1_3repE0EEENS1_30default_config_static_selectorELNS0_4arch9wavefront6targetE1EEEvT1_ ; -- Begin function _ZN7rocprim17ROCPRIM_400000_NS6detail17trampoline_kernelINS0_14default_configENS1_27scan_by_key_config_selectorIxiEEZZNS1_16scan_by_key_implILNS1_25lookback_scan_determinismE0ELb1ES3_N6thrust23THRUST_200600_302600_NS6detail15normal_iteratorINS9_10device_ptrIxEEEESE_SE_iNS9_4plusIvEENS9_8equal_toIvEEiEE10hipError_tPvRmT2_T3_T4_T5_mT6_T7_P12ihipStream_tbENKUlT_T0_E_clISt17integral_constantIbLb1EESY_IbLb0EEEEDaSU_SV_EUlSU_E_NS1_11comp_targetILNS1_3genE10ELNS1_11target_archE1201ELNS1_3gpuE5ELNS1_3repE0EEENS1_30default_config_static_selectorELNS0_4arch9wavefront6targetE1EEEvT1_
	.globl	_ZN7rocprim17ROCPRIM_400000_NS6detail17trampoline_kernelINS0_14default_configENS1_27scan_by_key_config_selectorIxiEEZZNS1_16scan_by_key_implILNS1_25lookback_scan_determinismE0ELb1ES3_N6thrust23THRUST_200600_302600_NS6detail15normal_iteratorINS9_10device_ptrIxEEEESE_SE_iNS9_4plusIvEENS9_8equal_toIvEEiEE10hipError_tPvRmT2_T3_T4_T5_mT6_T7_P12ihipStream_tbENKUlT_T0_E_clISt17integral_constantIbLb1EESY_IbLb0EEEEDaSU_SV_EUlSU_E_NS1_11comp_targetILNS1_3genE10ELNS1_11target_archE1201ELNS1_3gpuE5ELNS1_3repE0EEENS1_30default_config_static_selectorELNS0_4arch9wavefront6targetE1EEEvT1_
	.p2align	8
	.type	_ZN7rocprim17ROCPRIM_400000_NS6detail17trampoline_kernelINS0_14default_configENS1_27scan_by_key_config_selectorIxiEEZZNS1_16scan_by_key_implILNS1_25lookback_scan_determinismE0ELb1ES3_N6thrust23THRUST_200600_302600_NS6detail15normal_iteratorINS9_10device_ptrIxEEEESE_SE_iNS9_4plusIvEENS9_8equal_toIvEEiEE10hipError_tPvRmT2_T3_T4_T5_mT6_T7_P12ihipStream_tbENKUlT_T0_E_clISt17integral_constantIbLb1EESY_IbLb0EEEEDaSU_SV_EUlSU_E_NS1_11comp_targetILNS1_3genE10ELNS1_11target_archE1201ELNS1_3gpuE5ELNS1_3repE0EEENS1_30default_config_static_selectorELNS0_4arch9wavefront6targetE1EEEvT1_,@function
_ZN7rocprim17ROCPRIM_400000_NS6detail17trampoline_kernelINS0_14default_configENS1_27scan_by_key_config_selectorIxiEEZZNS1_16scan_by_key_implILNS1_25lookback_scan_determinismE0ELb1ES3_N6thrust23THRUST_200600_302600_NS6detail15normal_iteratorINS9_10device_ptrIxEEEESE_SE_iNS9_4plusIvEENS9_8equal_toIvEEiEE10hipError_tPvRmT2_T3_T4_T5_mT6_T7_P12ihipStream_tbENKUlT_T0_E_clISt17integral_constantIbLb1EESY_IbLb0EEEEDaSU_SV_EUlSU_E_NS1_11comp_targetILNS1_3genE10ELNS1_11target_archE1201ELNS1_3gpuE5ELNS1_3repE0EEENS1_30default_config_static_selectorELNS0_4arch9wavefront6targetE1EEEvT1_: ; @_ZN7rocprim17ROCPRIM_400000_NS6detail17trampoline_kernelINS0_14default_configENS1_27scan_by_key_config_selectorIxiEEZZNS1_16scan_by_key_implILNS1_25lookback_scan_determinismE0ELb1ES3_N6thrust23THRUST_200600_302600_NS6detail15normal_iteratorINS9_10device_ptrIxEEEESE_SE_iNS9_4plusIvEENS9_8equal_toIvEEiEE10hipError_tPvRmT2_T3_T4_T5_mT6_T7_P12ihipStream_tbENKUlT_T0_E_clISt17integral_constantIbLb1EESY_IbLb0EEEEDaSU_SV_EUlSU_E_NS1_11comp_targetILNS1_3genE10ELNS1_11target_archE1201ELNS1_3gpuE5ELNS1_3repE0EEENS1_30default_config_static_selectorELNS0_4arch9wavefront6targetE1EEEvT1_
; %bb.0:
	.section	.rodata,"a",@progbits
	.p2align	6, 0x0
	.amdhsa_kernel _ZN7rocprim17ROCPRIM_400000_NS6detail17trampoline_kernelINS0_14default_configENS1_27scan_by_key_config_selectorIxiEEZZNS1_16scan_by_key_implILNS1_25lookback_scan_determinismE0ELb1ES3_N6thrust23THRUST_200600_302600_NS6detail15normal_iteratorINS9_10device_ptrIxEEEESE_SE_iNS9_4plusIvEENS9_8equal_toIvEEiEE10hipError_tPvRmT2_T3_T4_T5_mT6_T7_P12ihipStream_tbENKUlT_T0_E_clISt17integral_constantIbLb1EESY_IbLb0EEEEDaSU_SV_EUlSU_E_NS1_11comp_targetILNS1_3genE10ELNS1_11target_archE1201ELNS1_3gpuE5ELNS1_3repE0EEENS1_30default_config_static_selectorELNS0_4arch9wavefront6targetE1EEEvT1_
		.amdhsa_group_segment_fixed_size 0
		.amdhsa_private_segment_fixed_size 0
		.amdhsa_kernarg_size 112
		.amdhsa_user_sgpr_count 2
		.amdhsa_user_sgpr_dispatch_ptr 0
		.amdhsa_user_sgpr_queue_ptr 0
		.amdhsa_user_sgpr_kernarg_segment_ptr 1
		.amdhsa_user_sgpr_dispatch_id 0
		.amdhsa_user_sgpr_kernarg_preload_length 0
		.amdhsa_user_sgpr_kernarg_preload_offset 0
		.amdhsa_user_sgpr_private_segment_size 0
		.amdhsa_uses_dynamic_stack 0
		.amdhsa_enable_private_segment 0
		.amdhsa_system_sgpr_workgroup_id_x 1
		.amdhsa_system_sgpr_workgroup_id_y 0
		.amdhsa_system_sgpr_workgroup_id_z 0
		.amdhsa_system_sgpr_workgroup_info 0
		.amdhsa_system_vgpr_workitem_id 0
		.amdhsa_next_free_vgpr 1
		.amdhsa_next_free_sgpr 0
		.amdhsa_accum_offset 4
		.amdhsa_reserve_vcc 0
		.amdhsa_float_round_mode_32 0
		.amdhsa_float_round_mode_16_64 0
		.amdhsa_float_denorm_mode_32 3
		.amdhsa_float_denorm_mode_16_64 3
		.amdhsa_dx10_clamp 1
		.amdhsa_ieee_mode 1
		.amdhsa_fp16_overflow 0
		.amdhsa_tg_split 0
		.amdhsa_exception_fp_ieee_invalid_op 0
		.amdhsa_exception_fp_denorm_src 0
		.amdhsa_exception_fp_ieee_div_zero 0
		.amdhsa_exception_fp_ieee_overflow 0
		.amdhsa_exception_fp_ieee_underflow 0
		.amdhsa_exception_fp_ieee_inexact 0
		.amdhsa_exception_int_div_zero 0
	.end_amdhsa_kernel
	.section	.text._ZN7rocprim17ROCPRIM_400000_NS6detail17trampoline_kernelINS0_14default_configENS1_27scan_by_key_config_selectorIxiEEZZNS1_16scan_by_key_implILNS1_25lookback_scan_determinismE0ELb1ES3_N6thrust23THRUST_200600_302600_NS6detail15normal_iteratorINS9_10device_ptrIxEEEESE_SE_iNS9_4plusIvEENS9_8equal_toIvEEiEE10hipError_tPvRmT2_T3_T4_T5_mT6_T7_P12ihipStream_tbENKUlT_T0_E_clISt17integral_constantIbLb1EESY_IbLb0EEEEDaSU_SV_EUlSU_E_NS1_11comp_targetILNS1_3genE10ELNS1_11target_archE1201ELNS1_3gpuE5ELNS1_3repE0EEENS1_30default_config_static_selectorELNS0_4arch9wavefront6targetE1EEEvT1_,"axG",@progbits,_ZN7rocprim17ROCPRIM_400000_NS6detail17trampoline_kernelINS0_14default_configENS1_27scan_by_key_config_selectorIxiEEZZNS1_16scan_by_key_implILNS1_25lookback_scan_determinismE0ELb1ES3_N6thrust23THRUST_200600_302600_NS6detail15normal_iteratorINS9_10device_ptrIxEEEESE_SE_iNS9_4plusIvEENS9_8equal_toIvEEiEE10hipError_tPvRmT2_T3_T4_T5_mT6_T7_P12ihipStream_tbENKUlT_T0_E_clISt17integral_constantIbLb1EESY_IbLb0EEEEDaSU_SV_EUlSU_E_NS1_11comp_targetILNS1_3genE10ELNS1_11target_archE1201ELNS1_3gpuE5ELNS1_3repE0EEENS1_30default_config_static_selectorELNS0_4arch9wavefront6targetE1EEEvT1_,comdat
.Lfunc_end1023:
	.size	_ZN7rocprim17ROCPRIM_400000_NS6detail17trampoline_kernelINS0_14default_configENS1_27scan_by_key_config_selectorIxiEEZZNS1_16scan_by_key_implILNS1_25lookback_scan_determinismE0ELb1ES3_N6thrust23THRUST_200600_302600_NS6detail15normal_iteratorINS9_10device_ptrIxEEEESE_SE_iNS9_4plusIvEENS9_8equal_toIvEEiEE10hipError_tPvRmT2_T3_T4_T5_mT6_T7_P12ihipStream_tbENKUlT_T0_E_clISt17integral_constantIbLb1EESY_IbLb0EEEEDaSU_SV_EUlSU_E_NS1_11comp_targetILNS1_3genE10ELNS1_11target_archE1201ELNS1_3gpuE5ELNS1_3repE0EEENS1_30default_config_static_selectorELNS0_4arch9wavefront6targetE1EEEvT1_, .Lfunc_end1023-_ZN7rocprim17ROCPRIM_400000_NS6detail17trampoline_kernelINS0_14default_configENS1_27scan_by_key_config_selectorIxiEEZZNS1_16scan_by_key_implILNS1_25lookback_scan_determinismE0ELb1ES3_N6thrust23THRUST_200600_302600_NS6detail15normal_iteratorINS9_10device_ptrIxEEEESE_SE_iNS9_4plusIvEENS9_8equal_toIvEEiEE10hipError_tPvRmT2_T3_T4_T5_mT6_T7_P12ihipStream_tbENKUlT_T0_E_clISt17integral_constantIbLb1EESY_IbLb0EEEEDaSU_SV_EUlSU_E_NS1_11comp_targetILNS1_3genE10ELNS1_11target_archE1201ELNS1_3gpuE5ELNS1_3repE0EEENS1_30default_config_static_selectorELNS0_4arch9wavefront6targetE1EEEvT1_
                                        ; -- End function
	.section	.AMDGPU.csdata,"",@progbits
; Kernel info:
; codeLenInByte = 0
; NumSgprs: 6
; NumVgprs: 0
; NumAgprs: 0
; TotalNumVgprs: 0
; ScratchSize: 0
; MemoryBound: 0
; FloatMode: 240
; IeeeMode: 1
; LDSByteSize: 0 bytes/workgroup (compile time only)
; SGPRBlocks: 0
; VGPRBlocks: 0
; NumSGPRsForWavesPerEU: 6
; NumVGPRsForWavesPerEU: 1
; AccumOffset: 4
; Occupancy: 8
; WaveLimiterHint : 0
; COMPUTE_PGM_RSRC2:SCRATCH_EN: 0
; COMPUTE_PGM_RSRC2:USER_SGPR: 2
; COMPUTE_PGM_RSRC2:TRAP_HANDLER: 0
; COMPUTE_PGM_RSRC2:TGID_X_EN: 1
; COMPUTE_PGM_RSRC2:TGID_Y_EN: 0
; COMPUTE_PGM_RSRC2:TGID_Z_EN: 0
; COMPUTE_PGM_RSRC2:TIDIG_COMP_CNT: 0
; COMPUTE_PGM_RSRC3_GFX90A:ACCUM_OFFSET: 0
; COMPUTE_PGM_RSRC3_GFX90A:TG_SPLIT: 0
	.section	.text._ZN7rocprim17ROCPRIM_400000_NS6detail17trampoline_kernelINS0_14default_configENS1_27scan_by_key_config_selectorIxiEEZZNS1_16scan_by_key_implILNS1_25lookback_scan_determinismE0ELb1ES3_N6thrust23THRUST_200600_302600_NS6detail15normal_iteratorINS9_10device_ptrIxEEEESE_SE_iNS9_4plusIvEENS9_8equal_toIvEEiEE10hipError_tPvRmT2_T3_T4_T5_mT6_T7_P12ihipStream_tbENKUlT_T0_E_clISt17integral_constantIbLb1EESY_IbLb0EEEEDaSU_SV_EUlSU_E_NS1_11comp_targetILNS1_3genE5ELNS1_11target_archE942ELNS1_3gpuE9ELNS1_3repE0EEENS1_30default_config_static_selectorELNS0_4arch9wavefront6targetE1EEEvT1_,"axG",@progbits,_ZN7rocprim17ROCPRIM_400000_NS6detail17trampoline_kernelINS0_14default_configENS1_27scan_by_key_config_selectorIxiEEZZNS1_16scan_by_key_implILNS1_25lookback_scan_determinismE0ELb1ES3_N6thrust23THRUST_200600_302600_NS6detail15normal_iteratorINS9_10device_ptrIxEEEESE_SE_iNS9_4plusIvEENS9_8equal_toIvEEiEE10hipError_tPvRmT2_T3_T4_T5_mT6_T7_P12ihipStream_tbENKUlT_T0_E_clISt17integral_constantIbLb1EESY_IbLb0EEEEDaSU_SV_EUlSU_E_NS1_11comp_targetILNS1_3genE5ELNS1_11target_archE942ELNS1_3gpuE9ELNS1_3repE0EEENS1_30default_config_static_selectorELNS0_4arch9wavefront6targetE1EEEvT1_,comdat
	.protected	_ZN7rocprim17ROCPRIM_400000_NS6detail17trampoline_kernelINS0_14default_configENS1_27scan_by_key_config_selectorIxiEEZZNS1_16scan_by_key_implILNS1_25lookback_scan_determinismE0ELb1ES3_N6thrust23THRUST_200600_302600_NS6detail15normal_iteratorINS9_10device_ptrIxEEEESE_SE_iNS9_4plusIvEENS9_8equal_toIvEEiEE10hipError_tPvRmT2_T3_T4_T5_mT6_T7_P12ihipStream_tbENKUlT_T0_E_clISt17integral_constantIbLb1EESY_IbLb0EEEEDaSU_SV_EUlSU_E_NS1_11comp_targetILNS1_3genE5ELNS1_11target_archE942ELNS1_3gpuE9ELNS1_3repE0EEENS1_30default_config_static_selectorELNS0_4arch9wavefront6targetE1EEEvT1_ ; -- Begin function _ZN7rocprim17ROCPRIM_400000_NS6detail17trampoline_kernelINS0_14default_configENS1_27scan_by_key_config_selectorIxiEEZZNS1_16scan_by_key_implILNS1_25lookback_scan_determinismE0ELb1ES3_N6thrust23THRUST_200600_302600_NS6detail15normal_iteratorINS9_10device_ptrIxEEEESE_SE_iNS9_4plusIvEENS9_8equal_toIvEEiEE10hipError_tPvRmT2_T3_T4_T5_mT6_T7_P12ihipStream_tbENKUlT_T0_E_clISt17integral_constantIbLb1EESY_IbLb0EEEEDaSU_SV_EUlSU_E_NS1_11comp_targetILNS1_3genE5ELNS1_11target_archE942ELNS1_3gpuE9ELNS1_3repE0EEENS1_30default_config_static_selectorELNS0_4arch9wavefront6targetE1EEEvT1_
	.globl	_ZN7rocprim17ROCPRIM_400000_NS6detail17trampoline_kernelINS0_14default_configENS1_27scan_by_key_config_selectorIxiEEZZNS1_16scan_by_key_implILNS1_25lookback_scan_determinismE0ELb1ES3_N6thrust23THRUST_200600_302600_NS6detail15normal_iteratorINS9_10device_ptrIxEEEESE_SE_iNS9_4plusIvEENS9_8equal_toIvEEiEE10hipError_tPvRmT2_T3_T4_T5_mT6_T7_P12ihipStream_tbENKUlT_T0_E_clISt17integral_constantIbLb1EESY_IbLb0EEEEDaSU_SV_EUlSU_E_NS1_11comp_targetILNS1_3genE5ELNS1_11target_archE942ELNS1_3gpuE9ELNS1_3repE0EEENS1_30default_config_static_selectorELNS0_4arch9wavefront6targetE1EEEvT1_
	.p2align	8
	.type	_ZN7rocprim17ROCPRIM_400000_NS6detail17trampoline_kernelINS0_14default_configENS1_27scan_by_key_config_selectorIxiEEZZNS1_16scan_by_key_implILNS1_25lookback_scan_determinismE0ELb1ES3_N6thrust23THRUST_200600_302600_NS6detail15normal_iteratorINS9_10device_ptrIxEEEESE_SE_iNS9_4plusIvEENS9_8equal_toIvEEiEE10hipError_tPvRmT2_T3_T4_T5_mT6_T7_P12ihipStream_tbENKUlT_T0_E_clISt17integral_constantIbLb1EESY_IbLb0EEEEDaSU_SV_EUlSU_E_NS1_11comp_targetILNS1_3genE5ELNS1_11target_archE942ELNS1_3gpuE9ELNS1_3repE0EEENS1_30default_config_static_selectorELNS0_4arch9wavefront6targetE1EEEvT1_,@function
_ZN7rocprim17ROCPRIM_400000_NS6detail17trampoline_kernelINS0_14default_configENS1_27scan_by_key_config_selectorIxiEEZZNS1_16scan_by_key_implILNS1_25lookback_scan_determinismE0ELb1ES3_N6thrust23THRUST_200600_302600_NS6detail15normal_iteratorINS9_10device_ptrIxEEEESE_SE_iNS9_4plusIvEENS9_8equal_toIvEEiEE10hipError_tPvRmT2_T3_T4_T5_mT6_T7_P12ihipStream_tbENKUlT_T0_E_clISt17integral_constantIbLb1EESY_IbLb0EEEEDaSU_SV_EUlSU_E_NS1_11comp_targetILNS1_3genE5ELNS1_11target_archE942ELNS1_3gpuE9ELNS1_3repE0EEENS1_30default_config_static_selectorELNS0_4arch9wavefront6targetE1EEEvT1_: ; @_ZN7rocprim17ROCPRIM_400000_NS6detail17trampoline_kernelINS0_14default_configENS1_27scan_by_key_config_selectorIxiEEZZNS1_16scan_by_key_implILNS1_25lookback_scan_determinismE0ELb1ES3_N6thrust23THRUST_200600_302600_NS6detail15normal_iteratorINS9_10device_ptrIxEEEESE_SE_iNS9_4plusIvEENS9_8equal_toIvEEiEE10hipError_tPvRmT2_T3_T4_T5_mT6_T7_P12ihipStream_tbENKUlT_T0_E_clISt17integral_constantIbLb1EESY_IbLb0EEEEDaSU_SV_EUlSU_E_NS1_11comp_targetILNS1_3genE5ELNS1_11target_archE942ELNS1_3gpuE9ELNS1_3repE0EEENS1_30default_config_static_selectorELNS0_4arch9wavefront6targetE1EEEvT1_
; %bb.0:
	s_load_dwordx8 s[36:43], s[0:1], 0x0
	s_load_dword s58, s[0:1], 0x20
	s_load_dwordx4 s[44:47], s[0:1], 0x28
	s_load_dwordx2 s[52:53], s[0:1], 0x38
	s_load_dword s3, s[0:1], 0x40
	s_load_dwordx4 s[48:51], s[0:1], 0x48
	s_waitcnt lgkmcnt(0)
	s_lshl_b64 s[38:39], s[38:39], 3
	s_add_u32 s4, s36, s38
	s_addc_u32 s5, s37, s39
	s_add_u32 s6, s40, s38
	s_mul_i32 s0, s53, s3
	s_mul_hi_u32 s1, s52, s3
	s_addc_u32 s7, s41, s39
	s_add_i32 s8, s1, s0
	s_mul_i32 s0, s2, 0xe00
	s_mov_b32 s1, 0
	s_lshl_b64 s[36:37], s[0:1], 3
	s_add_u32 s40, s4, s36
	s_addc_u32 s41, s5, s37
	s_add_u32 s34, s6, s36
	s_mul_i32 s3, s52, s3
	s_addc_u32 s35, s7, s37
	s_add_u32 s0, s3, s2
	s_addc_u32 s1, s8, 0
	s_add_u32 s6, s48, -1
	s_addc_u32 s7, s49, -1
	v_mov_b64_e32 v[2:3], s[6:7]
	v_cmp_ge_u64_e64 s[0:1], s[0:1], v[2:3]
	s_mov_b64 s[4:5], -1
	s_and_b64 vcc, exec, s[0:1]
	s_mul_i32 s33, s6, 0xfffff200
	s_barrier
	s_cbranch_vccz .LBB1024_76
; %bb.1:
	v_mov_b64_e32 v[2:3], s[40:41]
	flat_load_dwordx2 v[2:3], v[2:3]
	s_add_i32 s3, s33, s46
	v_cmp_gt_u32_e32 vcc, s3, v0
	s_waitcnt vmcnt(0) lgkmcnt(0)
	v_mov_b64_e32 v[4:5], v[2:3]
	s_and_saveexec_b64 s[4:5], vcc
	s_cbranch_execz .LBB1024_3
; %bb.2:
	v_lshlrev_b32_e32 v4, 3, v0
	v_mov_b32_e32 v5, 0
	v_lshl_add_u64 v[4:5], s[40:41], 0, v[4:5]
	flat_load_dwordx2 v[4:5], v[4:5]
.LBB1024_3:
	s_or_b64 exec, exec, s[4:5]
	v_or_b32_e32 v1, 0x100, v0
	v_cmp_gt_u32_e64 s[28:29], s3, v1
	v_mov_b64_e32 v[6:7], v[2:3]
	s_and_saveexec_b64 s[4:5], s[28:29]
	s_cbranch_execz .LBB1024_5
; %bb.4:
	v_lshlrev_b32_e32 v6, 3, v0
	v_mov_b32_e32 v7, 0
	v_lshl_add_u64 v[6:7], s[40:41], 0, v[6:7]
	flat_load_dwordx2 v[6:7], v[6:7] offset:2048
.LBB1024_5:
	s_or_b64 exec, exec, s[4:5]
	v_or_b32_e32 v1, 0x200, v0
	v_cmp_gt_u32_e64 s[4:5], s3, v1
	v_mov_b64_e32 v[8:9], v[2:3]
	s_and_saveexec_b64 s[6:7], s[4:5]
	s_cbranch_execz .LBB1024_7
; %bb.6:
	v_lshlrev_b32_e32 v8, 3, v1
	v_mov_b32_e32 v9, 0
	v_lshl_add_u64 v[8:9], s[40:41], 0, v[8:9]
	flat_load_dwordx2 v[8:9], v[8:9]
.LBB1024_7:
	s_or_b64 exec, exec, s[6:7]
	v_or_b32_e32 v32, 0x300, v0
	v_cmp_gt_u32_e64 s[6:7], s3, v32
	v_mov_b64_e32 v[10:11], v[2:3]
	s_and_saveexec_b64 s[8:9], s[6:7]
	s_cbranch_execz .LBB1024_9
; %bb.8:
	v_lshlrev_b32_e32 v10, 3, v32
	v_mov_b32_e32 v11, 0
	v_lshl_add_u64 v[10:11], s[40:41], 0, v[10:11]
	flat_load_dwordx2 v[10:11], v[10:11]
.LBB1024_9:
	;; [unrolled: 12-line block ×11, first 2 shown]
	s_or_b64 exec, exec, s[26:27]
	v_or_b32_e32 v42, 0xd00, v0
	v_cmp_gt_u32_e64 s[26:27], s3, v42
	s_and_saveexec_b64 s[30:31], s[26:27]
	s_cbranch_execz .LBB1024_29
; %bb.28:
	v_lshlrev_b32_e32 v2, 3, v42
	v_mov_b32_e32 v3, 0
	v_lshl_add_u64 v[2:3], s[40:41], 0, v[2:3]
	flat_load_dwordx2 v[2:3], v[2:3]
.LBB1024_29:
	s_or_b64 exec, exec, s[30:31]
	v_lshlrev_b32_e32 v30, 3, v0
	s_waitcnt vmcnt(0) lgkmcnt(0)
	ds_write2st64_b64 v30, v[4:5], v[6:7] offset1:4
	ds_write2st64_b64 v30, v[8:9], v[10:11] offset0:8 offset1:12
	ds_write2st64_b64 v30, v[12:13], v[14:15] offset0:16 offset1:20
	;; [unrolled: 1-line block ×6, first 2 shown]
	v_mov_b64_e32 v[2:3], s[40:41]
	s_waitcnt lgkmcnt(0)
	s_barrier
	flat_load_dwordx2 v[56:57], v[2:3]
	s_movk_i32 s30, 0x68
	v_mad_u32_u24 v31, v0, s30, v30
	s_movk_i32 s30, 0xff98
	v_mad_i32_i24 v43, v0, s30, v31
	s_movk_i32 s30, 0xff
	v_cmp_ne_u32_e64 s[30:31], s30, v0
	ds_read_b128 v[26:29], v31
	ds_read_b128 v[22:25], v31 offset:16
	ds_read_b128 v[18:21], v31 offset:32
	;; [unrolled: 1-line block ×6, first 2 shown]
	s_waitcnt lgkmcnt(0)
	ds_write_b64 v43, v[26:27] offset:30720
	s_waitcnt lgkmcnt(0)
	s_barrier
	s_and_saveexec_b64 s[48:49], s[30:31]
	s_cbranch_execz .LBB1024_31
; %bb.30:
	s_waitcnt vmcnt(0)
	ds_read_b64 v[56:57], v30 offset:30728
.LBB1024_31:
	s_or_b64 exec, exec, s[48:49]
	v_mov_b32_e32 v31, 0
	s_waitcnt lgkmcnt(0)
	s_barrier
	s_waitcnt lgkmcnt(0)
                                        ; implicit-def: $vgpr44
	s_and_saveexec_b64 s[30:31], vcc
	s_cbranch_execz .LBB1024_123
; %bb.32:
	v_lshl_add_u64 v[44:45], s[34:35], 0, v[30:31]
	flat_load_dword v44, v[44:45]
	s_or_b64 exec, exec, s[30:31]
                                        ; implicit-def: $vgpr31
	s_and_saveexec_b64 s[30:31], s[28:29]
	s_cbranch_execnz .LBB1024_124
.LBB1024_33:
	s_or_b64 exec, exec, s[30:31]
                                        ; implicit-def: $vgpr30
	s_and_saveexec_b64 s[28:29], s[4:5]
	s_cbranch_execz .LBB1024_125
.LBB1024_34:
	v_lshlrev_b32_e32 v46, 3, v1
	v_mov_b32_e32 v47, 0
	v_lshl_add_u64 v[46:47], s[34:35], 0, v[46:47]
	flat_load_dword v30, v[46:47]
	s_or_b64 exec, exec, s[28:29]
                                        ; implicit-def: $vgpr45
	s_and_saveexec_b64 s[4:5], s[6:7]
	s_cbranch_execnz .LBB1024_126
.LBB1024_35:
	s_or_b64 exec, exec, s[4:5]
                                        ; implicit-def: $vgpr32
	s_and_saveexec_b64 s[4:5], s[8:9]
	s_cbranch_execz .LBB1024_127
.LBB1024_36:
	v_lshlrev_b32_e32 v32, 3, v33
	v_mov_b32_e32 v33, 0
	v_lshl_add_u64 v[32:33], s[34:35], 0, v[32:33]
	flat_load_dword v32, v[32:33]
	s_or_b64 exec, exec, s[4:5]
                                        ; implicit-def: $vgpr33
	s_and_saveexec_b64 s[4:5], s[10:11]
	s_cbranch_execnz .LBB1024_128
.LBB1024_37:
	s_or_b64 exec, exec, s[4:5]
                                        ; implicit-def: $vgpr34
	s_and_saveexec_b64 s[4:5], s[12:13]
	s_cbranch_execz .LBB1024_129
.LBB1024_38:
	v_lshlrev_b32_e32 v34, 3, v35
	v_mov_b32_e32 v35, 0
	v_lshl_add_u64 v[34:35], s[34:35], 0, v[34:35]
	flat_load_dword v34, v[34:35]
	s_or_b64 exec, exec, s[4:5]
                                        ; implicit-def: $vgpr35
	s_and_saveexec_b64 s[4:5], s[14:15]
	s_cbranch_execnz .LBB1024_130
.LBB1024_39:
	s_or_b64 exec, exec, s[4:5]
                                        ; implicit-def: $vgpr36
	s_and_saveexec_b64 s[4:5], s[16:17]
	s_cbranch_execz .LBB1024_131
.LBB1024_40:
	v_lshlrev_b32_e32 v36, 3, v37
	v_mov_b32_e32 v37, 0
	v_lshl_add_u64 v[36:37], s[34:35], 0, v[36:37]
	flat_load_dword v36, v[36:37]
	s_or_b64 exec, exec, s[4:5]
                                        ; implicit-def: $vgpr37
	s_and_saveexec_b64 s[4:5], s[18:19]
	s_cbranch_execnz .LBB1024_132
.LBB1024_41:
	s_or_b64 exec, exec, s[4:5]
                                        ; implicit-def: $vgpr38
	s_and_saveexec_b64 s[4:5], s[20:21]
	s_cbranch_execz .LBB1024_133
.LBB1024_42:
	v_lshlrev_b32_e32 v38, 3, v39
	v_mov_b32_e32 v39, 0
	v_lshl_add_u64 v[38:39], s[34:35], 0, v[38:39]
	flat_load_dword v38, v[38:39]
	s_or_b64 exec, exec, s[4:5]
                                        ; implicit-def: $vgpr39
	s_and_saveexec_b64 s[4:5], s[22:23]
	s_cbranch_execnz .LBB1024_134
.LBB1024_43:
	s_or_b64 exec, exec, s[4:5]
                                        ; implicit-def: $vgpr40
	s_and_saveexec_b64 s[4:5], s[24:25]
	s_cbranch_execz .LBB1024_45
.LBB1024_44:
	v_lshlrev_b32_e32 v40, 3, v41
	v_mov_b32_e32 v41, 0
	v_lshl_add_u64 v[40:41], s[34:35], 0, v[40:41]
	flat_load_dword v40, v[40:41]
.LBB1024_45:
	s_or_b64 exec, exec, s[4:5]
	v_mul_u32_u24_e32 v1, 14, v0
                                        ; implicit-def: $vgpr41
	s_and_saveexec_b64 s[4:5], s[26:27]
	s_cbranch_execz .LBB1024_47
; %bb.46:
	v_lshlrev_b32_e32 v46, 3, v42
	v_mov_b32_e32 v47, 0
	v_lshl_add_u64 v[46:47], s[34:35], 0, v[46:47]
	flat_load_dword v41, v[46:47]
.LBB1024_47:
	s_or_b64 exec, exec, s[4:5]
	v_lshlrev_b32_e32 v42, 2, v0
	v_sub_u32_e32 v59, v43, v42
	s_waitcnt vmcnt(0) lgkmcnt(0)
	ds_write2st64_b32 v59, v44, v31 offset1:4
	ds_write2st64_b32 v59, v30, v45 offset0:8 offset1:12
	ds_write2st64_b32 v59, v32, v33 offset0:16 offset1:20
	;; [unrolled: 1-line block ×6, first 2 shown]
	v_mov_b64_e32 v[30:31], 0
	v_cmp_gt_u32_e32 vcc, s3, v1
	s_mov_b64 s[10:11], 0
	s_mov_b64 s[4:5], 0
	v_mov_b64_e32 v[32:33], v[30:31]
	v_mov_b64_e32 v[34:35], v[30:31]
	v_mov_b64_e32 v[36:37], v[30:31]
	v_mov_b64_e32 v[38:39], v[30:31]
	v_mov_b64_e32 v[40:41], v[30:31]
	v_mov_b64_e32 v[42:43], v[30:31]
	v_mov_b64_e32 v[44:45], v[30:31]
	v_mov_b64_e32 v[46:47], v[30:31]
	v_mov_b64_e32 v[48:49], v[30:31]
	v_mov_b64_e32 v[50:51], v[30:31]
	v_mov_b64_e32 v[52:53], v[30:31]
	v_mov_b64_e32 v[54:55], v[30:31]
	s_waitcnt lgkmcnt(0)
	s_barrier
	s_waitcnt lgkmcnt(0)
                                        ; implicit-def: $sgpr8_sgpr9
                                        ; implicit-def: $vgpr58
	s_and_saveexec_b64 s[6:7], vcc
	s_cbranch_execz .LBB1024_75
; %bb.48:
	v_mad_u32_u24 v30, v0, 52, v59
	ds_read_b32 v30, v30
	v_mov_b32_e32 v31, s58
	v_cmp_eq_u64_e32 vcc, v[26:27], v[28:29]
	v_or_b32_e32 v32, 1, v1
	s_mov_b64 s[12:13], 0
	s_waitcnt lgkmcnt(0)
	v_cndmask_b32_e32 v30, v31, v30, vcc
	v_cmp_ne_u64_e32 vcc, v[26:27], v[28:29]
                                        ; implicit-def: $sgpr14_sgpr15
                                        ; implicit-def: $vgpr58
	s_nop 1
	v_cndmask_b32_e64 v31, 0, 1, vcc
	v_cmp_gt_u32_e32 vcc, s3, v32
	v_mov_b64_e32 v[32:33], 0
	v_mov_b64_e32 v[34:35], v[32:33]
	;; [unrolled: 1-line block ×12, first 2 shown]
	s_and_saveexec_b64 s[8:9], vcc
	s_cbranch_execz .LBB1024_74
; %bb.49:
	v_mul_u32_u24_e32 v26, 52, v0
	v_add_u32_e32 v59, v59, v26
	ds_read2_b32 v[26:27], v59 offset0:1 offset1:2
	v_mov_b32_e32 v32, s58
	v_cmp_eq_u64_e32 vcc, v[28:29], v[22:23]
	v_add_u32_e32 v34, 2, v1
	s_mov_b64 s[14:15], 0
	s_waitcnt lgkmcnt(0)
	v_cndmask_b32_e32 v32, v32, v26, vcc
	v_cmp_ne_u64_e32 vcc, v[28:29], v[22:23]
                                        ; implicit-def: $sgpr16_sgpr17
                                        ; implicit-def: $vgpr58
	s_nop 1
	v_cndmask_b32_e64 v33, 0, 1, vcc
	v_cmp_gt_u32_e32 vcc, s3, v34
	v_mov_b64_e32 v[34:35], 0
	v_mov_b64_e32 v[36:37], v[34:35]
	;; [unrolled: 1-line block ×11, first 2 shown]
	s_and_saveexec_b64 s[10:11], vcc
	s_cbranch_execz .LBB1024_73
; %bb.50:
	v_mov_b32_e32 v28, s58
	v_cmp_eq_u64_e32 vcc, v[22:23], v[24:25]
	v_add_u32_e32 v26, 3, v1
	v_mov_b64_e32 v[36:37], 0
	v_cndmask_b32_e32 v34, v28, v27, vcc
	v_cmp_ne_u64_e32 vcc, v[22:23], v[24:25]
	s_mov_b64 s[16:17], 0
	v_mov_b64_e32 v[38:39], v[36:37]
	v_cndmask_b32_e64 v35, 0, 1, vcc
	v_cmp_gt_u32_e32 vcc, s3, v26
	v_mov_b64_e32 v[40:41], v[36:37]
	v_mov_b64_e32 v[42:43], v[36:37]
	;; [unrolled: 1-line block ×8, first 2 shown]
                                        ; implicit-def: $sgpr18_sgpr19
                                        ; implicit-def: $vgpr58
	s_and_saveexec_b64 s[12:13], vcc
	s_cbranch_execz .LBB1024_72
; %bb.51:
	ds_read2_b32 v[22:23], v59 offset0:3 offset1:4
	v_mov_b32_e32 v27, s58
	v_cmp_eq_u64_e32 vcc, v[24:25], v[18:19]
	v_add_u32_e32 v26, 4, v1
	v_mov_b64_e32 v[38:39], 0
	s_waitcnt lgkmcnt(0)
	v_cndmask_b32_e32 v36, v27, v22, vcc
	v_cmp_ne_u64_e32 vcc, v[24:25], v[18:19]
	s_mov_b64 s[18:19], 0
	v_mov_b64_e32 v[40:41], v[38:39]
	v_cndmask_b32_e64 v37, 0, 1, vcc
	v_cmp_gt_u32_e32 vcc, s3, v26
	v_mov_b64_e32 v[42:43], v[38:39]
	v_mov_b64_e32 v[44:45], v[38:39]
	;; [unrolled: 1-line block ×7, first 2 shown]
                                        ; implicit-def: $sgpr20_sgpr21
                                        ; implicit-def: $vgpr58
	s_and_saveexec_b64 s[14:15], vcc
	s_cbranch_execz .LBB1024_71
; %bb.52:
	v_mov_b32_e32 v24, s58
	v_cmp_eq_u64_e32 vcc, v[18:19], v[20:21]
	v_add_u32_e32 v22, 5, v1
	v_mov_b64_e32 v[40:41], 0
	v_cndmask_b32_e32 v38, v24, v23, vcc
	v_cmp_ne_u64_e32 vcc, v[18:19], v[20:21]
	s_mov_b64 s[20:21], 0
	v_mov_b64_e32 v[42:43], v[40:41]
	v_cndmask_b32_e64 v39, 0, 1, vcc
	v_cmp_gt_u32_e32 vcc, s3, v22
	v_mov_b64_e32 v[44:45], v[40:41]
	v_mov_b64_e32 v[46:47], v[40:41]
	;; [unrolled: 1-line block ×6, first 2 shown]
                                        ; implicit-def: $sgpr22_sgpr23
                                        ; implicit-def: $vgpr58
	s_and_saveexec_b64 s[16:17], vcc
	s_cbranch_execz .LBB1024_70
; %bb.53:
	ds_read2_b32 v[18:19], v59 offset0:5 offset1:6
	v_mov_b32_e32 v23, s58
	v_cmp_eq_u64_e32 vcc, v[20:21], v[14:15]
	v_add_u32_e32 v22, 6, v1
	v_mov_b64_e32 v[42:43], 0
	s_waitcnt lgkmcnt(0)
	v_cndmask_b32_e32 v40, v23, v18, vcc
	v_cmp_ne_u64_e32 vcc, v[20:21], v[14:15]
	s_mov_b64 s[22:23], 0
	v_mov_b64_e32 v[44:45], v[42:43]
	v_cndmask_b32_e64 v41, 0, 1, vcc
	v_cmp_gt_u32_e32 vcc, s3, v22
	v_mov_b64_e32 v[46:47], v[42:43]
	v_mov_b64_e32 v[48:49], v[42:43]
	;; [unrolled: 1-line block ×5, first 2 shown]
                                        ; implicit-def: $sgpr24_sgpr25
                                        ; implicit-def: $vgpr58
	s_and_saveexec_b64 s[18:19], vcc
	s_cbranch_execz .LBB1024_69
; %bb.54:
	v_mov_b32_e32 v20, s58
	v_cmp_eq_u64_e32 vcc, v[14:15], v[16:17]
	v_add_u32_e32 v18, 7, v1
	v_mov_b64_e32 v[44:45], 0
	v_cndmask_b32_e32 v42, v20, v19, vcc
	v_cmp_ne_u64_e32 vcc, v[14:15], v[16:17]
	s_mov_b64 s[24:25], 0
	v_mov_b64_e32 v[46:47], v[44:45]
	v_cndmask_b32_e64 v43, 0, 1, vcc
	v_cmp_gt_u32_e32 vcc, s3, v18
	v_mov_b64_e32 v[48:49], v[44:45]
	v_mov_b64_e32 v[50:51], v[44:45]
	;; [unrolled: 1-line block ×4, first 2 shown]
                                        ; implicit-def: $sgpr26_sgpr27
                                        ; implicit-def: $vgpr58
	s_and_saveexec_b64 s[20:21], vcc
	s_cbranch_execz .LBB1024_68
; %bb.55:
	ds_read2_b32 v[14:15], v59 offset0:7 offset1:8
	v_mov_b32_e32 v19, s58
	v_cmp_eq_u64_e32 vcc, v[16:17], v[10:11]
	v_add_u32_e32 v18, 8, v1
	v_mov_b64_e32 v[46:47], 0
	s_waitcnt lgkmcnt(0)
	v_cndmask_b32_e32 v44, v19, v14, vcc
	v_cmp_ne_u64_e32 vcc, v[16:17], v[10:11]
	s_mov_b64 s[26:27], 0
	v_mov_b64_e32 v[48:49], v[46:47]
	v_cndmask_b32_e64 v45, 0, 1, vcc
	v_cmp_gt_u32_e32 vcc, s3, v18
	v_mov_b64_e32 v[50:51], v[46:47]
	v_mov_b64_e32 v[52:53], v[46:47]
	v_mov_b64_e32 v[54:55], v[46:47]
                                        ; implicit-def: $sgpr28_sgpr29
                                        ; implicit-def: $vgpr58
	s_and_saveexec_b64 s[22:23], vcc
	s_cbranch_execz .LBB1024_67
; %bb.56:
	v_mov_b32_e32 v16, s58
	v_cmp_eq_u64_e32 vcc, v[10:11], v[12:13]
	v_add_u32_e32 v14, 9, v1
	v_mov_b64_e32 v[48:49], 0
	v_cndmask_b32_e32 v46, v16, v15, vcc
	v_cmp_ne_u64_e32 vcc, v[10:11], v[12:13]
	s_mov_b64 s[28:29], 0
	v_mov_b64_e32 v[50:51], v[48:49]
	v_cndmask_b32_e64 v47, 0, 1, vcc
	v_cmp_gt_u32_e32 vcc, s3, v14
	v_mov_b64_e32 v[52:53], v[48:49]
	v_mov_b64_e32 v[54:55], v[48:49]
                                        ; implicit-def: $sgpr30_sgpr31
                                        ; implicit-def: $vgpr58
	s_and_saveexec_b64 s[24:25], vcc
	s_cbranch_execz .LBB1024_66
; %bb.57:
	ds_read2_b32 v[10:11], v59 offset0:9 offset1:10
	v_mov_b32_e32 v15, s58
	v_cmp_eq_u64_e32 vcc, v[12:13], v[6:7]
	v_add_u32_e32 v14, 10, v1
	v_mov_b64_e32 v[50:51], 0
	s_waitcnt lgkmcnt(0)
	v_cndmask_b32_e32 v48, v15, v10, vcc
	v_cmp_ne_u64_e32 vcc, v[12:13], v[6:7]
	s_mov_b64 s[30:31], 0
	v_mov_b64_e32 v[52:53], v[50:51]
	v_cndmask_b32_e64 v49, 0, 1, vcc
	v_cmp_gt_u32_e32 vcc, s3, v14
	v_mov_b64_e32 v[54:55], v[50:51]
                                        ; implicit-def: $sgpr48_sgpr49
                                        ; implicit-def: $vgpr58
	s_and_saveexec_b64 s[26:27], vcc
	s_cbranch_execz .LBB1024_65
; %bb.58:
	v_mov_b32_e32 v12, s58
	v_cmp_eq_u64_e32 vcc, v[6:7], v[8:9]
	v_add_u32_e32 v10, 11, v1
	v_mov_b64_e32 v[52:53], 0
	v_cndmask_b32_e32 v50, v12, v11, vcc
	v_cmp_ne_u64_e32 vcc, v[6:7], v[8:9]
	s_mov_b64 s[48:49], 0
	v_mov_b64_e32 v[54:55], v[52:53]
	v_cndmask_b32_e64 v51, 0, 1, vcc
	v_cmp_gt_u32_e32 vcc, s3, v10
                                        ; implicit-def: $sgpr54_sgpr55
                                        ; implicit-def: $vgpr58
	s_and_saveexec_b64 s[28:29], vcc
	s_cbranch_execz .LBB1024_64
; %bb.59:
	ds_read2_b32 v[6:7], v59 offset0:11 offset1:12
	v_mov_b32_e32 v11, s58
	v_cmp_eq_u64_e32 vcc, v[8:9], v[2:3]
	v_add_u32_e32 v10, 12, v1
	v_mov_b64_e32 v[54:55], 0
	s_waitcnt lgkmcnt(0)
	v_cndmask_b32_e32 v52, v11, v6, vcc
	v_cmp_ne_u64_e32 vcc, v[8:9], v[2:3]
                                        ; implicit-def: $sgpr54_sgpr55
                                        ; implicit-def: $vgpr58
	s_nop 1
	v_cndmask_b32_e64 v53, 0, 1, vcc
	v_cmp_gt_u32_e32 vcc, s3, v10
	s_and_saveexec_b64 s[30:31], vcc
	s_cbranch_execz .LBB1024_63
; %bb.60:
	v_mov_b32_e32 v6, s58
	v_cmp_eq_u64_e32 vcc, v[2:3], v[4:5]
	v_add_u32_e32 v1, 13, v1
                                        ; implicit-def: $sgpr54_sgpr55
                                        ; implicit-def: $vgpr58
	s_nop 0
	v_cndmask_b32_e32 v54, v6, v7, vcc
	v_cmp_ne_u64_e32 vcc, v[2:3], v[4:5]
	s_nop 1
	v_cndmask_b32_e64 v55, 0, 1, vcc
	v_cmp_gt_u32_e32 vcc, s3, v1
	s_and_saveexec_b64 s[56:57], vcc
	s_xor_b64 s[56:57], exec, s[56:57]
	s_cbranch_execz .LBB1024_62
; %bb.61:
	ds_read_b32 v1, v59 offset:52
	v_mov_b32_e32 v2, s58
	v_cmp_ne_u64_e32 vcc, v[4:5], v[56:57]
	s_mov_b64 s[48:49], exec
	s_and_b64 s[54:55], vcc, exec
	s_waitcnt lgkmcnt(0)
	v_cndmask_b32_e32 v58, v1, v2, vcc
.LBB1024_62:
	s_or_b64 exec, exec, s[56:57]
	s_and_b64 s[54:55], s[54:55], exec
	s_and_b64 s[48:49], s[48:49], exec
.LBB1024_63:
	s_or_b64 exec, exec, s[30:31]
	s_and_b64 s[54:55], s[54:55], exec
	s_and_b64 s[30:31], s[48:49], exec
.LBB1024_64:
	s_or_b64 exec, exec, s[28:29]
	s_and_b64 s[48:49], s[54:55], exec
	s_and_b64 s[28:29], s[30:31], exec
.LBB1024_65:
	s_or_b64 exec, exec, s[26:27]
	s_and_b64 s[30:31], s[48:49], exec
	s_and_b64 s[26:27], s[28:29], exec
.LBB1024_66:
	s_or_b64 exec, exec, s[24:25]
	s_and_b64 s[28:29], s[30:31], exec
	s_and_b64 s[24:25], s[26:27], exec
.LBB1024_67:
	s_or_b64 exec, exec, s[22:23]
	s_and_b64 s[26:27], s[28:29], exec
	s_and_b64 s[22:23], s[24:25], exec
.LBB1024_68:
	s_or_b64 exec, exec, s[20:21]
	s_and_b64 s[24:25], s[26:27], exec
	s_and_b64 s[20:21], s[22:23], exec
.LBB1024_69:
	s_or_b64 exec, exec, s[18:19]
	s_and_b64 s[22:23], s[24:25], exec
	s_and_b64 s[18:19], s[20:21], exec
.LBB1024_70:
	s_or_b64 exec, exec, s[16:17]
	s_and_b64 s[20:21], s[22:23], exec
	s_and_b64 s[16:17], s[18:19], exec
.LBB1024_71:
	s_or_b64 exec, exec, s[14:15]
	s_and_b64 s[18:19], s[20:21], exec
	s_and_b64 s[14:15], s[16:17], exec
.LBB1024_72:
	s_or_b64 exec, exec, s[12:13]
	s_and_b64 s[16:17], s[18:19], exec
	s_and_b64 s[12:13], s[14:15], exec
.LBB1024_73:
	s_or_b64 exec, exec, s[10:11]
	s_and_b64 s[14:15], s[16:17], exec
	s_and_b64 s[10:11], s[12:13], exec
.LBB1024_74:
	s_or_b64 exec, exec, s[8:9]
	s_and_b64 s[8:9], s[14:15], exec
	s_and_b64 s[10:11], s[10:11], exec
.LBB1024_75:
	s_or_b64 exec, exec, s[6:7]
	s_mov_b64 s[6:7], 0
	s_and_b64 vcc, exec, s[4:5]
	v_lshlrev_b32_e32 v56, 3, v0
	s_cbranch_vccnz .LBB1024_77
	s_branch .LBB1024_82
.LBB1024_76:
	s_mov_b64 s[10:11], 0
                                        ; implicit-def: $sgpr8_sgpr9
                                        ; implicit-def: $vgpr58
                                        ; implicit-def: $vgpr30_vgpr31
                                        ; implicit-def: $vgpr32_vgpr33
                                        ; implicit-def: $vgpr34_vgpr35
                                        ; implicit-def: $vgpr36_vgpr37
                                        ; implicit-def: $vgpr38_vgpr39
                                        ; implicit-def: $vgpr40_vgpr41
                                        ; implicit-def: $vgpr42_vgpr43
                                        ; implicit-def: $vgpr44_vgpr45
                                        ; implicit-def: $vgpr46_vgpr47
                                        ; implicit-def: $vgpr48_vgpr49
                                        ; implicit-def: $vgpr50_vgpr51
                                        ; implicit-def: $vgpr52_vgpr53
                                        ; implicit-def: $vgpr54_vgpr55
                                        ; implicit-def: $sgpr6_sgpr7
	s_and_b64 vcc, exec, s[4:5]
	v_lshlrev_b32_e32 v56, 3, v0
	s_cbranch_vccz .LBB1024_82
.LBB1024_77:
	v_mov_b32_e32 v57, 0
	v_lshl_add_u64 v[2:3], s[40:41], 0, v[56:57]
	v_add_co_u32_e32 v4, vcc, 0x1000, v2
	s_movk_i32 s3, 0x7000
	s_nop 0
	v_addc_co_u32_e32 v5, vcc, 0, v3, vcc
	flat_load_dwordx2 v[6:7], v[2:3]
	flat_load_dwordx2 v[8:9], v[2:3] offset:2048
	flat_load_dwordx2 v[10:11], v[4:5]
	flat_load_dwordx2 v[12:13], v[4:5] offset:2048
	v_add_co_u32_e32 v4, vcc, 0x2000, v2
	v_mov_b32_e32 v1, s40
	s_nop 0
	v_addc_co_u32_e32 v5, vcc, 0, v3, vcc
	v_add_co_u32_e32 v14, vcc, 0x3000, v2
	s_movk_i32 s6, 0x68
	s_nop 0
	v_addc_co_u32_e32 v15, vcc, 0, v3, vcc
	flat_load_dwordx2 v[16:17], v[4:5]
	flat_load_dwordx2 v[18:19], v[4:5] offset:2048
	flat_load_dwordx2 v[20:21], v[14:15]
	flat_load_dwordx2 v[22:23], v[14:15] offset:2048
	v_add_co_u32_e32 v4, vcc, 0x4000, v2
	s_movk_i32 s11, 0x1000
	s_nop 0
	v_addc_co_u32_e32 v5, vcc, 0, v3, vcc
	v_add_co_u32_e32 v14, vcc, 0x5000, v2
	s_mov_b32 s4, 0
	s_nop 0
	v_addc_co_u32_e32 v15, vcc, 0, v3, vcc
	v_add_co_u32_e32 v2, vcc, 0x6000, v2
	flat_load_dwordx2 v[24:25], v[4:5]
	flat_load_dwordx2 v[26:27], v[4:5] offset:2048
	flat_load_dwordx2 v[28:29], v[14:15]
	flat_load_dwordx2 v[30:31], v[14:15] offset:2048
	v_addc_co_u32_e32 v3, vcc, 0, v3, vcc
	flat_load_dwordx2 v[4:5], v[2:3]
	flat_load_dwordx2 v[14:15], v[2:3] offset:2048
	v_mov_b32_e32 v3, s41
	v_add_co_u32_e32 v2, vcc, s3, v1
	v_mad_u32_u24 v1, v0, s6, v56
	s_nop 0
	v_addc_co_u32_e32 v3, vcc, 0, v3, vcc
	s_movk_i32 s6, 0xff98
	s_movk_i32 s10, 0x2000
	s_movk_i32 s9, 0x3000
	s_movk_i32 s8, 0x4000
	s_movk_i32 s5, 0x5000
	s_movk_i32 s3, 0x6000
	s_waitcnt vmcnt(0) lgkmcnt(0)
	ds_write2st64_b64 v56, v[6:7], v[8:9] offset1:4
	ds_write2st64_b64 v56, v[10:11], v[12:13] offset0:8 offset1:12
	ds_write2st64_b64 v56, v[16:17], v[18:19] offset0:16 offset1:20
	;; [unrolled: 1-line block ×6, first 2 shown]
	s_waitcnt lgkmcnt(0)
	s_barrier
	flat_load_dwordx2 v[58:59], v[2:3]
	ds_read_b128 v[26:29], v1
	ds_read_b128 v[22:25], v1 offset:16
	ds_read_b128 v[18:21], v1 offset:32
	;; [unrolled: 1-line block ×6, first 2 shown]
	v_mad_i32_i24 v1, v0, s6, v1
	s_movk_i32 s6, 0xff
	v_cmp_ne_u32_e32 vcc, s6, v0
	s_waitcnt lgkmcnt(0)
	ds_write_b64 v1, v[26:27] offset:30720
	s_waitcnt lgkmcnt(0)
	s_barrier
	s_and_saveexec_b64 s[6:7], vcc
	s_cbranch_execz .LBB1024_79
; %bb.78:
	s_waitcnt vmcnt(0)
	ds_read_b64 v[58:59], v56 offset:30728
.LBB1024_79:
	s_or_b64 exec, exec, s[6:7]
	v_lshl_add_u64 v[30:31], s[34:35], 0, v[56:57]
	v_add_co_u32_e32 v32, vcc, s11, v30
	s_waitcnt lgkmcnt(0)
	s_nop 0
	v_addc_co_u32_e32 v33, vcc, 0, v31, vcc
	v_add_co_u32_e32 v34, vcc, s10, v30
	s_barrier
	s_nop 0
	v_addc_co_u32_e32 v35, vcc, 0, v31, vcc
	v_add_co_u32_e32 v36, vcc, s9, v30
	s_nop 1
	v_addc_co_u32_e32 v37, vcc, 0, v31, vcc
	flat_load_dword v38, v[30:31]
	flat_load_dword v39, v[30:31] offset:2048
	flat_load_dword v40, v[32:33]
	flat_load_dword v41, v[32:33] offset:2048
	;; [unrolled: 2-line block ×4, first 2 shown]
	v_add_co_u32_e32 v32, vcc, s8, v30
	s_nop 1
	v_addc_co_u32_e32 v33, vcc, 0, v31, vcc
	v_add_co_u32_e32 v34, vcc, s5, v30
	s_mov_b32 s5, 1
	s_nop 0
	v_addc_co_u32_e32 v35, vcc, 0, v31, vcc
	v_add_co_u32_e32 v30, vcc, s3, v30
	s_nop 1
	v_addc_co_u32_e32 v31, vcc, 0, v31, vcc
	flat_load_dword v36, v[32:33]
	flat_load_dword v37, v[32:33] offset:2048
	flat_load_dword v46, v[34:35]
	flat_load_dword v47, v[34:35] offset:2048
	;; [unrolled: 2-line block ×3, first 2 shown]
	v_lshlrev_b32_e32 v30, 2, v0
	v_sub_u32_e32 v32, v1, v30
	v_mad_u32_u24 v1, v0, 52, v32
	v_cmp_eq_u64_e32 vcc, v[26:27], v[28:29]
	v_mov_b64_e32 v[30:31], s[4:5]
	v_mov_b32_e32 v26, s58
	s_waitcnt vmcnt(0) lgkmcnt(0)
	ds_write2st64_b32 v32, v38, v39 offset1:4
	ds_write2st64_b32 v32, v40, v41 offset0:8 offset1:12
	ds_write2st64_b32 v32, v42, v43 offset0:16 offset1:20
	;; [unrolled: 1-line block ×6, first 2 shown]
	s_waitcnt lgkmcnt(0)
	s_barrier
	ds_read2_b32 v[34:35], v1 offset0:1 offset1:2
	ds_read2_b32 v[38:39], v1 offset0:3 offset1:4
	;; [unrolled: 1-line block ×6, first 2 shown]
	ds_read_b32 v1, v1 offset:52
	s_and_saveexec_b64 s[4:5], vcc
	s_cbranch_execz .LBB1024_81
; %bb.80:
	v_mul_u32_u24_e32 v26, 52, v0
	v_add_u32_e32 v26, v32, v26
	ds_read_b32 v26, v26
	v_mov_b64_e32 v[30:31], 0
.LBB1024_81:
	s_or_b64 exec, exec, s[4:5]
	s_waitcnt lgkmcnt(0)
	v_or_b32_e32 v30, v30, v26
	v_mov_b32_e32 v26, s58
	v_cmp_eq_u64_e32 vcc, v[28:29], v[22:23]
	v_cmp_ne_u64_e64 s[8:9], v[4:5], v[58:59]
	s_mov_b64 s[10:11], -1
	v_cndmask_b32_e32 v32, v26, v34, vcc
	v_cmp_ne_u64_e32 vcc, v[28:29], v[22:23]
	v_cndmask_b32_e64 v58, v1, v26, s[8:9]
                                        ; implicit-def: $sgpr6_sgpr7
	s_nop 0
	v_cndmask_b32_e64 v33, 0, 1, vcc
	v_cmp_eq_u64_e32 vcc, v[22:23], v[24:25]
	s_nop 1
	v_cndmask_b32_e32 v34, v26, v35, vcc
	v_cmp_ne_u64_e32 vcc, v[22:23], v[24:25]
	s_nop 1
	v_cndmask_b32_e64 v35, 0, 1, vcc
	v_cmp_eq_u64_e32 vcc, v[24:25], v[18:19]
	s_nop 1
	v_cndmask_b32_e32 v36, v26, v38, vcc
	v_cmp_ne_u64_e32 vcc, v[24:25], v[18:19]
	;; [unrolled: 6-line block ×11, first 2 shown]
	s_nop 1
	v_cndmask_b32_e64 v55, 0, 1, vcc
.LBB1024_82:
	v_mov_b64_e32 v[14:15], s[6:7]
	s_and_saveexec_b64 s[4:5], s[10:11]
; %bb.83:
	v_cndmask_b32_e64 v59, 0, 1, s[8:9]
	v_mov_b64_e32 v[14:15], v[58:59]
; %bb.84:
	s_or_b64 exec, exec, s[4:5]
	s_mov_b32 s26, 0
	s_cmp_lg_u32 s2, 0
	v_or3_b32 v24, v15, v55, v53
	v_lshrrev_b32_e32 v1, 5, v0
	v_cmp_gt_u32_e32 vcc, 64, v0
	s_barrier
	s_cbranch_scc0 .LBB1024_135
; %bb.85:
	s_mov_b32 s27, 1
	v_cmp_gt_u64_e64 s[30:31], s[26:27], v[32:33]
	v_cmp_gt_u64_e64 s[4:5], s[26:27], v[34:35]
	v_cmp_gt_u64_e64 s[6:7], s[26:27], v[36:37]
	v_cndmask_b32_e64 v2, 0, v30, s[30:31]
	v_add_u32_e32 v2, v2, v32
	v_cndmask_b32_e64 v2, 0, v2, s[4:5]
	v_add_u32_e32 v2, v2, v34
	v_cndmask_b32_e64 v2, 0, v2, s[6:7]
	v_add_u32_e32 v2, v2, v36
	v_cmp_gt_u64_e64 s[8:9], s[26:27], v[38:39]
	v_cmp_gt_u64_e64 s[10:11], s[26:27], v[40:41]
	v_cmp_gt_u64_e64 s[12:13], s[26:27], v[42:43]
	v_cndmask_b32_e64 v2, 0, v2, s[8:9]
	v_add_u32_e32 v2, v2, v38
	v_cndmask_b32_e64 v2, 0, v2, s[10:11]
	v_add_u32_e32 v2, v2, v40
	v_cndmask_b32_e64 v2, 0, v2, s[12:13]
	v_add_u32_e32 v2, v2, v42
	;; [unrolled: 9-line block ×4, first 2 shown]
	v_cmp_gt_u64_e64 s[26:27], s[26:27], v[14:15]
	s_nop 1
	v_cndmask_b32_e64 v2, 0, v2, s[26:27]
	v_add_u32_e32 v16, v2, v14
	v_or3_b32 v2, v24, v51, v49
	v_or3_b32 v2, v2, v47, v45
	;; [unrolled: 1-line block ×5, first 2 shown]
	v_and_b32_e32 v2, 1, v2
	v_cmp_eq_u32_e64 s[26:27], 1, v2
	v_add_lshl_u32 v2, v1, v0, 3
	s_nop 0
	v_cndmask_b32_e64 v17, v31, 1, s[26:27]
	ds_write_b32 v2, v16
	ds_write_b8 v2, v17 offset:4
	s_waitcnt lgkmcnt(0)
	s_barrier
	s_and_saveexec_b64 s[28:29], vcc
	s_cbranch_execz .LBB1024_97
; %bb.86:
	v_lshlrev_b32_e32 v2, 2, v0
	v_lshrrev_b32_e32 v3, 3, v0
	v_add_lshl_u32 v4, v3, v2, 3
	ds_read2_b32 v[6:7], v4 offset0:2 offset1:4
	ds_read_b64 v[2:3], v4
	ds_read_u8 v8, v4 offset:12
	ds_read_u8 v9, v4 offset:20
	ds_read_b32 v10, v4 offset:24
	ds_read_u8 v11, v4 offset:28
	v_mov_b32_e32 v12, 0
	s_waitcnt lgkmcnt(3)
	v_cmp_eq_u16_sdwa s[26:27], v8, v12 src0_sel:BYTE_0 src1_sel:DWORD
	v_and_b32_e32 v5, 1, v3
	s_nop 0
	v_cndmask_b32_e64 v13, 0, v2, s[26:27]
	v_add_u32_e32 v6, v13, v6
	s_waitcnt lgkmcnt(2)
	v_cmp_eq_u16_sdwa s[26:27], v9, v12 src0_sel:BYTE_0 src1_sel:DWORD
	s_nop 1
	v_cndmask_b32_e64 v6, 0, v6, s[26:27]
	v_add_u32_e32 v6, v6, v7
	s_waitcnt lgkmcnt(0)
	v_cmp_eq_u16_e64 s[26:27], 0, v11
	s_nop 1
	v_cndmask_b32_e64 v6, 0, v6, s[26:27]
	v_add_u32_e32 v7, v6, v10
	v_or_b32_e32 v6, v11, v9
	v_or_b32_e32 v6, v6, v8
	v_and_b32_e32 v6, 1, v6
	v_cmp_eq_u32_e64 s[26:27], 1, v6
	v_mbcnt_lo_u32_b32 v8, -1, 0
	v_and_b32_e32 v6, 0xffffff00, v3
	v_cndmask_b32_e64 v9, v5, 1, s[26:27]
	v_mbcnt_hi_u32_b32 v8, -1, v8
	v_and_b32_e32 v11, 15, v8
	v_or_b32_sdwa v10, v6, v9 dst_sel:DWORD dst_unused:UNUSED_PAD src0_sel:DWORD src1_sel:WORD_0
	v_mov_b32_dpp v12, v7 row_shr:1 row_mask:0xf bank_mask:0xf
	v_cmp_ne_u32_e64 s[26:27], 0, v11
	v_mov_b32_dpp v13, v10 row_shr:1 row_mask:0xf bank_mask:0xf
	s_and_saveexec_b64 s[34:35], s[26:27]
; %bb.87:
	v_and_b32_e32 v10, 1, v9
	v_and_b32_e32 v13, 1, v13
	v_cmp_eq_u32_e64 s[26:27], 1, v10
	s_nop 1
	v_cndmask_b32_e64 v13, v13, 1, s[26:27]
	v_cmp_eq_u16_e64 s[26:27], 0, v9
	v_or_b32_sdwa v10, v6, v13 dst_sel:DWORD dst_unused:UNUSED_PAD src0_sel:DWORD src1_sel:WORD_0
	s_nop 0
	v_cndmask_b32_e64 v9, 0, v12, s[26:27]
	v_add_u32_e32 v7, v9, v7
	v_mov_b32_e32 v9, v13
; %bb.88:
	s_or_b64 exec, exec, s[34:35]
	v_mov_b32_dpp v12, v7 row_shr:2 row_mask:0xf bank_mask:0xf
	v_mov_b32_dpp v13, v10 row_shr:2 row_mask:0xf bank_mask:0xf
	v_cmp_lt_u32_e64 s[26:27], 1, v11
	s_and_saveexec_b64 s[34:35], s[26:27]
; %bb.89:
	v_and_b32_e32 v10, 1, v9
	v_and_b32_e32 v13, 1, v13
	v_cmp_eq_u32_e64 s[26:27], 1, v10
	s_nop 1
	v_cndmask_b32_e64 v13, v13, 1, s[26:27]
	v_cmp_eq_u16_e64 s[26:27], 0, v9
	v_or_b32_sdwa v10, v6, v13 dst_sel:DWORD dst_unused:UNUSED_PAD src0_sel:DWORD src1_sel:WORD_0
	s_nop 0
	v_cndmask_b32_e64 v9, 0, v12, s[26:27]
	v_add_u32_e32 v7, v9, v7
	v_mov_b32_e32 v9, v13
; %bb.90:
	s_or_b64 exec, exec, s[34:35]
	v_mov_b32_dpp v12, v7 row_shr:4 row_mask:0xf bank_mask:0xf
	v_mov_b32_dpp v13, v10 row_shr:4 row_mask:0xf bank_mask:0xf
	v_cmp_lt_u32_e64 s[26:27], 3, v11
	;; [unrolled: 18-line block ×3, first 2 shown]
	s_and_saveexec_b64 s[34:35], s[26:27]
; %bb.93:
	v_and_b32_e32 v10, 1, v9
	v_and_b32_e32 v11, 1, v13
	v_cmp_eq_u32_e64 s[26:27], 1, v10
	s_nop 1
	v_cndmask_b32_e64 v11, v11, 1, s[26:27]
	v_cmp_eq_u16_e64 s[26:27], 0, v9
	v_or_b32_sdwa v10, v6, v11 dst_sel:DWORD dst_unused:UNUSED_PAD src0_sel:DWORD src1_sel:WORD_0
	s_nop 0
	v_cndmask_b32_e64 v9, 0, v12, s[26:27]
	v_add_u32_e32 v7, v9, v7
	v_mov_b32_e32 v9, v11
; %bb.94:
	s_or_b64 exec, exec, s[34:35]
	v_and_b32_e32 v13, 16, v8
	v_mov_b32_dpp v11, v7 row_bcast:15 row_mask:0xf bank_mask:0xf
	v_mov_b32_dpp v12, v10 row_bcast:15 row_mask:0xf bank_mask:0xf
	v_cmp_ne_u32_e64 s[26:27], 0, v13
	s_and_saveexec_b64 s[34:35], s[26:27]
; %bb.95:
	v_and_b32_e32 v10, 1, v9
	v_and_b32_e32 v12, 1, v12
	v_cmp_eq_u32_e64 s[26:27], 1, v10
	s_nop 1
	v_cndmask_b32_e64 v12, v12, 1, s[26:27]
	v_cmp_eq_u16_e64 s[26:27], 0, v9
	v_or_b32_sdwa v10, v6, v12 dst_sel:DWORD dst_unused:UNUSED_PAD src0_sel:DWORD src1_sel:WORD_0
	s_nop 0
	v_cndmask_b32_e64 v9, 0, v11, s[26:27]
	v_add_u32_e32 v7, v9, v7
	v_mov_b32_e32 v9, v12
; %bb.96:
	s_or_b64 exec, exec, s[34:35]
	v_mov_b32_dpp v10, v10 row_bcast:31 row_mask:0xf bank_mask:0xf
	v_and_b32_e32 v12, 1, v9
	v_and_b32_e32 v10, 1, v10
	v_cmp_eq_u32_e64 s[26:27], 1, v12
	v_mov_b32_e32 v12, 0
	v_cmp_eq_u16_sdwa s[34:35], v9, v12 src0_sel:BYTE_0 src1_sel:DWORD
	v_cndmask_b32_e64 v10, v10, 1, s[26:27]
	v_cmp_lt_u32_e64 s[26:27], 31, v8
	v_mov_b32_dpp v11, v7 row_bcast:31 row_mask:0xf bank_mask:0xf
	s_movk_i32 s3, 0xff
	v_cndmask_b32_e64 v9, v9, v10, s[26:27]
	s_and_b64 s[26:27], s[26:27], s[34:35]
	v_cndmask_b32_e64 v10, 0, v11, s[26:27]
	v_add_u32_e32 v7, v10, v7
	v_add_u32_e32 v10, -1, v8
	v_and_b32_e32 v11, 64, v8
	v_cmp_lt_i32_e64 s[26:27], v10, v11
	v_and_or_b32 v6, v9, s3, v6
	s_nop 0
	v_cndmask_b32_e64 v8, v10, v8, s[26:27]
	v_lshlrev_b32_e32 v8, 2, v8
	ds_bpermute_b32 v7, v8, v7
	ds_bpermute_b32 v6, v8, v6
	v_cmp_eq_u16_sdwa s[26:27], v3, v12 src0_sel:BYTE_0 src1_sel:DWORD
	; wave barrier
	s_waitcnt lgkmcnt(1)
	s_nop 0
	v_cndmask_b32_e64 v3, 0, v7, s[26:27]
	v_add_u32_e32 v2, v3, v2
	s_waitcnt lgkmcnt(0)
	v_and_b32_e32 v3, 1, v6
	v_cmp_eq_u32_e64 s[26:27], 1, v5
	s_nop 1
	v_cndmask_b32_e64 v3, v3, 1, s[26:27]
	v_cmp_eq_u32_e64 s[26:27], 0, v0
	s_nop 1
	v_cndmask_b32_e64 v5, v2, v16, s[26:27]
	v_cndmask_b32_e64 v6, v3, v17, s[26:27]
	ds_write_b32 v4, v5
	ds_write_b8 v4, v6 offset:4
	; wave barrier
	ds_read_u8 v7, v4 offset:12
	ds_read2_b32 v[2:3], v4 offset0:2 offset1:4
	ds_read_u8 v8, v4 offset:20
	ds_read_b32 v9, v4 offset:24
	ds_read_u8 v10, v4 offset:28
	s_waitcnt lgkmcnt(4)
	v_cmp_eq_u16_e64 s[26:27], 0, v7
	s_nop 1
	v_cndmask_b32_e64 v5, 0, v5, s[26:27]
	s_waitcnt lgkmcnt(3)
	v_add_u32_e32 v2, v5, v2
	v_and_b32_e32 v5, 1, v7
	v_cmp_eq_u32_e64 s[26:27], 1, v5
	s_nop 1
	v_cndmask_b32_e64 v5, v6, 1, s[26:27]
	s_waitcnt lgkmcnt(2)
	v_cmp_eq_u16_e64 s[26:27], 0, v8
	ds_write_b8 v4, v5 offset:12
	s_nop 0
	v_cndmask_b32_e64 v6, 0, v2, s[26:27]
	v_add_u32_e32 v3, v6, v3
	v_and_b32_e32 v6, 1, v8
	v_cmp_eq_u32_e64 s[26:27], 1, v6
	s_nop 1
	v_cndmask_b32_e64 v5, v5, 1, s[26:27]
	s_waitcnt lgkmcnt(1)
	v_cmp_eq_u16_e64 s[26:27], 0, v10
	ds_write2_b32 v4, v2, v3 offset0:2 offset1:4
	ds_write_b8 v4, v5 offset:20
	v_cndmask_b32_e64 v2, 0, v3, s[26:27]
	v_and_b32_e32 v3, 1, v10
	v_add_u32_e32 v2, v2, v9
	v_cmp_eq_u32_e64 s[26:27], 1, v3
	s_nop 1
	v_cndmask_b32_e64 v3, v5, 1, s[26:27]
	ds_write_b32 v4, v2 offset:24
	ds_write_b8 v4, v3 offset:28
.LBB1024_97:
	s_or_b64 exec, exec, s[28:29]
	v_cmp_eq_u32_e64 s[26:27], 0, v0
	v_cmp_ne_u32_e64 s[28:29], 0, v0
	s_waitcnt lgkmcnt(0)
	s_barrier
	s_and_saveexec_b64 s[34:35], s[28:29]
	s_cbranch_execz .LBB1024_99
; %bb.98:
	v_add_u32_e32 v2, -1, v0
	v_lshrrev_b32_e32 v3, 5, v2
	v_add_lshl_u32 v2, v3, v2, 3
	ds_read_b32 v16, v2
	ds_read_u8 v17, v2 offset:4
.LBB1024_99:
	s_or_b64 exec, exec, s[34:35]
	s_and_saveexec_b64 s[40:41], vcc
	s_cbranch_execz .LBB1024_122
; %bb.100:
	v_mov_b32_e32 v5, 0
	ds_read_b64 v[2:3], v5 offset:2096
	v_mbcnt_lo_u32_b32 v4, -1, 0
	v_mbcnt_hi_u32_b32 v28, -1, v4
	s_mov_b32 s49, 0
	v_cmp_eq_u32_e64 s[28:29], 0, v28
	s_waitcnt lgkmcnt(0)
	v_readfirstlane_b32 s3, v3
	s_and_saveexec_b64 s[34:35], s[28:29]
	s_cbranch_execz .LBB1024_102
; %bb.101:
	s_add_i32 s48, s2, 64
	s_lshl_b64 s[54:55], s[48:49], 4
	s_add_u32 s54, s44, s54
	s_addc_u32 s55, s45, s55
	s_and_b32 s57, s3, 0xff000000
	s_mov_b32 s56, s49
	s_and_b32 s61, s3, 0xff0000
	s_mov_b32 s60, s49
	s_or_b64 s[56:57], s[60:61], s[56:57]
	s_and_b32 s61, s3, 0xff00
	s_or_b64 s[56:57], s[56:57], s[60:61]
	s_and_b32 s61, s3, 0xff
	s_or_b64 s[48:49], s[56:57], s[60:61]
	v_mov_b32_e32 v3, s49
	v_mov_b32_e32 v4, 1
	v_mov_b64_e32 v[6:7], s[54:55]
	;;#ASMSTART
	global_store_dwordx4 v[6:7], v[2:5] off sc1	
s_waitcnt vmcnt(0)
	;;#ASMEND
.LBB1024_102:
	s_or_b64 exec, exec, s[34:35]
	v_xad_u32 v10, v28, -1, s2
	v_add_u32_e32 v4, 64, v10
	v_lshl_add_u64 v[12:13], v[4:5], 4, s[44:45]
	;;#ASMSTART
	global_load_dwordx4 v[6:9], v[12:13] off sc1	
s_waitcnt vmcnt(0)
	;;#ASMEND
	s_nop 0
	v_and_b32_e32 v3, 0xff0000, v6
	v_and_b32_e32 v4, 0xff000000, v6
	;; [unrolled: 1-line block ×3, first 2 shown]
	v_or_b32_sdwa v3, v6, v3 dst_sel:DWORD dst_unused:UNUSED_PAD src0_sel:WORD_0 src1_sel:DWORD
	v_or3_b32 v7, 0, 0, v7
	v_or3_b32 v6, v3, v4, 0
	v_cmp_eq_u16_sdwa s[48:49], v8, v5 src0_sel:BYTE_0 src1_sel:DWORD
	s_and_saveexec_b64 s[34:35], s[48:49]
	s_cbranch_execz .LBB1024_108
; %bb.103:
	s_mov_b32 s47, 1
	s_mov_b64 s[48:49], 0
	v_mov_b32_e32 v3, 0
.LBB1024_104:                           ; =>This Loop Header: Depth=1
                                        ;     Child Loop BB1024_105 Depth 2
	s_max_u32 s54, s47, 1
.LBB1024_105:                           ;   Parent Loop BB1024_104 Depth=1
                                        ; =>  This Inner Loop Header: Depth=2
	s_add_i32 s54, s54, -1
	s_cmp_eq_u32 s54, 0
	s_sleep 1
	s_cbranch_scc0 .LBB1024_105
; %bb.106:                              ;   in Loop: Header=BB1024_104 Depth=1
	s_cmp_lt_u32 s47, 32
	s_cselect_b64 s[54:55], -1, 0
	s_cmp_lg_u64 s[54:55], 0
	s_addc_u32 s47, s47, 0
	;;#ASMSTART
	global_load_dwordx4 v[6:9], v[12:13] off sc1	
s_waitcnt vmcnt(0)
	;;#ASMEND
	s_nop 0
	v_cmp_ne_u16_sdwa s[54:55], v8, v3 src0_sel:BYTE_0 src1_sel:DWORD
	s_or_b64 s[48:49], s[54:55], s[48:49]
	s_andn2_b64 exec, exec, s[48:49]
	s_cbranch_execnz .LBB1024_104
; %bb.107:
	s_or_b64 exec, exec, s[48:49]
	v_and_b32_e32 v7, 0xff, v7
.LBB1024_108:
	s_or_b64 exec, exec, s[34:35]
	v_mov_b32_e32 v3, 2
	v_cmp_eq_u16_sdwa s[34:35], v8, v3 src0_sel:BYTE_0 src1_sel:DWORD
	v_lshlrev_b64 v[4:5], v28, -1
	v_and_b32_e32 v18, 63, v28
	v_and_b32_e32 v9, s35, v5
	v_or_b32_e32 v9, 0x80000000, v9
	v_and_b32_e32 v11, s34, v4
	v_ffbl_b32_e32 v9, v9
	v_add_u32_e32 v9, 32, v9
	v_ffbl_b32_e32 v11, v11
	v_cmp_ne_u32_e32 vcc, 63, v18
	v_min_u32_e32 v9, v11, v9
	s_mov_b32 s48, 0
	v_addc_co_u32_e32 v11, vcc, 0, v28, vcc
	v_lshlrev_b32_e32 v19, 2, v11
	ds_bpermute_b32 v11, v19, v7
	ds_bpermute_b32 v12, v19, v6
	v_and_b32_e32 v13, 1, v7
	s_mov_b32 s49, 1
	v_cmp_eq_u32_e32 vcc, 1, v13
	s_waitcnt lgkmcnt(1)
	v_and_b32_e32 v11, 1, v11
	v_cmp_lt_u32_e64 s[34:35], v18, v9
	v_cndmask_b32_e64 v11, v11, 1, vcc
	v_cmp_gt_u64_e32 vcc, s[48:49], v[6:7]
	s_and_b64 vcc, s[34:35], vcc
	v_and_b32_e32 v13, 0xffff, v11
	v_cndmask_b32_e64 v22, v7, v11, s[34:35]
	s_waitcnt lgkmcnt(0)
	v_cndmask_b32_e32 v11, 0, v12, vcc
	v_cmp_gt_u32_e32 vcc, 62, v18
	v_cndmask_b32_e64 v7, v7, v13, s[34:35]
	v_add_u32_e32 v6, v11, v6
	v_cndmask_b32_e64 v12, 0, 1, vcc
	v_lshlrev_b32_e32 v12, 1, v12
	v_add_lshl_u32 v20, v12, v28, 2
	ds_bpermute_b32 v12, v20, v7
	ds_bpermute_b32 v13, v20, v6
	v_and_b32_e32 v11, 1, v22
	v_cmp_eq_u32_e32 vcc, 1, v11
	v_mov_b32_e32 v11, 0
	s_waitcnt lgkmcnt(1)
	v_and_b32_e32 v12, 1, v12
	v_add_u32_e32 v21, 2, v18
	v_cndmask_b32_e64 v12, v12, 1, vcc
	v_cmp_eq_u16_sdwa vcc, v22, v11 src0_sel:BYTE_0 src1_sel:DWORD
	v_and_b32_e32 v23, 0xffff, v12
	v_add_u32_e32 v59, 32, v18
	s_waitcnt lgkmcnt(0)
	v_cndmask_b32_e32 v13, 0, v13, vcc
	v_cmp_gt_u32_e32 vcc, v21, v9
	s_nop 1
	v_cndmask_b32_e32 v12, v12, v22, vcc
	v_cndmask_b32_e64 v13, v13, 0, vcc
	v_cndmask_b32_e32 v7, v23, v7, vcc
	v_cmp_gt_u32_e32 vcc, 60, v18
	v_add_u32_e32 v6, v13, v6
	v_and_b32_e32 v26, 1, v12
	v_cndmask_b32_e64 v22, 0, 1, vcc
	v_lshlrev_b32_e32 v22, 2, v22
	v_add_lshl_u32 v22, v22, v28, 2
	ds_bpermute_b32 v25, v22, v7
	ds_bpermute_b32 v13, v22, v6
	v_cmp_eq_u32_e32 vcc, 1, v26
	v_add_u32_e32 v23, 4, v18
	s_waitcnt lgkmcnt(1)
	v_and_b32_e32 v25, 1, v25
	v_cndmask_b32_e64 v25, v25, 1, vcc
	v_cmp_eq_u16_sdwa vcc, v12, v11 src0_sel:BYTE_0 src1_sel:DWORD
	v_and_b32_e32 v26, 0xffff, v25
	s_waitcnt lgkmcnt(0)
	v_cndmask_b32_e32 v13, 0, v13, vcc
	v_cmp_gt_u32_e32 vcc, v23, v9
	s_nop 1
	v_cndmask_b32_e32 v12, v25, v12, vcc
	v_cndmask_b32_e64 v13, v13, 0, vcc
	v_cndmask_b32_e32 v7, v26, v7, vcc
	v_cmp_gt_u32_e32 vcc, 56, v18
	v_add_u32_e32 v6, v13, v6
	v_and_b32_e32 v29, 1, v12
	v_cndmask_b32_e64 v25, 0, 1, vcc
	v_lshlrev_b32_e32 v25, 3, v25
	v_add_lshl_u32 v25, v25, v28, 2
	ds_bpermute_b32 v27, v25, v7
	ds_bpermute_b32 v13, v25, v6
	v_cmp_eq_u32_e32 vcc, 1, v29
	v_add_u32_e32 v26, 8, v18
	s_waitcnt lgkmcnt(1)
	v_and_b32_e32 v27, 1, v27
	v_cndmask_b32_e64 v27, v27, 1, vcc
	v_cmp_eq_u16_sdwa vcc, v12, v11 src0_sel:BYTE_0 src1_sel:DWORD
	v_and_b32_e32 v29, 0xffff, v27
	;; [unrolled: 22-line block ×3, first 2 shown]
	s_waitcnt lgkmcnt(0)
	v_cndmask_b32_e32 v13, 0, v13, vcc
	v_cmp_gt_u32_e32 vcc, v29, v9
	s_nop 1
	v_cndmask_b32_e32 v12, v57, v12, vcc
	v_cndmask_b32_e64 v13, v13, 0, vcc
	v_cndmask_b32_e32 v7, v58, v7, vcc
	v_cmp_gt_u32_e32 vcc, 32, v18
	v_add_u32_e32 v6, v13, v6
	s_nop 0
	v_cndmask_b32_e64 v57, 0, 1, vcc
	v_lshlrev_b32_e32 v57, 5, v57
	v_add_lshl_u32 v58, v57, v28, 2
	ds_bpermute_b32 v7, v58, v7
	ds_bpermute_b32 v13, v58, v6
	v_and_b32_e32 v28, 1, v12
	v_cmp_eq_u32_e32 vcc, 1, v28
	s_waitcnt lgkmcnt(1)
	v_and_b32_e32 v7, 1, v7
	v_cndmask_b32_e64 v7, v7, 1, vcc
	v_cmp_eq_u16_sdwa vcc, v12, v11 src0_sel:BYTE_0 src1_sel:DWORD
	s_waitcnt lgkmcnt(0)
	s_nop 0
	v_cndmask_b32_e32 v13, 0, v13, vcc
	v_cmp_gt_u32_e32 vcc, v59, v9
	s_nop 1
	v_cndmask_b32_e64 v9, v13, 0, vcc
	v_cndmask_b32_e32 v7, v7, v12, vcc
	v_add_u32_e32 v6, v9, v6
	s_branch .LBB1024_110
.LBB1024_109:                           ;   in Loop: Header=BB1024_110 Depth=1
	s_or_b64 exec, exec, s[34:35]
	v_cmp_eq_u16_sdwa s[34:35], v8, v3 src0_sel:BYTE_0 src1_sel:DWORD
	ds_bpermute_b32 v13, v19, v7
	v_and_b32_e32 v60, 1, v7
	v_and_b32_e32 v9, s35, v5
	v_or_b32_e32 v9, 0x80000000, v9
	v_and_b32_e32 v12, s34, v4
	v_ffbl_b32_e32 v9, v9
	v_add_u32_e32 v9, 32, v9
	v_ffbl_b32_e32 v12, v12
	v_min_u32_e32 v9, v12, v9
	ds_bpermute_b32 v12, v19, v6
	s_waitcnt lgkmcnt(1)
	v_and_b32_e32 v13, 1, v13
	v_cmp_eq_u32_e32 vcc, 1, v60
	v_cmp_lt_u32_e64 s[34:35], v18, v9
	v_subrev_u32_e32 v10, 64, v10
	v_cndmask_b32_e64 v13, v13, 1, vcc
	v_cmp_gt_u64_e32 vcc, s[48:49], v[6:7]
	v_and_b32_e32 v60, 0xffff, v13
	v_cndmask_b32_e64 v13, v7, v13, s[34:35]
	v_cndmask_b32_e64 v7, v7, v60, s[34:35]
	s_and_b64 vcc, s[34:35], vcc
	ds_bpermute_b32 v60, v20, v7
	s_waitcnt lgkmcnt(1)
	v_cndmask_b32_e32 v12, 0, v12, vcc
	v_add_u32_e32 v6, v12, v6
	ds_bpermute_b32 v12, v20, v6
	v_and_b32_e32 v61, 1, v13
	s_waitcnt lgkmcnt(1)
	v_and_b32_e32 v60, 1, v60
	v_cmp_eq_u32_e32 vcc, 1, v61
	s_nop 1
	v_cndmask_b32_e64 v60, v60, 1, vcc
	v_cmp_eq_u16_sdwa vcc, v13, v11 src0_sel:BYTE_0 src1_sel:DWORD
	v_and_b32_e32 v61, 0xffff, v60
	s_waitcnt lgkmcnt(0)
	v_cndmask_b32_e32 v12, 0, v12, vcc
	v_cmp_gt_u32_e32 vcc, v21, v9
	s_nop 1
	v_cndmask_b32_e32 v7, v61, v7, vcc
	v_cndmask_b32_e32 v13, v60, v13, vcc
	ds_bpermute_b32 v60, v22, v7
	v_cndmask_b32_e64 v12, v12, 0, vcc
	v_add_u32_e32 v6, v12, v6
	ds_bpermute_b32 v12, v22, v6
	v_and_b32_e32 v61, 1, v13
	s_waitcnt lgkmcnt(1)
	v_and_b32_e32 v60, 1, v60
	v_cmp_eq_u32_e32 vcc, 1, v61
	s_nop 1
	v_cndmask_b32_e64 v60, v60, 1, vcc
	v_cmp_eq_u16_sdwa vcc, v13, v11 src0_sel:BYTE_0 src1_sel:DWORD
	v_and_b32_e32 v61, 0xffff, v60
	s_waitcnt lgkmcnt(0)
	v_cndmask_b32_e32 v12, 0, v12, vcc
	v_cmp_gt_u32_e32 vcc, v23, v9
	s_nop 1
	v_cndmask_b32_e32 v7, v61, v7, vcc
	v_cndmask_b32_e32 v13, v60, v13, vcc
	ds_bpermute_b32 v60, v25, v7
	v_cndmask_b32_e64 v12, v12, 0, vcc
	;; [unrolled: 18-line block ×3, first 2 shown]
	v_add_u32_e32 v6, v12, v6
	ds_bpermute_b32 v12, v27, v6
	v_and_b32_e32 v61, 1, v13
	s_waitcnt lgkmcnt(1)
	v_and_b32_e32 v60, 1, v60
	v_cmp_eq_u32_e32 vcc, 1, v61
	s_nop 1
	v_cndmask_b32_e64 v60, v60, 1, vcc
	v_cmp_eq_u16_sdwa vcc, v13, v11 src0_sel:BYTE_0 src1_sel:DWORD
	v_and_b32_e32 v61, 0xffff, v60
	s_waitcnt lgkmcnt(0)
	v_cndmask_b32_e32 v12, 0, v12, vcc
	v_cmp_gt_u32_e32 vcc, v29, v9
	s_nop 1
	v_cndmask_b32_e64 v12, v12, 0, vcc
	v_cndmask_b32_e32 v7, v61, v7, vcc
	ds_bpermute_b32 v7, v58, v7
	v_add_u32_e32 v6, v12, v6
	ds_bpermute_b32 v12, v58, v6
	v_cndmask_b32_e32 v13, v60, v13, vcc
	v_and_b32_e32 v60, 1, v13
	v_cmp_eq_u32_e32 vcc, 1, v60
	s_waitcnt lgkmcnt(1)
	s_nop 0
	v_cndmask_b32_e64 v7, v7, 1, vcc
	v_cmp_eq_u16_sdwa vcc, v13, v11 src0_sel:BYTE_0 src1_sel:DWORD
	s_waitcnt lgkmcnt(0)
	s_nop 0
	v_cndmask_b32_e32 v12, 0, v12, vcc
	v_cmp_gt_u32_e32 vcc, v59, v9
	s_nop 1
	v_cndmask_b32_e64 v9, v12, 0, vcc
	v_cndmask_b32_e32 v7, v7, v13, vcc
	v_add_u32_e32 v6, v9, v6
	v_cmp_eq_u16_sdwa vcc, v28, v11 src0_sel:BYTE_0 src1_sel:DWORD
	v_and_b32_e32 v9, 1, v28
	v_and_b32_e32 v7, 1, v7
	v_cndmask_b32_e32 v6, 0, v6, vcc
	v_cmp_eq_u32_e32 vcc, 1, v9
	v_add_u32_e32 v6, v6, v57
	s_nop 0
	v_cndmask_b32_e64 v7, v7, 1, vcc
.LBB1024_110:                           ; =>This Loop Header: Depth=1
                                        ;     Child Loop BB1024_113 Depth 2
                                        ;       Child Loop BB1024_114 Depth 3
	v_cmp_ne_u16_sdwa s[34:35], v8, v3 src0_sel:BYTE_0 src1_sel:DWORD
	v_mov_b32_e32 v28, v7
	v_mov_b32_e32 v57, v6
	v_cndmask_b32_e64 v7, 0, 1, s[34:35]
	;;#ASMSTART
	;;#ASMEND
	s_nop 0
	v_cmp_ne_u32_e32 vcc, 0, v7
	s_cmp_lg_u64 vcc, exec
	s_cbranch_scc1 .LBB1024_117
; %bb.111:                              ;   in Loop: Header=BB1024_110 Depth=1
	v_lshl_add_u64 v[12:13], v[10:11], 4, s[44:45]
	;;#ASMSTART
	global_load_dwordx4 v[6:9], v[12:13] off sc1	
s_waitcnt vmcnt(0)
	;;#ASMEND
	s_nop 0
	v_and_b32_e32 v9, 0xff0000, v6
	v_and_b32_e32 v60, 0xff000000, v6
	;; [unrolled: 1-line block ×3, first 2 shown]
	v_or_b32_sdwa v6, v6, v9 dst_sel:DWORD dst_unused:UNUSED_PAD src0_sel:WORD_0 src1_sel:DWORD
	v_or3_b32 v7, 0, 0, v7
	v_or3_b32 v6, v6, v60, 0
	v_cmp_eq_u16_sdwa s[54:55], v8, v11 src0_sel:BYTE_0 src1_sel:DWORD
	s_and_saveexec_b64 s[34:35], s[54:55]
	s_cbranch_execz .LBB1024_109
; %bb.112:                              ;   in Loop: Header=BB1024_110 Depth=1
	s_mov_b32 s47, 1
	s_mov_b64 s[54:55], 0
.LBB1024_113:                           ;   Parent Loop BB1024_110 Depth=1
                                        ; =>  This Loop Header: Depth=2
                                        ;       Child Loop BB1024_114 Depth 3
	s_max_u32 s56, s47, 1
.LBB1024_114:                           ;   Parent Loop BB1024_110 Depth=1
                                        ;     Parent Loop BB1024_113 Depth=2
                                        ; =>    This Inner Loop Header: Depth=3
	s_add_i32 s56, s56, -1
	s_cmp_eq_u32 s56, 0
	s_sleep 1
	s_cbranch_scc0 .LBB1024_114
; %bb.115:                              ;   in Loop: Header=BB1024_113 Depth=2
	s_cmp_lt_u32 s47, 32
	s_cselect_b64 s[56:57], -1, 0
	s_cmp_lg_u64 s[56:57], 0
	s_addc_u32 s47, s47, 0
	;;#ASMSTART
	global_load_dwordx4 v[6:9], v[12:13] off sc1	
s_waitcnt vmcnt(0)
	;;#ASMEND
	s_nop 0
	v_cmp_ne_u16_sdwa s[56:57], v8, v11 src0_sel:BYTE_0 src1_sel:DWORD
	s_or_b64 s[54:55], s[56:57], s[54:55]
	s_andn2_b64 exec, exec, s[54:55]
	s_cbranch_execnz .LBB1024_113
; %bb.116:                              ;   in Loop: Header=BB1024_110 Depth=1
	s_or_b64 exec, exec, s[54:55]
	v_and_b32_e32 v7, 0xff, v7
	s_branch .LBB1024_109
.LBB1024_117:                           ;   in Loop: Header=BB1024_110 Depth=1
                                        ; implicit-def: $vgpr7
                                        ; implicit-def: $vgpr6
                                        ; implicit-def: $vgpr8
	s_cbranch_execz .LBB1024_110
; %bb.118:
	s_and_saveexec_b64 s[34:35], s[28:29]
	s_cbranch_execz .LBB1024_120
; %bb.119:
	s_and_b32 s28, s3, 0xff
	s_cmp_eq_u32 s28, 0
	s_cselect_b64 vcc, -1, 0
	s_bitcmp1_b32 s3, 0
	s_mov_b32 s29, 0
	s_cselect_b64 s[48:49], -1, 0
	s_add_i32 s28, s2, 64
	s_lshl_b64 s[2:3], s[28:29], 4
	v_cndmask_b32_e32 v3, 0, v57, vcc
	s_add_u32 s2, s44, s2
	v_add_u32_e32 v2, v3, v2
	v_and_b32_e32 v3, 1, v28
	s_addc_u32 s3, s45, s3
	v_mov_b32_e32 v5, 0
	v_cndmask_b32_e64 v3, v3, 1, s[48:49]
	v_mov_b32_e32 v4, 2
	v_mov_b64_e32 v[6:7], s[2:3]
	;;#ASMSTART
	global_store_dwordx4 v[6:7], v[2:5] off sc1	
s_waitcnt vmcnt(0)
	;;#ASMEND
.LBB1024_120:
	s_or_b64 exec, exec, s[34:35]
	s_and_b64 exec, exec, s[26:27]
	s_cbranch_execz .LBB1024_122
; %bb.121:
	v_mov_b32_e32 v2, 0
	ds_write_b32 v2, v57
	ds_write_b8 v2, v28 offset:4
.LBB1024_122:
	s_or_b64 exec, exec, s[40:41]
	v_mov_b32_e32 v4, 0
	s_waitcnt lgkmcnt(0)
	s_barrier
	ds_read_b32 v2, v4
	v_cmp_eq_u16_sdwa vcc, v17, v4 src0_sel:BYTE_0 src1_sel:DWORD
	v_and_b32_e32 v5, 0xff, v31
	s_waitcnt lgkmcnt(0)
	v_cndmask_b32_e32 v3, 0, v2, vcc
	v_add_u32_e32 v3, v3, v16
	v_cndmask_b32_e64 v2, v3, v2, s[26:27]
	v_cmp_eq_u64_e32 vcc, 0, v[4:5]
	s_nop 1
	v_cndmask_b32_e32 v3, 0, v2, vcc
	v_add_u32_e32 v3, v3, v30
	v_cndmask_b32_e64 v4, 0, v3, s[30:31]
	v_add_u32_e32 v16, v4, v32
	v_cndmask_b32_e64 v4, 0, v16, s[4:5]
	;; [unrolled: 2-line block ×12, first 2 shown]
	v_add_u32_e32 v23, v4, v54
	s_branch .LBB1024_155
.LBB1024_123:
	s_or_b64 exec, exec, s[30:31]
                                        ; implicit-def: $vgpr31
	s_and_saveexec_b64 s[30:31], s[28:29]
	s_cbranch_execz .LBB1024_33
.LBB1024_124:
	v_mov_b32_e32 v31, 0
	v_lshl_add_u64 v[30:31], s[34:35], 0, v[30:31]
	flat_load_dword v31, v[30:31] offset:2048
	s_or_b64 exec, exec, s[30:31]
                                        ; implicit-def: $vgpr30
	s_and_saveexec_b64 s[28:29], s[4:5]
	s_cbranch_execnz .LBB1024_34
.LBB1024_125:
	s_or_b64 exec, exec, s[28:29]
                                        ; implicit-def: $vgpr45
	s_and_saveexec_b64 s[4:5], s[6:7]
	s_cbranch_execz .LBB1024_35
.LBB1024_126:
	v_lshlrev_b32_e32 v46, 3, v32
	v_mov_b32_e32 v47, 0
	v_lshl_add_u64 v[46:47], s[34:35], 0, v[46:47]
	flat_load_dword v45, v[46:47]
	s_or_b64 exec, exec, s[4:5]
                                        ; implicit-def: $vgpr32
	s_and_saveexec_b64 s[4:5], s[8:9]
	s_cbranch_execnz .LBB1024_36
.LBB1024_127:
	s_or_b64 exec, exec, s[4:5]
                                        ; implicit-def: $vgpr33
	s_and_saveexec_b64 s[4:5], s[10:11]
	s_cbranch_execz .LBB1024_37
.LBB1024_128:
	v_lshlrev_b32_e32 v46, 3, v34
	v_mov_b32_e32 v47, 0
	v_lshl_add_u64 v[46:47], s[34:35], 0, v[46:47]
	flat_load_dword v33, v[46:47]
	s_or_b64 exec, exec, s[4:5]
                                        ; implicit-def: $vgpr34
	s_and_saveexec_b64 s[4:5], s[12:13]
	s_cbranch_execnz .LBB1024_38
.LBB1024_129:
	s_or_b64 exec, exec, s[4:5]
                                        ; implicit-def: $vgpr35
	s_and_saveexec_b64 s[4:5], s[14:15]
	s_cbranch_execz .LBB1024_39
.LBB1024_130:
	v_lshlrev_b32_e32 v46, 3, v36
	v_mov_b32_e32 v47, 0
	v_lshl_add_u64 v[46:47], s[34:35], 0, v[46:47]
	flat_load_dword v35, v[46:47]
	s_or_b64 exec, exec, s[4:5]
                                        ; implicit-def: $vgpr36
	s_and_saveexec_b64 s[4:5], s[16:17]
	s_cbranch_execnz .LBB1024_40
.LBB1024_131:
	s_or_b64 exec, exec, s[4:5]
                                        ; implicit-def: $vgpr37
	s_and_saveexec_b64 s[4:5], s[18:19]
	s_cbranch_execz .LBB1024_41
.LBB1024_132:
	v_lshlrev_b32_e32 v46, 3, v38
	v_mov_b32_e32 v47, 0
	v_lshl_add_u64 v[46:47], s[34:35], 0, v[46:47]
	flat_load_dword v37, v[46:47]
	s_or_b64 exec, exec, s[4:5]
                                        ; implicit-def: $vgpr38
	s_and_saveexec_b64 s[4:5], s[20:21]
	s_cbranch_execnz .LBB1024_42
.LBB1024_133:
	s_or_b64 exec, exec, s[4:5]
                                        ; implicit-def: $vgpr39
	s_and_saveexec_b64 s[4:5], s[22:23]
	s_cbranch_execz .LBB1024_43
.LBB1024_134:
	v_lshlrev_b32_e32 v46, 3, v40
	v_mov_b32_e32 v47, 0
	v_lshl_add_u64 v[46:47], s[34:35], 0, v[46:47]
	flat_load_dword v39, v[46:47]
	s_or_b64 exec, exec, s[4:5]
                                        ; implicit-def: $vgpr40
	s_and_saveexec_b64 s[4:5], s[24:25]
	s_cbranch_execz .LBB1024_45
	s_branch .LBB1024_44
.LBB1024_135:
                                        ; implicit-def: $vgpr23
                                        ; implicit-def: $vgpr21
                                        ; implicit-def: $vgpr19
                                        ; implicit-def: $vgpr17
                                        ; implicit-def: $vgpr10_vgpr11_vgpr12_vgpr13
                                        ; implicit-def: $vgpr6_vgpr7_vgpr8_vgpr9
                                        ; implicit-def: $vgpr2_vgpr3_vgpr4_vgpr5
	s_cbranch_execz .LBB1024_155
; %bb.136:
	s_cmp_lg_u64 s[52:53], 0
	s_cselect_b32 s3, s51, 0
	s_cselect_b32 s2, s50, 0
	s_mov_b32 s24, 0
	s_cmp_eq_u64 s[2:3], 0
	v_mov_b32_e32 v8, s58
	s_cbranch_scc1 .LBB1024_138
; %bb.137:
	v_mov_b32_e32 v2, 0
	global_load_dword v8, v2, s[2:3]
.LBB1024_138:
	s_mov_b32 s25, 1
	v_cmp_gt_u64_e32 vcc, s[24:25], v[32:33]
	v_cmp_gt_u64_e64 s[2:3], s[24:25], v[34:35]
	v_cmp_gt_u64_e64 s[4:5], s[24:25], v[36:37]
	v_cndmask_b32_e32 v2, 0, v30, vcc
	v_add_u32_e32 v2, v2, v32
	v_cndmask_b32_e64 v2, 0, v2, s[2:3]
	v_add_u32_e32 v2, v2, v34
	v_cndmask_b32_e64 v2, 0, v2, s[4:5]
	v_add_u32_e32 v2, v2, v36
	v_cmp_gt_u64_e64 s[6:7], s[24:25], v[38:39]
	v_cmp_gt_u64_e64 s[8:9], s[24:25], v[40:41]
	v_cmp_gt_u64_e64 s[10:11], s[24:25], v[42:43]
	v_cndmask_b32_e64 v2, 0, v2, s[6:7]
	v_add_u32_e32 v2, v2, v38
	v_cndmask_b32_e64 v2, 0, v2, s[8:9]
	v_add_u32_e32 v2, v2, v40
	v_cndmask_b32_e64 v2, 0, v2, s[10:11]
	v_add_u32_e32 v2, v2, v42
	v_cmp_gt_u64_e64 s[12:13], s[24:25], v[44:45]
	v_cmp_gt_u64_e64 s[14:15], s[24:25], v[46:47]
	v_cmp_gt_u64_e64 s[16:17], s[24:25], v[48:49]
	v_cndmask_b32_e64 v2, 0, v2, s[12:13]
	;; [unrolled: 9-line block ×3, first 2 shown]
	v_add_u32_e32 v2, v2, v50
	v_cndmask_b32_e64 v2, 0, v2, s[20:21]
	v_add_u32_e32 v2, v2, v52
	v_cndmask_b32_e64 v2, 0, v2, s[22:23]
	v_add_u32_e32 v2, v2, v54
	v_cmp_gt_u64_e64 s[24:25], s[24:25], v[14:15]
	v_add_lshl_u32 v1, v1, v0, 3
	s_nop 0
	v_cndmask_b32_e64 v2, 0, v2, s[24:25]
	v_add_u32_e32 v4, v2, v14
	v_or3_b32 v2, v24, v51, v49
	v_or3_b32 v2, v2, v47, v45
	;; [unrolled: 1-line block ×5, first 2 shown]
	v_and_b32_e32 v2, 1, v2
	v_cmp_eq_u32_e64 s[24:25], 1, v2
	s_nop 1
	v_cndmask_b32_e64 v5, v31, 1, s[24:25]
	v_cmp_gt_u32_e64 s[24:25], 64, v0
	ds_write_b32 v1, v4
	ds_write_b8 v1, v5 offset:4
	s_waitcnt lgkmcnt(0)
	s_barrier
	s_and_saveexec_b64 s[26:27], s[24:25]
	s_cbranch_execz .LBB1024_150
; %bb.139:
	v_lshlrev_b32_e32 v1, 2, v0
	v_lshrrev_b32_e32 v2, 3, v0
	v_add_lshl_u32 v1, v2, v1, 3
	ds_read2_b32 v[10:11], v1 offset0:2 offset1:4
	ds_read_b64 v[2:3], v1
	ds_read_u8 v7, v1 offset:12
	ds_read_u8 v12, v1 offset:20
	ds_read_b32 v9, v1 offset:24
	ds_read_u8 v13, v1 offset:28
	v_mov_b32_e32 v14, 0
	s_waitcnt lgkmcnt(3)
	v_cmp_eq_u16_sdwa s[24:25], v7, v14 src0_sel:BYTE_0 src1_sel:DWORD
	v_and_b32_e32 v6, 1, v3
	s_nop 0
	v_cndmask_b32_e64 v15, 0, v2, s[24:25]
	v_add_u32_e32 v10, v15, v10
	s_waitcnt lgkmcnt(2)
	v_cmp_eq_u16_sdwa s[24:25], v12, v14 src0_sel:BYTE_0 src1_sel:DWORD
	s_nop 1
	v_cndmask_b32_e64 v10, 0, v10, s[24:25]
	v_add_u32_e32 v10, v10, v11
	s_waitcnt lgkmcnt(0)
	v_cmp_eq_u16_e64 s[24:25], 0, v13
	s_nop 1
	v_cndmask_b32_e64 v10, 0, v10, s[24:25]
	v_add_u32_e32 v9, v10, v9
	v_or_b32_e32 v10, v13, v12
	v_or_b32_e32 v7, v10, v7
	v_and_b32_e32 v7, 1, v7
	v_cmp_eq_u32_e64 s[24:25], 1, v7
	v_mbcnt_lo_u32_b32 v10, -1, 0
	v_and_b32_e32 v7, 0xffffff00, v3
	v_cndmask_b32_e64 v11, v6, 1, s[24:25]
	v_mbcnt_hi_u32_b32 v10, -1, v10
	v_and_b32_e32 v13, 15, v10
	v_or_b32_sdwa v12, v7, v11 dst_sel:DWORD dst_unused:UNUSED_PAD src0_sel:DWORD src1_sel:WORD_0
	v_mov_b32_dpp v14, v9 row_shr:1 row_mask:0xf bank_mask:0xf
	v_cmp_ne_u32_e64 s[24:25], 0, v13
	v_mov_b32_dpp v15, v12 row_shr:1 row_mask:0xf bank_mask:0xf
	s_and_saveexec_b64 s[28:29], s[24:25]
; %bb.140:
	v_and_b32_e32 v12, 1, v11
	v_and_b32_e32 v15, 1, v15
	v_cmp_eq_u32_e64 s[24:25], 1, v12
	s_nop 1
	v_cndmask_b32_e64 v15, v15, 1, s[24:25]
	v_cmp_eq_u16_e64 s[24:25], 0, v11
	v_or_b32_sdwa v12, v7, v15 dst_sel:DWORD dst_unused:UNUSED_PAD src0_sel:DWORD src1_sel:WORD_0
	s_nop 0
	v_cndmask_b32_e64 v11, 0, v14, s[24:25]
	v_add_u32_e32 v9, v11, v9
	v_mov_b32_e32 v11, v15
; %bb.141:
	s_or_b64 exec, exec, s[28:29]
	v_mov_b32_dpp v14, v9 row_shr:2 row_mask:0xf bank_mask:0xf
	v_mov_b32_dpp v15, v12 row_shr:2 row_mask:0xf bank_mask:0xf
	v_cmp_lt_u32_e64 s[24:25], 1, v13
	s_and_saveexec_b64 s[28:29], s[24:25]
; %bb.142:
	v_and_b32_e32 v12, 1, v11
	v_and_b32_e32 v15, 1, v15
	v_cmp_eq_u32_e64 s[24:25], 1, v12
	s_nop 1
	v_cndmask_b32_e64 v15, v15, 1, s[24:25]
	v_cmp_eq_u16_e64 s[24:25], 0, v11
	v_or_b32_sdwa v12, v7, v15 dst_sel:DWORD dst_unused:UNUSED_PAD src0_sel:DWORD src1_sel:WORD_0
	s_nop 0
	v_cndmask_b32_e64 v11, 0, v14, s[24:25]
	v_add_u32_e32 v9, v11, v9
	v_mov_b32_e32 v11, v15
; %bb.143:
	s_or_b64 exec, exec, s[28:29]
	v_mov_b32_dpp v14, v9 row_shr:4 row_mask:0xf bank_mask:0xf
	v_mov_b32_dpp v15, v12 row_shr:4 row_mask:0xf bank_mask:0xf
	v_cmp_lt_u32_e64 s[24:25], 3, v13
	;; [unrolled: 18-line block ×3, first 2 shown]
	s_and_saveexec_b64 s[28:29], s[24:25]
; %bb.146:
	v_and_b32_e32 v12, 1, v11
	v_and_b32_e32 v13, 1, v15
	v_cmp_eq_u32_e64 s[24:25], 1, v12
	s_nop 1
	v_cndmask_b32_e64 v13, v13, 1, s[24:25]
	v_cmp_eq_u16_e64 s[24:25], 0, v11
	v_or_b32_sdwa v12, v7, v13 dst_sel:DWORD dst_unused:UNUSED_PAD src0_sel:DWORD src1_sel:WORD_0
	s_nop 0
	v_cndmask_b32_e64 v11, 0, v14, s[24:25]
	v_add_u32_e32 v9, v11, v9
	v_mov_b32_e32 v11, v13
; %bb.147:
	s_or_b64 exec, exec, s[28:29]
	v_and_b32_e32 v15, 16, v10
	v_mov_b32_dpp v13, v9 row_bcast:15 row_mask:0xf bank_mask:0xf
	v_mov_b32_dpp v14, v12 row_bcast:15 row_mask:0xf bank_mask:0xf
	v_cmp_ne_u32_e64 s[24:25], 0, v15
	s_and_saveexec_b64 s[28:29], s[24:25]
; %bb.148:
	v_and_b32_e32 v12, 1, v11
	v_and_b32_e32 v14, 1, v14
	v_cmp_eq_u32_e64 s[24:25], 1, v12
	s_nop 1
	v_cndmask_b32_e64 v14, v14, 1, s[24:25]
	v_cmp_eq_u16_e64 s[24:25], 0, v11
	v_or_b32_sdwa v12, v7, v14 dst_sel:DWORD dst_unused:UNUSED_PAD src0_sel:DWORD src1_sel:WORD_0
	s_nop 0
	v_cndmask_b32_e64 v11, 0, v13, s[24:25]
	v_add_u32_e32 v9, v11, v9
	v_mov_b32_e32 v11, v14
; %bb.149:
	s_or_b64 exec, exec, s[28:29]
	v_mov_b32_dpp v12, v12 row_bcast:31 row_mask:0xf bank_mask:0xf
	v_and_b32_e32 v14, 1, v11
	v_and_b32_e32 v12, 1, v12
	v_cmp_eq_u32_e64 s[24:25], 1, v14
	v_mov_b32_e32 v14, 0
	v_cmp_eq_u16_sdwa s[28:29], v11, v14 src0_sel:BYTE_0 src1_sel:DWORD
	v_cndmask_b32_e64 v12, v12, 1, s[24:25]
	v_cmp_lt_u32_e64 s[24:25], 31, v10
	v_mov_b32_dpp v13, v9 row_bcast:31 row_mask:0xf bank_mask:0xf
	s_movk_i32 s30, 0xff
	v_cndmask_b32_e64 v11, v11, v12, s[24:25]
	s_and_b64 s[24:25], s[24:25], s[28:29]
	v_cndmask_b32_e64 v12, 0, v13, s[24:25]
	v_add_u32_e32 v9, v12, v9
	v_add_u32_e32 v12, -1, v10
	v_and_b32_e32 v13, 64, v10
	v_cmp_lt_i32_e64 s[24:25], v12, v13
	v_and_or_b32 v7, v11, s30, v7
	s_nop 0
	v_cndmask_b32_e64 v10, v12, v10, s[24:25]
	v_lshlrev_b32_e32 v10, 2, v10
	ds_bpermute_b32 v9, v10, v9
	ds_bpermute_b32 v7, v10, v7
	v_cmp_eq_u16_sdwa s[24:25], v3, v14 src0_sel:BYTE_0 src1_sel:DWORD
	; wave barrier
	s_waitcnt lgkmcnt(1)
	s_nop 0
	v_cndmask_b32_e64 v3, 0, v9, s[24:25]
	v_add_u32_e32 v2, v3, v2
	s_waitcnt lgkmcnt(0)
	v_and_b32_e32 v3, 1, v7
	v_cmp_eq_u32_e64 s[24:25], 1, v6
	s_nop 1
	v_cndmask_b32_e64 v3, v3, 1, s[24:25]
	v_cmp_eq_u32_e64 s[24:25], 0, v0
	s_nop 1
	v_cndmask_b32_e64 v4, v2, v4, s[24:25]
	v_cndmask_b32_e64 v5, v3, v5, s[24:25]
	ds_write_b32 v1, v4
	ds_write_b8 v1, v5 offset:4
	; wave barrier
	ds_read_u8 v6, v1 offset:12
	ds_read2_b32 v[2:3], v1 offset0:2 offset1:4
	ds_read_u8 v7, v1 offset:20
	ds_read_b32 v9, v1 offset:24
	ds_read_u8 v10, v1 offset:28
	s_waitcnt lgkmcnt(4)
	v_cmp_eq_u16_e64 s[24:25], 0, v6
	s_nop 1
	v_cndmask_b32_e64 v4, 0, v4, s[24:25]
	s_waitcnt lgkmcnt(3)
	v_add_u32_e32 v2, v4, v2
	v_and_b32_e32 v4, 1, v6
	v_cmp_eq_u32_e64 s[24:25], 1, v4
	s_nop 1
	v_cndmask_b32_e64 v4, v5, 1, s[24:25]
	s_waitcnt lgkmcnt(2)
	v_cmp_eq_u16_e64 s[24:25], 0, v7
	ds_write_b8 v1, v4 offset:12
	s_nop 0
	v_cndmask_b32_e64 v5, 0, v2, s[24:25]
	v_add_u32_e32 v3, v5, v3
	v_and_b32_e32 v5, 1, v7
	v_cmp_eq_u32_e64 s[24:25], 1, v5
	s_nop 1
	v_cndmask_b32_e64 v4, v4, 1, s[24:25]
	s_waitcnt lgkmcnt(1)
	v_cmp_eq_u16_e64 s[24:25], 0, v10
	ds_write2_b32 v1, v2, v3 offset0:2 offset1:4
	ds_write_b8 v1, v4 offset:20
	v_cndmask_b32_e64 v2, 0, v3, s[24:25]
	v_and_b32_e32 v3, 1, v10
	v_add_u32_e32 v2, v2, v9
	v_cmp_eq_u32_e64 s[24:25], 1, v3
	s_nop 1
	v_cndmask_b32_e64 v3, v4, 1, s[24:25]
	ds_write_b32 v1, v2 offset:24
	ds_write_b8 v1, v3 offset:28
.LBB1024_150:
	s_or_b64 exec, exec, s[26:27]
	v_cmp_eq_u32_e64 s[24:25], 0, v0
	v_cmp_ne_u32_e64 s[26:27], 0, v0
	s_waitcnt vmcnt(0)
	v_mov_b32_e32 v2, v8
	s_waitcnt lgkmcnt(0)
	s_barrier
	s_and_saveexec_b64 s[28:29], s[26:27]
	s_cbranch_execz .LBB1024_152
; %bb.151:
	v_add_u32_e32 v1, -1, v0
	v_lshrrev_b32_e32 v2, 5, v1
	v_add_lshl_u32 v1, v2, v1, 3
	ds_read_u8 v2, v1 offset:4
	ds_read_b32 v1, v1
	s_waitcnt lgkmcnt(1)
	v_cmp_eq_u16_e64 s[26:27], 0, v2
	s_nop 1
	v_cndmask_b32_e64 v2, 0, v8, s[26:27]
	s_waitcnt lgkmcnt(0)
	v_add_u32_e32 v2, v2, v1
.LBB1024_152:
	s_or_b64 exec, exec, s[28:29]
	v_and_b32_e32 v5, 0xff, v31
	v_mov_b32_e32 v4, 0
	v_cmp_eq_u64_e64 s[26:27], 0, v[4:5]
	s_nop 1
	v_cndmask_b32_e64 v1, 0, v2, s[26:27]
	v_add_u32_e32 v3, v1, v30
	v_cndmask_b32_e32 v1, 0, v3, vcc
	v_add_u32_e32 v16, v1, v32
	v_cndmask_b32_e64 v1, 0, v16, s[2:3]
	v_add_u32_e32 v17, v1, v34
	v_cndmask_b32_e64 v1, 0, v17, s[4:5]
	;; [unrolled: 2-line block ×11, first 2 shown]
	s_and_saveexec_b64 s[2:3], s[24:25]
	s_cbranch_execz .LBB1024_154
; %bb.153:
	ds_read_u8 v5, v4 offset:2100
	ds_read_b32 v9, v4 offset:2096
	s_add_u32 s4, s44, 0x400
	s_addc_u32 s5, s45, 0
	v_mov_b32_e32 v14, 2
	s_waitcnt lgkmcnt(1)
	v_cmp_eq_u16_e32 vcc, 0, v5
	v_and_b32_e32 v13, 0xffff, v5
	v_mov_b32_e32 v15, v4
	v_cndmask_b32_e32 v8, 0, v8, vcc
	s_waitcnt lgkmcnt(0)
	v_add_u32_e32 v12, v8, v9
	v_mov_b64_e32 v[4:5], s[4:5]
	;;#ASMSTART
	global_store_dwordx4 v[4:5], v[12:15] off sc1	
s_waitcnt vmcnt(0)
	;;#ASMEND
.LBB1024_154:
	s_or_b64 exec, exec, s[2:3]
	v_add_u32_e32 v23, v1, v54
.LBB1024_155:
	s_add_u32 s2, s42, s38
	s_addc_u32 s3, s43, s39
	s_add_u32 s2, s2, s36
	v_mul_u32_u24_e32 v1, 14, v0
	s_addc_u32 s3, s3, s37
	s_and_b64 vcc, exec, s[0:1]
	v_lshlrev_b32_e32 v4, 2, v1
	s_cbranch_vccz .LBB1024_183
; %bb.156:
	s_movk_i32 s0, 0xffcc
	v_mad_i32_i24 v1, v0, s0, v4
	s_barrier
	ds_write2_b64 v4, v[2:3], v[16:17] offset1:1
	ds_write2_b64 v4, v[6:7], v[18:19] offset0:2 offset1:3
	ds_write2_b64 v4, v[10:11], v[20:21] offset0:4 offset1:5
	ds_write_b64 v4, v[22:23] offset:48
	s_waitcnt lgkmcnt(0)
	s_barrier
	ds_read2st64_b32 v[30:31], v1 offset0:4 offset1:8
	ds_read2st64_b32 v[28:29], v1 offset0:12 offset1:16
	ds_read2st64_b32 v[26:27], v1 offset0:20 offset1:24
	ds_read2st64_b32 v[24:25], v1 offset0:28 offset1:32
	ds_read2st64_b32 v[14:15], v1 offset0:36 offset1:40
	ds_read2st64_b32 v[8:9], v1 offset0:44 offset1:48
	ds_read_b32 v5, v1 offset:13312
	s_add_i32 s33, s33, s46
	v_mov_b32_e32 v57, 0
	v_lshl_add_u64 v[12:13], s[2:3], 0, v[56:57]
	v_cmp_gt_u32_e32 vcc, s33, v0
	s_and_saveexec_b64 s[0:1], vcc
	s_cbranch_execz .LBB1024_158
; %bb.157:
	v_mul_i32_i24_e32 v1, 0xffffffcc, v0
	v_add_u32_e32 v1, v4, v1
	ds_read_b32 v32, v1
	s_waitcnt lgkmcnt(0)
	v_ashrrev_i32_e32 v33, 31, v32
	flat_store_dwordx2 v[12:13], v[32:33]
.LBB1024_158:
	s_or_b64 exec, exec, s[0:1]
	v_or_b32_e32 v1, 0x100, v0
	v_cmp_gt_u32_e32 vcc, s33, v1
	s_and_saveexec_b64 s[0:1], vcc
	s_cbranch_execz .LBB1024_160
; %bb.159:
	s_waitcnt lgkmcnt(0)
	v_ashrrev_i32_e32 v33, 31, v30
	v_mov_b32_e32 v32, v30
	flat_store_dwordx2 v[12:13], v[32:33] offset:2048
.LBB1024_160:
	s_or_b64 exec, exec, s[0:1]
	v_or_b32_e32 v1, 0x200, v0
	v_cmp_gt_u32_e32 vcc, s33, v1
	s_and_saveexec_b64 s[0:1], vcc
	s_cbranch_execz .LBB1024_162
; %bb.161:
	s_waitcnt lgkmcnt(0)
	v_add_co_u32_e32 v30, vcc, 0x1000, v12
	v_ashrrev_i32_e32 v33, 31, v31
	v_mov_b32_e32 v32, v31
	v_addc_co_u32_e32 v31, vcc, 0, v13, vcc
	flat_store_dwordx2 v[30:31], v[32:33]
.LBB1024_162:
	s_or_b64 exec, exec, s[0:1]
	v_or_b32_e32 v1, 0x300, v0
	v_cmp_gt_u32_e32 vcc, s33, v1
	s_and_saveexec_b64 s[0:1], vcc
	s_cbranch_execz .LBB1024_164
; %bb.163:
	v_add_co_u32_e32 v32, vcc, 0x1000, v12
	s_waitcnt lgkmcnt(0)
	v_ashrrev_i32_e32 v31, 31, v28
	v_mov_b32_e32 v30, v28
	v_addc_co_u32_e32 v33, vcc, 0, v13, vcc
	flat_store_dwordx2 v[32:33], v[30:31] offset:2048
.LBB1024_164:
	s_or_b64 exec, exec, s[0:1]
	v_or_b32_e32 v1, 0x400, v0
	v_cmp_gt_u32_e32 vcc, s33, v1
	s_and_saveexec_b64 s[0:1], vcc
	s_cbranch_execz .LBB1024_166
; %bb.165:
	s_waitcnt lgkmcnt(0)
	v_add_co_u32_e32 v28, vcc, 0x2000, v12
	v_ashrrev_i32_e32 v31, 31, v29
	v_mov_b32_e32 v30, v29
	v_addc_co_u32_e32 v29, vcc, 0, v13, vcc
	flat_store_dwordx2 v[28:29], v[30:31]
.LBB1024_166:
	s_or_b64 exec, exec, s[0:1]
	v_or_b32_e32 v1, 0x500, v0
	v_cmp_gt_u32_e32 vcc, s33, v1
	s_and_saveexec_b64 s[0:1], vcc
	s_cbranch_execz .LBB1024_168
; %bb.167:
	s_waitcnt lgkmcnt(0)
	v_add_co_u32_e32 v30, vcc, 0x2000, v12
	v_ashrrev_i32_e32 v29, 31, v26
	v_mov_b32_e32 v28, v26
	v_addc_co_u32_e32 v31, vcc, 0, v13, vcc
	flat_store_dwordx2 v[30:31], v[28:29] offset:2048
.LBB1024_168:
	s_or_b64 exec, exec, s[0:1]
	v_or_b32_e32 v1, 0x600, v0
	v_cmp_gt_u32_e32 vcc, s33, v1
	s_and_saveexec_b64 s[0:1], vcc
	s_cbranch_execz .LBB1024_170
; %bb.169:
	s_waitcnt lgkmcnt(0)
	v_add_co_u32_e32 v26, vcc, 0x3000, v12
	v_ashrrev_i32_e32 v29, 31, v27
	v_mov_b32_e32 v28, v27
	v_addc_co_u32_e32 v27, vcc, 0, v13, vcc
	flat_store_dwordx2 v[26:27], v[28:29]
.LBB1024_170:
	s_or_b64 exec, exec, s[0:1]
	v_or_b32_e32 v1, 0x700, v0
	v_cmp_gt_u32_e32 vcc, s33, v1
	s_and_saveexec_b64 s[0:1], vcc
	s_cbranch_execz .LBB1024_172
; %bb.171:
	s_waitcnt lgkmcnt(0)
	v_add_co_u32_e32 v28, vcc, 0x3000, v12
	v_ashrrev_i32_e32 v27, 31, v24
	v_mov_b32_e32 v26, v24
	v_addc_co_u32_e32 v29, vcc, 0, v13, vcc
	flat_store_dwordx2 v[28:29], v[26:27] offset:2048
.LBB1024_172:
	;; [unrolled: 26-line block ×4, first 2 shown]
	s_or_b64 exec, exec, s[0:1]
	v_or_b32_e32 v1, 0xc00, v0
	v_cmp_gt_u32_e32 vcc, s33, v1
	s_and_saveexec_b64 s[0:1], vcc
	s_cbranch_execz .LBB1024_182
; %bb.181:
	s_waitcnt lgkmcnt(0)
	v_add_co_u32_e32 v8, vcc, 0x6000, v12
	v_ashrrev_i32_e32 v15, 31, v9
	v_mov_b32_e32 v14, v9
	v_addc_co_u32_e32 v9, vcc, 0, v13, vcc
	flat_store_dwordx2 v[8:9], v[14:15]
.LBB1024_182:
	s_or_b64 exec, exec, s[0:1]
	s_waitcnt lgkmcnt(0)
	v_or_b32_e32 v8, 0xd00, v0
	v_mov_b32_e32 v1, v57
	v_cmp_gt_u32_e64 s[0:1], s33, v8
	s_branch .LBB1024_185
.LBB1024_183:
	s_mov_b64 s[0:1], 0
                                        ; implicit-def: $vgpr5
	s_cbranch_execz .LBB1024_185
; %bb.184:
	s_movk_i32 s4, 0xffcc
	v_mad_i32_i24 v28, v0, s4, v4
	s_barrier
	ds_write2_b64 v4, v[2:3], v[16:17] offset1:1
	ds_write2_b64 v4, v[6:7], v[18:19] offset0:2 offset1:3
	ds_write2_b64 v4, v[10:11], v[20:21] offset0:4 offset1:5
	ds_write_b64 v4, v[22:23] offset:48
	s_waitcnt lgkmcnt(0)
	s_barrier
	ds_read2st64_b32 v[2:3], v28 offset1:4
	ds_read2st64_b32 v[4:5], v28 offset0:8 offset1:12
	v_mov_b32_e32 v1, 0
	v_mov_b32_e32 v57, v1
	v_lshl_add_u64 v[30:31], s[2:3], 0, v[56:57]
	s_waitcnt lgkmcnt(0)
	v_ashrrev_i32_e32 v7, 31, v2
	v_mov_b32_e32 v6, v2
	v_ashrrev_i32_e32 v9, 31, v3
	v_mov_b32_e32 v8, v3
	ds_read2st64_b32 v[2:3], v28 offset0:16 offset1:20
	v_ashrrev_i32_e32 v11, 31, v4
	v_mov_b32_e32 v10, v4
	v_ashrrev_i32_e32 v13, 31, v5
	v_mov_b32_e32 v12, v5
	ds_read2st64_b32 v[4:5], v28 offset0:24 offset1:28
	s_movk_i32 s4, 0x1000
	s_waitcnt lgkmcnt(0)
	v_ashrrev_i32_e32 v15, 31, v2
	v_mov_b32_e32 v14, v2
	v_ashrrev_i32_e32 v17, 31, v3
	v_mov_b32_e32 v16, v3
	ds_read2st64_b32 v[2:3], v28 offset0:32 offset1:36
	v_ashrrev_i32_e32 v19, 31, v4
	v_mov_b32_e32 v18, v4
	v_ashrrev_i32_e32 v21, 31, v5
	v_mov_b32_e32 v20, v5
	ds_read2st64_b32 v[24:25], v28 offset0:40 offset1:44
	ds_read2st64_b32 v[4:5], v28 offset0:48 offset1:52
	flat_store_dwordx2 v[30:31], v[6:7]
	flat_store_dwordx2 v[30:31], v[8:9] offset:2048
	v_add_co_u32_e32 v6, vcc, s4, v30
	s_movk_i32 s4, 0x2000
	s_nop 0
	v_addc_co_u32_e32 v7, vcc, 0, v31, vcc
	flat_store_dwordx2 v[6:7], v[10:11]
	flat_store_dwordx2 v[6:7], v[12:13] offset:2048
	v_add_co_u32_e32 v6, vcc, s4, v30
	s_movk_i32 s4, 0x3000
	s_nop 0
	v_addc_co_u32_e32 v7, vcc, 0, v31, vcc
	;; [unrolled: 6-line block ×3, first 2 shown]
	flat_store_dwordx2 v[6:7], v[18:19]
	flat_store_dwordx2 v[6:7], v[20:21] offset:2048
	v_add_co_u32_e32 v6, vcc, s4, v30
	s_waitcnt lgkmcnt(0)
	v_ashrrev_i32_e32 v23, 31, v2
	v_mov_b32_e32 v22, v2
	v_addc_co_u32_e32 v7, vcc, 0, v31, vcc
	v_ashrrev_i32_e32 v27, 31, v3
	v_mov_b32_e32 v26, v3
	flat_store_dwordx2 v[6:7], v[22:23]
	flat_store_dwordx2 v[6:7], v[26:27] offset:2048
	v_add_co_u32_e32 v6, vcc, 0x5000, v30
	v_ashrrev_i32_e32 v3, 31, v24
	v_mov_b32_e32 v2, v24
	v_addc_co_u32_e32 v7, vcc, 0, v31, vcc
	v_ashrrev_i32_e32 v29, 31, v25
	v_mov_b32_e32 v28, v25
	flat_store_dwordx2 v[6:7], v[2:3]
	flat_store_dwordx2 v[6:7], v[28:29] offset:2048
	v_add_co_u32_e32 v2, vcc, 0x6000, v30
	v_ashrrev_i32_e32 v25, 31, v4
	v_mov_b32_e32 v24, v4
	v_addc_co_u32_e32 v3, vcc, 0, v31, vcc
	s_or_b64 s[0:1], s[0:1], exec
	flat_store_dwordx2 v[2:3], v[24:25]
.LBB1024_185:
	s_and_saveexec_b64 s[4:5], s[0:1]
	s_cbranch_execz .LBB1024_187
; %bb.186:
	v_lshl_add_u64 v[0:1], v[0:1], 3, s[2:3]
	v_add_co_u32_e32 v0, vcc, 0x6000, v0
	v_ashrrev_i32_e32 v3, 31, v5
	v_mov_b32_e32 v2, v5
	v_addc_co_u32_e32 v1, vcc, 0, v1, vcc
	flat_store_dwordx2 v[0:1], v[2:3] offset:2048
	s_endpgm
.LBB1024_187:
	s_endpgm
	.section	.rodata,"a",@progbits
	.p2align	6, 0x0
	.amdhsa_kernel _ZN7rocprim17ROCPRIM_400000_NS6detail17trampoline_kernelINS0_14default_configENS1_27scan_by_key_config_selectorIxiEEZZNS1_16scan_by_key_implILNS1_25lookback_scan_determinismE0ELb1ES3_N6thrust23THRUST_200600_302600_NS6detail15normal_iteratorINS9_10device_ptrIxEEEESE_SE_iNS9_4plusIvEENS9_8equal_toIvEEiEE10hipError_tPvRmT2_T3_T4_T5_mT6_T7_P12ihipStream_tbENKUlT_T0_E_clISt17integral_constantIbLb1EESY_IbLb0EEEEDaSU_SV_EUlSU_E_NS1_11comp_targetILNS1_3genE5ELNS1_11target_archE942ELNS1_3gpuE9ELNS1_3repE0EEENS1_30default_config_static_selectorELNS0_4arch9wavefront6targetE1EEEvT1_
		.amdhsa_group_segment_fixed_size 32768
		.amdhsa_private_segment_fixed_size 0
		.amdhsa_kernarg_size 112
		.amdhsa_user_sgpr_count 2
		.amdhsa_user_sgpr_dispatch_ptr 0
		.amdhsa_user_sgpr_queue_ptr 0
		.amdhsa_user_sgpr_kernarg_segment_ptr 1
		.amdhsa_user_sgpr_dispatch_id 0
		.amdhsa_user_sgpr_kernarg_preload_length 0
		.amdhsa_user_sgpr_kernarg_preload_offset 0
		.amdhsa_user_sgpr_private_segment_size 0
		.amdhsa_uses_dynamic_stack 0
		.amdhsa_enable_private_segment 0
		.amdhsa_system_sgpr_workgroup_id_x 1
		.amdhsa_system_sgpr_workgroup_id_y 0
		.amdhsa_system_sgpr_workgroup_id_z 0
		.amdhsa_system_sgpr_workgroup_info 0
		.amdhsa_system_vgpr_workitem_id 0
		.amdhsa_next_free_vgpr 62
		.amdhsa_next_free_sgpr 62
		.amdhsa_accum_offset 64
		.amdhsa_reserve_vcc 1
		.amdhsa_float_round_mode_32 0
		.amdhsa_float_round_mode_16_64 0
		.amdhsa_float_denorm_mode_32 3
		.amdhsa_float_denorm_mode_16_64 3
		.amdhsa_dx10_clamp 1
		.amdhsa_ieee_mode 1
		.amdhsa_fp16_overflow 0
		.amdhsa_tg_split 0
		.amdhsa_exception_fp_ieee_invalid_op 0
		.amdhsa_exception_fp_denorm_src 0
		.amdhsa_exception_fp_ieee_div_zero 0
		.amdhsa_exception_fp_ieee_overflow 0
		.amdhsa_exception_fp_ieee_underflow 0
		.amdhsa_exception_fp_ieee_inexact 0
		.amdhsa_exception_int_div_zero 0
	.end_amdhsa_kernel
	.section	.text._ZN7rocprim17ROCPRIM_400000_NS6detail17trampoline_kernelINS0_14default_configENS1_27scan_by_key_config_selectorIxiEEZZNS1_16scan_by_key_implILNS1_25lookback_scan_determinismE0ELb1ES3_N6thrust23THRUST_200600_302600_NS6detail15normal_iteratorINS9_10device_ptrIxEEEESE_SE_iNS9_4plusIvEENS9_8equal_toIvEEiEE10hipError_tPvRmT2_T3_T4_T5_mT6_T7_P12ihipStream_tbENKUlT_T0_E_clISt17integral_constantIbLb1EESY_IbLb0EEEEDaSU_SV_EUlSU_E_NS1_11comp_targetILNS1_3genE5ELNS1_11target_archE942ELNS1_3gpuE9ELNS1_3repE0EEENS1_30default_config_static_selectorELNS0_4arch9wavefront6targetE1EEEvT1_,"axG",@progbits,_ZN7rocprim17ROCPRIM_400000_NS6detail17trampoline_kernelINS0_14default_configENS1_27scan_by_key_config_selectorIxiEEZZNS1_16scan_by_key_implILNS1_25lookback_scan_determinismE0ELb1ES3_N6thrust23THRUST_200600_302600_NS6detail15normal_iteratorINS9_10device_ptrIxEEEESE_SE_iNS9_4plusIvEENS9_8equal_toIvEEiEE10hipError_tPvRmT2_T3_T4_T5_mT6_T7_P12ihipStream_tbENKUlT_T0_E_clISt17integral_constantIbLb1EESY_IbLb0EEEEDaSU_SV_EUlSU_E_NS1_11comp_targetILNS1_3genE5ELNS1_11target_archE942ELNS1_3gpuE9ELNS1_3repE0EEENS1_30default_config_static_selectorELNS0_4arch9wavefront6targetE1EEEvT1_,comdat
.Lfunc_end1024:
	.size	_ZN7rocprim17ROCPRIM_400000_NS6detail17trampoline_kernelINS0_14default_configENS1_27scan_by_key_config_selectorIxiEEZZNS1_16scan_by_key_implILNS1_25lookback_scan_determinismE0ELb1ES3_N6thrust23THRUST_200600_302600_NS6detail15normal_iteratorINS9_10device_ptrIxEEEESE_SE_iNS9_4plusIvEENS9_8equal_toIvEEiEE10hipError_tPvRmT2_T3_T4_T5_mT6_T7_P12ihipStream_tbENKUlT_T0_E_clISt17integral_constantIbLb1EESY_IbLb0EEEEDaSU_SV_EUlSU_E_NS1_11comp_targetILNS1_3genE5ELNS1_11target_archE942ELNS1_3gpuE9ELNS1_3repE0EEENS1_30default_config_static_selectorELNS0_4arch9wavefront6targetE1EEEvT1_, .Lfunc_end1024-_ZN7rocprim17ROCPRIM_400000_NS6detail17trampoline_kernelINS0_14default_configENS1_27scan_by_key_config_selectorIxiEEZZNS1_16scan_by_key_implILNS1_25lookback_scan_determinismE0ELb1ES3_N6thrust23THRUST_200600_302600_NS6detail15normal_iteratorINS9_10device_ptrIxEEEESE_SE_iNS9_4plusIvEENS9_8equal_toIvEEiEE10hipError_tPvRmT2_T3_T4_T5_mT6_T7_P12ihipStream_tbENKUlT_T0_E_clISt17integral_constantIbLb1EESY_IbLb0EEEEDaSU_SV_EUlSU_E_NS1_11comp_targetILNS1_3genE5ELNS1_11target_archE942ELNS1_3gpuE9ELNS1_3repE0EEENS1_30default_config_static_selectorELNS0_4arch9wavefront6targetE1EEEvT1_
                                        ; -- End function
	.section	.AMDGPU.csdata,"",@progbits
; Kernel info:
; codeLenInByte = 11896
; NumSgprs: 68
; NumVgprs: 62
; NumAgprs: 0
; TotalNumVgprs: 62
; ScratchSize: 0
; MemoryBound: 0
; FloatMode: 240
; IeeeMode: 1
; LDSByteSize: 32768 bytes/workgroup (compile time only)
; SGPRBlocks: 8
; VGPRBlocks: 7
; NumSGPRsForWavesPerEU: 68
; NumVGPRsForWavesPerEU: 62
; AccumOffset: 64
; Occupancy: 2
; WaveLimiterHint : 1
; COMPUTE_PGM_RSRC2:SCRATCH_EN: 0
; COMPUTE_PGM_RSRC2:USER_SGPR: 2
; COMPUTE_PGM_RSRC2:TRAP_HANDLER: 0
; COMPUTE_PGM_RSRC2:TGID_X_EN: 1
; COMPUTE_PGM_RSRC2:TGID_Y_EN: 0
; COMPUTE_PGM_RSRC2:TGID_Z_EN: 0
; COMPUTE_PGM_RSRC2:TIDIG_COMP_CNT: 0
; COMPUTE_PGM_RSRC3_GFX90A:ACCUM_OFFSET: 15
; COMPUTE_PGM_RSRC3_GFX90A:TG_SPLIT: 0
	.section	.text._ZN7rocprim17ROCPRIM_400000_NS6detail17trampoline_kernelINS0_14default_configENS1_27scan_by_key_config_selectorIxiEEZZNS1_16scan_by_key_implILNS1_25lookback_scan_determinismE0ELb1ES3_N6thrust23THRUST_200600_302600_NS6detail15normal_iteratorINS9_10device_ptrIxEEEESE_SE_iNS9_4plusIvEENS9_8equal_toIvEEiEE10hipError_tPvRmT2_T3_T4_T5_mT6_T7_P12ihipStream_tbENKUlT_T0_E_clISt17integral_constantIbLb1EESY_IbLb0EEEEDaSU_SV_EUlSU_E_NS1_11comp_targetILNS1_3genE4ELNS1_11target_archE910ELNS1_3gpuE8ELNS1_3repE0EEENS1_30default_config_static_selectorELNS0_4arch9wavefront6targetE1EEEvT1_,"axG",@progbits,_ZN7rocprim17ROCPRIM_400000_NS6detail17trampoline_kernelINS0_14default_configENS1_27scan_by_key_config_selectorIxiEEZZNS1_16scan_by_key_implILNS1_25lookback_scan_determinismE0ELb1ES3_N6thrust23THRUST_200600_302600_NS6detail15normal_iteratorINS9_10device_ptrIxEEEESE_SE_iNS9_4plusIvEENS9_8equal_toIvEEiEE10hipError_tPvRmT2_T3_T4_T5_mT6_T7_P12ihipStream_tbENKUlT_T0_E_clISt17integral_constantIbLb1EESY_IbLb0EEEEDaSU_SV_EUlSU_E_NS1_11comp_targetILNS1_3genE4ELNS1_11target_archE910ELNS1_3gpuE8ELNS1_3repE0EEENS1_30default_config_static_selectorELNS0_4arch9wavefront6targetE1EEEvT1_,comdat
	.protected	_ZN7rocprim17ROCPRIM_400000_NS6detail17trampoline_kernelINS0_14default_configENS1_27scan_by_key_config_selectorIxiEEZZNS1_16scan_by_key_implILNS1_25lookback_scan_determinismE0ELb1ES3_N6thrust23THRUST_200600_302600_NS6detail15normal_iteratorINS9_10device_ptrIxEEEESE_SE_iNS9_4plusIvEENS9_8equal_toIvEEiEE10hipError_tPvRmT2_T3_T4_T5_mT6_T7_P12ihipStream_tbENKUlT_T0_E_clISt17integral_constantIbLb1EESY_IbLb0EEEEDaSU_SV_EUlSU_E_NS1_11comp_targetILNS1_3genE4ELNS1_11target_archE910ELNS1_3gpuE8ELNS1_3repE0EEENS1_30default_config_static_selectorELNS0_4arch9wavefront6targetE1EEEvT1_ ; -- Begin function _ZN7rocprim17ROCPRIM_400000_NS6detail17trampoline_kernelINS0_14default_configENS1_27scan_by_key_config_selectorIxiEEZZNS1_16scan_by_key_implILNS1_25lookback_scan_determinismE0ELb1ES3_N6thrust23THRUST_200600_302600_NS6detail15normal_iteratorINS9_10device_ptrIxEEEESE_SE_iNS9_4plusIvEENS9_8equal_toIvEEiEE10hipError_tPvRmT2_T3_T4_T5_mT6_T7_P12ihipStream_tbENKUlT_T0_E_clISt17integral_constantIbLb1EESY_IbLb0EEEEDaSU_SV_EUlSU_E_NS1_11comp_targetILNS1_3genE4ELNS1_11target_archE910ELNS1_3gpuE8ELNS1_3repE0EEENS1_30default_config_static_selectorELNS0_4arch9wavefront6targetE1EEEvT1_
	.globl	_ZN7rocprim17ROCPRIM_400000_NS6detail17trampoline_kernelINS0_14default_configENS1_27scan_by_key_config_selectorIxiEEZZNS1_16scan_by_key_implILNS1_25lookback_scan_determinismE0ELb1ES3_N6thrust23THRUST_200600_302600_NS6detail15normal_iteratorINS9_10device_ptrIxEEEESE_SE_iNS9_4plusIvEENS9_8equal_toIvEEiEE10hipError_tPvRmT2_T3_T4_T5_mT6_T7_P12ihipStream_tbENKUlT_T0_E_clISt17integral_constantIbLb1EESY_IbLb0EEEEDaSU_SV_EUlSU_E_NS1_11comp_targetILNS1_3genE4ELNS1_11target_archE910ELNS1_3gpuE8ELNS1_3repE0EEENS1_30default_config_static_selectorELNS0_4arch9wavefront6targetE1EEEvT1_
	.p2align	8
	.type	_ZN7rocprim17ROCPRIM_400000_NS6detail17trampoline_kernelINS0_14default_configENS1_27scan_by_key_config_selectorIxiEEZZNS1_16scan_by_key_implILNS1_25lookback_scan_determinismE0ELb1ES3_N6thrust23THRUST_200600_302600_NS6detail15normal_iteratorINS9_10device_ptrIxEEEESE_SE_iNS9_4plusIvEENS9_8equal_toIvEEiEE10hipError_tPvRmT2_T3_T4_T5_mT6_T7_P12ihipStream_tbENKUlT_T0_E_clISt17integral_constantIbLb1EESY_IbLb0EEEEDaSU_SV_EUlSU_E_NS1_11comp_targetILNS1_3genE4ELNS1_11target_archE910ELNS1_3gpuE8ELNS1_3repE0EEENS1_30default_config_static_selectorELNS0_4arch9wavefront6targetE1EEEvT1_,@function
_ZN7rocprim17ROCPRIM_400000_NS6detail17trampoline_kernelINS0_14default_configENS1_27scan_by_key_config_selectorIxiEEZZNS1_16scan_by_key_implILNS1_25lookback_scan_determinismE0ELb1ES3_N6thrust23THRUST_200600_302600_NS6detail15normal_iteratorINS9_10device_ptrIxEEEESE_SE_iNS9_4plusIvEENS9_8equal_toIvEEiEE10hipError_tPvRmT2_T3_T4_T5_mT6_T7_P12ihipStream_tbENKUlT_T0_E_clISt17integral_constantIbLb1EESY_IbLb0EEEEDaSU_SV_EUlSU_E_NS1_11comp_targetILNS1_3genE4ELNS1_11target_archE910ELNS1_3gpuE8ELNS1_3repE0EEENS1_30default_config_static_selectorELNS0_4arch9wavefront6targetE1EEEvT1_: ; @_ZN7rocprim17ROCPRIM_400000_NS6detail17trampoline_kernelINS0_14default_configENS1_27scan_by_key_config_selectorIxiEEZZNS1_16scan_by_key_implILNS1_25lookback_scan_determinismE0ELb1ES3_N6thrust23THRUST_200600_302600_NS6detail15normal_iteratorINS9_10device_ptrIxEEEESE_SE_iNS9_4plusIvEENS9_8equal_toIvEEiEE10hipError_tPvRmT2_T3_T4_T5_mT6_T7_P12ihipStream_tbENKUlT_T0_E_clISt17integral_constantIbLb1EESY_IbLb0EEEEDaSU_SV_EUlSU_E_NS1_11comp_targetILNS1_3genE4ELNS1_11target_archE910ELNS1_3gpuE8ELNS1_3repE0EEENS1_30default_config_static_selectorELNS0_4arch9wavefront6targetE1EEEvT1_
; %bb.0:
	.section	.rodata,"a",@progbits
	.p2align	6, 0x0
	.amdhsa_kernel _ZN7rocprim17ROCPRIM_400000_NS6detail17trampoline_kernelINS0_14default_configENS1_27scan_by_key_config_selectorIxiEEZZNS1_16scan_by_key_implILNS1_25lookback_scan_determinismE0ELb1ES3_N6thrust23THRUST_200600_302600_NS6detail15normal_iteratorINS9_10device_ptrIxEEEESE_SE_iNS9_4plusIvEENS9_8equal_toIvEEiEE10hipError_tPvRmT2_T3_T4_T5_mT6_T7_P12ihipStream_tbENKUlT_T0_E_clISt17integral_constantIbLb1EESY_IbLb0EEEEDaSU_SV_EUlSU_E_NS1_11comp_targetILNS1_3genE4ELNS1_11target_archE910ELNS1_3gpuE8ELNS1_3repE0EEENS1_30default_config_static_selectorELNS0_4arch9wavefront6targetE1EEEvT1_
		.amdhsa_group_segment_fixed_size 0
		.amdhsa_private_segment_fixed_size 0
		.amdhsa_kernarg_size 112
		.amdhsa_user_sgpr_count 2
		.amdhsa_user_sgpr_dispatch_ptr 0
		.amdhsa_user_sgpr_queue_ptr 0
		.amdhsa_user_sgpr_kernarg_segment_ptr 1
		.amdhsa_user_sgpr_dispatch_id 0
		.amdhsa_user_sgpr_kernarg_preload_length 0
		.amdhsa_user_sgpr_kernarg_preload_offset 0
		.amdhsa_user_sgpr_private_segment_size 0
		.amdhsa_uses_dynamic_stack 0
		.amdhsa_enable_private_segment 0
		.amdhsa_system_sgpr_workgroup_id_x 1
		.amdhsa_system_sgpr_workgroup_id_y 0
		.amdhsa_system_sgpr_workgroup_id_z 0
		.amdhsa_system_sgpr_workgroup_info 0
		.amdhsa_system_vgpr_workitem_id 0
		.amdhsa_next_free_vgpr 1
		.amdhsa_next_free_sgpr 0
		.amdhsa_accum_offset 4
		.amdhsa_reserve_vcc 0
		.amdhsa_float_round_mode_32 0
		.amdhsa_float_round_mode_16_64 0
		.amdhsa_float_denorm_mode_32 3
		.amdhsa_float_denorm_mode_16_64 3
		.amdhsa_dx10_clamp 1
		.amdhsa_ieee_mode 1
		.amdhsa_fp16_overflow 0
		.amdhsa_tg_split 0
		.amdhsa_exception_fp_ieee_invalid_op 0
		.amdhsa_exception_fp_denorm_src 0
		.amdhsa_exception_fp_ieee_div_zero 0
		.amdhsa_exception_fp_ieee_overflow 0
		.amdhsa_exception_fp_ieee_underflow 0
		.amdhsa_exception_fp_ieee_inexact 0
		.amdhsa_exception_int_div_zero 0
	.end_amdhsa_kernel
	.section	.text._ZN7rocprim17ROCPRIM_400000_NS6detail17trampoline_kernelINS0_14default_configENS1_27scan_by_key_config_selectorIxiEEZZNS1_16scan_by_key_implILNS1_25lookback_scan_determinismE0ELb1ES3_N6thrust23THRUST_200600_302600_NS6detail15normal_iteratorINS9_10device_ptrIxEEEESE_SE_iNS9_4plusIvEENS9_8equal_toIvEEiEE10hipError_tPvRmT2_T3_T4_T5_mT6_T7_P12ihipStream_tbENKUlT_T0_E_clISt17integral_constantIbLb1EESY_IbLb0EEEEDaSU_SV_EUlSU_E_NS1_11comp_targetILNS1_3genE4ELNS1_11target_archE910ELNS1_3gpuE8ELNS1_3repE0EEENS1_30default_config_static_selectorELNS0_4arch9wavefront6targetE1EEEvT1_,"axG",@progbits,_ZN7rocprim17ROCPRIM_400000_NS6detail17trampoline_kernelINS0_14default_configENS1_27scan_by_key_config_selectorIxiEEZZNS1_16scan_by_key_implILNS1_25lookback_scan_determinismE0ELb1ES3_N6thrust23THRUST_200600_302600_NS6detail15normal_iteratorINS9_10device_ptrIxEEEESE_SE_iNS9_4plusIvEENS9_8equal_toIvEEiEE10hipError_tPvRmT2_T3_T4_T5_mT6_T7_P12ihipStream_tbENKUlT_T0_E_clISt17integral_constantIbLb1EESY_IbLb0EEEEDaSU_SV_EUlSU_E_NS1_11comp_targetILNS1_3genE4ELNS1_11target_archE910ELNS1_3gpuE8ELNS1_3repE0EEENS1_30default_config_static_selectorELNS0_4arch9wavefront6targetE1EEEvT1_,comdat
.Lfunc_end1025:
	.size	_ZN7rocprim17ROCPRIM_400000_NS6detail17trampoline_kernelINS0_14default_configENS1_27scan_by_key_config_selectorIxiEEZZNS1_16scan_by_key_implILNS1_25lookback_scan_determinismE0ELb1ES3_N6thrust23THRUST_200600_302600_NS6detail15normal_iteratorINS9_10device_ptrIxEEEESE_SE_iNS9_4plusIvEENS9_8equal_toIvEEiEE10hipError_tPvRmT2_T3_T4_T5_mT6_T7_P12ihipStream_tbENKUlT_T0_E_clISt17integral_constantIbLb1EESY_IbLb0EEEEDaSU_SV_EUlSU_E_NS1_11comp_targetILNS1_3genE4ELNS1_11target_archE910ELNS1_3gpuE8ELNS1_3repE0EEENS1_30default_config_static_selectorELNS0_4arch9wavefront6targetE1EEEvT1_, .Lfunc_end1025-_ZN7rocprim17ROCPRIM_400000_NS6detail17trampoline_kernelINS0_14default_configENS1_27scan_by_key_config_selectorIxiEEZZNS1_16scan_by_key_implILNS1_25lookback_scan_determinismE0ELb1ES3_N6thrust23THRUST_200600_302600_NS6detail15normal_iteratorINS9_10device_ptrIxEEEESE_SE_iNS9_4plusIvEENS9_8equal_toIvEEiEE10hipError_tPvRmT2_T3_T4_T5_mT6_T7_P12ihipStream_tbENKUlT_T0_E_clISt17integral_constantIbLb1EESY_IbLb0EEEEDaSU_SV_EUlSU_E_NS1_11comp_targetILNS1_3genE4ELNS1_11target_archE910ELNS1_3gpuE8ELNS1_3repE0EEENS1_30default_config_static_selectorELNS0_4arch9wavefront6targetE1EEEvT1_
                                        ; -- End function
	.section	.AMDGPU.csdata,"",@progbits
; Kernel info:
; codeLenInByte = 0
; NumSgprs: 6
; NumVgprs: 0
; NumAgprs: 0
; TotalNumVgprs: 0
; ScratchSize: 0
; MemoryBound: 0
; FloatMode: 240
; IeeeMode: 1
; LDSByteSize: 0 bytes/workgroup (compile time only)
; SGPRBlocks: 0
; VGPRBlocks: 0
; NumSGPRsForWavesPerEU: 6
; NumVGPRsForWavesPerEU: 1
; AccumOffset: 4
; Occupancy: 8
; WaveLimiterHint : 0
; COMPUTE_PGM_RSRC2:SCRATCH_EN: 0
; COMPUTE_PGM_RSRC2:USER_SGPR: 2
; COMPUTE_PGM_RSRC2:TRAP_HANDLER: 0
; COMPUTE_PGM_RSRC2:TGID_X_EN: 1
; COMPUTE_PGM_RSRC2:TGID_Y_EN: 0
; COMPUTE_PGM_RSRC2:TGID_Z_EN: 0
; COMPUTE_PGM_RSRC2:TIDIG_COMP_CNT: 0
; COMPUTE_PGM_RSRC3_GFX90A:ACCUM_OFFSET: 0
; COMPUTE_PGM_RSRC3_GFX90A:TG_SPLIT: 0
	.section	.text._ZN7rocprim17ROCPRIM_400000_NS6detail17trampoline_kernelINS0_14default_configENS1_27scan_by_key_config_selectorIxiEEZZNS1_16scan_by_key_implILNS1_25lookback_scan_determinismE0ELb1ES3_N6thrust23THRUST_200600_302600_NS6detail15normal_iteratorINS9_10device_ptrIxEEEESE_SE_iNS9_4plusIvEENS9_8equal_toIvEEiEE10hipError_tPvRmT2_T3_T4_T5_mT6_T7_P12ihipStream_tbENKUlT_T0_E_clISt17integral_constantIbLb1EESY_IbLb0EEEEDaSU_SV_EUlSU_E_NS1_11comp_targetILNS1_3genE3ELNS1_11target_archE908ELNS1_3gpuE7ELNS1_3repE0EEENS1_30default_config_static_selectorELNS0_4arch9wavefront6targetE1EEEvT1_,"axG",@progbits,_ZN7rocprim17ROCPRIM_400000_NS6detail17trampoline_kernelINS0_14default_configENS1_27scan_by_key_config_selectorIxiEEZZNS1_16scan_by_key_implILNS1_25lookback_scan_determinismE0ELb1ES3_N6thrust23THRUST_200600_302600_NS6detail15normal_iteratorINS9_10device_ptrIxEEEESE_SE_iNS9_4plusIvEENS9_8equal_toIvEEiEE10hipError_tPvRmT2_T3_T4_T5_mT6_T7_P12ihipStream_tbENKUlT_T0_E_clISt17integral_constantIbLb1EESY_IbLb0EEEEDaSU_SV_EUlSU_E_NS1_11comp_targetILNS1_3genE3ELNS1_11target_archE908ELNS1_3gpuE7ELNS1_3repE0EEENS1_30default_config_static_selectorELNS0_4arch9wavefront6targetE1EEEvT1_,comdat
	.protected	_ZN7rocprim17ROCPRIM_400000_NS6detail17trampoline_kernelINS0_14default_configENS1_27scan_by_key_config_selectorIxiEEZZNS1_16scan_by_key_implILNS1_25lookback_scan_determinismE0ELb1ES3_N6thrust23THRUST_200600_302600_NS6detail15normal_iteratorINS9_10device_ptrIxEEEESE_SE_iNS9_4plusIvEENS9_8equal_toIvEEiEE10hipError_tPvRmT2_T3_T4_T5_mT6_T7_P12ihipStream_tbENKUlT_T0_E_clISt17integral_constantIbLb1EESY_IbLb0EEEEDaSU_SV_EUlSU_E_NS1_11comp_targetILNS1_3genE3ELNS1_11target_archE908ELNS1_3gpuE7ELNS1_3repE0EEENS1_30default_config_static_selectorELNS0_4arch9wavefront6targetE1EEEvT1_ ; -- Begin function _ZN7rocprim17ROCPRIM_400000_NS6detail17trampoline_kernelINS0_14default_configENS1_27scan_by_key_config_selectorIxiEEZZNS1_16scan_by_key_implILNS1_25lookback_scan_determinismE0ELb1ES3_N6thrust23THRUST_200600_302600_NS6detail15normal_iteratorINS9_10device_ptrIxEEEESE_SE_iNS9_4plusIvEENS9_8equal_toIvEEiEE10hipError_tPvRmT2_T3_T4_T5_mT6_T7_P12ihipStream_tbENKUlT_T0_E_clISt17integral_constantIbLb1EESY_IbLb0EEEEDaSU_SV_EUlSU_E_NS1_11comp_targetILNS1_3genE3ELNS1_11target_archE908ELNS1_3gpuE7ELNS1_3repE0EEENS1_30default_config_static_selectorELNS0_4arch9wavefront6targetE1EEEvT1_
	.globl	_ZN7rocprim17ROCPRIM_400000_NS6detail17trampoline_kernelINS0_14default_configENS1_27scan_by_key_config_selectorIxiEEZZNS1_16scan_by_key_implILNS1_25lookback_scan_determinismE0ELb1ES3_N6thrust23THRUST_200600_302600_NS6detail15normal_iteratorINS9_10device_ptrIxEEEESE_SE_iNS9_4plusIvEENS9_8equal_toIvEEiEE10hipError_tPvRmT2_T3_T4_T5_mT6_T7_P12ihipStream_tbENKUlT_T0_E_clISt17integral_constantIbLb1EESY_IbLb0EEEEDaSU_SV_EUlSU_E_NS1_11comp_targetILNS1_3genE3ELNS1_11target_archE908ELNS1_3gpuE7ELNS1_3repE0EEENS1_30default_config_static_selectorELNS0_4arch9wavefront6targetE1EEEvT1_
	.p2align	8
	.type	_ZN7rocprim17ROCPRIM_400000_NS6detail17trampoline_kernelINS0_14default_configENS1_27scan_by_key_config_selectorIxiEEZZNS1_16scan_by_key_implILNS1_25lookback_scan_determinismE0ELb1ES3_N6thrust23THRUST_200600_302600_NS6detail15normal_iteratorINS9_10device_ptrIxEEEESE_SE_iNS9_4plusIvEENS9_8equal_toIvEEiEE10hipError_tPvRmT2_T3_T4_T5_mT6_T7_P12ihipStream_tbENKUlT_T0_E_clISt17integral_constantIbLb1EESY_IbLb0EEEEDaSU_SV_EUlSU_E_NS1_11comp_targetILNS1_3genE3ELNS1_11target_archE908ELNS1_3gpuE7ELNS1_3repE0EEENS1_30default_config_static_selectorELNS0_4arch9wavefront6targetE1EEEvT1_,@function
_ZN7rocprim17ROCPRIM_400000_NS6detail17trampoline_kernelINS0_14default_configENS1_27scan_by_key_config_selectorIxiEEZZNS1_16scan_by_key_implILNS1_25lookback_scan_determinismE0ELb1ES3_N6thrust23THRUST_200600_302600_NS6detail15normal_iteratorINS9_10device_ptrIxEEEESE_SE_iNS9_4plusIvEENS9_8equal_toIvEEiEE10hipError_tPvRmT2_T3_T4_T5_mT6_T7_P12ihipStream_tbENKUlT_T0_E_clISt17integral_constantIbLb1EESY_IbLb0EEEEDaSU_SV_EUlSU_E_NS1_11comp_targetILNS1_3genE3ELNS1_11target_archE908ELNS1_3gpuE7ELNS1_3repE0EEENS1_30default_config_static_selectorELNS0_4arch9wavefront6targetE1EEEvT1_: ; @_ZN7rocprim17ROCPRIM_400000_NS6detail17trampoline_kernelINS0_14default_configENS1_27scan_by_key_config_selectorIxiEEZZNS1_16scan_by_key_implILNS1_25lookback_scan_determinismE0ELb1ES3_N6thrust23THRUST_200600_302600_NS6detail15normal_iteratorINS9_10device_ptrIxEEEESE_SE_iNS9_4plusIvEENS9_8equal_toIvEEiEE10hipError_tPvRmT2_T3_T4_T5_mT6_T7_P12ihipStream_tbENKUlT_T0_E_clISt17integral_constantIbLb1EESY_IbLb0EEEEDaSU_SV_EUlSU_E_NS1_11comp_targetILNS1_3genE3ELNS1_11target_archE908ELNS1_3gpuE7ELNS1_3repE0EEENS1_30default_config_static_selectorELNS0_4arch9wavefront6targetE1EEEvT1_
; %bb.0:
	.section	.rodata,"a",@progbits
	.p2align	6, 0x0
	.amdhsa_kernel _ZN7rocprim17ROCPRIM_400000_NS6detail17trampoline_kernelINS0_14default_configENS1_27scan_by_key_config_selectorIxiEEZZNS1_16scan_by_key_implILNS1_25lookback_scan_determinismE0ELb1ES3_N6thrust23THRUST_200600_302600_NS6detail15normal_iteratorINS9_10device_ptrIxEEEESE_SE_iNS9_4plusIvEENS9_8equal_toIvEEiEE10hipError_tPvRmT2_T3_T4_T5_mT6_T7_P12ihipStream_tbENKUlT_T0_E_clISt17integral_constantIbLb1EESY_IbLb0EEEEDaSU_SV_EUlSU_E_NS1_11comp_targetILNS1_3genE3ELNS1_11target_archE908ELNS1_3gpuE7ELNS1_3repE0EEENS1_30default_config_static_selectorELNS0_4arch9wavefront6targetE1EEEvT1_
		.amdhsa_group_segment_fixed_size 0
		.amdhsa_private_segment_fixed_size 0
		.amdhsa_kernarg_size 112
		.amdhsa_user_sgpr_count 2
		.amdhsa_user_sgpr_dispatch_ptr 0
		.amdhsa_user_sgpr_queue_ptr 0
		.amdhsa_user_sgpr_kernarg_segment_ptr 1
		.amdhsa_user_sgpr_dispatch_id 0
		.amdhsa_user_sgpr_kernarg_preload_length 0
		.amdhsa_user_sgpr_kernarg_preload_offset 0
		.amdhsa_user_sgpr_private_segment_size 0
		.amdhsa_uses_dynamic_stack 0
		.amdhsa_enable_private_segment 0
		.amdhsa_system_sgpr_workgroup_id_x 1
		.amdhsa_system_sgpr_workgroup_id_y 0
		.amdhsa_system_sgpr_workgroup_id_z 0
		.amdhsa_system_sgpr_workgroup_info 0
		.amdhsa_system_vgpr_workitem_id 0
		.amdhsa_next_free_vgpr 1
		.amdhsa_next_free_sgpr 0
		.amdhsa_accum_offset 4
		.amdhsa_reserve_vcc 0
		.amdhsa_float_round_mode_32 0
		.amdhsa_float_round_mode_16_64 0
		.amdhsa_float_denorm_mode_32 3
		.amdhsa_float_denorm_mode_16_64 3
		.amdhsa_dx10_clamp 1
		.amdhsa_ieee_mode 1
		.amdhsa_fp16_overflow 0
		.amdhsa_tg_split 0
		.amdhsa_exception_fp_ieee_invalid_op 0
		.amdhsa_exception_fp_denorm_src 0
		.amdhsa_exception_fp_ieee_div_zero 0
		.amdhsa_exception_fp_ieee_overflow 0
		.amdhsa_exception_fp_ieee_underflow 0
		.amdhsa_exception_fp_ieee_inexact 0
		.amdhsa_exception_int_div_zero 0
	.end_amdhsa_kernel
	.section	.text._ZN7rocprim17ROCPRIM_400000_NS6detail17trampoline_kernelINS0_14default_configENS1_27scan_by_key_config_selectorIxiEEZZNS1_16scan_by_key_implILNS1_25lookback_scan_determinismE0ELb1ES3_N6thrust23THRUST_200600_302600_NS6detail15normal_iteratorINS9_10device_ptrIxEEEESE_SE_iNS9_4plusIvEENS9_8equal_toIvEEiEE10hipError_tPvRmT2_T3_T4_T5_mT6_T7_P12ihipStream_tbENKUlT_T0_E_clISt17integral_constantIbLb1EESY_IbLb0EEEEDaSU_SV_EUlSU_E_NS1_11comp_targetILNS1_3genE3ELNS1_11target_archE908ELNS1_3gpuE7ELNS1_3repE0EEENS1_30default_config_static_selectorELNS0_4arch9wavefront6targetE1EEEvT1_,"axG",@progbits,_ZN7rocprim17ROCPRIM_400000_NS6detail17trampoline_kernelINS0_14default_configENS1_27scan_by_key_config_selectorIxiEEZZNS1_16scan_by_key_implILNS1_25lookback_scan_determinismE0ELb1ES3_N6thrust23THRUST_200600_302600_NS6detail15normal_iteratorINS9_10device_ptrIxEEEESE_SE_iNS9_4plusIvEENS9_8equal_toIvEEiEE10hipError_tPvRmT2_T3_T4_T5_mT6_T7_P12ihipStream_tbENKUlT_T0_E_clISt17integral_constantIbLb1EESY_IbLb0EEEEDaSU_SV_EUlSU_E_NS1_11comp_targetILNS1_3genE3ELNS1_11target_archE908ELNS1_3gpuE7ELNS1_3repE0EEENS1_30default_config_static_selectorELNS0_4arch9wavefront6targetE1EEEvT1_,comdat
.Lfunc_end1026:
	.size	_ZN7rocprim17ROCPRIM_400000_NS6detail17trampoline_kernelINS0_14default_configENS1_27scan_by_key_config_selectorIxiEEZZNS1_16scan_by_key_implILNS1_25lookback_scan_determinismE0ELb1ES3_N6thrust23THRUST_200600_302600_NS6detail15normal_iteratorINS9_10device_ptrIxEEEESE_SE_iNS9_4plusIvEENS9_8equal_toIvEEiEE10hipError_tPvRmT2_T3_T4_T5_mT6_T7_P12ihipStream_tbENKUlT_T0_E_clISt17integral_constantIbLb1EESY_IbLb0EEEEDaSU_SV_EUlSU_E_NS1_11comp_targetILNS1_3genE3ELNS1_11target_archE908ELNS1_3gpuE7ELNS1_3repE0EEENS1_30default_config_static_selectorELNS0_4arch9wavefront6targetE1EEEvT1_, .Lfunc_end1026-_ZN7rocprim17ROCPRIM_400000_NS6detail17trampoline_kernelINS0_14default_configENS1_27scan_by_key_config_selectorIxiEEZZNS1_16scan_by_key_implILNS1_25lookback_scan_determinismE0ELb1ES3_N6thrust23THRUST_200600_302600_NS6detail15normal_iteratorINS9_10device_ptrIxEEEESE_SE_iNS9_4plusIvEENS9_8equal_toIvEEiEE10hipError_tPvRmT2_T3_T4_T5_mT6_T7_P12ihipStream_tbENKUlT_T0_E_clISt17integral_constantIbLb1EESY_IbLb0EEEEDaSU_SV_EUlSU_E_NS1_11comp_targetILNS1_3genE3ELNS1_11target_archE908ELNS1_3gpuE7ELNS1_3repE0EEENS1_30default_config_static_selectorELNS0_4arch9wavefront6targetE1EEEvT1_
                                        ; -- End function
	.section	.AMDGPU.csdata,"",@progbits
; Kernel info:
; codeLenInByte = 0
; NumSgprs: 6
; NumVgprs: 0
; NumAgprs: 0
; TotalNumVgprs: 0
; ScratchSize: 0
; MemoryBound: 0
; FloatMode: 240
; IeeeMode: 1
; LDSByteSize: 0 bytes/workgroup (compile time only)
; SGPRBlocks: 0
; VGPRBlocks: 0
; NumSGPRsForWavesPerEU: 6
; NumVGPRsForWavesPerEU: 1
; AccumOffset: 4
; Occupancy: 8
; WaveLimiterHint : 0
; COMPUTE_PGM_RSRC2:SCRATCH_EN: 0
; COMPUTE_PGM_RSRC2:USER_SGPR: 2
; COMPUTE_PGM_RSRC2:TRAP_HANDLER: 0
; COMPUTE_PGM_RSRC2:TGID_X_EN: 1
; COMPUTE_PGM_RSRC2:TGID_Y_EN: 0
; COMPUTE_PGM_RSRC2:TGID_Z_EN: 0
; COMPUTE_PGM_RSRC2:TIDIG_COMP_CNT: 0
; COMPUTE_PGM_RSRC3_GFX90A:ACCUM_OFFSET: 0
; COMPUTE_PGM_RSRC3_GFX90A:TG_SPLIT: 0
	.section	.text._ZN7rocprim17ROCPRIM_400000_NS6detail17trampoline_kernelINS0_14default_configENS1_27scan_by_key_config_selectorIxiEEZZNS1_16scan_by_key_implILNS1_25lookback_scan_determinismE0ELb1ES3_N6thrust23THRUST_200600_302600_NS6detail15normal_iteratorINS9_10device_ptrIxEEEESE_SE_iNS9_4plusIvEENS9_8equal_toIvEEiEE10hipError_tPvRmT2_T3_T4_T5_mT6_T7_P12ihipStream_tbENKUlT_T0_E_clISt17integral_constantIbLb1EESY_IbLb0EEEEDaSU_SV_EUlSU_E_NS1_11comp_targetILNS1_3genE2ELNS1_11target_archE906ELNS1_3gpuE6ELNS1_3repE0EEENS1_30default_config_static_selectorELNS0_4arch9wavefront6targetE1EEEvT1_,"axG",@progbits,_ZN7rocprim17ROCPRIM_400000_NS6detail17trampoline_kernelINS0_14default_configENS1_27scan_by_key_config_selectorIxiEEZZNS1_16scan_by_key_implILNS1_25lookback_scan_determinismE0ELb1ES3_N6thrust23THRUST_200600_302600_NS6detail15normal_iteratorINS9_10device_ptrIxEEEESE_SE_iNS9_4plusIvEENS9_8equal_toIvEEiEE10hipError_tPvRmT2_T3_T4_T5_mT6_T7_P12ihipStream_tbENKUlT_T0_E_clISt17integral_constantIbLb1EESY_IbLb0EEEEDaSU_SV_EUlSU_E_NS1_11comp_targetILNS1_3genE2ELNS1_11target_archE906ELNS1_3gpuE6ELNS1_3repE0EEENS1_30default_config_static_selectorELNS0_4arch9wavefront6targetE1EEEvT1_,comdat
	.protected	_ZN7rocprim17ROCPRIM_400000_NS6detail17trampoline_kernelINS0_14default_configENS1_27scan_by_key_config_selectorIxiEEZZNS1_16scan_by_key_implILNS1_25lookback_scan_determinismE0ELb1ES3_N6thrust23THRUST_200600_302600_NS6detail15normal_iteratorINS9_10device_ptrIxEEEESE_SE_iNS9_4plusIvEENS9_8equal_toIvEEiEE10hipError_tPvRmT2_T3_T4_T5_mT6_T7_P12ihipStream_tbENKUlT_T0_E_clISt17integral_constantIbLb1EESY_IbLb0EEEEDaSU_SV_EUlSU_E_NS1_11comp_targetILNS1_3genE2ELNS1_11target_archE906ELNS1_3gpuE6ELNS1_3repE0EEENS1_30default_config_static_selectorELNS0_4arch9wavefront6targetE1EEEvT1_ ; -- Begin function _ZN7rocprim17ROCPRIM_400000_NS6detail17trampoline_kernelINS0_14default_configENS1_27scan_by_key_config_selectorIxiEEZZNS1_16scan_by_key_implILNS1_25lookback_scan_determinismE0ELb1ES3_N6thrust23THRUST_200600_302600_NS6detail15normal_iteratorINS9_10device_ptrIxEEEESE_SE_iNS9_4plusIvEENS9_8equal_toIvEEiEE10hipError_tPvRmT2_T3_T4_T5_mT6_T7_P12ihipStream_tbENKUlT_T0_E_clISt17integral_constantIbLb1EESY_IbLb0EEEEDaSU_SV_EUlSU_E_NS1_11comp_targetILNS1_3genE2ELNS1_11target_archE906ELNS1_3gpuE6ELNS1_3repE0EEENS1_30default_config_static_selectorELNS0_4arch9wavefront6targetE1EEEvT1_
	.globl	_ZN7rocprim17ROCPRIM_400000_NS6detail17trampoline_kernelINS0_14default_configENS1_27scan_by_key_config_selectorIxiEEZZNS1_16scan_by_key_implILNS1_25lookback_scan_determinismE0ELb1ES3_N6thrust23THRUST_200600_302600_NS6detail15normal_iteratorINS9_10device_ptrIxEEEESE_SE_iNS9_4plusIvEENS9_8equal_toIvEEiEE10hipError_tPvRmT2_T3_T4_T5_mT6_T7_P12ihipStream_tbENKUlT_T0_E_clISt17integral_constantIbLb1EESY_IbLb0EEEEDaSU_SV_EUlSU_E_NS1_11comp_targetILNS1_3genE2ELNS1_11target_archE906ELNS1_3gpuE6ELNS1_3repE0EEENS1_30default_config_static_selectorELNS0_4arch9wavefront6targetE1EEEvT1_
	.p2align	8
	.type	_ZN7rocprim17ROCPRIM_400000_NS6detail17trampoline_kernelINS0_14default_configENS1_27scan_by_key_config_selectorIxiEEZZNS1_16scan_by_key_implILNS1_25lookback_scan_determinismE0ELb1ES3_N6thrust23THRUST_200600_302600_NS6detail15normal_iteratorINS9_10device_ptrIxEEEESE_SE_iNS9_4plusIvEENS9_8equal_toIvEEiEE10hipError_tPvRmT2_T3_T4_T5_mT6_T7_P12ihipStream_tbENKUlT_T0_E_clISt17integral_constantIbLb1EESY_IbLb0EEEEDaSU_SV_EUlSU_E_NS1_11comp_targetILNS1_3genE2ELNS1_11target_archE906ELNS1_3gpuE6ELNS1_3repE0EEENS1_30default_config_static_selectorELNS0_4arch9wavefront6targetE1EEEvT1_,@function
_ZN7rocprim17ROCPRIM_400000_NS6detail17trampoline_kernelINS0_14default_configENS1_27scan_by_key_config_selectorIxiEEZZNS1_16scan_by_key_implILNS1_25lookback_scan_determinismE0ELb1ES3_N6thrust23THRUST_200600_302600_NS6detail15normal_iteratorINS9_10device_ptrIxEEEESE_SE_iNS9_4plusIvEENS9_8equal_toIvEEiEE10hipError_tPvRmT2_T3_T4_T5_mT6_T7_P12ihipStream_tbENKUlT_T0_E_clISt17integral_constantIbLb1EESY_IbLb0EEEEDaSU_SV_EUlSU_E_NS1_11comp_targetILNS1_3genE2ELNS1_11target_archE906ELNS1_3gpuE6ELNS1_3repE0EEENS1_30default_config_static_selectorELNS0_4arch9wavefront6targetE1EEEvT1_: ; @_ZN7rocprim17ROCPRIM_400000_NS6detail17trampoline_kernelINS0_14default_configENS1_27scan_by_key_config_selectorIxiEEZZNS1_16scan_by_key_implILNS1_25lookback_scan_determinismE0ELb1ES3_N6thrust23THRUST_200600_302600_NS6detail15normal_iteratorINS9_10device_ptrIxEEEESE_SE_iNS9_4plusIvEENS9_8equal_toIvEEiEE10hipError_tPvRmT2_T3_T4_T5_mT6_T7_P12ihipStream_tbENKUlT_T0_E_clISt17integral_constantIbLb1EESY_IbLb0EEEEDaSU_SV_EUlSU_E_NS1_11comp_targetILNS1_3genE2ELNS1_11target_archE906ELNS1_3gpuE6ELNS1_3repE0EEENS1_30default_config_static_selectorELNS0_4arch9wavefront6targetE1EEEvT1_
; %bb.0:
	.section	.rodata,"a",@progbits
	.p2align	6, 0x0
	.amdhsa_kernel _ZN7rocprim17ROCPRIM_400000_NS6detail17trampoline_kernelINS0_14default_configENS1_27scan_by_key_config_selectorIxiEEZZNS1_16scan_by_key_implILNS1_25lookback_scan_determinismE0ELb1ES3_N6thrust23THRUST_200600_302600_NS6detail15normal_iteratorINS9_10device_ptrIxEEEESE_SE_iNS9_4plusIvEENS9_8equal_toIvEEiEE10hipError_tPvRmT2_T3_T4_T5_mT6_T7_P12ihipStream_tbENKUlT_T0_E_clISt17integral_constantIbLb1EESY_IbLb0EEEEDaSU_SV_EUlSU_E_NS1_11comp_targetILNS1_3genE2ELNS1_11target_archE906ELNS1_3gpuE6ELNS1_3repE0EEENS1_30default_config_static_selectorELNS0_4arch9wavefront6targetE1EEEvT1_
		.amdhsa_group_segment_fixed_size 0
		.amdhsa_private_segment_fixed_size 0
		.amdhsa_kernarg_size 112
		.amdhsa_user_sgpr_count 2
		.amdhsa_user_sgpr_dispatch_ptr 0
		.amdhsa_user_sgpr_queue_ptr 0
		.amdhsa_user_sgpr_kernarg_segment_ptr 1
		.amdhsa_user_sgpr_dispatch_id 0
		.amdhsa_user_sgpr_kernarg_preload_length 0
		.amdhsa_user_sgpr_kernarg_preload_offset 0
		.amdhsa_user_sgpr_private_segment_size 0
		.amdhsa_uses_dynamic_stack 0
		.amdhsa_enable_private_segment 0
		.amdhsa_system_sgpr_workgroup_id_x 1
		.amdhsa_system_sgpr_workgroup_id_y 0
		.amdhsa_system_sgpr_workgroup_id_z 0
		.amdhsa_system_sgpr_workgroup_info 0
		.amdhsa_system_vgpr_workitem_id 0
		.amdhsa_next_free_vgpr 1
		.amdhsa_next_free_sgpr 0
		.amdhsa_accum_offset 4
		.amdhsa_reserve_vcc 0
		.amdhsa_float_round_mode_32 0
		.amdhsa_float_round_mode_16_64 0
		.amdhsa_float_denorm_mode_32 3
		.amdhsa_float_denorm_mode_16_64 3
		.amdhsa_dx10_clamp 1
		.amdhsa_ieee_mode 1
		.amdhsa_fp16_overflow 0
		.amdhsa_tg_split 0
		.amdhsa_exception_fp_ieee_invalid_op 0
		.amdhsa_exception_fp_denorm_src 0
		.amdhsa_exception_fp_ieee_div_zero 0
		.amdhsa_exception_fp_ieee_overflow 0
		.amdhsa_exception_fp_ieee_underflow 0
		.amdhsa_exception_fp_ieee_inexact 0
		.amdhsa_exception_int_div_zero 0
	.end_amdhsa_kernel
	.section	.text._ZN7rocprim17ROCPRIM_400000_NS6detail17trampoline_kernelINS0_14default_configENS1_27scan_by_key_config_selectorIxiEEZZNS1_16scan_by_key_implILNS1_25lookback_scan_determinismE0ELb1ES3_N6thrust23THRUST_200600_302600_NS6detail15normal_iteratorINS9_10device_ptrIxEEEESE_SE_iNS9_4plusIvEENS9_8equal_toIvEEiEE10hipError_tPvRmT2_T3_T4_T5_mT6_T7_P12ihipStream_tbENKUlT_T0_E_clISt17integral_constantIbLb1EESY_IbLb0EEEEDaSU_SV_EUlSU_E_NS1_11comp_targetILNS1_3genE2ELNS1_11target_archE906ELNS1_3gpuE6ELNS1_3repE0EEENS1_30default_config_static_selectorELNS0_4arch9wavefront6targetE1EEEvT1_,"axG",@progbits,_ZN7rocprim17ROCPRIM_400000_NS6detail17trampoline_kernelINS0_14default_configENS1_27scan_by_key_config_selectorIxiEEZZNS1_16scan_by_key_implILNS1_25lookback_scan_determinismE0ELb1ES3_N6thrust23THRUST_200600_302600_NS6detail15normal_iteratorINS9_10device_ptrIxEEEESE_SE_iNS9_4plusIvEENS9_8equal_toIvEEiEE10hipError_tPvRmT2_T3_T4_T5_mT6_T7_P12ihipStream_tbENKUlT_T0_E_clISt17integral_constantIbLb1EESY_IbLb0EEEEDaSU_SV_EUlSU_E_NS1_11comp_targetILNS1_3genE2ELNS1_11target_archE906ELNS1_3gpuE6ELNS1_3repE0EEENS1_30default_config_static_selectorELNS0_4arch9wavefront6targetE1EEEvT1_,comdat
.Lfunc_end1027:
	.size	_ZN7rocprim17ROCPRIM_400000_NS6detail17trampoline_kernelINS0_14default_configENS1_27scan_by_key_config_selectorIxiEEZZNS1_16scan_by_key_implILNS1_25lookback_scan_determinismE0ELb1ES3_N6thrust23THRUST_200600_302600_NS6detail15normal_iteratorINS9_10device_ptrIxEEEESE_SE_iNS9_4plusIvEENS9_8equal_toIvEEiEE10hipError_tPvRmT2_T3_T4_T5_mT6_T7_P12ihipStream_tbENKUlT_T0_E_clISt17integral_constantIbLb1EESY_IbLb0EEEEDaSU_SV_EUlSU_E_NS1_11comp_targetILNS1_3genE2ELNS1_11target_archE906ELNS1_3gpuE6ELNS1_3repE0EEENS1_30default_config_static_selectorELNS0_4arch9wavefront6targetE1EEEvT1_, .Lfunc_end1027-_ZN7rocprim17ROCPRIM_400000_NS6detail17trampoline_kernelINS0_14default_configENS1_27scan_by_key_config_selectorIxiEEZZNS1_16scan_by_key_implILNS1_25lookback_scan_determinismE0ELb1ES3_N6thrust23THRUST_200600_302600_NS6detail15normal_iteratorINS9_10device_ptrIxEEEESE_SE_iNS9_4plusIvEENS9_8equal_toIvEEiEE10hipError_tPvRmT2_T3_T4_T5_mT6_T7_P12ihipStream_tbENKUlT_T0_E_clISt17integral_constantIbLb1EESY_IbLb0EEEEDaSU_SV_EUlSU_E_NS1_11comp_targetILNS1_3genE2ELNS1_11target_archE906ELNS1_3gpuE6ELNS1_3repE0EEENS1_30default_config_static_selectorELNS0_4arch9wavefront6targetE1EEEvT1_
                                        ; -- End function
	.section	.AMDGPU.csdata,"",@progbits
; Kernel info:
; codeLenInByte = 0
; NumSgprs: 6
; NumVgprs: 0
; NumAgprs: 0
; TotalNumVgprs: 0
; ScratchSize: 0
; MemoryBound: 0
; FloatMode: 240
; IeeeMode: 1
; LDSByteSize: 0 bytes/workgroup (compile time only)
; SGPRBlocks: 0
; VGPRBlocks: 0
; NumSGPRsForWavesPerEU: 6
; NumVGPRsForWavesPerEU: 1
; AccumOffset: 4
; Occupancy: 8
; WaveLimiterHint : 0
; COMPUTE_PGM_RSRC2:SCRATCH_EN: 0
; COMPUTE_PGM_RSRC2:USER_SGPR: 2
; COMPUTE_PGM_RSRC2:TRAP_HANDLER: 0
; COMPUTE_PGM_RSRC2:TGID_X_EN: 1
; COMPUTE_PGM_RSRC2:TGID_Y_EN: 0
; COMPUTE_PGM_RSRC2:TGID_Z_EN: 0
; COMPUTE_PGM_RSRC2:TIDIG_COMP_CNT: 0
; COMPUTE_PGM_RSRC3_GFX90A:ACCUM_OFFSET: 0
; COMPUTE_PGM_RSRC3_GFX90A:TG_SPLIT: 0
	.section	.text._ZN7rocprim17ROCPRIM_400000_NS6detail17trampoline_kernelINS0_14default_configENS1_27scan_by_key_config_selectorIxiEEZZNS1_16scan_by_key_implILNS1_25lookback_scan_determinismE0ELb1ES3_N6thrust23THRUST_200600_302600_NS6detail15normal_iteratorINS9_10device_ptrIxEEEESE_SE_iNS9_4plusIvEENS9_8equal_toIvEEiEE10hipError_tPvRmT2_T3_T4_T5_mT6_T7_P12ihipStream_tbENKUlT_T0_E_clISt17integral_constantIbLb1EESY_IbLb0EEEEDaSU_SV_EUlSU_E_NS1_11comp_targetILNS1_3genE10ELNS1_11target_archE1200ELNS1_3gpuE4ELNS1_3repE0EEENS1_30default_config_static_selectorELNS0_4arch9wavefront6targetE1EEEvT1_,"axG",@progbits,_ZN7rocprim17ROCPRIM_400000_NS6detail17trampoline_kernelINS0_14default_configENS1_27scan_by_key_config_selectorIxiEEZZNS1_16scan_by_key_implILNS1_25lookback_scan_determinismE0ELb1ES3_N6thrust23THRUST_200600_302600_NS6detail15normal_iteratorINS9_10device_ptrIxEEEESE_SE_iNS9_4plusIvEENS9_8equal_toIvEEiEE10hipError_tPvRmT2_T3_T4_T5_mT6_T7_P12ihipStream_tbENKUlT_T0_E_clISt17integral_constantIbLb1EESY_IbLb0EEEEDaSU_SV_EUlSU_E_NS1_11comp_targetILNS1_3genE10ELNS1_11target_archE1200ELNS1_3gpuE4ELNS1_3repE0EEENS1_30default_config_static_selectorELNS0_4arch9wavefront6targetE1EEEvT1_,comdat
	.protected	_ZN7rocprim17ROCPRIM_400000_NS6detail17trampoline_kernelINS0_14default_configENS1_27scan_by_key_config_selectorIxiEEZZNS1_16scan_by_key_implILNS1_25lookback_scan_determinismE0ELb1ES3_N6thrust23THRUST_200600_302600_NS6detail15normal_iteratorINS9_10device_ptrIxEEEESE_SE_iNS9_4plusIvEENS9_8equal_toIvEEiEE10hipError_tPvRmT2_T3_T4_T5_mT6_T7_P12ihipStream_tbENKUlT_T0_E_clISt17integral_constantIbLb1EESY_IbLb0EEEEDaSU_SV_EUlSU_E_NS1_11comp_targetILNS1_3genE10ELNS1_11target_archE1200ELNS1_3gpuE4ELNS1_3repE0EEENS1_30default_config_static_selectorELNS0_4arch9wavefront6targetE1EEEvT1_ ; -- Begin function _ZN7rocprim17ROCPRIM_400000_NS6detail17trampoline_kernelINS0_14default_configENS1_27scan_by_key_config_selectorIxiEEZZNS1_16scan_by_key_implILNS1_25lookback_scan_determinismE0ELb1ES3_N6thrust23THRUST_200600_302600_NS6detail15normal_iteratorINS9_10device_ptrIxEEEESE_SE_iNS9_4plusIvEENS9_8equal_toIvEEiEE10hipError_tPvRmT2_T3_T4_T5_mT6_T7_P12ihipStream_tbENKUlT_T0_E_clISt17integral_constantIbLb1EESY_IbLb0EEEEDaSU_SV_EUlSU_E_NS1_11comp_targetILNS1_3genE10ELNS1_11target_archE1200ELNS1_3gpuE4ELNS1_3repE0EEENS1_30default_config_static_selectorELNS0_4arch9wavefront6targetE1EEEvT1_
	.globl	_ZN7rocprim17ROCPRIM_400000_NS6detail17trampoline_kernelINS0_14default_configENS1_27scan_by_key_config_selectorIxiEEZZNS1_16scan_by_key_implILNS1_25lookback_scan_determinismE0ELb1ES3_N6thrust23THRUST_200600_302600_NS6detail15normal_iteratorINS9_10device_ptrIxEEEESE_SE_iNS9_4plusIvEENS9_8equal_toIvEEiEE10hipError_tPvRmT2_T3_T4_T5_mT6_T7_P12ihipStream_tbENKUlT_T0_E_clISt17integral_constantIbLb1EESY_IbLb0EEEEDaSU_SV_EUlSU_E_NS1_11comp_targetILNS1_3genE10ELNS1_11target_archE1200ELNS1_3gpuE4ELNS1_3repE0EEENS1_30default_config_static_selectorELNS0_4arch9wavefront6targetE1EEEvT1_
	.p2align	8
	.type	_ZN7rocprim17ROCPRIM_400000_NS6detail17trampoline_kernelINS0_14default_configENS1_27scan_by_key_config_selectorIxiEEZZNS1_16scan_by_key_implILNS1_25lookback_scan_determinismE0ELb1ES3_N6thrust23THRUST_200600_302600_NS6detail15normal_iteratorINS9_10device_ptrIxEEEESE_SE_iNS9_4plusIvEENS9_8equal_toIvEEiEE10hipError_tPvRmT2_T3_T4_T5_mT6_T7_P12ihipStream_tbENKUlT_T0_E_clISt17integral_constantIbLb1EESY_IbLb0EEEEDaSU_SV_EUlSU_E_NS1_11comp_targetILNS1_3genE10ELNS1_11target_archE1200ELNS1_3gpuE4ELNS1_3repE0EEENS1_30default_config_static_selectorELNS0_4arch9wavefront6targetE1EEEvT1_,@function
_ZN7rocprim17ROCPRIM_400000_NS6detail17trampoline_kernelINS0_14default_configENS1_27scan_by_key_config_selectorIxiEEZZNS1_16scan_by_key_implILNS1_25lookback_scan_determinismE0ELb1ES3_N6thrust23THRUST_200600_302600_NS6detail15normal_iteratorINS9_10device_ptrIxEEEESE_SE_iNS9_4plusIvEENS9_8equal_toIvEEiEE10hipError_tPvRmT2_T3_T4_T5_mT6_T7_P12ihipStream_tbENKUlT_T0_E_clISt17integral_constantIbLb1EESY_IbLb0EEEEDaSU_SV_EUlSU_E_NS1_11comp_targetILNS1_3genE10ELNS1_11target_archE1200ELNS1_3gpuE4ELNS1_3repE0EEENS1_30default_config_static_selectorELNS0_4arch9wavefront6targetE1EEEvT1_: ; @_ZN7rocprim17ROCPRIM_400000_NS6detail17trampoline_kernelINS0_14default_configENS1_27scan_by_key_config_selectorIxiEEZZNS1_16scan_by_key_implILNS1_25lookback_scan_determinismE0ELb1ES3_N6thrust23THRUST_200600_302600_NS6detail15normal_iteratorINS9_10device_ptrIxEEEESE_SE_iNS9_4plusIvEENS9_8equal_toIvEEiEE10hipError_tPvRmT2_T3_T4_T5_mT6_T7_P12ihipStream_tbENKUlT_T0_E_clISt17integral_constantIbLb1EESY_IbLb0EEEEDaSU_SV_EUlSU_E_NS1_11comp_targetILNS1_3genE10ELNS1_11target_archE1200ELNS1_3gpuE4ELNS1_3repE0EEENS1_30default_config_static_selectorELNS0_4arch9wavefront6targetE1EEEvT1_
; %bb.0:
	.section	.rodata,"a",@progbits
	.p2align	6, 0x0
	.amdhsa_kernel _ZN7rocprim17ROCPRIM_400000_NS6detail17trampoline_kernelINS0_14default_configENS1_27scan_by_key_config_selectorIxiEEZZNS1_16scan_by_key_implILNS1_25lookback_scan_determinismE0ELb1ES3_N6thrust23THRUST_200600_302600_NS6detail15normal_iteratorINS9_10device_ptrIxEEEESE_SE_iNS9_4plusIvEENS9_8equal_toIvEEiEE10hipError_tPvRmT2_T3_T4_T5_mT6_T7_P12ihipStream_tbENKUlT_T0_E_clISt17integral_constantIbLb1EESY_IbLb0EEEEDaSU_SV_EUlSU_E_NS1_11comp_targetILNS1_3genE10ELNS1_11target_archE1200ELNS1_3gpuE4ELNS1_3repE0EEENS1_30default_config_static_selectorELNS0_4arch9wavefront6targetE1EEEvT1_
		.amdhsa_group_segment_fixed_size 0
		.amdhsa_private_segment_fixed_size 0
		.amdhsa_kernarg_size 112
		.amdhsa_user_sgpr_count 2
		.amdhsa_user_sgpr_dispatch_ptr 0
		.amdhsa_user_sgpr_queue_ptr 0
		.amdhsa_user_sgpr_kernarg_segment_ptr 1
		.amdhsa_user_sgpr_dispatch_id 0
		.amdhsa_user_sgpr_kernarg_preload_length 0
		.amdhsa_user_sgpr_kernarg_preload_offset 0
		.amdhsa_user_sgpr_private_segment_size 0
		.amdhsa_uses_dynamic_stack 0
		.amdhsa_enable_private_segment 0
		.amdhsa_system_sgpr_workgroup_id_x 1
		.amdhsa_system_sgpr_workgroup_id_y 0
		.amdhsa_system_sgpr_workgroup_id_z 0
		.amdhsa_system_sgpr_workgroup_info 0
		.amdhsa_system_vgpr_workitem_id 0
		.amdhsa_next_free_vgpr 1
		.amdhsa_next_free_sgpr 0
		.amdhsa_accum_offset 4
		.amdhsa_reserve_vcc 0
		.amdhsa_float_round_mode_32 0
		.amdhsa_float_round_mode_16_64 0
		.amdhsa_float_denorm_mode_32 3
		.amdhsa_float_denorm_mode_16_64 3
		.amdhsa_dx10_clamp 1
		.amdhsa_ieee_mode 1
		.amdhsa_fp16_overflow 0
		.amdhsa_tg_split 0
		.amdhsa_exception_fp_ieee_invalid_op 0
		.amdhsa_exception_fp_denorm_src 0
		.amdhsa_exception_fp_ieee_div_zero 0
		.amdhsa_exception_fp_ieee_overflow 0
		.amdhsa_exception_fp_ieee_underflow 0
		.amdhsa_exception_fp_ieee_inexact 0
		.amdhsa_exception_int_div_zero 0
	.end_amdhsa_kernel
	.section	.text._ZN7rocprim17ROCPRIM_400000_NS6detail17trampoline_kernelINS0_14default_configENS1_27scan_by_key_config_selectorIxiEEZZNS1_16scan_by_key_implILNS1_25lookback_scan_determinismE0ELb1ES3_N6thrust23THRUST_200600_302600_NS6detail15normal_iteratorINS9_10device_ptrIxEEEESE_SE_iNS9_4plusIvEENS9_8equal_toIvEEiEE10hipError_tPvRmT2_T3_T4_T5_mT6_T7_P12ihipStream_tbENKUlT_T0_E_clISt17integral_constantIbLb1EESY_IbLb0EEEEDaSU_SV_EUlSU_E_NS1_11comp_targetILNS1_3genE10ELNS1_11target_archE1200ELNS1_3gpuE4ELNS1_3repE0EEENS1_30default_config_static_selectorELNS0_4arch9wavefront6targetE1EEEvT1_,"axG",@progbits,_ZN7rocprim17ROCPRIM_400000_NS6detail17trampoline_kernelINS0_14default_configENS1_27scan_by_key_config_selectorIxiEEZZNS1_16scan_by_key_implILNS1_25lookback_scan_determinismE0ELb1ES3_N6thrust23THRUST_200600_302600_NS6detail15normal_iteratorINS9_10device_ptrIxEEEESE_SE_iNS9_4plusIvEENS9_8equal_toIvEEiEE10hipError_tPvRmT2_T3_T4_T5_mT6_T7_P12ihipStream_tbENKUlT_T0_E_clISt17integral_constantIbLb1EESY_IbLb0EEEEDaSU_SV_EUlSU_E_NS1_11comp_targetILNS1_3genE10ELNS1_11target_archE1200ELNS1_3gpuE4ELNS1_3repE0EEENS1_30default_config_static_selectorELNS0_4arch9wavefront6targetE1EEEvT1_,comdat
.Lfunc_end1028:
	.size	_ZN7rocprim17ROCPRIM_400000_NS6detail17trampoline_kernelINS0_14default_configENS1_27scan_by_key_config_selectorIxiEEZZNS1_16scan_by_key_implILNS1_25lookback_scan_determinismE0ELb1ES3_N6thrust23THRUST_200600_302600_NS6detail15normal_iteratorINS9_10device_ptrIxEEEESE_SE_iNS9_4plusIvEENS9_8equal_toIvEEiEE10hipError_tPvRmT2_T3_T4_T5_mT6_T7_P12ihipStream_tbENKUlT_T0_E_clISt17integral_constantIbLb1EESY_IbLb0EEEEDaSU_SV_EUlSU_E_NS1_11comp_targetILNS1_3genE10ELNS1_11target_archE1200ELNS1_3gpuE4ELNS1_3repE0EEENS1_30default_config_static_selectorELNS0_4arch9wavefront6targetE1EEEvT1_, .Lfunc_end1028-_ZN7rocprim17ROCPRIM_400000_NS6detail17trampoline_kernelINS0_14default_configENS1_27scan_by_key_config_selectorIxiEEZZNS1_16scan_by_key_implILNS1_25lookback_scan_determinismE0ELb1ES3_N6thrust23THRUST_200600_302600_NS6detail15normal_iteratorINS9_10device_ptrIxEEEESE_SE_iNS9_4plusIvEENS9_8equal_toIvEEiEE10hipError_tPvRmT2_T3_T4_T5_mT6_T7_P12ihipStream_tbENKUlT_T0_E_clISt17integral_constantIbLb1EESY_IbLb0EEEEDaSU_SV_EUlSU_E_NS1_11comp_targetILNS1_3genE10ELNS1_11target_archE1200ELNS1_3gpuE4ELNS1_3repE0EEENS1_30default_config_static_selectorELNS0_4arch9wavefront6targetE1EEEvT1_
                                        ; -- End function
	.section	.AMDGPU.csdata,"",@progbits
; Kernel info:
; codeLenInByte = 0
; NumSgprs: 6
; NumVgprs: 0
; NumAgprs: 0
; TotalNumVgprs: 0
; ScratchSize: 0
; MemoryBound: 0
; FloatMode: 240
; IeeeMode: 1
; LDSByteSize: 0 bytes/workgroup (compile time only)
; SGPRBlocks: 0
; VGPRBlocks: 0
; NumSGPRsForWavesPerEU: 6
; NumVGPRsForWavesPerEU: 1
; AccumOffset: 4
; Occupancy: 8
; WaveLimiterHint : 0
; COMPUTE_PGM_RSRC2:SCRATCH_EN: 0
; COMPUTE_PGM_RSRC2:USER_SGPR: 2
; COMPUTE_PGM_RSRC2:TRAP_HANDLER: 0
; COMPUTE_PGM_RSRC2:TGID_X_EN: 1
; COMPUTE_PGM_RSRC2:TGID_Y_EN: 0
; COMPUTE_PGM_RSRC2:TGID_Z_EN: 0
; COMPUTE_PGM_RSRC2:TIDIG_COMP_CNT: 0
; COMPUTE_PGM_RSRC3_GFX90A:ACCUM_OFFSET: 0
; COMPUTE_PGM_RSRC3_GFX90A:TG_SPLIT: 0
	.section	.text._ZN7rocprim17ROCPRIM_400000_NS6detail17trampoline_kernelINS0_14default_configENS1_27scan_by_key_config_selectorIxiEEZZNS1_16scan_by_key_implILNS1_25lookback_scan_determinismE0ELb1ES3_N6thrust23THRUST_200600_302600_NS6detail15normal_iteratorINS9_10device_ptrIxEEEESE_SE_iNS9_4plusIvEENS9_8equal_toIvEEiEE10hipError_tPvRmT2_T3_T4_T5_mT6_T7_P12ihipStream_tbENKUlT_T0_E_clISt17integral_constantIbLb1EESY_IbLb0EEEEDaSU_SV_EUlSU_E_NS1_11comp_targetILNS1_3genE9ELNS1_11target_archE1100ELNS1_3gpuE3ELNS1_3repE0EEENS1_30default_config_static_selectorELNS0_4arch9wavefront6targetE1EEEvT1_,"axG",@progbits,_ZN7rocprim17ROCPRIM_400000_NS6detail17trampoline_kernelINS0_14default_configENS1_27scan_by_key_config_selectorIxiEEZZNS1_16scan_by_key_implILNS1_25lookback_scan_determinismE0ELb1ES3_N6thrust23THRUST_200600_302600_NS6detail15normal_iteratorINS9_10device_ptrIxEEEESE_SE_iNS9_4plusIvEENS9_8equal_toIvEEiEE10hipError_tPvRmT2_T3_T4_T5_mT6_T7_P12ihipStream_tbENKUlT_T0_E_clISt17integral_constantIbLb1EESY_IbLb0EEEEDaSU_SV_EUlSU_E_NS1_11comp_targetILNS1_3genE9ELNS1_11target_archE1100ELNS1_3gpuE3ELNS1_3repE0EEENS1_30default_config_static_selectorELNS0_4arch9wavefront6targetE1EEEvT1_,comdat
	.protected	_ZN7rocprim17ROCPRIM_400000_NS6detail17trampoline_kernelINS0_14default_configENS1_27scan_by_key_config_selectorIxiEEZZNS1_16scan_by_key_implILNS1_25lookback_scan_determinismE0ELb1ES3_N6thrust23THRUST_200600_302600_NS6detail15normal_iteratorINS9_10device_ptrIxEEEESE_SE_iNS9_4plusIvEENS9_8equal_toIvEEiEE10hipError_tPvRmT2_T3_T4_T5_mT6_T7_P12ihipStream_tbENKUlT_T0_E_clISt17integral_constantIbLb1EESY_IbLb0EEEEDaSU_SV_EUlSU_E_NS1_11comp_targetILNS1_3genE9ELNS1_11target_archE1100ELNS1_3gpuE3ELNS1_3repE0EEENS1_30default_config_static_selectorELNS0_4arch9wavefront6targetE1EEEvT1_ ; -- Begin function _ZN7rocprim17ROCPRIM_400000_NS6detail17trampoline_kernelINS0_14default_configENS1_27scan_by_key_config_selectorIxiEEZZNS1_16scan_by_key_implILNS1_25lookback_scan_determinismE0ELb1ES3_N6thrust23THRUST_200600_302600_NS6detail15normal_iteratorINS9_10device_ptrIxEEEESE_SE_iNS9_4plusIvEENS9_8equal_toIvEEiEE10hipError_tPvRmT2_T3_T4_T5_mT6_T7_P12ihipStream_tbENKUlT_T0_E_clISt17integral_constantIbLb1EESY_IbLb0EEEEDaSU_SV_EUlSU_E_NS1_11comp_targetILNS1_3genE9ELNS1_11target_archE1100ELNS1_3gpuE3ELNS1_3repE0EEENS1_30default_config_static_selectorELNS0_4arch9wavefront6targetE1EEEvT1_
	.globl	_ZN7rocprim17ROCPRIM_400000_NS6detail17trampoline_kernelINS0_14default_configENS1_27scan_by_key_config_selectorIxiEEZZNS1_16scan_by_key_implILNS1_25lookback_scan_determinismE0ELb1ES3_N6thrust23THRUST_200600_302600_NS6detail15normal_iteratorINS9_10device_ptrIxEEEESE_SE_iNS9_4plusIvEENS9_8equal_toIvEEiEE10hipError_tPvRmT2_T3_T4_T5_mT6_T7_P12ihipStream_tbENKUlT_T0_E_clISt17integral_constantIbLb1EESY_IbLb0EEEEDaSU_SV_EUlSU_E_NS1_11comp_targetILNS1_3genE9ELNS1_11target_archE1100ELNS1_3gpuE3ELNS1_3repE0EEENS1_30default_config_static_selectorELNS0_4arch9wavefront6targetE1EEEvT1_
	.p2align	8
	.type	_ZN7rocprim17ROCPRIM_400000_NS6detail17trampoline_kernelINS0_14default_configENS1_27scan_by_key_config_selectorIxiEEZZNS1_16scan_by_key_implILNS1_25lookback_scan_determinismE0ELb1ES3_N6thrust23THRUST_200600_302600_NS6detail15normal_iteratorINS9_10device_ptrIxEEEESE_SE_iNS9_4plusIvEENS9_8equal_toIvEEiEE10hipError_tPvRmT2_T3_T4_T5_mT6_T7_P12ihipStream_tbENKUlT_T0_E_clISt17integral_constantIbLb1EESY_IbLb0EEEEDaSU_SV_EUlSU_E_NS1_11comp_targetILNS1_3genE9ELNS1_11target_archE1100ELNS1_3gpuE3ELNS1_3repE0EEENS1_30default_config_static_selectorELNS0_4arch9wavefront6targetE1EEEvT1_,@function
_ZN7rocprim17ROCPRIM_400000_NS6detail17trampoline_kernelINS0_14default_configENS1_27scan_by_key_config_selectorIxiEEZZNS1_16scan_by_key_implILNS1_25lookback_scan_determinismE0ELb1ES3_N6thrust23THRUST_200600_302600_NS6detail15normal_iteratorINS9_10device_ptrIxEEEESE_SE_iNS9_4plusIvEENS9_8equal_toIvEEiEE10hipError_tPvRmT2_T3_T4_T5_mT6_T7_P12ihipStream_tbENKUlT_T0_E_clISt17integral_constantIbLb1EESY_IbLb0EEEEDaSU_SV_EUlSU_E_NS1_11comp_targetILNS1_3genE9ELNS1_11target_archE1100ELNS1_3gpuE3ELNS1_3repE0EEENS1_30default_config_static_selectorELNS0_4arch9wavefront6targetE1EEEvT1_: ; @_ZN7rocprim17ROCPRIM_400000_NS6detail17trampoline_kernelINS0_14default_configENS1_27scan_by_key_config_selectorIxiEEZZNS1_16scan_by_key_implILNS1_25lookback_scan_determinismE0ELb1ES3_N6thrust23THRUST_200600_302600_NS6detail15normal_iteratorINS9_10device_ptrIxEEEESE_SE_iNS9_4plusIvEENS9_8equal_toIvEEiEE10hipError_tPvRmT2_T3_T4_T5_mT6_T7_P12ihipStream_tbENKUlT_T0_E_clISt17integral_constantIbLb1EESY_IbLb0EEEEDaSU_SV_EUlSU_E_NS1_11comp_targetILNS1_3genE9ELNS1_11target_archE1100ELNS1_3gpuE3ELNS1_3repE0EEENS1_30default_config_static_selectorELNS0_4arch9wavefront6targetE1EEEvT1_
; %bb.0:
	.section	.rodata,"a",@progbits
	.p2align	6, 0x0
	.amdhsa_kernel _ZN7rocprim17ROCPRIM_400000_NS6detail17trampoline_kernelINS0_14default_configENS1_27scan_by_key_config_selectorIxiEEZZNS1_16scan_by_key_implILNS1_25lookback_scan_determinismE0ELb1ES3_N6thrust23THRUST_200600_302600_NS6detail15normal_iteratorINS9_10device_ptrIxEEEESE_SE_iNS9_4plusIvEENS9_8equal_toIvEEiEE10hipError_tPvRmT2_T3_T4_T5_mT6_T7_P12ihipStream_tbENKUlT_T0_E_clISt17integral_constantIbLb1EESY_IbLb0EEEEDaSU_SV_EUlSU_E_NS1_11comp_targetILNS1_3genE9ELNS1_11target_archE1100ELNS1_3gpuE3ELNS1_3repE0EEENS1_30default_config_static_selectorELNS0_4arch9wavefront6targetE1EEEvT1_
		.amdhsa_group_segment_fixed_size 0
		.amdhsa_private_segment_fixed_size 0
		.amdhsa_kernarg_size 112
		.amdhsa_user_sgpr_count 2
		.amdhsa_user_sgpr_dispatch_ptr 0
		.amdhsa_user_sgpr_queue_ptr 0
		.amdhsa_user_sgpr_kernarg_segment_ptr 1
		.amdhsa_user_sgpr_dispatch_id 0
		.amdhsa_user_sgpr_kernarg_preload_length 0
		.amdhsa_user_sgpr_kernarg_preload_offset 0
		.amdhsa_user_sgpr_private_segment_size 0
		.amdhsa_uses_dynamic_stack 0
		.amdhsa_enable_private_segment 0
		.amdhsa_system_sgpr_workgroup_id_x 1
		.amdhsa_system_sgpr_workgroup_id_y 0
		.amdhsa_system_sgpr_workgroup_id_z 0
		.amdhsa_system_sgpr_workgroup_info 0
		.amdhsa_system_vgpr_workitem_id 0
		.amdhsa_next_free_vgpr 1
		.amdhsa_next_free_sgpr 0
		.amdhsa_accum_offset 4
		.amdhsa_reserve_vcc 0
		.amdhsa_float_round_mode_32 0
		.amdhsa_float_round_mode_16_64 0
		.amdhsa_float_denorm_mode_32 3
		.amdhsa_float_denorm_mode_16_64 3
		.amdhsa_dx10_clamp 1
		.amdhsa_ieee_mode 1
		.amdhsa_fp16_overflow 0
		.amdhsa_tg_split 0
		.amdhsa_exception_fp_ieee_invalid_op 0
		.amdhsa_exception_fp_denorm_src 0
		.amdhsa_exception_fp_ieee_div_zero 0
		.amdhsa_exception_fp_ieee_overflow 0
		.amdhsa_exception_fp_ieee_underflow 0
		.amdhsa_exception_fp_ieee_inexact 0
		.amdhsa_exception_int_div_zero 0
	.end_amdhsa_kernel
	.section	.text._ZN7rocprim17ROCPRIM_400000_NS6detail17trampoline_kernelINS0_14default_configENS1_27scan_by_key_config_selectorIxiEEZZNS1_16scan_by_key_implILNS1_25lookback_scan_determinismE0ELb1ES3_N6thrust23THRUST_200600_302600_NS6detail15normal_iteratorINS9_10device_ptrIxEEEESE_SE_iNS9_4plusIvEENS9_8equal_toIvEEiEE10hipError_tPvRmT2_T3_T4_T5_mT6_T7_P12ihipStream_tbENKUlT_T0_E_clISt17integral_constantIbLb1EESY_IbLb0EEEEDaSU_SV_EUlSU_E_NS1_11comp_targetILNS1_3genE9ELNS1_11target_archE1100ELNS1_3gpuE3ELNS1_3repE0EEENS1_30default_config_static_selectorELNS0_4arch9wavefront6targetE1EEEvT1_,"axG",@progbits,_ZN7rocprim17ROCPRIM_400000_NS6detail17trampoline_kernelINS0_14default_configENS1_27scan_by_key_config_selectorIxiEEZZNS1_16scan_by_key_implILNS1_25lookback_scan_determinismE0ELb1ES3_N6thrust23THRUST_200600_302600_NS6detail15normal_iteratorINS9_10device_ptrIxEEEESE_SE_iNS9_4plusIvEENS9_8equal_toIvEEiEE10hipError_tPvRmT2_T3_T4_T5_mT6_T7_P12ihipStream_tbENKUlT_T0_E_clISt17integral_constantIbLb1EESY_IbLb0EEEEDaSU_SV_EUlSU_E_NS1_11comp_targetILNS1_3genE9ELNS1_11target_archE1100ELNS1_3gpuE3ELNS1_3repE0EEENS1_30default_config_static_selectorELNS0_4arch9wavefront6targetE1EEEvT1_,comdat
.Lfunc_end1029:
	.size	_ZN7rocprim17ROCPRIM_400000_NS6detail17trampoline_kernelINS0_14default_configENS1_27scan_by_key_config_selectorIxiEEZZNS1_16scan_by_key_implILNS1_25lookback_scan_determinismE0ELb1ES3_N6thrust23THRUST_200600_302600_NS6detail15normal_iteratorINS9_10device_ptrIxEEEESE_SE_iNS9_4plusIvEENS9_8equal_toIvEEiEE10hipError_tPvRmT2_T3_T4_T5_mT6_T7_P12ihipStream_tbENKUlT_T0_E_clISt17integral_constantIbLb1EESY_IbLb0EEEEDaSU_SV_EUlSU_E_NS1_11comp_targetILNS1_3genE9ELNS1_11target_archE1100ELNS1_3gpuE3ELNS1_3repE0EEENS1_30default_config_static_selectorELNS0_4arch9wavefront6targetE1EEEvT1_, .Lfunc_end1029-_ZN7rocprim17ROCPRIM_400000_NS6detail17trampoline_kernelINS0_14default_configENS1_27scan_by_key_config_selectorIxiEEZZNS1_16scan_by_key_implILNS1_25lookback_scan_determinismE0ELb1ES3_N6thrust23THRUST_200600_302600_NS6detail15normal_iteratorINS9_10device_ptrIxEEEESE_SE_iNS9_4plusIvEENS9_8equal_toIvEEiEE10hipError_tPvRmT2_T3_T4_T5_mT6_T7_P12ihipStream_tbENKUlT_T0_E_clISt17integral_constantIbLb1EESY_IbLb0EEEEDaSU_SV_EUlSU_E_NS1_11comp_targetILNS1_3genE9ELNS1_11target_archE1100ELNS1_3gpuE3ELNS1_3repE0EEENS1_30default_config_static_selectorELNS0_4arch9wavefront6targetE1EEEvT1_
                                        ; -- End function
	.section	.AMDGPU.csdata,"",@progbits
; Kernel info:
; codeLenInByte = 0
; NumSgprs: 6
; NumVgprs: 0
; NumAgprs: 0
; TotalNumVgprs: 0
; ScratchSize: 0
; MemoryBound: 0
; FloatMode: 240
; IeeeMode: 1
; LDSByteSize: 0 bytes/workgroup (compile time only)
; SGPRBlocks: 0
; VGPRBlocks: 0
; NumSGPRsForWavesPerEU: 6
; NumVGPRsForWavesPerEU: 1
; AccumOffset: 4
; Occupancy: 8
; WaveLimiterHint : 0
; COMPUTE_PGM_RSRC2:SCRATCH_EN: 0
; COMPUTE_PGM_RSRC2:USER_SGPR: 2
; COMPUTE_PGM_RSRC2:TRAP_HANDLER: 0
; COMPUTE_PGM_RSRC2:TGID_X_EN: 1
; COMPUTE_PGM_RSRC2:TGID_Y_EN: 0
; COMPUTE_PGM_RSRC2:TGID_Z_EN: 0
; COMPUTE_PGM_RSRC2:TIDIG_COMP_CNT: 0
; COMPUTE_PGM_RSRC3_GFX90A:ACCUM_OFFSET: 0
; COMPUTE_PGM_RSRC3_GFX90A:TG_SPLIT: 0
	.section	.text._ZN7rocprim17ROCPRIM_400000_NS6detail17trampoline_kernelINS0_14default_configENS1_27scan_by_key_config_selectorIxiEEZZNS1_16scan_by_key_implILNS1_25lookback_scan_determinismE0ELb1ES3_N6thrust23THRUST_200600_302600_NS6detail15normal_iteratorINS9_10device_ptrIxEEEESE_SE_iNS9_4plusIvEENS9_8equal_toIvEEiEE10hipError_tPvRmT2_T3_T4_T5_mT6_T7_P12ihipStream_tbENKUlT_T0_E_clISt17integral_constantIbLb1EESY_IbLb0EEEEDaSU_SV_EUlSU_E_NS1_11comp_targetILNS1_3genE8ELNS1_11target_archE1030ELNS1_3gpuE2ELNS1_3repE0EEENS1_30default_config_static_selectorELNS0_4arch9wavefront6targetE1EEEvT1_,"axG",@progbits,_ZN7rocprim17ROCPRIM_400000_NS6detail17trampoline_kernelINS0_14default_configENS1_27scan_by_key_config_selectorIxiEEZZNS1_16scan_by_key_implILNS1_25lookback_scan_determinismE0ELb1ES3_N6thrust23THRUST_200600_302600_NS6detail15normal_iteratorINS9_10device_ptrIxEEEESE_SE_iNS9_4plusIvEENS9_8equal_toIvEEiEE10hipError_tPvRmT2_T3_T4_T5_mT6_T7_P12ihipStream_tbENKUlT_T0_E_clISt17integral_constantIbLb1EESY_IbLb0EEEEDaSU_SV_EUlSU_E_NS1_11comp_targetILNS1_3genE8ELNS1_11target_archE1030ELNS1_3gpuE2ELNS1_3repE0EEENS1_30default_config_static_selectorELNS0_4arch9wavefront6targetE1EEEvT1_,comdat
	.protected	_ZN7rocprim17ROCPRIM_400000_NS6detail17trampoline_kernelINS0_14default_configENS1_27scan_by_key_config_selectorIxiEEZZNS1_16scan_by_key_implILNS1_25lookback_scan_determinismE0ELb1ES3_N6thrust23THRUST_200600_302600_NS6detail15normal_iteratorINS9_10device_ptrIxEEEESE_SE_iNS9_4plusIvEENS9_8equal_toIvEEiEE10hipError_tPvRmT2_T3_T4_T5_mT6_T7_P12ihipStream_tbENKUlT_T0_E_clISt17integral_constantIbLb1EESY_IbLb0EEEEDaSU_SV_EUlSU_E_NS1_11comp_targetILNS1_3genE8ELNS1_11target_archE1030ELNS1_3gpuE2ELNS1_3repE0EEENS1_30default_config_static_selectorELNS0_4arch9wavefront6targetE1EEEvT1_ ; -- Begin function _ZN7rocprim17ROCPRIM_400000_NS6detail17trampoline_kernelINS0_14default_configENS1_27scan_by_key_config_selectorIxiEEZZNS1_16scan_by_key_implILNS1_25lookback_scan_determinismE0ELb1ES3_N6thrust23THRUST_200600_302600_NS6detail15normal_iteratorINS9_10device_ptrIxEEEESE_SE_iNS9_4plusIvEENS9_8equal_toIvEEiEE10hipError_tPvRmT2_T3_T4_T5_mT6_T7_P12ihipStream_tbENKUlT_T0_E_clISt17integral_constantIbLb1EESY_IbLb0EEEEDaSU_SV_EUlSU_E_NS1_11comp_targetILNS1_3genE8ELNS1_11target_archE1030ELNS1_3gpuE2ELNS1_3repE0EEENS1_30default_config_static_selectorELNS0_4arch9wavefront6targetE1EEEvT1_
	.globl	_ZN7rocprim17ROCPRIM_400000_NS6detail17trampoline_kernelINS0_14default_configENS1_27scan_by_key_config_selectorIxiEEZZNS1_16scan_by_key_implILNS1_25lookback_scan_determinismE0ELb1ES3_N6thrust23THRUST_200600_302600_NS6detail15normal_iteratorINS9_10device_ptrIxEEEESE_SE_iNS9_4plusIvEENS9_8equal_toIvEEiEE10hipError_tPvRmT2_T3_T4_T5_mT6_T7_P12ihipStream_tbENKUlT_T0_E_clISt17integral_constantIbLb1EESY_IbLb0EEEEDaSU_SV_EUlSU_E_NS1_11comp_targetILNS1_3genE8ELNS1_11target_archE1030ELNS1_3gpuE2ELNS1_3repE0EEENS1_30default_config_static_selectorELNS0_4arch9wavefront6targetE1EEEvT1_
	.p2align	8
	.type	_ZN7rocprim17ROCPRIM_400000_NS6detail17trampoline_kernelINS0_14default_configENS1_27scan_by_key_config_selectorIxiEEZZNS1_16scan_by_key_implILNS1_25lookback_scan_determinismE0ELb1ES3_N6thrust23THRUST_200600_302600_NS6detail15normal_iteratorINS9_10device_ptrIxEEEESE_SE_iNS9_4plusIvEENS9_8equal_toIvEEiEE10hipError_tPvRmT2_T3_T4_T5_mT6_T7_P12ihipStream_tbENKUlT_T0_E_clISt17integral_constantIbLb1EESY_IbLb0EEEEDaSU_SV_EUlSU_E_NS1_11comp_targetILNS1_3genE8ELNS1_11target_archE1030ELNS1_3gpuE2ELNS1_3repE0EEENS1_30default_config_static_selectorELNS0_4arch9wavefront6targetE1EEEvT1_,@function
_ZN7rocprim17ROCPRIM_400000_NS6detail17trampoline_kernelINS0_14default_configENS1_27scan_by_key_config_selectorIxiEEZZNS1_16scan_by_key_implILNS1_25lookback_scan_determinismE0ELb1ES3_N6thrust23THRUST_200600_302600_NS6detail15normal_iteratorINS9_10device_ptrIxEEEESE_SE_iNS9_4plusIvEENS9_8equal_toIvEEiEE10hipError_tPvRmT2_T3_T4_T5_mT6_T7_P12ihipStream_tbENKUlT_T0_E_clISt17integral_constantIbLb1EESY_IbLb0EEEEDaSU_SV_EUlSU_E_NS1_11comp_targetILNS1_3genE8ELNS1_11target_archE1030ELNS1_3gpuE2ELNS1_3repE0EEENS1_30default_config_static_selectorELNS0_4arch9wavefront6targetE1EEEvT1_: ; @_ZN7rocprim17ROCPRIM_400000_NS6detail17trampoline_kernelINS0_14default_configENS1_27scan_by_key_config_selectorIxiEEZZNS1_16scan_by_key_implILNS1_25lookback_scan_determinismE0ELb1ES3_N6thrust23THRUST_200600_302600_NS6detail15normal_iteratorINS9_10device_ptrIxEEEESE_SE_iNS9_4plusIvEENS9_8equal_toIvEEiEE10hipError_tPvRmT2_T3_T4_T5_mT6_T7_P12ihipStream_tbENKUlT_T0_E_clISt17integral_constantIbLb1EESY_IbLb0EEEEDaSU_SV_EUlSU_E_NS1_11comp_targetILNS1_3genE8ELNS1_11target_archE1030ELNS1_3gpuE2ELNS1_3repE0EEENS1_30default_config_static_selectorELNS0_4arch9wavefront6targetE1EEEvT1_
; %bb.0:
	.section	.rodata,"a",@progbits
	.p2align	6, 0x0
	.amdhsa_kernel _ZN7rocprim17ROCPRIM_400000_NS6detail17trampoline_kernelINS0_14default_configENS1_27scan_by_key_config_selectorIxiEEZZNS1_16scan_by_key_implILNS1_25lookback_scan_determinismE0ELb1ES3_N6thrust23THRUST_200600_302600_NS6detail15normal_iteratorINS9_10device_ptrIxEEEESE_SE_iNS9_4plusIvEENS9_8equal_toIvEEiEE10hipError_tPvRmT2_T3_T4_T5_mT6_T7_P12ihipStream_tbENKUlT_T0_E_clISt17integral_constantIbLb1EESY_IbLb0EEEEDaSU_SV_EUlSU_E_NS1_11comp_targetILNS1_3genE8ELNS1_11target_archE1030ELNS1_3gpuE2ELNS1_3repE0EEENS1_30default_config_static_selectorELNS0_4arch9wavefront6targetE1EEEvT1_
		.amdhsa_group_segment_fixed_size 0
		.amdhsa_private_segment_fixed_size 0
		.amdhsa_kernarg_size 112
		.amdhsa_user_sgpr_count 2
		.amdhsa_user_sgpr_dispatch_ptr 0
		.amdhsa_user_sgpr_queue_ptr 0
		.amdhsa_user_sgpr_kernarg_segment_ptr 1
		.amdhsa_user_sgpr_dispatch_id 0
		.amdhsa_user_sgpr_kernarg_preload_length 0
		.amdhsa_user_sgpr_kernarg_preload_offset 0
		.amdhsa_user_sgpr_private_segment_size 0
		.amdhsa_uses_dynamic_stack 0
		.amdhsa_enable_private_segment 0
		.amdhsa_system_sgpr_workgroup_id_x 1
		.amdhsa_system_sgpr_workgroup_id_y 0
		.amdhsa_system_sgpr_workgroup_id_z 0
		.amdhsa_system_sgpr_workgroup_info 0
		.amdhsa_system_vgpr_workitem_id 0
		.amdhsa_next_free_vgpr 1
		.amdhsa_next_free_sgpr 0
		.amdhsa_accum_offset 4
		.amdhsa_reserve_vcc 0
		.amdhsa_float_round_mode_32 0
		.amdhsa_float_round_mode_16_64 0
		.amdhsa_float_denorm_mode_32 3
		.amdhsa_float_denorm_mode_16_64 3
		.amdhsa_dx10_clamp 1
		.amdhsa_ieee_mode 1
		.amdhsa_fp16_overflow 0
		.amdhsa_tg_split 0
		.amdhsa_exception_fp_ieee_invalid_op 0
		.amdhsa_exception_fp_denorm_src 0
		.amdhsa_exception_fp_ieee_div_zero 0
		.amdhsa_exception_fp_ieee_overflow 0
		.amdhsa_exception_fp_ieee_underflow 0
		.amdhsa_exception_fp_ieee_inexact 0
		.amdhsa_exception_int_div_zero 0
	.end_amdhsa_kernel
	.section	.text._ZN7rocprim17ROCPRIM_400000_NS6detail17trampoline_kernelINS0_14default_configENS1_27scan_by_key_config_selectorIxiEEZZNS1_16scan_by_key_implILNS1_25lookback_scan_determinismE0ELb1ES3_N6thrust23THRUST_200600_302600_NS6detail15normal_iteratorINS9_10device_ptrIxEEEESE_SE_iNS9_4plusIvEENS9_8equal_toIvEEiEE10hipError_tPvRmT2_T3_T4_T5_mT6_T7_P12ihipStream_tbENKUlT_T0_E_clISt17integral_constantIbLb1EESY_IbLb0EEEEDaSU_SV_EUlSU_E_NS1_11comp_targetILNS1_3genE8ELNS1_11target_archE1030ELNS1_3gpuE2ELNS1_3repE0EEENS1_30default_config_static_selectorELNS0_4arch9wavefront6targetE1EEEvT1_,"axG",@progbits,_ZN7rocprim17ROCPRIM_400000_NS6detail17trampoline_kernelINS0_14default_configENS1_27scan_by_key_config_selectorIxiEEZZNS1_16scan_by_key_implILNS1_25lookback_scan_determinismE0ELb1ES3_N6thrust23THRUST_200600_302600_NS6detail15normal_iteratorINS9_10device_ptrIxEEEESE_SE_iNS9_4plusIvEENS9_8equal_toIvEEiEE10hipError_tPvRmT2_T3_T4_T5_mT6_T7_P12ihipStream_tbENKUlT_T0_E_clISt17integral_constantIbLb1EESY_IbLb0EEEEDaSU_SV_EUlSU_E_NS1_11comp_targetILNS1_3genE8ELNS1_11target_archE1030ELNS1_3gpuE2ELNS1_3repE0EEENS1_30default_config_static_selectorELNS0_4arch9wavefront6targetE1EEEvT1_,comdat
.Lfunc_end1030:
	.size	_ZN7rocprim17ROCPRIM_400000_NS6detail17trampoline_kernelINS0_14default_configENS1_27scan_by_key_config_selectorIxiEEZZNS1_16scan_by_key_implILNS1_25lookback_scan_determinismE0ELb1ES3_N6thrust23THRUST_200600_302600_NS6detail15normal_iteratorINS9_10device_ptrIxEEEESE_SE_iNS9_4plusIvEENS9_8equal_toIvEEiEE10hipError_tPvRmT2_T3_T4_T5_mT6_T7_P12ihipStream_tbENKUlT_T0_E_clISt17integral_constantIbLb1EESY_IbLb0EEEEDaSU_SV_EUlSU_E_NS1_11comp_targetILNS1_3genE8ELNS1_11target_archE1030ELNS1_3gpuE2ELNS1_3repE0EEENS1_30default_config_static_selectorELNS0_4arch9wavefront6targetE1EEEvT1_, .Lfunc_end1030-_ZN7rocprim17ROCPRIM_400000_NS6detail17trampoline_kernelINS0_14default_configENS1_27scan_by_key_config_selectorIxiEEZZNS1_16scan_by_key_implILNS1_25lookback_scan_determinismE0ELb1ES3_N6thrust23THRUST_200600_302600_NS6detail15normal_iteratorINS9_10device_ptrIxEEEESE_SE_iNS9_4plusIvEENS9_8equal_toIvEEiEE10hipError_tPvRmT2_T3_T4_T5_mT6_T7_P12ihipStream_tbENKUlT_T0_E_clISt17integral_constantIbLb1EESY_IbLb0EEEEDaSU_SV_EUlSU_E_NS1_11comp_targetILNS1_3genE8ELNS1_11target_archE1030ELNS1_3gpuE2ELNS1_3repE0EEENS1_30default_config_static_selectorELNS0_4arch9wavefront6targetE1EEEvT1_
                                        ; -- End function
	.section	.AMDGPU.csdata,"",@progbits
; Kernel info:
; codeLenInByte = 0
; NumSgprs: 6
; NumVgprs: 0
; NumAgprs: 0
; TotalNumVgprs: 0
; ScratchSize: 0
; MemoryBound: 0
; FloatMode: 240
; IeeeMode: 1
; LDSByteSize: 0 bytes/workgroup (compile time only)
; SGPRBlocks: 0
; VGPRBlocks: 0
; NumSGPRsForWavesPerEU: 6
; NumVGPRsForWavesPerEU: 1
; AccumOffset: 4
; Occupancy: 8
; WaveLimiterHint : 0
; COMPUTE_PGM_RSRC2:SCRATCH_EN: 0
; COMPUTE_PGM_RSRC2:USER_SGPR: 2
; COMPUTE_PGM_RSRC2:TRAP_HANDLER: 0
; COMPUTE_PGM_RSRC2:TGID_X_EN: 1
; COMPUTE_PGM_RSRC2:TGID_Y_EN: 0
; COMPUTE_PGM_RSRC2:TGID_Z_EN: 0
; COMPUTE_PGM_RSRC2:TIDIG_COMP_CNT: 0
; COMPUTE_PGM_RSRC3_GFX90A:ACCUM_OFFSET: 0
; COMPUTE_PGM_RSRC3_GFX90A:TG_SPLIT: 0
	.section	.text._ZN7rocprim17ROCPRIM_400000_NS6detail30init_device_scan_by_key_kernelINS1_19lookback_scan_stateINS0_5tupleIJibEEELb0ELb1EEEN6thrust23THRUST_200600_302600_NS6detail15normal_iteratorINS8_10device_ptrIxEEEEjNS1_16block_id_wrapperIjLb1EEEEEvT_jjPNSG_10value_typeET0_PNSt15iterator_traitsISJ_E10value_typeEmT1_T2_,"axG",@progbits,_ZN7rocprim17ROCPRIM_400000_NS6detail30init_device_scan_by_key_kernelINS1_19lookback_scan_stateINS0_5tupleIJibEEELb0ELb1EEEN6thrust23THRUST_200600_302600_NS6detail15normal_iteratorINS8_10device_ptrIxEEEEjNS1_16block_id_wrapperIjLb1EEEEEvT_jjPNSG_10value_typeET0_PNSt15iterator_traitsISJ_E10value_typeEmT1_T2_,comdat
	.protected	_ZN7rocprim17ROCPRIM_400000_NS6detail30init_device_scan_by_key_kernelINS1_19lookback_scan_stateINS0_5tupleIJibEEELb0ELb1EEEN6thrust23THRUST_200600_302600_NS6detail15normal_iteratorINS8_10device_ptrIxEEEEjNS1_16block_id_wrapperIjLb1EEEEEvT_jjPNSG_10value_typeET0_PNSt15iterator_traitsISJ_E10value_typeEmT1_T2_ ; -- Begin function _ZN7rocprim17ROCPRIM_400000_NS6detail30init_device_scan_by_key_kernelINS1_19lookback_scan_stateINS0_5tupleIJibEEELb0ELb1EEEN6thrust23THRUST_200600_302600_NS6detail15normal_iteratorINS8_10device_ptrIxEEEEjNS1_16block_id_wrapperIjLb1EEEEEvT_jjPNSG_10value_typeET0_PNSt15iterator_traitsISJ_E10value_typeEmT1_T2_
	.globl	_ZN7rocprim17ROCPRIM_400000_NS6detail30init_device_scan_by_key_kernelINS1_19lookback_scan_stateINS0_5tupleIJibEEELb0ELb1EEEN6thrust23THRUST_200600_302600_NS6detail15normal_iteratorINS8_10device_ptrIxEEEEjNS1_16block_id_wrapperIjLb1EEEEEvT_jjPNSG_10value_typeET0_PNSt15iterator_traitsISJ_E10value_typeEmT1_T2_
	.p2align	8
	.type	_ZN7rocprim17ROCPRIM_400000_NS6detail30init_device_scan_by_key_kernelINS1_19lookback_scan_stateINS0_5tupleIJibEEELb0ELb1EEEN6thrust23THRUST_200600_302600_NS6detail15normal_iteratorINS8_10device_ptrIxEEEEjNS1_16block_id_wrapperIjLb1EEEEEvT_jjPNSG_10value_typeET0_PNSt15iterator_traitsISJ_E10value_typeEmT1_T2_,@function
_ZN7rocprim17ROCPRIM_400000_NS6detail30init_device_scan_by_key_kernelINS1_19lookback_scan_stateINS0_5tupleIJibEEELb0ELb1EEEN6thrust23THRUST_200600_302600_NS6detail15normal_iteratorINS8_10device_ptrIxEEEEjNS1_16block_id_wrapperIjLb1EEEEEvT_jjPNSG_10value_typeET0_PNSt15iterator_traitsISJ_E10value_typeEmT1_T2_: ; @_ZN7rocprim17ROCPRIM_400000_NS6detail30init_device_scan_by_key_kernelINS1_19lookback_scan_stateINS0_5tupleIJibEEELb0ELb1EEEN6thrust23THRUST_200600_302600_NS6detail15normal_iteratorINS8_10device_ptrIxEEEEjNS1_16block_id_wrapperIjLb1EEEEEvT_jjPNSG_10value_typeET0_PNSt15iterator_traitsISJ_E10value_typeEmT1_T2_
; %bb.0:
	s_load_dword s3, s[0:1], 0x4c
	s_load_dwordx8 s[4:11], s[0:1], 0x0
	s_load_dword s18, s[0:1], 0x40
	s_waitcnt lgkmcnt(0)
	s_and_b32 s19, s3, 0xffff
	s_mul_i32 s2, s2, s19
	s_cmp_eq_u64 s[8:9], 0
	v_add_u32_e32 v4, s2, v0
	s_cbranch_scc1 .LBB1031_8
; %bb.1:
	s_cmp_lt_u32 s7, s6
	s_cselect_b32 s2, s7, 0
	s_mov_b32 s13, 0
	v_cmp_eq_u32_e32 vcc, s2, v4
	s_and_saveexec_b64 s[2:3], vcc
	s_cbranch_execz .LBB1031_7
; %bb.2:
	s_add_i32 s12, s7, 64
	s_lshl_b64 s[12:13], s[12:13], 4
	s_add_u32 s16, s4, s12
	s_addc_u32 s17, s5, s13
	v_mov_b64_e32 v[0:1], s[16:17]
	;;#ASMSTART
	global_load_dwordx4 v[0:3], v[0:1] off sc1	
s_waitcnt vmcnt(0)
	;;#ASMEND
	v_mov_b32_e32 v7, 0
	v_and_b32_e32 v6, 0xff, v2
	s_mov_b64 s[14:15], 0
	v_cmp_eq_u64_e32 vcc, 0, v[6:7]
	s_and_saveexec_b64 s[12:13], vcc
	s_cbranch_execz .LBB1031_6
; %bb.3:
	v_mov_b64_e32 v[8:9], s[16:17]
.LBB1031_4:                             ; =>This Inner Loop Header: Depth=1
	;;#ASMSTART
	global_load_dwordx4 v[0:3], v[8:9] off sc1	
s_waitcnt vmcnt(0)
	;;#ASMEND
	s_nop 0
	v_and_b32_e32 v6, 0xff, v2
	v_cmp_ne_u64_e32 vcc, 0, v[6:7]
	s_or_b64 s[14:15], vcc, s[14:15]
	s_andn2_b64 exec, exec, s[14:15]
	s_cbranch_execnz .LBB1031_4
; %bb.5:
	s_or_b64 exec, exec, s[14:15]
.LBB1031_6:
	s_or_b64 exec, exec, s[12:13]
	v_mov_b32_e32 v2, 0
	global_store_dword v2, v0, s[8:9]
	global_store_byte v2, v1, s[8:9] offset:4
.LBB1031_7:
	s_or_b64 exec, exec, s[2:3]
.LBB1031_8:
	v_cmp_eq_u32_e32 vcc, 0, v4
	s_and_saveexec_b64 s[2:3], vcc
	s_cbranch_execz .LBB1031_10
; %bb.9:
	s_load_dwordx2 s[8:9], s[0:1], 0x38
	v_mov_b32_e32 v0, 0
	s_waitcnt lgkmcnt(0)
	global_store_dword v0, v0, s[8:9]
.LBB1031_10:
	s_or_b64 exec, exec, s[2:3]
	v_cmp_gt_u32_e32 vcc, s6, v4
	s_and_saveexec_b64 s[2:3], vcc
	s_cbranch_execz .LBB1031_12
; %bb.11:
	v_add_u32_e32 v0, 64, v4
	v_mov_b32_e32 v1, 0
	v_lshl_add_u64 v[6:7], v[0:1], 4, s[4:5]
	v_mov_b32_e32 v0, v1
	v_mov_b32_e32 v2, v1
	;; [unrolled: 1-line block ×3, first 2 shown]
	global_store_dwordx4 v[6:7], v[0:3], off
.LBB1031_12:
	s_or_b64 exec, exec, s[2:3]
	v_cmp_gt_u32_e32 vcc, 64, v4
	v_mov_b32_e32 v5, 0
	s_and_saveexec_b64 s[2:3], vcc
	s_cbranch_execz .LBB1031_14
; %bb.13:
	v_lshl_add_u64 v[6:7], v[4:5], 4, s[4:5]
	v_mov_b32_e32 v2, 0xff
	v_mov_b32_e32 v0, v5
	;; [unrolled: 1-line block ×4, first 2 shown]
	global_store_dwordx4 v[6:7], v[0:3], off
.LBB1031_14:
	s_or_b64 exec, exec, s[2:3]
	s_load_dwordx2 s[2:3], s[0:1], 0x28
	s_waitcnt lgkmcnt(0)
	v_cmp_gt_u64_e32 vcc, s[2:3], v[4:5]
	s_and_saveexec_b64 s[4:5], vcc
	s_cbranch_execz .LBB1031_17
; %bb.15:
	s_load_dword s12, s[0:1], 0x30
	s_load_dwordx2 s[6:7], s[0:1], 0x20
	s_mov_b32 s5, 0
	s_mov_b32 s1, s5
	s_mul_i32 s0, s18, s19
	s_waitcnt lgkmcnt(0)
	s_add_i32 s4, s12, -1
	s_lshl_b64 s[4:5], s[4:5], 3
	s_add_u32 s4, s10, s4
	v_mad_u64_u32 v[0:1], s[8:9], s12, v4, 0
	s_addc_u32 s5, s11, s5
	v_lshl_add_u64 v[0:1], v[0:1], 3, s[4:5]
	s_mul_hi_u32 s5, s12, s0
	s_mul_i32 s4, s12, s0
	s_lshl_b64 s[4:5], s[4:5], 3
	v_lshl_add_u64 v[2:3], v[4:5], 3, s[6:7]
	s_lshl_b64 s[6:7], s[0:1], 3
	s_mov_b64 s[8:9], 0
.LBB1031_16:                            ; =>This Inner Loop Header: Depth=1
	global_load_dwordx2 v[6:7], v[0:1], off
	v_lshl_add_u64 v[4:5], v[4:5], 0, s[0:1]
	v_cmp_le_u64_e32 vcc, s[2:3], v[4:5]
	v_lshl_add_u64 v[0:1], v[0:1], 0, s[4:5]
	s_or_b64 s[8:9], vcc, s[8:9]
	s_waitcnt vmcnt(0)
	global_store_dwordx2 v[2:3], v[6:7], off
	v_lshl_add_u64 v[2:3], v[2:3], 0, s[6:7]
	s_andn2_b64 exec, exec, s[8:9]
	s_cbranch_execnz .LBB1031_16
.LBB1031_17:
	s_endpgm
	.section	.rodata,"a",@progbits
	.p2align	6, 0x0
	.amdhsa_kernel _ZN7rocprim17ROCPRIM_400000_NS6detail30init_device_scan_by_key_kernelINS1_19lookback_scan_stateINS0_5tupleIJibEEELb0ELb1EEEN6thrust23THRUST_200600_302600_NS6detail15normal_iteratorINS8_10device_ptrIxEEEEjNS1_16block_id_wrapperIjLb1EEEEEvT_jjPNSG_10value_typeET0_PNSt15iterator_traitsISJ_E10value_typeEmT1_T2_
		.amdhsa_group_segment_fixed_size 0
		.amdhsa_private_segment_fixed_size 0
		.amdhsa_kernarg_size 320
		.amdhsa_user_sgpr_count 2
		.amdhsa_user_sgpr_dispatch_ptr 0
		.amdhsa_user_sgpr_queue_ptr 0
		.amdhsa_user_sgpr_kernarg_segment_ptr 1
		.amdhsa_user_sgpr_dispatch_id 0
		.amdhsa_user_sgpr_kernarg_preload_length 0
		.amdhsa_user_sgpr_kernarg_preload_offset 0
		.amdhsa_user_sgpr_private_segment_size 0
		.amdhsa_uses_dynamic_stack 0
		.amdhsa_enable_private_segment 0
		.amdhsa_system_sgpr_workgroup_id_x 1
		.amdhsa_system_sgpr_workgroup_id_y 0
		.amdhsa_system_sgpr_workgroup_id_z 0
		.amdhsa_system_sgpr_workgroup_info 0
		.amdhsa_system_vgpr_workitem_id 0
		.amdhsa_next_free_vgpr 10
		.amdhsa_next_free_sgpr 20
		.amdhsa_accum_offset 12
		.amdhsa_reserve_vcc 1
		.amdhsa_float_round_mode_32 0
		.amdhsa_float_round_mode_16_64 0
		.amdhsa_float_denorm_mode_32 3
		.amdhsa_float_denorm_mode_16_64 3
		.amdhsa_dx10_clamp 1
		.amdhsa_ieee_mode 1
		.amdhsa_fp16_overflow 0
		.amdhsa_tg_split 0
		.amdhsa_exception_fp_ieee_invalid_op 0
		.amdhsa_exception_fp_denorm_src 0
		.amdhsa_exception_fp_ieee_div_zero 0
		.amdhsa_exception_fp_ieee_overflow 0
		.amdhsa_exception_fp_ieee_underflow 0
		.amdhsa_exception_fp_ieee_inexact 0
		.amdhsa_exception_int_div_zero 0
	.end_amdhsa_kernel
	.section	.text._ZN7rocprim17ROCPRIM_400000_NS6detail30init_device_scan_by_key_kernelINS1_19lookback_scan_stateINS0_5tupleIJibEEELb0ELb1EEEN6thrust23THRUST_200600_302600_NS6detail15normal_iteratorINS8_10device_ptrIxEEEEjNS1_16block_id_wrapperIjLb1EEEEEvT_jjPNSG_10value_typeET0_PNSt15iterator_traitsISJ_E10value_typeEmT1_T2_,"axG",@progbits,_ZN7rocprim17ROCPRIM_400000_NS6detail30init_device_scan_by_key_kernelINS1_19lookback_scan_stateINS0_5tupleIJibEEELb0ELb1EEEN6thrust23THRUST_200600_302600_NS6detail15normal_iteratorINS8_10device_ptrIxEEEEjNS1_16block_id_wrapperIjLb1EEEEEvT_jjPNSG_10value_typeET0_PNSt15iterator_traitsISJ_E10value_typeEmT1_T2_,comdat
.Lfunc_end1031:
	.size	_ZN7rocprim17ROCPRIM_400000_NS6detail30init_device_scan_by_key_kernelINS1_19lookback_scan_stateINS0_5tupleIJibEEELb0ELb1EEEN6thrust23THRUST_200600_302600_NS6detail15normal_iteratorINS8_10device_ptrIxEEEEjNS1_16block_id_wrapperIjLb1EEEEEvT_jjPNSG_10value_typeET0_PNSt15iterator_traitsISJ_E10value_typeEmT1_T2_, .Lfunc_end1031-_ZN7rocprim17ROCPRIM_400000_NS6detail30init_device_scan_by_key_kernelINS1_19lookback_scan_stateINS0_5tupleIJibEEELb0ELb1EEEN6thrust23THRUST_200600_302600_NS6detail15normal_iteratorINS8_10device_ptrIxEEEEjNS1_16block_id_wrapperIjLb1EEEEEvT_jjPNSG_10value_typeET0_PNSt15iterator_traitsISJ_E10value_typeEmT1_T2_
                                        ; -- End function
	.section	.AMDGPU.csdata,"",@progbits
; Kernel info:
; codeLenInByte = 548
; NumSgprs: 26
; NumVgprs: 10
; NumAgprs: 0
; TotalNumVgprs: 10
; ScratchSize: 0
; MemoryBound: 0
; FloatMode: 240
; IeeeMode: 1
; LDSByteSize: 0 bytes/workgroup (compile time only)
; SGPRBlocks: 3
; VGPRBlocks: 1
; NumSGPRsForWavesPerEU: 26
; NumVGPRsForWavesPerEU: 10
; AccumOffset: 12
; Occupancy: 8
; WaveLimiterHint : 0
; COMPUTE_PGM_RSRC2:SCRATCH_EN: 0
; COMPUTE_PGM_RSRC2:USER_SGPR: 2
; COMPUTE_PGM_RSRC2:TRAP_HANDLER: 0
; COMPUTE_PGM_RSRC2:TGID_X_EN: 1
; COMPUTE_PGM_RSRC2:TGID_Y_EN: 0
; COMPUTE_PGM_RSRC2:TGID_Z_EN: 0
; COMPUTE_PGM_RSRC2:TIDIG_COMP_CNT: 0
; COMPUTE_PGM_RSRC3_GFX90A:ACCUM_OFFSET: 2
; COMPUTE_PGM_RSRC3_GFX90A:TG_SPLIT: 0
	.section	.text._ZN7rocprim17ROCPRIM_400000_NS6detail17trampoline_kernelINS0_14default_configENS1_27scan_by_key_config_selectorIxiEEZZNS1_16scan_by_key_implILNS1_25lookback_scan_determinismE0ELb1ES3_N6thrust23THRUST_200600_302600_NS6detail15normal_iteratorINS9_10device_ptrIxEEEESE_SE_iNS9_4plusIvEENS9_8equal_toIvEEiEE10hipError_tPvRmT2_T3_T4_T5_mT6_T7_P12ihipStream_tbENKUlT_T0_E_clISt17integral_constantIbLb0EESY_IbLb1EEEEDaSU_SV_EUlSU_E_NS1_11comp_targetILNS1_3genE0ELNS1_11target_archE4294967295ELNS1_3gpuE0ELNS1_3repE0EEENS1_30default_config_static_selectorELNS0_4arch9wavefront6targetE1EEEvT1_,"axG",@progbits,_ZN7rocprim17ROCPRIM_400000_NS6detail17trampoline_kernelINS0_14default_configENS1_27scan_by_key_config_selectorIxiEEZZNS1_16scan_by_key_implILNS1_25lookback_scan_determinismE0ELb1ES3_N6thrust23THRUST_200600_302600_NS6detail15normal_iteratorINS9_10device_ptrIxEEEESE_SE_iNS9_4plusIvEENS9_8equal_toIvEEiEE10hipError_tPvRmT2_T3_T4_T5_mT6_T7_P12ihipStream_tbENKUlT_T0_E_clISt17integral_constantIbLb0EESY_IbLb1EEEEDaSU_SV_EUlSU_E_NS1_11comp_targetILNS1_3genE0ELNS1_11target_archE4294967295ELNS1_3gpuE0ELNS1_3repE0EEENS1_30default_config_static_selectorELNS0_4arch9wavefront6targetE1EEEvT1_,comdat
	.protected	_ZN7rocprim17ROCPRIM_400000_NS6detail17trampoline_kernelINS0_14default_configENS1_27scan_by_key_config_selectorIxiEEZZNS1_16scan_by_key_implILNS1_25lookback_scan_determinismE0ELb1ES3_N6thrust23THRUST_200600_302600_NS6detail15normal_iteratorINS9_10device_ptrIxEEEESE_SE_iNS9_4plusIvEENS9_8equal_toIvEEiEE10hipError_tPvRmT2_T3_T4_T5_mT6_T7_P12ihipStream_tbENKUlT_T0_E_clISt17integral_constantIbLb0EESY_IbLb1EEEEDaSU_SV_EUlSU_E_NS1_11comp_targetILNS1_3genE0ELNS1_11target_archE4294967295ELNS1_3gpuE0ELNS1_3repE0EEENS1_30default_config_static_selectorELNS0_4arch9wavefront6targetE1EEEvT1_ ; -- Begin function _ZN7rocprim17ROCPRIM_400000_NS6detail17trampoline_kernelINS0_14default_configENS1_27scan_by_key_config_selectorIxiEEZZNS1_16scan_by_key_implILNS1_25lookback_scan_determinismE0ELb1ES3_N6thrust23THRUST_200600_302600_NS6detail15normal_iteratorINS9_10device_ptrIxEEEESE_SE_iNS9_4plusIvEENS9_8equal_toIvEEiEE10hipError_tPvRmT2_T3_T4_T5_mT6_T7_P12ihipStream_tbENKUlT_T0_E_clISt17integral_constantIbLb0EESY_IbLb1EEEEDaSU_SV_EUlSU_E_NS1_11comp_targetILNS1_3genE0ELNS1_11target_archE4294967295ELNS1_3gpuE0ELNS1_3repE0EEENS1_30default_config_static_selectorELNS0_4arch9wavefront6targetE1EEEvT1_
	.globl	_ZN7rocprim17ROCPRIM_400000_NS6detail17trampoline_kernelINS0_14default_configENS1_27scan_by_key_config_selectorIxiEEZZNS1_16scan_by_key_implILNS1_25lookback_scan_determinismE0ELb1ES3_N6thrust23THRUST_200600_302600_NS6detail15normal_iteratorINS9_10device_ptrIxEEEESE_SE_iNS9_4plusIvEENS9_8equal_toIvEEiEE10hipError_tPvRmT2_T3_T4_T5_mT6_T7_P12ihipStream_tbENKUlT_T0_E_clISt17integral_constantIbLb0EESY_IbLb1EEEEDaSU_SV_EUlSU_E_NS1_11comp_targetILNS1_3genE0ELNS1_11target_archE4294967295ELNS1_3gpuE0ELNS1_3repE0EEENS1_30default_config_static_selectorELNS0_4arch9wavefront6targetE1EEEvT1_
	.p2align	8
	.type	_ZN7rocprim17ROCPRIM_400000_NS6detail17trampoline_kernelINS0_14default_configENS1_27scan_by_key_config_selectorIxiEEZZNS1_16scan_by_key_implILNS1_25lookback_scan_determinismE0ELb1ES3_N6thrust23THRUST_200600_302600_NS6detail15normal_iteratorINS9_10device_ptrIxEEEESE_SE_iNS9_4plusIvEENS9_8equal_toIvEEiEE10hipError_tPvRmT2_T3_T4_T5_mT6_T7_P12ihipStream_tbENKUlT_T0_E_clISt17integral_constantIbLb0EESY_IbLb1EEEEDaSU_SV_EUlSU_E_NS1_11comp_targetILNS1_3genE0ELNS1_11target_archE4294967295ELNS1_3gpuE0ELNS1_3repE0EEENS1_30default_config_static_selectorELNS0_4arch9wavefront6targetE1EEEvT1_,@function
_ZN7rocprim17ROCPRIM_400000_NS6detail17trampoline_kernelINS0_14default_configENS1_27scan_by_key_config_selectorIxiEEZZNS1_16scan_by_key_implILNS1_25lookback_scan_determinismE0ELb1ES3_N6thrust23THRUST_200600_302600_NS6detail15normal_iteratorINS9_10device_ptrIxEEEESE_SE_iNS9_4plusIvEENS9_8equal_toIvEEiEE10hipError_tPvRmT2_T3_T4_T5_mT6_T7_P12ihipStream_tbENKUlT_T0_E_clISt17integral_constantIbLb0EESY_IbLb1EEEEDaSU_SV_EUlSU_E_NS1_11comp_targetILNS1_3genE0ELNS1_11target_archE4294967295ELNS1_3gpuE0ELNS1_3repE0EEENS1_30default_config_static_selectorELNS0_4arch9wavefront6targetE1EEEvT1_: ; @_ZN7rocprim17ROCPRIM_400000_NS6detail17trampoline_kernelINS0_14default_configENS1_27scan_by_key_config_selectorIxiEEZZNS1_16scan_by_key_implILNS1_25lookback_scan_determinismE0ELb1ES3_N6thrust23THRUST_200600_302600_NS6detail15normal_iteratorINS9_10device_ptrIxEEEESE_SE_iNS9_4plusIvEENS9_8equal_toIvEEiEE10hipError_tPvRmT2_T3_T4_T5_mT6_T7_P12ihipStream_tbENKUlT_T0_E_clISt17integral_constantIbLb0EESY_IbLb1EEEEDaSU_SV_EUlSU_E_NS1_11comp_targetILNS1_3genE0ELNS1_11target_archE4294967295ELNS1_3gpuE0ELNS1_3repE0EEENS1_30default_config_static_selectorELNS0_4arch9wavefront6targetE1EEEvT1_
; %bb.0:
	.section	.rodata,"a",@progbits
	.p2align	6, 0x0
	.amdhsa_kernel _ZN7rocprim17ROCPRIM_400000_NS6detail17trampoline_kernelINS0_14default_configENS1_27scan_by_key_config_selectorIxiEEZZNS1_16scan_by_key_implILNS1_25lookback_scan_determinismE0ELb1ES3_N6thrust23THRUST_200600_302600_NS6detail15normal_iteratorINS9_10device_ptrIxEEEESE_SE_iNS9_4plusIvEENS9_8equal_toIvEEiEE10hipError_tPvRmT2_T3_T4_T5_mT6_T7_P12ihipStream_tbENKUlT_T0_E_clISt17integral_constantIbLb0EESY_IbLb1EEEEDaSU_SV_EUlSU_E_NS1_11comp_targetILNS1_3genE0ELNS1_11target_archE4294967295ELNS1_3gpuE0ELNS1_3repE0EEENS1_30default_config_static_selectorELNS0_4arch9wavefront6targetE1EEEvT1_
		.amdhsa_group_segment_fixed_size 0
		.amdhsa_private_segment_fixed_size 0
		.amdhsa_kernarg_size 112
		.amdhsa_user_sgpr_count 2
		.amdhsa_user_sgpr_dispatch_ptr 0
		.amdhsa_user_sgpr_queue_ptr 0
		.amdhsa_user_sgpr_kernarg_segment_ptr 1
		.amdhsa_user_sgpr_dispatch_id 0
		.amdhsa_user_sgpr_kernarg_preload_length 0
		.amdhsa_user_sgpr_kernarg_preload_offset 0
		.amdhsa_user_sgpr_private_segment_size 0
		.amdhsa_uses_dynamic_stack 0
		.amdhsa_enable_private_segment 0
		.amdhsa_system_sgpr_workgroup_id_x 1
		.amdhsa_system_sgpr_workgroup_id_y 0
		.amdhsa_system_sgpr_workgroup_id_z 0
		.amdhsa_system_sgpr_workgroup_info 0
		.amdhsa_system_vgpr_workitem_id 0
		.amdhsa_next_free_vgpr 1
		.amdhsa_next_free_sgpr 0
		.amdhsa_accum_offset 4
		.amdhsa_reserve_vcc 0
		.amdhsa_float_round_mode_32 0
		.amdhsa_float_round_mode_16_64 0
		.amdhsa_float_denorm_mode_32 3
		.amdhsa_float_denorm_mode_16_64 3
		.amdhsa_dx10_clamp 1
		.amdhsa_ieee_mode 1
		.amdhsa_fp16_overflow 0
		.amdhsa_tg_split 0
		.amdhsa_exception_fp_ieee_invalid_op 0
		.amdhsa_exception_fp_denorm_src 0
		.amdhsa_exception_fp_ieee_div_zero 0
		.amdhsa_exception_fp_ieee_overflow 0
		.amdhsa_exception_fp_ieee_underflow 0
		.amdhsa_exception_fp_ieee_inexact 0
		.amdhsa_exception_int_div_zero 0
	.end_amdhsa_kernel
	.section	.text._ZN7rocprim17ROCPRIM_400000_NS6detail17trampoline_kernelINS0_14default_configENS1_27scan_by_key_config_selectorIxiEEZZNS1_16scan_by_key_implILNS1_25lookback_scan_determinismE0ELb1ES3_N6thrust23THRUST_200600_302600_NS6detail15normal_iteratorINS9_10device_ptrIxEEEESE_SE_iNS9_4plusIvEENS9_8equal_toIvEEiEE10hipError_tPvRmT2_T3_T4_T5_mT6_T7_P12ihipStream_tbENKUlT_T0_E_clISt17integral_constantIbLb0EESY_IbLb1EEEEDaSU_SV_EUlSU_E_NS1_11comp_targetILNS1_3genE0ELNS1_11target_archE4294967295ELNS1_3gpuE0ELNS1_3repE0EEENS1_30default_config_static_selectorELNS0_4arch9wavefront6targetE1EEEvT1_,"axG",@progbits,_ZN7rocprim17ROCPRIM_400000_NS6detail17trampoline_kernelINS0_14default_configENS1_27scan_by_key_config_selectorIxiEEZZNS1_16scan_by_key_implILNS1_25lookback_scan_determinismE0ELb1ES3_N6thrust23THRUST_200600_302600_NS6detail15normal_iteratorINS9_10device_ptrIxEEEESE_SE_iNS9_4plusIvEENS9_8equal_toIvEEiEE10hipError_tPvRmT2_T3_T4_T5_mT6_T7_P12ihipStream_tbENKUlT_T0_E_clISt17integral_constantIbLb0EESY_IbLb1EEEEDaSU_SV_EUlSU_E_NS1_11comp_targetILNS1_3genE0ELNS1_11target_archE4294967295ELNS1_3gpuE0ELNS1_3repE0EEENS1_30default_config_static_selectorELNS0_4arch9wavefront6targetE1EEEvT1_,comdat
.Lfunc_end1032:
	.size	_ZN7rocprim17ROCPRIM_400000_NS6detail17trampoline_kernelINS0_14default_configENS1_27scan_by_key_config_selectorIxiEEZZNS1_16scan_by_key_implILNS1_25lookback_scan_determinismE0ELb1ES3_N6thrust23THRUST_200600_302600_NS6detail15normal_iteratorINS9_10device_ptrIxEEEESE_SE_iNS9_4plusIvEENS9_8equal_toIvEEiEE10hipError_tPvRmT2_T3_T4_T5_mT6_T7_P12ihipStream_tbENKUlT_T0_E_clISt17integral_constantIbLb0EESY_IbLb1EEEEDaSU_SV_EUlSU_E_NS1_11comp_targetILNS1_3genE0ELNS1_11target_archE4294967295ELNS1_3gpuE0ELNS1_3repE0EEENS1_30default_config_static_selectorELNS0_4arch9wavefront6targetE1EEEvT1_, .Lfunc_end1032-_ZN7rocprim17ROCPRIM_400000_NS6detail17trampoline_kernelINS0_14default_configENS1_27scan_by_key_config_selectorIxiEEZZNS1_16scan_by_key_implILNS1_25lookback_scan_determinismE0ELb1ES3_N6thrust23THRUST_200600_302600_NS6detail15normal_iteratorINS9_10device_ptrIxEEEESE_SE_iNS9_4plusIvEENS9_8equal_toIvEEiEE10hipError_tPvRmT2_T3_T4_T5_mT6_T7_P12ihipStream_tbENKUlT_T0_E_clISt17integral_constantIbLb0EESY_IbLb1EEEEDaSU_SV_EUlSU_E_NS1_11comp_targetILNS1_3genE0ELNS1_11target_archE4294967295ELNS1_3gpuE0ELNS1_3repE0EEENS1_30default_config_static_selectorELNS0_4arch9wavefront6targetE1EEEvT1_
                                        ; -- End function
	.section	.AMDGPU.csdata,"",@progbits
; Kernel info:
; codeLenInByte = 0
; NumSgprs: 6
; NumVgprs: 0
; NumAgprs: 0
; TotalNumVgprs: 0
; ScratchSize: 0
; MemoryBound: 0
; FloatMode: 240
; IeeeMode: 1
; LDSByteSize: 0 bytes/workgroup (compile time only)
; SGPRBlocks: 0
; VGPRBlocks: 0
; NumSGPRsForWavesPerEU: 6
; NumVGPRsForWavesPerEU: 1
; AccumOffset: 4
; Occupancy: 8
; WaveLimiterHint : 0
; COMPUTE_PGM_RSRC2:SCRATCH_EN: 0
; COMPUTE_PGM_RSRC2:USER_SGPR: 2
; COMPUTE_PGM_RSRC2:TRAP_HANDLER: 0
; COMPUTE_PGM_RSRC2:TGID_X_EN: 1
; COMPUTE_PGM_RSRC2:TGID_Y_EN: 0
; COMPUTE_PGM_RSRC2:TGID_Z_EN: 0
; COMPUTE_PGM_RSRC2:TIDIG_COMP_CNT: 0
; COMPUTE_PGM_RSRC3_GFX90A:ACCUM_OFFSET: 0
; COMPUTE_PGM_RSRC3_GFX90A:TG_SPLIT: 0
	.section	.text._ZN7rocprim17ROCPRIM_400000_NS6detail17trampoline_kernelINS0_14default_configENS1_27scan_by_key_config_selectorIxiEEZZNS1_16scan_by_key_implILNS1_25lookback_scan_determinismE0ELb1ES3_N6thrust23THRUST_200600_302600_NS6detail15normal_iteratorINS9_10device_ptrIxEEEESE_SE_iNS9_4plusIvEENS9_8equal_toIvEEiEE10hipError_tPvRmT2_T3_T4_T5_mT6_T7_P12ihipStream_tbENKUlT_T0_E_clISt17integral_constantIbLb0EESY_IbLb1EEEEDaSU_SV_EUlSU_E_NS1_11comp_targetILNS1_3genE10ELNS1_11target_archE1201ELNS1_3gpuE5ELNS1_3repE0EEENS1_30default_config_static_selectorELNS0_4arch9wavefront6targetE1EEEvT1_,"axG",@progbits,_ZN7rocprim17ROCPRIM_400000_NS6detail17trampoline_kernelINS0_14default_configENS1_27scan_by_key_config_selectorIxiEEZZNS1_16scan_by_key_implILNS1_25lookback_scan_determinismE0ELb1ES3_N6thrust23THRUST_200600_302600_NS6detail15normal_iteratorINS9_10device_ptrIxEEEESE_SE_iNS9_4plusIvEENS9_8equal_toIvEEiEE10hipError_tPvRmT2_T3_T4_T5_mT6_T7_P12ihipStream_tbENKUlT_T0_E_clISt17integral_constantIbLb0EESY_IbLb1EEEEDaSU_SV_EUlSU_E_NS1_11comp_targetILNS1_3genE10ELNS1_11target_archE1201ELNS1_3gpuE5ELNS1_3repE0EEENS1_30default_config_static_selectorELNS0_4arch9wavefront6targetE1EEEvT1_,comdat
	.protected	_ZN7rocprim17ROCPRIM_400000_NS6detail17trampoline_kernelINS0_14default_configENS1_27scan_by_key_config_selectorIxiEEZZNS1_16scan_by_key_implILNS1_25lookback_scan_determinismE0ELb1ES3_N6thrust23THRUST_200600_302600_NS6detail15normal_iteratorINS9_10device_ptrIxEEEESE_SE_iNS9_4plusIvEENS9_8equal_toIvEEiEE10hipError_tPvRmT2_T3_T4_T5_mT6_T7_P12ihipStream_tbENKUlT_T0_E_clISt17integral_constantIbLb0EESY_IbLb1EEEEDaSU_SV_EUlSU_E_NS1_11comp_targetILNS1_3genE10ELNS1_11target_archE1201ELNS1_3gpuE5ELNS1_3repE0EEENS1_30default_config_static_selectorELNS0_4arch9wavefront6targetE1EEEvT1_ ; -- Begin function _ZN7rocprim17ROCPRIM_400000_NS6detail17trampoline_kernelINS0_14default_configENS1_27scan_by_key_config_selectorIxiEEZZNS1_16scan_by_key_implILNS1_25lookback_scan_determinismE0ELb1ES3_N6thrust23THRUST_200600_302600_NS6detail15normal_iteratorINS9_10device_ptrIxEEEESE_SE_iNS9_4plusIvEENS9_8equal_toIvEEiEE10hipError_tPvRmT2_T3_T4_T5_mT6_T7_P12ihipStream_tbENKUlT_T0_E_clISt17integral_constantIbLb0EESY_IbLb1EEEEDaSU_SV_EUlSU_E_NS1_11comp_targetILNS1_3genE10ELNS1_11target_archE1201ELNS1_3gpuE5ELNS1_3repE0EEENS1_30default_config_static_selectorELNS0_4arch9wavefront6targetE1EEEvT1_
	.globl	_ZN7rocprim17ROCPRIM_400000_NS6detail17trampoline_kernelINS0_14default_configENS1_27scan_by_key_config_selectorIxiEEZZNS1_16scan_by_key_implILNS1_25lookback_scan_determinismE0ELb1ES3_N6thrust23THRUST_200600_302600_NS6detail15normal_iteratorINS9_10device_ptrIxEEEESE_SE_iNS9_4plusIvEENS9_8equal_toIvEEiEE10hipError_tPvRmT2_T3_T4_T5_mT6_T7_P12ihipStream_tbENKUlT_T0_E_clISt17integral_constantIbLb0EESY_IbLb1EEEEDaSU_SV_EUlSU_E_NS1_11comp_targetILNS1_3genE10ELNS1_11target_archE1201ELNS1_3gpuE5ELNS1_3repE0EEENS1_30default_config_static_selectorELNS0_4arch9wavefront6targetE1EEEvT1_
	.p2align	8
	.type	_ZN7rocprim17ROCPRIM_400000_NS6detail17trampoline_kernelINS0_14default_configENS1_27scan_by_key_config_selectorIxiEEZZNS1_16scan_by_key_implILNS1_25lookback_scan_determinismE0ELb1ES3_N6thrust23THRUST_200600_302600_NS6detail15normal_iteratorINS9_10device_ptrIxEEEESE_SE_iNS9_4plusIvEENS9_8equal_toIvEEiEE10hipError_tPvRmT2_T3_T4_T5_mT6_T7_P12ihipStream_tbENKUlT_T0_E_clISt17integral_constantIbLb0EESY_IbLb1EEEEDaSU_SV_EUlSU_E_NS1_11comp_targetILNS1_3genE10ELNS1_11target_archE1201ELNS1_3gpuE5ELNS1_3repE0EEENS1_30default_config_static_selectorELNS0_4arch9wavefront6targetE1EEEvT1_,@function
_ZN7rocprim17ROCPRIM_400000_NS6detail17trampoline_kernelINS0_14default_configENS1_27scan_by_key_config_selectorIxiEEZZNS1_16scan_by_key_implILNS1_25lookback_scan_determinismE0ELb1ES3_N6thrust23THRUST_200600_302600_NS6detail15normal_iteratorINS9_10device_ptrIxEEEESE_SE_iNS9_4plusIvEENS9_8equal_toIvEEiEE10hipError_tPvRmT2_T3_T4_T5_mT6_T7_P12ihipStream_tbENKUlT_T0_E_clISt17integral_constantIbLb0EESY_IbLb1EEEEDaSU_SV_EUlSU_E_NS1_11comp_targetILNS1_3genE10ELNS1_11target_archE1201ELNS1_3gpuE5ELNS1_3repE0EEENS1_30default_config_static_selectorELNS0_4arch9wavefront6targetE1EEEvT1_: ; @_ZN7rocprim17ROCPRIM_400000_NS6detail17trampoline_kernelINS0_14default_configENS1_27scan_by_key_config_selectorIxiEEZZNS1_16scan_by_key_implILNS1_25lookback_scan_determinismE0ELb1ES3_N6thrust23THRUST_200600_302600_NS6detail15normal_iteratorINS9_10device_ptrIxEEEESE_SE_iNS9_4plusIvEENS9_8equal_toIvEEiEE10hipError_tPvRmT2_T3_T4_T5_mT6_T7_P12ihipStream_tbENKUlT_T0_E_clISt17integral_constantIbLb0EESY_IbLb1EEEEDaSU_SV_EUlSU_E_NS1_11comp_targetILNS1_3genE10ELNS1_11target_archE1201ELNS1_3gpuE5ELNS1_3repE0EEENS1_30default_config_static_selectorELNS0_4arch9wavefront6targetE1EEEvT1_
; %bb.0:
	.section	.rodata,"a",@progbits
	.p2align	6, 0x0
	.amdhsa_kernel _ZN7rocprim17ROCPRIM_400000_NS6detail17trampoline_kernelINS0_14default_configENS1_27scan_by_key_config_selectorIxiEEZZNS1_16scan_by_key_implILNS1_25lookback_scan_determinismE0ELb1ES3_N6thrust23THRUST_200600_302600_NS6detail15normal_iteratorINS9_10device_ptrIxEEEESE_SE_iNS9_4plusIvEENS9_8equal_toIvEEiEE10hipError_tPvRmT2_T3_T4_T5_mT6_T7_P12ihipStream_tbENKUlT_T0_E_clISt17integral_constantIbLb0EESY_IbLb1EEEEDaSU_SV_EUlSU_E_NS1_11comp_targetILNS1_3genE10ELNS1_11target_archE1201ELNS1_3gpuE5ELNS1_3repE0EEENS1_30default_config_static_selectorELNS0_4arch9wavefront6targetE1EEEvT1_
		.amdhsa_group_segment_fixed_size 0
		.amdhsa_private_segment_fixed_size 0
		.amdhsa_kernarg_size 112
		.amdhsa_user_sgpr_count 2
		.amdhsa_user_sgpr_dispatch_ptr 0
		.amdhsa_user_sgpr_queue_ptr 0
		.amdhsa_user_sgpr_kernarg_segment_ptr 1
		.amdhsa_user_sgpr_dispatch_id 0
		.amdhsa_user_sgpr_kernarg_preload_length 0
		.amdhsa_user_sgpr_kernarg_preload_offset 0
		.amdhsa_user_sgpr_private_segment_size 0
		.amdhsa_uses_dynamic_stack 0
		.amdhsa_enable_private_segment 0
		.amdhsa_system_sgpr_workgroup_id_x 1
		.amdhsa_system_sgpr_workgroup_id_y 0
		.amdhsa_system_sgpr_workgroup_id_z 0
		.amdhsa_system_sgpr_workgroup_info 0
		.amdhsa_system_vgpr_workitem_id 0
		.amdhsa_next_free_vgpr 1
		.amdhsa_next_free_sgpr 0
		.amdhsa_accum_offset 4
		.amdhsa_reserve_vcc 0
		.amdhsa_float_round_mode_32 0
		.amdhsa_float_round_mode_16_64 0
		.amdhsa_float_denorm_mode_32 3
		.amdhsa_float_denorm_mode_16_64 3
		.amdhsa_dx10_clamp 1
		.amdhsa_ieee_mode 1
		.amdhsa_fp16_overflow 0
		.amdhsa_tg_split 0
		.amdhsa_exception_fp_ieee_invalid_op 0
		.amdhsa_exception_fp_denorm_src 0
		.amdhsa_exception_fp_ieee_div_zero 0
		.amdhsa_exception_fp_ieee_overflow 0
		.amdhsa_exception_fp_ieee_underflow 0
		.amdhsa_exception_fp_ieee_inexact 0
		.amdhsa_exception_int_div_zero 0
	.end_amdhsa_kernel
	.section	.text._ZN7rocprim17ROCPRIM_400000_NS6detail17trampoline_kernelINS0_14default_configENS1_27scan_by_key_config_selectorIxiEEZZNS1_16scan_by_key_implILNS1_25lookback_scan_determinismE0ELb1ES3_N6thrust23THRUST_200600_302600_NS6detail15normal_iteratorINS9_10device_ptrIxEEEESE_SE_iNS9_4plusIvEENS9_8equal_toIvEEiEE10hipError_tPvRmT2_T3_T4_T5_mT6_T7_P12ihipStream_tbENKUlT_T0_E_clISt17integral_constantIbLb0EESY_IbLb1EEEEDaSU_SV_EUlSU_E_NS1_11comp_targetILNS1_3genE10ELNS1_11target_archE1201ELNS1_3gpuE5ELNS1_3repE0EEENS1_30default_config_static_selectorELNS0_4arch9wavefront6targetE1EEEvT1_,"axG",@progbits,_ZN7rocprim17ROCPRIM_400000_NS6detail17trampoline_kernelINS0_14default_configENS1_27scan_by_key_config_selectorIxiEEZZNS1_16scan_by_key_implILNS1_25lookback_scan_determinismE0ELb1ES3_N6thrust23THRUST_200600_302600_NS6detail15normal_iteratorINS9_10device_ptrIxEEEESE_SE_iNS9_4plusIvEENS9_8equal_toIvEEiEE10hipError_tPvRmT2_T3_T4_T5_mT6_T7_P12ihipStream_tbENKUlT_T0_E_clISt17integral_constantIbLb0EESY_IbLb1EEEEDaSU_SV_EUlSU_E_NS1_11comp_targetILNS1_3genE10ELNS1_11target_archE1201ELNS1_3gpuE5ELNS1_3repE0EEENS1_30default_config_static_selectorELNS0_4arch9wavefront6targetE1EEEvT1_,comdat
.Lfunc_end1033:
	.size	_ZN7rocprim17ROCPRIM_400000_NS6detail17trampoline_kernelINS0_14default_configENS1_27scan_by_key_config_selectorIxiEEZZNS1_16scan_by_key_implILNS1_25lookback_scan_determinismE0ELb1ES3_N6thrust23THRUST_200600_302600_NS6detail15normal_iteratorINS9_10device_ptrIxEEEESE_SE_iNS9_4plusIvEENS9_8equal_toIvEEiEE10hipError_tPvRmT2_T3_T4_T5_mT6_T7_P12ihipStream_tbENKUlT_T0_E_clISt17integral_constantIbLb0EESY_IbLb1EEEEDaSU_SV_EUlSU_E_NS1_11comp_targetILNS1_3genE10ELNS1_11target_archE1201ELNS1_3gpuE5ELNS1_3repE0EEENS1_30default_config_static_selectorELNS0_4arch9wavefront6targetE1EEEvT1_, .Lfunc_end1033-_ZN7rocprim17ROCPRIM_400000_NS6detail17trampoline_kernelINS0_14default_configENS1_27scan_by_key_config_selectorIxiEEZZNS1_16scan_by_key_implILNS1_25lookback_scan_determinismE0ELb1ES3_N6thrust23THRUST_200600_302600_NS6detail15normal_iteratorINS9_10device_ptrIxEEEESE_SE_iNS9_4plusIvEENS9_8equal_toIvEEiEE10hipError_tPvRmT2_T3_T4_T5_mT6_T7_P12ihipStream_tbENKUlT_T0_E_clISt17integral_constantIbLb0EESY_IbLb1EEEEDaSU_SV_EUlSU_E_NS1_11comp_targetILNS1_3genE10ELNS1_11target_archE1201ELNS1_3gpuE5ELNS1_3repE0EEENS1_30default_config_static_selectorELNS0_4arch9wavefront6targetE1EEEvT1_
                                        ; -- End function
	.section	.AMDGPU.csdata,"",@progbits
; Kernel info:
; codeLenInByte = 0
; NumSgprs: 6
; NumVgprs: 0
; NumAgprs: 0
; TotalNumVgprs: 0
; ScratchSize: 0
; MemoryBound: 0
; FloatMode: 240
; IeeeMode: 1
; LDSByteSize: 0 bytes/workgroup (compile time only)
; SGPRBlocks: 0
; VGPRBlocks: 0
; NumSGPRsForWavesPerEU: 6
; NumVGPRsForWavesPerEU: 1
; AccumOffset: 4
; Occupancy: 8
; WaveLimiterHint : 0
; COMPUTE_PGM_RSRC2:SCRATCH_EN: 0
; COMPUTE_PGM_RSRC2:USER_SGPR: 2
; COMPUTE_PGM_RSRC2:TRAP_HANDLER: 0
; COMPUTE_PGM_RSRC2:TGID_X_EN: 1
; COMPUTE_PGM_RSRC2:TGID_Y_EN: 0
; COMPUTE_PGM_RSRC2:TGID_Z_EN: 0
; COMPUTE_PGM_RSRC2:TIDIG_COMP_CNT: 0
; COMPUTE_PGM_RSRC3_GFX90A:ACCUM_OFFSET: 0
; COMPUTE_PGM_RSRC3_GFX90A:TG_SPLIT: 0
	.section	.text._ZN7rocprim17ROCPRIM_400000_NS6detail17trampoline_kernelINS0_14default_configENS1_27scan_by_key_config_selectorIxiEEZZNS1_16scan_by_key_implILNS1_25lookback_scan_determinismE0ELb1ES3_N6thrust23THRUST_200600_302600_NS6detail15normal_iteratorINS9_10device_ptrIxEEEESE_SE_iNS9_4plusIvEENS9_8equal_toIvEEiEE10hipError_tPvRmT2_T3_T4_T5_mT6_T7_P12ihipStream_tbENKUlT_T0_E_clISt17integral_constantIbLb0EESY_IbLb1EEEEDaSU_SV_EUlSU_E_NS1_11comp_targetILNS1_3genE5ELNS1_11target_archE942ELNS1_3gpuE9ELNS1_3repE0EEENS1_30default_config_static_selectorELNS0_4arch9wavefront6targetE1EEEvT1_,"axG",@progbits,_ZN7rocprim17ROCPRIM_400000_NS6detail17trampoline_kernelINS0_14default_configENS1_27scan_by_key_config_selectorIxiEEZZNS1_16scan_by_key_implILNS1_25lookback_scan_determinismE0ELb1ES3_N6thrust23THRUST_200600_302600_NS6detail15normal_iteratorINS9_10device_ptrIxEEEESE_SE_iNS9_4plusIvEENS9_8equal_toIvEEiEE10hipError_tPvRmT2_T3_T4_T5_mT6_T7_P12ihipStream_tbENKUlT_T0_E_clISt17integral_constantIbLb0EESY_IbLb1EEEEDaSU_SV_EUlSU_E_NS1_11comp_targetILNS1_3genE5ELNS1_11target_archE942ELNS1_3gpuE9ELNS1_3repE0EEENS1_30default_config_static_selectorELNS0_4arch9wavefront6targetE1EEEvT1_,comdat
	.protected	_ZN7rocprim17ROCPRIM_400000_NS6detail17trampoline_kernelINS0_14default_configENS1_27scan_by_key_config_selectorIxiEEZZNS1_16scan_by_key_implILNS1_25lookback_scan_determinismE0ELb1ES3_N6thrust23THRUST_200600_302600_NS6detail15normal_iteratorINS9_10device_ptrIxEEEESE_SE_iNS9_4plusIvEENS9_8equal_toIvEEiEE10hipError_tPvRmT2_T3_T4_T5_mT6_T7_P12ihipStream_tbENKUlT_T0_E_clISt17integral_constantIbLb0EESY_IbLb1EEEEDaSU_SV_EUlSU_E_NS1_11comp_targetILNS1_3genE5ELNS1_11target_archE942ELNS1_3gpuE9ELNS1_3repE0EEENS1_30default_config_static_selectorELNS0_4arch9wavefront6targetE1EEEvT1_ ; -- Begin function _ZN7rocprim17ROCPRIM_400000_NS6detail17trampoline_kernelINS0_14default_configENS1_27scan_by_key_config_selectorIxiEEZZNS1_16scan_by_key_implILNS1_25lookback_scan_determinismE0ELb1ES3_N6thrust23THRUST_200600_302600_NS6detail15normal_iteratorINS9_10device_ptrIxEEEESE_SE_iNS9_4plusIvEENS9_8equal_toIvEEiEE10hipError_tPvRmT2_T3_T4_T5_mT6_T7_P12ihipStream_tbENKUlT_T0_E_clISt17integral_constantIbLb0EESY_IbLb1EEEEDaSU_SV_EUlSU_E_NS1_11comp_targetILNS1_3genE5ELNS1_11target_archE942ELNS1_3gpuE9ELNS1_3repE0EEENS1_30default_config_static_selectorELNS0_4arch9wavefront6targetE1EEEvT1_
	.globl	_ZN7rocprim17ROCPRIM_400000_NS6detail17trampoline_kernelINS0_14default_configENS1_27scan_by_key_config_selectorIxiEEZZNS1_16scan_by_key_implILNS1_25lookback_scan_determinismE0ELb1ES3_N6thrust23THRUST_200600_302600_NS6detail15normal_iteratorINS9_10device_ptrIxEEEESE_SE_iNS9_4plusIvEENS9_8equal_toIvEEiEE10hipError_tPvRmT2_T3_T4_T5_mT6_T7_P12ihipStream_tbENKUlT_T0_E_clISt17integral_constantIbLb0EESY_IbLb1EEEEDaSU_SV_EUlSU_E_NS1_11comp_targetILNS1_3genE5ELNS1_11target_archE942ELNS1_3gpuE9ELNS1_3repE0EEENS1_30default_config_static_selectorELNS0_4arch9wavefront6targetE1EEEvT1_
	.p2align	8
	.type	_ZN7rocprim17ROCPRIM_400000_NS6detail17trampoline_kernelINS0_14default_configENS1_27scan_by_key_config_selectorIxiEEZZNS1_16scan_by_key_implILNS1_25lookback_scan_determinismE0ELb1ES3_N6thrust23THRUST_200600_302600_NS6detail15normal_iteratorINS9_10device_ptrIxEEEESE_SE_iNS9_4plusIvEENS9_8equal_toIvEEiEE10hipError_tPvRmT2_T3_T4_T5_mT6_T7_P12ihipStream_tbENKUlT_T0_E_clISt17integral_constantIbLb0EESY_IbLb1EEEEDaSU_SV_EUlSU_E_NS1_11comp_targetILNS1_3genE5ELNS1_11target_archE942ELNS1_3gpuE9ELNS1_3repE0EEENS1_30default_config_static_selectorELNS0_4arch9wavefront6targetE1EEEvT1_,@function
_ZN7rocprim17ROCPRIM_400000_NS6detail17trampoline_kernelINS0_14default_configENS1_27scan_by_key_config_selectorIxiEEZZNS1_16scan_by_key_implILNS1_25lookback_scan_determinismE0ELb1ES3_N6thrust23THRUST_200600_302600_NS6detail15normal_iteratorINS9_10device_ptrIxEEEESE_SE_iNS9_4plusIvEENS9_8equal_toIvEEiEE10hipError_tPvRmT2_T3_T4_T5_mT6_T7_P12ihipStream_tbENKUlT_T0_E_clISt17integral_constantIbLb0EESY_IbLb1EEEEDaSU_SV_EUlSU_E_NS1_11comp_targetILNS1_3genE5ELNS1_11target_archE942ELNS1_3gpuE9ELNS1_3repE0EEENS1_30default_config_static_selectorELNS0_4arch9wavefront6targetE1EEEvT1_: ; @_ZN7rocprim17ROCPRIM_400000_NS6detail17trampoline_kernelINS0_14default_configENS1_27scan_by_key_config_selectorIxiEEZZNS1_16scan_by_key_implILNS1_25lookback_scan_determinismE0ELb1ES3_N6thrust23THRUST_200600_302600_NS6detail15normal_iteratorINS9_10device_ptrIxEEEESE_SE_iNS9_4plusIvEENS9_8equal_toIvEEiEE10hipError_tPvRmT2_T3_T4_T5_mT6_T7_P12ihipStream_tbENKUlT_T0_E_clISt17integral_constantIbLb0EESY_IbLb1EEEEDaSU_SV_EUlSU_E_NS1_11comp_targetILNS1_3genE5ELNS1_11target_archE942ELNS1_3gpuE9ELNS1_3repE0EEENS1_30default_config_static_selectorELNS0_4arch9wavefront6targetE1EEEvT1_
; %bb.0:
	s_load_dword s54, s[0:1], 0x20
	s_load_dwordx4 s[44:47], s[0:1], 0x28
	s_load_dwordx2 s[52:53], s[0:1], 0x38
	v_cmp_ne_u32_e64 s[4:5], 0, v0
	v_cmp_eq_u32_e64 s[34:35], 0, v0
	s_and_saveexec_b64 s[2:3], s[34:35]
	s_cbranch_execz .LBB1034_4
; %bb.1:
	s_mov_b64 s[8:9], exec
	v_mbcnt_lo_u32_b32 v1, s8, 0
	v_mbcnt_hi_u32_b32 v1, s9, v1
	v_cmp_eq_u32_e32 vcc, 0, v1
                                        ; implicit-def: $vgpr2
	s_and_saveexec_b64 s[6:7], vcc
	s_cbranch_execz .LBB1034_3
; %bb.2:
	s_load_dwordx2 s[10:11], s[0:1], 0x68
	s_bcnt1_i32_b64 s8, s[8:9]
	v_mov_b32_e32 v2, 0
	v_mov_b32_e32 v3, s8
	s_waitcnt lgkmcnt(0)
	global_atomic_add v2, v2, v3, s[10:11] sc0
.LBB1034_3:
	s_or_b64 exec, exec, s[6:7]
	s_waitcnt vmcnt(0)
	v_readfirstlane_b32 s6, v2
	v_mov_b32_e32 v2, 0
	s_nop 0
	v_add_u32_e32 v1, s6, v1
	ds_write_b32 v2, v1
.LBB1034_4:
	s_or_b64 exec, exec, s[2:3]
	s_load_dwordx8 s[36:43], s[0:1], 0x0
	s_load_dword s2, s[0:1], 0x40
	s_load_dwordx4 s[48:51], s[0:1], 0x48
	v_mov_b32_e32 v3, 0
	s_waitcnt lgkmcnt(0)
	s_lshl_b64 s[38:39], s[38:39], 3
	s_barrier
	ds_read_b32 v2, v3
	s_add_u32 s0, s36, s38
	s_addc_u32 s1, s37, s39
	s_add_u32 s6, s40, s38
	s_mul_i32 s3, s53, s2
	s_mul_hi_u32 s8, s52, s2
	s_addc_u32 s7, s41, s39
	s_add_i32 s3, s8, s3
	s_movk_i32 s8, 0xe00
	s_waitcnt lgkmcnt(0)
	v_mul_lo_u32 v4, v2, s8
	v_mov_b32_e32 v5, v3
	v_lshlrev_b64 v[30:31], 3, v[4:5]
	s_mul_i32 s2, s52, s2
	v_lshl_add_u64 v[60:61], s[6:7], 0, v[30:31]
	s_add_u32 s6, s48, -1
	v_readfirstlane_b32 s47, v2
	v_lshl_add_u64 v[2:3], s[2:3], 0, v[2:3]
	s_addc_u32 s7, s49, -1
	v_cmp_le_u64_e64 s[2:3], s[6:7], v[2:3]
	v_lshl_add_u64 v[62:63], s[0:1], 0, v[30:31]
	s_mov_b64 s[0:1], -1
	s_and_b64 vcc, exec, s[2:3]
	s_mul_i32 s33, s6, 0xfffff200
	s_barrier
	s_barrier
	s_cbranch_vccz .LBB1034_80
; %bb.5:
	flat_load_dwordx2 v[2:3], v[62:63]
	s_add_i32 s48, s33, s46
	v_cmp_gt_u32_e32 vcc, s48, v0
	s_waitcnt vmcnt(0) lgkmcnt(0)
	v_mov_b64_e32 v[4:5], v[2:3]
	s_and_saveexec_b64 s[0:1], vcc
	s_cbranch_execz .LBB1034_7
; %bb.6:
	v_lshlrev_b32_e32 v4, 3, v0
	v_mov_b32_e32 v5, 0
	v_lshl_add_u64 v[4:5], v[62:63], 0, v[4:5]
	flat_load_dwordx2 v[4:5], v[4:5]
.LBB1034_7:
	s_or_b64 exec, exec, s[0:1]
	v_or_b32_e32 v1, 0x100, v0
	v_cmp_gt_u32_e64 s[6:7], s48, v1
	v_mov_b64_e32 v[6:7], v[2:3]
	s_and_saveexec_b64 s[0:1], s[6:7]
	s_cbranch_execz .LBB1034_9
; %bb.8:
	v_lshlrev_b32_e32 v6, 3, v0
	v_mov_b32_e32 v7, 0
	v_lshl_add_u64 v[6:7], v[62:63], 0, v[6:7]
	flat_load_dwordx2 v[6:7], v[6:7] offset:2048
.LBB1034_9:
	s_or_b64 exec, exec, s[0:1]
	v_or_b32_e32 v1, 0x200, v0
	v_cmp_gt_u32_e64 s[8:9], s48, v1
	v_lshlrev_b32_e32 v32, 3, v1
	v_mov_b64_e32 v[8:9], v[2:3]
	s_and_saveexec_b64 s[0:1], s[8:9]
	s_cbranch_execz .LBB1034_11
; %bb.10:
	v_mov_b32_e32 v33, 0
	v_lshl_add_u64 v[8:9], v[62:63], 0, v[32:33]
	flat_load_dwordx2 v[8:9], v[8:9]
.LBB1034_11:
	s_or_b64 exec, exec, s[0:1]
	v_or_b32_e32 v1, 0x300, v0
	v_cmp_gt_u32_e64 s[10:11], s48, v1
	v_lshlrev_b32_e32 v34, 3, v1
	v_mov_b64_e32 v[10:11], v[2:3]
	s_and_saveexec_b64 s[0:1], s[10:11]
	s_cbranch_execz .LBB1034_13
; %bb.12:
	v_mov_b32_e32 v35, 0
	v_lshl_add_u64 v[10:11], v[62:63], 0, v[34:35]
	flat_load_dwordx2 v[10:11], v[10:11]
.LBB1034_13:
	;; [unrolled: 12-line block ×11, first 2 shown]
	s_or_b64 exec, exec, s[0:1]
	v_or_b32_e32 v1, 0xd00, v0
	v_cmp_gt_u32_e64 s[30:31], s48, v1
	v_lshlrev_b32_e32 v54, 3, v1
	s_and_saveexec_b64 s[0:1], s[30:31]
	s_cbranch_execz .LBB1034_33
; %bb.32:
	v_mov_b32_e32 v55, 0
	v_lshl_add_u64 v[2:3], v[62:63], 0, v[54:55]
	flat_load_dwordx2 v[2:3], v[2:3]
.LBB1034_33:
	s_or_b64 exec, exec, s[0:1]
	v_lshlrev_b32_e32 v56, 3, v0
	s_waitcnt vmcnt(0) lgkmcnt(0)
	ds_write2st64_b64 v56, v[4:5], v[6:7] offset1:4
	ds_write2st64_b64 v56, v[8:9], v[10:11] offset0:8 offset1:12
	ds_write2st64_b64 v56, v[12:13], v[14:15] offset0:16 offset1:20
	;; [unrolled: 1-line block ×6, first 2 shown]
	s_waitcnt lgkmcnt(0)
	s_barrier
	flat_load_dwordx2 v[58:59], v[62:63]
	s_movk_i32 s0, 0x68
	v_mad_u32_u24 v1, v0, s0, v56
	s_movk_i32 s0, 0xff98
	v_mad_i32_i24 v64, v0, s0, v1
	s_movk_i32 s0, 0xff
	v_cmp_ne_u32_e64 s[0:1], s0, v0
	ds_read_b128 v[26:29], v1
	ds_read_b128 v[22:25], v1 offset:16
	ds_read_b128 v[18:21], v1 offset:32
	;; [unrolled: 1-line block ×6, first 2 shown]
	s_waitcnt lgkmcnt(0)
	ds_write_b64 v64, v[26:27] offset:30720
	s_waitcnt lgkmcnt(0)
	s_barrier
	s_and_saveexec_b64 s[36:37], s[0:1]
	s_cbranch_execz .LBB1034_35
; %bb.34:
	s_waitcnt vmcnt(0)
	ds_read_b64 v[58:59], v56 offset:30728
.LBB1034_35:
	s_or_b64 exec, exec, s[36:37]
	v_mov_b32_e32 v57, 0
	s_waitcnt lgkmcnt(0)
	s_barrier
	s_waitcnt lgkmcnt(0)
                                        ; implicit-def: $vgpr65
	s_and_saveexec_b64 s[0:1], vcc
	s_cbranch_execz .LBB1034_123
; %bb.36:
	v_lshl_add_u64 v[66:67], v[60:61], 0, v[56:57]
	flat_load_dword v65, v[66:67]
	s_or_b64 exec, exec, s[0:1]
                                        ; implicit-def: $vgpr57
	s_and_saveexec_b64 s[0:1], s[6:7]
	s_cbranch_execnz .LBB1034_124
.LBB1034_37:
	s_or_b64 exec, exec, s[0:1]
                                        ; implicit-def: $vgpr33
	s_and_saveexec_b64 s[0:1], s[8:9]
	s_cbranch_execz .LBB1034_125
.LBB1034_38:
	v_mov_b32_e32 v33, 0
	v_lshl_add_u64 v[32:33], v[60:61], 0, v[32:33]
	flat_load_dword v33, v[32:33]
	s_or_b64 exec, exec, s[0:1]
                                        ; implicit-def: $vgpr32
	s_and_saveexec_b64 s[0:1], s[10:11]
	s_cbranch_execnz .LBB1034_126
.LBB1034_39:
	s_or_b64 exec, exec, s[0:1]
                                        ; implicit-def: $vgpr34
	s_and_saveexec_b64 s[0:1], s[12:13]
	s_cbranch_execz .LBB1034_127
.LBB1034_40:
	v_mov_b32_e32 v37, 0
	v_lshl_add_u64 v[34:35], v[60:61], 0, v[36:37]
	flat_load_dword v34, v[34:35]
	s_or_b64 exec, exec, s[0:1]
                                        ; implicit-def: $vgpr35
	s_and_saveexec_b64 s[0:1], s[14:15]
	s_cbranch_execnz .LBB1034_128
.LBB1034_41:
	s_or_b64 exec, exec, s[0:1]
                                        ; implicit-def: $vgpr36
	s_and_saveexec_b64 s[0:1], s[16:17]
	s_cbranch_execz .LBB1034_129
.LBB1034_42:
	v_mov_b32_e32 v41, 0
	v_lshl_add_u64 v[36:37], v[60:61], 0, v[40:41]
	flat_load_dword v36, v[36:37]
	s_or_b64 exec, exec, s[0:1]
                                        ; implicit-def: $vgpr37
	s_and_saveexec_b64 s[0:1], s[18:19]
	s_cbranch_execnz .LBB1034_130
.LBB1034_43:
	s_or_b64 exec, exec, s[0:1]
                                        ; implicit-def: $vgpr38
	s_and_saveexec_b64 s[0:1], s[20:21]
	s_cbranch_execz .LBB1034_131
.LBB1034_44:
	v_mov_b32_e32 v45, 0
	v_lshl_add_u64 v[38:39], v[60:61], 0, v[44:45]
	flat_load_dword v38, v[38:39]
	s_or_b64 exec, exec, s[0:1]
                                        ; implicit-def: $vgpr39
	s_and_saveexec_b64 s[0:1], s[22:23]
	s_cbranch_execnz .LBB1034_132
.LBB1034_45:
	s_or_b64 exec, exec, s[0:1]
                                        ; implicit-def: $vgpr40
	s_and_saveexec_b64 s[0:1], s[24:25]
	s_cbranch_execz .LBB1034_133
.LBB1034_46:
	v_mov_b32_e32 v49, 0
	v_lshl_add_u64 v[40:41], v[60:61], 0, v[48:49]
	flat_load_dword v40, v[40:41]
	s_or_b64 exec, exec, s[0:1]
                                        ; implicit-def: $vgpr41
	s_and_saveexec_b64 s[0:1], s[26:27]
	s_cbranch_execnz .LBB1034_134
.LBB1034_47:
	s_or_b64 exec, exec, s[0:1]
                                        ; implicit-def: $vgpr42
	s_and_saveexec_b64 s[0:1], s[28:29]
	s_cbranch_execz .LBB1034_49
.LBB1034_48:
	v_mov_b32_e32 v53, 0
	v_lshl_add_u64 v[42:43], v[60:61], 0, v[52:53]
	flat_load_dword v42, v[42:43]
.LBB1034_49:
	s_or_b64 exec, exec, s[0:1]
	v_mul_u32_u24_e32 v1, 14, v0
                                        ; implicit-def: $vgpr43
	s_and_saveexec_b64 s[0:1], s[30:31]
	s_cbranch_execz .LBB1034_51
; %bb.50:
	v_mov_b32_e32 v55, 0
	v_lshl_add_u64 v[44:45], v[60:61], 0, v[54:55]
	flat_load_dword v43, v[44:45]
.LBB1034_51:
	s_or_b64 exec, exec, s[0:1]
	v_lshlrev_b32_e32 v44, 2, v0
	v_sub_u32_e32 v66, v64, v44
	s_waitcnt vmcnt(0) lgkmcnt(0)
	ds_write2st64_b32 v66, v65, v57 offset1:4
	ds_write2st64_b32 v66, v33, v32 offset0:8 offset1:12
	ds_write2st64_b32 v66, v34, v35 offset0:16 offset1:20
	;; [unrolled: 1-line block ×6, first 2 shown]
	v_mov_b64_e32 v[32:33], 0
	v_cmp_gt_u32_e32 vcc, s48, v1
	s_mov_b64 s[10:11], 0
	s_mov_b64 s[0:1], 0
	v_mov_b64_e32 v[34:35], v[32:33]
	v_mov_b64_e32 v[36:37], v[32:33]
	;; [unrolled: 1-line block ×12, first 2 shown]
	s_waitcnt lgkmcnt(0)
	s_barrier
	s_waitcnt lgkmcnt(0)
                                        ; implicit-def: $sgpr8_sgpr9
                                        ; implicit-def: $vgpr64
	s_and_saveexec_b64 s[6:7], vcc
	s_cbranch_execz .LBB1034_79
; %bb.52:
	v_mad_u32_u24 v32, v0, 52, v66
	ds_read_b32 v32, v32
	v_mov_b32_e32 v33, s54
	v_cmp_eq_u64_e32 vcc, v[26:27], v[28:29]
	v_or_b32_e32 v34, 1, v1
	s_mov_b64 s[12:13], 0
	s_waitcnt lgkmcnt(0)
	v_cndmask_b32_e32 v32, v33, v32, vcc
	v_cmp_ne_u64_e32 vcc, v[26:27], v[28:29]
                                        ; implicit-def: $sgpr14_sgpr15
                                        ; implicit-def: $vgpr64
	s_nop 1
	v_cndmask_b32_e64 v33, 0, 1, vcc
	v_cmp_gt_u32_e32 vcc, s48, v34
	v_mov_b64_e32 v[34:35], 0
	v_mov_b64_e32 v[36:37], v[34:35]
	;; [unrolled: 1-line block ×12, first 2 shown]
	s_and_saveexec_b64 s[8:9], vcc
	s_cbranch_execz .LBB1034_78
; %bb.53:
	v_mul_u32_u24_e32 v26, 52, v0
	v_add_u32_e32 v65, v66, v26
	ds_read2_b32 v[26:27], v65 offset0:1 offset1:2
	v_mov_b32_e32 v34, s54
	v_cmp_eq_u64_e32 vcc, v[28:29], v[22:23]
	v_add_u32_e32 v36, 2, v1
	s_mov_b64 s[14:15], 0
	s_waitcnt lgkmcnt(0)
	v_cndmask_b32_e32 v34, v34, v26, vcc
	v_cmp_ne_u64_e32 vcc, v[28:29], v[22:23]
                                        ; implicit-def: $sgpr16_sgpr17
                                        ; implicit-def: $vgpr64
	s_nop 1
	v_cndmask_b32_e64 v35, 0, 1, vcc
	v_cmp_gt_u32_e32 vcc, s48, v36
	v_mov_b64_e32 v[36:37], 0
	v_mov_b64_e32 v[38:39], v[36:37]
	;; [unrolled: 1-line block ×11, first 2 shown]
	s_and_saveexec_b64 s[10:11], vcc
	s_cbranch_execz .LBB1034_77
; %bb.54:
	v_mov_b32_e32 v28, s54
	v_cmp_eq_u64_e32 vcc, v[22:23], v[24:25]
	v_add_u32_e32 v26, 3, v1
	v_mov_b64_e32 v[38:39], 0
	v_cndmask_b32_e32 v36, v28, v27, vcc
	v_cmp_ne_u64_e32 vcc, v[22:23], v[24:25]
	s_mov_b64 s[16:17], 0
	v_mov_b64_e32 v[40:41], v[38:39]
	v_cndmask_b32_e64 v37, 0, 1, vcc
	v_cmp_gt_u32_e32 vcc, s48, v26
	v_mov_b64_e32 v[42:43], v[38:39]
	v_mov_b64_e32 v[44:45], v[38:39]
	v_mov_b64_e32 v[46:47], v[38:39]
	v_mov_b64_e32 v[48:49], v[38:39]
	v_mov_b64_e32 v[50:51], v[38:39]
	v_mov_b64_e32 v[52:53], v[38:39]
	v_mov_b64_e32 v[54:55], v[38:39]
	v_mov_b64_e32 v[56:57], v[38:39]
                                        ; implicit-def: $sgpr18_sgpr19
                                        ; implicit-def: $vgpr64
	s_and_saveexec_b64 s[12:13], vcc
	s_cbranch_execz .LBB1034_76
; %bb.55:
	ds_read2_b32 v[22:23], v65 offset0:3 offset1:4
	v_mov_b32_e32 v27, s54
	v_cmp_eq_u64_e32 vcc, v[24:25], v[18:19]
	v_add_u32_e32 v26, 4, v1
	v_mov_b64_e32 v[40:41], 0
	s_waitcnt lgkmcnt(0)
	v_cndmask_b32_e32 v38, v27, v22, vcc
	v_cmp_ne_u64_e32 vcc, v[24:25], v[18:19]
	s_mov_b64 s[18:19], 0
	v_mov_b64_e32 v[42:43], v[40:41]
	v_cndmask_b32_e64 v39, 0, 1, vcc
	v_cmp_gt_u32_e32 vcc, s48, v26
	v_mov_b64_e32 v[44:45], v[40:41]
	v_mov_b64_e32 v[46:47], v[40:41]
	;; [unrolled: 1-line block ×7, first 2 shown]
                                        ; implicit-def: $sgpr20_sgpr21
                                        ; implicit-def: $vgpr64
	s_and_saveexec_b64 s[14:15], vcc
	s_cbranch_execz .LBB1034_75
; %bb.56:
	v_mov_b32_e32 v24, s54
	v_cmp_eq_u64_e32 vcc, v[18:19], v[20:21]
	v_add_u32_e32 v22, 5, v1
	v_mov_b64_e32 v[42:43], 0
	v_cndmask_b32_e32 v40, v24, v23, vcc
	v_cmp_ne_u64_e32 vcc, v[18:19], v[20:21]
	s_mov_b64 s[20:21], 0
	v_mov_b64_e32 v[44:45], v[42:43]
	v_cndmask_b32_e64 v41, 0, 1, vcc
	v_cmp_gt_u32_e32 vcc, s48, v22
	v_mov_b64_e32 v[46:47], v[42:43]
	v_mov_b64_e32 v[48:49], v[42:43]
	;; [unrolled: 1-line block ×6, first 2 shown]
                                        ; implicit-def: $sgpr22_sgpr23
                                        ; implicit-def: $vgpr64
	s_and_saveexec_b64 s[16:17], vcc
	s_cbranch_execz .LBB1034_74
; %bb.57:
	ds_read2_b32 v[18:19], v65 offset0:5 offset1:6
	v_mov_b32_e32 v23, s54
	v_cmp_eq_u64_e32 vcc, v[20:21], v[14:15]
	v_add_u32_e32 v22, 6, v1
	v_mov_b64_e32 v[44:45], 0
	s_waitcnt lgkmcnt(0)
	v_cndmask_b32_e32 v42, v23, v18, vcc
	v_cmp_ne_u64_e32 vcc, v[20:21], v[14:15]
	s_mov_b64 s[22:23], 0
	v_mov_b64_e32 v[46:47], v[44:45]
	v_cndmask_b32_e64 v43, 0, 1, vcc
	v_cmp_gt_u32_e32 vcc, s48, v22
	v_mov_b64_e32 v[48:49], v[44:45]
	v_mov_b64_e32 v[50:51], v[44:45]
	v_mov_b64_e32 v[52:53], v[44:45]
	v_mov_b64_e32 v[54:55], v[44:45]
	v_mov_b64_e32 v[56:57], v[44:45]
                                        ; implicit-def: $sgpr24_sgpr25
                                        ; implicit-def: $vgpr64
	s_and_saveexec_b64 s[18:19], vcc
	s_cbranch_execz .LBB1034_73
; %bb.58:
	v_mov_b32_e32 v20, s54
	v_cmp_eq_u64_e32 vcc, v[14:15], v[16:17]
	v_add_u32_e32 v18, 7, v1
	v_mov_b64_e32 v[46:47], 0
	v_cndmask_b32_e32 v44, v20, v19, vcc
	v_cmp_ne_u64_e32 vcc, v[14:15], v[16:17]
	s_mov_b64 s[24:25], 0
	v_mov_b64_e32 v[48:49], v[46:47]
	v_cndmask_b32_e64 v45, 0, 1, vcc
	v_cmp_gt_u32_e32 vcc, s48, v18
	v_mov_b64_e32 v[50:51], v[46:47]
	v_mov_b64_e32 v[52:53], v[46:47]
	;; [unrolled: 1-line block ×4, first 2 shown]
                                        ; implicit-def: $sgpr26_sgpr27
                                        ; implicit-def: $vgpr64
	s_and_saveexec_b64 s[20:21], vcc
	s_cbranch_execz .LBB1034_72
; %bb.59:
	ds_read2_b32 v[14:15], v65 offset0:7 offset1:8
	v_mov_b32_e32 v19, s54
	v_cmp_eq_u64_e32 vcc, v[16:17], v[10:11]
	v_add_u32_e32 v18, 8, v1
	v_mov_b64_e32 v[48:49], 0
	s_waitcnt lgkmcnt(0)
	v_cndmask_b32_e32 v46, v19, v14, vcc
	v_cmp_ne_u64_e32 vcc, v[16:17], v[10:11]
	s_mov_b64 s[26:27], 0
	v_mov_b64_e32 v[50:51], v[48:49]
	v_cndmask_b32_e64 v47, 0, 1, vcc
	v_cmp_gt_u32_e32 vcc, s48, v18
	v_mov_b64_e32 v[52:53], v[48:49]
	v_mov_b64_e32 v[54:55], v[48:49]
	;; [unrolled: 1-line block ×3, first 2 shown]
                                        ; implicit-def: $sgpr28_sgpr29
                                        ; implicit-def: $vgpr64
	s_and_saveexec_b64 s[22:23], vcc
	s_cbranch_execz .LBB1034_71
; %bb.60:
	v_mov_b32_e32 v16, s54
	v_cmp_eq_u64_e32 vcc, v[10:11], v[12:13]
	v_add_u32_e32 v14, 9, v1
	v_mov_b64_e32 v[50:51], 0
	v_cndmask_b32_e32 v48, v16, v15, vcc
	v_cmp_ne_u64_e32 vcc, v[10:11], v[12:13]
	s_mov_b64 s[28:29], 0
	v_mov_b64_e32 v[52:53], v[50:51]
	v_cndmask_b32_e64 v49, 0, 1, vcc
	v_cmp_gt_u32_e32 vcc, s48, v14
	v_mov_b64_e32 v[54:55], v[50:51]
	v_mov_b64_e32 v[56:57], v[50:51]
                                        ; implicit-def: $sgpr30_sgpr31
                                        ; implicit-def: $vgpr64
	s_and_saveexec_b64 s[24:25], vcc
	s_cbranch_execz .LBB1034_70
; %bb.61:
	ds_read2_b32 v[10:11], v65 offset0:9 offset1:10
	v_mov_b32_e32 v15, s54
	v_cmp_eq_u64_e32 vcc, v[12:13], v[6:7]
	v_add_u32_e32 v14, 10, v1
	v_mov_b64_e32 v[52:53], 0
	s_waitcnt lgkmcnt(0)
	v_cndmask_b32_e32 v50, v15, v10, vcc
	v_cmp_ne_u64_e32 vcc, v[12:13], v[6:7]
	s_mov_b64 s[30:31], 0
	v_mov_b64_e32 v[54:55], v[52:53]
	v_cndmask_b32_e64 v51, 0, 1, vcc
	v_cmp_gt_u32_e32 vcc, s48, v14
	v_mov_b64_e32 v[56:57], v[52:53]
                                        ; implicit-def: $sgpr36_sgpr37
                                        ; implicit-def: $vgpr64
	s_and_saveexec_b64 s[26:27], vcc
	s_cbranch_execz .LBB1034_69
; %bb.62:
	v_mov_b32_e32 v12, s54
	v_cmp_eq_u64_e32 vcc, v[6:7], v[8:9]
	v_add_u32_e32 v10, 11, v1
	v_mov_b64_e32 v[54:55], 0
	v_cndmask_b32_e32 v52, v12, v11, vcc
	v_cmp_ne_u64_e32 vcc, v[6:7], v[8:9]
	s_mov_b64 s[36:37], 0
	v_mov_b64_e32 v[56:57], v[54:55]
	v_cndmask_b32_e64 v53, 0, 1, vcc
	v_cmp_gt_u32_e32 vcc, s48, v10
                                        ; implicit-def: $sgpr40_sgpr41
                                        ; implicit-def: $vgpr64
	s_and_saveexec_b64 s[28:29], vcc
	s_cbranch_execz .LBB1034_68
; %bb.63:
	ds_read2_b32 v[6:7], v65 offset0:11 offset1:12
	v_mov_b32_e32 v11, s54
	v_cmp_eq_u64_e32 vcc, v[8:9], v[2:3]
	v_add_u32_e32 v10, 12, v1
	v_mov_b64_e32 v[56:57], 0
	s_waitcnt lgkmcnt(0)
	v_cndmask_b32_e32 v54, v11, v6, vcc
	v_cmp_ne_u64_e32 vcc, v[8:9], v[2:3]
                                        ; implicit-def: $sgpr40_sgpr41
                                        ; implicit-def: $vgpr64
	s_nop 1
	v_cndmask_b32_e64 v55, 0, 1, vcc
	v_cmp_gt_u32_e32 vcc, s48, v10
	s_and_saveexec_b64 s[30:31], vcc
	s_cbranch_execz .LBB1034_67
; %bb.64:
	v_mov_b32_e32 v6, s54
	v_cmp_eq_u64_e32 vcc, v[2:3], v[4:5]
	v_add_u32_e32 v1, 13, v1
                                        ; implicit-def: $sgpr40_sgpr41
                                        ; implicit-def: $vgpr64
	s_nop 0
	v_cndmask_b32_e32 v56, v6, v7, vcc
	v_cmp_ne_u64_e32 vcc, v[2:3], v[4:5]
	s_nop 1
	v_cndmask_b32_e64 v57, 0, 1, vcc
	v_cmp_gt_u32_e32 vcc, s48, v1
	s_and_saveexec_b64 s[48:49], vcc
	s_xor_b64 s[48:49], exec, s[48:49]
	s_cbranch_execz .LBB1034_66
; %bb.65:
	ds_read_b32 v1, v65 offset:52
	v_mov_b32_e32 v2, s54
	v_cmp_ne_u64_e32 vcc, v[4:5], v[58:59]
	s_mov_b64 s[36:37], exec
	s_and_b64 s[40:41], vcc, exec
	s_waitcnt lgkmcnt(0)
	v_cndmask_b32_e32 v64, v1, v2, vcc
.LBB1034_66:
	s_or_b64 exec, exec, s[48:49]
	s_and_b64 s[40:41], s[40:41], exec
	s_and_b64 s[36:37], s[36:37], exec
.LBB1034_67:
	s_or_b64 exec, exec, s[30:31]
	s_and_b64 s[40:41], s[40:41], exec
	s_and_b64 s[30:31], s[36:37], exec
.LBB1034_68:
	s_or_b64 exec, exec, s[28:29]
	s_and_b64 s[36:37], s[40:41], exec
	s_and_b64 s[28:29], s[30:31], exec
.LBB1034_69:
	s_or_b64 exec, exec, s[26:27]
	s_and_b64 s[30:31], s[36:37], exec
	s_and_b64 s[26:27], s[28:29], exec
.LBB1034_70:
	s_or_b64 exec, exec, s[24:25]
	s_and_b64 s[28:29], s[30:31], exec
	s_and_b64 s[24:25], s[26:27], exec
.LBB1034_71:
	s_or_b64 exec, exec, s[22:23]
	s_and_b64 s[26:27], s[28:29], exec
	s_and_b64 s[22:23], s[24:25], exec
.LBB1034_72:
	s_or_b64 exec, exec, s[20:21]
	s_and_b64 s[24:25], s[26:27], exec
	s_and_b64 s[20:21], s[22:23], exec
.LBB1034_73:
	s_or_b64 exec, exec, s[18:19]
	s_and_b64 s[22:23], s[24:25], exec
	s_and_b64 s[18:19], s[20:21], exec
.LBB1034_74:
	s_or_b64 exec, exec, s[16:17]
	s_and_b64 s[20:21], s[22:23], exec
	s_and_b64 s[16:17], s[18:19], exec
.LBB1034_75:
	s_or_b64 exec, exec, s[14:15]
	s_and_b64 s[18:19], s[20:21], exec
	s_and_b64 s[14:15], s[16:17], exec
.LBB1034_76:
	s_or_b64 exec, exec, s[12:13]
	s_and_b64 s[16:17], s[18:19], exec
	s_and_b64 s[12:13], s[14:15], exec
.LBB1034_77:
	s_or_b64 exec, exec, s[10:11]
	s_and_b64 s[14:15], s[16:17], exec
	s_and_b64 s[10:11], s[12:13], exec
.LBB1034_78:
	s_or_b64 exec, exec, s[8:9]
	s_and_b64 s[8:9], s[14:15], exec
	s_and_b64 s[10:11], s[10:11], exec
.LBB1034_79:
	s_or_b64 exec, exec, s[6:7]
	s_mov_b64 s[6:7], 0
	s_and_b64 vcc, exec, s[0:1]
	v_lshlrev_b32_e32 v58, 3, v0
	s_cbranch_vccnz .LBB1034_81
	s_branch .LBB1034_86
.LBB1034_80:
	s_mov_b64 s[10:11], 0
                                        ; implicit-def: $sgpr8_sgpr9
                                        ; implicit-def: $vgpr64
                                        ; implicit-def: $vgpr32_vgpr33
                                        ; implicit-def: $vgpr34_vgpr35
                                        ; implicit-def: $vgpr36_vgpr37
                                        ; implicit-def: $vgpr38_vgpr39
                                        ; implicit-def: $vgpr40_vgpr41
                                        ; implicit-def: $vgpr42_vgpr43
                                        ; implicit-def: $vgpr44_vgpr45
                                        ; implicit-def: $vgpr46_vgpr47
                                        ; implicit-def: $vgpr48_vgpr49
                                        ; implicit-def: $vgpr50_vgpr51
                                        ; implicit-def: $vgpr52_vgpr53
                                        ; implicit-def: $vgpr54_vgpr55
                                        ; implicit-def: $vgpr56_vgpr57
                                        ; implicit-def: $sgpr6_sgpr7
	s_and_b64 vcc, exec, s[0:1]
	v_lshlrev_b32_e32 v58, 3, v0
	s_cbranch_vccz .LBB1034_86
.LBB1034_81:
	v_mov_b32_e32 v59, 0
	v_lshl_add_u64 v[2:3], v[62:63], 0, v[58:59]
	v_add_co_u32_e32 v4, vcc, 0x1000, v2
	s_movk_i32 s0, 0x7000
	s_nop 0
	v_addc_co_u32_e32 v5, vcc, 0, v3, vcc
	flat_load_dwordx2 v[6:7], v[2:3]
	flat_load_dwordx2 v[8:9], v[2:3] offset:2048
	flat_load_dwordx2 v[10:11], v[4:5]
	flat_load_dwordx2 v[12:13], v[4:5] offset:2048
	v_add_co_u32_e32 v4, vcc, 0x2000, v2
	s_movk_i32 s6, 0x68
	s_nop 0
	v_addc_co_u32_e32 v5, vcc, 0, v3, vcc
	v_add_co_u32_e32 v14, vcc, 0x3000, v2
	v_mad_u32_u24 v1, v0, s6, v58
	s_nop 0
	v_addc_co_u32_e32 v15, vcc, 0, v3, vcc
	flat_load_dwordx2 v[16:17], v[4:5]
	flat_load_dwordx2 v[18:19], v[4:5] offset:2048
	flat_load_dwordx2 v[20:21], v[14:15]
	flat_load_dwordx2 v[22:23], v[14:15] offset:2048
	v_add_co_u32_e32 v4, vcc, 0x4000, v2
	s_movk_i32 s6, 0xff98
	s_nop 0
	v_addc_co_u32_e32 v5, vcc, 0, v3, vcc
	v_add_co_u32_e32 v14, vcc, 0x5000, v2
	s_movk_i32 s12, 0x1000
	s_nop 0
	v_addc_co_u32_e32 v15, vcc, 0, v3, vcc
	v_add_co_u32_e32 v2, vcc, 0x6000, v2
	flat_load_dwordx2 v[24:25], v[4:5]
	flat_load_dwordx2 v[26:27], v[4:5] offset:2048
	flat_load_dwordx2 v[28:29], v[14:15]
	flat_load_dwordx2 v[32:33], v[14:15] offset:2048
	v_addc_co_u32_e32 v3, vcc, 0, v3, vcc
	flat_load_dwordx2 v[4:5], v[2:3]
	flat_load_dwordx2 v[14:15], v[2:3] offset:2048
	v_add_co_u32_e32 v2, vcc, s0, v62
	s_mov_b32 s0, 0
	s_nop 0
	v_addc_co_u32_e32 v3, vcc, 0, v63, vcc
	s_movk_i32 s11, 0x2000
	s_movk_i32 s10, 0x3000
	;; [unrolled: 1-line block ×5, first 2 shown]
	s_waitcnt vmcnt(0) lgkmcnt(0)
	ds_write2st64_b64 v58, v[6:7], v[8:9] offset1:4
	ds_write2st64_b64 v58, v[10:11], v[12:13] offset0:8 offset1:12
	ds_write2st64_b64 v58, v[16:17], v[18:19] offset0:16 offset1:20
	;; [unrolled: 1-line block ×6, first 2 shown]
	s_waitcnt lgkmcnt(0)
	s_barrier
	flat_load_dwordx2 v[62:63], v[2:3]
	ds_read_b128 v[26:29], v1
	ds_read_b128 v[22:25], v1 offset:16
	ds_read_b128 v[18:21], v1 offset:32
	;; [unrolled: 1-line block ×6, first 2 shown]
	v_mad_i32_i24 v1, v0, s6, v1
	s_movk_i32 s6, 0xff
	v_cmp_ne_u32_e32 vcc, s6, v0
	s_waitcnt lgkmcnt(0)
	ds_write_b64 v1, v[26:27] offset:30720
	s_waitcnt lgkmcnt(0)
	s_barrier
	s_and_saveexec_b64 s[6:7], vcc
	s_cbranch_execz .LBB1034_83
; %bb.82:
	s_waitcnt vmcnt(0)
	ds_read_b64 v[62:63], v58 offset:30728
.LBB1034_83:
	s_or_b64 exec, exec, s[6:7]
	v_lshl_add_u64 v[32:33], v[60:61], 0, v[58:59]
	v_add_co_u32_e32 v34, vcc, s12, v32
	s_waitcnt lgkmcnt(0)
	s_nop 0
	v_addc_co_u32_e32 v35, vcc, 0, v33, vcc
	v_add_co_u32_e32 v36, vcc, s11, v32
	s_barrier
	s_nop 0
	v_addc_co_u32_e32 v37, vcc, 0, v33, vcc
	v_add_co_u32_e32 v38, vcc, s10, v32
	s_nop 1
	v_addc_co_u32_e32 v39, vcc, 0, v33, vcc
	flat_load_dword v40, v[32:33]
	flat_load_dword v41, v[32:33] offset:2048
	flat_load_dword v42, v[34:35]
	flat_load_dword v43, v[34:35] offset:2048
	;; [unrolled: 2-line block ×4, first 2 shown]
	v_add_co_u32_e32 v34, vcc, s9, v32
	s_nop 1
	v_addc_co_u32_e32 v35, vcc, 0, v33, vcc
	v_add_co_u32_e32 v36, vcc, s8, v32
	s_nop 1
	v_addc_co_u32_e32 v37, vcc, 0, v33, vcc
	v_add_co_u32_e32 v32, vcc, s1, v32
	s_mov_b32 s1, 1
	s_nop 0
	v_addc_co_u32_e32 v33, vcc, 0, v33, vcc
	flat_load_dword v38, v[34:35]
	flat_load_dword v39, v[34:35] offset:2048
	flat_load_dword v48, v[36:37]
	flat_load_dword v49, v[36:37] offset:2048
	;; [unrolled: 2-line block ×3, first 2 shown]
	v_lshlrev_b32_e32 v32, 2, v0
	v_sub_u32_e32 v34, v1, v32
	v_mad_u32_u24 v1, v0, 52, v34
	v_cmp_eq_u64_e32 vcc, v[26:27], v[28:29]
	v_mov_b64_e32 v[32:33], s[0:1]
	v_mov_b32_e32 v26, s54
	s_waitcnt vmcnt(0) lgkmcnt(0)
	ds_write2st64_b32 v34, v40, v41 offset1:4
	ds_write2st64_b32 v34, v42, v43 offset0:8 offset1:12
	ds_write2st64_b32 v34, v44, v45 offset0:16 offset1:20
	;; [unrolled: 1-line block ×6, first 2 shown]
	s_waitcnt lgkmcnt(0)
	s_barrier
	ds_read2_b32 v[36:37], v1 offset0:1 offset1:2
	ds_read2_b32 v[40:41], v1 offset0:3 offset1:4
	;; [unrolled: 1-line block ×6, first 2 shown]
	ds_read_b32 v1, v1 offset:52
	s_and_saveexec_b64 s[0:1], vcc
	s_cbranch_execz .LBB1034_85
; %bb.84:
	v_mul_u32_u24_e32 v26, 52, v0
	v_add_u32_e32 v26, v34, v26
	ds_read_b32 v26, v26
	v_mov_b64_e32 v[32:33], 0
.LBB1034_85:
	s_or_b64 exec, exec, s[0:1]
	s_waitcnt lgkmcnt(0)
	v_or_b32_e32 v32, v32, v26
	v_mov_b32_e32 v26, s54
	v_cmp_eq_u64_e32 vcc, v[28:29], v[22:23]
	v_cmp_ne_u64_e64 s[8:9], v[4:5], v[62:63]
	s_mov_b64 s[10:11], -1
	v_cndmask_b32_e32 v34, v26, v36, vcc
	v_cmp_ne_u64_e32 vcc, v[28:29], v[22:23]
	v_cndmask_b32_e64 v64, v1, v26, s[8:9]
                                        ; implicit-def: $sgpr6_sgpr7
	s_nop 0
	v_cndmask_b32_e64 v35, 0, 1, vcc
	v_cmp_eq_u64_e32 vcc, v[22:23], v[24:25]
	s_nop 1
	v_cndmask_b32_e32 v36, v26, v37, vcc
	v_cmp_ne_u64_e32 vcc, v[22:23], v[24:25]
	s_nop 1
	v_cndmask_b32_e64 v37, 0, 1, vcc
	v_cmp_eq_u64_e32 vcc, v[24:25], v[18:19]
	s_nop 1
	v_cndmask_b32_e32 v38, v26, v40, vcc
	v_cmp_ne_u64_e32 vcc, v[24:25], v[18:19]
	;; [unrolled: 6-line block ×11, first 2 shown]
	s_nop 1
	v_cndmask_b32_e64 v57, 0, 1, vcc
.LBB1034_86:
	v_mov_b64_e32 v[14:15], s[6:7]
	s_and_saveexec_b64 s[0:1], s[10:11]
; %bb.87:
	v_cndmask_b32_e64 v65, 0, 1, s[8:9]
	v_mov_b64_e32 v[14:15], v[64:65]
; %bb.88:
	s_or_b64 exec, exec, s[0:1]
	s_mov_b32 s0, 0
	s_cmp_lg_u32 s47, 0
	v_or3_b32 v24, v15, v57, v55
	v_lshrrev_b32_e32 v1, 5, v0
	v_cmp_gt_u32_e32 vcc, 64, v0
	s_barrier
	s_cbranch_scc0 .LBB1034_135
; %bb.89:
	s_mov_b32 s1, 1
	v_cmp_gt_u64_e64 s[6:7], s[0:1], v[34:35]
	v_cmp_gt_u64_e64 s[8:9], s[0:1], v[36:37]
	v_cmp_gt_u64_e64 s[10:11], s[0:1], v[38:39]
	v_cndmask_b32_e64 v2, 0, v32, s[6:7]
	v_add_u32_e32 v2, v2, v34
	v_cndmask_b32_e64 v2, 0, v2, s[8:9]
	v_add_u32_e32 v2, v2, v36
	v_cndmask_b32_e64 v2, 0, v2, s[10:11]
	v_add_u32_e32 v2, v2, v38
	v_cmp_gt_u64_e64 s[12:13], s[0:1], v[40:41]
	v_cmp_gt_u64_e64 s[14:15], s[0:1], v[42:43]
	v_cmp_gt_u64_e64 s[16:17], s[0:1], v[44:45]
	v_cndmask_b32_e64 v2, 0, v2, s[12:13]
	v_add_u32_e32 v2, v2, v40
	v_cndmask_b32_e64 v2, 0, v2, s[14:15]
	v_add_u32_e32 v2, v2, v42
	v_cndmask_b32_e64 v2, 0, v2, s[16:17]
	v_add_u32_e32 v2, v2, v44
	;; [unrolled: 9-line block ×4, first 2 shown]
	v_cmp_gt_u64_e64 s[0:1], s[0:1], v[14:15]
	s_nop 1
	v_cndmask_b32_e64 v2, 0, v2, s[0:1]
	v_add_u32_e32 v16, v2, v14
	v_or3_b32 v2, v24, v53, v51
	v_or3_b32 v2, v2, v49, v47
	;; [unrolled: 1-line block ×5, first 2 shown]
	v_and_b32_e32 v2, 1, v2
	v_cmp_eq_u32_e64 s[0:1], 1, v2
	v_add_lshl_u32 v2, v1, v0, 3
	s_nop 0
	v_cndmask_b32_e64 v17, v33, 1, s[0:1]
	ds_write_b32 v2, v16
	ds_write_b8 v2, v17 offset:4
	s_waitcnt lgkmcnt(0)
	s_barrier
	s_and_saveexec_b64 s[30:31], vcc
	s_cbranch_execz .LBB1034_101
; %bb.90:
	v_lshlrev_b32_e32 v2, 2, v0
	v_lshrrev_b32_e32 v3, 3, v0
	v_add_lshl_u32 v4, v3, v2, 3
	ds_read2_b32 v[6:7], v4 offset0:2 offset1:4
	ds_read_b64 v[2:3], v4
	ds_read_u8 v8, v4 offset:12
	ds_read_u8 v9, v4 offset:20
	ds_read_b32 v10, v4 offset:24
	ds_read_u8 v11, v4 offset:28
	v_mov_b32_e32 v12, 0
	s_waitcnt lgkmcnt(3)
	v_cmp_eq_u16_sdwa s[0:1], v8, v12 src0_sel:BYTE_0 src1_sel:DWORD
	v_and_b32_e32 v5, 1, v3
	s_nop 0
	v_cndmask_b32_e64 v13, 0, v2, s[0:1]
	v_add_u32_e32 v6, v13, v6
	s_waitcnt lgkmcnt(2)
	v_cmp_eq_u16_sdwa s[0:1], v9, v12 src0_sel:BYTE_0 src1_sel:DWORD
	s_nop 1
	v_cndmask_b32_e64 v6, 0, v6, s[0:1]
	v_add_u32_e32 v6, v6, v7
	s_waitcnt lgkmcnt(0)
	v_cmp_eq_u16_e64 s[0:1], 0, v11
	s_nop 1
	v_cndmask_b32_e64 v6, 0, v6, s[0:1]
	v_add_u32_e32 v7, v6, v10
	v_or_b32_e32 v6, v11, v9
	v_or_b32_e32 v6, v6, v8
	v_and_b32_e32 v6, 1, v6
	v_cmp_eq_u32_e64 s[0:1], 1, v6
	v_mbcnt_lo_u32_b32 v8, -1, 0
	v_and_b32_e32 v6, 0xffffff00, v3
	v_cndmask_b32_e64 v9, v5, 1, s[0:1]
	v_mbcnt_hi_u32_b32 v8, -1, v8
	v_and_b32_e32 v11, 15, v8
	v_or_b32_sdwa v10, v6, v9 dst_sel:DWORD dst_unused:UNUSED_PAD src0_sel:DWORD src1_sel:WORD_0
	v_mov_b32_dpp v12, v7 row_shr:1 row_mask:0xf bank_mask:0xf
	v_cmp_ne_u32_e64 s[0:1], 0, v11
	v_mov_b32_dpp v13, v10 row_shr:1 row_mask:0xf bank_mask:0xf
	s_and_saveexec_b64 s[36:37], s[0:1]
; %bb.91:
	v_and_b32_e32 v10, 1, v9
	v_and_b32_e32 v13, 1, v13
	v_cmp_eq_u32_e64 s[0:1], 1, v10
	s_nop 1
	v_cndmask_b32_e64 v13, v13, 1, s[0:1]
	v_cmp_eq_u16_e64 s[0:1], 0, v9
	v_or_b32_sdwa v10, v6, v13 dst_sel:DWORD dst_unused:UNUSED_PAD src0_sel:DWORD src1_sel:WORD_0
	s_nop 0
	v_cndmask_b32_e64 v9, 0, v12, s[0:1]
	v_add_u32_e32 v7, v9, v7
	v_mov_b32_e32 v9, v13
; %bb.92:
	s_or_b64 exec, exec, s[36:37]
	v_mov_b32_dpp v12, v7 row_shr:2 row_mask:0xf bank_mask:0xf
	v_mov_b32_dpp v13, v10 row_shr:2 row_mask:0xf bank_mask:0xf
	v_cmp_lt_u32_e64 s[0:1], 1, v11
	s_and_saveexec_b64 s[36:37], s[0:1]
; %bb.93:
	v_and_b32_e32 v10, 1, v9
	v_and_b32_e32 v13, 1, v13
	v_cmp_eq_u32_e64 s[0:1], 1, v10
	s_nop 1
	v_cndmask_b32_e64 v13, v13, 1, s[0:1]
	v_cmp_eq_u16_e64 s[0:1], 0, v9
	v_or_b32_sdwa v10, v6, v13 dst_sel:DWORD dst_unused:UNUSED_PAD src0_sel:DWORD src1_sel:WORD_0
	s_nop 0
	v_cndmask_b32_e64 v9, 0, v12, s[0:1]
	v_add_u32_e32 v7, v9, v7
	v_mov_b32_e32 v9, v13
; %bb.94:
	s_or_b64 exec, exec, s[36:37]
	v_mov_b32_dpp v12, v7 row_shr:4 row_mask:0xf bank_mask:0xf
	v_mov_b32_dpp v13, v10 row_shr:4 row_mask:0xf bank_mask:0xf
	v_cmp_lt_u32_e64 s[0:1], 3, v11
	s_and_saveexec_b64 s[36:37], s[0:1]
; %bb.95:
	v_and_b32_e32 v10, 1, v9
	v_and_b32_e32 v13, 1, v13
	v_cmp_eq_u32_e64 s[0:1], 1, v10
	s_nop 1
	v_cndmask_b32_e64 v13, v13, 1, s[0:1]
	v_cmp_eq_u16_e64 s[0:1], 0, v9
	v_or_b32_sdwa v10, v6, v13 dst_sel:DWORD dst_unused:UNUSED_PAD src0_sel:DWORD src1_sel:WORD_0
	s_nop 0
	v_cndmask_b32_e64 v9, 0, v12, s[0:1]
	v_add_u32_e32 v7, v9, v7
	v_mov_b32_e32 v9, v13
; %bb.96:
	s_or_b64 exec, exec, s[36:37]
	v_mov_b32_dpp v12, v7 row_shr:8 row_mask:0xf bank_mask:0xf
	v_mov_b32_dpp v13, v10 row_shr:8 row_mask:0xf bank_mask:0xf
	v_cmp_lt_u32_e64 s[0:1], 7, v11
	s_and_saveexec_b64 s[36:37], s[0:1]
; %bb.97:
	v_and_b32_e32 v10, 1, v9
	v_and_b32_e32 v11, 1, v13
	v_cmp_eq_u32_e64 s[0:1], 1, v10
	s_nop 1
	v_cndmask_b32_e64 v11, v11, 1, s[0:1]
	v_cmp_eq_u16_e64 s[0:1], 0, v9
	v_or_b32_sdwa v10, v6, v11 dst_sel:DWORD dst_unused:UNUSED_PAD src0_sel:DWORD src1_sel:WORD_0
	s_nop 0
	v_cndmask_b32_e64 v9, 0, v12, s[0:1]
	v_add_u32_e32 v7, v9, v7
	v_mov_b32_e32 v9, v11
; %bb.98:
	s_or_b64 exec, exec, s[36:37]
	v_and_b32_e32 v13, 16, v8
	v_mov_b32_dpp v11, v7 row_bcast:15 row_mask:0xf bank_mask:0xf
	v_mov_b32_dpp v12, v10 row_bcast:15 row_mask:0xf bank_mask:0xf
	v_cmp_ne_u32_e64 s[0:1], 0, v13
	s_and_saveexec_b64 s[36:37], s[0:1]
; %bb.99:
	v_and_b32_e32 v10, 1, v9
	v_and_b32_e32 v12, 1, v12
	v_cmp_eq_u32_e64 s[0:1], 1, v10
	s_nop 1
	v_cndmask_b32_e64 v12, v12, 1, s[0:1]
	v_cmp_eq_u16_e64 s[0:1], 0, v9
	v_or_b32_sdwa v10, v6, v12 dst_sel:DWORD dst_unused:UNUSED_PAD src0_sel:DWORD src1_sel:WORD_0
	s_nop 0
	v_cndmask_b32_e64 v9, 0, v11, s[0:1]
	v_add_u32_e32 v7, v9, v7
	v_mov_b32_e32 v9, v12
; %bb.100:
	s_or_b64 exec, exec, s[36:37]
	v_mov_b32_dpp v10, v10 row_bcast:31 row_mask:0xf bank_mask:0xf
	v_and_b32_e32 v12, 1, v9
	v_and_b32_e32 v10, 1, v10
	v_cmp_eq_u32_e64 s[0:1], 1, v12
	v_mov_b32_e32 v12, 0
	v_cmp_eq_u16_sdwa s[36:37], v9, v12 src0_sel:BYTE_0 src1_sel:DWORD
	v_cndmask_b32_e64 v10, v10, 1, s[0:1]
	v_cmp_lt_u32_e64 s[0:1], 31, v8
	v_mov_b32_dpp v11, v7 row_bcast:31 row_mask:0xf bank_mask:0xf
	s_movk_i32 s40, 0xff
	v_cndmask_b32_e64 v9, v9, v10, s[0:1]
	s_and_b64 s[0:1], s[0:1], s[36:37]
	v_cndmask_b32_e64 v10, 0, v11, s[0:1]
	v_add_u32_e32 v7, v10, v7
	v_add_u32_e32 v10, -1, v8
	v_and_b32_e32 v11, 64, v8
	v_cmp_lt_i32_e64 s[0:1], v10, v11
	v_and_or_b32 v6, v9, s40, v6
	s_nop 0
	v_cndmask_b32_e64 v8, v10, v8, s[0:1]
	v_lshlrev_b32_e32 v8, 2, v8
	ds_bpermute_b32 v7, v8, v7
	ds_bpermute_b32 v6, v8, v6
	v_cmp_eq_u16_sdwa s[0:1], v3, v12 src0_sel:BYTE_0 src1_sel:DWORD
	; wave barrier
	s_waitcnt lgkmcnt(1)
	s_nop 0
	v_cndmask_b32_e64 v3, 0, v7, s[0:1]
	v_add_u32_e32 v2, v3, v2
	s_waitcnt lgkmcnt(0)
	v_and_b32_e32 v3, 1, v6
	v_cmp_eq_u32_e64 s[0:1], 1, v5
	v_cndmask_b32_e64 v5, v2, v16, s[34:35]
	s_nop 0
	v_cndmask_b32_e64 v3, v3, 1, s[0:1]
	v_cndmask_b32_e64 v6, v3, v17, s[34:35]
	ds_write_b32 v4, v5
	ds_write_b8 v4, v6 offset:4
	; wave barrier
	ds_read_u8 v7, v4 offset:12
	ds_read2_b32 v[2:3], v4 offset0:2 offset1:4
	ds_read_u8 v8, v4 offset:20
	ds_read_b32 v9, v4 offset:24
	ds_read_u8 v10, v4 offset:28
	s_waitcnt lgkmcnt(4)
	v_cmp_eq_u16_e64 s[0:1], 0, v7
	s_nop 1
	v_cndmask_b32_e64 v5, 0, v5, s[0:1]
	s_waitcnt lgkmcnt(3)
	v_add_u32_e32 v2, v5, v2
	v_and_b32_e32 v5, 1, v7
	v_cmp_eq_u32_e64 s[0:1], 1, v5
	s_nop 1
	v_cndmask_b32_e64 v5, v6, 1, s[0:1]
	s_waitcnt lgkmcnt(2)
	v_cmp_eq_u16_e64 s[0:1], 0, v8
	ds_write_b8 v4, v5 offset:12
	s_nop 0
	v_cndmask_b32_e64 v6, 0, v2, s[0:1]
	v_add_u32_e32 v3, v6, v3
	v_and_b32_e32 v6, 1, v8
	v_cmp_eq_u32_e64 s[0:1], 1, v6
	s_nop 1
	v_cndmask_b32_e64 v5, v5, 1, s[0:1]
	s_waitcnt lgkmcnt(1)
	v_cmp_eq_u16_e64 s[0:1], 0, v10
	ds_write2_b32 v4, v2, v3 offset0:2 offset1:4
	ds_write_b8 v4, v5 offset:20
	v_cndmask_b32_e64 v2, 0, v3, s[0:1]
	v_and_b32_e32 v3, 1, v10
	v_add_u32_e32 v2, v2, v9
	v_cmp_eq_u32_e64 s[0:1], 1, v3
	s_nop 1
	v_cndmask_b32_e64 v3, v5, 1, s[0:1]
	ds_write_b32 v4, v2 offset:24
	ds_write_b8 v4, v3 offset:28
.LBB1034_101:
	s_or_b64 exec, exec, s[30:31]
	s_waitcnt lgkmcnt(0)
	s_barrier
	s_and_saveexec_b64 s[0:1], s[4:5]
	s_cbranch_execz .LBB1034_103
; %bb.102:
	v_add_u32_e32 v2, -1, v0
	v_lshrrev_b32_e32 v3, 5, v2
	v_add_lshl_u32 v2, v3, v2, 3
	ds_read_b32 v16, v2
	ds_read_u8 v17, v2 offset:4
.LBB1034_103:
	s_or_b64 exec, exec, s[0:1]
	s_and_saveexec_b64 s[36:37], vcc
	s_cbranch_execz .LBB1034_122
; %bb.104:
	v_mov_b32_e32 v5, 0
	ds_read_b64 v[2:3], v5 offset:2096
	v_mbcnt_lo_u32_b32 v4, -1, 0
	v_mbcnt_hi_u32_b32 v28, -1, v4
	s_mov_b32 s41, 0
	v_cmp_eq_u32_e64 s[30:31], 0, v28
	s_waitcnt lgkmcnt(0)
	v_readfirstlane_b32 s55, v3
	s_and_saveexec_b64 s[0:1], s[30:31]
	s_cbranch_execz .LBB1034_106
; %bb.105:
	s_add_i32 s40, s47, 64
	s_lshl_b64 s[48:49], s[40:41], 4
	s_add_u32 s48, s44, s48
	s_addc_u32 s49, s45, s49
	s_and_b32 s57, s55, 0xff000000
	s_mov_b32 s56, s41
	s_and_b32 s59, s55, 0xff0000
	s_mov_b32 s58, s41
	s_or_b64 s[56:57], s[58:59], s[56:57]
	s_and_b32 s59, s55, 0xff00
	s_or_b64 s[56:57], s[56:57], s[58:59]
	s_and_b32 s59, s55, 0xff
	s_or_b64 s[40:41], s[56:57], s[58:59]
	v_mov_b32_e32 v3, s41
	v_mov_b32_e32 v4, 1
	v_mov_b64_e32 v[6:7], s[48:49]
	;;#ASMSTART
	global_store_dwordx4 v[6:7], v[2:5] off sc1	
s_waitcnt vmcnt(0)
	;;#ASMEND
.LBB1034_106:
	s_or_b64 exec, exec, s[0:1]
	v_xad_u32 v10, v28, -1, s47
	v_add_u32_e32 v4, 64, v10
	v_lshl_add_u64 v[12:13], v[4:5], 4, s[44:45]
	;;#ASMSTART
	global_load_dwordx4 v[6:9], v[12:13] off sc1	
s_waitcnt vmcnt(0)
	;;#ASMEND
	s_nop 0
	v_and_b32_e32 v3, 0xff0000, v6
	v_and_b32_e32 v4, 0xff000000, v6
	;; [unrolled: 1-line block ×3, first 2 shown]
	v_or_b32_sdwa v3, v6, v3 dst_sel:DWORD dst_unused:UNUSED_PAD src0_sel:WORD_0 src1_sel:DWORD
	v_or3_b32 v7, 0, 0, v7
	v_or3_b32 v6, v3, v4, 0
	v_cmp_eq_u16_sdwa s[40:41], v8, v5 src0_sel:BYTE_0 src1_sel:DWORD
	s_and_saveexec_b64 s[0:1], s[40:41]
	s_cbranch_execz .LBB1034_110
; %bb.107:
	s_mov_b64 s[40:41], 0
	v_mov_b32_e32 v3, 0
.LBB1034_108:                           ; =>This Inner Loop Header: Depth=1
	;;#ASMSTART
	global_load_dwordx4 v[6:9], v[12:13] off sc1	
s_waitcnt vmcnt(0)
	;;#ASMEND
	s_nop 0
	v_cmp_ne_u16_sdwa s[48:49], v8, v3 src0_sel:BYTE_0 src1_sel:DWORD
	s_or_b64 s[40:41], s[48:49], s[40:41]
	s_andn2_b64 exec, exec, s[40:41]
	s_cbranch_execnz .LBB1034_108
; %bb.109:
	s_or_b64 exec, exec, s[40:41]
	v_and_b32_e32 v7, 0xff, v7
.LBB1034_110:
	s_or_b64 exec, exec, s[0:1]
	v_mov_b32_e32 v3, 2
	v_cmp_eq_u16_sdwa s[0:1], v8, v3 src0_sel:BYTE_0 src1_sel:DWORD
	v_lshlrev_b64 v[4:5], v28, -1
	v_and_b32_e32 v18, 63, v28
	v_and_b32_e32 v9, s1, v5
	v_or_b32_e32 v9, 0x80000000, v9
	v_and_b32_e32 v11, s0, v4
	v_ffbl_b32_e32 v9, v9
	v_add_u32_e32 v9, 32, v9
	v_ffbl_b32_e32 v11, v11
	v_cmp_ne_u32_e32 vcc, 63, v18
	v_min_u32_e32 v9, v11, v9
	s_mov_b32 s40, 0
	v_addc_co_u32_e32 v11, vcc, 0, v28, vcc
	v_lshlrev_b32_e32 v19, 2, v11
	ds_bpermute_b32 v11, v19, v7
	ds_bpermute_b32 v12, v19, v6
	v_and_b32_e32 v13, 1, v7
	s_mov_b32 s41, 1
	v_cmp_eq_u32_e32 vcc, 1, v13
	s_waitcnt lgkmcnt(1)
	v_and_b32_e32 v11, 1, v11
	v_cmp_lt_u32_e64 s[0:1], v18, v9
	v_cndmask_b32_e64 v11, v11, 1, vcc
	v_cmp_gt_u64_e32 vcc, s[40:41], v[6:7]
	s_and_b64 vcc, s[0:1], vcc
	v_and_b32_e32 v13, 0xffff, v11
	v_cndmask_b32_e64 v22, v7, v11, s[0:1]
	s_waitcnt lgkmcnt(0)
	v_cndmask_b32_e32 v11, 0, v12, vcc
	v_cmp_gt_u32_e32 vcc, 62, v18
	v_cndmask_b32_e64 v7, v7, v13, s[0:1]
	v_add_u32_e32 v6, v11, v6
	v_cndmask_b32_e64 v12, 0, 1, vcc
	v_lshlrev_b32_e32 v12, 1, v12
	v_add_lshl_u32 v20, v12, v28, 2
	ds_bpermute_b32 v12, v20, v7
	ds_bpermute_b32 v13, v20, v6
	v_and_b32_e32 v11, 1, v22
	v_cmp_eq_u32_e32 vcc, 1, v11
	v_mov_b32_e32 v11, 0
	s_waitcnt lgkmcnt(1)
	v_and_b32_e32 v12, 1, v12
	v_add_u32_e32 v21, 2, v18
	v_cndmask_b32_e64 v12, v12, 1, vcc
	v_cmp_eq_u16_sdwa vcc, v22, v11 src0_sel:BYTE_0 src1_sel:DWORD
	v_and_b32_e32 v23, 0xffff, v12
	v_add_u32_e32 v61, 32, v18
	s_waitcnt lgkmcnt(0)
	v_cndmask_b32_e32 v13, 0, v13, vcc
	v_cmp_gt_u32_e32 vcc, v21, v9
	s_nop 1
	v_cndmask_b32_e32 v12, v12, v22, vcc
	v_cndmask_b32_e64 v13, v13, 0, vcc
	v_cndmask_b32_e32 v7, v23, v7, vcc
	v_cmp_gt_u32_e32 vcc, 60, v18
	v_add_u32_e32 v6, v13, v6
	v_and_b32_e32 v26, 1, v12
	v_cndmask_b32_e64 v22, 0, 1, vcc
	v_lshlrev_b32_e32 v22, 2, v22
	v_add_lshl_u32 v22, v22, v28, 2
	ds_bpermute_b32 v25, v22, v7
	ds_bpermute_b32 v13, v22, v6
	v_cmp_eq_u32_e32 vcc, 1, v26
	v_add_u32_e32 v23, 4, v18
	s_waitcnt lgkmcnt(1)
	v_and_b32_e32 v25, 1, v25
	v_cndmask_b32_e64 v25, v25, 1, vcc
	v_cmp_eq_u16_sdwa vcc, v12, v11 src0_sel:BYTE_0 src1_sel:DWORD
	v_and_b32_e32 v26, 0xffff, v25
	s_waitcnt lgkmcnt(0)
	v_cndmask_b32_e32 v13, 0, v13, vcc
	v_cmp_gt_u32_e32 vcc, v23, v9
	s_nop 1
	v_cndmask_b32_e32 v12, v25, v12, vcc
	v_cndmask_b32_e64 v13, v13, 0, vcc
	v_cndmask_b32_e32 v7, v26, v7, vcc
	v_cmp_gt_u32_e32 vcc, 56, v18
	v_add_u32_e32 v6, v13, v6
	v_and_b32_e32 v29, 1, v12
	v_cndmask_b32_e64 v25, 0, 1, vcc
	v_lshlrev_b32_e32 v25, 3, v25
	v_add_lshl_u32 v25, v25, v28, 2
	ds_bpermute_b32 v27, v25, v7
	ds_bpermute_b32 v13, v25, v6
	v_cmp_eq_u32_e32 vcc, 1, v29
	v_add_u32_e32 v26, 8, v18
	s_waitcnt lgkmcnt(1)
	v_and_b32_e32 v27, 1, v27
	v_cndmask_b32_e64 v27, v27, 1, vcc
	v_cmp_eq_u16_sdwa vcc, v12, v11 src0_sel:BYTE_0 src1_sel:DWORD
	v_and_b32_e32 v29, 0xffff, v27
	;; [unrolled: 22-line block ×3, first 2 shown]
	s_waitcnt lgkmcnt(0)
	v_cndmask_b32_e32 v13, 0, v13, vcc
	v_cmp_gt_u32_e32 vcc, v29, v9
	s_nop 1
	v_cndmask_b32_e32 v12, v59, v12, vcc
	v_cndmask_b32_e64 v13, v13, 0, vcc
	v_cndmask_b32_e32 v7, v60, v7, vcc
	v_cmp_gt_u32_e32 vcc, 32, v18
	v_add_u32_e32 v6, v13, v6
	s_nop 0
	v_cndmask_b32_e64 v59, 0, 1, vcc
	v_lshlrev_b32_e32 v59, 5, v59
	v_add_lshl_u32 v60, v59, v28, 2
	ds_bpermute_b32 v7, v60, v7
	ds_bpermute_b32 v13, v60, v6
	v_and_b32_e32 v28, 1, v12
	v_cmp_eq_u32_e32 vcc, 1, v28
	s_waitcnt lgkmcnt(1)
	v_and_b32_e32 v7, 1, v7
	v_cndmask_b32_e64 v7, v7, 1, vcc
	v_cmp_eq_u16_sdwa vcc, v12, v11 src0_sel:BYTE_0 src1_sel:DWORD
	s_waitcnt lgkmcnt(0)
	s_nop 0
	v_cndmask_b32_e32 v13, 0, v13, vcc
	v_cmp_gt_u32_e32 vcc, v61, v9
	s_nop 1
	v_cndmask_b32_e64 v9, v13, 0, vcc
	v_cndmask_b32_e32 v7, v7, v12, vcc
	v_add_u32_e32 v6, v9, v6
	s_branch .LBB1034_112
.LBB1034_111:                           ;   in Loop: Header=BB1034_112 Depth=1
	s_or_b64 exec, exec, s[0:1]
	v_cmp_eq_u16_sdwa s[0:1], v8, v3 src0_sel:BYTE_0 src1_sel:DWORD
	ds_bpermute_b32 v13, v19, v7
	v_and_b32_e32 v62, 1, v7
	v_and_b32_e32 v9, s1, v5
	v_or_b32_e32 v9, 0x80000000, v9
	v_and_b32_e32 v12, s0, v4
	v_ffbl_b32_e32 v9, v9
	v_add_u32_e32 v9, 32, v9
	v_ffbl_b32_e32 v12, v12
	v_min_u32_e32 v9, v12, v9
	ds_bpermute_b32 v12, v19, v6
	s_waitcnt lgkmcnt(1)
	v_and_b32_e32 v13, 1, v13
	v_cmp_eq_u32_e32 vcc, 1, v62
	v_cmp_lt_u32_e64 s[0:1], v18, v9
	v_subrev_u32_e32 v10, 64, v10
	v_cndmask_b32_e64 v13, v13, 1, vcc
	v_cmp_gt_u64_e32 vcc, s[40:41], v[6:7]
	v_and_b32_e32 v62, 0xffff, v13
	v_cndmask_b32_e64 v13, v7, v13, s[0:1]
	v_cndmask_b32_e64 v7, v7, v62, s[0:1]
	s_and_b64 vcc, s[0:1], vcc
	ds_bpermute_b32 v62, v20, v7
	s_waitcnt lgkmcnt(1)
	v_cndmask_b32_e32 v12, 0, v12, vcc
	v_add_u32_e32 v6, v12, v6
	ds_bpermute_b32 v12, v20, v6
	v_and_b32_e32 v63, 1, v13
	s_waitcnt lgkmcnt(1)
	v_and_b32_e32 v62, 1, v62
	v_cmp_eq_u32_e32 vcc, 1, v63
	s_nop 1
	v_cndmask_b32_e64 v62, v62, 1, vcc
	v_cmp_eq_u16_sdwa vcc, v13, v11 src0_sel:BYTE_0 src1_sel:DWORD
	v_and_b32_e32 v63, 0xffff, v62
	s_waitcnt lgkmcnt(0)
	v_cndmask_b32_e32 v12, 0, v12, vcc
	v_cmp_gt_u32_e32 vcc, v21, v9
	s_nop 1
	v_cndmask_b32_e32 v7, v63, v7, vcc
	v_cndmask_b32_e32 v13, v62, v13, vcc
	ds_bpermute_b32 v62, v22, v7
	v_cndmask_b32_e64 v12, v12, 0, vcc
	v_add_u32_e32 v6, v12, v6
	ds_bpermute_b32 v12, v22, v6
	v_and_b32_e32 v63, 1, v13
	s_waitcnt lgkmcnt(1)
	v_and_b32_e32 v62, 1, v62
	v_cmp_eq_u32_e32 vcc, 1, v63
	s_nop 1
	v_cndmask_b32_e64 v62, v62, 1, vcc
	v_cmp_eq_u16_sdwa vcc, v13, v11 src0_sel:BYTE_0 src1_sel:DWORD
	v_and_b32_e32 v63, 0xffff, v62
	s_waitcnt lgkmcnt(0)
	v_cndmask_b32_e32 v12, 0, v12, vcc
	v_cmp_gt_u32_e32 vcc, v23, v9
	s_nop 1
	v_cndmask_b32_e32 v7, v63, v7, vcc
	v_cndmask_b32_e32 v13, v62, v13, vcc
	ds_bpermute_b32 v62, v25, v7
	v_cndmask_b32_e64 v12, v12, 0, vcc
	;; [unrolled: 18-line block ×3, first 2 shown]
	v_add_u32_e32 v6, v12, v6
	ds_bpermute_b32 v12, v27, v6
	v_and_b32_e32 v63, 1, v13
	s_waitcnt lgkmcnt(1)
	v_and_b32_e32 v62, 1, v62
	v_cmp_eq_u32_e32 vcc, 1, v63
	s_nop 1
	v_cndmask_b32_e64 v62, v62, 1, vcc
	v_cmp_eq_u16_sdwa vcc, v13, v11 src0_sel:BYTE_0 src1_sel:DWORD
	v_and_b32_e32 v63, 0xffff, v62
	s_waitcnt lgkmcnt(0)
	v_cndmask_b32_e32 v12, 0, v12, vcc
	v_cmp_gt_u32_e32 vcc, v29, v9
	s_nop 1
	v_cndmask_b32_e64 v12, v12, 0, vcc
	v_cndmask_b32_e32 v7, v63, v7, vcc
	ds_bpermute_b32 v7, v60, v7
	v_add_u32_e32 v6, v12, v6
	ds_bpermute_b32 v12, v60, v6
	v_cndmask_b32_e32 v13, v62, v13, vcc
	v_and_b32_e32 v62, 1, v13
	v_cmp_eq_u32_e32 vcc, 1, v62
	s_waitcnt lgkmcnt(1)
	s_nop 0
	v_cndmask_b32_e64 v7, v7, 1, vcc
	v_cmp_eq_u16_sdwa vcc, v13, v11 src0_sel:BYTE_0 src1_sel:DWORD
	s_waitcnt lgkmcnt(0)
	s_nop 0
	v_cndmask_b32_e32 v12, 0, v12, vcc
	v_cmp_gt_u32_e32 vcc, v61, v9
	s_nop 1
	v_cndmask_b32_e64 v9, v12, 0, vcc
	v_cndmask_b32_e32 v7, v7, v13, vcc
	v_add_u32_e32 v6, v9, v6
	v_cmp_eq_u16_sdwa vcc, v28, v11 src0_sel:BYTE_0 src1_sel:DWORD
	v_and_b32_e32 v9, 1, v28
	v_and_b32_e32 v7, 1, v7
	v_cndmask_b32_e32 v6, 0, v6, vcc
	v_cmp_eq_u32_e32 vcc, 1, v9
	v_add_u32_e32 v6, v6, v59
	s_nop 0
	v_cndmask_b32_e64 v7, v7, 1, vcc
.LBB1034_112:                           ; =>This Loop Header: Depth=1
                                        ;     Child Loop BB1034_115 Depth 2
	v_cmp_ne_u16_sdwa s[0:1], v8, v3 src0_sel:BYTE_0 src1_sel:DWORD
	v_mov_b32_e32 v28, v7
	v_mov_b32_e32 v59, v6
	v_cndmask_b32_e64 v7, 0, 1, s[0:1]
	;;#ASMSTART
	;;#ASMEND
	s_nop 0
	v_cmp_ne_u32_e32 vcc, 0, v7
	s_cmp_lg_u64 vcc, exec
	s_cbranch_scc1 .LBB1034_117
; %bb.113:                              ;   in Loop: Header=BB1034_112 Depth=1
	v_lshl_add_u64 v[12:13], v[10:11], 4, s[44:45]
	;;#ASMSTART
	global_load_dwordx4 v[6:9], v[12:13] off sc1	
s_waitcnt vmcnt(0)
	;;#ASMEND
	s_nop 0
	v_and_b32_e32 v9, 0xff0000, v6
	v_and_b32_e32 v62, 0xff000000, v6
	;; [unrolled: 1-line block ×3, first 2 shown]
	v_or_b32_sdwa v6, v6, v9 dst_sel:DWORD dst_unused:UNUSED_PAD src0_sel:WORD_0 src1_sel:DWORD
	v_or3_b32 v7, 0, 0, v7
	v_or3_b32 v6, v6, v62, 0
	v_cmp_eq_u16_sdwa s[48:49], v8, v11 src0_sel:BYTE_0 src1_sel:DWORD
	s_and_saveexec_b64 s[0:1], s[48:49]
	s_cbranch_execz .LBB1034_111
; %bb.114:                              ;   in Loop: Header=BB1034_112 Depth=1
	s_mov_b64 s[48:49], 0
.LBB1034_115:                           ;   Parent Loop BB1034_112 Depth=1
                                        ; =>  This Inner Loop Header: Depth=2
	;;#ASMSTART
	global_load_dwordx4 v[6:9], v[12:13] off sc1	
s_waitcnt vmcnt(0)
	;;#ASMEND
	s_nop 0
	v_cmp_ne_u16_sdwa s[56:57], v8, v11 src0_sel:BYTE_0 src1_sel:DWORD
	s_or_b64 s[48:49], s[56:57], s[48:49]
	s_andn2_b64 exec, exec, s[48:49]
	s_cbranch_execnz .LBB1034_115
; %bb.116:                              ;   in Loop: Header=BB1034_112 Depth=1
	s_or_b64 exec, exec, s[48:49]
	v_and_b32_e32 v7, 0xff, v7
	s_branch .LBB1034_111
.LBB1034_117:                           ;   in Loop: Header=BB1034_112 Depth=1
                                        ; implicit-def: $vgpr7
                                        ; implicit-def: $vgpr6
                                        ; implicit-def: $vgpr8
	s_cbranch_execz .LBB1034_112
; %bb.118:
	s_and_saveexec_b64 s[0:1], s[30:31]
	s_cbranch_execz .LBB1034_120
; %bb.119:
	s_and_b32 s30, s55, 0xff
	s_cmp_eq_u32 s30, 0
	s_cselect_b64 vcc, -1, 0
	s_bitcmp1_b32 s55, 0
	s_mov_b32 s31, 0
	s_cselect_b64 s[40:41], -1, 0
	s_add_i32 s30, s47, 64
	s_lshl_b64 s[30:31], s[30:31], 4
	v_cndmask_b32_e32 v3, 0, v59, vcc
	s_add_u32 s30, s44, s30
	v_add_u32_e32 v2, v3, v2
	v_and_b32_e32 v3, 1, v28
	s_addc_u32 s31, s45, s31
	v_mov_b32_e32 v5, 0
	v_cndmask_b32_e64 v3, v3, 1, s[40:41]
	v_mov_b32_e32 v4, 2
	v_mov_b64_e32 v[6:7], s[30:31]
	;;#ASMSTART
	global_store_dwordx4 v[6:7], v[2:5] off sc1	
s_waitcnt vmcnt(0)
	;;#ASMEND
.LBB1034_120:
	s_or_b64 exec, exec, s[0:1]
	s_and_b64 exec, exec, s[34:35]
	s_cbranch_execz .LBB1034_122
; %bb.121:
	v_mov_b32_e32 v2, 0
	ds_write_b32 v2, v59
	ds_write_b8 v2, v28 offset:4
.LBB1034_122:
	s_or_b64 exec, exec, s[36:37]
	v_mov_b32_e32 v4, 0
	s_waitcnt lgkmcnt(0)
	s_barrier
	ds_read_b32 v2, v4
	v_cmp_eq_u16_sdwa vcc, v17, v4 src0_sel:BYTE_0 src1_sel:DWORD
	v_and_b32_e32 v5, 0xff, v33
	s_waitcnt lgkmcnt(0)
	v_cndmask_b32_e32 v3, 0, v2, vcc
	v_add_u32_e32 v3, v3, v16
	v_cndmask_b32_e64 v2, v3, v2, s[34:35]
	v_cmp_eq_u64_e32 vcc, 0, v[4:5]
	s_nop 1
	v_cndmask_b32_e32 v3, 0, v2, vcc
	v_add_u32_e32 v3, v3, v32
	v_cndmask_b32_e64 v4, 0, v3, s[6:7]
	v_add_u32_e32 v16, v4, v34
	v_cndmask_b32_e64 v4, 0, v16, s[8:9]
	;; [unrolled: 2-line block ×12, first 2 shown]
	v_add_u32_e32 v23, v4, v56
	s_branch .LBB1034_155
.LBB1034_123:
	s_or_b64 exec, exec, s[0:1]
                                        ; implicit-def: $vgpr57
	s_and_saveexec_b64 s[0:1], s[6:7]
	s_cbranch_execz .LBB1034_37
.LBB1034_124:
	v_mov_b32_e32 v57, 0
	v_lshl_add_u64 v[56:57], v[60:61], 0, v[56:57]
	flat_load_dword v57, v[56:57] offset:2048
	s_or_b64 exec, exec, s[0:1]
                                        ; implicit-def: $vgpr33
	s_and_saveexec_b64 s[0:1], s[8:9]
	s_cbranch_execnz .LBB1034_38
.LBB1034_125:
	s_or_b64 exec, exec, s[0:1]
                                        ; implicit-def: $vgpr32
	s_and_saveexec_b64 s[0:1], s[10:11]
	s_cbranch_execz .LBB1034_39
.LBB1034_126:
	v_mov_b32_e32 v35, 0
	v_lshl_add_u64 v[34:35], v[60:61], 0, v[34:35]
	flat_load_dword v32, v[34:35]
	s_or_b64 exec, exec, s[0:1]
                                        ; implicit-def: $vgpr34
	s_and_saveexec_b64 s[0:1], s[12:13]
	s_cbranch_execnz .LBB1034_40
.LBB1034_127:
	s_or_b64 exec, exec, s[0:1]
                                        ; implicit-def: $vgpr35
	s_and_saveexec_b64 s[0:1], s[14:15]
	s_cbranch_execz .LBB1034_41
.LBB1034_128:
	v_mov_b32_e32 v39, 0
	v_lshl_add_u64 v[36:37], v[60:61], 0, v[38:39]
	flat_load_dword v35, v[36:37]
	s_or_b64 exec, exec, s[0:1]
                                        ; implicit-def: $vgpr36
	s_and_saveexec_b64 s[0:1], s[16:17]
	s_cbranch_execnz .LBB1034_42
.LBB1034_129:
	s_or_b64 exec, exec, s[0:1]
                                        ; implicit-def: $vgpr37
	s_and_saveexec_b64 s[0:1], s[18:19]
	s_cbranch_execz .LBB1034_43
.LBB1034_130:
	v_mov_b32_e32 v43, 0
	v_lshl_add_u64 v[38:39], v[60:61], 0, v[42:43]
	flat_load_dword v37, v[38:39]
	s_or_b64 exec, exec, s[0:1]
                                        ; implicit-def: $vgpr38
	s_and_saveexec_b64 s[0:1], s[20:21]
	s_cbranch_execnz .LBB1034_44
.LBB1034_131:
	s_or_b64 exec, exec, s[0:1]
                                        ; implicit-def: $vgpr39
	s_and_saveexec_b64 s[0:1], s[22:23]
	s_cbranch_execz .LBB1034_45
.LBB1034_132:
	v_mov_b32_e32 v47, 0
	v_lshl_add_u64 v[40:41], v[60:61], 0, v[46:47]
	flat_load_dword v39, v[40:41]
	s_or_b64 exec, exec, s[0:1]
                                        ; implicit-def: $vgpr40
	s_and_saveexec_b64 s[0:1], s[24:25]
	s_cbranch_execnz .LBB1034_46
.LBB1034_133:
	s_or_b64 exec, exec, s[0:1]
                                        ; implicit-def: $vgpr41
	s_and_saveexec_b64 s[0:1], s[26:27]
	s_cbranch_execz .LBB1034_47
.LBB1034_134:
	v_mov_b32_e32 v51, 0
	v_lshl_add_u64 v[42:43], v[60:61], 0, v[50:51]
	flat_load_dword v41, v[42:43]
	s_or_b64 exec, exec, s[0:1]
                                        ; implicit-def: $vgpr42
	s_and_saveexec_b64 s[0:1], s[28:29]
	s_cbranch_execz .LBB1034_49
	s_branch .LBB1034_48
.LBB1034_135:
                                        ; implicit-def: $vgpr23
                                        ; implicit-def: $vgpr21
                                        ; implicit-def: $vgpr19
                                        ; implicit-def: $vgpr17
                                        ; implicit-def: $vgpr10_vgpr11_vgpr12_vgpr13
                                        ; implicit-def: $vgpr6_vgpr7_vgpr8_vgpr9
                                        ; implicit-def: $vgpr2_vgpr3_vgpr4_vgpr5
	s_cbranch_execz .LBB1034_155
; %bb.136:
	s_cmp_lg_u64 s[52:53], 0
	s_cselect_b32 s7, s51, 0
	s_cselect_b32 s6, s50, 0
	s_mov_b32 s0, 0
	s_cmp_eq_u64 s[6:7], 0
	v_mov_b32_e32 v8, s54
	s_cbranch_scc1 .LBB1034_138
; %bb.137:
	v_mov_b32_e32 v2, 0
	global_load_dword v8, v2, s[6:7]
.LBB1034_138:
	s_mov_b32 s1, 1
	v_cmp_gt_u64_e32 vcc, s[0:1], v[34:35]
	v_cmp_gt_u64_e64 s[6:7], s[0:1], v[36:37]
	v_cmp_gt_u64_e64 s[8:9], s[0:1], v[38:39]
	v_cndmask_b32_e32 v2, 0, v32, vcc
	v_add_u32_e32 v2, v2, v34
	v_cndmask_b32_e64 v2, 0, v2, s[6:7]
	v_add_u32_e32 v2, v2, v36
	v_cndmask_b32_e64 v2, 0, v2, s[8:9]
	v_add_u32_e32 v2, v2, v38
	v_cmp_gt_u64_e64 s[10:11], s[0:1], v[40:41]
	v_cmp_gt_u64_e64 s[12:13], s[0:1], v[42:43]
	v_cmp_gt_u64_e64 s[14:15], s[0:1], v[44:45]
	v_cndmask_b32_e64 v2, 0, v2, s[10:11]
	v_add_u32_e32 v2, v2, v40
	v_cndmask_b32_e64 v2, 0, v2, s[12:13]
	v_add_u32_e32 v2, v2, v42
	v_cndmask_b32_e64 v2, 0, v2, s[14:15]
	v_add_u32_e32 v2, v2, v44
	v_cmp_gt_u64_e64 s[16:17], s[0:1], v[46:47]
	v_cmp_gt_u64_e64 s[18:19], s[0:1], v[48:49]
	v_cmp_gt_u64_e64 s[20:21], s[0:1], v[50:51]
	v_cndmask_b32_e64 v2, 0, v2, s[16:17]
	;; [unrolled: 9-line block ×3, first 2 shown]
	v_add_u32_e32 v2, v2, v52
	v_cndmask_b32_e64 v2, 0, v2, s[24:25]
	v_add_u32_e32 v2, v2, v54
	v_cndmask_b32_e64 v2, 0, v2, s[26:27]
	v_add_u32_e32 v2, v2, v56
	v_cmp_gt_u64_e64 s[0:1], s[0:1], v[14:15]
	v_add_lshl_u32 v1, v1, v0, 3
	s_nop 0
	v_cndmask_b32_e64 v2, 0, v2, s[0:1]
	v_add_u32_e32 v4, v2, v14
	v_or3_b32 v2, v24, v53, v51
	v_or3_b32 v2, v2, v49, v47
	;; [unrolled: 1-line block ×5, first 2 shown]
	v_and_b32_e32 v2, 1, v2
	v_cmp_eq_u32_e64 s[0:1], 1, v2
	s_nop 1
	v_cndmask_b32_e64 v5, v33, 1, s[0:1]
	v_cmp_gt_u32_e64 s[0:1], 64, v0
	ds_write_b32 v1, v4
	ds_write_b8 v1, v5 offset:4
	s_waitcnt lgkmcnt(0)
	s_barrier
	s_and_saveexec_b64 s[28:29], s[0:1]
	s_cbranch_execz .LBB1034_150
; %bb.139:
	v_lshlrev_b32_e32 v1, 2, v0
	v_lshrrev_b32_e32 v2, 3, v0
	v_add_lshl_u32 v1, v2, v1, 3
	ds_read2_b32 v[10:11], v1 offset0:2 offset1:4
	ds_read_b64 v[2:3], v1
	ds_read_u8 v7, v1 offset:12
	ds_read_u8 v12, v1 offset:20
	ds_read_b32 v9, v1 offset:24
	ds_read_u8 v13, v1 offset:28
	v_mov_b32_e32 v14, 0
	s_waitcnt lgkmcnt(3)
	v_cmp_eq_u16_sdwa s[0:1], v7, v14 src0_sel:BYTE_0 src1_sel:DWORD
	v_and_b32_e32 v6, 1, v3
	s_nop 0
	v_cndmask_b32_e64 v15, 0, v2, s[0:1]
	v_add_u32_e32 v10, v15, v10
	s_waitcnt lgkmcnt(2)
	v_cmp_eq_u16_sdwa s[0:1], v12, v14 src0_sel:BYTE_0 src1_sel:DWORD
	s_nop 1
	v_cndmask_b32_e64 v10, 0, v10, s[0:1]
	v_add_u32_e32 v10, v10, v11
	s_waitcnt lgkmcnt(0)
	v_cmp_eq_u16_e64 s[0:1], 0, v13
	s_nop 1
	v_cndmask_b32_e64 v10, 0, v10, s[0:1]
	v_add_u32_e32 v9, v10, v9
	v_or_b32_e32 v10, v13, v12
	v_or_b32_e32 v7, v10, v7
	v_and_b32_e32 v7, 1, v7
	v_cmp_eq_u32_e64 s[0:1], 1, v7
	v_mbcnt_lo_u32_b32 v10, -1, 0
	v_and_b32_e32 v7, 0xffffff00, v3
	v_cndmask_b32_e64 v11, v6, 1, s[0:1]
	v_mbcnt_hi_u32_b32 v10, -1, v10
	v_and_b32_e32 v13, 15, v10
	v_or_b32_sdwa v12, v7, v11 dst_sel:DWORD dst_unused:UNUSED_PAD src0_sel:DWORD src1_sel:WORD_0
	v_mov_b32_dpp v14, v9 row_shr:1 row_mask:0xf bank_mask:0xf
	v_cmp_ne_u32_e64 s[0:1], 0, v13
	v_mov_b32_dpp v15, v12 row_shr:1 row_mask:0xf bank_mask:0xf
	s_and_saveexec_b64 s[30:31], s[0:1]
; %bb.140:
	v_and_b32_e32 v12, 1, v11
	v_and_b32_e32 v15, 1, v15
	v_cmp_eq_u32_e64 s[0:1], 1, v12
	s_nop 1
	v_cndmask_b32_e64 v15, v15, 1, s[0:1]
	v_cmp_eq_u16_e64 s[0:1], 0, v11
	v_or_b32_sdwa v12, v7, v15 dst_sel:DWORD dst_unused:UNUSED_PAD src0_sel:DWORD src1_sel:WORD_0
	s_nop 0
	v_cndmask_b32_e64 v11, 0, v14, s[0:1]
	v_add_u32_e32 v9, v11, v9
	v_mov_b32_e32 v11, v15
; %bb.141:
	s_or_b64 exec, exec, s[30:31]
	v_mov_b32_dpp v14, v9 row_shr:2 row_mask:0xf bank_mask:0xf
	v_mov_b32_dpp v15, v12 row_shr:2 row_mask:0xf bank_mask:0xf
	v_cmp_lt_u32_e64 s[0:1], 1, v13
	s_and_saveexec_b64 s[30:31], s[0:1]
; %bb.142:
	v_and_b32_e32 v12, 1, v11
	v_and_b32_e32 v15, 1, v15
	v_cmp_eq_u32_e64 s[0:1], 1, v12
	s_nop 1
	v_cndmask_b32_e64 v15, v15, 1, s[0:1]
	v_cmp_eq_u16_e64 s[0:1], 0, v11
	v_or_b32_sdwa v12, v7, v15 dst_sel:DWORD dst_unused:UNUSED_PAD src0_sel:DWORD src1_sel:WORD_0
	s_nop 0
	v_cndmask_b32_e64 v11, 0, v14, s[0:1]
	v_add_u32_e32 v9, v11, v9
	v_mov_b32_e32 v11, v15
; %bb.143:
	s_or_b64 exec, exec, s[30:31]
	v_mov_b32_dpp v14, v9 row_shr:4 row_mask:0xf bank_mask:0xf
	v_mov_b32_dpp v15, v12 row_shr:4 row_mask:0xf bank_mask:0xf
	v_cmp_lt_u32_e64 s[0:1], 3, v13
	;; [unrolled: 18-line block ×3, first 2 shown]
	s_and_saveexec_b64 s[30:31], s[0:1]
; %bb.146:
	v_and_b32_e32 v12, 1, v11
	v_and_b32_e32 v13, 1, v15
	v_cmp_eq_u32_e64 s[0:1], 1, v12
	s_nop 1
	v_cndmask_b32_e64 v13, v13, 1, s[0:1]
	v_cmp_eq_u16_e64 s[0:1], 0, v11
	v_or_b32_sdwa v12, v7, v13 dst_sel:DWORD dst_unused:UNUSED_PAD src0_sel:DWORD src1_sel:WORD_0
	s_nop 0
	v_cndmask_b32_e64 v11, 0, v14, s[0:1]
	v_add_u32_e32 v9, v11, v9
	v_mov_b32_e32 v11, v13
; %bb.147:
	s_or_b64 exec, exec, s[30:31]
	v_and_b32_e32 v15, 16, v10
	v_mov_b32_dpp v13, v9 row_bcast:15 row_mask:0xf bank_mask:0xf
	v_mov_b32_dpp v14, v12 row_bcast:15 row_mask:0xf bank_mask:0xf
	v_cmp_ne_u32_e64 s[0:1], 0, v15
	s_and_saveexec_b64 s[30:31], s[0:1]
; %bb.148:
	v_and_b32_e32 v12, 1, v11
	v_and_b32_e32 v14, 1, v14
	v_cmp_eq_u32_e64 s[0:1], 1, v12
	s_nop 1
	v_cndmask_b32_e64 v14, v14, 1, s[0:1]
	v_cmp_eq_u16_e64 s[0:1], 0, v11
	v_or_b32_sdwa v12, v7, v14 dst_sel:DWORD dst_unused:UNUSED_PAD src0_sel:DWORD src1_sel:WORD_0
	s_nop 0
	v_cndmask_b32_e64 v11, 0, v13, s[0:1]
	v_add_u32_e32 v9, v11, v9
	v_mov_b32_e32 v11, v14
; %bb.149:
	s_or_b64 exec, exec, s[30:31]
	v_mov_b32_dpp v12, v12 row_bcast:31 row_mask:0xf bank_mask:0xf
	v_and_b32_e32 v14, 1, v11
	v_and_b32_e32 v12, 1, v12
	v_cmp_eq_u32_e64 s[0:1], 1, v14
	v_mov_b32_e32 v14, 0
	v_cmp_eq_u16_sdwa s[30:31], v11, v14 src0_sel:BYTE_0 src1_sel:DWORD
	v_cndmask_b32_e64 v12, v12, 1, s[0:1]
	v_cmp_lt_u32_e64 s[0:1], 31, v10
	v_mov_b32_dpp v13, v9 row_bcast:31 row_mask:0xf bank_mask:0xf
	s_movk_i32 s36, 0xff
	v_cndmask_b32_e64 v11, v11, v12, s[0:1]
	s_and_b64 s[0:1], s[0:1], s[30:31]
	v_cndmask_b32_e64 v12, 0, v13, s[0:1]
	v_add_u32_e32 v9, v12, v9
	v_add_u32_e32 v12, -1, v10
	v_and_b32_e32 v13, 64, v10
	v_cmp_lt_i32_e64 s[0:1], v12, v13
	v_and_or_b32 v7, v11, s36, v7
	s_nop 0
	v_cndmask_b32_e64 v10, v12, v10, s[0:1]
	v_lshlrev_b32_e32 v10, 2, v10
	ds_bpermute_b32 v9, v10, v9
	ds_bpermute_b32 v7, v10, v7
	v_cmp_eq_u16_sdwa s[0:1], v3, v14 src0_sel:BYTE_0 src1_sel:DWORD
	; wave barrier
	s_waitcnt lgkmcnt(1)
	s_nop 0
	v_cndmask_b32_e64 v3, 0, v9, s[0:1]
	v_add_u32_e32 v2, v3, v2
	s_waitcnt lgkmcnt(0)
	v_and_b32_e32 v3, 1, v7
	v_cmp_eq_u32_e64 s[0:1], 1, v6
	v_cndmask_b32_e64 v4, v2, v4, s[34:35]
	s_nop 0
	v_cndmask_b32_e64 v3, v3, 1, s[0:1]
	v_cndmask_b32_e64 v5, v3, v5, s[34:35]
	ds_write_b32 v1, v4
	ds_write_b8 v1, v5 offset:4
	; wave barrier
	ds_read_u8 v6, v1 offset:12
	ds_read2_b32 v[2:3], v1 offset0:2 offset1:4
	ds_read_u8 v7, v1 offset:20
	ds_read_b32 v9, v1 offset:24
	ds_read_u8 v10, v1 offset:28
	s_waitcnt lgkmcnt(4)
	v_cmp_eq_u16_e64 s[0:1], 0, v6
	s_nop 1
	v_cndmask_b32_e64 v4, 0, v4, s[0:1]
	s_waitcnt lgkmcnt(3)
	v_add_u32_e32 v2, v4, v2
	v_and_b32_e32 v4, 1, v6
	v_cmp_eq_u32_e64 s[0:1], 1, v4
	s_nop 1
	v_cndmask_b32_e64 v4, v5, 1, s[0:1]
	s_waitcnt lgkmcnt(2)
	v_cmp_eq_u16_e64 s[0:1], 0, v7
	ds_write_b8 v1, v4 offset:12
	s_nop 0
	v_cndmask_b32_e64 v5, 0, v2, s[0:1]
	v_add_u32_e32 v3, v5, v3
	v_and_b32_e32 v5, 1, v7
	v_cmp_eq_u32_e64 s[0:1], 1, v5
	s_nop 1
	v_cndmask_b32_e64 v4, v4, 1, s[0:1]
	s_waitcnt lgkmcnt(1)
	v_cmp_eq_u16_e64 s[0:1], 0, v10
	ds_write2_b32 v1, v2, v3 offset0:2 offset1:4
	ds_write_b8 v1, v4 offset:20
	v_cndmask_b32_e64 v2, 0, v3, s[0:1]
	v_and_b32_e32 v3, 1, v10
	v_add_u32_e32 v2, v2, v9
	v_cmp_eq_u32_e64 s[0:1], 1, v3
	s_nop 1
	v_cndmask_b32_e64 v3, v4, 1, s[0:1]
	ds_write_b32 v1, v2 offset:24
	ds_write_b8 v1, v3 offset:28
.LBB1034_150:
	s_or_b64 exec, exec, s[28:29]
	s_waitcnt vmcnt(0)
	v_mov_b32_e32 v2, v8
	s_waitcnt lgkmcnt(0)
	s_barrier
	s_and_saveexec_b64 s[28:29], s[4:5]
	s_cbranch_execz .LBB1034_152
; %bb.151:
	v_add_u32_e32 v1, -1, v0
	v_lshrrev_b32_e32 v2, 5, v1
	v_add_lshl_u32 v1, v2, v1, 3
	ds_read_u8 v2, v1 offset:4
	ds_read_b32 v1, v1
	s_waitcnt lgkmcnt(1)
	v_cmp_eq_u16_e64 s[0:1], 0, v2
	s_nop 1
	v_cndmask_b32_e64 v2, 0, v8, s[0:1]
	s_waitcnt lgkmcnt(0)
	v_add_u32_e32 v2, v2, v1
.LBB1034_152:
	s_or_b64 exec, exec, s[28:29]
	v_and_b32_e32 v5, 0xff, v33
	v_mov_b32_e32 v4, 0
	v_cmp_eq_u64_e64 s[0:1], 0, v[4:5]
	s_nop 1
	v_cndmask_b32_e64 v1, 0, v2, s[0:1]
	v_add_u32_e32 v3, v1, v32
	v_cndmask_b32_e32 v1, 0, v3, vcc
	v_add_u32_e32 v16, v1, v34
	v_cndmask_b32_e64 v1, 0, v16, s[6:7]
	v_add_u32_e32 v17, v1, v36
	v_cndmask_b32_e64 v1, 0, v17, s[8:9]
	;; [unrolled: 2-line block ×11, first 2 shown]
	s_and_saveexec_b64 s[0:1], s[34:35]
	s_cbranch_execz .LBB1034_154
; %bb.153:
	ds_read_u8 v5, v4 offset:2100
	ds_read_b32 v9, v4 offset:2096
	s_add_u32 s4, s44, 0x400
	s_addc_u32 s5, s45, 0
	v_mov_b32_e32 v14, 2
	s_waitcnt lgkmcnt(1)
	v_cmp_eq_u16_e32 vcc, 0, v5
	v_and_b32_e32 v13, 0xffff, v5
	v_mov_b32_e32 v15, v4
	v_cndmask_b32_e32 v8, 0, v8, vcc
	s_waitcnt lgkmcnt(0)
	v_add_u32_e32 v12, v8, v9
	v_mov_b64_e32 v[4:5], s[4:5]
	;;#ASMSTART
	global_store_dwordx4 v[4:5], v[12:15] off sc1	
s_waitcnt vmcnt(0)
	;;#ASMEND
.LBB1034_154:
	s_or_b64 exec, exec, s[0:1]
	v_add_u32_e32 v23, v1, v56
.LBB1034_155:
	s_add_u32 s0, s42, s38
	s_addc_u32 s1, s43, s39
	v_mul_u32_u24_e32 v1, 14, v0
	v_lshl_add_u64 v[4:5], s[0:1], 0, v[30:31]
	s_and_b64 vcc, exec, s[2:3]
	v_lshlrev_b32_e32 v8, 2, v1
	s_cbranch_vccz .LBB1034_183
; %bb.156:
	s_movk_i32 s0, 0xffcc
	v_mad_i32_i24 v1, v0, s0, v8
	s_barrier
	ds_write2_b64 v8, v[2:3], v[16:17] offset1:1
	ds_write2_b64 v8, v[6:7], v[18:19] offset0:2 offset1:3
	ds_write2_b64 v8, v[10:11], v[20:21] offset0:4 offset1:5
	ds_write_b64 v8, v[22:23] offset:48
	s_waitcnt lgkmcnt(0)
	s_barrier
	ds_read2st64_b32 v[32:33], v1 offset0:4 offset1:8
	ds_read2st64_b32 v[30:31], v1 offset0:12 offset1:16
	;; [unrolled: 1-line block ×6, first 2 shown]
	ds_read_b32 v9, v1 offset:13312
	s_add_i32 s33, s33, s46
	v_mov_b32_e32 v59, 0
	v_lshl_add_u64 v[14:15], v[4:5], 0, v[58:59]
	v_cmp_gt_u32_e32 vcc, s33, v0
	s_and_saveexec_b64 s[0:1], vcc
	s_cbranch_execz .LBB1034_158
; %bb.157:
	v_mul_i32_i24_e32 v1, 0xffffffcc, v0
	v_add_u32_e32 v1, v8, v1
	ds_read_b32 v34, v1
	s_waitcnt lgkmcnt(0)
	v_ashrrev_i32_e32 v35, 31, v34
	flat_store_dwordx2 v[14:15], v[34:35]
.LBB1034_158:
	s_or_b64 exec, exec, s[0:1]
	v_or_b32_e32 v1, 0x100, v0
	v_cmp_gt_u32_e32 vcc, s33, v1
	s_and_saveexec_b64 s[0:1], vcc
	s_cbranch_execz .LBB1034_160
; %bb.159:
	s_waitcnt lgkmcnt(0)
	v_ashrrev_i32_e32 v35, 31, v32
	v_mov_b32_e32 v34, v32
	flat_store_dwordx2 v[14:15], v[34:35] offset:2048
.LBB1034_160:
	s_or_b64 exec, exec, s[0:1]
	v_or_b32_e32 v1, 0x200, v0
	v_cmp_gt_u32_e32 vcc, s33, v1
	s_and_saveexec_b64 s[0:1], vcc
	s_cbranch_execz .LBB1034_162
; %bb.161:
	s_waitcnt lgkmcnt(0)
	v_add_co_u32_e32 v32, vcc, 0x1000, v14
	v_ashrrev_i32_e32 v35, 31, v33
	v_mov_b32_e32 v34, v33
	v_addc_co_u32_e32 v33, vcc, 0, v15, vcc
	flat_store_dwordx2 v[32:33], v[34:35]
.LBB1034_162:
	s_or_b64 exec, exec, s[0:1]
	v_or_b32_e32 v1, 0x300, v0
	v_cmp_gt_u32_e32 vcc, s33, v1
	s_and_saveexec_b64 s[0:1], vcc
	s_cbranch_execz .LBB1034_164
; %bb.163:
	v_add_co_u32_e32 v34, vcc, 0x1000, v14
	s_waitcnt lgkmcnt(0)
	v_ashrrev_i32_e32 v33, 31, v30
	v_mov_b32_e32 v32, v30
	v_addc_co_u32_e32 v35, vcc, 0, v15, vcc
	flat_store_dwordx2 v[34:35], v[32:33] offset:2048
.LBB1034_164:
	s_or_b64 exec, exec, s[0:1]
	v_or_b32_e32 v1, 0x400, v0
	v_cmp_gt_u32_e32 vcc, s33, v1
	s_and_saveexec_b64 s[0:1], vcc
	s_cbranch_execz .LBB1034_166
; %bb.165:
	s_waitcnt lgkmcnt(0)
	v_add_co_u32_e32 v30, vcc, 0x2000, v14
	v_ashrrev_i32_e32 v33, 31, v31
	v_mov_b32_e32 v32, v31
	v_addc_co_u32_e32 v31, vcc, 0, v15, vcc
	flat_store_dwordx2 v[30:31], v[32:33]
.LBB1034_166:
	s_or_b64 exec, exec, s[0:1]
	v_or_b32_e32 v1, 0x500, v0
	v_cmp_gt_u32_e32 vcc, s33, v1
	s_and_saveexec_b64 s[0:1], vcc
	s_cbranch_execz .LBB1034_168
; %bb.167:
	s_waitcnt lgkmcnt(0)
	v_add_co_u32_e32 v32, vcc, 0x2000, v14
	v_ashrrev_i32_e32 v31, 31, v28
	v_mov_b32_e32 v30, v28
	v_addc_co_u32_e32 v33, vcc, 0, v15, vcc
	flat_store_dwordx2 v[32:33], v[30:31] offset:2048
.LBB1034_168:
	s_or_b64 exec, exec, s[0:1]
	v_or_b32_e32 v1, 0x600, v0
	v_cmp_gt_u32_e32 vcc, s33, v1
	s_and_saveexec_b64 s[0:1], vcc
	s_cbranch_execz .LBB1034_170
; %bb.169:
	s_waitcnt lgkmcnt(0)
	v_add_co_u32_e32 v28, vcc, 0x3000, v14
	v_ashrrev_i32_e32 v31, 31, v29
	v_mov_b32_e32 v30, v29
	v_addc_co_u32_e32 v29, vcc, 0, v15, vcc
	flat_store_dwordx2 v[28:29], v[30:31]
.LBB1034_170:
	s_or_b64 exec, exec, s[0:1]
	v_or_b32_e32 v1, 0x700, v0
	v_cmp_gt_u32_e32 vcc, s33, v1
	s_and_saveexec_b64 s[0:1], vcc
	s_cbranch_execz .LBB1034_172
; %bb.171:
	s_waitcnt lgkmcnt(0)
	v_add_co_u32_e32 v30, vcc, 0x3000, v14
	v_ashrrev_i32_e32 v29, 31, v26
	v_mov_b32_e32 v28, v26
	v_addc_co_u32_e32 v31, vcc, 0, v15, vcc
	flat_store_dwordx2 v[30:31], v[28:29] offset:2048
.LBB1034_172:
	;; [unrolled: 26-line block ×4, first 2 shown]
	s_or_b64 exec, exec, s[0:1]
	v_or_b32_e32 v1, 0xc00, v0
	v_cmp_gt_u32_e32 vcc, s33, v1
	s_and_saveexec_b64 s[0:1], vcc
	s_cbranch_execz .LBB1034_182
; %bb.181:
	s_waitcnt lgkmcnt(0)
	v_add_co_u32_e32 v12, vcc, 0x6000, v14
	v_ashrrev_i32_e32 v25, 31, v13
	v_mov_b32_e32 v24, v13
	v_addc_co_u32_e32 v13, vcc, 0, v15, vcc
	flat_store_dwordx2 v[12:13], v[24:25]
.LBB1034_182:
	s_or_b64 exec, exec, s[0:1]
	s_waitcnt lgkmcnt(0)
	v_or_b32_e32 v12, 0xd00, v0
	v_mov_b32_e32 v1, v59
	v_cmp_gt_u32_e64 s[0:1], s33, v12
	s_branch .LBB1034_185
.LBB1034_183:
	s_mov_b64 s[0:1], 0
                                        ; implicit-def: $vgpr9
	s_cbranch_execz .LBB1034_185
; %bb.184:
	s_movk_i32 s2, 0xffcc
	v_mad_i32_i24 v30, v0, s2, v8
	s_barrier
	ds_write2_b64 v8, v[2:3], v[16:17] offset1:1
	ds_write2_b64 v8, v[6:7], v[18:19] offset0:2 offset1:3
	ds_write2_b64 v8, v[10:11], v[20:21] offset0:4 offset1:5
	ds_write_b64 v8, v[22:23] offset:48
	s_waitcnt lgkmcnt(0)
	s_barrier
	ds_read2st64_b32 v[2:3], v30 offset1:4
	ds_read2st64_b32 v[8:9], v30 offset0:8 offset1:12
	v_mov_b32_e32 v1, 0
	v_mov_b32_e32 v59, v1
	v_lshl_add_u64 v[32:33], v[4:5], 0, v[58:59]
	s_waitcnt lgkmcnt(0)
	v_ashrrev_i32_e32 v7, 31, v2
	v_mov_b32_e32 v6, v2
	v_ashrrev_i32_e32 v11, 31, v3
	v_mov_b32_e32 v10, v3
	ds_read2st64_b32 v[2:3], v30 offset0:16 offset1:20
	v_ashrrev_i32_e32 v13, 31, v8
	v_mov_b32_e32 v12, v8
	v_ashrrev_i32_e32 v15, 31, v9
	v_mov_b32_e32 v14, v9
	ds_read2st64_b32 v[8:9], v30 offset0:24 offset1:28
	s_movk_i32 s2, 0x1000
	s_waitcnt lgkmcnt(0)
	v_ashrrev_i32_e32 v17, 31, v2
	v_mov_b32_e32 v16, v2
	v_ashrrev_i32_e32 v19, 31, v3
	v_mov_b32_e32 v18, v3
	ds_read2st64_b32 v[2:3], v30 offset0:32 offset1:36
	v_ashrrev_i32_e32 v21, 31, v8
	v_mov_b32_e32 v20, v8
	v_ashrrev_i32_e32 v23, 31, v9
	v_mov_b32_e32 v22, v9
	ds_read2st64_b32 v[26:27], v30 offset0:40 offset1:44
	ds_read2st64_b32 v[8:9], v30 offset0:48 offset1:52
	flat_store_dwordx2 v[32:33], v[6:7]
	flat_store_dwordx2 v[32:33], v[10:11] offset:2048
	v_add_co_u32_e32 v6, vcc, s2, v32
	s_movk_i32 s2, 0x2000
	s_nop 0
	v_addc_co_u32_e32 v7, vcc, 0, v33, vcc
	flat_store_dwordx2 v[6:7], v[12:13]
	flat_store_dwordx2 v[6:7], v[14:15] offset:2048
	v_add_co_u32_e32 v6, vcc, s2, v32
	s_movk_i32 s2, 0x3000
	s_nop 0
	v_addc_co_u32_e32 v7, vcc, 0, v33, vcc
	;; [unrolled: 6-line block ×3, first 2 shown]
	flat_store_dwordx2 v[6:7], v[20:21]
	flat_store_dwordx2 v[6:7], v[22:23] offset:2048
	v_add_co_u32_e32 v6, vcc, s2, v32
	s_waitcnt lgkmcnt(0)
	v_ashrrev_i32_e32 v25, 31, v2
	v_mov_b32_e32 v24, v2
	v_addc_co_u32_e32 v7, vcc, 0, v33, vcc
	v_ashrrev_i32_e32 v29, 31, v3
	v_mov_b32_e32 v28, v3
	flat_store_dwordx2 v[6:7], v[24:25]
	flat_store_dwordx2 v[6:7], v[28:29] offset:2048
	v_add_co_u32_e32 v6, vcc, 0x5000, v32
	v_ashrrev_i32_e32 v3, 31, v26
	v_mov_b32_e32 v2, v26
	v_addc_co_u32_e32 v7, vcc, 0, v33, vcc
	v_ashrrev_i32_e32 v31, 31, v27
	v_mov_b32_e32 v30, v27
	flat_store_dwordx2 v[6:7], v[2:3]
	flat_store_dwordx2 v[6:7], v[30:31] offset:2048
	v_add_co_u32_e32 v2, vcc, 0x6000, v32
	v_ashrrev_i32_e32 v27, 31, v8
	v_mov_b32_e32 v26, v8
	v_addc_co_u32_e32 v3, vcc, 0, v33, vcc
	s_or_b64 s[0:1], s[0:1], exec
	flat_store_dwordx2 v[2:3], v[26:27]
.LBB1034_185:
	s_and_saveexec_b64 s[2:3], s[0:1]
	s_cbranch_execz .LBB1034_187
; %bb.186:
	v_lshl_add_u64 v[0:1], v[0:1], 3, v[4:5]
	v_add_co_u32_e32 v0, vcc, 0x6000, v0
	v_ashrrev_i32_e32 v3, 31, v9
	v_mov_b32_e32 v2, v9
	v_addc_co_u32_e32 v1, vcc, 0, v1, vcc
	flat_store_dwordx2 v[0:1], v[2:3] offset:2048
	s_endpgm
.LBB1034_187:
	s_endpgm
	.section	.rodata,"a",@progbits
	.p2align	6, 0x0
	.amdhsa_kernel _ZN7rocprim17ROCPRIM_400000_NS6detail17trampoline_kernelINS0_14default_configENS1_27scan_by_key_config_selectorIxiEEZZNS1_16scan_by_key_implILNS1_25lookback_scan_determinismE0ELb1ES3_N6thrust23THRUST_200600_302600_NS6detail15normal_iteratorINS9_10device_ptrIxEEEESE_SE_iNS9_4plusIvEENS9_8equal_toIvEEiEE10hipError_tPvRmT2_T3_T4_T5_mT6_T7_P12ihipStream_tbENKUlT_T0_E_clISt17integral_constantIbLb0EESY_IbLb1EEEEDaSU_SV_EUlSU_E_NS1_11comp_targetILNS1_3genE5ELNS1_11target_archE942ELNS1_3gpuE9ELNS1_3repE0EEENS1_30default_config_static_selectorELNS0_4arch9wavefront6targetE1EEEvT1_
		.amdhsa_group_segment_fixed_size 32768
		.amdhsa_private_segment_fixed_size 0
		.amdhsa_kernarg_size 112
		.amdhsa_user_sgpr_count 2
		.amdhsa_user_sgpr_dispatch_ptr 0
		.amdhsa_user_sgpr_queue_ptr 0
		.amdhsa_user_sgpr_kernarg_segment_ptr 1
		.amdhsa_user_sgpr_dispatch_id 0
		.amdhsa_user_sgpr_kernarg_preload_length 0
		.amdhsa_user_sgpr_kernarg_preload_offset 0
		.amdhsa_user_sgpr_private_segment_size 0
		.amdhsa_uses_dynamic_stack 0
		.amdhsa_enable_private_segment 0
		.amdhsa_system_sgpr_workgroup_id_x 1
		.amdhsa_system_sgpr_workgroup_id_y 0
		.amdhsa_system_sgpr_workgroup_id_z 0
		.amdhsa_system_sgpr_workgroup_info 0
		.amdhsa_system_vgpr_workitem_id 0
		.amdhsa_next_free_vgpr 68
		.amdhsa_next_free_sgpr 60
		.amdhsa_accum_offset 68
		.amdhsa_reserve_vcc 1
		.amdhsa_float_round_mode_32 0
		.amdhsa_float_round_mode_16_64 0
		.amdhsa_float_denorm_mode_32 3
		.amdhsa_float_denorm_mode_16_64 3
		.amdhsa_dx10_clamp 1
		.amdhsa_ieee_mode 1
		.amdhsa_fp16_overflow 0
		.amdhsa_tg_split 0
		.amdhsa_exception_fp_ieee_invalid_op 0
		.amdhsa_exception_fp_denorm_src 0
		.amdhsa_exception_fp_ieee_div_zero 0
		.amdhsa_exception_fp_ieee_overflow 0
		.amdhsa_exception_fp_ieee_underflow 0
		.amdhsa_exception_fp_ieee_inexact 0
		.amdhsa_exception_int_div_zero 0
	.end_amdhsa_kernel
	.section	.text._ZN7rocprim17ROCPRIM_400000_NS6detail17trampoline_kernelINS0_14default_configENS1_27scan_by_key_config_selectorIxiEEZZNS1_16scan_by_key_implILNS1_25lookback_scan_determinismE0ELb1ES3_N6thrust23THRUST_200600_302600_NS6detail15normal_iteratorINS9_10device_ptrIxEEEESE_SE_iNS9_4plusIvEENS9_8equal_toIvEEiEE10hipError_tPvRmT2_T3_T4_T5_mT6_T7_P12ihipStream_tbENKUlT_T0_E_clISt17integral_constantIbLb0EESY_IbLb1EEEEDaSU_SV_EUlSU_E_NS1_11comp_targetILNS1_3genE5ELNS1_11target_archE942ELNS1_3gpuE9ELNS1_3repE0EEENS1_30default_config_static_selectorELNS0_4arch9wavefront6targetE1EEEvT1_,"axG",@progbits,_ZN7rocprim17ROCPRIM_400000_NS6detail17trampoline_kernelINS0_14default_configENS1_27scan_by_key_config_selectorIxiEEZZNS1_16scan_by_key_implILNS1_25lookback_scan_determinismE0ELb1ES3_N6thrust23THRUST_200600_302600_NS6detail15normal_iteratorINS9_10device_ptrIxEEEESE_SE_iNS9_4plusIvEENS9_8equal_toIvEEiEE10hipError_tPvRmT2_T3_T4_T5_mT6_T7_P12ihipStream_tbENKUlT_T0_E_clISt17integral_constantIbLb0EESY_IbLb1EEEEDaSU_SV_EUlSU_E_NS1_11comp_targetILNS1_3genE5ELNS1_11target_archE942ELNS1_3gpuE9ELNS1_3repE0EEENS1_30default_config_static_selectorELNS0_4arch9wavefront6targetE1EEEvT1_,comdat
.Lfunc_end1034:
	.size	_ZN7rocprim17ROCPRIM_400000_NS6detail17trampoline_kernelINS0_14default_configENS1_27scan_by_key_config_selectorIxiEEZZNS1_16scan_by_key_implILNS1_25lookback_scan_determinismE0ELb1ES3_N6thrust23THRUST_200600_302600_NS6detail15normal_iteratorINS9_10device_ptrIxEEEESE_SE_iNS9_4plusIvEENS9_8equal_toIvEEiEE10hipError_tPvRmT2_T3_T4_T5_mT6_T7_P12ihipStream_tbENKUlT_T0_E_clISt17integral_constantIbLb0EESY_IbLb1EEEEDaSU_SV_EUlSU_E_NS1_11comp_targetILNS1_3genE5ELNS1_11target_archE942ELNS1_3gpuE9ELNS1_3repE0EEENS1_30default_config_static_selectorELNS0_4arch9wavefront6targetE1EEEvT1_, .Lfunc_end1034-_ZN7rocprim17ROCPRIM_400000_NS6detail17trampoline_kernelINS0_14default_configENS1_27scan_by_key_config_selectorIxiEEZZNS1_16scan_by_key_implILNS1_25lookback_scan_determinismE0ELb1ES3_N6thrust23THRUST_200600_302600_NS6detail15normal_iteratorINS9_10device_ptrIxEEEESE_SE_iNS9_4plusIvEENS9_8equal_toIvEEiEE10hipError_tPvRmT2_T3_T4_T5_mT6_T7_P12ihipStream_tbENKUlT_T0_E_clISt17integral_constantIbLb0EESY_IbLb1EEEEDaSU_SV_EUlSU_E_NS1_11comp_targetILNS1_3genE5ELNS1_11target_archE942ELNS1_3gpuE9ELNS1_3repE0EEENS1_30default_config_static_selectorELNS0_4arch9wavefront6targetE1EEEvT1_
                                        ; -- End function
	.section	.AMDGPU.csdata,"",@progbits
; Kernel info:
; codeLenInByte = 11852
; NumSgprs: 66
; NumVgprs: 68
; NumAgprs: 0
; TotalNumVgprs: 68
; ScratchSize: 0
; MemoryBound: 0
; FloatMode: 240
; IeeeMode: 1
; LDSByteSize: 32768 bytes/workgroup (compile time only)
; SGPRBlocks: 8
; VGPRBlocks: 8
; NumSGPRsForWavesPerEU: 66
; NumVGPRsForWavesPerEU: 68
; AccumOffset: 68
; Occupancy: 2
; WaveLimiterHint : 1
; COMPUTE_PGM_RSRC2:SCRATCH_EN: 0
; COMPUTE_PGM_RSRC2:USER_SGPR: 2
; COMPUTE_PGM_RSRC2:TRAP_HANDLER: 0
; COMPUTE_PGM_RSRC2:TGID_X_EN: 1
; COMPUTE_PGM_RSRC2:TGID_Y_EN: 0
; COMPUTE_PGM_RSRC2:TGID_Z_EN: 0
; COMPUTE_PGM_RSRC2:TIDIG_COMP_CNT: 0
; COMPUTE_PGM_RSRC3_GFX90A:ACCUM_OFFSET: 16
; COMPUTE_PGM_RSRC3_GFX90A:TG_SPLIT: 0
	.section	.text._ZN7rocprim17ROCPRIM_400000_NS6detail17trampoline_kernelINS0_14default_configENS1_27scan_by_key_config_selectorIxiEEZZNS1_16scan_by_key_implILNS1_25lookback_scan_determinismE0ELb1ES3_N6thrust23THRUST_200600_302600_NS6detail15normal_iteratorINS9_10device_ptrIxEEEESE_SE_iNS9_4plusIvEENS9_8equal_toIvEEiEE10hipError_tPvRmT2_T3_T4_T5_mT6_T7_P12ihipStream_tbENKUlT_T0_E_clISt17integral_constantIbLb0EESY_IbLb1EEEEDaSU_SV_EUlSU_E_NS1_11comp_targetILNS1_3genE4ELNS1_11target_archE910ELNS1_3gpuE8ELNS1_3repE0EEENS1_30default_config_static_selectorELNS0_4arch9wavefront6targetE1EEEvT1_,"axG",@progbits,_ZN7rocprim17ROCPRIM_400000_NS6detail17trampoline_kernelINS0_14default_configENS1_27scan_by_key_config_selectorIxiEEZZNS1_16scan_by_key_implILNS1_25lookback_scan_determinismE0ELb1ES3_N6thrust23THRUST_200600_302600_NS6detail15normal_iteratorINS9_10device_ptrIxEEEESE_SE_iNS9_4plusIvEENS9_8equal_toIvEEiEE10hipError_tPvRmT2_T3_T4_T5_mT6_T7_P12ihipStream_tbENKUlT_T0_E_clISt17integral_constantIbLb0EESY_IbLb1EEEEDaSU_SV_EUlSU_E_NS1_11comp_targetILNS1_3genE4ELNS1_11target_archE910ELNS1_3gpuE8ELNS1_3repE0EEENS1_30default_config_static_selectorELNS0_4arch9wavefront6targetE1EEEvT1_,comdat
	.protected	_ZN7rocprim17ROCPRIM_400000_NS6detail17trampoline_kernelINS0_14default_configENS1_27scan_by_key_config_selectorIxiEEZZNS1_16scan_by_key_implILNS1_25lookback_scan_determinismE0ELb1ES3_N6thrust23THRUST_200600_302600_NS6detail15normal_iteratorINS9_10device_ptrIxEEEESE_SE_iNS9_4plusIvEENS9_8equal_toIvEEiEE10hipError_tPvRmT2_T3_T4_T5_mT6_T7_P12ihipStream_tbENKUlT_T0_E_clISt17integral_constantIbLb0EESY_IbLb1EEEEDaSU_SV_EUlSU_E_NS1_11comp_targetILNS1_3genE4ELNS1_11target_archE910ELNS1_3gpuE8ELNS1_3repE0EEENS1_30default_config_static_selectorELNS0_4arch9wavefront6targetE1EEEvT1_ ; -- Begin function _ZN7rocprim17ROCPRIM_400000_NS6detail17trampoline_kernelINS0_14default_configENS1_27scan_by_key_config_selectorIxiEEZZNS1_16scan_by_key_implILNS1_25lookback_scan_determinismE0ELb1ES3_N6thrust23THRUST_200600_302600_NS6detail15normal_iteratorINS9_10device_ptrIxEEEESE_SE_iNS9_4plusIvEENS9_8equal_toIvEEiEE10hipError_tPvRmT2_T3_T4_T5_mT6_T7_P12ihipStream_tbENKUlT_T0_E_clISt17integral_constantIbLb0EESY_IbLb1EEEEDaSU_SV_EUlSU_E_NS1_11comp_targetILNS1_3genE4ELNS1_11target_archE910ELNS1_3gpuE8ELNS1_3repE0EEENS1_30default_config_static_selectorELNS0_4arch9wavefront6targetE1EEEvT1_
	.globl	_ZN7rocprim17ROCPRIM_400000_NS6detail17trampoline_kernelINS0_14default_configENS1_27scan_by_key_config_selectorIxiEEZZNS1_16scan_by_key_implILNS1_25lookback_scan_determinismE0ELb1ES3_N6thrust23THRUST_200600_302600_NS6detail15normal_iteratorINS9_10device_ptrIxEEEESE_SE_iNS9_4plusIvEENS9_8equal_toIvEEiEE10hipError_tPvRmT2_T3_T4_T5_mT6_T7_P12ihipStream_tbENKUlT_T0_E_clISt17integral_constantIbLb0EESY_IbLb1EEEEDaSU_SV_EUlSU_E_NS1_11comp_targetILNS1_3genE4ELNS1_11target_archE910ELNS1_3gpuE8ELNS1_3repE0EEENS1_30default_config_static_selectorELNS0_4arch9wavefront6targetE1EEEvT1_
	.p2align	8
	.type	_ZN7rocprim17ROCPRIM_400000_NS6detail17trampoline_kernelINS0_14default_configENS1_27scan_by_key_config_selectorIxiEEZZNS1_16scan_by_key_implILNS1_25lookback_scan_determinismE0ELb1ES3_N6thrust23THRUST_200600_302600_NS6detail15normal_iteratorINS9_10device_ptrIxEEEESE_SE_iNS9_4plusIvEENS9_8equal_toIvEEiEE10hipError_tPvRmT2_T3_T4_T5_mT6_T7_P12ihipStream_tbENKUlT_T0_E_clISt17integral_constantIbLb0EESY_IbLb1EEEEDaSU_SV_EUlSU_E_NS1_11comp_targetILNS1_3genE4ELNS1_11target_archE910ELNS1_3gpuE8ELNS1_3repE0EEENS1_30default_config_static_selectorELNS0_4arch9wavefront6targetE1EEEvT1_,@function
_ZN7rocprim17ROCPRIM_400000_NS6detail17trampoline_kernelINS0_14default_configENS1_27scan_by_key_config_selectorIxiEEZZNS1_16scan_by_key_implILNS1_25lookback_scan_determinismE0ELb1ES3_N6thrust23THRUST_200600_302600_NS6detail15normal_iteratorINS9_10device_ptrIxEEEESE_SE_iNS9_4plusIvEENS9_8equal_toIvEEiEE10hipError_tPvRmT2_T3_T4_T5_mT6_T7_P12ihipStream_tbENKUlT_T0_E_clISt17integral_constantIbLb0EESY_IbLb1EEEEDaSU_SV_EUlSU_E_NS1_11comp_targetILNS1_3genE4ELNS1_11target_archE910ELNS1_3gpuE8ELNS1_3repE0EEENS1_30default_config_static_selectorELNS0_4arch9wavefront6targetE1EEEvT1_: ; @_ZN7rocprim17ROCPRIM_400000_NS6detail17trampoline_kernelINS0_14default_configENS1_27scan_by_key_config_selectorIxiEEZZNS1_16scan_by_key_implILNS1_25lookback_scan_determinismE0ELb1ES3_N6thrust23THRUST_200600_302600_NS6detail15normal_iteratorINS9_10device_ptrIxEEEESE_SE_iNS9_4plusIvEENS9_8equal_toIvEEiEE10hipError_tPvRmT2_T3_T4_T5_mT6_T7_P12ihipStream_tbENKUlT_T0_E_clISt17integral_constantIbLb0EESY_IbLb1EEEEDaSU_SV_EUlSU_E_NS1_11comp_targetILNS1_3genE4ELNS1_11target_archE910ELNS1_3gpuE8ELNS1_3repE0EEENS1_30default_config_static_selectorELNS0_4arch9wavefront6targetE1EEEvT1_
; %bb.0:
	.section	.rodata,"a",@progbits
	.p2align	6, 0x0
	.amdhsa_kernel _ZN7rocprim17ROCPRIM_400000_NS6detail17trampoline_kernelINS0_14default_configENS1_27scan_by_key_config_selectorIxiEEZZNS1_16scan_by_key_implILNS1_25lookback_scan_determinismE0ELb1ES3_N6thrust23THRUST_200600_302600_NS6detail15normal_iteratorINS9_10device_ptrIxEEEESE_SE_iNS9_4plusIvEENS9_8equal_toIvEEiEE10hipError_tPvRmT2_T3_T4_T5_mT6_T7_P12ihipStream_tbENKUlT_T0_E_clISt17integral_constantIbLb0EESY_IbLb1EEEEDaSU_SV_EUlSU_E_NS1_11comp_targetILNS1_3genE4ELNS1_11target_archE910ELNS1_3gpuE8ELNS1_3repE0EEENS1_30default_config_static_selectorELNS0_4arch9wavefront6targetE1EEEvT1_
		.amdhsa_group_segment_fixed_size 0
		.amdhsa_private_segment_fixed_size 0
		.amdhsa_kernarg_size 112
		.amdhsa_user_sgpr_count 2
		.amdhsa_user_sgpr_dispatch_ptr 0
		.amdhsa_user_sgpr_queue_ptr 0
		.amdhsa_user_sgpr_kernarg_segment_ptr 1
		.amdhsa_user_sgpr_dispatch_id 0
		.amdhsa_user_sgpr_kernarg_preload_length 0
		.amdhsa_user_sgpr_kernarg_preload_offset 0
		.amdhsa_user_sgpr_private_segment_size 0
		.amdhsa_uses_dynamic_stack 0
		.amdhsa_enable_private_segment 0
		.amdhsa_system_sgpr_workgroup_id_x 1
		.amdhsa_system_sgpr_workgroup_id_y 0
		.amdhsa_system_sgpr_workgroup_id_z 0
		.amdhsa_system_sgpr_workgroup_info 0
		.amdhsa_system_vgpr_workitem_id 0
		.amdhsa_next_free_vgpr 1
		.amdhsa_next_free_sgpr 0
		.amdhsa_accum_offset 4
		.amdhsa_reserve_vcc 0
		.amdhsa_float_round_mode_32 0
		.amdhsa_float_round_mode_16_64 0
		.amdhsa_float_denorm_mode_32 3
		.amdhsa_float_denorm_mode_16_64 3
		.amdhsa_dx10_clamp 1
		.amdhsa_ieee_mode 1
		.amdhsa_fp16_overflow 0
		.amdhsa_tg_split 0
		.amdhsa_exception_fp_ieee_invalid_op 0
		.amdhsa_exception_fp_denorm_src 0
		.amdhsa_exception_fp_ieee_div_zero 0
		.amdhsa_exception_fp_ieee_overflow 0
		.amdhsa_exception_fp_ieee_underflow 0
		.amdhsa_exception_fp_ieee_inexact 0
		.amdhsa_exception_int_div_zero 0
	.end_amdhsa_kernel
	.section	.text._ZN7rocprim17ROCPRIM_400000_NS6detail17trampoline_kernelINS0_14default_configENS1_27scan_by_key_config_selectorIxiEEZZNS1_16scan_by_key_implILNS1_25lookback_scan_determinismE0ELb1ES3_N6thrust23THRUST_200600_302600_NS6detail15normal_iteratorINS9_10device_ptrIxEEEESE_SE_iNS9_4plusIvEENS9_8equal_toIvEEiEE10hipError_tPvRmT2_T3_T4_T5_mT6_T7_P12ihipStream_tbENKUlT_T0_E_clISt17integral_constantIbLb0EESY_IbLb1EEEEDaSU_SV_EUlSU_E_NS1_11comp_targetILNS1_3genE4ELNS1_11target_archE910ELNS1_3gpuE8ELNS1_3repE0EEENS1_30default_config_static_selectorELNS0_4arch9wavefront6targetE1EEEvT1_,"axG",@progbits,_ZN7rocprim17ROCPRIM_400000_NS6detail17trampoline_kernelINS0_14default_configENS1_27scan_by_key_config_selectorIxiEEZZNS1_16scan_by_key_implILNS1_25lookback_scan_determinismE0ELb1ES3_N6thrust23THRUST_200600_302600_NS6detail15normal_iteratorINS9_10device_ptrIxEEEESE_SE_iNS9_4plusIvEENS9_8equal_toIvEEiEE10hipError_tPvRmT2_T3_T4_T5_mT6_T7_P12ihipStream_tbENKUlT_T0_E_clISt17integral_constantIbLb0EESY_IbLb1EEEEDaSU_SV_EUlSU_E_NS1_11comp_targetILNS1_3genE4ELNS1_11target_archE910ELNS1_3gpuE8ELNS1_3repE0EEENS1_30default_config_static_selectorELNS0_4arch9wavefront6targetE1EEEvT1_,comdat
.Lfunc_end1035:
	.size	_ZN7rocprim17ROCPRIM_400000_NS6detail17trampoline_kernelINS0_14default_configENS1_27scan_by_key_config_selectorIxiEEZZNS1_16scan_by_key_implILNS1_25lookback_scan_determinismE0ELb1ES3_N6thrust23THRUST_200600_302600_NS6detail15normal_iteratorINS9_10device_ptrIxEEEESE_SE_iNS9_4plusIvEENS9_8equal_toIvEEiEE10hipError_tPvRmT2_T3_T4_T5_mT6_T7_P12ihipStream_tbENKUlT_T0_E_clISt17integral_constantIbLb0EESY_IbLb1EEEEDaSU_SV_EUlSU_E_NS1_11comp_targetILNS1_3genE4ELNS1_11target_archE910ELNS1_3gpuE8ELNS1_3repE0EEENS1_30default_config_static_selectorELNS0_4arch9wavefront6targetE1EEEvT1_, .Lfunc_end1035-_ZN7rocprim17ROCPRIM_400000_NS6detail17trampoline_kernelINS0_14default_configENS1_27scan_by_key_config_selectorIxiEEZZNS1_16scan_by_key_implILNS1_25lookback_scan_determinismE0ELb1ES3_N6thrust23THRUST_200600_302600_NS6detail15normal_iteratorINS9_10device_ptrIxEEEESE_SE_iNS9_4plusIvEENS9_8equal_toIvEEiEE10hipError_tPvRmT2_T3_T4_T5_mT6_T7_P12ihipStream_tbENKUlT_T0_E_clISt17integral_constantIbLb0EESY_IbLb1EEEEDaSU_SV_EUlSU_E_NS1_11comp_targetILNS1_3genE4ELNS1_11target_archE910ELNS1_3gpuE8ELNS1_3repE0EEENS1_30default_config_static_selectorELNS0_4arch9wavefront6targetE1EEEvT1_
                                        ; -- End function
	.section	.AMDGPU.csdata,"",@progbits
; Kernel info:
; codeLenInByte = 0
; NumSgprs: 6
; NumVgprs: 0
; NumAgprs: 0
; TotalNumVgprs: 0
; ScratchSize: 0
; MemoryBound: 0
; FloatMode: 240
; IeeeMode: 1
; LDSByteSize: 0 bytes/workgroup (compile time only)
; SGPRBlocks: 0
; VGPRBlocks: 0
; NumSGPRsForWavesPerEU: 6
; NumVGPRsForWavesPerEU: 1
; AccumOffset: 4
; Occupancy: 8
; WaveLimiterHint : 0
; COMPUTE_PGM_RSRC2:SCRATCH_EN: 0
; COMPUTE_PGM_RSRC2:USER_SGPR: 2
; COMPUTE_PGM_RSRC2:TRAP_HANDLER: 0
; COMPUTE_PGM_RSRC2:TGID_X_EN: 1
; COMPUTE_PGM_RSRC2:TGID_Y_EN: 0
; COMPUTE_PGM_RSRC2:TGID_Z_EN: 0
; COMPUTE_PGM_RSRC2:TIDIG_COMP_CNT: 0
; COMPUTE_PGM_RSRC3_GFX90A:ACCUM_OFFSET: 0
; COMPUTE_PGM_RSRC3_GFX90A:TG_SPLIT: 0
	.section	.text._ZN7rocprim17ROCPRIM_400000_NS6detail17trampoline_kernelINS0_14default_configENS1_27scan_by_key_config_selectorIxiEEZZNS1_16scan_by_key_implILNS1_25lookback_scan_determinismE0ELb1ES3_N6thrust23THRUST_200600_302600_NS6detail15normal_iteratorINS9_10device_ptrIxEEEESE_SE_iNS9_4plusIvEENS9_8equal_toIvEEiEE10hipError_tPvRmT2_T3_T4_T5_mT6_T7_P12ihipStream_tbENKUlT_T0_E_clISt17integral_constantIbLb0EESY_IbLb1EEEEDaSU_SV_EUlSU_E_NS1_11comp_targetILNS1_3genE3ELNS1_11target_archE908ELNS1_3gpuE7ELNS1_3repE0EEENS1_30default_config_static_selectorELNS0_4arch9wavefront6targetE1EEEvT1_,"axG",@progbits,_ZN7rocprim17ROCPRIM_400000_NS6detail17trampoline_kernelINS0_14default_configENS1_27scan_by_key_config_selectorIxiEEZZNS1_16scan_by_key_implILNS1_25lookback_scan_determinismE0ELb1ES3_N6thrust23THRUST_200600_302600_NS6detail15normal_iteratorINS9_10device_ptrIxEEEESE_SE_iNS9_4plusIvEENS9_8equal_toIvEEiEE10hipError_tPvRmT2_T3_T4_T5_mT6_T7_P12ihipStream_tbENKUlT_T0_E_clISt17integral_constantIbLb0EESY_IbLb1EEEEDaSU_SV_EUlSU_E_NS1_11comp_targetILNS1_3genE3ELNS1_11target_archE908ELNS1_3gpuE7ELNS1_3repE0EEENS1_30default_config_static_selectorELNS0_4arch9wavefront6targetE1EEEvT1_,comdat
	.protected	_ZN7rocprim17ROCPRIM_400000_NS6detail17trampoline_kernelINS0_14default_configENS1_27scan_by_key_config_selectorIxiEEZZNS1_16scan_by_key_implILNS1_25lookback_scan_determinismE0ELb1ES3_N6thrust23THRUST_200600_302600_NS6detail15normal_iteratorINS9_10device_ptrIxEEEESE_SE_iNS9_4plusIvEENS9_8equal_toIvEEiEE10hipError_tPvRmT2_T3_T4_T5_mT6_T7_P12ihipStream_tbENKUlT_T0_E_clISt17integral_constantIbLb0EESY_IbLb1EEEEDaSU_SV_EUlSU_E_NS1_11comp_targetILNS1_3genE3ELNS1_11target_archE908ELNS1_3gpuE7ELNS1_3repE0EEENS1_30default_config_static_selectorELNS0_4arch9wavefront6targetE1EEEvT1_ ; -- Begin function _ZN7rocprim17ROCPRIM_400000_NS6detail17trampoline_kernelINS0_14default_configENS1_27scan_by_key_config_selectorIxiEEZZNS1_16scan_by_key_implILNS1_25lookback_scan_determinismE0ELb1ES3_N6thrust23THRUST_200600_302600_NS6detail15normal_iteratorINS9_10device_ptrIxEEEESE_SE_iNS9_4plusIvEENS9_8equal_toIvEEiEE10hipError_tPvRmT2_T3_T4_T5_mT6_T7_P12ihipStream_tbENKUlT_T0_E_clISt17integral_constantIbLb0EESY_IbLb1EEEEDaSU_SV_EUlSU_E_NS1_11comp_targetILNS1_3genE3ELNS1_11target_archE908ELNS1_3gpuE7ELNS1_3repE0EEENS1_30default_config_static_selectorELNS0_4arch9wavefront6targetE1EEEvT1_
	.globl	_ZN7rocprim17ROCPRIM_400000_NS6detail17trampoline_kernelINS0_14default_configENS1_27scan_by_key_config_selectorIxiEEZZNS1_16scan_by_key_implILNS1_25lookback_scan_determinismE0ELb1ES3_N6thrust23THRUST_200600_302600_NS6detail15normal_iteratorINS9_10device_ptrIxEEEESE_SE_iNS9_4plusIvEENS9_8equal_toIvEEiEE10hipError_tPvRmT2_T3_T4_T5_mT6_T7_P12ihipStream_tbENKUlT_T0_E_clISt17integral_constantIbLb0EESY_IbLb1EEEEDaSU_SV_EUlSU_E_NS1_11comp_targetILNS1_3genE3ELNS1_11target_archE908ELNS1_3gpuE7ELNS1_3repE0EEENS1_30default_config_static_selectorELNS0_4arch9wavefront6targetE1EEEvT1_
	.p2align	8
	.type	_ZN7rocprim17ROCPRIM_400000_NS6detail17trampoline_kernelINS0_14default_configENS1_27scan_by_key_config_selectorIxiEEZZNS1_16scan_by_key_implILNS1_25lookback_scan_determinismE0ELb1ES3_N6thrust23THRUST_200600_302600_NS6detail15normal_iteratorINS9_10device_ptrIxEEEESE_SE_iNS9_4plusIvEENS9_8equal_toIvEEiEE10hipError_tPvRmT2_T3_T4_T5_mT6_T7_P12ihipStream_tbENKUlT_T0_E_clISt17integral_constantIbLb0EESY_IbLb1EEEEDaSU_SV_EUlSU_E_NS1_11comp_targetILNS1_3genE3ELNS1_11target_archE908ELNS1_3gpuE7ELNS1_3repE0EEENS1_30default_config_static_selectorELNS0_4arch9wavefront6targetE1EEEvT1_,@function
_ZN7rocprim17ROCPRIM_400000_NS6detail17trampoline_kernelINS0_14default_configENS1_27scan_by_key_config_selectorIxiEEZZNS1_16scan_by_key_implILNS1_25lookback_scan_determinismE0ELb1ES3_N6thrust23THRUST_200600_302600_NS6detail15normal_iteratorINS9_10device_ptrIxEEEESE_SE_iNS9_4plusIvEENS9_8equal_toIvEEiEE10hipError_tPvRmT2_T3_T4_T5_mT6_T7_P12ihipStream_tbENKUlT_T0_E_clISt17integral_constantIbLb0EESY_IbLb1EEEEDaSU_SV_EUlSU_E_NS1_11comp_targetILNS1_3genE3ELNS1_11target_archE908ELNS1_3gpuE7ELNS1_3repE0EEENS1_30default_config_static_selectorELNS0_4arch9wavefront6targetE1EEEvT1_: ; @_ZN7rocprim17ROCPRIM_400000_NS6detail17trampoline_kernelINS0_14default_configENS1_27scan_by_key_config_selectorIxiEEZZNS1_16scan_by_key_implILNS1_25lookback_scan_determinismE0ELb1ES3_N6thrust23THRUST_200600_302600_NS6detail15normal_iteratorINS9_10device_ptrIxEEEESE_SE_iNS9_4plusIvEENS9_8equal_toIvEEiEE10hipError_tPvRmT2_T3_T4_T5_mT6_T7_P12ihipStream_tbENKUlT_T0_E_clISt17integral_constantIbLb0EESY_IbLb1EEEEDaSU_SV_EUlSU_E_NS1_11comp_targetILNS1_3genE3ELNS1_11target_archE908ELNS1_3gpuE7ELNS1_3repE0EEENS1_30default_config_static_selectorELNS0_4arch9wavefront6targetE1EEEvT1_
; %bb.0:
	.section	.rodata,"a",@progbits
	.p2align	6, 0x0
	.amdhsa_kernel _ZN7rocprim17ROCPRIM_400000_NS6detail17trampoline_kernelINS0_14default_configENS1_27scan_by_key_config_selectorIxiEEZZNS1_16scan_by_key_implILNS1_25lookback_scan_determinismE0ELb1ES3_N6thrust23THRUST_200600_302600_NS6detail15normal_iteratorINS9_10device_ptrIxEEEESE_SE_iNS9_4plusIvEENS9_8equal_toIvEEiEE10hipError_tPvRmT2_T3_T4_T5_mT6_T7_P12ihipStream_tbENKUlT_T0_E_clISt17integral_constantIbLb0EESY_IbLb1EEEEDaSU_SV_EUlSU_E_NS1_11comp_targetILNS1_3genE3ELNS1_11target_archE908ELNS1_3gpuE7ELNS1_3repE0EEENS1_30default_config_static_selectorELNS0_4arch9wavefront6targetE1EEEvT1_
		.amdhsa_group_segment_fixed_size 0
		.amdhsa_private_segment_fixed_size 0
		.amdhsa_kernarg_size 112
		.amdhsa_user_sgpr_count 2
		.amdhsa_user_sgpr_dispatch_ptr 0
		.amdhsa_user_sgpr_queue_ptr 0
		.amdhsa_user_sgpr_kernarg_segment_ptr 1
		.amdhsa_user_sgpr_dispatch_id 0
		.amdhsa_user_sgpr_kernarg_preload_length 0
		.amdhsa_user_sgpr_kernarg_preload_offset 0
		.amdhsa_user_sgpr_private_segment_size 0
		.amdhsa_uses_dynamic_stack 0
		.amdhsa_enable_private_segment 0
		.amdhsa_system_sgpr_workgroup_id_x 1
		.amdhsa_system_sgpr_workgroup_id_y 0
		.amdhsa_system_sgpr_workgroup_id_z 0
		.amdhsa_system_sgpr_workgroup_info 0
		.amdhsa_system_vgpr_workitem_id 0
		.amdhsa_next_free_vgpr 1
		.amdhsa_next_free_sgpr 0
		.amdhsa_accum_offset 4
		.amdhsa_reserve_vcc 0
		.amdhsa_float_round_mode_32 0
		.amdhsa_float_round_mode_16_64 0
		.amdhsa_float_denorm_mode_32 3
		.amdhsa_float_denorm_mode_16_64 3
		.amdhsa_dx10_clamp 1
		.amdhsa_ieee_mode 1
		.amdhsa_fp16_overflow 0
		.amdhsa_tg_split 0
		.amdhsa_exception_fp_ieee_invalid_op 0
		.amdhsa_exception_fp_denorm_src 0
		.amdhsa_exception_fp_ieee_div_zero 0
		.amdhsa_exception_fp_ieee_overflow 0
		.amdhsa_exception_fp_ieee_underflow 0
		.amdhsa_exception_fp_ieee_inexact 0
		.amdhsa_exception_int_div_zero 0
	.end_amdhsa_kernel
	.section	.text._ZN7rocprim17ROCPRIM_400000_NS6detail17trampoline_kernelINS0_14default_configENS1_27scan_by_key_config_selectorIxiEEZZNS1_16scan_by_key_implILNS1_25lookback_scan_determinismE0ELb1ES3_N6thrust23THRUST_200600_302600_NS6detail15normal_iteratorINS9_10device_ptrIxEEEESE_SE_iNS9_4plusIvEENS9_8equal_toIvEEiEE10hipError_tPvRmT2_T3_T4_T5_mT6_T7_P12ihipStream_tbENKUlT_T0_E_clISt17integral_constantIbLb0EESY_IbLb1EEEEDaSU_SV_EUlSU_E_NS1_11comp_targetILNS1_3genE3ELNS1_11target_archE908ELNS1_3gpuE7ELNS1_3repE0EEENS1_30default_config_static_selectorELNS0_4arch9wavefront6targetE1EEEvT1_,"axG",@progbits,_ZN7rocprim17ROCPRIM_400000_NS6detail17trampoline_kernelINS0_14default_configENS1_27scan_by_key_config_selectorIxiEEZZNS1_16scan_by_key_implILNS1_25lookback_scan_determinismE0ELb1ES3_N6thrust23THRUST_200600_302600_NS6detail15normal_iteratorINS9_10device_ptrIxEEEESE_SE_iNS9_4plusIvEENS9_8equal_toIvEEiEE10hipError_tPvRmT2_T3_T4_T5_mT6_T7_P12ihipStream_tbENKUlT_T0_E_clISt17integral_constantIbLb0EESY_IbLb1EEEEDaSU_SV_EUlSU_E_NS1_11comp_targetILNS1_3genE3ELNS1_11target_archE908ELNS1_3gpuE7ELNS1_3repE0EEENS1_30default_config_static_selectorELNS0_4arch9wavefront6targetE1EEEvT1_,comdat
.Lfunc_end1036:
	.size	_ZN7rocprim17ROCPRIM_400000_NS6detail17trampoline_kernelINS0_14default_configENS1_27scan_by_key_config_selectorIxiEEZZNS1_16scan_by_key_implILNS1_25lookback_scan_determinismE0ELb1ES3_N6thrust23THRUST_200600_302600_NS6detail15normal_iteratorINS9_10device_ptrIxEEEESE_SE_iNS9_4plusIvEENS9_8equal_toIvEEiEE10hipError_tPvRmT2_T3_T4_T5_mT6_T7_P12ihipStream_tbENKUlT_T0_E_clISt17integral_constantIbLb0EESY_IbLb1EEEEDaSU_SV_EUlSU_E_NS1_11comp_targetILNS1_3genE3ELNS1_11target_archE908ELNS1_3gpuE7ELNS1_3repE0EEENS1_30default_config_static_selectorELNS0_4arch9wavefront6targetE1EEEvT1_, .Lfunc_end1036-_ZN7rocprim17ROCPRIM_400000_NS6detail17trampoline_kernelINS0_14default_configENS1_27scan_by_key_config_selectorIxiEEZZNS1_16scan_by_key_implILNS1_25lookback_scan_determinismE0ELb1ES3_N6thrust23THRUST_200600_302600_NS6detail15normal_iteratorINS9_10device_ptrIxEEEESE_SE_iNS9_4plusIvEENS9_8equal_toIvEEiEE10hipError_tPvRmT2_T3_T4_T5_mT6_T7_P12ihipStream_tbENKUlT_T0_E_clISt17integral_constantIbLb0EESY_IbLb1EEEEDaSU_SV_EUlSU_E_NS1_11comp_targetILNS1_3genE3ELNS1_11target_archE908ELNS1_3gpuE7ELNS1_3repE0EEENS1_30default_config_static_selectorELNS0_4arch9wavefront6targetE1EEEvT1_
                                        ; -- End function
	.section	.AMDGPU.csdata,"",@progbits
; Kernel info:
; codeLenInByte = 0
; NumSgprs: 6
; NumVgprs: 0
; NumAgprs: 0
; TotalNumVgprs: 0
; ScratchSize: 0
; MemoryBound: 0
; FloatMode: 240
; IeeeMode: 1
; LDSByteSize: 0 bytes/workgroup (compile time only)
; SGPRBlocks: 0
; VGPRBlocks: 0
; NumSGPRsForWavesPerEU: 6
; NumVGPRsForWavesPerEU: 1
; AccumOffset: 4
; Occupancy: 8
; WaveLimiterHint : 0
; COMPUTE_PGM_RSRC2:SCRATCH_EN: 0
; COMPUTE_PGM_RSRC2:USER_SGPR: 2
; COMPUTE_PGM_RSRC2:TRAP_HANDLER: 0
; COMPUTE_PGM_RSRC2:TGID_X_EN: 1
; COMPUTE_PGM_RSRC2:TGID_Y_EN: 0
; COMPUTE_PGM_RSRC2:TGID_Z_EN: 0
; COMPUTE_PGM_RSRC2:TIDIG_COMP_CNT: 0
; COMPUTE_PGM_RSRC3_GFX90A:ACCUM_OFFSET: 0
; COMPUTE_PGM_RSRC3_GFX90A:TG_SPLIT: 0
	.section	.text._ZN7rocprim17ROCPRIM_400000_NS6detail17trampoline_kernelINS0_14default_configENS1_27scan_by_key_config_selectorIxiEEZZNS1_16scan_by_key_implILNS1_25lookback_scan_determinismE0ELb1ES3_N6thrust23THRUST_200600_302600_NS6detail15normal_iteratorINS9_10device_ptrIxEEEESE_SE_iNS9_4plusIvEENS9_8equal_toIvEEiEE10hipError_tPvRmT2_T3_T4_T5_mT6_T7_P12ihipStream_tbENKUlT_T0_E_clISt17integral_constantIbLb0EESY_IbLb1EEEEDaSU_SV_EUlSU_E_NS1_11comp_targetILNS1_3genE2ELNS1_11target_archE906ELNS1_3gpuE6ELNS1_3repE0EEENS1_30default_config_static_selectorELNS0_4arch9wavefront6targetE1EEEvT1_,"axG",@progbits,_ZN7rocprim17ROCPRIM_400000_NS6detail17trampoline_kernelINS0_14default_configENS1_27scan_by_key_config_selectorIxiEEZZNS1_16scan_by_key_implILNS1_25lookback_scan_determinismE0ELb1ES3_N6thrust23THRUST_200600_302600_NS6detail15normal_iteratorINS9_10device_ptrIxEEEESE_SE_iNS9_4plusIvEENS9_8equal_toIvEEiEE10hipError_tPvRmT2_T3_T4_T5_mT6_T7_P12ihipStream_tbENKUlT_T0_E_clISt17integral_constantIbLb0EESY_IbLb1EEEEDaSU_SV_EUlSU_E_NS1_11comp_targetILNS1_3genE2ELNS1_11target_archE906ELNS1_3gpuE6ELNS1_3repE0EEENS1_30default_config_static_selectorELNS0_4arch9wavefront6targetE1EEEvT1_,comdat
	.protected	_ZN7rocprim17ROCPRIM_400000_NS6detail17trampoline_kernelINS0_14default_configENS1_27scan_by_key_config_selectorIxiEEZZNS1_16scan_by_key_implILNS1_25lookback_scan_determinismE0ELb1ES3_N6thrust23THRUST_200600_302600_NS6detail15normal_iteratorINS9_10device_ptrIxEEEESE_SE_iNS9_4plusIvEENS9_8equal_toIvEEiEE10hipError_tPvRmT2_T3_T4_T5_mT6_T7_P12ihipStream_tbENKUlT_T0_E_clISt17integral_constantIbLb0EESY_IbLb1EEEEDaSU_SV_EUlSU_E_NS1_11comp_targetILNS1_3genE2ELNS1_11target_archE906ELNS1_3gpuE6ELNS1_3repE0EEENS1_30default_config_static_selectorELNS0_4arch9wavefront6targetE1EEEvT1_ ; -- Begin function _ZN7rocprim17ROCPRIM_400000_NS6detail17trampoline_kernelINS0_14default_configENS1_27scan_by_key_config_selectorIxiEEZZNS1_16scan_by_key_implILNS1_25lookback_scan_determinismE0ELb1ES3_N6thrust23THRUST_200600_302600_NS6detail15normal_iteratorINS9_10device_ptrIxEEEESE_SE_iNS9_4plusIvEENS9_8equal_toIvEEiEE10hipError_tPvRmT2_T3_T4_T5_mT6_T7_P12ihipStream_tbENKUlT_T0_E_clISt17integral_constantIbLb0EESY_IbLb1EEEEDaSU_SV_EUlSU_E_NS1_11comp_targetILNS1_3genE2ELNS1_11target_archE906ELNS1_3gpuE6ELNS1_3repE0EEENS1_30default_config_static_selectorELNS0_4arch9wavefront6targetE1EEEvT1_
	.globl	_ZN7rocprim17ROCPRIM_400000_NS6detail17trampoline_kernelINS0_14default_configENS1_27scan_by_key_config_selectorIxiEEZZNS1_16scan_by_key_implILNS1_25lookback_scan_determinismE0ELb1ES3_N6thrust23THRUST_200600_302600_NS6detail15normal_iteratorINS9_10device_ptrIxEEEESE_SE_iNS9_4plusIvEENS9_8equal_toIvEEiEE10hipError_tPvRmT2_T3_T4_T5_mT6_T7_P12ihipStream_tbENKUlT_T0_E_clISt17integral_constantIbLb0EESY_IbLb1EEEEDaSU_SV_EUlSU_E_NS1_11comp_targetILNS1_3genE2ELNS1_11target_archE906ELNS1_3gpuE6ELNS1_3repE0EEENS1_30default_config_static_selectorELNS0_4arch9wavefront6targetE1EEEvT1_
	.p2align	8
	.type	_ZN7rocprim17ROCPRIM_400000_NS6detail17trampoline_kernelINS0_14default_configENS1_27scan_by_key_config_selectorIxiEEZZNS1_16scan_by_key_implILNS1_25lookback_scan_determinismE0ELb1ES3_N6thrust23THRUST_200600_302600_NS6detail15normal_iteratorINS9_10device_ptrIxEEEESE_SE_iNS9_4plusIvEENS9_8equal_toIvEEiEE10hipError_tPvRmT2_T3_T4_T5_mT6_T7_P12ihipStream_tbENKUlT_T0_E_clISt17integral_constantIbLb0EESY_IbLb1EEEEDaSU_SV_EUlSU_E_NS1_11comp_targetILNS1_3genE2ELNS1_11target_archE906ELNS1_3gpuE6ELNS1_3repE0EEENS1_30default_config_static_selectorELNS0_4arch9wavefront6targetE1EEEvT1_,@function
_ZN7rocprim17ROCPRIM_400000_NS6detail17trampoline_kernelINS0_14default_configENS1_27scan_by_key_config_selectorIxiEEZZNS1_16scan_by_key_implILNS1_25lookback_scan_determinismE0ELb1ES3_N6thrust23THRUST_200600_302600_NS6detail15normal_iteratorINS9_10device_ptrIxEEEESE_SE_iNS9_4plusIvEENS9_8equal_toIvEEiEE10hipError_tPvRmT2_T3_T4_T5_mT6_T7_P12ihipStream_tbENKUlT_T0_E_clISt17integral_constantIbLb0EESY_IbLb1EEEEDaSU_SV_EUlSU_E_NS1_11comp_targetILNS1_3genE2ELNS1_11target_archE906ELNS1_3gpuE6ELNS1_3repE0EEENS1_30default_config_static_selectorELNS0_4arch9wavefront6targetE1EEEvT1_: ; @_ZN7rocprim17ROCPRIM_400000_NS6detail17trampoline_kernelINS0_14default_configENS1_27scan_by_key_config_selectorIxiEEZZNS1_16scan_by_key_implILNS1_25lookback_scan_determinismE0ELb1ES3_N6thrust23THRUST_200600_302600_NS6detail15normal_iteratorINS9_10device_ptrIxEEEESE_SE_iNS9_4plusIvEENS9_8equal_toIvEEiEE10hipError_tPvRmT2_T3_T4_T5_mT6_T7_P12ihipStream_tbENKUlT_T0_E_clISt17integral_constantIbLb0EESY_IbLb1EEEEDaSU_SV_EUlSU_E_NS1_11comp_targetILNS1_3genE2ELNS1_11target_archE906ELNS1_3gpuE6ELNS1_3repE0EEENS1_30default_config_static_selectorELNS0_4arch9wavefront6targetE1EEEvT1_
; %bb.0:
	.section	.rodata,"a",@progbits
	.p2align	6, 0x0
	.amdhsa_kernel _ZN7rocprim17ROCPRIM_400000_NS6detail17trampoline_kernelINS0_14default_configENS1_27scan_by_key_config_selectorIxiEEZZNS1_16scan_by_key_implILNS1_25lookback_scan_determinismE0ELb1ES3_N6thrust23THRUST_200600_302600_NS6detail15normal_iteratorINS9_10device_ptrIxEEEESE_SE_iNS9_4plusIvEENS9_8equal_toIvEEiEE10hipError_tPvRmT2_T3_T4_T5_mT6_T7_P12ihipStream_tbENKUlT_T0_E_clISt17integral_constantIbLb0EESY_IbLb1EEEEDaSU_SV_EUlSU_E_NS1_11comp_targetILNS1_3genE2ELNS1_11target_archE906ELNS1_3gpuE6ELNS1_3repE0EEENS1_30default_config_static_selectorELNS0_4arch9wavefront6targetE1EEEvT1_
		.amdhsa_group_segment_fixed_size 0
		.amdhsa_private_segment_fixed_size 0
		.amdhsa_kernarg_size 112
		.amdhsa_user_sgpr_count 2
		.amdhsa_user_sgpr_dispatch_ptr 0
		.amdhsa_user_sgpr_queue_ptr 0
		.amdhsa_user_sgpr_kernarg_segment_ptr 1
		.amdhsa_user_sgpr_dispatch_id 0
		.amdhsa_user_sgpr_kernarg_preload_length 0
		.amdhsa_user_sgpr_kernarg_preload_offset 0
		.amdhsa_user_sgpr_private_segment_size 0
		.amdhsa_uses_dynamic_stack 0
		.amdhsa_enable_private_segment 0
		.amdhsa_system_sgpr_workgroup_id_x 1
		.amdhsa_system_sgpr_workgroup_id_y 0
		.amdhsa_system_sgpr_workgroup_id_z 0
		.amdhsa_system_sgpr_workgroup_info 0
		.amdhsa_system_vgpr_workitem_id 0
		.amdhsa_next_free_vgpr 1
		.amdhsa_next_free_sgpr 0
		.amdhsa_accum_offset 4
		.amdhsa_reserve_vcc 0
		.amdhsa_float_round_mode_32 0
		.amdhsa_float_round_mode_16_64 0
		.amdhsa_float_denorm_mode_32 3
		.amdhsa_float_denorm_mode_16_64 3
		.amdhsa_dx10_clamp 1
		.amdhsa_ieee_mode 1
		.amdhsa_fp16_overflow 0
		.amdhsa_tg_split 0
		.amdhsa_exception_fp_ieee_invalid_op 0
		.amdhsa_exception_fp_denorm_src 0
		.amdhsa_exception_fp_ieee_div_zero 0
		.amdhsa_exception_fp_ieee_overflow 0
		.amdhsa_exception_fp_ieee_underflow 0
		.amdhsa_exception_fp_ieee_inexact 0
		.amdhsa_exception_int_div_zero 0
	.end_amdhsa_kernel
	.section	.text._ZN7rocprim17ROCPRIM_400000_NS6detail17trampoline_kernelINS0_14default_configENS1_27scan_by_key_config_selectorIxiEEZZNS1_16scan_by_key_implILNS1_25lookback_scan_determinismE0ELb1ES3_N6thrust23THRUST_200600_302600_NS6detail15normal_iteratorINS9_10device_ptrIxEEEESE_SE_iNS9_4plusIvEENS9_8equal_toIvEEiEE10hipError_tPvRmT2_T3_T4_T5_mT6_T7_P12ihipStream_tbENKUlT_T0_E_clISt17integral_constantIbLb0EESY_IbLb1EEEEDaSU_SV_EUlSU_E_NS1_11comp_targetILNS1_3genE2ELNS1_11target_archE906ELNS1_3gpuE6ELNS1_3repE0EEENS1_30default_config_static_selectorELNS0_4arch9wavefront6targetE1EEEvT1_,"axG",@progbits,_ZN7rocprim17ROCPRIM_400000_NS6detail17trampoline_kernelINS0_14default_configENS1_27scan_by_key_config_selectorIxiEEZZNS1_16scan_by_key_implILNS1_25lookback_scan_determinismE0ELb1ES3_N6thrust23THRUST_200600_302600_NS6detail15normal_iteratorINS9_10device_ptrIxEEEESE_SE_iNS9_4plusIvEENS9_8equal_toIvEEiEE10hipError_tPvRmT2_T3_T4_T5_mT6_T7_P12ihipStream_tbENKUlT_T0_E_clISt17integral_constantIbLb0EESY_IbLb1EEEEDaSU_SV_EUlSU_E_NS1_11comp_targetILNS1_3genE2ELNS1_11target_archE906ELNS1_3gpuE6ELNS1_3repE0EEENS1_30default_config_static_selectorELNS0_4arch9wavefront6targetE1EEEvT1_,comdat
.Lfunc_end1037:
	.size	_ZN7rocprim17ROCPRIM_400000_NS6detail17trampoline_kernelINS0_14default_configENS1_27scan_by_key_config_selectorIxiEEZZNS1_16scan_by_key_implILNS1_25lookback_scan_determinismE0ELb1ES3_N6thrust23THRUST_200600_302600_NS6detail15normal_iteratorINS9_10device_ptrIxEEEESE_SE_iNS9_4plusIvEENS9_8equal_toIvEEiEE10hipError_tPvRmT2_T3_T4_T5_mT6_T7_P12ihipStream_tbENKUlT_T0_E_clISt17integral_constantIbLb0EESY_IbLb1EEEEDaSU_SV_EUlSU_E_NS1_11comp_targetILNS1_3genE2ELNS1_11target_archE906ELNS1_3gpuE6ELNS1_3repE0EEENS1_30default_config_static_selectorELNS0_4arch9wavefront6targetE1EEEvT1_, .Lfunc_end1037-_ZN7rocprim17ROCPRIM_400000_NS6detail17trampoline_kernelINS0_14default_configENS1_27scan_by_key_config_selectorIxiEEZZNS1_16scan_by_key_implILNS1_25lookback_scan_determinismE0ELb1ES3_N6thrust23THRUST_200600_302600_NS6detail15normal_iteratorINS9_10device_ptrIxEEEESE_SE_iNS9_4plusIvEENS9_8equal_toIvEEiEE10hipError_tPvRmT2_T3_T4_T5_mT6_T7_P12ihipStream_tbENKUlT_T0_E_clISt17integral_constantIbLb0EESY_IbLb1EEEEDaSU_SV_EUlSU_E_NS1_11comp_targetILNS1_3genE2ELNS1_11target_archE906ELNS1_3gpuE6ELNS1_3repE0EEENS1_30default_config_static_selectorELNS0_4arch9wavefront6targetE1EEEvT1_
                                        ; -- End function
	.section	.AMDGPU.csdata,"",@progbits
; Kernel info:
; codeLenInByte = 0
; NumSgprs: 6
; NumVgprs: 0
; NumAgprs: 0
; TotalNumVgprs: 0
; ScratchSize: 0
; MemoryBound: 0
; FloatMode: 240
; IeeeMode: 1
; LDSByteSize: 0 bytes/workgroup (compile time only)
; SGPRBlocks: 0
; VGPRBlocks: 0
; NumSGPRsForWavesPerEU: 6
; NumVGPRsForWavesPerEU: 1
; AccumOffset: 4
; Occupancy: 8
; WaveLimiterHint : 0
; COMPUTE_PGM_RSRC2:SCRATCH_EN: 0
; COMPUTE_PGM_RSRC2:USER_SGPR: 2
; COMPUTE_PGM_RSRC2:TRAP_HANDLER: 0
; COMPUTE_PGM_RSRC2:TGID_X_EN: 1
; COMPUTE_PGM_RSRC2:TGID_Y_EN: 0
; COMPUTE_PGM_RSRC2:TGID_Z_EN: 0
; COMPUTE_PGM_RSRC2:TIDIG_COMP_CNT: 0
; COMPUTE_PGM_RSRC3_GFX90A:ACCUM_OFFSET: 0
; COMPUTE_PGM_RSRC3_GFX90A:TG_SPLIT: 0
	.section	.text._ZN7rocprim17ROCPRIM_400000_NS6detail17trampoline_kernelINS0_14default_configENS1_27scan_by_key_config_selectorIxiEEZZNS1_16scan_by_key_implILNS1_25lookback_scan_determinismE0ELb1ES3_N6thrust23THRUST_200600_302600_NS6detail15normal_iteratorINS9_10device_ptrIxEEEESE_SE_iNS9_4plusIvEENS9_8equal_toIvEEiEE10hipError_tPvRmT2_T3_T4_T5_mT6_T7_P12ihipStream_tbENKUlT_T0_E_clISt17integral_constantIbLb0EESY_IbLb1EEEEDaSU_SV_EUlSU_E_NS1_11comp_targetILNS1_3genE10ELNS1_11target_archE1200ELNS1_3gpuE4ELNS1_3repE0EEENS1_30default_config_static_selectorELNS0_4arch9wavefront6targetE1EEEvT1_,"axG",@progbits,_ZN7rocprim17ROCPRIM_400000_NS6detail17trampoline_kernelINS0_14default_configENS1_27scan_by_key_config_selectorIxiEEZZNS1_16scan_by_key_implILNS1_25lookback_scan_determinismE0ELb1ES3_N6thrust23THRUST_200600_302600_NS6detail15normal_iteratorINS9_10device_ptrIxEEEESE_SE_iNS9_4plusIvEENS9_8equal_toIvEEiEE10hipError_tPvRmT2_T3_T4_T5_mT6_T7_P12ihipStream_tbENKUlT_T0_E_clISt17integral_constantIbLb0EESY_IbLb1EEEEDaSU_SV_EUlSU_E_NS1_11comp_targetILNS1_3genE10ELNS1_11target_archE1200ELNS1_3gpuE4ELNS1_3repE0EEENS1_30default_config_static_selectorELNS0_4arch9wavefront6targetE1EEEvT1_,comdat
	.protected	_ZN7rocprim17ROCPRIM_400000_NS6detail17trampoline_kernelINS0_14default_configENS1_27scan_by_key_config_selectorIxiEEZZNS1_16scan_by_key_implILNS1_25lookback_scan_determinismE0ELb1ES3_N6thrust23THRUST_200600_302600_NS6detail15normal_iteratorINS9_10device_ptrIxEEEESE_SE_iNS9_4plusIvEENS9_8equal_toIvEEiEE10hipError_tPvRmT2_T3_T4_T5_mT6_T7_P12ihipStream_tbENKUlT_T0_E_clISt17integral_constantIbLb0EESY_IbLb1EEEEDaSU_SV_EUlSU_E_NS1_11comp_targetILNS1_3genE10ELNS1_11target_archE1200ELNS1_3gpuE4ELNS1_3repE0EEENS1_30default_config_static_selectorELNS0_4arch9wavefront6targetE1EEEvT1_ ; -- Begin function _ZN7rocprim17ROCPRIM_400000_NS6detail17trampoline_kernelINS0_14default_configENS1_27scan_by_key_config_selectorIxiEEZZNS1_16scan_by_key_implILNS1_25lookback_scan_determinismE0ELb1ES3_N6thrust23THRUST_200600_302600_NS6detail15normal_iteratorINS9_10device_ptrIxEEEESE_SE_iNS9_4plusIvEENS9_8equal_toIvEEiEE10hipError_tPvRmT2_T3_T4_T5_mT6_T7_P12ihipStream_tbENKUlT_T0_E_clISt17integral_constantIbLb0EESY_IbLb1EEEEDaSU_SV_EUlSU_E_NS1_11comp_targetILNS1_3genE10ELNS1_11target_archE1200ELNS1_3gpuE4ELNS1_3repE0EEENS1_30default_config_static_selectorELNS0_4arch9wavefront6targetE1EEEvT1_
	.globl	_ZN7rocprim17ROCPRIM_400000_NS6detail17trampoline_kernelINS0_14default_configENS1_27scan_by_key_config_selectorIxiEEZZNS1_16scan_by_key_implILNS1_25lookback_scan_determinismE0ELb1ES3_N6thrust23THRUST_200600_302600_NS6detail15normal_iteratorINS9_10device_ptrIxEEEESE_SE_iNS9_4plusIvEENS9_8equal_toIvEEiEE10hipError_tPvRmT2_T3_T4_T5_mT6_T7_P12ihipStream_tbENKUlT_T0_E_clISt17integral_constantIbLb0EESY_IbLb1EEEEDaSU_SV_EUlSU_E_NS1_11comp_targetILNS1_3genE10ELNS1_11target_archE1200ELNS1_3gpuE4ELNS1_3repE0EEENS1_30default_config_static_selectorELNS0_4arch9wavefront6targetE1EEEvT1_
	.p2align	8
	.type	_ZN7rocprim17ROCPRIM_400000_NS6detail17trampoline_kernelINS0_14default_configENS1_27scan_by_key_config_selectorIxiEEZZNS1_16scan_by_key_implILNS1_25lookback_scan_determinismE0ELb1ES3_N6thrust23THRUST_200600_302600_NS6detail15normal_iteratorINS9_10device_ptrIxEEEESE_SE_iNS9_4plusIvEENS9_8equal_toIvEEiEE10hipError_tPvRmT2_T3_T4_T5_mT6_T7_P12ihipStream_tbENKUlT_T0_E_clISt17integral_constantIbLb0EESY_IbLb1EEEEDaSU_SV_EUlSU_E_NS1_11comp_targetILNS1_3genE10ELNS1_11target_archE1200ELNS1_3gpuE4ELNS1_3repE0EEENS1_30default_config_static_selectorELNS0_4arch9wavefront6targetE1EEEvT1_,@function
_ZN7rocprim17ROCPRIM_400000_NS6detail17trampoline_kernelINS0_14default_configENS1_27scan_by_key_config_selectorIxiEEZZNS1_16scan_by_key_implILNS1_25lookback_scan_determinismE0ELb1ES3_N6thrust23THRUST_200600_302600_NS6detail15normal_iteratorINS9_10device_ptrIxEEEESE_SE_iNS9_4plusIvEENS9_8equal_toIvEEiEE10hipError_tPvRmT2_T3_T4_T5_mT6_T7_P12ihipStream_tbENKUlT_T0_E_clISt17integral_constantIbLb0EESY_IbLb1EEEEDaSU_SV_EUlSU_E_NS1_11comp_targetILNS1_3genE10ELNS1_11target_archE1200ELNS1_3gpuE4ELNS1_3repE0EEENS1_30default_config_static_selectorELNS0_4arch9wavefront6targetE1EEEvT1_: ; @_ZN7rocprim17ROCPRIM_400000_NS6detail17trampoline_kernelINS0_14default_configENS1_27scan_by_key_config_selectorIxiEEZZNS1_16scan_by_key_implILNS1_25lookback_scan_determinismE0ELb1ES3_N6thrust23THRUST_200600_302600_NS6detail15normal_iteratorINS9_10device_ptrIxEEEESE_SE_iNS9_4plusIvEENS9_8equal_toIvEEiEE10hipError_tPvRmT2_T3_T4_T5_mT6_T7_P12ihipStream_tbENKUlT_T0_E_clISt17integral_constantIbLb0EESY_IbLb1EEEEDaSU_SV_EUlSU_E_NS1_11comp_targetILNS1_3genE10ELNS1_11target_archE1200ELNS1_3gpuE4ELNS1_3repE0EEENS1_30default_config_static_selectorELNS0_4arch9wavefront6targetE1EEEvT1_
; %bb.0:
	.section	.rodata,"a",@progbits
	.p2align	6, 0x0
	.amdhsa_kernel _ZN7rocprim17ROCPRIM_400000_NS6detail17trampoline_kernelINS0_14default_configENS1_27scan_by_key_config_selectorIxiEEZZNS1_16scan_by_key_implILNS1_25lookback_scan_determinismE0ELb1ES3_N6thrust23THRUST_200600_302600_NS6detail15normal_iteratorINS9_10device_ptrIxEEEESE_SE_iNS9_4plusIvEENS9_8equal_toIvEEiEE10hipError_tPvRmT2_T3_T4_T5_mT6_T7_P12ihipStream_tbENKUlT_T0_E_clISt17integral_constantIbLb0EESY_IbLb1EEEEDaSU_SV_EUlSU_E_NS1_11comp_targetILNS1_3genE10ELNS1_11target_archE1200ELNS1_3gpuE4ELNS1_3repE0EEENS1_30default_config_static_selectorELNS0_4arch9wavefront6targetE1EEEvT1_
		.amdhsa_group_segment_fixed_size 0
		.amdhsa_private_segment_fixed_size 0
		.amdhsa_kernarg_size 112
		.amdhsa_user_sgpr_count 2
		.amdhsa_user_sgpr_dispatch_ptr 0
		.amdhsa_user_sgpr_queue_ptr 0
		.amdhsa_user_sgpr_kernarg_segment_ptr 1
		.amdhsa_user_sgpr_dispatch_id 0
		.amdhsa_user_sgpr_kernarg_preload_length 0
		.amdhsa_user_sgpr_kernarg_preload_offset 0
		.amdhsa_user_sgpr_private_segment_size 0
		.amdhsa_uses_dynamic_stack 0
		.amdhsa_enable_private_segment 0
		.amdhsa_system_sgpr_workgroup_id_x 1
		.amdhsa_system_sgpr_workgroup_id_y 0
		.amdhsa_system_sgpr_workgroup_id_z 0
		.amdhsa_system_sgpr_workgroup_info 0
		.amdhsa_system_vgpr_workitem_id 0
		.amdhsa_next_free_vgpr 1
		.amdhsa_next_free_sgpr 0
		.amdhsa_accum_offset 4
		.amdhsa_reserve_vcc 0
		.amdhsa_float_round_mode_32 0
		.amdhsa_float_round_mode_16_64 0
		.amdhsa_float_denorm_mode_32 3
		.amdhsa_float_denorm_mode_16_64 3
		.amdhsa_dx10_clamp 1
		.amdhsa_ieee_mode 1
		.amdhsa_fp16_overflow 0
		.amdhsa_tg_split 0
		.amdhsa_exception_fp_ieee_invalid_op 0
		.amdhsa_exception_fp_denorm_src 0
		.amdhsa_exception_fp_ieee_div_zero 0
		.amdhsa_exception_fp_ieee_overflow 0
		.amdhsa_exception_fp_ieee_underflow 0
		.amdhsa_exception_fp_ieee_inexact 0
		.amdhsa_exception_int_div_zero 0
	.end_amdhsa_kernel
	.section	.text._ZN7rocprim17ROCPRIM_400000_NS6detail17trampoline_kernelINS0_14default_configENS1_27scan_by_key_config_selectorIxiEEZZNS1_16scan_by_key_implILNS1_25lookback_scan_determinismE0ELb1ES3_N6thrust23THRUST_200600_302600_NS6detail15normal_iteratorINS9_10device_ptrIxEEEESE_SE_iNS9_4plusIvEENS9_8equal_toIvEEiEE10hipError_tPvRmT2_T3_T4_T5_mT6_T7_P12ihipStream_tbENKUlT_T0_E_clISt17integral_constantIbLb0EESY_IbLb1EEEEDaSU_SV_EUlSU_E_NS1_11comp_targetILNS1_3genE10ELNS1_11target_archE1200ELNS1_3gpuE4ELNS1_3repE0EEENS1_30default_config_static_selectorELNS0_4arch9wavefront6targetE1EEEvT1_,"axG",@progbits,_ZN7rocprim17ROCPRIM_400000_NS6detail17trampoline_kernelINS0_14default_configENS1_27scan_by_key_config_selectorIxiEEZZNS1_16scan_by_key_implILNS1_25lookback_scan_determinismE0ELb1ES3_N6thrust23THRUST_200600_302600_NS6detail15normal_iteratorINS9_10device_ptrIxEEEESE_SE_iNS9_4plusIvEENS9_8equal_toIvEEiEE10hipError_tPvRmT2_T3_T4_T5_mT6_T7_P12ihipStream_tbENKUlT_T0_E_clISt17integral_constantIbLb0EESY_IbLb1EEEEDaSU_SV_EUlSU_E_NS1_11comp_targetILNS1_3genE10ELNS1_11target_archE1200ELNS1_3gpuE4ELNS1_3repE0EEENS1_30default_config_static_selectorELNS0_4arch9wavefront6targetE1EEEvT1_,comdat
.Lfunc_end1038:
	.size	_ZN7rocprim17ROCPRIM_400000_NS6detail17trampoline_kernelINS0_14default_configENS1_27scan_by_key_config_selectorIxiEEZZNS1_16scan_by_key_implILNS1_25lookback_scan_determinismE0ELb1ES3_N6thrust23THRUST_200600_302600_NS6detail15normal_iteratorINS9_10device_ptrIxEEEESE_SE_iNS9_4plusIvEENS9_8equal_toIvEEiEE10hipError_tPvRmT2_T3_T4_T5_mT6_T7_P12ihipStream_tbENKUlT_T0_E_clISt17integral_constantIbLb0EESY_IbLb1EEEEDaSU_SV_EUlSU_E_NS1_11comp_targetILNS1_3genE10ELNS1_11target_archE1200ELNS1_3gpuE4ELNS1_3repE0EEENS1_30default_config_static_selectorELNS0_4arch9wavefront6targetE1EEEvT1_, .Lfunc_end1038-_ZN7rocprim17ROCPRIM_400000_NS6detail17trampoline_kernelINS0_14default_configENS1_27scan_by_key_config_selectorIxiEEZZNS1_16scan_by_key_implILNS1_25lookback_scan_determinismE0ELb1ES3_N6thrust23THRUST_200600_302600_NS6detail15normal_iteratorINS9_10device_ptrIxEEEESE_SE_iNS9_4plusIvEENS9_8equal_toIvEEiEE10hipError_tPvRmT2_T3_T4_T5_mT6_T7_P12ihipStream_tbENKUlT_T0_E_clISt17integral_constantIbLb0EESY_IbLb1EEEEDaSU_SV_EUlSU_E_NS1_11comp_targetILNS1_3genE10ELNS1_11target_archE1200ELNS1_3gpuE4ELNS1_3repE0EEENS1_30default_config_static_selectorELNS0_4arch9wavefront6targetE1EEEvT1_
                                        ; -- End function
	.section	.AMDGPU.csdata,"",@progbits
; Kernel info:
; codeLenInByte = 0
; NumSgprs: 6
; NumVgprs: 0
; NumAgprs: 0
; TotalNumVgprs: 0
; ScratchSize: 0
; MemoryBound: 0
; FloatMode: 240
; IeeeMode: 1
; LDSByteSize: 0 bytes/workgroup (compile time only)
; SGPRBlocks: 0
; VGPRBlocks: 0
; NumSGPRsForWavesPerEU: 6
; NumVGPRsForWavesPerEU: 1
; AccumOffset: 4
; Occupancy: 8
; WaveLimiterHint : 0
; COMPUTE_PGM_RSRC2:SCRATCH_EN: 0
; COMPUTE_PGM_RSRC2:USER_SGPR: 2
; COMPUTE_PGM_RSRC2:TRAP_HANDLER: 0
; COMPUTE_PGM_RSRC2:TGID_X_EN: 1
; COMPUTE_PGM_RSRC2:TGID_Y_EN: 0
; COMPUTE_PGM_RSRC2:TGID_Z_EN: 0
; COMPUTE_PGM_RSRC2:TIDIG_COMP_CNT: 0
; COMPUTE_PGM_RSRC3_GFX90A:ACCUM_OFFSET: 0
; COMPUTE_PGM_RSRC3_GFX90A:TG_SPLIT: 0
	.section	.text._ZN7rocprim17ROCPRIM_400000_NS6detail17trampoline_kernelINS0_14default_configENS1_27scan_by_key_config_selectorIxiEEZZNS1_16scan_by_key_implILNS1_25lookback_scan_determinismE0ELb1ES3_N6thrust23THRUST_200600_302600_NS6detail15normal_iteratorINS9_10device_ptrIxEEEESE_SE_iNS9_4plusIvEENS9_8equal_toIvEEiEE10hipError_tPvRmT2_T3_T4_T5_mT6_T7_P12ihipStream_tbENKUlT_T0_E_clISt17integral_constantIbLb0EESY_IbLb1EEEEDaSU_SV_EUlSU_E_NS1_11comp_targetILNS1_3genE9ELNS1_11target_archE1100ELNS1_3gpuE3ELNS1_3repE0EEENS1_30default_config_static_selectorELNS0_4arch9wavefront6targetE1EEEvT1_,"axG",@progbits,_ZN7rocprim17ROCPRIM_400000_NS6detail17trampoline_kernelINS0_14default_configENS1_27scan_by_key_config_selectorIxiEEZZNS1_16scan_by_key_implILNS1_25lookback_scan_determinismE0ELb1ES3_N6thrust23THRUST_200600_302600_NS6detail15normal_iteratorINS9_10device_ptrIxEEEESE_SE_iNS9_4plusIvEENS9_8equal_toIvEEiEE10hipError_tPvRmT2_T3_T4_T5_mT6_T7_P12ihipStream_tbENKUlT_T0_E_clISt17integral_constantIbLb0EESY_IbLb1EEEEDaSU_SV_EUlSU_E_NS1_11comp_targetILNS1_3genE9ELNS1_11target_archE1100ELNS1_3gpuE3ELNS1_3repE0EEENS1_30default_config_static_selectorELNS0_4arch9wavefront6targetE1EEEvT1_,comdat
	.protected	_ZN7rocprim17ROCPRIM_400000_NS6detail17trampoline_kernelINS0_14default_configENS1_27scan_by_key_config_selectorIxiEEZZNS1_16scan_by_key_implILNS1_25lookback_scan_determinismE0ELb1ES3_N6thrust23THRUST_200600_302600_NS6detail15normal_iteratorINS9_10device_ptrIxEEEESE_SE_iNS9_4plusIvEENS9_8equal_toIvEEiEE10hipError_tPvRmT2_T3_T4_T5_mT6_T7_P12ihipStream_tbENKUlT_T0_E_clISt17integral_constantIbLb0EESY_IbLb1EEEEDaSU_SV_EUlSU_E_NS1_11comp_targetILNS1_3genE9ELNS1_11target_archE1100ELNS1_3gpuE3ELNS1_3repE0EEENS1_30default_config_static_selectorELNS0_4arch9wavefront6targetE1EEEvT1_ ; -- Begin function _ZN7rocprim17ROCPRIM_400000_NS6detail17trampoline_kernelINS0_14default_configENS1_27scan_by_key_config_selectorIxiEEZZNS1_16scan_by_key_implILNS1_25lookback_scan_determinismE0ELb1ES3_N6thrust23THRUST_200600_302600_NS6detail15normal_iteratorINS9_10device_ptrIxEEEESE_SE_iNS9_4plusIvEENS9_8equal_toIvEEiEE10hipError_tPvRmT2_T3_T4_T5_mT6_T7_P12ihipStream_tbENKUlT_T0_E_clISt17integral_constantIbLb0EESY_IbLb1EEEEDaSU_SV_EUlSU_E_NS1_11comp_targetILNS1_3genE9ELNS1_11target_archE1100ELNS1_3gpuE3ELNS1_3repE0EEENS1_30default_config_static_selectorELNS0_4arch9wavefront6targetE1EEEvT1_
	.globl	_ZN7rocprim17ROCPRIM_400000_NS6detail17trampoline_kernelINS0_14default_configENS1_27scan_by_key_config_selectorIxiEEZZNS1_16scan_by_key_implILNS1_25lookback_scan_determinismE0ELb1ES3_N6thrust23THRUST_200600_302600_NS6detail15normal_iteratorINS9_10device_ptrIxEEEESE_SE_iNS9_4plusIvEENS9_8equal_toIvEEiEE10hipError_tPvRmT2_T3_T4_T5_mT6_T7_P12ihipStream_tbENKUlT_T0_E_clISt17integral_constantIbLb0EESY_IbLb1EEEEDaSU_SV_EUlSU_E_NS1_11comp_targetILNS1_3genE9ELNS1_11target_archE1100ELNS1_3gpuE3ELNS1_3repE0EEENS1_30default_config_static_selectorELNS0_4arch9wavefront6targetE1EEEvT1_
	.p2align	8
	.type	_ZN7rocprim17ROCPRIM_400000_NS6detail17trampoline_kernelINS0_14default_configENS1_27scan_by_key_config_selectorIxiEEZZNS1_16scan_by_key_implILNS1_25lookback_scan_determinismE0ELb1ES3_N6thrust23THRUST_200600_302600_NS6detail15normal_iteratorINS9_10device_ptrIxEEEESE_SE_iNS9_4plusIvEENS9_8equal_toIvEEiEE10hipError_tPvRmT2_T3_T4_T5_mT6_T7_P12ihipStream_tbENKUlT_T0_E_clISt17integral_constantIbLb0EESY_IbLb1EEEEDaSU_SV_EUlSU_E_NS1_11comp_targetILNS1_3genE9ELNS1_11target_archE1100ELNS1_3gpuE3ELNS1_3repE0EEENS1_30default_config_static_selectorELNS0_4arch9wavefront6targetE1EEEvT1_,@function
_ZN7rocprim17ROCPRIM_400000_NS6detail17trampoline_kernelINS0_14default_configENS1_27scan_by_key_config_selectorIxiEEZZNS1_16scan_by_key_implILNS1_25lookback_scan_determinismE0ELb1ES3_N6thrust23THRUST_200600_302600_NS6detail15normal_iteratorINS9_10device_ptrIxEEEESE_SE_iNS9_4plusIvEENS9_8equal_toIvEEiEE10hipError_tPvRmT2_T3_T4_T5_mT6_T7_P12ihipStream_tbENKUlT_T0_E_clISt17integral_constantIbLb0EESY_IbLb1EEEEDaSU_SV_EUlSU_E_NS1_11comp_targetILNS1_3genE9ELNS1_11target_archE1100ELNS1_3gpuE3ELNS1_3repE0EEENS1_30default_config_static_selectorELNS0_4arch9wavefront6targetE1EEEvT1_: ; @_ZN7rocprim17ROCPRIM_400000_NS6detail17trampoline_kernelINS0_14default_configENS1_27scan_by_key_config_selectorIxiEEZZNS1_16scan_by_key_implILNS1_25lookback_scan_determinismE0ELb1ES3_N6thrust23THRUST_200600_302600_NS6detail15normal_iteratorINS9_10device_ptrIxEEEESE_SE_iNS9_4plusIvEENS9_8equal_toIvEEiEE10hipError_tPvRmT2_T3_T4_T5_mT6_T7_P12ihipStream_tbENKUlT_T0_E_clISt17integral_constantIbLb0EESY_IbLb1EEEEDaSU_SV_EUlSU_E_NS1_11comp_targetILNS1_3genE9ELNS1_11target_archE1100ELNS1_3gpuE3ELNS1_3repE0EEENS1_30default_config_static_selectorELNS0_4arch9wavefront6targetE1EEEvT1_
; %bb.0:
	.section	.rodata,"a",@progbits
	.p2align	6, 0x0
	.amdhsa_kernel _ZN7rocprim17ROCPRIM_400000_NS6detail17trampoline_kernelINS0_14default_configENS1_27scan_by_key_config_selectorIxiEEZZNS1_16scan_by_key_implILNS1_25lookback_scan_determinismE0ELb1ES3_N6thrust23THRUST_200600_302600_NS6detail15normal_iteratorINS9_10device_ptrIxEEEESE_SE_iNS9_4plusIvEENS9_8equal_toIvEEiEE10hipError_tPvRmT2_T3_T4_T5_mT6_T7_P12ihipStream_tbENKUlT_T0_E_clISt17integral_constantIbLb0EESY_IbLb1EEEEDaSU_SV_EUlSU_E_NS1_11comp_targetILNS1_3genE9ELNS1_11target_archE1100ELNS1_3gpuE3ELNS1_3repE0EEENS1_30default_config_static_selectorELNS0_4arch9wavefront6targetE1EEEvT1_
		.amdhsa_group_segment_fixed_size 0
		.amdhsa_private_segment_fixed_size 0
		.amdhsa_kernarg_size 112
		.amdhsa_user_sgpr_count 2
		.amdhsa_user_sgpr_dispatch_ptr 0
		.amdhsa_user_sgpr_queue_ptr 0
		.amdhsa_user_sgpr_kernarg_segment_ptr 1
		.amdhsa_user_sgpr_dispatch_id 0
		.amdhsa_user_sgpr_kernarg_preload_length 0
		.amdhsa_user_sgpr_kernarg_preload_offset 0
		.amdhsa_user_sgpr_private_segment_size 0
		.amdhsa_uses_dynamic_stack 0
		.amdhsa_enable_private_segment 0
		.amdhsa_system_sgpr_workgroup_id_x 1
		.amdhsa_system_sgpr_workgroup_id_y 0
		.amdhsa_system_sgpr_workgroup_id_z 0
		.amdhsa_system_sgpr_workgroup_info 0
		.amdhsa_system_vgpr_workitem_id 0
		.amdhsa_next_free_vgpr 1
		.amdhsa_next_free_sgpr 0
		.amdhsa_accum_offset 4
		.amdhsa_reserve_vcc 0
		.amdhsa_float_round_mode_32 0
		.amdhsa_float_round_mode_16_64 0
		.amdhsa_float_denorm_mode_32 3
		.amdhsa_float_denorm_mode_16_64 3
		.amdhsa_dx10_clamp 1
		.amdhsa_ieee_mode 1
		.amdhsa_fp16_overflow 0
		.amdhsa_tg_split 0
		.amdhsa_exception_fp_ieee_invalid_op 0
		.amdhsa_exception_fp_denorm_src 0
		.amdhsa_exception_fp_ieee_div_zero 0
		.amdhsa_exception_fp_ieee_overflow 0
		.amdhsa_exception_fp_ieee_underflow 0
		.amdhsa_exception_fp_ieee_inexact 0
		.amdhsa_exception_int_div_zero 0
	.end_amdhsa_kernel
	.section	.text._ZN7rocprim17ROCPRIM_400000_NS6detail17trampoline_kernelINS0_14default_configENS1_27scan_by_key_config_selectorIxiEEZZNS1_16scan_by_key_implILNS1_25lookback_scan_determinismE0ELb1ES3_N6thrust23THRUST_200600_302600_NS6detail15normal_iteratorINS9_10device_ptrIxEEEESE_SE_iNS9_4plusIvEENS9_8equal_toIvEEiEE10hipError_tPvRmT2_T3_T4_T5_mT6_T7_P12ihipStream_tbENKUlT_T0_E_clISt17integral_constantIbLb0EESY_IbLb1EEEEDaSU_SV_EUlSU_E_NS1_11comp_targetILNS1_3genE9ELNS1_11target_archE1100ELNS1_3gpuE3ELNS1_3repE0EEENS1_30default_config_static_selectorELNS0_4arch9wavefront6targetE1EEEvT1_,"axG",@progbits,_ZN7rocprim17ROCPRIM_400000_NS6detail17trampoline_kernelINS0_14default_configENS1_27scan_by_key_config_selectorIxiEEZZNS1_16scan_by_key_implILNS1_25lookback_scan_determinismE0ELb1ES3_N6thrust23THRUST_200600_302600_NS6detail15normal_iteratorINS9_10device_ptrIxEEEESE_SE_iNS9_4plusIvEENS9_8equal_toIvEEiEE10hipError_tPvRmT2_T3_T4_T5_mT6_T7_P12ihipStream_tbENKUlT_T0_E_clISt17integral_constantIbLb0EESY_IbLb1EEEEDaSU_SV_EUlSU_E_NS1_11comp_targetILNS1_3genE9ELNS1_11target_archE1100ELNS1_3gpuE3ELNS1_3repE0EEENS1_30default_config_static_selectorELNS0_4arch9wavefront6targetE1EEEvT1_,comdat
.Lfunc_end1039:
	.size	_ZN7rocprim17ROCPRIM_400000_NS6detail17trampoline_kernelINS0_14default_configENS1_27scan_by_key_config_selectorIxiEEZZNS1_16scan_by_key_implILNS1_25lookback_scan_determinismE0ELb1ES3_N6thrust23THRUST_200600_302600_NS6detail15normal_iteratorINS9_10device_ptrIxEEEESE_SE_iNS9_4plusIvEENS9_8equal_toIvEEiEE10hipError_tPvRmT2_T3_T4_T5_mT6_T7_P12ihipStream_tbENKUlT_T0_E_clISt17integral_constantIbLb0EESY_IbLb1EEEEDaSU_SV_EUlSU_E_NS1_11comp_targetILNS1_3genE9ELNS1_11target_archE1100ELNS1_3gpuE3ELNS1_3repE0EEENS1_30default_config_static_selectorELNS0_4arch9wavefront6targetE1EEEvT1_, .Lfunc_end1039-_ZN7rocprim17ROCPRIM_400000_NS6detail17trampoline_kernelINS0_14default_configENS1_27scan_by_key_config_selectorIxiEEZZNS1_16scan_by_key_implILNS1_25lookback_scan_determinismE0ELb1ES3_N6thrust23THRUST_200600_302600_NS6detail15normal_iteratorINS9_10device_ptrIxEEEESE_SE_iNS9_4plusIvEENS9_8equal_toIvEEiEE10hipError_tPvRmT2_T3_T4_T5_mT6_T7_P12ihipStream_tbENKUlT_T0_E_clISt17integral_constantIbLb0EESY_IbLb1EEEEDaSU_SV_EUlSU_E_NS1_11comp_targetILNS1_3genE9ELNS1_11target_archE1100ELNS1_3gpuE3ELNS1_3repE0EEENS1_30default_config_static_selectorELNS0_4arch9wavefront6targetE1EEEvT1_
                                        ; -- End function
	.section	.AMDGPU.csdata,"",@progbits
; Kernel info:
; codeLenInByte = 0
; NumSgprs: 6
; NumVgprs: 0
; NumAgprs: 0
; TotalNumVgprs: 0
; ScratchSize: 0
; MemoryBound: 0
; FloatMode: 240
; IeeeMode: 1
; LDSByteSize: 0 bytes/workgroup (compile time only)
; SGPRBlocks: 0
; VGPRBlocks: 0
; NumSGPRsForWavesPerEU: 6
; NumVGPRsForWavesPerEU: 1
; AccumOffset: 4
; Occupancy: 8
; WaveLimiterHint : 0
; COMPUTE_PGM_RSRC2:SCRATCH_EN: 0
; COMPUTE_PGM_RSRC2:USER_SGPR: 2
; COMPUTE_PGM_RSRC2:TRAP_HANDLER: 0
; COMPUTE_PGM_RSRC2:TGID_X_EN: 1
; COMPUTE_PGM_RSRC2:TGID_Y_EN: 0
; COMPUTE_PGM_RSRC2:TGID_Z_EN: 0
; COMPUTE_PGM_RSRC2:TIDIG_COMP_CNT: 0
; COMPUTE_PGM_RSRC3_GFX90A:ACCUM_OFFSET: 0
; COMPUTE_PGM_RSRC3_GFX90A:TG_SPLIT: 0
	.section	.text._ZN7rocprim17ROCPRIM_400000_NS6detail17trampoline_kernelINS0_14default_configENS1_27scan_by_key_config_selectorIxiEEZZNS1_16scan_by_key_implILNS1_25lookback_scan_determinismE0ELb1ES3_N6thrust23THRUST_200600_302600_NS6detail15normal_iteratorINS9_10device_ptrIxEEEESE_SE_iNS9_4plusIvEENS9_8equal_toIvEEiEE10hipError_tPvRmT2_T3_T4_T5_mT6_T7_P12ihipStream_tbENKUlT_T0_E_clISt17integral_constantIbLb0EESY_IbLb1EEEEDaSU_SV_EUlSU_E_NS1_11comp_targetILNS1_3genE8ELNS1_11target_archE1030ELNS1_3gpuE2ELNS1_3repE0EEENS1_30default_config_static_selectorELNS0_4arch9wavefront6targetE1EEEvT1_,"axG",@progbits,_ZN7rocprim17ROCPRIM_400000_NS6detail17trampoline_kernelINS0_14default_configENS1_27scan_by_key_config_selectorIxiEEZZNS1_16scan_by_key_implILNS1_25lookback_scan_determinismE0ELb1ES3_N6thrust23THRUST_200600_302600_NS6detail15normal_iteratorINS9_10device_ptrIxEEEESE_SE_iNS9_4plusIvEENS9_8equal_toIvEEiEE10hipError_tPvRmT2_T3_T4_T5_mT6_T7_P12ihipStream_tbENKUlT_T0_E_clISt17integral_constantIbLb0EESY_IbLb1EEEEDaSU_SV_EUlSU_E_NS1_11comp_targetILNS1_3genE8ELNS1_11target_archE1030ELNS1_3gpuE2ELNS1_3repE0EEENS1_30default_config_static_selectorELNS0_4arch9wavefront6targetE1EEEvT1_,comdat
	.protected	_ZN7rocprim17ROCPRIM_400000_NS6detail17trampoline_kernelINS0_14default_configENS1_27scan_by_key_config_selectorIxiEEZZNS1_16scan_by_key_implILNS1_25lookback_scan_determinismE0ELb1ES3_N6thrust23THRUST_200600_302600_NS6detail15normal_iteratorINS9_10device_ptrIxEEEESE_SE_iNS9_4plusIvEENS9_8equal_toIvEEiEE10hipError_tPvRmT2_T3_T4_T5_mT6_T7_P12ihipStream_tbENKUlT_T0_E_clISt17integral_constantIbLb0EESY_IbLb1EEEEDaSU_SV_EUlSU_E_NS1_11comp_targetILNS1_3genE8ELNS1_11target_archE1030ELNS1_3gpuE2ELNS1_3repE0EEENS1_30default_config_static_selectorELNS0_4arch9wavefront6targetE1EEEvT1_ ; -- Begin function _ZN7rocprim17ROCPRIM_400000_NS6detail17trampoline_kernelINS0_14default_configENS1_27scan_by_key_config_selectorIxiEEZZNS1_16scan_by_key_implILNS1_25lookback_scan_determinismE0ELb1ES3_N6thrust23THRUST_200600_302600_NS6detail15normal_iteratorINS9_10device_ptrIxEEEESE_SE_iNS9_4plusIvEENS9_8equal_toIvEEiEE10hipError_tPvRmT2_T3_T4_T5_mT6_T7_P12ihipStream_tbENKUlT_T0_E_clISt17integral_constantIbLb0EESY_IbLb1EEEEDaSU_SV_EUlSU_E_NS1_11comp_targetILNS1_3genE8ELNS1_11target_archE1030ELNS1_3gpuE2ELNS1_3repE0EEENS1_30default_config_static_selectorELNS0_4arch9wavefront6targetE1EEEvT1_
	.globl	_ZN7rocprim17ROCPRIM_400000_NS6detail17trampoline_kernelINS0_14default_configENS1_27scan_by_key_config_selectorIxiEEZZNS1_16scan_by_key_implILNS1_25lookback_scan_determinismE0ELb1ES3_N6thrust23THRUST_200600_302600_NS6detail15normal_iteratorINS9_10device_ptrIxEEEESE_SE_iNS9_4plusIvEENS9_8equal_toIvEEiEE10hipError_tPvRmT2_T3_T4_T5_mT6_T7_P12ihipStream_tbENKUlT_T0_E_clISt17integral_constantIbLb0EESY_IbLb1EEEEDaSU_SV_EUlSU_E_NS1_11comp_targetILNS1_3genE8ELNS1_11target_archE1030ELNS1_3gpuE2ELNS1_3repE0EEENS1_30default_config_static_selectorELNS0_4arch9wavefront6targetE1EEEvT1_
	.p2align	8
	.type	_ZN7rocprim17ROCPRIM_400000_NS6detail17trampoline_kernelINS0_14default_configENS1_27scan_by_key_config_selectorIxiEEZZNS1_16scan_by_key_implILNS1_25lookback_scan_determinismE0ELb1ES3_N6thrust23THRUST_200600_302600_NS6detail15normal_iteratorINS9_10device_ptrIxEEEESE_SE_iNS9_4plusIvEENS9_8equal_toIvEEiEE10hipError_tPvRmT2_T3_T4_T5_mT6_T7_P12ihipStream_tbENKUlT_T0_E_clISt17integral_constantIbLb0EESY_IbLb1EEEEDaSU_SV_EUlSU_E_NS1_11comp_targetILNS1_3genE8ELNS1_11target_archE1030ELNS1_3gpuE2ELNS1_3repE0EEENS1_30default_config_static_selectorELNS0_4arch9wavefront6targetE1EEEvT1_,@function
_ZN7rocprim17ROCPRIM_400000_NS6detail17trampoline_kernelINS0_14default_configENS1_27scan_by_key_config_selectorIxiEEZZNS1_16scan_by_key_implILNS1_25lookback_scan_determinismE0ELb1ES3_N6thrust23THRUST_200600_302600_NS6detail15normal_iteratorINS9_10device_ptrIxEEEESE_SE_iNS9_4plusIvEENS9_8equal_toIvEEiEE10hipError_tPvRmT2_T3_T4_T5_mT6_T7_P12ihipStream_tbENKUlT_T0_E_clISt17integral_constantIbLb0EESY_IbLb1EEEEDaSU_SV_EUlSU_E_NS1_11comp_targetILNS1_3genE8ELNS1_11target_archE1030ELNS1_3gpuE2ELNS1_3repE0EEENS1_30default_config_static_selectorELNS0_4arch9wavefront6targetE1EEEvT1_: ; @_ZN7rocprim17ROCPRIM_400000_NS6detail17trampoline_kernelINS0_14default_configENS1_27scan_by_key_config_selectorIxiEEZZNS1_16scan_by_key_implILNS1_25lookback_scan_determinismE0ELb1ES3_N6thrust23THRUST_200600_302600_NS6detail15normal_iteratorINS9_10device_ptrIxEEEESE_SE_iNS9_4plusIvEENS9_8equal_toIvEEiEE10hipError_tPvRmT2_T3_T4_T5_mT6_T7_P12ihipStream_tbENKUlT_T0_E_clISt17integral_constantIbLb0EESY_IbLb1EEEEDaSU_SV_EUlSU_E_NS1_11comp_targetILNS1_3genE8ELNS1_11target_archE1030ELNS1_3gpuE2ELNS1_3repE0EEENS1_30default_config_static_selectorELNS0_4arch9wavefront6targetE1EEEvT1_
; %bb.0:
	.section	.rodata,"a",@progbits
	.p2align	6, 0x0
	.amdhsa_kernel _ZN7rocprim17ROCPRIM_400000_NS6detail17trampoline_kernelINS0_14default_configENS1_27scan_by_key_config_selectorIxiEEZZNS1_16scan_by_key_implILNS1_25lookback_scan_determinismE0ELb1ES3_N6thrust23THRUST_200600_302600_NS6detail15normal_iteratorINS9_10device_ptrIxEEEESE_SE_iNS9_4plusIvEENS9_8equal_toIvEEiEE10hipError_tPvRmT2_T3_T4_T5_mT6_T7_P12ihipStream_tbENKUlT_T0_E_clISt17integral_constantIbLb0EESY_IbLb1EEEEDaSU_SV_EUlSU_E_NS1_11comp_targetILNS1_3genE8ELNS1_11target_archE1030ELNS1_3gpuE2ELNS1_3repE0EEENS1_30default_config_static_selectorELNS0_4arch9wavefront6targetE1EEEvT1_
		.amdhsa_group_segment_fixed_size 0
		.amdhsa_private_segment_fixed_size 0
		.amdhsa_kernarg_size 112
		.amdhsa_user_sgpr_count 2
		.amdhsa_user_sgpr_dispatch_ptr 0
		.amdhsa_user_sgpr_queue_ptr 0
		.amdhsa_user_sgpr_kernarg_segment_ptr 1
		.amdhsa_user_sgpr_dispatch_id 0
		.amdhsa_user_sgpr_kernarg_preload_length 0
		.amdhsa_user_sgpr_kernarg_preload_offset 0
		.amdhsa_user_sgpr_private_segment_size 0
		.amdhsa_uses_dynamic_stack 0
		.amdhsa_enable_private_segment 0
		.amdhsa_system_sgpr_workgroup_id_x 1
		.amdhsa_system_sgpr_workgroup_id_y 0
		.amdhsa_system_sgpr_workgroup_id_z 0
		.amdhsa_system_sgpr_workgroup_info 0
		.amdhsa_system_vgpr_workitem_id 0
		.amdhsa_next_free_vgpr 1
		.amdhsa_next_free_sgpr 0
		.amdhsa_accum_offset 4
		.amdhsa_reserve_vcc 0
		.amdhsa_float_round_mode_32 0
		.amdhsa_float_round_mode_16_64 0
		.amdhsa_float_denorm_mode_32 3
		.amdhsa_float_denorm_mode_16_64 3
		.amdhsa_dx10_clamp 1
		.amdhsa_ieee_mode 1
		.amdhsa_fp16_overflow 0
		.amdhsa_tg_split 0
		.amdhsa_exception_fp_ieee_invalid_op 0
		.amdhsa_exception_fp_denorm_src 0
		.amdhsa_exception_fp_ieee_div_zero 0
		.amdhsa_exception_fp_ieee_overflow 0
		.amdhsa_exception_fp_ieee_underflow 0
		.amdhsa_exception_fp_ieee_inexact 0
		.amdhsa_exception_int_div_zero 0
	.end_amdhsa_kernel
	.section	.text._ZN7rocprim17ROCPRIM_400000_NS6detail17trampoline_kernelINS0_14default_configENS1_27scan_by_key_config_selectorIxiEEZZNS1_16scan_by_key_implILNS1_25lookback_scan_determinismE0ELb1ES3_N6thrust23THRUST_200600_302600_NS6detail15normal_iteratorINS9_10device_ptrIxEEEESE_SE_iNS9_4plusIvEENS9_8equal_toIvEEiEE10hipError_tPvRmT2_T3_T4_T5_mT6_T7_P12ihipStream_tbENKUlT_T0_E_clISt17integral_constantIbLb0EESY_IbLb1EEEEDaSU_SV_EUlSU_E_NS1_11comp_targetILNS1_3genE8ELNS1_11target_archE1030ELNS1_3gpuE2ELNS1_3repE0EEENS1_30default_config_static_selectorELNS0_4arch9wavefront6targetE1EEEvT1_,"axG",@progbits,_ZN7rocprim17ROCPRIM_400000_NS6detail17trampoline_kernelINS0_14default_configENS1_27scan_by_key_config_selectorIxiEEZZNS1_16scan_by_key_implILNS1_25lookback_scan_determinismE0ELb1ES3_N6thrust23THRUST_200600_302600_NS6detail15normal_iteratorINS9_10device_ptrIxEEEESE_SE_iNS9_4plusIvEENS9_8equal_toIvEEiEE10hipError_tPvRmT2_T3_T4_T5_mT6_T7_P12ihipStream_tbENKUlT_T0_E_clISt17integral_constantIbLb0EESY_IbLb1EEEEDaSU_SV_EUlSU_E_NS1_11comp_targetILNS1_3genE8ELNS1_11target_archE1030ELNS1_3gpuE2ELNS1_3repE0EEENS1_30default_config_static_selectorELNS0_4arch9wavefront6targetE1EEEvT1_,comdat
.Lfunc_end1040:
	.size	_ZN7rocprim17ROCPRIM_400000_NS6detail17trampoline_kernelINS0_14default_configENS1_27scan_by_key_config_selectorIxiEEZZNS1_16scan_by_key_implILNS1_25lookback_scan_determinismE0ELb1ES3_N6thrust23THRUST_200600_302600_NS6detail15normal_iteratorINS9_10device_ptrIxEEEESE_SE_iNS9_4plusIvEENS9_8equal_toIvEEiEE10hipError_tPvRmT2_T3_T4_T5_mT6_T7_P12ihipStream_tbENKUlT_T0_E_clISt17integral_constantIbLb0EESY_IbLb1EEEEDaSU_SV_EUlSU_E_NS1_11comp_targetILNS1_3genE8ELNS1_11target_archE1030ELNS1_3gpuE2ELNS1_3repE0EEENS1_30default_config_static_selectorELNS0_4arch9wavefront6targetE1EEEvT1_, .Lfunc_end1040-_ZN7rocprim17ROCPRIM_400000_NS6detail17trampoline_kernelINS0_14default_configENS1_27scan_by_key_config_selectorIxiEEZZNS1_16scan_by_key_implILNS1_25lookback_scan_determinismE0ELb1ES3_N6thrust23THRUST_200600_302600_NS6detail15normal_iteratorINS9_10device_ptrIxEEEESE_SE_iNS9_4plusIvEENS9_8equal_toIvEEiEE10hipError_tPvRmT2_T3_T4_T5_mT6_T7_P12ihipStream_tbENKUlT_T0_E_clISt17integral_constantIbLb0EESY_IbLb1EEEEDaSU_SV_EUlSU_E_NS1_11comp_targetILNS1_3genE8ELNS1_11target_archE1030ELNS1_3gpuE2ELNS1_3repE0EEENS1_30default_config_static_selectorELNS0_4arch9wavefront6targetE1EEEvT1_
                                        ; -- End function
	.section	.AMDGPU.csdata,"",@progbits
; Kernel info:
; codeLenInByte = 0
; NumSgprs: 6
; NumVgprs: 0
; NumAgprs: 0
; TotalNumVgprs: 0
; ScratchSize: 0
; MemoryBound: 0
; FloatMode: 240
; IeeeMode: 1
; LDSByteSize: 0 bytes/workgroup (compile time only)
; SGPRBlocks: 0
; VGPRBlocks: 0
; NumSGPRsForWavesPerEU: 6
; NumVGPRsForWavesPerEU: 1
; AccumOffset: 4
; Occupancy: 8
; WaveLimiterHint : 0
; COMPUTE_PGM_RSRC2:SCRATCH_EN: 0
; COMPUTE_PGM_RSRC2:USER_SGPR: 2
; COMPUTE_PGM_RSRC2:TRAP_HANDLER: 0
; COMPUTE_PGM_RSRC2:TGID_X_EN: 1
; COMPUTE_PGM_RSRC2:TGID_Y_EN: 0
; COMPUTE_PGM_RSRC2:TGID_Z_EN: 0
; COMPUTE_PGM_RSRC2:TIDIG_COMP_CNT: 0
; COMPUTE_PGM_RSRC3_GFX90A:ACCUM_OFFSET: 0
; COMPUTE_PGM_RSRC3_GFX90A:TG_SPLIT: 0
	.section	.text._ZN7rocprim17ROCPRIM_400000_NS6detail30init_device_scan_by_key_kernelINS1_19lookback_scan_stateINS0_5tupleIJibEEELb0ELb1EEEN6thrust23THRUST_200600_302600_NS6detail15normal_iteratorINS8_10device_ptrIsEEEEjNS1_16block_id_wrapperIjLb0EEEEEvT_jjPNSG_10value_typeET0_PNSt15iterator_traitsISJ_E10value_typeEmT1_T2_,"axG",@progbits,_ZN7rocprim17ROCPRIM_400000_NS6detail30init_device_scan_by_key_kernelINS1_19lookback_scan_stateINS0_5tupleIJibEEELb0ELb1EEEN6thrust23THRUST_200600_302600_NS6detail15normal_iteratorINS8_10device_ptrIsEEEEjNS1_16block_id_wrapperIjLb0EEEEEvT_jjPNSG_10value_typeET0_PNSt15iterator_traitsISJ_E10value_typeEmT1_T2_,comdat
	.protected	_ZN7rocprim17ROCPRIM_400000_NS6detail30init_device_scan_by_key_kernelINS1_19lookback_scan_stateINS0_5tupleIJibEEELb0ELb1EEEN6thrust23THRUST_200600_302600_NS6detail15normal_iteratorINS8_10device_ptrIsEEEEjNS1_16block_id_wrapperIjLb0EEEEEvT_jjPNSG_10value_typeET0_PNSt15iterator_traitsISJ_E10value_typeEmT1_T2_ ; -- Begin function _ZN7rocprim17ROCPRIM_400000_NS6detail30init_device_scan_by_key_kernelINS1_19lookback_scan_stateINS0_5tupleIJibEEELb0ELb1EEEN6thrust23THRUST_200600_302600_NS6detail15normal_iteratorINS8_10device_ptrIsEEEEjNS1_16block_id_wrapperIjLb0EEEEEvT_jjPNSG_10value_typeET0_PNSt15iterator_traitsISJ_E10value_typeEmT1_T2_
	.globl	_ZN7rocprim17ROCPRIM_400000_NS6detail30init_device_scan_by_key_kernelINS1_19lookback_scan_stateINS0_5tupleIJibEEELb0ELb1EEEN6thrust23THRUST_200600_302600_NS6detail15normal_iteratorINS8_10device_ptrIsEEEEjNS1_16block_id_wrapperIjLb0EEEEEvT_jjPNSG_10value_typeET0_PNSt15iterator_traitsISJ_E10value_typeEmT1_T2_
	.p2align	8
	.type	_ZN7rocprim17ROCPRIM_400000_NS6detail30init_device_scan_by_key_kernelINS1_19lookback_scan_stateINS0_5tupleIJibEEELb0ELb1EEEN6thrust23THRUST_200600_302600_NS6detail15normal_iteratorINS8_10device_ptrIsEEEEjNS1_16block_id_wrapperIjLb0EEEEEvT_jjPNSG_10value_typeET0_PNSt15iterator_traitsISJ_E10value_typeEmT1_T2_,@function
_ZN7rocprim17ROCPRIM_400000_NS6detail30init_device_scan_by_key_kernelINS1_19lookback_scan_stateINS0_5tupleIJibEEELb0ELb1EEEN6thrust23THRUST_200600_302600_NS6detail15normal_iteratorINS8_10device_ptrIsEEEEjNS1_16block_id_wrapperIjLb0EEEEEvT_jjPNSG_10value_typeET0_PNSt15iterator_traitsISJ_E10value_typeEmT1_T2_: ; @_ZN7rocprim17ROCPRIM_400000_NS6detail30init_device_scan_by_key_kernelINS1_19lookback_scan_stateINS0_5tupleIJibEEELb0ELb1EEEN6thrust23THRUST_200600_302600_NS6detail15normal_iteratorINS8_10device_ptrIsEEEEjNS1_16block_id_wrapperIjLb0EEEEEvT_jjPNSG_10value_typeET0_PNSt15iterator_traitsISJ_E10value_typeEmT1_T2_
; %bb.0:
	s_load_dword s3, s[0:1], 0x44
	s_load_dwordx8 s[4:11], s[0:1], 0x0
	s_load_dword s18, s[0:1], 0x38
	s_waitcnt lgkmcnt(0)
	s_and_b32 s19, s3, 0xffff
	s_mul_i32 s2, s2, s19
	s_cmp_eq_u64 s[8:9], 0
	v_add_u32_e32 v4, s2, v0
	s_cbranch_scc1 .LBB1041_8
; %bb.1:
	s_cmp_lt_u32 s7, s6
	s_cselect_b32 s2, s7, 0
	s_mov_b32 s13, 0
	v_cmp_eq_u32_e32 vcc, s2, v4
	s_and_saveexec_b64 s[2:3], vcc
	s_cbranch_execz .LBB1041_7
; %bb.2:
	s_add_i32 s12, s7, 64
	s_lshl_b64 s[12:13], s[12:13], 4
	s_add_u32 s16, s4, s12
	s_addc_u32 s17, s5, s13
	v_mov_b64_e32 v[0:1], s[16:17]
	;;#ASMSTART
	global_load_dwordx4 v[0:3], v[0:1] off sc1	
s_waitcnt vmcnt(0)
	;;#ASMEND
	v_mov_b32_e32 v7, 0
	v_and_b32_e32 v6, 0xff, v2
	s_mov_b64 s[14:15], 0
	v_cmp_eq_u64_e32 vcc, 0, v[6:7]
	s_and_saveexec_b64 s[12:13], vcc
	s_cbranch_execz .LBB1041_6
; %bb.3:
	v_mov_b64_e32 v[8:9], s[16:17]
.LBB1041_4:                             ; =>This Inner Loop Header: Depth=1
	;;#ASMSTART
	global_load_dwordx4 v[0:3], v[8:9] off sc1	
s_waitcnt vmcnt(0)
	;;#ASMEND
	s_nop 0
	v_and_b32_e32 v6, 0xff, v2
	v_cmp_ne_u64_e32 vcc, 0, v[6:7]
	s_or_b64 s[14:15], vcc, s[14:15]
	s_andn2_b64 exec, exec, s[14:15]
	s_cbranch_execnz .LBB1041_4
; %bb.5:
	s_or_b64 exec, exec, s[14:15]
.LBB1041_6:
	s_or_b64 exec, exec, s[12:13]
	v_mov_b32_e32 v2, 0
	global_store_dword v2, v0, s[8:9]
	global_store_byte v2, v1, s[8:9] offset:4
.LBB1041_7:
	s_or_b64 exec, exec, s[2:3]
.LBB1041_8:
	v_cmp_gt_u32_e32 vcc, s6, v4
	s_and_saveexec_b64 s[2:3], vcc
	s_cbranch_execz .LBB1041_10
; %bb.9:
	v_add_u32_e32 v0, 64, v4
	v_mov_b32_e32 v1, 0
	v_lshl_add_u64 v[6:7], v[0:1], 4, s[4:5]
	v_mov_b32_e32 v0, v1
	v_mov_b32_e32 v2, v1
	;; [unrolled: 1-line block ×3, first 2 shown]
	global_store_dwordx4 v[6:7], v[0:3], off
.LBB1041_10:
	s_or_b64 exec, exec, s[2:3]
	v_cmp_gt_u32_e32 vcc, 64, v4
	v_mov_b32_e32 v5, 0
	s_and_saveexec_b64 s[2:3], vcc
	s_cbranch_execz .LBB1041_12
; %bb.11:
	v_lshl_add_u64 v[6:7], v[4:5], 4, s[4:5]
	v_mov_b32_e32 v2, 0xff
	v_mov_b32_e32 v0, v5
	;; [unrolled: 1-line block ×4, first 2 shown]
	global_store_dwordx4 v[6:7], v[0:3], off
.LBB1041_12:
	s_or_b64 exec, exec, s[2:3]
	s_load_dwordx2 s[2:3], s[0:1], 0x28
	s_waitcnt lgkmcnt(0)
	v_cmp_gt_u64_e32 vcc, s[2:3], v[4:5]
	s_and_saveexec_b64 s[4:5], vcc
	s_cbranch_execz .LBB1041_15
; %bb.13:
	s_load_dword s12, s[0:1], 0x30
	s_load_dwordx2 s[6:7], s[0:1], 0x20
	s_mov_b32 s5, 0
	s_mov_b32 s1, s5
	s_mul_i32 s0, s18, s19
	s_waitcnt lgkmcnt(0)
	s_add_i32 s4, s12, -1
	s_lshl_b64 s[4:5], s[4:5], 1
	s_add_u32 s4, s10, s4
	v_mad_u64_u32 v[0:1], s[8:9], s12, v4, 0
	s_addc_u32 s5, s11, s5
	v_lshl_add_u64 v[0:1], v[0:1], 1, s[4:5]
	s_mul_hi_u32 s5, s12, s0
	s_mul_i32 s4, s12, s0
	s_lshl_b64 s[4:5], s[4:5], 1
	v_lshl_add_u64 v[2:3], v[4:5], 1, s[6:7]
	s_lshl_b64 s[6:7], s[0:1], 1
	s_mov_b64 s[8:9], 0
.LBB1041_14:                            ; =>This Inner Loop Header: Depth=1
	global_load_ushort v6, v[0:1], off
	v_lshl_add_u64 v[4:5], v[4:5], 0, s[0:1]
	v_cmp_le_u64_e32 vcc, s[2:3], v[4:5]
	v_lshl_add_u64 v[0:1], v[0:1], 0, s[4:5]
	s_or_b64 s[8:9], vcc, s[8:9]
	s_waitcnt vmcnt(0)
	global_store_short v[2:3], v6, off
	v_lshl_add_u64 v[2:3], v[2:3], 0, s[6:7]
	s_andn2_b64 exec, exec, s[8:9]
	s_cbranch_execnz .LBB1041_14
.LBB1041_15:
	s_endpgm
	.section	.rodata,"a",@progbits
	.p2align	6, 0x0
	.amdhsa_kernel _ZN7rocprim17ROCPRIM_400000_NS6detail30init_device_scan_by_key_kernelINS1_19lookback_scan_stateINS0_5tupleIJibEEELb0ELb1EEEN6thrust23THRUST_200600_302600_NS6detail15normal_iteratorINS8_10device_ptrIsEEEEjNS1_16block_id_wrapperIjLb0EEEEEvT_jjPNSG_10value_typeET0_PNSt15iterator_traitsISJ_E10value_typeEmT1_T2_
		.amdhsa_group_segment_fixed_size 0
		.amdhsa_private_segment_fixed_size 0
		.amdhsa_kernarg_size 312
		.amdhsa_user_sgpr_count 2
		.amdhsa_user_sgpr_dispatch_ptr 0
		.amdhsa_user_sgpr_queue_ptr 0
		.amdhsa_user_sgpr_kernarg_segment_ptr 1
		.amdhsa_user_sgpr_dispatch_id 0
		.amdhsa_user_sgpr_kernarg_preload_length 0
		.amdhsa_user_sgpr_kernarg_preload_offset 0
		.amdhsa_user_sgpr_private_segment_size 0
		.amdhsa_uses_dynamic_stack 0
		.amdhsa_enable_private_segment 0
		.amdhsa_system_sgpr_workgroup_id_x 1
		.amdhsa_system_sgpr_workgroup_id_y 0
		.amdhsa_system_sgpr_workgroup_id_z 0
		.amdhsa_system_sgpr_workgroup_info 0
		.amdhsa_system_vgpr_workitem_id 0
		.amdhsa_next_free_vgpr 10
		.amdhsa_next_free_sgpr 20
		.amdhsa_accum_offset 12
		.amdhsa_reserve_vcc 1
		.amdhsa_float_round_mode_32 0
		.amdhsa_float_round_mode_16_64 0
		.amdhsa_float_denorm_mode_32 3
		.amdhsa_float_denorm_mode_16_64 3
		.amdhsa_dx10_clamp 1
		.amdhsa_ieee_mode 1
		.amdhsa_fp16_overflow 0
		.amdhsa_tg_split 0
		.amdhsa_exception_fp_ieee_invalid_op 0
		.amdhsa_exception_fp_denorm_src 0
		.amdhsa_exception_fp_ieee_div_zero 0
		.amdhsa_exception_fp_ieee_overflow 0
		.amdhsa_exception_fp_ieee_underflow 0
		.amdhsa_exception_fp_ieee_inexact 0
		.amdhsa_exception_int_div_zero 0
	.end_amdhsa_kernel
	.section	.text._ZN7rocprim17ROCPRIM_400000_NS6detail30init_device_scan_by_key_kernelINS1_19lookback_scan_stateINS0_5tupleIJibEEELb0ELb1EEEN6thrust23THRUST_200600_302600_NS6detail15normal_iteratorINS8_10device_ptrIsEEEEjNS1_16block_id_wrapperIjLb0EEEEEvT_jjPNSG_10value_typeET0_PNSt15iterator_traitsISJ_E10value_typeEmT1_T2_,"axG",@progbits,_ZN7rocprim17ROCPRIM_400000_NS6detail30init_device_scan_by_key_kernelINS1_19lookback_scan_stateINS0_5tupleIJibEEELb0ELb1EEEN6thrust23THRUST_200600_302600_NS6detail15normal_iteratorINS8_10device_ptrIsEEEEjNS1_16block_id_wrapperIjLb0EEEEEvT_jjPNSG_10value_typeET0_PNSt15iterator_traitsISJ_E10value_typeEmT1_T2_,comdat
.Lfunc_end1041:
	.size	_ZN7rocprim17ROCPRIM_400000_NS6detail30init_device_scan_by_key_kernelINS1_19lookback_scan_stateINS0_5tupleIJibEEELb0ELb1EEEN6thrust23THRUST_200600_302600_NS6detail15normal_iteratorINS8_10device_ptrIsEEEEjNS1_16block_id_wrapperIjLb0EEEEEvT_jjPNSG_10value_typeET0_PNSt15iterator_traitsISJ_E10value_typeEmT1_T2_, .Lfunc_end1041-_ZN7rocprim17ROCPRIM_400000_NS6detail30init_device_scan_by_key_kernelINS1_19lookback_scan_stateINS0_5tupleIJibEEELb0ELb1EEEN6thrust23THRUST_200600_302600_NS6detail15normal_iteratorINS8_10device_ptrIsEEEEjNS1_16block_id_wrapperIjLb0EEEEEvT_jjPNSG_10value_typeET0_PNSt15iterator_traitsISJ_E10value_typeEmT1_T2_
                                        ; -- End function
	.section	.AMDGPU.csdata,"",@progbits
; Kernel info:
; codeLenInByte = 508
; NumSgprs: 26
; NumVgprs: 10
; NumAgprs: 0
; TotalNumVgprs: 10
; ScratchSize: 0
; MemoryBound: 0
; FloatMode: 240
; IeeeMode: 1
; LDSByteSize: 0 bytes/workgroup (compile time only)
; SGPRBlocks: 3
; VGPRBlocks: 1
; NumSGPRsForWavesPerEU: 26
; NumVGPRsForWavesPerEU: 10
; AccumOffset: 12
; Occupancy: 8
; WaveLimiterHint : 0
; COMPUTE_PGM_RSRC2:SCRATCH_EN: 0
; COMPUTE_PGM_RSRC2:USER_SGPR: 2
; COMPUTE_PGM_RSRC2:TRAP_HANDLER: 0
; COMPUTE_PGM_RSRC2:TGID_X_EN: 1
; COMPUTE_PGM_RSRC2:TGID_Y_EN: 0
; COMPUTE_PGM_RSRC2:TGID_Z_EN: 0
; COMPUTE_PGM_RSRC2:TIDIG_COMP_CNT: 0
; COMPUTE_PGM_RSRC3_GFX90A:ACCUM_OFFSET: 2
; COMPUTE_PGM_RSRC3_GFX90A:TG_SPLIT: 0
	.section	.text._ZN7rocprim17ROCPRIM_400000_NS6detail17trampoline_kernelINS0_14default_configENS1_27scan_by_key_config_selectorIsiEEZZNS1_16scan_by_key_implILNS1_25lookback_scan_determinismE0ELb1ES3_N6thrust23THRUST_200600_302600_NS6detail15normal_iteratorINS9_10device_ptrIsEEEESE_SE_iNS9_4plusIvEENS9_8equal_toIvEEiEE10hipError_tPvRmT2_T3_T4_T5_mT6_T7_P12ihipStream_tbENKUlT_T0_E_clISt17integral_constantIbLb0EESZ_EEDaSU_SV_EUlSU_E_NS1_11comp_targetILNS1_3genE0ELNS1_11target_archE4294967295ELNS1_3gpuE0ELNS1_3repE0EEENS1_30default_config_static_selectorELNS0_4arch9wavefront6targetE1EEEvT1_,"axG",@progbits,_ZN7rocprim17ROCPRIM_400000_NS6detail17trampoline_kernelINS0_14default_configENS1_27scan_by_key_config_selectorIsiEEZZNS1_16scan_by_key_implILNS1_25lookback_scan_determinismE0ELb1ES3_N6thrust23THRUST_200600_302600_NS6detail15normal_iteratorINS9_10device_ptrIsEEEESE_SE_iNS9_4plusIvEENS9_8equal_toIvEEiEE10hipError_tPvRmT2_T3_T4_T5_mT6_T7_P12ihipStream_tbENKUlT_T0_E_clISt17integral_constantIbLb0EESZ_EEDaSU_SV_EUlSU_E_NS1_11comp_targetILNS1_3genE0ELNS1_11target_archE4294967295ELNS1_3gpuE0ELNS1_3repE0EEENS1_30default_config_static_selectorELNS0_4arch9wavefront6targetE1EEEvT1_,comdat
	.protected	_ZN7rocprim17ROCPRIM_400000_NS6detail17trampoline_kernelINS0_14default_configENS1_27scan_by_key_config_selectorIsiEEZZNS1_16scan_by_key_implILNS1_25lookback_scan_determinismE0ELb1ES3_N6thrust23THRUST_200600_302600_NS6detail15normal_iteratorINS9_10device_ptrIsEEEESE_SE_iNS9_4plusIvEENS9_8equal_toIvEEiEE10hipError_tPvRmT2_T3_T4_T5_mT6_T7_P12ihipStream_tbENKUlT_T0_E_clISt17integral_constantIbLb0EESZ_EEDaSU_SV_EUlSU_E_NS1_11comp_targetILNS1_3genE0ELNS1_11target_archE4294967295ELNS1_3gpuE0ELNS1_3repE0EEENS1_30default_config_static_selectorELNS0_4arch9wavefront6targetE1EEEvT1_ ; -- Begin function _ZN7rocprim17ROCPRIM_400000_NS6detail17trampoline_kernelINS0_14default_configENS1_27scan_by_key_config_selectorIsiEEZZNS1_16scan_by_key_implILNS1_25lookback_scan_determinismE0ELb1ES3_N6thrust23THRUST_200600_302600_NS6detail15normal_iteratorINS9_10device_ptrIsEEEESE_SE_iNS9_4plusIvEENS9_8equal_toIvEEiEE10hipError_tPvRmT2_T3_T4_T5_mT6_T7_P12ihipStream_tbENKUlT_T0_E_clISt17integral_constantIbLb0EESZ_EEDaSU_SV_EUlSU_E_NS1_11comp_targetILNS1_3genE0ELNS1_11target_archE4294967295ELNS1_3gpuE0ELNS1_3repE0EEENS1_30default_config_static_selectorELNS0_4arch9wavefront6targetE1EEEvT1_
	.globl	_ZN7rocprim17ROCPRIM_400000_NS6detail17trampoline_kernelINS0_14default_configENS1_27scan_by_key_config_selectorIsiEEZZNS1_16scan_by_key_implILNS1_25lookback_scan_determinismE0ELb1ES3_N6thrust23THRUST_200600_302600_NS6detail15normal_iteratorINS9_10device_ptrIsEEEESE_SE_iNS9_4plusIvEENS9_8equal_toIvEEiEE10hipError_tPvRmT2_T3_T4_T5_mT6_T7_P12ihipStream_tbENKUlT_T0_E_clISt17integral_constantIbLb0EESZ_EEDaSU_SV_EUlSU_E_NS1_11comp_targetILNS1_3genE0ELNS1_11target_archE4294967295ELNS1_3gpuE0ELNS1_3repE0EEENS1_30default_config_static_selectorELNS0_4arch9wavefront6targetE1EEEvT1_
	.p2align	8
	.type	_ZN7rocprim17ROCPRIM_400000_NS6detail17trampoline_kernelINS0_14default_configENS1_27scan_by_key_config_selectorIsiEEZZNS1_16scan_by_key_implILNS1_25lookback_scan_determinismE0ELb1ES3_N6thrust23THRUST_200600_302600_NS6detail15normal_iteratorINS9_10device_ptrIsEEEESE_SE_iNS9_4plusIvEENS9_8equal_toIvEEiEE10hipError_tPvRmT2_T3_T4_T5_mT6_T7_P12ihipStream_tbENKUlT_T0_E_clISt17integral_constantIbLb0EESZ_EEDaSU_SV_EUlSU_E_NS1_11comp_targetILNS1_3genE0ELNS1_11target_archE4294967295ELNS1_3gpuE0ELNS1_3repE0EEENS1_30default_config_static_selectorELNS0_4arch9wavefront6targetE1EEEvT1_,@function
_ZN7rocprim17ROCPRIM_400000_NS6detail17trampoline_kernelINS0_14default_configENS1_27scan_by_key_config_selectorIsiEEZZNS1_16scan_by_key_implILNS1_25lookback_scan_determinismE0ELb1ES3_N6thrust23THRUST_200600_302600_NS6detail15normal_iteratorINS9_10device_ptrIsEEEESE_SE_iNS9_4plusIvEENS9_8equal_toIvEEiEE10hipError_tPvRmT2_T3_T4_T5_mT6_T7_P12ihipStream_tbENKUlT_T0_E_clISt17integral_constantIbLb0EESZ_EEDaSU_SV_EUlSU_E_NS1_11comp_targetILNS1_3genE0ELNS1_11target_archE4294967295ELNS1_3gpuE0ELNS1_3repE0EEENS1_30default_config_static_selectorELNS0_4arch9wavefront6targetE1EEEvT1_: ; @_ZN7rocprim17ROCPRIM_400000_NS6detail17trampoline_kernelINS0_14default_configENS1_27scan_by_key_config_selectorIsiEEZZNS1_16scan_by_key_implILNS1_25lookback_scan_determinismE0ELb1ES3_N6thrust23THRUST_200600_302600_NS6detail15normal_iteratorINS9_10device_ptrIsEEEESE_SE_iNS9_4plusIvEENS9_8equal_toIvEEiEE10hipError_tPvRmT2_T3_T4_T5_mT6_T7_P12ihipStream_tbENKUlT_T0_E_clISt17integral_constantIbLb0EESZ_EEDaSU_SV_EUlSU_E_NS1_11comp_targetILNS1_3genE0ELNS1_11target_archE4294967295ELNS1_3gpuE0ELNS1_3repE0EEENS1_30default_config_static_selectorELNS0_4arch9wavefront6targetE1EEEvT1_
; %bb.0:
	.section	.rodata,"a",@progbits
	.p2align	6, 0x0
	.amdhsa_kernel _ZN7rocprim17ROCPRIM_400000_NS6detail17trampoline_kernelINS0_14default_configENS1_27scan_by_key_config_selectorIsiEEZZNS1_16scan_by_key_implILNS1_25lookback_scan_determinismE0ELb1ES3_N6thrust23THRUST_200600_302600_NS6detail15normal_iteratorINS9_10device_ptrIsEEEESE_SE_iNS9_4plusIvEENS9_8equal_toIvEEiEE10hipError_tPvRmT2_T3_T4_T5_mT6_T7_P12ihipStream_tbENKUlT_T0_E_clISt17integral_constantIbLb0EESZ_EEDaSU_SV_EUlSU_E_NS1_11comp_targetILNS1_3genE0ELNS1_11target_archE4294967295ELNS1_3gpuE0ELNS1_3repE0EEENS1_30default_config_static_selectorELNS0_4arch9wavefront6targetE1EEEvT1_
		.amdhsa_group_segment_fixed_size 0
		.amdhsa_private_segment_fixed_size 0
		.amdhsa_kernarg_size 112
		.amdhsa_user_sgpr_count 2
		.amdhsa_user_sgpr_dispatch_ptr 0
		.amdhsa_user_sgpr_queue_ptr 0
		.amdhsa_user_sgpr_kernarg_segment_ptr 1
		.amdhsa_user_sgpr_dispatch_id 0
		.amdhsa_user_sgpr_kernarg_preload_length 0
		.amdhsa_user_sgpr_kernarg_preload_offset 0
		.amdhsa_user_sgpr_private_segment_size 0
		.amdhsa_uses_dynamic_stack 0
		.amdhsa_enable_private_segment 0
		.amdhsa_system_sgpr_workgroup_id_x 1
		.amdhsa_system_sgpr_workgroup_id_y 0
		.amdhsa_system_sgpr_workgroup_id_z 0
		.amdhsa_system_sgpr_workgroup_info 0
		.amdhsa_system_vgpr_workitem_id 0
		.amdhsa_next_free_vgpr 1
		.amdhsa_next_free_sgpr 0
		.amdhsa_accum_offset 4
		.amdhsa_reserve_vcc 0
		.amdhsa_float_round_mode_32 0
		.amdhsa_float_round_mode_16_64 0
		.amdhsa_float_denorm_mode_32 3
		.amdhsa_float_denorm_mode_16_64 3
		.amdhsa_dx10_clamp 1
		.amdhsa_ieee_mode 1
		.amdhsa_fp16_overflow 0
		.amdhsa_tg_split 0
		.amdhsa_exception_fp_ieee_invalid_op 0
		.amdhsa_exception_fp_denorm_src 0
		.amdhsa_exception_fp_ieee_div_zero 0
		.amdhsa_exception_fp_ieee_overflow 0
		.amdhsa_exception_fp_ieee_underflow 0
		.amdhsa_exception_fp_ieee_inexact 0
		.amdhsa_exception_int_div_zero 0
	.end_amdhsa_kernel
	.section	.text._ZN7rocprim17ROCPRIM_400000_NS6detail17trampoline_kernelINS0_14default_configENS1_27scan_by_key_config_selectorIsiEEZZNS1_16scan_by_key_implILNS1_25lookback_scan_determinismE0ELb1ES3_N6thrust23THRUST_200600_302600_NS6detail15normal_iteratorINS9_10device_ptrIsEEEESE_SE_iNS9_4plusIvEENS9_8equal_toIvEEiEE10hipError_tPvRmT2_T3_T4_T5_mT6_T7_P12ihipStream_tbENKUlT_T0_E_clISt17integral_constantIbLb0EESZ_EEDaSU_SV_EUlSU_E_NS1_11comp_targetILNS1_3genE0ELNS1_11target_archE4294967295ELNS1_3gpuE0ELNS1_3repE0EEENS1_30default_config_static_selectorELNS0_4arch9wavefront6targetE1EEEvT1_,"axG",@progbits,_ZN7rocprim17ROCPRIM_400000_NS6detail17trampoline_kernelINS0_14default_configENS1_27scan_by_key_config_selectorIsiEEZZNS1_16scan_by_key_implILNS1_25lookback_scan_determinismE0ELb1ES3_N6thrust23THRUST_200600_302600_NS6detail15normal_iteratorINS9_10device_ptrIsEEEESE_SE_iNS9_4plusIvEENS9_8equal_toIvEEiEE10hipError_tPvRmT2_T3_T4_T5_mT6_T7_P12ihipStream_tbENKUlT_T0_E_clISt17integral_constantIbLb0EESZ_EEDaSU_SV_EUlSU_E_NS1_11comp_targetILNS1_3genE0ELNS1_11target_archE4294967295ELNS1_3gpuE0ELNS1_3repE0EEENS1_30default_config_static_selectorELNS0_4arch9wavefront6targetE1EEEvT1_,comdat
.Lfunc_end1042:
	.size	_ZN7rocprim17ROCPRIM_400000_NS6detail17trampoline_kernelINS0_14default_configENS1_27scan_by_key_config_selectorIsiEEZZNS1_16scan_by_key_implILNS1_25lookback_scan_determinismE0ELb1ES3_N6thrust23THRUST_200600_302600_NS6detail15normal_iteratorINS9_10device_ptrIsEEEESE_SE_iNS9_4plusIvEENS9_8equal_toIvEEiEE10hipError_tPvRmT2_T3_T4_T5_mT6_T7_P12ihipStream_tbENKUlT_T0_E_clISt17integral_constantIbLb0EESZ_EEDaSU_SV_EUlSU_E_NS1_11comp_targetILNS1_3genE0ELNS1_11target_archE4294967295ELNS1_3gpuE0ELNS1_3repE0EEENS1_30default_config_static_selectorELNS0_4arch9wavefront6targetE1EEEvT1_, .Lfunc_end1042-_ZN7rocprim17ROCPRIM_400000_NS6detail17trampoline_kernelINS0_14default_configENS1_27scan_by_key_config_selectorIsiEEZZNS1_16scan_by_key_implILNS1_25lookback_scan_determinismE0ELb1ES3_N6thrust23THRUST_200600_302600_NS6detail15normal_iteratorINS9_10device_ptrIsEEEESE_SE_iNS9_4plusIvEENS9_8equal_toIvEEiEE10hipError_tPvRmT2_T3_T4_T5_mT6_T7_P12ihipStream_tbENKUlT_T0_E_clISt17integral_constantIbLb0EESZ_EEDaSU_SV_EUlSU_E_NS1_11comp_targetILNS1_3genE0ELNS1_11target_archE4294967295ELNS1_3gpuE0ELNS1_3repE0EEENS1_30default_config_static_selectorELNS0_4arch9wavefront6targetE1EEEvT1_
                                        ; -- End function
	.section	.AMDGPU.csdata,"",@progbits
; Kernel info:
; codeLenInByte = 0
; NumSgprs: 6
; NumVgprs: 0
; NumAgprs: 0
; TotalNumVgprs: 0
; ScratchSize: 0
; MemoryBound: 0
; FloatMode: 240
; IeeeMode: 1
; LDSByteSize: 0 bytes/workgroup (compile time only)
; SGPRBlocks: 0
; VGPRBlocks: 0
; NumSGPRsForWavesPerEU: 6
; NumVGPRsForWavesPerEU: 1
; AccumOffset: 4
; Occupancy: 8
; WaveLimiterHint : 0
; COMPUTE_PGM_RSRC2:SCRATCH_EN: 0
; COMPUTE_PGM_RSRC2:USER_SGPR: 2
; COMPUTE_PGM_RSRC2:TRAP_HANDLER: 0
; COMPUTE_PGM_RSRC2:TGID_X_EN: 1
; COMPUTE_PGM_RSRC2:TGID_Y_EN: 0
; COMPUTE_PGM_RSRC2:TGID_Z_EN: 0
; COMPUTE_PGM_RSRC2:TIDIG_COMP_CNT: 0
; COMPUTE_PGM_RSRC3_GFX90A:ACCUM_OFFSET: 0
; COMPUTE_PGM_RSRC3_GFX90A:TG_SPLIT: 0
	.section	.text._ZN7rocprim17ROCPRIM_400000_NS6detail17trampoline_kernelINS0_14default_configENS1_27scan_by_key_config_selectorIsiEEZZNS1_16scan_by_key_implILNS1_25lookback_scan_determinismE0ELb1ES3_N6thrust23THRUST_200600_302600_NS6detail15normal_iteratorINS9_10device_ptrIsEEEESE_SE_iNS9_4plusIvEENS9_8equal_toIvEEiEE10hipError_tPvRmT2_T3_T4_T5_mT6_T7_P12ihipStream_tbENKUlT_T0_E_clISt17integral_constantIbLb0EESZ_EEDaSU_SV_EUlSU_E_NS1_11comp_targetILNS1_3genE10ELNS1_11target_archE1201ELNS1_3gpuE5ELNS1_3repE0EEENS1_30default_config_static_selectorELNS0_4arch9wavefront6targetE1EEEvT1_,"axG",@progbits,_ZN7rocprim17ROCPRIM_400000_NS6detail17trampoline_kernelINS0_14default_configENS1_27scan_by_key_config_selectorIsiEEZZNS1_16scan_by_key_implILNS1_25lookback_scan_determinismE0ELb1ES3_N6thrust23THRUST_200600_302600_NS6detail15normal_iteratorINS9_10device_ptrIsEEEESE_SE_iNS9_4plusIvEENS9_8equal_toIvEEiEE10hipError_tPvRmT2_T3_T4_T5_mT6_T7_P12ihipStream_tbENKUlT_T0_E_clISt17integral_constantIbLb0EESZ_EEDaSU_SV_EUlSU_E_NS1_11comp_targetILNS1_3genE10ELNS1_11target_archE1201ELNS1_3gpuE5ELNS1_3repE0EEENS1_30default_config_static_selectorELNS0_4arch9wavefront6targetE1EEEvT1_,comdat
	.protected	_ZN7rocprim17ROCPRIM_400000_NS6detail17trampoline_kernelINS0_14default_configENS1_27scan_by_key_config_selectorIsiEEZZNS1_16scan_by_key_implILNS1_25lookback_scan_determinismE0ELb1ES3_N6thrust23THRUST_200600_302600_NS6detail15normal_iteratorINS9_10device_ptrIsEEEESE_SE_iNS9_4plusIvEENS9_8equal_toIvEEiEE10hipError_tPvRmT2_T3_T4_T5_mT6_T7_P12ihipStream_tbENKUlT_T0_E_clISt17integral_constantIbLb0EESZ_EEDaSU_SV_EUlSU_E_NS1_11comp_targetILNS1_3genE10ELNS1_11target_archE1201ELNS1_3gpuE5ELNS1_3repE0EEENS1_30default_config_static_selectorELNS0_4arch9wavefront6targetE1EEEvT1_ ; -- Begin function _ZN7rocprim17ROCPRIM_400000_NS6detail17trampoline_kernelINS0_14default_configENS1_27scan_by_key_config_selectorIsiEEZZNS1_16scan_by_key_implILNS1_25lookback_scan_determinismE0ELb1ES3_N6thrust23THRUST_200600_302600_NS6detail15normal_iteratorINS9_10device_ptrIsEEEESE_SE_iNS9_4plusIvEENS9_8equal_toIvEEiEE10hipError_tPvRmT2_T3_T4_T5_mT6_T7_P12ihipStream_tbENKUlT_T0_E_clISt17integral_constantIbLb0EESZ_EEDaSU_SV_EUlSU_E_NS1_11comp_targetILNS1_3genE10ELNS1_11target_archE1201ELNS1_3gpuE5ELNS1_3repE0EEENS1_30default_config_static_selectorELNS0_4arch9wavefront6targetE1EEEvT1_
	.globl	_ZN7rocprim17ROCPRIM_400000_NS6detail17trampoline_kernelINS0_14default_configENS1_27scan_by_key_config_selectorIsiEEZZNS1_16scan_by_key_implILNS1_25lookback_scan_determinismE0ELb1ES3_N6thrust23THRUST_200600_302600_NS6detail15normal_iteratorINS9_10device_ptrIsEEEESE_SE_iNS9_4plusIvEENS9_8equal_toIvEEiEE10hipError_tPvRmT2_T3_T4_T5_mT6_T7_P12ihipStream_tbENKUlT_T0_E_clISt17integral_constantIbLb0EESZ_EEDaSU_SV_EUlSU_E_NS1_11comp_targetILNS1_3genE10ELNS1_11target_archE1201ELNS1_3gpuE5ELNS1_3repE0EEENS1_30default_config_static_selectorELNS0_4arch9wavefront6targetE1EEEvT1_
	.p2align	8
	.type	_ZN7rocprim17ROCPRIM_400000_NS6detail17trampoline_kernelINS0_14default_configENS1_27scan_by_key_config_selectorIsiEEZZNS1_16scan_by_key_implILNS1_25lookback_scan_determinismE0ELb1ES3_N6thrust23THRUST_200600_302600_NS6detail15normal_iteratorINS9_10device_ptrIsEEEESE_SE_iNS9_4plusIvEENS9_8equal_toIvEEiEE10hipError_tPvRmT2_T3_T4_T5_mT6_T7_P12ihipStream_tbENKUlT_T0_E_clISt17integral_constantIbLb0EESZ_EEDaSU_SV_EUlSU_E_NS1_11comp_targetILNS1_3genE10ELNS1_11target_archE1201ELNS1_3gpuE5ELNS1_3repE0EEENS1_30default_config_static_selectorELNS0_4arch9wavefront6targetE1EEEvT1_,@function
_ZN7rocprim17ROCPRIM_400000_NS6detail17trampoline_kernelINS0_14default_configENS1_27scan_by_key_config_selectorIsiEEZZNS1_16scan_by_key_implILNS1_25lookback_scan_determinismE0ELb1ES3_N6thrust23THRUST_200600_302600_NS6detail15normal_iteratorINS9_10device_ptrIsEEEESE_SE_iNS9_4plusIvEENS9_8equal_toIvEEiEE10hipError_tPvRmT2_T3_T4_T5_mT6_T7_P12ihipStream_tbENKUlT_T0_E_clISt17integral_constantIbLb0EESZ_EEDaSU_SV_EUlSU_E_NS1_11comp_targetILNS1_3genE10ELNS1_11target_archE1201ELNS1_3gpuE5ELNS1_3repE0EEENS1_30default_config_static_selectorELNS0_4arch9wavefront6targetE1EEEvT1_: ; @_ZN7rocprim17ROCPRIM_400000_NS6detail17trampoline_kernelINS0_14default_configENS1_27scan_by_key_config_selectorIsiEEZZNS1_16scan_by_key_implILNS1_25lookback_scan_determinismE0ELb1ES3_N6thrust23THRUST_200600_302600_NS6detail15normal_iteratorINS9_10device_ptrIsEEEESE_SE_iNS9_4plusIvEENS9_8equal_toIvEEiEE10hipError_tPvRmT2_T3_T4_T5_mT6_T7_P12ihipStream_tbENKUlT_T0_E_clISt17integral_constantIbLb0EESZ_EEDaSU_SV_EUlSU_E_NS1_11comp_targetILNS1_3genE10ELNS1_11target_archE1201ELNS1_3gpuE5ELNS1_3repE0EEENS1_30default_config_static_selectorELNS0_4arch9wavefront6targetE1EEEvT1_
; %bb.0:
	.section	.rodata,"a",@progbits
	.p2align	6, 0x0
	.amdhsa_kernel _ZN7rocprim17ROCPRIM_400000_NS6detail17trampoline_kernelINS0_14default_configENS1_27scan_by_key_config_selectorIsiEEZZNS1_16scan_by_key_implILNS1_25lookback_scan_determinismE0ELb1ES3_N6thrust23THRUST_200600_302600_NS6detail15normal_iteratorINS9_10device_ptrIsEEEESE_SE_iNS9_4plusIvEENS9_8equal_toIvEEiEE10hipError_tPvRmT2_T3_T4_T5_mT6_T7_P12ihipStream_tbENKUlT_T0_E_clISt17integral_constantIbLb0EESZ_EEDaSU_SV_EUlSU_E_NS1_11comp_targetILNS1_3genE10ELNS1_11target_archE1201ELNS1_3gpuE5ELNS1_3repE0EEENS1_30default_config_static_selectorELNS0_4arch9wavefront6targetE1EEEvT1_
		.amdhsa_group_segment_fixed_size 0
		.amdhsa_private_segment_fixed_size 0
		.amdhsa_kernarg_size 112
		.amdhsa_user_sgpr_count 2
		.amdhsa_user_sgpr_dispatch_ptr 0
		.amdhsa_user_sgpr_queue_ptr 0
		.amdhsa_user_sgpr_kernarg_segment_ptr 1
		.amdhsa_user_sgpr_dispatch_id 0
		.amdhsa_user_sgpr_kernarg_preload_length 0
		.amdhsa_user_sgpr_kernarg_preload_offset 0
		.amdhsa_user_sgpr_private_segment_size 0
		.amdhsa_uses_dynamic_stack 0
		.amdhsa_enable_private_segment 0
		.amdhsa_system_sgpr_workgroup_id_x 1
		.amdhsa_system_sgpr_workgroup_id_y 0
		.amdhsa_system_sgpr_workgroup_id_z 0
		.amdhsa_system_sgpr_workgroup_info 0
		.amdhsa_system_vgpr_workitem_id 0
		.amdhsa_next_free_vgpr 1
		.amdhsa_next_free_sgpr 0
		.amdhsa_accum_offset 4
		.amdhsa_reserve_vcc 0
		.amdhsa_float_round_mode_32 0
		.amdhsa_float_round_mode_16_64 0
		.amdhsa_float_denorm_mode_32 3
		.amdhsa_float_denorm_mode_16_64 3
		.amdhsa_dx10_clamp 1
		.amdhsa_ieee_mode 1
		.amdhsa_fp16_overflow 0
		.amdhsa_tg_split 0
		.amdhsa_exception_fp_ieee_invalid_op 0
		.amdhsa_exception_fp_denorm_src 0
		.amdhsa_exception_fp_ieee_div_zero 0
		.amdhsa_exception_fp_ieee_overflow 0
		.amdhsa_exception_fp_ieee_underflow 0
		.amdhsa_exception_fp_ieee_inexact 0
		.amdhsa_exception_int_div_zero 0
	.end_amdhsa_kernel
	.section	.text._ZN7rocprim17ROCPRIM_400000_NS6detail17trampoline_kernelINS0_14default_configENS1_27scan_by_key_config_selectorIsiEEZZNS1_16scan_by_key_implILNS1_25lookback_scan_determinismE0ELb1ES3_N6thrust23THRUST_200600_302600_NS6detail15normal_iteratorINS9_10device_ptrIsEEEESE_SE_iNS9_4plusIvEENS9_8equal_toIvEEiEE10hipError_tPvRmT2_T3_T4_T5_mT6_T7_P12ihipStream_tbENKUlT_T0_E_clISt17integral_constantIbLb0EESZ_EEDaSU_SV_EUlSU_E_NS1_11comp_targetILNS1_3genE10ELNS1_11target_archE1201ELNS1_3gpuE5ELNS1_3repE0EEENS1_30default_config_static_selectorELNS0_4arch9wavefront6targetE1EEEvT1_,"axG",@progbits,_ZN7rocprim17ROCPRIM_400000_NS6detail17trampoline_kernelINS0_14default_configENS1_27scan_by_key_config_selectorIsiEEZZNS1_16scan_by_key_implILNS1_25lookback_scan_determinismE0ELb1ES3_N6thrust23THRUST_200600_302600_NS6detail15normal_iteratorINS9_10device_ptrIsEEEESE_SE_iNS9_4plusIvEENS9_8equal_toIvEEiEE10hipError_tPvRmT2_T3_T4_T5_mT6_T7_P12ihipStream_tbENKUlT_T0_E_clISt17integral_constantIbLb0EESZ_EEDaSU_SV_EUlSU_E_NS1_11comp_targetILNS1_3genE10ELNS1_11target_archE1201ELNS1_3gpuE5ELNS1_3repE0EEENS1_30default_config_static_selectorELNS0_4arch9wavefront6targetE1EEEvT1_,comdat
.Lfunc_end1043:
	.size	_ZN7rocprim17ROCPRIM_400000_NS6detail17trampoline_kernelINS0_14default_configENS1_27scan_by_key_config_selectorIsiEEZZNS1_16scan_by_key_implILNS1_25lookback_scan_determinismE0ELb1ES3_N6thrust23THRUST_200600_302600_NS6detail15normal_iteratorINS9_10device_ptrIsEEEESE_SE_iNS9_4plusIvEENS9_8equal_toIvEEiEE10hipError_tPvRmT2_T3_T4_T5_mT6_T7_P12ihipStream_tbENKUlT_T0_E_clISt17integral_constantIbLb0EESZ_EEDaSU_SV_EUlSU_E_NS1_11comp_targetILNS1_3genE10ELNS1_11target_archE1201ELNS1_3gpuE5ELNS1_3repE0EEENS1_30default_config_static_selectorELNS0_4arch9wavefront6targetE1EEEvT1_, .Lfunc_end1043-_ZN7rocprim17ROCPRIM_400000_NS6detail17trampoline_kernelINS0_14default_configENS1_27scan_by_key_config_selectorIsiEEZZNS1_16scan_by_key_implILNS1_25lookback_scan_determinismE0ELb1ES3_N6thrust23THRUST_200600_302600_NS6detail15normal_iteratorINS9_10device_ptrIsEEEESE_SE_iNS9_4plusIvEENS9_8equal_toIvEEiEE10hipError_tPvRmT2_T3_T4_T5_mT6_T7_P12ihipStream_tbENKUlT_T0_E_clISt17integral_constantIbLb0EESZ_EEDaSU_SV_EUlSU_E_NS1_11comp_targetILNS1_3genE10ELNS1_11target_archE1201ELNS1_3gpuE5ELNS1_3repE0EEENS1_30default_config_static_selectorELNS0_4arch9wavefront6targetE1EEEvT1_
                                        ; -- End function
	.section	.AMDGPU.csdata,"",@progbits
; Kernel info:
; codeLenInByte = 0
; NumSgprs: 6
; NumVgprs: 0
; NumAgprs: 0
; TotalNumVgprs: 0
; ScratchSize: 0
; MemoryBound: 0
; FloatMode: 240
; IeeeMode: 1
; LDSByteSize: 0 bytes/workgroup (compile time only)
; SGPRBlocks: 0
; VGPRBlocks: 0
; NumSGPRsForWavesPerEU: 6
; NumVGPRsForWavesPerEU: 1
; AccumOffset: 4
; Occupancy: 8
; WaveLimiterHint : 0
; COMPUTE_PGM_RSRC2:SCRATCH_EN: 0
; COMPUTE_PGM_RSRC2:USER_SGPR: 2
; COMPUTE_PGM_RSRC2:TRAP_HANDLER: 0
; COMPUTE_PGM_RSRC2:TGID_X_EN: 1
; COMPUTE_PGM_RSRC2:TGID_Y_EN: 0
; COMPUTE_PGM_RSRC2:TGID_Z_EN: 0
; COMPUTE_PGM_RSRC2:TIDIG_COMP_CNT: 0
; COMPUTE_PGM_RSRC3_GFX90A:ACCUM_OFFSET: 0
; COMPUTE_PGM_RSRC3_GFX90A:TG_SPLIT: 0
	.section	.text._ZN7rocprim17ROCPRIM_400000_NS6detail17trampoline_kernelINS0_14default_configENS1_27scan_by_key_config_selectorIsiEEZZNS1_16scan_by_key_implILNS1_25lookback_scan_determinismE0ELb1ES3_N6thrust23THRUST_200600_302600_NS6detail15normal_iteratorINS9_10device_ptrIsEEEESE_SE_iNS9_4plusIvEENS9_8equal_toIvEEiEE10hipError_tPvRmT2_T3_T4_T5_mT6_T7_P12ihipStream_tbENKUlT_T0_E_clISt17integral_constantIbLb0EESZ_EEDaSU_SV_EUlSU_E_NS1_11comp_targetILNS1_3genE5ELNS1_11target_archE942ELNS1_3gpuE9ELNS1_3repE0EEENS1_30default_config_static_selectorELNS0_4arch9wavefront6targetE1EEEvT1_,"axG",@progbits,_ZN7rocprim17ROCPRIM_400000_NS6detail17trampoline_kernelINS0_14default_configENS1_27scan_by_key_config_selectorIsiEEZZNS1_16scan_by_key_implILNS1_25lookback_scan_determinismE0ELb1ES3_N6thrust23THRUST_200600_302600_NS6detail15normal_iteratorINS9_10device_ptrIsEEEESE_SE_iNS9_4plusIvEENS9_8equal_toIvEEiEE10hipError_tPvRmT2_T3_T4_T5_mT6_T7_P12ihipStream_tbENKUlT_T0_E_clISt17integral_constantIbLb0EESZ_EEDaSU_SV_EUlSU_E_NS1_11comp_targetILNS1_3genE5ELNS1_11target_archE942ELNS1_3gpuE9ELNS1_3repE0EEENS1_30default_config_static_selectorELNS0_4arch9wavefront6targetE1EEEvT1_,comdat
	.protected	_ZN7rocprim17ROCPRIM_400000_NS6detail17trampoline_kernelINS0_14default_configENS1_27scan_by_key_config_selectorIsiEEZZNS1_16scan_by_key_implILNS1_25lookback_scan_determinismE0ELb1ES3_N6thrust23THRUST_200600_302600_NS6detail15normal_iteratorINS9_10device_ptrIsEEEESE_SE_iNS9_4plusIvEENS9_8equal_toIvEEiEE10hipError_tPvRmT2_T3_T4_T5_mT6_T7_P12ihipStream_tbENKUlT_T0_E_clISt17integral_constantIbLb0EESZ_EEDaSU_SV_EUlSU_E_NS1_11comp_targetILNS1_3genE5ELNS1_11target_archE942ELNS1_3gpuE9ELNS1_3repE0EEENS1_30default_config_static_selectorELNS0_4arch9wavefront6targetE1EEEvT1_ ; -- Begin function _ZN7rocprim17ROCPRIM_400000_NS6detail17trampoline_kernelINS0_14default_configENS1_27scan_by_key_config_selectorIsiEEZZNS1_16scan_by_key_implILNS1_25lookback_scan_determinismE0ELb1ES3_N6thrust23THRUST_200600_302600_NS6detail15normal_iteratorINS9_10device_ptrIsEEEESE_SE_iNS9_4plusIvEENS9_8equal_toIvEEiEE10hipError_tPvRmT2_T3_T4_T5_mT6_T7_P12ihipStream_tbENKUlT_T0_E_clISt17integral_constantIbLb0EESZ_EEDaSU_SV_EUlSU_E_NS1_11comp_targetILNS1_3genE5ELNS1_11target_archE942ELNS1_3gpuE9ELNS1_3repE0EEENS1_30default_config_static_selectorELNS0_4arch9wavefront6targetE1EEEvT1_
	.globl	_ZN7rocprim17ROCPRIM_400000_NS6detail17trampoline_kernelINS0_14default_configENS1_27scan_by_key_config_selectorIsiEEZZNS1_16scan_by_key_implILNS1_25lookback_scan_determinismE0ELb1ES3_N6thrust23THRUST_200600_302600_NS6detail15normal_iteratorINS9_10device_ptrIsEEEESE_SE_iNS9_4plusIvEENS9_8equal_toIvEEiEE10hipError_tPvRmT2_T3_T4_T5_mT6_T7_P12ihipStream_tbENKUlT_T0_E_clISt17integral_constantIbLb0EESZ_EEDaSU_SV_EUlSU_E_NS1_11comp_targetILNS1_3genE5ELNS1_11target_archE942ELNS1_3gpuE9ELNS1_3repE0EEENS1_30default_config_static_selectorELNS0_4arch9wavefront6targetE1EEEvT1_
	.p2align	8
	.type	_ZN7rocprim17ROCPRIM_400000_NS6detail17trampoline_kernelINS0_14default_configENS1_27scan_by_key_config_selectorIsiEEZZNS1_16scan_by_key_implILNS1_25lookback_scan_determinismE0ELb1ES3_N6thrust23THRUST_200600_302600_NS6detail15normal_iteratorINS9_10device_ptrIsEEEESE_SE_iNS9_4plusIvEENS9_8equal_toIvEEiEE10hipError_tPvRmT2_T3_T4_T5_mT6_T7_P12ihipStream_tbENKUlT_T0_E_clISt17integral_constantIbLb0EESZ_EEDaSU_SV_EUlSU_E_NS1_11comp_targetILNS1_3genE5ELNS1_11target_archE942ELNS1_3gpuE9ELNS1_3repE0EEENS1_30default_config_static_selectorELNS0_4arch9wavefront6targetE1EEEvT1_,@function
_ZN7rocprim17ROCPRIM_400000_NS6detail17trampoline_kernelINS0_14default_configENS1_27scan_by_key_config_selectorIsiEEZZNS1_16scan_by_key_implILNS1_25lookback_scan_determinismE0ELb1ES3_N6thrust23THRUST_200600_302600_NS6detail15normal_iteratorINS9_10device_ptrIsEEEESE_SE_iNS9_4plusIvEENS9_8equal_toIvEEiEE10hipError_tPvRmT2_T3_T4_T5_mT6_T7_P12ihipStream_tbENKUlT_T0_E_clISt17integral_constantIbLb0EESZ_EEDaSU_SV_EUlSU_E_NS1_11comp_targetILNS1_3genE5ELNS1_11target_archE942ELNS1_3gpuE9ELNS1_3repE0EEENS1_30default_config_static_selectorELNS0_4arch9wavefront6targetE1EEEvT1_: ; @_ZN7rocprim17ROCPRIM_400000_NS6detail17trampoline_kernelINS0_14default_configENS1_27scan_by_key_config_selectorIsiEEZZNS1_16scan_by_key_implILNS1_25lookback_scan_determinismE0ELb1ES3_N6thrust23THRUST_200600_302600_NS6detail15normal_iteratorINS9_10device_ptrIsEEEESE_SE_iNS9_4plusIvEENS9_8equal_toIvEEiEE10hipError_tPvRmT2_T3_T4_T5_mT6_T7_P12ihipStream_tbENKUlT_T0_E_clISt17integral_constantIbLb0EESZ_EEDaSU_SV_EUlSU_E_NS1_11comp_targetILNS1_3genE5ELNS1_11target_archE942ELNS1_3gpuE9ELNS1_3repE0EEENS1_30default_config_static_selectorELNS0_4arch9wavefront6targetE1EEEvT1_
; %bb.0:
	s_load_dwordx8 s[44:51], s[0:1], 0x0
	s_load_dword s72, s[0:1], 0x20
	s_load_dwordx4 s[52:55], s[0:1], 0x28
	s_load_dwordx2 s[62:63], s[0:1], 0x38
	s_load_dword s3, s[0:1], 0x40
	s_load_dwordx4 s[56:59], s[0:1], 0x48
	s_waitcnt lgkmcnt(0)
	s_lshl_b64 s[60:61], s[46:47], 1
	s_add_u32 s4, s44, s60
	s_addc_u32 s5, s45, s61
	s_add_u32 s6, s48, s60
	s_mul_i32 s0, s63, s3
	s_mul_hi_u32 s1, s62, s3
	s_addc_u32 s7, s49, s61
	s_add_i32 s8, s1, s0
	s_mul_i32 s0, s2, 0x1500
	s_mov_b32 s1, 0
	s_lshl_b64 s[48:49], s[0:1], 1
	s_add_u32 s66, s4, s48
	s_addc_u32 s67, s5, s49
	s_add_u32 s64, s6, s48
	s_mul_i32 s3, s62, s3
	s_addc_u32 s65, s7, s49
	s_add_u32 s0, s3, s2
	s_addc_u32 s1, s8, 0
	s_add_u32 s4, s56, -1
	s_addc_u32 s5, s57, -1
	v_mov_b64_e32 v[2:3], s[4:5]
	v_cmp_ge_u64_e64 s[0:1], s[0:1], v[2:3]
	s_mov_b64 s[12:13], -1
	s_and_b64 vcc, exec, s[0:1]
	s_mul_i32 s33, s4, 0xffffeb00
	s_barrier
	s_cbranch_vccz .LBB1044_65
; %bb.1:
	v_mov_b64_e32 v[2:3], s[66:67]
	flat_load_ushort v1, v[2:3]
	s_add_i32 s3, s33, s54
	v_cmp_gt_u32_e32 vcc, s3, v0
	s_waitcnt vmcnt(0) lgkmcnt(0)
	v_mov_b32_e32 v29, v1
	s_and_saveexec_b64 s[4:5], vcc
	s_cbranch_execz .LBB1044_3
; %bb.2:
	v_lshlrev_b32_e32 v2, 1, v0
	v_mov_b32_e32 v3, 0
	v_lshl_add_u64 v[2:3], s[66:67], 0, v[2:3]
	flat_load_ushort v29, v[2:3]
.LBB1044_3:
	s_or_b64 exec, exec, s[4:5]
	v_or_b32_e32 v2, 0x100, v0
	v_cmp_gt_u32_e64 s[44:45], s3, v2
	v_mov_b32_e32 v30, v1
	s_and_saveexec_b64 s[4:5], s[44:45]
	s_cbranch_execz .LBB1044_5
; %bb.4:
	v_lshlrev_b32_e32 v2, 1, v0
	v_mov_b32_e32 v3, 0
	v_lshl_add_u64 v[2:3], s[66:67], 0, v[2:3]
	flat_load_ushort v30, v[2:3] offset:512
.LBB1044_5:
	s_or_b64 exec, exec, s[4:5]
	v_or_b32_e32 v2, 0x200, v0
	v_cmp_gt_u32_e64 s[4:5], s3, v2
	v_mov_b32_e32 v31, v1
	s_and_saveexec_b64 s[6:7], s[4:5]
	s_cbranch_execz .LBB1044_7
; %bb.6:
	v_lshlrev_b32_e32 v2, 1, v0
	v_mov_b32_e32 v3, 0
	v_lshl_add_u64 v[2:3], s[66:67], 0, v[2:3]
	flat_load_ushort v31, v[2:3] offset:1024
.LBB1044_7:
	;; [unrolled: 12-line block ×7, first 2 shown]
	s_or_b64 exec, exec, s[16:17]
	v_or_b32_e32 v2, 0x800, v0
	v_cmp_gt_u32_e64 s[16:17], s3, v2
	v_lshlrev_b32_e32 v2, 1, v2
	v_mov_b32_e32 v3, v1
	s_and_saveexec_b64 s[18:19], s[16:17]
	s_cbranch_execz .LBB1044_19
; %bb.18:
	v_mov_b32_e32 v3, 0
	v_lshl_add_u64 v[4:5], s[66:67], 0, v[2:3]
	flat_load_ushort v3, v[4:5]
.LBB1044_19:
	s_or_b64 exec, exec, s[18:19]
	v_or_b32_e32 v4, 0x900, v0
	v_cmp_gt_u32_e64 s[18:19], s3, v4
	v_lshlrev_b32_e32 v4, 1, v4
	v_mov_b32_e32 v5, v1
	s_and_saveexec_b64 s[20:21], s[18:19]
	s_cbranch_execz .LBB1044_21
; %bb.20:
	v_mov_b32_e32 v5, 0
	v_lshl_add_u64 v[6:7], s[66:67], 0, v[4:5]
	flat_load_ushort v5, v[6:7]
.LBB1044_21:
	;; [unrolled: 12-line block ×12, first 2 shown]
	s_or_b64 exec, exec, s[42:43]
	v_or_b32_e32 v26, 0x1400, v0
	v_cmp_gt_u32_e64 s[42:43], s3, v26
	v_mov_b32_e32 v27, 0
	v_lshlrev_b32_e32 v26, 1, v26
	s_and_saveexec_b64 s[46:47], s[42:43]
	s_cbranch_execz .LBB1044_43
; %bb.42:
	v_lshl_add_u64 v[38:39], s[66:67], 0, v[26:27]
	flat_load_ushort v1, v[38:39]
.LBB1044_43:
	s_or_b64 exec, exec, s[46:47]
	v_lshlrev_b32_e32 v28, 1, v0
	s_waitcnt vmcnt(0) lgkmcnt(0)
	ds_write_b16 v28, v29
	ds_write_b16 v28, v30 offset:512
	ds_write_b16 v28, v31 offset:1024
	;; [unrolled: 1-line block ×20, first 2 shown]
	v_mov_b64_e32 v[30:31], s[66:67]
	s_waitcnt lgkmcnt(0)
	s_barrier
	flat_load_ushort v1, v[30:31]
	v_mad_u32_u24 v3, v0, 40, v28
	s_movk_i32 s46, 0xffd8
	ds_read_u16 v52, v3
	ds_read_b128 v[38:41], v3 offset:2
	ds_read_b128 v[34:37], v3 offset:18
	ds_read_b64 v[50:51], v3 offset:34
	v_mad_i32_i24 v30, v0, s46, v3
	s_movk_i32 s46, 0xff
	v_cmp_ne_u32_e64 s[46:47], s46, v0
	s_waitcnt lgkmcnt(0)
	ds_write_b16 v30, v52 offset:11264
	s_waitcnt lgkmcnt(0)
	s_barrier
	s_and_saveexec_b64 s[56:57], s[46:47]
	s_cbranch_execz .LBB1044_45
; %bb.44:
	s_waitcnt vmcnt(0)
	ds_read_u16 v1, v28 offset:11266
.LBB1044_45:
	s_or_b64 exec, exec, s[56:57]
	v_mov_b32_e32 v29, 0
	s_waitcnt lgkmcnt(0)
	s_barrier
	s_waitcnt lgkmcnt(0)
                                        ; implicit-def: $vgpr31
	s_and_saveexec_b64 s[46:47], vcc
	s_cbranch_execz .LBB1044_66
; %bb.46:
	v_lshl_add_u64 v[32:33], s[64:65], 0, v[28:29]
	flat_load_sshort v31, v[32:33]
	s_or_b64 exec, exec, s[46:47]
                                        ; implicit-def: $vgpr32
	s_and_saveexec_b64 s[46:47], s[44:45]
	s_cbranch_execnz .LBB1044_67
.LBB1044_47:
	s_or_b64 exec, exec, s[46:47]
                                        ; implicit-def: $vgpr33
	s_and_saveexec_b64 s[44:45], s[4:5]
	s_cbranch_execz .LBB1044_68
.LBB1044_48:
	v_mov_b32_e32 v29, 0
	v_lshl_add_u64 v[42:43], s[64:65], 0, v[28:29]
	flat_load_sshort v33, v[42:43] offset:1024
	s_or_b64 exec, exec, s[44:45]
                                        ; implicit-def: $vgpr42
	s_and_saveexec_b64 s[4:5], s[6:7]
	s_cbranch_execnz .LBB1044_69
.LBB1044_49:
	s_or_b64 exec, exec, s[4:5]
                                        ; implicit-def: $vgpr43
	s_and_saveexec_b64 s[4:5], s[8:9]
	s_cbranch_execz .LBB1044_70
.LBB1044_50:
	v_mov_b32_e32 v29, 0
	v_lshl_add_u64 v[44:45], s[64:65], 0, v[28:29]
	flat_load_sshort v43, v[44:45] offset:2048
	s_or_b64 exec, exec, s[4:5]
                                        ; implicit-def: $vgpr44
	s_and_saveexec_b64 s[4:5], s[10:11]
	s_cbranch_execnz .LBB1044_71
.LBB1044_51:
	s_or_b64 exec, exec, s[4:5]
                                        ; implicit-def: $vgpr45
	s_and_saveexec_b64 s[4:5], s[12:13]
	s_cbranch_execz .LBB1044_72
.LBB1044_52:
	v_mov_b32_e32 v29, 0
	v_lshl_add_u64 v[46:47], s[64:65], 0, v[28:29]
	flat_load_sshort v45, v[46:47] offset:3072
	s_or_b64 exec, exec, s[4:5]
                                        ; implicit-def: $vgpr29
	s_and_saveexec_b64 s[4:5], s[14:15]
	s_cbranch_execnz .LBB1044_73
.LBB1044_53:
	s_or_b64 exec, exec, s[4:5]
                                        ; implicit-def: $vgpr3
	s_and_saveexec_b64 s[4:5], s[16:17]
	s_cbranch_execz .LBB1044_74
.LBB1044_54:
	v_mov_b32_e32 v3, 0
	v_lshl_add_u64 v[2:3], s[64:65], 0, v[2:3]
	flat_load_sshort v3, v[2:3]
	s_or_b64 exec, exec, s[4:5]
                                        ; implicit-def: $vgpr2
	s_and_saveexec_b64 s[4:5], s[18:19]
	s_cbranch_execnz .LBB1044_75
.LBB1044_55:
	s_or_b64 exec, exec, s[4:5]
                                        ; implicit-def: $vgpr4
	s_and_saveexec_b64 s[4:5], s[20:21]
	s_cbranch_execz .LBB1044_76
.LBB1044_56:
	v_mov_b32_e32 v7, 0
	v_lshl_add_u64 v[4:5], s[64:65], 0, v[6:7]
	flat_load_sshort v4, v[4:5]
	s_or_b64 exec, exec, s[4:5]
                                        ; implicit-def: $vgpr5
	s_and_saveexec_b64 s[4:5], s[22:23]
	s_cbranch_execnz .LBB1044_77
.LBB1044_57:
	s_or_b64 exec, exec, s[4:5]
                                        ; implicit-def: $vgpr6
	s_and_saveexec_b64 s[4:5], s[24:25]
	s_cbranch_execz .LBB1044_78
.LBB1044_58:
	v_mov_b32_e32 v11, 0
	v_lshl_add_u64 v[6:7], s[64:65], 0, v[10:11]
	flat_load_sshort v6, v[6:7]
	s_or_b64 exec, exec, s[4:5]
                                        ; implicit-def: $vgpr7
	s_and_saveexec_b64 s[4:5], s[26:27]
	s_cbranch_execnz .LBB1044_79
.LBB1044_59:
	s_or_b64 exec, exec, s[4:5]
                                        ; implicit-def: $vgpr8
	s_and_saveexec_b64 s[4:5], s[28:29]
	s_cbranch_execz .LBB1044_80
.LBB1044_60:
	v_mov_b32_e32 v15, 0
	v_lshl_add_u64 v[8:9], s[64:65], 0, v[14:15]
	flat_load_sshort v8, v[8:9]
	s_or_b64 exec, exec, s[4:5]
                                        ; implicit-def: $vgpr9
	s_and_saveexec_b64 s[4:5], s[30:31]
	s_cbranch_execnz .LBB1044_81
.LBB1044_61:
	s_or_b64 exec, exec, s[4:5]
                                        ; implicit-def: $vgpr10
	s_and_saveexec_b64 s[4:5], s[34:35]
	s_cbranch_execz .LBB1044_82
.LBB1044_62:
	v_mov_b32_e32 v19, 0
	v_lshl_add_u64 v[10:11], s[64:65], 0, v[18:19]
	flat_load_sshort v10, v[10:11]
	s_or_b64 exec, exec, s[4:5]
                                        ; implicit-def: $vgpr11
	s_and_saveexec_b64 s[4:5], s[36:37]
	s_cbranch_execnz .LBB1044_83
.LBB1044_63:
	s_or_b64 exec, exec, s[4:5]
                                        ; implicit-def: $vgpr12
	s_and_saveexec_b64 s[4:5], s[38:39]
	s_cbranch_execz .LBB1044_84
.LBB1044_64:
	v_mov_b32_e32 v23, 0
	v_lshl_add_u64 v[12:13], s[64:65], 0, v[22:23]
	flat_load_sshort v12, v[12:13]
	s_or_b64 exec, exec, s[4:5]
                                        ; implicit-def: $vgpr13
	s_and_saveexec_b64 s[4:5], s[40:41]
	s_cbranch_execz .LBB1044_86
	s_branch .LBB1044_85
.LBB1044_65:
	s_mov_b64 s[18:19], 0
                                        ; implicit-def: $sgpr16_sgpr17
                                        ; implicit-def: $vgpr2_vgpr3_vgpr4_vgpr5_vgpr6_vgpr7_vgpr8_vgpr9
                                        ; implicit-def: $vgpr10_vgpr11_vgpr12_vgpr13_vgpr14_vgpr15_vgpr16_vgpr17
                                        ; implicit-def: $vgpr18_vgpr19_vgpr20_vgpr21_vgpr22_vgpr23_vgpr24_vgpr25
                                        ; implicit-def: $vgpr26_vgpr27_vgpr28_vgpr29_vgpr30_vgpr31_vgpr32_vgpr33
                                        ; implicit-def: $vgpr54
                                        ; implicit-def: $vgpr42_vgpr43
                                        ; implicit-def: $vgpr44_vgpr45
                                        ; implicit-def: $vgpr46_vgpr47
                                        ; implicit-def: $vgpr48_vgpr49
                                        ; implicit-def: $sgpr4_sgpr5
	s_and_b64 vcc, exec, s[12:13]
	v_lshlrev_b32_e32 v50, 1, v0
	s_cbranch_vccz .LBB1044_136
	s_branch .LBB1044_131
.LBB1044_66:
	s_or_b64 exec, exec, s[46:47]
                                        ; implicit-def: $vgpr32
	s_and_saveexec_b64 s[46:47], s[44:45]
	s_cbranch_execz .LBB1044_47
.LBB1044_67:
	v_mov_b32_e32 v29, 0
	v_lshl_add_u64 v[32:33], s[64:65], 0, v[28:29]
	flat_load_sshort v32, v[32:33] offset:512
	s_or_b64 exec, exec, s[46:47]
                                        ; implicit-def: $vgpr33
	s_and_saveexec_b64 s[44:45], s[4:5]
	s_cbranch_execnz .LBB1044_48
.LBB1044_68:
	s_or_b64 exec, exec, s[44:45]
                                        ; implicit-def: $vgpr42
	s_and_saveexec_b64 s[4:5], s[6:7]
	s_cbranch_execz .LBB1044_49
.LBB1044_69:
	v_mov_b32_e32 v29, 0
	v_lshl_add_u64 v[42:43], s[64:65], 0, v[28:29]
	flat_load_sshort v42, v[42:43] offset:1536
	s_or_b64 exec, exec, s[4:5]
                                        ; implicit-def: $vgpr43
	s_and_saveexec_b64 s[4:5], s[8:9]
	s_cbranch_execnz .LBB1044_50
.LBB1044_70:
	s_or_b64 exec, exec, s[4:5]
                                        ; implicit-def: $vgpr44
	s_and_saveexec_b64 s[4:5], s[10:11]
	s_cbranch_execz .LBB1044_51
.LBB1044_71:
	v_mov_b32_e32 v29, 0
	v_lshl_add_u64 v[44:45], s[64:65], 0, v[28:29]
	flat_load_sshort v44, v[44:45] offset:2560
	s_or_b64 exec, exec, s[4:5]
                                        ; implicit-def: $vgpr45
	s_and_saveexec_b64 s[4:5], s[12:13]
	s_cbranch_execnz .LBB1044_52
.LBB1044_72:
	s_or_b64 exec, exec, s[4:5]
                                        ; implicit-def: $vgpr29
	s_and_saveexec_b64 s[4:5], s[14:15]
	s_cbranch_execz .LBB1044_53
.LBB1044_73:
	v_mov_b32_e32 v29, 0
	v_lshl_add_u64 v[28:29], s[64:65], 0, v[28:29]
	flat_load_sshort v29, v[28:29] offset:3584
	s_or_b64 exec, exec, s[4:5]
                                        ; implicit-def: $vgpr3
	s_and_saveexec_b64 s[4:5], s[16:17]
	s_cbranch_execnz .LBB1044_54
.LBB1044_74:
	s_or_b64 exec, exec, s[4:5]
                                        ; implicit-def: $vgpr2
	s_and_saveexec_b64 s[4:5], s[18:19]
	s_cbranch_execz .LBB1044_55
.LBB1044_75:
	v_mov_b32_e32 v5, 0
	v_lshl_add_u64 v[4:5], s[64:65], 0, v[4:5]
	flat_load_sshort v2, v[4:5]
	s_or_b64 exec, exec, s[4:5]
                                        ; implicit-def: $vgpr4
	s_and_saveexec_b64 s[4:5], s[20:21]
	s_cbranch_execnz .LBB1044_56
.LBB1044_76:
	s_or_b64 exec, exec, s[4:5]
                                        ; implicit-def: $vgpr5
	s_and_saveexec_b64 s[4:5], s[22:23]
	s_cbranch_execz .LBB1044_57
.LBB1044_77:
	v_mov_b32_e32 v9, 0
	v_lshl_add_u64 v[6:7], s[64:65], 0, v[8:9]
	flat_load_sshort v5, v[6:7]
	s_or_b64 exec, exec, s[4:5]
                                        ; implicit-def: $vgpr6
	s_and_saveexec_b64 s[4:5], s[24:25]
	s_cbranch_execnz .LBB1044_58
.LBB1044_78:
	s_or_b64 exec, exec, s[4:5]
                                        ; implicit-def: $vgpr7
	s_and_saveexec_b64 s[4:5], s[26:27]
	s_cbranch_execz .LBB1044_59
.LBB1044_79:
	v_mov_b32_e32 v13, 0
	v_lshl_add_u64 v[8:9], s[64:65], 0, v[12:13]
	flat_load_sshort v7, v[8:9]
	s_or_b64 exec, exec, s[4:5]
                                        ; implicit-def: $vgpr8
	s_and_saveexec_b64 s[4:5], s[28:29]
	s_cbranch_execnz .LBB1044_60
.LBB1044_80:
	s_or_b64 exec, exec, s[4:5]
                                        ; implicit-def: $vgpr9
	s_and_saveexec_b64 s[4:5], s[30:31]
	s_cbranch_execz .LBB1044_61
.LBB1044_81:
	v_mov_b32_e32 v17, 0
	v_lshl_add_u64 v[10:11], s[64:65], 0, v[16:17]
	flat_load_sshort v9, v[10:11]
	s_or_b64 exec, exec, s[4:5]
                                        ; implicit-def: $vgpr10
	s_and_saveexec_b64 s[4:5], s[34:35]
	s_cbranch_execnz .LBB1044_62
.LBB1044_82:
	s_or_b64 exec, exec, s[4:5]
                                        ; implicit-def: $vgpr11
	s_and_saveexec_b64 s[4:5], s[36:37]
	s_cbranch_execz .LBB1044_63
.LBB1044_83:
	v_mov_b32_e32 v21, 0
	v_lshl_add_u64 v[12:13], s[64:65], 0, v[20:21]
	flat_load_sshort v11, v[12:13]
	s_or_b64 exec, exec, s[4:5]
                                        ; implicit-def: $vgpr12
	s_and_saveexec_b64 s[4:5], s[38:39]
	s_cbranch_execnz .LBB1044_64
.LBB1044_84:
	s_or_b64 exec, exec, s[4:5]
                                        ; implicit-def: $vgpr13
	s_and_saveexec_b64 s[4:5], s[40:41]
	s_cbranch_execz .LBB1044_86
.LBB1044_85:
	v_mov_b32_e32 v25, 0
	v_lshl_add_u64 v[14:15], s[64:65], 0, v[24:25]
	flat_load_sshort v13, v[14:15]
.LBB1044_86:
	s_or_b64 exec, exec, s[4:5]
	v_mul_u32_u24_e32 v55, 21, v0
                                        ; implicit-def: $vgpr14
	s_and_saveexec_b64 s[4:5], s[42:43]
	s_cbranch_execz .LBB1044_88
; %bb.87:
	v_mov_b32_e32 v27, 0
	v_lshl_add_u64 v[14:15], s[64:65], 0, v[26:27]
	flat_load_sshort v14, v[14:15]
.LBB1044_88:
	s_or_b64 exec, exec, s[4:5]
	s_mov_b32 s4, 0
	v_lshl_add_u32 v53, v0, 1, v30
	s_mov_b32 s5, s4
	s_waitcnt vmcnt(0) lgkmcnt(0)
	ds_write2st64_b32 v53, v31, v32 offset1:4
	ds_write2st64_b32 v53, v33, v42 offset0:8 offset1:12
	ds_write2st64_b32 v53, v43, v44 offset0:16 offset1:20
	;; [unrolled: 1-line block ×9, first 2 shown]
	ds_write_b32 v53, v14 offset:20480
	s_mov_b32 s6, s4
	s_mov_b32 s7, s4
	;; [unrolled: 1-line block ×6, first 2 shown]
	v_mov_b64_e32 v[2:3], s[4:5]
	v_mov_b64_e32 v[8:9], s[10:11]
	;; [unrolled: 1-line block ×8, first 2 shown]
	v_cmp_gt_u32_e32 vcc, s3, v55
	s_mov_b64 s[18:19], 0
	s_mov_b64 s[12:13], 0
	v_mov_b64_e32 v[14:15], v[6:7]
	v_mov_b64_e32 v[12:13], v[4:5]
	v_mov_b64_e32 v[10:11], v[2:3]
	v_mov_b64_e32 v[22:23], v[6:7]
	v_mov_b64_e32 v[20:21], v[4:5]
	v_mov_b64_e32 v[18:19], v[2:3]
	v_mov_b64_e32 v[30:31], v[6:7]
	v_mov_b64_e32 v[28:29], v[4:5]
	v_mov_b64_e32 v[26:27], v[2:3]
	v_mov_b64_e32 v[44:45], v[42:43]
	v_mov_b64_e32 v[46:47], v[42:43]
	v_mov_b64_e32 v[48:49], v[42:43]
	s_waitcnt lgkmcnt(0)
	s_barrier
	s_waitcnt lgkmcnt(0)
                                        ; implicit-def: $sgpr16_sgpr17
                                        ; implicit-def: $vgpr54
	s_and_saveexec_b64 s[14:15], vcc
	s_cbranch_execz .LBB1044_130
; %bb.89:
	s_movk_i32 s16, 0x50
	v_mad_u32_u24 v2, v0, s16, v53
	ds_read_b32 v2, v2
	v_mov_b32_e32 v4, s72
	v_cmp_eq_u16_e32 vcc, v52, v38
	v_add_u32_e32 v3, 1, v55
	v_mov_b64_e32 v[44:45], 0
	s_waitcnt lgkmcnt(0)
	v_cndmask_b32_e32 v42, v4, v2, vcc
	v_cmp_ne_u16_e32 vcc, v52, v38
	s_mov_b64 s[20:21], 0
	v_mov_b64_e32 v[46:47], v[44:45]
	v_cndmask_b32_e64 v43, 0, 1, vcc
	v_cmp_gt_u32_e32 vcc, s3, v3
	v_mov_b64_e32 v[2:3], s[4:5]
	v_mov_b64_e32 v[8:9], s[10:11]
	;; [unrolled: 1-line block ×17, first 2 shown]
                                        ; implicit-def: $sgpr4_sgpr5
                                        ; implicit-def: $vgpr54
	s_and_saveexec_b64 s[16:17], vcc
	s_cbranch_execz .LBB1044_129
; %bb.90:
	v_mul_u32_u24_e32 v2, 0x50, v0
	v_add_u32_e32 v56, v53, v2
	ds_read2_b32 v[52:53], v56 offset0:1 offset1:2
	v_cmp_ne_u16_sdwa s[4:5], v38, v38 src0_sel:DWORD src1_sel:WORD_1
	v_add_u32_e32 v2, 2, v55
	v_mov_b32_e32 v3, s72
	v_cndmask_b32_e64 v9, 0, 1, s[4:5]
	s_mov_b32 s4, 0
	s_mov_b32 s10, s4
	s_mov_b32 s11, s4
	v_cmp_eq_u16_sdwa vcc, v38, v38 src0_sel:DWORD src1_sel:WORD_1
	s_mov_b32 s5, s4
	s_mov_b32 s6, s4
	;; [unrolled: 1-line block ×5, first 2 shown]
	v_mov_b64_e32 v[16:17], s[10:11]
	s_waitcnt lgkmcnt(0)
	v_cndmask_b32_e32 v8, v3, v52, vcc
	v_cmp_gt_u32_e32 vcc, s3, v2
	v_mov_b32_e32 v2, 0
	v_mov_b64_e32 v[14:15], s[8:9]
	v_mov_b64_e32 v[12:13], s[6:7]
	;; [unrolled: 1-line block ×6, first 2 shown]
	v_mov_b32_e32 v3, v2
	v_mov_b32_e32 v4, v2
	;; [unrolled: 1-line block ×5, first 2 shown]
	s_mov_b64 s[22:23], 0
	v_mov_b64_e32 v[22:23], v[14:15]
	v_mov_b64_e32 v[20:21], v[12:13]
	;; [unrolled: 1-line block ×8, first 2 shown]
                                        ; implicit-def: $sgpr24_sgpr25
                                        ; implicit-def: $vgpr54
	s_and_saveexec_b64 s[18:19], vcc
	s_cbranch_execz .LBB1044_128
; %bb.91:
	v_mov_b64_e32 v[16:17], s[10:11]
	v_add_u32_e32 v3, 3, v55
	v_mov_b32_e32 v4, s72
	v_cmp_eq_u16_sdwa vcc, v38, v39 src0_sel:WORD_1 src1_sel:DWORD
	v_cmp_ne_u16_sdwa s[20:21], v38, v39 src0_sel:WORD_1 src1_sel:DWORD
	v_mov_b64_e32 v[14:15], s[8:9]
	v_mov_b64_e32 v[12:13], s[6:7]
	;; [unrolled: 1-line block ×6, first 2 shown]
	v_cndmask_b32_e32 v6, v4, v53, vcc
	v_cndmask_b32_e64 v7, 0, 1, s[20:21]
	v_cmp_gt_u32_e32 vcc, s3, v3
	v_mov_b32_e32 v3, v2
	v_mov_b32_e32 v4, v2
	;; [unrolled: 1-line block ×3, first 2 shown]
	s_mov_b64 s[24:25], 0
	v_mov_b64_e32 v[22:23], v[14:15]
	v_mov_b64_e32 v[20:21], v[12:13]
	v_mov_b64_e32 v[18:19], v[10:11]
	v_mov_b64_e32 v[30:31], v[14:15]
	v_mov_b64_e32 v[28:29], v[12:13]
	v_mov_b64_e32 v[26:27], v[10:11]
	v_mov_b64_e32 v[46:47], v[44:45]
	v_mov_b64_e32 v[48:49], v[44:45]
                                        ; implicit-def: $sgpr4_sgpr5
                                        ; implicit-def: $vgpr54
	s_and_saveexec_b64 s[20:21], vcc
	s_cbranch_execz .LBB1044_127
; %bb.92:
	ds_read2_b32 v[52:53], v56 offset0:3 offset1:4
	v_cmp_ne_u16_sdwa s[4:5], v39, v39 src0_sel:DWORD src1_sel:WORD_1
	v_add_u32_e32 v2, 4, v55
	v_mov_b32_e32 v3, s72
	v_cndmask_b32_e64 v5, 0, 1, s[4:5]
	s_mov_b32 s4, 0
	s_mov_b32 s10, s4
	;; [unrolled: 1-line block ×8, first 2 shown]
	v_mov_b64_e32 v[16:17], s[10:11]
	v_cmp_eq_u16_sdwa vcc, v39, v39 src0_sel:DWORD src1_sel:WORD_1
	v_mov_b64_e32 v[14:15], s[8:9]
	v_mov_b64_e32 v[12:13], s[6:7]
	;; [unrolled: 1-line block ×6, first 2 shown]
	s_waitcnt lgkmcnt(0)
	v_cndmask_b32_e32 v4, v3, v52, vcc
	v_cmp_gt_u32_e32 vcc, s3, v2
	v_mov_b32_e32 v2, s4
	v_mov_b32_e32 v3, s4
	s_mov_b64 s[26:27], 0
	v_mov_b64_e32 v[22:23], v[14:15]
	v_mov_b64_e32 v[20:21], v[12:13]
	;; [unrolled: 1-line block ×8, first 2 shown]
                                        ; implicit-def: $sgpr28_sgpr29
                                        ; implicit-def: $vgpr54
	s_and_saveexec_b64 s[22:23], vcc
	s_cbranch_execz .LBB1044_126
; %bb.93:
	v_add_u32_e32 v10, 5, v55
	v_mov_b32_e32 v2, s72
	v_cmp_eq_u16_sdwa vcc, v39, v40 src0_sel:WORD_1 src1_sel:DWORD
	v_cmp_ne_u16_sdwa s[24:25], v39, v40 src0_sel:WORD_1 src1_sel:DWORD
	v_mov_b64_e32 v[44:45], 0
	v_cndmask_b32_e32 v2, v2, v53, vcc
	v_cmp_gt_u32_e32 vcc, s3, v10
	v_mov_b64_e32 v[16:17], s[10:11]
	v_mov_b64_e32 v[14:15], s[8:9]
	;; [unrolled: 1-line block ×6, first 2 shown]
	v_cndmask_b32_e64 v3, 0, 1, s[24:25]
	s_mov_b64 s[28:29], 0
	v_mov_b64_e32 v[22:23], v[14:15]
	v_mov_b64_e32 v[20:21], v[12:13]
	;; [unrolled: 1-line block ×8, first 2 shown]
                                        ; implicit-def: $sgpr4_sgpr5
                                        ; implicit-def: $vgpr54
	s_and_saveexec_b64 s[24:25], vcc
	s_cbranch_execz .LBB1044_125
; %bb.94:
	ds_read2_b32 v[38:39], v56 offset0:5 offset1:6
	v_cmp_ne_u16_sdwa s[4:5], v40, v40 src0_sel:DWORD src1_sel:WORD_1
	v_add_u32_e32 v10, 6, v55
	v_mov_b32_e32 v11, s72
	v_cndmask_b32_e64 v45, 0, 1, s[4:5]
	s_mov_b32 s4, 0
	v_cmp_eq_u16_sdwa vcc, v40, v40 src0_sel:DWORD src1_sel:WORD_1
	s_mov_b32 s10, s4
	s_mov_b32 s11, s4
	s_waitcnt lgkmcnt(0)
	v_cndmask_b32_e32 v44, v11, v38, vcc
	v_cmp_gt_u32_e32 vcc, s3, v10
	s_mov_b32 s5, s4
	s_mov_b32 s6, s4
	;; [unrolled: 1-line block ×5, first 2 shown]
	v_mov_b64_e32 v[16:17], s[10:11]
	v_mov_b64_e32 v[14:15], s[8:9]
	;; [unrolled: 1-line block ×7, first 2 shown]
	s_mov_b64 s[30:31], 0
	v_mov_b64_e32 v[22:23], v[14:15]
	v_mov_b64_e32 v[20:21], v[12:13]
	;; [unrolled: 1-line block ×7, first 2 shown]
                                        ; implicit-def: $sgpr34_sgpr35
                                        ; implicit-def: $vgpr54
	s_and_saveexec_b64 s[26:27], vcc
	s_cbranch_execz .LBB1044_124
; %bb.95:
	v_add_u32_e32 v10, 7, v55
	v_mov_b32_e32 v11, s72
	v_cmp_eq_u16_sdwa vcc, v40, v41 src0_sel:WORD_1 src1_sel:DWORD
	v_mov_b64_e32 v[24:25], s[10:11]
	v_cmp_ne_u16_sdwa s[28:29], v40, v41 src0_sel:WORD_1 src1_sel:DWORD
	v_cndmask_b32_e32 v16, v11, v39, vcc
	v_cmp_gt_u32_e32 vcc, s3, v10
	v_mov_b32_e32 v10, 0
	v_mov_b64_e32 v[22:23], s[8:9]
	v_mov_b64_e32 v[20:21], s[6:7]
	;; [unrolled: 1-line block ×5, first 2 shown]
	v_cndmask_b32_e64 v17, 0, 1, s[28:29]
	v_mov_b32_e32 v11, v10
	v_mov_b32_e32 v12, v10
	;; [unrolled: 1-line block ×5, first 2 shown]
	s_mov_b64 s[34:35], 0
	v_mov_b64_e32 v[30:31], v[22:23]
	v_mov_b64_e32 v[28:29], v[20:21]
	;; [unrolled: 1-line block ×4, first 2 shown]
                                        ; implicit-def: $sgpr4_sgpr5
                                        ; implicit-def: $vgpr54
	s_and_saveexec_b64 s[28:29], vcc
	s_cbranch_execz .LBB1044_123
; %bb.96:
	ds_read2_b32 v[38:39], v56 offset0:7 offset1:8
	v_cmp_ne_u16_sdwa s[4:5], v41, v41 src0_sel:DWORD src1_sel:WORD_1
	v_add_u32_e32 v11, 8, v55
	v_mov_b32_e32 v12, s72
	v_cndmask_b32_e64 v15, 0, 1, s[4:5]
	s_mov_b32 s4, 0
	s_mov_b32 s10, s4
	;; [unrolled: 1-line block ×8, first 2 shown]
	v_mov_b64_e32 v[24:25], s[10:11]
	v_cmp_eq_u16_sdwa vcc, v41, v41 src0_sel:DWORD src1_sel:WORD_1
	v_mov_b64_e32 v[22:23], s[8:9]
	v_mov_b64_e32 v[20:21], s[6:7]
	;; [unrolled: 1-line block ×5, first 2 shown]
	s_waitcnt lgkmcnt(0)
	v_cndmask_b32_e32 v14, v12, v38, vcc
	v_cmp_gt_u32_e32 vcc, s3, v11
	v_mov_b32_e32 v11, v10
	v_mov_b32_e32 v12, v10
	;; [unrolled: 1-line block ×3, first 2 shown]
	s_mov_b64 s[36:37], 0
	v_mov_b64_e32 v[30:31], v[22:23]
	v_mov_b64_e32 v[28:29], v[20:21]
	;; [unrolled: 1-line block ×4, first 2 shown]
                                        ; implicit-def: $sgpr38_sgpr39
                                        ; implicit-def: $vgpr54
	s_and_saveexec_b64 s[30:31], vcc
	s_cbranch_execz .LBB1044_122
; %bb.97:
	v_mov_b64_e32 v[24:25], s[10:11]
	v_add_u32_e32 v10, 9, v55
	v_mov_b32_e32 v11, s72
	v_cmp_eq_u16_sdwa vcc, v41, v34 src0_sel:WORD_1 src1_sel:DWORD
	v_cmp_ne_u16_sdwa s[34:35], v41, v34 src0_sel:WORD_1 src1_sel:DWORD
	v_mov_b64_e32 v[22:23], s[8:9]
	v_mov_b64_e32 v[20:21], s[6:7]
	;; [unrolled: 1-line block ×5, first 2 shown]
	v_cndmask_b32_e32 v12, v11, v39, vcc
	v_cndmask_b32_e64 v13, 0, 1, s[34:35]
	v_cmp_gt_u32_e32 vcc, s3, v10
	v_mov_b32_e32 v10, s4
	v_mov_b32_e32 v11, s4
	s_mov_b64 s[38:39], 0
	v_mov_b64_e32 v[30:31], v[22:23]
	v_mov_b64_e32 v[28:29], v[20:21]
	;; [unrolled: 1-line block ×4, first 2 shown]
                                        ; implicit-def: $sgpr4_sgpr5
                                        ; implicit-def: $vgpr54
	s_and_saveexec_b64 s[34:35], vcc
	s_cbranch_execz .LBB1044_121
; %bb.98:
	ds_read2_b32 v[38:39], v56 offset0:9 offset1:10
	v_cmp_ne_u16_sdwa s[4:5], v34, v34 src0_sel:DWORD src1_sel:WORD_1
	v_add_u32_e32 v18, 10, v55
	v_mov_b32_e32 v10, s72
	v_cndmask_b32_e64 v11, 0, 1, s[4:5]
	s_mov_b32 s4, 0
	v_cmp_eq_u16_sdwa vcc, v34, v34 src0_sel:DWORD src1_sel:WORD_1
	s_mov_b32 s10, s4
	s_mov_b32 s11, s4
	s_waitcnt lgkmcnt(0)
	v_cndmask_b32_e32 v10, v10, v38, vcc
	v_cmp_gt_u32_e32 vcc, s3, v18
	s_mov_b32 s5, s4
	s_mov_b32 s6, s4
	;; [unrolled: 1-line block ×5, first 2 shown]
	v_mov_b64_e32 v[24:25], s[10:11]
	v_mov_b64_e32 v[22:23], s[8:9]
	;; [unrolled: 1-line block ×6, first 2 shown]
	s_mov_b64 s[40:41], 0
	v_mov_b64_e32 v[30:31], v[22:23]
	v_mov_b64_e32 v[28:29], v[20:21]
	;; [unrolled: 1-line block ×4, first 2 shown]
                                        ; implicit-def: $sgpr42_sgpr43
                                        ; implicit-def: $vgpr54
	s_and_saveexec_b64 s[36:37], vcc
	s_cbranch_execz .LBB1044_120
; %bb.99:
	v_add_u32_e32 v18, 11, v55
	v_mov_b32_e32 v19, s72
	v_cmp_eq_u16_sdwa vcc, v34, v35 src0_sel:WORD_1 src1_sel:DWORD
	v_cmp_ne_u16_sdwa s[38:39], v34, v35 src0_sel:WORD_1 src1_sel:DWORD
	v_mov_b64_e32 v[48:49], 0
	v_cndmask_b32_e32 v46, v19, v39, vcc
	v_cmp_gt_u32_e32 vcc, s3, v18
	v_mov_b64_e32 v[24:25], s[10:11]
	v_mov_b64_e32 v[22:23], s[8:9]
	;; [unrolled: 1-line block ×5, first 2 shown]
	v_cndmask_b32_e64 v47, 0, 1, s[38:39]
	v_mov_b64_e32 v[30:31], v[22:23]
	v_mov_b64_e32 v[28:29], v[20:21]
	v_mov_b64_e32 v[26:27], v[18:19]
                                        ; implicit-def: $sgpr4_sgpr5
                                        ; implicit-def: $vgpr54
	s_and_saveexec_b64 s[38:39], vcc
	s_cbranch_execz .LBB1044_119
; %bb.100:
	ds_read2_b32 v[38:39], v56 offset0:11 offset1:12
	v_cmp_ne_u16_sdwa s[4:5], v35, v35 src0_sel:DWORD src1_sel:WORD_1
	v_add_u32_e32 v18, 12, v55
	v_mov_b32_e32 v19, s72
	v_cndmask_b32_e64 v25, 0, 1, s[4:5]
	s_mov_b32 s4, 0
	v_cmp_eq_u16_sdwa vcc, v35, v35 src0_sel:DWORD src1_sel:WORD_1
	s_mov_b32 s10, s4
	s_mov_b32 s11, s4
	s_waitcnt lgkmcnt(0)
	v_cndmask_b32_e32 v24, v19, v38, vcc
	v_cmp_gt_u32_e32 vcc, s3, v18
	v_mov_b32_e32 v18, 0
	s_mov_b32 s5, s4
	s_mov_b32 s6, s4
	;; [unrolled: 1-line block ×5, first 2 shown]
	v_mov_b64_e32 v[32:33], s[10:11]
	v_mov_b32_e32 v19, v18
	v_mov_b32_e32 v20, v18
	;; [unrolled: 1-line block ×5, first 2 shown]
	s_mov_b64 s[42:43], 0
	v_mov_b64_e32 v[30:31], s[8:9]
	v_mov_b64_e32 v[28:29], s[6:7]
	;; [unrolled: 1-line block ×4, first 2 shown]
                                        ; implicit-def: $sgpr46_sgpr47
                                        ; implicit-def: $vgpr54
	s_and_saveexec_b64 s[40:41], vcc
	s_cbranch_execz .LBB1044_118
; %bb.101:
	v_add_u32_e32 v19, 13, v55
	v_mov_b32_e32 v20, s72
	v_cmp_eq_u16_sdwa vcc, v35, v36 src0_sel:WORD_1 src1_sel:DWORD
	v_cmp_ne_u16_sdwa s[42:43], v35, v36 src0_sel:WORD_1 src1_sel:DWORD
	v_mov_b64_e32 v[32:33], s[10:11]
	v_cndmask_b32_e32 v22, v20, v39, vcc
	v_cndmask_b32_e64 v23, 0, 1, s[42:43]
	v_cmp_gt_u32_e32 vcc, s3, v19
	v_mov_b32_e32 v19, v18
	v_mov_b32_e32 v20, v18
	;; [unrolled: 1-line block ×3, first 2 shown]
	s_mov_b64 s[44:45], 0
	v_mov_b64_e32 v[30:31], s[8:9]
	v_mov_b64_e32 v[28:29], s[6:7]
	;; [unrolled: 1-line block ×4, first 2 shown]
                                        ; implicit-def: $sgpr4_sgpr5
                                        ; implicit-def: $vgpr54
	s_and_saveexec_b64 s[42:43], vcc
	s_cbranch_execz .LBB1044_117
; %bb.102:
	ds_read2_b32 v[34:35], v56 offset0:13 offset1:14
	v_cmp_ne_u16_sdwa s[4:5], v36, v36 src0_sel:DWORD src1_sel:WORD_1
	v_add_u32_e32 v18, 14, v55
	v_mov_b32_e32 v19, s72
	v_cndmask_b32_e64 v21, 0, 1, s[4:5]
	s_mov_b32 s4, 0
	s_mov_b32 s10, s4
	;; [unrolled: 1-line block ×3, first 2 shown]
	v_cmp_eq_u16_sdwa vcc, v36, v36 src0_sel:DWORD src1_sel:WORD_1
	s_mov_b32 s5, s4
	s_mov_b32 s6, s4
	;; [unrolled: 1-line block ×5, first 2 shown]
	v_mov_b64_e32 v[32:33], s[10:11]
	s_waitcnt lgkmcnt(0)
	v_cndmask_b32_e32 v20, v19, v34, vcc
	v_cmp_gt_u32_e32 vcc, s3, v18
	v_mov_b32_e32 v18, s4
	v_mov_b32_e32 v19, s4
	s_mov_b64 s[46:47], 0
	v_mov_b64_e32 v[30:31], s[8:9]
	v_mov_b64_e32 v[28:29], s[6:7]
	v_mov_b64_e32 v[26:27], s[4:5]
	v_mov_b64_e32 v[48:49], 0
                                        ; implicit-def: $sgpr56_sgpr57
                                        ; implicit-def: $vgpr54
	s_and_saveexec_b64 s[44:45], vcc
	s_cbranch_execz .LBB1044_116
; %bb.103:
	v_add_u32_e32 v26, 15, v55
	v_mov_b32_e32 v18, s72
	v_cmp_eq_u16_sdwa vcc, v36, v37 src0_sel:WORD_1 src1_sel:DWORD
	v_cmp_ne_u16_sdwa s[46:47], v36, v37 src0_sel:WORD_1 src1_sel:DWORD
	v_mov_b64_e32 v[48:49], 0
	v_cndmask_b32_e32 v18, v18, v35, vcc
	v_cmp_gt_u32_e32 vcc, s3, v26
	v_mov_b64_e32 v[32:33], s[10:11]
	v_cndmask_b32_e64 v19, 0, 1, s[46:47]
	s_mov_b64 s[46:47], 0
	v_mov_b64_e32 v[30:31], s[8:9]
	v_mov_b64_e32 v[28:29], s[6:7]
	;; [unrolled: 1-line block ×3, first 2 shown]
                                        ; implicit-def: $sgpr6_sgpr7
                                        ; implicit-def: $vgpr54
	s_and_saveexec_b64 s[4:5], vcc
	s_cbranch_execz .LBB1044_115
; %bb.104:
	ds_read2_b32 v[34:35], v56 offset0:15 offset1:16
	s_mov_b32 s76, 0
	v_add_u32_e32 v26, 16, v55
	v_mov_b32_e32 v27, s72
	v_cmp_eq_u16_sdwa vcc, v37, v37 src0_sel:DWORD src1_sel:WORD_1
	s_mov_b32 s77, s76
	v_cmp_ne_u16_sdwa s[6:7], v37, v37 src0_sel:DWORD src1_sel:WORD_1
	s_waitcnt lgkmcnt(0)
	v_cndmask_b32_e32 v48, v27, v34, vcc
	v_cmp_gt_u32_e32 vcc, s3, v26
	s_mov_b32 s78, s76
	s_mov_b32 s79, s76
	;; [unrolled: 1-line block ×6, first 2 shown]
	v_mov_b64_e32 v[26:27], s[76:77]
	v_cndmask_b32_e64 v49, 0, 1, s[6:7]
	s_mov_b64 s[8:9], 0
	v_mov_b64_e32 v[28:29], s[78:79]
	v_mov_b64_e32 v[30:31], s[80:81]
	;; [unrolled: 1-line block ×3, first 2 shown]
                                        ; implicit-def: $sgpr46_sgpr47
                                        ; implicit-def: $vgpr54
	s_and_saveexec_b64 s[6:7], vcc
	s_cbranch_execz .LBB1044_114
; %bb.105:
	v_add_u32_e32 v28, 17, v55
	v_mov_b32_e32 v26, s72
	v_cmp_eq_u16_sdwa vcc, v37, v50 src0_sel:WORD_1 src1_sel:DWORD
	v_cmp_ne_u16_sdwa s[8:9], v37, v50 src0_sel:WORD_1 src1_sel:DWORD
	v_mov_b32_e32 v30, 0
	v_cndmask_b32_e32 v26, v26, v35, vcc
	v_cndmask_b32_e64 v27, 0, 1, s[8:9]
	v_cmp_gt_u32_e32 vcc, s3, v28
	v_mov_b32_e32 v28, v30
	v_mov_b32_e32 v29, v30
	;; [unrolled: 1-line block ×5, first 2 shown]
	s_mov_b64 s[10:11], 0
                                        ; implicit-def: $sgpr56_sgpr57
                                        ; implicit-def: $vgpr54
	s_and_saveexec_b64 s[8:9], vcc
	s_cbranch_execz .LBB1044_113
; %bb.106:
	ds_read2_b32 v[34:35], v56 offset0:17 offset1:18
	v_add_u32_e32 v31, 18, v55
	v_mov_b32_e32 v28, s72
	v_cmp_eq_u16_sdwa vcc, v50, v50 src0_sel:DWORD src1_sel:WORD_1
	v_cmp_ne_u16_sdwa s[10:11], v50, v50 src0_sel:DWORD src1_sel:WORD_1
	s_mov_b32 s55, 0
	s_waitcnt lgkmcnt(0)
	v_cndmask_b32_e32 v28, v28, v34, vcc
	v_cndmask_b32_e64 v29, 0, 1, s[10:11]
	v_cmp_gt_u32_e32 vcc, s3, v31
	v_mov_b32_e32 v31, v30
	v_mov_b32_e32 v32, v30
	v_mov_b32_e32 v33, v30
	s_mov_b64 s[46:47], 0
                                        ; implicit-def: $sgpr68_sgpr69
                                        ; implicit-def: $vgpr54
	s_and_saveexec_b64 s[10:11], vcc
	s_cbranch_execz .LBB1044_112
; %bb.107:
	v_add_u32_e32 v32, 19, v55
	v_mov_b32_e32 v30, s72
	v_cmp_eq_u16_sdwa vcc, v50, v51 src0_sel:WORD_1 src1_sel:DWORD
	v_cmp_ne_u16_sdwa s[46:47], v50, v51 src0_sel:WORD_1 src1_sel:DWORD
	v_mov_b32_e32 v33, s55
	v_cndmask_b32_e32 v30, v30, v35, vcc
	v_cndmask_b32_e64 v31, 0, 1, s[46:47]
	v_cmp_gt_u32_e32 vcc, s3, v32
	v_mov_b32_e32 v32, s55
	s_mov_b64 s[56:57], 0
                                        ; implicit-def: $sgpr68_sgpr69
                                        ; implicit-def: $vgpr54
	s_and_saveexec_b64 s[46:47], vcc
	s_cbranch_execz .LBB1044_111
; %bb.108:
	ds_read2_b32 v[34:35], v56 offset0:19 offset1:20
	v_add_u32_e32 v36, 20, v55
	v_mov_b32_e32 v32, s72
	v_cmp_eq_u16_sdwa vcc, v51, v51 src0_sel:DWORD src1_sel:WORD_1
	v_cmp_ne_u16_sdwa s[56:57], v51, v51 src0_sel:DWORD src1_sel:WORD_1
                                        ; implicit-def: $sgpr68_sgpr69
                                        ; implicit-def: $vgpr54
	s_waitcnt lgkmcnt(0)
	v_cndmask_b32_e32 v32, v32, v34, vcc
	v_cndmask_b32_e64 v33, 0, 1, s[56:57]
	v_cmp_gt_u32_e32 vcc, s3, v36
	s_mov_b64 s[56:57], 0
	s_and_saveexec_b64 s[70:71], vcc
	s_xor_b64 s[70:71], exec, s[70:71]
; %bb.109:
	v_mov_b32_e32 v34, s72
	v_cmp_ne_u16_sdwa vcc, v51, v1 src0_sel:WORD_1 src1_sel:DWORD
	s_mov_b64 s[56:57], exec
	s_and_b64 s[68:69], vcc, exec
	v_cndmask_b32_e32 v54, v35, v34, vcc
; %bb.110:
	s_or_b64 exec, exec, s[70:71]
	s_and_b64 s[68:69], s[68:69], exec
	s_and_b64 s[56:57], s[56:57], exec
.LBB1044_111:
	s_or_b64 exec, exec, s[46:47]
	s_and_b64 s[68:69], s[68:69], exec
	s_and_b64 s[46:47], s[56:57], exec
.LBB1044_112:
	s_or_b64 exec, exec, s[10:11]
	s_and_b64 s[56:57], s[68:69], exec
	s_and_b64 s[10:11], s[46:47], exec
.LBB1044_113:
	s_or_b64 exec, exec, s[8:9]
	s_and_b64 s[46:47], s[56:57], exec
	s_and_b64 s[8:9], s[10:11], exec
.LBB1044_114:
	s_or_b64 exec, exec, s[6:7]
	s_and_b64 s[6:7], s[46:47], exec
	s_and_b64 s[46:47], s[8:9], exec
.LBB1044_115:
	s_or_b64 exec, exec, s[4:5]
	s_and_b64 s[56:57], s[6:7], exec
	s_and_b64 s[46:47], s[46:47], exec
.LBB1044_116:
	s_or_b64 exec, exec, s[44:45]
	s_and_b64 s[4:5], s[56:57], exec
	s_and_b64 s[44:45], s[46:47], exec
.LBB1044_117:
	s_or_b64 exec, exec, s[42:43]
	s_and_b64 s[46:47], s[4:5], exec
	s_and_b64 s[42:43], s[44:45], exec
.LBB1044_118:
	s_or_b64 exec, exec, s[40:41]
	s_and_b64 s[4:5], s[46:47], exec
	s_and_b64 s[40:41], s[42:43], exec
.LBB1044_119:
	s_or_b64 exec, exec, s[38:39]
	s_and_b64 s[42:43], s[4:5], exec
	s_and_b64 s[38:39], s[40:41], exec
.LBB1044_120:
	s_or_b64 exec, exec, s[36:37]
	s_and_b64 s[4:5], s[42:43], exec
	s_and_b64 s[36:37], s[38:39], exec
.LBB1044_121:
	s_or_b64 exec, exec, s[34:35]
	s_and_b64 s[38:39], s[4:5], exec
	s_and_b64 s[34:35], s[36:37], exec
.LBB1044_122:
	s_or_b64 exec, exec, s[30:31]
	s_and_b64 s[4:5], s[38:39], exec
	s_and_b64 s[30:31], s[34:35], exec
.LBB1044_123:
	s_or_b64 exec, exec, s[28:29]
	s_and_b64 s[34:35], s[4:5], exec
	s_and_b64 s[28:29], s[30:31], exec
.LBB1044_124:
	s_or_b64 exec, exec, s[26:27]
	s_and_b64 s[4:5], s[34:35], exec
	s_and_b64 s[26:27], s[28:29], exec
.LBB1044_125:
	s_or_b64 exec, exec, s[24:25]
	s_and_b64 s[28:29], s[4:5], exec
	s_and_b64 s[24:25], s[26:27], exec
.LBB1044_126:
	s_or_b64 exec, exec, s[22:23]
	s_and_b64 s[4:5], s[28:29], exec
	s_and_b64 s[22:23], s[24:25], exec
.LBB1044_127:
	s_or_b64 exec, exec, s[20:21]
	s_and_b64 s[24:25], s[4:5], exec
	s_and_b64 s[20:21], s[22:23], exec
.LBB1044_128:
	s_or_b64 exec, exec, s[18:19]
	s_and_b64 s[4:5], s[24:25], exec
	s_and_b64 s[18:19], s[20:21], exec
.LBB1044_129:
	s_or_b64 exec, exec, s[16:17]
	s_and_b64 s[16:17], s[4:5], exec
	s_and_b64 s[18:19], s[18:19], exec
.LBB1044_130:
	s_or_b64 exec, exec, s[14:15]
	s_mov_b64 s[4:5], 0
	s_and_b64 vcc, exec, s[12:13]
	v_lshlrev_b32_e32 v50, 1, v0
	s_cbranch_vccz .LBB1044_136
.LBB1044_131:
	v_mov_b32_e32 v51, 0
	v_lshl_add_u64 v[2:3], s[66:67], 0, v[50:51]
	v_add_co_u32_e32 v4, vcc, 0x1000, v2
	flat_load_ushort v1, v[2:3]
	flat_load_ushort v6, v[2:3] offset:512
	flat_load_ushort v7, v[2:3] offset:1024
	;; [unrolled: 1-line block ×7, first 2 shown]
	v_addc_co_u32_e32 v5, vcc, 0, v3, vcc
	v_add_co_u32_e32 v2, vcc, 0x2000, v2
	flat_load_ushort v13, v[4:5]
	flat_load_ushort v14, v[4:5] offset:512
	flat_load_ushort v15, v[4:5] offset:1024
	;; [unrolled: 1-line block ×7, first 2 shown]
	v_addc_co_u32_e32 v3, vcc, 0, v3, vcc
	flat_load_ushort v4, v[2:3]
	flat_load_ushort v5, v[2:3] offset:512
	flat_load_ushort v21, v[2:3] offset:1024
	;; [unrolled: 1-line block ×4, first 2 shown]
	v_mov_b32_e32 v2, s66
	v_mov_b32_e32 v3, s67
	v_add_co_u32_e32 v2, vcc, 0x2000, v2
	s_movk_i32 s6, 0xffd8
	s_nop 0
	v_addc_co_u32_e32 v3, vcc, 0, v3, vcc
	s_mov_b32 s4, 0
	s_mov_b32 s5, 1
	s_movk_i32 s8, 0x1000
	s_movk_i32 s3, 0x2000
	s_waitcnt vmcnt(0) lgkmcnt(0)
	ds_write_b16 v50, v1
	ds_write_b16 v50, v6 offset:512
	ds_write_b16 v50, v7 offset:1024
	;; [unrolled: 1-line block ×20, first 2 shown]
	s_waitcnt lgkmcnt(0)
	s_barrier
	flat_load_ushort v1, v[2:3] offset:2560
	v_mad_u32_u24 v2, v0, 40, v50
	ds_read_b96 v[8:10], v2
	ds_read_b64 v[18:19], v2 offset:12
	ds_read_b96 v[26:28], v2 offset:20
	ds_read_b64 v[34:35], v2 offset:32
	ds_read_u16 v40, v2 offset:40
	v_mad_i32_i24 v2, v0, s6, v2
	s_movk_i32 s6, 0xff
	v_cmp_ne_u32_e32 vcc, s6, v0
	s_waitcnt lgkmcnt(0)
	ds_write_b16 v2, v8 offset:11264
	s_waitcnt lgkmcnt(0)
	s_barrier
	s_and_saveexec_b64 s[6:7], vcc
	s_cbranch_execz .LBB1044_133
; %bb.132:
	s_waitcnt vmcnt(0)
	ds_read_u16 v1, v50 offset:11266
.LBB1044_133:
	s_or_b64 exec, exec, s[6:7]
	v_lshl_add_u64 v[4:5], s[64:65], 0, v[50:51]
	v_add_co_u32_e32 v6, vcc, s8, v4
	s_waitcnt lgkmcnt(0)
	s_nop 0
	v_addc_co_u32_e32 v7, vcc, 0, v5, vcc
	s_barrier
	flat_load_sshort v3, v[4:5]
	flat_load_sshort v12, v[4:5] offset:512
	flat_load_sshort v13, v[4:5] offset:1024
	flat_load_sshort v14, v[4:5] offset:1536
	flat_load_sshort v15, v[4:5] offset:2048
	flat_load_sshort v16, v[4:5] offset:2560
	flat_load_sshort v17, v[4:5] offset:3072
	flat_load_sshort v20, v[4:5] offset:3584
	v_add_co_u32_e32 v4, vcc, s3, v4
	flat_load_sshort v21, v[6:7]
	flat_load_sshort v22, v[6:7] offset:512
	flat_load_sshort v23, v[6:7] offset:1024
	;; [unrolled: 1-line block ×7, first 2 shown]
	v_addc_co_u32_e32 v5, vcc, 0, v5, vcc
	flat_load_sshort v6, v[4:5]
	flat_load_sshort v7, v[4:5] offset:512
	flat_load_sshort v32, v[4:5] offset:1024
	;; [unrolled: 1-line block ×4, first 2 shown]
	v_lshl_add_u32 v2, v0, 1, v2
	s_movk_i32 s3, 0x50
	v_mad_u32_u24 v41, v0, s3, v2
	v_alignbit_b32 v11, v10, v9, 16
	v_cmp_eq_u16_sdwa s[6:7], v8, v8 src0_sel:DWORD src1_sel:WORD_1
	v_mov_b64_e32 v[42:43], s[4:5]
	s_waitcnt vmcnt(0) lgkmcnt(0)
	ds_write2st64_b32 v2, v3, v12 offset1:4
	ds_write2st64_b32 v2, v13, v14 offset0:8 offset1:12
	ds_write2st64_b32 v2, v15, v16 offset0:16 offset1:20
	;; [unrolled: 1-line block ×9, first 2 shown]
	ds_write_b32 v2, v36 offset:20480
	s_waitcnt lgkmcnt(0)
	s_barrier
	ds_read2_b32 v[12:13], v41 offset0:8 offset1:9
	ds_read2_b32 v[14:15], v41 offset0:6 offset1:7
	;; [unrolled: 1-line block ×10, first 2 shown]
	v_alignbit_b32 v16, v9, v8, 16
	v_mov_b32_e32 v3, s72
	s_and_saveexec_b64 s[4:5], s[6:7]
	s_cbranch_execz .LBB1044_135
; %bb.134:
	v_mul_u32_u24_e32 v3, 0x50, v0
	v_add_u32_e32 v2, v2, v3
	ds_read_b32 v3, v2
	v_mov_b64_e32 v[42:43], 0
.LBB1044_135:
	s_or_b64 exec, exec, s[4:5]
	v_mov_b32_e32 v41, s72
	v_cmp_eq_u16_sdwa vcc, v11, v10 src0_sel:WORD_1 src1_sel:WORD_1
	v_cmp_ne_u16_sdwa s[4:5], v11, v10 src0_sel:WORD_1 src1_sel:WORD_1
	s_waitcnt lgkmcnt(0)
	v_or_b32_e32 v42, v42, v3
	v_cndmask_b32_e32 v2, v41, v5, vcc
	v_cmp_eq_u16_sdwa vcc, v16, v16 src0_sel:DWORD src1_sel:WORD_1
	v_cndmask_b32_e64 v3, 0, 1, s[4:5]
	v_cmp_ne_u16_sdwa s[4:5], v16, v16 src0_sel:DWORD src1_sel:WORD_1
	v_cndmask_b32_e32 v8, v41, v6, vcc
	v_cmp_eq_u16_sdwa vcc, v16, v11 src0_sel:WORD_1 src1_sel:DWORD
	v_cndmask_b32_e64 v9, 0, 1, s[4:5]
	v_cmp_ne_u16_sdwa s[4:5], v16, v11 src0_sel:WORD_1 src1_sel:DWORD
	v_cndmask_b32_e32 v6, v41, v7, vcc
	v_cmp_eq_u16_sdwa vcc, v11, v11 src0_sel:DWORD src1_sel:WORD_1
	v_cndmask_b32_e64 v7, 0, 1, s[4:5]
	v_cmp_ne_u16_sdwa s[4:5], v11, v11 src0_sel:DWORD src1_sel:WORD_1
	v_cndmask_b32_e32 v4, v41, v4, vcc
	v_cmp_eq_u16_sdwa vcc, v10, v18 src0_sel:WORD_1 src1_sel:DWORD
	v_cndmask_b32_e64 v5, 0, 1, s[4:5]
	v_cmp_ne_u16_sdwa s[4:5], v10, v18 src0_sel:WORD_1 src1_sel:DWORD
	v_cndmask_b32_e32 v44, v41, v24, vcc
	v_cmp_eq_u16_sdwa vcc, v18, v18 src0_sel:DWORD src1_sel:WORD_1
	v_cndmask_b32_e64 v45, 0, 1, s[4:5]
	v_cmp_ne_u16_sdwa s[4:5], v18, v18 src0_sel:DWORD src1_sel:WORD_1
	v_cndmask_b32_e32 v16, v41, v14, vcc
	v_cmp_eq_u16_sdwa vcc, v18, v19 src0_sel:WORD_1 src1_sel:DWORD
	v_cndmask_b32_e64 v17, 0, 1, s[4:5]
	v_cmp_ne_u16_sdwa s[4:5], v18, v19 src0_sel:WORD_1 src1_sel:DWORD
	v_cndmask_b32_e32 v14, v41, v15, vcc
	v_cmp_eq_u16_sdwa vcc, v19, v19 src0_sel:DWORD src1_sel:WORD_1
	v_cndmask_b32_e64 v15, 0, 1, s[4:5]
	v_cmp_ne_u16_sdwa s[4:5], v19, v19 src0_sel:DWORD src1_sel:WORD_1
	v_cndmask_b32_e32 v12, v41, v12, vcc
	v_cmp_eq_u16_sdwa vcc, v19, v26 src0_sel:WORD_1 src1_sel:DWORD
	v_cmp_ne_u16_e64 s[16:17], v40, v1
	s_mov_b64 s[18:19], -1
	v_cndmask_b32_e32 v10, v41, v13, vcc
	v_cndmask_b32_e64 v13, 0, 1, s[4:5]
	v_cmp_ne_u16_sdwa s[4:5], v19, v26 src0_sel:WORD_1 src1_sel:DWORD
	v_cmp_eq_u16_sdwa vcc, v26, v26 src0_sel:DWORD src1_sel:WORD_1
	v_cndmask_b32_e64 v54, v37, v41, s[16:17]
	v_cndmask_b32_e64 v11, 0, 1, s[4:5]
	v_cndmask_b32_e32 v46, v41, v25, vcc
	v_cmp_ne_u16_sdwa s[4:5], v26, v26 src0_sel:DWORD src1_sel:WORD_1
	v_cmp_eq_u16_sdwa vcc, v26, v27 src0_sel:WORD_1 src1_sel:DWORD
	s_nop 0
	v_cndmask_b32_e64 v47, 0, 1, s[4:5]
	v_cndmask_b32_e32 v24, v41, v22, vcc
	v_cmp_eq_u16_sdwa vcc, v27, v27 src0_sel:DWORD src1_sel:WORD_1
	v_cmp_ne_u16_sdwa s[4:5], v26, v27 src0_sel:WORD_1 src1_sel:DWORD
	s_nop 0
	v_cndmask_b32_e32 v22, v41, v23, vcc
	v_cmp_eq_u16_sdwa vcc, v27, v28 src0_sel:WORD_1 src1_sel:DWORD
	v_cndmask_b32_e64 v25, 0, 1, s[4:5]
	v_cmp_ne_u16_sdwa s[4:5], v27, v27 src0_sel:DWORD src1_sel:WORD_1
	v_cndmask_b32_e32 v20, v41, v20, vcc
	v_cmp_eq_u16_sdwa vcc, v28, v28 src0_sel:DWORD src1_sel:WORD_1
	v_cndmask_b32_e64 v23, 0, 1, s[4:5]
	v_cmp_ne_u16_sdwa s[4:5], v27, v28 src0_sel:WORD_1 src1_sel:DWORD
	v_cndmask_b32_e32 v18, v41, v21, vcc
	v_cmp_eq_u16_sdwa vcc, v28, v34 src0_sel:WORD_1 src1_sel:DWORD
	v_cndmask_b32_e64 v21, 0, 1, s[4:5]
	v_cmp_ne_u16_sdwa s[4:5], v28, v28 src0_sel:DWORD src1_sel:WORD_1
	v_cndmask_b32_e32 v48, v41, v36, vcc
	v_cmp_eq_u16_sdwa vcc, v35, v40 src0_sel:WORD_1 src1_sel:DWORD
	v_cndmask_b32_e64 v19, 0, 1, s[4:5]
	v_cmp_ne_u16_sdwa s[4:5], v28, v34 src0_sel:WORD_1 src1_sel:DWORD
	v_cndmask_b32_e32 v32, v41, v31, vcc
	v_cmp_eq_u16_sdwa vcc, v35, v35 src0_sel:DWORD src1_sel:WORD_1
	v_cndmask_b32_e64 v49, 0, 1, s[4:5]
	v_cmp_ne_u16_sdwa s[4:5], v35, v40 src0_sel:WORD_1 src1_sel:DWORD
	v_cndmask_b32_e32 v30, v41, v30, vcc
	v_cmp_eq_u16_sdwa vcc, v34, v35 src0_sel:WORD_1 src1_sel:DWORD
	v_cndmask_b32_e64 v33, 0, 1, s[4:5]
	v_cmp_ne_u16_sdwa s[4:5], v35, v35 src0_sel:DWORD src1_sel:WORD_1
	v_cndmask_b32_e32 v28, v41, v39, vcc
	v_cmp_eq_u16_sdwa vcc, v34, v34 src0_sel:DWORD src1_sel:WORD_1
	v_cndmask_b32_e64 v31, 0, 1, s[4:5]
	v_cmp_ne_u16_sdwa s[4:5], v34, v35 src0_sel:WORD_1 src1_sel:DWORD
	v_cndmask_b32_e32 v26, v41, v38, vcc
	s_nop 0
	v_cndmask_b32_e64 v29, 0, 1, s[4:5]
	v_cmp_ne_u16_sdwa s[4:5], v34, v34 src0_sel:DWORD src1_sel:WORD_1
	s_nop 1
	v_cndmask_b32_e64 v27, 0, 1, s[4:5]
                                        ; implicit-def: $sgpr4_sgpr5
.LBB1044_136:
	v_mov_b64_e32 v[52:53], s[4:5]
	s_and_saveexec_b64 s[4:5], s[18:19]
; %bb.137:
	v_cndmask_b32_e64 v55, 0, 1, s[16:17]
	v_mov_b64_e32 v[52:53], v[54:55]
; %bb.138:
	s_or_b64 exec, exec, s[4:5]
	s_mov_b32 s42, 0
	s_cmp_lg_u32 s2, 0
	v_mbcnt_lo_u32_b32 v58, -1, 0
	v_lshrrev_b32_e32 v1, 6, v0
	v_or_b32_e32 v51, 63, v0
	s_barrier
	s_cbranch_scc0 .LBB1044_167
; %bb.139:
	s_mov_b32 s43, 1
	v_cmp_gt_u64_e64 s[44:45], s[42:43], v[8:9]
	v_cmp_gt_u64_e64 s[4:5], s[42:43], v[6:7]
	v_cmp_gt_u64_e64 s[6:7], s[42:43], v[4:5]
	v_cndmask_b32_e64 v34, 0, v42, s[44:45]
	v_add_u32_e32 v34, v34, v8
	v_cndmask_b32_e64 v34, 0, v34, s[4:5]
	v_add_u32_e32 v34, v34, v6
	v_cndmask_b32_e64 v34, 0, v34, s[6:7]
	v_add_u32_e32 v34, v34, v4
	v_cmp_gt_u64_e64 s[8:9], s[42:43], v[2:3]
	v_cmp_gt_u64_e64 s[10:11], s[42:43], v[44:45]
	v_cmp_gt_u64_e64 s[12:13], s[42:43], v[16:17]
	v_cndmask_b32_e64 v34, 0, v34, s[8:9]
	v_add_u32_e32 v34, v34, v2
	v_cndmask_b32_e64 v34, 0, v34, s[10:11]
	v_add_u32_e32 v34, v34, v44
	v_cndmask_b32_e64 v34, 0, v34, s[12:13]
	v_add_u32_e32 v34, v34, v16
	;; [unrolled: 9-line block ×4, first 2 shown]
	v_cmp_gt_u64_e64 s[26:27], s[42:43], v[20:21]
	v_cmp_gt_u64_e64 s[28:29], s[42:43], v[18:19]
	;; [unrolled: 1-line block ×3, first 2 shown]
	v_cndmask_b32_e64 v34, 0, v34, s[26:27]
	v_add_u32_e32 v34, v34, v20
	v_cndmask_b32_e64 v34, 0, v34, s[28:29]
	v_add_u32_e32 v34, v34, v18
	v_or_b32_e32 v35, v53, v33
	v_cndmask_b32_e64 v34, 0, v34, s[30:31]
	v_or3_b32 v35, v35, v31, v29
	v_add_u32_e32 v34, v34, v48
	v_cmp_gt_u64_e64 s[34:35], s[42:43], v[26:27]
	v_or3_b32 v35, v35, v27, v49
	v_or3_b32 v35, v35, v19, v21
	v_cndmask_b32_e64 v34, 0, v34, s[34:35]
	v_add_u32_e32 v34, v34, v26
	v_cmp_gt_u64_e64 s[36:37], s[42:43], v[28:29]
	v_or3_b32 v35, v35, v23, v25
	v_or3_b32 v35, v35, v47, v11
	v_cndmask_b32_e64 v34, 0, v34, s[36:37]
	;; [unrolled: 5-line block ×4, first 2 shown]
	v_add_u32_e32 v34, v34, v32
	v_cmp_gt_u64_e32 vcc, s[42:43], v[52:53]
	v_and_b32_e32 v35, 1, v35
	v_mbcnt_hi_u32_b32 v63, -1, v58
	v_cndmask_b32_e32 v34, 0, v34, vcc
	v_cmp_eq_u32_e32 vcc, 1, v35
	v_add_u32_e32 v34, v34, v52
	v_and_b32_e32 v37, 15, v63
	v_cndmask_b32_e64 v35, v43, 1, vcc
	v_and_b32_e32 v36, 0xff, v35
	v_mov_b32_dpp v38, v34 row_shr:1 row_mask:0xf bank_mask:0xf
	v_cmp_eq_u16_e32 vcc, 0, v36
	v_mov_b32_dpp v39, v36 row_shr:1 row_mask:0xf bank_mask:0xf
	v_and_b32_e32 v40, 1, v35
	v_cndmask_b32_e32 v38, 0, v38, vcc
	v_and_b32_e32 v39, 1, v39
	v_cmp_eq_u32_e32 vcc, 1, v40
	s_nop 1
	v_cndmask_b32_e64 v39, v39, 1, vcc
	v_and_b32_e32 v40, 0xffff, v39
	v_cmp_eq_u32_e32 vcc, 0, v37
	s_nop 1
	v_cndmask_b32_e32 v35, v39, v35, vcc
	v_cndmask_b32_e32 v36, v40, v36, vcc
	v_and_b32_e32 v41, 1, v35
	v_cndmask_b32_e64 v38, v38, 0, vcc
	v_mov_b32_dpp v39, v36 row_shr:2 row_mask:0xf bank_mask:0xf
	v_and_b32_e32 v39, 1, v39
	v_cmp_eq_u32_e32 vcc, 1, v41
	v_mov_b32_e32 v40, 0
	v_add_u32_e32 v34, v38, v34
	v_cndmask_b32_e64 v39, v39, 1, vcc
	v_and_b32_e32 v41, 0xffff, v39
	v_cmp_lt_u32_e32 vcc, 1, v37
	v_cmp_eq_u16_sdwa s[42:43], v35, v40 src0_sel:BYTE_0 src1_sel:DWORD
	v_mov_b32_dpp v38, v34 row_shr:2 row_mask:0xf bank_mask:0xf
	v_cndmask_b32_e32 v35, v35, v39, vcc
	v_cndmask_b32_e32 v36, v36, v41, vcc
	s_and_b64 vcc, vcc, s[42:43]
	v_and_b32_e32 v41, 1, v35
	v_mov_b32_dpp v39, v36 row_shr:4 row_mask:0xf bank_mask:0xf
	v_cndmask_b32_e32 v38, 0, v38, vcc
	v_and_b32_e32 v39, 1, v39
	v_cmp_eq_u32_e32 vcc, 1, v41
	v_add_u32_e32 v34, v38, v34
	v_cmp_eq_u16_sdwa s[42:43], v35, v40 src0_sel:BYTE_0 src1_sel:DWORD
	v_cndmask_b32_e64 v39, v39, 1, vcc
	v_and_b32_e32 v41, 0xffff, v39
	v_cmp_lt_u32_e32 vcc, 3, v37
	v_mov_b32_dpp v38, v34 row_shr:4 row_mask:0xf bank_mask:0xf
	s_nop 0
	v_cndmask_b32_e32 v35, v35, v39, vcc
	v_cndmask_b32_e32 v36, v36, v41, vcc
	s_and_b64 vcc, vcc, s[42:43]
	v_and_b32_e32 v41, 1, v35
	v_mov_b32_dpp v39, v36 row_shr:8 row_mask:0xf bank_mask:0xf
	v_cndmask_b32_e32 v38, 0, v38, vcc
	v_and_b32_e32 v39, 1, v39
	v_cmp_eq_u32_e32 vcc, 1, v41
	v_add_u32_e32 v34, v38, v34
	v_cmp_eq_u16_sdwa s[42:43], v35, v40 src0_sel:BYTE_0 src1_sel:DWORD
	v_cndmask_b32_e64 v39, v39, 1, vcc
	v_and_b32_e32 v41, 0xffff, v39
	v_cmp_lt_u32_e32 vcc, 7, v37
	v_mov_b32_dpp v38, v34 row_shr:8 row_mask:0xf bank_mask:0xf
	s_nop 0
	v_cndmask_b32_e32 v35, v35, v39, vcc
	v_cndmask_b32_e32 v36, v36, v41, vcc
	s_and_b64 vcc, vcc, s[42:43]
	v_cndmask_b32_e32 v37, 0, v38, vcc
	v_add_u32_e32 v34, v37, v34
	v_mov_b32_dpp v38, v36 row_bcast:15 row_mask:0xf bank_mask:0xf
	v_cmp_eq_u16_sdwa vcc, v35, v40 src0_sel:BYTE_0 src1_sel:DWORD
	v_mov_b32_dpp v37, v34 row_bcast:15 row_mask:0xf bank_mask:0xf
	v_and_b32_e32 v54, 1, v35
	v_cndmask_b32_e32 v37, 0, v37, vcc
	v_and_b32_e32 v38, 1, v38
	v_cmp_eq_u32_e32 vcc, 1, v54
	v_and_b32_e32 v41, 16, v63
	v_bfe_i32 v39, v63, 4, 1
	v_cndmask_b32_e64 v38, v38, 1, vcc
	v_and_b32_e32 v54, 0xffff, v38
	v_cmp_eq_u32_e32 vcc, 0, v41
	v_and_b32_e32 v37, v39, v37
	v_add_u32_e32 v34, v37, v34
	v_cndmask_b32_e32 v35, v38, v35, vcc
	v_cndmask_b32_e32 v36, v54, v36, vcc
	v_and_b32_e32 v37, 1, v35
	v_cmp_eq_u32_e32 vcc, 1, v37
	v_mov_b32_dpp v36, v36 row_bcast:31 row_mask:0xf bank_mask:0xf
	v_and_b32_e32 v36, 1, v36
	v_cmp_eq_u16_sdwa s[42:43], v35, v40 src0_sel:BYTE_0 src1_sel:DWORD
	v_cndmask_b32_e64 v36, v36, 1, vcc
	v_cmp_lt_u32_e32 vcc, 31, v63
	v_mov_b32_dpp v38, v34 row_bcast:31 row_mask:0xf bank_mask:0xf
	s_nop 0
	v_cndmask_b32_e32 v37, v35, v36, vcc
	s_and_b64 vcc, vcc, s[42:43]
	v_cndmask_b32_e32 v35, 0, v38, vcc
	v_add_u32_e32 v36, v35, v34
	v_cmp_eq_u32_e32 vcc, v51, v0
	s_and_saveexec_b64 s[42:43], vcc
	s_cbranch_execz .LBB1044_141
; %bb.140:
	v_lshlrev_b32_e32 v34, 3, v1
	ds_write_b32 v34, v36
	ds_write_b8 v34, v37 offset:4
.LBB1044_141:
	s_or_b64 exec, exec, s[42:43]
	v_cmp_gt_u32_e32 vcc, 4, v0
	s_waitcnt lgkmcnt(0)
	s_barrier
	s_and_saveexec_b64 s[42:43], vcc
	s_cbranch_execz .LBB1044_145
; %bb.142:
	v_lshlrev_b32_e32 v38, 3, v0
	ds_read_b64 v[34:35], v38
	v_and_b32_e32 v39, 3, v63
	v_cmp_ne_u32_e32 vcc, 0, v39
	s_waitcnt lgkmcnt(0)
	v_mov_b32_dpp v40, v34 row_shr:1 row_mask:0xf bank_mask:0xf
	v_mov_b32_dpp v54, v35 row_shr:1 row_mask:0xf bank_mask:0xf
	v_mov_b32_e32 v41, v35
	s_and_saveexec_b64 s[46:47], vcc
	s_cbranch_execz .LBB1044_144
; %bb.143:
	v_and_b32_e32 v41, 1, v35
	v_and_b32_e32 v54, 1, v54
	v_cmp_eq_u32_e32 vcc, 1, v41
	v_mov_b32_e32 v41, 0
	s_movk_i32 s3, 0xff00
	v_cndmask_b32_e64 v54, v54, 1, vcc
	v_cmp_eq_u16_sdwa vcc, v35, v41 src0_sel:BYTE_0 src1_sel:DWORD
	s_nop 1
	v_cndmask_b32_e32 v40, 0, v40, vcc
	v_add_u32_e32 v34, v40, v34
	v_and_b32_e32 v40, 0xffff, v54
	v_and_or_b32 v41, v35, s3, v40
	v_mov_b32_e32 v35, v54
.LBB1044_144:
	s_or_b64 exec, exec, s[46:47]
	v_mov_b32_dpp v41, v41 row_shr:2 row_mask:0xf bank_mask:0xf
	v_and_b32_e32 v54, 1, v35
	v_and_b32_e32 v41, 1, v41
	v_cmp_eq_u32_e32 vcc, 1, v54
	v_mov_b32_e32 v54, 0
	v_cmp_eq_u16_sdwa s[46:47], v35, v54 src0_sel:BYTE_0 src1_sel:DWORD
	v_cndmask_b32_e64 v41, v41, 1, vcc
	v_cmp_lt_u32_e32 vcc, 1, v39
	v_mov_b32_dpp v40, v34 row_shr:2 row_mask:0xf bank_mask:0xf
	s_nop 0
	v_cndmask_b32_e32 v35, v35, v41, vcc
	s_and_b64 vcc, vcc, s[46:47]
	v_cndmask_b32_e32 v39, 0, v40, vcc
	v_add_u32_e32 v34, v39, v34
	ds_write_b32 v38, v34
	ds_write_b8 v38, v35 offset:4
.LBB1044_145:
	s_or_b64 exec, exec, s[42:43]
	v_cmp_gt_u32_e32 vcc, 64, v0
	v_cmp_lt_u32_e64 s[42:43], 63, v0
	v_mov_b32_e32 v59, 0
	v_mov_b32_e32 v60, 0
	s_waitcnt lgkmcnt(0)
	s_barrier
	s_and_saveexec_b64 s[46:47], s[42:43]
	s_cbranch_execz .LBB1044_147
; %bb.146:
	v_lshl_add_u32 v34, v1, 3, -8
	ds_read_b32 v59, v34
	ds_read_u8 v60, v34 offset:4
	v_mov_b32_e32 v35, 0
	v_and_b32_e32 v38, 1, v37
	v_cmp_eq_u16_sdwa s[42:43], v37, v35 src0_sel:BYTE_0 src1_sel:DWORD
	s_waitcnt lgkmcnt(1)
	s_nop 0
	v_cndmask_b32_e64 v34, 0, v59, s[42:43]
	v_cmp_eq_u32_e64 s[42:43], 1, v38
	v_add_u32_e32 v36, v34, v36
	s_waitcnt lgkmcnt(0)
	v_cndmask_b32_e64 v37, v60, 1, s[42:43]
.LBB1044_147:
	s_or_b64 exec, exec, s[46:47]
	v_and_b32_e32 v34, 0xff, v37
	v_add_u32_e32 v35, -1, v63
	v_and_b32_e32 v37, 64, v63
	v_cmp_lt_i32_e64 s[42:43], v35, v37
	s_nop 1
	v_cndmask_b32_e64 v35, v35, v63, s[42:43]
	v_lshlrev_b32_e32 v35, 2, v35
	ds_bpermute_b32 v61, v35, v36
	ds_bpermute_b32 v62, v35, v34
	v_cmp_eq_u32_e64 s[42:43], 0, v63
	s_and_saveexec_b64 s[56:57], vcc
	s_cbranch_execz .LBB1044_166
; %bb.148:
	v_mov_b32_e32 v37, 0
	ds_read_b64 v[34:35], v37 offset:24
	s_waitcnt lgkmcnt(0)
	v_readfirstlane_b32 s3, v35
	s_and_saveexec_b64 s[46:47], s[42:43]
	s_cbranch_execz .LBB1044_150
; %bb.149:
	s_add_i32 s64, s2, 64
	s_mov_b32 s65, 0
	s_lshl_b64 s[66:67], s[64:65], 4
	s_add_u32 s66, s52, s66
	s_addc_u32 s67, s53, s67
	s_and_b32 s69, s3, 0xff000000
	s_mov_b32 s68, s65
	s_and_b32 s71, s3, 0xff0000
	s_mov_b32 s70, s65
	s_or_b64 s[68:69], s[70:71], s[68:69]
	s_and_b32 s71, s3, 0xff00
	s_or_b64 s[68:69], s[68:69], s[70:71]
	s_and_b32 s71, s3, 0xff
	s_or_b64 s[64:65], s[68:69], s[70:71]
	v_mov_b32_e32 v35, s65
	v_mov_b32_e32 v36, 1
	v_mov_b64_e32 v[38:39], s[66:67]
	;;#ASMSTART
	global_store_dwordx4 v[38:39], v[34:37] off sc1	
s_waitcnt vmcnt(0)
	;;#ASMEND
.LBB1044_150:
	s_or_b64 exec, exec, s[46:47]
	v_xad_u32 v54, v63, -1, s2
	v_add_u32_e32 v36, 64, v54
	v_lshl_add_u64 v[56:57], v[36:37], 4, s[52:53]
	;;#ASMSTART
	global_load_dwordx4 v[38:41], v[56:57] off sc1	
s_waitcnt vmcnt(0)
	;;#ASMEND
	s_nop 0
	v_and_b32_e32 v35, 0xff0000, v38
	v_and_b32_e32 v36, 0xff000000, v38
	;; [unrolled: 1-line block ×3, first 2 shown]
	v_or_b32_sdwa v35, v38, v35 dst_sel:DWORD dst_unused:UNUSED_PAD src0_sel:WORD_0 src1_sel:DWORD
	v_or3_b32 v39, 0, 0, v39
	v_or3_b32 v38, v35, v36, 0
	v_cmp_eq_u16_sdwa s[64:65], v40, v37 src0_sel:BYTE_0 src1_sel:DWORD
	s_and_saveexec_b64 s[46:47], s[64:65]
	s_cbranch_execz .LBB1044_154
; %bb.151:
	s_mov_b64 s[64:65], 0
	v_mov_b32_e32 v35, 0
.LBB1044_152:                           ; =>This Inner Loop Header: Depth=1
	;;#ASMSTART
	global_load_dwordx4 v[38:41], v[56:57] off sc1	
s_waitcnt vmcnt(0)
	;;#ASMEND
	s_nop 0
	v_cmp_ne_u16_sdwa s[66:67], v40, v35 src0_sel:BYTE_0 src1_sel:DWORD
	s_or_b64 s[64:65], s[66:67], s[64:65]
	s_andn2_b64 exec, exec, s[64:65]
	s_cbranch_execnz .LBB1044_152
; %bb.153:
	s_or_b64 exec, exec, s[64:65]
	v_and_b32_e32 v39, 0xff, v39
.LBB1044_154:
	s_or_b64 exec, exec, s[46:47]
	v_mov_b32_e32 v35, 2
	v_cmp_eq_u16_sdwa s[46:47], v40, v35 src0_sel:BYTE_0 src1_sel:DWORD
	v_lshlrev_b64 v[36:37], v63, -1
	v_and_b32_e32 v64, 63, v63
	v_and_b32_e32 v41, s47, v37
	v_or_b32_e32 v41, 0x80000000, v41
	v_and_b32_e32 v55, s46, v36
	v_ffbl_b32_e32 v41, v41
	v_add_u32_e32 v41, 32, v41
	v_ffbl_b32_e32 v55, v55
	v_cmp_ne_u32_e32 vcc, 63, v64
	v_min_u32_e32 v41, v55, v41
	s_mov_b32 s64, 0
	v_addc_co_u32_e32 v55, vcc, 0, v63, vcc
	v_lshlrev_b32_e32 v65, 2, v55
	ds_bpermute_b32 v55, v65, v39
	ds_bpermute_b32 v56, v65, v38
	v_and_b32_e32 v57, 1, v39
	s_mov_b32 s65, 1
	v_cmp_eq_u32_e32 vcc, 1, v57
	s_waitcnt lgkmcnt(1)
	v_and_b32_e32 v55, 1, v55
	v_cmp_lt_u32_e64 s[46:47], v64, v41
	v_cndmask_b32_e64 v55, v55, 1, vcc
	v_cmp_gt_u64_e32 vcc, s[64:65], v[38:39]
	s_and_b64 vcc, s[46:47], vcc
	v_and_b32_e32 v57, 0xffff, v55
	v_cndmask_b32_e64 v68, v39, v55, s[46:47]
	s_waitcnt lgkmcnt(0)
	v_cndmask_b32_e32 v55, 0, v56, vcc
	v_cmp_gt_u32_e32 vcc, 62, v64
	v_cndmask_b32_e64 v39, v39, v57, s[46:47]
	v_add_u32_e32 v38, v55, v38
	v_cndmask_b32_e64 v56, 0, 1, vcc
	v_lshlrev_b32_e32 v56, 1, v56
	v_add_lshl_u32 v66, v56, v63, 2
	ds_bpermute_b32 v56, v66, v39
	ds_bpermute_b32 v57, v66, v38
	v_and_b32_e32 v55, 1, v68
	v_cmp_eq_u32_e32 vcc, 1, v55
	v_mov_b32_e32 v55, 0
	s_waitcnt lgkmcnt(1)
	v_and_b32_e32 v56, 1, v56
	v_add_u32_e32 v67, 2, v64
	v_cndmask_b32_e64 v56, v56, 1, vcc
	v_cmp_eq_u16_sdwa vcc, v68, v55 src0_sel:BYTE_0 src1_sel:DWORD
	v_and_b32_e32 v69, 0xffff, v56
	v_add_u32_e32 v76, 32, v64
	s_waitcnt lgkmcnt(0)
	v_cndmask_b32_e32 v57, 0, v57, vcc
	v_cmp_gt_u32_e32 vcc, v67, v41
	s_nop 1
	v_cndmask_b32_e32 v56, v56, v68, vcc
	v_cndmask_b32_e64 v57, v57, 0, vcc
	v_cndmask_b32_e32 v39, v69, v39, vcc
	v_cmp_gt_u32_e32 vcc, 60, v64
	v_add_u32_e32 v38, v57, v38
	v_and_b32_e32 v71, 1, v56
	v_cndmask_b32_e64 v68, 0, 1, vcc
	v_lshlrev_b32_e32 v68, 2, v68
	v_add_lshl_u32 v68, v68, v63, 2
	ds_bpermute_b32 v70, v68, v39
	ds_bpermute_b32 v57, v68, v38
	v_cmp_eq_u32_e32 vcc, 1, v71
	v_add_u32_e32 v69, 4, v64
	s_waitcnt lgkmcnt(1)
	v_and_b32_e32 v70, 1, v70
	v_cndmask_b32_e64 v70, v70, 1, vcc
	v_cmp_eq_u16_sdwa vcc, v56, v55 src0_sel:BYTE_0 src1_sel:DWORD
	v_and_b32_e32 v71, 0xffff, v70
	s_waitcnt lgkmcnt(0)
	v_cndmask_b32_e32 v57, 0, v57, vcc
	v_cmp_gt_u32_e32 vcc, v69, v41
	s_nop 1
	v_cndmask_b32_e32 v56, v70, v56, vcc
	v_cndmask_b32_e64 v57, v57, 0, vcc
	v_cndmask_b32_e32 v39, v71, v39, vcc
	v_cmp_gt_u32_e32 vcc, 56, v64
	v_add_u32_e32 v38, v57, v38
	v_and_b32_e32 v73, 1, v56
	v_cndmask_b32_e64 v70, 0, 1, vcc
	v_lshlrev_b32_e32 v70, 3, v70
	v_add_lshl_u32 v70, v70, v63, 2
	ds_bpermute_b32 v72, v70, v39
	ds_bpermute_b32 v57, v70, v38
	v_cmp_eq_u32_e32 vcc, 1, v73
	v_add_u32_e32 v71, 8, v64
	s_waitcnt lgkmcnt(1)
	v_and_b32_e32 v72, 1, v72
	v_cndmask_b32_e64 v72, v72, 1, vcc
	v_cmp_eq_u16_sdwa vcc, v56, v55 src0_sel:BYTE_0 src1_sel:DWORD
	v_and_b32_e32 v73, 0xffff, v72
	;; [unrolled: 22-line block ×3, first 2 shown]
	s_waitcnt lgkmcnt(0)
	v_cndmask_b32_e32 v57, 0, v57, vcc
	v_cmp_gt_u32_e32 vcc, v73, v41
	s_nop 1
	v_cndmask_b32_e32 v56, v74, v56, vcc
	v_cndmask_b32_e64 v57, v57, 0, vcc
	v_cndmask_b32_e32 v39, v75, v39, vcc
	v_cmp_gt_u32_e32 vcc, 32, v64
	v_add_u32_e32 v38, v57, v38
	s_nop 0
	v_cndmask_b32_e64 v74, 0, 1, vcc
	v_lshlrev_b32_e32 v74, 5, v74
	v_add_lshl_u32 v75, v74, v63, 2
	ds_bpermute_b32 v39, v75, v39
	ds_bpermute_b32 v57, v75, v38
	v_and_b32_e32 v63, 1, v56
	v_cmp_eq_u32_e32 vcc, 1, v63
	s_waitcnt lgkmcnt(1)
	v_and_b32_e32 v39, 1, v39
	v_cndmask_b32_e64 v39, v39, 1, vcc
	v_cmp_eq_u16_sdwa vcc, v56, v55 src0_sel:BYTE_0 src1_sel:DWORD
	s_waitcnt lgkmcnt(0)
	s_nop 0
	v_cndmask_b32_e32 v57, 0, v57, vcc
	v_cmp_gt_u32_e32 vcc, v76, v41
	s_nop 1
	v_cndmask_b32_e64 v41, v57, 0, vcc
	v_cndmask_b32_e32 v39, v39, v56, vcc
	v_add_u32_e32 v38, v41, v38
	s_branch .LBB1044_156
.LBB1044_155:                           ;   in Loop: Header=BB1044_156 Depth=1
	s_or_b64 exec, exec, s[46:47]
	v_cmp_eq_u16_sdwa s[46:47], v40, v35 src0_sel:BYTE_0 src1_sel:DWORD
	ds_bpermute_b32 v57, v65, v39
	v_and_b32_e32 v77, 1, v39
	v_and_b32_e32 v41, s47, v37
	v_or_b32_e32 v41, 0x80000000, v41
	v_and_b32_e32 v56, s46, v36
	v_ffbl_b32_e32 v41, v41
	v_add_u32_e32 v41, 32, v41
	v_ffbl_b32_e32 v56, v56
	v_min_u32_e32 v41, v56, v41
	ds_bpermute_b32 v56, v65, v38
	s_waitcnt lgkmcnt(1)
	v_and_b32_e32 v57, 1, v57
	v_cmp_eq_u32_e32 vcc, 1, v77
	v_cmp_lt_u32_e64 s[46:47], v64, v41
	v_subrev_u32_e32 v54, 64, v54
	v_cndmask_b32_e64 v57, v57, 1, vcc
	v_cmp_gt_u64_e32 vcc, s[64:65], v[38:39]
	v_and_b32_e32 v77, 0xffff, v57
	v_cndmask_b32_e64 v57, v39, v57, s[46:47]
	v_cndmask_b32_e64 v39, v39, v77, s[46:47]
	s_and_b64 vcc, s[46:47], vcc
	ds_bpermute_b32 v77, v66, v39
	s_waitcnt lgkmcnt(1)
	v_cndmask_b32_e32 v56, 0, v56, vcc
	v_add_u32_e32 v38, v56, v38
	ds_bpermute_b32 v56, v66, v38
	v_and_b32_e32 v78, 1, v57
	s_waitcnt lgkmcnt(1)
	v_and_b32_e32 v77, 1, v77
	v_cmp_eq_u32_e32 vcc, 1, v78
	s_nop 1
	v_cndmask_b32_e64 v77, v77, 1, vcc
	v_cmp_eq_u16_sdwa vcc, v57, v55 src0_sel:BYTE_0 src1_sel:DWORD
	v_and_b32_e32 v78, 0xffff, v77
	s_waitcnt lgkmcnt(0)
	v_cndmask_b32_e32 v56, 0, v56, vcc
	v_cmp_gt_u32_e32 vcc, v67, v41
	s_nop 1
	v_cndmask_b32_e32 v39, v78, v39, vcc
	v_cndmask_b32_e32 v57, v77, v57, vcc
	ds_bpermute_b32 v77, v68, v39
	v_cndmask_b32_e64 v56, v56, 0, vcc
	v_add_u32_e32 v38, v56, v38
	ds_bpermute_b32 v56, v68, v38
	v_and_b32_e32 v78, 1, v57
	s_waitcnt lgkmcnt(1)
	v_and_b32_e32 v77, 1, v77
	v_cmp_eq_u32_e32 vcc, 1, v78
	s_nop 1
	v_cndmask_b32_e64 v77, v77, 1, vcc
	v_cmp_eq_u16_sdwa vcc, v57, v55 src0_sel:BYTE_0 src1_sel:DWORD
	v_and_b32_e32 v78, 0xffff, v77
	s_waitcnt lgkmcnt(0)
	v_cndmask_b32_e32 v56, 0, v56, vcc
	v_cmp_gt_u32_e32 vcc, v69, v41
	s_nop 1
	v_cndmask_b32_e32 v39, v78, v39, vcc
	v_cndmask_b32_e32 v57, v77, v57, vcc
	ds_bpermute_b32 v77, v70, v39
	v_cndmask_b32_e64 v56, v56, 0, vcc
	;; [unrolled: 18-line block ×3, first 2 shown]
	v_add_u32_e32 v38, v56, v38
	ds_bpermute_b32 v56, v72, v38
	v_and_b32_e32 v78, 1, v57
	s_waitcnt lgkmcnt(1)
	v_and_b32_e32 v77, 1, v77
	v_cmp_eq_u32_e32 vcc, 1, v78
	s_nop 1
	v_cndmask_b32_e64 v77, v77, 1, vcc
	v_cmp_eq_u16_sdwa vcc, v57, v55 src0_sel:BYTE_0 src1_sel:DWORD
	v_and_b32_e32 v78, 0xffff, v77
	s_waitcnt lgkmcnt(0)
	v_cndmask_b32_e32 v56, 0, v56, vcc
	v_cmp_gt_u32_e32 vcc, v73, v41
	s_nop 1
	v_cndmask_b32_e64 v56, v56, 0, vcc
	v_cndmask_b32_e32 v39, v78, v39, vcc
	ds_bpermute_b32 v39, v75, v39
	v_add_u32_e32 v38, v56, v38
	ds_bpermute_b32 v56, v75, v38
	v_cndmask_b32_e32 v57, v77, v57, vcc
	v_and_b32_e32 v77, 1, v57
	v_cmp_eq_u32_e32 vcc, 1, v77
	s_waitcnt lgkmcnt(1)
	s_nop 0
	v_cndmask_b32_e64 v39, v39, 1, vcc
	v_cmp_eq_u16_sdwa vcc, v57, v55 src0_sel:BYTE_0 src1_sel:DWORD
	s_waitcnt lgkmcnt(0)
	s_nop 0
	v_cndmask_b32_e32 v56, 0, v56, vcc
	v_cmp_gt_u32_e32 vcc, v76, v41
	s_nop 1
	v_cndmask_b32_e64 v41, v56, 0, vcc
	v_cndmask_b32_e32 v39, v39, v57, vcc
	v_add_u32_e32 v38, v41, v38
	v_cmp_eq_u16_sdwa vcc, v63, v55 src0_sel:BYTE_0 src1_sel:DWORD
	v_and_b32_e32 v41, 1, v63
	v_and_b32_e32 v39, 1, v39
	v_cndmask_b32_e32 v38, 0, v38, vcc
	v_cmp_eq_u32_e32 vcc, 1, v41
	v_add_u32_e32 v38, v38, v74
	s_nop 0
	v_cndmask_b32_e64 v39, v39, 1, vcc
.LBB1044_156:                           ; =>This Loop Header: Depth=1
                                        ;     Child Loop BB1044_159 Depth 2
	v_cmp_ne_u16_sdwa s[46:47], v40, v35 src0_sel:BYTE_0 src1_sel:DWORD
	v_mov_b32_e32 v63, v39
	v_mov_b32_e32 v74, v38
	v_cndmask_b32_e64 v39, 0, 1, s[46:47]
	;;#ASMSTART
	;;#ASMEND
	s_nop 0
	v_cmp_ne_u32_e32 vcc, 0, v39
	s_cmp_lg_u64 vcc, exec
	s_cbranch_scc1 .LBB1044_161
; %bb.157:                              ;   in Loop: Header=BB1044_156 Depth=1
	v_lshl_add_u64 v[56:57], v[54:55], 4, s[52:53]
	;;#ASMSTART
	global_load_dwordx4 v[38:41], v[56:57] off sc1	
s_waitcnt vmcnt(0)
	;;#ASMEND
	s_nop 0
	v_and_b32_e32 v41, 0xff0000, v38
	v_and_b32_e32 v77, 0xff000000, v38
	;; [unrolled: 1-line block ×3, first 2 shown]
	v_or_b32_sdwa v38, v38, v41 dst_sel:DWORD dst_unused:UNUSED_PAD src0_sel:WORD_0 src1_sel:DWORD
	v_or3_b32 v39, 0, 0, v39
	v_or3_b32 v38, v38, v77, 0
	v_cmp_eq_u16_sdwa s[66:67], v40, v55 src0_sel:BYTE_0 src1_sel:DWORD
	s_and_saveexec_b64 s[46:47], s[66:67]
	s_cbranch_execz .LBB1044_155
; %bb.158:                              ;   in Loop: Header=BB1044_156 Depth=1
	s_mov_b64 s[66:67], 0
.LBB1044_159:                           ;   Parent Loop BB1044_156 Depth=1
                                        ; =>  This Inner Loop Header: Depth=2
	;;#ASMSTART
	global_load_dwordx4 v[38:41], v[56:57] off sc1	
s_waitcnt vmcnt(0)
	;;#ASMEND
	s_nop 0
	v_cmp_ne_u16_sdwa s[68:69], v40, v55 src0_sel:BYTE_0 src1_sel:DWORD
	s_or_b64 s[66:67], s[68:69], s[66:67]
	s_andn2_b64 exec, exec, s[66:67]
	s_cbranch_execnz .LBB1044_159
; %bb.160:                              ;   in Loop: Header=BB1044_156 Depth=1
	s_or_b64 exec, exec, s[66:67]
	v_and_b32_e32 v39, 0xff, v39
	s_branch .LBB1044_155
.LBB1044_161:                           ;   in Loop: Header=BB1044_156 Depth=1
                                        ; implicit-def: $vgpr39
                                        ; implicit-def: $vgpr38
                                        ; implicit-def: $vgpr40
	s_cbranch_execz .LBB1044_156
; %bb.162:
	s_and_saveexec_b64 s[46:47], s[42:43]
	s_cbranch_execz .LBB1044_164
; %bb.163:
	s_and_b32 s55, s3, 0xff
	s_cmp_eq_u32 s55, 0
	s_cselect_b64 vcc, -1, 0
	s_bitcmp1_b32 s3, 0
	s_mov_b32 s65, 0
	s_cselect_b64 s[66:67], -1, 0
	s_add_i32 s64, s2, 64
	s_lshl_b64 s[2:3], s[64:65], 4
	v_cndmask_b32_e32 v35, 0, v74, vcc
	s_add_u32 s2, s52, s2
	v_add_u32_e32 v34, v35, v34
	v_and_b32_e32 v35, 1, v63
	s_addc_u32 s3, s53, s3
	v_mov_b32_e32 v37, 0
	v_cndmask_b32_e64 v35, v35, 1, s[66:67]
	v_mov_b32_e32 v36, 2
	v_mov_b64_e32 v[38:39], s[2:3]
	;;#ASMSTART
	global_store_dwordx4 v[38:39], v[34:37] off sc1	
s_waitcnt vmcnt(0)
	;;#ASMEND
.LBB1044_164:
	s_or_b64 exec, exec, s[46:47]
	v_cmp_eq_u32_e32 vcc, 0, v0
	s_and_b64 exec, exec, vcc
	s_cbranch_execz .LBB1044_166
; %bb.165:
	v_mov_b32_e32 v34, 0
	ds_write_b32 v34, v74 offset:24
	ds_write_b8 v34, v63 offset:28
.LBB1044_166:
	s_or_b64 exec, exec, s[56:57]
	v_mov_b32_e32 v34, 0
	s_waitcnt lgkmcnt(0)
	s_barrier
	ds_read_b32 v35, v34 offset:24
	v_cndmask_b32_e64 v36, v62, v60, s[42:43]
	v_cmp_eq_u16_sdwa vcc, v36, v34 src0_sel:BYTE_0 src1_sel:DWORD
	v_cndmask_b32_e64 v37, v61, v59, s[42:43]
	s_waitcnt lgkmcnt(0)
	v_cndmask_b32_e32 v36, 0, v35, vcc
	v_add_u32_e32 v36, v36, v37
	v_cmp_eq_u32_e32 vcc, 0, v0
	s_nop 1
	v_cndmask_b32_e32 v39, v36, v35, vcc
	v_and_b32_e32 v35, 0xff, v43
	v_cmp_eq_u64_e32 vcc, 0, v[34:35]
	s_nop 1
	v_cndmask_b32_e32 v34, 0, v39, vcc
	v_add_u32_e32 v35, v34, v42
	v_cndmask_b32_e64 v34, 0, v35, s[44:45]
	v_add_u32_e32 v36, v34, v8
	v_cndmask_b32_e64 v34, 0, v36, s[4:5]
	;; [unrolled: 2-line block ×19, first 2 shown]
	v_add_u32_e32 v34, v34, v32
	s_branch .LBB1044_181
.LBB1044_167:
                                        ; implicit-def: $vgpr67
                                        ; implicit-def: $vgpr66
                                        ; implicit-def: $vgpr65
                                        ; implicit-def: $vgpr64
                                        ; implicit-def: $vgpr63
                                        ; implicit-def: $vgpr62
                                        ; implicit-def: $vgpr61
                                        ; implicit-def: $vgpr60
                                        ; implicit-def: $vgpr59
                                        ; implicit-def: $vgpr57
                                        ; implicit-def: $vgpr56
                                        ; implicit-def: $vgpr55
                                        ; implicit-def: $vgpr54
                                        ; implicit-def: $vgpr41
                                        ; implicit-def: $vgpr40
                                        ; implicit-def: $vgpr38
                                        ; implicit-def: $vgpr37
                                        ; implicit-def: $vgpr36
                                        ; implicit-def: $vgpr35
                                        ; implicit-def: $vgpr39
                                        ; implicit-def: $vgpr34
	s_cbranch_execz .LBB1044_181
; %bb.168:
	s_cmp_lg_u64 s[62:63], 0
	s_cselect_b32 s3, s59, 0
	s_cselect_b32 s2, s58, 0
	s_mov_b32 s42, 0
	s_cmp_eq_u64 s[2:3], 0
	v_mov_b32_e32 v68, s72
	s_cbranch_scc1 .LBB1044_170
; %bb.169:
	v_mov_b32_e32 v34, 0
	global_load_dword v68, v34, s[2:3]
.LBB1044_170:
	s_mov_b32 s43, 1
	v_cmp_gt_u64_e32 vcc, s[42:43], v[8:9]
	v_cmp_gt_u64_e64 s[2:3], s[42:43], v[6:7]
	v_cmp_gt_u64_e64 s[4:5], s[42:43], v[4:5]
	v_cndmask_b32_e32 v35, 0, v42, vcc
	v_add_u32_e32 v35, v35, v8
	v_cndmask_b32_e64 v35, 0, v35, s[2:3]
	v_add_u32_e32 v35, v35, v6
	v_cndmask_b32_e64 v35, 0, v35, s[4:5]
	v_add_u32_e32 v35, v35, v4
	v_cmp_gt_u64_e64 s[6:7], s[42:43], v[2:3]
	v_cmp_gt_u64_e64 s[8:9], s[42:43], v[44:45]
	v_cmp_gt_u64_e64 s[10:11], s[42:43], v[16:17]
	v_cndmask_b32_e64 v35, 0, v35, s[6:7]
	v_add_u32_e32 v35, v35, v2
	v_cndmask_b32_e64 v35, 0, v35, s[8:9]
	v_add_u32_e32 v35, v35, v44
	v_cndmask_b32_e64 v35, 0, v35, s[10:11]
	v_add_u32_e32 v35, v35, v16
	v_cmp_gt_u64_e64 s[12:13], s[42:43], v[14:15]
	v_cmp_gt_u64_e64 s[14:15], s[42:43], v[12:13]
	v_cmp_gt_u64_e64 s[16:17], s[42:43], v[10:11]
	v_cndmask_b32_e64 v35, 0, v35, s[12:13]
	;; [unrolled: 9-line block ×5, first 2 shown]
	v_add_u32_e32 v35, v35, v26
	v_cndmask_b32_e64 v35, 0, v35, s[34:35]
	v_add_u32_e32 v35, v35, v28
	v_cndmask_b32_e64 v35, 0, v35, s[36:37]
	v_add_u32_e32 v35, v35, v30
	v_cmp_gt_u64_e64 s[38:39], s[42:43], v[32:33]
	v_or_b32_e32 v23, v31, v23
	v_mov_b32_e32 v34, 0
	v_cndmask_b32_e64 v35, 0, v35, s[38:39]
	v_add_u32_e32 v35, v35, v32
	v_cmp_gt_u64_e64 s[42:43], s[42:43], v[52:53]
	v_or_b32_e32 v25, v33, v25
	v_or3_b32 v7, v23, v15, v7
	v_cndmask_b32_e64 v35, 0, v35, s[42:43]
	v_or_b32_e32 v19, v27, v19
	v_or3_b32 v9, v25, v17, v9
	v_and_b32_e32 v41, 1, v7
	v_mov_b32_e32 v40, v34
	v_and_b32_e32 v36, 1, v45
	v_add_u32_e32 v45, v35, v52
	v_and_b32_e32 v35, 1, v53
	v_or_b32_e32 v21, v29, v21
	v_or3_b32 v3, v19, v11, v3
	v_and_b32_e32 v39, 1, v9
	v_mov_b32_e32 v38, v34
	v_cmp_ne_u64_e64 s[44:45], 0, v[40:41]
	v_cmp_eq_u32_e64 s[42:43], 1, v35
	v_or3_b32 v5, v21, v13, v5
	v_and_b32_e32 v35, 1, v3
	v_cndmask_b32_e64 v3, 0, 1, s[44:45]
	v_cmp_ne_u64_e64 s[44:45], 0, v[38:39]
	v_cmp_eq_u32_e64 s[40:41], 1, v36
	v_and_b32_e32 v37, 1, v5
	v_mov_b32_e32 v36, v34
	v_cndmask_b32_e64 v5, 0, 1, s[44:45]
	v_lshlrev_b16_e32 v3, 2, v3
	v_lshlrev_b16_e32 v5, 3, v5
	v_cmp_ne_u64_e64 s[44:45], 0, v[36:37]
	v_or_b32_e32 v3, v5, v3
	v_mov_b32_dpp v11, v45 row_shr:1 row_mask:0xf bank_mask:0xf
	v_cndmask_b32_e64 v5, 0, 1, s[44:45]
	v_cmp_ne_u64_e64 s[44:45], 0, v[34:35]
	v_lshlrev_b16_e32 v5, 1, v5
	s_nop 0
	v_cndmask_b32_e64 v7, 0, 1, s[44:45]
	v_or_b32_e32 v5, v7, v5
	v_and_b32_e32 v5, 3, v5
	v_or_b32_e32 v3, v5, v3
	v_and_b32_e32 v3, 15, v3
	v_cmp_ne_u16_e64 s[44:45], 0, v3
	v_or_b32_e32 v3, v49, v47
	v_and_b32_e32 v3, 1, v3
	s_or_b64 s[44:45], s[42:43], s[44:45]
	v_cmp_eq_u32_e64 s[42:43], 1, v3
	s_or_b64 s[42:43], s[44:45], s[42:43]
	s_or_b64 s[40:41], s[42:43], s[40:41]
	v_cndmask_b32_e64 v5, v43, 1, s[40:41]
	v_and_b32_e32 v7, 0xff, v5
	v_cmp_eq_u16_e64 s[40:41], 0, v7
	v_and_b32_e32 v15, 1, v5
	v_mov_b32_dpp v13, v7 row_shr:1 row_mask:0xf bank_mask:0xf
	v_mbcnt_hi_u32_b32 v3, -1, v58
	v_cndmask_b32_e64 v11, 0, v11, s[40:41]
	v_and_b32_e32 v13, 1, v13
	v_cmp_eq_u32_e64 s[40:41], 1, v15
	v_and_b32_e32 v9, 15, v3
	s_nop 0
	v_cndmask_b32_e64 v13, v13, 1, s[40:41]
	v_and_b32_e32 v15, 0xffff, v13
	v_cmp_eq_u32_e64 s[40:41], 0, v9
	s_nop 1
	v_cndmask_b32_e64 v5, v13, v5, s[40:41]
	v_cndmask_b32_e64 v7, v15, v7, s[40:41]
	v_and_b32_e32 v17, 1, v5
	v_cndmask_b32_e64 v11, v11, 0, s[40:41]
	v_mov_b32_dpp v15, v7 row_shr:2 row_mask:0xf bank_mask:0xf
	v_and_b32_e32 v15, 1, v15
	v_cmp_eq_u32_e64 s[40:41], 1, v17
	v_add_u32_e32 v11, v11, v45
	v_cmp_eq_u16_sdwa s[42:43], v5, v34 src0_sel:BYTE_0 src1_sel:DWORD
	v_cndmask_b32_e64 v15, v15, 1, s[40:41]
	v_and_b32_e32 v17, 0xffff, v15
	v_cmp_lt_u32_e64 s[40:41], 1, v9
	v_mov_b32_dpp v13, v11 row_shr:2 row_mask:0xf bank_mask:0xf
	s_nop 0
	v_cndmask_b32_e64 v5, v5, v15, s[40:41]
	v_cndmask_b32_e64 v7, v7, v17, s[40:41]
	s_and_b64 s[40:41], s[40:41], s[42:43]
	v_and_b32_e32 v17, 1, v5
	v_mov_b32_dpp v15, v7 row_shr:4 row_mask:0xf bank_mask:0xf
	v_cndmask_b32_e64 v13, 0, v13, s[40:41]
	v_and_b32_e32 v15, 1, v15
	v_cmp_eq_u32_e64 s[40:41], 1, v17
	v_add_u32_e32 v11, v13, v11
	v_cmp_eq_u16_sdwa s[42:43], v5, v34 src0_sel:BYTE_0 src1_sel:DWORD
	v_cndmask_b32_e64 v15, v15, 1, s[40:41]
	v_and_b32_e32 v17, 0xffff, v15
	v_cmp_lt_u32_e64 s[40:41], 3, v9
	v_mov_b32_dpp v13, v11 row_shr:4 row_mask:0xf bank_mask:0xf
	s_nop 0
	v_cndmask_b32_e64 v5, v5, v15, s[40:41]
	v_cndmask_b32_e64 v7, v7, v17, s[40:41]
	s_and_b64 s[40:41], s[40:41], s[42:43]
	v_and_b32_e32 v17, 1, v5
	v_mov_b32_dpp v15, v7 row_shr:8 row_mask:0xf bank_mask:0xf
	v_cndmask_b32_e64 v13, 0, v13, s[40:41]
	v_and_b32_e32 v15, 1, v15
	v_cmp_eq_u32_e64 s[40:41], 1, v17
	v_add_u32_e32 v11, v13, v11
	v_cmp_eq_u16_sdwa s[42:43], v5, v34 src0_sel:BYTE_0 src1_sel:DWORD
	v_cndmask_b32_e64 v15, v15, 1, s[40:41]
	v_and_b32_e32 v17, 0xffff, v15
	v_cmp_lt_u32_e64 s[40:41], 7, v9
	v_mov_b32_dpp v13, v11 row_shr:8 row_mask:0xf bank_mask:0xf
	s_nop 0
	v_cndmask_b32_e64 v5, v5, v15, s[40:41]
	v_cndmask_b32_e64 v7, v7, v17, s[40:41]
	s_and_b64 s[40:41], s[40:41], s[42:43]
	v_cndmask_b32_e64 v9, 0, v13, s[40:41]
	v_add_u32_e32 v9, v9, v11
	v_mov_b32_dpp v13, v7 row_bcast:15 row_mask:0xf bank_mask:0xf
	v_cmp_eq_u16_sdwa s[40:41], v5, v34 src0_sel:BYTE_0 src1_sel:DWORD
	v_mov_b32_dpp v11, v9 row_bcast:15 row_mask:0xf bank_mask:0xf
	v_and_b32_e32 v19, 1, v5
	v_cndmask_b32_e64 v11, 0, v11, s[40:41]
	v_and_b32_e32 v13, 1, v13
	v_cmp_eq_u32_e64 s[40:41], 1, v19
	v_and_b32_e32 v17, 16, v3
	v_bfe_i32 v15, v3, 4, 1
	v_cndmask_b32_e64 v13, v13, 1, s[40:41]
	v_and_b32_e32 v19, 0xffff, v13
	v_cmp_eq_u32_e64 s[40:41], 0, v17
	v_and_b32_e32 v11, v15, v11
	v_add_u32_e32 v9, v11, v9
	v_cndmask_b32_e64 v5, v13, v5, s[40:41]
	v_cndmask_b32_e64 v7, v19, v7, s[40:41]
	v_and_b32_e32 v13, 1, v5
	v_cmp_eq_u32_e64 s[40:41], 1, v13
	v_mov_b32_dpp v7, v7 row_bcast:31 row_mask:0xf bank_mask:0xf
	v_and_b32_e32 v7, 1, v7
	v_cmp_eq_u16_sdwa s[42:43], v5, v34 src0_sel:BYTE_0 src1_sel:DWORD
	v_cndmask_b32_e64 v7, v7, 1, s[40:41]
	v_cmp_lt_u32_e64 s[40:41], 31, v3
	v_mov_b32_dpp v11, v9 row_bcast:31 row_mask:0xf bank_mask:0xf
	s_nop 0
	v_cndmask_b32_e64 v5, v5, v7, s[40:41]
	s_and_b64 s[40:41], s[40:41], s[42:43]
	v_cndmask_b32_e64 v7, 0, v11, s[40:41]
	v_add_u32_e32 v7, v7, v9
	v_cmp_eq_u32_e64 s[40:41], v51, v0
	s_and_saveexec_b64 s[42:43], s[40:41]
	s_cbranch_execz .LBB1044_172
; %bb.171:
	v_lshlrev_b32_e32 v9, 3, v1
	ds_write_b32 v9, v7
	ds_write_b8 v9, v5 offset:4
.LBB1044_172:
	s_or_b64 exec, exec, s[42:43]
	v_cmp_gt_u32_e64 s[40:41], 4, v0
	s_waitcnt lgkmcnt(0)
	s_barrier
	s_and_saveexec_b64 s[42:43], s[40:41]
	s_cbranch_execz .LBB1044_176
; %bb.173:
	v_lshlrev_b32_e32 v9, 3, v0
	ds_read_b64 v[34:35], v9
	v_and_b32_e32 v11, 3, v3
	v_cmp_ne_u32_e64 s[40:41], 0, v11
	s_waitcnt lgkmcnt(0)
	v_mov_b32_dpp v13, v34 row_shr:1 row_mask:0xf bank_mask:0xf
	v_mov_b32_dpp v17, v35 row_shr:1 row_mask:0xf bank_mask:0xf
	v_mov_b32_e32 v15, v35
	s_and_saveexec_b64 s[44:45], s[40:41]
	s_cbranch_execz .LBB1044_175
; %bb.174:
	v_and_b32_e32 v15, 1, v35
	v_and_b32_e32 v17, 1, v17
	v_cmp_eq_u32_e64 s[40:41], 1, v15
	v_mov_b32_e32 v15, 0
	s_nop 0
	v_cndmask_b32_e64 v17, v17, 1, s[40:41]
	v_cmp_eq_u16_sdwa s[40:41], v35, v15 src0_sel:BYTE_0 src1_sel:DWORD
	s_nop 1
	v_cndmask_b32_e64 v13, 0, v13, s[40:41]
	v_add_u32_e32 v34, v13, v34
	v_and_b32_e32 v13, 0xffff, v17
	s_movk_i32 s40, 0xff00
	v_and_or_b32 v15, v35, s40, v13
	v_mov_b32_e32 v35, v17
.LBB1044_175:
	s_or_b64 exec, exec, s[44:45]
	v_mov_b32_dpp v15, v15 row_shr:2 row_mask:0xf bank_mask:0xf
	v_and_b32_e32 v17, 1, v35
	v_and_b32_e32 v15, 1, v15
	v_cmp_eq_u32_e64 s[40:41], 1, v17
	v_mov_b32_e32 v17, 0
	v_cmp_eq_u16_sdwa s[44:45], v35, v17 src0_sel:BYTE_0 src1_sel:DWORD
	v_cndmask_b32_e64 v15, v15, 1, s[40:41]
	v_cmp_lt_u32_e64 s[40:41], 1, v11
	v_mov_b32_dpp v13, v34 row_shr:2 row_mask:0xf bank_mask:0xf
	s_nop 0
	v_cndmask_b32_e64 v11, v35, v15, s[40:41]
	s_and_b64 s[40:41], s[40:41], s[44:45]
	v_cndmask_b32_e64 v13, 0, v13, s[40:41]
	v_add_u32_e32 v13, v13, v34
	ds_write_b32 v9, v13
	ds_write_b8 v9, v11 offset:4
.LBB1044_176:
	s_or_b64 exec, exec, s[42:43]
	v_cmp_lt_u32_e64 s[40:41], 63, v0
	s_waitcnt vmcnt(0)
	v_mov_b32_e32 v9, v68
	s_waitcnt lgkmcnt(0)
	s_barrier
	s_and_saveexec_b64 s[42:43], s[40:41]
	s_cbranch_execz .LBB1044_178
; %bb.177:
	v_lshl_add_u32 v1, v1, 3, -8
	ds_read_u8 v9, v1 offset:4
	ds_read_b32 v1, v1
	s_waitcnt lgkmcnt(1)
	v_cmp_eq_u16_e64 s[40:41], 0, v9
	s_nop 1
	v_cndmask_b32_e64 v9, 0, v68, s[40:41]
	s_waitcnt lgkmcnt(0)
	v_add_u32_e32 v9, v9, v1
.LBB1044_178:
	s_or_b64 exec, exec, s[42:43]
	v_mov_b32_e32 v34, 0
	v_cmp_eq_u16_sdwa s[40:41], v5, v34 src0_sel:BYTE_0 src1_sel:DWORD
	v_add_u32_e32 v5, -1, v3
	v_and_b32_e32 v35, 0xff, v43
	v_cndmask_b32_e64 v1, 0, v9, s[40:41]
	v_add_u32_e32 v1, v1, v7
	v_and_b32_e32 v7, 64, v3
	v_cmp_lt_i32_e64 s[40:41], v5, v7
	v_cmp_eq_u64_e64 s[42:43], 0, v[34:35]
	s_nop 0
	v_cndmask_b32_e64 v5, v5, v3, s[40:41]
	v_lshlrev_b32_e32 v5, 2, v5
	ds_bpermute_b32 v1, v5, v1
	v_cmp_eq_u32_e64 s[40:41], 0, v3
	s_waitcnt lgkmcnt(0)
	s_nop 0
	v_cndmask_b32_e64 v39, v1, v9, s[40:41]
	v_cmp_eq_u32_e64 s[40:41], 0, v0
	s_nop 1
	v_cndmask_b32_e64 v1, v39, v68, s[40:41]
	v_cndmask_b32_e64 v1, 0, v1, s[42:43]
	v_add_u32_e32 v35, v1, v42
	v_cndmask_b32_e32 v1, 0, v35, vcc
	v_add_u32_e32 v36, v1, v8
	v_cndmask_b32_e64 v1, 0, v36, s[2:3]
	v_add_u32_e32 v37, v1, v6
	v_cndmask_b32_e64 v1, 0, v37, s[4:5]
	;; [unrolled: 2-line block ×18, first 2 shown]
	s_and_saveexec_b64 s[2:3], s[40:41]
	s_cbranch_execz .LBB1044_180
; %bb.179:
	ds_read_u8 v3, v34 offset:28
	ds_read_b32 v2, v34 offset:24
	s_add_u32 s4, s52, 0x400
	s_addc_u32 s5, s53, 0
	v_mov_b32_e32 v5, v34
	s_waitcnt lgkmcnt(1)
	v_cmp_eq_u16_e32 vcc, 0, v3
	v_and_b32_e32 v3, 0xffff, v3
	v_mov_b64_e32 v[6:7], s[4:5]
	v_cndmask_b32_e32 v4, 0, v68, vcc
	s_waitcnt lgkmcnt(0)
	v_add_u32_e32 v2, v4, v2
	v_mov_b32_e32 v4, 2
	;;#ASMSTART
	global_store_dwordx4 v[6:7], v[2:5] off sc1	
s_waitcnt vmcnt(0)
	;;#ASMEND
	v_mov_b32_e32 v39, v68
.LBB1044_180:
	s_or_b64 exec, exec, s[2:3]
	v_add_u32_e32 v34, v1, v32
.LBB1044_181:
	s_add_u32 s2, s50, s60
	s_addc_u32 s3, s51, s61
	s_add_u32 s2, s2, s48
	s_addc_u32 s3, s3, s49
	s_and_b64 vcc, exec, s[0:1]
	s_cbranch_vccz .LBB1044_223
; %bb.182:
	s_movk_i32 s0, 0x54
	v_mul_i32_i24_e32 v24, 0xffffffb0, v0
	v_mul_u32_u24_e32 v1, 0x54, v0
	v_mad_u32_u24 v2, v0, s0, v24
	s_barrier
	ds_write2_b32 v1, v39, v35 offset1:1
	ds_write2_b32 v1, v36, v37 offset0:2 offset1:3
	ds_write2_b32 v1, v38, v40 offset0:4 offset1:5
	;; [unrolled: 1-line block ×9, first 2 shown]
	ds_write_b32 v1, v34 offset:80
	s_waitcnt lgkmcnt(0)
	s_barrier
	ds_read2st64_b32 v[22:23], v2 offset0:4 offset1:8
	ds_read2st64_b32 v[20:21], v2 offset0:12 offset1:16
	;; [unrolled: 1-line block ×10, first 2 shown]
	s_add_i32 s33, s33, s54
	v_mov_b32_e32 v51, 0
	v_lshl_add_u64 v[4:5], s[2:3], 0, v[50:51]
	v_cmp_gt_u32_e32 vcc, s33, v0
	s_and_saveexec_b64 s[0:1], vcc
	s_cbranch_execz .LBB1044_184
; %bb.183:
	v_add_u32_e32 v1, v1, v24
	ds_read_b32 v1, v1
	s_waitcnt lgkmcnt(0)
	flat_store_short v[4:5], v1
.LBB1044_184:
	s_or_b64 exec, exec, s[0:1]
	v_or_b32_e32 v1, 0x100, v0
	v_cmp_gt_u32_e32 vcc, s33, v1
	s_and_saveexec_b64 s[0:1], vcc
	s_cbranch_execz .LBB1044_186
; %bb.185:
	s_waitcnt lgkmcnt(0)
	flat_store_short v[4:5], v22 offset:512
.LBB1044_186:
	s_or_b64 exec, exec, s[0:1]
	v_or_b32_e32 v1, 0x200, v0
	v_cmp_gt_u32_e32 vcc, s33, v1
	s_and_saveexec_b64 s[0:1], vcc
	s_cbranch_execz .LBB1044_188
; %bb.187:
	s_waitcnt lgkmcnt(0)
	flat_store_short v[4:5], v23 offset:1024
.LBB1044_188:
	s_or_b64 exec, exec, s[0:1]
	v_or_b32_e32 v1, 0x300, v0
	v_cmp_gt_u32_e32 vcc, s33, v1
	s_and_saveexec_b64 s[0:1], vcc
	s_cbranch_execz .LBB1044_190
; %bb.189:
	s_waitcnt lgkmcnt(0)
	flat_store_short v[4:5], v20 offset:1536
.LBB1044_190:
	s_or_b64 exec, exec, s[0:1]
	v_or_b32_e32 v1, 0x400, v0
	v_cmp_gt_u32_e32 vcc, s33, v1
	s_and_saveexec_b64 s[0:1], vcc
	s_cbranch_execz .LBB1044_192
; %bb.191:
	s_waitcnt lgkmcnt(0)
	flat_store_short v[4:5], v21 offset:2048
.LBB1044_192:
	s_or_b64 exec, exec, s[0:1]
	v_or_b32_e32 v1, 0x500, v0
	v_cmp_gt_u32_e32 vcc, s33, v1
	s_and_saveexec_b64 s[0:1], vcc
	s_cbranch_execz .LBB1044_194
; %bb.193:
	s_waitcnt lgkmcnt(0)
	flat_store_short v[4:5], v18 offset:2560
.LBB1044_194:
	s_or_b64 exec, exec, s[0:1]
	v_or_b32_e32 v1, 0x600, v0
	v_cmp_gt_u32_e32 vcc, s33, v1
	s_and_saveexec_b64 s[0:1], vcc
	s_cbranch_execz .LBB1044_196
; %bb.195:
	s_waitcnt lgkmcnt(0)
	flat_store_short v[4:5], v19 offset:3072
.LBB1044_196:
	s_or_b64 exec, exec, s[0:1]
	v_or_b32_e32 v1, 0x700, v0
	v_cmp_gt_u32_e32 vcc, s33, v1
	s_and_saveexec_b64 s[0:1], vcc
	s_cbranch_execz .LBB1044_198
; %bb.197:
	s_waitcnt lgkmcnt(0)
	flat_store_short v[4:5], v16 offset:3584
.LBB1044_198:
	s_or_b64 exec, exec, s[0:1]
	v_or_b32_e32 v1, 0x800, v0
	v_cmp_gt_u32_e32 vcc, s33, v1
	s_and_saveexec_b64 s[0:1], vcc
	s_cbranch_execz .LBB1044_200
; %bb.199:
	s_waitcnt lgkmcnt(0)
	v_add_co_u32_e32 v18, vcc, 0x1000, v4
	s_nop 1
	v_addc_co_u32_e32 v19, vcc, 0, v5, vcc
	flat_store_short v[18:19], v17
.LBB1044_200:
	s_or_b64 exec, exec, s[0:1]
	v_or_b32_e32 v1, 0x900, v0
	v_cmp_gt_u32_e32 vcc, s33, v1
	s_and_saveexec_b64 s[0:1], vcc
	s_cbranch_execz .LBB1044_202
; %bb.201:
	s_waitcnt lgkmcnt(0)
	v_add_co_u32_e32 v16, vcc, 0x1000, v4
	s_nop 1
	v_addc_co_u32_e32 v17, vcc, 0, v5, vcc
	flat_store_short v[16:17], v14 offset:512
.LBB1044_202:
	s_or_b64 exec, exec, s[0:1]
	v_or_b32_e32 v1, 0xa00, v0
	v_cmp_gt_u32_e32 vcc, s33, v1
	s_and_saveexec_b64 s[0:1], vcc
	s_cbranch_execz .LBB1044_204
; %bb.203:
	s_waitcnt lgkmcnt(0)
	v_add_co_u32_e32 v16, vcc, 0x1000, v4
	s_nop 1
	v_addc_co_u32_e32 v17, vcc, 0, v5, vcc
	flat_store_short v[16:17], v15 offset:1024
.LBB1044_204:
	;; [unrolled: 12-line block ×7, first 2 shown]
	s_or_b64 exec, exec, s[0:1]
	v_or_b32_e32 v1, 0x1000, v0
	v_cmp_gt_u32_e32 vcc, s33, v1
	s_and_saveexec_b64 s[0:1], vcc
	s_cbranch_execz .LBB1044_216
; %bb.215:
	s_waitcnt lgkmcnt(0)
	v_add_co_u32_e32 v10, vcc, 0x2000, v4
	s_nop 1
	v_addc_co_u32_e32 v11, vcc, 0, v5, vcc
	flat_store_short v[10:11], v9
.LBB1044_216:
	s_or_b64 exec, exec, s[0:1]
	v_or_b32_e32 v1, 0x1100, v0
	v_cmp_gt_u32_e32 vcc, s33, v1
	s_and_saveexec_b64 s[0:1], vcc
	s_cbranch_execz .LBB1044_218
; %bb.217:
	s_waitcnt lgkmcnt(0)
	v_add_co_u32_e32 v8, vcc, 0x2000, v4
	s_nop 1
	v_addc_co_u32_e32 v9, vcc, 0, v5, vcc
	flat_store_short v[8:9], v6 offset:512
.LBB1044_218:
	s_or_b64 exec, exec, s[0:1]
	v_or_b32_e32 v1, 0x1200, v0
	v_cmp_gt_u32_e32 vcc, s33, v1
	s_and_saveexec_b64 s[0:1], vcc
	s_cbranch_execz .LBB1044_220
; %bb.219:
	s_waitcnt lgkmcnt(0)
	v_add_co_u32_e32 v8, vcc, 0x2000, v4
	s_nop 1
	v_addc_co_u32_e32 v9, vcc, 0, v5, vcc
	flat_store_short v[8:9], v7 offset:1024
.LBB1044_220:
	s_or_b64 exec, exec, s[0:1]
	v_or_b32_e32 v1, 0x1300, v0
	v_cmp_gt_u32_e32 vcc, s33, v1
	s_and_saveexec_b64 s[0:1], vcc
	s_cbranch_execz .LBB1044_222
; %bb.221:
	v_add_co_u32_e32 v4, vcc, 0x2000, v4
	s_nop 1
	v_addc_co_u32_e32 v5, vcc, 0, v5, vcc
	s_waitcnt lgkmcnt(0)
	flat_store_short v[4:5], v2 offset:1536
.LBB1044_222:
	s_or_b64 exec, exec, s[0:1]
	s_waitcnt lgkmcnt(0)
	v_or_b32_e32 v2, 0x1400, v0
	v_mov_b32_e32 v1, v51
	v_cmp_gt_u32_e64 s[0:1], s33, v2
	s_branch .LBB1044_225
.LBB1044_223:
	s_mov_b64 s[0:1], 0
                                        ; implicit-def: $vgpr3
	s_cbranch_execz .LBB1044_225
; %bb.224:
	v_mul_u32_u24_e32 v1, 0x54, v0
	s_barrier
	s_movk_i32 s4, 0x54
	ds_write2_b32 v1, v39, v35 offset1:1
	ds_write2_b32 v1, v36, v37 offset0:2 offset1:3
	ds_write2_b32 v1, v38, v40 offset0:4 offset1:5
	;; [unrolled: 1-line block ×9, first 2 shown]
	ds_write_b32 v1, v34 offset:80
	v_mov_b32_e32 v1, 0
	v_mul_i32_i24_e32 v2, 0xffffffb0, v0
	v_mad_u32_u24 v2, v0, s4, v2
	v_mov_b32_e32 v51, v1
	s_waitcnt lgkmcnt(0)
	s_barrier
	ds_read2st64_b32 v[4:5], v2 offset1:4
	ds_read2st64_b32 v[6:7], v2 offset0:8 offset1:12
	ds_read2st64_b32 v[8:9], v2 offset0:16 offset1:20
	;; [unrolled: 1-line block ×9, first 2 shown]
	ds_read_b32 v3, v2 offset:20480
	v_lshl_add_u64 v[24:25], s[2:3], 0, v[50:51]
	s_movk_i32 s4, 0x1000
	s_waitcnt lgkmcnt(0)
	flat_store_short v[24:25], v4
	flat_store_short v[24:25], v5 offset:512
	flat_store_short v[24:25], v6 offset:1024
	;; [unrolled: 1-line block ×7, first 2 shown]
	v_add_co_u32_e32 v4, vcc, s4, v24
	s_or_b64 s[0:1], s[0:1], exec
	s_nop 0
	v_addc_co_u32_e32 v5, vcc, 0, v25, vcc
	flat_store_short v[4:5], v12
	flat_store_short v[4:5], v13 offset:512
	flat_store_short v[4:5], v14 offset:1024
	flat_store_short v[4:5], v15 offset:1536
	flat_store_short v[4:5], v16 offset:2048
	flat_store_short v[4:5], v17 offset:2560
	flat_store_short v[4:5], v18 offset:3072
	flat_store_short v[4:5], v19 offset:3584
	v_add_co_u32_e32 v4, vcc, 0x2000, v24
	s_nop 1
	v_addc_co_u32_e32 v5, vcc, 0, v25, vcc
	flat_store_short v[4:5], v20
	flat_store_short v[4:5], v21 offset:512
	flat_store_short v[4:5], v22 offset:1024
	;; [unrolled: 1-line block ×3, first 2 shown]
.LBB1044_225:
	s_and_saveexec_b64 s[4:5], s[0:1]
	s_cbranch_execz .LBB1044_227
; %bb.226:
	v_lshl_add_u64 v[0:1], v[0:1], 1, s[2:3]
	v_add_co_u32_e32 v0, vcc, 0x2000, v0
	s_nop 1
	v_addc_co_u32_e32 v1, vcc, 0, v1, vcc
	flat_store_short v[0:1], v3 offset:2048
	s_endpgm
.LBB1044_227:
	s_endpgm
	.section	.rodata,"a",@progbits
	.p2align	6, 0x0
	.amdhsa_kernel _ZN7rocprim17ROCPRIM_400000_NS6detail17trampoline_kernelINS0_14default_configENS1_27scan_by_key_config_selectorIsiEEZZNS1_16scan_by_key_implILNS1_25lookback_scan_determinismE0ELb1ES3_N6thrust23THRUST_200600_302600_NS6detail15normal_iteratorINS9_10device_ptrIsEEEESE_SE_iNS9_4plusIvEENS9_8equal_toIvEEiEE10hipError_tPvRmT2_T3_T4_T5_mT6_T7_P12ihipStream_tbENKUlT_T0_E_clISt17integral_constantIbLb0EESZ_EEDaSU_SV_EUlSU_E_NS1_11comp_targetILNS1_3genE5ELNS1_11target_archE942ELNS1_3gpuE9ELNS1_3repE0EEENS1_30default_config_static_selectorELNS0_4arch9wavefront6targetE1EEEvT1_
		.amdhsa_group_segment_fixed_size 21504
		.amdhsa_private_segment_fixed_size 0
		.amdhsa_kernarg_size 112
		.amdhsa_user_sgpr_count 2
		.amdhsa_user_sgpr_dispatch_ptr 0
		.amdhsa_user_sgpr_queue_ptr 0
		.amdhsa_user_sgpr_kernarg_segment_ptr 1
		.amdhsa_user_sgpr_dispatch_id 0
		.amdhsa_user_sgpr_kernarg_preload_length 0
		.amdhsa_user_sgpr_kernarg_preload_offset 0
		.amdhsa_user_sgpr_private_segment_size 0
		.amdhsa_uses_dynamic_stack 0
		.amdhsa_enable_private_segment 0
		.amdhsa_system_sgpr_workgroup_id_x 1
		.amdhsa_system_sgpr_workgroup_id_y 0
		.amdhsa_system_sgpr_workgroup_id_z 0
		.amdhsa_system_sgpr_workgroup_info 0
		.amdhsa_system_vgpr_workitem_id 0
		.amdhsa_next_free_vgpr 79
		.amdhsa_next_free_sgpr 84
		.amdhsa_accum_offset 80
		.amdhsa_reserve_vcc 1
		.amdhsa_float_round_mode_32 0
		.amdhsa_float_round_mode_16_64 0
		.amdhsa_float_denorm_mode_32 3
		.amdhsa_float_denorm_mode_16_64 3
		.amdhsa_dx10_clamp 1
		.amdhsa_ieee_mode 1
		.amdhsa_fp16_overflow 0
		.amdhsa_tg_split 0
		.amdhsa_exception_fp_ieee_invalid_op 0
		.amdhsa_exception_fp_denorm_src 0
		.amdhsa_exception_fp_ieee_div_zero 0
		.amdhsa_exception_fp_ieee_overflow 0
		.amdhsa_exception_fp_ieee_underflow 0
		.amdhsa_exception_fp_ieee_inexact 0
		.amdhsa_exception_int_div_zero 0
	.end_amdhsa_kernel
	.section	.text._ZN7rocprim17ROCPRIM_400000_NS6detail17trampoline_kernelINS0_14default_configENS1_27scan_by_key_config_selectorIsiEEZZNS1_16scan_by_key_implILNS1_25lookback_scan_determinismE0ELb1ES3_N6thrust23THRUST_200600_302600_NS6detail15normal_iteratorINS9_10device_ptrIsEEEESE_SE_iNS9_4plusIvEENS9_8equal_toIvEEiEE10hipError_tPvRmT2_T3_T4_T5_mT6_T7_P12ihipStream_tbENKUlT_T0_E_clISt17integral_constantIbLb0EESZ_EEDaSU_SV_EUlSU_E_NS1_11comp_targetILNS1_3genE5ELNS1_11target_archE942ELNS1_3gpuE9ELNS1_3repE0EEENS1_30default_config_static_selectorELNS0_4arch9wavefront6targetE1EEEvT1_,"axG",@progbits,_ZN7rocprim17ROCPRIM_400000_NS6detail17trampoline_kernelINS0_14default_configENS1_27scan_by_key_config_selectorIsiEEZZNS1_16scan_by_key_implILNS1_25lookback_scan_determinismE0ELb1ES3_N6thrust23THRUST_200600_302600_NS6detail15normal_iteratorINS9_10device_ptrIsEEEESE_SE_iNS9_4plusIvEENS9_8equal_toIvEEiEE10hipError_tPvRmT2_T3_T4_T5_mT6_T7_P12ihipStream_tbENKUlT_T0_E_clISt17integral_constantIbLb0EESZ_EEDaSU_SV_EUlSU_E_NS1_11comp_targetILNS1_3genE5ELNS1_11target_archE942ELNS1_3gpuE9ELNS1_3repE0EEENS1_30default_config_static_selectorELNS0_4arch9wavefront6targetE1EEEvT1_,comdat
.Lfunc_end1044:
	.size	_ZN7rocprim17ROCPRIM_400000_NS6detail17trampoline_kernelINS0_14default_configENS1_27scan_by_key_config_selectorIsiEEZZNS1_16scan_by_key_implILNS1_25lookback_scan_determinismE0ELb1ES3_N6thrust23THRUST_200600_302600_NS6detail15normal_iteratorINS9_10device_ptrIsEEEESE_SE_iNS9_4plusIvEENS9_8equal_toIvEEiEE10hipError_tPvRmT2_T3_T4_T5_mT6_T7_P12ihipStream_tbENKUlT_T0_E_clISt17integral_constantIbLb0EESZ_EEDaSU_SV_EUlSU_E_NS1_11comp_targetILNS1_3genE5ELNS1_11target_archE942ELNS1_3gpuE9ELNS1_3repE0EEENS1_30default_config_static_selectorELNS0_4arch9wavefront6targetE1EEEvT1_, .Lfunc_end1044-_ZN7rocprim17ROCPRIM_400000_NS6detail17trampoline_kernelINS0_14default_configENS1_27scan_by_key_config_selectorIsiEEZZNS1_16scan_by_key_implILNS1_25lookback_scan_determinismE0ELb1ES3_N6thrust23THRUST_200600_302600_NS6detail15normal_iteratorINS9_10device_ptrIsEEEESE_SE_iNS9_4plusIvEENS9_8equal_toIvEEiEE10hipError_tPvRmT2_T3_T4_T5_mT6_T7_P12ihipStream_tbENKUlT_T0_E_clISt17integral_constantIbLb0EESZ_EEDaSU_SV_EUlSU_E_NS1_11comp_targetILNS1_3genE5ELNS1_11target_archE942ELNS1_3gpuE9ELNS1_3repE0EEENS1_30default_config_static_selectorELNS0_4arch9wavefront6targetE1EEEvT1_
                                        ; -- End function
	.section	.AMDGPU.csdata,"",@progbits
; Kernel info:
; codeLenInByte = 14744
; NumSgprs: 90
; NumVgprs: 79
; NumAgprs: 0
; TotalNumVgprs: 79
; ScratchSize: 0
; MemoryBound: 0
; FloatMode: 240
; IeeeMode: 1
; LDSByteSize: 21504 bytes/workgroup (compile time only)
; SGPRBlocks: 11
; VGPRBlocks: 9
; NumSGPRsForWavesPerEU: 90
; NumVGPRsForWavesPerEU: 79
; AccumOffset: 80
; Occupancy: 3
; WaveLimiterHint : 1
; COMPUTE_PGM_RSRC2:SCRATCH_EN: 0
; COMPUTE_PGM_RSRC2:USER_SGPR: 2
; COMPUTE_PGM_RSRC2:TRAP_HANDLER: 0
; COMPUTE_PGM_RSRC2:TGID_X_EN: 1
; COMPUTE_PGM_RSRC2:TGID_Y_EN: 0
; COMPUTE_PGM_RSRC2:TGID_Z_EN: 0
; COMPUTE_PGM_RSRC2:TIDIG_COMP_CNT: 0
; COMPUTE_PGM_RSRC3_GFX90A:ACCUM_OFFSET: 19
; COMPUTE_PGM_RSRC3_GFX90A:TG_SPLIT: 0
	.section	.text._ZN7rocprim17ROCPRIM_400000_NS6detail17trampoline_kernelINS0_14default_configENS1_27scan_by_key_config_selectorIsiEEZZNS1_16scan_by_key_implILNS1_25lookback_scan_determinismE0ELb1ES3_N6thrust23THRUST_200600_302600_NS6detail15normal_iteratorINS9_10device_ptrIsEEEESE_SE_iNS9_4plusIvEENS9_8equal_toIvEEiEE10hipError_tPvRmT2_T3_T4_T5_mT6_T7_P12ihipStream_tbENKUlT_T0_E_clISt17integral_constantIbLb0EESZ_EEDaSU_SV_EUlSU_E_NS1_11comp_targetILNS1_3genE4ELNS1_11target_archE910ELNS1_3gpuE8ELNS1_3repE0EEENS1_30default_config_static_selectorELNS0_4arch9wavefront6targetE1EEEvT1_,"axG",@progbits,_ZN7rocprim17ROCPRIM_400000_NS6detail17trampoline_kernelINS0_14default_configENS1_27scan_by_key_config_selectorIsiEEZZNS1_16scan_by_key_implILNS1_25lookback_scan_determinismE0ELb1ES3_N6thrust23THRUST_200600_302600_NS6detail15normal_iteratorINS9_10device_ptrIsEEEESE_SE_iNS9_4plusIvEENS9_8equal_toIvEEiEE10hipError_tPvRmT2_T3_T4_T5_mT6_T7_P12ihipStream_tbENKUlT_T0_E_clISt17integral_constantIbLb0EESZ_EEDaSU_SV_EUlSU_E_NS1_11comp_targetILNS1_3genE4ELNS1_11target_archE910ELNS1_3gpuE8ELNS1_3repE0EEENS1_30default_config_static_selectorELNS0_4arch9wavefront6targetE1EEEvT1_,comdat
	.protected	_ZN7rocprim17ROCPRIM_400000_NS6detail17trampoline_kernelINS0_14default_configENS1_27scan_by_key_config_selectorIsiEEZZNS1_16scan_by_key_implILNS1_25lookback_scan_determinismE0ELb1ES3_N6thrust23THRUST_200600_302600_NS6detail15normal_iteratorINS9_10device_ptrIsEEEESE_SE_iNS9_4plusIvEENS9_8equal_toIvEEiEE10hipError_tPvRmT2_T3_T4_T5_mT6_T7_P12ihipStream_tbENKUlT_T0_E_clISt17integral_constantIbLb0EESZ_EEDaSU_SV_EUlSU_E_NS1_11comp_targetILNS1_3genE4ELNS1_11target_archE910ELNS1_3gpuE8ELNS1_3repE0EEENS1_30default_config_static_selectorELNS0_4arch9wavefront6targetE1EEEvT1_ ; -- Begin function _ZN7rocprim17ROCPRIM_400000_NS6detail17trampoline_kernelINS0_14default_configENS1_27scan_by_key_config_selectorIsiEEZZNS1_16scan_by_key_implILNS1_25lookback_scan_determinismE0ELb1ES3_N6thrust23THRUST_200600_302600_NS6detail15normal_iteratorINS9_10device_ptrIsEEEESE_SE_iNS9_4plusIvEENS9_8equal_toIvEEiEE10hipError_tPvRmT2_T3_T4_T5_mT6_T7_P12ihipStream_tbENKUlT_T0_E_clISt17integral_constantIbLb0EESZ_EEDaSU_SV_EUlSU_E_NS1_11comp_targetILNS1_3genE4ELNS1_11target_archE910ELNS1_3gpuE8ELNS1_3repE0EEENS1_30default_config_static_selectorELNS0_4arch9wavefront6targetE1EEEvT1_
	.globl	_ZN7rocprim17ROCPRIM_400000_NS6detail17trampoline_kernelINS0_14default_configENS1_27scan_by_key_config_selectorIsiEEZZNS1_16scan_by_key_implILNS1_25lookback_scan_determinismE0ELb1ES3_N6thrust23THRUST_200600_302600_NS6detail15normal_iteratorINS9_10device_ptrIsEEEESE_SE_iNS9_4plusIvEENS9_8equal_toIvEEiEE10hipError_tPvRmT2_T3_T4_T5_mT6_T7_P12ihipStream_tbENKUlT_T0_E_clISt17integral_constantIbLb0EESZ_EEDaSU_SV_EUlSU_E_NS1_11comp_targetILNS1_3genE4ELNS1_11target_archE910ELNS1_3gpuE8ELNS1_3repE0EEENS1_30default_config_static_selectorELNS0_4arch9wavefront6targetE1EEEvT1_
	.p2align	8
	.type	_ZN7rocprim17ROCPRIM_400000_NS6detail17trampoline_kernelINS0_14default_configENS1_27scan_by_key_config_selectorIsiEEZZNS1_16scan_by_key_implILNS1_25lookback_scan_determinismE0ELb1ES3_N6thrust23THRUST_200600_302600_NS6detail15normal_iteratorINS9_10device_ptrIsEEEESE_SE_iNS9_4plusIvEENS9_8equal_toIvEEiEE10hipError_tPvRmT2_T3_T4_T5_mT6_T7_P12ihipStream_tbENKUlT_T0_E_clISt17integral_constantIbLb0EESZ_EEDaSU_SV_EUlSU_E_NS1_11comp_targetILNS1_3genE4ELNS1_11target_archE910ELNS1_3gpuE8ELNS1_3repE0EEENS1_30default_config_static_selectorELNS0_4arch9wavefront6targetE1EEEvT1_,@function
_ZN7rocprim17ROCPRIM_400000_NS6detail17trampoline_kernelINS0_14default_configENS1_27scan_by_key_config_selectorIsiEEZZNS1_16scan_by_key_implILNS1_25lookback_scan_determinismE0ELb1ES3_N6thrust23THRUST_200600_302600_NS6detail15normal_iteratorINS9_10device_ptrIsEEEESE_SE_iNS9_4plusIvEENS9_8equal_toIvEEiEE10hipError_tPvRmT2_T3_T4_T5_mT6_T7_P12ihipStream_tbENKUlT_T0_E_clISt17integral_constantIbLb0EESZ_EEDaSU_SV_EUlSU_E_NS1_11comp_targetILNS1_3genE4ELNS1_11target_archE910ELNS1_3gpuE8ELNS1_3repE0EEENS1_30default_config_static_selectorELNS0_4arch9wavefront6targetE1EEEvT1_: ; @_ZN7rocprim17ROCPRIM_400000_NS6detail17trampoline_kernelINS0_14default_configENS1_27scan_by_key_config_selectorIsiEEZZNS1_16scan_by_key_implILNS1_25lookback_scan_determinismE0ELb1ES3_N6thrust23THRUST_200600_302600_NS6detail15normal_iteratorINS9_10device_ptrIsEEEESE_SE_iNS9_4plusIvEENS9_8equal_toIvEEiEE10hipError_tPvRmT2_T3_T4_T5_mT6_T7_P12ihipStream_tbENKUlT_T0_E_clISt17integral_constantIbLb0EESZ_EEDaSU_SV_EUlSU_E_NS1_11comp_targetILNS1_3genE4ELNS1_11target_archE910ELNS1_3gpuE8ELNS1_3repE0EEENS1_30default_config_static_selectorELNS0_4arch9wavefront6targetE1EEEvT1_
; %bb.0:
	.section	.rodata,"a",@progbits
	.p2align	6, 0x0
	.amdhsa_kernel _ZN7rocprim17ROCPRIM_400000_NS6detail17trampoline_kernelINS0_14default_configENS1_27scan_by_key_config_selectorIsiEEZZNS1_16scan_by_key_implILNS1_25lookback_scan_determinismE0ELb1ES3_N6thrust23THRUST_200600_302600_NS6detail15normal_iteratorINS9_10device_ptrIsEEEESE_SE_iNS9_4plusIvEENS9_8equal_toIvEEiEE10hipError_tPvRmT2_T3_T4_T5_mT6_T7_P12ihipStream_tbENKUlT_T0_E_clISt17integral_constantIbLb0EESZ_EEDaSU_SV_EUlSU_E_NS1_11comp_targetILNS1_3genE4ELNS1_11target_archE910ELNS1_3gpuE8ELNS1_3repE0EEENS1_30default_config_static_selectorELNS0_4arch9wavefront6targetE1EEEvT1_
		.amdhsa_group_segment_fixed_size 0
		.amdhsa_private_segment_fixed_size 0
		.amdhsa_kernarg_size 112
		.amdhsa_user_sgpr_count 2
		.amdhsa_user_sgpr_dispatch_ptr 0
		.amdhsa_user_sgpr_queue_ptr 0
		.amdhsa_user_sgpr_kernarg_segment_ptr 1
		.amdhsa_user_sgpr_dispatch_id 0
		.amdhsa_user_sgpr_kernarg_preload_length 0
		.amdhsa_user_sgpr_kernarg_preload_offset 0
		.amdhsa_user_sgpr_private_segment_size 0
		.amdhsa_uses_dynamic_stack 0
		.amdhsa_enable_private_segment 0
		.amdhsa_system_sgpr_workgroup_id_x 1
		.amdhsa_system_sgpr_workgroup_id_y 0
		.amdhsa_system_sgpr_workgroup_id_z 0
		.amdhsa_system_sgpr_workgroup_info 0
		.amdhsa_system_vgpr_workitem_id 0
		.amdhsa_next_free_vgpr 1
		.amdhsa_next_free_sgpr 0
		.amdhsa_accum_offset 4
		.amdhsa_reserve_vcc 0
		.amdhsa_float_round_mode_32 0
		.amdhsa_float_round_mode_16_64 0
		.amdhsa_float_denorm_mode_32 3
		.amdhsa_float_denorm_mode_16_64 3
		.amdhsa_dx10_clamp 1
		.amdhsa_ieee_mode 1
		.amdhsa_fp16_overflow 0
		.amdhsa_tg_split 0
		.amdhsa_exception_fp_ieee_invalid_op 0
		.amdhsa_exception_fp_denorm_src 0
		.amdhsa_exception_fp_ieee_div_zero 0
		.amdhsa_exception_fp_ieee_overflow 0
		.amdhsa_exception_fp_ieee_underflow 0
		.amdhsa_exception_fp_ieee_inexact 0
		.amdhsa_exception_int_div_zero 0
	.end_amdhsa_kernel
	.section	.text._ZN7rocprim17ROCPRIM_400000_NS6detail17trampoline_kernelINS0_14default_configENS1_27scan_by_key_config_selectorIsiEEZZNS1_16scan_by_key_implILNS1_25lookback_scan_determinismE0ELb1ES3_N6thrust23THRUST_200600_302600_NS6detail15normal_iteratorINS9_10device_ptrIsEEEESE_SE_iNS9_4plusIvEENS9_8equal_toIvEEiEE10hipError_tPvRmT2_T3_T4_T5_mT6_T7_P12ihipStream_tbENKUlT_T0_E_clISt17integral_constantIbLb0EESZ_EEDaSU_SV_EUlSU_E_NS1_11comp_targetILNS1_3genE4ELNS1_11target_archE910ELNS1_3gpuE8ELNS1_3repE0EEENS1_30default_config_static_selectorELNS0_4arch9wavefront6targetE1EEEvT1_,"axG",@progbits,_ZN7rocprim17ROCPRIM_400000_NS6detail17trampoline_kernelINS0_14default_configENS1_27scan_by_key_config_selectorIsiEEZZNS1_16scan_by_key_implILNS1_25lookback_scan_determinismE0ELb1ES3_N6thrust23THRUST_200600_302600_NS6detail15normal_iteratorINS9_10device_ptrIsEEEESE_SE_iNS9_4plusIvEENS9_8equal_toIvEEiEE10hipError_tPvRmT2_T3_T4_T5_mT6_T7_P12ihipStream_tbENKUlT_T0_E_clISt17integral_constantIbLb0EESZ_EEDaSU_SV_EUlSU_E_NS1_11comp_targetILNS1_3genE4ELNS1_11target_archE910ELNS1_3gpuE8ELNS1_3repE0EEENS1_30default_config_static_selectorELNS0_4arch9wavefront6targetE1EEEvT1_,comdat
.Lfunc_end1045:
	.size	_ZN7rocprim17ROCPRIM_400000_NS6detail17trampoline_kernelINS0_14default_configENS1_27scan_by_key_config_selectorIsiEEZZNS1_16scan_by_key_implILNS1_25lookback_scan_determinismE0ELb1ES3_N6thrust23THRUST_200600_302600_NS6detail15normal_iteratorINS9_10device_ptrIsEEEESE_SE_iNS9_4plusIvEENS9_8equal_toIvEEiEE10hipError_tPvRmT2_T3_T4_T5_mT6_T7_P12ihipStream_tbENKUlT_T0_E_clISt17integral_constantIbLb0EESZ_EEDaSU_SV_EUlSU_E_NS1_11comp_targetILNS1_3genE4ELNS1_11target_archE910ELNS1_3gpuE8ELNS1_3repE0EEENS1_30default_config_static_selectorELNS0_4arch9wavefront6targetE1EEEvT1_, .Lfunc_end1045-_ZN7rocprim17ROCPRIM_400000_NS6detail17trampoline_kernelINS0_14default_configENS1_27scan_by_key_config_selectorIsiEEZZNS1_16scan_by_key_implILNS1_25lookback_scan_determinismE0ELb1ES3_N6thrust23THRUST_200600_302600_NS6detail15normal_iteratorINS9_10device_ptrIsEEEESE_SE_iNS9_4plusIvEENS9_8equal_toIvEEiEE10hipError_tPvRmT2_T3_T4_T5_mT6_T7_P12ihipStream_tbENKUlT_T0_E_clISt17integral_constantIbLb0EESZ_EEDaSU_SV_EUlSU_E_NS1_11comp_targetILNS1_3genE4ELNS1_11target_archE910ELNS1_3gpuE8ELNS1_3repE0EEENS1_30default_config_static_selectorELNS0_4arch9wavefront6targetE1EEEvT1_
                                        ; -- End function
	.section	.AMDGPU.csdata,"",@progbits
; Kernel info:
; codeLenInByte = 0
; NumSgprs: 6
; NumVgprs: 0
; NumAgprs: 0
; TotalNumVgprs: 0
; ScratchSize: 0
; MemoryBound: 0
; FloatMode: 240
; IeeeMode: 1
; LDSByteSize: 0 bytes/workgroup (compile time only)
; SGPRBlocks: 0
; VGPRBlocks: 0
; NumSGPRsForWavesPerEU: 6
; NumVGPRsForWavesPerEU: 1
; AccumOffset: 4
; Occupancy: 8
; WaveLimiterHint : 0
; COMPUTE_PGM_RSRC2:SCRATCH_EN: 0
; COMPUTE_PGM_RSRC2:USER_SGPR: 2
; COMPUTE_PGM_RSRC2:TRAP_HANDLER: 0
; COMPUTE_PGM_RSRC2:TGID_X_EN: 1
; COMPUTE_PGM_RSRC2:TGID_Y_EN: 0
; COMPUTE_PGM_RSRC2:TGID_Z_EN: 0
; COMPUTE_PGM_RSRC2:TIDIG_COMP_CNT: 0
; COMPUTE_PGM_RSRC3_GFX90A:ACCUM_OFFSET: 0
; COMPUTE_PGM_RSRC3_GFX90A:TG_SPLIT: 0
	.section	.text._ZN7rocprim17ROCPRIM_400000_NS6detail17trampoline_kernelINS0_14default_configENS1_27scan_by_key_config_selectorIsiEEZZNS1_16scan_by_key_implILNS1_25lookback_scan_determinismE0ELb1ES3_N6thrust23THRUST_200600_302600_NS6detail15normal_iteratorINS9_10device_ptrIsEEEESE_SE_iNS9_4plusIvEENS9_8equal_toIvEEiEE10hipError_tPvRmT2_T3_T4_T5_mT6_T7_P12ihipStream_tbENKUlT_T0_E_clISt17integral_constantIbLb0EESZ_EEDaSU_SV_EUlSU_E_NS1_11comp_targetILNS1_3genE3ELNS1_11target_archE908ELNS1_3gpuE7ELNS1_3repE0EEENS1_30default_config_static_selectorELNS0_4arch9wavefront6targetE1EEEvT1_,"axG",@progbits,_ZN7rocprim17ROCPRIM_400000_NS6detail17trampoline_kernelINS0_14default_configENS1_27scan_by_key_config_selectorIsiEEZZNS1_16scan_by_key_implILNS1_25lookback_scan_determinismE0ELb1ES3_N6thrust23THRUST_200600_302600_NS6detail15normal_iteratorINS9_10device_ptrIsEEEESE_SE_iNS9_4plusIvEENS9_8equal_toIvEEiEE10hipError_tPvRmT2_T3_T4_T5_mT6_T7_P12ihipStream_tbENKUlT_T0_E_clISt17integral_constantIbLb0EESZ_EEDaSU_SV_EUlSU_E_NS1_11comp_targetILNS1_3genE3ELNS1_11target_archE908ELNS1_3gpuE7ELNS1_3repE0EEENS1_30default_config_static_selectorELNS0_4arch9wavefront6targetE1EEEvT1_,comdat
	.protected	_ZN7rocprim17ROCPRIM_400000_NS6detail17trampoline_kernelINS0_14default_configENS1_27scan_by_key_config_selectorIsiEEZZNS1_16scan_by_key_implILNS1_25lookback_scan_determinismE0ELb1ES3_N6thrust23THRUST_200600_302600_NS6detail15normal_iteratorINS9_10device_ptrIsEEEESE_SE_iNS9_4plusIvEENS9_8equal_toIvEEiEE10hipError_tPvRmT2_T3_T4_T5_mT6_T7_P12ihipStream_tbENKUlT_T0_E_clISt17integral_constantIbLb0EESZ_EEDaSU_SV_EUlSU_E_NS1_11comp_targetILNS1_3genE3ELNS1_11target_archE908ELNS1_3gpuE7ELNS1_3repE0EEENS1_30default_config_static_selectorELNS0_4arch9wavefront6targetE1EEEvT1_ ; -- Begin function _ZN7rocprim17ROCPRIM_400000_NS6detail17trampoline_kernelINS0_14default_configENS1_27scan_by_key_config_selectorIsiEEZZNS1_16scan_by_key_implILNS1_25lookback_scan_determinismE0ELb1ES3_N6thrust23THRUST_200600_302600_NS6detail15normal_iteratorINS9_10device_ptrIsEEEESE_SE_iNS9_4plusIvEENS9_8equal_toIvEEiEE10hipError_tPvRmT2_T3_T4_T5_mT6_T7_P12ihipStream_tbENKUlT_T0_E_clISt17integral_constantIbLb0EESZ_EEDaSU_SV_EUlSU_E_NS1_11comp_targetILNS1_3genE3ELNS1_11target_archE908ELNS1_3gpuE7ELNS1_3repE0EEENS1_30default_config_static_selectorELNS0_4arch9wavefront6targetE1EEEvT1_
	.globl	_ZN7rocprim17ROCPRIM_400000_NS6detail17trampoline_kernelINS0_14default_configENS1_27scan_by_key_config_selectorIsiEEZZNS1_16scan_by_key_implILNS1_25lookback_scan_determinismE0ELb1ES3_N6thrust23THRUST_200600_302600_NS6detail15normal_iteratorINS9_10device_ptrIsEEEESE_SE_iNS9_4plusIvEENS9_8equal_toIvEEiEE10hipError_tPvRmT2_T3_T4_T5_mT6_T7_P12ihipStream_tbENKUlT_T0_E_clISt17integral_constantIbLb0EESZ_EEDaSU_SV_EUlSU_E_NS1_11comp_targetILNS1_3genE3ELNS1_11target_archE908ELNS1_3gpuE7ELNS1_3repE0EEENS1_30default_config_static_selectorELNS0_4arch9wavefront6targetE1EEEvT1_
	.p2align	8
	.type	_ZN7rocprim17ROCPRIM_400000_NS6detail17trampoline_kernelINS0_14default_configENS1_27scan_by_key_config_selectorIsiEEZZNS1_16scan_by_key_implILNS1_25lookback_scan_determinismE0ELb1ES3_N6thrust23THRUST_200600_302600_NS6detail15normal_iteratorINS9_10device_ptrIsEEEESE_SE_iNS9_4plusIvEENS9_8equal_toIvEEiEE10hipError_tPvRmT2_T3_T4_T5_mT6_T7_P12ihipStream_tbENKUlT_T0_E_clISt17integral_constantIbLb0EESZ_EEDaSU_SV_EUlSU_E_NS1_11comp_targetILNS1_3genE3ELNS1_11target_archE908ELNS1_3gpuE7ELNS1_3repE0EEENS1_30default_config_static_selectorELNS0_4arch9wavefront6targetE1EEEvT1_,@function
_ZN7rocprim17ROCPRIM_400000_NS6detail17trampoline_kernelINS0_14default_configENS1_27scan_by_key_config_selectorIsiEEZZNS1_16scan_by_key_implILNS1_25lookback_scan_determinismE0ELb1ES3_N6thrust23THRUST_200600_302600_NS6detail15normal_iteratorINS9_10device_ptrIsEEEESE_SE_iNS9_4plusIvEENS9_8equal_toIvEEiEE10hipError_tPvRmT2_T3_T4_T5_mT6_T7_P12ihipStream_tbENKUlT_T0_E_clISt17integral_constantIbLb0EESZ_EEDaSU_SV_EUlSU_E_NS1_11comp_targetILNS1_3genE3ELNS1_11target_archE908ELNS1_3gpuE7ELNS1_3repE0EEENS1_30default_config_static_selectorELNS0_4arch9wavefront6targetE1EEEvT1_: ; @_ZN7rocprim17ROCPRIM_400000_NS6detail17trampoline_kernelINS0_14default_configENS1_27scan_by_key_config_selectorIsiEEZZNS1_16scan_by_key_implILNS1_25lookback_scan_determinismE0ELb1ES3_N6thrust23THRUST_200600_302600_NS6detail15normal_iteratorINS9_10device_ptrIsEEEESE_SE_iNS9_4plusIvEENS9_8equal_toIvEEiEE10hipError_tPvRmT2_T3_T4_T5_mT6_T7_P12ihipStream_tbENKUlT_T0_E_clISt17integral_constantIbLb0EESZ_EEDaSU_SV_EUlSU_E_NS1_11comp_targetILNS1_3genE3ELNS1_11target_archE908ELNS1_3gpuE7ELNS1_3repE0EEENS1_30default_config_static_selectorELNS0_4arch9wavefront6targetE1EEEvT1_
; %bb.0:
	.section	.rodata,"a",@progbits
	.p2align	6, 0x0
	.amdhsa_kernel _ZN7rocprim17ROCPRIM_400000_NS6detail17trampoline_kernelINS0_14default_configENS1_27scan_by_key_config_selectorIsiEEZZNS1_16scan_by_key_implILNS1_25lookback_scan_determinismE0ELb1ES3_N6thrust23THRUST_200600_302600_NS6detail15normal_iteratorINS9_10device_ptrIsEEEESE_SE_iNS9_4plusIvEENS9_8equal_toIvEEiEE10hipError_tPvRmT2_T3_T4_T5_mT6_T7_P12ihipStream_tbENKUlT_T0_E_clISt17integral_constantIbLb0EESZ_EEDaSU_SV_EUlSU_E_NS1_11comp_targetILNS1_3genE3ELNS1_11target_archE908ELNS1_3gpuE7ELNS1_3repE0EEENS1_30default_config_static_selectorELNS0_4arch9wavefront6targetE1EEEvT1_
		.amdhsa_group_segment_fixed_size 0
		.amdhsa_private_segment_fixed_size 0
		.amdhsa_kernarg_size 112
		.amdhsa_user_sgpr_count 2
		.amdhsa_user_sgpr_dispatch_ptr 0
		.amdhsa_user_sgpr_queue_ptr 0
		.amdhsa_user_sgpr_kernarg_segment_ptr 1
		.amdhsa_user_sgpr_dispatch_id 0
		.amdhsa_user_sgpr_kernarg_preload_length 0
		.amdhsa_user_sgpr_kernarg_preload_offset 0
		.amdhsa_user_sgpr_private_segment_size 0
		.amdhsa_uses_dynamic_stack 0
		.amdhsa_enable_private_segment 0
		.amdhsa_system_sgpr_workgroup_id_x 1
		.amdhsa_system_sgpr_workgroup_id_y 0
		.amdhsa_system_sgpr_workgroup_id_z 0
		.amdhsa_system_sgpr_workgroup_info 0
		.amdhsa_system_vgpr_workitem_id 0
		.amdhsa_next_free_vgpr 1
		.amdhsa_next_free_sgpr 0
		.amdhsa_accum_offset 4
		.amdhsa_reserve_vcc 0
		.amdhsa_float_round_mode_32 0
		.amdhsa_float_round_mode_16_64 0
		.amdhsa_float_denorm_mode_32 3
		.amdhsa_float_denorm_mode_16_64 3
		.amdhsa_dx10_clamp 1
		.amdhsa_ieee_mode 1
		.amdhsa_fp16_overflow 0
		.amdhsa_tg_split 0
		.amdhsa_exception_fp_ieee_invalid_op 0
		.amdhsa_exception_fp_denorm_src 0
		.amdhsa_exception_fp_ieee_div_zero 0
		.amdhsa_exception_fp_ieee_overflow 0
		.amdhsa_exception_fp_ieee_underflow 0
		.amdhsa_exception_fp_ieee_inexact 0
		.amdhsa_exception_int_div_zero 0
	.end_amdhsa_kernel
	.section	.text._ZN7rocprim17ROCPRIM_400000_NS6detail17trampoline_kernelINS0_14default_configENS1_27scan_by_key_config_selectorIsiEEZZNS1_16scan_by_key_implILNS1_25lookback_scan_determinismE0ELb1ES3_N6thrust23THRUST_200600_302600_NS6detail15normal_iteratorINS9_10device_ptrIsEEEESE_SE_iNS9_4plusIvEENS9_8equal_toIvEEiEE10hipError_tPvRmT2_T3_T4_T5_mT6_T7_P12ihipStream_tbENKUlT_T0_E_clISt17integral_constantIbLb0EESZ_EEDaSU_SV_EUlSU_E_NS1_11comp_targetILNS1_3genE3ELNS1_11target_archE908ELNS1_3gpuE7ELNS1_3repE0EEENS1_30default_config_static_selectorELNS0_4arch9wavefront6targetE1EEEvT1_,"axG",@progbits,_ZN7rocprim17ROCPRIM_400000_NS6detail17trampoline_kernelINS0_14default_configENS1_27scan_by_key_config_selectorIsiEEZZNS1_16scan_by_key_implILNS1_25lookback_scan_determinismE0ELb1ES3_N6thrust23THRUST_200600_302600_NS6detail15normal_iteratorINS9_10device_ptrIsEEEESE_SE_iNS9_4plusIvEENS9_8equal_toIvEEiEE10hipError_tPvRmT2_T3_T4_T5_mT6_T7_P12ihipStream_tbENKUlT_T0_E_clISt17integral_constantIbLb0EESZ_EEDaSU_SV_EUlSU_E_NS1_11comp_targetILNS1_3genE3ELNS1_11target_archE908ELNS1_3gpuE7ELNS1_3repE0EEENS1_30default_config_static_selectorELNS0_4arch9wavefront6targetE1EEEvT1_,comdat
.Lfunc_end1046:
	.size	_ZN7rocprim17ROCPRIM_400000_NS6detail17trampoline_kernelINS0_14default_configENS1_27scan_by_key_config_selectorIsiEEZZNS1_16scan_by_key_implILNS1_25lookback_scan_determinismE0ELb1ES3_N6thrust23THRUST_200600_302600_NS6detail15normal_iteratorINS9_10device_ptrIsEEEESE_SE_iNS9_4plusIvEENS9_8equal_toIvEEiEE10hipError_tPvRmT2_T3_T4_T5_mT6_T7_P12ihipStream_tbENKUlT_T0_E_clISt17integral_constantIbLb0EESZ_EEDaSU_SV_EUlSU_E_NS1_11comp_targetILNS1_3genE3ELNS1_11target_archE908ELNS1_3gpuE7ELNS1_3repE0EEENS1_30default_config_static_selectorELNS0_4arch9wavefront6targetE1EEEvT1_, .Lfunc_end1046-_ZN7rocprim17ROCPRIM_400000_NS6detail17trampoline_kernelINS0_14default_configENS1_27scan_by_key_config_selectorIsiEEZZNS1_16scan_by_key_implILNS1_25lookback_scan_determinismE0ELb1ES3_N6thrust23THRUST_200600_302600_NS6detail15normal_iteratorINS9_10device_ptrIsEEEESE_SE_iNS9_4plusIvEENS9_8equal_toIvEEiEE10hipError_tPvRmT2_T3_T4_T5_mT6_T7_P12ihipStream_tbENKUlT_T0_E_clISt17integral_constantIbLb0EESZ_EEDaSU_SV_EUlSU_E_NS1_11comp_targetILNS1_3genE3ELNS1_11target_archE908ELNS1_3gpuE7ELNS1_3repE0EEENS1_30default_config_static_selectorELNS0_4arch9wavefront6targetE1EEEvT1_
                                        ; -- End function
	.section	.AMDGPU.csdata,"",@progbits
; Kernel info:
; codeLenInByte = 0
; NumSgprs: 6
; NumVgprs: 0
; NumAgprs: 0
; TotalNumVgprs: 0
; ScratchSize: 0
; MemoryBound: 0
; FloatMode: 240
; IeeeMode: 1
; LDSByteSize: 0 bytes/workgroup (compile time only)
; SGPRBlocks: 0
; VGPRBlocks: 0
; NumSGPRsForWavesPerEU: 6
; NumVGPRsForWavesPerEU: 1
; AccumOffset: 4
; Occupancy: 8
; WaveLimiterHint : 0
; COMPUTE_PGM_RSRC2:SCRATCH_EN: 0
; COMPUTE_PGM_RSRC2:USER_SGPR: 2
; COMPUTE_PGM_RSRC2:TRAP_HANDLER: 0
; COMPUTE_PGM_RSRC2:TGID_X_EN: 1
; COMPUTE_PGM_RSRC2:TGID_Y_EN: 0
; COMPUTE_PGM_RSRC2:TGID_Z_EN: 0
; COMPUTE_PGM_RSRC2:TIDIG_COMP_CNT: 0
; COMPUTE_PGM_RSRC3_GFX90A:ACCUM_OFFSET: 0
; COMPUTE_PGM_RSRC3_GFX90A:TG_SPLIT: 0
	.section	.text._ZN7rocprim17ROCPRIM_400000_NS6detail17trampoline_kernelINS0_14default_configENS1_27scan_by_key_config_selectorIsiEEZZNS1_16scan_by_key_implILNS1_25lookback_scan_determinismE0ELb1ES3_N6thrust23THRUST_200600_302600_NS6detail15normal_iteratorINS9_10device_ptrIsEEEESE_SE_iNS9_4plusIvEENS9_8equal_toIvEEiEE10hipError_tPvRmT2_T3_T4_T5_mT6_T7_P12ihipStream_tbENKUlT_T0_E_clISt17integral_constantIbLb0EESZ_EEDaSU_SV_EUlSU_E_NS1_11comp_targetILNS1_3genE2ELNS1_11target_archE906ELNS1_3gpuE6ELNS1_3repE0EEENS1_30default_config_static_selectorELNS0_4arch9wavefront6targetE1EEEvT1_,"axG",@progbits,_ZN7rocprim17ROCPRIM_400000_NS6detail17trampoline_kernelINS0_14default_configENS1_27scan_by_key_config_selectorIsiEEZZNS1_16scan_by_key_implILNS1_25lookback_scan_determinismE0ELb1ES3_N6thrust23THRUST_200600_302600_NS6detail15normal_iteratorINS9_10device_ptrIsEEEESE_SE_iNS9_4plusIvEENS9_8equal_toIvEEiEE10hipError_tPvRmT2_T3_T4_T5_mT6_T7_P12ihipStream_tbENKUlT_T0_E_clISt17integral_constantIbLb0EESZ_EEDaSU_SV_EUlSU_E_NS1_11comp_targetILNS1_3genE2ELNS1_11target_archE906ELNS1_3gpuE6ELNS1_3repE0EEENS1_30default_config_static_selectorELNS0_4arch9wavefront6targetE1EEEvT1_,comdat
	.protected	_ZN7rocprim17ROCPRIM_400000_NS6detail17trampoline_kernelINS0_14default_configENS1_27scan_by_key_config_selectorIsiEEZZNS1_16scan_by_key_implILNS1_25lookback_scan_determinismE0ELb1ES3_N6thrust23THRUST_200600_302600_NS6detail15normal_iteratorINS9_10device_ptrIsEEEESE_SE_iNS9_4plusIvEENS9_8equal_toIvEEiEE10hipError_tPvRmT2_T3_T4_T5_mT6_T7_P12ihipStream_tbENKUlT_T0_E_clISt17integral_constantIbLb0EESZ_EEDaSU_SV_EUlSU_E_NS1_11comp_targetILNS1_3genE2ELNS1_11target_archE906ELNS1_3gpuE6ELNS1_3repE0EEENS1_30default_config_static_selectorELNS0_4arch9wavefront6targetE1EEEvT1_ ; -- Begin function _ZN7rocprim17ROCPRIM_400000_NS6detail17trampoline_kernelINS0_14default_configENS1_27scan_by_key_config_selectorIsiEEZZNS1_16scan_by_key_implILNS1_25lookback_scan_determinismE0ELb1ES3_N6thrust23THRUST_200600_302600_NS6detail15normal_iteratorINS9_10device_ptrIsEEEESE_SE_iNS9_4plusIvEENS9_8equal_toIvEEiEE10hipError_tPvRmT2_T3_T4_T5_mT6_T7_P12ihipStream_tbENKUlT_T0_E_clISt17integral_constantIbLb0EESZ_EEDaSU_SV_EUlSU_E_NS1_11comp_targetILNS1_3genE2ELNS1_11target_archE906ELNS1_3gpuE6ELNS1_3repE0EEENS1_30default_config_static_selectorELNS0_4arch9wavefront6targetE1EEEvT1_
	.globl	_ZN7rocprim17ROCPRIM_400000_NS6detail17trampoline_kernelINS0_14default_configENS1_27scan_by_key_config_selectorIsiEEZZNS1_16scan_by_key_implILNS1_25lookback_scan_determinismE0ELb1ES3_N6thrust23THRUST_200600_302600_NS6detail15normal_iteratorINS9_10device_ptrIsEEEESE_SE_iNS9_4plusIvEENS9_8equal_toIvEEiEE10hipError_tPvRmT2_T3_T4_T5_mT6_T7_P12ihipStream_tbENKUlT_T0_E_clISt17integral_constantIbLb0EESZ_EEDaSU_SV_EUlSU_E_NS1_11comp_targetILNS1_3genE2ELNS1_11target_archE906ELNS1_3gpuE6ELNS1_3repE0EEENS1_30default_config_static_selectorELNS0_4arch9wavefront6targetE1EEEvT1_
	.p2align	8
	.type	_ZN7rocprim17ROCPRIM_400000_NS6detail17trampoline_kernelINS0_14default_configENS1_27scan_by_key_config_selectorIsiEEZZNS1_16scan_by_key_implILNS1_25lookback_scan_determinismE0ELb1ES3_N6thrust23THRUST_200600_302600_NS6detail15normal_iteratorINS9_10device_ptrIsEEEESE_SE_iNS9_4plusIvEENS9_8equal_toIvEEiEE10hipError_tPvRmT2_T3_T4_T5_mT6_T7_P12ihipStream_tbENKUlT_T0_E_clISt17integral_constantIbLb0EESZ_EEDaSU_SV_EUlSU_E_NS1_11comp_targetILNS1_3genE2ELNS1_11target_archE906ELNS1_3gpuE6ELNS1_3repE0EEENS1_30default_config_static_selectorELNS0_4arch9wavefront6targetE1EEEvT1_,@function
_ZN7rocprim17ROCPRIM_400000_NS6detail17trampoline_kernelINS0_14default_configENS1_27scan_by_key_config_selectorIsiEEZZNS1_16scan_by_key_implILNS1_25lookback_scan_determinismE0ELb1ES3_N6thrust23THRUST_200600_302600_NS6detail15normal_iteratorINS9_10device_ptrIsEEEESE_SE_iNS9_4plusIvEENS9_8equal_toIvEEiEE10hipError_tPvRmT2_T3_T4_T5_mT6_T7_P12ihipStream_tbENKUlT_T0_E_clISt17integral_constantIbLb0EESZ_EEDaSU_SV_EUlSU_E_NS1_11comp_targetILNS1_3genE2ELNS1_11target_archE906ELNS1_3gpuE6ELNS1_3repE0EEENS1_30default_config_static_selectorELNS0_4arch9wavefront6targetE1EEEvT1_: ; @_ZN7rocprim17ROCPRIM_400000_NS6detail17trampoline_kernelINS0_14default_configENS1_27scan_by_key_config_selectorIsiEEZZNS1_16scan_by_key_implILNS1_25lookback_scan_determinismE0ELb1ES3_N6thrust23THRUST_200600_302600_NS6detail15normal_iteratorINS9_10device_ptrIsEEEESE_SE_iNS9_4plusIvEENS9_8equal_toIvEEiEE10hipError_tPvRmT2_T3_T4_T5_mT6_T7_P12ihipStream_tbENKUlT_T0_E_clISt17integral_constantIbLb0EESZ_EEDaSU_SV_EUlSU_E_NS1_11comp_targetILNS1_3genE2ELNS1_11target_archE906ELNS1_3gpuE6ELNS1_3repE0EEENS1_30default_config_static_selectorELNS0_4arch9wavefront6targetE1EEEvT1_
; %bb.0:
	.section	.rodata,"a",@progbits
	.p2align	6, 0x0
	.amdhsa_kernel _ZN7rocprim17ROCPRIM_400000_NS6detail17trampoline_kernelINS0_14default_configENS1_27scan_by_key_config_selectorIsiEEZZNS1_16scan_by_key_implILNS1_25lookback_scan_determinismE0ELb1ES3_N6thrust23THRUST_200600_302600_NS6detail15normal_iteratorINS9_10device_ptrIsEEEESE_SE_iNS9_4plusIvEENS9_8equal_toIvEEiEE10hipError_tPvRmT2_T3_T4_T5_mT6_T7_P12ihipStream_tbENKUlT_T0_E_clISt17integral_constantIbLb0EESZ_EEDaSU_SV_EUlSU_E_NS1_11comp_targetILNS1_3genE2ELNS1_11target_archE906ELNS1_3gpuE6ELNS1_3repE0EEENS1_30default_config_static_selectorELNS0_4arch9wavefront6targetE1EEEvT1_
		.amdhsa_group_segment_fixed_size 0
		.amdhsa_private_segment_fixed_size 0
		.amdhsa_kernarg_size 112
		.amdhsa_user_sgpr_count 2
		.amdhsa_user_sgpr_dispatch_ptr 0
		.amdhsa_user_sgpr_queue_ptr 0
		.amdhsa_user_sgpr_kernarg_segment_ptr 1
		.amdhsa_user_sgpr_dispatch_id 0
		.amdhsa_user_sgpr_kernarg_preload_length 0
		.amdhsa_user_sgpr_kernarg_preload_offset 0
		.amdhsa_user_sgpr_private_segment_size 0
		.amdhsa_uses_dynamic_stack 0
		.amdhsa_enable_private_segment 0
		.amdhsa_system_sgpr_workgroup_id_x 1
		.amdhsa_system_sgpr_workgroup_id_y 0
		.amdhsa_system_sgpr_workgroup_id_z 0
		.amdhsa_system_sgpr_workgroup_info 0
		.amdhsa_system_vgpr_workitem_id 0
		.amdhsa_next_free_vgpr 1
		.amdhsa_next_free_sgpr 0
		.amdhsa_accum_offset 4
		.amdhsa_reserve_vcc 0
		.amdhsa_float_round_mode_32 0
		.amdhsa_float_round_mode_16_64 0
		.amdhsa_float_denorm_mode_32 3
		.amdhsa_float_denorm_mode_16_64 3
		.amdhsa_dx10_clamp 1
		.amdhsa_ieee_mode 1
		.amdhsa_fp16_overflow 0
		.amdhsa_tg_split 0
		.amdhsa_exception_fp_ieee_invalid_op 0
		.amdhsa_exception_fp_denorm_src 0
		.amdhsa_exception_fp_ieee_div_zero 0
		.amdhsa_exception_fp_ieee_overflow 0
		.amdhsa_exception_fp_ieee_underflow 0
		.amdhsa_exception_fp_ieee_inexact 0
		.amdhsa_exception_int_div_zero 0
	.end_amdhsa_kernel
	.section	.text._ZN7rocprim17ROCPRIM_400000_NS6detail17trampoline_kernelINS0_14default_configENS1_27scan_by_key_config_selectorIsiEEZZNS1_16scan_by_key_implILNS1_25lookback_scan_determinismE0ELb1ES3_N6thrust23THRUST_200600_302600_NS6detail15normal_iteratorINS9_10device_ptrIsEEEESE_SE_iNS9_4plusIvEENS9_8equal_toIvEEiEE10hipError_tPvRmT2_T3_T4_T5_mT6_T7_P12ihipStream_tbENKUlT_T0_E_clISt17integral_constantIbLb0EESZ_EEDaSU_SV_EUlSU_E_NS1_11comp_targetILNS1_3genE2ELNS1_11target_archE906ELNS1_3gpuE6ELNS1_3repE0EEENS1_30default_config_static_selectorELNS0_4arch9wavefront6targetE1EEEvT1_,"axG",@progbits,_ZN7rocprim17ROCPRIM_400000_NS6detail17trampoline_kernelINS0_14default_configENS1_27scan_by_key_config_selectorIsiEEZZNS1_16scan_by_key_implILNS1_25lookback_scan_determinismE0ELb1ES3_N6thrust23THRUST_200600_302600_NS6detail15normal_iteratorINS9_10device_ptrIsEEEESE_SE_iNS9_4plusIvEENS9_8equal_toIvEEiEE10hipError_tPvRmT2_T3_T4_T5_mT6_T7_P12ihipStream_tbENKUlT_T0_E_clISt17integral_constantIbLb0EESZ_EEDaSU_SV_EUlSU_E_NS1_11comp_targetILNS1_3genE2ELNS1_11target_archE906ELNS1_3gpuE6ELNS1_3repE0EEENS1_30default_config_static_selectorELNS0_4arch9wavefront6targetE1EEEvT1_,comdat
.Lfunc_end1047:
	.size	_ZN7rocprim17ROCPRIM_400000_NS6detail17trampoline_kernelINS0_14default_configENS1_27scan_by_key_config_selectorIsiEEZZNS1_16scan_by_key_implILNS1_25lookback_scan_determinismE0ELb1ES3_N6thrust23THRUST_200600_302600_NS6detail15normal_iteratorINS9_10device_ptrIsEEEESE_SE_iNS9_4plusIvEENS9_8equal_toIvEEiEE10hipError_tPvRmT2_T3_T4_T5_mT6_T7_P12ihipStream_tbENKUlT_T0_E_clISt17integral_constantIbLb0EESZ_EEDaSU_SV_EUlSU_E_NS1_11comp_targetILNS1_3genE2ELNS1_11target_archE906ELNS1_3gpuE6ELNS1_3repE0EEENS1_30default_config_static_selectorELNS0_4arch9wavefront6targetE1EEEvT1_, .Lfunc_end1047-_ZN7rocprim17ROCPRIM_400000_NS6detail17trampoline_kernelINS0_14default_configENS1_27scan_by_key_config_selectorIsiEEZZNS1_16scan_by_key_implILNS1_25lookback_scan_determinismE0ELb1ES3_N6thrust23THRUST_200600_302600_NS6detail15normal_iteratorINS9_10device_ptrIsEEEESE_SE_iNS9_4plusIvEENS9_8equal_toIvEEiEE10hipError_tPvRmT2_T3_T4_T5_mT6_T7_P12ihipStream_tbENKUlT_T0_E_clISt17integral_constantIbLb0EESZ_EEDaSU_SV_EUlSU_E_NS1_11comp_targetILNS1_3genE2ELNS1_11target_archE906ELNS1_3gpuE6ELNS1_3repE0EEENS1_30default_config_static_selectorELNS0_4arch9wavefront6targetE1EEEvT1_
                                        ; -- End function
	.section	.AMDGPU.csdata,"",@progbits
; Kernel info:
; codeLenInByte = 0
; NumSgprs: 6
; NumVgprs: 0
; NumAgprs: 0
; TotalNumVgprs: 0
; ScratchSize: 0
; MemoryBound: 0
; FloatMode: 240
; IeeeMode: 1
; LDSByteSize: 0 bytes/workgroup (compile time only)
; SGPRBlocks: 0
; VGPRBlocks: 0
; NumSGPRsForWavesPerEU: 6
; NumVGPRsForWavesPerEU: 1
; AccumOffset: 4
; Occupancy: 8
; WaveLimiterHint : 0
; COMPUTE_PGM_RSRC2:SCRATCH_EN: 0
; COMPUTE_PGM_RSRC2:USER_SGPR: 2
; COMPUTE_PGM_RSRC2:TRAP_HANDLER: 0
; COMPUTE_PGM_RSRC2:TGID_X_EN: 1
; COMPUTE_PGM_RSRC2:TGID_Y_EN: 0
; COMPUTE_PGM_RSRC2:TGID_Z_EN: 0
; COMPUTE_PGM_RSRC2:TIDIG_COMP_CNT: 0
; COMPUTE_PGM_RSRC3_GFX90A:ACCUM_OFFSET: 0
; COMPUTE_PGM_RSRC3_GFX90A:TG_SPLIT: 0
	.section	.text._ZN7rocprim17ROCPRIM_400000_NS6detail17trampoline_kernelINS0_14default_configENS1_27scan_by_key_config_selectorIsiEEZZNS1_16scan_by_key_implILNS1_25lookback_scan_determinismE0ELb1ES3_N6thrust23THRUST_200600_302600_NS6detail15normal_iteratorINS9_10device_ptrIsEEEESE_SE_iNS9_4plusIvEENS9_8equal_toIvEEiEE10hipError_tPvRmT2_T3_T4_T5_mT6_T7_P12ihipStream_tbENKUlT_T0_E_clISt17integral_constantIbLb0EESZ_EEDaSU_SV_EUlSU_E_NS1_11comp_targetILNS1_3genE10ELNS1_11target_archE1200ELNS1_3gpuE4ELNS1_3repE0EEENS1_30default_config_static_selectorELNS0_4arch9wavefront6targetE1EEEvT1_,"axG",@progbits,_ZN7rocprim17ROCPRIM_400000_NS6detail17trampoline_kernelINS0_14default_configENS1_27scan_by_key_config_selectorIsiEEZZNS1_16scan_by_key_implILNS1_25lookback_scan_determinismE0ELb1ES3_N6thrust23THRUST_200600_302600_NS6detail15normal_iteratorINS9_10device_ptrIsEEEESE_SE_iNS9_4plusIvEENS9_8equal_toIvEEiEE10hipError_tPvRmT2_T3_T4_T5_mT6_T7_P12ihipStream_tbENKUlT_T0_E_clISt17integral_constantIbLb0EESZ_EEDaSU_SV_EUlSU_E_NS1_11comp_targetILNS1_3genE10ELNS1_11target_archE1200ELNS1_3gpuE4ELNS1_3repE0EEENS1_30default_config_static_selectorELNS0_4arch9wavefront6targetE1EEEvT1_,comdat
	.protected	_ZN7rocprim17ROCPRIM_400000_NS6detail17trampoline_kernelINS0_14default_configENS1_27scan_by_key_config_selectorIsiEEZZNS1_16scan_by_key_implILNS1_25lookback_scan_determinismE0ELb1ES3_N6thrust23THRUST_200600_302600_NS6detail15normal_iteratorINS9_10device_ptrIsEEEESE_SE_iNS9_4plusIvEENS9_8equal_toIvEEiEE10hipError_tPvRmT2_T3_T4_T5_mT6_T7_P12ihipStream_tbENKUlT_T0_E_clISt17integral_constantIbLb0EESZ_EEDaSU_SV_EUlSU_E_NS1_11comp_targetILNS1_3genE10ELNS1_11target_archE1200ELNS1_3gpuE4ELNS1_3repE0EEENS1_30default_config_static_selectorELNS0_4arch9wavefront6targetE1EEEvT1_ ; -- Begin function _ZN7rocprim17ROCPRIM_400000_NS6detail17trampoline_kernelINS0_14default_configENS1_27scan_by_key_config_selectorIsiEEZZNS1_16scan_by_key_implILNS1_25lookback_scan_determinismE0ELb1ES3_N6thrust23THRUST_200600_302600_NS6detail15normal_iteratorINS9_10device_ptrIsEEEESE_SE_iNS9_4plusIvEENS9_8equal_toIvEEiEE10hipError_tPvRmT2_T3_T4_T5_mT6_T7_P12ihipStream_tbENKUlT_T0_E_clISt17integral_constantIbLb0EESZ_EEDaSU_SV_EUlSU_E_NS1_11comp_targetILNS1_3genE10ELNS1_11target_archE1200ELNS1_3gpuE4ELNS1_3repE0EEENS1_30default_config_static_selectorELNS0_4arch9wavefront6targetE1EEEvT1_
	.globl	_ZN7rocprim17ROCPRIM_400000_NS6detail17trampoline_kernelINS0_14default_configENS1_27scan_by_key_config_selectorIsiEEZZNS1_16scan_by_key_implILNS1_25lookback_scan_determinismE0ELb1ES3_N6thrust23THRUST_200600_302600_NS6detail15normal_iteratorINS9_10device_ptrIsEEEESE_SE_iNS9_4plusIvEENS9_8equal_toIvEEiEE10hipError_tPvRmT2_T3_T4_T5_mT6_T7_P12ihipStream_tbENKUlT_T0_E_clISt17integral_constantIbLb0EESZ_EEDaSU_SV_EUlSU_E_NS1_11comp_targetILNS1_3genE10ELNS1_11target_archE1200ELNS1_3gpuE4ELNS1_3repE0EEENS1_30default_config_static_selectorELNS0_4arch9wavefront6targetE1EEEvT1_
	.p2align	8
	.type	_ZN7rocprim17ROCPRIM_400000_NS6detail17trampoline_kernelINS0_14default_configENS1_27scan_by_key_config_selectorIsiEEZZNS1_16scan_by_key_implILNS1_25lookback_scan_determinismE0ELb1ES3_N6thrust23THRUST_200600_302600_NS6detail15normal_iteratorINS9_10device_ptrIsEEEESE_SE_iNS9_4plusIvEENS9_8equal_toIvEEiEE10hipError_tPvRmT2_T3_T4_T5_mT6_T7_P12ihipStream_tbENKUlT_T0_E_clISt17integral_constantIbLb0EESZ_EEDaSU_SV_EUlSU_E_NS1_11comp_targetILNS1_3genE10ELNS1_11target_archE1200ELNS1_3gpuE4ELNS1_3repE0EEENS1_30default_config_static_selectorELNS0_4arch9wavefront6targetE1EEEvT1_,@function
_ZN7rocprim17ROCPRIM_400000_NS6detail17trampoline_kernelINS0_14default_configENS1_27scan_by_key_config_selectorIsiEEZZNS1_16scan_by_key_implILNS1_25lookback_scan_determinismE0ELb1ES3_N6thrust23THRUST_200600_302600_NS6detail15normal_iteratorINS9_10device_ptrIsEEEESE_SE_iNS9_4plusIvEENS9_8equal_toIvEEiEE10hipError_tPvRmT2_T3_T4_T5_mT6_T7_P12ihipStream_tbENKUlT_T0_E_clISt17integral_constantIbLb0EESZ_EEDaSU_SV_EUlSU_E_NS1_11comp_targetILNS1_3genE10ELNS1_11target_archE1200ELNS1_3gpuE4ELNS1_3repE0EEENS1_30default_config_static_selectorELNS0_4arch9wavefront6targetE1EEEvT1_: ; @_ZN7rocprim17ROCPRIM_400000_NS6detail17trampoline_kernelINS0_14default_configENS1_27scan_by_key_config_selectorIsiEEZZNS1_16scan_by_key_implILNS1_25lookback_scan_determinismE0ELb1ES3_N6thrust23THRUST_200600_302600_NS6detail15normal_iteratorINS9_10device_ptrIsEEEESE_SE_iNS9_4plusIvEENS9_8equal_toIvEEiEE10hipError_tPvRmT2_T3_T4_T5_mT6_T7_P12ihipStream_tbENKUlT_T0_E_clISt17integral_constantIbLb0EESZ_EEDaSU_SV_EUlSU_E_NS1_11comp_targetILNS1_3genE10ELNS1_11target_archE1200ELNS1_3gpuE4ELNS1_3repE0EEENS1_30default_config_static_selectorELNS0_4arch9wavefront6targetE1EEEvT1_
; %bb.0:
	.section	.rodata,"a",@progbits
	.p2align	6, 0x0
	.amdhsa_kernel _ZN7rocprim17ROCPRIM_400000_NS6detail17trampoline_kernelINS0_14default_configENS1_27scan_by_key_config_selectorIsiEEZZNS1_16scan_by_key_implILNS1_25lookback_scan_determinismE0ELb1ES3_N6thrust23THRUST_200600_302600_NS6detail15normal_iteratorINS9_10device_ptrIsEEEESE_SE_iNS9_4plusIvEENS9_8equal_toIvEEiEE10hipError_tPvRmT2_T3_T4_T5_mT6_T7_P12ihipStream_tbENKUlT_T0_E_clISt17integral_constantIbLb0EESZ_EEDaSU_SV_EUlSU_E_NS1_11comp_targetILNS1_3genE10ELNS1_11target_archE1200ELNS1_3gpuE4ELNS1_3repE0EEENS1_30default_config_static_selectorELNS0_4arch9wavefront6targetE1EEEvT1_
		.amdhsa_group_segment_fixed_size 0
		.amdhsa_private_segment_fixed_size 0
		.amdhsa_kernarg_size 112
		.amdhsa_user_sgpr_count 2
		.amdhsa_user_sgpr_dispatch_ptr 0
		.amdhsa_user_sgpr_queue_ptr 0
		.amdhsa_user_sgpr_kernarg_segment_ptr 1
		.amdhsa_user_sgpr_dispatch_id 0
		.amdhsa_user_sgpr_kernarg_preload_length 0
		.amdhsa_user_sgpr_kernarg_preload_offset 0
		.amdhsa_user_sgpr_private_segment_size 0
		.amdhsa_uses_dynamic_stack 0
		.amdhsa_enable_private_segment 0
		.amdhsa_system_sgpr_workgroup_id_x 1
		.amdhsa_system_sgpr_workgroup_id_y 0
		.amdhsa_system_sgpr_workgroup_id_z 0
		.amdhsa_system_sgpr_workgroup_info 0
		.amdhsa_system_vgpr_workitem_id 0
		.amdhsa_next_free_vgpr 1
		.amdhsa_next_free_sgpr 0
		.amdhsa_accum_offset 4
		.amdhsa_reserve_vcc 0
		.amdhsa_float_round_mode_32 0
		.amdhsa_float_round_mode_16_64 0
		.amdhsa_float_denorm_mode_32 3
		.amdhsa_float_denorm_mode_16_64 3
		.amdhsa_dx10_clamp 1
		.amdhsa_ieee_mode 1
		.amdhsa_fp16_overflow 0
		.amdhsa_tg_split 0
		.amdhsa_exception_fp_ieee_invalid_op 0
		.amdhsa_exception_fp_denorm_src 0
		.amdhsa_exception_fp_ieee_div_zero 0
		.amdhsa_exception_fp_ieee_overflow 0
		.amdhsa_exception_fp_ieee_underflow 0
		.amdhsa_exception_fp_ieee_inexact 0
		.amdhsa_exception_int_div_zero 0
	.end_amdhsa_kernel
	.section	.text._ZN7rocprim17ROCPRIM_400000_NS6detail17trampoline_kernelINS0_14default_configENS1_27scan_by_key_config_selectorIsiEEZZNS1_16scan_by_key_implILNS1_25lookback_scan_determinismE0ELb1ES3_N6thrust23THRUST_200600_302600_NS6detail15normal_iteratorINS9_10device_ptrIsEEEESE_SE_iNS9_4plusIvEENS9_8equal_toIvEEiEE10hipError_tPvRmT2_T3_T4_T5_mT6_T7_P12ihipStream_tbENKUlT_T0_E_clISt17integral_constantIbLb0EESZ_EEDaSU_SV_EUlSU_E_NS1_11comp_targetILNS1_3genE10ELNS1_11target_archE1200ELNS1_3gpuE4ELNS1_3repE0EEENS1_30default_config_static_selectorELNS0_4arch9wavefront6targetE1EEEvT1_,"axG",@progbits,_ZN7rocprim17ROCPRIM_400000_NS6detail17trampoline_kernelINS0_14default_configENS1_27scan_by_key_config_selectorIsiEEZZNS1_16scan_by_key_implILNS1_25lookback_scan_determinismE0ELb1ES3_N6thrust23THRUST_200600_302600_NS6detail15normal_iteratorINS9_10device_ptrIsEEEESE_SE_iNS9_4plusIvEENS9_8equal_toIvEEiEE10hipError_tPvRmT2_T3_T4_T5_mT6_T7_P12ihipStream_tbENKUlT_T0_E_clISt17integral_constantIbLb0EESZ_EEDaSU_SV_EUlSU_E_NS1_11comp_targetILNS1_3genE10ELNS1_11target_archE1200ELNS1_3gpuE4ELNS1_3repE0EEENS1_30default_config_static_selectorELNS0_4arch9wavefront6targetE1EEEvT1_,comdat
.Lfunc_end1048:
	.size	_ZN7rocprim17ROCPRIM_400000_NS6detail17trampoline_kernelINS0_14default_configENS1_27scan_by_key_config_selectorIsiEEZZNS1_16scan_by_key_implILNS1_25lookback_scan_determinismE0ELb1ES3_N6thrust23THRUST_200600_302600_NS6detail15normal_iteratorINS9_10device_ptrIsEEEESE_SE_iNS9_4plusIvEENS9_8equal_toIvEEiEE10hipError_tPvRmT2_T3_T4_T5_mT6_T7_P12ihipStream_tbENKUlT_T0_E_clISt17integral_constantIbLb0EESZ_EEDaSU_SV_EUlSU_E_NS1_11comp_targetILNS1_3genE10ELNS1_11target_archE1200ELNS1_3gpuE4ELNS1_3repE0EEENS1_30default_config_static_selectorELNS0_4arch9wavefront6targetE1EEEvT1_, .Lfunc_end1048-_ZN7rocprim17ROCPRIM_400000_NS6detail17trampoline_kernelINS0_14default_configENS1_27scan_by_key_config_selectorIsiEEZZNS1_16scan_by_key_implILNS1_25lookback_scan_determinismE0ELb1ES3_N6thrust23THRUST_200600_302600_NS6detail15normal_iteratorINS9_10device_ptrIsEEEESE_SE_iNS9_4plusIvEENS9_8equal_toIvEEiEE10hipError_tPvRmT2_T3_T4_T5_mT6_T7_P12ihipStream_tbENKUlT_T0_E_clISt17integral_constantIbLb0EESZ_EEDaSU_SV_EUlSU_E_NS1_11comp_targetILNS1_3genE10ELNS1_11target_archE1200ELNS1_3gpuE4ELNS1_3repE0EEENS1_30default_config_static_selectorELNS0_4arch9wavefront6targetE1EEEvT1_
                                        ; -- End function
	.section	.AMDGPU.csdata,"",@progbits
; Kernel info:
; codeLenInByte = 0
; NumSgprs: 6
; NumVgprs: 0
; NumAgprs: 0
; TotalNumVgprs: 0
; ScratchSize: 0
; MemoryBound: 0
; FloatMode: 240
; IeeeMode: 1
; LDSByteSize: 0 bytes/workgroup (compile time only)
; SGPRBlocks: 0
; VGPRBlocks: 0
; NumSGPRsForWavesPerEU: 6
; NumVGPRsForWavesPerEU: 1
; AccumOffset: 4
; Occupancy: 8
; WaveLimiterHint : 0
; COMPUTE_PGM_RSRC2:SCRATCH_EN: 0
; COMPUTE_PGM_RSRC2:USER_SGPR: 2
; COMPUTE_PGM_RSRC2:TRAP_HANDLER: 0
; COMPUTE_PGM_RSRC2:TGID_X_EN: 1
; COMPUTE_PGM_RSRC2:TGID_Y_EN: 0
; COMPUTE_PGM_RSRC2:TGID_Z_EN: 0
; COMPUTE_PGM_RSRC2:TIDIG_COMP_CNT: 0
; COMPUTE_PGM_RSRC3_GFX90A:ACCUM_OFFSET: 0
; COMPUTE_PGM_RSRC3_GFX90A:TG_SPLIT: 0
	.section	.text._ZN7rocprim17ROCPRIM_400000_NS6detail17trampoline_kernelINS0_14default_configENS1_27scan_by_key_config_selectorIsiEEZZNS1_16scan_by_key_implILNS1_25lookback_scan_determinismE0ELb1ES3_N6thrust23THRUST_200600_302600_NS6detail15normal_iteratorINS9_10device_ptrIsEEEESE_SE_iNS9_4plusIvEENS9_8equal_toIvEEiEE10hipError_tPvRmT2_T3_T4_T5_mT6_T7_P12ihipStream_tbENKUlT_T0_E_clISt17integral_constantIbLb0EESZ_EEDaSU_SV_EUlSU_E_NS1_11comp_targetILNS1_3genE9ELNS1_11target_archE1100ELNS1_3gpuE3ELNS1_3repE0EEENS1_30default_config_static_selectorELNS0_4arch9wavefront6targetE1EEEvT1_,"axG",@progbits,_ZN7rocprim17ROCPRIM_400000_NS6detail17trampoline_kernelINS0_14default_configENS1_27scan_by_key_config_selectorIsiEEZZNS1_16scan_by_key_implILNS1_25lookback_scan_determinismE0ELb1ES3_N6thrust23THRUST_200600_302600_NS6detail15normal_iteratorINS9_10device_ptrIsEEEESE_SE_iNS9_4plusIvEENS9_8equal_toIvEEiEE10hipError_tPvRmT2_T3_T4_T5_mT6_T7_P12ihipStream_tbENKUlT_T0_E_clISt17integral_constantIbLb0EESZ_EEDaSU_SV_EUlSU_E_NS1_11comp_targetILNS1_3genE9ELNS1_11target_archE1100ELNS1_3gpuE3ELNS1_3repE0EEENS1_30default_config_static_selectorELNS0_4arch9wavefront6targetE1EEEvT1_,comdat
	.protected	_ZN7rocprim17ROCPRIM_400000_NS6detail17trampoline_kernelINS0_14default_configENS1_27scan_by_key_config_selectorIsiEEZZNS1_16scan_by_key_implILNS1_25lookback_scan_determinismE0ELb1ES3_N6thrust23THRUST_200600_302600_NS6detail15normal_iteratorINS9_10device_ptrIsEEEESE_SE_iNS9_4plusIvEENS9_8equal_toIvEEiEE10hipError_tPvRmT2_T3_T4_T5_mT6_T7_P12ihipStream_tbENKUlT_T0_E_clISt17integral_constantIbLb0EESZ_EEDaSU_SV_EUlSU_E_NS1_11comp_targetILNS1_3genE9ELNS1_11target_archE1100ELNS1_3gpuE3ELNS1_3repE0EEENS1_30default_config_static_selectorELNS0_4arch9wavefront6targetE1EEEvT1_ ; -- Begin function _ZN7rocprim17ROCPRIM_400000_NS6detail17trampoline_kernelINS0_14default_configENS1_27scan_by_key_config_selectorIsiEEZZNS1_16scan_by_key_implILNS1_25lookback_scan_determinismE0ELb1ES3_N6thrust23THRUST_200600_302600_NS6detail15normal_iteratorINS9_10device_ptrIsEEEESE_SE_iNS9_4plusIvEENS9_8equal_toIvEEiEE10hipError_tPvRmT2_T3_T4_T5_mT6_T7_P12ihipStream_tbENKUlT_T0_E_clISt17integral_constantIbLb0EESZ_EEDaSU_SV_EUlSU_E_NS1_11comp_targetILNS1_3genE9ELNS1_11target_archE1100ELNS1_3gpuE3ELNS1_3repE0EEENS1_30default_config_static_selectorELNS0_4arch9wavefront6targetE1EEEvT1_
	.globl	_ZN7rocprim17ROCPRIM_400000_NS6detail17trampoline_kernelINS0_14default_configENS1_27scan_by_key_config_selectorIsiEEZZNS1_16scan_by_key_implILNS1_25lookback_scan_determinismE0ELb1ES3_N6thrust23THRUST_200600_302600_NS6detail15normal_iteratorINS9_10device_ptrIsEEEESE_SE_iNS9_4plusIvEENS9_8equal_toIvEEiEE10hipError_tPvRmT2_T3_T4_T5_mT6_T7_P12ihipStream_tbENKUlT_T0_E_clISt17integral_constantIbLb0EESZ_EEDaSU_SV_EUlSU_E_NS1_11comp_targetILNS1_3genE9ELNS1_11target_archE1100ELNS1_3gpuE3ELNS1_3repE0EEENS1_30default_config_static_selectorELNS0_4arch9wavefront6targetE1EEEvT1_
	.p2align	8
	.type	_ZN7rocprim17ROCPRIM_400000_NS6detail17trampoline_kernelINS0_14default_configENS1_27scan_by_key_config_selectorIsiEEZZNS1_16scan_by_key_implILNS1_25lookback_scan_determinismE0ELb1ES3_N6thrust23THRUST_200600_302600_NS6detail15normal_iteratorINS9_10device_ptrIsEEEESE_SE_iNS9_4plusIvEENS9_8equal_toIvEEiEE10hipError_tPvRmT2_T3_T4_T5_mT6_T7_P12ihipStream_tbENKUlT_T0_E_clISt17integral_constantIbLb0EESZ_EEDaSU_SV_EUlSU_E_NS1_11comp_targetILNS1_3genE9ELNS1_11target_archE1100ELNS1_3gpuE3ELNS1_3repE0EEENS1_30default_config_static_selectorELNS0_4arch9wavefront6targetE1EEEvT1_,@function
_ZN7rocprim17ROCPRIM_400000_NS6detail17trampoline_kernelINS0_14default_configENS1_27scan_by_key_config_selectorIsiEEZZNS1_16scan_by_key_implILNS1_25lookback_scan_determinismE0ELb1ES3_N6thrust23THRUST_200600_302600_NS6detail15normal_iteratorINS9_10device_ptrIsEEEESE_SE_iNS9_4plusIvEENS9_8equal_toIvEEiEE10hipError_tPvRmT2_T3_T4_T5_mT6_T7_P12ihipStream_tbENKUlT_T0_E_clISt17integral_constantIbLb0EESZ_EEDaSU_SV_EUlSU_E_NS1_11comp_targetILNS1_3genE9ELNS1_11target_archE1100ELNS1_3gpuE3ELNS1_3repE0EEENS1_30default_config_static_selectorELNS0_4arch9wavefront6targetE1EEEvT1_: ; @_ZN7rocprim17ROCPRIM_400000_NS6detail17trampoline_kernelINS0_14default_configENS1_27scan_by_key_config_selectorIsiEEZZNS1_16scan_by_key_implILNS1_25lookback_scan_determinismE0ELb1ES3_N6thrust23THRUST_200600_302600_NS6detail15normal_iteratorINS9_10device_ptrIsEEEESE_SE_iNS9_4plusIvEENS9_8equal_toIvEEiEE10hipError_tPvRmT2_T3_T4_T5_mT6_T7_P12ihipStream_tbENKUlT_T0_E_clISt17integral_constantIbLb0EESZ_EEDaSU_SV_EUlSU_E_NS1_11comp_targetILNS1_3genE9ELNS1_11target_archE1100ELNS1_3gpuE3ELNS1_3repE0EEENS1_30default_config_static_selectorELNS0_4arch9wavefront6targetE1EEEvT1_
; %bb.0:
	.section	.rodata,"a",@progbits
	.p2align	6, 0x0
	.amdhsa_kernel _ZN7rocprim17ROCPRIM_400000_NS6detail17trampoline_kernelINS0_14default_configENS1_27scan_by_key_config_selectorIsiEEZZNS1_16scan_by_key_implILNS1_25lookback_scan_determinismE0ELb1ES3_N6thrust23THRUST_200600_302600_NS6detail15normal_iteratorINS9_10device_ptrIsEEEESE_SE_iNS9_4plusIvEENS9_8equal_toIvEEiEE10hipError_tPvRmT2_T3_T4_T5_mT6_T7_P12ihipStream_tbENKUlT_T0_E_clISt17integral_constantIbLb0EESZ_EEDaSU_SV_EUlSU_E_NS1_11comp_targetILNS1_3genE9ELNS1_11target_archE1100ELNS1_3gpuE3ELNS1_3repE0EEENS1_30default_config_static_selectorELNS0_4arch9wavefront6targetE1EEEvT1_
		.amdhsa_group_segment_fixed_size 0
		.amdhsa_private_segment_fixed_size 0
		.amdhsa_kernarg_size 112
		.amdhsa_user_sgpr_count 2
		.amdhsa_user_sgpr_dispatch_ptr 0
		.amdhsa_user_sgpr_queue_ptr 0
		.amdhsa_user_sgpr_kernarg_segment_ptr 1
		.amdhsa_user_sgpr_dispatch_id 0
		.amdhsa_user_sgpr_kernarg_preload_length 0
		.amdhsa_user_sgpr_kernarg_preload_offset 0
		.amdhsa_user_sgpr_private_segment_size 0
		.amdhsa_uses_dynamic_stack 0
		.amdhsa_enable_private_segment 0
		.amdhsa_system_sgpr_workgroup_id_x 1
		.amdhsa_system_sgpr_workgroup_id_y 0
		.amdhsa_system_sgpr_workgroup_id_z 0
		.amdhsa_system_sgpr_workgroup_info 0
		.amdhsa_system_vgpr_workitem_id 0
		.amdhsa_next_free_vgpr 1
		.amdhsa_next_free_sgpr 0
		.amdhsa_accum_offset 4
		.amdhsa_reserve_vcc 0
		.amdhsa_float_round_mode_32 0
		.amdhsa_float_round_mode_16_64 0
		.amdhsa_float_denorm_mode_32 3
		.amdhsa_float_denorm_mode_16_64 3
		.amdhsa_dx10_clamp 1
		.amdhsa_ieee_mode 1
		.amdhsa_fp16_overflow 0
		.amdhsa_tg_split 0
		.amdhsa_exception_fp_ieee_invalid_op 0
		.amdhsa_exception_fp_denorm_src 0
		.amdhsa_exception_fp_ieee_div_zero 0
		.amdhsa_exception_fp_ieee_overflow 0
		.amdhsa_exception_fp_ieee_underflow 0
		.amdhsa_exception_fp_ieee_inexact 0
		.amdhsa_exception_int_div_zero 0
	.end_amdhsa_kernel
	.section	.text._ZN7rocprim17ROCPRIM_400000_NS6detail17trampoline_kernelINS0_14default_configENS1_27scan_by_key_config_selectorIsiEEZZNS1_16scan_by_key_implILNS1_25lookback_scan_determinismE0ELb1ES3_N6thrust23THRUST_200600_302600_NS6detail15normal_iteratorINS9_10device_ptrIsEEEESE_SE_iNS9_4plusIvEENS9_8equal_toIvEEiEE10hipError_tPvRmT2_T3_T4_T5_mT6_T7_P12ihipStream_tbENKUlT_T0_E_clISt17integral_constantIbLb0EESZ_EEDaSU_SV_EUlSU_E_NS1_11comp_targetILNS1_3genE9ELNS1_11target_archE1100ELNS1_3gpuE3ELNS1_3repE0EEENS1_30default_config_static_selectorELNS0_4arch9wavefront6targetE1EEEvT1_,"axG",@progbits,_ZN7rocprim17ROCPRIM_400000_NS6detail17trampoline_kernelINS0_14default_configENS1_27scan_by_key_config_selectorIsiEEZZNS1_16scan_by_key_implILNS1_25lookback_scan_determinismE0ELb1ES3_N6thrust23THRUST_200600_302600_NS6detail15normal_iteratorINS9_10device_ptrIsEEEESE_SE_iNS9_4plusIvEENS9_8equal_toIvEEiEE10hipError_tPvRmT2_T3_T4_T5_mT6_T7_P12ihipStream_tbENKUlT_T0_E_clISt17integral_constantIbLb0EESZ_EEDaSU_SV_EUlSU_E_NS1_11comp_targetILNS1_3genE9ELNS1_11target_archE1100ELNS1_3gpuE3ELNS1_3repE0EEENS1_30default_config_static_selectorELNS0_4arch9wavefront6targetE1EEEvT1_,comdat
.Lfunc_end1049:
	.size	_ZN7rocprim17ROCPRIM_400000_NS6detail17trampoline_kernelINS0_14default_configENS1_27scan_by_key_config_selectorIsiEEZZNS1_16scan_by_key_implILNS1_25lookback_scan_determinismE0ELb1ES3_N6thrust23THRUST_200600_302600_NS6detail15normal_iteratorINS9_10device_ptrIsEEEESE_SE_iNS9_4plusIvEENS9_8equal_toIvEEiEE10hipError_tPvRmT2_T3_T4_T5_mT6_T7_P12ihipStream_tbENKUlT_T0_E_clISt17integral_constantIbLb0EESZ_EEDaSU_SV_EUlSU_E_NS1_11comp_targetILNS1_3genE9ELNS1_11target_archE1100ELNS1_3gpuE3ELNS1_3repE0EEENS1_30default_config_static_selectorELNS0_4arch9wavefront6targetE1EEEvT1_, .Lfunc_end1049-_ZN7rocprim17ROCPRIM_400000_NS6detail17trampoline_kernelINS0_14default_configENS1_27scan_by_key_config_selectorIsiEEZZNS1_16scan_by_key_implILNS1_25lookback_scan_determinismE0ELb1ES3_N6thrust23THRUST_200600_302600_NS6detail15normal_iteratorINS9_10device_ptrIsEEEESE_SE_iNS9_4plusIvEENS9_8equal_toIvEEiEE10hipError_tPvRmT2_T3_T4_T5_mT6_T7_P12ihipStream_tbENKUlT_T0_E_clISt17integral_constantIbLb0EESZ_EEDaSU_SV_EUlSU_E_NS1_11comp_targetILNS1_3genE9ELNS1_11target_archE1100ELNS1_3gpuE3ELNS1_3repE0EEENS1_30default_config_static_selectorELNS0_4arch9wavefront6targetE1EEEvT1_
                                        ; -- End function
	.section	.AMDGPU.csdata,"",@progbits
; Kernel info:
; codeLenInByte = 0
; NumSgprs: 6
; NumVgprs: 0
; NumAgprs: 0
; TotalNumVgprs: 0
; ScratchSize: 0
; MemoryBound: 0
; FloatMode: 240
; IeeeMode: 1
; LDSByteSize: 0 bytes/workgroup (compile time only)
; SGPRBlocks: 0
; VGPRBlocks: 0
; NumSGPRsForWavesPerEU: 6
; NumVGPRsForWavesPerEU: 1
; AccumOffset: 4
; Occupancy: 8
; WaveLimiterHint : 0
; COMPUTE_PGM_RSRC2:SCRATCH_EN: 0
; COMPUTE_PGM_RSRC2:USER_SGPR: 2
; COMPUTE_PGM_RSRC2:TRAP_HANDLER: 0
; COMPUTE_PGM_RSRC2:TGID_X_EN: 1
; COMPUTE_PGM_RSRC2:TGID_Y_EN: 0
; COMPUTE_PGM_RSRC2:TGID_Z_EN: 0
; COMPUTE_PGM_RSRC2:TIDIG_COMP_CNT: 0
; COMPUTE_PGM_RSRC3_GFX90A:ACCUM_OFFSET: 0
; COMPUTE_PGM_RSRC3_GFX90A:TG_SPLIT: 0
	.section	.text._ZN7rocprim17ROCPRIM_400000_NS6detail17trampoline_kernelINS0_14default_configENS1_27scan_by_key_config_selectorIsiEEZZNS1_16scan_by_key_implILNS1_25lookback_scan_determinismE0ELb1ES3_N6thrust23THRUST_200600_302600_NS6detail15normal_iteratorINS9_10device_ptrIsEEEESE_SE_iNS9_4plusIvEENS9_8equal_toIvEEiEE10hipError_tPvRmT2_T3_T4_T5_mT6_T7_P12ihipStream_tbENKUlT_T0_E_clISt17integral_constantIbLb0EESZ_EEDaSU_SV_EUlSU_E_NS1_11comp_targetILNS1_3genE8ELNS1_11target_archE1030ELNS1_3gpuE2ELNS1_3repE0EEENS1_30default_config_static_selectorELNS0_4arch9wavefront6targetE1EEEvT1_,"axG",@progbits,_ZN7rocprim17ROCPRIM_400000_NS6detail17trampoline_kernelINS0_14default_configENS1_27scan_by_key_config_selectorIsiEEZZNS1_16scan_by_key_implILNS1_25lookback_scan_determinismE0ELb1ES3_N6thrust23THRUST_200600_302600_NS6detail15normal_iteratorINS9_10device_ptrIsEEEESE_SE_iNS9_4plusIvEENS9_8equal_toIvEEiEE10hipError_tPvRmT2_T3_T4_T5_mT6_T7_P12ihipStream_tbENKUlT_T0_E_clISt17integral_constantIbLb0EESZ_EEDaSU_SV_EUlSU_E_NS1_11comp_targetILNS1_3genE8ELNS1_11target_archE1030ELNS1_3gpuE2ELNS1_3repE0EEENS1_30default_config_static_selectorELNS0_4arch9wavefront6targetE1EEEvT1_,comdat
	.protected	_ZN7rocprim17ROCPRIM_400000_NS6detail17trampoline_kernelINS0_14default_configENS1_27scan_by_key_config_selectorIsiEEZZNS1_16scan_by_key_implILNS1_25lookback_scan_determinismE0ELb1ES3_N6thrust23THRUST_200600_302600_NS6detail15normal_iteratorINS9_10device_ptrIsEEEESE_SE_iNS9_4plusIvEENS9_8equal_toIvEEiEE10hipError_tPvRmT2_T3_T4_T5_mT6_T7_P12ihipStream_tbENKUlT_T0_E_clISt17integral_constantIbLb0EESZ_EEDaSU_SV_EUlSU_E_NS1_11comp_targetILNS1_3genE8ELNS1_11target_archE1030ELNS1_3gpuE2ELNS1_3repE0EEENS1_30default_config_static_selectorELNS0_4arch9wavefront6targetE1EEEvT1_ ; -- Begin function _ZN7rocprim17ROCPRIM_400000_NS6detail17trampoline_kernelINS0_14default_configENS1_27scan_by_key_config_selectorIsiEEZZNS1_16scan_by_key_implILNS1_25lookback_scan_determinismE0ELb1ES3_N6thrust23THRUST_200600_302600_NS6detail15normal_iteratorINS9_10device_ptrIsEEEESE_SE_iNS9_4plusIvEENS9_8equal_toIvEEiEE10hipError_tPvRmT2_T3_T4_T5_mT6_T7_P12ihipStream_tbENKUlT_T0_E_clISt17integral_constantIbLb0EESZ_EEDaSU_SV_EUlSU_E_NS1_11comp_targetILNS1_3genE8ELNS1_11target_archE1030ELNS1_3gpuE2ELNS1_3repE0EEENS1_30default_config_static_selectorELNS0_4arch9wavefront6targetE1EEEvT1_
	.globl	_ZN7rocprim17ROCPRIM_400000_NS6detail17trampoline_kernelINS0_14default_configENS1_27scan_by_key_config_selectorIsiEEZZNS1_16scan_by_key_implILNS1_25lookback_scan_determinismE0ELb1ES3_N6thrust23THRUST_200600_302600_NS6detail15normal_iteratorINS9_10device_ptrIsEEEESE_SE_iNS9_4plusIvEENS9_8equal_toIvEEiEE10hipError_tPvRmT2_T3_T4_T5_mT6_T7_P12ihipStream_tbENKUlT_T0_E_clISt17integral_constantIbLb0EESZ_EEDaSU_SV_EUlSU_E_NS1_11comp_targetILNS1_3genE8ELNS1_11target_archE1030ELNS1_3gpuE2ELNS1_3repE0EEENS1_30default_config_static_selectorELNS0_4arch9wavefront6targetE1EEEvT1_
	.p2align	8
	.type	_ZN7rocprim17ROCPRIM_400000_NS6detail17trampoline_kernelINS0_14default_configENS1_27scan_by_key_config_selectorIsiEEZZNS1_16scan_by_key_implILNS1_25lookback_scan_determinismE0ELb1ES3_N6thrust23THRUST_200600_302600_NS6detail15normal_iteratorINS9_10device_ptrIsEEEESE_SE_iNS9_4plusIvEENS9_8equal_toIvEEiEE10hipError_tPvRmT2_T3_T4_T5_mT6_T7_P12ihipStream_tbENKUlT_T0_E_clISt17integral_constantIbLb0EESZ_EEDaSU_SV_EUlSU_E_NS1_11comp_targetILNS1_3genE8ELNS1_11target_archE1030ELNS1_3gpuE2ELNS1_3repE0EEENS1_30default_config_static_selectorELNS0_4arch9wavefront6targetE1EEEvT1_,@function
_ZN7rocprim17ROCPRIM_400000_NS6detail17trampoline_kernelINS0_14default_configENS1_27scan_by_key_config_selectorIsiEEZZNS1_16scan_by_key_implILNS1_25lookback_scan_determinismE0ELb1ES3_N6thrust23THRUST_200600_302600_NS6detail15normal_iteratorINS9_10device_ptrIsEEEESE_SE_iNS9_4plusIvEENS9_8equal_toIvEEiEE10hipError_tPvRmT2_T3_T4_T5_mT6_T7_P12ihipStream_tbENKUlT_T0_E_clISt17integral_constantIbLb0EESZ_EEDaSU_SV_EUlSU_E_NS1_11comp_targetILNS1_3genE8ELNS1_11target_archE1030ELNS1_3gpuE2ELNS1_3repE0EEENS1_30default_config_static_selectorELNS0_4arch9wavefront6targetE1EEEvT1_: ; @_ZN7rocprim17ROCPRIM_400000_NS6detail17trampoline_kernelINS0_14default_configENS1_27scan_by_key_config_selectorIsiEEZZNS1_16scan_by_key_implILNS1_25lookback_scan_determinismE0ELb1ES3_N6thrust23THRUST_200600_302600_NS6detail15normal_iteratorINS9_10device_ptrIsEEEESE_SE_iNS9_4plusIvEENS9_8equal_toIvEEiEE10hipError_tPvRmT2_T3_T4_T5_mT6_T7_P12ihipStream_tbENKUlT_T0_E_clISt17integral_constantIbLb0EESZ_EEDaSU_SV_EUlSU_E_NS1_11comp_targetILNS1_3genE8ELNS1_11target_archE1030ELNS1_3gpuE2ELNS1_3repE0EEENS1_30default_config_static_selectorELNS0_4arch9wavefront6targetE1EEEvT1_
; %bb.0:
	.section	.rodata,"a",@progbits
	.p2align	6, 0x0
	.amdhsa_kernel _ZN7rocprim17ROCPRIM_400000_NS6detail17trampoline_kernelINS0_14default_configENS1_27scan_by_key_config_selectorIsiEEZZNS1_16scan_by_key_implILNS1_25lookback_scan_determinismE0ELb1ES3_N6thrust23THRUST_200600_302600_NS6detail15normal_iteratorINS9_10device_ptrIsEEEESE_SE_iNS9_4plusIvEENS9_8equal_toIvEEiEE10hipError_tPvRmT2_T3_T4_T5_mT6_T7_P12ihipStream_tbENKUlT_T0_E_clISt17integral_constantIbLb0EESZ_EEDaSU_SV_EUlSU_E_NS1_11comp_targetILNS1_3genE8ELNS1_11target_archE1030ELNS1_3gpuE2ELNS1_3repE0EEENS1_30default_config_static_selectorELNS0_4arch9wavefront6targetE1EEEvT1_
		.amdhsa_group_segment_fixed_size 0
		.amdhsa_private_segment_fixed_size 0
		.amdhsa_kernarg_size 112
		.amdhsa_user_sgpr_count 2
		.amdhsa_user_sgpr_dispatch_ptr 0
		.amdhsa_user_sgpr_queue_ptr 0
		.amdhsa_user_sgpr_kernarg_segment_ptr 1
		.amdhsa_user_sgpr_dispatch_id 0
		.amdhsa_user_sgpr_kernarg_preload_length 0
		.amdhsa_user_sgpr_kernarg_preload_offset 0
		.amdhsa_user_sgpr_private_segment_size 0
		.amdhsa_uses_dynamic_stack 0
		.amdhsa_enable_private_segment 0
		.amdhsa_system_sgpr_workgroup_id_x 1
		.amdhsa_system_sgpr_workgroup_id_y 0
		.amdhsa_system_sgpr_workgroup_id_z 0
		.amdhsa_system_sgpr_workgroup_info 0
		.amdhsa_system_vgpr_workitem_id 0
		.amdhsa_next_free_vgpr 1
		.amdhsa_next_free_sgpr 0
		.amdhsa_accum_offset 4
		.amdhsa_reserve_vcc 0
		.amdhsa_float_round_mode_32 0
		.amdhsa_float_round_mode_16_64 0
		.amdhsa_float_denorm_mode_32 3
		.amdhsa_float_denorm_mode_16_64 3
		.amdhsa_dx10_clamp 1
		.amdhsa_ieee_mode 1
		.amdhsa_fp16_overflow 0
		.amdhsa_tg_split 0
		.amdhsa_exception_fp_ieee_invalid_op 0
		.amdhsa_exception_fp_denorm_src 0
		.amdhsa_exception_fp_ieee_div_zero 0
		.amdhsa_exception_fp_ieee_overflow 0
		.amdhsa_exception_fp_ieee_underflow 0
		.amdhsa_exception_fp_ieee_inexact 0
		.amdhsa_exception_int_div_zero 0
	.end_amdhsa_kernel
	.section	.text._ZN7rocprim17ROCPRIM_400000_NS6detail17trampoline_kernelINS0_14default_configENS1_27scan_by_key_config_selectorIsiEEZZNS1_16scan_by_key_implILNS1_25lookback_scan_determinismE0ELb1ES3_N6thrust23THRUST_200600_302600_NS6detail15normal_iteratorINS9_10device_ptrIsEEEESE_SE_iNS9_4plusIvEENS9_8equal_toIvEEiEE10hipError_tPvRmT2_T3_T4_T5_mT6_T7_P12ihipStream_tbENKUlT_T0_E_clISt17integral_constantIbLb0EESZ_EEDaSU_SV_EUlSU_E_NS1_11comp_targetILNS1_3genE8ELNS1_11target_archE1030ELNS1_3gpuE2ELNS1_3repE0EEENS1_30default_config_static_selectorELNS0_4arch9wavefront6targetE1EEEvT1_,"axG",@progbits,_ZN7rocprim17ROCPRIM_400000_NS6detail17trampoline_kernelINS0_14default_configENS1_27scan_by_key_config_selectorIsiEEZZNS1_16scan_by_key_implILNS1_25lookback_scan_determinismE0ELb1ES3_N6thrust23THRUST_200600_302600_NS6detail15normal_iteratorINS9_10device_ptrIsEEEESE_SE_iNS9_4plusIvEENS9_8equal_toIvEEiEE10hipError_tPvRmT2_T3_T4_T5_mT6_T7_P12ihipStream_tbENKUlT_T0_E_clISt17integral_constantIbLb0EESZ_EEDaSU_SV_EUlSU_E_NS1_11comp_targetILNS1_3genE8ELNS1_11target_archE1030ELNS1_3gpuE2ELNS1_3repE0EEENS1_30default_config_static_selectorELNS0_4arch9wavefront6targetE1EEEvT1_,comdat
.Lfunc_end1050:
	.size	_ZN7rocprim17ROCPRIM_400000_NS6detail17trampoline_kernelINS0_14default_configENS1_27scan_by_key_config_selectorIsiEEZZNS1_16scan_by_key_implILNS1_25lookback_scan_determinismE0ELb1ES3_N6thrust23THRUST_200600_302600_NS6detail15normal_iteratorINS9_10device_ptrIsEEEESE_SE_iNS9_4plusIvEENS9_8equal_toIvEEiEE10hipError_tPvRmT2_T3_T4_T5_mT6_T7_P12ihipStream_tbENKUlT_T0_E_clISt17integral_constantIbLb0EESZ_EEDaSU_SV_EUlSU_E_NS1_11comp_targetILNS1_3genE8ELNS1_11target_archE1030ELNS1_3gpuE2ELNS1_3repE0EEENS1_30default_config_static_selectorELNS0_4arch9wavefront6targetE1EEEvT1_, .Lfunc_end1050-_ZN7rocprim17ROCPRIM_400000_NS6detail17trampoline_kernelINS0_14default_configENS1_27scan_by_key_config_selectorIsiEEZZNS1_16scan_by_key_implILNS1_25lookback_scan_determinismE0ELb1ES3_N6thrust23THRUST_200600_302600_NS6detail15normal_iteratorINS9_10device_ptrIsEEEESE_SE_iNS9_4plusIvEENS9_8equal_toIvEEiEE10hipError_tPvRmT2_T3_T4_T5_mT6_T7_P12ihipStream_tbENKUlT_T0_E_clISt17integral_constantIbLb0EESZ_EEDaSU_SV_EUlSU_E_NS1_11comp_targetILNS1_3genE8ELNS1_11target_archE1030ELNS1_3gpuE2ELNS1_3repE0EEENS1_30default_config_static_selectorELNS0_4arch9wavefront6targetE1EEEvT1_
                                        ; -- End function
	.section	.AMDGPU.csdata,"",@progbits
; Kernel info:
; codeLenInByte = 0
; NumSgprs: 6
; NumVgprs: 0
; NumAgprs: 0
; TotalNumVgprs: 0
; ScratchSize: 0
; MemoryBound: 0
; FloatMode: 240
; IeeeMode: 1
; LDSByteSize: 0 bytes/workgroup (compile time only)
; SGPRBlocks: 0
; VGPRBlocks: 0
; NumSGPRsForWavesPerEU: 6
; NumVGPRsForWavesPerEU: 1
; AccumOffset: 4
; Occupancy: 8
; WaveLimiterHint : 0
; COMPUTE_PGM_RSRC2:SCRATCH_EN: 0
; COMPUTE_PGM_RSRC2:USER_SGPR: 2
; COMPUTE_PGM_RSRC2:TRAP_HANDLER: 0
; COMPUTE_PGM_RSRC2:TGID_X_EN: 1
; COMPUTE_PGM_RSRC2:TGID_Y_EN: 0
; COMPUTE_PGM_RSRC2:TGID_Z_EN: 0
; COMPUTE_PGM_RSRC2:TIDIG_COMP_CNT: 0
; COMPUTE_PGM_RSRC3_GFX90A:ACCUM_OFFSET: 0
; COMPUTE_PGM_RSRC3_GFX90A:TG_SPLIT: 0
	.section	.text._ZN7rocprim17ROCPRIM_400000_NS6detail30init_device_scan_by_key_kernelINS1_19lookback_scan_stateINS0_5tupleIJibEEELb1ELb1EEEN6thrust23THRUST_200600_302600_NS6detail15normal_iteratorINS8_10device_ptrIsEEEEjNS1_16block_id_wrapperIjLb1EEEEEvT_jjPNSG_10value_typeET0_PNSt15iterator_traitsISJ_E10value_typeEmT1_T2_,"axG",@progbits,_ZN7rocprim17ROCPRIM_400000_NS6detail30init_device_scan_by_key_kernelINS1_19lookback_scan_stateINS0_5tupleIJibEEELb1ELb1EEEN6thrust23THRUST_200600_302600_NS6detail15normal_iteratorINS8_10device_ptrIsEEEEjNS1_16block_id_wrapperIjLb1EEEEEvT_jjPNSG_10value_typeET0_PNSt15iterator_traitsISJ_E10value_typeEmT1_T2_,comdat
	.protected	_ZN7rocprim17ROCPRIM_400000_NS6detail30init_device_scan_by_key_kernelINS1_19lookback_scan_stateINS0_5tupleIJibEEELb1ELb1EEEN6thrust23THRUST_200600_302600_NS6detail15normal_iteratorINS8_10device_ptrIsEEEEjNS1_16block_id_wrapperIjLb1EEEEEvT_jjPNSG_10value_typeET0_PNSt15iterator_traitsISJ_E10value_typeEmT1_T2_ ; -- Begin function _ZN7rocprim17ROCPRIM_400000_NS6detail30init_device_scan_by_key_kernelINS1_19lookback_scan_stateINS0_5tupleIJibEEELb1ELb1EEEN6thrust23THRUST_200600_302600_NS6detail15normal_iteratorINS8_10device_ptrIsEEEEjNS1_16block_id_wrapperIjLb1EEEEEvT_jjPNSG_10value_typeET0_PNSt15iterator_traitsISJ_E10value_typeEmT1_T2_
	.globl	_ZN7rocprim17ROCPRIM_400000_NS6detail30init_device_scan_by_key_kernelINS1_19lookback_scan_stateINS0_5tupleIJibEEELb1ELb1EEEN6thrust23THRUST_200600_302600_NS6detail15normal_iteratorINS8_10device_ptrIsEEEEjNS1_16block_id_wrapperIjLb1EEEEEvT_jjPNSG_10value_typeET0_PNSt15iterator_traitsISJ_E10value_typeEmT1_T2_
	.p2align	8
	.type	_ZN7rocprim17ROCPRIM_400000_NS6detail30init_device_scan_by_key_kernelINS1_19lookback_scan_stateINS0_5tupleIJibEEELb1ELb1EEEN6thrust23THRUST_200600_302600_NS6detail15normal_iteratorINS8_10device_ptrIsEEEEjNS1_16block_id_wrapperIjLb1EEEEEvT_jjPNSG_10value_typeET0_PNSt15iterator_traitsISJ_E10value_typeEmT1_T2_,@function
_ZN7rocprim17ROCPRIM_400000_NS6detail30init_device_scan_by_key_kernelINS1_19lookback_scan_stateINS0_5tupleIJibEEELb1ELb1EEEN6thrust23THRUST_200600_302600_NS6detail15normal_iteratorINS8_10device_ptrIsEEEEjNS1_16block_id_wrapperIjLb1EEEEEvT_jjPNSG_10value_typeET0_PNSt15iterator_traitsISJ_E10value_typeEmT1_T2_: ; @_ZN7rocprim17ROCPRIM_400000_NS6detail30init_device_scan_by_key_kernelINS1_19lookback_scan_stateINS0_5tupleIJibEEELb1ELb1EEEN6thrust23THRUST_200600_302600_NS6detail15normal_iteratorINS8_10device_ptrIsEEEEjNS1_16block_id_wrapperIjLb1EEEEEvT_jjPNSG_10value_typeET0_PNSt15iterator_traitsISJ_E10value_typeEmT1_T2_
; %bb.0:
	s_load_dword s3, s[0:1], 0x4c
	s_load_dwordx8 s[4:11], s[0:1], 0x0
	s_load_dword s18, s[0:1], 0x40
	s_waitcnt lgkmcnt(0)
	s_and_b32 s19, s3, 0xffff
	s_mul_i32 s2, s2, s19
	s_cmp_eq_u64 s[8:9], 0
	v_add_u32_e32 v4, s2, v0
	s_cbranch_scc1 .LBB1051_10
; %bb.1:
	s_cmp_lt_u32 s7, s6
	s_cselect_b32 s2, s7, 0
	s_mov_b32 s13, 0
	v_cmp_eq_u32_e32 vcc, s2, v4
	s_and_saveexec_b64 s[2:3], vcc
	s_cbranch_execz .LBB1051_9
; %bb.2:
	s_add_i32 s12, s7, 64
	s_lshl_b64 s[12:13], s[12:13], 4
	s_add_u32 s16, s4, s12
	s_addc_u32 s17, s5, s13
	v_mov_b64_e32 v[0:1], s[16:17]
	;;#ASMSTART
	global_load_dwordx4 v[0:3], v[0:1] off sc1	
s_waitcnt vmcnt(0)
	;;#ASMEND
	v_mov_b32_e32 v7, 0
	v_and_b32_e32 v6, 0xff, v2
	s_mov_b64 s[14:15], 0
	v_cmp_eq_u64_e32 vcc, 0, v[6:7]
	s_and_saveexec_b64 s[12:13], vcc
	s_cbranch_execz .LBB1051_8
; %bb.3:
	s_mov_b32 s7, 1
	v_mov_b64_e32 v[8:9], s[16:17]
.LBB1051_4:                             ; =>This Loop Header: Depth=1
                                        ;     Child Loop BB1051_5 Depth 2
	s_max_u32 s16, s7, 1
.LBB1051_5:                             ;   Parent Loop BB1051_4 Depth=1
                                        ; =>  This Inner Loop Header: Depth=2
	s_add_i32 s16, s16, -1
	s_cmp_eq_u32 s16, 0
	s_sleep 1
	s_cbranch_scc0 .LBB1051_5
; %bb.6:                                ;   in Loop: Header=BB1051_4 Depth=1
	s_cmp_lt_u32 s7, 32
	s_cselect_b64 s[16:17], -1, 0
	s_cmp_lg_u64 s[16:17], 0
	;;#ASMSTART
	global_load_dwordx4 v[0:3], v[8:9] off sc1	
s_waitcnt vmcnt(0)
	;;#ASMEND
	s_addc_u32 s7, s7, 0
	v_and_b32_e32 v6, 0xff, v2
	v_cmp_ne_u64_e32 vcc, 0, v[6:7]
	s_or_b64 s[14:15], vcc, s[14:15]
	s_andn2_b64 exec, exec, s[14:15]
	s_cbranch_execnz .LBB1051_4
; %bb.7:
	s_or_b64 exec, exec, s[14:15]
.LBB1051_8:
	s_or_b64 exec, exec, s[12:13]
	v_mov_b32_e32 v2, 0
	global_store_dword v2, v0, s[8:9]
	global_store_byte v2, v1, s[8:9] offset:4
.LBB1051_9:
	s_or_b64 exec, exec, s[2:3]
.LBB1051_10:
	v_cmp_eq_u32_e32 vcc, 0, v4
	s_and_saveexec_b64 s[2:3], vcc
	s_cbranch_execz .LBB1051_12
; %bb.11:
	s_load_dwordx2 s[8:9], s[0:1], 0x38
	v_mov_b32_e32 v0, 0
	s_waitcnt lgkmcnt(0)
	global_store_dword v0, v0, s[8:9]
.LBB1051_12:
	s_or_b64 exec, exec, s[2:3]
	v_cmp_gt_u32_e32 vcc, s6, v4
	s_and_saveexec_b64 s[2:3], vcc
	s_cbranch_execz .LBB1051_14
; %bb.13:
	v_add_u32_e32 v0, 64, v4
	v_mov_b32_e32 v1, 0
	v_lshl_add_u64 v[6:7], v[0:1], 4, s[4:5]
	v_mov_b32_e32 v0, v1
	v_mov_b32_e32 v2, v1
	;; [unrolled: 1-line block ×3, first 2 shown]
	global_store_dwordx4 v[6:7], v[0:3], off
.LBB1051_14:
	s_or_b64 exec, exec, s[2:3]
	v_cmp_gt_u32_e32 vcc, 64, v4
	v_mov_b32_e32 v5, 0
	s_and_saveexec_b64 s[2:3], vcc
	s_cbranch_execz .LBB1051_16
; %bb.15:
	v_lshl_add_u64 v[6:7], v[4:5], 4, s[4:5]
	v_mov_b32_e32 v2, 0xff
	v_mov_b32_e32 v0, v5
	;; [unrolled: 1-line block ×4, first 2 shown]
	global_store_dwordx4 v[6:7], v[0:3], off
.LBB1051_16:
	s_or_b64 exec, exec, s[2:3]
	s_load_dwordx2 s[2:3], s[0:1], 0x28
	s_waitcnt lgkmcnt(0)
	v_cmp_gt_u64_e32 vcc, s[2:3], v[4:5]
	s_and_saveexec_b64 s[4:5], vcc
	s_cbranch_execz .LBB1051_19
; %bb.17:
	s_load_dword s12, s[0:1], 0x30
	s_load_dwordx2 s[6:7], s[0:1], 0x20
	s_mov_b32 s5, 0
	s_mov_b32 s1, s5
	s_mul_i32 s0, s18, s19
	s_waitcnt lgkmcnt(0)
	s_add_i32 s4, s12, -1
	s_lshl_b64 s[4:5], s[4:5], 1
	s_add_u32 s4, s10, s4
	v_mad_u64_u32 v[0:1], s[8:9], s12, v4, 0
	s_addc_u32 s5, s11, s5
	v_lshl_add_u64 v[0:1], v[0:1], 1, s[4:5]
	s_mul_hi_u32 s5, s12, s0
	s_mul_i32 s4, s12, s0
	s_lshl_b64 s[4:5], s[4:5], 1
	v_lshl_add_u64 v[2:3], v[4:5], 1, s[6:7]
	s_lshl_b64 s[6:7], s[0:1], 1
	s_mov_b64 s[8:9], 0
.LBB1051_18:                            ; =>This Inner Loop Header: Depth=1
	global_load_ushort v6, v[0:1], off
	v_lshl_add_u64 v[4:5], v[4:5], 0, s[0:1]
	v_cmp_le_u64_e32 vcc, s[2:3], v[4:5]
	v_lshl_add_u64 v[0:1], v[0:1], 0, s[4:5]
	s_or_b64 s[8:9], vcc, s[8:9]
	s_waitcnt vmcnt(0)
	global_store_short v[2:3], v6, off
	v_lshl_add_u64 v[2:3], v[2:3], 0, s[6:7]
	s_andn2_b64 exec, exec, s[8:9]
	s_cbranch_execnz .LBB1051_18
.LBB1051_19:
	s_endpgm
	.section	.rodata,"a",@progbits
	.p2align	6, 0x0
	.amdhsa_kernel _ZN7rocprim17ROCPRIM_400000_NS6detail30init_device_scan_by_key_kernelINS1_19lookback_scan_stateINS0_5tupleIJibEEELb1ELb1EEEN6thrust23THRUST_200600_302600_NS6detail15normal_iteratorINS8_10device_ptrIsEEEEjNS1_16block_id_wrapperIjLb1EEEEEvT_jjPNSG_10value_typeET0_PNSt15iterator_traitsISJ_E10value_typeEmT1_T2_
		.amdhsa_group_segment_fixed_size 0
		.amdhsa_private_segment_fixed_size 0
		.amdhsa_kernarg_size 320
		.amdhsa_user_sgpr_count 2
		.amdhsa_user_sgpr_dispatch_ptr 0
		.amdhsa_user_sgpr_queue_ptr 0
		.amdhsa_user_sgpr_kernarg_segment_ptr 1
		.amdhsa_user_sgpr_dispatch_id 0
		.amdhsa_user_sgpr_kernarg_preload_length 0
		.amdhsa_user_sgpr_kernarg_preload_offset 0
		.amdhsa_user_sgpr_private_segment_size 0
		.amdhsa_uses_dynamic_stack 0
		.amdhsa_enable_private_segment 0
		.amdhsa_system_sgpr_workgroup_id_x 1
		.amdhsa_system_sgpr_workgroup_id_y 0
		.amdhsa_system_sgpr_workgroup_id_z 0
		.amdhsa_system_sgpr_workgroup_info 0
		.amdhsa_system_vgpr_workitem_id 0
		.amdhsa_next_free_vgpr 10
		.amdhsa_next_free_sgpr 20
		.amdhsa_accum_offset 12
		.amdhsa_reserve_vcc 1
		.amdhsa_float_round_mode_32 0
		.amdhsa_float_round_mode_16_64 0
		.amdhsa_float_denorm_mode_32 3
		.amdhsa_float_denorm_mode_16_64 3
		.amdhsa_dx10_clamp 1
		.amdhsa_ieee_mode 1
		.amdhsa_fp16_overflow 0
		.amdhsa_tg_split 0
		.amdhsa_exception_fp_ieee_invalid_op 0
		.amdhsa_exception_fp_denorm_src 0
		.amdhsa_exception_fp_ieee_div_zero 0
		.amdhsa_exception_fp_ieee_overflow 0
		.amdhsa_exception_fp_ieee_underflow 0
		.amdhsa_exception_fp_ieee_inexact 0
		.amdhsa_exception_int_div_zero 0
	.end_amdhsa_kernel
	.section	.text._ZN7rocprim17ROCPRIM_400000_NS6detail30init_device_scan_by_key_kernelINS1_19lookback_scan_stateINS0_5tupleIJibEEELb1ELb1EEEN6thrust23THRUST_200600_302600_NS6detail15normal_iteratorINS8_10device_ptrIsEEEEjNS1_16block_id_wrapperIjLb1EEEEEvT_jjPNSG_10value_typeET0_PNSt15iterator_traitsISJ_E10value_typeEmT1_T2_,"axG",@progbits,_ZN7rocprim17ROCPRIM_400000_NS6detail30init_device_scan_by_key_kernelINS1_19lookback_scan_stateINS0_5tupleIJibEEELb1ELb1EEEN6thrust23THRUST_200600_302600_NS6detail15normal_iteratorINS8_10device_ptrIsEEEEjNS1_16block_id_wrapperIjLb1EEEEEvT_jjPNSG_10value_typeET0_PNSt15iterator_traitsISJ_E10value_typeEmT1_T2_,comdat
.Lfunc_end1051:
	.size	_ZN7rocprim17ROCPRIM_400000_NS6detail30init_device_scan_by_key_kernelINS1_19lookback_scan_stateINS0_5tupleIJibEEELb1ELb1EEEN6thrust23THRUST_200600_302600_NS6detail15normal_iteratorINS8_10device_ptrIsEEEEjNS1_16block_id_wrapperIjLb1EEEEEvT_jjPNSG_10value_typeET0_PNSt15iterator_traitsISJ_E10value_typeEmT1_T2_, .Lfunc_end1051-_ZN7rocprim17ROCPRIM_400000_NS6detail30init_device_scan_by_key_kernelINS1_19lookback_scan_stateINS0_5tupleIJibEEELb1ELb1EEEN6thrust23THRUST_200600_302600_NS6detail15normal_iteratorINS8_10device_ptrIsEEEEjNS1_16block_id_wrapperIjLb1EEEEEvT_jjPNSG_10value_typeET0_PNSt15iterator_traitsISJ_E10value_typeEmT1_T2_
                                        ; -- End function
	.section	.AMDGPU.csdata,"",@progbits
; Kernel info:
; codeLenInByte = 584
; NumSgprs: 26
; NumVgprs: 10
; NumAgprs: 0
; TotalNumVgprs: 10
; ScratchSize: 0
; MemoryBound: 0
; FloatMode: 240
; IeeeMode: 1
; LDSByteSize: 0 bytes/workgroup (compile time only)
; SGPRBlocks: 3
; VGPRBlocks: 1
; NumSGPRsForWavesPerEU: 26
; NumVGPRsForWavesPerEU: 10
; AccumOffset: 12
; Occupancy: 8
; WaveLimiterHint : 0
; COMPUTE_PGM_RSRC2:SCRATCH_EN: 0
; COMPUTE_PGM_RSRC2:USER_SGPR: 2
; COMPUTE_PGM_RSRC2:TRAP_HANDLER: 0
; COMPUTE_PGM_RSRC2:TGID_X_EN: 1
; COMPUTE_PGM_RSRC2:TGID_Y_EN: 0
; COMPUTE_PGM_RSRC2:TGID_Z_EN: 0
; COMPUTE_PGM_RSRC2:TIDIG_COMP_CNT: 0
; COMPUTE_PGM_RSRC3_GFX90A:ACCUM_OFFSET: 2
; COMPUTE_PGM_RSRC3_GFX90A:TG_SPLIT: 0
	.section	.text._ZN7rocprim17ROCPRIM_400000_NS6detail17trampoline_kernelINS0_14default_configENS1_27scan_by_key_config_selectorIsiEEZZNS1_16scan_by_key_implILNS1_25lookback_scan_determinismE0ELb1ES3_N6thrust23THRUST_200600_302600_NS6detail15normal_iteratorINS9_10device_ptrIsEEEESE_SE_iNS9_4plusIvEENS9_8equal_toIvEEiEE10hipError_tPvRmT2_T3_T4_T5_mT6_T7_P12ihipStream_tbENKUlT_T0_E_clISt17integral_constantIbLb1EESZ_EEDaSU_SV_EUlSU_E_NS1_11comp_targetILNS1_3genE0ELNS1_11target_archE4294967295ELNS1_3gpuE0ELNS1_3repE0EEENS1_30default_config_static_selectorELNS0_4arch9wavefront6targetE1EEEvT1_,"axG",@progbits,_ZN7rocprim17ROCPRIM_400000_NS6detail17trampoline_kernelINS0_14default_configENS1_27scan_by_key_config_selectorIsiEEZZNS1_16scan_by_key_implILNS1_25lookback_scan_determinismE0ELb1ES3_N6thrust23THRUST_200600_302600_NS6detail15normal_iteratorINS9_10device_ptrIsEEEESE_SE_iNS9_4plusIvEENS9_8equal_toIvEEiEE10hipError_tPvRmT2_T3_T4_T5_mT6_T7_P12ihipStream_tbENKUlT_T0_E_clISt17integral_constantIbLb1EESZ_EEDaSU_SV_EUlSU_E_NS1_11comp_targetILNS1_3genE0ELNS1_11target_archE4294967295ELNS1_3gpuE0ELNS1_3repE0EEENS1_30default_config_static_selectorELNS0_4arch9wavefront6targetE1EEEvT1_,comdat
	.protected	_ZN7rocprim17ROCPRIM_400000_NS6detail17trampoline_kernelINS0_14default_configENS1_27scan_by_key_config_selectorIsiEEZZNS1_16scan_by_key_implILNS1_25lookback_scan_determinismE0ELb1ES3_N6thrust23THRUST_200600_302600_NS6detail15normal_iteratorINS9_10device_ptrIsEEEESE_SE_iNS9_4plusIvEENS9_8equal_toIvEEiEE10hipError_tPvRmT2_T3_T4_T5_mT6_T7_P12ihipStream_tbENKUlT_T0_E_clISt17integral_constantIbLb1EESZ_EEDaSU_SV_EUlSU_E_NS1_11comp_targetILNS1_3genE0ELNS1_11target_archE4294967295ELNS1_3gpuE0ELNS1_3repE0EEENS1_30default_config_static_selectorELNS0_4arch9wavefront6targetE1EEEvT1_ ; -- Begin function _ZN7rocprim17ROCPRIM_400000_NS6detail17trampoline_kernelINS0_14default_configENS1_27scan_by_key_config_selectorIsiEEZZNS1_16scan_by_key_implILNS1_25lookback_scan_determinismE0ELb1ES3_N6thrust23THRUST_200600_302600_NS6detail15normal_iteratorINS9_10device_ptrIsEEEESE_SE_iNS9_4plusIvEENS9_8equal_toIvEEiEE10hipError_tPvRmT2_T3_T4_T5_mT6_T7_P12ihipStream_tbENKUlT_T0_E_clISt17integral_constantIbLb1EESZ_EEDaSU_SV_EUlSU_E_NS1_11comp_targetILNS1_3genE0ELNS1_11target_archE4294967295ELNS1_3gpuE0ELNS1_3repE0EEENS1_30default_config_static_selectorELNS0_4arch9wavefront6targetE1EEEvT1_
	.globl	_ZN7rocprim17ROCPRIM_400000_NS6detail17trampoline_kernelINS0_14default_configENS1_27scan_by_key_config_selectorIsiEEZZNS1_16scan_by_key_implILNS1_25lookback_scan_determinismE0ELb1ES3_N6thrust23THRUST_200600_302600_NS6detail15normal_iteratorINS9_10device_ptrIsEEEESE_SE_iNS9_4plusIvEENS9_8equal_toIvEEiEE10hipError_tPvRmT2_T3_T4_T5_mT6_T7_P12ihipStream_tbENKUlT_T0_E_clISt17integral_constantIbLb1EESZ_EEDaSU_SV_EUlSU_E_NS1_11comp_targetILNS1_3genE0ELNS1_11target_archE4294967295ELNS1_3gpuE0ELNS1_3repE0EEENS1_30default_config_static_selectorELNS0_4arch9wavefront6targetE1EEEvT1_
	.p2align	8
	.type	_ZN7rocprim17ROCPRIM_400000_NS6detail17trampoline_kernelINS0_14default_configENS1_27scan_by_key_config_selectorIsiEEZZNS1_16scan_by_key_implILNS1_25lookback_scan_determinismE0ELb1ES3_N6thrust23THRUST_200600_302600_NS6detail15normal_iteratorINS9_10device_ptrIsEEEESE_SE_iNS9_4plusIvEENS9_8equal_toIvEEiEE10hipError_tPvRmT2_T3_T4_T5_mT6_T7_P12ihipStream_tbENKUlT_T0_E_clISt17integral_constantIbLb1EESZ_EEDaSU_SV_EUlSU_E_NS1_11comp_targetILNS1_3genE0ELNS1_11target_archE4294967295ELNS1_3gpuE0ELNS1_3repE0EEENS1_30default_config_static_selectorELNS0_4arch9wavefront6targetE1EEEvT1_,@function
_ZN7rocprim17ROCPRIM_400000_NS6detail17trampoline_kernelINS0_14default_configENS1_27scan_by_key_config_selectorIsiEEZZNS1_16scan_by_key_implILNS1_25lookback_scan_determinismE0ELb1ES3_N6thrust23THRUST_200600_302600_NS6detail15normal_iteratorINS9_10device_ptrIsEEEESE_SE_iNS9_4plusIvEENS9_8equal_toIvEEiEE10hipError_tPvRmT2_T3_T4_T5_mT6_T7_P12ihipStream_tbENKUlT_T0_E_clISt17integral_constantIbLb1EESZ_EEDaSU_SV_EUlSU_E_NS1_11comp_targetILNS1_3genE0ELNS1_11target_archE4294967295ELNS1_3gpuE0ELNS1_3repE0EEENS1_30default_config_static_selectorELNS0_4arch9wavefront6targetE1EEEvT1_: ; @_ZN7rocprim17ROCPRIM_400000_NS6detail17trampoline_kernelINS0_14default_configENS1_27scan_by_key_config_selectorIsiEEZZNS1_16scan_by_key_implILNS1_25lookback_scan_determinismE0ELb1ES3_N6thrust23THRUST_200600_302600_NS6detail15normal_iteratorINS9_10device_ptrIsEEEESE_SE_iNS9_4plusIvEENS9_8equal_toIvEEiEE10hipError_tPvRmT2_T3_T4_T5_mT6_T7_P12ihipStream_tbENKUlT_T0_E_clISt17integral_constantIbLb1EESZ_EEDaSU_SV_EUlSU_E_NS1_11comp_targetILNS1_3genE0ELNS1_11target_archE4294967295ELNS1_3gpuE0ELNS1_3repE0EEENS1_30default_config_static_selectorELNS0_4arch9wavefront6targetE1EEEvT1_
; %bb.0:
	.section	.rodata,"a",@progbits
	.p2align	6, 0x0
	.amdhsa_kernel _ZN7rocprim17ROCPRIM_400000_NS6detail17trampoline_kernelINS0_14default_configENS1_27scan_by_key_config_selectorIsiEEZZNS1_16scan_by_key_implILNS1_25lookback_scan_determinismE0ELb1ES3_N6thrust23THRUST_200600_302600_NS6detail15normal_iteratorINS9_10device_ptrIsEEEESE_SE_iNS9_4plusIvEENS9_8equal_toIvEEiEE10hipError_tPvRmT2_T3_T4_T5_mT6_T7_P12ihipStream_tbENKUlT_T0_E_clISt17integral_constantIbLb1EESZ_EEDaSU_SV_EUlSU_E_NS1_11comp_targetILNS1_3genE0ELNS1_11target_archE4294967295ELNS1_3gpuE0ELNS1_3repE0EEENS1_30default_config_static_selectorELNS0_4arch9wavefront6targetE1EEEvT1_
		.amdhsa_group_segment_fixed_size 0
		.amdhsa_private_segment_fixed_size 0
		.amdhsa_kernarg_size 112
		.amdhsa_user_sgpr_count 2
		.amdhsa_user_sgpr_dispatch_ptr 0
		.amdhsa_user_sgpr_queue_ptr 0
		.amdhsa_user_sgpr_kernarg_segment_ptr 1
		.amdhsa_user_sgpr_dispatch_id 0
		.amdhsa_user_sgpr_kernarg_preload_length 0
		.amdhsa_user_sgpr_kernarg_preload_offset 0
		.amdhsa_user_sgpr_private_segment_size 0
		.amdhsa_uses_dynamic_stack 0
		.amdhsa_enable_private_segment 0
		.amdhsa_system_sgpr_workgroup_id_x 1
		.amdhsa_system_sgpr_workgroup_id_y 0
		.amdhsa_system_sgpr_workgroup_id_z 0
		.amdhsa_system_sgpr_workgroup_info 0
		.amdhsa_system_vgpr_workitem_id 0
		.amdhsa_next_free_vgpr 1
		.amdhsa_next_free_sgpr 0
		.amdhsa_accum_offset 4
		.amdhsa_reserve_vcc 0
		.amdhsa_float_round_mode_32 0
		.amdhsa_float_round_mode_16_64 0
		.amdhsa_float_denorm_mode_32 3
		.amdhsa_float_denorm_mode_16_64 3
		.amdhsa_dx10_clamp 1
		.amdhsa_ieee_mode 1
		.amdhsa_fp16_overflow 0
		.amdhsa_tg_split 0
		.amdhsa_exception_fp_ieee_invalid_op 0
		.amdhsa_exception_fp_denorm_src 0
		.amdhsa_exception_fp_ieee_div_zero 0
		.amdhsa_exception_fp_ieee_overflow 0
		.amdhsa_exception_fp_ieee_underflow 0
		.amdhsa_exception_fp_ieee_inexact 0
		.amdhsa_exception_int_div_zero 0
	.end_amdhsa_kernel
	.section	.text._ZN7rocprim17ROCPRIM_400000_NS6detail17trampoline_kernelINS0_14default_configENS1_27scan_by_key_config_selectorIsiEEZZNS1_16scan_by_key_implILNS1_25lookback_scan_determinismE0ELb1ES3_N6thrust23THRUST_200600_302600_NS6detail15normal_iteratorINS9_10device_ptrIsEEEESE_SE_iNS9_4plusIvEENS9_8equal_toIvEEiEE10hipError_tPvRmT2_T3_T4_T5_mT6_T7_P12ihipStream_tbENKUlT_T0_E_clISt17integral_constantIbLb1EESZ_EEDaSU_SV_EUlSU_E_NS1_11comp_targetILNS1_3genE0ELNS1_11target_archE4294967295ELNS1_3gpuE0ELNS1_3repE0EEENS1_30default_config_static_selectorELNS0_4arch9wavefront6targetE1EEEvT1_,"axG",@progbits,_ZN7rocprim17ROCPRIM_400000_NS6detail17trampoline_kernelINS0_14default_configENS1_27scan_by_key_config_selectorIsiEEZZNS1_16scan_by_key_implILNS1_25lookback_scan_determinismE0ELb1ES3_N6thrust23THRUST_200600_302600_NS6detail15normal_iteratorINS9_10device_ptrIsEEEESE_SE_iNS9_4plusIvEENS9_8equal_toIvEEiEE10hipError_tPvRmT2_T3_T4_T5_mT6_T7_P12ihipStream_tbENKUlT_T0_E_clISt17integral_constantIbLb1EESZ_EEDaSU_SV_EUlSU_E_NS1_11comp_targetILNS1_3genE0ELNS1_11target_archE4294967295ELNS1_3gpuE0ELNS1_3repE0EEENS1_30default_config_static_selectorELNS0_4arch9wavefront6targetE1EEEvT1_,comdat
.Lfunc_end1052:
	.size	_ZN7rocprim17ROCPRIM_400000_NS6detail17trampoline_kernelINS0_14default_configENS1_27scan_by_key_config_selectorIsiEEZZNS1_16scan_by_key_implILNS1_25lookback_scan_determinismE0ELb1ES3_N6thrust23THRUST_200600_302600_NS6detail15normal_iteratorINS9_10device_ptrIsEEEESE_SE_iNS9_4plusIvEENS9_8equal_toIvEEiEE10hipError_tPvRmT2_T3_T4_T5_mT6_T7_P12ihipStream_tbENKUlT_T0_E_clISt17integral_constantIbLb1EESZ_EEDaSU_SV_EUlSU_E_NS1_11comp_targetILNS1_3genE0ELNS1_11target_archE4294967295ELNS1_3gpuE0ELNS1_3repE0EEENS1_30default_config_static_selectorELNS0_4arch9wavefront6targetE1EEEvT1_, .Lfunc_end1052-_ZN7rocprim17ROCPRIM_400000_NS6detail17trampoline_kernelINS0_14default_configENS1_27scan_by_key_config_selectorIsiEEZZNS1_16scan_by_key_implILNS1_25lookback_scan_determinismE0ELb1ES3_N6thrust23THRUST_200600_302600_NS6detail15normal_iteratorINS9_10device_ptrIsEEEESE_SE_iNS9_4plusIvEENS9_8equal_toIvEEiEE10hipError_tPvRmT2_T3_T4_T5_mT6_T7_P12ihipStream_tbENKUlT_T0_E_clISt17integral_constantIbLb1EESZ_EEDaSU_SV_EUlSU_E_NS1_11comp_targetILNS1_3genE0ELNS1_11target_archE4294967295ELNS1_3gpuE0ELNS1_3repE0EEENS1_30default_config_static_selectorELNS0_4arch9wavefront6targetE1EEEvT1_
                                        ; -- End function
	.section	.AMDGPU.csdata,"",@progbits
; Kernel info:
; codeLenInByte = 0
; NumSgprs: 6
; NumVgprs: 0
; NumAgprs: 0
; TotalNumVgprs: 0
; ScratchSize: 0
; MemoryBound: 0
; FloatMode: 240
; IeeeMode: 1
; LDSByteSize: 0 bytes/workgroup (compile time only)
; SGPRBlocks: 0
; VGPRBlocks: 0
; NumSGPRsForWavesPerEU: 6
; NumVGPRsForWavesPerEU: 1
; AccumOffset: 4
; Occupancy: 8
; WaveLimiterHint : 0
; COMPUTE_PGM_RSRC2:SCRATCH_EN: 0
; COMPUTE_PGM_RSRC2:USER_SGPR: 2
; COMPUTE_PGM_RSRC2:TRAP_HANDLER: 0
; COMPUTE_PGM_RSRC2:TGID_X_EN: 1
; COMPUTE_PGM_RSRC2:TGID_Y_EN: 0
; COMPUTE_PGM_RSRC2:TGID_Z_EN: 0
; COMPUTE_PGM_RSRC2:TIDIG_COMP_CNT: 0
; COMPUTE_PGM_RSRC3_GFX90A:ACCUM_OFFSET: 0
; COMPUTE_PGM_RSRC3_GFX90A:TG_SPLIT: 0
	.section	.text._ZN7rocprim17ROCPRIM_400000_NS6detail17trampoline_kernelINS0_14default_configENS1_27scan_by_key_config_selectorIsiEEZZNS1_16scan_by_key_implILNS1_25lookback_scan_determinismE0ELb1ES3_N6thrust23THRUST_200600_302600_NS6detail15normal_iteratorINS9_10device_ptrIsEEEESE_SE_iNS9_4plusIvEENS9_8equal_toIvEEiEE10hipError_tPvRmT2_T3_T4_T5_mT6_T7_P12ihipStream_tbENKUlT_T0_E_clISt17integral_constantIbLb1EESZ_EEDaSU_SV_EUlSU_E_NS1_11comp_targetILNS1_3genE10ELNS1_11target_archE1201ELNS1_3gpuE5ELNS1_3repE0EEENS1_30default_config_static_selectorELNS0_4arch9wavefront6targetE1EEEvT1_,"axG",@progbits,_ZN7rocprim17ROCPRIM_400000_NS6detail17trampoline_kernelINS0_14default_configENS1_27scan_by_key_config_selectorIsiEEZZNS1_16scan_by_key_implILNS1_25lookback_scan_determinismE0ELb1ES3_N6thrust23THRUST_200600_302600_NS6detail15normal_iteratorINS9_10device_ptrIsEEEESE_SE_iNS9_4plusIvEENS9_8equal_toIvEEiEE10hipError_tPvRmT2_T3_T4_T5_mT6_T7_P12ihipStream_tbENKUlT_T0_E_clISt17integral_constantIbLb1EESZ_EEDaSU_SV_EUlSU_E_NS1_11comp_targetILNS1_3genE10ELNS1_11target_archE1201ELNS1_3gpuE5ELNS1_3repE0EEENS1_30default_config_static_selectorELNS0_4arch9wavefront6targetE1EEEvT1_,comdat
	.protected	_ZN7rocprim17ROCPRIM_400000_NS6detail17trampoline_kernelINS0_14default_configENS1_27scan_by_key_config_selectorIsiEEZZNS1_16scan_by_key_implILNS1_25lookback_scan_determinismE0ELb1ES3_N6thrust23THRUST_200600_302600_NS6detail15normal_iteratorINS9_10device_ptrIsEEEESE_SE_iNS9_4plusIvEENS9_8equal_toIvEEiEE10hipError_tPvRmT2_T3_T4_T5_mT6_T7_P12ihipStream_tbENKUlT_T0_E_clISt17integral_constantIbLb1EESZ_EEDaSU_SV_EUlSU_E_NS1_11comp_targetILNS1_3genE10ELNS1_11target_archE1201ELNS1_3gpuE5ELNS1_3repE0EEENS1_30default_config_static_selectorELNS0_4arch9wavefront6targetE1EEEvT1_ ; -- Begin function _ZN7rocprim17ROCPRIM_400000_NS6detail17trampoline_kernelINS0_14default_configENS1_27scan_by_key_config_selectorIsiEEZZNS1_16scan_by_key_implILNS1_25lookback_scan_determinismE0ELb1ES3_N6thrust23THRUST_200600_302600_NS6detail15normal_iteratorINS9_10device_ptrIsEEEESE_SE_iNS9_4plusIvEENS9_8equal_toIvEEiEE10hipError_tPvRmT2_T3_T4_T5_mT6_T7_P12ihipStream_tbENKUlT_T0_E_clISt17integral_constantIbLb1EESZ_EEDaSU_SV_EUlSU_E_NS1_11comp_targetILNS1_3genE10ELNS1_11target_archE1201ELNS1_3gpuE5ELNS1_3repE0EEENS1_30default_config_static_selectorELNS0_4arch9wavefront6targetE1EEEvT1_
	.globl	_ZN7rocprim17ROCPRIM_400000_NS6detail17trampoline_kernelINS0_14default_configENS1_27scan_by_key_config_selectorIsiEEZZNS1_16scan_by_key_implILNS1_25lookback_scan_determinismE0ELb1ES3_N6thrust23THRUST_200600_302600_NS6detail15normal_iteratorINS9_10device_ptrIsEEEESE_SE_iNS9_4plusIvEENS9_8equal_toIvEEiEE10hipError_tPvRmT2_T3_T4_T5_mT6_T7_P12ihipStream_tbENKUlT_T0_E_clISt17integral_constantIbLb1EESZ_EEDaSU_SV_EUlSU_E_NS1_11comp_targetILNS1_3genE10ELNS1_11target_archE1201ELNS1_3gpuE5ELNS1_3repE0EEENS1_30default_config_static_selectorELNS0_4arch9wavefront6targetE1EEEvT1_
	.p2align	8
	.type	_ZN7rocprim17ROCPRIM_400000_NS6detail17trampoline_kernelINS0_14default_configENS1_27scan_by_key_config_selectorIsiEEZZNS1_16scan_by_key_implILNS1_25lookback_scan_determinismE0ELb1ES3_N6thrust23THRUST_200600_302600_NS6detail15normal_iteratorINS9_10device_ptrIsEEEESE_SE_iNS9_4plusIvEENS9_8equal_toIvEEiEE10hipError_tPvRmT2_T3_T4_T5_mT6_T7_P12ihipStream_tbENKUlT_T0_E_clISt17integral_constantIbLb1EESZ_EEDaSU_SV_EUlSU_E_NS1_11comp_targetILNS1_3genE10ELNS1_11target_archE1201ELNS1_3gpuE5ELNS1_3repE0EEENS1_30default_config_static_selectorELNS0_4arch9wavefront6targetE1EEEvT1_,@function
_ZN7rocprim17ROCPRIM_400000_NS6detail17trampoline_kernelINS0_14default_configENS1_27scan_by_key_config_selectorIsiEEZZNS1_16scan_by_key_implILNS1_25lookback_scan_determinismE0ELb1ES3_N6thrust23THRUST_200600_302600_NS6detail15normal_iteratorINS9_10device_ptrIsEEEESE_SE_iNS9_4plusIvEENS9_8equal_toIvEEiEE10hipError_tPvRmT2_T3_T4_T5_mT6_T7_P12ihipStream_tbENKUlT_T0_E_clISt17integral_constantIbLb1EESZ_EEDaSU_SV_EUlSU_E_NS1_11comp_targetILNS1_3genE10ELNS1_11target_archE1201ELNS1_3gpuE5ELNS1_3repE0EEENS1_30default_config_static_selectorELNS0_4arch9wavefront6targetE1EEEvT1_: ; @_ZN7rocprim17ROCPRIM_400000_NS6detail17trampoline_kernelINS0_14default_configENS1_27scan_by_key_config_selectorIsiEEZZNS1_16scan_by_key_implILNS1_25lookback_scan_determinismE0ELb1ES3_N6thrust23THRUST_200600_302600_NS6detail15normal_iteratorINS9_10device_ptrIsEEEESE_SE_iNS9_4plusIvEENS9_8equal_toIvEEiEE10hipError_tPvRmT2_T3_T4_T5_mT6_T7_P12ihipStream_tbENKUlT_T0_E_clISt17integral_constantIbLb1EESZ_EEDaSU_SV_EUlSU_E_NS1_11comp_targetILNS1_3genE10ELNS1_11target_archE1201ELNS1_3gpuE5ELNS1_3repE0EEENS1_30default_config_static_selectorELNS0_4arch9wavefront6targetE1EEEvT1_
; %bb.0:
	.section	.rodata,"a",@progbits
	.p2align	6, 0x0
	.amdhsa_kernel _ZN7rocprim17ROCPRIM_400000_NS6detail17trampoline_kernelINS0_14default_configENS1_27scan_by_key_config_selectorIsiEEZZNS1_16scan_by_key_implILNS1_25lookback_scan_determinismE0ELb1ES3_N6thrust23THRUST_200600_302600_NS6detail15normal_iteratorINS9_10device_ptrIsEEEESE_SE_iNS9_4plusIvEENS9_8equal_toIvEEiEE10hipError_tPvRmT2_T3_T4_T5_mT6_T7_P12ihipStream_tbENKUlT_T0_E_clISt17integral_constantIbLb1EESZ_EEDaSU_SV_EUlSU_E_NS1_11comp_targetILNS1_3genE10ELNS1_11target_archE1201ELNS1_3gpuE5ELNS1_3repE0EEENS1_30default_config_static_selectorELNS0_4arch9wavefront6targetE1EEEvT1_
		.amdhsa_group_segment_fixed_size 0
		.amdhsa_private_segment_fixed_size 0
		.amdhsa_kernarg_size 112
		.amdhsa_user_sgpr_count 2
		.amdhsa_user_sgpr_dispatch_ptr 0
		.amdhsa_user_sgpr_queue_ptr 0
		.amdhsa_user_sgpr_kernarg_segment_ptr 1
		.amdhsa_user_sgpr_dispatch_id 0
		.amdhsa_user_sgpr_kernarg_preload_length 0
		.amdhsa_user_sgpr_kernarg_preload_offset 0
		.amdhsa_user_sgpr_private_segment_size 0
		.amdhsa_uses_dynamic_stack 0
		.amdhsa_enable_private_segment 0
		.amdhsa_system_sgpr_workgroup_id_x 1
		.amdhsa_system_sgpr_workgroup_id_y 0
		.amdhsa_system_sgpr_workgroup_id_z 0
		.amdhsa_system_sgpr_workgroup_info 0
		.amdhsa_system_vgpr_workitem_id 0
		.amdhsa_next_free_vgpr 1
		.amdhsa_next_free_sgpr 0
		.amdhsa_accum_offset 4
		.amdhsa_reserve_vcc 0
		.amdhsa_float_round_mode_32 0
		.amdhsa_float_round_mode_16_64 0
		.amdhsa_float_denorm_mode_32 3
		.amdhsa_float_denorm_mode_16_64 3
		.amdhsa_dx10_clamp 1
		.amdhsa_ieee_mode 1
		.amdhsa_fp16_overflow 0
		.amdhsa_tg_split 0
		.amdhsa_exception_fp_ieee_invalid_op 0
		.amdhsa_exception_fp_denorm_src 0
		.amdhsa_exception_fp_ieee_div_zero 0
		.amdhsa_exception_fp_ieee_overflow 0
		.amdhsa_exception_fp_ieee_underflow 0
		.amdhsa_exception_fp_ieee_inexact 0
		.amdhsa_exception_int_div_zero 0
	.end_amdhsa_kernel
	.section	.text._ZN7rocprim17ROCPRIM_400000_NS6detail17trampoline_kernelINS0_14default_configENS1_27scan_by_key_config_selectorIsiEEZZNS1_16scan_by_key_implILNS1_25lookback_scan_determinismE0ELb1ES3_N6thrust23THRUST_200600_302600_NS6detail15normal_iteratorINS9_10device_ptrIsEEEESE_SE_iNS9_4plusIvEENS9_8equal_toIvEEiEE10hipError_tPvRmT2_T3_T4_T5_mT6_T7_P12ihipStream_tbENKUlT_T0_E_clISt17integral_constantIbLb1EESZ_EEDaSU_SV_EUlSU_E_NS1_11comp_targetILNS1_3genE10ELNS1_11target_archE1201ELNS1_3gpuE5ELNS1_3repE0EEENS1_30default_config_static_selectorELNS0_4arch9wavefront6targetE1EEEvT1_,"axG",@progbits,_ZN7rocprim17ROCPRIM_400000_NS6detail17trampoline_kernelINS0_14default_configENS1_27scan_by_key_config_selectorIsiEEZZNS1_16scan_by_key_implILNS1_25lookback_scan_determinismE0ELb1ES3_N6thrust23THRUST_200600_302600_NS6detail15normal_iteratorINS9_10device_ptrIsEEEESE_SE_iNS9_4plusIvEENS9_8equal_toIvEEiEE10hipError_tPvRmT2_T3_T4_T5_mT6_T7_P12ihipStream_tbENKUlT_T0_E_clISt17integral_constantIbLb1EESZ_EEDaSU_SV_EUlSU_E_NS1_11comp_targetILNS1_3genE10ELNS1_11target_archE1201ELNS1_3gpuE5ELNS1_3repE0EEENS1_30default_config_static_selectorELNS0_4arch9wavefront6targetE1EEEvT1_,comdat
.Lfunc_end1053:
	.size	_ZN7rocprim17ROCPRIM_400000_NS6detail17trampoline_kernelINS0_14default_configENS1_27scan_by_key_config_selectorIsiEEZZNS1_16scan_by_key_implILNS1_25lookback_scan_determinismE0ELb1ES3_N6thrust23THRUST_200600_302600_NS6detail15normal_iteratorINS9_10device_ptrIsEEEESE_SE_iNS9_4plusIvEENS9_8equal_toIvEEiEE10hipError_tPvRmT2_T3_T4_T5_mT6_T7_P12ihipStream_tbENKUlT_T0_E_clISt17integral_constantIbLb1EESZ_EEDaSU_SV_EUlSU_E_NS1_11comp_targetILNS1_3genE10ELNS1_11target_archE1201ELNS1_3gpuE5ELNS1_3repE0EEENS1_30default_config_static_selectorELNS0_4arch9wavefront6targetE1EEEvT1_, .Lfunc_end1053-_ZN7rocprim17ROCPRIM_400000_NS6detail17trampoline_kernelINS0_14default_configENS1_27scan_by_key_config_selectorIsiEEZZNS1_16scan_by_key_implILNS1_25lookback_scan_determinismE0ELb1ES3_N6thrust23THRUST_200600_302600_NS6detail15normal_iteratorINS9_10device_ptrIsEEEESE_SE_iNS9_4plusIvEENS9_8equal_toIvEEiEE10hipError_tPvRmT2_T3_T4_T5_mT6_T7_P12ihipStream_tbENKUlT_T0_E_clISt17integral_constantIbLb1EESZ_EEDaSU_SV_EUlSU_E_NS1_11comp_targetILNS1_3genE10ELNS1_11target_archE1201ELNS1_3gpuE5ELNS1_3repE0EEENS1_30default_config_static_selectorELNS0_4arch9wavefront6targetE1EEEvT1_
                                        ; -- End function
	.section	.AMDGPU.csdata,"",@progbits
; Kernel info:
; codeLenInByte = 0
; NumSgprs: 6
; NumVgprs: 0
; NumAgprs: 0
; TotalNumVgprs: 0
; ScratchSize: 0
; MemoryBound: 0
; FloatMode: 240
; IeeeMode: 1
; LDSByteSize: 0 bytes/workgroup (compile time only)
; SGPRBlocks: 0
; VGPRBlocks: 0
; NumSGPRsForWavesPerEU: 6
; NumVGPRsForWavesPerEU: 1
; AccumOffset: 4
; Occupancy: 8
; WaveLimiterHint : 0
; COMPUTE_PGM_RSRC2:SCRATCH_EN: 0
; COMPUTE_PGM_RSRC2:USER_SGPR: 2
; COMPUTE_PGM_RSRC2:TRAP_HANDLER: 0
; COMPUTE_PGM_RSRC2:TGID_X_EN: 1
; COMPUTE_PGM_RSRC2:TGID_Y_EN: 0
; COMPUTE_PGM_RSRC2:TGID_Z_EN: 0
; COMPUTE_PGM_RSRC2:TIDIG_COMP_CNT: 0
; COMPUTE_PGM_RSRC3_GFX90A:ACCUM_OFFSET: 0
; COMPUTE_PGM_RSRC3_GFX90A:TG_SPLIT: 0
	.section	.text._ZN7rocprim17ROCPRIM_400000_NS6detail17trampoline_kernelINS0_14default_configENS1_27scan_by_key_config_selectorIsiEEZZNS1_16scan_by_key_implILNS1_25lookback_scan_determinismE0ELb1ES3_N6thrust23THRUST_200600_302600_NS6detail15normal_iteratorINS9_10device_ptrIsEEEESE_SE_iNS9_4plusIvEENS9_8equal_toIvEEiEE10hipError_tPvRmT2_T3_T4_T5_mT6_T7_P12ihipStream_tbENKUlT_T0_E_clISt17integral_constantIbLb1EESZ_EEDaSU_SV_EUlSU_E_NS1_11comp_targetILNS1_3genE5ELNS1_11target_archE942ELNS1_3gpuE9ELNS1_3repE0EEENS1_30default_config_static_selectorELNS0_4arch9wavefront6targetE1EEEvT1_,"axG",@progbits,_ZN7rocprim17ROCPRIM_400000_NS6detail17trampoline_kernelINS0_14default_configENS1_27scan_by_key_config_selectorIsiEEZZNS1_16scan_by_key_implILNS1_25lookback_scan_determinismE0ELb1ES3_N6thrust23THRUST_200600_302600_NS6detail15normal_iteratorINS9_10device_ptrIsEEEESE_SE_iNS9_4plusIvEENS9_8equal_toIvEEiEE10hipError_tPvRmT2_T3_T4_T5_mT6_T7_P12ihipStream_tbENKUlT_T0_E_clISt17integral_constantIbLb1EESZ_EEDaSU_SV_EUlSU_E_NS1_11comp_targetILNS1_3genE5ELNS1_11target_archE942ELNS1_3gpuE9ELNS1_3repE0EEENS1_30default_config_static_selectorELNS0_4arch9wavefront6targetE1EEEvT1_,comdat
	.protected	_ZN7rocprim17ROCPRIM_400000_NS6detail17trampoline_kernelINS0_14default_configENS1_27scan_by_key_config_selectorIsiEEZZNS1_16scan_by_key_implILNS1_25lookback_scan_determinismE0ELb1ES3_N6thrust23THRUST_200600_302600_NS6detail15normal_iteratorINS9_10device_ptrIsEEEESE_SE_iNS9_4plusIvEENS9_8equal_toIvEEiEE10hipError_tPvRmT2_T3_T4_T5_mT6_T7_P12ihipStream_tbENKUlT_T0_E_clISt17integral_constantIbLb1EESZ_EEDaSU_SV_EUlSU_E_NS1_11comp_targetILNS1_3genE5ELNS1_11target_archE942ELNS1_3gpuE9ELNS1_3repE0EEENS1_30default_config_static_selectorELNS0_4arch9wavefront6targetE1EEEvT1_ ; -- Begin function _ZN7rocprim17ROCPRIM_400000_NS6detail17trampoline_kernelINS0_14default_configENS1_27scan_by_key_config_selectorIsiEEZZNS1_16scan_by_key_implILNS1_25lookback_scan_determinismE0ELb1ES3_N6thrust23THRUST_200600_302600_NS6detail15normal_iteratorINS9_10device_ptrIsEEEESE_SE_iNS9_4plusIvEENS9_8equal_toIvEEiEE10hipError_tPvRmT2_T3_T4_T5_mT6_T7_P12ihipStream_tbENKUlT_T0_E_clISt17integral_constantIbLb1EESZ_EEDaSU_SV_EUlSU_E_NS1_11comp_targetILNS1_3genE5ELNS1_11target_archE942ELNS1_3gpuE9ELNS1_3repE0EEENS1_30default_config_static_selectorELNS0_4arch9wavefront6targetE1EEEvT1_
	.globl	_ZN7rocprim17ROCPRIM_400000_NS6detail17trampoline_kernelINS0_14default_configENS1_27scan_by_key_config_selectorIsiEEZZNS1_16scan_by_key_implILNS1_25lookback_scan_determinismE0ELb1ES3_N6thrust23THRUST_200600_302600_NS6detail15normal_iteratorINS9_10device_ptrIsEEEESE_SE_iNS9_4plusIvEENS9_8equal_toIvEEiEE10hipError_tPvRmT2_T3_T4_T5_mT6_T7_P12ihipStream_tbENKUlT_T0_E_clISt17integral_constantIbLb1EESZ_EEDaSU_SV_EUlSU_E_NS1_11comp_targetILNS1_3genE5ELNS1_11target_archE942ELNS1_3gpuE9ELNS1_3repE0EEENS1_30default_config_static_selectorELNS0_4arch9wavefront6targetE1EEEvT1_
	.p2align	8
	.type	_ZN7rocprim17ROCPRIM_400000_NS6detail17trampoline_kernelINS0_14default_configENS1_27scan_by_key_config_selectorIsiEEZZNS1_16scan_by_key_implILNS1_25lookback_scan_determinismE0ELb1ES3_N6thrust23THRUST_200600_302600_NS6detail15normal_iteratorINS9_10device_ptrIsEEEESE_SE_iNS9_4plusIvEENS9_8equal_toIvEEiEE10hipError_tPvRmT2_T3_T4_T5_mT6_T7_P12ihipStream_tbENKUlT_T0_E_clISt17integral_constantIbLb1EESZ_EEDaSU_SV_EUlSU_E_NS1_11comp_targetILNS1_3genE5ELNS1_11target_archE942ELNS1_3gpuE9ELNS1_3repE0EEENS1_30default_config_static_selectorELNS0_4arch9wavefront6targetE1EEEvT1_,@function
_ZN7rocprim17ROCPRIM_400000_NS6detail17trampoline_kernelINS0_14default_configENS1_27scan_by_key_config_selectorIsiEEZZNS1_16scan_by_key_implILNS1_25lookback_scan_determinismE0ELb1ES3_N6thrust23THRUST_200600_302600_NS6detail15normal_iteratorINS9_10device_ptrIsEEEESE_SE_iNS9_4plusIvEENS9_8equal_toIvEEiEE10hipError_tPvRmT2_T3_T4_T5_mT6_T7_P12ihipStream_tbENKUlT_T0_E_clISt17integral_constantIbLb1EESZ_EEDaSU_SV_EUlSU_E_NS1_11comp_targetILNS1_3genE5ELNS1_11target_archE942ELNS1_3gpuE9ELNS1_3repE0EEENS1_30default_config_static_selectorELNS0_4arch9wavefront6targetE1EEEvT1_: ; @_ZN7rocprim17ROCPRIM_400000_NS6detail17trampoline_kernelINS0_14default_configENS1_27scan_by_key_config_selectorIsiEEZZNS1_16scan_by_key_implILNS1_25lookback_scan_determinismE0ELb1ES3_N6thrust23THRUST_200600_302600_NS6detail15normal_iteratorINS9_10device_ptrIsEEEESE_SE_iNS9_4plusIvEENS9_8equal_toIvEEiEE10hipError_tPvRmT2_T3_T4_T5_mT6_T7_P12ihipStream_tbENKUlT_T0_E_clISt17integral_constantIbLb1EESZ_EEDaSU_SV_EUlSU_E_NS1_11comp_targetILNS1_3genE5ELNS1_11target_archE942ELNS1_3gpuE9ELNS1_3repE0EEENS1_30default_config_static_selectorELNS0_4arch9wavefront6targetE1EEEvT1_
; %bb.0:
	s_load_dword s66, s[0:1], 0x20
	s_load_dwordx4 s[56:59], s[0:1], 0x28
	s_load_dwordx2 s[64:65], s[0:1], 0x38
	v_cmp_eq_u32_e64 s[46:47], 0, v0
	s_and_saveexec_b64 s[2:3], s[46:47]
	s_cbranch_execz .LBB1054_4
; %bb.1:
	s_mov_b64 s[6:7], exec
	v_mbcnt_lo_u32_b32 v1, s6, 0
	v_mbcnt_hi_u32_b32 v1, s7, v1
	v_cmp_eq_u32_e32 vcc, 0, v1
                                        ; implicit-def: $vgpr2
	s_and_saveexec_b64 s[4:5], vcc
	s_cbranch_execz .LBB1054_3
; %bb.2:
	s_load_dwordx2 s[8:9], s[0:1], 0x68
	s_bcnt1_i32_b64 s6, s[6:7]
	v_mov_b32_e32 v2, 0
	v_mov_b32_e32 v3, s6
	s_waitcnt lgkmcnt(0)
	global_atomic_add v2, v2, v3, s[8:9] sc0
.LBB1054_3:
	s_or_b64 exec, exec, s[4:5]
	s_waitcnt vmcnt(0)
	v_readfirstlane_b32 s4, v2
	v_mov_b32_e32 v2, 0
	s_nop 0
	v_add_u32_e32 v1, s4, v1
	ds_write_b32 v2, v1
.LBB1054_4:
	s_or_b64 exec, exec, s[2:3]
	s_load_dwordx8 s[48:55], s[0:1], 0x0
	s_load_dword s2, s[0:1], 0x40
	s_load_dwordx4 s[60:63], s[0:1], 0x48
	v_mov_b32_e32 v3, 0
	s_waitcnt lgkmcnt(0)
	s_lshl_b64 s[50:51], s[50:51], 1
	s_barrier
	ds_read_b32 v2, v3
	s_add_u32 s0, s48, s50
	s_addc_u32 s1, s49, s51
	s_add_u32 s4, s52, s50
	s_mul_i32 s3, s65, s2
	s_mul_hi_u32 s6, s64, s2
	s_addc_u32 s5, s53, s51
	s_add_i32 s3, s6, s3
	s_movk_i32 s6, 0x1500
	s_waitcnt lgkmcnt(0)
	v_mul_lo_u32 v4, v2, s6
	v_mov_b32_e32 v5, v3
	v_lshlrev_b64 v[42:43], 1, v[4:5]
	s_mul_i32 s2, s64, s2
	v_lshl_add_u64 v[52:53], s[4:5], 0, v[42:43]
	s_add_u32 s4, s60, -1
	v_readfirstlane_b32 s59, v2
	v_lshl_add_u64 v[2:3], s[2:3], 0, v[2:3]
	s_addc_u32 s5, s61, -1
	v_cmp_le_u64_e64 s[2:3], s[4:5], v[2:3]
	v_lshl_add_u64 v[54:55], s[0:1], 0, v[42:43]
	s_mov_b64 s[0:1], -1
	s_and_b64 vcc, exec, s[2:3]
	s_mul_i32 s33, s4, 0xffffeb00
	s_barrier
	s_barrier
	s_cbranch_vccz .LBB1054_69
; %bb.5:
	flat_load_ushort v1, v[54:55]
	s_add_i32 s60, s33, s58
	v_cmp_gt_u32_e32 vcc, s60, v0
	s_waitcnt vmcnt(0) lgkmcnt(0)
	v_mov_b32_e32 v17, v1
	s_and_saveexec_b64 s[0:1], vcc
	s_cbranch_execz .LBB1054_7
; %bb.6:
	v_lshlrev_b32_e32 v2, 1, v0
	v_mov_b32_e32 v3, 0
	v_lshl_add_u64 v[2:3], v[54:55], 0, v[2:3]
	flat_load_ushort v17, v[2:3]
.LBB1054_7:
	s_or_b64 exec, exec, s[0:1]
	v_or_b32_e32 v2, 0x100, v0
	v_cmp_gt_u32_e64 s[4:5], s60, v2
	v_mov_b32_e32 v18, v1
	s_and_saveexec_b64 s[0:1], s[4:5]
	s_cbranch_execz .LBB1054_9
; %bb.8:
	v_lshlrev_b32_e32 v2, 1, v0
	v_mov_b32_e32 v3, 0
	v_lshl_add_u64 v[2:3], v[54:55], 0, v[2:3]
	flat_load_ushort v18, v[2:3] offset:512
.LBB1054_9:
	s_or_b64 exec, exec, s[0:1]
	v_or_b32_e32 v2, 0x200, v0
	v_cmp_gt_u32_e64 s[6:7], s60, v2
	v_mov_b32_e32 v19, v1
	s_and_saveexec_b64 s[0:1], s[6:7]
	s_cbranch_execz .LBB1054_11
; %bb.10:
	v_lshlrev_b32_e32 v2, 1, v0
	v_mov_b32_e32 v3, 0
	v_lshl_add_u64 v[2:3], v[54:55], 0, v[2:3]
	flat_load_ushort v19, v[2:3] offset:1024
.LBB1054_11:
	;; [unrolled: 12-line block ×7, first 2 shown]
	s_or_b64 exec, exec, s[0:1]
	v_or_b32_e32 v4, 0x800, v0
	v_cmp_gt_u32_e64 s[18:19], s60, v4
	v_mov_b32_e32 v25, v1
	s_and_saveexec_b64 s[0:1], s[18:19]
	s_cbranch_execz .LBB1054_23
; %bb.22:
	v_lshlrev_b32_e32 v2, 1, v4
	v_mov_b32_e32 v3, 0
	v_lshl_add_u64 v[2:3], v[54:55], 0, v[2:3]
	flat_load_ushort v25, v[2:3]
.LBB1054_23:
	s_or_b64 exec, exec, s[0:1]
	v_or_b32_e32 v5, 0x900, v0
	v_cmp_gt_u32_e64 s[20:21], s60, v5
	v_mov_b32_e32 v26, v1
	s_and_saveexec_b64 s[0:1], s[20:21]
	s_cbranch_execz .LBB1054_25
; %bb.24:
	v_lshlrev_b32_e32 v2, 1, v5
	v_mov_b32_e32 v3, 0
	v_lshl_add_u64 v[2:3], v[54:55], 0, v[2:3]
	flat_load_ushort v26, v[2:3]
.LBB1054_25:
	;; [unrolled: 12-line block ×12, first 2 shown]
	s_or_b64 exec, exec, s[0:1]
	v_or_b32_e32 v16, 0x1400, v0
	v_cmp_gt_u32_e64 s[44:45], s60, v16
	v_mov_b32_e32 v3, 0
	s_and_saveexec_b64 s[0:1], s[44:45]
	s_cbranch_execz .LBB1054_47
; %bb.46:
	v_lshlrev_b32_e32 v2, 1, v16
	v_lshl_add_u64 v[2:3], v[54:55], 0, v[2:3]
	flat_load_ushort v1, v[2:3]
.LBB1054_47:
	s_or_b64 exec, exec, s[0:1]
	v_lshlrev_b32_e32 v2, 1, v0
	s_waitcnt vmcnt(0) lgkmcnt(0)
	ds_write_b16 v2, v17
	ds_write_b16 v2, v18 offset:512
	ds_write_b16 v2, v19 offset:1024
	;; [unrolled: 1-line block ×20, first 2 shown]
	s_waitcnt lgkmcnt(0)
	s_barrier
	flat_load_ushort v1, v[54:55]
	v_mad_u32_u24 v3, v0, 40, v2
	s_movk_i32 s0, 0xffd8
	ds_read_u16 v59, v3
	ds_read_b128 v[38:41], v3 offset:2
	ds_read_b128 v[34:37], v3 offset:18
	ds_read_b64 v[56:57], v3 offset:34
	v_mad_i32_i24 v17, v0, s0, v3
	s_movk_i32 s0, 0xff
	v_cmp_ne_u32_e64 s[0:1], s0, v0
	s_waitcnt lgkmcnt(0)
	ds_write_b16 v17, v59 offset:11264
	s_waitcnt lgkmcnt(0)
	s_barrier
	s_and_saveexec_b64 s[48:49], s[0:1]
	s_cbranch_execz .LBB1054_49
; %bb.48:
	s_waitcnt vmcnt(0)
	ds_read_u16 v1, v2 offset:11266
.LBB1054_49:
	s_or_b64 exec, exec, s[48:49]
	v_mov_b32_e32 v3, 0
	s_waitcnt lgkmcnt(0)
	s_barrier
	s_waitcnt lgkmcnt(0)
                                        ; implicit-def: $vgpr18
	s_and_saveexec_b64 s[0:1], vcc
	s_cbranch_execz .LBB1054_70
; %bb.50:
	v_lshl_add_u64 v[18:19], v[52:53], 0, v[2:3]
	flat_load_sshort v18, v[18:19]
	s_or_b64 exec, exec, s[0:1]
                                        ; implicit-def: $vgpr19
	s_and_saveexec_b64 s[0:1], s[4:5]
	s_cbranch_execnz .LBB1054_71
.LBB1054_51:
	s_or_b64 exec, exec, s[0:1]
                                        ; implicit-def: $vgpr20
	s_and_saveexec_b64 s[0:1], s[6:7]
	s_cbranch_execz .LBB1054_72
.LBB1054_52:
	v_mov_b32_e32 v3, 0
	v_lshl_add_u64 v[20:21], v[52:53], 0, v[2:3]
	flat_load_sshort v20, v[20:21] offset:1024
	s_or_b64 exec, exec, s[0:1]
                                        ; implicit-def: $vgpr21
	s_and_saveexec_b64 s[0:1], s[8:9]
	s_cbranch_execnz .LBB1054_73
.LBB1054_53:
	s_or_b64 exec, exec, s[0:1]
                                        ; implicit-def: $vgpr22
	s_and_saveexec_b64 s[0:1], s[10:11]
	s_cbranch_execz .LBB1054_74
.LBB1054_54:
	v_mov_b32_e32 v3, 0
	v_lshl_add_u64 v[22:23], v[52:53], 0, v[2:3]
	flat_load_sshort v22, v[22:23] offset:2048
	s_or_b64 exec, exec, s[0:1]
                                        ; implicit-def: $vgpr23
	s_and_saveexec_b64 s[0:1], s[12:13]
	s_cbranch_execnz .LBB1054_75
.LBB1054_55:
	s_or_b64 exec, exec, s[0:1]
                                        ; implicit-def: $vgpr24
	s_and_saveexec_b64 s[0:1], s[14:15]
	s_cbranch_execz .LBB1054_76
.LBB1054_56:
	v_mov_b32_e32 v3, 0
	v_lshl_add_u64 v[24:25], v[52:53], 0, v[2:3]
	flat_load_sshort v24, v[24:25] offset:3072
	s_or_b64 exec, exec, s[0:1]
                                        ; implicit-def: $vgpr3
	s_and_saveexec_b64 s[0:1], s[16:17]
	s_cbranch_execnz .LBB1054_77
.LBB1054_57:
	s_or_b64 exec, exec, s[0:1]
                                        ; implicit-def: $vgpr2
	s_and_saveexec_b64 s[0:1], s[18:19]
	s_cbranch_execz .LBB1054_78
.LBB1054_58:
	v_lshlrev_b32_e32 v26, 1, v4
	v_mov_b32_e32 v27, 0
	v_lshl_add_u64 v[26:27], v[52:53], 0, v[26:27]
	flat_load_sshort v2, v[26:27]
	s_or_b64 exec, exec, s[0:1]
                                        ; implicit-def: $vgpr4
	s_and_saveexec_b64 s[0:1], s[20:21]
	s_cbranch_execnz .LBB1054_79
.LBB1054_59:
	s_or_b64 exec, exec, s[0:1]
                                        ; implicit-def: $vgpr5
	s_and_saveexec_b64 s[0:1], s[22:23]
	s_cbranch_execz .LBB1054_80
.LBB1054_60:
	v_lshlrev_b32_e32 v26, 1, v6
	v_mov_b32_e32 v27, 0
	v_lshl_add_u64 v[26:27], v[52:53], 0, v[26:27]
	flat_load_sshort v5, v[26:27]
	s_or_b64 exec, exec, s[0:1]
                                        ; implicit-def: $vgpr6
	s_and_saveexec_b64 s[0:1], s[24:25]
	s_cbranch_execnz .LBB1054_81
.LBB1054_61:
	s_or_b64 exec, exec, s[0:1]
                                        ; implicit-def: $vgpr7
	s_and_saveexec_b64 s[0:1], s[26:27]
	s_cbranch_execz .LBB1054_82
.LBB1054_62:
	v_lshlrev_b32_e32 v26, 1, v8
	v_mov_b32_e32 v27, 0
	v_lshl_add_u64 v[26:27], v[52:53], 0, v[26:27]
	flat_load_sshort v7, v[26:27]
	s_or_b64 exec, exec, s[0:1]
                                        ; implicit-def: $vgpr8
	s_and_saveexec_b64 s[0:1], s[28:29]
	s_cbranch_execnz .LBB1054_83
.LBB1054_63:
	s_or_b64 exec, exec, s[0:1]
                                        ; implicit-def: $vgpr9
	s_and_saveexec_b64 s[0:1], s[30:31]
	s_cbranch_execz .LBB1054_84
.LBB1054_64:
	v_lshlrev_b32_e32 v26, 1, v10
	v_mov_b32_e32 v27, 0
	v_lshl_add_u64 v[26:27], v[52:53], 0, v[26:27]
	flat_load_sshort v9, v[26:27]
	s_or_b64 exec, exec, s[0:1]
                                        ; implicit-def: $vgpr10
	s_and_saveexec_b64 s[0:1], s[34:35]
	s_cbranch_execnz .LBB1054_85
.LBB1054_65:
	s_or_b64 exec, exec, s[0:1]
                                        ; implicit-def: $vgpr11
	s_and_saveexec_b64 s[0:1], s[36:37]
	s_cbranch_execz .LBB1054_86
.LBB1054_66:
	v_lshlrev_b32_e32 v26, 1, v12
	v_mov_b32_e32 v27, 0
	v_lshl_add_u64 v[26:27], v[52:53], 0, v[26:27]
	flat_load_sshort v11, v[26:27]
	s_or_b64 exec, exec, s[0:1]
                                        ; implicit-def: $vgpr12
	s_and_saveexec_b64 s[0:1], s[38:39]
	s_cbranch_execnz .LBB1054_87
.LBB1054_67:
	s_or_b64 exec, exec, s[0:1]
                                        ; implicit-def: $vgpr13
	s_and_saveexec_b64 s[0:1], s[40:41]
	s_cbranch_execz .LBB1054_88
.LBB1054_68:
	v_lshlrev_b32_e32 v26, 1, v14
	v_mov_b32_e32 v27, 0
	v_lshl_add_u64 v[26:27], v[52:53], 0, v[26:27]
	flat_load_sshort v13, v[26:27]
	s_or_b64 exec, exec, s[0:1]
                                        ; implicit-def: $vgpr14
	s_and_saveexec_b64 s[0:1], s[42:43]
	s_cbranch_execz .LBB1054_90
	s_branch .LBB1054_89
.LBB1054_69:
	s_mov_b64 s[16:17], 0
                                        ; implicit-def: $sgpr14_sgpr15
                                        ; implicit-def: $vgpr2_vgpr3_vgpr4_vgpr5_vgpr6_vgpr7_vgpr8_vgpr9
                                        ; implicit-def: $vgpr10_vgpr11_vgpr12_vgpr13_vgpr14_vgpr15_vgpr16_vgpr17
                                        ; implicit-def: $vgpr18_vgpr19_vgpr20_vgpr21_vgpr22_vgpr23_vgpr24_vgpr25
                                        ; implicit-def: $vgpr26_vgpr27_vgpr28_vgpr29_vgpr30_vgpr31_vgpr32_vgpr33
                                        ; implicit-def: $vgpr58
                                        ; implicit-def: $vgpr44_vgpr45
                                        ; implicit-def: $vgpr46_vgpr47
                                        ; implicit-def: $vgpr48_vgpr49
                                        ; implicit-def: $vgpr50_vgpr51
                                        ; implicit-def: $sgpr4_sgpr5
	s_and_b64 vcc, exec, s[0:1]
	v_lshlrev_b32_e32 v56, 1, v0
	s_cbranch_vccz .LBB1054_140
	s_branch .LBB1054_135
.LBB1054_70:
	s_or_b64 exec, exec, s[0:1]
                                        ; implicit-def: $vgpr19
	s_and_saveexec_b64 s[0:1], s[4:5]
	s_cbranch_execz .LBB1054_51
.LBB1054_71:
	v_mov_b32_e32 v3, 0
	v_lshl_add_u64 v[20:21], v[52:53], 0, v[2:3]
	flat_load_sshort v19, v[20:21] offset:512
	s_or_b64 exec, exec, s[0:1]
                                        ; implicit-def: $vgpr20
	s_and_saveexec_b64 s[0:1], s[6:7]
	s_cbranch_execnz .LBB1054_52
.LBB1054_72:
	s_or_b64 exec, exec, s[0:1]
                                        ; implicit-def: $vgpr21
	s_and_saveexec_b64 s[0:1], s[8:9]
	s_cbranch_execz .LBB1054_53
.LBB1054_73:
	v_mov_b32_e32 v3, 0
	v_lshl_add_u64 v[22:23], v[52:53], 0, v[2:3]
	flat_load_sshort v21, v[22:23] offset:1536
	s_or_b64 exec, exec, s[0:1]
                                        ; implicit-def: $vgpr22
	s_and_saveexec_b64 s[0:1], s[10:11]
	s_cbranch_execnz .LBB1054_54
.LBB1054_74:
	s_or_b64 exec, exec, s[0:1]
                                        ; implicit-def: $vgpr23
	s_and_saveexec_b64 s[0:1], s[12:13]
	s_cbranch_execz .LBB1054_55
.LBB1054_75:
	v_mov_b32_e32 v3, 0
	v_lshl_add_u64 v[24:25], v[52:53], 0, v[2:3]
	flat_load_sshort v23, v[24:25] offset:2560
	s_or_b64 exec, exec, s[0:1]
                                        ; implicit-def: $vgpr24
	s_and_saveexec_b64 s[0:1], s[14:15]
	s_cbranch_execnz .LBB1054_56
.LBB1054_76:
	s_or_b64 exec, exec, s[0:1]
                                        ; implicit-def: $vgpr3
	s_and_saveexec_b64 s[0:1], s[16:17]
	s_cbranch_execz .LBB1054_57
.LBB1054_77:
	v_mov_b32_e32 v3, 0
	v_lshl_add_u64 v[2:3], v[52:53], 0, v[2:3]
	flat_load_sshort v3, v[2:3] offset:3584
	s_or_b64 exec, exec, s[0:1]
                                        ; implicit-def: $vgpr2
	s_and_saveexec_b64 s[0:1], s[18:19]
	s_cbranch_execnz .LBB1054_58
.LBB1054_78:
	s_or_b64 exec, exec, s[0:1]
                                        ; implicit-def: $vgpr4
	s_and_saveexec_b64 s[0:1], s[20:21]
	s_cbranch_execz .LBB1054_59
.LBB1054_79:
	v_lshlrev_b32_e32 v4, 1, v5
	v_mov_b32_e32 v5, 0
	v_lshl_add_u64 v[4:5], v[52:53], 0, v[4:5]
	flat_load_sshort v4, v[4:5]
	s_or_b64 exec, exec, s[0:1]
                                        ; implicit-def: $vgpr5
	s_and_saveexec_b64 s[0:1], s[22:23]
	s_cbranch_execnz .LBB1054_60
.LBB1054_80:
	s_or_b64 exec, exec, s[0:1]
                                        ; implicit-def: $vgpr6
	s_and_saveexec_b64 s[0:1], s[24:25]
	s_cbranch_execz .LBB1054_61
.LBB1054_81:
	v_lshlrev_b32_e32 v6, 1, v7
	v_mov_b32_e32 v7, 0
	v_lshl_add_u64 v[6:7], v[52:53], 0, v[6:7]
	flat_load_sshort v6, v[6:7]
	s_or_b64 exec, exec, s[0:1]
                                        ; implicit-def: $vgpr7
	s_and_saveexec_b64 s[0:1], s[26:27]
	s_cbranch_execnz .LBB1054_62
.LBB1054_82:
	s_or_b64 exec, exec, s[0:1]
                                        ; implicit-def: $vgpr8
	s_and_saveexec_b64 s[0:1], s[28:29]
	s_cbranch_execz .LBB1054_63
.LBB1054_83:
	v_lshlrev_b32_e32 v8, 1, v9
	v_mov_b32_e32 v9, 0
	v_lshl_add_u64 v[8:9], v[52:53], 0, v[8:9]
	flat_load_sshort v8, v[8:9]
	s_or_b64 exec, exec, s[0:1]
                                        ; implicit-def: $vgpr9
	s_and_saveexec_b64 s[0:1], s[30:31]
	s_cbranch_execnz .LBB1054_64
.LBB1054_84:
	s_or_b64 exec, exec, s[0:1]
                                        ; implicit-def: $vgpr10
	s_and_saveexec_b64 s[0:1], s[34:35]
	s_cbranch_execz .LBB1054_65
.LBB1054_85:
	v_lshlrev_b32_e32 v10, 1, v11
	v_mov_b32_e32 v11, 0
	v_lshl_add_u64 v[10:11], v[52:53], 0, v[10:11]
	flat_load_sshort v10, v[10:11]
	s_or_b64 exec, exec, s[0:1]
                                        ; implicit-def: $vgpr11
	s_and_saveexec_b64 s[0:1], s[36:37]
	s_cbranch_execnz .LBB1054_66
.LBB1054_86:
	s_or_b64 exec, exec, s[0:1]
                                        ; implicit-def: $vgpr12
	s_and_saveexec_b64 s[0:1], s[38:39]
	s_cbranch_execz .LBB1054_67
.LBB1054_87:
	v_lshlrev_b32_e32 v12, 1, v13
	v_mov_b32_e32 v13, 0
	v_lshl_add_u64 v[12:13], v[52:53], 0, v[12:13]
	flat_load_sshort v12, v[12:13]
	s_or_b64 exec, exec, s[0:1]
                                        ; implicit-def: $vgpr13
	s_and_saveexec_b64 s[0:1], s[40:41]
	s_cbranch_execnz .LBB1054_68
.LBB1054_88:
	s_or_b64 exec, exec, s[0:1]
                                        ; implicit-def: $vgpr14
	s_and_saveexec_b64 s[0:1], s[42:43]
	s_cbranch_execz .LBB1054_90
.LBB1054_89:
	v_lshlrev_b32_e32 v14, 1, v15
	v_mov_b32_e32 v15, 0
	v_lshl_add_u64 v[14:15], v[52:53], 0, v[14:15]
	flat_load_sshort v14, v[14:15]
.LBB1054_90:
	s_or_b64 exec, exec, s[0:1]
	v_mul_u32_u24_e32 v60, 21, v0
                                        ; implicit-def: $vgpr15
	s_and_saveexec_b64 s[0:1], s[44:45]
	s_cbranch_execz .LBB1054_92
; %bb.91:
	v_lshlrev_b32_e32 v26, 1, v16
	v_mov_b32_e32 v27, 0
	v_lshl_add_u64 v[26:27], v[52:53], 0, v[26:27]
	flat_load_sshort v15, v[26:27]
.LBB1054_92:
	s_or_b64 exec, exec, s[0:1]
	s_mov_b32 s4, 0
	v_lshl_add_u32 v61, v0, 1, v17
	s_mov_b32 s5, s4
	s_waitcnt vmcnt(0) lgkmcnt(0)
	ds_write2st64_b32 v61, v18, v19 offset1:4
	ds_write2st64_b32 v61, v20, v21 offset0:8 offset1:12
	ds_write2st64_b32 v61, v22, v23 offset0:16 offset1:20
	;; [unrolled: 1-line block ×9, first 2 shown]
	ds_write_b32 v61, v15 offset:20480
	s_mov_b32 s6, s4
	s_mov_b32 s7, s4
	;; [unrolled: 1-line block ×6, first 2 shown]
	v_mov_b64_e32 v[2:3], s[4:5]
	v_mov_b64_e32 v[8:9], s[10:11]
	v_mov_b64_e32 v[4:5], s[6:7]
	v_mov_b64_e32 v[6:7], s[8:9]
	v_mov_b64_e32 v[44:45], 0
	v_mov_b64_e32 v[16:17], v[8:9]
	v_mov_b64_e32 v[24:25], v[8:9]
	v_mov_b64_e32 v[32:33], v[8:9]
	v_cmp_gt_u32_e32 vcc, s60, v60
	s_mov_b64 s[16:17], 0
	s_mov_b64 s[0:1], 0
	v_mov_b64_e32 v[14:15], v[6:7]
	v_mov_b64_e32 v[12:13], v[4:5]
	;; [unrolled: 1-line block ×12, first 2 shown]
	s_waitcnt lgkmcnt(0)
	s_barrier
	s_waitcnt lgkmcnt(0)
                                        ; implicit-def: $sgpr14_sgpr15
                                        ; implicit-def: $vgpr58
	s_and_saveexec_b64 s[12:13], vcc
	s_cbranch_execz .LBB1054_134
; %bb.93:
	s_movk_i32 s14, 0x50
	v_mad_u32_u24 v2, v0, s14, v61
	ds_read_b32 v2, v2
	v_mov_b32_e32 v4, s66
	v_cmp_eq_u16_e32 vcc, v59, v38
	v_add_u32_e32 v3, 1, v60
	v_mov_b64_e32 v[46:47], 0
	s_waitcnt lgkmcnt(0)
	v_cndmask_b32_e32 v44, v4, v2, vcc
	v_cmp_ne_u16_e32 vcc, v59, v38
	s_mov_b64 s[18:19], 0
	v_mov_b64_e32 v[48:49], v[46:47]
	v_cndmask_b32_e64 v45, 0, 1, vcc
	v_cmp_gt_u32_e32 vcc, s60, v3
	v_mov_b64_e32 v[2:3], s[4:5]
	v_mov_b64_e32 v[8:9], s[10:11]
	;; [unrolled: 1-line block ×17, first 2 shown]
                                        ; implicit-def: $sgpr4_sgpr5
                                        ; implicit-def: $vgpr58
	s_and_saveexec_b64 s[14:15], vcc
	s_cbranch_execz .LBB1054_133
; %bb.94:
	v_mul_u32_u24_e32 v2, 0x50, v0
	v_add_u32_e32 v61, v61, v2
	ds_read2_b32 v[58:59], v61 offset0:1 offset1:2
	v_cmp_ne_u16_sdwa s[4:5], v38, v38 src0_sel:DWORD src1_sel:WORD_1
	v_add_u32_e32 v2, 2, v60
	v_mov_b32_e32 v3, s66
	v_cndmask_b32_e64 v9, 0, 1, s[4:5]
	s_mov_b32 s4, 0
	s_mov_b32 s10, s4
	;; [unrolled: 1-line block ×3, first 2 shown]
	v_cmp_eq_u16_sdwa vcc, v38, v38 src0_sel:DWORD src1_sel:WORD_1
	s_mov_b32 s5, s4
	s_mov_b32 s6, s4
	;; [unrolled: 1-line block ×5, first 2 shown]
	v_mov_b64_e32 v[16:17], s[10:11]
	s_waitcnt lgkmcnt(0)
	v_cndmask_b32_e32 v8, v3, v58, vcc
	v_cmp_gt_u32_e32 vcc, s60, v2
	v_mov_b32_e32 v2, 0
	v_mov_b64_e32 v[14:15], s[8:9]
	v_mov_b64_e32 v[12:13], s[6:7]
	;; [unrolled: 1-line block ×6, first 2 shown]
	v_mov_b32_e32 v3, v2
	v_mov_b32_e32 v4, v2
	;; [unrolled: 1-line block ×5, first 2 shown]
	s_mov_b64 s[20:21], 0
	v_mov_b64_e32 v[22:23], v[14:15]
	v_mov_b64_e32 v[20:21], v[12:13]
	;; [unrolled: 1-line block ×8, first 2 shown]
                                        ; implicit-def: $sgpr22_sgpr23
                                        ; implicit-def: $vgpr58
	s_and_saveexec_b64 s[16:17], vcc
	s_cbranch_execz .LBB1054_132
; %bb.95:
	v_mov_b64_e32 v[16:17], s[10:11]
	v_add_u32_e32 v3, 3, v60
	v_mov_b32_e32 v4, s66
	v_cmp_eq_u16_sdwa vcc, v38, v39 src0_sel:WORD_1 src1_sel:DWORD
	v_cmp_ne_u16_sdwa s[18:19], v38, v39 src0_sel:WORD_1 src1_sel:DWORD
	v_mov_b64_e32 v[14:15], s[8:9]
	v_mov_b64_e32 v[12:13], s[6:7]
	v_mov_b64_e32 v[10:11], s[4:5]
	v_mov_b64_e32 v[46:47], 0
	v_mov_b64_e32 v[24:25], v[16:17]
	v_mov_b64_e32 v[32:33], v[16:17]
	v_cndmask_b32_e32 v6, v4, v59, vcc
	v_cndmask_b32_e64 v7, 0, 1, s[18:19]
	v_cmp_gt_u32_e32 vcc, s60, v3
	v_mov_b32_e32 v3, v2
	v_mov_b32_e32 v4, v2
	;; [unrolled: 1-line block ×3, first 2 shown]
	s_mov_b64 s[22:23], 0
	v_mov_b64_e32 v[22:23], v[14:15]
	v_mov_b64_e32 v[20:21], v[12:13]
	;; [unrolled: 1-line block ×8, first 2 shown]
                                        ; implicit-def: $sgpr4_sgpr5
                                        ; implicit-def: $vgpr58
	s_and_saveexec_b64 s[18:19], vcc
	s_cbranch_execz .LBB1054_131
; %bb.96:
	ds_read2_b32 v[58:59], v61 offset0:3 offset1:4
	v_cmp_ne_u16_sdwa s[4:5], v39, v39 src0_sel:DWORD src1_sel:WORD_1
	v_add_u32_e32 v2, 4, v60
	v_mov_b32_e32 v3, s66
	v_cndmask_b32_e64 v5, 0, 1, s[4:5]
	s_mov_b32 s4, 0
	s_mov_b32 s10, s4
	;; [unrolled: 1-line block ×8, first 2 shown]
	v_mov_b64_e32 v[16:17], s[10:11]
	v_cmp_eq_u16_sdwa vcc, v39, v39 src0_sel:DWORD src1_sel:WORD_1
	v_mov_b64_e32 v[14:15], s[8:9]
	v_mov_b64_e32 v[12:13], s[6:7]
	;; [unrolled: 1-line block ×6, first 2 shown]
	s_waitcnt lgkmcnt(0)
	v_cndmask_b32_e32 v4, v3, v58, vcc
	v_cmp_gt_u32_e32 vcc, s60, v2
	v_mov_b32_e32 v2, s4
	v_mov_b32_e32 v3, s4
	s_mov_b64 s[24:25], 0
	v_mov_b64_e32 v[22:23], v[14:15]
	v_mov_b64_e32 v[20:21], v[12:13]
	;; [unrolled: 1-line block ×8, first 2 shown]
                                        ; implicit-def: $sgpr26_sgpr27
                                        ; implicit-def: $vgpr58
	s_and_saveexec_b64 s[20:21], vcc
	s_cbranch_execz .LBB1054_130
; %bb.97:
	v_add_u32_e32 v10, 5, v60
	v_mov_b32_e32 v2, s66
	v_cmp_eq_u16_sdwa vcc, v39, v40 src0_sel:WORD_1 src1_sel:DWORD
	v_cmp_ne_u16_sdwa s[22:23], v39, v40 src0_sel:WORD_1 src1_sel:DWORD
	v_mov_b64_e32 v[46:47], 0
	v_cndmask_b32_e32 v2, v2, v59, vcc
	v_cmp_gt_u32_e32 vcc, s60, v10
	v_mov_b64_e32 v[16:17], s[10:11]
	v_mov_b64_e32 v[14:15], s[8:9]
	;; [unrolled: 1-line block ×6, first 2 shown]
	v_cndmask_b32_e64 v3, 0, 1, s[22:23]
	s_mov_b64 s[26:27], 0
	v_mov_b64_e32 v[22:23], v[14:15]
	v_mov_b64_e32 v[20:21], v[12:13]
	;; [unrolled: 1-line block ×8, first 2 shown]
                                        ; implicit-def: $sgpr4_sgpr5
                                        ; implicit-def: $vgpr58
	s_and_saveexec_b64 s[22:23], vcc
	s_cbranch_execz .LBB1054_129
; %bb.98:
	ds_read2_b32 v[38:39], v61 offset0:5 offset1:6
	v_cmp_ne_u16_sdwa s[4:5], v40, v40 src0_sel:DWORD src1_sel:WORD_1
	v_add_u32_e32 v10, 6, v60
	v_mov_b32_e32 v11, s66
	v_cndmask_b32_e64 v47, 0, 1, s[4:5]
	s_mov_b32 s4, 0
	v_cmp_eq_u16_sdwa vcc, v40, v40 src0_sel:DWORD src1_sel:WORD_1
	s_mov_b32 s10, s4
	s_mov_b32 s11, s4
	s_waitcnt lgkmcnt(0)
	v_cndmask_b32_e32 v46, v11, v38, vcc
	v_cmp_gt_u32_e32 vcc, s60, v10
	s_mov_b32 s5, s4
	s_mov_b32 s6, s4
	;; [unrolled: 1-line block ×5, first 2 shown]
	v_mov_b64_e32 v[16:17], s[10:11]
	v_mov_b64_e32 v[14:15], s[8:9]
	v_mov_b64_e32 v[12:13], s[6:7]
	v_mov_b64_e32 v[10:11], s[4:5]
	v_mov_b64_e32 v[48:49], 0
	v_mov_b64_e32 v[24:25], v[16:17]
	v_mov_b64_e32 v[32:33], v[16:17]
	s_mov_b64 s[28:29], 0
	v_mov_b64_e32 v[22:23], v[14:15]
	v_mov_b64_e32 v[20:21], v[12:13]
	;; [unrolled: 1-line block ×7, first 2 shown]
                                        ; implicit-def: $sgpr30_sgpr31
                                        ; implicit-def: $vgpr58
	s_and_saveexec_b64 s[24:25], vcc
	s_cbranch_execz .LBB1054_128
; %bb.99:
	v_add_u32_e32 v10, 7, v60
	v_mov_b32_e32 v11, s66
	v_cmp_eq_u16_sdwa vcc, v40, v41 src0_sel:WORD_1 src1_sel:DWORD
	v_mov_b64_e32 v[24:25], s[10:11]
	v_cmp_ne_u16_sdwa s[26:27], v40, v41 src0_sel:WORD_1 src1_sel:DWORD
	v_cndmask_b32_e32 v16, v11, v39, vcc
	v_cmp_gt_u32_e32 vcc, s60, v10
	v_mov_b32_e32 v10, 0
	v_mov_b64_e32 v[22:23], s[8:9]
	v_mov_b64_e32 v[20:21], s[6:7]
	;; [unrolled: 1-line block ×5, first 2 shown]
	v_cndmask_b32_e64 v17, 0, 1, s[26:27]
	v_mov_b32_e32 v11, v10
	v_mov_b32_e32 v12, v10
	;; [unrolled: 1-line block ×5, first 2 shown]
	s_mov_b64 s[30:31], 0
	v_mov_b64_e32 v[30:31], v[22:23]
	v_mov_b64_e32 v[28:29], v[20:21]
	;; [unrolled: 1-line block ×4, first 2 shown]
                                        ; implicit-def: $sgpr4_sgpr5
                                        ; implicit-def: $vgpr58
	s_and_saveexec_b64 s[26:27], vcc
	s_cbranch_execz .LBB1054_127
; %bb.100:
	ds_read2_b32 v[38:39], v61 offset0:7 offset1:8
	v_cmp_ne_u16_sdwa s[4:5], v41, v41 src0_sel:DWORD src1_sel:WORD_1
	v_add_u32_e32 v11, 8, v60
	v_mov_b32_e32 v12, s66
	v_cndmask_b32_e64 v15, 0, 1, s[4:5]
	s_mov_b32 s4, 0
	s_mov_b32 s10, s4
	s_mov_b32 s11, s4
	s_mov_b32 s5, s4
	s_mov_b32 s6, s4
	s_mov_b32 s7, s4
	s_mov_b32 s8, s4
	s_mov_b32 s9, s4
	v_mov_b64_e32 v[24:25], s[10:11]
	v_cmp_eq_u16_sdwa vcc, v41, v41 src0_sel:DWORD src1_sel:WORD_1
	v_mov_b64_e32 v[22:23], s[8:9]
	v_mov_b64_e32 v[20:21], s[6:7]
	;; [unrolled: 1-line block ×5, first 2 shown]
	s_waitcnt lgkmcnt(0)
	v_cndmask_b32_e32 v14, v12, v38, vcc
	v_cmp_gt_u32_e32 vcc, s60, v11
	v_mov_b32_e32 v11, v10
	v_mov_b32_e32 v12, v10
	v_mov_b32_e32 v13, v10
	s_mov_b64 s[34:35], 0
	v_mov_b64_e32 v[30:31], v[22:23]
	v_mov_b64_e32 v[28:29], v[20:21]
	;; [unrolled: 1-line block ×4, first 2 shown]
                                        ; implicit-def: $sgpr36_sgpr37
                                        ; implicit-def: $vgpr58
	s_and_saveexec_b64 s[28:29], vcc
	s_cbranch_execz .LBB1054_126
; %bb.101:
	v_mov_b64_e32 v[24:25], s[10:11]
	v_add_u32_e32 v10, 9, v60
	v_mov_b32_e32 v11, s66
	v_cmp_eq_u16_sdwa vcc, v41, v34 src0_sel:WORD_1 src1_sel:DWORD
	v_cmp_ne_u16_sdwa s[30:31], v41, v34 src0_sel:WORD_1 src1_sel:DWORD
	v_mov_b64_e32 v[22:23], s[8:9]
	v_mov_b64_e32 v[20:21], s[6:7]
	;; [unrolled: 1-line block ×5, first 2 shown]
	v_cndmask_b32_e32 v12, v11, v39, vcc
	v_cndmask_b32_e64 v13, 0, 1, s[30:31]
	v_cmp_gt_u32_e32 vcc, s60, v10
	v_mov_b32_e32 v10, s4
	v_mov_b32_e32 v11, s4
	s_mov_b64 s[36:37], 0
	v_mov_b64_e32 v[30:31], v[22:23]
	v_mov_b64_e32 v[28:29], v[20:21]
	;; [unrolled: 1-line block ×4, first 2 shown]
                                        ; implicit-def: $sgpr4_sgpr5
                                        ; implicit-def: $vgpr58
	s_and_saveexec_b64 s[30:31], vcc
	s_cbranch_execz .LBB1054_125
; %bb.102:
	ds_read2_b32 v[38:39], v61 offset0:9 offset1:10
	v_cmp_ne_u16_sdwa s[4:5], v34, v34 src0_sel:DWORD src1_sel:WORD_1
	v_add_u32_e32 v18, 10, v60
	v_mov_b32_e32 v10, s66
	v_cndmask_b32_e64 v11, 0, 1, s[4:5]
	s_mov_b32 s4, 0
	v_cmp_eq_u16_sdwa vcc, v34, v34 src0_sel:DWORD src1_sel:WORD_1
	s_mov_b32 s10, s4
	s_mov_b32 s11, s4
	s_waitcnt lgkmcnt(0)
	v_cndmask_b32_e32 v10, v10, v38, vcc
	v_cmp_gt_u32_e32 vcc, s60, v18
	s_mov_b32 s5, s4
	s_mov_b32 s6, s4
	;; [unrolled: 1-line block ×5, first 2 shown]
	v_mov_b64_e32 v[24:25], s[10:11]
	v_mov_b64_e32 v[22:23], s[8:9]
	;; [unrolled: 1-line block ×6, first 2 shown]
	s_mov_b64 s[38:39], 0
	v_mov_b64_e32 v[30:31], v[22:23]
	v_mov_b64_e32 v[28:29], v[20:21]
	;; [unrolled: 1-line block ×4, first 2 shown]
                                        ; implicit-def: $sgpr40_sgpr41
                                        ; implicit-def: $vgpr58
	s_and_saveexec_b64 s[34:35], vcc
	s_cbranch_execz .LBB1054_124
; %bb.103:
	v_add_u32_e32 v18, 11, v60
	v_mov_b32_e32 v19, s66
	v_cmp_eq_u16_sdwa vcc, v34, v35 src0_sel:WORD_1 src1_sel:DWORD
	v_cmp_ne_u16_sdwa s[36:37], v34, v35 src0_sel:WORD_1 src1_sel:DWORD
	v_mov_b64_e32 v[50:51], 0
	v_cndmask_b32_e32 v48, v19, v39, vcc
	v_cmp_gt_u32_e32 vcc, s60, v18
	v_mov_b64_e32 v[24:25], s[10:11]
	v_mov_b64_e32 v[22:23], s[8:9]
	;; [unrolled: 1-line block ×5, first 2 shown]
	v_cndmask_b32_e64 v49, 0, 1, s[36:37]
	v_mov_b64_e32 v[30:31], v[22:23]
	v_mov_b64_e32 v[28:29], v[20:21]
	;; [unrolled: 1-line block ×3, first 2 shown]
                                        ; implicit-def: $sgpr4_sgpr5
                                        ; implicit-def: $vgpr58
	s_and_saveexec_b64 s[36:37], vcc
	s_cbranch_execz .LBB1054_123
; %bb.104:
	ds_read2_b32 v[38:39], v61 offset0:11 offset1:12
	v_cmp_ne_u16_sdwa s[4:5], v35, v35 src0_sel:DWORD src1_sel:WORD_1
	v_add_u32_e32 v18, 12, v60
	v_mov_b32_e32 v19, s66
	v_cndmask_b32_e64 v25, 0, 1, s[4:5]
	s_mov_b32 s4, 0
	v_cmp_eq_u16_sdwa vcc, v35, v35 src0_sel:DWORD src1_sel:WORD_1
	s_mov_b32 s10, s4
	s_mov_b32 s11, s4
	s_waitcnt lgkmcnt(0)
	v_cndmask_b32_e32 v24, v19, v38, vcc
	v_cmp_gt_u32_e32 vcc, s60, v18
	v_mov_b32_e32 v18, 0
	s_mov_b32 s5, s4
	s_mov_b32 s6, s4
	;; [unrolled: 1-line block ×5, first 2 shown]
	v_mov_b64_e32 v[32:33], s[10:11]
	v_mov_b32_e32 v19, v18
	v_mov_b32_e32 v20, v18
	;; [unrolled: 1-line block ×5, first 2 shown]
	s_mov_b64 s[40:41], 0
	v_mov_b64_e32 v[30:31], s[8:9]
	v_mov_b64_e32 v[28:29], s[6:7]
	;; [unrolled: 1-line block ×4, first 2 shown]
                                        ; implicit-def: $sgpr44_sgpr45
                                        ; implicit-def: $vgpr58
	s_and_saveexec_b64 s[38:39], vcc
	s_cbranch_execz .LBB1054_122
; %bb.105:
	v_add_u32_e32 v19, 13, v60
	v_mov_b32_e32 v20, s66
	v_cmp_eq_u16_sdwa vcc, v35, v36 src0_sel:WORD_1 src1_sel:DWORD
	v_cmp_ne_u16_sdwa s[40:41], v35, v36 src0_sel:WORD_1 src1_sel:DWORD
	v_mov_b64_e32 v[32:33], s[10:11]
	v_cndmask_b32_e32 v22, v20, v39, vcc
	v_cndmask_b32_e64 v23, 0, 1, s[40:41]
	v_cmp_gt_u32_e32 vcc, s60, v19
	v_mov_b32_e32 v19, v18
	v_mov_b32_e32 v20, v18
	;; [unrolled: 1-line block ×3, first 2 shown]
	s_mov_b64 s[42:43], 0
	v_mov_b64_e32 v[30:31], s[8:9]
	v_mov_b64_e32 v[28:29], s[6:7]
	;; [unrolled: 1-line block ×4, first 2 shown]
                                        ; implicit-def: $sgpr4_sgpr5
                                        ; implicit-def: $vgpr58
	s_and_saveexec_b64 s[40:41], vcc
	s_cbranch_execz .LBB1054_121
; %bb.106:
	ds_read2_b32 v[34:35], v61 offset0:13 offset1:14
	v_cmp_ne_u16_sdwa s[4:5], v36, v36 src0_sel:DWORD src1_sel:WORD_1
	v_add_u32_e32 v18, 14, v60
	v_mov_b32_e32 v19, s66
	v_cndmask_b32_e64 v21, 0, 1, s[4:5]
	s_mov_b32 s4, 0
	s_mov_b32 s10, s4
	;; [unrolled: 1-line block ×3, first 2 shown]
	v_cmp_eq_u16_sdwa vcc, v36, v36 src0_sel:DWORD src1_sel:WORD_1
	s_mov_b32 s5, s4
	s_mov_b32 s6, s4
	;; [unrolled: 1-line block ×5, first 2 shown]
	v_mov_b64_e32 v[32:33], s[10:11]
	s_waitcnt lgkmcnt(0)
	v_cndmask_b32_e32 v20, v19, v34, vcc
	v_cmp_gt_u32_e32 vcc, s60, v18
	v_mov_b32_e32 v18, s4
	v_mov_b32_e32 v19, s4
	s_mov_b64 s[44:45], 0
	v_mov_b64_e32 v[30:31], s[8:9]
	v_mov_b64_e32 v[28:29], s[6:7]
	;; [unrolled: 1-line block ×4, first 2 shown]
                                        ; implicit-def: $sgpr48_sgpr49
                                        ; implicit-def: $vgpr58
	s_and_saveexec_b64 s[42:43], vcc
	s_cbranch_execz .LBB1054_120
; %bb.107:
	v_add_u32_e32 v26, 15, v60
	v_mov_b32_e32 v18, s66
	v_cmp_eq_u16_sdwa vcc, v36, v37 src0_sel:WORD_1 src1_sel:DWORD
	v_cmp_ne_u16_sdwa s[44:45], v36, v37 src0_sel:WORD_1 src1_sel:DWORD
	v_mov_b64_e32 v[50:51], 0
	v_cndmask_b32_e32 v18, v18, v35, vcc
	v_cmp_gt_u32_e32 vcc, s60, v26
	v_mov_b64_e32 v[32:33], s[10:11]
	v_cndmask_b32_e64 v19, 0, 1, s[44:45]
	s_mov_b64 s[44:45], 0
	v_mov_b64_e32 v[30:31], s[8:9]
	v_mov_b64_e32 v[28:29], s[6:7]
	;; [unrolled: 1-line block ×3, first 2 shown]
                                        ; implicit-def: $sgpr6_sgpr7
                                        ; implicit-def: $vgpr58
	s_and_saveexec_b64 s[4:5], vcc
	s_cbranch_execz .LBB1054_119
; %bb.108:
	ds_read2_b32 v[34:35], v61 offset0:15 offset1:16
	s_mov_b32 s68, 0
	v_add_u32_e32 v26, 16, v60
	v_mov_b32_e32 v27, s66
	v_cmp_eq_u16_sdwa vcc, v37, v37 src0_sel:DWORD src1_sel:WORD_1
	s_mov_b32 s69, s68
	v_cmp_ne_u16_sdwa s[6:7], v37, v37 src0_sel:DWORD src1_sel:WORD_1
	s_waitcnt lgkmcnt(0)
	v_cndmask_b32_e32 v50, v27, v34, vcc
	v_cmp_gt_u32_e32 vcc, s60, v26
	s_mov_b32 s70, s68
	s_mov_b32 s71, s68
	s_mov_b32 s72, s68
	s_mov_b32 s73, s68
	s_mov_b32 s74, s68
	s_mov_b32 s75, s68
	v_mov_b64_e32 v[26:27], s[68:69]
	v_cndmask_b32_e64 v51, 0, 1, s[6:7]
	s_mov_b64 s[8:9], 0
	v_mov_b64_e32 v[28:29], s[70:71]
	v_mov_b64_e32 v[30:31], s[72:73]
	v_mov_b64_e32 v[32:33], s[74:75]
                                        ; implicit-def: $sgpr44_sgpr45
                                        ; implicit-def: $vgpr58
	s_and_saveexec_b64 s[6:7], vcc
	s_cbranch_execz .LBB1054_118
; %bb.109:
	v_add_u32_e32 v28, 17, v60
	v_mov_b32_e32 v26, s66
	v_cmp_eq_u16_sdwa vcc, v37, v56 src0_sel:WORD_1 src1_sel:DWORD
	v_cmp_ne_u16_sdwa s[8:9], v37, v56 src0_sel:WORD_1 src1_sel:DWORD
	v_mov_b32_e32 v30, 0
	v_cndmask_b32_e32 v26, v26, v35, vcc
	v_cndmask_b32_e64 v27, 0, 1, s[8:9]
	v_cmp_gt_u32_e32 vcc, s60, v28
	v_mov_b32_e32 v28, v30
	v_mov_b32_e32 v29, v30
	;; [unrolled: 1-line block ×5, first 2 shown]
	s_mov_b64 s[10:11], 0
                                        ; implicit-def: $sgpr48_sgpr49
                                        ; implicit-def: $vgpr58
	s_and_saveexec_b64 s[8:9], vcc
	s_cbranch_execz .LBB1054_117
; %bb.110:
	ds_read2_b32 v[34:35], v61 offset0:17 offset1:18
	v_add_u32_e32 v31, 18, v60
	v_mov_b32_e32 v28, s66
	v_cmp_eq_u16_sdwa vcc, v56, v56 src0_sel:DWORD src1_sel:WORD_1
	v_cmp_ne_u16_sdwa s[10:11], v56, v56 src0_sel:DWORD src1_sel:WORD_1
	s_mov_b32 s48, 0
	s_waitcnt lgkmcnt(0)
	v_cndmask_b32_e32 v28, v28, v34, vcc
	v_cndmask_b32_e64 v29, 0, 1, s[10:11]
	v_cmp_gt_u32_e32 vcc, s60, v31
	v_mov_b32_e32 v31, v30
	v_mov_b32_e32 v32, v30
	;; [unrolled: 1-line block ×3, first 2 shown]
	s_mov_b64 s[44:45], 0
                                        ; implicit-def: $sgpr52_sgpr53
                                        ; implicit-def: $vgpr58
	s_and_saveexec_b64 s[10:11], vcc
	s_cbranch_execz .LBB1054_116
; %bb.111:
	v_add_u32_e32 v32, 19, v60
	v_mov_b32_e32 v30, s66
	v_cmp_eq_u16_sdwa vcc, v56, v57 src0_sel:WORD_1 src1_sel:DWORD
	v_cmp_ne_u16_sdwa s[44:45], v56, v57 src0_sel:WORD_1 src1_sel:DWORD
	v_mov_b32_e32 v33, s48
	v_cndmask_b32_e32 v30, v30, v35, vcc
	v_cndmask_b32_e64 v31, 0, 1, s[44:45]
	v_cmp_gt_u32_e32 vcc, s60, v32
	v_mov_b32_e32 v32, s48
	s_mov_b64 s[48:49], 0
                                        ; implicit-def: $sgpr52_sgpr53
                                        ; implicit-def: $vgpr58
	s_and_saveexec_b64 s[44:45], vcc
	s_cbranch_execz .LBB1054_115
; %bb.112:
	ds_read2_b32 v[34:35], v61 offset0:19 offset1:20
	v_add_u32_e32 v36, 20, v60
	v_mov_b32_e32 v32, s66
	v_cmp_eq_u16_sdwa vcc, v57, v57 src0_sel:DWORD src1_sel:WORD_1
	v_cmp_ne_u16_sdwa s[48:49], v57, v57 src0_sel:DWORD src1_sel:WORD_1
                                        ; implicit-def: $sgpr52_sgpr53
                                        ; implicit-def: $vgpr58
	s_waitcnt lgkmcnt(0)
	v_cndmask_b32_e32 v32, v32, v34, vcc
	v_cndmask_b32_e64 v33, 0, 1, s[48:49]
	v_cmp_gt_u32_e32 vcc, s60, v36
	s_mov_b64 s[48:49], 0
	s_and_saveexec_b64 s[60:61], vcc
	s_xor_b64 s[60:61], exec, s[60:61]
; %bb.113:
	v_mov_b32_e32 v34, s66
	v_cmp_ne_u16_sdwa vcc, v57, v1 src0_sel:WORD_1 src1_sel:DWORD
	s_mov_b64 s[48:49], exec
	s_and_b64 s[52:53], vcc, exec
	v_cndmask_b32_e32 v58, v35, v34, vcc
; %bb.114:
	s_or_b64 exec, exec, s[60:61]
	s_and_b64 s[52:53], s[52:53], exec
	s_and_b64 s[48:49], s[48:49], exec
.LBB1054_115:
	s_or_b64 exec, exec, s[44:45]
	s_and_b64 s[52:53], s[52:53], exec
	s_and_b64 s[44:45], s[48:49], exec
.LBB1054_116:
	s_or_b64 exec, exec, s[10:11]
	s_and_b64 s[48:49], s[52:53], exec
	s_and_b64 s[10:11], s[44:45], exec
.LBB1054_117:
	s_or_b64 exec, exec, s[8:9]
	s_and_b64 s[44:45], s[48:49], exec
	s_and_b64 s[8:9], s[10:11], exec
.LBB1054_118:
	s_or_b64 exec, exec, s[6:7]
	s_and_b64 s[6:7], s[44:45], exec
	s_and_b64 s[44:45], s[8:9], exec
.LBB1054_119:
	s_or_b64 exec, exec, s[4:5]
	s_and_b64 s[48:49], s[6:7], exec
	s_and_b64 s[44:45], s[44:45], exec
.LBB1054_120:
	s_or_b64 exec, exec, s[42:43]
	s_and_b64 s[4:5], s[48:49], exec
	s_and_b64 s[42:43], s[44:45], exec
.LBB1054_121:
	s_or_b64 exec, exec, s[40:41]
	s_and_b64 s[44:45], s[4:5], exec
	s_and_b64 s[40:41], s[42:43], exec
.LBB1054_122:
	s_or_b64 exec, exec, s[38:39]
	s_and_b64 s[4:5], s[44:45], exec
	s_and_b64 s[38:39], s[40:41], exec
.LBB1054_123:
	s_or_b64 exec, exec, s[36:37]
	s_and_b64 s[40:41], s[4:5], exec
	s_and_b64 s[36:37], s[38:39], exec
.LBB1054_124:
	s_or_b64 exec, exec, s[34:35]
	s_and_b64 s[4:5], s[40:41], exec
	s_and_b64 s[34:35], s[36:37], exec
.LBB1054_125:
	s_or_b64 exec, exec, s[30:31]
	s_and_b64 s[36:37], s[4:5], exec
	s_and_b64 s[30:31], s[34:35], exec
.LBB1054_126:
	s_or_b64 exec, exec, s[28:29]
	s_and_b64 s[4:5], s[36:37], exec
	s_and_b64 s[28:29], s[30:31], exec
.LBB1054_127:
	s_or_b64 exec, exec, s[26:27]
	s_and_b64 s[30:31], s[4:5], exec
	s_and_b64 s[26:27], s[28:29], exec
.LBB1054_128:
	s_or_b64 exec, exec, s[24:25]
	s_and_b64 s[4:5], s[30:31], exec
	s_and_b64 s[24:25], s[26:27], exec
.LBB1054_129:
	s_or_b64 exec, exec, s[22:23]
	s_and_b64 s[26:27], s[4:5], exec
	s_and_b64 s[22:23], s[24:25], exec
.LBB1054_130:
	s_or_b64 exec, exec, s[20:21]
	s_and_b64 s[4:5], s[26:27], exec
	s_and_b64 s[20:21], s[22:23], exec
.LBB1054_131:
	s_or_b64 exec, exec, s[18:19]
	s_and_b64 s[22:23], s[4:5], exec
	s_and_b64 s[18:19], s[20:21], exec
.LBB1054_132:
	s_or_b64 exec, exec, s[16:17]
	s_and_b64 s[4:5], s[22:23], exec
	s_and_b64 s[16:17], s[18:19], exec
.LBB1054_133:
	s_or_b64 exec, exec, s[14:15]
	s_and_b64 s[14:15], s[4:5], exec
	s_and_b64 s[16:17], s[16:17], exec
.LBB1054_134:
	s_or_b64 exec, exec, s[12:13]
	s_mov_b64 s[4:5], 0
	s_and_b64 vcc, exec, s[0:1]
	v_lshlrev_b32_e32 v56, 1, v0
	s_cbranch_vccz .LBB1054_140
.LBB1054_135:
	v_mov_b32_e32 v57, 0
	v_lshl_add_u64 v[2:3], v[54:55], 0, v[56:57]
	v_add_co_u32_e32 v4, vcc, 0x1000, v2
	flat_load_ushort v1, v[2:3]
	flat_load_ushort v6, v[2:3] offset:512
	flat_load_ushort v7, v[2:3] offset:1024
	;; [unrolled: 1-line block ×7, first 2 shown]
	v_addc_co_u32_e32 v5, vcc, 0, v3, vcc
	v_add_co_u32_e32 v2, vcc, 0x2000, v2
	flat_load_ushort v13, v[4:5]
	flat_load_ushort v14, v[4:5] offset:512
	flat_load_ushort v15, v[4:5] offset:1024
	flat_load_ushort v16, v[4:5] offset:1536
	flat_load_ushort v17, v[4:5] offset:2048
	flat_load_ushort v18, v[4:5] offset:2560
	flat_load_ushort v19, v[4:5] offset:3072
	flat_load_ushort v20, v[4:5] offset:3584
	v_addc_co_u32_e32 v3, vcc, 0, v3, vcc
	flat_load_ushort v4, v[2:3]
	flat_load_ushort v5, v[2:3] offset:512
	flat_load_ushort v21, v[2:3] offset:1024
	flat_load_ushort v22, v[2:3] offset:1536
	flat_load_ushort v23, v[2:3] offset:2048
	v_add_co_u32_e32 v2, vcc, 0x2000, v54
	s_movk_i32 s4, 0xffd8
	s_nop 0
	v_addc_co_u32_e32 v3, vcc, 0, v55, vcc
	s_mov_b32 s0, 0
	s_mov_b32 s1, 1
	s_movk_i32 s7, 0x1000
	s_movk_i32 s6, 0x2000
	s_waitcnt vmcnt(0) lgkmcnt(0)
	ds_write_b16 v56, v1
	ds_write_b16 v56, v6 offset:512
	ds_write_b16 v56, v7 offset:1024
	;; [unrolled: 1-line block ×20, first 2 shown]
	s_waitcnt lgkmcnt(0)
	s_barrier
	flat_load_ushort v1, v[2:3] offset:2560
	v_mad_u32_u24 v2, v0, 40, v56
	ds_read_b96 v[8:10], v2
	ds_read_b64 v[18:19], v2 offset:12
	ds_read_b96 v[26:28], v2 offset:20
	ds_read_b64 v[34:35], v2 offset:32
	ds_read_u16 v40, v2 offset:40
	v_mad_i32_i24 v2, v0, s4, v2
	s_movk_i32 s4, 0xff
	v_cmp_ne_u32_e32 vcc, s4, v0
	s_waitcnt lgkmcnt(0)
	ds_write_b16 v2, v8 offset:11264
	s_waitcnt lgkmcnt(0)
	s_barrier
	s_and_saveexec_b64 s[4:5], vcc
	s_cbranch_execz .LBB1054_137
; %bb.136:
	s_waitcnt vmcnt(0)
	ds_read_u16 v1, v56 offset:11266
.LBB1054_137:
	s_or_b64 exec, exec, s[4:5]
	v_lshl_add_u64 v[4:5], v[52:53], 0, v[56:57]
	v_add_co_u32_e32 v6, vcc, s7, v4
	s_waitcnt lgkmcnt(0)
	s_nop 0
	v_addc_co_u32_e32 v7, vcc, 0, v5, vcc
	s_barrier
	flat_load_sshort v3, v[4:5]
	flat_load_sshort v12, v[4:5] offset:512
	flat_load_sshort v13, v[4:5] offset:1024
	flat_load_sshort v14, v[4:5] offset:1536
	flat_load_sshort v15, v[4:5] offset:2048
	flat_load_sshort v16, v[4:5] offset:2560
	flat_load_sshort v17, v[4:5] offset:3072
	flat_load_sshort v20, v[4:5] offset:3584
	v_add_co_u32_e32 v4, vcc, s6, v4
	flat_load_sshort v21, v[6:7]
	flat_load_sshort v22, v[6:7] offset:512
	flat_load_sshort v23, v[6:7] offset:1024
	;; [unrolled: 1-line block ×7, first 2 shown]
	v_addc_co_u32_e32 v5, vcc, 0, v5, vcc
	flat_load_sshort v6, v[4:5]
	flat_load_sshort v7, v[4:5] offset:512
	flat_load_sshort v32, v[4:5] offset:1024
	;; [unrolled: 1-line block ×4, first 2 shown]
	v_lshl_add_u32 v2, v0, 1, v2
	s_movk_i32 s4, 0x50
	v_mad_u32_u24 v41, v0, s4, v2
	v_alignbit_b32 v11, v10, v9, 16
	v_cmp_eq_u16_sdwa s[4:5], v8, v8 src0_sel:DWORD src1_sel:WORD_1
	v_mov_b64_e32 v[44:45], s[0:1]
	s_waitcnt vmcnt(0) lgkmcnt(0)
	ds_write2st64_b32 v2, v3, v12 offset1:4
	ds_write2st64_b32 v2, v13, v14 offset0:8 offset1:12
	ds_write2st64_b32 v2, v15, v16 offset0:16 offset1:20
	;; [unrolled: 1-line block ×9, first 2 shown]
	ds_write_b32 v2, v36 offset:20480
	s_waitcnt lgkmcnt(0)
	s_barrier
	ds_read2_b32 v[12:13], v41 offset0:8 offset1:9
	ds_read2_b32 v[14:15], v41 offset0:6 offset1:7
	ds_read2_b32 v[4:5], v41 offset0:3 offset1:4
	ds_read2_b32 v[6:7], v41 offset0:1 offset1:2
	ds_read2_b32 v[24:25], v41 offset0:5 offset1:10
	ds_read2_b32 v[36:37], v41 offset0:15 offset1:20
	ds_read2_b32 v[30:31], v41 offset0:18 offset1:19
	ds_read2_b32 v[38:39], v41 offset0:16 offset1:17
	ds_read2_b32 v[20:21], v41 offset0:13 offset1:14
	ds_read2_b32 v[22:23], v41 offset0:11 offset1:12
	v_alignbit_b32 v16, v9, v8, 16
	v_mov_b32_e32 v3, s66
	s_and_saveexec_b64 s[0:1], s[4:5]
	s_cbranch_execz .LBB1054_139
; %bb.138:
	v_mul_u32_u24_e32 v3, 0x50, v0
	v_add_u32_e32 v2, v2, v3
	ds_read_b32 v3, v2
	v_mov_b64_e32 v[44:45], 0
.LBB1054_139:
	s_or_b64 exec, exec, s[0:1]
	v_mov_b32_e32 v41, s66
	v_cmp_eq_u16_sdwa vcc, v11, v10 src0_sel:WORD_1 src1_sel:WORD_1
	v_cmp_ne_u16_sdwa s[0:1], v11, v10 src0_sel:WORD_1 src1_sel:WORD_1
	s_waitcnt lgkmcnt(0)
	v_or_b32_e32 v44, v44, v3
	v_cndmask_b32_e32 v2, v41, v5, vcc
	v_cmp_eq_u16_sdwa vcc, v16, v16 src0_sel:DWORD src1_sel:WORD_1
	v_cndmask_b32_e64 v3, 0, 1, s[0:1]
	v_cmp_ne_u16_sdwa s[0:1], v16, v16 src0_sel:DWORD src1_sel:WORD_1
	v_cndmask_b32_e32 v8, v41, v6, vcc
	v_cmp_eq_u16_sdwa vcc, v16, v11 src0_sel:WORD_1 src1_sel:DWORD
	v_cndmask_b32_e64 v9, 0, 1, s[0:1]
	v_cmp_ne_u16_sdwa s[0:1], v16, v11 src0_sel:WORD_1 src1_sel:DWORD
	v_cndmask_b32_e32 v6, v41, v7, vcc
	v_cmp_eq_u16_sdwa vcc, v11, v11 src0_sel:DWORD src1_sel:WORD_1
	v_cndmask_b32_e64 v7, 0, 1, s[0:1]
	v_cmp_ne_u16_sdwa s[0:1], v11, v11 src0_sel:DWORD src1_sel:WORD_1
	v_cndmask_b32_e32 v4, v41, v4, vcc
	v_cmp_eq_u16_sdwa vcc, v10, v18 src0_sel:WORD_1 src1_sel:DWORD
	v_cndmask_b32_e64 v5, 0, 1, s[0:1]
	v_cmp_ne_u16_sdwa s[0:1], v10, v18 src0_sel:WORD_1 src1_sel:DWORD
	;; [unrolled: 8-line block ×3, first 2 shown]
	v_cndmask_b32_e32 v14, v41, v15, vcc
	v_cmp_eq_u16_sdwa vcc, v19, v19 src0_sel:DWORD src1_sel:WORD_1
	v_cndmask_b32_e64 v15, 0, 1, s[0:1]
	v_cmp_ne_u16_sdwa s[0:1], v19, v19 src0_sel:DWORD src1_sel:WORD_1
	v_cndmask_b32_e32 v12, v41, v12, vcc
	v_cmp_eq_u16_sdwa vcc, v19, v26 src0_sel:WORD_1 src1_sel:DWORD
	v_cmp_ne_u16_e64 s[14:15], v40, v1
	s_mov_b64 s[16:17], -1
	v_cndmask_b32_e32 v10, v41, v13, vcc
	v_cndmask_b32_e64 v13, 0, 1, s[0:1]
	v_cmp_ne_u16_sdwa s[0:1], v19, v26 src0_sel:WORD_1 src1_sel:DWORD
	v_cmp_eq_u16_sdwa vcc, v26, v26 src0_sel:DWORD src1_sel:WORD_1
	v_cndmask_b32_e64 v58, v37, v41, s[14:15]
	v_cndmask_b32_e64 v11, 0, 1, s[0:1]
	v_cndmask_b32_e32 v48, v41, v25, vcc
	v_cmp_ne_u16_sdwa s[0:1], v26, v26 src0_sel:DWORD src1_sel:WORD_1
	v_cmp_eq_u16_sdwa vcc, v26, v27 src0_sel:WORD_1 src1_sel:DWORD
                                        ; implicit-def: $sgpr4_sgpr5
	s_nop 0
	v_cndmask_b32_e64 v49, 0, 1, s[0:1]
	v_cndmask_b32_e32 v24, v41, v22, vcc
	v_cmp_eq_u16_sdwa vcc, v27, v27 src0_sel:DWORD src1_sel:WORD_1
	v_cmp_ne_u16_sdwa s[0:1], v26, v27 src0_sel:WORD_1 src1_sel:DWORD
	s_nop 0
	v_cndmask_b32_e32 v22, v41, v23, vcc
	v_cmp_eq_u16_sdwa vcc, v27, v28 src0_sel:WORD_1 src1_sel:DWORD
	v_cndmask_b32_e64 v25, 0, 1, s[0:1]
	v_cmp_ne_u16_sdwa s[0:1], v27, v27 src0_sel:DWORD src1_sel:WORD_1
	v_cndmask_b32_e32 v20, v41, v20, vcc
	v_cmp_eq_u16_sdwa vcc, v28, v28 src0_sel:DWORD src1_sel:WORD_1
	v_cndmask_b32_e64 v23, 0, 1, s[0:1]
	v_cmp_ne_u16_sdwa s[0:1], v27, v28 src0_sel:WORD_1 src1_sel:DWORD
	v_cndmask_b32_e32 v18, v41, v21, vcc
	v_cmp_eq_u16_sdwa vcc, v28, v34 src0_sel:WORD_1 src1_sel:DWORD
	v_cndmask_b32_e64 v21, 0, 1, s[0:1]
	v_cmp_ne_u16_sdwa s[0:1], v28, v28 src0_sel:DWORD src1_sel:WORD_1
	v_cndmask_b32_e32 v50, v41, v36, vcc
	v_cmp_eq_u16_sdwa vcc, v35, v40 src0_sel:WORD_1 src1_sel:DWORD
	v_cndmask_b32_e64 v19, 0, 1, s[0:1]
	v_cmp_ne_u16_sdwa s[0:1], v28, v34 src0_sel:WORD_1 src1_sel:DWORD
	v_cndmask_b32_e32 v32, v41, v31, vcc
	v_cmp_eq_u16_sdwa vcc, v35, v35 src0_sel:DWORD src1_sel:WORD_1
	v_cndmask_b32_e64 v51, 0, 1, s[0:1]
	v_cmp_ne_u16_sdwa s[0:1], v35, v40 src0_sel:WORD_1 src1_sel:DWORD
	v_cndmask_b32_e32 v30, v41, v30, vcc
	v_cmp_eq_u16_sdwa vcc, v34, v35 src0_sel:WORD_1 src1_sel:DWORD
	v_cndmask_b32_e64 v33, 0, 1, s[0:1]
	v_cmp_ne_u16_sdwa s[0:1], v35, v35 src0_sel:DWORD src1_sel:WORD_1
	v_cndmask_b32_e32 v28, v41, v39, vcc
	v_cmp_eq_u16_sdwa vcc, v34, v34 src0_sel:DWORD src1_sel:WORD_1
	v_cndmask_b32_e64 v31, 0, 1, s[0:1]
	v_cmp_ne_u16_sdwa s[0:1], v34, v35 src0_sel:WORD_1 src1_sel:DWORD
	v_cndmask_b32_e32 v26, v41, v38, vcc
	s_nop 0
	v_cndmask_b32_e64 v29, 0, 1, s[0:1]
	v_cmp_ne_u16_sdwa s[0:1], v34, v34 src0_sel:DWORD src1_sel:WORD_1
	s_nop 1
	v_cndmask_b32_e64 v27, 0, 1, s[0:1]
.LBB1054_140:
	v_mov_b64_e32 v[52:53], s[4:5]
	s_and_saveexec_b64 s[0:1], s[16:17]
; %bb.141:
	v_cndmask_b32_e64 v59, 0, 1, s[14:15]
	v_mov_b64_e32 v[52:53], v[58:59]
; %bb.142:
	s_or_b64 exec, exec, s[0:1]
	s_mov_b32 s0, 0
	s_cmp_lg_u32 s59, 0
	v_mbcnt_lo_u32_b32 v60, -1, 0
	v_lshrrev_b32_e32 v1, 6, v0
	v_or_b32_e32 v57, 63, v0
	s_barrier
	s_cbranch_scc0 .LBB1054_175
; %bb.143:
	s_mov_b32 s1, 1
	v_cmp_gt_u64_e64 s[4:5], s[0:1], v[8:9]
	v_cmp_gt_u64_e64 s[6:7], s[0:1], v[6:7]
	v_cmp_gt_u64_e64 s[8:9], s[0:1], v[4:5]
	v_cndmask_b32_e64 v34, 0, v44, s[4:5]
	v_add_u32_e32 v34, v34, v8
	v_cndmask_b32_e64 v34, 0, v34, s[6:7]
	v_add_u32_e32 v34, v34, v6
	v_cndmask_b32_e64 v34, 0, v34, s[8:9]
	v_add_u32_e32 v34, v34, v4
	v_cmp_gt_u64_e64 s[10:11], s[0:1], v[2:3]
	v_cmp_gt_u64_e64 s[12:13], s[0:1], v[46:47]
	v_cmp_gt_u64_e64 s[14:15], s[0:1], v[16:17]
	v_cndmask_b32_e64 v34, 0, v34, s[10:11]
	v_add_u32_e32 v34, v34, v2
	v_cndmask_b32_e64 v34, 0, v34, s[12:13]
	v_add_u32_e32 v34, v34, v46
	v_cndmask_b32_e64 v34, 0, v34, s[14:15]
	v_add_u32_e32 v34, v34, v16
	;; [unrolled: 9-line block ×4, first 2 shown]
	v_cmp_gt_u64_e64 s[28:29], s[0:1], v[20:21]
	v_cmp_gt_u64_e64 s[30:31], s[0:1], v[18:19]
	;; [unrolled: 1-line block ×3, first 2 shown]
	v_cndmask_b32_e64 v34, 0, v34, s[28:29]
	v_add_u32_e32 v34, v34, v20
	v_cndmask_b32_e64 v34, 0, v34, s[30:31]
	v_add_u32_e32 v34, v34, v18
	v_or_b32_e32 v35, v53, v33
	v_cndmask_b32_e64 v34, 0, v34, s[34:35]
	v_or3_b32 v35, v35, v31, v29
	v_add_u32_e32 v34, v34, v50
	v_cmp_gt_u64_e64 s[36:37], s[0:1], v[26:27]
	v_or3_b32 v35, v35, v27, v51
	v_or3_b32 v35, v35, v19, v21
	v_cndmask_b32_e64 v34, 0, v34, s[36:37]
	v_add_u32_e32 v34, v34, v26
	v_cmp_gt_u64_e64 s[38:39], s[0:1], v[28:29]
	v_or3_b32 v35, v35, v23, v25
	v_or3_b32 v35, v35, v49, v11
	v_cndmask_b32_e64 v34, 0, v34, s[38:39]
	;; [unrolled: 5-line block ×4, first 2 shown]
	v_add_u32_e32 v34, v34, v32
	v_cmp_gt_u64_e32 vcc, s[0:1], v[52:53]
	v_and_b32_e32 v35, 1, v35
	v_mbcnt_hi_u32_b32 v65, -1, v60
	v_cndmask_b32_e32 v34, 0, v34, vcc
	v_cmp_eq_u32_e32 vcc, 1, v35
	v_add_u32_e32 v34, v34, v52
	v_and_b32_e32 v37, 15, v65
	v_cndmask_b32_e64 v35, v45, 1, vcc
	v_and_b32_e32 v36, 0xff, v35
	v_mov_b32_dpp v38, v34 row_shr:1 row_mask:0xf bank_mask:0xf
	v_cmp_eq_u16_e32 vcc, 0, v36
	v_mov_b32_dpp v39, v36 row_shr:1 row_mask:0xf bank_mask:0xf
	v_and_b32_e32 v40, 1, v35
	v_cndmask_b32_e32 v38, 0, v38, vcc
	v_and_b32_e32 v39, 1, v39
	v_cmp_eq_u32_e32 vcc, 1, v40
	s_nop 1
	v_cndmask_b32_e64 v39, v39, 1, vcc
	v_and_b32_e32 v40, 0xffff, v39
	v_cmp_eq_u32_e32 vcc, 0, v37
	s_nop 1
	v_cndmask_b32_e32 v35, v39, v35, vcc
	v_cndmask_b32_e32 v36, v40, v36, vcc
	v_and_b32_e32 v41, 1, v35
	v_cndmask_b32_e64 v38, v38, 0, vcc
	v_mov_b32_dpp v39, v36 row_shr:2 row_mask:0xf bank_mask:0xf
	v_and_b32_e32 v39, 1, v39
	v_cmp_eq_u32_e32 vcc, 1, v41
	v_mov_b32_e32 v40, 0
	v_add_u32_e32 v34, v38, v34
	v_cndmask_b32_e64 v39, v39, 1, vcc
	v_and_b32_e32 v41, 0xffff, v39
	v_cmp_lt_u32_e32 vcc, 1, v37
	v_cmp_eq_u16_sdwa s[0:1], v35, v40 src0_sel:BYTE_0 src1_sel:DWORD
	v_mov_b32_dpp v38, v34 row_shr:2 row_mask:0xf bank_mask:0xf
	v_cndmask_b32_e32 v35, v35, v39, vcc
	v_cndmask_b32_e32 v36, v36, v41, vcc
	s_and_b64 vcc, vcc, s[0:1]
	v_and_b32_e32 v41, 1, v35
	v_mov_b32_dpp v39, v36 row_shr:4 row_mask:0xf bank_mask:0xf
	v_cndmask_b32_e32 v38, 0, v38, vcc
	v_and_b32_e32 v39, 1, v39
	v_cmp_eq_u32_e32 vcc, 1, v41
	v_add_u32_e32 v34, v38, v34
	v_cmp_eq_u16_sdwa s[0:1], v35, v40 src0_sel:BYTE_0 src1_sel:DWORD
	v_cndmask_b32_e64 v39, v39, 1, vcc
	v_and_b32_e32 v41, 0xffff, v39
	v_cmp_lt_u32_e32 vcc, 3, v37
	v_mov_b32_dpp v38, v34 row_shr:4 row_mask:0xf bank_mask:0xf
	s_nop 0
	v_cndmask_b32_e32 v35, v35, v39, vcc
	v_cndmask_b32_e32 v36, v36, v41, vcc
	s_and_b64 vcc, vcc, s[0:1]
	v_and_b32_e32 v41, 1, v35
	v_mov_b32_dpp v39, v36 row_shr:8 row_mask:0xf bank_mask:0xf
	v_cndmask_b32_e32 v38, 0, v38, vcc
	v_and_b32_e32 v39, 1, v39
	v_cmp_eq_u32_e32 vcc, 1, v41
	v_add_u32_e32 v34, v38, v34
	v_cmp_eq_u16_sdwa s[0:1], v35, v40 src0_sel:BYTE_0 src1_sel:DWORD
	v_cndmask_b32_e64 v39, v39, 1, vcc
	v_and_b32_e32 v41, 0xffff, v39
	v_cmp_lt_u32_e32 vcc, 7, v37
	v_mov_b32_dpp v38, v34 row_shr:8 row_mask:0xf bank_mask:0xf
	s_nop 0
	v_cndmask_b32_e32 v35, v35, v39, vcc
	v_cndmask_b32_e32 v36, v36, v41, vcc
	s_and_b64 vcc, vcc, s[0:1]
	v_cndmask_b32_e32 v37, 0, v38, vcc
	v_add_u32_e32 v34, v37, v34
	v_mov_b32_dpp v38, v36 row_bcast:15 row_mask:0xf bank_mask:0xf
	v_cmp_eq_u16_sdwa vcc, v35, v40 src0_sel:BYTE_0 src1_sel:DWORD
	v_mov_b32_dpp v37, v34 row_bcast:15 row_mask:0xf bank_mask:0xf
	v_and_b32_e32 v54, 1, v35
	v_cndmask_b32_e32 v37, 0, v37, vcc
	v_and_b32_e32 v38, 1, v38
	v_cmp_eq_u32_e32 vcc, 1, v54
	v_and_b32_e32 v41, 16, v65
	v_bfe_i32 v39, v65, 4, 1
	v_cndmask_b32_e64 v38, v38, 1, vcc
	v_and_b32_e32 v54, 0xffff, v38
	v_cmp_eq_u32_e32 vcc, 0, v41
	v_and_b32_e32 v37, v39, v37
	v_add_u32_e32 v34, v37, v34
	v_cndmask_b32_e32 v35, v38, v35, vcc
	v_cndmask_b32_e32 v36, v54, v36, vcc
	v_and_b32_e32 v37, 1, v35
	v_cmp_eq_u32_e32 vcc, 1, v37
	v_mov_b32_dpp v36, v36 row_bcast:31 row_mask:0xf bank_mask:0xf
	v_and_b32_e32 v36, 1, v36
	v_cmp_eq_u16_sdwa s[0:1], v35, v40 src0_sel:BYTE_0 src1_sel:DWORD
	v_cndmask_b32_e64 v36, v36, 1, vcc
	v_cmp_lt_u32_e32 vcc, 31, v65
	v_mov_b32_dpp v38, v34 row_bcast:31 row_mask:0xf bank_mask:0xf
	s_nop 0
	v_cndmask_b32_e32 v37, v35, v36, vcc
	s_and_b64 vcc, vcc, s[0:1]
	v_cndmask_b32_e32 v35, 0, v38, vcc
	v_add_u32_e32 v36, v35, v34
	v_cmp_eq_u32_e32 vcc, v57, v0
	s_and_saveexec_b64 s[0:1], vcc
	s_cbranch_execz .LBB1054_145
; %bb.144:
	v_lshlrev_b32_e32 v34, 3, v1
	ds_write_b32 v34, v36
	ds_write_b8 v34, v37 offset:4
.LBB1054_145:
	s_or_b64 exec, exec, s[0:1]
	v_cmp_gt_u32_e32 vcc, 4, v0
	s_waitcnt lgkmcnt(0)
	s_barrier
	s_and_saveexec_b64 s[0:1], vcc
	s_cbranch_execz .LBB1054_149
; %bb.146:
	v_lshlrev_b32_e32 v38, 3, v0
	ds_read_b64 v[34:35], v38
	v_and_b32_e32 v39, 3, v65
	v_cmp_ne_u32_e32 vcc, 0, v39
	s_waitcnt lgkmcnt(0)
	v_mov_b32_dpp v40, v34 row_shr:1 row_mask:0xf bank_mask:0xf
	v_mov_b32_dpp v54, v35 row_shr:1 row_mask:0xf bank_mask:0xf
	v_mov_b32_e32 v41, v35
	s_and_saveexec_b64 s[44:45], vcc
	s_cbranch_execz .LBB1054_148
; %bb.147:
	v_and_b32_e32 v41, 1, v35
	v_and_b32_e32 v54, 1, v54
	v_cmp_eq_u32_e32 vcc, 1, v41
	v_mov_b32_e32 v41, 0
	s_movk_i32 s48, 0xff00
	v_cndmask_b32_e64 v54, v54, 1, vcc
	v_cmp_eq_u16_sdwa vcc, v35, v41 src0_sel:BYTE_0 src1_sel:DWORD
	s_nop 1
	v_cndmask_b32_e32 v40, 0, v40, vcc
	v_add_u32_e32 v34, v40, v34
	v_and_b32_e32 v40, 0xffff, v54
	v_and_or_b32 v41, v35, s48, v40
	v_mov_b32_e32 v35, v54
.LBB1054_148:
	s_or_b64 exec, exec, s[44:45]
	v_mov_b32_dpp v41, v41 row_shr:2 row_mask:0xf bank_mask:0xf
	v_and_b32_e32 v54, 1, v35
	v_and_b32_e32 v41, 1, v41
	v_cmp_eq_u32_e32 vcc, 1, v54
	v_mov_b32_e32 v54, 0
	v_cmp_eq_u16_sdwa s[44:45], v35, v54 src0_sel:BYTE_0 src1_sel:DWORD
	v_cndmask_b32_e64 v41, v41, 1, vcc
	v_cmp_lt_u32_e32 vcc, 1, v39
	v_mov_b32_dpp v40, v34 row_shr:2 row_mask:0xf bank_mask:0xf
	s_nop 0
	v_cndmask_b32_e32 v35, v35, v41, vcc
	s_and_b64 vcc, vcc, s[44:45]
	v_cndmask_b32_e32 v39, 0, v40, vcc
	v_add_u32_e32 v34, v39, v34
	ds_write_b32 v38, v34
	ds_write_b8 v38, v35 offset:4
.LBB1054_149:
	s_or_b64 exec, exec, s[0:1]
	v_cmp_gt_u32_e32 vcc, 64, v0
	v_cmp_lt_u32_e64 s[0:1], 63, v0
	v_mov_b32_e32 v61, 0
	v_mov_b32_e32 v62, 0
	s_waitcnt lgkmcnt(0)
	s_barrier
	s_and_saveexec_b64 s[44:45], s[0:1]
	s_cbranch_execz .LBB1054_151
; %bb.150:
	v_lshl_add_u32 v34, v1, 3, -8
	ds_read_b32 v61, v34
	ds_read_u8 v62, v34 offset:4
	v_mov_b32_e32 v35, 0
	v_and_b32_e32 v38, 1, v37
	v_cmp_eq_u16_sdwa s[0:1], v37, v35 src0_sel:BYTE_0 src1_sel:DWORD
	s_waitcnt lgkmcnt(1)
	s_nop 0
	v_cndmask_b32_e64 v34, 0, v61, s[0:1]
	v_cmp_eq_u32_e64 s[0:1], 1, v38
	v_add_u32_e32 v36, v34, v36
	s_waitcnt lgkmcnt(0)
	v_cndmask_b32_e64 v37, v62, 1, s[0:1]
.LBB1054_151:
	s_or_b64 exec, exec, s[44:45]
	v_and_b32_e32 v34, 0xff, v37
	v_add_u32_e32 v35, -1, v65
	v_and_b32_e32 v37, 64, v65
	v_cmp_lt_i32_e64 s[0:1], v35, v37
	v_cmp_eq_u32_e64 s[44:45], 0, v65
	s_nop 0
	v_cndmask_b32_e64 v35, v35, v65, s[0:1]
	v_lshlrev_b32_e32 v35, 2, v35
	ds_bpermute_b32 v63, v35, v36
	ds_bpermute_b32 v64, v35, v34
	s_and_saveexec_b64 s[48:49], vcc
	s_cbranch_execz .LBB1054_174
; %bb.152:
	v_mov_b32_e32 v37, 0
	ds_read_b64 v[34:35], v37 offset:24
	s_waitcnt lgkmcnt(0)
	v_readfirstlane_b32 s67, v35
	s_and_saveexec_b64 s[0:1], s[44:45]
	s_cbranch_execz .LBB1054_154
; %bb.153:
	s_add_i32 s52, s59, 64
	s_mov_b32 s53, 0
	s_lshl_b64 s[60:61], s[52:53], 4
	s_add_u32 s60, s56, s60
	s_addc_u32 s61, s57, s61
	s_and_b32 s69, s67, 0xff000000
	s_mov_b32 s68, s53
	s_and_b32 s71, s67, 0xff0000
	s_mov_b32 s70, s53
	s_or_b64 s[68:69], s[70:71], s[68:69]
	s_and_b32 s71, s67, 0xff00
	s_or_b64 s[68:69], s[68:69], s[70:71]
	s_and_b32 s71, s67, 0xff
	s_or_b64 s[52:53], s[68:69], s[70:71]
	v_mov_b32_e32 v35, s53
	v_mov_b32_e32 v36, 1
	v_mov_b64_e32 v[38:39], s[60:61]
	;;#ASMSTART
	global_store_dwordx4 v[38:39], v[34:37] off sc1	
s_waitcnt vmcnt(0)
	;;#ASMEND
.LBB1054_154:
	s_or_b64 exec, exec, s[0:1]
	v_xad_u32 v54, v65, -1, s59
	v_add_u32_e32 v36, 64, v54
	v_lshl_add_u64 v[58:59], v[36:37], 4, s[56:57]
	;;#ASMSTART
	global_load_dwordx4 v[38:41], v[58:59] off sc1	
s_waitcnt vmcnt(0)
	;;#ASMEND
	s_nop 0
	v_and_b32_e32 v35, 0xff0000, v38
	v_and_b32_e32 v36, 0xff000000, v38
	;; [unrolled: 1-line block ×3, first 2 shown]
	v_or_b32_sdwa v35, v38, v35 dst_sel:DWORD dst_unused:UNUSED_PAD src0_sel:WORD_0 src1_sel:DWORD
	v_or3_b32 v39, 0, 0, v39
	v_or3_b32 v38, v35, v36, 0
	v_cmp_eq_u16_sdwa s[52:53], v40, v37 src0_sel:BYTE_0 src1_sel:DWORD
	s_and_saveexec_b64 s[0:1], s[52:53]
	s_cbranch_execz .LBB1054_160
; %bb.155:
	s_mov_b32 s60, 1
	s_mov_b64 s[52:53], 0
	v_mov_b32_e32 v35, 0
.LBB1054_156:                           ; =>This Loop Header: Depth=1
                                        ;     Child Loop BB1054_157 Depth 2
	s_max_u32 s61, s60, 1
.LBB1054_157:                           ;   Parent Loop BB1054_156 Depth=1
                                        ; =>  This Inner Loop Header: Depth=2
	s_add_i32 s61, s61, -1
	s_cmp_eq_u32 s61, 0
	s_sleep 1
	s_cbranch_scc0 .LBB1054_157
; %bb.158:                              ;   in Loop: Header=BB1054_156 Depth=1
	s_cmp_lt_u32 s60, 32
	s_cselect_b64 s[68:69], -1, 0
	s_cmp_lg_u64 s[68:69], 0
	s_addc_u32 s60, s60, 0
	;;#ASMSTART
	global_load_dwordx4 v[38:41], v[58:59] off sc1	
s_waitcnt vmcnt(0)
	;;#ASMEND
	s_nop 0
	v_cmp_ne_u16_sdwa s[68:69], v40, v35 src0_sel:BYTE_0 src1_sel:DWORD
	s_or_b64 s[52:53], s[68:69], s[52:53]
	s_andn2_b64 exec, exec, s[52:53]
	s_cbranch_execnz .LBB1054_156
; %bb.159:
	s_or_b64 exec, exec, s[52:53]
	v_and_b32_e32 v39, 0xff, v39
.LBB1054_160:
	s_or_b64 exec, exec, s[0:1]
	v_mov_b32_e32 v35, 2
	v_cmp_eq_u16_sdwa s[0:1], v40, v35 src0_sel:BYTE_0 src1_sel:DWORD
	v_lshlrev_b64 v[36:37], v65, -1
	v_and_b32_e32 v66, 63, v65
	v_and_b32_e32 v41, s1, v37
	v_or_b32_e32 v41, 0x80000000, v41
	v_and_b32_e32 v55, s0, v36
	v_ffbl_b32_e32 v41, v41
	v_add_u32_e32 v41, 32, v41
	v_ffbl_b32_e32 v55, v55
	v_cmp_ne_u32_e32 vcc, 63, v66
	v_min_u32_e32 v41, v55, v41
	s_mov_b32 s52, 0
	v_addc_co_u32_e32 v55, vcc, 0, v65, vcc
	v_lshlrev_b32_e32 v67, 2, v55
	ds_bpermute_b32 v55, v67, v39
	ds_bpermute_b32 v58, v67, v38
	v_and_b32_e32 v59, 1, v39
	s_mov_b32 s53, 1
	v_cmp_eq_u32_e32 vcc, 1, v59
	s_waitcnt lgkmcnt(1)
	v_and_b32_e32 v55, 1, v55
	v_cmp_lt_u32_e64 s[0:1], v66, v41
	v_cndmask_b32_e64 v55, v55, 1, vcc
	v_cmp_gt_u64_e32 vcc, s[52:53], v[38:39]
	s_and_b64 vcc, s[0:1], vcc
	v_and_b32_e32 v59, 0xffff, v55
	v_cndmask_b32_e64 v70, v39, v55, s[0:1]
	s_waitcnt lgkmcnt(0)
	v_cndmask_b32_e32 v55, 0, v58, vcc
	v_cmp_gt_u32_e32 vcc, 62, v66
	v_cndmask_b32_e64 v39, v39, v59, s[0:1]
	v_add_u32_e32 v38, v55, v38
	v_cndmask_b32_e64 v58, 0, 1, vcc
	v_lshlrev_b32_e32 v58, 1, v58
	v_add_lshl_u32 v68, v58, v65, 2
	ds_bpermute_b32 v58, v68, v39
	ds_bpermute_b32 v59, v68, v38
	v_and_b32_e32 v55, 1, v70
	v_cmp_eq_u32_e32 vcc, 1, v55
	v_mov_b32_e32 v55, 0
	s_waitcnt lgkmcnt(1)
	v_and_b32_e32 v58, 1, v58
	v_add_u32_e32 v69, 2, v66
	v_cndmask_b32_e64 v58, v58, 1, vcc
	v_cmp_eq_u16_sdwa vcc, v70, v55 src0_sel:BYTE_0 src1_sel:DWORD
	v_and_b32_e32 v71, 0xffff, v58
	v_add_u32_e32 v78, 32, v66
	s_waitcnt lgkmcnt(0)
	v_cndmask_b32_e32 v59, 0, v59, vcc
	v_cmp_gt_u32_e32 vcc, v69, v41
	s_nop 1
	v_cndmask_b32_e32 v58, v58, v70, vcc
	v_cndmask_b32_e64 v59, v59, 0, vcc
	v_cndmask_b32_e32 v39, v71, v39, vcc
	v_cmp_gt_u32_e32 vcc, 60, v66
	v_add_u32_e32 v38, v59, v38
	v_and_b32_e32 v73, 1, v58
	v_cndmask_b32_e64 v70, 0, 1, vcc
	v_lshlrev_b32_e32 v70, 2, v70
	v_add_lshl_u32 v70, v70, v65, 2
	ds_bpermute_b32 v72, v70, v39
	ds_bpermute_b32 v59, v70, v38
	v_cmp_eq_u32_e32 vcc, 1, v73
	v_add_u32_e32 v71, 4, v66
	s_waitcnt lgkmcnt(1)
	v_and_b32_e32 v72, 1, v72
	v_cndmask_b32_e64 v72, v72, 1, vcc
	v_cmp_eq_u16_sdwa vcc, v58, v55 src0_sel:BYTE_0 src1_sel:DWORD
	v_and_b32_e32 v73, 0xffff, v72
	s_waitcnt lgkmcnt(0)
	v_cndmask_b32_e32 v59, 0, v59, vcc
	v_cmp_gt_u32_e32 vcc, v71, v41
	s_nop 1
	v_cndmask_b32_e32 v58, v72, v58, vcc
	v_cndmask_b32_e64 v59, v59, 0, vcc
	v_cndmask_b32_e32 v39, v73, v39, vcc
	v_cmp_gt_u32_e32 vcc, 56, v66
	v_add_u32_e32 v38, v59, v38
	v_and_b32_e32 v75, 1, v58
	v_cndmask_b32_e64 v72, 0, 1, vcc
	v_lshlrev_b32_e32 v72, 3, v72
	v_add_lshl_u32 v72, v72, v65, 2
	ds_bpermute_b32 v74, v72, v39
	ds_bpermute_b32 v59, v72, v38
	v_cmp_eq_u32_e32 vcc, 1, v75
	v_add_u32_e32 v73, 8, v66
	s_waitcnt lgkmcnt(1)
	v_and_b32_e32 v74, 1, v74
	v_cndmask_b32_e64 v74, v74, 1, vcc
	v_cmp_eq_u16_sdwa vcc, v58, v55 src0_sel:BYTE_0 src1_sel:DWORD
	v_and_b32_e32 v75, 0xffff, v74
	;; [unrolled: 22-line block ×3, first 2 shown]
	s_waitcnt lgkmcnt(0)
	v_cndmask_b32_e32 v59, 0, v59, vcc
	v_cmp_gt_u32_e32 vcc, v75, v41
	s_nop 1
	v_cndmask_b32_e32 v58, v76, v58, vcc
	v_cndmask_b32_e64 v59, v59, 0, vcc
	v_cndmask_b32_e32 v39, v77, v39, vcc
	v_cmp_gt_u32_e32 vcc, 32, v66
	v_add_u32_e32 v38, v59, v38
	s_nop 0
	v_cndmask_b32_e64 v76, 0, 1, vcc
	v_lshlrev_b32_e32 v76, 5, v76
	v_add_lshl_u32 v77, v76, v65, 2
	ds_bpermute_b32 v39, v77, v39
	ds_bpermute_b32 v59, v77, v38
	v_and_b32_e32 v65, 1, v58
	v_cmp_eq_u32_e32 vcc, 1, v65
	s_waitcnt lgkmcnt(1)
	v_and_b32_e32 v39, 1, v39
	v_cndmask_b32_e64 v39, v39, 1, vcc
	v_cmp_eq_u16_sdwa vcc, v58, v55 src0_sel:BYTE_0 src1_sel:DWORD
	s_waitcnt lgkmcnt(0)
	s_nop 0
	v_cndmask_b32_e32 v59, 0, v59, vcc
	v_cmp_gt_u32_e32 vcc, v78, v41
	s_nop 1
	v_cndmask_b32_e64 v41, v59, 0, vcc
	v_cndmask_b32_e32 v39, v39, v58, vcc
	v_add_u32_e32 v38, v41, v38
	s_branch .LBB1054_162
.LBB1054_161:                           ;   in Loop: Header=BB1054_162 Depth=1
	s_or_b64 exec, exec, s[0:1]
	v_cmp_eq_u16_sdwa s[0:1], v40, v35 src0_sel:BYTE_0 src1_sel:DWORD
	ds_bpermute_b32 v59, v67, v39
	v_and_b32_e32 v79, 1, v39
	v_and_b32_e32 v41, s1, v37
	v_or_b32_e32 v41, 0x80000000, v41
	v_and_b32_e32 v58, s0, v36
	v_ffbl_b32_e32 v41, v41
	v_add_u32_e32 v41, 32, v41
	v_ffbl_b32_e32 v58, v58
	v_min_u32_e32 v41, v58, v41
	ds_bpermute_b32 v58, v67, v38
	s_waitcnt lgkmcnt(1)
	v_and_b32_e32 v59, 1, v59
	v_cmp_eq_u32_e32 vcc, 1, v79
	v_cmp_lt_u32_e64 s[0:1], v66, v41
	v_subrev_u32_e32 v54, 64, v54
	v_cndmask_b32_e64 v59, v59, 1, vcc
	v_cmp_gt_u64_e32 vcc, s[52:53], v[38:39]
	v_and_b32_e32 v79, 0xffff, v59
	v_cndmask_b32_e64 v59, v39, v59, s[0:1]
	v_cndmask_b32_e64 v39, v39, v79, s[0:1]
	s_and_b64 vcc, s[0:1], vcc
	ds_bpermute_b32 v79, v68, v39
	s_waitcnt lgkmcnt(1)
	v_cndmask_b32_e32 v58, 0, v58, vcc
	v_add_u32_e32 v38, v58, v38
	ds_bpermute_b32 v58, v68, v38
	v_and_b32_e32 v80, 1, v59
	s_waitcnt lgkmcnt(1)
	v_and_b32_e32 v79, 1, v79
	v_cmp_eq_u32_e32 vcc, 1, v80
	s_nop 1
	v_cndmask_b32_e64 v79, v79, 1, vcc
	v_cmp_eq_u16_sdwa vcc, v59, v55 src0_sel:BYTE_0 src1_sel:DWORD
	v_and_b32_e32 v80, 0xffff, v79
	s_waitcnt lgkmcnt(0)
	v_cndmask_b32_e32 v58, 0, v58, vcc
	v_cmp_gt_u32_e32 vcc, v69, v41
	s_nop 1
	v_cndmask_b32_e32 v39, v80, v39, vcc
	v_cndmask_b32_e32 v59, v79, v59, vcc
	ds_bpermute_b32 v79, v70, v39
	v_cndmask_b32_e64 v58, v58, 0, vcc
	v_add_u32_e32 v38, v58, v38
	ds_bpermute_b32 v58, v70, v38
	v_and_b32_e32 v80, 1, v59
	s_waitcnt lgkmcnt(1)
	v_and_b32_e32 v79, 1, v79
	v_cmp_eq_u32_e32 vcc, 1, v80
	s_nop 1
	v_cndmask_b32_e64 v79, v79, 1, vcc
	v_cmp_eq_u16_sdwa vcc, v59, v55 src0_sel:BYTE_0 src1_sel:DWORD
	v_and_b32_e32 v80, 0xffff, v79
	s_waitcnt lgkmcnt(0)
	v_cndmask_b32_e32 v58, 0, v58, vcc
	v_cmp_gt_u32_e32 vcc, v71, v41
	s_nop 1
	v_cndmask_b32_e32 v39, v80, v39, vcc
	v_cndmask_b32_e32 v59, v79, v59, vcc
	ds_bpermute_b32 v79, v72, v39
	v_cndmask_b32_e64 v58, v58, 0, vcc
	;; [unrolled: 18-line block ×3, first 2 shown]
	v_add_u32_e32 v38, v58, v38
	ds_bpermute_b32 v58, v74, v38
	v_and_b32_e32 v80, 1, v59
	s_waitcnt lgkmcnt(1)
	v_and_b32_e32 v79, 1, v79
	v_cmp_eq_u32_e32 vcc, 1, v80
	s_nop 1
	v_cndmask_b32_e64 v79, v79, 1, vcc
	v_cmp_eq_u16_sdwa vcc, v59, v55 src0_sel:BYTE_0 src1_sel:DWORD
	v_and_b32_e32 v80, 0xffff, v79
	s_waitcnt lgkmcnt(0)
	v_cndmask_b32_e32 v58, 0, v58, vcc
	v_cmp_gt_u32_e32 vcc, v75, v41
	s_nop 1
	v_cndmask_b32_e64 v58, v58, 0, vcc
	v_cndmask_b32_e32 v39, v80, v39, vcc
	ds_bpermute_b32 v39, v77, v39
	v_add_u32_e32 v38, v58, v38
	ds_bpermute_b32 v58, v77, v38
	v_cndmask_b32_e32 v59, v79, v59, vcc
	v_and_b32_e32 v79, 1, v59
	v_cmp_eq_u32_e32 vcc, 1, v79
	s_waitcnt lgkmcnt(1)
	s_nop 0
	v_cndmask_b32_e64 v39, v39, 1, vcc
	v_cmp_eq_u16_sdwa vcc, v59, v55 src0_sel:BYTE_0 src1_sel:DWORD
	s_waitcnt lgkmcnt(0)
	s_nop 0
	v_cndmask_b32_e32 v58, 0, v58, vcc
	v_cmp_gt_u32_e32 vcc, v78, v41
	s_nop 1
	v_cndmask_b32_e64 v41, v58, 0, vcc
	v_cndmask_b32_e32 v39, v39, v59, vcc
	v_add_u32_e32 v38, v41, v38
	v_cmp_eq_u16_sdwa vcc, v65, v55 src0_sel:BYTE_0 src1_sel:DWORD
	v_and_b32_e32 v41, 1, v65
	v_and_b32_e32 v39, 1, v39
	v_cndmask_b32_e32 v38, 0, v38, vcc
	v_cmp_eq_u32_e32 vcc, 1, v41
	v_add_u32_e32 v38, v38, v76
	s_nop 0
	v_cndmask_b32_e64 v39, v39, 1, vcc
.LBB1054_162:                           ; =>This Loop Header: Depth=1
                                        ;     Child Loop BB1054_165 Depth 2
                                        ;       Child Loop BB1054_166 Depth 3
	v_cmp_ne_u16_sdwa s[0:1], v40, v35 src0_sel:BYTE_0 src1_sel:DWORD
	v_mov_b32_e32 v65, v39
	v_mov_b32_e32 v76, v38
	v_cndmask_b32_e64 v39, 0, 1, s[0:1]
	;;#ASMSTART
	;;#ASMEND
	s_nop 0
	v_cmp_ne_u32_e32 vcc, 0, v39
	s_cmp_lg_u64 vcc, exec
	s_cbranch_scc1 .LBB1054_169
; %bb.163:                              ;   in Loop: Header=BB1054_162 Depth=1
	v_lshl_add_u64 v[58:59], v[54:55], 4, s[56:57]
	;;#ASMSTART
	global_load_dwordx4 v[38:41], v[58:59] off sc1	
s_waitcnt vmcnt(0)
	;;#ASMEND
	s_nop 0
	v_and_b32_e32 v41, 0xff0000, v38
	v_and_b32_e32 v79, 0xff000000, v38
	;; [unrolled: 1-line block ×3, first 2 shown]
	v_or_b32_sdwa v38, v38, v41 dst_sel:DWORD dst_unused:UNUSED_PAD src0_sel:WORD_0 src1_sel:DWORD
	v_or3_b32 v39, 0, 0, v39
	v_or3_b32 v38, v38, v79, 0
	v_cmp_eq_u16_sdwa s[60:61], v40, v55 src0_sel:BYTE_0 src1_sel:DWORD
	s_and_saveexec_b64 s[0:1], s[60:61]
	s_cbranch_execz .LBB1054_161
; %bb.164:                              ;   in Loop: Header=BB1054_162 Depth=1
	s_mov_b32 s68, 1
	s_mov_b64 s[60:61], 0
.LBB1054_165:                           ;   Parent Loop BB1054_162 Depth=1
                                        ; =>  This Loop Header: Depth=2
                                        ;       Child Loop BB1054_166 Depth 3
	s_max_u32 s69, s68, 1
.LBB1054_166:                           ;   Parent Loop BB1054_162 Depth=1
                                        ;     Parent Loop BB1054_165 Depth=2
                                        ; =>    This Inner Loop Header: Depth=3
	s_add_i32 s69, s69, -1
	s_cmp_eq_u32 s69, 0
	s_sleep 1
	s_cbranch_scc0 .LBB1054_166
; %bb.167:                              ;   in Loop: Header=BB1054_165 Depth=2
	s_cmp_lt_u32 s68, 32
	s_cselect_b64 s[70:71], -1, 0
	s_cmp_lg_u64 s[70:71], 0
	s_addc_u32 s68, s68, 0
	;;#ASMSTART
	global_load_dwordx4 v[38:41], v[58:59] off sc1	
s_waitcnt vmcnt(0)
	;;#ASMEND
	s_nop 0
	v_cmp_ne_u16_sdwa s[70:71], v40, v55 src0_sel:BYTE_0 src1_sel:DWORD
	s_or_b64 s[60:61], s[70:71], s[60:61]
	s_andn2_b64 exec, exec, s[60:61]
	s_cbranch_execnz .LBB1054_165
; %bb.168:                              ;   in Loop: Header=BB1054_162 Depth=1
	s_or_b64 exec, exec, s[60:61]
	v_and_b32_e32 v39, 0xff, v39
	s_branch .LBB1054_161
.LBB1054_169:                           ;   in Loop: Header=BB1054_162 Depth=1
                                        ; implicit-def: $vgpr39
                                        ; implicit-def: $vgpr38
                                        ; implicit-def: $vgpr40
	s_cbranch_execz .LBB1054_162
; %bb.170:
	s_and_saveexec_b64 s[0:1], s[44:45]
	s_cbranch_execz .LBB1054_172
; %bb.171:
	s_and_b32 s52, s67, 0xff
	s_cmp_eq_u32 s52, 0
	s_cselect_b64 vcc, -1, 0
	s_bitcmp1_b32 s67, 0
	s_mov_b32 s53, 0
	s_cselect_b64 s[60:61], -1, 0
	s_add_i32 s52, s59, 64
	s_lshl_b64 s[52:53], s[52:53], 4
	v_cndmask_b32_e32 v35, 0, v76, vcc
	s_add_u32 s52, s56, s52
	v_add_u32_e32 v34, v35, v34
	v_and_b32_e32 v35, 1, v65
	s_addc_u32 s53, s57, s53
	v_mov_b32_e32 v37, 0
	v_cndmask_b32_e64 v35, v35, 1, s[60:61]
	v_mov_b32_e32 v36, 2
	v_mov_b64_e32 v[38:39], s[52:53]
	;;#ASMSTART
	global_store_dwordx4 v[38:39], v[34:37] off sc1	
s_waitcnt vmcnt(0)
	;;#ASMEND
.LBB1054_172:
	s_or_b64 exec, exec, s[0:1]
	s_and_b64 exec, exec, s[46:47]
	s_cbranch_execz .LBB1054_174
; %bb.173:
	v_mov_b32_e32 v34, 0
	ds_write_b32 v34, v76 offset:24
	ds_write_b8 v34, v65 offset:28
.LBB1054_174:
	s_or_b64 exec, exec, s[48:49]
	v_mov_b32_e32 v34, 0
	s_waitcnt lgkmcnt(0)
	s_barrier
	ds_read_b32 v35, v34 offset:24
	v_cndmask_b32_e64 v36, v64, v62, s[44:45]
	v_cmp_eq_u16_sdwa vcc, v36, v34 src0_sel:BYTE_0 src1_sel:DWORD
	v_cndmask_b32_e64 v37, v63, v61, s[44:45]
	s_waitcnt lgkmcnt(0)
	v_cndmask_b32_e32 v36, 0, v35, vcc
	v_add_u32_e32 v36, v36, v37
	v_cndmask_b32_e64 v40, v36, v35, s[46:47]
	v_and_b32_e32 v35, 0xff, v45
	v_cmp_eq_u64_e32 vcc, 0, v[34:35]
	s_nop 1
	v_cndmask_b32_e32 v34, 0, v40, vcc
	v_add_u32_e32 v35, v34, v44
	v_cndmask_b32_e64 v34, 0, v35, s[4:5]
	v_add_u32_e32 v36, v34, v8
	v_cndmask_b32_e64 v34, 0, v36, s[6:7]
	;; [unrolled: 2-line block ×19, first 2 shown]
	v_add_u32_e32 v34, v34, v32
	s_branch .LBB1054_189
.LBB1054_175:
                                        ; implicit-def: $vgpr69
                                        ; implicit-def: $vgpr68
                                        ; implicit-def: $vgpr67
                                        ; implicit-def: $vgpr66
                                        ; implicit-def: $vgpr65
                                        ; implicit-def: $vgpr64
                                        ; implicit-def: $vgpr63
                                        ; implicit-def: $vgpr62
                                        ; implicit-def: $vgpr61
                                        ; implicit-def: $vgpr59
                                        ; implicit-def: $vgpr58
                                        ; implicit-def: $vgpr55
                                        ; implicit-def: $vgpr54
                                        ; implicit-def: $vgpr41
                                        ; implicit-def: $vgpr39
                                        ; implicit-def: $vgpr38
                                        ; implicit-def: $vgpr37
                                        ; implicit-def: $vgpr36
                                        ; implicit-def: $vgpr35
                                        ; implicit-def: $vgpr40
                                        ; implicit-def: $vgpr34
	s_cbranch_execz .LBB1054_189
; %bb.176:
	s_cmp_lg_u64 s[64:65], 0
	s_cselect_b32 s5, s63, 0
	s_cselect_b32 s4, s62, 0
	s_mov_b32 s0, 0
	s_cmp_eq_u64 s[4:5], 0
	v_mov_b32_e32 v70, s66
	s_cbranch_scc1 .LBB1054_178
; %bb.177:
	v_mov_b32_e32 v34, 0
	global_load_dword v70, v34, s[4:5]
.LBB1054_178:
	s_mov_b32 s1, 1
	v_cmp_gt_u64_e32 vcc, s[0:1], v[8:9]
	v_cmp_gt_u64_e64 s[4:5], s[0:1], v[6:7]
	v_cmp_gt_u64_e64 s[6:7], s[0:1], v[4:5]
	v_cndmask_b32_e32 v35, 0, v44, vcc
	v_add_u32_e32 v35, v35, v8
	v_cndmask_b32_e64 v35, 0, v35, s[4:5]
	v_add_u32_e32 v35, v35, v6
	v_cndmask_b32_e64 v35, 0, v35, s[6:7]
	v_add_u32_e32 v35, v35, v4
	v_cmp_gt_u64_e64 s[8:9], s[0:1], v[2:3]
	v_cmp_gt_u64_e64 s[10:11], s[0:1], v[46:47]
	v_cmp_gt_u64_e64 s[12:13], s[0:1], v[16:17]
	v_cndmask_b32_e64 v35, 0, v35, s[8:9]
	v_add_u32_e32 v35, v35, v2
	v_cndmask_b32_e64 v35, 0, v35, s[10:11]
	v_add_u32_e32 v35, v35, v46
	v_cndmask_b32_e64 v35, 0, v35, s[12:13]
	v_add_u32_e32 v35, v35, v16
	v_cmp_gt_u64_e64 s[14:15], s[0:1], v[14:15]
	v_cmp_gt_u64_e64 s[16:17], s[0:1], v[12:13]
	v_cmp_gt_u64_e64 s[18:19], s[0:1], v[10:11]
	v_cndmask_b32_e64 v35, 0, v35, s[14:15]
	;; [unrolled: 9-line block ×5, first 2 shown]
	v_add_u32_e32 v35, v35, v26
	v_cndmask_b32_e64 v35, 0, v35, s[36:37]
	v_add_u32_e32 v35, v35, v28
	v_cndmask_b32_e64 v35, 0, v35, s[38:39]
	v_add_u32_e32 v35, v35, v30
	v_cmp_gt_u64_e64 s[40:41], s[0:1], v[32:33]
	v_or_b32_e32 v23, v31, v23
	v_mov_b32_e32 v34, 0
	v_cndmask_b32_e64 v35, 0, v35, s[40:41]
	v_add_u32_e32 v35, v35, v32
	v_cmp_gt_u64_e64 s[0:1], s[0:1], v[52:53]
	v_or_b32_e32 v25, v33, v25
	v_or3_b32 v7, v23, v15, v7
	v_cndmask_b32_e64 v35, 0, v35, s[0:1]
	v_or_b32_e32 v19, v27, v19
	v_or3_b32 v9, v25, v17, v9
	v_and_b32_e32 v41, 1, v7
	v_mov_b32_e32 v40, v34
	v_and_b32_e32 v36, 1, v47
	v_add_u32_e32 v47, v35, v52
	v_and_b32_e32 v35, 1, v53
	v_or_b32_e32 v21, v29, v21
	v_or3_b32 v3, v19, v11, v3
	v_and_b32_e32 v39, 1, v9
	v_mov_b32_e32 v38, v34
	v_cmp_ne_u64_e64 s[44:45], 0, v[40:41]
	v_cmp_eq_u32_e64 s[0:1], 1, v35
	v_or3_b32 v5, v21, v13, v5
	v_and_b32_e32 v35, 1, v3
	v_cndmask_b32_e64 v3, 0, 1, s[44:45]
	v_cmp_ne_u64_e64 s[44:45], 0, v[38:39]
	v_cmp_eq_u32_e64 s[42:43], 1, v36
	v_and_b32_e32 v37, 1, v5
	v_mov_b32_e32 v36, v34
	v_cndmask_b32_e64 v5, 0, 1, s[44:45]
	v_lshlrev_b16_e32 v3, 2, v3
	v_lshlrev_b16_e32 v5, 3, v5
	v_cmp_ne_u64_e64 s[44:45], 0, v[36:37]
	v_or_b32_e32 v3, v5, v3
	v_mov_b32_dpp v11, v47 row_shr:1 row_mask:0xf bank_mask:0xf
	v_cndmask_b32_e64 v5, 0, 1, s[44:45]
	v_cmp_ne_u64_e64 s[44:45], 0, v[34:35]
	v_lshlrev_b16_e32 v5, 1, v5
	s_nop 0
	v_cndmask_b32_e64 v7, 0, 1, s[44:45]
	v_or_b32_e32 v5, v7, v5
	v_and_b32_e32 v5, 3, v5
	v_or_b32_e32 v3, v5, v3
	v_and_b32_e32 v3, 15, v3
	v_cmp_ne_u16_e64 s[44:45], 0, v3
	v_or_b32_e32 v3, v51, v49
	v_and_b32_e32 v3, 1, v3
	s_or_b64 s[44:45], s[0:1], s[44:45]
	v_cmp_eq_u32_e64 s[0:1], 1, v3
	s_or_b64 s[0:1], s[44:45], s[0:1]
	s_or_b64 s[0:1], s[0:1], s[42:43]
	v_cndmask_b32_e64 v5, v45, 1, s[0:1]
	v_and_b32_e32 v7, 0xff, v5
	v_cmp_eq_u16_e64 s[0:1], 0, v7
	v_and_b32_e32 v15, 1, v5
	v_mov_b32_dpp v13, v7 row_shr:1 row_mask:0xf bank_mask:0xf
	v_mbcnt_hi_u32_b32 v3, -1, v60
	v_cndmask_b32_e64 v11, 0, v11, s[0:1]
	v_and_b32_e32 v13, 1, v13
	v_cmp_eq_u32_e64 s[0:1], 1, v15
	v_and_b32_e32 v9, 15, v3
	s_nop 0
	v_cndmask_b32_e64 v13, v13, 1, s[0:1]
	v_and_b32_e32 v15, 0xffff, v13
	v_cmp_eq_u32_e64 s[0:1], 0, v9
	s_nop 1
	v_cndmask_b32_e64 v5, v13, v5, s[0:1]
	v_cndmask_b32_e64 v7, v15, v7, s[0:1]
	v_and_b32_e32 v17, 1, v5
	v_cndmask_b32_e64 v11, v11, 0, s[0:1]
	v_mov_b32_dpp v15, v7 row_shr:2 row_mask:0xf bank_mask:0xf
	v_and_b32_e32 v15, 1, v15
	v_cmp_eq_u32_e64 s[0:1], 1, v17
	v_add_u32_e32 v11, v11, v47
	v_cmp_eq_u16_sdwa s[42:43], v5, v34 src0_sel:BYTE_0 src1_sel:DWORD
	v_cndmask_b32_e64 v15, v15, 1, s[0:1]
	v_and_b32_e32 v17, 0xffff, v15
	v_cmp_lt_u32_e64 s[0:1], 1, v9
	v_mov_b32_dpp v13, v11 row_shr:2 row_mask:0xf bank_mask:0xf
	s_nop 0
	v_cndmask_b32_e64 v5, v5, v15, s[0:1]
	v_cndmask_b32_e64 v7, v7, v17, s[0:1]
	s_and_b64 s[0:1], s[0:1], s[42:43]
	v_and_b32_e32 v17, 1, v5
	v_mov_b32_dpp v15, v7 row_shr:4 row_mask:0xf bank_mask:0xf
	v_cndmask_b32_e64 v13, 0, v13, s[0:1]
	v_and_b32_e32 v15, 1, v15
	v_cmp_eq_u32_e64 s[0:1], 1, v17
	v_add_u32_e32 v11, v13, v11
	v_cmp_eq_u16_sdwa s[42:43], v5, v34 src0_sel:BYTE_0 src1_sel:DWORD
	v_cndmask_b32_e64 v15, v15, 1, s[0:1]
	v_and_b32_e32 v17, 0xffff, v15
	v_cmp_lt_u32_e64 s[0:1], 3, v9
	v_mov_b32_dpp v13, v11 row_shr:4 row_mask:0xf bank_mask:0xf
	s_nop 0
	v_cndmask_b32_e64 v5, v5, v15, s[0:1]
	v_cndmask_b32_e64 v7, v7, v17, s[0:1]
	s_and_b64 s[0:1], s[0:1], s[42:43]
	v_and_b32_e32 v17, 1, v5
	v_mov_b32_dpp v15, v7 row_shr:8 row_mask:0xf bank_mask:0xf
	v_cndmask_b32_e64 v13, 0, v13, s[0:1]
	v_and_b32_e32 v15, 1, v15
	v_cmp_eq_u32_e64 s[0:1], 1, v17
	v_add_u32_e32 v11, v13, v11
	v_cmp_eq_u16_sdwa s[42:43], v5, v34 src0_sel:BYTE_0 src1_sel:DWORD
	v_cndmask_b32_e64 v15, v15, 1, s[0:1]
	v_and_b32_e32 v17, 0xffff, v15
	v_cmp_lt_u32_e64 s[0:1], 7, v9
	v_mov_b32_dpp v13, v11 row_shr:8 row_mask:0xf bank_mask:0xf
	s_nop 0
	v_cndmask_b32_e64 v5, v5, v15, s[0:1]
	v_cndmask_b32_e64 v7, v7, v17, s[0:1]
	s_and_b64 s[0:1], s[0:1], s[42:43]
	v_cndmask_b32_e64 v9, 0, v13, s[0:1]
	v_add_u32_e32 v9, v9, v11
	v_mov_b32_dpp v13, v7 row_bcast:15 row_mask:0xf bank_mask:0xf
	v_cmp_eq_u16_sdwa s[0:1], v5, v34 src0_sel:BYTE_0 src1_sel:DWORD
	v_mov_b32_dpp v11, v9 row_bcast:15 row_mask:0xf bank_mask:0xf
	v_and_b32_e32 v19, 1, v5
	v_cndmask_b32_e64 v11, 0, v11, s[0:1]
	v_and_b32_e32 v13, 1, v13
	v_cmp_eq_u32_e64 s[0:1], 1, v19
	v_and_b32_e32 v17, 16, v3
	v_bfe_i32 v15, v3, 4, 1
	v_cndmask_b32_e64 v13, v13, 1, s[0:1]
	v_and_b32_e32 v19, 0xffff, v13
	v_cmp_eq_u32_e64 s[0:1], 0, v17
	v_and_b32_e32 v11, v15, v11
	v_add_u32_e32 v9, v11, v9
	v_cndmask_b32_e64 v5, v13, v5, s[0:1]
	v_cndmask_b32_e64 v7, v19, v7, s[0:1]
	v_and_b32_e32 v13, 1, v5
	v_cmp_eq_u32_e64 s[0:1], 1, v13
	v_mov_b32_dpp v7, v7 row_bcast:31 row_mask:0xf bank_mask:0xf
	v_and_b32_e32 v7, 1, v7
	v_cmp_eq_u16_sdwa s[42:43], v5, v34 src0_sel:BYTE_0 src1_sel:DWORD
	v_cndmask_b32_e64 v7, v7, 1, s[0:1]
	v_cmp_lt_u32_e64 s[0:1], 31, v3
	v_mov_b32_dpp v11, v9 row_bcast:31 row_mask:0xf bank_mask:0xf
	s_nop 0
	v_cndmask_b32_e64 v5, v5, v7, s[0:1]
	s_and_b64 s[0:1], s[0:1], s[42:43]
	v_cndmask_b32_e64 v7, 0, v11, s[0:1]
	v_add_u32_e32 v7, v7, v9
	v_cmp_eq_u32_e64 s[0:1], v57, v0
	s_and_saveexec_b64 s[42:43], s[0:1]
	s_cbranch_execz .LBB1054_180
; %bb.179:
	v_lshlrev_b32_e32 v9, 3, v1
	ds_write_b32 v9, v7
	ds_write_b8 v9, v5 offset:4
.LBB1054_180:
	s_or_b64 exec, exec, s[42:43]
	v_cmp_gt_u32_e64 s[0:1], 4, v0
	s_waitcnt lgkmcnt(0)
	s_barrier
	s_and_saveexec_b64 s[42:43], s[0:1]
	s_cbranch_execz .LBB1054_184
; %bb.181:
	v_lshlrev_b32_e32 v9, 3, v0
	ds_read_b64 v[34:35], v9
	v_and_b32_e32 v11, 3, v3
	v_cmp_ne_u32_e64 s[0:1], 0, v11
	s_waitcnt lgkmcnt(0)
	v_mov_b32_dpp v13, v34 row_shr:1 row_mask:0xf bank_mask:0xf
	v_mov_b32_dpp v17, v35 row_shr:1 row_mask:0xf bank_mask:0xf
	v_mov_b32_e32 v15, v35
	s_and_saveexec_b64 s[44:45], s[0:1]
	s_cbranch_execz .LBB1054_183
; %bb.182:
	v_and_b32_e32 v15, 1, v35
	v_and_b32_e32 v17, 1, v17
	v_cmp_eq_u32_e64 s[0:1], 1, v15
	v_mov_b32_e32 v15, 0
	s_nop 0
	v_cndmask_b32_e64 v17, v17, 1, s[0:1]
	v_cmp_eq_u16_sdwa s[0:1], v35, v15 src0_sel:BYTE_0 src1_sel:DWORD
	s_nop 1
	v_cndmask_b32_e64 v13, 0, v13, s[0:1]
	v_add_u32_e32 v34, v13, v34
	v_and_b32_e32 v13, 0xffff, v17
	s_movk_i32 s0, 0xff00
	v_and_or_b32 v15, v35, s0, v13
	v_mov_b32_e32 v35, v17
.LBB1054_183:
	s_or_b64 exec, exec, s[44:45]
	v_mov_b32_dpp v15, v15 row_shr:2 row_mask:0xf bank_mask:0xf
	v_and_b32_e32 v17, 1, v35
	v_and_b32_e32 v15, 1, v15
	v_cmp_eq_u32_e64 s[0:1], 1, v17
	v_mov_b32_e32 v17, 0
	v_cmp_eq_u16_sdwa s[44:45], v35, v17 src0_sel:BYTE_0 src1_sel:DWORD
	v_cndmask_b32_e64 v15, v15, 1, s[0:1]
	v_cmp_lt_u32_e64 s[0:1], 1, v11
	v_mov_b32_dpp v13, v34 row_shr:2 row_mask:0xf bank_mask:0xf
	s_nop 0
	v_cndmask_b32_e64 v11, v35, v15, s[0:1]
	s_and_b64 s[0:1], s[0:1], s[44:45]
	v_cndmask_b32_e64 v13, 0, v13, s[0:1]
	v_add_u32_e32 v13, v13, v34
	ds_write_b32 v9, v13
	ds_write_b8 v9, v11 offset:4
.LBB1054_184:
	s_or_b64 exec, exec, s[42:43]
	v_cmp_lt_u32_e64 s[0:1], 63, v0
	s_waitcnt vmcnt(0)
	v_mov_b32_e32 v9, v70
	s_waitcnt lgkmcnt(0)
	s_barrier
	s_and_saveexec_b64 s[42:43], s[0:1]
	s_cbranch_execz .LBB1054_186
; %bb.185:
	v_lshl_add_u32 v1, v1, 3, -8
	ds_read_u8 v9, v1 offset:4
	ds_read_b32 v1, v1
	s_waitcnt lgkmcnt(1)
	v_cmp_eq_u16_e64 s[0:1], 0, v9
	s_nop 1
	v_cndmask_b32_e64 v9, 0, v70, s[0:1]
	s_waitcnt lgkmcnt(0)
	v_add_u32_e32 v9, v9, v1
.LBB1054_186:
	s_or_b64 exec, exec, s[42:43]
	v_mov_b32_e32 v34, 0
	v_cmp_eq_u16_sdwa s[0:1], v5, v34 src0_sel:BYTE_0 src1_sel:DWORD
	v_add_u32_e32 v5, -1, v3
	v_and_b32_e32 v35, 0xff, v45
	v_cndmask_b32_e64 v1, 0, v9, s[0:1]
	v_add_u32_e32 v1, v1, v7
	v_and_b32_e32 v7, 64, v3
	v_cmp_lt_i32_e64 s[0:1], v5, v7
	s_nop 1
	v_cndmask_b32_e64 v5, v5, v3, s[0:1]
	v_lshlrev_b32_e32 v5, 2, v5
	ds_bpermute_b32 v1, v5, v1
	v_cmp_eq_u32_e64 s[0:1], 0, v3
	s_waitcnt lgkmcnt(0)
	s_nop 0
	v_cndmask_b32_e64 v40, v1, v9, s[0:1]
	v_cndmask_b32_e64 v1, v40, v70, s[46:47]
	v_cmp_eq_u64_e64 s[0:1], 0, v[34:35]
	s_nop 1
	v_cndmask_b32_e64 v1, 0, v1, s[0:1]
	v_add_u32_e32 v35, v1, v44
	v_cndmask_b32_e32 v1, 0, v35, vcc
	v_add_u32_e32 v36, v1, v8
	v_cndmask_b32_e64 v1, 0, v36, s[4:5]
	v_add_u32_e32 v37, v1, v6
	v_cndmask_b32_e64 v1, 0, v37, s[6:7]
	v_add_u32_e32 v38, v1, v4
	v_cndmask_b32_e64 v1, 0, v38, s[8:9]
	v_add_u32_e32 v39, v1, v2
	v_cndmask_b32_e64 v1, 0, v39, s[10:11]
	v_add_u32_e32 v41, v1, v46
	v_cndmask_b32_e64 v1, 0, v41, s[12:13]
	v_add_u32_e32 v54, v1, v16
	v_cndmask_b32_e64 v1, 0, v54, s[14:15]
	v_add_u32_e32 v55, v1, v14
	v_cndmask_b32_e64 v1, 0, v55, s[16:17]
	v_add_u32_e32 v58, v1, v12
	v_cndmask_b32_e64 v1, 0, v58, s[18:19]
	v_add_u32_e32 v59, v1, v10
	v_cndmask_b32_e64 v1, 0, v59, s[20:21]
	v_add_u32_e32 v61, v1, v48
	v_cndmask_b32_e64 v1, 0, v61, s[22:23]
	v_add_u32_e32 v62, v1, v24
	v_cndmask_b32_e64 v1, 0, v62, s[24:25]
	v_add_u32_e32 v63, v1, v22
	v_cndmask_b32_e64 v1, 0, v63, s[26:27]
	v_add_u32_e32 v64, v1, v20
	v_cndmask_b32_e64 v1, 0, v64, s[28:29]
	v_add_u32_e32 v65, v1, v18
	v_cndmask_b32_e64 v1, 0, v65, s[30:31]
	v_add_u32_e32 v66, v1, v50
	v_cndmask_b32_e64 v1, 0, v66, s[34:35]
	v_add_u32_e32 v67, v1, v26
	v_cndmask_b32_e64 v1, 0, v67, s[36:37]
	v_add_u32_e32 v68, v1, v28
	v_cndmask_b32_e64 v1, 0, v68, s[38:39]
	v_add_u32_e32 v69, v1, v30
	v_cndmask_b32_e64 v1, 0, v69, s[40:41]
	s_and_saveexec_b64 s[0:1], s[46:47]
	s_cbranch_execz .LBB1054_188
; %bb.187:
	ds_read_u8 v3, v34 offset:28
	ds_read_b32 v2, v34 offset:24
	s_add_u32 s4, s56, 0x400
	s_addc_u32 s5, s57, 0
	v_mov_b32_e32 v5, v34
	s_waitcnt lgkmcnt(1)
	v_cmp_eq_u16_e32 vcc, 0, v3
	v_and_b32_e32 v3, 0xffff, v3
	v_mov_b64_e32 v[6:7], s[4:5]
	v_cndmask_b32_e32 v4, 0, v70, vcc
	s_waitcnt lgkmcnt(0)
	v_add_u32_e32 v2, v4, v2
	v_mov_b32_e32 v4, 2
	;;#ASMSTART
	global_store_dwordx4 v[6:7], v[2:5] off sc1	
s_waitcnt vmcnt(0)
	;;#ASMEND
	v_mov_b32_e32 v40, v70
.LBB1054_188:
	s_or_b64 exec, exec, s[0:1]
	v_add_u32_e32 v34, v1, v32
.LBB1054_189:
	s_add_u32 s0, s54, s50
	s_addc_u32 s1, s55, s51
	v_lshl_add_u64 v[2:3], s[0:1], 0, v[42:43]
	s_and_b64 vcc, exec, s[2:3]
	s_cbranch_vccz .LBB1054_231
; %bb.190:
	s_movk_i32 s0, 0x54
	v_mul_i32_i24_e32 v26, 0xffffffb0, v0
	v_mul_u32_u24_e32 v1, 0x54, v0
	v_mad_u32_u24 v4, v0, s0, v26
	s_barrier
	ds_write2_b32 v1, v40, v35 offset1:1
	ds_write2_b32 v1, v36, v37 offset0:2 offset1:3
	ds_write2_b32 v1, v38, v39 offset0:4 offset1:5
	;; [unrolled: 1-line block ×9, first 2 shown]
	ds_write_b32 v1, v34 offset:80
	s_waitcnt lgkmcnt(0)
	s_barrier
	ds_read2st64_b32 v[24:25], v4 offset0:4 offset1:8
	ds_read2st64_b32 v[22:23], v4 offset0:12 offset1:16
	;; [unrolled: 1-line block ×10, first 2 shown]
	s_add_i32 s33, s33, s58
	v_mov_b32_e32 v57, 0
	v_lshl_add_u64 v[6:7], v[2:3], 0, v[56:57]
	v_cmp_gt_u32_e32 vcc, s33, v0
	s_and_saveexec_b64 s[0:1], vcc
	s_cbranch_execz .LBB1054_192
; %bb.191:
	v_add_u32_e32 v1, v1, v26
	ds_read_b32 v1, v1
	s_waitcnt lgkmcnt(0)
	flat_store_short v[6:7], v1
.LBB1054_192:
	s_or_b64 exec, exec, s[0:1]
	v_or_b32_e32 v1, 0x100, v0
	v_cmp_gt_u32_e32 vcc, s33, v1
	s_and_saveexec_b64 s[0:1], vcc
	s_cbranch_execz .LBB1054_194
; %bb.193:
	s_waitcnt lgkmcnt(0)
	flat_store_short v[6:7], v24 offset:512
.LBB1054_194:
	s_or_b64 exec, exec, s[0:1]
	v_or_b32_e32 v1, 0x200, v0
	v_cmp_gt_u32_e32 vcc, s33, v1
	s_and_saveexec_b64 s[0:1], vcc
	s_cbranch_execz .LBB1054_196
; %bb.195:
	s_waitcnt lgkmcnt(0)
	flat_store_short v[6:7], v25 offset:1024
.LBB1054_196:
	;; [unrolled: 9-line block ×7, first 2 shown]
	s_or_b64 exec, exec, s[0:1]
	v_or_b32_e32 v1, 0x800, v0
	v_cmp_gt_u32_e32 vcc, s33, v1
	s_and_saveexec_b64 s[0:1], vcc
	s_cbranch_execz .LBB1054_208
; %bb.207:
	s_waitcnt lgkmcnt(0)
	v_add_co_u32_e32 v20, vcc, 0x1000, v6
	s_nop 1
	v_addc_co_u32_e32 v21, vcc, 0, v7, vcc
	flat_store_short v[20:21], v19
.LBB1054_208:
	s_or_b64 exec, exec, s[0:1]
	v_or_b32_e32 v1, 0x900, v0
	v_cmp_gt_u32_e32 vcc, s33, v1
	s_and_saveexec_b64 s[0:1], vcc
	s_cbranch_execz .LBB1054_210
; %bb.209:
	s_waitcnt lgkmcnt(0)
	v_add_co_u32_e32 v18, vcc, 0x1000, v6
	s_nop 1
	v_addc_co_u32_e32 v19, vcc, 0, v7, vcc
	flat_store_short v[18:19], v16 offset:512
.LBB1054_210:
	s_or_b64 exec, exec, s[0:1]
	v_or_b32_e32 v1, 0xa00, v0
	v_cmp_gt_u32_e32 vcc, s33, v1
	s_and_saveexec_b64 s[0:1], vcc
	s_cbranch_execz .LBB1054_212
; %bb.211:
	s_waitcnt lgkmcnt(0)
	v_add_co_u32_e32 v18, vcc, 0x1000, v6
	s_nop 1
	v_addc_co_u32_e32 v19, vcc, 0, v7, vcc
	flat_store_short v[18:19], v17 offset:1024
.LBB1054_212:
	;; [unrolled: 12-line block ×7, first 2 shown]
	s_or_b64 exec, exec, s[0:1]
	v_or_b32_e32 v1, 0x1000, v0
	v_cmp_gt_u32_e32 vcc, s33, v1
	s_and_saveexec_b64 s[0:1], vcc
	s_cbranch_execz .LBB1054_224
; %bb.223:
	s_waitcnt lgkmcnt(0)
	v_add_co_u32_e32 v12, vcc, 0x2000, v6
	s_nop 1
	v_addc_co_u32_e32 v13, vcc, 0, v7, vcc
	flat_store_short v[12:13], v11
.LBB1054_224:
	s_or_b64 exec, exec, s[0:1]
	v_or_b32_e32 v1, 0x1100, v0
	v_cmp_gt_u32_e32 vcc, s33, v1
	s_and_saveexec_b64 s[0:1], vcc
	s_cbranch_execz .LBB1054_226
; %bb.225:
	s_waitcnt lgkmcnt(0)
	v_add_co_u32_e32 v10, vcc, 0x2000, v6
	s_nop 1
	v_addc_co_u32_e32 v11, vcc, 0, v7, vcc
	flat_store_short v[10:11], v8 offset:512
.LBB1054_226:
	s_or_b64 exec, exec, s[0:1]
	v_or_b32_e32 v1, 0x1200, v0
	v_cmp_gt_u32_e32 vcc, s33, v1
	s_and_saveexec_b64 s[0:1], vcc
	s_cbranch_execz .LBB1054_228
; %bb.227:
	s_waitcnt lgkmcnt(0)
	v_add_co_u32_e32 v10, vcc, 0x2000, v6
	s_nop 1
	v_addc_co_u32_e32 v11, vcc, 0, v7, vcc
	flat_store_short v[10:11], v9 offset:1024
.LBB1054_228:
	s_or_b64 exec, exec, s[0:1]
	v_or_b32_e32 v1, 0x1300, v0
	v_cmp_gt_u32_e32 vcc, s33, v1
	s_and_saveexec_b64 s[0:1], vcc
	s_cbranch_execz .LBB1054_230
; %bb.229:
	v_add_co_u32_e32 v6, vcc, 0x2000, v6
	s_nop 1
	v_addc_co_u32_e32 v7, vcc, 0, v7, vcc
	s_waitcnt lgkmcnt(0)
	flat_store_short v[6:7], v4 offset:1536
.LBB1054_230:
	s_or_b64 exec, exec, s[0:1]
	s_waitcnt lgkmcnt(0)
	v_or_b32_e32 v4, 0x1400, v0
	v_mov_b32_e32 v1, v57
	v_cmp_gt_u32_e64 s[0:1], s33, v4
	s_branch .LBB1054_233
.LBB1054_231:
	s_mov_b64 s[0:1], 0
                                        ; implicit-def: $vgpr5
	s_cbranch_execz .LBB1054_233
; %bb.232:
	v_mul_u32_u24_e32 v1, 0x54, v0
	s_barrier
	s_movk_i32 s2, 0x54
	ds_write2_b32 v1, v40, v35 offset1:1
	ds_write2_b32 v1, v36, v37 offset0:2 offset1:3
	ds_write2_b32 v1, v38, v39 offset0:4 offset1:5
	;; [unrolled: 1-line block ×9, first 2 shown]
	ds_write_b32 v1, v34 offset:80
	v_mov_b32_e32 v1, 0
	v_mul_i32_i24_e32 v4, 0xffffffb0, v0
	v_mad_u32_u24 v4, v0, s2, v4
	v_mov_b32_e32 v57, v1
	s_waitcnt lgkmcnt(0)
	s_barrier
	ds_read2st64_b32 v[6:7], v4 offset1:4
	ds_read2st64_b32 v[8:9], v4 offset0:8 offset1:12
	ds_read2st64_b32 v[10:11], v4 offset0:16 offset1:20
	;; [unrolled: 1-line block ×9, first 2 shown]
	ds_read_b32 v5, v4 offset:20480
	v_lshl_add_u64 v[26:27], v[2:3], 0, v[56:57]
	s_movk_i32 s2, 0x1000
	s_waitcnt lgkmcnt(0)
	flat_store_short v[26:27], v6
	flat_store_short v[26:27], v7 offset:512
	flat_store_short v[26:27], v8 offset:1024
	;; [unrolled: 1-line block ×7, first 2 shown]
	v_add_co_u32_e32 v6, vcc, s2, v26
	s_or_b64 s[0:1], s[0:1], exec
	s_nop 0
	v_addc_co_u32_e32 v7, vcc, 0, v27, vcc
	flat_store_short v[6:7], v14
	flat_store_short v[6:7], v15 offset:512
	flat_store_short v[6:7], v16 offset:1024
	;; [unrolled: 1-line block ×7, first 2 shown]
	v_add_co_u32_e32 v6, vcc, 0x2000, v26
	s_nop 1
	v_addc_co_u32_e32 v7, vcc, 0, v27, vcc
	flat_store_short v[6:7], v22
	flat_store_short v[6:7], v23 offset:512
	flat_store_short v[6:7], v24 offset:1024
	;; [unrolled: 1-line block ×3, first 2 shown]
.LBB1054_233:
	s_and_saveexec_b64 s[2:3], s[0:1]
	s_cbranch_execz .LBB1054_235
; %bb.234:
	v_lshl_add_u64 v[0:1], v[0:1], 1, v[2:3]
	v_add_co_u32_e32 v0, vcc, 0x2000, v0
	s_nop 1
	v_addc_co_u32_e32 v1, vcc, 0, v1, vcc
	flat_store_short v[0:1], v5 offset:2048
	s_endpgm
.LBB1054_235:
	s_endpgm
	.section	.rodata,"a",@progbits
	.p2align	6, 0x0
	.amdhsa_kernel _ZN7rocprim17ROCPRIM_400000_NS6detail17trampoline_kernelINS0_14default_configENS1_27scan_by_key_config_selectorIsiEEZZNS1_16scan_by_key_implILNS1_25lookback_scan_determinismE0ELb1ES3_N6thrust23THRUST_200600_302600_NS6detail15normal_iteratorINS9_10device_ptrIsEEEESE_SE_iNS9_4plusIvEENS9_8equal_toIvEEiEE10hipError_tPvRmT2_T3_T4_T5_mT6_T7_P12ihipStream_tbENKUlT_T0_E_clISt17integral_constantIbLb1EESZ_EEDaSU_SV_EUlSU_E_NS1_11comp_targetILNS1_3genE5ELNS1_11target_archE942ELNS1_3gpuE9ELNS1_3repE0EEENS1_30default_config_static_selectorELNS0_4arch9wavefront6targetE1EEEvT1_
		.amdhsa_group_segment_fixed_size 21504
		.amdhsa_private_segment_fixed_size 0
		.amdhsa_kernarg_size 112
		.amdhsa_user_sgpr_count 2
		.amdhsa_user_sgpr_dispatch_ptr 0
		.amdhsa_user_sgpr_queue_ptr 0
		.amdhsa_user_sgpr_kernarg_segment_ptr 1
		.amdhsa_user_sgpr_dispatch_id 0
		.amdhsa_user_sgpr_kernarg_preload_length 0
		.amdhsa_user_sgpr_kernarg_preload_offset 0
		.amdhsa_user_sgpr_private_segment_size 0
		.amdhsa_uses_dynamic_stack 0
		.amdhsa_enable_private_segment 0
		.amdhsa_system_sgpr_workgroup_id_x 1
		.amdhsa_system_sgpr_workgroup_id_y 0
		.amdhsa_system_sgpr_workgroup_id_z 0
		.amdhsa_system_sgpr_workgroup_info 0
		.amdhsa_system_vgpr_workitem_id 0
		.amdhsa_next_free_vgpr 81
		.amdhsa_next_free_sgpr 76
		.amdhsa_accum_offset 84
		.amdhsa_reserve_vcc 1
		.amdhsa_float_round_mode_32 0
		.amdhsa_float_round_mode_16_64 0
		.amdhsa_float_denorm_mode_32 3
		.amdhsa_float_denorm_mode_16_64 3
		.amdhsa_dx10_clamp 1
		.amdhsa_ieee_mode 1
		.amdhsa_fp16_overflow 0
		.amdhsa_tg_split 0
		.amdhsa_exception_fp_ieee_invalid_op 0
		.amdhsa_exception_fp_denorm_src 0
		.amdhsa_exception_fp_ieee_div_zero 0
		.amdhsa_exception_fp_ieee_overflow 0
		.amdhsa_exception_fp_ieee_underflow 0
		.amdhsa_exception_fp_ieee_inexact 0
		.amdhsa_exception_int_div_zero 0
	.end_amdhsa_kernel
	.section	.text._ZN7rocprim17ROCPRIM_400000_NS6detail17trampoline_kernelINS0_14default_configENS1_27scan_by_key_config_selectorIsiEEZZNS1_16scan_by_key_implILNS1_25lookback_scan_determinismE0ELb1ES3_N6thrust23THRUST_200600_302600_NS6detail15normal_iteratorINS9_10device_ptrIsEEEESE_SE_iNS9_4plusIvEENS9_8equal_toIvEEiEE10hipError_tPvRmT2_T3_T4_T5_mT6_T7_P12ihipStream_tbENKUlT_T0_E_clISt17integral_constantIbLb1EESZ_EEDaSU_SV_EUlSU_E_NS1_11comp_targetILNS1_3genE5ELNS1_11target_archE942ELNS1_3gpuE9ELNS1_3repE0EEENS1_30default_config_static_selectorELNS0_4arch9wavefront6targetE1EEEvT1_,"axG",@progbits,_ZN7rocprim17ROCPRIM_400000_NS6detail17trampoline_kernelINS0_14default_configENS1_27scan_by_key_config_selectorIsiEEZZNS1_16scan_by_key_implILNS1_25lookback_scan_determinismE0ELb1ES3_N6thrust23THRUST_200600_302600_NS6detail15normal_iteratorINS9_10device_ptrIsEEEESE_SE_iNS9_4plusIvEENS9_8equal_toIvEEiEE10hipError_tPvRmT2_T3_T4_T5_mT6_T7_P12ihipStream_tbENKUlT_T0_E_clISt17integral_constantIbLb1EESZ_EEDaSU_SV_EUlSU_E_NS1_11comp_targetILNS1_3genE5ELNS1_11target_archE942ELNS1_3gpuE9ELNS1_3repE0EEENS1_30default_config_static_selectorELNS0_4arch9wavefront6targetE1EEEvT1_,comdat
.Lfunc_end1054:
	.size	_ZN7rocprim17ROCPRIM_400000_NS6detail17trampoline_kernelINS0_14default_configENS1_27scan_by_key_config_selectorIsiEEZZNS1_16scan_by_key_implILNS1_25lookback_scan_determinismE0ELb1ES3_N6thrust23THRUST_200600_302600_NS6detail15normal_iteratorINS9_10device_ptrIsEEEESE_SE_iNS9_4plusIvEENS9_8equal_toIvEEiEE10hipError_tPvRmT2_T3_T4_T5_mT6_T7_P12ihipStream_tbENKUlT_T0_E_clISt17integral_constantIbLb1EESZ_EEDaSU_SV_EUlSU_E_NS1_11comp_targetILNS1_3genE5ELNS1_11target_archE942ELNS1_3gpuE9ELNS1_3repE0EEENS1_30default_config_static_selectorELNS0_4arch9wavefront6targetE1EEEvT1_, .Lfunc_end1054-_ZN7rocprim17ROCPRIM_400000_NS6detail17trampoline_kernelINS0_14default_configENS1_27scan_by_key_config_selectorIsiEEZZNS1_16scan_by_key_implILNS1_25lookback_scan_determinismE0ELb1ES3_N6thrust23THRUST_200600_302600_NS6detail15normal_iteratorINS9_10device_ptrIsEEEESE_SE_iNS9_4plusIvEENS9_8equal_toIvEEiEE10hipError_tPvRmT2_T3_T4_T5_mT6_T7_P12ihipStream_tbENKUlT_T0_E_clISt17integral_constantIbLb1EESZ_EEDaSU_SV_EUlSU_E_NS1_11comp_targetILNS1_3genE5ELNS1_11target_archE942ELNS1_3gpuE9ELNS1_3repE0EEENS1_30default_config_static_selectorELNS0_4arch9wavefront6targetE1EEEvT1_
                                        ; -- End function
	.section	.AMDGPU.csdata,"",@progbits
; Kernel info:
; codeLenInByte = 14992
; NumSgprs: 82
; NumVgprs: 81
; NumAgprs: 0
; TotalNumVgprs: 81
; ScratchSize: 0
; MemoryBound: 0
; FloatMode: 240
; IeeeMode: 1
; LDSByteSize: 21504 bytes/workgroup (compile time only)
; SGPRBlocks: 10
; VGPRBlocks: 10
; NumSGPRsForWavesPerEU: 82
; NumVGPRsForWavesPerEU: 81
; AccumOffset: 84
; Occupancy: 3
; WaveLimiterHint : 1
; COMPUTE_PGM_RSRC2:SCRATCH_EN: 0
; COMPUTE_PGM_RSRC2:USER_SGPR: 2
; COMPUTE_PGM_RSRC2:TRAP_HANDLER: 0
; COMPUTE_PGM_RSRC2:TGID_X_EN: 1
; COMPUTE_PGM_RSRC2:TGID_Y_EN: 0
; COMPUTE_PGM_RSRC2:TGID_Z_EN: 0
; COMPUTE_PGM_RSRC2:TIDIG_COMP_CNT: 0
; COMPUTE_PGM_RSRC3_GFX90A:ACCUM_OFFSET: 20
; COMPUTE_PGM_RSRC3_GFX90A:TG_SPLIT: 0
	.section	.text._ZN7rocprim17ROCPRIM_400000_NS6detail17trampoline_kernelINS0_14default_configENS1_27scan_by_key_config_selectorIsiEEZZNS1_16scan_by_key_implILNS1_25lookback_scan_determinismE0ELb1ES3_N6thrust23THRUST_200600_302600_NS6detail15normal_iteratorINS9_10device_ptrIsEEEESE_SE_iNS9_4plusIvEENS9_8equal_toIvEEiEE10hipError_tPvRmT2_T3_T4_T5_mT6_T7_P12ihipStream_tbENKUlT_T0_E_clISt17integral_constantIbLb1EESZ_EEDaSU_SV_EUlSU_E_NS1_11comp_targetILNS1_3genE4ELNS1_11target_archE910ELNS1_3gpuE8ELNS1_3repE0EEENS1_30default_config_static_selectorELNS0_4arch9wavefront6targetE1EEEvT1_,"axG",@progbits,_ZN7rocprim17ROCPRIM_400000_NS6detail17trampoline_kernelINS0_14default_configENS1_27scan_by_key_config_selectorIsiEEZZNS1_16scan_by_key_implILNS1_25lookback_scan_determinismE0ELb1ES3_N6thrust23THRUST_200600_302600_NS6detail15normal_iteratorINS9_10device_ptrIsEEEESE_SE_iNS9_4plusIvEENS9_8equal_toIvEEiEE10hipError_tPvRmT2_T3_T4_T5_mT6_T7_P12ihipStream_tbENKUlT_T0_E_clISt17integral_constantIbLb1EESZ_EEDaSU_SV_EUlSU_E_NS1_11comp_targetILNS1_3genE4ELNS1_11target_archE910ELNS1_3gpuE8ELNS1_3repE0EEENS1_30default_config_static_selectorELNS0_4arch9wavefront6targetE1EEEvT1_,comdat
	.protected	_ZN7rocprim17ROCPRIM_400000_NS6detail17trampoline_kernelINS0_14default_configENS1_27scan_by_key_config_selectorIsiEEZZNS1_16scan_by_key_implILNS1_25lookback_scan_determinismE0ELb1ES3_N6thrust23THRUST_200600_302600_NS6detail15normal_iteratorINS9_10device_ptrIsEEEESE_SE_iNS9_4plusIvEENS9_8equal_toIvEEiEE10hipError_tPvRmT2_T3_T4_T5_mT6_T7_P12ihipStream_tbENKUlT_T0_E_clISt17integral_constantIbLb1EESZ_EEDaSU_SV_EUlSU_E_NS1_11comp_targetILNS1_3genE4ELNS1_11target_archE910ELNS1_3gpuE8ELNS1_3repE0EEENS1_30default_config_static_selectorELNS0_4arch9wavefront6targetE1EEEvT1_ ; -- Begin function _ZN7rocprim17ROCPRIM_400000_NS6detail17trampoline_kernelINS0_14default_configENS1_27scan_by_key_config_selectorIsiEEZZNS1_16scan_by_key_implILNS1_25lookback_scan_determinismE0ELb1ES3_N6thrust23THRUST_200600_302600_NS6detail15normal_iteratorINS9_10device_ptrIsEEEESE_SE_iNS9_4plusIvEENS9_8equal_toIvEEiEE10hipError_tPvRmT2_T3_T4_T5_mT6_T7_P12ihipStream_tbENKUlT_T0_E_clISt17integral_constantIbLb1EESZ_EEDaSU_SV_EUlSU_E_NS1_11comp_targetILNS1_3genE4ELNS1_11target_archE910ELNS1_3gpuE8ELNS1_3repE0EEENS1_30default_config_static_selectorELNS0_4arch9wavefront6targetE1EEEvT1_
	.globl	_ZN7rocprim17ROCPRIM_400000_NS6detail17trampoline_kernelINS0_14default_configENS1_27scan_by_key_config_selectorIsiEEZZNS1_16scan_by_key_implILNS1_25lookback_scan_determinismE0ELb1ES3_N6thrust23THRUST_200600_302600_NS6detail15normal_iteratorINS9_10device_ptrIsEEEESE_SE_iNS9_4plusIvEENS9_8equal_toIvEEiEE10hipError_tPvRmT2_T3_T4_T5_mT6_T7_P12ihipStream_tbENKUlT_T0_E_clISt17integral_constantIbLb1EESZ_EEDaSU_SV_EUlSU_E_NS1_11comp_targetILNS1_3genE4ELNS1_11target_archE910ELNS1_3gpuE8ELNS1_3repE0EEENS1_30default_config_static_selectorELNS0_4arch9wavefront6targetE1EEEvT1_
	.p2align	8
	.type	_ZN7rocprim17ROCPRIM_400000_NS6detail17trampoline_kernelINS0_14default_configENS1_27scan_by_key_config_selectorIsiEEZZNS1_16scan_by_key_implILNS1_25lookback_scan_determinismE0ELb1ES3_N6thrust23THRUST_200600_302600_NS6detail15normal_iteratorINS9_10device_ptrIsEEEESE_SE_iNS9_4plusIvEENS9_8equal_toIvEEiEE10hipError_tPvRmT2_T3_T4_T5_mT6_T7_P12ihipStream_tbENKUlT_T0_E_clISt17integral_constantIbLb1EESZ_EEDaSU_SV_EUlSU_E_NS1_11comp_targetILNS1_3genE4ELNS1_11target_archE910ELNS1_3gpuE8ELNS1_3repE0EEENS1_30default_config_static_selectorELNS0_4arch9wavefront6targetE1EEEvT1_,@function
_ZN7rocprim17ROCPRIM_400000_NS6detail17trampoline_kernelINS0_14default_configENS1_27scan_by_key_config_selectorIsiEEZZNS1_16scan_by_key_implILNS1_25lookback_scan_determinismE0ELb1ES3_N6thrust23THRUST_200600_302600_NS6detail15normal_iteratorINS9_10device_ptrIsEEEESE_SE_iNS9_4plusIvEENS9_8equal_toIvEEiEE10hipError_tPvRmT2_T3_T4_T5_mT6_T7_P12ihipStream_tbENKUlT_T0_E_clISt17integral_constantIbLb1EESZ_EEDaSU_SV_EUlSU_E_NS1_11comp_targetILNS1_3genE4ELNS1_11target_archE910ELNS1_3gpuE8ELNS1_3repE0EEENS1_30default_config_static_selectorELNS0_4arch9wavefront6targetE1EEEvT1_: ; @_ZN7rocprim17ROCPRIM_400000_NS6detail17trampoline_kernelINS0_14default_configENS1_27scan_by_key_config_selectorIsiEEZZNS1_16scan_by_key_implILNS1_25lookback_scan_determinismE0ELb1ES3_N6thrust23THRUST_200600_302600_NS6detail15normal_iteratorINS9_10device_ptrIsEEEESE_SE_iNS9_4plusIvEENS9_8equal_toIvEEiEE10hipError_tPvRmT2_T3_T4_T5_mT6_T7_P12ihipStream_tbENKUlT_T0_E_clISt17integral_constantIbLb1EESZ_EEDaSU_SV_EUlSU_E_NS1_11comp_targetILNS1_3genE4ELNS1_11target_archE910ELNS1_3gpuE8ELNS1_3repE0EEENS1_30default_config_static_selectorELNS0_4arch9wavefront6targetE1EEEvT1_
; %bb.0:
	.section	.rodata,"a",@progbits
	.p2align	6, 0x0
	.amdhsa_kernel _ZN7rocprim17ROCPRIM_400000_NS6detail17trampoline_kernelINS0_14default_configENS1_27scan_by_key_config_selectorIsiEEZZNS1_16scan_by_key_implILNS1_25lookback_scan_determinismE0ELb1ES3_N6thrust23THRUST_200600_302600_NS6detail15normal_iteratorINS9_10device_ptrIsEEEESE_SE_iNS9_4plusIvEENS9_8equal_toIvEEiEE10hipError_tPvRmT2_T3_T4_T5_mT6_T7_P12ihipStream_tbENKUlT_T0_E_clISt17integral_constantIbLb1EESZ_EEDaSU_SV_EUlSU_E_NS1_11comp_targetILNS1_3genE4ELNS1_11target_archE910ELNS1_3gpuE8ELNS1_3repE0EEENS1_30default_config_static_selectorELNS0_4arch9wavefront6targetE1EEEvT1_
		.amdhsa_group_segment_fixed_size 0
		.amdhsa_private_segment_fixed_size 0
		.amdhsa_kernarg_size 112
		.amdhsa_user_sgpr_count 2
		.amdhsa_user_sgpr_dispatch_ptr 0
		.amdhsa_user_sgpr_queue_ptr 0
		.amdhsa_user_sgpr_kernarg_segment_ptr 1
		.amdhsa_user_sgpr_dispatch_id 0
		.amdhsa_user_sgpr_kernarg_preload_length 0
		.amdhsa_user_sgpr_kernarg_preload_offset 0
		.amdhsa_user_sgpr_private_segment_size 0
		.amdhsa_uses_dynamic_stack 0
		.amdhsa_enable_private_segment 0
		.amdhsa_system_sgpr_workgroup_id_x 1
		.amdhsa_system_sgpr_workgroup_id_y 0
		.amdhsa_system_sgpr_workgroup_id_z 0
		.amdhsa_system_sgpr_workgroup_info 0
		.amdhsa_system_vgpr_workitem_id 0
		.amdhsa_next_free_vgpr 1
		.amdhsa_next_free_sgpr 0
		.amdhsa_accum_offset 4
		.amdhsa_reserve_vcc 0
		.amdhsa_float_round_mode_32 0
		.amdhsa_float_round_mode_16_64 0
		.amdhsa_float_denorm_mode_32 3
		.amdhsa_float_denorm_mode_16_64 3
		.amdhsa_dx10_clamp 1
		.amdhsa_ieee_mode 1
		.amdhsa_fp16_overflow 0
		.amdhsa_tg_split 0
		.amdhsa_exception_fp_ieee_invalid_op 0
		.amdhsa_exception_fp_denorm_src 0
		.amdhsa_exception_fp_ieee_div_zero 0
		.amdhsa_exception_fp_ieee_overflow 0
		.amdhsa_exception_fp_ieee_underflow 0
		.amdhsa_exception_fp_ieee_inexact 0
		.amdhsa_exception_int_div_zero 0
	.end_amdhsa_kernel
	.section	.text._ZN7rocprim17ROCPRIM_400000_NS6detail17trampoline_kernelINS0_14default_configENS1_27scan_by_key_config_selectorIsiEEZZNS1_16scan_by_key_implILNS1_25lookback_scan_determinismE0ELb1ES3_N6thrust23THRUST_200600_302600_NS6detail15normal_iteratorINS9_10device_ptrIsEEEESE_SE_iNS9_4plusIvEENS9_8equal_toIvEEiEE10hipError_tPvRmT2_T3_T4_T5_mT6_T7_P12ihipStream_tbENKUlT_T0_E_clISt17integral_constantIbLb1EESZ_EEDaSU_SV_EUlSU_E_NS1_11comp_targetILNS1_3genE4ELNS1_11target_archE910ELNS1_3gpuE8ELNS1_3repE0EEENS1_30default_config_static_selectorELNS0_4arch9wavefront6targetE1EEEvT1_,"axG",@progbits,_ZN7rocprim17ROCPRIM_400000_NS6detail17trampoline_kernelINS0_14default_configENS1_27scan_by_key_config_selectorIsiEEZZNS1_16scan_by_key_implILNS1_25lookback_scan_determinismE0ELb1ES3_N6thrust23THRUST_200600_302600_NS6detail15normal_iteratorINS9_10device_ptrIsEEEESE_SE_iNS9_4plusIvEENS9_8equal_toIvEEiEE10hipError_tPvRmT2_T3_T4_T5_mT6_T7_P12ihipStream_tbENKUlT_T0_E_clISt17integral_constantIbLb1EESZ_EEDaSU_SV_EUlSU_E_NS1_11comp_targetILNS1_3genE4ELNS1_11target_archE910ELNS1_3gpuE8ELNS1_3repE0EEENS1_30default_config_static_selectorELNS0_4arch9wavefront6targetE1EEEvT1_,comdat
.Lfunc_end1055:
	.size	_ZN7rocprim17ROCPRIM_400000_NS6detail17trampoline_kernelINS0_14default_configENS1_27scan_by_key_config_selectorIsiEEZZNS1_16scan_by_key_implILNS1_25lookback_scan_determinismE0ELb1ES3_N6thrust23THRUST_200600_302600_NS6detail15normal_iteratorINS9_10device_ptrIsEEEESE_SE_iNS9_4plusIvEENS9_8equal_toIvEEiEE10hipError_tPvRmT2_T3_T4_T5_mT6_T7_P12ihipStream_tbENKUlT_T0_E_clISt17integral_constantIbLb1EESZ_EEDaSU_SV_EUlSU_E_NS1_11comp_targetILNS1_3genE4ELNS1_11target_archE910ELNS1_3gpuE8ELNS1_3repE0EEENS1_30default_config_static_selectorELNS0_4arch9wavefront6targetE1EEEvT1_, .Lfunc_end1055-_ZN7rocprim17ROCPRIM_400000_NS6detail17trampoline_kernelINS0_14default_configENS1_27scan_by_key_config_selectorIsiEEZZNS1_16scan_by_key_implILNS1_25lookback_scan_determinismE0ELb1ES3_N6thrust23THRUST_200600_302600_NS6detail15normal_iteratorINS9_10device_ptrIsEEEESE_SE_iNS9_4plusIvEENS9_8equal_toIvEEiEE10hipError_tPvRmT2_T3_T4_T5_mT6_T7_P12ihipStream_tbENKUlT_T0_E_clISt17integral_constantIbLb1EESZ_EEDaSU_SV_EUlSU_E_NS1_11comp_targetILNS1_3genE4ELNS1_11target_archE910ELNS1_3gpuE8ELNS1_3repE0EEENS1_30default_config_static_selectorELNS0_4arch9wavefront6targetE1EEEvT1_
                                        ; -- End function
	.section	.AMDGPU.csdata,"",@progbits
; Kernel info:
; codeLenInByte = 0
; NumSgprs: 6
; NumVgprs: 0
; NumAgprs: 0
; TotalNumVgprs: 0
; ScratchSize: 0
; MemoryBound: 0
; FloatMode: 240
; IeeeMode: 1
; LDSByteSize: 0 bytes/workgroup (compile time only)
; SGPRBlocks: 0
; VGPRBlocks: 0
; NumSGPRsForWavesPerEU: 6
; NumVGPRsForWavesPerEU: 1
; AccumOffset: 4
; Occupancy: 8
; WaveLimiterHint : 0
; COMPUTE_PGM_RSRC2:SCRATCH_EN: 0
; COMPUTE_PGM_RSRC2:USER_SGPR: 2
; COMPUTE_PGM_RSRC2:TRAP_HANDLER: 0
; COMPUTE_PGM_RSRC2:TGID_X_EN: 1
; COMPUTE_PGM_RSRC2:TGID_Y_EN: 0
; COMPUTE_PGM_RSRC2:TGID_Z_EN: 0
; COMPUTE_PGM_RSRC2:TIDIG_COMP_CNT: 0
; COMPUTE_PGM_RSRC3_GFX90A:ACCUM_OFFSET: 0
; COMPUTE_PGM_RSRC3_GFX90A:TG_SPLIT: 0
	.section	.text._ZN7rocprim17ROCPRIM_400000_NS6detail17trampoline_kernelINS0_14default_configENS1_27scan_by_key_config_selectorIsiEEZZNS1_16scan_by_key_implILNS1_25lookback_scan_determinismE0ELb1ES3_N6thrust23THRUST_200600_302600_NS6detail15normal_iteratorINS9_10device_ptrIsEEEESE_SE_iNS9_4plusIvEENS9_8equal_toIvEEiEE10hipError_tPvRmT2_T3_T4_T5_mT6_T7_P12ihipStream_tbENKUlT_T0_E_clISt17integral_constantIbLb1EESZ_EEDaSU_SV_EUlSU_E_NS1_11comp_targetILNS1_3genE3ELNS1_11target_archE908ELNS1_3gpuE7ELNS1_3repE0EEENS1_30default_config_static_selectorELNS0_4arch9wavefront6targetE1EEEvT1_,"axG",@progbits,_ZN7rocprim17ROCPRIM_400000_NS6detail17trampoline_kernelINS0_14default_configENS1_27scan_by_key_config_selectorIsiEEZZNS1_16scan_by_key_implILNS1_25lookback_scan_determinismE0ELb1ES3_N6thrust23THRUST_200600_302600_NS6detail15normal_iteratorINS9_10device_ptrIsEEEESE_SE_iNS9_4plusIvEENS9_8equal_toIvEEiEE10hipError_tPvRmT2_T3_T4_T5_mT6_T7_P12ihipStream_tbENKUlT_T0_E_clISt17integral_constantIbLb1EESZ_EEDaSU_SV_EUlSU_E_NS1_11comp_targetILNS1_3genE3ELNS1_11target_archE908ELNS1_3gpuE7ELNS1_3repE0EEENS1_30default_config_static_selectorELNS0_4arch9wavefront6targetE1EEEvT1_,comdat
	.protected	_ZN7rocprim17ROCPRIM_400000_NS6detail17trampoline_kernelINS0_14default_configENS1_27scan_by_key_config_selectorIsiEEZZNS1_16scan_by_key_implILNS1_25lookback_scan_determinismE0ELb1ES3_N6thrust23THRUST_200600_302600_NS6detail15normal_iteratorINS9_10device_ptrIsEEEESE_SE_iNS9_4plusIvEENS9_8equal_toIvEEiEE10hipError_tPvRmT2_T3_T4_T5_mT6_T7_P12ihipStream_tbENKUlT_T0_E_clISt17integral_constantIbLb1EESZ_EEDaSU_SV_EUlSU_E_NS1_11comp_targetILNS1_3genE3ELNS1_11target_archE908ELNS1_3gpuE7ELNS1_3repE0EEENS1_30default_config_static_selectorELNS0_4arch9wavefront6targetE1EEEvT1_ ; -- Begin function _ZN7rocprim17ROCPRIM_400000_NS6detail17trampoline_kernelINS0_14default_configENS1_27scan_by_key_config_selectorIsiEEZZNS1_16scan_by_key_implILNS1_25lookback_scan_determinismE0ELb1ES3_N6thrust23THRUST_200600_302600_NS6detail15normal_iteratorINS9_10device_ptrIsEEEESE_SE_iNS9_4plusIvEENS9_8equal_toIvEEiEE10hipError_tPvRmT2_T3_T4_T5_mT6_T7_P12ihipStream_tbENKUlT_T0_E_clISt17integral_constantIbLb1EESZ_EEDaSU_SV_EUlSU_E_NS1_11comp_targetILNS1_3genE3ELNS1_11target_archE908ELNS1_3gpuE7ELNS1_3repE0EEENS1_30default_config_static_selectorELNS0_4arch9wavefront6targetE1EEEvT1_
	.globl	_ZN7rocprim17ROCPRIM_400000_NS6detail17trampoline_kernelINS0_14default_configENS1_27scan_by_key_config_selectorIsiEEZZNS1_16scan_by_key_implILNS1_25lookback_scan_determinismE0ELb1ES3_N6thrust23THRUST_200600_302600_NS6detail15normal_iteratorINS9_10device_ptrIsEEEESE_SE_iNS9_4plusIvEENS9_8equal_toIvEEiEE10hipError_tPvRmT2_T3_T4_T5_mT6_T7_P12ihipStream_tbENKUlT_T0_E_clISt17integral_constantIbLb1EESZ_EEDaSU_SV_EUlSU_E_NS1_11comp_targetILNS1_3genE3ELNS1_11target_archE908ELNS1_3gpuE7ELNS1_3repE0EEENS1_30default_config_static_selectorELNS0_4arch9wavefront6targetE1EEEvT1_
	.p2align	8
	.type	_ZN7rocprim17ROCPRIM_400000_NS6detail17trampoline_kernelINS0_14default_configENS1_27scan_by_key_config_selectorIsiEEZZNS1_16scan_by_key_implILNS1_25lookback_scan_determinismE0ELb1ES3_N6thrust23THRUST_200600_302600_NS6detail15normal_iteratorINS9_10device_ptrIsEEEESE_SE_iNS9_4plusIvEENS9_8equal_toIvEEiEE10hipError_tPvRmT2_T3_T4_T5_mT6_T7_P12ihipStream_tbENKUlT_T0_E_clISt17integral_constantIbLb1EESZ_EEDaSU_SV_EUlSU_E_NS1_11comp_targetILNS1_3genE3ELNS1_11target_archE908ELNS1_3gpuE7ELNS1_3repE0EEENS1_30default_config_static_selectorELNS0_4arch9wavefront6targetE1EEEvT1_,@function
_ZN7rocprim17ROCPRIM_400000_NS6detail17trampoline_kernelINS0_14default_configENS1_27scan_by_key_config_selectorIsiEEZZNS1_16scan_by_key_implILNS1_25lookback_scan_determinismE0ELb1ES3_N6thrust23THRUST_200600_302600_NS6detail15normal_iteratorINS9_10device_ptrIsEEEESE_SE_iNS9_4plusIvEENS9_8equal_toIvEEiEE10hipError_tPvRmT2_T3_T4_T5_mT6_T7_P12ihipStream_tbENKUlT_T0_E_clISt17integral_constantIbLb1EESZ_EEDaSU_SV_EUlSU_E_NS1_11comp_targetILNS1_3genE3ELNS1_11target_archE908ELNS1_3gpuE7ELNS1_3repE0EEENS1_30default_config_static_selectorELNS0_4arch9wavefront6targetE1EEEvT1_: ; @_ZN7rocprim17ROCPRIM_400000_NS6detail17trampoline_kernelINS0_14default_configENS1_27scan_by_key_config_selectorIsiEEZZNS1_16scan_by_key_implILNS1_25lookback_scan_determinismE0ELb1ES3_N6thrust23THRUST_200600_302600_NS6detail15normal_iteratorINS9_10device_ptrIsEEEESE_SE_iNS9_4plusIvEENS9_8equal_toIvEEiEE10hipError_tPvRmT2_T3_T4_T5_mT6_T7_P12ihipStream_tbENKUlT_T0_E_clISt17integral_constantIbLb1EESZ_EEDaSU_SV_EUlSU_E_NS1_11comp_targetILNS1_3genE3ELNS1_11target_archE908ELNS1_3gpuE7ELNS1_3repE0EEENS1_30default_config_static_selectorELNS0_4arch9wavefront6targetE1EEEvT1_
; %bb.0:
	.section	.rodata,"a",@progbits
	.p2align	6, 0x0
	.amdhsa_kernel _ZN7rocprim17ROCPRIM_400000_NS6detail17trampoline_kernelINS0_14default_configENS1_27scan_by_key_config_selectorIsiEEZZNS1_16scan_by_key_implILNS1_25lookback_scan_determinismE0ELb1ES3_N6thrust23THRUST_200600_302600_NS6detail15normal_iteratorINS9_10device_ptrIsEEEESE_SE_iNS9_4plusIvEENS9_8equal_toIvEEiEE10hipError_tPvRmT2_T3_T4_T5_mT6_T7_P12ihipStream_tbENKUlT_T0_E_clISt17integral_constantIbLb1EESZ_EEDaSU_SV_EUlSU_E_NS1_11comp_targetILNS1_3genE3ELNS1_11target_archE908ELNS1_3gpuE7ELNS1_3repE0EEENS1_30default_config_static_selectorELNS0_4arch9wavefront6targetE1EEEvT1_
		.amdhsa_group_segment_fixed_size 0
		.amdhsa_private_segment_fixed_size 0
		.amdhsa_kernarg_size 112
		.amdhsa_user_sgpr_count 2
		.amdhsa_user_sgpr_dispatch_ptr 0
		.amdhsa_user_sgpr_queue_ptr 0
		.amdhsa_user_sgpr_kernarg_segment_ptr 1
		.amdhsa_user_sgpr_dispatch_id 0
		.amdhsa_user_sgpr_kernarg_preload_length 0
		.amdhsa_user_sgpr_kernarg_preload_offset 0
		.amdhsa_user_sgpr_private_segment_size 0
		.amdhsa_uses_dynamic_stack 0
		.amdhsa_enable_private_segment 0
		.amdhsa_system_sgpr_workgroup_id_x 1
		.amdhsa_system_sgpr_workgroup_id_y 0
		.amdhsa_system_sgpr_workgroup_id_z 0
		.amdhsa_system_sgpr_workgroup_info 0
		.amdhsa_system_vgpr_workitem_id 0
		.amdhsa_next_free_vgpr 1
		.amdhsa_next_free_sgpr 0
		.amdhsa_accum_offset 4
		.amdhsa_reserve_vcc 0
		.amdhsa_float_round_mode_32 0
		.amdhsa_float_round_mode_16_64 0
		.amdhsa_float_denorm_mode_32 3
		.amdhsa_float_denorm_mode_16_64 3
		.amdhsa_dx10_clamp 1
		.amdhsa_ieee_mode 1
		.amdhsa_fp16_overflow 0
		.amdhsa_tg_split 0
		.amdhsa_exception_fp_ieee_invalid_op 0
		.amdhsa_exception_fp_denorm_src 0
		.amdhsa_exception_fp_ieee_div_zero 0
		.amdhsa_exception_fp_ieee_overflow 0
		.amdhsa_exception_fp_ieee_underflow 0
		.amdhsa_exception_fp_ieee_inexact 0
		.amdhsa_exception_int_div_zero 0
	.end_amdhsa_kernel
	.section	.text._ZN7rocprim17ROCPRIM_400000_NS6detail17trampoline_kernelINS0_14default_configENS1_27scan_by_key_config_selectorIsiEEZZNS1_16scan_by_key_implILNS1_25lookback_scan_determinismE0ELb1ES3_N6thrust23THRUST_200600_302600_NS6detail15normal_iteratorINS9_10device_ptrIsEEEESE_SE_iNS9_4plusIvEENS9_8equal_toIvEEiEE10hipError_tPvRmT2_T3_T4_T5_mT6_T7_P12ihipStream_tbENKUlT_T0_E_clISt17integral_constantIbLb1EESZ_EEDaSU_SV_EUlSU_E_NS1_11comp_targetILNS1_3genE3ELNS1_11target_archE908ELNS1_3gpuE7ELNS1_3repE0EEENS1_30default_config_static_selectorELNS0_4arch9wavefront6targetE1EEEvT1_,"axG",@progbits,_ZN7rocprim17ROCPRIM_400000_NS6detail17trampoline_kernelINS0_14default_configENS1_27scan_by_key_config_selectorIsiEEZZNS1_16scan_by_key_implILNS1_25lookback_scan_determinismE0ELb1ES3_N6thrust23THRUST_200600_302600_NS6detail15normal_iteratorINS9_10device_ptrIsEEEESE_SE_iNS9_4plusIvEENS9_8equal_toIvEEiEE10hipError_tPvRmT2_T3_T4_T5_mT6_T7_P12ihipStream_tbENKUlT_T0_E_clISt17integral_constantIbLb1EESZ_EEDaSU_SV_EUlSU_E_NS1_11comp_targetILNS1_3genE3ELNS1_11target_archE908ELNS1_3gpuE7ELNS1_3repE0EEENS1_30default_config_static_selectorELNS0_4arch9wavefront6targetE1EEEvT1_,comdat
.Lfunc_end1056:
	.size	_ZN7rocprim17ROCPRIM_400000_NS6detail17trampoline_kernelINS0_14default_configENS1_27scan_by_key_config_selectorIsiEEZZNS1_16scan_by_key_implILNS1_25lookback_scan_determinismE0ELb1ES3_N6thrust23THRUST_200600_302600_NS6detail15normal_iteratorINS9_10device_ptrIsEEEESE_SE_iNS9_4plusIvEENS9_8equal_toIvEEiEE10hipError_tPvRmT2_T3_T4_T5_mT6_T7_P12ihipStream_tbENKUlT_T0_E_clISt17integral_constantIbLb1EESZ_EEDaSU_SV_EUlSU_E_NS1_11comp_targetILNS1_3genE3ELNS1_11target_archE908ELNS1_3gpuE7ELNS1_3repE0EEENS1_30default_config_static_selectorELNS0_4arch9wavefront6targetE1EEEvT1_, .Lfunc_end1056-_ZN7rocprim17ROCPRIM_400000_NS6detail17trampoline_kernelINS0_14default_configENS1_27scan_by_key_config_selectorIsiEEZZNS1_16scan_by_key_implILNS1_25lookback_scan_determinismE0ELb1ES3_N6thrust23THRUST_200600_302600_NS6detail15normal_iteratorINS9_10device_ptrIsEEEESE_SE_iNS9_4plusIvEENS9_8equal_toIvEEiEE10hipError_tPvRmT2_T3_T4_T5_mT6_T7_P12ihipStream_tbENKUlT_T0_E_clISt17integral_constantIbLb1EESZ_EEDaSU_SV_EUlSU_E_NS1_11comp_targetILNS1_3genE3ELNS1_11target_archE908ELNS1_3gpuE7ELNS1_3repE0EEENS1_30default_config_static_selectorELNS0_4arch9wavefront6targetE1EEEvT1_
                                        ; -- End function
	.section	.AMDGPU.csdata,"",@progbits
; Kernel info:
; codeLenInByte = 0
; NumSgprs: 6
; NumVgprs: 0
; NumAgprs: 0
; TotalNumVgprs: 0
; ScratchSize: 0
; MemoryBound: 0
; FloatMode: 240
; IeeeMode: 1
; LDSByteSize: 0 bytes/workgroup (compile time only)
; SGPRBlocks: 0
; VGPRBlocks: 0
; NumSGPRsForWavesPerEU: 6
; NumVGPRsForWavesPerEU: 1
; AccumOffset: 4
; Occupancy: 8
; WaveLimiterHint : 0
; COMPUTE_PGM_RSRC2:SCRATCH_EN: 0
; COMPUTE_PGM_RSRC2:USER_SGPR: 2
; COMPUTE_PGM_RSRC2:TRAP_HANDLER: 0
; COMPUTE_PGM_RSRC2:TGID_X_EN: 1
; COMPUTE_PGM_RSRC2:TGID_Y_EN: 0
; COMPUTE_PGM_RSRC2:TGID_Z_EN: 0
; COMPUTE_PGM_RSRC2:TIDIG_COMP_CNT: 0
; COMPUTE_PGM_RSRC3_GFX90A:ACCUM_OFFSET: 0
; COMPUTE_PGM_RSRC3_GFX90A:TG_SPLIT: 0
	.section	.text._ZN7rocprim17ROCPRIM_400000_NS6detail17trampoline_kernelINS0_14default_configENS1_27scan_by_key_config_selectorIsiEEZZNS1_16scan_by_key_implILNS1_25lookback_scan_determinismE0ELb1ES3_N6thrust23THRUST_200600_302600_NS6detail15normal_iteratorINS9_10device_ptrIsEEEESE_SE_iNS9_4plusIvEENS9_8equal_toIvEEiEE10hipError_tPvRmT2_T3_T4_T5_mT6_T7_P12ihipStream_tbENKUlT_T0_E_clISt17integral_constantIbLb1EESZ_EEDaSU_SV_EUlSU_E_NS1_11comp_targetILNS1_3genE2ELNS1_11target_archE906ELNS1_3gpuE6ELNS1_3repE0EEENS1_30default_config_static_selectorELNS0_4arch9wavefront6targetE1EEEvT1_,"axG",@progbits,_ZN7rocprim17ROCPRIM_400000_NS6detail17trampoline_kernelINS0_14default_configENS1_27scan_by_key_config_selectorIsiEEZZNS1_16scan_by_key_implILNS1_25lookback_scan_determinismE0ELb1ES3_N6thrust23THRUST_200600_302600_NS6detail15normal_iteratorINS9_10device_ptrIsEEEESE_SE_iNS9_4plusIvEENS9_8equal_toIvEEiEE10hipError_tPvRmT2_T3_T4_T5_mT6_T7_P12ihipStream_tbENKUlT_T0_E_clISt17integral_constantIbLb1EESZ_EEDaSU_SV_EUlSU_E_NS1_11comp_targetILNS1_3genE2ELNS1_11target_archE906ELNS1_3gpuE6ELNS1_3repE0EEENS1_30default_config_static_selectorELNS0_4arch9wavefront6targetE1EEEvT1_,comdat
	.protected	_ZN7rocprim17ROCPRIM_400000_NS6detail17trampoline_kernelINS0_14default_configENS1_27scan_by_key_config_selectorIsiEEZZNS1_16scan_by_key_implILNS1_25lookback_scan_determinismE0ELb1ES3_N6thrust23THRUST_200600_302600_NS6detail15normal_iteratorINS9_10device_ptrIsEEEESE_SE_iNS9_4plusIvEENS9_8equal_toIvEEiEE10hipError_tPvRmT2_T3_T4_T5_mT6_T7_P12ihipStream_tbENKUlT_T0_E_clISt17integral_constantIbLb1EESZ_EEDaSU_SV_EUlSU_E_NS1_11comp_targetILNS1_3genE2ELNS1_11target_archE906ELNS1_3gpuE6ELNS1_3repE0EEENS1_30default_config_static_selectorELNS0_4arch9wavefront6targetE1EEEvT1_ ; -- Begin function _ZN7rocprim17ROCPRIM_400000_NS6detail17trampoline_kernelINS0_14default_configENS1_27scan_by_key_config_selectorIsiEEZZNS1_16scan_by_key_implILNS1_25lookback_scan_determinismE0ELb1ES3_N6thrust23THRUST_200600_302600_NS6detail15normal_iteratorINS9_10device_ptrIsEEEESE_SE_iNS9_4plusIvEENS9_8equal_toIvEEiEE10hipError_tPvRmT2_T3_T4_T5_mT6_T7_P12ihipStream_tbENKUlT_T0_E_clISt17integral_constantIbLb1EESZ_EEDaSU_SV_EUlSU_E_NS1_11comp_targetILNS1_3genE2ELNS1_11target_archE906ELNS1_3gpuE6ELNS1_3repE0EEENS1_30default_config_static_selectorELNS0_4arch9wavefront6targetE1EEEvT1_
	.globl	_ZN7rocprim17ROCPRIM_400000_NS6detail17trampoline_kernelINS0_14default_configENS1_27scan_by_key_config_selectorIsiEEZZNS1_16scan_by_key_implILNS1_25lookback_scan_determinismE0ELb1ES3_N6thrust23THRUST_200600_302600_NS6detail15normal_iteratorINS9_10device_ptrIsEEEESE_SE_iNS9_4plusIvEENS9_8equal_toIvEEiEE10hipError_tPvRmT2_T3_T4_T5_mT6_T7_P12ihipStream_tbENKUlT_T0_E_clISt17integral_constantIbLb1EESZ_EEDaSU_SV_EUlSU_E_NS1_11comp_targetILNS1_3genE2ELNS1_11target_archE906ELNS1_3gpuE6ELNS1_3repE0EEENS1_30default_config_static_selectorELNS0_4arch9wavefront6targetE1EEEvT1_
	.p2align	8
	.type	_ZN7rocprim17ROCPRIM_400000_NS6detail17trampoline_kernelINS0_14default_configENS1_27scan_by_key_config_selectorIsiEEZZNS1_16scan_by_key_implILNS1_25lookback_scan_determinismE0ELb1ES3_N6thrust23THRUST_200600_302600_NS6detail15normal_iteratorINS9_10device_ptrIsEEEESE_SE_iNS9_4plusIvEENS9_8equal_toIvEEiEE10hipError_tPvRmT2_T3_T4_T5_mT6_T7_P12ihipStream_tbENKUlT_T0_E_clISt17integral_constantIbLb1EESZ_EEDaSU_SV_EUlSU_E_NS1_11comp_targetILNS1_3genE2ELNS1_11target_archE906ELNS1_3gpuE6ELNS1_3repE0EEENS1_30default_config_static_selectorELNS0_4arch9wavefront6targetE1EEEvT1_,@function
_ZN7rocprim17ROCPRIM_400000_NS6detail17trampoline_kernelINS0_14default_configENS1_27scan_by_key_config_selectorIsiEEZZNS1_16scan_by_key_implILNS1_25lookback_scan_determinismE0ELb1ES3_N6thrust23THRUST_200600_302600_NS6detail15normal_iteratorINS9_10device_ptrIsEEEESE_SE_iNS9_4plusIvEENS9_8equal_toIvEEiEE10hipError_tPvRmT2_T3_T4_T5_mT6_T7_P12ihipStream_tbENKUlT_T0_E_clISt17integral_constantIbLb1EESZ_EEDaSU_SV_EUlSU_E_NS1_11comp_targetILNS1_3genE2ELNS1_11target_archE906ELNS1_3gpuE6ELNS1_3repE0EEENS1_30default_config_static_selectorELNS0_4arch9wavefront6targetE1EEEvT1_: ; @_ZN7rocprim17ROCPRIM_400000_NS6detail17trampoline_kernelINS0_14default_configENS1_27scan_by_key_config_selectorIsiEEZZNS1_16scan_by_key_implILNS1_25lookback_scan_determinismE0ELb1ES3_N6thrust23THRUST_200600_302600_NS6detail15normal_iteratorINS9_10device_ptrIsEEEESE_SE_iNS9_4plusIvEENS9_8equal_toIvEEiEE10hipError_tPvRmT2_T3_T4_T5_mT6_T7_P12ihipStream_tbENKUlT_T0_E_clISt17integral_constantIbLb1EESZ_EEDaSU_SV_EUlSU_E_NS1_11comp_targetILNS1_3genE2ELNS1_11target_archE906ELNS1_3gpuE6ELNS1_3repE0EEENS1_30default_config_static_selectorELNS0_4arch9wavefront6targetE1EEEvT1_
; %bb.0:
	.section	.rodata,"a",@progbits
	.p2align	6, 0x0
	.amdhsa_kernel _ZN7rocprim17ROCPRIM_400000_NS6detail17trampoline_kernelINS0_14default_configENS1_27scan_by_key_config_selectorIsiEEZZNS1_16scan_by_key_implILNS1_25lookback_scan_determinismE0ELb1ES3_N6thrust23THRUST_200600_302600_NS6detail15normal_iteratorINS9_10device_ptrIsEEEESE_SE_iNS9_4plusIvEENS9_8equal_toIvEEiEE10hipError_tPvRmT2_T3_T4_T5_mT6_T7_P12ihipStream_tbENKUlT_T0_E_clISt17integral_constantIbLb1EESZ_EEDaSU_SV_EUlSU_E_NS1_11comp_targetILNS1_3genE2ELNS1_11target_archE906ELNS1_3gpuE6ELNS1_3repE0EEENS1_30default_config_static_selectorELNS0_4arch9wavefront6targetE1EEEvT1_
		.amdhsa_group_segment_fixed_size 0
		.amdhsa_private_segment_fixed_size 0
		.amdhsa_kernarg_size 112
		.amdhsa_user_sgpr_count 2
		.amdhsa_user_sgpr_dispatch_ptr 0
		.amdhsa_user_sgpr_queue_ptr 0
		.amdhsa_user_sgpr_kernarg_segment_ptr 1
		.amdhsa_user_sgpr_dispatch_id 0
		.amdhsa_user_sgpr_kernarg_preload_length 0
		.amdhsa_user_sgpr_kernarg_preload_offset 0
		.amdhsa_user_sgpr_private_segment_size 0
		.amdhsa_uses_dynamic_stack 0
		.amdhsa_enable_private_segment 0
		.amdhsa_system_sgpr_workgroup_id_x 1
		.amdhsa_system_sgpr_workgroup_id_y 0
		.amdhsa_system_sgpr_workgroup_id_z 0
		.amdhsa_system_sgpr_workgroup_info 0
		.amdhsa_system_vgpr_workitem_id 0
		.amdhsa_next_free_vgpr 1
		.amdhsa_next_free_sgpr 0
		.amdhsa_accum_offset 4
		.amdhsa_reserve_vcc 0
		.amdhsa_float_round_mode_32 0
		.amdhsa_float_round_mode_16_64 0
		.amdhsa_float_denorm_mode_32 3
		.amdhsa_float_denorm_mode_16_64 3
		.amdhsa_dx10_clamp 1
		.amdhsa_ieee_mode 1
		.amdhsa_fp16_overflow 0
		.amdhsa_tg_split 0
		.amdhsa_exception_fp_ieee_invalid_op 0
		.amdhsa_exception_fp_denorm_src 0
		.amdhsa_exception_fp_ieee_div_zero 0
		.amdhsa_exception_fp_ieee_overflow 0
		.amdhsa_exception_fp_ieee_underflow 0
		.amdhsa_exception_fp_ieee_inexact 0
		.amdhsa_exception_int_div_zero 0
	.end_amdhsa_kernel
	.section	.text._ZN7rocprim17ROCPRIM_400000_NS6detail17trampoline_kernelINS0_14default_configENS1_27scan_by_key_config_selectorIsiEEZZNS1_16scan_by_key_implILNS1_25lookback_scan_determinismE0ELb1ES3_N6thrust23THRUST_200600_302600_NS6detail15normal_iteratorINS9_10device_ptrIsEEEESE_SE_iNS9_4plusIvEENS9_8equal_toIvEEiEE10hipError_tPvRmT2_T3_T4_T5_mT6_T7_P12ihipStream_tbENKUlT_T0_E_clISt17integral_constantIbLb1EESZ_EEDaSU_SV_EUlSU_E_NS1_11comp_targetILNS1_3genE2ELNS1_11target_archE906ELNS1_3gpuE6ELNS1_3repE0EEENS1_30default_config_static_selectorELNS0_4arch9wavefront6targetE1EEEvT1_,"axG",@progbits,_ZN7rocprim17ROCPRIM_400000_NS6detail17trampoline_kernelINS0_14default_configENS1_27scan_by_key_config_selectorIsiEEZZNS1_16scan_by_key_implILNS1_25lookback_scan_determinismE0ELb1ES3_N6thrust23THRUST_200600_302600_NS6detail15normal_iteratorINS9_10device_ptrIsEEEESE_SE_iNS9_4plusIvEENS9_8equal_toIvEEiEE10hipError_tPvRmT2_T3_T4_T5_mT6_T7_P12ihipStream_tbENKUlT_T0_E_clISt17integral_constantIbLb1EESZ_EEDaSU_SV_EUlSU_E_NS1_11comp_targetILNS1_3genE2ELNS1_11target_archE906ELNS1_3gpuE6ELNS1_3repE0EEENS1_30default_config_static_selectorELNS0_4arch9wavefront6targetE1EEEvT1_,comdat
.Lfunc_end1057:
	.size	_ZN7rocprim17ROCPRIM_400000_NS6detail17trampoline_kernelINS0_14default_configENS1_27scan_by_key_config_selectorIsiEEZZNS1_16scan_by_key_implILNS1_25lookback_scan_determinismE0ELb1ES3_N6thrust23THRUST_200600_302600_NS6detail15normal_iteratorINS9_10device_ptrIsEEEESE_SE_iNS9_4plusIvEENS9_8equal_toIvEEiEE10hipError_tPvRmT2_T3_T4_T5_mT6_T7_P12ihipStream_tbENKUlT_T0_E_clISt17integral_constantIbLb1EESZ_EEDaSU_SV_EUlSU_E_NS1_11comp_targetILNS1_3genE2ELNS1_11target_archE906ELNS1_3gpuE6ELNS1_3repE0EEENS1_30default_config_static_selectorELNS0_4arch9wavefront6targetE1EEEvT1_, .Lfunc_end1057-_ZN7rocprim17ROCPRIM_400000_NS6detail17trampoline_kernelINS0_14default_configENS1_27scan_by_key_config_selectorIsiEEZZNS1_16scan_by_key_implILNS1_25lookback_scan_determinismE0ELb1ES3_N6thrust23THRUST_200600_302600_NS6detail15normal_iteratorINS9_10device_ptrIsEEEESE_SE_iNS9_4plusIvEENS9_8equal_toIvEEiEE10hipError_tPvRmT2_T3_T4_T5_mT6_T7_P12ihipStream_tbENKUlT_T0_E_clISt17integral_constantIbLb1EESZ_EEDaSU_SV_EUlSU_E_NS1_11comp_targetILNS1_3genE2ELNS1_11target_archE906ELNS1_3gpuE6ELNS1_3repE0EEENS1_30default_config_static_selectorELNS0_4arch9wavefront6targetE1EEEvT1_
                                        ; -- End function
	.section	.AMDGPU.csdata,"",@progbits
; Kernel info:
; codeLenInByte = 0
; NumSgprs: 6
; NumVgprs: 0
; NumAgprs: 0
; TotalNumVgprs: 0
; ScratchSize: 0
; MemoryBound: 0
; FloatMode: 240
; IeeeMode: 1
; LDSByteSize: 0 bytes/workgroup (compile time only)
; SGPRBlocks: 0
; VGPRBlocks: 0
; NumSGPRsForWavesPerEU: 6
; NumVGPRsForWavesPerEU: 1
; AccumOffset: 4
; Occupancy: 8
; WaveLimiterHint : 0
; COMPUTE_PGM_RSRC2:SCRATCH_EN: 0
; COMPUTE_PGM_RSRC2:USER_SGPR: 2
; COMPUTE_PGM_RSRC2:TRAP_HANDLER: 0
; COMPUTE_PGM_RSRC2:TGID_X_EN: 1
; COMPUTE_PGM_RSRC2:TGID_Y_EN: 0
; COMPUTE_PGM_RSRC2:TGID_Z_EN: 0
; COMPUTE_PGM_RSRC2:TIDIG_COMP_CNT: 0
; COMPUTE_PGM_RSRC3_GFX90A:ACCUM_OFFSET: 0
; COMPUTE_PGM_RSRC3_GFX90A:TG_SPLIT: 0
	.section	.text._ZN7rocprim17ROCPRIM_400000_NS6detail17trampoline_kernelINS0_14default_configENS1_27scan_by_key_config_selectorIsiEEZZNS1_16scan_by_key_implILNS1_25lookback_scan_determinismE0ELb1ES3_N6thrust23THRUST_200600_302600_NS6detail15normal_iteratorINS9_10device_ptrIsEEEESE_SE_iNS9_4plusIvEENS9_8equal_toIvEEiEE10hipError_tPvRmT2_T3_T4_T5_mT6_T7_P12ihipStream_tbENKUlT_T0_E_clISt17integral_constantIbLb1EESZ_EEDaSU_SV_EUlSU_E_NS1_11comp_targetILNS1_3genE10ELNS1_11target_archE1200ELNS1_3gpuE4ELNS1_3repE0EEENS1_30default_config_static_selectorELNS0_4arch9wavefront6targetE1EEEvT1_,"axG",@progbits,_ZN7rocprim17ROCPRIM_400000_NS6detail17trampoline_kernelINS0_14default_configENS1_27scan_by_key_config_selectorIsiEEZZNS1_16scan_by_key_implILNS1_25lookback_scan_determinismE0ELb1ES3_N6thrust23THRUST_200600_302600_NS6detail15normal_iteratorINS9_10device_ptrIsEEEESE_SE_iNS9_4plusIvEENS9_8equal_toIvEEiEE10hipError_tPvRmT2_T3_T4_T5_mT6_T7_P12ihipStream_tbENKUlT_T0_E_clISt17integral_constantIbLb1EESZ_EEDaSU_SV_EUlSU_E_NS1_11comp_targetILNS1_3genE10ELNS1_11target_archE1200ELNS1_3gpuE4ELNS1_3repE0EEENS1_30default_config_static_selectorELNS0_4arch9wavefront6targetE1EEEvT1_,comdat
	.protected	_ZN7rocprim17ROCPRIM_400000_NS6detail17trampoline_kernelINS0_14default_configENS1_27scan_by_key_config_selectorIsiEEZZNS1_16scan_by_key_implILNS1_25lookback_scan_determinismE0ELb1ES3_N6thrust23THRUST_200600_302600_NS6detail15normal_iteratorINS9_10device_ptrIsEEEESE_SE_iNS9_4plusIvEENS9_8equal_toIvEEiEE10hipError_tPvRmT2_T3_T4_T5_mT6_T7_P12ihipStream_tbENKUlT_T0_E_clISt17integral_constantIbLb1EESZ_EEDaSU_SV_EUlSU_E_NS1_11comp_targetILNS1_3genE10ELNS1_11target_archE1200ELNS1_3gpuE4ELNS1_3repE0EEENS1_30default_config_static_selectorELNS0_4arch9wavefront6targetE1EEEvT1_ ; -- Begin function _ZN7rocprim17ROCPRIM_400000_NS6detail17trampoline_kernelINS0_14default_configENS1_27scan_by_key_config_selectorIsiEEZZNS1_16scan_by_key_implILNS1_25lookback_scan_determinismE0ELb1ES3_N6thrust23THRUST_200600_302600_NS6detail15normal_iteratorINS9_10device_ptrIsEEEESE_SE_iNS9_4plusIvEENS9_8equal_toIvEEiEE10hipError_tPvRmT2_T3_T4_T5_mT6_T7_P12ihipStream_tbENKUlT_T0_E_clISt17integral_constantIbLb1EESZ_EEDaSU_SV_EUlSU_E_NS1_11comp_targetILNS1_3genE10ELNS1_11target_archE1200ELNS1_3gpuE4ELNS1_3repE0EEENS1_30default_config_static_selectorELNS0_4arch9wavefront6targetE1EEEvT1_
	.globl	_ZN7rocprim17ROCPRIM_400000_NS6detail17trampoline_kernelINS0_14default_configENS1_27scan_by_key_config_selectorIsiEEZZNS1_16scan_by_key_implILNS1_25lookback_scan_determinismE0ELb1ES3_N6thrust23THRUST_200600_302600_NS6detail15normal_iteratorINS9_10device_ptrIsEEEESE_SE_iNS9_4plusIvEENS9_8equal_toIvEEiEE10hipError_tPvRmT2_T3_T4_T5_mT6_T7_P12ihipStream_tbENKUlT_T0_E_clISt17integral_constantIbLb1EESZ_EEDaSU_SV_EUlSU_E_NS1_11comp_targetILNS1_3genE10ELNS1_11target_archE1200ELNS1_3gpuE4ELNS1_3repE0EEENS1_30default_config_static_selectorELNS0_4arch9wavefront6targetE1EEEvT1_
	.p2align	8
	.type	_ZN7rocprim17ROCPRIM_400000_NS6detail17trampoline_kernelINS0_14default_configENS1_27scan_by_key_config_selectorIsiEEZZNS1_16scan_by_key_implILNS1_25lookback_scan_determinismE0ELb1ES3_N6thrust23THRUST_200600_302600_NS6detail15normal_iteratorINS9_10device_ptrIsEEEESE_SE_iNS9_4plusIvEENS9_8equal_toIvEEiEE10hipError_tPvRmT2_T3_T4_T5_mT6_T7_P12ihipStream_tbENKUlT_T0_E_clISt17integral_constantIbLb1EESZ_EEDaSU_SV_EUlSU_E_NS1_11comp_targetILNS1_3genE10ELNS1_11target_archE1200ELNS1_3gpuE4ELNS1_3repE0EEENS1_30default_config_static_selectorELNS0_4arch9wavefront6targetE1EEEvT1_,@function
_ZN7rocprim17ROCPRIM_400000_NS6detail17trampoline_kernelINS0_14default_configENS1_27scan_by_key_config_selectorIsiEEZZNS1_16scan_by_key_implILNS1_25lookback_scan_determinismE0ELb1ES3_N6thrust23THRUST_200600_302600_NS6detail15normal_iteratorINS9_10device_ptrIsEEEESE_SE_iNS9_4plusIvEENS9_8equal_toIvEEiEE10hipError_tPvRmT2_T3_T4_T5_mT6_T7_P12ihipStream_tbENKUlT_T0_E_clISt17integral_constantIbLb1EESZ_EEDaSU_SV_EUlSU_E_NS1_11comp_targetILNS1_3genE10ELNS1_11target_archE1200ELNS1_3gpuE4ELNS1_3repE0EEENS1_30default_config_static_selectorELNS0_4arch9wavefront6targetE1EEEvT1_: ; @_ZN7rocprim17ROCPRIM_400000_NS6detail17trampoline_kernelINS0_14default_configENS1_27scan_by_key_config_selectorIsiEEZZNS1_16scan_by_key_implILNS1_25lookback_scan_determinismE0ELb1ES3_N6thrust23THRUST_200600_302600_NS6detail15normal_iteratorINS9_10device_ptrIsEEEESE_SE_iNS9_4plusIvEENS9_8equal_toIvEEiEE10hipError_tPvRmT2_T3_T4_T5_mT6_T7_P12ihipStream_tbENKUlT_T0_E_clISt17integral_constantIbLb1EESZ_EEDaSU_SV_EUlSU_E_NS1_11comp_targetILNS1_3genE10ELNS1_11target_archE1200ELNS1_3gpuE4ELNS1_3repE0EEENS1_30default_config_static_selectorELNS0_4arch9wavefront6targetE1EEEvT1_
; %bb.0:
	.section	.rodata,"a",@progbits
	.p2align	6, 0x0
	.amdhsa_kernel _ZN7rocprim17ROCPRIM_400000_NS6detail17trampoline_kernelINS0_14default_configENS1_27scan_by_key_config_selectorIsiEEZZNS1_16scan_by_key_implILNS1_25lookback_scan_determinismE0ELb1ES3_N6thrust23THRUST_200600_302600_NS6detail15normal_iteratorINS9_10device_ptrIsEEEESE_SE_iNS9_4plusIvEENS9_8equal_toIvEEiEE10hipError_tPvRmT2_T3_T4_T5_mT6_T7_P12ihipStream_tbENKUlT_T0_E_clISt17integral_constantIbLb1EESZ_EEDaSU_SV_EUlSU_E_NS1_11comp_targetILNS1_3genE10ELNS1_11target_archE1200ELNS1_3gpuE4ELNS1_3repE0EEENS1_30default_config_static_selectorELNS0_4arch9wavefront6targetE1EEEvT1_
		.amdhsa_group_segment_fixed_size 0
		.amdhsa_private_segment_fixed_size 0
		.amdhsa_kernarg_size 112
		.amdhsa_user_sgpr_count 2
		.amdhsa_user_sgpr_dispatch_ptr 0
		.amdhsa_user_sgpr_queue_ptr 0
		.amdhsa_user_sgpr_kernarg_segment_ptr 1
		.amdhsa_user_sgpr_dispatch_id 0
		.amdhsa_user_sgpr_kernarg_preload_length 0
		.amdhsa_user_sgpr_kernarg_preload_offset 0
		.amdhsa_user_sgpr_private_segment_size 0
		.amdhsa_uses_dynamic_stack 0
		.amdhsa_enable_private_segment 0
		.amdhsa_system_sgpr_workgroup_id_x 1
		.amdhsa_system_sgpr_workgroup_id_y 0
		.amdhsa_system_sgpr_workgroup_id_z 0
		.amdhsa_system_sgpr_workgroup_info 0
		.amdhsa_system_vgpr_workitem_id 0
		.amdhsa_next_free_vgpr 1
		.amdhsa_next_free_sgpr 0
		.amdhsa_accum_offset 4
		.amdhsa_reserve_vcc 0
		.amdhsa_float_round_mode_32 0
		.amdhsa_float_round_mode_16_64 0
		.amdhsa_float_denorm_mode_32 3
		.amdhsa_float_denorm_mode_16_64 3
		.amdhsa_dx10_clamp 1
		.amdhsa_ieee_mode 1
		.amdhsa_fp16_overflow 0
		.amdhsa_tg_split 0
		.amdhsa_exception_fp_ieee_invalid_op 0
		.amdhsa_exception_fp_denorm_src 0
		.amdhsa_exception_fp_ieee_div_zero 0
		.amdhsa_exception_fp_ieee_overflow 0
		.amdhsa_exception_fp_ieee_underflow 0
		.amdhsa_exception_fp_ieee_inexact 0
		.amdhsa_exception_int_div_zero 0
	.end_amdhsa_kernel
	.section	.text._ZN7rocprim17ROCPRIM_400000_NS6detail17trampoline_kernelINS0_14default_configENS1_27scan_by_key_config_selectorIsiEEZZNS1_16scan_by_key_implILNS1_25lookback_scan_determinismE0ELb1ES3_N6thrust23THRUST_200600_302600_NS6detail15normal_iteratorINS9_10device_ptrIsEEEESE_SE_iNS9_4plusIvEENS9_8equal_toIvEEiEE10hipError_tPvRmT2_T3_T4_T5_mT6_T7_P12ihipStream_tbENKUlT_T0_E_clISt17integral_constantIbLb1EESZ_EEDaSU_SV_EUlSU_E_NS1_11comp_targetILNS1_3genE10ELNS1_11target_archE1200ELNS1_3gpuE4ELNS1_3repE0EEENS1_30default_config_static_selectorELNS0_4arch9wavefront6targetE1EEEvT1_,"axG",@progbits,_ZN7rocprim17ROCPRIM_400000_NS6detail17trampoline_kernelINS0_14default_configENS1_27scan_by_key_config_selectorIsiEEZZNS1_16scan_by_key_implILNS1_25lookback_scan_determinismE0ELb1ES3_N6thrust23THRUST_200600_302600_NS6detail15normal_iteratorINS9_10device_ptrIsEEEESE_SE_iNS9_4plusIvEENS9_8equal_toIvEEiEE10hipError_tPvRmT2_T3_T4_T5_mT6_T7_P12ihipStream_tbENKUlT_T0_E_clISt17integral_constantIbLb1EESZ_EEDaSU_SV_EUlSU_E_NS1_11comp_targetILNS1_3genE10ELNS1_11target_archE1200ELNS1_3gpuE4ELNS1_3repE0EEENS1_30default_config_static_selectorELNS0_4arch9wavefront6targetE1EEEvT1_,comdat
.Lfunc_end1058:
	.size	_ZN7rocprim17ROCPRIM_400000_NS6detail17trampoline_kernelINS0_14default_configENS1_27scan_by_key_config_selectorIsiEEZZNS1_16scan_by_key_implILNS1_25lookback_scan_determinismE0ELb1ES3_N6thrust23THRUST_200600_302600_NS6detail15normal_iteratorINS9_10device_ptrIsEEEESE_SE_iNS9_4plusIvEENS9_8equal_toIvEEiEE10hipError_tPvRmT2_T3_T4_T5_mT6_T7_P12ihipStream_tbENKUlT_T0_E_clISt17integral_constantIbLb1EESZ_EEDaSU_SV_EUlSU_E_NS1_11comp_targetILNS1_3genE10ELNS1_11target_archE1200ELNS1_3gpuE4ELNS1_3repE0EEENS1_30default_config_static_selectorELNS0_4arch9wavefront6targetE1EEEvT1_, .Lfunc_end1058-_ZN7rocprim17ROCPRIM_400000_NS6detail17trampoline_kernelINS0_14default_configENS1_27scan_by_key_config_selectorIsiEEZZNS1_16scan_by_key_implILNS1_25lookback_scan_determinismE0ELb1ES3_N6thrust23THRUST_200600_302600_NS6detail15normal_iteratorINS9_10device_ptrIsEEEESE_SE_iNS9_4plusIvEENS9_8equal_toIvEEiEE10hipError_tPvRmT2_T3_T4_T5_mT6_T7_P12ihipStream_tbENKUlT_T0_E_clISt17integral_constantIbLb1EESZ_EEDaSU_SV_EUlSU_E_NS1_11comp_targetILNS1_3genE10ELNS1_11target_archE1200ELNS1_3gpuE4ELNS1_3repE0EEENS1_30default_config_static_selectorELNS0_4arch9wavefront6targetE1EEEvT1_
                                        ; -- End function
	.section	.AMDGPU.csdata,"",@progbits
; Kernel info:
; codeLenInByte = 0
; NumSgprs: 6
; NumVgprs: 0
; NumAgprs: 0
; TotalNumVgprs: 0
; ScratchSize: 0
; MemoryBound: 0
; FloatMode: 240
; IeeeMode: 1
; LDSByteSize: 0 bytes/workgroup (compile time only)
; SGPRBlocks: 0
; VGPRBlocks: 0
; NumSGPRsForWavesPerEU: 6
; NumVGPRsForWavesPerEU: 1
; AccumOffset: 4
; Occupancy: 8
; WaveLimiterHint : 0
; COMPUTE_PGM_RSRC2:SCRATCH_EN: 0
; COMPUTE_PGM_RSRC2:USER_SGPR: 2
; COMPUTE_PGM_RSRC2:TRAP_HANDLER: 0
; COMPUTE_PGM_RSRC2:TGID_X_EN: 1
; COMPUTE_PGM_RSRC2:TGID_Y_EN: 0
; COMPUTE_PGM_RSRC2:TGID_Z_EN: 0
; COMPUTE_PGM_RSRC2:TIDIG_COMP_CNT: 0
; COMPUTE_PGM_RSRC3_GFX90A:ACCUM_OFFSET: 0
; COMPUTE_PGM_RSRC3_GFX90A:TG_SPLIT: 0
	.section	.text._ZN7rocprim17ROCPRIM_400000_NS6detail17trampoline_kernelINS0_14default_configENS1_27scan_by_key_config_selectorIsiEEZZNS1_16scan_by_key_implILNS1_25lookback_scan_determinismE0ELb1ES3_N6thrust23THRUST_200600_302600_NS6detail15normal_iteratorINS9_10device_ptrIsEEEESE_SE_iNS9_4plusIvEENS9_8equal_toIvEEiEE10hipError_tPvRmT2_T3_T4_T5_mT6_T7_P12ihipStream_tbENKUlT_T0_E_clISt17integral_constantIbLb1EESZ_EEDaSU_SV_EUlSU_E_NS1_11comp_targetILNS1_3genE9ELNS1_11target_archE1100ELNS1_3gpuE3ELNS1_3repE0EEENS1_30default_config_static_selectorELNS0_4arch9wavefront6targetE1EEEvT1_,"axG",@progbits,_ZN7rocprim17ROCPRIM_400000_NS6detail17trampoline_kernelINS0_14default_configENS1_27scan_by_key_config_selectorIsiEEZZNS1_16scan_by_key_implILNS1_25lookback_scan_determinismE0ELb1ES3_N6thrust23THRUST_200600_302600_NS6detail15normal_iteratorINS9_10device_ptrIsEEEESE_SE_iNS9_4plusIvEENS9_8equal_toIvEEiEE10hipError_tPvRmT2_T3_T4_T5_mT6_T7_P12ihipStream_tbENKUlT_T0_E_clISt17integral_constantIbLb1EESZ_EEDaSU_SV_EUlSU_E_NS1_11comp_targetILNS1_3genE9ELNS1_11target_archE1100ELNS1_3gpuE3ELNS1_3repE0EEENS1_30default_config_static_selectorELNS0_4arch9wavefront6targetE1EEEvT1_,comdat
	.protected	_ZN7rocprim17ROCPRIM_400000_NS6detail17trampoline_kernelINS0_14default_configENS1_27scan_by_key_config_selectorIsiEEZZNS1_16scan_by_key_implILNS1_25lookback_scan_determinismE0ELb1ES3_N6thrust23THRUST_200600_302600_NS6detail15normal_iteratorINS9_10device_ptrIsEEEESE_SE_iNS9_4plusIvEENS9_8equal_toIvEEiEE10hipError_tPvRmT2_T3_T4_T5_mT6_T7_P12ihipStream_tbENKUlT_T0_E_clISt17integral_constantIbLb1EESZ_EEDaSU_SV_EUlSU_E_NS1_11comp_targetILNS1_3genE9ELNS1_11target_archE1100ELNS1_3gpuE3ELNS1_3repE0EEENS1_30default_config_static_selectorELNS0_4arch9wavefront6targetE1EEEvT1_ ; -- Begin function _ZN7rocprim17ROCPRIM_400000_NS6detail17trampoline_kernelINS0_14default_configENS1_27scan_by_key_config_selectorIsiEEZZNS1_16scan_by_key_implILNS1_25lookback_scan_determinismE0ELb1ES3_N6thrust23THRUST_200600_302600_NS6detail15normal_iteratorINS9_10device_ptrIsEEEESE_SE_iNS9_4plusIvEENS9_8equal_toIvEEiEE10hipError_tPvRmT2_T3_T4_T5_mT6_T7_P12ihipStream_tbENKUlT_T0_E_clISt17integral_constantIbLb1EESZ_EEDaSU_SV_EUlSU_E_NS1_11comp_targetILNS1_3genE9ELNS1_11target_archE1100ELNS1_3gpuE3ELNS1_3repE0EEENS1_30default_config_static_selectorELNS0_4arch9wavefront6targetE1EEEvT1_
	.globl	_ZN7rocprim17ROCPRIM_400000_NS6detail17trampoline_kernelINS0_14default_configENS1_27scan_by_key_config_selectorIsiEEZZNS1_16scan_by_key_implILNS1_25lookback_scan_determinismE0ELb1ES3_N6thrust23THRUST_200600_302600_NS6detail15normal_iteratorINS9_10device_ptrIsEEEESE_SE_iNS9_4plusIvEENS9_8equal_toIvEEiEE10hipError_tPvRmT2_T3_T4_T5_mT6_T7_P12ihipStream_tbENKUlT_T0_E_clISt17integral_constantIbLb1EESZ_EEDaSU_SV_EUlSU_E_NS1_11comp_targetILNS1_3genE9ELNS1_11target_archE1100ELNS1_3gpuE3ELNS1_3repE0EEENS1_30default_config_static_selectorELNS0_4arch9wavefront6targetE1EEEvT1_
	.p2align	8
	.type	_ZN7rocprim17ROCPRIM_400000_NS6detail17trampoline_kernelINS0_14default_configENS1_27scan_by_key_config_selectorIsiEEZZNS1_16scan_by_key_implILNS1_25lookback_scan_determinismE0ELb1ES3_N6thrust23THRUST_200600_302600_NS6detail15normal_iteratorINS9_10device_ptrIsEEEESE_SE_iNS9_4plusIvEENS9_8equal_toIvEEiEE10hipError_tPvRmT2_T3_T4_T5_mT6_T7_P12ihipStream_tbENKUlT_T0_E_clISt17integral_constantIbLb1EESZ_EEDaSU_SV_EUlSU_E_NS1_11comp_targetILNS1_3genE9ELNS1_11target_archE1100ELNS1_3gpuE3ELNS1_3repE0EEENS1_30default_config_static_selectorELNS0_4arch9wavefront6targetE1EEEvT1_,@function
_ZN7rocprim17ROCPRIM_400000_NS6detail17trampoline_kernelINS0_14default_configENS1_27scan_by_key_config_selectorIsiEEZZNS1_16scan_by_key_implILNS1_25lookback_scan_determinismE0ELb1ES3_N6thrust23THRUST_200600_302600_NS6detail15normal_iteratorINS9_10device_ptrIsEEEESE_SE_iNS9_4plusIvEENS9_8equal_toIvEEiEE10hipError_tPvRmT2_T3_T4_T5_mT6_T7_P12ihipStream_tbENKUlT_T0_E_clISt17integral_constantIbLb1EESZ_EEDaSU_SV_EUlSU_E_NS1_11comp_targetILNS1_3genE9ELNS1_11target_archE1100ELNS1_3gpuE3ELNS1_3repE0EEENS1_30default_config_static_selectorELNS0_4arch9wavefront6targetE1EEEvT1_: ; @_ZN7rocprim17ROCPRIM_400000_NS6detail17trampoline_kernelINS0_14default_configENS1_27scan_by_key_config_selectorIsiEEZZNS1_16scan_by_key_implILNS1_25lookback_scan_determinismE0ELb1ES3_N6thrust23THRUST_200600_302600_NS6detail15normal_iteratorINS9_10device_ptrIsEEEESE_SE_iNS9_4plusIvEENS9_8equal_toIvEEiEE10hipError_tPvRmT2_T3_T4_T5_mT6_T7_P12ihipStream_tbENKUlT_T0_E_clISt17integral_constantIbLb1EESZ_EEDaSU_SV_EUlSU_E_NS1_11comp_targetILNS1_3genE9ELNS1_11target_archE1100ELNS1_3gpuE3ELNS1_3repE0EEENS1_30default_config_static_selectorELNS0_4arch9wavefront6targetE1EEEvT1_
; %bb.0:
	.section	.rodata,"a",@progbits
	.p2align	6, 0x0
	.amdhsa_kernel _ZN7rocprim17ROCPRIM_400000_NS6detail17trampoline_kernelINS0_14default_configENS1_27scan_by_key_config_selectorIsiEEZZNS1_16scan_by_key_implILNS1_25lookback_scan_determinismE0ELb1ES3_N6thrust23THRUST_200600_302600_NS6detail15normal_iteratorINS9_10device_ptrIsEEEESE_SE_iNS9_4plusIvEENS9_8equal_toIvEEiEE10hipError_tPvRmT2_T3_T4_T5_mT6_T7_P12ihipStream_tbENKUlT_T0_E_clISt17integral_constantIbLb1EESZ_EEDaSU_SV_EUlSU_E_NS1_11comp_targetILNS1_3genE9ELNS1_11target_archE1100ELNS1_3gpuE3ELNS1_3repE0EEENS1_30default_config_static_selectorELNS0_4arch9wavefront6targetE1EEEvT1_
		.amdhsa_group_segment_fixed_size 0
		.amdhsa_private_segment_fixed_size 0
		.amdhsa_kernarg_size 112
		.amdhsa_user_sgpr_count 2
		.amdhsa_user_sgpr_dispatch_ptr 0
		.amdhsa_user_sgpr_queue_ptr 0
		.amdhsa_user_sgpr_kernarg_segment_ptr 1
		.amdhsa_user_sgpr_dispatch_id 0
		.amdhsa_user_sgpr_kernarg_preload_length 0
		.amdhsa_user_sgpr_kernarg_preload_offset 0
		.amdhsa_user_sgpr_private_segment_size 0
		.amdhsa_uses_dynamic_stack 0
		.amdhsa_enable_private_segment 0
		.amdhsa_system_sgpr_workgroup_id_x 1
		.amdhsa_system_sgpr_workgroup_id_y 0
		.amdhsa_system_sgpr_workgroup_id_z 0
		.amdhsa_system_sgpr_workgroup_info 0
		.amdhsa_system_vgpr_workitem_id 0
		.amdhsa_next_free_vgpr 1
		.amdhsa_next_free_sgpr 0
		.amdhsa_accum_offset 4
		.amdhsa_reserve_vcc 0
		.amdhsa_float_round_mode_32 0
		.amdhsa_float_round_mode_16_64 0
		.amdhsa_float_denorm_mode_32 3
		.amdhsa_float_denorm_mode_16_64 3
		.amdhsa_dx10_clamp 1
		.amdhsa_ieee_mode 1
		.amdhsa_fp16_overflow 0
		.amdhsa_tg_split 0
		.amdhsa_exception_fp_ieee_invalid_op 0
		.amdhsa_exception_fp_denorm_src 0
		.amdhsa_exception_fp_ieee_div_zero 0
		.amdhsa_exception_fp_ieee_overflow 0
		.amdhsa_exception_fp_ieee_underflow 0
		.amdhsa_exception_fp_ieee_inexact 0
		.amdhsa_exception_int_div_zero 0
	.end_amdhsa_kernel
	.section	.text._ZN7rocprim17ROCPRIM_400000_NS6detail17trampoline_kernelINS0_14default_configENS1_27scan_by_key_config_selectorIsiEEZZNS1_16scan_by_key_implILNS1_25lookback_scan_determinismE0ELb1ES3_N6thrust23THRUST_200600_302600_NS6detail15normal_iteratorINS9_10device_ptrIsEEEESE_SE_iNS9_4plusIvEENS9_8equal_toIvEEiEE10hipError_tPvRmT2_T3_T4_T5_mT6_T7_P12ihipStream_tbENKUlT_T0_E_clISt17integral_constantIbLb1EESZ_EEDaSU_SV_EUlSU_E_NS1_11comp_targetILNS1_3genE9ELNS1_11target_archE1100ELNS1_3gpuE3ELNS1_3repE0EEENS1_30default_config_static_selectorELNS0_4arch9wavefront6targetE1EEEvT1_,"axG",@progbits,_ZN7rocprim17ROCPRIM_400000_NS6detail17trampoline_kernelINS0_14default_configENS1_27scan_by_key_config_selectorIsiEEZZNS1_16scan_by_key_implILNS1_25lookback_scan_determinismE0ELb1ES3_N6thrust23THRUST_200600_302600_NS6detail15normal_iteratorINS9_10device_ptrIsEEEESE_SE_iNS9_4plusIvEENS9_8equal_toIvEEiEE10hipError_tPvRmT2_T3_T4_T5_mT6_T7_P12ihipStream_tbENKUlT_T0_E_clISt17integral_constantIbLb1EESZ_EEDaSU_SV_EUlSU_E_NS1_11comp_targetILNS1_3genE9ELNS1_11target_archE1100ELNS1_3gpuE3ELNS1_3repE0EEENS1_30default_config_static_selectorELNS0_4arch9wavefront6targetE1EEEvT1_,comdat
.Lfunc_end1059:
	.size	_ZN7rocprim17ROCPRIM_400000_NS6detail17trampoline_kernelINS0_14default_configENS1_27scan_by_key_config_selectorIsiEEZZNS1_16scan_by_key_implILNS1_25lookback_scan_determinismE0ELb1ES3_N6thrust23THRUST_200600_302600_NS6detail15normal_iteratorINS9_10device_ptrIsEEEESE_SE_iNS9_4plusIvEENS9_8equal_toIvEEiEE10hipError_tPvRmT2_T3_T4_T5_mT6_T7_P12ihipStream_tbENKUlT_T0_E_clISt17integral_constantIbLb1EESZ_EEDaSU_SV_EUlSU_E_NS1_11comp_targetILNS1_3genE9ELNS1_11target_archE1100ELNS1_3gpuE3ELNS1_3repE0EEENS1_30default_config_static_selectorELNS0_4arch9wavefront6targetE1EEEvT1_, .Lfunc_end1059-_ZN7rocprim17ROCPRIM_400000_NS6detail17trampoline_kernelINS0_14default_configENS1_27scan_by_key_config_selectorIsiEEZZNS1_16scan_by_key_implILNS1_25lookback_scan_determinismE0ELb1ES3_N6thrust23THRUST_200600_302600_NS6detail15normal_iteratorINS9_10device_ptrIsEEEESE_SE_iNS9_4plusIvEENS9_8equal_toIvEEiEE10hipError_tPvRmT2_T3_T4_T5_mT6_T7_P12ihipStream_tbENKUlT_T0_E_clISt17integral_constantIbLb1EESZ_EEDaSU_SV_EUlSU_E_NS1_11comp_targetILNS1_3genE9ELNS1_11target_archE1100ELNS1_3gpuE3ELNS1_3repE0EEENS1_30default_config_static_selectorELNS0_4arch9wavefront6targetE1EEEvT1_
                                        ; -- End function
	.section	.AMDGPU.csdata,"",@progbits
; Kernel info:
; codeLenInByte = 0
; NumSgprs: 6
; NumVgprs: 0
; NumAgprs: 0
; TotalNumVgprs: 0
; ScratchSize: 0
; MemoryBound: 0
; FloatMode: 240
; IeeeMode: 1
; LDSByteSize: 0 bytes/workgroup (compile time only)
; SGPRBlocks: 0
; VGPRBlocks: 0
; NumSGPRsForWavesPerEU: 6
; NumVGPRsForWavesPerEU: 1
; AccumOffset: 4
; Occupancy: 8
; WaveLimiterHint : 0
; COMPUTE_PGM_RSRC2:SCRATCH_EN: 0
; COMPUTE_PGM_RSRC2:USER_SGPR: 2
; COMPUTE_PGM_RSRC2:TRAP_HANDLER: 0
; COMPUTE_PGM_RSRC2:TGID_X_EN: 1
; COMPUTE_PGM_RSRC2:TGID_Y_EN: 0
; COMPUTE_PGM_RSRC2:TGID_Z_EN: 0
; COMPUTE_PGM_RSRC2:TIDIG_COMP_CNT: 0
; COMPUTE_PGM_RSRC3_GFX90A:ACCUM_OFFSET: 0
; COMPUTE_PGM_RSRC3_GFX90A:TG_SPLIT: 0
	.section	.text._ZN7rocprim17ROCPRIM_400000_NS6detail17trampoline_kernelINS0_14default_configENS1_27scan_by_key_config_selectorIsiEEZZNS1_16scan_by_key_implILNS1_25lookback_scan_determinismE0ELb1ES3_N6thrust23THRUST_200600_302600_NS6detail15normal_iteratorINS9_10device_ptrIsEEEESE_SE_iNS9_4plusIvEENS9_8equal_toIvEEiEE10hipError_tPvRmT2_T3_T4_T5_mT6_T7_P12ihipStream_tbENKUlT_T0_E_clISt17integral_constantIbLb1EESZ_EEDaSU_SV_EUlSU_E_NS1_11comp_targetILNS1_3genE8ELNS1_11target_archE1030ELNS1_3gpuE2ELNS1_3repE0EEENS1_30default_config_static_selectorELNS0_4arch9wavefront6targetE1EEEvT1_,"axG",@progbits,_ZN7rocprim17ROCPRIM_400000_NS6detail17trampoline_kernelINS0_14default_configENS1_27scan_by_key_config_selectorIsiEEZZNS1_16scan_by_key_implILNS1_25lookback_scan_determinismE0ELb1ES3_N6thrust23THRUST_200600_302600_NS6detail15normal_iteratorINS9_10device_ptrIsEEEESE_SE_iNS9_4plusIvEENS9_8equal_toIvEEiEE10hipError_tPvRmT2_T3_T4_T5_mT6_T7_P12ihipStream_tbENKUlT_T0_E_clISt17integral_constantIbLb1EESZ_EEDaSU_SV_EUlSU_E_NS1_11comp_targetILNS1_3genE8ELNS1_11target_archE1030ELNS1_3gpuE2ELNS1_3repE0EEENS1_30default_config_static_selectorELNS0_4arch9wavefront6targetE1EEEvT1_,comdat
	.protected	_ZN7rocprim17ROCPRIM_400000_NS6detail17trampoline_kernelINS0_14default_configENS1_27scan_by_key_config_selectorIsiEEZZNS1_16scan_by_key_implILNS1_25lookback_scan_determinismE0ELb1ES3_N6thrust23THRUST_200600_302600_NS6detail15normal_iteratorINS9_10device_ptrIsEEEESE_SE_iNS9_4plusIvEENS9_8equal_toIvEEiEE10hipError_tPvRmT2_T3_T4_T5_mT6_T7_P12ihipStream_tbENKUlT_T0_E_clISt17integral_constantIbLb1EESZ_EEDaSU_SV_EUlSU_E_NS1_11comp_targetILNS1_3genE8ELNS1_11target_archE1030ELNS1_3gpuE2ELNS1_3repE0EEENS1_30default_config_static_selectorELNS0_4arch9wavefront6targetE1EEEvT1_ ; -- Begin function _ZN7rocprim17ROCPRIM_400000_NS6detail17trampoline_kernelINS0_14default_configENS1_27scan_by_key_config_selectorIsiEEZZNS1_16scan_by_key_implILNS1_25lookback_scan_determinismE0ELb1ES3_N6thrust23THRUST_200600_302600_NS6detail15normal_iteratorINS9_10device_ptrIsEEEESE_SE_iNS9_4plusIvEENS9_8equal_toIvEEiEE10hipError_tPvRmT2_T3_T4_T5_mT6_T7_P12ihipStream_tbENKUlT_T0_E_clISt17integral_constantIbLb1EESZ_EEDaSU_SV_EUlSU_E_NS1_11comp_targetILNS1_3genE8ELNS1_11target_archE1030ELNS1_3gpuE2ELNS1_3repE0EEENS1_30default_config_static_selectorELNS0_4arch9wavefront6targetE1EEEvT1_
	.globl	_ZN7rocprim17ROCPRIM_400000_NS6detail17trampoline_kernelINS0_14default_configENS1_27scan_by_key_config_selectorIsiEEZZNS1_16scan_by_key_implILNS1_25lookback_scan_determinismE0ELb1ES3_N6thrust23THRUST_200600_302600_NS6detail15normal_iteratorINS9_10device_ptrIsEEEESE_SE_iNS9_4plusIvEENS9_8equal_toIvEEiEE10hipError_tPvRmT2_T3_T4_T5_mT6_T7_P12ihipStream_tbENKUlT_T0_E_clISt17integral_constantIbLb1EESZ_EEDaSU_SV_EUlSU_E_NS1_11comp_targetILNS1_3genE8ELNS1_11target_archE1030ELNS1_3gpuE2ELNS1_3repE0EEENS1_30default_config_static_selectorELNS0_4arch9wavefront6targetE1EEEvT1_
	.p2align	8
	.type	_ZN7rocprim17ROCPRIM_400000_NS6detail17trampoline_kernelINS0_14default_configENS1_27scan_by_key_config_selectorIsiEEZZNS1_16scan_by_key_implILNS1_25lookback_scan_determinismE0ELb1ES3_N6thrust23THRUST_200600_302600_NS6detail15normal_iteratorINS9_10device_ptrIsEEEESE_SE_iNS9_4plusIvEENS9_8equal_toIvEEiEE10hipError_tPvRmT2_T3_T4_T5_mT6_T7_P12ihipStream_tbENKUlT_T0_E_clISt17integral_constantIbLb1EESZ_EEDaSU_SV_EUlSU_E_NS1_11comp_targetILNS1_3genE8ELNS1_11target_archE1030ELNS1_3gpuE2ELNS1_3repE0EEENS1_30default_config_static_selectorELNS0_4arch9wavefront6targetE1EEEvT1_,@function
_ZN7rocprim17ROCPRIM_400000_NS6detail17trampoline_kernelINS0_14default_configENS1_27scan_by_key_config_selectorIsiEEZZNS1_16scan_by_key_implILNS1_25lookback_scan_determinismE0ELb1ES3_N6thrust23THRUST_200600_302600_NS6detail15normal_iteratorINS9_10device_ptrIsEEEESE_SE_iNS9_4plusIvEENS9_8equal_toIvEEiEE10hipError_tPvRmT2_T3_T4_T5_mT6_T7_P12ihipStream_tbENKUlT_T0_E_clISt17integral_constantIbLb1EESZ_EEDaSU_SV_EUlSU_E_NS1_11comp_targetILNS1_3genE8ELNS1_11target_archE1030ELNS1_3gpuE2ELNS1_3repE0EEENS1_30default_config_static_selectorELNS0_4arch9wavefront6targetE1EEEvT1_: ; @_ZN7rocprim17ROCPRIM_400000_NS6detail17trampoline_kernelINS0_14default_configENS1_27scan_by_key_config_selectorIsiEEZZNS1_16scan_by_key_implILNS1_25lookback_scan_determinismE0ELb1ES3_N6thrust23THRUST_200600_302600_NS6detail15normal_iteratorINS9_10device_ptrIsEEEESE_SE_iNS9_4plusIvEENS9_8equal_toIvEEiEE10hipError_tPvRmT2_T3_T4_T5_mT6_T7_P12ihipStream_tbENKUlT_T0_E_clISt17integral_constantIbLb1EESZ_EEDaSU_SV_EUlSU_E_NS1_11comp_targetILNS1_3genE8ELNS1_11target_archE1030ELNS1_3gpuE2ELNS1_3repE0EEENS1_30default_config_static_selectorELNS0_4arch9wavefront6targetE1EEEvT1_
; %bb.0:
	.section	.rodata,"a",@progbits
	.p2align	6, 0x0
	.amdhsa_kernel _ZN7rocprim17ROCPRIM_400000_NS6detail17trampoline_kernelINS0_14default_configENS1_27scan_by_key_config_selectorIsiEEZZNS1_16scan_by_key_implILNS1_25lookback_scan_determinismE0ELb1ES3_N6thrust23THRUST_200600_302600_NS6detail15normal_iteratorINS9_10device_ptrIsEEEESE_SE_iNS9_4plusIvEENS9_8equal_toIvEEiEE10hipError_tPvRmT2_T3_T4_T5_mT6_T7_P12ihipStream_tbENKUlT_T0_E_clISt17integral_constantIbLb1EESZ_EEDaSU_SV_EUlSU_E_NS1_11comp_targetILNS1_3genE8ELNS1_11target_archE1030ELNS1_3gpuE2ELNS1_3repE0EEENS1_30default_config_static_selectorELNS0_4arch9wavefront6targetE1EEEvT1_
		.amdhsa_group_segment_fixed_size 0
		.amdhsa_private_segment_fixed_size 0
		.amdhsa_kernarg_size 112
		.amdhsa_user_sgpr_count 2
		.amdhsa_user_sgpr_dispatch_ptr 0
		.amdhsa_user_sgpr_queue_ptr 0
		.amdhsa_user_sgpr_kernarg_segment_ptr 1
		.amdhsa_user_sgpr_dispatch_id 0
		.amdhsa_user_sgpr_kernarg_preload_length 0
		.amdhsa_user_sgpr_kernarg_preload_offset 0
		.amdhsa_user_sgpr_private_segment_size 0
		.amdhsa_uses_dynamic_stack 0
		.amdhsa_enable_private_segment 0
		.amdhsa_system_sgpr_workgroup_id_x 1
		.amdhsa_system_sgpr_workgroup_id_y 0
		.amdhsa_system_sgpr_workgroup_id_z 0
		.amdhsa_system_sgpr_workgroup_info 0
		.amdhsa_system_vgpr_workitem_id 0
		.amdhsa_next_free_vgpr 1
		.amdhsa_next_free_sgpr 0
		.amdhsa_accum_offset 4
		.amdhsa_reserve_vcc 0
		.amdhsa_float_round_mode_32 0
		.amdhsa_float_round_mode_16_64 0
		.amdhsa_float_denorm_mode_32 3
		.amdhsa_float_denorm_mode_16_64 3
		.amdhsa_dx10_clamp 1
		.amdhsa_ieee_mode 1
		.amdhsa_fp16_overflow 0
		.amdhsa_tg_split 0
		.amdhsa_exception_fp_ieee_invalid_op 0
		.amdhsa_exception_fp_denorm_src 0
		.amdhsa_exception_fp_ieee_div_zero 0
		.amdhsa_exception_fp_ieee_overflow 0
		.amdhsa_exception_fp_ieee_underflow 0
		.amdhsa_exception_fp_ieee_inexact 0
		.amdhsa_exception_int_div_zero 0
	.end_amdhsa_kernel
	.section	.text._ZN7rocprim17ROCPRIM_400000_NS6detail17trampoline_kernelINS0_14default_configENS1_27scan_by_key_config_selectorIsiEEZZNS1_16scan_by_key_implILNS1_25lookback_scan_determinismE0ELb1ES3_N6thrust23THRUST_200600_302600_NS6detail15normal_iteratorINS9_10device_ptrIsEEEESE_SE_iNS9_4plusIvEENS9_8equal_toIvEEiEE10hipError_tPvRmT2_T3_T4_T5_mT6_T7_P12ihipStream_tbENKUlT_T0_E_clISt17integral_constantIbLb1EESZ_EEDaSU_SV_EUlSU_E_NS1_11comp_targetILNS1_3genE8ELNS1_11target_archE1030ELNS1_3gpuE2ELNS1_3repE0EEENS1_30default_config_static_selectorELNS0_4arch9wavefront6targetE1EEEvT1_,"axG",@progbits,_ZN7rocprim17ROCPRIM_400000_NS6detail17trampoline_kernelINS0_14default_configENS1_27scan_by_key_config_selectorIsiEEZZNS1_16scan_by_key_implILNS1_25lookback_scan_determinismE0ELb1ES3_N6thrust23THRUST_200600_302600_NS6detail15normal_iteratorINS9_10device_ptrIsEEEESE_SE_iNS9_4plusIvEENS9_8equal_toIvEEiEE10hipError_tPvRmT2_T3_T4_T5_mT6_T7_P12ihipStream_tbENKUlT_T0_E_clISt17integral_constantIbLb1EESZ_EEDaSU_SV_EUlSU_E_NS1_11comp_targetILNS1_3genE8ELNS1_11target_archE1030ELNS1_3gpuE2ELNS1_3repE0EEENS1_30default_config_static_selectorELNS0_4arch9wavefront6targetE1EEEvT1_,comdat
.Lfunc_end1060:
	.size	_ZN7rocprim17ROCPRIM_400000_NS6detail17trampoline_kernelINS0_14default_configENS1_27scan_by_key_config_selectorIsiEEZZNS1_16scan_by_key_implILNS1_25lookback_scan_determinismE0ELb1ES3_N6thrust23THRUST_200600_302600_NS6detail15normal_iteratorINS9_10device_ptrIsEEEESE_SE_iNS9_4plusIvEENS9_8equal_toIvEEiEE10hipError_tPvRmT2_T3_T4_T5_mT6_T7_P12ihipStream_tbENKUlT_T0_E_clISt17integral_constantIbLb1EESZ_EEDaSU_SV_EUlSU_E_NS1_11comp_targetILNS1_3genE8ELNS1_11target_archE1030ELNS1_3gpuE2ELNS1_3repE0EEENS1_30default_config_static_selectorELNS0_4arch9wavefront6targetE1EEEvT1_, .Lfunc_end1060-_ZN7rocprim17ROCPRIM_400000_NS6detail17trampoline_kernelINS0_14default_configENS1_27scan_by_key_config_selectorIsiEEZZNS1_16scan_by_key_implILNS1_25lookback_scan_determinismE0ELb1ES3_N6thrust23THRUST_200600_302600_NS6detail15normal_iteratorINS9_10device_ptrIsEEEESE_SE_iNS9_4plusIvEENS9_8equal_toIvEEiEE10hipError_tPvRmT2_T3_T4_T5_mT6_T7_P12ihipStream_tbENKUlT_T0_E_clISt17integral_constantIbLb1EESZ_EEDaSU_SV_EUlSU_E_NS1_11comp_targetILNS1_3genE8ELNS1_11target_archE1030ELNS1_3gpuE2ELNS1_3repE0EEENS1_30default_config_static_selectorELNS0_4arch9wavefront6targetE1EEEvT1_
                                        ; -- End function
	.section	.AMDGPU.csdata,"",@progbits
; Kernel info:
; codeLenInByte = 0
; NumSgprs: 6
; NumVgprs: 0
; NumAgprs: 0
; TotalNumVgprs: 0
; ScratchSize: 0
; MemoryBound: 0
; FloatMode: 240
; IeeeMode: 1
; LDSByteSize: 0 bytes/workgroup (compile time only)
; SGPRBlocks: 0
; VGPRBlocks: 0
; NumSGPRsForWavesPerEU: 6
; NumVGPRsForWavesPerEU: 1
; AccumOffset: 4
; Occupancy: 8
; WaveLimiterHint : 0
; COMPUTE_PGM_RSRC2:SCRATCH_EN: 0
; COMPUTE_PGM_RSRC2:USER_SGPR: 2
; COMPUTE_PGM_RSRC2:TRAP_HANDLER: 0
; COMPUTE_PGM_RSRC2:TGID_X_EN: 1
; COMPUTE_PGM_RSRC2:TGID_Y_EN: 0
; COMPUTE_PGM_RSRC2:TGID_Z_EN: 0
; COMPUTE_PGM_RSRC2:TIDIG_COMP_CNT: 0
; COMPUTE_PGM_RSRC3_GFX90A:ACCUM_OFFSET: 0
; COMPUTE_PGM_RSRC3_GFX90A:TG_SPLIT: 0
	.section	.text._ZN7rocprim17ROCPRIM_400000_NS6detail30init_device_scan_by_key_kernelINS1_19lookback_scan_stateINS0_5tupleIJibEEELb1ELb1EEEN6thrust23THRUST_200600_302600_NS6detail15normal_iteratorINS8_10device_ptrIsEEEEjNS1_16block_id_wrapperIjLb0EEEEEvT_jjPNSG_10value_typeET0_PNSt15iterator_traitsISJ_E10value_typeEmT1_T2_,"axG",@progbits,_ZN7rocprim17ROCPRIM_400000_NS6detail30init_device_scan_by_key_kernelINS1_19lookback_scan_stateINS0_5tupleIJibEEELb1ELb1EEEN6thrust23THRUST_200600_302600_NS6detail15normal_iteratorINS8_10device_ptrIsEEEEjNS1_16block_id_wrapperIjLb0EEEEEvT_jjPNSG_10value_typeET0_PNSt15iterator_traitsISJ_E10value_typeEmT1_T2_,comdat
	.protected	_ZN7rocprim17ROCPRIM_400000_NS6detail30init_device_scan_by_key_kernelINS1_19lookback_scan_stateINS0_5tupleIJibEEELb1ELb1EEEN6thrust23THRUST_200600_302600_NS6detail15normal_iteratorINS8_10device_ptrIsEEEEjNS1_16block_id_wrapperIjLb0EEEEEvT_jjPNSG_10value_typeET0_PNSt15iterator_traitsISJ_E10value_typeEmT1_T2_ ; -- Begin function _ZN7rocprim17ROCPRIM_400000_NS6detail30init_device_scan_by_key_kernelINS1_19lookback_scan_stateINS0_5tupleIJibEEELb1ELb1EEEN6thrust23THRUST_200600_302600_NS6detail15normal_iteratorINS8_10device_ptrIsEEEEjNS1_16block_id_wrapperIjLb0EEEEEvT_jjPNSG_10value_typeET0_PNSt15iterator_traitsISJ_E10value_typeEmT1_T2_
	.globl	_ZN7rocprim17ROCPRIM_400000_NS6detail30init_device_scan_by_key_kernelINS1_19lookback_scan_stateINS0_5tupleIJibEEELb1ELb1EEEN6thrust23THRUST_200600_302600_NS6detail15normal_iteratorINS8_10device_ptrIsEEEEjNS1_16block_id_wrapperIjLb0EEEEEvT_jjPNSG_10value_typeET0_PNSt15iterator_traitsISJ_E10value_typeEmT1_T2_
	.p2align	8
	.type	_ZN7rocprim17ROCPRIM_400000_NS6detail30init_device_scan_by_key_kernelINS1_19lookback_scan_stateINS0_5tupleIJibEEELb1ELb1EEEN6thrust23THRUST_200600_302600_NS6detail15normal_iteratorINS8_10device_ptrIsEEEEjNS1_16block_id_wrapperIjLb0EEEEEvT_jjPNSG_10value_typeET0_PNSt15iterator_traitsISJ_E10value_typeEmT1_T2_,@function
_ZN7rocprim17ROCPRIM_400000_NS6detail30init_device_scan_by_key_kernelINS1_19lookback_scan_stateINS0_5tupleIJibEEELb1ELb1EEEN6thrust23THRUST_200600_302600_NS6detail15normal_iteratorINS8_10device_ptrIsEEEEjNS1_16block_id_wrapperIjLb0EEEEEvT_jjPNSG_10value_typeET0_PNSt15iterator_traitsISJ_E10value_typeEmT1_T2_: ; @_ZN7rocprim17ROCPRIM_400000_NS6detail30init_device_scan_by_key_kernelINS1_19lookback_scan_stateINS0_5tupleIJibEEELb1ELb1EEEN6thrust23THRUST_200600_302600_NS6detail15normal_iteratorINS8_10device_ptrIsEEEEjNS1_16block_id_wrapperIjLb0EEEEEvT_jjPNSG_10value_typeET0_PNSt15iterator_traitsISJ_E10value_typeEmT1_T2_
; %bb.0:
	s_load_dword s3, s[0:1], 0x44
	s_load_dwordx8 s[4:11], s[0:1], 0x0
	s_load_dword s18, s[0:1], 0x38
	s_waitcnt lgkmcnt(0)
	s_and_b32 s19, s3, 0xffff
	s_mul_i32 s2, s2, s19
	s_cmp_eq_u64 s[8:9], 0
	v_add_u32_e32 v4, s2, v0
	s_cbranch_scc1 .LBB1061_10
; %bb.1:
	s_cmp_lt_u32 s7, s6
	s_cselect_b32 s2, s7, 0
	s_mov_b32 s13, 0
	v_cmp_eq_u32_e32 vcc, s2, v4
	s_and_saveexec_b64 s[2:3], vcc
	s_cbranch_execz .LBB1061_9
; %bb.2:
	s_add_i32 s12, s7, 64
	s_lshl_b64 s[12:13], s[12:13], 4
	s_add_u32 s16, s4, s12
	s_addc_u32 s17, s5, s13
	v_mov_b64_e32 v[0:1], s[16:17]
	;;#ASMSTART
	global_load_dwordx4 v[0:3], v[0:1] off sc1	
s_waitcnt vmcnt(0)
	;;#ASMEND
	v_mov_b32_e32 v7, 0
	v_and_b32_e32 v6, 0xff, v2
	s_mov_b64 s[14:15], 0
	v_cmp_eq_u64_e32 vcc, 0, v[6:7]
	s_and_saveexec_b64 s[12:13], vcc
	s_cbranch_execz .LBB1061_8
; %bb.3:
	s_mov_b32 s7, 1
	v_mov_b64_e32 v[8:9], s[16:17]
.LBB1061_4:                             ; =>This Loop Header: Depth=1
                                        ;     Child Loop BB1061_5 Depth 2
	s_max_u32 s16, s7, 1
.LBB1061_5:                             ;   Parent Loop BB1061_4 Depth=1
                                        ; =>  This Inner Loop Header: Depth=2
	s_add_i32 s16, s16, -1
	s_cmp_eq_u32 s16, 0
	s_sleep 1
	s_cbranch_scc0 .LBB1061_5
; %bb.6:                                ;   in Loop: Header=BB1061_4 Depth=1
	s_cmp_lt_u32 s7, 32
	s_cselect_b64 s[16:17], -1, 0
	s_cmp_lg_u64 s[16:17], 0
	;;#ASMSTART
	global_load_dwordx4 v[0:3], v[8:9] off sc1	
s_waitcnt vmcnt(0)
	;;#ASMEND
	s_addc_u32 s7, s7, 0
	v_and_b32_e32 v6, 0xff, v2
	v_cmp_ne_u64_e32 vcc, 0, v[6:7]
	s_or_b64 s[14:15], vcc, s[14:15]
	s_andn2_b64 exec, exec, s[14:15]
	s_cbranch_execnz .LBB1061_4
; %bb.7:
	s_or_b64 exec, exec, s[14:15]
.LBB1061_8:
	s_or_b64 exec, exec, s[12:13]
	v_mov_b32_e32 v2, 0
	global_store_dword v2, v0, s[8:9]
	global_store_byte v2, v1, s[8:9] offset:4
.LBB1061_9:
	s_or_b64 exec, exec, s[2:3]
.LBB1061_10:
	v_cmp_gt_u32_e32 vcc, s6, v4
	s_and_saveexec_b64 s[2:3], vcc
	s_cbranch_execz .LBB1061_12
; %bb.11:
	v_add_u32_e32 v0, 64, v4
	v_mov_b32_e32 v1, 0
	v_lshl_add_u64 v[6:7], v[0:1], 4, s[4:5]
	v_mov_b32_e32 v0, v1
	v_mov_b32_e32 v2, v1
	;; [unrolled: 1-line block ×3, first 2 shown]
	global_store_dwordx4 v[6:7], v[0:3], off
.LBB1061_12:
	s_or_b64 exec, exec, s[2:3]
	v_cmp_gt_u32_e32 vcc, 64, v4
	v_mov_b32_e32 v5, 0
	s_and_saveexec_b64 s[2:3], vcc
	s_cbranch_execz .LBB1061_14
; %bb.13:
	v_lshl_add_u64 v[6:7], v[4:5], 4, s[4:5]
	v_mov_b32_e32 v2, 0xff
	v_mov_b32_e32 v0, v5
	;; [unrolled: 1-line block ×4, first 2 shown]
	global_store_dwordx4 v[6:7], v[0:3], off
.LBB1061_14:
	s_or_b64 exec, exec, s[2:3]
	s_load_dwordx2 s[2:3], s[0:1], 0x28
	s_waitcnt lgkmcnt(0)
	v_cmp_gt_u64_e32 vcc, s[2:3], v[4:5]
	s_and_saveexec_b64 s[4:5], vcc
	s_cbranch_execz .LBB1061_17
; %bb.15:
	s_load_dword s12, s[0:1], 0x30
	s_load_dwordx2 s[6:7], s[0:1], 0x20
	s_mov_b32 s5, 0
	s_mov_b32 s1, s5
	s_mul_i32 s0, s18, s19
	s_waitcnt lgkmcnt(0)
	s_add_i32 s4, s12, -1
	s_lshl_b64 s[4:5], s[4:5], 1
	s_add_u32 s4, s10, s4
	v_mad_u64_u32 v[0:1], s[8:9], s12, v4, 0
	s_addc_u32 s5, s11, s5
	v_lshl_add_u64 v[0:1], v[0:1], 1, s[4:5]
	s_mul_hi_u32 s5, s12, s0
	s_mul_i32 s4, s12, s0
	s_lshl_b64 s[4:5], s[4:5], 1
	v_lshl_add_u64 v[2:3], v[4:5], 1, s[6:7]
	s_lshl_b64 s[6:7], s[0:1], 1
	s_mov_b64 s[8:9], 0
.LBB1061_16:                            ; =>This Inner Loop Header: Depth=1
	global_load_ushort v6, v[0:1], off
	v_lshl_add_u64 v[4:5], v[4:5], 0, s[0:1]
	v_cmp_le_u64_e32 vcc, s[2:3], v[4:5]
	v_lshl_add_u64 v[0:1], v[0:1], 0, s[4:5]
	s_or_b64 s[8:9], vcc, s[8:9]
	s_waitcnt vmcnt(0)
	global_store_short v[2:3], v6, off
	v_lshl_add_u64 v[2:3], v[2:3], 0, s[6:7]
	s_andn2_b64 exec, exec, s[8:9]
	s_cbranch_execnz .LBB1061_16
.LBB1061_17:
	s_endpgm
	.section	.rodata,"a",@progbits
	.p2align	6, 0x0
	.amdhsa_kernel _ZN7rocprim17ROCPRIM_400000_NS6detail30init_device_scan_by_key_kernelINS1_19lookback_scan_stateINS0_5tupleIJibEEELb1ELb1EEEN6thrust23THRUST_200600_302600_NS6detail15normal_iteratorINS8_10device_ptrIsEEEEjNS1_16block_id_wrapperIjLb0EEEEEvT_jjPNSG_10value_typeET0_PNSt15iterator_traitsISJ_E10value_typeEmT1_T2_
		.amdhsa_group_segment_fixed_size 0
		.amdhsa_private_segment_fixed_size 0
		.amdhsa_kernarg_size 312
		.amdhsa_user_sgpr_count 2
		.amdhsa_user_sgpr_dispatch_ptr 0
		.amdhsa_user_sgpr_queue_ptr 0
		.amdhsa_user_sgpr_kernarg_segment_ptr 1
		.amdhsa_user_sgpr_dispatch_id 0
		.amdhsa_user_sgpr_kernarg_preload_length 0
		.amdhsa_user_sgpr_kernarg_preload_offset 0
		.amdhsa_user_sgpr_private_segment_size 0
		.amdhsa_uses_dynamic_stack 0
		.amdhsa_enable_private_segment 0
		.amdhsa_system_sgpr_workgroup_id_x 1
		.amdhsa_system_sgpr_workgroup_id_y 0
		.amdhsa_system_sgpr_workgroup_id_z 0
		.amdhsa_system_sgpr_workgroup_info 0
		.amdhsa_system_vgpr_workitem_id 0
		.amdhsa_next_free_vgpr 10
		.amdhsa_next_free_sgpr 20
		.amdhsa_accum_offset 12
		.amdhsa_reserve_vcc 1
		.amdhsa_float_round_mode_32 0
		.amdhsa_float_round_mode_16_64 0
		.amdhsa_float_denorm_mode_32 3
		.amdhsa_float_denorm_mode_16_64 3
		.amdhsa_dx10_clamp 1
		.amdhsa_ieee_mode 1
		.amdhsa_fp16_overflow 0
		.amdhsa_tg_split 0
		.amdhsa_exception_fp_ieee_invalid_op 0
		.amdhsa_exception_fp_denorm_src 0
		.amdhsa_exception_fp_ieee_div_zero 0
		.amdhsa_exception_fp_ieee_overflow 0
		.amdhsa_exception_fp_ieee_underflow 0
		.amdhsa_exception_fp_ieee_inexact 0
		.amdhsa_exception_int_div_zero 0
	.end_amdhsa_kernel
	.section	.text._ZN7rocprim17ROCPRIM_400000_NS6detail30init_device_scan_by_key_kernelINS1_19lookback_scan_stateINS0_5tupleIJibEEELb1ELb1EEEN6thrust23THRUST_200600_302600_NS6detail15normal_iteratorINS8_10device_ptrIsEEEEjNS1_16block_id_wrapperIjLb0EEEEEvT_jjPNSG_10value_typeET0_PNSt15iterator_traitsISJ_E10value_typeEmT1_T2_,"axG",@progbits,_ZN7rocprim17ROCPRIM_400000_NS6detail30init_device_scan_by_key_kernelINS1_19lookback_scan_stateINS0_5tupleIJibEEELb1ELb1EEEN6thrust23THRUST_200600_302600_NS6detail15normal_iteratorINS8_10device_ptrIsEEEEjNS1_16block_id_wrapperIjLb0EEEEEvT_jjPNSG_10value_typeET0_PNSt15iterator_traitsISJ_E10value_typeEmT1_T2_,comdat
.Lfunc_end1061:
	.size	_ZN7rocprim17ROCPRIM_400000_NS6detail30init_device_scan_by_key_kernelINS1_19lookback_scan_stateINS0_5tupleIJibEEELb1ELb1EEEN6thrust23THRUST_200600_302600_NS6detail15normal_iteratorINS8_10device_ptrIsEEEEjNS1_16block_id_wrapperIjLb0EEEEEvT_jjPNSG_10value_typeET0_PNSt15iterator_traitsISJ_E10value_typeEmT1_T2_, .Lfunc_end1061-_ZN7rocprim17ROCPRIM_400000_NS6detail30init_device_scan_by_key_kernelINS1_19lookback_scan_stateINS0_5tupleIJibEEELb1ELb1EEEN6thrust23THRUST_200600_302600_NS6detail15normal_iteratorINS8_10device_ptrIsEEEEjNS1_16block_id_wrapperIjLb0EEEEEvT_jjPNSG_10value_typeET0_PNSt15iterator_traitsISJ_E10value_typeEmT1_T2_
                                        ; -- End function
	.section	.AMDGPU.csdata,"",@progbits
; Kernel info:
; codeLenInByte = 544
; NumSgprs: 26
; NumVgprs: 10
; NumAgprs: 0
; TotalNumVgprs: 10
; ScratchSize: 0
; MemoryBound: 0
; FloatMode: 240
; IeeeMode: 1
; LDSByteSize: 0 bytes/workgroup (compile time only)
; SGPRBlocks: 3
; VGPRBlocks: 1
; NumSGPRsForWavesPerEU: 26
; NumVGPRsForWavesPerEU: 10
; AccumOffset: 12
; Occupancy: 8
; WaveLimiterHint : 0
; COMPUTE_PGM_RSRC2:SCRATCH_EN: 0
; COMPUTE_PGM_RSRC2:USER_SGPR: 2
; COMPUTE_PGM_RSRC2:TRAP_HANDLER: 0
; COMPUTE_PGM_RSRC2:TGID_X_EN: 1
; COMPUTE_PGM_RSRC2:TGID_Y_EN: 0
; COMPUTE_PGM_RSRC2:TGID_Z_EN: 0
; COMPUTE_PGM_RSRC2:TIDIG_COMP_CNT: 0
; COMPUTE_PGM_RSRC3_GFX90A:ACCUM_OFFSET: 2
; COMPUTE_PGM_RSRC3_GFX90A:TG_SPLIT: 0
	.section	.text._ZN7rocprim17ROCPRIM_400000_NS6detail17trampoline_kernelINS0_14default_configENS1_27scan_by_key_config_selectorIsiEEZZNS1_16scan_by_key_implILNS1_25lookback_scan_determinismE0ELb1ES3_N6thrust23THRUST_200600_302600_NS6detail15normal_iteratorINS9_10device_ptrIsEEEESE_SE_iNS9_4plusIvEENS9_8equal_toIvEEiEE10hipError_tPvRmT2_T3_T4_T5_mT6_T7_P12ihipStream_tbENKUlT_T0_E_clISt17integral_constantIbLb1EESY_IbLb0EEEEDaSU_SV_EUlSU_E_NS1_11comp_targetILNS1_3genE0ELNS1_11target_archE4294967295ELNS1_3gpuE0ELNS1_3repE0EEENS1_30default_config_static_selectorELNS0_4arch9wavefront6targetE1EEEvT1_,"axG",@progbits,_ZN7rocprim17ROCPRIM_400000_NS6detail17trampoline_kernelINS0_14default_configENS1_27scan_by_key_config_selectorIsiEEZZNS1_16scan_by_key_implILNS1_25lookback_scan_determinismE0ELb1ES3_N6thrust23THRUST_200600_302600_NS6detail15normal_iteratorINS9_10device_ptrIsEEEESE_SE_iNS9_4plusIvEENS9_8equal_toIvEEiEE10hipError_tPvRmT2_T3_T4_T5_mT6_T7_P12ihipStream_tbENKUlT_T0_E_clISt17integral_constantIbLb1EESY_IbLb0EEEEDaSU_SV_EUlSU_E_NS1_11comp_targetILNS1_3genE0ELNS1_11target_archE4294967295ELNS1_3gpuE0ELNS1_3repE0EEENS1_30default_config_static_selectorELNS0_4arch9wavefront6targetE1EEEvT1_,comdat
	.protected	_ZN7rocprim17ROCPRIM_400000_NS6detail17trampoline_kernelINS0_14default_configENS1_27scan_by_key_config_selectorIsiEEZZNS1_16scan_by_key_implILNS1_25lookback_scan_determinismE0ELb1ES3_N6thrust23THRUST_200600_302600_NS6detail15normal_iteratorINS9_10device_ptrIsEEEESE_SE_iNS9_4plusIvEENS9_8equal_toIvEEiEE10hipError_tPvRmT2_T3_T4_T5_mT6_T7_P12ihipStream_tbENKUlT_T0_E_clISt17integral_constantIbLb1EESY_IbLb0EEEEDaSU_SV_EUlSU_E_NS1_11comp_targetILNS1_3genE0ELNS1_11target_archE4294967295ELNS1_3gpuE0ELNS1_3repE0EEENS1_30default_config_static_selectorELNS0_4arch9wavefront6targetE1EEEvT1_ ; -- Begin function _ZN7rocprim17ROCPRIM_400000_NS6detail17trampoline_kernelINS0_14default_configENS1_27scan_by_key_config_selectorIsiEEZZNS1_16scan_by_key_implILNS1_25lookback_scan_determinismE0ELb1ES3_N6thrust23THRUST_200600_302600_NS6detail15normal_iteratorINS9_10device_ptrIsEEEESE_SE_iNS9_4plusIvEENS9_8equal_toIvEEiEE10hipError_tPvRmT2_T3_T4_T5_mT6_T7_P12ihipStream_tbENKUlT_T0_E_clISt17integral_constantIbLb1EESY_IbLb0EEEEDaSU_SV_EUlSU_E_NS1_11comp_targetILNS1_3genE0ELNS1_11target_archE4294967295ELNS1_3gpuE0ELNS1_3repE0EEENS1_30default_config_static_selectorELNS0_4arch9wavefront6targetE1EEEvT1_
	.globl	_ZN7rocprim17ROCPRIM_400000_NS6detail17trampoline_kernelINS0_14default_configENS1_27scan_by_key_config_selectorIsiEEZZNS1_16scan_by_key_implILNS1_25lookback_scan_determinismE0ELb1ES3_N6thrust23THRUST_200600_302600_NS6detail15normal_iteratorINS9_10device_ptrIsEEEESE_SE_iNS9_4plusIvEENS9_8equal_toIvEEiEE10hipError_tPvRmT2_T3_T4_T5_mT6_T7_P12ihipStream_tbENKUlT_T0_E_clISt17integral_constantIbLb1EESY_IbLb0EEEEDaSU_SV_EUlSU_E_NS1_11comp_targetILNS1_3genE0ELNS1_11target_archE4294967295ELNS1_3gpuE0ELNS1_3repE0EEENS1_30default_config_static_selectorELNS0_4arch9wavefront6targetE1EEEvT1_
	.p2align	8
	.type	_ZN7rocprim17ROCPRIM_400000_NS6detail17trampoline_kernelINS0_14default_configENS1_27scan_by_key_config_selectorIsiEEZZNS1_16scan_by_key_implILNS1_25lookback_scan_determinismE0ELb1ES3_N6thrust23THRUST_200600_302600_NS6detail15normal_iteratorINS9_10device_ptrIsEEEESE_SE_iNS9_4plusIvEENS9_8equal_toIvEEiEE10hipError_tPvRmT2_T3_T4_T5_mT6_T7_P12ihipStream_tbENKUlT_T0_E_clISt17integral_constantIbLb1EESY_IbLb0EEEEDaSU_SV_EUlSU_E_NS1_11comp_targetILNS1_3genE0ELNS1_11target_archE4294967295ELNS1_3gpuE0ELNS1_3repE0EEENS1_30default_config_static_selectorELNS0_4arch9wavefront6targetE1EEEvT1_,@function
_ZN7rocprim17ROCPRIM_400000_NS6detail17trampoline_kernelINS0_14default_configENS1_27scan_by_key_config_selectorIsiEEZZNS1_16scan_by_key_implILNS1_25lookback_scan_determinismE0ELb1ES3_N6thrust23THRUST_200600_302600_NS6detail15normal_iteratorINS9_10device_ptrIsEEEESE_SE_iNS9_4plusIvEENS9_8equal_toIvEEiEE10hipError_tPvRmT2_T3_T4_T5_mT6_T7_P12ihipStream_tbENKUlT_T0_E_clISt17integral_constantIbLb1EESY_IbLb0EEEEDaSU_SV_EUlSU_E_NS1_11comp_targetILNS1_3genE0ELNS1_11target_archE4294967295ELNS1_3gpuE0ELNS1_3repE0EEENS1_30default_config_static_selectorELNS0_4arch9wavefront6targetE1EEEvT1_: ; @_ZN7rocprim17ROCPRIM_400000_NS6detail17trampoline_kernelINS0_14default_configENS1_27scan_by_key_config_selectorIsiEEZZNS1_16scan_by_key_implILNS1_25lookback_scan_determinismE0ELb1ES3_N6thrust23THRUST_200600_302600_NS6detail15normal_iteratorINS9_10device_ptrIsEEEESE_SE_iNS9_4plusIvEENS9_8equal_toIvEEiEE10hipError_tPvRmT2_T3_T4_T5_mT6_T7_P12ihipStream_tbENKUlT_T0_E_clISt17integral_constantIbLb1EESY_IbLb0EEEEDaSU_SV_EUlSU_E_NS1_11comp_targetILNS1_3genE0ELNS1_11target_archE4294967295ELNS1_3gpuE0ELNS1_3repE0EEENS1_30default_config_static_selectorELNS0_4arch9wavefront6targetE1EEEvT1_
; %bb.0:
	.section	.rodata,"a",@progbits
	.p2align	6, 0x0
	.amdhsa_kernel _ZN7rocprim17ROCPRIM_400000_NS6detail17trampoline_kernelINS0_14default_configENS1_27scan_by_key_config_selectorIsiEEZZNS1_16scan_by_key_implILNS1_25lookback_scan_determinismE0ELb1ES3_N6thrust23THRUST_200600_302600_NS6detail15normal_iteratorINS9_10device_ptrIsEEEESE_SE_iNS9_4plusIvEENS9_8equal_toIvEEiEE10hipError_tPvRmT2_T3_T4_T5_mT6_T7_P12ihipStream_tbENKUlT_T0_E_clISt17integral_constantIbLb1EESY_IbLb0EEEEDaSU_SV_EUlSU_E_NS1_11comp_targetILNS1_3genE0ELNS1_11target_archE4294967295ELNS1_3gpuE0ELNS1_3repE0EEENS1_30default_config_static_selectorELNS0_4arch9wavefront6targetE1EEEvT1_
		.amdhsa_group_segment_fixed_size 0
		.amdhsa_private_segment_fixed_size 0
		.amdhsa_kernarg_size 112
		.amdhsa_user_sgpr_count 2
		.amdhsa_user_sgpr_dispatch_ptr 0
		.amdhsa_user_sgpr_queue_ptr 0
		.amdhsa_user_sgpr_kernarg_segment_ptr 1
		.amdhsa_user_sgpr_dispatch_id 0
		.amdhsa_user_sgpr_kernarg_preload_length 0
		.amdhsa_user_sgpr_kernarg_preload_offset 0
		.amdhsa_user_sgpr_private_segment_size 0
		.amdhsa_uses_dynamic_stack 0
		.amdhsa_enable_private_segment 0
		.amdhsa_system_sgpr_workgroup_id_x 1
		.amdhsa_system_sgpr_workgroup_id_y 0
		.amdhsa_system_sgpr_workgroup_id_z 0
		.amdhsa_system_sgpr_workgroup_info 0
		.amdhsa_system_vgpr_workitem_id 0
		.amdhsa_next_free_vgpr 1
		.amdhsa_next_free_sgpr 0
		.amdhsa_accum_offset 4
		.amdhsa_reserve_vcc 0
		.amdhsa_float_round_mode_32 0
		.amdhsa_float_round_mode_16_64 0
		.amdhsa_float_denorm_mode_32 3
		.amdhsa_float_denorm_mode_16_64 3
		.amdhsa_dx10_clamp 1
		.amdhsa_ieee_mode 1
		.amdhsa_fp16_overflow 0
		.amdhsa_tg_split 0
		.amdhsa_exception_fp_ieee_invalid_op 0
		.amdhsa_exception_fp_denorm_src 0
		.amdhsa_exception_fp_ieee_div_zero 0
		.amdhsa_exception_fp_ieee_overflow 0
		.amdhsa_exception_fp_ieee_underflow 0
		.amdhsa_exception_fp_ieee_inexact 0
		.amdhsa_exception_int_div_zero 0
	.end_amdhsa_kernel
	.section	.text._ZN7rocprim17ROCPRIM_400000_NS6detail17trampoline_kernelINS0_14default_configENS1_27scan_by_key_config_selectorIsiEEZZNS1_16scan_by_key_implILNS1_25lookback_scan_determinismE0ELb1ES3_N6thrust23THRUST_200600_302600_NS6detail15normal_iteratorINS9_10device_ptrIsEEEESE_SE_iNS9_4plusIvEENS9_8equal_toIvEEiEE10hipError_tPvRmT2_T3_T4_T5_mT6_T7_P12ihipStream_tbENKUlT_T0_E_clISt17integral_constantIbLb1EESY_IbLb0EEEEDaSU_SV_EUlSU_E_NS1_11comp_targetILNS1_3genE0ELNS1_11target_archE4294967295ELNS1_3gpuE0ELNS1_3repE0EEENS1_30default_config_static_selectorELNS0_4arch9wavefront6targetE1EEEvT1_,"axG",@progbits,_ZN7rocprim17ROCPRIM_400000_NS6detail17trampoline_kernelINS0_14default_configENS1_27scan_by_key_config_selectorIsiEEZZNS1_16scan_by_key_implILNS1_25lookback_scan_determinismE0ELb1ES3_N6thrust23THRUST_200600_302600_NS6detail15normal_iteratorINS9_10device_ptrIsEEEESE_SE_iNS9_4plusIvEENS9_8equal_toIvEEiEE10hipError_tPvRmT2_T3_T4_T5_mT6_T7_P12ihipStream_tbENKUlT_T0_E_clISt17integral_constantIbLb1EESY_IbLb0EEEEDaSU_SV_EUlSU_E_NS1_11comp_targetILNS1_3genE0ELNS1_11target_archE4294967295ELNS1_3gpuE0ELNS1_3repE0EEENS1_30default_config_static_selectorELNS0_4arch9wavefront6targetE1EEEvT1_,comdat
.Lfunc_end1062:
	.size	_ZN7rocprim17ROCPRIM_400000_NS6detail17trampoline_kernelINS0_14default_configENS1_27scan_by_key_config_selectorIsiEEZZNS1_16scan_by_key_implILNS1_25lookback_scan_determinismE0ELb1ES3_N6thrust23THRUST_200600_302600_NS6detail15normal_iteratorINS9_10device_ptrIsEEEESE_SE_iNS9_4plusIvEENS9_8equal_toIvEEiEE10hipError_tPvRmT2_T3_T4_T5_mT6_T7_P12ihipStream_tbENKUlT_T0_E_clISt17integral_constantIbLb1EESY_IbLb0EEEEDaSU_SV_EUlSU_E_NS1_11comp_targetILNS1_3genE0ELNS1_11target_archE4294967295ELNS1_3gpuE0ELNS1_3repE0EEENS1_30default_config_static_selectorELNS0_4arch9wavefront6targetE1EEEvT1_, .Lfunc_end1062-_ZN7rocprim17ROCPRIM_400000_NS6detail17trampoline_kernelINS0_14default_configENS1_27scan_by_key_config_selectorIsiEEZZNS1_16scan_by_key_implILNS1_25lookback_scan_determinismE0ELb1ES3_N6thrust23THRUST_200600_302600_NS6detail15normal_iteratorINS9_10device_ptrIsEEEESE_SE_iNS9_4plusIvEENS9_8equal_toIvEEiEE10hipError_tPvRmT2_T3_T4_T5_mT6_T7_P12ihipStream_tbENKUlT_T0_E_clISt17integral_constantIbLb1EESY_IbLb0EEEEDaSU_SV_EUlSU_E_NS1_11comp_targetILNS1_3genE0ELNS1_11target_archE4294967295ELNS1_3gpuE0ELNS1_3repE0EEENS1_30default_config_static_selectorELNS0_4arch9wavefront6targetE1EEEvT1_
                                        ; -- End function
	.section	.AMDGPU.csdata,"",@progbits
; Kernel info:
; codeLenInByte = 0
; NumSgprs: 6
; NumVgprs: 0
; NumAgprs: 0
; TotalNumVgprs: 0
; ScratchSize: 0
; MemoryBound: 0
; FloatMode: 240
; IeeeMode: 1
; LDSByteSize: 0 bytes/workgroup (compile time only)
; SGPRBlocks: 0
; VGPRBlocks: 0
; NumSGPRsForWavesPerEU: 6
; NumVGPRsForWavesPerEU: 1
; AccumOffset: 4
; Occupancy: 8
; WaveLimiterHint : 0
; COMPUTE_PGM_RSRC2:SCRATCH_EN: 0
; COMPUTE_PGM_RSRC2:USER_SGPR: 2
; COMPUTE_PGM_RSRC2:TRAP_HANDLER: 0
; COMPUTE_PGM_RSRC2:TGID_X_EN: 1
; COMPUTE_PGM_RSRC2:TGID_Y_EN: 0
; COMPUTE_PGM_RSRC2:TGID_Z_EN: 0
; COMPUTE_PGM_RSRC2:TIDIG_COMP_CNT: 0
; COMPUTE_PGM_RSRC3_GFX90A:ACCUM_OFFSET: 0
; COMPUTE_PGM_RSRC3_GFX90A:TG_SPLIT: 0
	.section	.text._ZN7rocprim17ROCPRIM_400000_NS6detail17trampoline_kernelINS0_14default_configENS1_27scan_by_key_config_selectorIsiEEZZNS1_16scan_by_key_implILNS1_25lookback_scan_determinismE0ELb1ES3_N6thrust23THRUST_200600_302600_NS6detail15normal_iteratorINS9_10device_ptrIsEEEESE_SE_iNS9_4plusIvEENS9_8equal_toIvEEiEE10hipError_tPvRmT2_T3_T4_T5_mT6_T7_P12ihipStream_tbENKUlT_T0_E_clISt17integral_constantIbLb1EESY_IbLb0EEEEDaSU_SV_EUlSU_E_NS1_11comp_targetILNS1_3genE10ELNS1_11target_archE1201ELNS1_3gpuE5ELNS1_3repE0EEENS1_30default_config_static_selectorELNS0_4arch9wavefront6targetE1EEEvT1_,"axG",@progbits,_ZN7rocprim17ROCPRIM_400000_NS6detail17trampoline_kernelINS0_14default_configENS1_27scan_by_key_config_selectorIsiEEZZNS1_16scan_by_key_implILNS1_25lookback_scan_determinismE0ELb1ES3_N6thrust23THRUST_200600_302600_NS6detail15normal_iteratorINS9_10device_ptrIsEEEESE_SE_iNS9_4plusIvEENS9_8equal_toIvEEiEE10hipError_tPvRmT2_T3_T4_T5_mT6_T7_P12ihipStream_tbENKUlT_T0_E_clISt17integral_constantIbLb1EESY_IbLb0EEEEDaSU_SV_EUlSU_E_NS1_11comp_targetILNS1_3genE10ELNS1_11target_archE1201ELNS1_3gpuE5ELNS1_3repE0EEENS1_30default_config_static_selectorELNS0_4arch9wavefront6targetE1EEEvT1_,comdat
	.protected	_ZN7rocprim17ROCPRIM_400000_NS6detail17trampoline_kernelINS0_14default_configENS1_27scan_by_key_config_selectorIsiEEZZNS1_16scan_by_key_implILNS1_25lookback_scan_determinismE0ELb1ES3_N6thrust23THRUST_200600_302600_NS6detail15normal_iteratorINS9_10device_ptrIsEEEESE_SE_iNS9_4plusIvEENS9_8equal_toIvEEiEE10hipError_tPvRmT2_T3_T4_T5_mT6_T7_P12ihipStream_tbENKUlT_T0_E_clISt17integral_constantIbLb1EESY_IbLb0EEEEDaSU_SV_EUlSU_E_NS1_11comp_targetILNS1_3genE10ELNS1_11target_archE1201ELNS1_3gpuE5ELNS1_3repE0EEENS1_30default_config_static_selectorELNS0_4arch9wavefront6targetE1EEEvT1_ ; -- Begin function _ZN7rocprim17ROCPRIM_400000_NS6detail17trampoline_kernelINS0_14default_configENS1_27scan_by_key_config_selectorIsiEEZZNS1_16scan_by_key_implILNS1_25lookback_scan_determinismE0ELb1ES3_N6thrust23THRUST_200600_302600_NS6detail15normal_iteratorINS9_10device_ptrIsEEEESE_SE_iNS9_4plusIvEENS9_8equal_toIvEEiEE10hipError_tPvRmT2_T3_T4_T5_mT6_T7_P12ihipStream_tbENKUlT_T0_E_clISt17integral_constantIbLb1EESY_IbLb0EEEEDaSU_SV_EUlSU_E_NS1_11comp_targetILNS1_3genE10ELNS1_11target_archE1201ELNS1_3gpuE5ELNS1_3repE0EEENS1_30default_config_static_selectorELNS0_4arch9wavefront6targetE1EEEvT1_
	.globl	_ZN7rocprim17ROCPRIM_400000_NS6detail17trampoline_kernelINS0_14default_configENS1_27scan_by_key_config_selectorIsiEEZZNS1_16scan_by_key_implILNS1_25lookback_scan_determinismE0ELb1ES3_N6thrust23THRUST_200600_302600_NS6detail15normal_iteratorINS9_10device_ptrIsEEEESE_SE_iNS9_4plusIvEENS9_8equal_toIvEEiEE10hipError_tPvRmT2_T3_T4_T5_mT6_T7_P12ihipStream_tbENKUlT_T0_E_clISt17integral_constantIbLb1EESY_IbLb0EEEEDaSU_SV_EUlSU_E_NS1_11comp_targetILNS1_3genE10ELNS1_11target_archE1201ELNS1_3gpuE5ELNS1_3repE0EEENS1_30default_config_static_selectorELNS0_4arch9wavefront6targetE1EEEvT1_
	.p2align	8
	.type	_ZN7rocprim17ROCPRIM_400000_NS6detail17trampoline_kernelINS0_14default_configENS1_27scan_by_key_config_selectorIsiEEZZNS1_16scan_by_key_implILNS1_25lookback_scan_determinismE0ELb1ES3_N6thrust23THRUST_200600_302600_NS6detail15normal_iteratorINS9_10device_ptrIsEEEESE_SE_iNS9_4plusIvEENS9_8equal_toIvEEiEE10hipError_tPvRmT2_T3_T4_T5_mT6_T7_P12ihipStream_tbENKUlT_T0_E_clISt17integral_constantIbLb1EESY_IbLb0EEEEDaSU_SV_EUlSU_E_NS1_11comp_targetILNS1_3genE10ELNS1_11target_archE1201ELNS1_3gpuE5ELNS1_3repE0EEENS1_30default_config_static_selectorELNS0_4arch9wavefront6targetE1EEEvT1_,@function
_ZN7rocprim17ROCPRIM_400000_NS6detail17trampoline_kernelINS0_14default_configENS1_27scan_by_key_config_selectorIsiEEZZNS1_16scan_by_key_implILNS1_25lookback_scan_determinismE0ELb1ES3_N6thrust23THRUST_200600_302600_NS6detail15normal_iteratorINS9_10device_ptrIsEEEESE_SE_iNS9_4plusIvEENS9_8equal_toIvEEiEE10hipError_tPvRmT2_T3_T4_T5_mT6_T7_P12ihipStream_tbENKUlT_T0_E_clISt17integral_constantIbLb1EESY_IbLb0EEEEDaSU_SV_EUlSU_E_NS1_11comp_targetILNS1_3genE10ELNS1_11target_archE1201ELNS1_3gpuE5ELNS1_3repE0EEENS1_30default_config_static_selectorELNS0_4arch9wavefront6targetE1EEEvT1_: ; @_ZN7rocprim17ROCPRIM_400000_NS6detail17trampoline_kernelINS0_14default_configENS1_27scan_by_key_config_selectorIsiEEZZNS1_16scan_by_key_implILNS1_25lookback_scan_determinismE0ELb1ES3_N6thrust23THRUST_200600_302600_NS6detail15normal_iteratorINS9_10device_ptrIsEEEESE_SE_iNS9_4plusIvEENS9_8equal_toIvEEiEE10hipError_tPvRmT2_T3_T4_T5_mT6_T7_P12ihipStream_tbENKUlT_T0_E_clISt17integral_constantIbLb1EESY_IbLb0EEEEDaSU_SV_EUlSU_E_NS1_11comp_targetILNS1_3genE10ELNS1_11target_archE1201ELNS1_3gpuE5ELNS1_3repE0EEENS1_30default_config_static_selectorELNS0_4arch9wavefront6targetE1EEEvT1_
; %bb.0:
	.section	.rodata,"a",@progbits
	.p2align	6, 0x0
	.amdhsa_kernel _ZN7rocprim17ROCPRIM_400000_NS6detail17trampoline_kernelINS0_14default_configENS1_27scan_by_key_config_selectorIsiEEZZNS1_16scan_by_key_implILNS1_25lookback_scan_determinismE0ELb1ES3_N6thrust23THRUST_200600_302600_NS6detail15normal_iteratorINS9_10device_ptrIsEEEESE_SE_iNS9_4plusIvEENS9_8equal_toIvEEiEE10hipError_tPvRmT2_T3_T4_T5_mT6_T7_P12ihipStream_tbENKUlT_T0_E_clISt17integral_constantIbLb1EESY_IbLb0EEEEDaSU_SV_EUlSU_E_NS1_11comp_targetILNS1_3genE10ELNS1_11target_archE1201ELNS1_3gpuE5ELNS1_3repE0EEENS1_30default_config_static_selectorELNS0_4arch9wavefront6targetE1EEEvT1_
		.amdhsa_group_segment_fixed_size 0
		.amdhsa_private_segment_fixed_size 0
		.amdhsa_kernarg_size 112
		.amdhsa_user_sgpr_count 2
		.amdhsa_user_sgpr_dispatch_ptr 0
		.amdhsa_user_sgpr_queue_ptr 0
		.amdhsa_user_sgpr_kernarg_segment_ptr 1
		.amdhsa_user_sgpr_dispatch_id 0
		.amdhsa_user_sgpr_kernarg_preload_length 0
		.amdhsa_user_sgpr_kernarg_preload_offset 0
		.amdhsa_user_sgpr_private_segment_size 0
		.amdhsa_uses_dynamic_stack 0
		.amdhsa_enable_private_segment 0
		.amdhsa_system_sgpr_workgroup_id_x 1
		.amdhsa_system_sgpr_workgroup_id_y 0
		.amdhsa_system_sgpr_workgroup_id_z 0
		.amdhsa_system_sgpr_workgroup_info 0
		.amdhsa_system_vgpr_workitem_id 0
		.amdhsa_next_free_vgpr 1
		.amdhsa_next_free_sgpr 0
		.amdhsa_accum_offset 4
		.amdhsa_reserve_vcc 0
		.amdhsa_float_round_mode_32 0
		.amdhsa_float_round_mode_16_64 0
		.amdhsa_float_denorm_mode_32 3
		.amdhsa_float_denorm_mode_16_64 3
		.amdhsa_dx10_clamp 1
		.amdhsa_ieee_mode 1
		.amdhsa_fp16_overflow 0
		.amdhsa_tg_split 0
		.amdhsa_exception_fp_ieee_invalid_op 0
		.amdhsa_exception_fp_denorm_src 0
		.amdhsa_exception_fp_ieee_div_zero 0
		.amdhsa_exception_fp_ieee_overflow 0
		.amdhsa_exception_fp_ieee_underflow 0
		.amdhsa_exception_fp_ieee_inexact 0
		.amdhsa_exception_int_div_zero 0
	.end_amdhsa_kernel
	.section	.text._ZN7rocprim17ROCPRIM_400000_NS6detail17trampoline_kernelINS0_14default_configENS1_27scan_by_key_config_selectorIsiEEZZNS1_16scan_by_key_implILNS1_25lookback_scan_determinismE0ELb1ES3_N6thrust23THRUST_200600_302600_NS6detail15normal_iteratorINS9_10device_ptrIsEEEESE_SE_iNS9_4plusIvEENS9_8equal_toIvEEiEE10hipError_tPvRmT2_T3_T4_T5_mT6_T7_P12ihipStream_tbENKUlT_T0_E_clISt17integral_constantIbLb1EESY_IbLb0EEEEDaSU_SV_EUlSU_E_NS1_11comp_targetILNS1_3genE10ELNS1_11target_archE1201ELNS1_3gpuE5ELNS1_3repE0EEENS1_30default_config_static_selectorELNS0_4arch9wavefront6targetE1EEEvT1_,"axG",@progbits,_ZN7rocprim17ROCPRIM_400000_NS6detail17trampoline_kernelINS0_14default_configENS1_27scan_by_key_config_selectorIsiEEZZNS1_16scan_by_key_implILNS1_25lookback_scan_determinismE0ELb1ES3_N6thrust23THRUST_200600_302600_NS6detail15normal_iteratorINS9_10device_ptrIsEEEESE_SE_iNS9_4plusIvEENS9_8equal_toIvEEiEE10hipError_tPvRmT2_T3_T4_T5_mT6_T7_P12ihipStream_tbENKUlT_T0_E_clISt17integral_constantIbLb1EESY_IbLb0EEEEDaSU_SV_EUlSU_E_NS1_11comp_targetILNS1_3genE10ELNS1_11target_archE1201ELNS1_3gpuE5ELNS1_3repE0EEENS1_30default_config_static_selectorELNS0_4arch9wavefront6targetE1EEEvT1_,comdat
.Lfunc_end1063:
	.size	_ZN7rocprim17ROCPRIM_400000_NS6detail17trampoline_kernelINS0_14default_configENS1_27scan_by_key_config_selectorIsiEEZZNS1_16scan_by_key_implILNS1_25lookback_scan_determinismE0ELb1ES3_N6thrust23THRUST_200600_302600_NS6detail15normal_iteratorINS9_10device_ptrIsEEEESE_SE_iNS9_4plusIvEENS9_8equal_toIvEEiEE10hipError_tPvRmT2_T3_T4_T5_mT6_T7_P12ihipStream_tbENKUlT_T0_E_clISt17integral_constantIbLb1EESY_IbLb0EEEEDaSU_SV_EUlSU_E_NS1_11comp_targetILNS1_3genE10ELNS1_11target_archE1201ELNS1_3gpuE5ELNS1_3repE0EEENS1_30default_config_static_selectorELNS0_4arch9wavefront6targetE1EEEvT1_, .Lfunc_end1063-_ZN7rocprim17ROCPRIM_400000_NS6detail17trampoline_kernelINS0_14default_configENS1_27scan_by_key_config_selectorIsiEEZZNS1_16scan_by_key_implILNS1_25lookback_scan_determinismE0ELb1ES3_N6thrust23THRUST_200600_302600_NS6detail15normal_iteratorINS9_10device_ptrIsEEEESE_SE_iNS9_4plusIvEENS9_8equal_toIvEEiEE10hipError_tPvRmT2_T3_T4_T5_mT6_T7_P12ihipStream_tbENKUlT_T0_E_clISt17integral_constantIbLb1EESY_IbLb0EEEEDaSU_SV_EUlSU_E_NS1_11comp_targetILNS1_3genE10ELNS1_11target_archE1201ELNS1_3gpuE5ELNS1_3repE0EEENS1_30default_config_static_selectorELNS0_4arch9wavefront6targetE1EEEvT1_
                                        ; -- End function
	.section	.AMDGPU.csdata,"",@progbits
; Kernel info:
; codeLenInByte = 0
; NumSgprs: 6
; NumVgprs: 0
; NumAgprs: 0
; TotalNumVgprs: 0
; ScratchSize: 0
; MemoryBound: 0
; FloatMode: 240
; IeeeMode: 1
; LDSByteSize: 0 bytes/workgroup (compile time only)
; SGPRBlocks: 0
; VGPRBlocks: 0
; NumSGPRsForWavesPerEU: 6
; NumVGPRsForWavesPerEU: 1
; AccumOffset: 4
; Occupancy: 8
; WaveLimiterHint : 0
; COMPUTE_PGM_RSRC2:SCRATCH_EN: 0
; COMPUTE_PGM_RSRC2:USER_SGPR: 2
; COMPUTE_PGM_RSRC2:TRAP_HANDLER: 0
; COMPUTE_PGM_RSRC2:TGID_X_EN: 1
; COMPUTE_PGM_RSRC2:TGID_Y_EN: 0
; COMPUTE_PGM_RSRC2:TGID_Z_EN: 0
; COMPUTE_PGM_RSRC2:TIDIG_COMP_CNT: 0
; COMPUTE_PGM_RSRC3_GFX90A:ACCUM_OFFSET: 0
; COMPUTE_PGM_RSRC3_GFX90A:TG_SPLIT: 0
	.section	.text._ZN7rocprim17ROCPRIM_400000_NS6detail17trampoline_kernelINS0_14default_configENS1_27scan_by_key_config_selectorIsiEEZZNS1_16scan_by_key_implILNS1_25lookback_scan_determinismE0ELb1ES3_N6thrust23THRUST_200600_302600_NS6detail15normal_iteratorINS9_10device_ptrIsEEEESE_SE_iNS9_4plusIvEENS9_8equal_toIvEEiEE10hipError_tPvRmT2_T3_T4_T5_mT6_T7_P12ihipStream_tbENKUlT_T0_E_clISt17integral_constantIbLb1EESY_IbLb0EEEEDaSU_SV_EUlSU_E_NS1_11comp_targetILNS1_3genE5ELNS1_11target_archE942ELNS1_3gpuE9ELNS1_3repE0EEENS1_30default_config_static_selectorELNS0_4arch9wavefront6targetE1EEEvT1_,"axG",@progbits,_ZN7rocprim17ROCPRIM_400000_NS6detail17trampoline_kernelINS0_14default_configENS1_27scan_by_key_config_selectorIsiEEZZNS1_16scan_by_key_implILNS1_25lookback_scan_determinismE0ELb1ES3_N6thrust23THRUST_200600_302600_NS6detail15normal_iteratorINS9_10device_ptrIsEEEESE_SE_iNS9_4plusIvEENS9_8equal_toIvEEiEE10hipError_tPvRmT2_T3_T4_T5_mT6_T7_P12ihipStream_tbENKUlT_T0_E_clISt17integral_constantIbLb1EESY_IbLb0EEEEDaSU_SV_EUlSU_E_NS1_11comp_targetILNS1_3genE5ELNS1_11target_archE942ELNS1_3gpuE9ELNS1_3repE0EEENS1_30default_config_static_selectorELNS0_4arch9wavefront6targetE1EEEvT1_,comdat
	.protected	_ZN7rocprim17ROCPRIM_400000_NS6detail17trampoline_kernelINS0_14default_configENS1_27scan_by_key_config_selectorIsiEEZZNS1_16scan_by_key_implILNS1_25lookback_scan_determinismE0ELb1ES3_N6thrust23THRUST_200600_302600_NS6detail15normal_iteratorINS9_10device_ptrIsEEEESE_SE_iNS9_4plusIvEENS9_8equal_toIvEEiEE10hipError_tPvRmT2_T3_T4_T5_mT6_T7_P12ihipStream_tbENKUlT_T0_E_clISt17integral_constantIbLb1EESY_IbLb0EEEEDaSU_SV_EUlSU_E_NS1_11comp_targetILNS1_3genE5ELNS1_11target_archE942ELNS1_3gpuE9ELNS1_3repE0EEENS1_30default_config_static_selectorELNS0_4arch9wavefront6targetE1EEEvT1_ ; -- Begin function _ZN7rocprim17ROCPRIM_400000_NS6detail17trampoline_kernelINS0_14default_configENS1_27scan_by_key_config_selectorIsiEEZZNS1_16scan_by_key_implILNS1_25lookback_scan_determinismE0ELb1ES3_N6thrust23THRUST_200600_302600_NS6detail15normal_iteratorINS9_10device_ptrIsEEEESE_SE_iNS9_4plusIvEENS9_8equal_toIvEEiEE10hipError_tPvRmT2_T3_T4_T5_mT6_T7_P12ihipStream_tbENKUlT_T0_E_clISt17integral_constantIbLb1EESY_IbLb0EEEEDaSU_SV_EUlSU_E_NS1_11comp_targetILNS1_3genE5ELNS1_11target_archE942ELNS1_3gpuE9ELNS1_3repE0EEENS1_30default_config_static_selectorELNS0_4arch9wavefront6targetE1EEEvT1_
	.globl	_ZN7rocprim17ROCPRIM_400000_NS6detail17trampoline_kernelINS0_14default_configENS1_27scan_by_key_config_selectorIsiEEZZNS1_16scan_by_key_implILNS1_25lookback_scan_determinismE0ELb1ES3_N6thrust23THRUST_200600_302600_NS6detail15normal_iteratorINS9_10device_ptrIsEEEESE_SE_iNS9_4plusIvEENS9_8equal_toIvEEiEE10hipError_tPvRmT2_T3_T4_T5_mT6_T7_P12ihipStream_tbENKUlT_T0_E_clISt17integral_constantIbLb1EESY_IbLb0EEEEDaSU_SV_EUlSU_E_NS1_11comp_targetILNS1_3genE5ELNS1_11target_archE942ELNS1_3gpuE9ELNS1_3repE0EEENS1_30default_config_static_selectorELNS0_4arch9wavefront6targetE1EEEvT1_
	.p2align	8
	.type	_ZN7rocprim17ROCPRIM_400000_NS6detail17trampoline_kernelINS0_14default_configENS1_27scan_by_key_config_selectorIsiEEZZNS1_16scan_by_key_implILNS1_25lookback_scan_determinismE0ELb1ES3_N6thrust23THRUST_200600_302600_NS6detail15normal_iteratorINS9_10device_ptrIsEEEESE_SE_iNS9_4plusIvEENS9_8equal_toIvEEiEE10hipError_tPvRmT2_T3_T4_T5_mT6_T7_P12ihipStream_tbENKUlT_T0_E_clISt17integral_constantIbLb1EESY_IbLb0EEEEDaSU_SV_EUlSU_E_NS1_11comp_targetILNS1_3genE5ELNS1_11target_archE942ELNS1_3gpuE9ELNS1_3repE0EEENS1_30default_config_static_selectorELNS0_4arch9wavefront6targetE1EEEvT1_,@function
_ZN7rocprim17ROCPRIM_400000_NS6detail17trampoline_kernelINS0_14default_configENS1_27scan_by_key_config_selectorIsiEEZZNS1_16scan_by_key_implILNS1_25lookback_scan_determinismE0ELb1ES3_N6thrust23THRUST_200600_302600_NS6detail15normal_iteratorINS9_10device_ptrIsEEEESE_SE_iNS9_4plusIvEENS9_8equal_toIvEEiEE10hipError_tPvRmT2_T3_T4_T5_mT6_T7_P12ihipStream_tbENKUlT_T0_E_clISt17integral_constantIbLb1EESY_IbLb0EEEEDaSU_SV_EUlSU_E_NS1_11comp_targetILNS1_3genE5ELNS1_11target_archE942ELNS1_3gpuE9ELNS1_3repE0EEENS1_30default_config_static_selectorELNS0_4arch9wavefront6targetE1EEEvT1_: ; @_ZN7rocprim17ROCPRIM_400000_NS6detail17trampoline_kernelINS0_14default_configENS1_27scan_by_key_config_selectorIsiEEZZNS1_16scan_by_key_implILNS1_25lookback_scan_determinismE0ELb1ES3_N6thrust23THRUST_200600_302600_NS6detail15normal_iteratorINS9_10device_ptrIsEEEESE_SE_iNS9_4plusIvEENS9_8equal_toIvEEiEE10hipError_tPvRmT2_T3_T4_T5_mT6_T7_P12ihipStream_tbENKUlT_T0_E_clISt17integral_constantIbLb1EESY_IbLb0EEEEDaSU_SV_EUlSU_E_NS1_11comp_targetILNS1_3genE5ELNS1_11target_archE942ELNS1_3gpuE9ELNS1_3repE0EEENS1_30default_config_static_selectorELNS0_4arch9wavefront6targetE1EEEvT1_
; %bb.0:
	s_load_dwordx8 s[44:51], s[0:1], 0x0
	s_load_dword s72, s[0:1], 0x20
	s_load_dwordx4 s[52:55], s[0:1], 0x28
	s_load_dwordx2 s[62:63], s[0:1], 0x38
	s_load_dword s3, s[0:1], 0x40
	s_load_dwordx4 s[56:59], s[0:1], 0x48
	s_waitcnt lgkmcnt(0)
	s_lshl_b64 s[60:61], s[46:47], 1
	s_add_u32 s4, s44, s60
	s_addc_u32 s5, s45, s61
	s_add_u32 s6, s48, s60
	s_mul_i32 s0, s63, s3
	s_mul_hi_u32 s1, s62, s3
	s_addc_u32 s7, s49, s61
	s_add_i32 s8, s1, s0
	s_mul_i32 s0, s2, 0x1500
	s_mov_b32 s1, 0
	s_lshl_b64 s[48:49], s[0:1], 1
	s_add_u32 s66, s4, s48
	s_addc_u32 s67, s5, s49
	s_add_u32 s64, s6, s48
	s_mul_i32 s3, s62, s3
	s_addc_u32 s65, s7, s49
	s_add_u32 s0, s3, s2
	s_addc_u32 s1, s8, 0
	s_add_u32 s4, s56, -1
	s_addc_u32 s5, s57, -1
	v_mov_b64_e32 v[2:3], s[4:5]
	v_cmp_ge_u64_e64 s[0:1], s[0:1], v[2:3]
	s_mov_b64 s[12:13], -1
	s_and_b64 vcc, exec, s[0:1]
	s_mul_i32 s33, s4, 0xffffeb00
	s_barrier
	s_cbranch_vccz .LBB1064_65
; %bb.1:
	v_mov_b64_e32 v[2:3], s[66:67]
	flat_load_ushort v1, v[2:3]
	s_add_i32 s3, s33, s54
	v_cmp_gt_u32_e32 vcc, s3, v0
	s_waitcnt vmcnt(0) lgkmcnt(0)
	v_mov_b32_e32 v17, v1
	s_and_saveexec_b64 s[4:5], vcc
	s_cbranch_execz .LBB1064_3
; %bb.2:
	v_lshlrev_b32_e32 v2, 1, v0
	v_mov_b32_e32 v3, 0
	v_lshl_add_u64 v[2:3], s[66:67], 0, v[2:3]
	flat_load_ushort v17, v[2:3]
.LBB1064_3:
	s_or_b64 exec, exec, s[4:5]
	v_or_b32_e32 v2, 0x100, v0
	v_cmp_gt_u32_e64 s[44:45], s3, v2
	v_mov_b32_e32 v18, v1
	s_and_saveexec_b64 s[4:5], s[44:45]
	s_cbranch_execz .LBB1064_5
; %bb.4:
	v_lshlrev_b32_e32 v2, 1, v0
	v_mov_b32_e32 v3, 0
	v_lshl_add_u64 v[2:3], s[66:67], 0, v[2:3]
	flat_load_ushort v18, v[2:3] offset:512
.LBB1064_5:
	s_or_b64 exec, exec, s[4:5]
	v_or_b32_e32 v2, 0x200, v0
	v_cmp_gt_u32_e64 s[4:5], s3, v2
	v_mov_b32_e32 v19, v1
	s_and_saveexec_b64 s[6:7], s[4:5]
	s_cbranch_execz .LBB1064_7
; %bb.6:
	v_lshlrev_b32_e32 v2, 1, v0
	v_mov_b32_e32 v3, 0
	v_lshl_add_u64 v[2:3], s[66:67], 0, v[2:3]
	flat_load_ushort v19, v[2:3] offset:1024
.LBB1064_7:
	;; [unrolled: 12-line block ×7, first 2 shown]
	s_or_b64 exec, exec, s[16:17]
	v_or_b32_e32 v4, 0x800, v0
	v_cmp_gt_u32_e64 s[16:17], s3, v4
	v_mov_b32_e32 v25, v1
	s_and_saveexec_b64 s[18:19], s[16:17]
	s_cbranch_execz .LBB1064_19
; %bb.18:
	v_lshlrev_b32_e32 v2, 1, v4
	v_mov_b32_e32 v3, 0
	v_lshl_add_u64 v[2:3], s[66:67], 0, v[2:3]
	flat_load_ushort v25, v[2:3]
.LBB1064_19:
	s_or_b64 exec, exec, s[18:19]
	v_or_b32_e32 v5, 0x900, v0
	v_cmp_gt_u32_e64 s[18:19], s3, v5
	v_mov_b32_e32 v26, v1
	s_and_saveexec_b64 s[20:21], s[18:19]
	s_cbranch_execz .LBB1064_21
; %bb.20:
	v_lshlrev_b32_e32 v2, 1, v5
	v_mov_b32_e32 v3, 0
	v_lshl_add_u64 v[2:3], s[66:67], 0, v[2:3]
	flat_load_ushort v26, v[2:3]
.LBB1064_21:
	;; [unrolled: 12-line block ×12, first 2 shown]
	s_or_b64 exec, exec, s[42:43]
	v_or_b32_e32 v16, 0x1400, v0
	v_cmp_gt_u32_e64 s[42:43], s3, v16
	v_mov_b32_e32 v3, 0
	s_and_saveexec_b64 s[46:47], s[42:43]
	s_cbranch_execz .LBB1064_43
; %bb.42:
	v_lshlrev_b32_e32 v2, 1, v16
	v_lshl_add_u64 v[2:3], s[66:67], 0, v[2:3]
	flat_load_ushort v1, v[2:3]
.LBB1064_43:
	s_or_b64 exec, exec, s[46:47]
	v_lshlrev_b32_e32 v2, 1, v0
	s_waitcnt vmcnt(0) lgkmcnt(0)
	ds_write_b16 v2, v17
	ds_write_b16 v2, v18 offset:512
	ds_write_b16 v2, v19 offset:1024
	;; [unrolled: 1-line block ×20, first 2 shown]
	v_mov_b64_e32 v[18:19], s[66:67]
	s_waitcnt lgkmcnt(0)
	s_barrier
	flat_load_ushort v1, v[18:19]
	v_mad_u32_u24 v3, v0, 40, v2
	s_movk_i32 s46, 0xffd8
	ds_read_u16 v52, v3
	ds_read_b128 v[38:41], v3 offset:2
	ds_read_b128 v[34:37], v3 offset:18
	ds_read_b64 v[50:51], v3 offset:34
	v_mad_i32_i24 v17, v0, s46, v3
	s_movk_i32 s46, 0xff
	v_cmp_ne_u32_e64 s[46:47], s46, v0
	s_waitcnt lgkmcnt(0)
	ds_write_b16 v17, v52 offset:11264
	s_waitcnt lgkmcnt(0)
	s_barrier
	s_and_saveexec_b64 s[56:57], s[46:47]
	s_cbranch_execz .LBB1064_45
; %bb.44:
	s_waitcnt vmcnt(0)
	ds_read_u16 v1, v2 offset:11266
.LBB1064_45:
	s_or_b64 exec, exec, s[56:57]
	v_mov_b32_e32 v3, 0
	s_waitcnt lgkmcnt(0)
	s_barrier
	s_waitcnt lgkmcnt(0)
                                        ; implicit-def: $vgpr18
	s_and_saveexec_b64 s[46:47], vcc
	s_cbranch_execz .LBB1064_66
; %bb.46:
	v_lshl_add_u64 v[18:19], s[64:65], 0, v[2:3]
	flat_load_sshort v18, v[18:19]
	s_or_b64 exec, exec, s[46:47]
                                        ; implicit-def: $vgpr19
	s_and_saveexec_b64 s[46:47], s[44:45]
	s_cbranch_execnz .LBB1064_67
.LBB1064_47:
	s_or_b64 exec, exec, s[46:47]
                                        ; implicit-def: $vgpr20
	s_and_saveexec_b64 s[44:45], s[4:5]
	s_cbranch_execz .LBB1064_68
.LBB1064_48:
	v_mov_b32_e32 v3, 0
	v_lshl_add_u64 v[20:21], s[64:65], 0, v[2:3]
	flat_load_sshort v20, v[20:21] offset:1024
	s_or_b64 exec, exec, s[44:45]
                                        ; implicit-def: $vgpr21
	s_and_saveexec_b64 s[4:5], s[6:7]
	s_cbranch_execnz .LBB1064_69
.LBB1064_49:
	s_or_b64 exec, exec, s[4:5]
                                        ; implicit-def: $vgpr22
	s_and_saveexec_b64 s[4:5], s[8:9]
	s_cbranch_execz .LBB1064_70
.LBB1064_50:
	v_mov_b32_e32 v3, 0
	v_lshl_add_u64 v[22:23], s[64:65], 0, v[2:3]
	flat_load_sshort v22, v[22:23] offset:2048
	s_or_b64 exec, exec, s[4:5]
                                        ; implicit-def: $vgpr23
	s_and_saveexec_b64 s[4:5], s[10:11]
	s_cbranch_execnz .LBB1064_71
.LBB1064_51:
	s_or_b64 exec, exec, s[4:5]
                                        ; implicit-def: $vgpr24
	s_and_saveexec_b64 s[4:5], s[12:13]
	s_cbranch_execz .LBB1064_72
.LBB1064_52:
	v_mov_b32_e32 v3, 0
	v_lshl_add_u64 v[24:25], s[64:65], 0, v[2:3]
	flat_load_sshort v24, v[24:25] offset:3072
	s_or_b64 exec, exec, s[4:5]
                                        ; implicit-def: $vgpr3
	s_and_saveexec_b64 s[4:5], s[14:15]
	s_cbranch_execnz .LBB1064_73
.LBB1064_53:
	s_or_b64 exec, exec, s[4:5]
                                        ; implicit-def: $vgpr2
	s_and_saveexec_b64 s[4:5], s[16:17]
	s_cbranch_execz .LBB1064_74
.LBB1064_54:
	v_lshlrev_b32_e32 v26, 1, v4
	v_mov_b32_e32 v27, 0
	v_lshl_add_u64 v[26:27], s[64:65], 0, v[26:27]
	flat_load_sshort v2, v[26:27]
	s_or_b64 exec, exec, s[4:5]
                                        ; implicit-def: $vgpr4
	s_and_saveexec_b64 s[4:5], s[18:19]
	s_cbranch_execnz .LBB1064_75
.LBB1064_55:
	s_or_b64 exec, exec, s[4:5]
                                        ; implicit-def: $vgpr5
	s_and_saveexec_b64 s[4:5], s[20:21]
	s_cbranch_execz .LBB1064_76
.LBB1064_56:
	v_lshlrev_b32_e32 v26, 1, v6
	v_mov_b32_e32 v27, 0
	v_lshl_add_u64 v[26:27], s[64:65], 0, v[26:27]
	flat_load_sshort v5, v[26:27]
	s_or_b64 exec, exec, s[4:5]
                                        ; implicit-def: $vgpr6
	s_and_saveexec_b64 s[4:5], s[22:23]
	s_cbranch_execnz .LBB1064_77
.LBB1064_57:
	s_or_b64 exec, exec, s[4:5]
                                        ; implicit-def: $vgpr7
	s_and_saveexec_b64 s[4:5], s[24:25]
	s_cbranch_execz .LBB1064_78
.LBB1064_58:
	v_lshlrev_b32_e32 v26, 1, v8
	v_mov_b32_e32 v27, 0
	v_lshl_add_u64 v[26:27], s[64:65], 0, v[26:27]
	flat_load_sshort v7, v[26:27]
	s_or_b64 exec, exec, s[4:5]
                                        ; implicit-def: $vgpr8
	s_and_saveexec_b64 s[4:5], s[26:27]
	s_cbranch_execnz .LBB1064_79
.LBB1064_59:
	s_or_b64 exec, exec, s[4:5]
                                        ; implicit-def: $vgpr9
	s_and_saveexec_b64 s[4:5], s[28:29]
	s_cbranch_execz .LBB1064_80
.LBB1064_60:
	v_lshlrev_b32_e32 v26, 1, v10
	v_mov_b32_e32 v27, 0
	v_lshl_add_u64 v[26:27], s[64:65], 0, v[26:27]
	flat_load_sshort v9, v[26:27]
	s_or_b64 exec, exec, s[4:5]
                                        ; implicit-def: $vgpr10
	s_and_saveexec_b64 s[4:5], s[30:31]
	s_cbranch_execnz .LBB1064_81
.LBB1064_61:
	s_or_b64 exec, exec, s[4:5]
                                        ; implicit-def: $vgpr11
	s_and_saveexec_b64 s[4:5], s[34:35]
	s_cbranch_execz .LBB1064_82
.LBB1064_62:
	v_lshlrev_b32_e32 v26, 1, v12
	v_mov_b32_e32 v27, 0
	v_lshl_add_u64 v[26:27], s[64:65], 0, v[26:27]
	flat_load_sshort v11, v[26:27]
	s_or_b64 exec, exec, s[4:5]
                                        ; implicit-def: $vgpr12
	s_and_saveexec_b64 s[4:5], s[36:37]
	s_cbranch_execnz .LBB1064_83
.LBB1064_63:
	s_or_b64 exec, exec, s[4:5]
                                        ; implicit-def: $vgpr13
	s_and_saveexec_b64 s[4:5], s[38:39]
	s_cbranch_execz .LBB1064_84
.LBB1064_64:
	v_lshlrev_b32_e32 v26, 1, v14
	v_mov_b32_e32 v27, 0
	v_lshl_add_u64 v[26:27], s[64:65], 0, v[26:27]
	flat_load_sshort v13, v[26:27]
	s_or_b64 exec, exec, s[4:5]
                                        ; implicit-def: $vgpr14
	s_and_saveexec_b64 s[4:5], s[40:41]
	s_cbranch_execz .LBB1064_86
	s_branch .LBB1064_85
.LBB1064_65:
	s_mov_b64 s[18:19], 0
                                        ; implicit-def: $sgpr16_sgpr17
                                        ; implicit-def: $vgpr2_vgpr3_vgpr4_vgpr5_vgpr6_vgpr7_vgpr8_vgpr9
                                        ; implicit-def: $vgpr10_vgpr11_vgpr12_vgpr13_vgpr14_vgpr15_vgpr16_vgpr17
                                        ; implicit-def: $vgpr18_vgpr19_vgpr20_vgpr21_vgpr22_vgpr23_vgpr24_vgpr25
                                        ; implicit-def: $vgpr26_vgpr27_vgpr28_vgpr29_vgpr30_vgpr31_vgpr32_vgpr33
                                        ; implicit-def: $vgpr54
                                        ; implicit-def: $vgpr42_vgpr43
                                        ; implicit-def: $vgpr44_vgpr45
                                        ; implicit-def: $vgpr46_vgpr47
                                        ; implicit-def: $vgpr48_vgpr49
                                        ; implicit-def: $sgpr4_sgpr5
	s_and_b64 vcc, exec, s[12:13]
	v_lshlrev_b32_e32 v50, 1, v0
	s_cbranch_vccz .LBB1064_136
	s_branch .LBB1064_131
.LBB1064_66:
	s_or_b64 exec, exec, s[46:47]
                                        ; implicit-def: $vgpr19
	s_and_saveexec_b64 s[46:47], s[44:45]
	s_cbranch_execz .LBB1064_47
.LBB1064_67:
	v_mov_b32_e32 v3, 0
	v_lshl_add_u64 v[20:21], s[64:65], 0, v[2:3]
	flat_load_sshort v19, v[20:21] offset:512
	s_or_b64 exec, exec, s[46:47]
                                        ; implicit-def: $vgpr20
	s_and_saveexec_b64 s[44:45], s[4:5]
	s_cbranch_execnz .LBB1064_48
.LBB1064_68:
	s_or_b64 exec, exec, s[44:45]
                                        ; implicit-def: $vgpr21
	s_and_saveexec_b64 s[4:5], s[6:7]
	s_cbranch_execz .LBB1064_49
.LBB1064_69:
	v_mov_b32_e32 v3, 0
	v_lshl_add_u64 v[22:23], s[64:65], 0, v[2:3]
	flat_load_sshort v21, v[22:23] offset:1536
	s_or_b64 exec, exec, s[4:5]
                                        ; implicit-def: $vgpr22
	s_and_saveexec_b64 s[4:5], s[8:9]
	s_cbranch_execnz .LBB1064_50
.LBB1064_70:
	s_or_b64 exec, exec, s[4:5]
                                        ; implicit-def: $vgpr23
	s_and_saveexec_b64 s[4:5], s[10:11]
	s_cbranch_execz .LBB1064_51
.LBB1064_71:
	v_mov_b32_e32 v3, 0
	v_lshl_add_u64 v[24:25], s[64:65], 0, v[2:3]
	flat_load_sshort v23, v[24:25] offset:2560
	s_or_b64 exec, exec, s[4:5]
                                        ; implicit-def: $vgpr24
	s_and_saveexec_b64 s[4:5], s[12:13]
	s_cbranch_execnz .LBB1064_52
.LBB1064_72:
	s_or_b64 exec, exec, s[4:5]
                                        ; implicit-def: $vgpr3
	s_and_saveexec_b64 s[4:5], s[14:15]
	s_cbranch_execz .LBB1064_53
.LBB1064_73:
	v_mov_b32_e32 v3, 0
	v_lshl_add_u64 v[2:3], s[64:65], 0, v[2:3]
	flat_load_sshort v3, v[2:3] offset:3584
	s_or_b64 exec, exec, s[4:5]
                                        ; implicit-def: $vgpr2
	s_and_saveexec_b64 s[4:5], s[16:17]
	s_cbranch_execnz .LBB1064_54
.LBB1064_74:
	s_or_b64 exec, exec, s[4:5]
                                        ; implicit-def: $vgpr4
	s_and_saveexec_b64 s[4:5], s[18:19]
	s_cbranch_execz .LBB1064_55
.LBB1064_75:
	v_lshlrev_b32_e32 v4, 1, v5
	v_mov_b32_e32 v5, 0
	v_lshl_add_u64 v[4:5], s[64:65], 0, v[4:5]
	flat_load_sshort v4, v[4:5]
	s_or_b64 exec, exec, s[4:5]
                                        ; implicit-def: $vgpr5
	s_and_saveexec_b64 s[4:5], s[20:21]
	s_cbranch_execnz .LBB1064_56
.LBB1064_76:
	s_or_b64 exec, exec, s[4:5]
                                        ; implicit-def: $vgpr6
	s_and_saveexec_b64 s[4:5], s[22:23]
	s_cbranch_execz .LBB1064_57
.LBB1064_77:
	v_lshlrev_b32_e32 v6, 1, v7
	v_mov_b32_e32 v7, 0
	v_lshl_add_u64 v[6:7], s[64:65], 0, v[6:7]
	flat_load_sshort v6, v[6:7]
	s_or_b64 exec, exec, s[4:5]
                                        ; implicit-def: $vgpr7
	s_and_saveexec_b64 s[4:5], s[24:25]
	s_cbranch_execnz .LBB1064_58
.LBB1064_78:
	s_or_b64 exec, exec, s[4:5]
                                        ; implicit-def: $vgpr8
	s_and_saveexec_b64 s[4:5], s[26:27]
	s_cbranch_execz .LBB1064_59
.LBB1064_79:
	v_lshlrev_b32_e32 v8, 1, v9
	v_mov_b32_e32 v9, 0
	v_lshl_add_u64 v[8:9], s[64:65], 0, v[8:9]
	flat_load_sshort v8, v[8:9]
	s_or_b64 exec, exec, s[4:5]
                                        ; implicit-def: $vgpr9
	s_and_saveexec_b64 s[4:5], s[28:29]
	s_cbranch_execnz .LBB1064_60
.LBB1064_80:
	s_or_b64 exec, exec, s[4:5]
                                        ; implicit-def: $vgpr10
	s_and_saveexec_b64 s[4:5], s[30:31]
	s_cbranch_execz .LBB1064_61
.LBB1064_81:
	v_lshlrev_b32_e32 v10, 1, v11
	v_mov_b32_e32 v11, 0
	v_lshl_add_u64 v[10:11], s[64:65], 0, v[10:11]
	flat_load_sshort v10, v[10:11]
	s_or_b64 exec, exec, s[4:5]
                                        ; implicit-def: $vgpr11
	s_and_saveexec_b64 s[4:5], s[34:35]
	s_cbranch_execnz .LBB1064_62
.LBB1064_82:
	s_or_b64 exec, exec, s[4:5]
                                        ; implicit-def: $vgpr12
	s_and_saveexec_b64 s[4:5], s[36:37]
	s_cbranch_execz .LBB1064_63
.LBB1064_83:
	v_lshlrev_b32_e32 v12, 1, v13
	v_mov_b32_e32 v13, 0
	v_lshl_add_u64 v[12:13], s[64:65], 0, v[12:13]
	flat_load_sshort v12, v[12:13]
	s_or_b64 exec, exec, s[4:5]
                                        ; implicit-def: $vgpr13
	s_and_saveexec_b64 s[4:5], s[38:39]
	s_cbranch_execnz .LBB1064_64
.LBB1064_84:
	s_or_b64 exec, exec, s[4:5]
                                        ; implicit-def: $vgpr14
	s_and_saveexec_b64 s[4:5], s[40:41]
	s_cbranch_execz .LBB1064_86
.LBB1064_85:
	v_lshlrev_b32_e32 v14, 1, v15
	v_mov_b32_e32 v15, 0
	v_lshl_add_u64 v[14:15], s[64:65], 0, v[14:15]
	flat_load_sshort v14, v[14:15]
.LBB1064_86:
	s_or_b64 exec, exec, s[4:5]
	v_mul_u32_u24_e32 v55, 21, v0
                                        ; implicit-def: $vgpr15
	s_and_saveexec_b64 s[4:5], s[42:43]
	s_cbranch_execz .LBB1064_88
; %bb.87:
	v_lshlrev_b32_e32 v26, 1, v16
	v_mov_b32_e32 v27, 0
	v_lshl_add_u64 v[26:27], s[64:65], 0, v[26:27]
	flat_load_sshort v15, v[26:27]
.LBB1064_88:
	s_or_b64 exec, exec, s[4:5]
	s_mov_b32 s4, 0
	v_lshl_add_u32 v53, v0, 1, v17
	s_mov_b32 s5, s4
	s_waitcnt vmcnt(0) lgkmcnt(0)
	ds_write2st64_b32 v53, v18, v19 offset1:4
	ds_write2st64_b32 v53, v20, v21 offset0:8 offset1:12
	ds_write2st64_b32 v53, v22, v23 offset0:16 offset1:20
	ds_write2st64_b32 v53, v24, v3 offset0:24 offset1:28
	ds_write2st64_b32 v53, v2, v4 offset0:32 offset1:36
	ds_write2st64_b32 v53, v5, v6 offset0:40 offset1:44
	ds_write2st64_b32 v53, v7, v8 offset0:48 offset1:52
	ds_write2st64_b32 v53, v9, v10 offset0:56 offset1:60
	ds_write2st64_b32 v53, v11, v12 offset0:64 offset1:68
	ds_write2st64_b32 v53, v13, v14 offset0:72 offset1:76
	ds_write_b32 v53, v15 offset:20480
	s_mov_b32 s6, s4
	s_mov_b32 s7, s4
	;; [unrolled: 1-line block ×6, first 2 shown]
	v_mov_b64_e32 v[2:3], s[4:5]
	v_mov_b64_e32 v[8:9], s[10:11]
	;; [unrolled: 1-line block ×8, first 2 shown]
	v_cmp_gt_u32_e32 vcc, s3, v55
	s_mov_b64 s[18:19], 0
	s_mov_b64 s[12:13], 0
	v_mov_b64_e32 v[14:15], v[6:7]
	v_mov_b64_e32 v[12:13], v[4:5]
	;; [unrolled: 1-line block ×12, first 2 shown]
	s_waitcnt lgkmcnt(0)
	s_barrier
	s_waitcnt lgkmcnt(0)
                                        ; implicit-def: $sgpr16_sgpr17
                                        ; implicit-def: $vgpr54
	s_and_saveexec_b64 s[14:15], vcc
	s_cbranch_execz .LBB1064_130
; %bb.89:
	s_movk_i32 s16, 0x50
	v_mad_u32_u24 v2, v0, s16, v53
	ds_read_b32 v2, v2
	v_mov_b32_e32 v4, s72
	v_cmp_eq_u16_e32 vcc, v52, v38
	v_add_u32_e32 v3, 1, v55
	v_mov_b64_e32 v[44:45], 0
	s_waitcnt lgkmcnt(0)
	v_cndmask_b32_e32 v42, v4, v2, vcc
	v_cmp_ne_u16_e32 vcc, v52, v38
	s_mov_b64 s[20:21], 0
	v_mov_b64_e32 v[46:47], v[44:45]
	v_cndmask_b32_e64 v43, 0, 1, vcc
	v_cmp_gt_u32_e32 vcc, s3, v3
	v_mov_b64_e32 v[2:3], s[4:5]
	v_mov_b64_e32 v[8:9], s[10:11]
	;; [unrolled: 1-line block ×17, first 2 shown]
                                        ; implicit-def: $sgpr4_sgpr5
                                        ; implicit-def: $vgpr54
	s_and_saveexec_b64 s[16:17], vcc
	s_cbranch_execz .LBB1064_129
; %bb.90:
	v_mul_u32_u24_e32 v2, 0x50, v0
	v_add_u32_e32 v56, v53, v2
	ds_read2_b32 v[52:53], v56 offset0:1 offset1:2
	v_cmp_ne_u16_sdwa s[4:5], v38, v38 src0_sel:DWORD src1_sel:WORD_1
	v_add_u32_e32 v2, 2, v55
	v_mov_b32_e32 v3, s72
	v_cndmask_b32_e64 v9, 0, 1, s[4:5]
	s_mov_b32 s4, 0
	s_mov_b32 s10, s4
	;; [unrolled: 1-line block ×3, first 2 shown]
	v_cmp_eq_u16_sdwa vcc, v38, v38 src0_sel:DWORD src1_sel:WORD_1
	s_mov_b32 s5, s4
	s_mov_b32 s6, s4
	;; [unrolled: 1-line block ×5, first 2 shown]
	v_mov_b64_e32 v[16:17], s[10:11]
	s_waitcnt lgkmcnt(0)
	v_cndmask_b32_e32 v8, v3, v52, vcc
	v_cmp_gt_u32_e32 vcc, s3, v2
	v_mov_b32_e32 v2, 0
	v_mov_b64_e32 v[14:15], s[8:9]
	v_mov_b64_e32 v[12:13], s[6:7]
	;; [unrolled: 1-line block ×6, first 2 shown]
	v_mov_b32_e32 v3, v2
	v_mov_b32_e32 v4, v2
	;; [unrolled: 1-line block ×5, first 2 shown]
	s_mov_b64 s[22:23], 0
	v_mov_b64_e32 v[22:23], v[14:15]
	v_mov_b64_e32 v[20:21], v[12:13]
	;; [unrolled: 1-line block ×8, first 2 shown]
                                        ; implicit-def: $sgpr24_sgpr25
                                        ; implicit-def: $vgpr54
	s_and_saveexec_b64 s[18:19], vcc
	s_cbranch_execz .LBB1064_128
; %bb.91:
	v_mov_b64_e32 v[16:17], s[10:11]
	v_add_u32_e32 v3, 3, v55
	v_mov_b32_e32 v4, s72
	v_cmp_eq_u16_sdwa vcc, v38, v39 src0_sel:WORD_1 src1_sel:DWORD
	v_cmp_ne_u16_sdwa s[20:21], v38, v39 src0_sel:WORD_1 src1_sel:DWORD
	v_mov_b64_e32 v[14:15], s[8:9]
	v_mov_b64_e32 v[12:13], s[6:7]
	v_mov_b64_e32 v[10:11], s[4:5]
	v_mov_b64_e32 v[44:45], 0
	v_mov_b64_e32 v[24:25], v[16:17]
	v_mov_b64_e32 v[32:33], v[16:17]
	v_cndmask_b32_e32 v6, v4, v53, vcc
	v_cndmask_b32_e64 v7, 0, 1, s[20:21]
	v_cmp_gt_u32_e32 vcc, s3, v3
	v_mov_b32_e32 v3, v2
	v_mov_b32_e32 v4, v2
	;; [unrolled: 1-line block ×3, first 2 shown]
	s_mov_b64 s[24:25], 0
	v_mov_b64_e32 v[22:23], v[14:15]
	v_mov_b64_e32 v[20:21], v[12:13]
	;; [unrolled: 1-line block ×8, first 2 shown]
                                        ; implicit-def: $sgpr4_sgpr5
                                        ; implicit-def: $vgpr54
	s_and_saveexec_b64 s[20:21], vcc
	s_cbranch_execz .LBB1064_127
; %bb.92:
	ds_read2_b32 v[52:53], v56 offset0:3 offset1:4
	v_cmp_ne_u16_sdwa s[4:5], v39, v39 src0_sel:DWORD src1_sel:WORD_1
	v_add_u32_e32 v2, 4, v55
	v_mov_b32_e32 v3, s72
	v_cndmask_b32_e64 v5, 0, 1, s[4:5]
	s_mov_b32 s4, 0
	s_mov_b32 s10, s4
	;; [unrolled: 1-line block ×8, first 2 shown]
	v_mov_b64_e32 v[16:17], s[10:11]
	v_cmp_eq_u16_sdwa vcc, v39, v39 src0_sel:DWORD src1_sel:WORD_1
	v_mov_b64_e32 v[14:15], s[8:9]
	v_mov_b64_e32 v[12:13], s[6:7]
	;; [unrolled: 1-line block ×6, first 2 shown]
	s_waitcnt lgkmcnt(0)
	v_cndmask_b32_e32 v4, v3, v52, vcc
	v_cmp_gt_u32_e32 vcc, s3, v2
	v_mov_b32_e32 v2, s4
	v_mov_b32_e32 v3, s4
	s_mov_b64 s[26:27], 0
	v_mov_b64_e32 v[22:23], v[14:15]
	v_mov_b64_e32 v[20:21], v[12:13]
	;; [unrolled: 1-line block ×8, first 2 shown]
                                        ; implicit-def: $sgpr28_sgpr29
                                        ; implicit-def: $vgpr54
	s_and_saveexec_b64 s[22:23], vcc
	s_cbranch_execz .LBB1064_126
; %bb.93:
	v_add_u32_e32 v10, 5, v55
	v_mov_b32_e32 v2, s72
	v_cmp_eq_u16_sdwa vcc, v39, v40 src0_sel:WORD_1 src1_sel:DWORD
	v_cmp_ne_u16_sdwa s[24:25], v39, v40 src0_sel:WORD_1 src1_sel:DWORD
	v_mov_b64_e32 v[44:45], 0
	v_cndmask_b32_e32 v2, v2, v53, vcc
	v_cmp_gt_u32_e32 vcc, s3, v10
	v_mov_b64_e32 v[16:17], s[10:11]
	v_mov_b64_e32 v[14:15], s[8:9]
	;; [unrolled: 1-line block ×6, first 2 shown]
	v_cndmask_b32_e64 v3, 0, 1, s[24:25]
	s_mov_b64 s[28:29], 0
	v_mov_b64_e32 v[22:23], v[14:15]
	v_mov_b64_e32 v[20:21], v[12:13]
	;; [unrolled: 1-line block ×8, first 2 shown]
                                        ; implicit-def: $sgpr4_sgpr5
                                        ; implicit-def: $vgpr54
	s_and_saveexec_b64 s[24:25], vcc
	s_cbranch_execz .LBB1064_125
; %bb.94:
	ds_read2_b32 v[38:39], v56 offset0:5 offset1:6
	v_cmp_ne_u16_sdwa s[4:5], v40, v40 src0_sel:DWORD src1_sel:WORD_1
	v_add_u32_e32 v10, 6, v55
	v_mov_b32_e32 v11, s72
	v_cndmask_b32_e64 v45, 0, 1, s[4:5]
	s_mov_b32 s4, 0
	v_cmp_eq_u16_sdwa vcc, v40, v40 src0_sel:DWORD src1_sel:WORD_1
	s_mov_b32 s10, s4
	s_mov_b32 s11, s4
	s_waitcnt lgkmcnt(0)
	v_cndmask_b32_e32 v44, v11, v38, vcc
	v_cmp_gt_u32_e32 vcc, s3, v10
	s_mov_b32 s5, s4
	s_mov_b32 s6, s4
	;; [unrolled: 1-line block ×5, first 2 shown]
	v_mov_b64_e32 v[16:17], s[10:11]
	v_mov_b64_e32 v[14:15], s[8:9]
	;; [unrolled: 1-line block ×7, first 2 shown]
	s_mov_b64 s[30:31], 0
	v_mov_b64_e32 v[22:23], v[14:15]
	v_mov_b64_e32 v[20:21], v[12:13]
	;; [unrolled: 1-line block ×7, first 2 shown]
                                        ; implicit-def: $sgpr34_sgpr35
                                        ; implicit-def: $vgpr54
	s_and_saveexec_b64 s[26:27], vcc
	s_cbranch_execz .LBB1064_124
; %bb.95:
	v_add_u32_e32 v10, 7, v55
	v_mov_b32_e32 v11, s72
	v_cmp_eq_u16_sdwa vcc, v40, v41 src0_sel:WORD_1 src1_sel:DWORD
	v_mov_b64_e32 v[24:25], s[10:11]
	v_cmp_ne_u16_sdwa s[28:29], v40, v41 src0_sel:WORD_1 src1_sel:DWORD
	v_cndmask_b32_e32 v16, v11, v39, vcc
	v_cmp_gt_u32_e32 vcc, s3, v10
	v_mov_b32_e32 v10, 0
	v_mov_b64_e32 v[22:23], s[8:9]
	v_mov_b64_e32 v[20:21], s[6:7]
	v_mov_b64_e32 v[18:19], s[4:5]
	v_mov_b64_e32 v[46:47], 0
	v_mov_b64_e32 v[32:33], v[24:25]
	v_cndmask_b32_e64 v17, 0, 1, s[28:29]
	v_mov_b32_e32 v11, v10
	v_mov_b32_e32 v12, v10
	v_mov_b32_e32 v13, v10
	v_mov_b32_e32 v14, v10
	v_mov_b32_e32 v15, v10
	s_mov_b64 s[34:35], 0
	v_mov_b64_e32 v[30:31], v[22:23]
	v_mov_b64_e32 v[28:29], v[20:21]
	v_mov_b64_e32 v[26:27], v[18:19]
	v_mov_b64_e32 v[48:49], v[46:47]
                                        ; implicit-def: $sgpr4_sgpr5
                                        ; implicit-def: $vgpr54
	s_and_saveexec_b64 s[28:29], vcc
	s_cbranch_execz .LBB1064_123
; %bb.96:
	ds_read2_b32 v[38:39], v56 offset0:7 offset1:8
	v_cmp_ne_u16_sdwa s[4:5], v41, v41 src0_sel:DWORD src1_sel:WORD_1
	v_add_u32_e32 v11, 8, v55
	v_mov_b32_e32 v12, s72
	v_cndmask_b32_e64 v15, 0, 1, s[4:5]
	s_mov_b32 s4, 0
	s_mov_b32 s10, s4
	;; [unrolled: 1-line block ×8, first 2 shown]
	v_mov_b64_e32 v[24:25], s[10:11]
	v_cmp_eq_u16_sdwa vcc, v41, v41 src0_sel:DWORD src1_sel:WORD_1
	v_mov_b64_e32 v[22:23], s[8:9]
	v_mov_b64_e32 v[20:21], s[6:7]
	;; [unrolled: 1-line block ×5, first 2 shown]
	s_waitcnt lgkmcnt(0)
	v_cndmask_b32_e32 v14, v12, v38, vcc
	v_cmp_gt_u32_e32 vcc, s3, v11
	v_mov_b32_e32 v11, v10
	v_mov_b32_e32 v12, v10
	;; [unrolled: 1-line block ×3, first 2 shown]
	s_mov_b64 s[36:37], 0
	v_mov_b64_e32 v[30:31], v[22:23]
	v_mov_b64_e32 v[28:29], v[20:21]
	;; [unrolled: 1-line block ×4, first 2 shown]
                                        ; implicit-def: $sgpr38_sgpr39
                                        ; implicit-def: $vgpr54
	s_and_saveexec_b64 s[30:31], vcc
	s_cbranch_execz .LBB1064_122
; %bb.97:
	v_mov_b64_e32 v[24:25], s[10:11]
	v_add_u32_e32 v10, 9, v55
	v_mov_b32_e32 v11, s72
	v_cmp_eq_u16_sdwa vcc, v41, v34 src0_sel:WORD_1 src1_sel:DWORD
	v_cmp_ne_u16_sdwa s[34:35], v41, v34 src0_sel:WORD_1 src1_sel:DWORD
	v_mov_b64_e32 v[22:23], s[8:9]
	v_mov_b64_e32 v[20:21], s[6:7]
	;; [unrolled: 1-line block ×5, first 2 shown]
	v_cndmask_b32_e32 v12, v11, v39, vcc
	v_cndmask_b32_e64 v13, 0, 1, s[34:35]
	v_cmp_gt_u32_e32 vcc, s3, v10
	v_mov_b32_e32 v10, s4
	v_mov_b32_e32 v11, s4
	s_mov_b64 s[38:39], 0
	v_mov_b64_e32 v[30:31], v[22:23]
	v_mov_b64_e32 v[28:29], v[20:21]
	v_mov_b64_e32 v[26:27], v[18:19]
	v_mov_b64_e32 v[48:49], v[46:47]
                                        ; implicit-def: $sgpr4_sgpr5
                                        ; implicit-def: $vgpr54
	s_and_saveexec_b64 s[34:35], vcc
	s_cbranch_execz .LBB1064_121
; %bb.98:
	ds_read2_b32 v[38:39], v56 offset0:9 offset1:10
	v_cmp_ne_u16_sdwa s[4:5], v34, v34 src0_sel:DWORD src1_sel:WORD_1
	v_add_u32_e32 v18, 10, v55
	v_mov_b32_e32 v10, s72
	v_cndmask_b32_e64 v11, 0, 1, s[4:5]
	s_mov_b32 s4, 0
	v_cmp_eq_u16_sdwa vcc, v34, v34 src0_sel:DWORD src1_sel:WORD_1
	s_mov_b32 s10, s4
	s_mov_b32 s11, s4
	s_waitcnt lgkmcnt(0)
	v_cndmask_b32_e32 v10, v10, v38, vcc
	v_cmp_gt_u32_e32 vcc, s3, v18
	s_mov_b32 s5, s4
	s_mov_b32 s6, s4
	;; [unrolled: 1-line block ×5, first 2 shown]
	v_mov_b64_e32 v[24:25], s[10:11]
	v_mov_b64_e32 v[22:23], s[8:9]
	;; [unrolled: 1-line block ×6, first 2 shown]
	s_mov_b64 s[40:41], 0
	v_mov_b64_e32 v[30:31], v[22:23]
	v_mov_b64_e32 v[28:29], v[20:21]
	v_mov_b64_e32 v[26:27], v[18:19]
	v_mov_b64_e32 v[48:49], v[46:47]
                                        ; implicit-def: $sgpr42_sgpr43
                                        ; implicit-def: $vgpr54
	s_and_saveexec_b64 s[36:37], vcc
	s_cbranch_execz .LBB1064_120
; %bb.99:
	v_add_u32_e32 v18, 11, v55
	v_mov_b32_e32 v19, s72
	v_cmp_eq_u16_sdwa vcc, v34, v35 src0_sel:WORD_1 src1_sel:DWORD
	v_cmp_ne_u16_sdwa s[38:39], v34, v35 src0_sel:WORD_1 src1_sel:DWORD
	v_mov_b64_e32 v[48:49], 0
	v_cndmask_b32_e32 v46, v19, v39, vcc
	v_cmp_gt_u32_e32 vcc, s3, v18
	v_mov_b64_e32 v[24:25], s[10:11]
	v_mov_b64_e32 v[22:23], s[8:9]
	;; [unrolled: 1-line block ×5, first 2 shown]
	v_cndmask_b32_e64 v47, 0, 1, s[38:39]
	v_mov_b64_e32 v[30:31], v[22:23]
	v_mov_b64_e32 v[28:29], v[20:21]
	;; [unrolled: 1-line block ×3, first 2 shown]
                                        ; implicit-def: $sgpr4_sgpr5
                                        ; implicit-def: $vgpr54
	s_and_saveexec_b64 s[38:39], vcc
	s_cbranch_execz .LBB1064_119
; %bb.100:
	ds_read2_b32 v[38:39], v56 offset0:11 offset1:12
	v_cmp_ne_u16_sdwa s[4:5], v35, v35 src0_sel:DWORD src1_sel:WORD_1
	v_add_u32_e32 v18, 12, v55
	v_mov_b32_e32 v19, s72
	v_cndmask_b32_e64 v25, 0, 1, s[4:5]
	s_mov_b32 s4, 0
	v_cmp_eq_u16_sdwa vcc, v35, v35 src0_sel:DWORD src1_sel:WORD_1
	s_mov_b32 s10, s4
	s_mov_b32 s11, s4
	s_waitcnt lgkmcnt(0)
	v_cndmask_b32_e32 v24, v19, v38, vcc
	v_cmp_gt_u32_e32 vcc, s3, v18
	v_mov_b32_e32 v18, 0
	s_mov_b32 s5, s4
	s_mov_b32 s6, s4
	;; [unrolled: 1-line block ×5, first 2 shown]
	v_mov_b64_e32 v[32:33], s[10:11]
	v_mov_b32_e32 v19, v18
	v_mov_b32_e32 v20, v18
	;; [unrolled: 1-line block ×5, first 2 shown]
	s_mov_b64 s[42:43], 0
	v_mov_b64_e32 v[30:31], s[8:9]
	v_mov_b64_e32 v[28:29], s[6:7]
	;; [unrolled: 1-line block ×4, first 2 shown]
                                        ; implicit-def: $sgpr46_sgpr47
                                        ; implicit-def: $vgpr54
	s_and_saveexec_b64 s[40:41], vcc
	s_cbranch_execz .LBB1064_118
; %bb.101:
	v_add_u32_e32 v19, 13, v55
	v_mov_b32_e32 v20, s72
	v_cmp_eq_u16_sdwa vcc, v35, v36 src0_sel:WORD_1 src1_sel:DWORD
	v_cmp_ne_u16_sdwa s[42:43], v35, v36 src0_sel:WORD_1 src1_sel:DWORD
	v_mov_b64_e32 v[32:33], s[10:11]
	v_cndmask_b32_e32 v22, v20, v39, vcc
	v_cndmask_b32_e64 v23, 0, 1, s[42:43]
	v_cmp_gt_u32_e32 vcc, s3, v19
	v_mov_b32_e32 v19, v18
	v_mov_b32_e32 v20, v18
	;; [unrolled: 1-line block ×3, first 2 shown]
	s_mov_b64 s[44:45], 0
	v_mov_b64_e32 v[30:31], s[8:9]
	v_mov_b64_e32 v[28:29], s[6:7]
	;; [unrolled: 1-line block ×4, first 2 shown]
                                        ; implicit-def: $sgpr4_sgpr5
                                        ; implicit-def: $vgpr54
	s_and_saveexec_b64 s[42:43], vcc
	s_cbranch_execz .LBB1064_117
; %bb.102:
	ds_read2_b32 v[34:35], v56 offset0:13 offset1:14
	v_cmp_ne_u16_sdwa s[4:5], v36, v36 src0_sel:DWORD src1_sel:WORD_1
	v_add_u32_e32 v18, 14, v55
	v_mov_b32_e32 v19, s72
	v_cndmask_b32_e64 v21, 0, 1, s[4:5]
	s_mov_b32 s4, 0
	s_mov_b32 s10, s4
	;; [unrolled: 1-line block ×3, first 2 shown]
	v_cmp_eq_u16_sdwa vcc, v36, v36 src0_sel:DWORD src1_sel:WORD_1
	s_mov_b32 s5, s4
	s_mov_b32 s6, s4
	;; [unrolled: 1-line block ×5, first 2 shown]
	v_mov_b64_e32 v[32:33], s[10:11]
	s_waitcnt lgkmcnt(0)
	v_cndmask_b32_e32 v20, v19, v34, vcc
	v_cmp_gt_u32_e32 vcc, s3, v18
	v_mov_b32_e32 v18, s4
	v_mov_b32_e32 v19, s4
	s_mov_b64 s[46:47], 0
	v_mov_b64_e32 v[30:31], s[8:9]
	v_mov_b64_e32 v[28:29], s[6:7]
	;; [unrolled: 1-line block ×4, first 2 shown]
                                        ; implicit-def: $sgpr56_sgpr57
                                        ; implicit-def: $vgpr54
	s_and_saveexec_b64 s[44:45], vcc
	s_cbranch_execz .LBB1064_116
; %bb.103:
	v_add_u32_e32 v26, 15, v55
	v_mov_b32_e32 v18, s72
	v_cmp_eq_u16_sdwa vcc, v36, v37 src0_sel:WORD_1 src1_sel:DWORD
	v_cmp_ne_u16_sdwa s[46:47], v36, v37 src0_sel:WORD_1 src1_sel:DWORD
	v_mov_b64_e32 v[48:49], 0
	v_cndmask_b32_e32 v18, v18, v35, vcc
	v_cmp_gt_u32_e32 vcc, s3, v26
	v_mov_b64_e32 v[32:33], s[10:11]
	v_cndmask_b32_e64 v19, 0, 1, s[46:47]
	s_mov_b64 s[46:47], 0
	v_mov_b64_e32 v[30:31], s[8:9]
	v_mov_b64_e32 v[28:29], s[6:7]
	;; [unrolled: 1-line block ×3, first 2 shown]
                                        ; implicit-def: $sgpr6_sgpr7
                                        ; implicit-def: $vgpr54
	s_and_saveexec_b64 s[4:5], vcc
	s_cbranch_execz .LBB1064_115
; %bb.104:
	ds_read2_b32 v[34:35], v56 offset0:15 offset1:16
	s_mov_b32 s76, 0
	v_add_u32_e32 v26, 16, v55
	v_mov_b32_e32 v27, s72
	v_cmp_eq_u16_sdwa vcc, v37, v37 src0_sel:DWORD src1_sel:WORD_1
	s_mov_b32 s77, s76
	v_cmp_ne_u16_sdwa s[6:7], v37, v37 src0_sel:DWORD src1_sel:WORD_1
	s_waitcnt lgkmcnt(0)
	v_cndmask_b32_e32 v48, v27, v34, vcc
	v_cmp_gt_u32_e32 vcc, s3, v26
	s_mov_b32 s78, s76
	s_mov_b32 s79, s76
	;; [unrolled: 1-line block ×6, first 2 shown]
	v_mov_b64_e32 v[26:27], s[76:77]
	v_cndmask_b32_e64 v49, 0, 1, s[6:7]
	s_mov_b64 s[8:9], 0
	v_mov_b64_e32 v[28:29], s[78:79]
	v_mov_b64_e32 v[30:31], s[80:81]
	;; [unrolled: 1-line block ×3, first 2 shown]
                                        ; implicit-def: $sgpr46_sgpr47
                                        ; implicit-def: $vgpr54
	s_and_saveexec_b64 s[6:7], vcc
	s_cbranch_execz .LBB1064_114
; %bb.105:
	v_add_u32_e32 v28, 17, v55
	v_mov_b32_e32 v26, s72
	v_cmp_eq_u16_sdwa vcc, v37, v50 src0_sel:WORD_1 src1_sel:DWORD
	v_cmp_ne_u16_sdwa s[8:9], v37, v50 src0_sel:WORD_1 src1_sel:DWORD
	v_mov_b32_e32 v30, 0
	v_cndmask_b32_e32 v26, v26, v35, vcc
	v_cndmask_b32_e64 v27, 0, 1, s[8:9]
	v_cmp_gt_u32_e32 vcc, s3, v28
	v_mov_b32_e32 v28, v30
	v_mov_b32_e32 v29, v30
	;; [unrolled: 1-line block ×5, first 2 shown]
	s_mov_b64 s[10:11], 0
                                        ; implicit-def: $sgpr56_sgpr57
                                        ; implicit-def: $vgpr54
	s_and_saveexec_b64 s[8:9], vcc
	s_cbranch_execz .LBB1064_113
; %bb.106:
	ds_read2_b32 v[34:35], v56 offset0:17 offset1:18
	v_add_u32_e32 v31, 18, v55
	v_mov_b32_e32 v28, s72
	v_cmp_eq_u16_sdwa vcc, v50, v50 src0_sel:DWORD src1_sel:WORD_1
	v_cmp_ne_u16_sdwa s[10:11], v50, v50 src0_sel:DWORD src1_sel:WORD_1
	s_mov_b32 s55, 0
	s_waitcnt lgkmcnt(0)
	v_cndmask_b32_e32 v28, v28, v34, vcc
	v_cndmask_b32_e64 v29, 0, 1, s[10:11]
	v_cmp_gt_u32_e32 vcc, s3, v31
	v_mov_b32_e32 v31, v30
	v_mov_b32_e32 v32, v30
	;; [unrolled: 1-line block ×3, first 2 shown]
	s_mov_b64 s[46:47], 0
                                        ; implicit-def: $sgpr68_sgpr69
                                        ; implicit-def: $vgpr54
	s_and_saveexec_b64 s[10:11], vcc
	s_cbranch_execz .LBB1064_112
; %bb.107:
	v_add_u32_e32 v32, 19, v55
	v_mov_b32_e32 v30, s72
	v_cmp_eq_u16_sdwa vcc, v50, v51 src0_sel:WORD_1 src1_sel:DWORD
	v_cmp_ne_u16_sdwa s[46:47], v50, v51 src0_sel:WORD_1 src1_sel:DWORD
	v_mov_b32_e32 v33, s55
	v_cndmask_b32_e32 v30, v30, v35, vcc
	v_cndmask_b32_e64 v31, 0, 1, s[46:47]
	v_cmp_gt_u32_e32 vcc, s3, v32
	v_mov_b32_e32 v32, s55
	s_mov_b64 s[56:57], 0
                                        ; implicit-def: $sgpr68_sgpr69
                                        ; implicit-def: $vgpr54
	s_and_saveexec_b64 s[46:47], vcc
	s_cbranch_execz .LBB1064_111
; %bb.108:
	ds_read2_b32 v[34:35], v56 offset0:19 offset1:20
	v_add_u32_e32 v36, 20, v55
	v_mov_b32_e32 v32, s72
	v_cmp_eq_u16_sdwa vcc, v51, v51 src0_sel:DWORD src1_sel:WORD_1
	v_cmp_ne_u16_sdwa s[56:57], v51, v51 src0_sel:DWORD src1_sel:WORD_1
                                        ; implicit-def: $sgpr68_sgpr69
                                        ; implicit-def: $vgpr54
	s_waitcnt lgkmcnt(0)
	v_cndmask_b32_e32 v32, v32, v34, vcc
	v_cndmask_b32_e64 v33, 0, 1, s[56:57]
	v_cmp_gt_u32_e32 vcc, s3, v36
	s_mov_b64 s[56:57], 0
	s_and_saveexec_b64 s[70:71], vcc
	s_xor_b64 s[70:71], exec, s[70:71]
; %bb.109:
	v_mov_b32_e32 v34, s72
	v_cmp_ne_u16_sdwa vcc, v51, v1 src0_sel:WORD_1 src1_sel:DWORD
	s_mov_b64 s[56:57], exec
	s_and_b64 s[68:69], vcc, exec
	v_cndmask_b32_e32 v54, v35, v34, vcc
; %bb.110:
	s_or_b64 exec, exec, s[70:71]
	s_and_b64 s[68:69], s[68:69], exec
	s_and_b64 s[56:57], s[56:57], exec
.LBB1064_111:
	s_or_b64 exec, exec, s[46:47]
	s_and_b64 s[68:69], s[68:69], exec
	s_and_b64 s[46:47], s[56:57], exec
.LBB1064_112:
	s_or_b64 exec, exec, s[10:11]
	s_and_b64 s[56:57], s[68:69], exec
	s_and_b64 s[10:11], s[46:47], exec
.LBB1064_113:
	s_or_b64 exec, exec, s[8:9]
	s_and_b64 s[46:47], s[56:57], exec
	s_and_b64 s[8:9], s[10:11], exec
.LBB1064_114:
	s_or_b64 exec, exec, s[6:7]
	s_and_b64 s[6:7], s[46:47], exec
	s_and_b64 s[46:47], s[8:9], exec
.LBB1064_115:
	s_or_b64 exec, exec, s[4:5]
	s_and_b64 s[56:57], s[6:7], exec
	s_and_b64 s[46:47], s[46:47], exec
.LBB1064_116:
	s_or_b64 exec, exec, s[44:45]
	s_and_b64 s[4:5], s[56:57], exec
	s_and_b64 s[44:45], s[46:47], exec
.LBB1064_117:
	s_or_b64 exec, exec, s[42:43]
	s_and_b64 s[46:47], s[4:5], exec
	s_and_b64 s[42:43], s[44:45], exec
.LBB1064_118:
	s_or_b64 exec, exec, s[40:41]
	s_and_b64 s[4:5], s[46:47], exec
	s_and_b64 s[40:41], s[42:43], exec
.LBB1064_119:
	s_or_b64 exec, exec, s[38:39]
	s_and_b64 s[42:43], s[4:5], exec
	s_and_b64 s[38:39], s[40:41], exec
.LBB1064_120:
	s_or_b64 exec, exec, s[36:37]
	s_and_b64 s[4:5], s[42:43], exec
	s_and_b64 s[36:37], s[38:39], exec
.LBB1064_121:
	s_or_b64 exec, exec, s[34:35]
	s_and_b64 s[38:39], s[4:5], exec
	s_and_b64 s[34:35], s[36:37], exec
.LBB1064_122:
	s_or_b64 exec, exec, s[30:31]
	s_and_b64 s[4:5], s[38:39], exec
	s_and_b64 s[30:31], s[34:35], exec
.LBB1064_123:
	s_or_b64 exec, exec, s[28:29]
	s_and_b64 s[34:35], s[4:5], exec
	s_and_b64 s[28:29], s[30:31], exec
.LBB1064_124:
	s_or_b64 exec, exec, s[26:27]
	s_and_b64 s[4:5], s[34:35], exec
	s_and_b64 s[26:27], s[28:29], exec
.LBB1064_125:
	s_or_b64 exec, exec, s[24:25]
	s_and_b64 s[28:29], s[4:5], exec
	s_and_b64 s[24:25], s[26:27], exec
.LBB1064_126:
	s_or_b64 exec, exec, s[22:23]
	s_and_b64 s[4:5], s[28:29], exec
	s_and_b64 s[22:23], s[24:25], exec
.LBB1064_127:
	s_or_b64 exec, exec, s[20:21]
	s_and_b64 s[24:25], s[4:5], exec
	s_and_b64 s[20:21], s[22:23], exec
.LBB1064_128:
	s_or_b64 exec, exec, s[18:19]
	s_and_b64 s[4:5], s[24:25], exec
	s_and_b64 s[18:19], s[20:21], exec
.LBB1064_129:
	s_or_b64 exec, exec, s[16:17]
	s_and_b64 s[16:17], s[4:5], exec
	s_and_b64 s[18:19], s[18:19], exec
.LBB1064_130:
	s_or_b64 exec, exec, s[14:15]
	s_mov_b64 s[4:5], 0
	s_and_b64 vcc, exec, s[12:13]
	v_lshlrev_b32_e32 v50, 1, v0
	s_cbranch_vccz .LBB1064_136
.LBB1064_131:
	v_mov_b32_e32 v51, 0
	v_lshl_add_u64 v[2:3], s[66:67], 0, v[50:51]
	v_add_co_u32_e32 v4, vcc, 0x1000, v2
	flat_load_ushort v1, v[2:3]
	flat_load_ushort v6, v[2:3] offset:512
	flat_load_ushort v7, v[2:3] offset:1024
	;; [unrolled: 1-line block ×7, first 2 shown]
	v_addc_co_u32_e32 v5, vcc, 0, v3, vcc
	v_add_co_u32_e32 v2, vcc, 0x2000, v2
	flat_load_ushort v13, v[4:5]
	flat_load_ushort v14, v[4:5] offset:512
	flat_load_ushort v15, v[4:5] offset:1024
	flat_load_ushort v16, v[4:5] offset:1536
	flat_load_ushort v17, v[4:5] offset:2048
	flat_load_ushort v18, v[4:5] offset:2560
	flat_load_ushort v19, v[4:5] offset:3072
	flat_load_ushort v20, v[4:5] offset:3584
	v_addc_co_u32_e32 v3, vcc, 0, v3, vcc
	flat_load_ushort v4, v[2:3]
	flat_load_ushort v5, v[2:3] offset:512
	flat_load_ushort v21, v[2:3] offset:1024
	;; [unrolled: 1-line block ×4, first 2 shown]
	v_mov_b32_e32 v2, s66
	v_mov_b32_e32 v3, s67
	v_add_co_u32_e32 v2, vcc, 0x2000, v2
	s_movk_i32 s6, 0xffd8
	s_nop 0
	v_addc_co_u32_e32 v3, vcc, 0, v3, vcc
	s_mov_b32 s4, 0
	s_mov_b32 s5, 1
	s_movk_i32 s8, 0x1000
	s_movk_i32 s3, 0x2000
	s_waitcnt vmcnt(0) lgkmcnt(0)
	ds_write_b16 v50, v1
	ds_write_b16 v50, v6 offset:512
	ds_write_b16 v50, v7 offset:1024
	;; [unrolled: 1-line block ×20, first 2 shown]
	s_waitcnt lgkmcnt(0)
	s_barrier
	flat_load_ushort v1, v[2:3] offset:2560
	v_mad_u32_u24 v2, v0, 40, v50
	ds_read_b96 v[8:10], v2
	ds_read_b64 v[18:19], v2 offset:12
	ds_read_b96 v[26:28], v2 offset:20
	ds_read_b64 v[34:35], v2 offset:32
	ds_read_u16 v40, v2 offset:40
	v_mad_i32_i24 v2, v0, s6, v2
	s_movk_i32 s6, 0xff
	v_cmp_ne_u32_e32 vcc, s6, v0
	s_waitcnt lgkmcnt(0)
	ds_write_b16 v2, v8 offset:11264
	s_waitcnt lgkmcnt(0)
	s_barrier
	s_and_saveexec_b64 s[6:7], vcc
	s_cbranch_execz .LBB1064_133
; %bb.132:
	s_waitcnt vmcnt(0)
	ds_read_u16 v1, v50 offset:11266
.LBB1064_133:
	s_or_b64 exec, exec, s[6:7]
	v_lshl_add_u64 v[4:5], s[64:65], 0, v[50:51]
	v_add_co_u32_e32 v6, vcc, s8, v4
	s_waitcnt lgkmcnt(0)
	s_nop 0
	v_addc_co_u32_e32 v7, vcc, 0, v5, vcc
	s_barrier
	flat_load_sshort v3, v[4:5]
	flat_load_sshort v12, v[4:5] offset:512
	flat_load_sshort v13, v[4:5] offset:1024
	;; [unrolled: 1-line block ×7, first 2 shown]
	v_add_co_u32_e32 v4, vcc, s3, v4
	flat_load_sshort v21, v[6:7]
	flat_load_sshort v22, v[6:7] offset:512
	flat_load_sshort v23, v[6:7] offset:1024
	;; [unrolled: 1-line block ×7, first 2 shown]
	v_addc_co_u32_e32 v5, vcc, 0, v5, vcc
	flat_load_sshort v6, v[4:5]
	flat_load_sshort v7, v[4:5] offset:512
	flat_load_sshort v32, v[4:5] offset:1024
	;; [unrolled: 1-line block ×4, first 2 shown]
	v_lshl_add_u32 v2, v0, 1, v2
	s_movk_i32 s3, 0x50
	v_mad_u32_u24 v41, v0, s3, v2
	v_alignbit_b32 v11, v10, v9, 16
	v_cmp_eq_u16_sdwa s[6:7], v8, v8 src0_sel:DWORD src1_sel:WORD_1
	v_mov_b64_e32 v[42:43], s[4:5]
	s_waitcnt vmcnt(0) lgkmcnt(0)
	ds_write2st64_b32 v2, v3, v12 offset1:4
	ds_write2st64_b32 v2, v13, v14 offset0:8 offset1:12
	ds_write2st64_b32 v2, v15, v16 offset0:16 offset1:20
	;; [unrolled: 1-line block ×9, first 2 shown]
	ds_write_b32 v2, v36 offset:20480
	s_waitcnt lgkmcnt(0)
	s_barrier
	ds_read2_b32 v[12:13], v41 offset0:8 offset1:9
	ds_read2_b32 v[14:15], v41 offset0:6 offset1:7
	ds_read2_b32 v[4:5], v41 offset0:3 offset1:4
	ds_read2_b32 v[6:7], v41 offset0:1 offset1:2
	ds_read2_b32 v[24:25], v41 offset0:5 offset1:10
	ds_read2_b32 v[36:37], v41 offset0:15 offset1:20
	ds_read2_b32 v[30:31], v41 offset0:18 offset1:19
	ds_read2_b32 v[38:39], v41 offset0:16 offset1:17
	ds_read2_b32 v[20:21], v41 offset0:13 offset1:14
	ds_read2_b32 v[22:23], v41 offset0:11 offset1:12
	v_alignbit_b32 v16, v9, v8, 16
	v_mov_b32_e32 v3, s72
	s_and_saveexec_b64 s[4:5], s[6:7]
	s_cbranch_execz .LBB1064_135
; %bb.134:
	v_mul_u32_u24_e32 v3, 0x50, v0
	v_add_u32_e32 v2, v2, v3
	ds_read_b32 v3, v2
	v_mov_b64_e32 v[42:43], 0
.LBB1064_135:
	s_or_b64 exec, exec, s[4:5]
	v_mov_b32_e32 v41, s72
	v_cmp_eq_u16_sdwa vcc, v11, v10 src0_sel:WORD_1 src1_sel:WORD_1
	v_cmp_ne_u16_sdwa s[4:5], v11, v10 src0_sel:WORD_1 src1_sel:WORD_1
	s_waitcnt lgkmcnt(0)
	v_or_b32_e32 v42, v42, v3
	v_cndmask_b32_e32 v2, v41, v5, vcc
	v_cmp_eq_u16_sdwa vcc, v16, v16 src0_sel:DWORD src1_sel:WORD_1
	v_cndmask_b32_e64 v3, 0, 1, s[4:5]
	v_cmp_ne_u16_sdwa s[4:5], v16, v16 src0_sel:DWORD src1_sel:WORD_1
	v_cndmask_b32_e32 v8, v41, v6, vcc
	v_cmp_eq_u16_sdwa vcc, v16, v11 src0_sel:WORD_1 src1_sel:DWORD
	v_cndmask_b32_e64 v9, 0, 1, s[4:5]
	v_cmp_ne_u16_sdwa s[4:5], v16, v11 src0_sel:WORD_1 src1_sel:DWORD
	v_cndmask_b32_e32 v6, v41, v7, vcc
	v_cmp_eq_u16_sdwa vcc, v11, v11 src0_sel:DWORD src1_sel:WORD_1
	v_cndmask_b32_e64 v7, 0, 1, s[4:5]
	v_cmp_ne_u16_sdwa s[4:5], v11, v11 src0_sel:DWORD src1_sel:WORD_1
	v_cndmask_b32_e32 v4, v41, v4, vcc
	v_cmp_eq_u16_sdwa vcc, v10, v18 src0_sel:WORD_1 src1_sel:DWORD
	v_cndmask_b32_e64 v5, 0, 1, s[4:5]
	v_cmp_ne_u16_sdwa s[4:5], v10, v18 src0_sel:WORD_1 src1_sel:DWORD
	;; [unrolled: 8-line block ×3, first 2 shown]
	v_cndmask_b32_e32 v14, v41, v15, vcc
	v_cmp_eq_u16_sdwa vcc, v19, v19 src0_sel:DWORD src1_sel:WORD_1
	v_cndmask_b32_e64 v15, 0, 1, s[4:5]
	v_cmp_ne_u16_sdwa s[4:5], v19, v19 src0_sel:DWORD src1_sel:WORD_1
	v_cndmask_b32_e32 v12, v41, v12, vcc
	v_cmp_eq_u16_sdwa vcc, v19, v26 src0_sel:WORD_1 src1_sel:DWORD
	v_cmp_ne_u16_e64 s[16:17], v40, v1
	s_mov_b64 s[18:19], -1
	v_cndmask_b32_e32 v10, v41, v13, vcc
	v_cndmask_b32_e64 v13, 0, 1, s[4:5]
	v_cmp_ne_u16_sdwa s[4:5], v19, v26 src0_sel:WORD_1 src1_sel:DWORD
	v_cmp_eq_u16_sdwa vcc, v26, v26 src0_sel:DWORD src1_sel:WORD_1
	v_cndmask_b32_e64 v54, v37, v41, s[16:17]
	v_cndmask_b32_e64 v11, 0, 1, s[4:5]
	v_cndmask_b32_e32 v46, v41, v25, vcc
	v_cmp_ne_u16_sdwa s[4:5], v26, v26 src0_sel:DWORD src1_sel:WORD_1
	v_cmp_eq_u16_sdwa vcc, v26, v27 src0_sel:WORD_1 src1_sel:DWORD
	s_nop 0
	v_cndmask_b32_e64 v47, 0, 1, s[4:5]
	v_cndmask_b32_e32 v24, v41, v22, vcc
	v_cmp_eq_u16_sdwa vcc, v27, v27 src0_sel:DWORD src1_sel:WORD_1
	v_cmp_ne_u16_sdwa s[4:5], v26, v27 src0_sel:WORD_1 src1_sel:DWORD
	s_nop 0
	v_cndmask_b32_e32 v22, v41, v23, vcc
	v_cmp_eq_u16_sdwa vcc, v27, v28 src0_sel:WORD_1 src1_sel:DWORD
	v_cndmask_b32_e64 v25, 0, 1, s[4:5]
	v_cmp_ne_u16_sdwa s[4:5], v27, v27 src0_sel:DWORD src1_sel:WORD_1
	v_cndmask_b32_e32 v20, v41, v20, vcc
	v_cmp_eq_u16_sdwa vcc, v28, v28 src0_sel:DWORD src1_sel:WORD_1
	v_cndmask_b32_e64 v23, 0, 1, s[4:5]
	v_cmp_ne_u16_sdwa s[4:5], v27, v28 src0_sel:WORD_1 src1_sel:DWORD
	v_cndmask_b32_e32 v18, v41, v21, vcc
	v_cmp_eq_u16_sdwa vcc, v28, v34 src0_sel:WORD_1 src1_sel:DWORD
	v_cndmask_b32_e64 v21, 0, 1, s[4:5]
	v_cmp_ne_u16_sdwa s[4:5], v28, v28 src0_sel:DWORD src1_sel:WORD_1
	v_cndmask_b32_e32 v48, v41, v36, vcc
	v_cmp_eq_u16_sdwa vcc, v35, v40 src0_sel:WORD_1 src1_sel:DWORD
	v_cndmask_b32_e64 v19, 0, 1, s[4:5]
	v_cmp_ne_u16_sdwa s[4:5], v28, v34 src0_sel:WORD_1 src1_sel:DWORD
	v_cndmask_b32_e32 v32, v41, v31, vcc
	v_cmp_eq_u16_sdwa vcc, v35, v35 src0_sel:DWORD src1_sel:WORD_1
	v_cndmask_b32_e64 v49, 0, 1, s[4:5]
	v_cmp_ne_u16_sdwa s[4:5], v35, v40 src0_sel:WORD_1 src1_sel:DWORD
	v_cndmask_b32_e32 v30, v41, v30, vcc
	v_cmp_eq_u16_sdwa vcc, v34, v35 src0_sel:WORD_1 src1_sel:DWORD
	v_cndmask_b32_e64 v33, 0, 1, s[4:5]
	v_cmp_ne_u16_sdwa s[4:5], v35, v35 src0_sel:DWORD src1_sel:WORD_1
	v_cndmask_b32_e32 v28, v41, v39, vcc
	v_cmp_eq_u16_sdwa vcc, v34, v34 src0_sel:DWORD src1_sel:WORD_1
	v_cndmask_b32_e64 v31, 0, 1, s[4:5]
	v_cmp_ne_u16_sdwa s[4:5], v34, v35 src0_sel:WORD_1 src1_sel:DWORD
	v_cndmask_b32_e32 v26, v41, v38, vcc
	s_nop 0
	v_cndmask_b32_e64 v29, 0, 1, s[4:5]
	v_cmp_ne_u16_sdwa s[4:5], v34, v34 src0_sel:DWORD src1_sel:WORD_1
	s_nop 1
	v_cndmask_b32_e64 v27, 0, 1, s[4:5]
                                        ; implicit-def: $sgpr4_sgpr5
.LBB1064_136:
	v_mov_b64_e32 v[52:53], s[4:5]
	s_and_saveexec_b64 s[4:5], s[18:19]
; %bb.137:
	v_cndmask_b32_e64 v55, 0, 1, s[16:17]
	v_mov_b64_e32 v[52:53], v[54:55]
; %bb.138:
	s_or_b64 exec, exec, s[4:5]
	s_mov_b32 s42, 0
	s_cmp_lg_u32 s2, 0
	v_mbcnt_lo_u32_b32 v58, -1, 0
	v_lshrrev_b32_e32 v1, 6, v0
	v_or_b32_e32 v51, 63, v0
	s_barrier
	s_cbranch_scc0 .LBB1064_171
; %bb.139:
	s_mov_b32 s43, 1
	v_cmp_gt_u64_e64 s[44:45], s[42:43], v[8:9]
	v_cmp_gt_u64_e64 s[4:5], s[42:43], v[6:7]
	v_cmp_gt_u64_e64 s[6:7], s[42:43], v[4:5]
	v_cndmask_b32_e64 v34, 0, v42, s[44:45]
	v_add_u32_e32 v34, v34, v8
	v_cndmask_b32_e64 v34, 0, v34, s[4:5]
	v_add_u32_e32 v34, v34, v6
	v_cndmask_b32_e64 v34, 0, v34, s[6:7]
	v_add_u32_e32 v34, v34, v4
	v_cmp_gt_u64_e64 s[8:9], s[42:43], v[2:3]
	v_cmp_gt_u64_e64 s[10:11], s[42:43], v[44:45]
	v_cmp_gt_u64_e64 s[12:13], s[42:43], v[16:17]
	v_cndmask_b32_e64 v34, 0, v34, s[8:9]
	v_add_u32_e32 v34, v34, v2
	v_cndmask_b32_e64 v34, 0, v34, s[10:11]
	v_add_u32_e32 v34, v34, v44
	v_cndmask_b32_e64 v34, 0, v34, s[12:13]
	v_add_u32_e32 v34, v34, v16
	;; [unrolled: 9-line block ×4, first 2 shown]
	v_cmp_gt_u64_e64 s[26:27], s[42:43], v[20:21]
	v_cmp_gt_u64_e64 s[28:29], s[42:43], v[18:19]
	;; [unrolled: 1-line block ×3, first 2 shown]
	v_cndmask_b32_e64 v34, 0, v34, s[26:27]
	v_add_u32_e32 v34, v34, v20
	v_cndmask_b32_e64 v34, 0, v34, s[28:29]
	v_add_u32_e32 v34, v34, v18
	v_or_b32_e32 v35, v53, v33
	v_cndmask_b32_e64 v34, 0, v34, s[30:31]
	v_or3_b32 v35, v35, v31, v29
	v_add_u32_e32 v34, v34, v48
	v_cmp_gt_u64_e64 s[34:35], s[42:43], v[26:27]
	v_or3_b32 v35, v35, v27, v49
	v_or3_b32 v35, v35, v19, v21
	v_cndmask_b32_e64 v34, 0, v34, s[34:35]
	v_add_u32_e32 v34, v34, v26
	v_cmp_gt_u64_e64 s[36:37], s[42:43], v[28:29]
	v_or3_b32 v35, v35, v23, v25
	v_or3_b32 v35, v35, v47, v11
	v_cndmask_b32_e64 v34, 0, v34, s[36:37]
	;; [unrolled: 5-line block ×4, first 2 shown]
	v_add_u32_e32 v34, v34, v32
	v_cmp_gt_u64_e32 vcc, s[42:43], v[52:53]
	v_and_b32_e32 v35, 1, v35
	v_mbcnt_hi_u32_b32 v63, -1, v58
	v_cndmask_b32_e32 v34, 0, v34, vcc
	v_cmp_eq_u32_e32 vcc, 1, v35
	v_add_u32_e32 v34, v34, v52
	v_and_b32_e32 v37, 15, v63
	v_cndmask_b32_e64 v35, v43, 1, vcc
	v_and_b32_e32 v36, 0xff, v35
	v_mov_b32_dpp v38, v34 row_shr:1 row_mask:0xf bank_mask:0xf
	v_cmp_eq_u16_e32 vcc, 0, v36
	v_mov_b32_dpp v39, v36 row_shr:1 row_mask:0xf bank_mask:0xf
	v_and_b32_e32 v40, 1, v35
	v_cndmask_b32_e32 v38, 0, v38, vcc
	v_and_b32_e32 v39, 1, v39
	v_cmp_eq_u32_e32 vcc, 1, v40
	s_nop 1
	v_cndmask_b32_e64 v39, v39, 1, vcc
	v_and_b32_e32 v40, 0xffff, v39
	v_cmp_eq_u32_e32 vcc, 0, v37
	s_nop 1
	v_cndmask_b32_e32 v35, v39, v35, vcc
	v_cndmask_b32_e32 v36, v40, v36, vcc
	v_and_b32_e32 v41, 1, v35
	v_cndmask_b32_e64 v38, v38, 0, vcc
	v_mov_b32_dpp v39, v36 row_shr:2 row_mask:0xf bank_mask:0xf
	v_and_b32_e32 v39, 1, v39
	v_cmp_eq_u32_e32 vcc, 1, v41
	v_mov_b32_e32 v40, 0
	v_add_u32_e32 v34, v38, v34
	v_cndmask_b32_e64 v39, v39, 1, vcc
	v_and_b32_e32 v41, 0xffff, v39
	v_cmp_lt_u32_e32 vcc, 1, v37
	v_cmp_eq_u16_sdwa s[42:43], v35, v40 src0_sel:BYTE_0 src1_sel:DWORD
	v_mov_b32_dpp v38, v34 row_shr:2 row_mask:0xf bank_mask:0xf
	v_cndmask_b32_e32 v35, v35, v39, vcc
	v_cndmask_b32_e32 v36, v36, v41, vcc
	s_and_b64 vcc, vcc, s[42:43]
	v_and_b32_e32 v41, 1, v35
	v_mov_b32_dpp v39, v36 row_shr:4 row_mask:0xf bank_mask:0xf
	v_cndmask_b32_e32 v38, 0, v38, vcc
	v_and_b32_e32 v39, 1, v39
	v_cmp_eq_u32_e32 vcc, 1, v41
	v_add_u32_e32 v34, v38, v34
	v_cmp_eq_u16_sdwa s[42:43], v35, v40 src0_sel:BYTE_0 src1_sel:DWORD
	v_cndmask_b32_e64 v39, v39, 1, vcc
	v_and_b32_e32 v41, 0xffff, v39
	v_cmp_lt_u32_e32 vcc, 3, v37
	v_mov_b32_dpp v38, v34 row_shr:4 row_mask:0xf bank_mask:0xf
	s_nop 0
	v_cndmask_b32_e32 v35, v35, v39, vcc
	v_cndmask_b32_e32 v36, v36, v41, vcc
	s_and_b64 vcc, vcc, s[42:43]
	v_and_b32_e32 v41, 1, v35
	v_mov_b32_dpp v39, v36 row_shr:8 row_mask:0xf bank_mask:0xf
	v_cndmask_b32_e32 v38, 0, v38, vcc
	v_and_b32_e32 v39, 1, v39
	v_cmp_eq_u32_e32 vcc, 1, v41
	v_add_u32_e32 v34, v38, v34
	v_cmp_eq_u16_sdwa s[42:43], v35, v40 src0_sel:BYTE_0 src1_sel:DWORD
	v_cndmask_b32_e64 v39, v39, 1, vcc
	v_and_b32_e32 v41, 0xffff, v39
	v_cmp_lt_u32_e32 vcc, 7, v37
	v_mov_b32_dpp v38, v34 row_shr:8 row_mask:0xf bank_mask:0xf
	s_nop 0
	v_cndmask_b32_e32 v35, v35, v39, vcc
	v_cndmask_b32_e32 v36, v36, v41, vcc
	s_and_b64 vcc, vcc, s[42:43]
	v_cndmask_b32_e32 v37, 0, v38, vcc
	v_add_u32_e32 v34, v37, v34
	v_mov_b32_dpp v38, v36 row_bcast:15 row_mask:0xf bank_mask:0xf
	v_cmp_eq_u16_sdwa vcc, v35, v40 src0_sel:BYTE_0 src1_sel:DWORD
	v_mov_b32_dpp v37, v34 row_bcast:15 row_mask:0xf bank_mask:0xf
	v_and_b32_e32 v54, 1, v35
	v_cndmask_b32_e32 v37, 0, v37, vcc
	v_and_b32_e32 v38, 1, v38
	v_cmp_eq_u32_e32 vcc, 1, v54
	v_and_b32_e32 v41, 16, v63
	v_bfe_i32 v39, v63, 4, 1
	v_cndmask_b32_e64 v38, v38, 1, vcc
	v_and_b32_e32 v54, 0xffff, v38
	v_cmp_eq_u32_e32 vcc, 0, v41
	v_and_b32_e32 v37, v39, v37
	v_add_u32_e32 v34, v37, v34
	v_cndmask_b32_e32 v35, v38, v35, vcc
	v_cndmask_b32_e32 v36, v54, v36, vcc
	v_and_b32_e32 v37, 1, v35
	v_cmp_eq_u32_e32 vcc, 1, v37
	v_mov_b32_dpp v36, v36 row_bcast:31 row_mask:0xf bank_mask:0xf
	v_and_b32_e32 v36, 1, v36
	v_cmp_eq_u16_sdwa s[42:43], v35, v40 src0_sel:BYTE_0 src1_sel:DWORD
	v_cndmask_b32_e64 v36, v36, 1, vcc
	v_cmp_lt_u32_e32 vcc, 31, v63
	v_mov_b32_dpp v38, v34 row_bcast:31 row_mask:0xf bank_mask:0xf
	s_nop 0
	v_cndmask_b32_e32 v37, v35, v36, vcc
	s_and_b64 vcc, vcc, s[42:43]
	v_cndmask_b32_e32 v35, 0, v38, vcc
	v_add_u32_e32 v36, v35, v34
	v_cmp_eq_u32_e32 vcc, v51, v0
	s_and_saveexec_b64 s[42:43], vcc
	s_cbranch_execz .LBB1064_141
; %bb.140:
	v_lshlrev_b32_e32 v34, 3, v1
	ds_write_b32 v34, v36
	ds_write_b8 v34, v37 offset:4
.LBB1064_141:
	s_or_b64 exec, exec, s[42:43]
	v_cmp_gt_u32_e32 vcc, 4, v0
	s_waitcnt lgkmcnt(0)
	s_barrier
	s_and_saveexec_b64 s[42:43], vcc
	s_cbranch_execz .LBB1064_145
; %bb.142:
	v_lshlrev_b32_e32 v38, 3, v0
	ds_read_b64 v[34:35], v38
	v_and_b32_e32 v39, 3, v63
	v_cmp_ne_u32_e32 vcc, 0, v39
	s_waitcnt lgkmcnt(0)
	v_mov_b32_dpp v40, v34 row_shr:1 row_mask:0xf bank_mask:0xf
	v_mov_b32_dpp v54, v35 row_shr:1 row_mask:0xf bank_mask:0xf
	v_mov_b32_e32 v41, v35
	s_and_saveexec_b64 s[46:47], vcc
	s_cbranch_execz .LBB1064_144
; %bb.143:
	v_and_b32_e32 v41, 1, v35
	v_and_b32_e32 v54, 1, v54
	v_cmp_eq_u32_e32 vcc, 1, v41
	v_mov_b32_e32 v41, 0
	s_movk_i32 s3, 0xff00
	v_cndmask_b32_e64 v54, v54, 1, vcc
	v_cmp_eq_u16_sdwa vcc, v35, v41 src0_sel:BYTE_0 src1_sel:DWORD
	s_nop 1
	v_cndmask_b32_e32 v40, 0, v40, vcc
	v_add_u32_e32 v34, v40, v34
	v_and_b32_e32 v40, 0xffff, v54
	v_and_or_b32 v41, v35, s3, v40
	v_mov_b32_e32 v35, v54
.LBB1064_144:
	s_or_b64 exec, exec, s[46:47]
	v_mov_b32_dpp v41, v41 row_shr:2 row_mask:0xf bank_mask:0xf
	v_and_b32_e32 v54, 1, v35
	v_and_b32_e32 v41, 1, v41
	v_cmp_eq_u32_e32 vcc, 1, v54
	v_mov_b32_e32 v54, 0
	v_cmp_eq_u16_sdwa s[46:47], v35, v54 src0_sel:BYTE_0 src1_sel:DWORD
	v_cndmask_b32_e64 v41, v41, 1, vcc
	v_cmp_lt_u32_e32 vcc, 1, v39
	v_mov_b32_dpp v40, v34 row_shr:2 row_mask:0xf bank_mask:0xf
	s_nop 0
	v_cndmask_b32_e32 v35, v35, v41, vcc
	s_and_b64 vcc, vcc, s[46:47]
	v_cndmask_b32_e32 v39, 0, v40, vcc
	v_add_u32_e32 v34, v39, v34
	ds_write_b32 v38, v34
	ds_write_b8 v38, v35 offset:4
.LBB1064_145:
	s_or_b64 exec, exec, s[42:43]
	v_cmp_gt_u32_e32 vcc, 64, v0
	v_cmp_lt_u32_e64 s[42:43], 63, v0
	v_mov_b32_e32 v59, 0
	v_mov_b32_e32 v60, 0
	s_waitcnt lgkmcnt(0)
	s_barrier
	s_and_saveexec_b64 s[46:47], s[42:43]
	s_cbranch_execz .LBB1064_147
; %bb.146:
	v_lshl_add_u32 v34, v1, 3, -8
	ds_read_b32 v59, v34
	ds_read_u8 v60, v34 offset:4
	v_mov_b32_e32 v35, 0
	v_and_b32_e32 v38, 1, v37
	v_cmp_eq_u16_sdwa s[42:43], v37, v35 src0_sel:BYTE_0 src1_sel:DWORD
	s_waitcnt lgkmcnt(1)
	s_nop 0
	v_cndmask_b32_e64 v34, 0, v59, s[42:43]
	v_cmp_eq_u32_e64 s[42:43], 1, v38
	v_add_u32_e32 v36, v34, v36
	s_waitcnt lgkmcnt(0)
	v_cndmask_b32_e64 v37, v60, 1, s[42:43]
.LBB1064_147:
	s_or_b64 exec, exec, s[46:47]
	v_and_b32_e32 v34, 0xff, v37
	v_add_u32_e32 v35, -1, v63
	v_and_b32_e32 v37, 64, v63
	v_cmp_lt_i32_e64 s[42:43], v35, v37
	s_nop 1
	v_cndmask_b32_e64 v35, v35, v63, s[42:43]
	v_lshlrev_b32_e32 v35, 2, v35
	ds_bpermute_b32 v61, v35, v36
	ds_bpermute_b32 v62, v35, v34
	v_cmp_eq_u32_e64 s[42:43], 0, v63
	s_and_saveexec_b64 s[56:57], vcc
	s_cbranch_execz .LBB1064_170
; %bb.148:
	v_mov_b32_e32 v37, 0
	ds_read_b64 v[34:35], v37 offset:24
	s_waitcnt lgkmcnt(0)
	v_readfirstlane_b32 s3, v35
	s_and_saveexec_b64 s[46:47], s[42:43]
	s_cbranch_execz .LBB1064_150
; %bb.149:
	s_add_i32 s64, s2, 64
	s_mov_b32 s65, 0
	s_lshl_b64 s[66:67], s[64:65], 4
	s_add_u32 s66, s52, s66
	s_addc_u32 s67, s53, s67
	s_and_b32 s69, s3, 0xff000000
	s_mov_b32 s68, s65
	s_and_b32 s71, s3, 0xff0000
	s_mov_b32 s70, s65
	s_or_b64 s[68:69], s[70:71], s[68:69]
	s_and_b32 s71, s3, 0xff00
	s_or_b64 s[68:69], s[68:69], s[70:71]
	s_and_b32 s71, s3, 0xff
	s_or_b64 s[64:65], s[68:69], s[70:71]
	v_mov_b32_e32 v35, s65
	v_mov_b32_e32 v36, 1
	v_mov_b64_e32 v[38:39], s[66:67]
	;;#ASMSTART
	global_store_dwordx4 v[38:39], v[34:37] off sc1	
s_waitcnt vmcnt(0)
	;;#ASMEND
.LBB1064_150:
	s_or_b64 exec, exec, s[46:47]
	v_xad_u32 v54, v63, -1, s2
	v_add_u32_e32 v36, 64, v54
	v_lshl_add_u64 v[56:57], v[36:37], 4, s[52:53]
	;;#ASMSTART
	global_load_dwordx4 v[38:41], v[56:57] off sc1	
s_waitcnt vmcnt(0)
	;;#ASMEND
	s_nop 0
	v_and_b32_e32 v35, 0xff0000, v38
	v_and_b32_e32 v36, 0xff000000, v38
	;; [unrolled: 1-line block ×3, first 2 shown]
	v_or_b32_sdwa v35, v38, v35 dst_sel:DWORD dst_unused:UNUSED_PAD src0_sel:WORD_0 src1_sel:DWORD
	v_or3_b32 v39, 0, 0, v39
	v_or3_b32 v38, v35, v36, 0
	v_cmp_eq_u16_sdwa s[64:65], v40, v37 src0_sel:BYTE_0 src1_sel:DWORD
	s_and_saveexec_b64 s[46:47], s[64:65]
	s_cbranch_execz .LBB1064_156
; %bb.151:
	s_mov_b32 s55, 1
	s_mov_b64 s[64:65], 0
	v_mov_b32_e32 v35, 0
.LBB1064_152:                           ; =>This Loop Header: Depth=1
                                        ;     Child Loop BB1064_153 Depth 2
	s_max_u32 s66, s55, 1
.LBB1064_153:                           ;   Parent Loop BB1064_152 Depth=1
                                        ; =>  This Inner Loop Header: Depth=2
	s_add_i32 s66, s66, -1
	s_cmp_eq_u32 s66, 0
	s_sleep 1
	s_cbranch_scc0 .LBB1064_153
; %bb.154:                              ;   in Loop: Header=BB1064_152 Depth=1
	s_cmp_lt_u32 s55, 32
	s_cselect_b64 s[66:67], -1, 0
	s_cmp_lg_u64 s[66:67], 0
	s_addc_u32 s55, s55, 0
	;;#ASMSTART
	global_load_dwordx4 v[38:41], v[56:57] off sc1	
s_waitcnt vmcnt(0)
	;;#ASMEND
	s_nop 0
	v_cmp_ne_u16_sdwa s[66:67], v40, v35 src0_sel:BYTE_0 src1_sel:DWORD
	s_or_b64 s[64:65], s[66:67], s[64:65]
	s_andn2_b64 exec, exec, s[64:65]
	s_cbranch_execnz .LBB1064_152
; %bb.155:
	s_or_b64 exec, exec, s[64:65]
	v_and_b32_e32 v39, 0xff, v39
.LBB1064_156:
	s_or_b64 exec, exec, s[46:47]
	v_mov_b32_e32 v35, 2
	v_cmp_eq_u16_sdwa s[46:47], v40, v35 src0_sel:BYTE_0 src1_sel:DWORD
	v_lshlrev_b64 v[36:37], v63, -1
	v_and_b32_e32 v64, 63, v63
	v_and_b32_e32 v41, s47, v37
	v_or_b32_e32 v41, 0x80000000, v41
	v_and_b32_e32 v55, s46, v36
	v_ffbl_b32_e32 v41, v41
	v_add_u32_e32 v41, 32, v41
	v_ffbl_b32_e32 v55, v55
	v_cmp_ne_u32_e32 vcc, 63, v64
	v_min_u32_e32 v41, v55, v41
	s_mov_b32 s64, 0
	v_addc_co_u32_e32 v55, vcc, 0, v63, vcc
	v_lshlrev_b32_e32 v65, 2, v55
	ds_bpermute_b32 v55, v65, v39
	ds_bpermute_b32 v56, v65, v38
	v_and_b32_e32 v57, 1, v39
	s_mov_b32 s65, 1
	v_cmp_eq_u32_e32 vcc, 1, v57
	s_waitcnt lgkmcnt(1)
	v_and_b32_e32 v55, 1, v55
	v_cmp_lt_u32_e64 s[46:47], v64, v41
	v_cndmask_b32_e64 v55, v55, 1, vcc
	v_cmp_gt_u64_e32 vcc, s[64:65], v[38:39]
	s_and_b64 vcc, s[46:47], vcc
	v_and_b32_e32 v57, 0xffff, v55
	v_cndmask_b32_e64 v68, v39, v55, s[46:47]
	s_waitcnt lgkmcnt(0)
	v_cndmask_b32_e32 v55, 0, v56, vcc
	v_cmp_gt_u32_e32 vcc, 62, v64
	v_cndmask_b32_e64 v39, v39, v57, s[46:47]
	v_add_u32_e32 v38, v55, v38
	v_cndmask_b32_e64 v56, 0, 1, vcc
	v_lshlrev_b32_e32 v56, 1, v56
	v_add_lshl_u32 v66, v56, v63, 2
	ds_bpermute_b32 v56, v66, v39
	ds_bpermute_b32 v57, v66, v38
	v_and_b32_e32 v55, 1, v68
	v_cmp_eq_u32_e32 vcc, 1, v55
	v_mov_b32_e32 v55, 0
	s_waitcnt lgkmcnt(1)
	v_and_b32_e32 v56, 1, v56
	v_add_u32_e32 v67, 2, v64
	v_cndmask_b32_e64 v56, v56, 1, vcc
	v_cmp_eq_u16_sdwa vcc, v68, v55 src0_sel:BYTE_0 src1_sel:DWORD
	v_and_b32_e32 v69, 0xffff, v56
	v_add_u32_e32 v76, 32, v64
	s_waitcnt lgkmcnt(0)
	v_cndmask_b32_e32 v57, 0, v57, vcc
	v_cmp_gt_u32_e32 vcc, v67, v41
	s_nop 1
	v_cndmask_b32_e32 v56, v56, v68, vcc
	v_cndmask_b32_e64 v57, v57, 0, vcc
	v_cndmask_b32_e32 v39, v69, v39, vcc
	v_cmp_gt_u32_e32 vcc, 60, v64
	v_add_u32_e32 v38, v57, v38
	v_and_b32_e32 v71, 1, v56
	v_cndmask_b32_e64 v68, 0, 1, vcc
	v_lshlrev_b32_e32 v68, 2, v68
	v_add_lshl_u32 v68, v68, v63, 2
	ds_bpermute_b32 v70, v68, v39
	ds_bpermute_b32 v57, v68, v38
	v_cmp_eq_u32_e32 vcc, 1, v71
	v_add_u32_e32 v69, 4, v64
	s_waitcnt lgkmcnt(1)
	v_and_b32_e32 v70, 1, v70
	v_cndmask_b32_e64 v70, v70, 1, vcc
	v_cmp_eq_u16_sdwa vcc, v56, v55 src0_sel:BYTE_0 src1_sel:DWORD
	v_and_b32_e32 v71, 0xffff, v70
	s_waitcnt lgkmcnt(0)
	v_cndmask_b32_e32 v57, 0, v57, vcc
	v_cmp_gt_u32_e32 vcc, v69, v41
	s_nop 1
	v_cndmask_b32_e32 v56, v70, v56, vcc
	v_cndmask_b32_e64 v57, v57, 0, vcc
	v_cndmask_b32_e32 v39, v71, v39, vcc
	v_cmp_gt_u32_e32 vcc, 56, v64
	v_add_u32_e32 v38, v57, v38
	v_and_b32_e32 v73, 1, v56
	v_cndmask_b32_e64 v70, 0, 1, vcc
	v_lshlrev_b32_e32 v70, 3, v70
	v_add_lshl_u32 v70, v70, v63, 2
	ds_bpermute_b32 v72, v70, v39
	ds_bpermute_b32 v57, v70, v38
	v_cmp_eq_u32_e32 vcc, 1, v73
	v_add_u32_e32 v71, 8, v64
	s_waitcnt lgkmcnt(1)
	v_and_b32_e32 v72, 1, v72
	v_cndmask_b32_e64 v72, v72, 1, vcc
	v_cmp_eq_u16_sdwa vcc, v56, v55 src0_sel:BYTE_0 src1_sel:DWORD
	v_and_b32_e32 v73, 0xffff, v72
	;; [unrolled: 22-line block ×3, first 2 shown]
	s_waitcnt lgkmcnt(0)
	v_cndmask_b32_e32 v57, 0, v57, vcc
	v_cmp_gt_u32_e32 vcc, v73, v41
	s_nop 1
	v_cndmask_b32_e32 v56, v74, v56, vcc
	v_cndmask_b32_e64 v57, v57, 0, vcc
	v_cndmask_b32_e32 v39, v75, v39, vcc
	v_cmp_gt_u32_e32 vcc, 32, v64
	v_add_u32_e32 v38, v57, v38
	s_nop 0
	v_cndmask_b32_e64 v74, 0, 1, vcc
	v_lshlrev_b32_e32 v74, 5, v74
	v_add_lshl_u32 v75, v74, v63, 2
	ds_bpermute_b32 v39, v75, v39
	ds_bpermute_b32 v57, v75, v38
	v_and_b32_e32 v63, 1, v56
	v_cmp_eq_u32_e32 vcc, 1, v63
	s_waitcnt lgkmcnt(1)
	v_and_b32_e32 v39, 1, v39
	v_cndmask_b32_e64 v39, v39, 1, vcc
	v_cmp_eq_u16_sdwa vcc, v56, v55 src0_sel:BYTE_0 src1_sel:DWORD
	s_waitcnt lgkmcnt(0)
	s_nop 0
	v_cndmask_b32_e32 v57, 0, v57, vcc
	v_cmp_gt_u32_e32 vcc, v76, v41
	s_nop 1
	v_cndmask_b32_e64 v41, v57, 0, vcc
	v_cndmask_b32_e32 v39, v39, v56, vcc
	v_add_u32_e32 v38, v41, v38
	s_branch .LBB1064_158
.LBB1064_157:                           ;   in Loop: Header=BB1064_158 Depth=1
	s_or_b64 exec, exec, s[46:47]
	v_cmp_eq_u16_sdwa s[46:47], v40, v35 src0_sel:BYTE_0 src1_sel:DWORD
	ds_bpermute_b32 v57, v65, v39
	v_and_b32_e32 v77, 1, v39
	v_and_b32_e32 v41, s47, v37
	v_or_b32_e32 v41, 0x80000000, v41
	v_and_b32_e32 v56, s46, v36
	v_ffbl_b32_e32 v41, v41
	v_add_u32_e32 v41, 32, v41
	v_ffbl_b32_e32 v56, v56
	v_min_u32_e32 v41, v56, v41
	ds_bpermute_b32 v56, v65, v38
	s_waitcnt lgkmcnt(1)
	v_and_b32_e32 v57, 1, v57
	v_cmp_eq_u32_e32 vcc, 1, v77
	v_cmp_lt_u32_e64 s[46:47], v64, v41
	v_subrev_u32_e32 v54, 64, v54
	v_cndmask_b32_e64 v57, v57, 1, vcc
	v_cmp_gt_u64_e32 vcc, s[64:65], v[38:39]
	v_and_b32_e32 v77, 0xffff, v57
	v_cndmask_b32_e64 v57, v39, v57, s[46:47]
	v_cndmask_b32_e64 v39, v39, v77, s[46:47]
	s_and_b64 vcc, s[46:47], vcc
	ds_bpermute_b32 v77, v66, v39
	s_waitcnt lgkmcnt(1)
	v_cndmask_b32_e32 v56, 0, v56, vcc
	v_add_u32_e32 v38, v56, v38
	ds_bpermute_b32 v56, v66, v38
	v_and_b32_e32 v78, 1, v57
	s_waitcnt lgkmcnt(1)
	v_and_b32_e32 v77, 1, v77
	v_cmp_eq_u32_e32 vcc, 1, v78
	s_nop 1
	v_cndmask_b32_e64 v77, v77, 1, vcc
	v_cmp_eq_u16_sdwa vcc, v57, v55 src0_sel:BYTE_0 src1_sel:DWORD
	v_and_b32_e32 v78, 0xffff, v77
	s_waitcnt lgkmcnt(0)
	v_cndmask_b32_e32 v56, 0, v56, vcc
	v_cmp_gt_u32_e32 vcc, v67, v41
	s_nop 1
	v_cndmask_b32_e32 v39, v78, v39, vcc
	v_cndmask_b32_e32 v57, v77, v57, vcc
	ds_bpermute_b32 v77, v68, v39
	v_cndmask_b32_e64 v56, v56, 0, vcc
	v_add_u32_e32 v38, v56, v38
	ds_bpermute_b32 v56, v68, v38
	v_and_b32_e32 v78, 1, v57
	s_waitcnt lgkmcnt(1)
	v_and_b32_e32 v77, 1, v77
	v_cmp_eq_u32_e32 vcc, 1, v78
	s_nop 1
	v_cndmask_b32_e64 v77, v77, 1, vcc
	v_cmp_eq_u16_sdwa vcc, v57, v55 src0_sel:BYTE_0 src1_sel:DWORD
	v_and_b32_e32 v78, 0xffff, v77
	s_waitcnt lgkmcnt(0)
	v_cndmask_b32_e32 v56, 0, v56, vcc
	v_cmp_gt_u32_e32 vcc, v69, v41
	s_nop 1
	v_cndmask_b32_e32 v39, v78, v39, vcc
	v_cndmask_b32_e32 v57, v77, v57, vcc
	ds_bpermute_b32 v77, v70, v39
	v_cndmask_b32_e64 v56, v56, 0, vcc
	v_add_u32_e32 v38, v56, v38
	ds_bpermute_b32 v56, v70, v38
	v_and_b32_e32 v78, 1, v57
	s_waitcnt lgkmcnt(1)
	v_and_b32_e32 v77, 1, v77
	v_cmp_eq_u32_e32 vcc, 1, v78
	s_nop 1
	v_cndmask_b32_e64 v77, v77, 1, vcc
	v_cmp_eq_u16_sdwa vcc, v57, v55 src0_sel:BYTE_0 src1_sel:DWORD
	v_and_b32_e32 v78, 0xffff, v77
	s_waitcnt lgkmcnt(0)
	v_cndmask_b32_e32 v56, 0, v56, vcc
	v_cmp_gt_u32_e32 vcc, v71, v41
	s_nop 1
	v_cndmask_b32_e32 v39, v78, v39, vcc
	v_cndmask_b32_e32 v57, v77, v57, vcc
	ds_bpermute_b32 v77, v72, v39
	v_cndmask_b32_e64 v56, v56, 0, vcc
	v_add_u32_e32 v38, v56, v38
	ds_bpermute_b32 v56, v72, v38
	v_and_b32_e32 v78, 1, v57
	s_waitcnt lgkmcnt(1)
	v_and_b32_e32 v77, 1, v77
	v_cmp_eq_u32_e32 vcc, 1, v78
	s_nop 1
	v_cndmask_b32_e64 v77, v77, 1, vcc
	v_cmp_eq_u16_sdwa vcc, v57, v55 src0_sel:BYTE_0 src1_sel:DWORD
	v_and_b32_e32 v78, 0xffff, v77
	s_waitcnt lgkmcnt(0)
	v_cndmask_b32_e32 v56, 0, v56, vcc
	v_cmp_gt_u32_e32 vcc, v73, v41
	s_nop 1
	v_cndmask_b32_e64 v56, v56, 0, vcc
	v_cndmask_b32_e32 v39, v78, v39, vcc
	ds_bpermute_b32 v39, v75, v39
	v_add_u32_e32 v38, v56, v38
	ds_bpermute_b32 v56, v75, v38
	v_cndmask_b32_e32 v57, v77, v57, vcc
	v_and_b32_e32 v77, 1, v57
	v_cmp_eq_u32_e32 vcc, 1, v77
	s_waitcnt lgkmcnt(1)
	s_nop 0
	v_cndmask_b32_e64 v39, v39, 1, vcc
	v_cmp_eq_u16_sdwa vcc, v57, v55 src0_sel:BYTE_0 src1_sel:DWORD
	s_waitcnt lgkmcnt(0)
	s_nop 0
	v_cndmask_b32_e32 v56, 0, v56, vcc
	v_cmp_gt_u32_e32 vcc, v76, v41
	s_nop 1
	v_cndmask_b32_e64 v41, v56, 0, vcc
	v_cndmask_b32_e32 v39, v39, v57, vcc
	v_add_u32_e32 v38, v41, v38
	v_cmp_eq_u16_sdwa vcc, v63, v55 src0_sel:BYTE_0 src1_sel:DWORD
	v_and_b32_e32 v41, 1, v63
	v_and_b32_e32 v39, 1, v39
	v_cndmask_b32_e32 v38, 0, v38, vcc
	v_cmp_eq_u32_e32 vcc, 1, v41
	v_add_u32_e32 v38, v38, v74
	s_nop 0
	v_cndmask_b32_e64 v39, v39, 1, vcc
.LBB1064_158:                           ; =>This Loop Header: Depth=1
                                        ;     Child Loop BB1064_161 Depth 2
                                        ;       Child Loop BB1064_162 Depth 3
	v_cmp_ne_u16_sdwa s[46:47], v40, v35 src0_sel:BYTE_0 src1_sel:DWORD
	v_mov_b32_e32 v63, v39
	v_mov_b32_e32 v74, v38
	v_cndmask_b32_e64 v39, 0, 1, s[46:47]
	;;#ASMSTART
	;;#ASMEND
	s_nop 0
	v_cmp_ne_u32_e32 vcc, 0, v39
	s_cmp_lg_u64 vcc, exec
	s_cbranch_scc1 .LBB1064_165
; %bb.159:                              ;   in Loop: Header=BB1064_158 Depth=1
	v_lshl_add_u64 v[56:57], v[54:55], 4, s[52:53]
	;;#ASMSTART
	global_load_dwordx4 v[38:41], v[56:57] off sc1	
s_waitcnt vmcnt(0)
	;;#ASMEND
	s_nop 0
	v_and_b32_e32 v41, 0xff0000, v38
	v_and_b32_e32 v77, 0xff000000, v38
	;; [unrolled: 1-line block ×3, first 2 shown]
	v_or_b32_sdwa v38, v38, v41 dst_sel:DWORD dst_unused:UNUSED_PAD src0_sel:WORD_0 src1_sel:DWORD
	v_or3_b32 v39, 0, 0, v39
	v_or3_b32 v38, v38, v77, 0
	v_cmp_eq_u16_sdwa s[66:67], v40, v55 src0_sel:BYTE_0 src1_sel:DWORD
	s_and_saveexec_b64 s[46:47], s[66:67]
	s_cbranch_execz .LBB1064_157
; %bb.160:                              ;   in Loop: Header=BB1064_158 Depth=1
	s_mov_b32 s55, 1
	s_mov_b64 s[66:67], 0
.LBB1064_161:                           ;   Parent Loop BB1064_158 Depth=1
                                        ; =>  This Loop Header: Depth=2
                                        ;       Child Loop BB1064_162 Depth 3
	s_max_u32 s68, s55, 1
.LBB1064_162:                           ;   Parent Loop BB1064_158 Depth=1
                                        ;     Parent Loop BB1064_161 Depth=2
                                        ; =>    This Inner Loop Header: Depth=3
	s_add_i32 s68, s68, -1
	s_cmp_eq_u32 s68, 0
	s_sleep 1
	s_cbranch_scc0 .LBB1064_162
; %bb.163:                              ;   in Loop: Header=BB1064_161 Depth=2
	s_cmp_lt_u32 s55, 32
	s_cselect_b64 s[68:69], -1, 0
	s_cmp_lg_u64 s[68:69], 0
	s_addc_u32 s55, s55, 0
	;;#ASMSTART
	global_load_dwordx4 v[38:41], v[56:57] off sc1	
s_waitcnt vmcnt(0)
	;;#ASMEND
	s_nop 0
	v_cmp_ne_u16_sdwa s[68:69], v40, v55 src0_sel:BYTE_0 src1_sel:DWORD
	s_or_b64 s[66:67], s[68:69], s[66:67]
	s_andn2_b64 exec, exec, s[66:67]
	s_cbranch_execnz .LBB1064_161
; %bb.164:                              ;   in Loop: Header=BB1064_158 Depth=1
	s_or_b64 exec, exec, s[66:67]
	v_and_b32_e32 v39, 0xff, v39
	s_branch .LBB1064_157
.LBB1064_165:                           ;   in Loop: Header=BB1064_158 Depth=1
                                        ; implicit-def: $vgpr39
                                        ; implicit-def: $vgpr38
                                        ; implicit-def: $vgpr40
	s_cbranch_execz .LBB1064_158
; %bb.166:
	s_and_saveexec_b64 s[46:47], s[42:43]
	s_cbranch_execz .LBB1064_168
; %bb.167:
	s_and_b32 s55, s3, 0xff
	s_cmp_eq_u32 s55, 0
	s_cselect_b64 vcc, -1, 0
	s_bitcmp1_b32 s3, 0
	s_mov_b32 s65, 0
	s_cselect_b64 s[66:67], -1, 0
	s_add_i32 s64, s2, 64
	s_lshl_b64 s[2:3], s[64:65], 4
	v_cndmask_b32_e32 v35, 0, v74, vcc
	s_add_u32 s2, s52, s2
	v_add_u32_e32 v34, v35, v34
	v_and_b32_e32 v35, 1, v63
	s_addc_u32 s3, s53, s3
	v_mov_b32_e32 v37, 0
	v_cndmask_b32_e64 v35, v35, 1, s[66:67]
	v_mov_b32_e32 v36, 2
	v_mov_b64_e32 v[38:39], s[2:3]
	;;#ASMSTART
	global_store_dwordx4 v[38:39], v[34:37] off sc1	
s_waitcnt vmcnt(0)
	;;#ASMEND
.LBB1064_168:
	s_or_b64 exec, exec, s[46:47]
	v_cmp_eq_u32_e32 vcc, 0, v0
	s_and_b64 exec, exec, vcc
	s_cbranch_execz .LBB1064_170
; %bb.169:
	v_mov_b32_e32 v34, 0
	ds_write_b32 v34, v74 offset:24
	ds_write_b8 v34, v63 offset:28
.LBB1064_170:
	s_or_b64 exec, exec, s[56:57]
	v_mov_b32_e32 v34, 0
	s_waitcnt lgkmcnt(0)
	s_barrier
	ds_read_b32 v35, v34 offset:24
	v_cndmask_b32_e64 v36, v62, v60, s[42:43]
	v_cmp_eq_u16_sdwa vcc, v36, v34 src0_sel:BYTE_0 src1_sel:DWORD
	v_cndmask_b32_e64 v37, v61, v59, s[42:43]
	s_waitcnt lgkmcnt(0)
	v_cndmask_b32_e32 v36, 0, v35, vcc
	v_add_u32_e32 v36, v36, v37
	v_cmp_eq_u32_e32 vcc, 0, v0
	s_nop 1
	v_cndmask_b32_e32 v39, v36, v35, vcc
	v_and_b32_e32 v35, 0xff, v43
	v_cmp_eq_u64_e32 vcc, 0, v[34:35]
	s_nop 1
	v_cndmask_b32_e32 v34, 0, v39, vcc
	v_add_u32_e32 v35, v34, v42
	v_cndmask_b32_e64 v34, 0, v35, s[44:45]
	v_add_u32_e32 v36, v34, v8
	v_cndmask_b32_e64 v34, 0, v36, s[4:5]
	;; [unrolled: 2-line block ×19, first 2 shown]
	v_add_u32_e32 v34, v34, v32
	s_branch .LBB1064_185
.LBB1064_171:
                                        ; implicit-def: $vgpr67
                                        ; implicit-def: $vgpr66
                                        ; implicit-def: $vgpr65
                                        ; implicit-def: $vgpr64
                                        ; implicit-def: $vgpr63
                                        ; implicit-def: $vgpr62
                                        ; implicit-def: $vgpr61
                                        ; implicit-def: $vgpr60
                                        ; implicit-def: $vgpr59
                                        ; implicit-def: $vgpr57
                                        ; implicit-def: $vgpr56
                                        ; implicit-def: $vgpr55
                                        ; implicit-def: $vgpr54
                                        ; implicit-def: $vgpr41
                                        ; implicit-def: $vgpr40
                                        ; implicit-def: $vgpr38
                                        ; implicit-def: $vgpr37
                                        ; implicit-def: $vgpr36
                                        ; implicit-def: $vgpr35
                                        ; implicit-def: $vgpr39
                                        ; implicit-def: $vgpr34
	s_cbranch_execz .LBB1064_185
; %bb.172:
	s_cmp_lg_u64 s[62:63], 0
	s_cselect_b32 s3, s59, 0
	s_cselect_b32 s2, s58, 0
	s_mov_b32 s42, 0
	s_cmp_eq_u64 s[2:3], 0
	v_mov_b32_e32 v68, s72
	s_cbranch_scc1 .LBB1064_174
; %bb.173:
	v_mov_b32_e32 v34, 0
	global_load_dword v68, v34, s[2:3]
.LBB1064_174:
	s_mov_b32 s43, 1
	v_cmp_gt_u64_e32 vcc, s[42:43], v[8:9]
	v_cmp_gt_u64_e64 s[2:3], s[42:43], v[6:7]
	v_cmp_gt_u64_e64 s[4:5], s[42:43], v[4:5]
	v_cndmask_b32_e32 v35, 0, v42, vcc
	v_add_u32_e32 v35, v35, v8
	v_cndmask_b32_e64 v35, 0, v35, s[2:3]
	v_add_u32_e32 v35, v35, v6
	v_cndmask_b32_e64 v35, 0, v35, s[4:5]
	v_add_u32_e32 v35, v35, v4
	v_cmp_gt_u64_e64 s[6:7], s[42:43], v[2:3]
	v_cmp_gt_u64_e64 s[8:9], s[42:43], v[44:45]
	v_cmp_gt_u64_e64 s[10:11], s[42:43], v[16:17]
	v_cndmask_b32_e64 v35, 0, v35, s[6:7]
	v_add_u32_e32 v35, v35, v2
	v_cndmask_b32_e64 v35, 0, v35, s[8:9]
	v_add_u32_e32 v35, v35, v44
	v_cndmask_b32_e64 v35, 0, v35, s[10:11]
	v_add_u32_e32 v35, v35, v16
	v_cmp_gt_u64_e64 s[12:13], s[42:43], v[14:15]
	v_cmp_gt_u64_e64 s[14:15], s[42:43], v[12:13]
	v_cmp_gt_u64_e64 s[16:17], s[42:43], v[10:11]
	v_cndmask_b32_e64 v35, 0, v35, s[12:13]
	;; [unrolled: 9-line block ×5, first 2 shown]
	v_add_u32_e32 v35, v35, v26
	v_cndmask_b32_e64 v35, 0, v35, s[34:35]
	v_add_u32_e32 v35, v35, v28
	v_cndmask_b32_e64 v35, 0, v35, s[36:37]
	v_add_u32_e32 v35, v35, v30
	v_cmp_gt_u64_e64 s[38:39], s[42:43], v[32:33]
	v_or_b32_e32 v23, v31, v23
	v_mov_b32_e32 v34, 0
	v_cndmask_b32_e64 v35, 0, v35, s[38:39]
	v_add_u32_e32 v35, v35, v32
	v_cmp_gt_u64_e64 s[42:43], s[42:43], v[52:53]
	v_or_b32_e32 v25, v33, v25
	v_or3_b32 v7, v23, v15, v7
	v_cndmask_b32_e64 v35, 0, v35, s[42:43]
	v_or_b32_e32 v19, v27, v19
	v_or3_b32 v9, v25, v17, v9
	v_and_b32_e32 v41, 1, v7
	v_mov_b32_e32 v40, v34
	v_and_b32_e32 v36, 1, v45
	v_add_u32_e32 v45, v35, v52
	v_and_b32_e32 v35, 1, v53
	v_or_b32_e32 v21, v29, v21
	v_or3_b32 v3, v19, v11, v3
	v_and_b32_e32 v39, 1, v9
	v_mov_b32_e32 v38, v34
	v_cmp_ne_u64_e64 s[44:45], 0, v[40:41]
	v_cmp_eq_u32_e64 s[42:43], 1, v35
	v_or3_b32 v5, v21, v13, v5
	v_and_b32_e32 v35, 1, v3
	v_cndmask_b32_e64 v3, 0, 1, s[44:45]
	v_cmp_ne_u64_e64 s[44:45], 0, v[38:39]
	v_cmp_eq_u32_e64 s[40:41], 1, v36
	v_and_b32_e32 v37, 1, v5
	v_mov_b32_e32 v36, v34
	v_cndmask_b32_e64 v5, 0, 1, s[44:45]
	v_lshlrev_b16_e32 v3, 2, v3
	v_lshlrev_b16_e32 v5, 3, v5
	v_cmp_ne_u64_e64 s[44:45], 0, v[36:37]
	v_or_b32_e32 v3, v5, v3
	v_mov_b32_dpp v11, v45 row_shr:1 row_mask:0xf bank_mask:0xf
	v_cndmask_b32_e64 v5, 0, 1, s[44:45]
	v_cmp_ne_u64_e64 s[44:45], 0, v[34:35]
	v_lshlrev_b16_e32 v5, 1, v5
	s_nop 0
	v_cndmask_b32_e64 v7, 0, 1, s[44:45]
	v_or_b32_e32 v5, v7, v5
	v_and_b32_e32 v5, 3, v5
	v_or_b32_e32 v3, v5, v3
	v_and_b32_e32 v3, 15, v3
	v_cmp_ne_u16_e64 s[44:45], 0, v3
	v_or_b32_e32 v3, v49, v47
	v_and_b32_e32 v3, 1, v3
	s_or_b64 s[44:45], s[42:43], s[44:45]
	v_cmp_eq_u32_e64 s[42:43], 1, v3
	s_or_b64 s[42:43], s[44:45], s[42:43]
	s_or_b64 s[40:41], s[42:43], s[40:41]
	v_cndmask_b32_e64 v5, v43, 1, s[40:41]
	v_and_b32_e32 v7, 0xff, v5
	v_cmp_eq_u16_e64 s[40:41], 0, v7
	v_and_b32_e32 v15, 1, v5
	v_mov_b32_dpp v13, v7 row_shr:1 row_mask:0xf bank_mask:0xf
	v_mbcnt_hi_u32_b32 v3, -1, v58
	v_cndmask_b32_e64 v11, 0, v11, s[40:41]
	v_and_b32_e32 v13, 1, v13
	v_cmp_eq_u32_e64 s[40:41], 1, v15
	v_and_b32_e32 v9, 15, v3
	s_nop 0
	v_cndmask_b32_e64 v13, v13, 1, s[40:41]
	v_and_b32_e32 v15, 0xffff, v13
	v_cmp_eq_u32_e64 s[40:41], 0, v9
	s_nop 1
	v_cndmask_b32_e64 v5, v13, v5, s[40:41]
	v_cndmask_b32_e64 v7, v15, v7, s[40:41]
	v_and_b32_e32 v17, 1, v5
	v_cndmask_b32_e64 v11, v11, 0, s[40:41]
	v_mov_b32_dpp v15, v7 row_shr:2 row_mask:0xf bank_mask:0xf
	v_and_b32_e32 v15, 1, v15
	v_cmp_eq_u32_e64 s[40:41], 1, v17
	v_add_u32_e32 v11, v11, v45
	v_cmp_eq_u16_sdwa s[42:43], v5, v34 src0_sel:BYTE_0 src1_sel:DWORD
	v_cndmask_b32_e64 v15, v15, 1, s[40:41]
	v_and_b32_e32 v17, 0xffff, v15
	v_cmp_lt_u32_e64 s[40:41], 1, v9
	v_mov_b32_dpp v13, v11 row_shr:2 row_mask:0xf bank_mask:0xf
	s_nop 0
	v_cndmask_b32_e64 v5, v5, v15, s[40:41]
	v_cndmask_b32_e64 v7, v7, v17, s[40:41]
	s_and_b64 s[40:41], s[40:41], s[42:43]
	v_and_b32_e32 v17, 1, v5
	v_mov_b32_dpp v15, v7 row_shr:4 row_mask:0xf bank_mask:0xf
	v_cndmask_b32_e64 v13, 0, v13, s[40:41]
	v_and_b32_e32 v15, 1, v15
	v_cmp_eq_u32_e64 s[40:41], 1, v17
	v_add_u32_e32 v11, v13, v11
	v_cmp_eq_u16_sdwa s[42:43], v5, v34 src0_sel:BYTE_0 src1_sel:DWORD
	v_cndmask_b32_e64 v15, v15, 1, s[40:41]
	v_and_b32_e32 v17, 0xffff, v15
	v_cmp_lt_u32_e64 s[40:41], 3, v9
	v_mov_b32_dpp v13, v11 row_shr:4 row_mask:0xf bank_mask:0xf
	s_nop 0
	v_cndmask_b32_e64 v5, v5, v15, s[40:41]
	v_cndmask_b32_e64 v7, v7, v17, s[40:41]
	s_and_b64 s[40:41], s[40:41], s[42:43]
	v_and_b32_e32 v17, 1, v5
	v_mov_b32_dpp v15, v7 row_shr:8 row_mask:0xf bank_mask:0xf
	v_cndmask_b32_e64 v13, 0, v13, s[40:41]
	v_and_b32_e32 v15, 1, v15
	v_cmp_eq_u32_e64 s[40:41], 1, v17
	v_add_u32_e32 v11, v13, v11
	v_cmp_eq_u16_sdwa s[42:43], v5, v34 src0_sel:BYTE_0 src1_sel:DWORD
	v_cndmask_b32_e64 v15, v15, 1, s[40:41]
	v_and_b32_e32 v17, 0xffff, v15
	v_cmp_lt_u32_e64 s[40:41], 7, v9
	v_mov_b32_dpp v13, v11 row_shr:8 row_mask:0xf bank_mask:0xf
	s_nop 0
	v_cndmask_b32_e64 v5, v5, v15, s[40:41]
	v_cndmask_b32_e64 v7, v7, v17, s[40:41]
	s_and_b64 s[40:41], s[40:41], s[42:43]
	v_cndmask_b32_e64 v9, 0, v13, s[40:41]
	v_add_u32_e32 v9, v9, v11
	v_mov_b32_dpp v13, v7 row_bcast:15 row_mask:0xf bank_mask:0xf
	v_cmp_eq_u16_sdwa s[40:41], v5, v34 src0_sel:BYTE_0 src1_sel:DWORD
	v_mov_b32_dpp v11, v9 row_bcast:15 row_mask:0xf bank_mask:0xf
	v_and_b32_e32 v19, 1, v5
	v_cndmask_b32_e64 v11, 0, v11, s[40:41]
	v_and_b32_e32 v13, 1, v13
	v_cmp_eq_u32_e64 s[40:41], 1, v19
	v_and_b32_e32 v17, 16, v3
	v_bfe_i32 v15, v3, 4, 1
	v_cndmask_b32_e64 v13, v13, 1, s[40:41]
	v_and_b32_e32 v19, 0xffff, v13
	v_cmp_eq_u32_e64 s[40:41], 0, v17
	v_and_b32_e32 v11, v15, v11
	v_add_u32_e32 v9, v11, v9
	v_cndmask_b32_e64 v5, v13, v5, s[40:41]
	v_cndmask_b32_e64 v7, v19, v7, s[40:41]
	v_and_b32_e32 v13, 1, v5
	v_cmp_eq_u32_e64 s[40:41], 1, v13
	v_mov_b32_dpp v7, v7 row_bcast:31 row_mask:0xf bank_mask:0xf
	v_and_b32_e32 v7, 1, v7
	v_cmp_eq_u16_sdwa s[42:43], v5, v34 src0_sel:BYTE_0 src1_sel:DWORD
	v_cndmask_b32_e64 v7, v7, 1, s[40:41]
	v_cmp_lt_u32_e64 s[40:41], 31, v3
	v_mov_b32_dpp v11, v9 row_bcast:31 row_mask:0xf bank_mask:0xf
	s_nop 0
	v_cndmask_b32_e64 v5, v5, v7, s[40:41]
	s_and_b64 s[40:41], s[40:41], s[42:43]
	v_cndmask_b32_e64 v7, 0, v11, s[40:41]
	v_add_u32_e32 v7, v7, v9
	v_cmp_eq_u32_e64 s[40:41], v51, v0
	s_and_saveexec_b64 s[42:43], s[40:41]
	s_cbranch_execz .LBB1064_176
; %bb.175:
	v_lshlrev_b32_e32 v9, 3, v1
	ds_write_b32 v9, v7
	ds_write_b8 v9, v5 offset:4
.LBB1064_176:
	s_or_b64 exec, exec, s[42:43]
	v_cmp_gt_u32_e64 s[40:41], 4, v0
	s_waitcnt lgkmcnt(0)
	s_barrier
	s_and_saveexec_b64 s[42:43], s[40:41]
	s_cbranch_execz .LBB1064_180
; %bb.177:
	v_lshlrev_b32_e32 v9, 3, v0
	ds_read_b64 v[34:35], v9
	v_and_b32_e32 v11, 3, v3
	v_cmp_ne_u32_e64 s[40:41], 0, v11
	s_waitcnt lgkmcnt(0)
	v_mov_b32_dpp v13, v34 row_shr:1 row_mask:0xf bank_mask:0xf
	v_mov_b32_dpp v17, v35 row_shr:1 row_mask:0xf bank_mask:0xf
	v_mov_b32_e32 v15, v35
	s_and_saveexec_b64 s[44:45], s[40:41]
	s_cbranch_execz .LBB1064_179
; %bb.178:
	v_and_b32_e32 v15, 1, v35
	v_and_b32_e32 v17, 1, v17
	v_cmp_eq_u32_e64 s[40:41], 1, v15
	v_mov_b32_e32 v15, 0
	s_nop 0
	v_cndmask_b32_e64 v17, v17, 1, s[40:41]
	v_cmp_eq_u16_sdwa s[40:41], v35, v15 src0_sel:BYTE_0 src1_sel:DWORD
	s_nop 1
	v_cndmask_b32_e64 v13, 0, v13, s[40:41]
	v_add_u32_e32 v34, v13, v34
	v_and_b32_e32 v13, 0xffff, v17
	s_movk_i32 s40, 0xff00
	v_and_or_b32 v15, v35, s40, v13
	v_mov_b32_e32 v35, v17
.LBB1064_179:
	s_or_b64 exec, exec, s[44:45]
	v_mov_b32_dpp v15, v15 row_shr:2 row_mask:0xf bank_mask:0xf
	v_and_b32_e32 v17, 1, v35
	v_and_b32_e32 v15, 1, v15
	v_cmp_eq_u32_e64 s[40:41], 1, v17
	v_mov_b32_e32 v17, 0
	v_cmp_eq_u16_sdwa s[44:45], v35, v17 src0_sel:BYTE_0 src1_sel:DWORD
	v_cndmask_b32_e64 v15, v15, 1, s[40:41]
	v_cmp_lt_u32_e64 s[40:41], 1, v11
	v_mov_b32_dpp v13, v34 row_shr:2 row_mask:0xf bank_mask:0xf
	s_nop 0
	v_cndmask_b32_e64 v11, v35, v15, s[40:41]
	s_and_b64 s[40:41], s[40:41], s[44:45]
	v_cndmask_b32_e64 v13, 0, v13, s[40:41]
	v_add_u32_e32 v13, v13, v34
	ds_write_b32 v9, v13
	ds_write_b8 v9, v11 offset:4
.LBB1064_180:
	s_or_b64 exec, exec, s[42:43]
	v_cmp_lt_u32_e64 s[40:41], 63, v0
	s_waitcnt vmcnt(0)
	v_mov_b32_e32 v9, v68
	s_waitcnt lgkmcnt(0)
	s_barrier
	s_and_saveexec_b64 s[42:43], s[40:41]
	s_cbranch_execz .LBB1064_182
; %bb.181:
	v_lshl_add_u32 v1, v1, 3, -8
	ds_read_u8 v9, v1 offset:4
	ds_read_b32 v1, v1
	s_waitcnt lgkmcnt(1)
	v_cmp_eq_u16_e64 s[40:41], 0, v9
	s_nop 1
	v_cndmask_b32_e64 v9, 0, v68, s[40:41]
	s_waitcnt lgkmcnt(0)
	v_add_u32_e32 v9, v9, v1
.LBB1064_182:
	s_or_b64 exec, exec, s[42:43]
	v_mov_b32_e32 v34, 0
	v_cmp_eq_u16_sdwa s[40:41], v5, v34 src0_sel:BYTE_0 src1_sel:DWORD
	v_add_u32_e32 v5, -1, v3
	v_and_b32_e32 v35, 0xff, v43
	v_cndmask_b32_e64 v1, 0, v9, s[40:41]
	v_add_u32_e32 v1, v1, v7
	v_and_b32_e32 v7, 64, v3
	v_cmp_lt_i32_e64 s[40:41], v5, v7
	v_cmp_eq_u64_e64 s[42:43], 0, v[34:35]
	s_nop 0
	v_cndmask_b32_e64 v5, v5, v3, s[40:41]
	v_lshlrev_b32_e32 v5, 2, v5
	ds_bpermute_b32 v1, v5, v1
	v_cmp_eq_u32_e64 s[40:41], 0, v3
	s_waitcnt lgkmcnt(0)
	s_nop 0
	v_cndmask_b32_e64 v39, v1, v9, s[40:41]
	v_cmp_eq_u32_e64 s[40:41], 0, v0
	s_nop 1
	v_cndmask_b32_e64 v1, v39, v68, s[40:41]
	v_cndmask_b32_e64 v1, 0, v1, s[42:43]
	v_add_u32_e32 v35, v1, v42
	v_cndmask_b32_e32 v1, 0, v35, vcc
	v_add_u32_e32 v36, v1, v8
	v_cndmask_b32_e64 v1, 0, v36, s[2:3]
	v_add_u32_e32 v37, v1, v6
	v_cndmask_b32_e64 v1, 0, v37, s[4:5]
	;; [unrolled: 2-line block ×18, first 2 shown]
	s_and_saveexec_b64 s[2:3], s[40:41]
	s_cbranch_execz .LBB1064_184
; %bb.183:
	ds_read_u8 v3, v34 offset:28
	ds_read_b32 v2, v34 offset:24
	s_add_u32 s4, s52, 0x400
	s_addc_u32 s5, s53, 0
	v_mov_b32_e32 v5, v34
	s_waitcnt lgkmcnt(1)
	v_cmp_eq_u16_e32 vcc, 0, v3
	v_and_b32_e32 v3, 0xffff, v3
	v_mov_b64_e32 v[6:7], s[4:5]
	v_cndmask_b32_e32 v4, 0, v68, vcc
	s_waitcnt lgkmcnt(0)
	v_add_u32_e32 v2, v4, v2
	v_mov_b32_e32 v4, 2
	;;#ASMSTART
	global_store_dwordx4 v[6:7], v[2:5] off sc1	
s_waitcnt vmcnt(0)
	;;#ASMEND
	v_mov_b32_e32 v39, v68
.LBB1064_184:
	s_or_b64 exec, exec, s[2:3]
	v_add_u32_e32 v34, v1, v32
.LBB1064_185:
	s_add_u32 s2, s50, s60
	s_addc_u32 s3, s51, s61
	s_add_u32 s2, s2, s48
	s_addc_u32 s3, s3, s49
	s_and_b64 vcc, exec, s[0:1]
	s_cbranch_vccz .LBB1064_227
; %bb.186:
	s_movk_i32 s0, 0x54
	v_mul_i32_i24_e32 v24, 0xffffffb0, v0
	v_mul_u32_u24_e32 v1, 0x54, v0
	v_mad_u32_u24 v2, v0, s0, v24
	s_barrier
	ds_write2_b32 v1, v39, v35 offset1:1
	ds_write2_b32 v1, v36, v37 offset0:2 offset1:3
	ds_write2_b32 v1, v38, v40 offset0:4 offset1:5
	;; [unrolled: 1-line block ×9, first 2 shown]
	ds_write_b32 v1, v34 offset:80
	s_waitcnt lgkmcnt(0)
	s_barrier
	ds_read2st64_b32 v[22:23], v2 offset0:4 offset1:8
	ds_read2st64_b32 v[20:21], v2 offset0:12 offset1:16
	ds_read2st64_b32 v[18:19], v2 offset0:20 offset1:24
	ds_read2st64_b32 v[16:17], v2 offset0:28 offset1:32
	ds_read2st64_b32 v[14:15], v2 offset0:36 offset1:40
	ds_read2st64_b32 v[12:13], v2 offset0:44 offset1:48
	ds_read2st64_b32 v[10:11], v2 offset0:52 offset1:56
	ds_read2st64_b32 v[8:9], v2 offset0:60 offset1:64
	ds_read2st64_b32 v[6:7], v2 offset0:68 offset1:72
	ds_read2st64_b32 v[2:3], v2 offset0:76 offset1:80
	s_add_i32 s33, s33, s54
	v_mov_b32_e32 v51, 0
	v_lshl_add_u64 v[4:5], s[2:3], 0, v[50:51]
	v_cmp_gt_u32_e32 vcc, s33, v0
	s_and_saveexec_b64 s[0:1], vcc
	s_cbranch_execz .LBB1064_188
; %bb.187:
	v_add_u32_e32 v1, v1, v24
	ds_read_b32 v1, v1
	s_waitcnt lgkmcnt(0)
	flat_store_short v[4:5], v1
.LBB1064_188:
	s_or_b64 exec, exec, s[0:1]
	v_or_b32_e32 v1, 0x100, v0
	v_cmp_gt_u32_e32 vcc, s33, v1
	s_and_saveexec_b64 s[0:1], vcc
	s_cbranch_execz .LBB1064_190
; %bb.189:
	s_waitcnt lgkmcnt(0)
	flat_store_short v[4:5], v22 offset:512
.LBB1064_190:
	s_or_b64 exec, exec, s[0:1]
	v_or_b32_e32 v1, 0x200, v0
	v_cmp_gt_u32_e32 vcc, s33, v1
	s_and_saveexec_b64 s[0:1], vcc
	s_cbranch_execz .LBB1064_192
; %bb.191:
	s_waitcnt lgkmcnt(0)
	flat_store_short v[4:5], v23 offset:1024
.LBB1064_192:
	s_or_b64 exec, exec, s[0:1]
	v_or_b32_e32 v1, 0x300, v0
	v_cmp_gt_u32_e32 vcc, s33, v1
	s_and_saveexec_b64 s[0:1], vcc
	s_cbranch_execz .LBB1064_194
; %bb.193:
	s_waitcnt lgkmcnt(0)
	flat_store_short v[4:5], v20 offset:1536
.LBB1064_194:
	s_or_b64 exec, exec, s[0:1]
	v_or_b32_e32 v1, 0x400, v0
	v_cmp_gt_u32_e32 vcc, s33, v1
	s_and_saveexec_b64 s[0:1], vcc
	s_cbranch_execz .LBB1064_196
; %bb.195:
	s_waitcnt lgkmcnt(0)
	flat_store_short v[4:5], v21 offset:2048
.LBB1064_196:
	s_or_b64 exec, exec, s[0:1]
	v_or_b32_e32 v1, 0x500, v0
	v_cmp_gt_u32_e32 vcc, s33, v1
	s_and_saveexec_b64 s[0:1], vcc
	s_cbranch_execz .LBB1064_198
; %bb.197:
	s_waitcnt lgkmcnt(0)
	flat_store_short v[4:5], v18 offset:2560
.LBB1064_198:
	s_or_b64 exec, exec, s[0:1]
	v_or_b32_e32 v1, 0x600, v0
	v_cmp_gt_u32_e32 vcc, s33, v1
	s_and_saveexec_b64 s[0:1], vcc
	s_cbranch_execz .LBB1064_200
; %bb.199:
	s_waitcnt lgkmcnt(0)
	flat_store_short v[4:5], v19 offset:3072
.LBB1064_200:
	s_or_b64 exec, exec, s[0:1]
	v_or_b32_e32 v1, 0x700, v0
	v_cmp_gt_u32_e32 vcc, s33, v1
	s_and_saveexec_b64 s[0:1], vcc
	s_cbranch_execz .LBB1064_202
; %bb.201:
	s_waitcnt lgkmcnt(0)
	flat_store_short v[4:5], v16 offset:3584
.LBB1064_202:
	s_or_b64 exec, exec, s[0:1]
	v_or_b32_e32 v1, 0x800, v0
	v_cmp_gt_u32_e32 vcc, s33, v1
	s_and_saveexec_b64 s[0:1], vcc
	s_cbranch_execz .LBB1064_204
; %bb.203:
	s_waitcnt lgkmcnt(0)
	v_add_co_u32_e32 v18, vcc, 0x1000, v4
	s_nop 1
	v_addc_co_u32_e32 v19, vcc, 0, v5, vcc
	flat_store_short v[18:19], v17
.LBB1064_204:
	s_or_b64 exec, exec, s[0:1]
	v_or_b32_e32 v1, 0x900, v0
	v_cmp_gt_u32_e32 vcc, s33, v1
	s_and_saveexec_b64 s[0:1], vcc
	s_cbranch_execz .LBB1064_206
; %bb.205:
	s_waitcnt lgkmcnt(0)
	v_add_co_u32_e32 v16, vcc, 0x1000, v4
	s_nop 1
	v_addc_co_u32_e32 v17, vcc, 0, v5, vcc
	flat_store_short v[16:17], v14 offset:512
.LBB1064_206:
	s_or_b64 exec, exec, s[0:1]
	v_or_b32_e32 v1, 0xa00, v0
	v_cmp_gt_u32_e32 vcc, s33, v1
	s_and_saveexec_b64 s[0:1], vcc
	s_cbranch_execz .LBB1064_208
; %bb.207:
	s_waitcnt lgkmcnt(0)
	v_add_co_u32_e32 v16, vcc, 0x1000, v4
	s_nop 1
	v_addc_co_u32_e32 v17, vcc, 0, v5, vcc
	flat_store_short v[16:17], v15 offset:1024
.LBB1064_208:
	;; [unrolled: 12-line block ×7, first 2 shown]
	s_or_b64 exec, exec, s[0:1]
	v_or_b32_e32 v1, 0x1000, v0
	v_cmp_gt_u32_e32 vcc, s33, v1
	s_and_saveexec_b64 s[0:1], vcc
	s_cbranch_execz .LBB1064_220
; %bb.219:
	s_waitcnt lgkmcnt(0)
	v_add_co_u32_e32 v10, vcc, 0x2000, v4
	s_nop 1
	v_addc_co_u32_e32 v11, vcc, 0, v5, vcc
	flat_store_short v[10:11], v9
.LBB1064_220:
	s_or_b64 exec, exec, s[0:1]
	v_or_b32_e32 v1, 0x1100, v0
	v_cmp_gt_u32_e32 vcc, s33, v1
	s_and_saveexec_b64 s[0:1], vcc
	s_cbranch_execz .LBB1064_222
; %bb.221:
	s_waitcnt lgkmcnt(0)
	v_add_co_u32_e32 v8, vcc, 0x2000, v4
	s_nop 1
	v_addc_co_u32_e32 v9, vcc, 0, v5, vcc
	flat_store_short v[8:9], v6 offset:512
.LBB1064_222:
	s_or_b64 exec, exec, s[0:1]
	v_or_b32_e32 v1, 0x1200, v0
	v_cmp_gt_u32_e32 vcc, s33, v1
	s_and_saveexec_b64 s[0:1], vcc
	s_cbranch_execz .LBB1064_224
; %bb.223:
	s_waitcnt lgkmcnt(0)
	v_add_co_u32_e32 v8, vcc, 0x2000, v4
	s_nop 1
	v_addc_co_u32_e32 v9, vcc, 0, v5, vcc
	flat_store_short v[8:9], v7 offset:1024
.LBB1064_224:
	s_or_b64 exec, exec, s[0:1]
	v_or_b32_e32 v1, 0x1300, v0
	v_cmp_gt_u32_e32 vcc, s33, v1
	s_and_saveexec_b64 s[0:1], vcc
	s_cbranch_execz .LBB1064_226
; %bb.225:
	v_add_co_u32_e32 v4, vcc, 0x2000, v4
	s_nop 1
	v_addc_co_u32_e32 v5, vcc, 0, v5, vcc
	s_waitcnt lgkmcnt(0)
	flat_store_short v[4:5], v2 offset:1536
.LBB1064_226:
	s_or_b64 exec, exec, s[0:1]
	s_waitcnt lgkmcnt(0)
	v_or_b32_e32 v2, 0x1400, v0
	v_mov_b32_e32 v1, v51
	v_cmp_gt_u32_e64 s[0:1], s33, v2
	s_branch .LBB1064_229
.LBB1064_227:
	s_mov_b64 s[0:1], 0
                                        ; implicit-def: $vgpr3
	s_cbranch_execz .LBB1064_229
; %bb.228:
	v_mul_u32_u24_e32 v1, 0x54, v0
	s_barrier
	s_movk_i32 s4, 0x54
	ds_write2_b32 v1, v39, v35 offset1:1
	ds_write2_b32 v1, v36, v37 offset0:2 offset1:3
	ds_write2_b32 v1, v38, v40 offset0:4 offset1:5
	;; [unrolled: 1-line block ×9, first 2 shown]
	ds_write_b32 v1, v34 offset:80
	v_mov_b32_e32 v1, 0
	v_mul_i32_i24_e32 v2, 0xffffffb0, v0
	v_mad_u32_u24 v2, v0, s4, v2
	v_mov_b32_e32 v51, v1
	s_waitcnt lgkmcnt(0)
	s_barrier
	ds_read2st64_b32 v[4:5], v2 offset1:4
	ds_read2st64_b32 v[6:7], v2 offset0:8 offset1:12
	ds_read2st64_b32 v[8:9], v2 offset0:16 offset1:20
	;; [unrolled: 1-line block ×9, first 2 shown]
	ds_read_b32 v3, v2 offset:20480
	v_lshl_add_u64 v[24:25], s[2:3], 0, v[50:51]
	s_movk_i32 s4, 0x1000
	s_waitcnt lgkmcnt(0)
	flat_store_short v[24:25], v4
	flat_store_short v[24:25], v5 offset:512
	flat_store_short v[24:25], v6 offset:1024
	;; [unrolled: 1-line block ×7, first 2 shown]
	v_add_co_u32_e32 v4, vcc, s4, v24
	s_or_b64 s[0:1], s[0:1], exec
	s_nop 0
	v_addc_co_u32_e32 v5, vcc, 0, v25, vcc
	flat_store_short v[4:5], v12
	flat_store_short v[4:5], v13 offset:512
	flat_store_short v[4:5], v14 offset:1024
	;; [unrolled: 1-line block ×7, first 2 shown]
	v_add_co_u32_e32 v4, vcc, 0x2000, v24
	s_nop 1
	v_addc_co_u32_e32 v5, vcc, 0, v25, vcc
	flat_store_short v[4:5], v20
	flat_store_short v[4:5], v21 offset:512
	flat_store_short v[4:5], v22 offset:1024
	;; [unrolled: 1-line block ×3, first 2 shown]
.LBB1064_229:
	s_and_saveexec_b64 s[4:5], s[0:1]
	s_cbranch_execz .LBB1064_231
; %bb.230:
	v_lshl_add_u64 v[0:1], v[0:1], 1, s[2:3]
	v_add_co_u32_e32 v0, vcc, 0x2000, v0
	s_nop 1
	v_addc_co_u32_e32 v1, vcc, 0, v1, vcc
	flat_store_short v[0:1], v3 offset:2048
	s_endpgm
.LBB1064_231:
	s_endpgm
	.section	.rodata,"a",@progbits
	.p2align	6, 0x0
	.amdhsa_kernel _ZN7rocprim17ROCPRIM_400000_NS6detail17trampoline_kernelINS0_14default_configENS1_27scan_by_key_config_selectorIsiEEZZNS1_16scan_by_key_implILNS1_25lookback_scan_determinismE0ELb1ES3_N6thrust23THRUST_200600_302600_NS6detail15normal_iteratorINS9_10device_ptrIsEEEESE_SE_iNS9_4plusIvEENS9_8equal_toIvEEiEE10hipError_tPvRmT2_T3_T4_T5_mT6_T7_P12ihipStream_tbENKUlT_T0_E_clISt17integral_constantIbLb1EESY_IbLb0EEEEDaSU_SV_EUlSU_E_NS1_11comp_targetILNS1_3genE5ELNS1_11target_archE942ELNS1_3gpuE9ELNS1_3repE0EEENS1_30default_config_static_selectorELNS0_4arch9wavefront6targetE1EEEvT1_
		.amdhsa_group_segment_fixed_size 21504
		.amdhsa_private_segment_fixed_size 0
		.amdhsa_kernarg_size 112
		.amdhsa_user_sgpr_count 2
		.amdhsa_user_sgpr_dispatch_ptr 0
		.amdhsa_user_sgpr_queue_ptr 0
		.amdhsa_user_sgpr_kernarg_segment_ptr 1
		.amdhsa_user_sgpr_dispatch_id 0
		.amdhsa_user_sgpr_kernarg_preload_length 0
		.amdhsa_user_sgpr_kernarg_preload_offset 0
		.amdhsa_user_sgpr_private_segment_size 0
		.amdhsa_uses_dynamic_stack 0
		.amdhsa_enable_private_segment 0
		.amdhsa_system_sgpr_workgroup_id_x 1
		.amdhsa_system_sgpr_workgroup_id_y 0
		.amdhsa_system_sgpr_workgroup_id_z 0
		.amdhsa_system_sgpr_workgroup_info 0
		.amdhsa_system_vgpr_workitem_id 0
		.amdhsa_next_free_vgpr 79
		.amdhsa_next_free_sgpr 84
		.amdhsa_accum_offset 80
		.amdhsa_reserve_vcc 1
		.amdhsa_float_round_mode_32 0
		.amdhsa_float_round_mode_16_64 0
		.amdhsa_float_denorm_mode_32 3
		.amdhsa_float_denorm_mode_16_64 3
		.amdhsa_dx10_clamp 1
		.amdhsa_ieee_mode 1
		.amdhsa_fp16_overflow 0
		.amdhsa_tg_split 0
		.amdhsa_exception_fp_ieee_invalid_op 0
		.amdhsa_exception_fp_denorm_src 0
		.amdhsa_exception_fp_ieee_div_zero 0
		.amdhsa_exception_fp_ieee_overflow 0
		.amdhsa_exception_fp_ieee_underflow 0
		.amdhsa_exception_fp_ieee_inexact 0
		.amdhsa_exception_int_div_zero 0
	.end_amdhsa_kernel
	.section	.text._ZN7rocprim17ROCPRIM_400000_NS6detail17trampoline_kernelINS0_14default_configENS1_27scan_by_key_config_selectorIsiEEZZNS1_16scan_by_key_implILNS1_25lookback_scan_determinismE0ELb1ES3_N6thrust23THRUST_200600_302600_NS6detail15normal_iteratorINS9_10device_ptrIsEEEESE_SE_iNS9_4plusIvEENS9_8equal_toIvEEiEE10hipError_tPvRmT2_T3_T4_T5_mT6_T7_P12ihipStream_tbENKUlT_T0_E_clISt17integral_constantIbLb1EESY_IbLb0EEEEDaSU_SV_EUlSU_E_NS1_11comp_targetILNS1_3genE5ELNS1_11target_archE942ELNS1_3gpuE9ELNS1_3repE0EEENS1_30default_config_static_selectorELNS0_4arch9wavefront6targetE1EEEvT1_,"axG",@progbits,_ZN7rocprim17ROCPRIM_400000_NS6detail17trampoline_kernelINS0_14default_configENS1_27scan_by_key_config_selectorIsiEEZZNS1_16scan_by_key_implILNS1_25lookback_scan_determinismE0ELb1ES3_N6thrust23THRUST_200600_302600_NS6detail15normal_iteratorINS9_10device_ptrIsEEEESE_SE_iNS9_4plusIvEENS9_8equal_toIvEEiEE10hipError_tPvRmT2_T3_T4_T5_mT6_T7_P12ihipStream_tbENKUlT_T0_E_clISt17integral_constantIbLb1EESY_IbLb0EEEEDaSU_SV_EUlSU_E_NS1_11comp_targetILNS1_3genE5ELNS1_11target_archE942ELNS1_3gpuE9ELNS1_3repE0EEENS1_30default_config_static_selectorELNS0_4arch9wavefront6targetE1EEEvT1_,comdat
.Lfunc_end1064:
	.size	_ZN7rocprim17ROCPRIM_400000_NS6detail17trampoline_kernelINS0_14default_configENS1_27scan_by_key_config_selectorIsiEEZZNS1_16scan_by_key_implILNS1_25lookback_scan_determinismE0ELb1ES3_N6thrust23THRUST_200600_302600_NS6detail15normal_iteratorINS9_10device_ptrIsEEEESE_SE_iNS9_4plusIvEENS9_8equal_toIvEEiEE10hipError_tPvRmT2_T3_T4_T5_mT6_T7_P12ihipStream_tbENKUlT_T0_E_clISt17integral_constantIbLb1EESY_IbLb0EEEEDaSU_SV_EUlSU_E_NS1_11comp_targetILNS1_3genE5ELNS1_11target_archE942ELNS1_3gpuE9ELNS1_3repE0EEENS1_30default_config_static_selectorELNS0_4arch9wavefront6targetE1EEEvT1_, .Lfunc_end1064-_ZN7rocprim17ROCPRIM_400000_NS6detail17trampoline_kernelINS0_14default_configENS1_27scan_by_key_config_selectorIsiEEZZNS1_16scan_by_key_implILNS1_25lookback_scan_determinismE0ELb1ES3_N6thrust23THRUST_200600_302600_NS6detail15normal_iteratorINS9_10device_ptrIsEEEESE_SE_iNS9_4plusIvEENS9_8equal_toIvEEiEE10hipError_tPvRmT2_T3_T4_T5_mT6_T7_P12ihipStream_tbENKUlT_T0_E_clISt17integral_constantIbLb1EESY_IbLb0EEEEDaSU_SV_EUlSU_E_NS1_11comp_targetILNS1_3genE5ELNS1_11target_archE942ELNS1_3gpuE9ELNS1_3repE0EEENS1_30default_config_static_selectorELNS0_4arch9wavefront6targetE1EEEvT1_
                                        ; -- End function
	.section	.AMDGPU.csdata,"",@progbits
; Kernel info:
; codeLenInByte = 14876
; NumSgprs: 90
; NumVgprs: 79
; NumAgprs: 0
; TotalNumVgprs: 79
; ScratchSize: 0
; MemoryBound: 0
; FloatMode: 240
; IeeeMode: 1
; LDSByteSize: 21504 bytes/workgroup (compile time only)
; SGPRBlocks: 11
; VGPRBlocks: 9
; NumSGPRsForWavesPerEU: 90
; NumVGPRsForWavesPerEU: 79
; AccumOffset: 80
; Occupancy: 3
; WaveLimiterHint : 1
; COMPUTE_PGM_RSRC2:SCRATCH_EN: 0
; COMPUTE_PGM_RSRC2:USER_SGPR: 2
; COMPUTE_PGM_RSRC2:TRAP_HANDLER: 0
; COMPUTE_PGM_RSRC2:TGID_X_EN: 1
; COMPUTE_PGM_RSRC2:TGID_Y_EN: 0
; COMPUTE_PGM_RSRC2:TGID_Z_EN: 0
; COMPUTE_PGM_RSRC2:TIDIG_COMP_CNT: 0
; COMPUTE_PGM_RSRC3_GFX90A:ACCUM_OFFSET: 19
; COMPUTE_PGM_RSRC3_GFX90A:TG_SPLIT: 0
	.section	.text._ZN7rocprim17ROCPRIM_400000_NS6detail17trampoline_kernelINS0_14default_configENS1_27scan_by_key_config_selectorIsiEEZZNS1_16scan_by_key_implILNS1_25lookback_scan_determinismE0ELb1ES3_N6thrust23THRUST_200600_302600_NS6detail15normal_iteratorINS9_10device_ptrIsEEEESE_SE_iNS9_4plusIvEENS9_8equal_toIvEEiEE10hipError_tPvRmT2_T3_T4_T5_mT6_T7_P12ihipStream_tbENKUlT_T0_E_clISt17integral_constantIbLb1EESY_IbLb0EEEEDaSU_SV_EUlSU_E_NS1_11comp_targetILNS1_3genE4ELNS1_11target_archE910ELNS1_3gpuE8ELNS1_3repE0EEENS1_30default_config_static_selectorELNS0_4arch9wavefront6targetE1EEEvT1_,"axG",@progbits,_ZN7rocprim17ROCPRIM_400000_NS6detail17trampoline_kernelINS0_14default_configENS1_27scan_by_key_config_selectorIsiEEZZNS1_16scan_by_key_implILNS1_25lookback_scan_determinismE0ELb1ES3_N6thrust23THRUST_200600_302600_NS6detail15normal_iteratorINS9_10device_ptrIsEEEESE_SE_iNS9_4plusIvEENS9_8equal_toIvEEiEE10hipError_tPvRmT2_T3_T4_T5_mT6_T7_P12ihipStream_tbENKUlT_T0_E_clISt17integral_constantIbLb1EESY_IbLb0EEEEDaSU_SV_EUlSU_E_NS1_11comp_targetILNS1_3genE4ELNS1_11target_archE910ELNS1_3gpuE8ELNS1_3repE0EEENS1_30default_config_static_selectorELNS0_4arch9wavefront6targetE1EEEvT1_,comdat
	.protected	_ZN7rocprim17ROCPRIM_400000_NS6detail17trampoline_kernelINS0_14default_configENS1_27scan_by_key_config_selectorIsiEEZZNS1_16scan_by_key_implILNS1_25lookback_scan_determinismE0ELb1ES3_N6thrust23THRUST_200600_302600_NS6detail15normal_iteratorINS9_10device_ptrIsEEEESE_SE_iNS9_4plusIvEENS9_8equal_toIvEEiEE10hipError_tPvRmT2_T3_T4_T5_mT6_T7_P12ihipStream_tbENKUlT_T0_E_clISt17integral_constantIbLb1EESY_IbLb0EEEEDaSU_SV_EUlSU_E_NS1_11comp_targetILNS1_3genE4ELNS1_11target_archE910ELNS1_3gpuE8ELNS1_3repE0EEENS1_30default_config_static_selectorELNS0_4arch9wavefront6targetE1EEEvT1_ ; -- Begin function _ZN7rocprim17ROCPRIM_400000_NS6detail17trampoline_kernelINS0_14default_configENS1_27scan_by_key_config_selectorIsiEEZZNS1_16scan_by_key_implILNS1_25lookback_scan_determinismE0ELb1ES3_N6thrust23THRUST_200600_302600_NS6detail15normal_iteratorINS9_10device_ptrIsEEEESE_SE_iNS9_4plusIvEENS9_8equal_toIvEEiEE10hipError_tPvRmT2_T3_T4_T5_mT6_T7_P12ihipStream_tbENKUlT_T0_E_clISt17integral_constantIbLb1EESY_IbLb0EEEEDaSU_SV_EUlSU_E_NS1_11comp_targetILNS1_3genE4ELNS1_11target_archE910ELNS1_3gpuE8ELNS1_3repE0EEENS1_30default_config_static_selectorELNS0_4arch9wavefront6targetE1EEEvT1_
	.globl	_ZN7rocprim17ROCPRIM_400000_NS6detail17trampoline_kernelINS0_14default_configENS1_27scan_by_key_config_selectorIsiEEZZNS1_16scan_by_key_implILNS1_25lookback_scan_determinismE0ELb1ES3_N6thrust23THRUST_200600_302600_NS6detail15normal_iteratorINS9_10device_ptrIsEEEESE_SE_iNS9_4plusIvEENS9_8equal_toIvEEiEE10hipError_tPvRmT2_T3_T4_T5_mT6_T7_P12ihipStream_tbENKUlT_T0_E_clISt17integral_constantIbLb1EESY_IbLb0EEEEDaSU_SV_EUlSU_E_NS1_11comp_targetILNS1_3genE4ELNS1_11target_archE910ELNS1_3gpuE8ELNS1_3repE0EEENS1_30default_config_static_selectorELNS0_4arch9wavefront6targetE1EEEvT1_
	.p2align	8
	.type	_ZN7rocprim17ROCPRIM_400000_NS6detail17trampoline_kernelINS0_14default_configENS1_27scan_by_key_config_selectorIsiEEZZNS1_16scan_by_key_implILNS1_25lookback_scan_determinismE0ELb1ES3_N6thrust23THRUST_200600_302600_NS6detail15normal_iteratorINS9_10device_ptrIsEEEESE_SE_iNS9_4plusIvEENS9_8equal_toIvEEiEE10hipError_tPvRmT2_T3_T4_T5_mT6_T7_P12ihipStream_tbENKUlT_T0_E_clISt17integral_constantIbLb1EESY_IbLb0EEEEDaSU_SV_EUlSU_E_NS1_11comp_targetILNS1_3genE4ELNS1_11target_archE910ELNS1_3gpuE8ELNS1_3repE0EEENS1_30default_config_static_selectorELNS0_4arch9wavefront6targetE1EEEvT1_,@function
_ZN7rocprim17ROCPRIM_400000_NS6detail17trampoline_kernelINS0_14default_configENS1_27scan_by_key_config_selectorIsiEEZZNS1_16scan_by_key_implILNS1_25lookback_scan_determinismE0ELb1ES3_N6thrust23THRUST_200600_302600_NS6detail15normal_iteratorINS9_10device_ptrIsEEEESE_SE_iNS9_4plusIvEENS9_8equal_toIvEEiEE10hipError_tPvRmT2_T3_T4_T5_mT6_T7_P12ihipStream_tbENKUlT_T0_E_clISt17integral_constantIbLb1EESY_IbLb0EEEEDaSU_SV_EUlSU_E_NS1_11comp_targetILNS1_3genE4ELNS1_11target_archE910ELNS1_3gpuE8ELNS1_3repE0EEENS1_30default_config_static_selectorELNS0_4arch9wavefront6targetE1EEEvT1_: ; @_ZN7rocprim17ROCPRIM_400000_NS6detail17trampoline_kernelINS0_14default_configENS1_27scan_by_key_config_selectorIsiEEZZNS1_16scan_by_key_implILNS1_25lookback_scan_determinismE0ELb1ES3_N6thrust23THRUST_200600_302600_NS6detail15normal_iteratorINS9_10device_ptrIsEEEESE_SE_iNS9_4plusIvEENS9_8equal_toIvEEiEE10hipError_tPvRmT2_T3_T4_T5_mT6_T7_P12ihipStream_tbENKUlT_T0_E_clISt17integral_constantIbLb1EESY_IbLb0EEEEDaSU_SV_EUlSU_E_NS1_11comp_targetILNS1_3genE4ELNS1_11target_archE910ELNS1_3gpuE8ELNS1_3repE0EEENS1_30default_config_static_selectorELNS0_4arch9wavefront6targetE1EEEvT1_
; %bb.0:
	.section	.rodata,"a",@progbits
	.p2align	6, 0x0
	.amdhsa_kernel _ZN7rocprim17ROCPRIM_400000_NS6detail17trampoline_kernelINS0_14default_configENS1_27scan_by_key_config_selectorIsiEEZZNS1_16scan_by_key_implILNS1_25lookback_scan_determinismE0ELb1ES3_N6thrust23THRUST_200600_302600_NS6detail15normal_iteratorINS9_10device_ptrIsEEEESE_SE_iNS9_4plusIvEENS9_8equal_toIvEEiEE10hipError_tPvRmT2_T3_T4_T5_mT6_T7_P12ihipStream_tbENKUlT_T0_E_clISt17integral_constantIbLb1EESY_IbLb0EEEEDaSU_SV_EUlSU_E_NS1_11comp_targetILNS1_3genE4ELNS1_11target_archE910ELNS1_3gpuE8ELNS1_3repE0EEENS1_30default_config_static_selectorELNS0_4arch9wavefront6targetE1EEEvT1_
		.amdhsa_group_segment_fixed_size 0
		.amdhsa_private_segment_fixed_size 0
		.amdhsa_kernarg_size 112
		.amdhsa_user_sgpr_count 2
		.amdhsa_user_sgpr_dispatch_ptr 0
		.amdhsa_user_sgpr_queue_ptr 0
		.amdhsa_user_sgpr_kernarg_segment_ptr 1
		.amdhsa_user_sgpr_dispatch_id 0
		.amdhsa_user_sgpr_kernarg_preload_length 0
		.amdhsa_user_sgpr_kernarg_preload_offset 0
		.amdhsa_user_sgpr_private_segment_size 0
		.amdhsa_uses_dynamic_stack 0
		.amdhsa_enable_private_segment 0
		.amdhsa_system_sgpr_workgroup_id_x 1
		.amdhsa_system_sgpr_workgroup_id_y 0
		.amdhsa_system_sgpr_workgroup_id_z 0
		.amdhsa_system_sgpr_workgroup_info 0
		.amdhsa_system_vgpr_workitem_id 0
		.amdhsa_next_free_vgpr 1
		.amdhsa_next_free_sgpr 0
		.amdhsa_accum_offset 4
		.amdhsa_reserve_vcc 0
		.amdhsa_float_round_mode_32 0
		.amdhsa_float_round_mode_16_64 0
		.amdhsa_float_denorm_mode_32 3
		.amdhsa_float_denorm_mode_16_64 3
		.amdhsa_dx10_clamp 1
		.amdhsa_ieee_mode 1
		.amdhsa_fp16_overflow 0
		.amdhsa_tg_split 0
		.amdhsa_exception_fp_ieee_invalid_op 0
		.amdhsa_exception_fp_denorm_src 0
		.amdhsa_exception_fp_ieee_div_zero 0
		.amdhsa_exception_fp_ieee_overflow 0
		.amdhsa_exception_fp_ieee_underflow 0
		.amdhsa_exception_fp_ieee_inexact 0
		.amdhsa_exception_int_div_zero 0
	.end_amdhsa_kernel
	.section	.text._ZN7rocprim17ROCPRIM_400000_NS6detail17trampoline_kernelINS0_14default_configENS1_27scan_by_key_config_selectorIsiEEZZNS1_16scan_by_key_implILNS1_25lookback_scan_determinismE0ELb1ES3_N6thrust23THRUST_200600_302600_NS6detail15normal_iteratorINS9_10device_ptrIsEEEESE_SE_iNS9_4plusIvEENS9_8equal_toIvEEiEE10hipError_tPvRmT2_T3_T4_T5_mT6_T7_P12ihipStream_tbENKUlT_T0_E_clISt17integral_constantIbLb1EESY_IbLb0EEEEDaSU_SV_EUlSU_E_NS1_11comp_targetILNS1_3genE4ELNS1_11target_archE910ELNS1_3gpuE8ELNS1_3repE0EEENS1_30default_config_static_selectorELNS0_4arch9wavefront6targetE1EEEvT1_,"axG",@progbits,_ZN7rocprim17ROCPRIM_400000_NS6detail17trampoline_kernelINS0_14default_configENS1_27scan_by_key_config_selectorIsiEEZZNS1_16scan_by_key_implILNS1_25lookback_scan_determinismE0ELb1ES3_N6thrust23THRUST_200600_302600_NS6detail15normal_iteratorINS9_10device_ptrIsEEEESE_SE_iNS9_4plusIvEENS9_8equal_toIvEEiEE10hipError_tPvRmT2_T3_T4_T5_mT6_T7_P12ihipStream_tbENKUlT_T0_E_clISt17integral_constantIbLb1EESY_IbLb0EEEEDaSU_SV_EUlSU_E_NS1_11comp_targetILNS1_3genE4ELNS1_11target_archE910ELNS1_3gpuE8ELNS1_3repE0EEENS1_30default_config_static_selectorELNS0_4arch9wavefront6targetE1EEEvT1_,comdat
.Lfunc_end1065:
	.size	_ZN7rocprim17ROCPRIM_400000_NS6detail17trampoline_kernelINS0_14default_configENS1_27scan_by_key_config_selectorIsiEEZZNS1_16scan_by_key_implILNS1_25lookback_scan_determinismE0ELb1ES3_N6thrust23THRUST_200600_302600_NS6detail15normal_iteratorINS9_10device_ptrIsEEEESE_SE_iNS9_4plusIvEENS9_8equal_toIvEEiEE10hipError_tPvRmT2_T3_T4_T5_mT6_T7_P12ihipStream_tbENKUlT_T0_E_clISt17integral_constantIbLb1EESY_IbLb0EEEEDaSU_SV_EUlSU_E_NS1_11comp_targetILNS1_3genE4ELNS1_11target_archE910ELNS1_3gpuE8ELNS1_3repE0EEENS1_30default_config_static_selectorELNS0_4arch9wavefront6targetE1EEEvT1_, .Lfunc_end1065-_ZN7rocprim17ROCPRIM_400000_NS6detail17trampoline_kernelINS0_14default_configENS1_27scan_by_key_config_selectorIsiEEZZNS1_16scan_by_key_implILNS1_25lookback_scan_determinismE0ELb1ES3_N6thrust23THRUST_200600_302600_NS6detail15normal_iteratorINS9_10device_ptrIsEEEESE_SE_iNS9_4plusIvEENS9_8equal_toIvEEiEE10hipError_tPvRmT2_T3_T4_T5_mT6_T7_P12ihipStream_tbENKUlT_T0_E_clISt17integral_constantIbLb1EESY_IbLb0EEEEDaSU_SV_EUlSU_E_NS1_11comp_targetILNS1_3genE4ELNS1_11target_archE910ELNS1_3gpuE8ELNS1_3repE0EEENS1_30default_config_static_selectorELNS0_4arch9wavefront6targetE1EEEvT1_
                                        ; -- End function
	.section	.AMDGPU.csdata,"",@progbits
; Kernel info:
; codeLenInByte = 0
; NumSgprs: 6
; NumVgprs: 0
; NumAgprs: 0
; TotalNumVgprs: 0
; ScratchSize: 0
; MemoryBound: 0
; FloatMode: 240
; IeeeMode: 1
; LDSByteSize: 0 bytes/workgroup (compile time only)
; SGPRBlocks: 0
; VGPRBlocks: 0
; NumSGPRsForWavesPerEU: 6
; NumVGPRsForWavesPerEU: 1
; AccumOffset: 4
; Occupancy: 8
; WaveLimiterHint : 0
; COMPUTE_PGM_RSRC2:SCRATCH_EN: 0
; COMPUTE_PGM_RSRC2:USER_SGPR: 2
; COMPUTE_PGM_RSRC2:TRAP_HANDLER: 0
; COMPUTE_PGM_RSRC2:TGID_X_EN: 1
; COMPUTE_PGM_RSRC2:TGID_Y_EN: 0
; COMPUTE_PGM_RSRC2:TGID_Z_EN: 0
; COMPUTE_PGM_RSRC2:TIDIG_COMP_CNT: 0
; COMPUTE_PGM_RSRC3_GFX90A:ACCUM_OFFSET: 0
; COMPUTE_PGM_RSRC3_GFX90A:TG_SPLIT: 0
	.section	.text._ZN7rocprim17ROCPRIM_400000_NS6detail17trampoline_kernelINS0_14default_configENS1_27scan_by_key_config_selectorIsiEEZZNS1_16scan_by_key_implILNS1_25lookback_scan_determinismE0ELb1ES3_N6thrust23THRUST_200600_302600_NS6detail15normal_iteratorINS9_10device_ptrIsEEEESE_SE_iNS9_4plusIvEENS9_8equal_toIvEEiEE10hipError_tPvRmT2_T3_T4_T5_mT6_T7_P12ihipStream_tbENKUlT_T0_E_clISt17integral_constantIbLb1EESY_IbLb0EEEEDaSU_SV_EUlSU_E_NS1_11comp_targetILNS1_3genE3ELNS1_11target_archE908ELNS1_3gpuE7ELNS1_3repE0EEENS1_30default_config_static_selectorELNS0_4arch9wavefront6targetE1EEEvT1_,"axG",@progbits,_ZN7rocprim17ROCPRIM_400000_NS6detail17trampoline_kernelINS0_14default_configENS1_27scan_by_key_config_selectorIsiEEZZNS1_16scan_by_key_implILNS1_25lookback_scan_determinismE0ELb1ES3_N6thrust23THRUST_200600_302600_NS6detail15normal_iteratorINS9_10device_ptrIsEEEESE_SE_iNS9_4plusIvEENS9_8equal_toIvEEiEE10hipError_tPvRmT2_T3_T4_T5_mT6_T7_P12ihipStream_tbENKUlT_T0_E_clISt17integral_constantIbLb1EESY_IbLb0EEEEDaSU_SV_EUlSU_E_NS1_11comp_targetILNS1_3genE3ELNS1_11target_archE908ELNS1_3gpuE7ELNS1_3repE0EEENS1_30default_config_static_selectorELNS0_4arch9wavefront6targetE1EEEvT1_,comdat
	.protected	_ZN7rocprim17ROCPRIM_400000_NS6detail17trampoline_kernelINS0_14default_configENS1_27scan_by_key_config_selectorIsiEEZZNS1_16scan_by_key_implILNS1_25lookback_scan_determinismE0ELb1ES3_N6thrust23THRUST_200600_302600_NS6detail15normal_iteratorINS9_10device_ptrIsEEEESE_SE_iNS9_4plusIvEENS9_8equal_toIvEEiEE10hipError_tPvRmT2_T3_T4_T5_mT6_T7_P12ihipStream_tbENKUlT_T0_E_clISt17integral_constantIbLb1EESY_IbLb0EEEEDaSU_SV_EUlSU_E_NS1_11comp_targetILNS1_3genE3ELNS1_11target_archE908ELNS1_3gpuE7ELNS1_3repE0EEENS1_30default_config_static_selectorELNS0_4arch9wavefront6targetE1EEEvT1_ ; -- Begin function _ZN7rocprim17ROCPRIM_400000_NS6detail17trampoline_kernelINS0_14default_configENS1_27scan_by_key_config_selectorIsiEEZZNS1_16scan_by_key_implILNS1_25lookback_scan_determinismE0ELb1ES3_N6thrust23THRUST_200600_302600_NS6detail15normal_iteratorINS9_10device_ptrIsEEEESE_SE_iNS9_4plusIvEENS9_8equal_toIvEEiEE10hipError_tPvRmT2_T3_T4_T5_mT6_T7_P12ihipStream_tbENKUlT_T0_E_clISt17integral_constantIbLb1EESY_IbLb0EEEEDaSU_SV_EUlSU_E_NS1_11comp_targetILNS1_3genE3ELNS1_11target_archE908ELNS1_3gpuE7ELNS1_3repE0EEENS1_30default_config_static_selectorELNS0_4arch9wavefront6targetE1EEEvT1_
	.globl	_ZN7rocprim17ROCPRIM_400000_NS6detail17trampoline_kernelINS0_14default_configENS1_27scan_by_key_config_selectorIsiEEZZNS1_16scan_by_key_implILNS1_25lookback_scan_determinismE0ELb1ES3_N6thrust23THRUST_200600_302600_NS6detail15normal_iteratorINS9_10device_ptrIsEEEESE_SE_iNS9_4plusIvEENS9_8equal_toIvEEiEE10hipError_tPvRmT2_T3_T4_T5_mT6_T7_P12ihipStream_tbENKUlT_T0_E_clISt17integral_constantIbLb1EESY_IbLb0EEEEDaSU_SV_EUlSU_E_NS1_11comp_targetILNS1_3genE3ELNS1_11target_archE908ELNS1_3gpuE7ELNS1_3repE0EEENS1_30default_config_static_selectorELNS0_4arch9wavefront6targetE1EEEvT1_
	.p2align	8
	.type	_ZN7rocprim17ROCPRIM_400000_NS6detail17trampoline_kernelINS0_14default_configENS1_27scan_by_key_config_selectorIsiEEZZNS1_16scan_by_key_implILNS1_25lookback_scan_determinismE0ELb1ES3_N6thrust23THRUST_200600_302600_NS6detail15normal_iteratorINS9_10device_ptrIsEEEESE_SE_iNS9_4plusIvEENS9_8equal_toIvEEiEE10hipError_tPvRmT2_T3_T4_T5_mT6_T7_P12ihipStream_tbENKUlT_T0_E_clISt17integral_constantIbLb1EESY_IbLb0EEEEDaSU_SV_EUlSU_E_NS1_11comp_targetILNS1_3genE3ELNS1_11target_archE908ELNS1_3gpuE7ELNS1_3repE0EEENS1_30default_config_static_selectorELNS0_4arch9wavefront6targetE1EEEvT1_,@function
_ZN7rocprim17ROCPRIM_400000_NS6detail17trampoline_kernelINS0_14default_configENS1_27scan_by_key_config_selectorIsiEEZZNS1_16scan_by_key_implILNS1_25lookback_scan_determinismE0ELb1ES3_N6thrust23THRUST_200600_302600_NS6detail15normal_iteratorINS9_10device_ptrIsEEEESE_SE_iNS9_4plusIvEENS9_8equal_toIvEEiEE10hipError_tPvRmT2_T3_T4_T5_mT6_T7_P12ihipStream_tbENKUlT_T0_E_clISt17integral_constantIbLb1EESY_IbLb0EEEEDaSU_SV_EUlSU_E_NS1_11comp_targetILNS1_3genE3ELNS1_11target_archE908ELNS1_3gpuE7ELNS1_3repE0EEENS1_30default_config_static_selectorELNS0_4arch9wavefront6targetE1EEEvT1_: ; @_ZN7rocprim17ROCPRIM_400000_NS6detail17trampoline_kernelINS0_14default_configENS1_27scan_by_key_config_selectorIsiEEZZNS1_16scan_by_key_implILNS1_25lookback_scan_determinismE0ELb1ES3_N6thrust23THRUST_200600_302600_NS6detail15normal_iteratorINS9_10device_ptrIsEEEESE_SE_iNS9_4plusIvEENS9_8equal_toIvEEiEE10hipError_tPvRmT2_T3_T4_T5_mT6_T7_P12ihipStream_tbENKUlT_T0_E_clISt17integral_constantIbLb1EESY_IbLb0EEEEDaSU_SV_EUlSU_E_NS1_11comp_targetILNS1_3genE3ELNS1_11target_archE908ELNS1_3gpuE7ELNS1_3repE0EEENS1_30default_config_static_selectorELNS0_4arch9wavefront6targetE1EEEvT1_
; %bb.0:
	.section	.rodata,"a",@progbits
	.p2align	6, 0x0
	.amdhsa_kernel _ZN7rocprim17ROCPRIM_400000_NS6detail17trampoline_kernelINS0_14default_configENS1_27scan_by_key_config_selectorIsiEEZZNS1_16scan_by_key_implILNS1_25lookback_scan_determinismE0ELb1ES3_N6thrust23THRUST_200600_302600_NS6detail15normal_iteratorINS9_10device_ptrIsEEEESE_SE_iNS9_4plusIvEENS9_8equal_toIvEEiEE10hipError_tPvRmT2_T3_T4_T5_mT6_T7_P12ihipStream_tbENKUlT_T0_E_clISt17integral_constantIbLb1EESY_IbLb0EEEEDaSU_SV_EUlSU_E_NS1_11comp_targetILNS1_3genE3ELNS1_11target_archE908ELNS1_3gpuE7ELNS1_3repE0EEENS1_30default_config_static_selectorELNS0_4arch9wavefront6targetE1EEEvT1_
		.amdhsa_group_segment_fixed_size 0
		.amdhsa_private_segment_fixed_size 0
		.amdhsa_kernarg_size 112
		.amdhsa_user_sgpr_count 2
		.amdhsa_user_sgpr_dispatch_ptr 0
		.amdhsa_user_sgpr_queue_ptr 0
		.amdhsa_user_sgpr_kernarg_segment_ptr 1
		.amdhsa_user_sgpr_dispatch_id 0
		.amdhsa_user_sgpr_kernarg_preload_length 0
		.amdhsa_user_sgpr_kernarg_preload_offset 0
		.amdhsa_user_sgpr_private_segment_size 0
		.amdhsa_uses_dynamic_stack 0
		.amdhsa_enable_private_segment 0
		.amdhsa_system_sgpr_workgroup_id_x 1
		.amdhsa_system_sgpr_workgroup_id_y 0
		.amdhsa_system_sgpr_workgroup_id_z 0
		.amdhsa_system_sgpr_workgroup_info 0
		.amdhsa_system_vgpr_workitem_id 0
		.amdhsa_next_free_vgpr 1
		.amdhsa_next_free_sgpr 0
		.amdhsa_accum_offset 4
		.amdhsa_reserve_vcc 0
		.amdhsa_float_round_mode_32 0
		.amdhsa_float_round_mode_16_64 0
		.amdhsa_float_denorm_mode_32 3
		.amdhsa_float_denorm_mode_16_64 3
		.amdhsa_dx10_clamp 1
		.amdhsa_ieee_mode 1
		.amdhsa_fp16_overflow 0
		.amdhsa_tg_split 0
		.amdhsa_exception_fp_ieee_invalid_op 0
		.amdhsa_exception_fp_denorm_src 0
		.amdhsa_exception_fp_ieee_div_zero 0
		.amdhsa_exception_fp_ieee_overflow 0
		.amdhsa_exception_fp_ieee_underflow 0
		.amdhsa_exception_fp_ieee_inexact 0
		.amdhsa_exception_int_div_zero 0
	.end_amdhsa_kernel
	.section	.text._ZN7rocprim17ROCPRIM_400000_NS6detail17trampoline_kernelINS0_14default_configENS1_27scan_by_key_config_selectorIsiEEZZNS1_16scan_by_key_implILNS1_25lookback_scan_determinismE0ELb1ES3_N6thrust23THRUST_200600_302600_NS6detail15normal_iteratorINS9_10device_ptrIsEEEESE_SE_iNS9_4plusIvEENS9_8equal_toIvEEiEE10hipError_tPvRmT2_T3_T4_T5_mT6_T7_P12ihipStream_tbENKUlT_T0_E_clISt17integral_constantIbLb1EESY_IbLb0EEEEDaSU_SV_EUlSU_E_NS1_11comp_targetILNS1_3genE3ELNS1_11target_archE908ELNS1_3gpuE7ELNS1_3repE0EEENS1_30default_config_static_selectorELNS0_4arch9wavefront6targetE1EEEvT1_,"axG",@progbits,_ZN7rocprim17ROCPRIM_400000_NS6detail17trampoline_kernelINS0_14default_configENS1_27scan_by_key_config_selectorIsiEEZZNS1_16scan_by_key_implILNS1_25lookback_scan_determinismE0ELb1ES3_N6thrust23THRUST_200600_302600_NS6detail15normal_iteratorINS9_10device_ptrIsEEEESE_SE_iNS9_4plusIvEENS9_8equal_toIvEEiEE10hipError_tPvRmT2_T3_T4_T5_mT6_T7_P12ihipStream_tbENKUlT_T0_E_clISt17integral_constantIbLb1EESY_IbLb0EEEEDaSU_SV_EUlSU_E_NS1_11comp_targetILNS1_3genE3ELNS1_11target_archE908ELNS1_3gpuE7ELNS1_3repE0EEENS1_30default_config_static_selectorELNS0_4arch9wavefront6targetE1EEEvT1_,comdat
.Lfunc_end1066:
	.size	_ZN7rocprim17ROCPRIM_400000_NS6detail17trampoline_kernelINS0_14default_configENS1_27scan_by_key_config_selectorIsiEEZZNS1_16scan_by_key_implILNS1_25lookback_scan_determinismE0ELb1ES3_N6thrust23THRUST_200600_302600_NS6detail15normal_iteratorINS9_10device_ptrIsEEEESE_SE_iNS9_4plusIvEENS9_8equal_toIvEEiEE10hipError_tPvRmT2_T3_T4_T5_mT6_T7_P12ihipStream_tbENKUlT_T0_E_clISt17integral_constantIbLb1EESY_IbLb0EEEEDaSU_SV_EUlSU_E_NS1_11comp_targetILNS1_3genE3ELNS1_11target_archE908ELNS1_3gpuE7ELNS1_3repE0EEENS1_30default_config_static_selectorELNS0_4arch9wavefront6targetE1EEEvT1_, .Lfunc_end1066-_ZN7rocprim17ROCPRIM_400000_NS6detail17trampoline_kernelINS0_14default_configENS1_27scan_by_key_config_selectorIsiEEZZNS1_16scan_by_key_implILNS1_25lookback_scan_determinismE0ELb1ES3_N6thrust23THRUST_200600_302600_NS6detail15normal_iteratorINS9_10device_ptrIsEEEESE_SE_iNS9_4plusIvEENS9_8equal_toIvEEiEE10hipError_tPvRmT2_T3_T4_T5_mT6_T7_P12ihipStream_tbENKUlT_T0_E_clISt17integral_constantIbLb1EESY_IbLb0EEEEDaSU_SV_EUlSU_E_NS1_11comp_targetILNS1_3genE3ELNS1_11target_archE908ELNS1_3gpuE7ELNS1_3repE0EEENS1_30default_config_static_selectorELNS0_4arch9wavefront6targetE1EEEvT1_
                                        ; -- End function
	.section	.AMDGPU.csdata,"",@progbits
; Kernel info:
; codeLenInByte = 0
; NumSgprs: 6
; NumVgprs: 0
; NumAgprs: 0
; TotalNumVgprs: 0
; ScratchSize: 0
; MemoryBound: 0
; FloatMode: 240
; IeeeMode: 1
; LDSByteSize: 0 bytes/workgroup (compile time only)
; SGPRBlocks: 0
; VGPRBlocks: 0
; NumSGPRsForWavesPerEU: 6
; NumVGPRsForWavesPerEU: 1
; AccumOffset: 4
; Occupancy: 8
; WaveLimiterHint : 0
; COMPUTE_PGM_RSRC2:SCRATCH_EN: 0
; COMPUTE_PGM_RSRC2:USER_SGPR: 2
; COMPUTE_PGM_RSRC2:TRAP_HANDLER: 0
; COMPUTE_PGM_RSRC2:TGID_X_EN: 1
; COMPUTE_PGM_RSRC2:TGID_Y_EN: 0
; COMPUTE_PGM_RSRC2:TGID_Z_EN: 0
; COMPUTE_PGM_RSRC2:TIDIG_COMP_CNT: 0
; COMPUTE_PGM_RSRC3_GFX90A:ACCUM_OFFSET: 0
; COMPUTE_PGM_RSRC3_GFX90A:TG_SPLIT: 0
	.section	.text._ZN7rocprim17ROCPRIM_400000_NS6detail17trampoline_kernelINS0_14default_configENS1_27scan_by_key_config_selectorIsiEEZZNS1_16scan_by_key_implILNS1_25lookback_scan_determinismE0ELb1ES3_N6thrust23THRUST_200600_302600_NS6detail15normal_iteratorINS9_10device_ptrIsEEEESE_SE_iNS9_4plusIvEENS9_8equal_toIvEEiEE10hipError_tPvRmT2_T3_T4_T5_mT6_T7_P12ihipStream_tbENKUlT_T0_E_clISt17integral_constantIbLb1EESY_IbLb0EEEEDaSU_SV_EUlSU_E_NS1_11comp_targetILNS1_3genE2ELNS1_11target_archE906ELNS1_3gpuE6ELNS1_3repE0EEENS1_30default_config_static_selectorELNS0_4arch9wavefront6targetE1EEEvT1_,"axG",@progbits,_ZN7rocprim17ROCPRIM_400000_NS6detail17trampoline_kernelINS0_14default_configENS1_27scan_by_key_config_selectorIsiEEZZNS1_16scan_by_key_implILNS1_25lookback_scan_determinismE0ELb1ES3_N6thrust23THRUST_200600_302600_NS6detail15normal_iteratorINS9_10device_ptrIsEEEESE_SE_iNS9_4plusIvEENS9_8equal_toIvEEiEE10hipError_tPvRmT2_T3_T4_T5_mT6_T7_P12ihipStream_tbENKUlT_T0_E_clISt17integral_constantIbLb1EESY_IbLb0EEEEDaSU_SV_EUlSU_E_NS1_11comp_targetILNS1_3genE2ELNS1_11target_archE906ELNS1_3gpuE6ELNS1_3repE0EEENS1_30default_config_static_selectorELNS0_4arch9wavefront6targetE1EEEvT1_,comdat
	.protected	_ZN7rocprim17ROCPRIM_400000_NS6detail17trampoline_kernelINS0_14default_configENS1_27scan_by_key_config_selectorIsiEEZZNS1_16scan_by_key_implILNS1_25lookback_scan_determinismE0ELb1ES3_N6thrust23THRUST_200600_302600_NS6detail15normal_iteratorINS9_10device_ptrIsEEEESE_SE_iNS9_4plusIvEENS9_8equal_toIvEEiEE10hipError_tPvRmT2_T3_T4_T5_mT6_T7_P12ihipStream_tbENKUlT_T0_E_clISt17integral_constantIbLb1EESY_IbLb0EEEEDaSU_SV_EUlSU_E_NS1_11comp_targetILNS1_3genE2ELNS1_11target_archE906ELNS1_3gpuE6ELNS1_3repE0EEENS1_30default_config_static_selectorELNS0_4arch9wavefront6targetE1EEEvT1_ ; -- Begin function _ZN7rocprim17ROCPRIM_400000_NS6detail17trampoline_kernelINS0_14default_configENS1_27scan_by_key_config_selectorIsiEEZZNS1_16scan_by_key_implILNS1_25lookback_scan_determinismE0ELb1ES3_N6thrust23THRUST_200600_302600_NS6detail15normal_iteratorINS9_10device_ptrIsEEEESE_SE_iNS9_4plusIvEENS9_8equal_toIvEEiEE10hipError_tPvRmT2_T3_T4_T5_mT6_T7_P12ihipStream_tbENKUlT_T0_E_clISt17integral_constantIbLb1EESY_IbLb0EEEEDaSU_SV_EUlSU_E_NS1_11comp_targetILNS1_3genE2ELNS1_11target_archE906ELNS1_3gpuE6ELNS1_3repE0EEENS1_30default_config_static_selectorELNS0_4arch9wavefront6targetE1EEEvT1_
	.globl	_ZN7rocprim17ROCPRIM_400000_NS6detail17trampoline_kernelINS0_14default_configENS1_27scan_by_key_config_selectorIsiEEZZNS1_16scan_by_key_implILNS1_25lookback_scan_determinismE0ELb1ES3_N6thrust23THRUST_200600_302600_NS6detail15normal_iteratorINS9_10device_ptrIsEEEESE_SE_iNS9_4plusIvEENS9_8equal_toIvEEiEE10hipError_tPvRmT2_T3_T4_T5_mT6_T7_P12ihipStream_tbENKUlT_T0_E_clISt17integral_constantIbLb1EESY_IbLb0EEEEDaSU_SV_EUlSU_E_NS1_11comp_targetILNS1_3genE2ELNS1_11target_archE906ELNS1_3gpuE6ELNS1_3repE0EEENS1_30default_config_static_selectorELNS0_4arch9wavefront6targetE1EEEvT1_
	.p2align	8
	.type	_ZN7rocprim17ROCPRIM_400000_NS6detail17trampoline_kernelINS0_14default_configENS1_27scan_by_key_config_selectorIsiEEZZNS1_16scan_by_key_implILNS1_25lookback_scan_determinismE0ELb1ES3_N6thrust23THRUST_200600_302600_NS6detail15normal_iteratorINS9_10device_ptrIsEEEESE_SE_iNS9_4plusIvEENS9_8equal_toIvEEiEE10hipError_tPvRmT2_T3_T4_T5_mT6_T7_P12ihipStream_tbENKUlT_T0_E_clISt17integral_constantIbLb1EESY_IbLb0EEEEDaSU_SV_EUlSU_E_NS1_11comp_targetILNS1_3genE2ELNS1_11target_archE906ELNS1_3gpuE6ELNS1_3repE0EEENS1_30default_config_static_selectorELNS0_4arch9wavefront6targetE1EEEvT1_,@function
_ZN7rocprim17ROCPRIM_400000_NS6detail17trampoline_kernelINS0_14default_configENS1_27scan_by_key_config_selectorIsiEEZZNS1_16scan_by_key_implILNS1_25lookback_scan_determinismE0ELb1ES3_N6thrust23THRUST_200600_302600_NS6detail15normal_iteratorINS9_10device_ptrIsEEEESE_SE_iNS9_4plusIvEENS9_8equal_toIvEEiEE10hipError_tPvRmT2_T3_T4_T5_mT6_T7_P12ihipStream_tbENKUlT_T0_E_clISt17integral_constantIbLb1EESY_IbLb0EEEEDaSU_SV_EUlSU_E_NS1_11comp_targetILNS1_3genE2ELNS1_11target_archE906ELNS1_3gpuE6ELNS1_3repE0EEENS1_30default_config_static_selectorELNS0_4arch9wavefront6targetE1EEEvT1_: ; @_ZN7rocprim17ROCPRIM_400000_NS6detail17trampoline_kernelINS0_14default_configENS1_27scan_by_key_config_selectorIsiEEZZNS1_16scan_by_key_implILNS1_25lookback_scan_determinismE0ELb1ES3_N6thrust23THRUST_200600_302600_NS6detail15normal_iteratorINS9_10device_ptrIsEEEESE_SE_iNS9_4plusIvEENS9_8equal_toIvEEiEE10hipError_tPvRmT2_T3_T4_T5_mT6_T7_P12ihipStream_tbENKUlT_T0_E_clISt17integral_constantIbLb1EESY_IbLb0EEEEDaSU_SV_EUlSU_E_NS1_11comp_targetILNS1_3genE2ELNS1_11target_archE906ELNS1_3gpuE6ELNS1_3repE0EEENS1_30default_config_static_selectorELNS0_4arch9wavefront6targetE1EEEvT1_
; %bb.0:
	.section	.rodata,"a",@progbits
	.p2align	6, 0x0
	.amdhsa_kernel _ZN7rocprim17ROCPRIM_400000_NS6detail17trampoline_kernelINS0_14default_configENS1_27scan_by_key_config_selectorIsiEEZZNS1_16scan_by_key_implILNS1_25lookback_scan_determinismE0ELb1ES3_N6thrust23THRUST_200600_302600_NS6detail15normal_iteratorINS9_10device_ptrIsEEEESE_SE_iNS9_4plusIvEENS9_8equal_toIvEEiEE10hipError_tPvRmT2_T3_T4_T5_mT6_T7_P12ihipStream_tbENKUlT_T0_E_clISt17integral_constantIbLb1EESY_IbLb0EEEEDaSU_SV_EUlSU_E_NS1_11comp_targetILNS1_3genE2ELNS1_11target_archE906ELNS1_3gpuE6ELNS1_3repE0EEENS1_30default_config_static_selectorELNS0_4arch9wavefront6targetE1EEEvT1_
		.amdhsa_group_segment_fixed_size 0
		.amdhsa_private_segment_fixed_size 0
		.amdhsa_kernarg_size 112
		.amdhsa_user_sgpr_count 2
		.amdhsa_user_sgpr_dispatch_ptr 0
		.amdhsa_user_sgpr_queue_ptr 0
		.amdhsa_user_sgpr_kernarg_segment_ptr 1
		.amdhsa_user_sgpr_dispatch_id 0
		.amdhsa_user_sgpr_kernarg_preload_length 0
		.amdhsa_user_sgpr_kernarg_preload_offset 0
		.amdhsa_user_sgpr_private_segment_size 0
		.amdhsa_uses_dynamic_stack 0
		.amdhsa_enable_private_segment 0
		.amdhsa_system_sgpr_workgroup_id_x 1
		.amdhsa_system_sgpr_workgroup_id_y 0
		.amdhsa_system_sgpr_workgroup_id_z 0
		.amdhsa_system_sgpr_workgroup_info 0
		.amdhsa_system_vgpr_workitem_id 0
		.amdhsa_next_free_vgpr 1
		.amdhsa_next_free_sgpr 0
		.amdhsa_accum_offset 4
		.amdhsa_reserve_vcc 0
		.amdhsa_float_round_mode_32 0
		.amdhsa_float_round_mode_16_64 0
		.amdhsa_float_denorm_mode_32 3
		.amdhsa_float_denorm_mode_16_64 3
		.amdhsa_dx10_clamp 1
		.amdhsa_ieee_mode 1
		.amdhsa_fp16_overflow 0
		.amdhsa_tg_split 0
		.amdhsa_exception_fp_ieee_invalid_op 0
		.amdhsa_exception_fp_denorm_src 0
		.amdhsa_exception_fp_ieee_div_zero 0
		.amdhsa_exception_fp_ieee_overflow 0
		.amdhsa_exception_fp_ieee_underflow 0
		.amdhsa_exception_fp_ieee_inexact 0
		.amdhsa_exception_int_div_zero 0
	.end_amdhsa_kernel
	.section	.text._ZN7rocprim17ROCPRIM_400000_NS6detail17trampoline_kernelINS0_14default_configENS1_27scan_by_key_config_selectorIsiEEZZNS1_16scan_by_key_implILNS1_25lookback_scan_determinismE0ELb1ES3_N6thrust23THRUST_200600_302600_NS6detail15normal_iteratorINS9_10device_ptrIsEEEESE_SE_iNS9_4plusIvEENS9_8equal_toIvEEiEE10hipError_tPvRmT2_T3_T4_T5_mT6_T7_P12ihipStream_tbENKUlT_T0_E_clISt17integral_constantIbLb1EESY_IbLb0EEEEDaSU_SV_EUlSU_E_NS1_11comp_targetILNS1_3genE2ELNS1_11target_archE906ELNS1_3gpuE6ELNS1_3repE0EEENS1_30default_config_static_selectorELNS0_4arch9wavefront6targetE1EEEvT1_,"axG",@progbits,_ZN7rocprim17ROCPRIM_400000_NS6detail17trampoline_kernelINS0_14default_configENS1_27scan_by_key_config_selectorIsiEEZZNS1_16scan_by_key_implILNS1_25lookback_scan_determinismE0ELb1ES3_N6thrust23THRUST_200600_302600_NS6detail15normal_iteratorINS9_10device_ptrIsEEEESE_SE_iNS9_4plusIvEENS9_8equal_toIvEEiEE10hipError_tPvRmT2_T3_T4_T5_mT6_T7_P12ihipStream_tbENKUlT_T0_E_clISt17integral_constantIbLb1EESY_IbLb0EEEEDaSU_SV_EUlSU_E_NS1_11comp_targetILNS1_3genE2ELNS1_11target_archE906ELNS1_3gpuE6ELNS1_3repE0EEENS1_30default_config_static_selectorELNS0_4arch9wavefront6targetE1EEEvT1_,comdat
.Lfunc_end1067:
	.size	_ZN7rocprim17ROCPRIM_400000_NS6detail17trampoline_kernelINS0_14default_configENS1_27scan_by_key_config_selectorIsiEEZZNS1_16scan_by_key_implILNS1_25lookback_scan_determinismE0ELb1ES3_N6thrust23THRUST_200600_302600_NS6detail15normal_iteratorINS9_10device_ptrIsEEEESE_SE_iNS9_4plusIvEENS9_8equal_toIvEEiEE10hipError_tPvRmT2_T3_T4_T5_mT6_T7_P12ihipStream_tbENKUlT_T0_E_clISt17integral_constantIbLb1EESY_IbLb0EEEEDaSU_SV_EUlSU_E_NS1_11comp_targetILNS1_3genE2ELNS1_11target_archE906ELNS1_3gpuE6ELNS1_3repE0EEENS1_30default_config_static_selectorELNS0_4arch9wavefront6targetE1EEEvT1_, .Lfunc_end1067-_ZN7rocprim17ROCPRIM_400000_NS6detail17trampoline_kernelINS0_14default_configENS1_27scan_by_key_config_selectorIsiEEZZNS1_16scan_by_key_implILNS1_25lookback_scan_determinismE0ELb1ES3_N6thrust23THRUST_200600_302600_NS6detail15normal_iteratorINS9_10device_ptrIsEEEESE_SE_iNS9_4plusIvEENS9_8equal_toIvEEiEE10hipError_tPvRmT2_T3_T4_T5_mT6_T7_P12ihipStream_tbENKUlT_T0_E_clISt17integral_constantIbLb1EESY_IbLb0EEEEDaSU_SV_EUlSU_E_NS1_11comp_targetILNS1_3genE2ELNS1_11target_archE906ELNS1_3gpuE6ELNS1_3repE0EEENS1_30default_config_static_selectorELNS0_4arch9wavefront6targetE1EEEvT1_
                                        ; -- End function
	.section	.AMDGPU.csdata,"",@progbits
; Kernel info:
; codeLenInByte = 0
; NumSgprs: 6
; NumVgprs: 0
; NumAgprs: 0
; TotalNumVgprs: 0
; ScratchSize: 0
; MemoryBound: 0
; FloatMode: 240
; IeeeMode: 1
; LDSByteSize: 0 bytes/workgroup (compile time only)
; SGPRBlocks: 0
; VGPRBlocks: 0
; NumSGPRsForWavesPerEU: 6
; NumVGPRsForWavesPerEU: 1
; AccumOffset: 4
; Occupancy: 8
; WaveLimiterHint : 0
; COMPUTE_PGM_RSRC2:SCRATCH_EN: 0
; COMPUTE_PGM_RSRC2:USER_SGPR: 2
; COMPUTE_PGM_RSRC2:TRAP_HANDLER: 0
; COMPUTE_PGM_RSRC2:TGID_X_EN: 1
; COMPUTE_PGM_RSRC2:TGID_Y_EN: 0
; COMPUTE_PGM_RSRC2:TGID_Z_EN: 0
; COMPUTE_PGM_RSRC2:TIDIG_COMP_CNT: 0
; COMPUTE_PGM_RSRC3_GFX90A:ACCUM_OFFSET: 0
; COMPUTE_PGM_RSRC3_GFX90A:TG_SPLIT: 0
	.section	.text._ZN7rocprim17ROCPRIM_400000_NS6detail17trampoline_kernelINS0_14default_configENS1_27scan_by_key_config_selectorIsiEEZZNS1_16scan_by_key_implILNS1_25lookback_scan_determinismE0ELb1ES3_N6thrust23THRUST_200600_302600_NS6detail15normal_iteratorINS9_10device_ptrIsEEEESE_SE_iNS9_4plusIvEENS9_8equal_toIvEEiEE10hipError_tPvRmT2_T3_T4_T5_mT6_T7_P12ihipStream_tbENKUlT_T0_E_clISt17integral_constantIbLb1EESY_IbLb0EEEEDaSU_SV_EUlSU_E_NS1_11comp_targetILNS1_3genE10ELNS1_11target_archE1200ELNS1_3gpuE4ELNS1_3repE0EEENS1_30default_config_static_selectorELNS0_4arch9wavefront6targetE1EEEvT1_,"axG",@progbits,_ZN7rocprim17ROCPRIM_400000_NS6detail17trampoline_kernelINS0_14default_configENS1_27scan_by_key_config_selectorIsiEEZZNS1_16scan_by_key_implILNS1_25lookback_scan_determinismE0ELb1ES3_N6thrust23THRUST_200600_302600_NS6detail15normal_iteratorINS9_10device_ptrIsEEEESE_SE_iNS9_4plusIvEENS9_8equal_toIvEEiEE10hipError_tPvRmT2_T3_T4_T5_mT6_T7_P12ihipStream_tbENKUlT_T0_E_clISt17integral_constantIbLb1EESY_IbLb0EEEEDaSU_SV_EUlSU_E_NS1_11comp_targetILNS1_3genE10ELNS1_11target_archE1200ELNS1_3gpuE4ELNS1_3repE0EEENS1_30default_config_static_selectorELNS0_4arch9wavefront6targetE1EEEvT1_,comdat
	.protected	_ZN7rocprim17ROCPRIM_400000_NS6detail17trampoline_kernelINS0_14default_configENS1_27scan_by_key_config_selectorIsiEEZZNS1_16scan_by_key_implILNS1_25lookback_scan_determinismE0ELb1ES3_N6thrust23THRUST_200600_302600_NS6detail15normal_iteratorINS9_10device_ptrIsEEEESE_SE_iNS9_4plusIvEENS9_8equal_toIvEEiEE10hipError_tPvRmT2_T3_T4_T5_mT6_T7_P12ihipStream_tbENKUlT_T0_E_clISt17integral_constantIbLb1EESY_IbLb0EEEEDaSU_SV_EUlSU_E_NS1_11comp_targetILNS1_3genE10ELNS1_11target_archE1200ELNS1_3gpuE4ELNS1_3repE0EEENS1_30default_config_static_selectorELNS0_4arch9wavefront6targetE1EEEvT1_ ; -- Begin function _ZN7rocprim17ROCPRIM_400000_NS6detail17trampoline_kernelINS0_14default_configENS1_27scan_by_key_config_selectorIsiEEZZNS1_16scan_by_key_implILNS1_25lookback_scan_determinismE0ELb1ES3_N6thrust23THRUST_200600_302600_NS6detail15normal_iteratorINS9_10device_ptrIsEEEESE_SE_iNS9_4plusIvEENS9_8equal_toIvEEiEE10hipError_tPvRmT2_T3_T4_T5_mT6_T7_P12ihipStream_tbENKUlT_T0_E_clISt17integral_constantIbLb1EESY_IbLb0EEEEDaSU_SV_EUlSU_E_NS1_11comp_targetILNS1_3genE10ELNS1_11target_archE1200ELNS1_3gpuE4ELNS1_3repE0EEENS1_30default_config_static_selectorELNS0_4arch9wavefront6targetE1EEEvT1_
	.globl	_ZN7rocprim17ROCPRIM_400000_NS6detail17trampoline_kernelINS0_14default_configENS1_27scan_by_key_config_selectorIsiEEZZNS1_16scan_by_key_implILNS1_25lookback_scan_determinismE0ELb1ES3_N6thrust23THRUST_200600_302600_NS6detail15normal_iteratorINS9_10device_ptrIsEEEESE_SE_iNS9_4plusIvEENS9_8equal_toIvEEiEE10hipError_tPvRmT2_T3_T4_T5_mT6_T7_P12ihipStream_tbENKUlT_T0_E_clISt17integral_constantIbLb1EESY_IbLb0EEEEDaSU_SV_EUlSU_E_NS1_11comp_targetILNS1_3genE10ELNS1_11target_archE1200ELNS1_3gpuE4ELNS1_3repE0EEENS1_30default_config_static_selectorELNS0_4arch9wavefront6targetE1EEEvT1_
	.p2align	8
	.type	_ZN7rocprim17ROCPRIM_400000_NS6detail17trampoline_kernelINS0_14default_configENS1_27scan_by_key_config_selectorIsiEEZZNS1_16scan_by_key_implILNS1_25lookback_scan_determinismE0ELb1ES3_N6thrust23THRUST_200600_302600_NS6detail15normal_iteratorINS9_10device_ptrIsEEEESE_SE_iNS9_4plusIvEENS9_8equal_toIvEEiEE10hipError_tPvRmT2_T3_T4_T5_mT6_T7_P12ihipStream_tbENKUlT_T0_E_clISt17integral_constantIbLb1EESY_IbLb0EEEEDaSU_SV_EUlSU_E_NS1_11comp_targetILNS1_3genE10ELNS1_11target_archE1200ELNS1_3gpuE4ELNS1_3repE0EEENS1_30default_config_static_selectorELNS0_4arch9wavefront6targetE1EEEvT1_,@function
_ZN7rocprim17ROCPRIM_400000_NS6detail17trampoline_kernelINS0_14default_configENS1_27scan_by_key_config_selectorIsiEEZZNS1_16scan_by_key_implILNS1_25lookback_scan_determinismE0ELb1ES3_N6thrust23THRUST_200600_302600_NS6detail15normal_iteratorINS9_10device_ptrIsEEEESE_SE_iNS9_4plusIvEENS9_8equal_toIvEEiEE10hipError_tPvRmT2_T3_T4_T5_mT6_T7_P12ihipStream_tbENKUlT_T0_E_clISt17integral_constantIbLb1EESY_IbLb0EEEEDaSU_SV_EUlSU_E_NS1_11comp_targetILNS1_3genE10ELNS1_11target_archE1200ELNS1_3gpuE4ELNS1_3repE0EEENS1_30default_config_static_selectorELNS0_4arch9wavefront6targetE1EEEvT1_: ; @_ZN7rocprim17ROCPRIM_400000_NS6detail17trampoline_kernelINS0_14default_configENS1_27scan_by_key_config_selectorIsiEEZZNS1_16scan_by_key_implILNS1_25lookback_scan_determinismE0ELb1ES3_N6thrust23THRUST_200600_302600_NS6detail15normal_iteratorINS9_10device_ptrIsEEEESE_SE_iNS9_4plusIvEENS9_8equal_toIvEEiEE10hipError_tPvRmT2_T3_T4_T5_mT6_T7_P12ihipStream_tbENKUlT_T0_E_clISt17integral_constantIbLb1EESY_IbLb0EEEEDaSU_SV_EUlSU_E_NS1_11comp_targetILNS1_3genE10ELNS1_11target_archE1200ELNS1_3gpuE4ELNS1_3repE0EEENS1_30default_config_static_selectorELNS0_4arch9wavefront6targetE1EEEvT1_
; %bb.0:
	.section	.rodata,"a",@progbits
	.p2align	6, 0x0
	.amdhsa_kernel _ZN7rocprim17ROCPRIM_400000_NS6detail17trampoline_kernelINS0_14default_configENS1_27scan_by_key_config_selectorIsiEEZZNS1_16scan_by_key_implILNS1_25lookback_scan_determinismE0ELb1ES3_N6thrust23THRUST_200600_302600_NS6detail15normal_iteratorINS9_10device_ptrIsEEEESE_SE_iNS9_4plusIvEENS9_8equal_toIvEEiEE10hipError_tPvRmT2_T3_T4_T5_mT6_T7_P12ihipStream_tbENKUlT_T0_E_clISt17integral_constantIbLb1EESY_IbLb0EEEEDaSU_SV_EUlSU_E_NS1_11comp_targetILNS1_3genE10ELNS1_11target_archE1200ELNS1_3gpuE4ELNS1_3repE0EEENS1_30default_config_static_selectorELNS0_4arch9wavefront6targetE1EEEvT1_
		.amdhsa_group_segment_fixed_size 0
		.amdhsa_private_segment_fixed_size 0
		.amdhsa_kernarg_size 112
		.amdhsa_user_sgpr_count 2
		.amdhsa_user_sgpr_dispatch_ptr 0
		.amdhsa_user_sgpr_queue_ptr 0
		.amdhsa_user_sgpr_kernarg_segment_ptr 1
		.amdhsa_user_sgpr_dispatch_id 0
		.amdhsa_user_sgpr_kernarg_preload_length 0
		.amdhsa_user_sgpr_kernarg_preload_offset 0
		.amdhsa_user_sgpr_private_segment_size 0
		.amdhsa_uses_dynamic_stack 0
		.amdhsa_enable_private_segment 0
		.amdhsa_system_sgpr_workgroup_id_x 1
		.amdhsa_system_sgpr_workgroup_id_y 0
		.amdhsa_system_sgpr_workgroup_id_z 0
		.amdhsa_system_sgpr_workgroup_info 0
		.amdhsa_system_vgpr_workitem_id 0
		.amdhsa_next_free_vgpr 1
		.amdhsa_next_free_sgpr 0
		.amdhsa_accum_offset 4
		.amdhsa_reserve_vcc 0
		.amdhsa_float_round_mode_32 0
		.amdhsa_float_round_mode_16_64 0
		.amdhsa_float_denorm_mode_32 3
		.amdhsa_float_denorm_mode_16_64 3
		.amdhsa_dx10_clamp 1
		.amdhsa_ieee_mode 1
		.amdhsa_fp16_overflow 0
		.amdhsa_tg_split 0
		.amdhsa_exception_fp_ieee_invalid_op 0
		.amdhsa_exception_fp_denorm_src 0
		.amdhsa_exception_fp_ieee_div_zero 0
		.amdhsa_exception_fp_ieee_overflow 0
		.amdhsa_exception_fp_ieee_underflow 0
		.amdhsa_exception_fp_ieee_inexact 0
		.amdhsa_exception_int_div_zero 0
	.end_amdhsa_kernel
	.section	.text._ZN7rocprim17ROCPRIM_400000_NS6detail17trampoline_kernelINS0_14default_configENS1_27scan_by_key_config_selectorIsiEEZZNS1_16scan_by_key_implILNS1_25lookback_scan_determinismE0ELb1ES3_N6thrust23THRUST_200600_302600_NS6detail15normal_iteratorINS9_10device_ptrIsEEEESE_SE_iNS9_4plusIvEENS9_8equal_toIvEEiEE10hipError_tPvRmT2_T3_T4_T5_mT6_T7_P12ihipStream_tbENKUlT_T0_E_clISt17integral_constantIbLb1EESY_IbLb0EEEEDaSU_SV_EUlSU_E_NS1_11comp_targetILNS1_3genE10ELNS1_11target_archE1200ELNS1_3gpuE4ELNS1_3repE0EEENS1_30default_config_static_selectorELNS0_4arch9wavefront6targetE1EEEvT1_,"axG",@progbits,_ZN7rocprim17ROCPRIM_400000_NS6detail17trampoline_kernelINS0_14default_configENS1_27scan_by_key_config_selectorIsiEEZZNS1_16scan_by_key_implILNS1_25lookback_scan_determinismE0ELb1ES3_N6thrust23THRUST_200600_302600_NS6detail15normal_iteratorINS9_10device_ptrIsEEEESE_SE_iNS9_4plusIvEENS9_8equal_toIvEEiEE10hipError_tPvRmT2_T3_T4_T5_mT6_T7_P12ihipStream_tbENKUlT_T0_E_clISt17integral_constantIbLb1EESY_IbLb0EEEEDaSU_SV_EUlSU_E_NS1_11comp_targetILNS1_3genE10ELNS1_11target_archE1200ELNS1_3gpuE4ELNS1_3repE0EEENS1_30default_config_static_selectorELNS0_4arch9wavefront6targetE1EEEvT1_,comdat
.Lfunc_end1068:
	.size	_ZN7rocprim17ROCPRIM_400000_NS6detail17trampoline_kernelINS0_14default_configENS1_27scan_by_key_config_selectorIsiEEZZNS1_16scan_by_key_implILNS1_25lookback_scan_determinismE0ELb1ES3_N6thrust23THRUST_200600_302600_NS6detail15normal_iteratorINS9_10device_ptrIsEEEESE_SE_iNS9_4plusIvEENS9_8equal_toIvEEiEE10hipError_tPvRmT2_T3_T4_T5_mT6_T7_P12ihipStream_tbENKUlT_T0_E_clISt17integral_constantIbLb1EESY_IbLb0EEEEDaSU_SV_EUlSU_E_NS1_11comp_targetILNS1_3genE10ELNS1_11target_archE1200ELNS1_3gpuE4ELNS1_3repE0EEENS1_30default_config_static_selectorELNS0_4arch9wavefront6targetE1EEEvT1_, .Lfunc_end1068-_ZN7rocprim17ROCPRIM_400000_NS6detail17trampoline_kernelINS0_14default_configENS1_27scan_by_key_config_selectorIsiEEZZNS1_16scan_by_key_implILNS1_25lookback_scan_determinismE0ELb1ES3_N6thrust23THRUST_200600_302600_NS6detail15normal_iteratorINS9_10device_ptrIsEEEESE_SE_iNS9_4plusIvEENS9_8equal_toIvEEiEE10hipError_tPvRmT2_T3_T4_T5_mT6_T7_P12ihipStream_tbENKUlT_T0_E_clISt17integral_constantIbLb1EESY_IbLb0EEEEDaSU_SV_EUlSU_E_NS1_11comp_targetILNS1_3genE10ELNS1_11target_archE1200ELNS1_3gpuE4ELNS1_3repE0EEENS1_30default_config_static_selectorELNS0_4arch9wavefront6targetE1EEEvT1_
                                        ; -- End function
	.section	.AMDGPU.csdata,"",@progbits
; Kernel info:
; codeLenInByte = 0
; NumSgprs: 6
; NumVgprs: 0
; NumAgprs: 0
; TotalNumVgprs: 0
; ScratchSize: 0
; MemoryBound: 0
; FloatMode: 240
; IeeeMode: 1
; LDSByteSize: 0 bytes/workgroup (compile time only)
; SGPRBlocks: 0
; VGPRBlocks: 0
; NumSGPRsForWavesPerEU: 6
; NumVGPRsForWavesPerEU: 1
; AccumOffset: 4
; Occupancy: 8
; WaveLimiterHint : 0
; COMPUTE_PGM_RSRC2:SCRATCH_EN: 0
; COMPUTE_PGM_RSRC2:USER_SGPR: 2
; COMPUTE_PGM_RSRC2:TRAP_HANDLER: 0
; COMPUTE_PGM_RSRC2:TGID_X_EN: 1
; COMPUTE_PGM_RSRC2:TGID_Y_EN: 0
; COMPUTE_PGM_RSRC2:TGID_Z_EN: 0
; COMPUTE_PGM_RSRC2:TIDIG_COMP_CNT: 0
; COMPUTE_PGM_RSRC3_GFX90A:ACCUM_OFFSET: 0
; COMPUTE_PGM_RSRC3_GFX90A:TG_SPLIT: 0
	.section	.text._ZN7rocprim17ROCPRIM_400000_NS6detail17trampoline_kernelINS0_14default_configENS1_27scan_by_key_config_selectorIsiEEZZNS1_16scan_by_key_implILNS1_25lookback_scan_determinismE0ELb1ES3_N6thrust23THRUST_200600_302600_NS6detail15normal_iteratorINS9_10device_ptrIsEEEESE_SE_iNS9_4plusIvEENS9_8equal_toIvEEiEE10hipError_tPvRmT2_T3_T4_T5_mT6_T7_P12ihipStream_tbENKUlT_T0_E_clISt17integral_constantIbLb1EESY_IbLb0EEEEDaSU_SV_EUlSU_E_NS1_11comp_targetILNS1_3genE9ELNS1_11target_archE1100ELNS1_3gpuE3ELNS1_3repE0EEENS1_30default_config_static_selectorELNS0_4arch9wavefront6targetE1EEEvT1_,"axG",@progbits,_ZN7rocprim17ROCPRIM_400000_NS6detail17trampoline_kernelINS0_14default_configENS1_27scan_by_key_config_selectorIsiEEZZNS1_16scan_by_key_implILNS1_25lookback_scan_determinismE0ELb1ES3_N6thrust23THRUST_200600_302600_NS6detail15normal_iteratorINS9_10device_ptrIsEEEESE_SE_iNS9_4plusIvEENS9_8equal_toIvEEiEE10hipError_tPvRmT2_T3_T4_T5_mT6_T7_P12ihipStream_tbENKUlT_T0_E_clISt17integral_constantIbLb1EESY_IbLb0EEEEDaSU_SV_EUlSU_E_NS1_11comp_targetILNS1_3genE9ELNS1_11target_archE1100ELNS1_3gpuE3ELNS1_3repE0EEENS1_30default_config_static_selectorELNS0_4arch9wavefront6targetE1EEEvT1_,comdat
	.protected	_ZN7rocprim17ROCPRIM_400000_NS6detail17trampoline_kernelINS0_14default_configENS1_27scan_by_key_config_selectorIsiEEZZNS1_16scan_by_key_implILNS1_25lookback_scan_determinismE0ELb1ES3_N6thrust23THRUST_200600_302600_NS6detail15normal_iteratorINS9_10device_ptrIsEEEESE_SE_iNS9_4plusIvEENS9_8equal_toIvEEiEE10hipError_tPvRmT2_T3_T4_T5_mT6_T7_P12ihipStream_tbENKUlT_T0_E_clISt17integral_constantIbLb1EESY_IbLb0EEEEDaSU_SV_EUlSU_E_NS1_11comp_targetILNS1_3genE9ELNS1_11target_archE1100ELNS1_3gpuE3ELNS1_3repE0EEENS1_30default_config_static_selectorELNS0_4arch9wavefront6targetE1EEEvT1_ ; -- Begin function _ZN7rocprim17ROCPRIM_400000_NS6detail17trampoline_kernelINS0_14default_configENS1_27scan_by_key_config_selectorIsiEEZZNS1_16scan_by_key_implILNS1_25lookback_scan_determinismE0ELb1ES3_N6thrust23THRUST_200600_302600_NS6detail15normal_iteratorINS9_10device_ptrIsEEEESE_SE_iNS9_4plusIvEENS9_8equal_toIvEEiEE10hipError_tPvRmT2_T3_T4_T5_mT6_T7_P12ihipStream_tbENKUlT_T0_E_clISt17integral_constantIbLb1EESY_IbLb0EEEEDaSU_SV_EUlSU_E_NS1_11comp_targetILNS1_3genE9ELNS1_11target_archE1100ELNS1_3gpuE3ELNS1_3repE0EEENS1_30default_config_static_selectorELNS0_4arch9wavefront6targetE1EEEvT1_
	.globl	_ZN7rocprim17ROCPRIM_400000_NS6detail17trampoline_kernelINS0_14default_configENS1_27scan_by_key_config_selectorIsiEEZZNS1_16scan_by_key_implILNS1_25lookback_scan_determinismE0ELb1ES3_N6thrust23THRUST_200600_302600_NS6detail15normal_iteratorINS9_10device_ptrIsEEEESE_SE_iNS9_4plusIvEENS9_8equal_toIvEEiEE10hipError_tPvRmT2_T3_T4_T5_mT6_T7_P12ihipStream_tbENKUlT_T0_E_clISt17integral_constantIbLb1EESY_IbLb0EEEEDaSU_SV_EUlSU_E_NS1_11comp_targetILNS1_3genE9ELNS1_11target_archE1100ELNS1_3gpuE3ELNS1_3repE0EEENS1_30default_config_static_selectorELNS0_4arch9wavefront6targetE1EEEvT1_
	.p2align	8
	.type	_ZN7rocprim17ROCPRIM_400000_NS6detail17trampoline_kernelINS0_14default_configENS1_27scan_by_key_config_selectorIsiEEZZNS1_16scan_by_key_implILNS1_25lookback_scan_determinismE0ELb1ES3_N6thrust23THRUST_200600_302600_NS6detail15normal_iteratorINS9_10device_ptrIsEEEESE_SE_iNS9_4plusIvEENS9_8equal_toIvEEiEE10hipError_tPvRmT2_T3_T4_T5_mT6_T7_P12ihipStream_tbENKUlT_T0_E_clISt17integral_constantIbLb1EESY_IbLb0EEEEDaSU_SV_EUlSU_E_NS1_11comp_targetILNS1_3genE9ELNS1_11target_archE1100ELNS1_3gpuE3ELNS1_3repE0EEENS1_30default_config_static_selectorELNS0_4arch9wavefront6targetE1EEEvT1_,@function
_ZN7rocprim17ROCPRIM_400000_NS6detail17trampoline_kernelINS0_14default_configENS1_27scan_by_key_config_selectorIsiEEZZNS1_16scan_by_key_implILNS1_25lookback_scan_determinismE0ELb1ES3_N6thrust23THRUST_200600_302600_NS6detail15normal_iteratorINS9_10device_ptrIsEEEESE_SE_iNS9_4plusIvEENS9_8equal_toIvEEiEE10hipError_tPvRmT2_T3_T4_T5_mT6_T7_P12ihipStream_tbENKUlT_T0_E_clISt17integral_constantIbLb1EESY_IbLb0EEEEDaSU_SV_EUlSU_E_NS1_11comp_targetILNS1_3genE9ELNS1_11target_archE1100ELNS1_3gpuE3ELNS1_3repE0EEENS1_30default_config_static_selectorELNS0_4arch9wavefront6targetE1EEEvT1_: ; @_ZN7rocprim17ROCPRIM_400000_NS6detail17trampoline_kernelINS0_14default_configENS1_27scan_by_key_config_selectorIsiEEZZNS1_16scan_by_key_implILNS1_25lookback_scan_determinismE0ELb1ES3_N6thrust23THRUST_200600_302600_NS6detail15normal_iteratorINS9_10device_ptrIsEEEESE_SE_iNS9_4plusIvEENS9_8equal_toIvEEiEE10hipError_tPvRmT2_T3_T4_T5_mT6_T7_P12ihipStream_tbENKUlT_T0_E_clISt17integral_constantIbLb1EESY_IbLb0EEEEDaSU_SV_EUlSU_E_NS1_11comp_targetILNS1_3genE9ELNS1_11target_archE1100ELNS1_3gpuE3ELNS1_3repE0EEENS1_30default_config_static_selectorELNS0_4arch9wavefront6targetE1EEEvT1_
; %bb.0:
	.section	.rodata,"a",@progbits
	.p2align	6, 0x0
	.amdhsa_kernel _ZN7rocprim17ROCPRIM_400000_NS6detail17trampoline_kernelINS0_14default_configENS1_27scan_by_key_config_selectorIsiEEZZNS1_16scan_by_key_implILNS1_25lookback_scan_determinismE0ELb1ES3_N6thrust23THRUST_200600_302600_NS6detail15normal_iteratorINS9_10device_ptrIsEEEESE_SE_iNS9_4plusIvEENS9_8equal_toIvEEiEE10hipError_tPvRmT2_T3_T4_T5_mT6_T7_P12ihipStream_tbENKUlT_T0_E_clISt17integral_constantIbLb1EESY_IbLb0EEEEDaSU_SV_EUlSU_E_NS1_11comp_targetILNS1_3genE9ELNS1_11target_archE1100ELNS1_3gpuE3ELNS1_3repE0EEENS1_30default_config_static_selectorELNS0_4arch9wavefront6targetE1EEEvT1_
		.amdhsa_group_segment_fixed_size 0
		.amdhsa_private_segment_fixed_size 0
		.amdhsa_kernarg_size 112
		.amdhsa_user_sgpr_count 2
		.amdhsa_user_sgpr_dispatch_ptr 0
		.amdhsa_user_sgpr_queue_ptr 0
		.amdhsa_user_sgpr_kernarg_segment_ptr 1
		.amdhsa_user_sgpr_dispatch_id 0
		.amdhsa_user_sgpr_kernarg_preload_length 0
		.amdhsa_user_sgpr_kernarg_preload_offset 0
		.amdhsa_user_sgpr_private_segment_size 0
		.amdhsa_uses_dynamic_stack 0
		.amdhsa_enable_private_segment 0
		.amdhsa_system_sgpr_workgroup_id_x 1
		.amdhsa_system_sgpr_workgroup_id_y 0
		.amdhsa_system_sgpr_workgroup_id_z 0
		.amdhsa_system_sgpr_workgroup_info 0
		.amdhsa_system_vgpr_workitem_id 0
		.amdhsa_next_free_vgpr 1
		.amdhsa_next_free_sgpr 0
		.amdhsa_accum_offset 4
		.amdhsa_reserve_vcc 0
		.amdhsa_float_round_mode_32 0
		.amdhsa_float_round_mode_16_64 0
		.amdhsa_float_denorm_mode_32 3
		.amdhsa_float_denorm_mode_16_64 3
		.amdhsa_dx10_clamp 1
		.amdhsa_ieee_mode 1
		.amdhsa_fp16_overflow 0
		.amdhsa_tg_split 0
		.amdhsa_exception_fp_ieee_invalid_op 0
		.amdhsa_exception_fp_denorm_src 0
		.amdhsa_exception_fp_ieee_div_zero 0
		.amdhsa_exception_fp_ieee_overflow 0
		.amdhsa_exception_fp_ieee_underflow 0
		.amdhsa_exception_fp_ieee_inexact 0
		.amdhsa_exception_int_div_zero 0
	.end_amdhsa_kernel
	.section	.text._ZN7rocprim17ROCPRIM_400000_NS6detail17trampoline_kernelINS0_14default_configENS1_27scan_by_key_config_selectorIsiEEZZNS1_16scan_by_key_implILNS1_25lookback_scan_determinismE0ELb1ES3_N6thrust23THRUST_200600_302600_NS6detail15normal_iteratorINS9_10device_ptrIsEEEESE_SE_iNS9_4plusIvEENS9_8equal_toIvEEiEE10hipError_tPvRmT2_T3_T4_T5_mT6_T7_P12ihipStream_tbENKUlT_T0_E_clISt17integral_constantIbLb1EESY_IbLb0EEEEDaSU_SV_EUlSU_E_NS1_11comp_targetILNS1_3genE9ELNS1_11target_archE1100ELNS1_3gpuE3ELNS1_3repE0EEENS1_30default_config_static_selectorELNS0_4arch9wavefront6targetE1EEEvT1_,"axG",@progbits,_ZN7rocprim17ROCPRIM_400000_NS6detail17trampoline_kernelINS0_14default_configENS1_27scan_by_key_config_selectorIsiEEZZNS1_16scan_by_key_implILNS1_25lookback_scan_determinismE0ELb1ES3_N6thrust23THRUST_200600_302600_NS6detail15normal_iteratorINS9_10device_ptrIsEEEESE_SE_iNS9_4plusIvEENS9_8equal_toIvEEiEE10hipError_tPvRmT2_T3_T4_T5_mT6_T7_P12ihipStream_tbENKUlT_T0_E_clISt17integral_constantIbLb1EESY_IbLb0EEEEDaSU_SV_EUlSU_E_NS1_11comp_targetILNS1_3genE9ELNS1_11target_archE1100ELNS1_3gpuE3ELNS1_3repE0EEENS1_30default_config_static_selectorELNS0_4arch9wavefront6targetE1EEEvT1_,comdat
.Lfunc_end1069:
	.size	_ZN7rocprim17ROCPRIM_400000_NS6detail17trampoline_kernelINS0_14default_configENS1_27scan_by_key_config_selectorIsiEEZZNS1_16scan_by_key_implILNS1_25lookback_scan_determinismE0ELb1ES3_N6thrust23THRUST_200600_302600_NS6detail15normal_iteratorINS9_10device_ptrIsEEEESE_SE_iNS9_4plusIvEENS9_8equal_toIvEEiEE10hipError_tPvRmT2_T3_T4_T5_mT6_T7_P12ihipStream_tbENKUlT_T0_E_clISt17integral_constantIbLb1EESY_IbLb0EEEEDaSU_SV_EUlSU_E_NS1_11comp_targetILNS1_3genE9ELNS1_11target_archE1100ELNS1_3gpuE3ELNS1_3repE0EEENS1_30default_config_static_selectorELNS0_4arch9wavefront6targetE1EEEvT1_, .Lfunc_end1069-_ZN7rocprim17ROCPRIM_400000_NS6detail17trampoline_kernelINS0_14default_configENS1_27scan_by_key_config_selectorIsiEEZZNS1_16scan_by_key_implILNS1_25lookback_scan_determinismE0ELb1ES3_N6thrust23THRUST_200600_302600_NS6detail15normal_iteratorINS9_10device_ptrIsEEEESE_SE_iNS9_4plusIvEENS9_8equal_toIvEEiEE10hipError_tPvRmT2_T3_T4_T5_mT6_T7_P12ihipStream_tbENKUlT_T0_E_clISt17integral_constantIbLb1EESY_IbLb0EEEEDaSU_SV_EUlSU_E_NS1_11comp_targetILNS1_3genE9ELNS1_11target_archE1100ELNS1_3gpuE3ELNS1_3repE0EEENS1_30default_config_static_selectorELNS0_4arch9wavefront6targetE1EEEvT1_
                                        ; -- End function
	.section	.AMDGPU.csdata,"",@progbits
; Kernel info:
; codeLenInByte = 0
; NumSgprs: 6
; NumVgprs: 0
; NumAgprs: 0
; TotalNumVgprs: 0
; ScratchSize: 0
; MemoryBound: 0
; FloatMode: 240
; IeeeMode: 1
; LDSByteSize: 0 bytes/workgroup (compile time only)
; SGPRBlocks: 0
; VGPRBlocks: 0
; NumSGPRsForWavesPerEU: 6
; NumVGPRsForWavesPerEU: 1
; AccumOffset: 4
; Occupancy: 8
; WaveLimiterHint : 0
; COMPUTE_PGM_RSRC2:SCRATCH_EN: 0
; COMPUTE_PGM_RSRC2:USER_SGPR: 2
; COMPUTE_PGM_RSRC2:TRAP_HANDLER: 0
; COMPUTE_PGM_RSRC2:TGID_X_EN: 1
; COMPUTE_PGM_RSRC2:TGID_Y_EN: 0
; COMPUTE_PGM_RSRC2:TGID_Z_EN: 0
; COMPUTE_PGM_RSRC2:TIDIG_COMP_CNT: 0
; COMPUTE_PGM_RSRC3_GFX90A:ACCUM_OFFSET: 0
; COMPUTE_PGM_RSRC3_GFX90A:TG_SPLIT: 0
	.section	.text._ZN7rocprim17ROCPRIM_400000_NS6detail17trampoline_kernelINS0_14default_configENS1_27scan_by_key_config_selectorIsiEEZZNS1_16scan_by_key_implILNS1_25lookback_scan_determinismE0ELb1ES3_N6thrust23THRUST_200600_302600_NS6detail15normal_iteratorINS9_10device_ptrIsEEEESE_SE_iNS9_4plusIvEENS9_8equal_toIvEEiEE10hipError_tPvRmT2_T3_T4_T5_mT6_T7_P12ihipStream_tbENKUlT_T0_E_clISt17integral_constantIbLb1EESY_IbLb0EEEEDaSU_SV_EUlSU_E_NS1_11comp_targetILNS1_3genE8ELNS1_11target_archE1030ELNS1_3gpuE2ELNS1_3repE0EEENS1_30default_config_static_selectorELNS0_4arch9wavefront6targetE1EEEvT1_,"axG",@progbits,_ZN7rocprim17ROCPRIM_400000_NS6detail17trampoline_kernelINS0_14default_configENS1_27scan_by_key_config_selectorIsiEEZZNS1_16scan_by_key_implILNS1_25lookback_scan_determinismE0ELb1ES3_N6thrust23THRUST_200600_302600_NS6detail15normal_iteratorINS9_10device_ptrIsEEEESE_SE_iNS9_4plusIvEENS9_8equal_toIvEEiEE10hipError_tPvRmT2_T3_T4_T5_mT6_T7_P12ihipStream_tbENKUlT_T0_E_clISt17integral_constantIbLb1EESY_IbLb0EEEEDaSU_SV_EUlSU_E_NS1_11comp_targetILNS1_3genE8ELNS1_11target_archE1030ELNS1_3gpuE2ELNS1_3repE0EEENS1_30default_config_static_selectorELNS0_4arch9wavefront6targetE1EEEvT1_,comdat
	.protected	_ZN7rocprim17ROCPRIM_400000_NS6detail17trampoline_kernelINS0_14default_configENS1_27scan_by_key_config_selectorIsiEEZZNS1_16scan_by_key_implILNS1_25lookback_scan_determinismE0ELb1ES3_N6thrust23THRUST_200600_302600_NS6detail15normal_iteratorINS9_10device_ptrIsEEEESE_SE_iNS9_4plusIvEENS9_8equal_toIvEEiEE10hipError_tPvRmT2_T3_T4_T5_mT6_T7_P12ihipStream_tbENKUlT_T0_E_clISt17integral_constantIbLb1EESY_IbLb0EEEEDaSU_SV_EUlSU_E_NS1_11comp_targetILNS1_3genE8ELNS1_11target_archE1030ELNS1_3gpuE2ELNS1_3repE0EEENS1_30default_config_static_selectorELNS0_4arch9wavefront6targetE1EEEvT1_ ; -- Begin function _ZN7rocprim17ROCPRIM_400000_NS6detail17trampoline_kernelINS0_14default_configENS1_27scan_by_key_config_selectorIsiEEZZNS1_16scan_by_key_implILNS1_25lookback_scan_determinismE0ELb1ES3_N6thrust23THRUST_200600_302600_NS6detail15normal_iteratorINS9_10device_ptrIsEEEESE_SE_iNS9_4plusIvEENS9_8equal_toIvEEiEE10hipError_tPvRmT2_T3_T4_T5_mT6_T7_P12ihipStream_tbENKUlT_T0_E_clISt17integral_constantIbLb1EESY_IbLb0EEEEDaSU_SV_EUlSU_E_NS1_11comp_targetILNS1_3genE8ELNS1_11target_archE1030ELNS1_3gpuE2ELNS1_3repE0EEENS1_30default_config_static_selectorELNS0_4arch9wavefront6targetE1EEEvT1_
	.globl	_ZN7rocprim17ROCPRIM_400000_NS6detail17trampoline_kernelINS0_14default_configENS1_27scan_by_key_config_selectorIsiEEZZNS1_16scan_by_key_implILNS1_25lookback_scan_determinismE0ELb1ES3_N6thrust23THRUST_200600_302600_NS6detail15normal_iteratorINS9_10device_ptrIsEEEESE_SE_iNS9_4plusIvEENS9_8equal_toIvEEiEE10hipError_tPvRmT2_T3_T4_T5_mT6_T7_P12ihipStream_tbENKUlT_T0_E_clISt17integral_constantIbLb1EESY_IbLb0EEEEDaSU_SV_EUlSU_E_NS1_11comp_targetILNS1_3genE8ELNS1_11target_archE1030ELNS1_3gpuE2ELNS1_3repE0EEENS1_30default_config_static_selectorELNS0_4arch9wavefront6targetE1EEEvT1_
	.p2align	8
	.type	_ZN7rocprim17ROCPRIM_400000_NS6detail17trampoline_kernelINS0_14default_configENS1_27scan_by_key_config_selectorIsiEEZZNS1_16scan_by_key_implILNS1_25lookback_scan_determinismE0ELb1ES3_N6thrust23THRUST_200600_302600_NS6detail15normal_iteratorINS9_10device_ptrIsEEEESE_SE_iNS9_4plusIvEENS9_8equal_toIvEEiEE10hipError_tPvRmT2_T3_T4_T5_mT6_T7_P12ihipStream_tbENKUlT_T0_E_clISt17integral_constantIbLb1EESY_IbLb0EEEEDaSU_SV_EUlSU_E_NS1_11comp_targetILNS1_3genE8ELNS1_11target_archE1030ELNS1_3gpuE2ELNS1_3repE0EEENS1_30default_config_static_selectorELNS0_4arch9wavefront6targetE1EEEvT1_,@function
_ZN7rocprim17ROCPRIM_400000_NS6detail17trampoline_kernelINS0_14default_configENS1_27scan_by_key_config_selectorIsiEEZZNS1_16scan_by_key_implILNS1_25lookback_scan_determinismE0ELb1ES3_N6thrust23THRUST_200600_302600_NS6detail15normal_iteratorINS9_10device_ptrIsEEEESE_SE_iNS9_4plusIvEENS9_8equal_toIvEEiEE10hipError_tPvRmT2_T3_T4_T5_mT6_T7_P12ihipStream_tbENKUlT_T0_E_clISt17integral_constantIbLb1EESY_IbLb0EEEEDaSU_SV_EUlSU_E_NS1_11comp_targetILNS1_3genE8ELNS1_11target_archE1030ELNS1_3gpuE2ELNS1_3repE0EEENS1_30default_config_static_selectorELNS0_4arch9wavefront6targetE1EEEvT1_: ; @_ZN7rocprim17ROCPRIM_400000_NS6detail17trampoline_kernelINS0_14default_configENS1_27scan_by_key_config_selectorIsiEEZZNS1_16scan_by_key_implILNS1_25lookback_scan_determinismE0ELb1ES3_N6thrust23THRUST_200600_302600_NS6detail15normal_iteratorINS9_10device_ptrIsEEEESE_SE_iNS9_4plusIvEENS9_8equal_toIvEEiEE10hipError_tPvRmT2_T3_T4_T5_mT6_T7_P12ihipStream_tbENKUlT_T0_E_clISt17integral_constantIbLb1EESY_IbLb0EEEEDaSU_SV_EUlSU_E_NS1_11comp_targetILNS1_3genE8ELNS1_11target_archE1030ELNS1_3gpuE2ELNS1_3repE0EEENS1_30default_config_static_selectorELNS0_4arch9wavefront6targetE1EEEvT1_
; %bb.0:
	.section	.rodata,"a",@progbits
	.p2align	6, 0x0
	.amdhsa_kernel _ZN7rocprim17ROCPRIM_400000_NS6detail17trampoline_kernelINS0_14default_configENS1_27scan_by_key_config_selectorIsiEEZZNS1_16scan_by_key_implILNS1_25lookback_scan_determinismE0ELb1ES3_N6thrust23THRUST_200600_302600_NS6detail15normal_iteratorINS9_10device_ptrIsEEEESE_SE_iNS9_4plusIvEENS9_8equal_toIvEEiEE10hipError_tPvRmT2_T3_T4_T5_mT6_T7_P12ihipStream_tbENKUlT_T0_E_clISt17integral_constantIbLb1EESY_IbLb0EEEEDaSU_SV_EUlSU_E_NS1_11comp_targetILNS1_3genE8ELNS1_11target_archE1030ELNS1_3gpuE2ELNS1_3repE0EEENS1_30default_config_static_selectorELNS0_4arch9wavefront6targetE1EEEvT1_
		.amdhsa_group_segment_fixed_size 0
		.amdhsa_private_segment_fixed_size 0
		.amdhsa_kernarg_size 112
		.amdhsa_user_sgpr_count 2
		.amdhsa_user_sgpr_dispatch_ptr 0
		.amdhsa_user_sgpr_queue_ptr 0
		.amdhsa_user_sgpr_kernarg_segment_ptr 1
		.amdhsa_user_sgpr_dispatch_id 0
		.amdhsa_user_sgpr_kernarg_preload_length 0
		.amdhsa_user_sgpr_kernarg_preload_offset 0
		.amdhsa_user_sgpr_private_segment_size 0
		.amdhsa_uses_dynamic_stack 0
		.amdhsa_enable_private_segment 0
		.amdhsa_system_sgpr_workgroup_id_x 1
		.amdhsa_system_sgpr_workgroup_id_y 0
		.amdhsa_system_sgpr_workgroup_id_z 0
		.amdhsa_system_sgpr_workgroup_info 0
		.amdhsa_system_vgpr_workitem_id 0
		.amdhsa_next_free_vgpr 1
		.amdhsa_next_free_sgpr 0
		.amdhsa_accum_offset 4
		.amdhsa_reserve_vcc 0
		.amdhsa_float_round_mode_32 0
		.amdhsa_float_round_mode_16_64 0
		.amdhsa_float_denorm_mode_32 3
		.amdhsa_float_denorm_mode_16_64 3
		.amdhsa_dx10_clamp 1
		.amdhsa_ieee_mode 1
		.amdhsa_fp16_overflow 0
		.amdhsa_tg_split 0
		.amdhsa_exception_fp_ieee_invalid_op 0
		.amdhsa_exception_fp_denorm_src 0
		.amdhsa_exception_fp_ieee_div_zero 0
		.amdhsa_exception_fp_ieee_overflow 0
		.amdhsa_exception_fp_ieee_underflow 0
		.amdhsa_exception_fp_ieee_inexact 0
		.amdhsa_exception_int_div_zero 0
	.end_amdhsa_kernel
	.section	.text._ZN7rocprim17ROCPRIM_400000_NS6detail17trampoline_kernelINS0_14default_configENS1_27scan_by_key_config_selectorIsiEEZZNS1_16scan_by_key_implILNS1_25lookback_scan_determinismE0ELb1ES3_N6thrust23THRUST_200600_302600_NS6detail15normal_iteratorINS9_10device_ptrIsEEEESE_SE_iNS9_4plusIvEENS9_8equal_toIvEEiEE10hipError_tPvRmT2_T3_T4_T5_mT6_T7_P12ihipStream_tbENKUlT_T0_E_clISt17integral_constantIbLb1EESY_IbLb0EEEEDaSU_SV_EUlSU_E_NS1_11comp_targetILNS1_3genE8ELNS1_11target_archE1030ELNS1_3gpuE2ELNS1_3repE0EEENS1_30default_config_static_selectorELNS0_4arch9wavefront6targetE1EEEvT1_,"axG",@progbits,_ZN7rocprim17ROCPRIM_400000_NS6detail17trampoline_kernelINS0_14default_configENS1_27scan_by_key_config_selectorIsiEEZZNS1_16scan_by_key_implILNS1_25lookback_scan_determinismE0ELb1ES3_N6thrust23THRUST_200600_302600_NS6detail15normal_iteratorINS9_10device_ptrIsEEEESE_SE_iNS9_4plusIvEENS9_8equal_toIvEEiEE10hipError_tPvRmT2_T3_T4_T5_mT6_T7_P12ihipStream_tbENKUlT_T0_E_clISt17integral_constantIbLb1EESY_IbLb0EEEEDaSU_SV_EUlSU_E_NS1_11comp_targetILNS1_3genE8ELNS1_11target_archE1030ELNS1_3gpuE2ELNS1_3repE0EEENS1_30default_config_static_selectorELNS0_4arch9wavefront6targetE1EEEvT1_,comdat
.Lfunc_end1070:
	.size	_ZN7rocprim17ROCPRIM_400000_NS6detail17trampoline_kernelINS0_14default_configENS1_27scan_by_key_config_selectorIsiEEZZNS1_16scan_by_key_implILNS1_25lookback_scan_determinismE0ELb1ES3_N6thrust23THRUST_200600_302600_NS6detail15normal_iteratorINS9_10device_ptrIsEEEESE_SE_iNS9_4plusIvEENS9_8equal_toIvEEiEE10hipError_tPvRmT2_T3_T4_T5_mT6_T7_P12ihipStream_tbENKUlT_T0_E_clISt17integral_constantIbLb1EESY_IbLb0EEEEDaSU_SV_EUlSU_E_NS1_11comp_targetILNS1_3genE8ELNS1_11target_archE1030ELNS1_3gpuE2ELNS1_3repE0EEENS1_30default_config_static_selectorELNS0_4arch9wavefront6targetE1EEEvT1_, .Lfunc_end1070-_ZN7rocprim17ROCPRIM_400000_NS6detail17trampoline_kernelINS0_14default_configENS1_27scan_by_key_config_selectorIsiEEZZNS1_16scan_by_key_implILNS1_25lookback_scan_determinismE0ELb1ES3_N6thrust23THRUST_200600_302600_NS6detail15normal_iteratorINS9_10device_ptrIsEEEESE_SE_iNS9_4plusIvEENS9_8equal_toIvEEiEE10hipError_tPvRmT2_T3_T4_T5_mT6_T7_P12ihipStream_tbENKUlT_T0_E_clISt17integral_constantIbLb1EESY_IbLb0EEEEDaSU_SV_EUlSU_E_NS1_11comp_targetILNS1_3genE8ELNS1_11target_archE1030ELNS1_3gpuE2ELNS1_3repE0EEENS1_30default_config_static_selectorELNS0_4arch9wavefront6targetE1EEEvT1_
                                        ; -- End function
	.section	.AMDGPU.csdata,"",@progbits
; Kernel info:
; codeLenInByte = 0
; NumSgprs: 6
; NumVgprs: 0
; NumAgprs: 0
; TotalNumVgprs: 0
; ScratchSize: 0
; MemoryBound: 0
; FloatMode: 240
; IeeeMode: 1
; LDSByteSize: 0 bytes/workgroup (compile time only)
; SGPRBlocks: 0
; VGPRBlocks: 0
; NumSGPRsForWavesPerEU: 6
; NumVGPRsForWavesPerEU: 1
; AccumOffset: 4
; Occupancy: 8
; WaveLimiterHint : 0
; COMPUTE_PGM_RSRC2:SCRATCH_EN: 0
; COMPUTE_PGM_RSRC2:USER_SGPR: 2
; COMPUTE_PGM_RSRC2:TRAP_HANDLER: 0
; COMPUTE_PGM_RSRC2:TGID_X_EN: 1
; COMPUTE_PGM_RSRC2:TGID_Y_EN: 0
; COMPUTE_PGM_RSRC2:TGID_Z_EN: 0
; COMPUTE_PGM_RSRC2:TIDIG_COMP_CNT: 0
; COMPUTE_PGM_RSRC3_GFX90A:ACCUM_OFFSET: 0
; COMPUTE_PGM_RSRC3_GFX90A:TG_SPLIT: 0
	.section	.text._ZN7rocprim17ROCPRIM_400000_NS6detail30init_device_scan_by_key_kernelINS1_19lookback_scan_stateINS0_5tupleIJibEEELb0ELb1EEEN6thrust23THRUST_200600_302600_NS6detail15normal_iteratorINS8_10device_ptrIsEEEEjNS1_16block_id_wrapperIjLb1EEEEEvT_jjPNSG_10value_typeET0_PNSt15iterator_traitsISJ_E10value_typeEmT1_T2_,"axG",@progbits,_ZN7rocprim17ROCPRIM_400000_NS6detail30init_device_scan_by_key_kernelINS1_19lookback_scan_stateINS0_5tupleIJibEEELb0ELb1EEEN6thrust23THRUST_200600_302600_NS6detail15normal_iteratorINS8_10device_ptrIsEEEEjNS1_16block_id_wrapperIjLb1EEEEEvT_jjPNSG_10value_typeET0_PNSt15iterator_traitsISJ_E10value_typeEmT1_T2_,comdat
	.protected	_ZN7rocprim17ROCPRIM_400000_NS6detail30init_device_scan_by_key_kernelINS1_19lookback_scan_stateINS0_5tupleIJibEEELb0ELb1EEEN6thrust23THRUST_200600_302600_NS6detail15normal_iteratorINS8_10device_ptrIsEEEEjNS1_16block_id_wrapperIjLb1EEEEEvT_jjPNSG_10value_typeET0_PNSt15iterator_traitsISJ_E10value_typeEmT1_T2_ ; -- Begin function _ZN7rocprim17ROCPRIM_400000_NS6detail30init_device_scan_by_key_kernelINS1_19lookback_scan_stateINS0_5tupleIJibEEELb0ELb1EEEN6thrust23THRUST_200600_302600_NS6detail15normal_iteratorINS8_10device_ptrIsEEEEjNS1_16block_id_wrapperIjLb1EEEEEvT_jjPNSG_10value_typeET0_PNSt15iterator_traitsISJ_E10value_typeEmT1_T2_
	.globl	_ZN7rocprim17ROCPRIM_400000_NS6detail30init_device_scan_by_key_kernelINS1_19lookback_scan_stateINS0_5tupleIJibEEELb0ELb1EEEN6thrust23THRUST_200600_302600_NS6detail15normal_iteratorINS8_10device_ptrIsEEEEjNS1_16block_id_wrapperIjLb1EEEEEvT_jjPNSG_10value_typeET0_PNSt15iterator_traitsISJ_E10value_typeEmT1_T2_
	.p2align	8
	.type	_ZN7rocprim17ROCPRIM_400000_NS6detail30init_device_scan_by_key_kernelINS1_19lookback_scan_stateINS0_5tupleIJibEEELb0ELb1EEEN6thrust23THRUST_200600_302600_NS6detail15normal_iteratorINS8_10device_ptrIsEEEEjNS1_16block_id_wrapperIjLb1EEEEEvT_jjPNSG_10value_typeET0_PNSt15iterator_traitsISJ_E10value_typeEmT1_T2_,@function
_ZN7rocprim17ROCPRIM_400000_NS6detail30init_device_scan_by_key_kernelINS1_19lookback_scan_stateINS0_5tupleIJibEEELb0ELb1EEEN6thrust23THRUST_200600_302600_NS6detail15normal_iteratorINS8_10device_ptrIsEEEEjNS1_16block_id_wrapperIjLb1EEEEEvT_jjPNSG_10value_typeET0_PNSt15iterator_traitsISJ_E10value_typeEmT1_T2_: ; @_ZN7rocprim17ROCPRIM_400000_NS6detail30init_device_scan_by_key_kernelINS1_19lookback_scan_stateINS0_5tupleIJibEEELb0ELb1EEEN6thrust23THRUST_200600_302600_NS6detail15normal_iteratorINS8_10device_ptrIsEEEEjNS1_16block_id_wrapperIjLb1EEEEEvT_jjPNSG_10value_typeET0_PNSt15iterator_traitsISJ_E10value_typeEmT1_T2_
; %bb.0:
	s_load_dword s3, s[0:1], 0x4c
	s_load_dwordx8 s[4:11], s[0:1], 0x0
	s_load_dword s18, s[0:1], 0x40
	s_waitcnt lgkmcnt(0)
	s_and_b32 s19, s3, 0xffff
	s_mul_i32 s2, s2, s19
	s_cmp_eq_u64 s[8:9], 0
	v_add_u32_e32 v4, s2, v0
	s_cbranch_scc1 .LBB1071_8
; %bb.1:
	s_cmp_lt_u32 s7, s6
	s_cselect_b32 s2, s7, 0
	s_mov_b32 s13, 0
	v_cmp_eq_u32_e32 vcc, s2, v4
	s_and_saveexec_b64 s[2:3], vcc
	s_cbranch_execz .LBB1071_7
; %bb.2:
	s_add_i32 s12, s7, 64
	s_lshl_b64 s[12:13], s[12:13], 4
	s_add_u32 s16, s4, s12
	s_addc_u32 s17, s5, s13
	v_mov_b64_e32 v[0:1], s[16:17]
	;;#ASMSTART
	global_load_dwordx4 v[0:3], v[0:1] off sc1	
s_waitcnt vmcnt(0)
	;;#ASMEND
	v_mov_b32_e32 v7, 0
	v_and_b32_e32 v6, 0xff, v2
	s_mov_b64 s[14:15], 0
	v_cmp_eq_u64_e32 vcc, 0, v[6:7]
	s_and_saveexec_b64 s[12:13], vcc
	s_cbranch_execz .LBB1071_6
; %bb.3:
	v_mov_b64_e32 v[8:9], s[16:17]
.LBB1071_4:                             ; =>This Inner Loop Header: Depth=1
	;;#ASMSTART
	global_load_dwordx4 v[0:3], v[8:9] off sc1	
s_waitcnt vmcnt(0)
	;;#ASMEND
	s_nop 0
	v_and_b32_e32 v6, 0xff, v2
	v_cmp_ne_u64_e32 vcc, 0, v[6:7]
	s_or_b64 s[14:15], vcc, s[14:15]
	s_andn2_b64 exec, exec, s[14:15]
	s_cbranch_execnz .LBB1071_4
; %bb.5:
	s_or_b64 exec, exec, s[14:15]
.LBB1071_6:
	s_or_b64 exec, exec, s[12:13]
	v_mov_b32_e32 v2, 0
	global_store_dword v2, v0, s[8:9]
	global_store_byte v2, v1, s[8:9] offset:4
.LBB1071_7:
	s_or_b64 exec, exec, s[2:3]
.LBB1071_8:
	v_cmp_eq_u32_e32 vcc, 0, v4
	s_and_saveexec_b64 s[2:3], vcc
	s_cbranch_execz .LBB1071_10
; %bb.9:
	s_load_dwordx2 s[8:9], s[0:1], 0x38
	v_mov_b32_e32 v0, 0
	s_waitcnt lgkmcnt(0)
	global_store_dword v0, v0, s[8:9]
.LBB1071_10:
	s_or_b64 exec, exec, s[2:3]
	v_cmp_gt_u32_e32 vcc, s6, v4
	s_and_saveexec_b64 s[2:3], vcc
	s_cbranch_execz .LBB1071_12
; %bb.11:
	v_add_u32_e32 v0, 64, v4
	v_mov_b32_e32 v1, 0
	v_lshl_add_u64 v[6:7], v[0:1], 4, s[4:5]
	v_mov_b32_e32 v0, v1
	v_mov_b32_e32 v2, v1
	;; [unrolled: 1-line block ×3, first 2 shown]
	global_store_dwordx4 v[6:7], v[0:3], off
.LBB1071_12:
	s_or_b64 exec, exec, s[2:3]
	v_cmp_gt_u32_e32 vcc, 64, v4
	v_mov_b32_e32 v5, 0
	s_and_saveexec_b64 s[2:3], vcc
	s_cbranch_execz .LBB1071_14
; %bb.13:
	v_lshl_add_u64 v[6:7], v[4:5], 4, s[4:5]
	v_mov_b32_e32 v2, 0xff
	v_mov_b32_e32 v0, v5
	;; [unrolled: 1-line block ×4, first 2 shown]
	global_store_dwordx4 v[6:7], v[0:3], off
.LBB1071_14:
	s_or_b64 exec, exec, s[2:3]
	s_load_dwordx2 s[2:3], s[0:1], 0x28
	s_waitcnt lgkmcnt(0)
	v_cmp_gt_u64_e32 vcc, s[2:3], v[4:5]
	s_and_saveexec_b64 s[4:5], vcc
	s_cbranch_execz .LBB1071_17
; %bb.15:
	s_load_dword s12, s[0:1], 0x30
	s_load_dwordx2 s[6:7], s[0:1], 0x20
	s_mov_b32 s5, 0
	s_mov_b32 s1, s5
	s_mul_i32 s0, s18, s19
	s_waitcnt lgkmcnt(0)
	s_add_i32 s4, s12, -1
	s_lshl_b64 s[4:5], s[4:5], 1
	s_add_u32 s4, s10, s4
	v_mad_u64_u32 v[0:1], s[8:9], s12, v4, 0
	s_addc_u32 s5, s11, s5
	v_lshl_add_u64 v[0:1], v[0:1], 1, s[4:5]
	s_mul_hi_u32 s5, s12, s0
	s_mul_i32 s4, s12, s0
	s_lshl_b64 s[4:5], s[4:5], 1
	v_lshl_add_u64 v[2:3], v[4:5], 1, s[6:7]
	s_lshl_b64 s[6:7], s[0:1], 1
	s_mov_b64 s[8:9], 0
.LBB1071_16:                            ; =>This Inner Loop Header: Depth=1
	global_load_ushort v6, v[0:1], off
	v_lshl_add_u64 v[4:5], v[4:5], 0, s[0:1]
	v_cmp_le_u64_e32 vcc, s[2:3], v[4:5]
	v_lshl_add_u64 v[0:1], v[0:1], 0, s[4:5]
	s_or_b64 s[8:9], vcc, s[8:9]
	s_waitcnt vmcnt(0)
	global_store_short v[2:3], v6, off
	v_lshl_add_u64 v[2:3], v[2:3], 0, s[6:7]
	s_andn2_b64 exec, exec, s[8:9]
	s_cbranch_execnz .LBB1071_16
.LBB1071_17:
	s_endpgm
	.section	.rodata,"a",@progbits
	.p2align	6, 0x0
	.amdhsa_kernel _ZN7rocprim17ROCPRIM_400000_NS6detail30init_device_scan_by_key_kernelINS1_19lookback_scan_stateINS0_5tupleIJibEEELb0ELb1EEEN6thrust23THRUST_200600_302600_NS6detail15normal_iteratorINS8_10device_ptrIsEEEEjNS1_16block_id_wrapperIjLb1EEEEEvT_jjPNSG_10value_typeET0_PNSt15iterator_traitsISJ_E10value_typeEmT1_T2_
		.amdhsa_group_segment_fixed_size 0
		.amdhsa_private_segment_fixed_size 0
		.amdhsa_kernarg_size 320
		.amdhsa_user_sgpr_count 2
		.amdhsa_user_sgpr_dispatch_ptr 0
		.amdhsa_user_sgpr_queue_ptr 0
		.amdhsa_user_sgpr_kernarg_segment_ptr 1
		.amdhsa_user_sgpr_dispatch_id 0
		.amdhsa_user_sgpr_kernarg_preload_length 0
		.amdhsa_user_sgpr_kernarg_preload_offset 0
		.amdhsa_user_sgpr_private_segment_size 0
		.amdhsa_uses_dynamic_stack 0
		.amdhsa_enable_private_segment 0
		.amdhsa_system_sgpr_workgroup_id_x 1
		.amdhsa_system_sgpr_workgroup_id_y 0
		.amdhsa_system_sgpr_workgroup_id_z 0
		.amdhsa_system_sgpr_workgroup_info 0
		.amdhsa_system_vgpr_workitem_id 0
		.amdhsa_next_free_vgpr 10
		.amdhsa_next_free_sgpr 20
		.amdhsa_accum_offset 12
		.amdhsa_reserve_vcc 1
		.amdhsa_float_round_mode_32 0
		.amdhsa_float_round_mode_16_64 0
		.amdhsa_float_denorm_mode_32 3
		.amdhsa_float_denorm_mode_16_64 3
		.amdhsa_dx10_clamp 1
		.amdhsa_ieee_mode 1
		.amdhsa_fp16_overflow 0
		.amdhsa_tg_split 0
		.amdhsa_exception_fp_ieee_invalid_op 0
		.amdhsa_exception_fp_denorm_src 0
		.amdhsa_exception_fp_ieee_div_zero 0
		.amdhsa_exception_fp_ieee_overflow 0
		.amdhsa_exception_fp_ieee_underflow 0
		.amdhsa_exception_fp_ieee_inexact 0
		.amdhsa_exception_int_div_zero 0
	.end_amdhsa_kernel
	.section	.text._ZN7rocprim17ROCPRIM_400000_NS6detail30init_device_scan_by_key_kernelINS1_19lookback_scan_stateINS0_5tupleIJibEEELb0ELb1EEEN6thrust23THRUST_200600_302600_NS6detail15normal_iteratorINS8_10device_ptrIsEEEEjNS1_16block_id_wrapperIjLb1EEEEEvT_jjPNSG_10value_typeET0_PNSt15iterator_traitsISJ_E10value_typeEmT1_T2_,"axG",@progbits,_ZN7rocprim17ROCPRIM_400000_NS6detail30init_device_scan_by_key_kernelINS1_19lookback_scan_stateINS0_5tupleIJibEEELb0ELb1EEEN6thrust23THRUST_200600_302600_NS6detail15normal_iteratorINS8_10device_ptrIsEEEEjNS1_16block_id_wrapperIjLb1EEEEEvT_jjPNSG_10value_typeET0_PNSt15iterator_traitsISJ_E10value_typeEmT1_T2_,comdat
.Lfunc_end1071:
	.size	_ZN7rocprim17ROCPRIM_400000_NS6detail30init_device_scan_by_key_kernelINS1_19lookback_scan_stateINS0_5tupleIJibEEELb0ELb1EEEN6thrust23THRUST_200600_302600_NS6detail15normal_iteratorINS8_10device_ptrIsEEEEjNS1_16block_id_wrapperIjLb1EEEEEvT_jjPNSG_10value_typeET0_PNSt15iterator_traitsISJ_E10value_typeEmT1_T2_, .Lfunc_end1071-_ZN7rocprim17ROCPRIM_400000_NS6detail30init_device_scan_by_key_kernelINS1_19lookback_scan_stateINS0_5tupleIJibEEELb0ELb1EEEN6thrust23THRUST_200600_302600_NS6detail15normal_iteratorINS8_10device_ptrIsEEEEjNS1_16block_id_wrapperIjLb1EEEEEvT_jjPNSG_10value_typeET0_PNSt15iterator_traitsISJ_E10value_typeEmT1_T2_
                                        ; -- End function
	.section	.AMDGPU.csdata,"",@progbits
; Kernel info:
; codeLenInByte = 548
; NumSgprs: 26
; NumVgprs: 10
; NumAgprs: 0
; TotalNumVgprs: 10
; ScratchSize: 0
; MemoryBound: 0
; FloatMode: 240
; IeeeMode: 1
; LDSByteSize: 0 bytes/workgroup (compile time only)
; SGPRBlocks: 3
; VGPRBlocks: 1
; NumSGPRsForWavesPerEU: 26
; NumVGPRsForWavesPerEU: 10
; AccumOffset: 12
; Occupancy: 8
; WaveLimiterHint : 0
; COMPUTE_PGM_RSRC2:SCRATCH_EN: 0
; COMPUTE_PGM_RSRC2:USER_SGPR: 2
; COMPUTE_PGM_RSRC2:TRAP_HANDLER: 0
; COMPUTE_PGM_RSRC2:TGID_X_EN: 1
; COMPUTE_PGM_RSRC2:TGID_Y_EN: 0
; COMPUTE_PGM_RSRC2:TGID_Z_EN: 0
; COMPUTE_PGM_RSRC2:TIDIG_COMP_CNT: 0
; COMPUTE_PGM_RSRC3_GFX90A:ACCUM_OFFSET: 2
; COMPUTE_PGM_RSRC3_GFX90A:TG_SPLIT: 0
	.section	.text._ZN7rocprim17ROCPRIM_400000_NS6detail17trampoline_kernelINS0_14default_configENS1_27scan_by_key_config_selectorIsiEEZZNS1_16scan_by_key_implILNS1_25lookback_scan_determinismE0ELb1ES3_N6thrust23THRUST_200600_302600_NS6detail15normal_iteratorINS9_10device_ptrIsEEEESE_SE_iNS9_4plusIvEENS9_8equal_toIvEEiEE10hipError_tPvRmT2_T3_T4_T5_mT6_T7_P12ihipStream_tbENKUlT_T0_E_clISt17integral_constantIbLb0EESY_IbLb1EEEEDaSU_SV_EUlSU_E_NS1_11comp_targetILNS1_3genE0ELNS1_11target_archE4294967295ELNS1_3gpuE0ELNS1_3repE0EEENS1_30default_config_static_selectorELNS0_4arch9wavefront6targetE1EEEvT1_,"axG",@progbits,_ZN7rocprim17ROCPRIM_400000_NS6detail17trampoline_kernelINS0_14default_configENS1_27scan_by_key_config_selectorIsiEEZZNS1_16scan_by_key_implILNS1_25lookback_scan_determinismE0ELb1ES3_N6thrust23THRUST_200600_302600_NS6detail15normal_iteratorINS9_10device_ptrIsEEEESE_SE_iNS9_4plusIvEENS9_8equal_toIvEEiEE10hipError_tPvRmT2_T3_T4_T5_mT6_T7_P12ihipStream_tbENKUlT_T0_E_clISt17integral_constantIbLb0EESY_IbLb1EEEEDaSU_SV_EUlSU_E_NS1_11comp_targetILNS1_3genE0ELNS1_11target_archE4294967295ELNS1_3gpuE0ELNS1_3repE0EEENS1_30default_config_static_selectorELNS0_4arch9wavefront6targetE1EEEvT1_,comdat
	.protected	_ZN7rocprim17ROCPRIM_400000_NS6detail17trampoline_kernelINS0_14default_configENS1_27scan_by_key_config_selectorIsiEEZZNS1_16scan_by_key_implILNS1_25lookback_scan_determinismE0ELb1ES3_N6thrust23THRUST_200600_302600_NS6detail15normal_iteratorINS9_10device_ptrIsEEEESE_SE_iNS9_4plusIvEENS9_8equal_toIvEEiEE10hipError_tPvRmT2_T3_T4_T5_mT6_T7_P12ihipStream_tbENKUlT_T0_E_clISt17integral_constantIbLb0EESY_IbLb1EEEEDaSU_SV_EUlSU_E_NS1_11comp_targetILNS1_3genE0ELNS1_11target_archE4294967295ELNS1_3gpuE0ELNS1_3repE0EEENS1_30default_config_static_selectorELNS0_4arch9wavefront6targetE1EEEvT1_ ; -- Begin function _ZN7rocprim17ROCPRIM_400000_NS6detail17trampoline_kernelINS0_14default_configENS1_27scan_by_key_config_selectorIsiEEZZNS1_16scan_by_key_implILNS1_25lookback_scan_determinismE0ELb1ES3_N6thrust23THRUST_200600_302600_NS6detail15normal_iteratorINS9_10device_ptrIsEEEESE_SE_iNS9_4plusIvEENS9_8equal_toIvEEiEE10hipError_tPvRmT2_T3_T4_T5_mT6_T7_P12ihipStream_tbENKUlT_T0_E_clISt17integral_constantIbLb0EESY_IbLb1EEEEDaSU_SV_EUlSU_E_NS1_11comp_targetILNS1_3genE0ELNS1_11target_archE4294967295ELNS1_3gpuE0ELNS1_3repE0EEENS1_30default_config_static_selectorELNS0_4arch9wavefront6targetE1EEEvT1_
	.globl	_ZN7rocprim17ROCPRIM_400000_NS6detail17trampoline_kernelINS0_14default_configENS1_27scan_by_key_config_selectorIsiEEZZNS1_16scan_by_key_implILNS1_25lookback_scan_determinismE0ELb1ES3_N6thrust23THRUST_200600_302600_NS6detail15normal_iteratorINS9_10device_ptrIsEEEESE_SE_iNS9_4plusIvEENS9_8equal_toIvEEiEE10hipError_tPvRmT2_T3_T4_T5_mT6_T7_P12ihipStream_tbENKUlT_T0_E_clISt17integral_constantIbLb0EESY_IbLb1EEEEDaSU_SV_EUlSU_E_NS1_11comp_targetILNS1_3genE0ELNS1_11target_archE4294967295ELNS1_3gpuE0ELNS1_3repE0EEENS1_30default_config_static_selectorELNS0_4arch9wavefront6targetE1EEEvT1_
	.p2align	8
	.type	_ZN7rocprim17ROCPRIM_400000_NS6detail17trampoline_kernelINS0_14default_configENS1_27scan_by_key_config_selectorIsiEEZZNS1_16scan_by_key_implILNS1_25lookback_scan_determinismE0ELb1ES3_N6thrust23THRUST_200600_302600_NS6detail15normal_iteratorINS9_10device_ptrIsEEEESE_SE_iNS9_4plusIvEENS9_8equal_toIvEEiEE10hipError_tPvRmT2_T3_T4_T5_mT6_T7_P12ihipStream_tbENKUlT_T0_E_clISt17integral_constantIbLb0EESY_IbLb1EEEEDaSU_SV_EUlSU_E_NS1_11comp_targetILNS1_3genE0ELNS1_11target_archE4294967295ELNS1_3gpuE0ELNS1_3repE0EEENS1_30default_config_static_selectorELNS0_4arch9wavefront6targetE1EEEvT1_,@function
_ZN7rocprim17ROCPRIM_400000_NS6detail17trampoline_kernelINS0_14default_configENS1_27scan_by_key_config_selectorIsiEEZZNS1_16scan_by_key_implILNS1_25lookback_scan_determinismE0ELb1ES3_N6thrust23THRUST_200600_302600_NS6detail15normal_iteratorINS9_10device_ptrIsEEEESE_SE_iNS9_4plusIvEENS9_8equal_toIvEEiEE10hipError_tPvRmT2_T3_T4_T5_mT6_T7_P12ihipStream_tbENKUlT_T0_E_clISt17integral_constantIbLb0EESY_IbLb1EEEEDaSU_SV_EUlSU_E_NS1_11comp_targetILNS1_3genE0ELNS1_11target_archE4294967295ELNS1_3gpuE0ELNS1_3repE0EEENS1_30default_config_static_selectorELNS0_4arch9wavefront6targetE1EEEvT1_: ; @_ZN7rocprim17ROCPRIM_400000_NS6detail17trampoline_kernelINS0_14default_configENS1_27scan_by_key_config_selectorIsiEEZZNS1_16scan_by_key_implILNS1_25lookback_scan_determinismE0ELb1ES3_N6thrust23THRUST_200600_302600_NS6detail15normal_iteratorINS9_10device_ptrIsEEEESE_SE_iNS9_4plusIvEENS9_8equal_toIvEEiEE10hipError_tPvRmT2_T3_T4_T5_mT6_T7_P12ihipStream_tbENKUlT_T0_E_clISt17integral_constantIbLb0EESY_IbLb1EEEEDaSU_SV_EUlSU_E_NS1_11comp_targetILNS1_3genE0ELNS1_11target_archE4294967295ELNS1_3gpuE0ELNS1_3repE0EEENS1_30default_config_static_selectorELNS0_4arch9wavefront6targetE1EEEvT1_
; %bb.0:
	.section	.rodata,"a",@progbits
	.p2align	6, 0x0
	.amdhsa_kernel _ZN7rocprim17ROCPRIM_400000_NS6detail17trampoline_kernelINS0_14default_configENS1_27scan_by_key_config_selectorIsiEEZZNS1_16scan_by_key_implILNS1_25lookback_scan_determinismE0ELb1ES3_N6thrust23THRUST_200600_302600_NS6detail15normal_iteratorINS9_10device_ptrIsEEEESE_SE_iNS9_4plusIvEENS9_8equal_toIvEEiEE10hipError_tPvRmT2_T3_T4_T5_mT6_T7_P12ihipStream_tbENKUlT_T0_E_clISt17integral_constantIbLb0EESY_IbLb1EEEEDaSU_SV_EUlSU_E_NS1_11comp_targetILNS1_3genE0ELNS1_11target_archE4294967295ELNS1_3gpuE0ELNS1_3repE0EEENS1_30default_config_static_selectorELNS0_4arch9wavefront6targetE1EEEvT1_
		.amdhsa_group_segment_fixed_size 0
		.amdhsa_private_segment_fixed_size 0
		.amdhsa_kernarg_size 112
		.amdhsa_user_sgpr_count 2
		.amdhsa_user_sgpr_dispatch_ptr 0
		.amdhsa_user_sgpr_queue_ptr 0
		.amdhsa_user_sgpr_kernarg_segment_ptr 1
		.amdhsa_user_sgpr_dispatch_id 0
		.amdhsa_user_sgpr_kernarg_preload_length 0
		.amdhsa_user_sgpr_kernarg_preload_offset 0
		.amdhsa_user_sgpr_private_segment_size 0
		.amdhsa_uses_dynamic_stack 0
		.amdhsa_enable_private_segment 0
		.amdhsa_system_sgpr_workgroup_id_x 1
		.amdhsa_system_sgpr_workgroup_id_y 0
		.amdhsa_system_sgpr_workgroup_id_z 0
		.amdhsa_system_sgpr_workgroup_info 0
		.amdhsa_system_vgpr_workitem_id 0
		.amdhsa_next_free_vgpr 1
		.amdhsa_next_free_sgpr 0
		.amdhsa_accum_offset 4
		.amdhsa_reserve_vcc 0
		.amdhsa_float_round_mode_32 0
		.amdhsa_float_round_mode_16_64 0
		.amdhsa_float_denorm_mode_32 3
		.amdhsa_float_denorm_mode_16_64 3
		.amdhsa_dx10_clamp 1
		.amdhsa_ieee_mode 1
		.amdhsa_fp16_overflow 0
		.amdhsa_tg_split 0
		.amdhsa_exception_fp_ieee_invalid_op 0
		.amdhsa_exception_fp_denorm_src 0
		.amdhsa_exception_fp_ieee_div_zero 0
		.amdhsa_exception_fp_ieee_overflow 0
		.amdhsa_exception_fp_ieee_underflow 0
		.amdhsa_exception_fp_ieee_inexact 0
		.amdhsa_exception_int_div_zero 0
	.end_amdhsa_kernel
	.section	.text._ZN7rocprim17ROCPRIM_400000_NS6detail17trampoline_kernelINS0_14default_configENS1_27scan_by_key_config_selectorIsiEEZZNS1_16scan_by_key_implILNS1_25lookback_scan_determinismE0ELb1ES3_N6thrust23THRUST_200600_302600_NS6detail15normal_iteratorINS9_10device_ptrIsEEEESE_SE_iNS9_4plusIvEENS9_8equal_toIvEEiEE10hipError_tPvRmT2_T3_T4_T5_mT6_T7_P12ihipStream_tbENKUlT_T0_E_clISt17integral_constantIbLb0EESY_IbLb1EEEEDaSU_SV_EUlSU_E_NS1_11comp_targetILNS1_3genE0ELNS1_11target_archE4294967295ELNS1_3gpuE0ELNS1_3repE0EEENS1_30default_config_static_selectorELNS0_4arch9wavefront6targetE1EEEvT1_,"axG",@progbits,_ZN7rocprim17ROCPRIM_400000_NS6detail17trampoline_kernelINS0_14default_configENS1_27scan_by_key_config_selectorIsiEEZZNS1_16scan_by_key_implILNS1_25lookback_scan_determinismE0ELb1ES3_N6thrust23THRUST_200600_302600_NS6detail15normal_iteratorINS9_10device_ptrIsEEEESE_SE_iNS9_4plusIvEENS9_8equal_toIvEEiEE10hipError_tPvRmT2_T3_T4_T5_mT6_T7_P12ihipStream_tbENKUlT_T0_E_clISt17integral_constantIbLb0EESY_IbLb1EEEEDaSU_SV_EUlSU_E_NS1_11comp_targetILNS1_3genE0ELNS1_11target_archE4294967295ELNS1_3gpuE0ELNS1_3repE0EEENS1_30default_config_static_selectorELNS0_4arch9wavefront6targetE1EEEvT1_,comdat
.Lfunc_end1072:
	.size	_ZN7rocprim17ROCPRIM_400000_NS6detail17trampoline_kernelINS0_14default_configENS1_27scan_by_key_config_selectorIsiEEZZNS1_16scan_by_key_implILNS1_25lookback_scan_determinismE0ELb1ES3_N6thrust23THRUST_200600_302600_NS6detail15normal_iteratorINS9_10device_ptrIsEEEESE_SE_iNS9_4plusIvEENS9_8equal_toIvEEiEE10hipError_tPvRmT2_T3_T4_T5_mT6_T7_P12ihipStream_tbENKUlT_T0_E_clISt17integral_constantIbLb0EESY_IbLb1EEEEDaSU_SV_EUlSU_E_NS1_11comp_targetILNS1_3genE0ELNS1_11target_archE4294967295ELNS1_3gpuE0ELNS1_3repE0EEENS1_30default_config_static_selectorELNS0_4arch9wavefront6targetE1EEEvT1_, .Lfunc_end1072-_ZN7rocprim17ROCPRIM_400000_NS6detail17trampoline_kernelINS0_14default_configENS1_27scan_by_key_config_selectorIsiEEZZNS1_16scan_by_key_implILNS1_25lookback_scan_determinismE0ELb1ES3_N6thrust23THRUST_200600_302600_NS6detail15normal_iteratorINS9_10device_ptrIsEEEESE_SE_iNS9_4plusIvEENS9_8equal_toIvEEiEE10hipError_tPvRmT2_T3_T4_T5_mT6_T7_P12ihipStream_tbENKUlT_T0_E_clISt17integral_constantIbLb0EESY_IbLb1EEEEDaSU_SV_EUlSU_E_NS1_11comp_targetILNS1_3genE0ELNS1_11target_archE4294967295ELNS1_3gpuE0ELNS1_3repE0EEENS1_30default_config_static_selectorELNS0_4arch9wavefront6targetE1EEEvT1_
                                        ; -- End function
	.section	.AMDGPU.csdata,"",@progbits
; Kernel info:
; codeLenInByte = 0
; NumSgprs: 6
; NumVgprs: 0
; NumAgprs: 0
; TotalNumVgprs: 0
; ScratchSize: 0
; MemoryBound: 0
; FloatMode: 240
; IeeeMode: 1
; LDSByteSize: 0 bytes/workgroup (compile time only)
; SGPRBlocks: 0
; VGPRBlocks: 0
; NumSGPRsForWavesPerEU: 6
; NumVGPRsForWavesPerEU: 1
; AccumOffset: 4
; Occupancy: 8
; WaveLimiterHint : 0
; COMPUTE_PGM_RSRC2:SCRATCH_EN: 0
; COMPUTE_PGM_RSRC2:USER_SGPR: 2
; COMPUTE_PGM_RSRC2:TRAP_HANDLER: 0
; COMPUTE_PGM_RSRC2:TGID_X_EN: 1
; COMPUTE_PGM_RSRC2:TGID_Y_EN: 0
; COMPUTE_PGM_RSRC2:TGID_Z_EN: 0
; COMPUTE_PGM_RSRC2:TIDIG_COMP_CNT: 0
; COMPUTE_PGM_RSRC3_GFX90A:ACCUM_OFFSET: 0
; COMPUTE_PGM_RSRC3_GFX90A:TG_SPLIT: 0
	.section	.text._ZN7rocprim17ROCPRIM_400000_NS6detail17trampoline_kernelINS0_14default_configENS1_27scan_by_key_config_selectorIsiEEZZNS1_16scan_by_key_implILNS1_25lookback_scan_determinismE0ELb1ES3_N6thrust23THRUST_200600_302600_NS6detail15normal_iteratorINS9_10device_ptrIsEEEESE_SE_iNS9_4plusIvEENS9_8equal_toIvEEiEE10hipError_tPvRmT2_T3_T4_T5_mT6_T7_P12ihipStream_tbENKUlT_T0_E_clISt17integral_constantIbLb0EESY_IbLb1EEEEDaSU_SV_EUlSU_E_NS1_11comp_targetILNS1_3genE10ELNS1_11target_archE1201ELNS1_3gpuE5ELNS1_3repE0EEENS1_30default_config_static_selectorELNS0_4arch9wavefront6targetE1EEEvT1_,"axG",@progbits,_ZN7rocprim17ROCPRIM_400000_NS6detail17trampoline_kernelINS0_14default_configENS1_27scan_by_key_config_selectorIsiEEZZNS1_16scan_by_key_implILNS1_25lookback_scan_determinismE0ELb1ES3_N6thrust23THRUST_200600_302600_NS6detail15normal_iteratorINS9_10device_ptrIsEEEESE_SE_iNS9_4plusIvEENS9_8equal_toIvEEiEE10hipError_tPvRmT2_T3_T4_T5_mT6_T7_P12ihipStream_tbENKUlT_T0_E_clISt17integral_constantIbLb0EESY_IbLb1EEEEDaSU_SV_EUlSU_E_NS1_11comp_targetILNS1_3genE10ELNS1_11target_archE1201ELNS1_3gpuE5ELNS1_3repE0EEENS1_30default_config_static_selectorELNS0_4arch9wavefront6targetE1EEEvT1_,comdat
	.protected	_ZN7rocprim17ROCPRIM_400000_NS6detail17trampoline_kernelINS0_14default_configENS1_27scan_by_key_config_selectorIsiEEZZNS1_16scan_by_key_implILNS1_25lookback_scan_determinismE0ELb1ES3_N6thrust23THRUST_200600_302600_NS6detail15normal_iteratorINS9_10device_ptrIsEEEESE_SE_iNS9_4plusIvEENS9_8equal_toIvEEiEE10hipError_tPvRmT2_T3_T4_T5_mT6_T7_P12ihipStream_tbENKUlT_T0_E_clISt17integral_constantIbLb0EESY_IbLb1EEEEDaSU_SV_EUlSU_E_NS1_11comp_targetILNS1_3genE10ELNS1_11target_archE1201ELNS1_3gpuE5ELNS1_3repE0EEENS1_30default_config_static_selectorELNS0_4arch9wavefront6targetE1EEEvT1_ ; -- Begin function _ZN7rocprim17ROCPRIM_400000_NS6detail17trampoline_kernelINS0_14default_configENS1_27scan_by_key_config_selectorIsiEEZZNS1_16scan_by_key_implILNS1_25lookback_scan_determinismE0ELb1ES3_N6thrust23THRUST_200600_302600_NS6detail15normal_iteratorINS9_10device_ptrIsEEEESE_SE_iNS9_4plusIvEENS9_8equal_toIvEEiEE10hipError_tPvRmT2_T3_T4_T5_mT6_T7_P12ihipStream_tbENKUlT_T0_E_clISt17integral_constantIbLb0EESY_IbLb1EEEEDaSU_SV_EUlSU_E_NS1_11comp_targetILNS1_3genE10ELNS1_11target_archE1201ELNS1_3gpuE5ELNS1_3repE0EEENS1_30default_config_static_selectorELNS0_4arch9wavefront6targetE1EEEvT1_
	.globl	_ZN7rocprim17ROCPRIM_400000_NS6detail17trampoline_kernelINS0_14default_configENS1_27scan_by_key_config_selectorIsiEEZZNS1_16scan_by_key_implILNS1_25lookback_scan_determinismE0ELb1ES3_N6thrust23THRUST_200600_302600_NS6detail15normal_iteratorINS9_10device_ptrIsEEEESE_SE_iNS9_4plusIvEENS9_8equal_toIvEEiEE10hipError_tPvRmT2_T3_T4_T5_mT6_T7_P12ihipStream_tbENKUlT_T0_E_clISt17integral_constantIbLb0EESY_IbLb1EEEEDaSU_SV_EUlSU_E_NS1_11comp_targetILNS1_3genE10ELNS1_11target_archE1201ELNS1_3gpuE5ELNS1_3repE0EEENS1_30default_config_static_selectorELNS0_4arch9wavefront6targetE1EEEvT1_
	.p2align	8
	.type	_ZN7rocprim17ROCPRIM_400000_NS6detail17trampoline_kernelINS0_14default_configENS1_27scan_by_key_config_selectorIsiEEZZNS1_16scan_by_key_implILNS1_25lookback_scan_determinismE0ELb1ES3_N6thrust23THRUST_200600_302600_NS6detail15normal_iteratorINS9_10device_ptrIsEEEESE_SE_iNS9_4plusIvEENS9_8equal_toIvEEiEE10hipError_tPvRmT2_T3_T4_T5_mT6_T7_P12ihipStream_tbENKUlT_T0_E_clISt17integral_constantIbLb0EESY_IbLb1EEEEDaSU_SV_EUlSU_E_NS1_11comp_targetILNS1_3genE10ELNS1_11target_archE1201ELNS1_3gpuE5ELNS1_3repE0EEENS1_30default_config_static_selectorELNS0_4arch9wavefront6targetE1EEEvT1_,@function
_ZN7rocprim17ROCPRIM_400000_NS6detail17trampoline_kernelINS0_14default_configENS1_27scan_by_key_config_selectorIsiEEZZNS1_16scan_by_key_implILNS1_25lookback_scan_determinismE0ELb1ES3_N6thrust23THRUST_200600_302600_NS6detail15normal_iteratorINS9_10device_ptrIsEEEESE_SE_iNS9_4plusIvEENS9_8equal_toIvEEiEE10hipError_tPvRmT2_T3_T4_T5_mT6_T7_P12ihipStream_tbENKUlT_T0_E_clISt17integral_constantIbLb0EESY_IbLb1EEEEDaSU_SV_EUlSU_E_NS1_11comp_targetILNS1_3genE10ELNS1_11target_archE1201ELNS1_3gpuE5ELNS1_3repE0EEENS1_30default_config_static_selectorELNS0_4arch9wavefront6targetE1EEEvT1_: ; @_ZN7rocprim17ROCPRIM_400000_NS6detail17trampoline_kernelINS0_14default_configENS1_27scan_by_key_config_selectorIsiEEZZNS1_16scan_by_key_implILNS1_25lookback_scan_determinismE0ELb1ES3_N6thrust23THRUST_200600_302600_NS6detail15normal_iteratorINS9_10device_ptrIsEEEESE_SE_iNS9_4plusIvEENS9_8equal_toIvEEiEE10hipError_tPvRmT2_T3_T4_T5_mT6_T7_P12ihipStream_tbENKUlT_T0_E_clISt17integral_constantIbLb0EESY_IbLb1EEEEDaSU_SV_EUlSU_E_NS1_11comp_targetILNS1_3genE10ELNS1_11target_archE1201ELNS1_3gpuE5ELNS1_3repE0EEENS1_30default_config_static_selectorELNS0_4arch9wavefront6targetE1EEEvT1_
; %bb.0:
	.section	.rodata,"a",@progbits
	.p2align	6, 0x0
	.amdhsa_kernel _ZN7rocprim17ROCPRIM_400000_NS6detail17trampoline_kernelINS0_14default_configENS1_27scan_by_key_config_selectorIsiEEZZNS1_16scan_by_key_implILNS1_25lookback_scan_determinismE0ELb1ES3_N6thrust23THRUST_200600_302600_NS6detail15normal_iteratorINS9_10device_ptrIsEEEESE_SE_iNS9_4plusIvEENS9_8equal_toIvEEiEE10hipError_tPvRmT2_T3_T4_T5_mT6_T7_P12ihipStream_tbENKUlT_T0_E_clISt17integral_constantIbLb0EESY_IbLb1EEEEDaSU_SV_EUlSU_E_NS1_11comp_targetILNS1_3genE10ELNS1_11target_archE1201ELNS1_3gpuE5ELNS1_3repE0EEENS1_30default_config_static_selectorELNS0_4arch9wavefront6targetE1EEEvT1_
		.amdhsa_group_segment_fixed_size 0
		.amdhsa_private_segment_fixed_size 0
		.amdhsa_kernarg_size 112
		.amdhsa_user_sgpr_count 2
		.amdhsa_user_sgpr_dispatch_ptr 0
		.amdhsa_user_sgpr_queue_ptr 0
		.amdhsa_user_sgpr_kernarg_segment_ptr 1
		.amdhsa_user_sgpr_dispatch_id 0
		.amdhsa_user_sgpr_kernarg_preload_length 0
		.amdhsa_user_sgpr_kernarg_preload_offset 0
		.amdhsa_user_sgpr_private_segment_size 0
		.amdhsa_uses_dynamic_stack 0
		.amdhsa_enable_private_segment 0
		.amdhsa_system_sgpr_workgroup_id_x 1
		.amdhsa_system_sgpr_workgroup_id_y 0
		.amdhsa_system_sgpr_workgroup_id_z 0
		.amdhsa_system_sgpr_workgroup_info 0
		.amdhsa_system_vgpr_workitem_id 0
		.amdhsa_next_free_vgpr 1
		.amdhsa_next_free_sgpr 0
		.amdhsa_accum_offset 4
		.amdhsa_reserve_vcc 0
		.amdhsa_float_round_mode_32 0
		.amdhsa_float_round_mode_16_64 0
		.amdhsa_float_denorm_mode_32 3
		.amdhsa_float_denorm_mode_16_64 3
		.amdhsa_dx10_clamp 1
		.amdhsa_ieee_mode 1
		.amdhsa_fp16_overflow 0
		.amdhsa_tg_split 0
		.amdhsa_exception_fp_ieee_invalid_op 0
		.amdhsa_exception_fp_denorm_src 0
		.amdhsa_exception_fp_ieee_div_zero 0
		.amdhsa_exception_fp_ieee_overflow 0
		.amdhsa_exception_fp_ieee_underflow 0
		.amdhsa_exception_fp_ieee_inexact 0
		.amdhsa_exception_int_div_zero 0
	.end_amdhsa_kernel
	.section	.text._ZN7rocprim17ROCPRIM_400000_NS6detail17trampoline_kernelINS0_14default_configENS1_27scan_by_key_config_selectorIsiEEZZNS1_16scan_by_key_implILNS1_25lookback_scan_determinismE0ELb1ES3_N6thrust23THRUST_200600_302600_NS6detail15normal_iteratorINS9_10device_ptrIsEEEESE_SE_iNS9_4plusIvEENS9_8equal_toIvEEiEE10hipError_tPvRmT2_T3_T4_T5_mT6_T7_P12ihipStream_tbENKUlT_T0_E_clISt17integral_constantIbLb0EESY_IbLb1EEEEDaSU_SV_EUlSU_E_NS1_11comp_targetILNS1_3genE10ELNS1_11target_archE1201ELNS1_3gpuE5ELNS1_3repE0EEENS1_30default_config_static_selectorELNS0_4arch9wavefront6targetE1EEEvT1_,"axG",@progbits,_ZN7rocprim17ROCPRIM_400000_NS6detail17trampoline_kernelINS0_14default_configENS1_27scan_by_key_config_selectorIsiEEZZNS1_16scan_by_key_implILNS1_25lookback_scan_determinismE0ELb1ES3_N6thrust23THRUST_200600_302600_NS6detail15normal_iteratorINS9_10device_ptrIsEEEESE_SE_iNS9_4plusIvEENS9_8equal_toIvEEiEE10hipError_tPvRmT2_T3_T4_T5_mT6_T7_P12ihipStream_tbENKUlT_T0_E_clISt17integral_constantIbLb0EESY_IbLb1EEEEDaSU_SV_EUlSU_E_NS1_11comp_targetILNS1_3genE10ELNS1_11target_archE1201ELNS1_3gpuE5ELNS1_3repE0EEENS1_30default_config_static_selectorELNS0_4arch9wavefront6targetE1EEEvT1_,comdat
.Lfunc_end1073:
	.size	_ZN7rocprim17ROCPRIM_400000_NS6detail17trampoline_kernelINS0_14default_configENS1_27scan_by_key_config_selectorIsiEEZZNS1_16scan_by_key_implILNS1_25lookback_scan_determinismE0ELb1ES3_N6thrust23THRUST_200600_302600_NS6detail15normal_iteratorINS9_10device_ptrIsEEEESE_SE_iNS9_4plusIvEENS9_8equal_toIvEEiEE10hipError_tPvRmT2_T3_T4_T5_mT6_T7_P12ihipStream_tbENKUlT_T0_E_clISt17integral_constantIbLb0EESY_IbLb1EEEEDaSU_SV_EUlSU_E_NS1_11comp_targetILNS1_3genE10ELNS1_11target_archE1201ELNS1_3gpuE5ELNS1_3repE0EEENS1_30default_config_static_selectorELNS0_4arch9wavefront6targetE1EEEvT1_, .Lfunc_end1073-_ZN7rocprim17ROCPRIM_400000_NS6detail17trampoline_kernelINS0_14default_configENS1_27scan_by_key_config_selectorIsiEEZZNS1_16scan_by_key_implILNS1_25lookback_scan_determinismE0ELb1ES3_N6thrust23THRUST_200600_302600_NS6detail15normal_iteratorINS9_10device_ptrIsEEEESE_SE_iNS9_4plusIvEENS9_8equal_toIvEEiEE10hipError_tPvRmT2_T3_T4_T5_mT6_T7_P12ihipStream_tbENKUlT_T0_E_clISt17integral_constantIbLb0EESY_IbLb1EEEEDaSU_SV_EUlSU_E_NS1_11comp_targetILNS1_3genE10ELNS1_11target_archE1201ELNS1_3gpuE5ELNS1_3repE0EEENS1_30default_config_static_selectorELNS0_4arch9wavefront6targetE1EEEvT1_
                                        ; -- End function
	.section	.AMDGPU.csdata,"",@progbits
; Kernel info:
; codeLenInByte = 0
; NumSgprs: 6
; NumVgprs: 0
; NumAgprs: 0
; TotalNumVgprs: 0
; ScratchSize: 0
; MemoryBound: 0
; FloatMode: 240
; IeeeMode: 1
; LDSByteSize: 0 bytes/workgroup (compile time only)
; SGPRBlocks: 0
; VGPRBlocks: 0
; NumSGPRsForWavesPerEU: 6
; NumVGPRsForWavesPerEU: 1
; AccumOffset: 4
; Occupancy: 8
; WaveLimiterHint : 0
; COMPUTE_PGM_RSRC2:SCRATCH_EN: 0
; COMPUTE_PGM_RSRC2:USER_SGPR: 2
; COMPUTE_PGM_RSRC2:TRAP_HANDLER: 0
; COMPUTE_PGM_RSRC2:TGID_X_EN: 1
; COMPUTE_PGM_RSRC2:TGID_Y_EN: 0
; COMPUTE_PGM_RSRC2:TGID_Z_EN: 0
; COMPUTE_PGM_RSRC2:TIDIG_COMP_CNT: 0
; COMPUTE_PGM_RSRC3_GFX90A:ACCUM_OFFSET: 0
; COMPUTE_PGM_RSRC3_GFX90A:TG_SPLIT: 0
	.section	.text._ZN7rocprim17ROCPRIM_400000_NS6detail17trampoline_kernelINS0_14default_configENS1_27scan_by_key_config_selectorIsiEEZZNS1_16scan_by_key_implILNS1_25lookback_scan_determinismE0ELb1ES3_N6thrust23THRUST_200600_302600_NS6detail15normal_iteratorINS9_10device_ptrIsEEEESE_SE_iNS9_4plusIvEENS9_8equal_toIvEEiEE10hipError_tPvRmT2_T3_T4_T5_mT6_T7_P12ihipStream_tbENKUlT_T0_E_clISt17integral_constantIbLb0EESY_IbLb1EEEEDaSU_SV_EUlSU_E_NS1_11comp_targetILNS1_3genE5ELNS1_11target_archE942ELNS1_3gpuE9ELNS1_3repE0EEENS1_30default_config_static_selectorELNS0_4arch9wavefront6targetE1EEEvT1_,"axG",@progbits,_ZN7rocprim17ROCPRIM_400000_NS6detail17trampoline_kernelINS0_14default_configENS1_27scan_by_key_config_selectorIsiEEZZNS1_16scan_by_key_implILNS1_25lookback_scan_determinismE0ELb1ES3_N6thrust23THRUST_200600_302600_NS6detail15normal_iteratorINS9_10device_ptrIsEEEESE_SE_iNS9_4plusIvEENS9_8equal_toIvEEiEE10hipError_tPvRmT2_T3_T4_T5_mT6_T7_P12ihipStream_tbENKUlT_T0_E_clISt17integral_constantIbLb0EESY_IbLb1EEEEDaSU_SV_EUlSU_E_NS1_11comp_targetILNS1_3genE5ELNS1_11target_archE942ELNS1_3gpuE9ELNS1_3repE0EEENS1_30default_config_static_selectorELNS0_4arch9wavefront6targetE1EEEvT1_,comdat
	.protected	_ZN7rocprim17ROCPRIM_400000_NS6detail17trampoline_kernelINS0_14default_configENS1_27scan_by_key_config_selectorIsiEEZZNS1_16scan_by_key_implILNS1_25lookback_scan_determinismE0ELb1ES3_N6thrust23THRUST_200600_302600_NS6detail15normal_iteratorINS9_10device_ptrIsEEEESE_SE_iNS9_4plusIvEENS9_8equal_toIvEEiEE10hipError_tPvRmT2_T3_T4_T5_mT6_T7_P12ihipStream_tbENKUlT_T0_E_clISt17integral_constantIbLb0EESY_IbLb1EEEEDaSU_SV_EUlSU_E_NS1_11comp_targetILNS1_3genE5ELNS1_11target_archE942ELNS1_3gpuE9ELNS1_3repE0EEENS1_30default_config_static_selectorELNS0_4arch9wavefront6targetE1EEEvT1_ ; -- Begin function _ZN7rocprim17ROCPRIM_400000_NS6detail17trampoline_kernelINS0_14default_configENS1_27scan_by_key_config_selectorIsiEEZZNS1_16scan_by_key_implILNS1_25lookback_scan_determinismE0ELb1ES3_N6thrust23THRUST_200600_302600_NS6detail15normal_iteratorINS9_10device_ptrIsEEEESE_SE_iNS9_4plusIvEENS9_8equal_toIvEEiEE10hipError_tPvRmT2_T3_T4_T5_mT6_T7_P12ihipStream_tbENKUlT_T0_E_clISt17integral_constantIbLb0EESY_IbLb1EEEEDaSU_SV_EUlSU_E_NS1_11comp_targetILNS1_3genE5ELNS1_11target_archE942ELNS1_3gpuE9ELNS1_3repE0EEENS1_30default_config_static_selectorELNS0_4arch9wavefront6targetE1EEEvT1_
	.globl	_ZN7rocprim17ROCPRIM_400000_NS6detail17trampoline_kernelINS0_14default_configENS1_27scan_by_key_config_selectorIsiEEZZNS1_16scan_by_key_implILNS1_25lookback_scan_determinismE0ELb1ES3_N6thrust23THRUST_200600_302600_NS6detail15normal_iteratorINS9_10device_ptrIsEEEESE_SE_iNS9_4plusIvEENS9_8equal_toIvEEiEE10hipError_tPvRmT2_T3_T4_T5_mT6_T7_P12ihipStream_tbENKUlT_T0_E_clISt17integral_constantIbLb0EESY_IbLb1EEEEDaSU_SV_EUlSU_E_NS1_11comp_targetILNS1_3genE5ELNS1_11target_archE942ELNS1_3gpuE9ELNS1_3repE0EEENS1_30default_config_static_selectorELNS0_4arch9wavefront6targetE1EEEvT1_
	.p2align	8
	.type	_ZN7rocprim17ROCPRIM_400000_NS6detail17trampoline_kernelINS0_14default_configENS1_27scan_by_key_config_selectorIsiEEZZNS1_16scan_by_key_implILNS1_25lookback_scan_determinismE0ELb1ES3_N6thrust23THRUST_200600_302600_NS6detail15normal_iteratorINS9_10device_ptrIsEEEESE_SE_iNS9_4plusIvEENS9_8equal_toIvEEiEE10hipError_tPvRmT2_T3_T4_T5_mT6_T7_P12ihipStream_tbENKUlT_T0_E_clISt17integral_constantIbLb0EESY_IbLb1EEEEDaSU_SV_EUlSU_E_NS1_11comp_targetILNS1_3genE5ELNS1_11target_archE942ELNS1_3gpuE9ELNS1_3repE0EEENS1_30default_config_static_selectorELNS0_4arch9wavefront6targetE1EEEvT1_,@function
_ZN7rocprim17ROCPRIM_400000_NS6detail17trampoline_kernelINS0_14default_configENS1_27scan_by_key_config_selectorIsiEEZZNS1_16scan_by_key_implILNS1_25lookback_scan_determinismE0ELb1ES3_N6thrust23THRUST_200600_302600_NS6detail15normal_iteratorINS9_10device_ptrIsEEEESE_SE_iNS9_4plusIvEENS9_8equal_toIvEEiEE10hipError_tPvRmT2_T3_T4_T5_mT6_T7_P12ihipStream_tbENKUlT_T0_E_clISt17integral_constantIbLb0EESY_IbLb1EEEEDaSU_SV_EUlSU_E_NS1_11comp_targetILNS1_3genE5ELNS1_11target_archE942ELNS1_3gpuE9ELNS1_3repE0EEENS1_30default_config_static_selectorELNS0_4arch9wavefront6targetE1EEEvT1_: ; @_ZN7rocprim17ROCPRIM_400000_NS6detail17trampoline_kernelINS0_14default_configENS1_27scan_by_key_config_selectorIsiEEZZNS1_16scan_by_key_implILNS1_25lookback_scan_determinismE0ELb1ES3_N6thrust23THRUST_200600_302600_NS6detail15normal_iteratorINS9_10device_ptrIsEEEESE_SE_iNS9_4plusIvEENS9_8equal_toIvEEiEE10hipError_tPvRmT2_T3_T4_T5_mT6_T7_P12ihipStream_tbENKUlT_T0_E_clISt17integral_constantIbLb0EESY_IbLb1EEEEDaSU_SV_EUlSU_E_NS1_11comp_targetILNS1_3genE5ELNS1_11target_archE942ELNS1_3gpuE9ELNS1_3repE0EEENS1_30default_config_static_selectorELNS0_4arch9wavefront6targetE1EEEvT1_
; %bb.0:
	s_load_dword s66, s[0:1], 0x20
	s_load_dwordx4 s[56:59], s[0:1], 0x28
	s_load_dwordx2 s[64:65], s[0:1], 0x38
	v_cmp_eq_u32_e64 s[46:47], 0, v0
	s_and_saveexec_b64 s[2:3], s[46:47]
	s_cbranch_execz .LBB1074_4
; %bb.1:
	s_mov_b64 s[6:7], exec
	v_mbcnt_lo_u32_b32 v1, s6, 0
	v_mbcnt_hi_u32_b32 v1, s7, v1
	v_cmp_eq_u32_e32 vcc, 0, v1
                                        ; implicit-def: $vgpr2
	s_and_saveexec_b64 s[4:5], vcc
	s_cbranch_execz .LBB1074_3
; %bb.2:
	s_load_dwordx2 s[8:9], s[0:1], 0x68
	s_bcnt1_i32_b64 s6, s[6:7]
	v_mov_b32_e32 v2, 0
	v_mov_b32_e32 v3, s6
	s_waitcnt lgkmcnt(0)
	global_atomic_add v2, v2, v3, s[8:9] sc0
.LBB1074_3:
	s_or_b64 exec, exec, s[4:5]
	s_waitcnt vmcnt(0)
	v_readfirstlane_b32 s4, v2
	v_mov_b32_e32 v2, 0
	s_nop 0
	v_add_u32_e32 v1, s4, v1
	ds_write_b32 v2, v1
.LBB1074_4:
	s_or_b64 exec, exec, s[2:3]
	s_load_dwordx8 s[48:55], s[0:1], 0x0
	s_load_dword s2, s[0:1], 0x40
	s_load_dwordx4 s[60:63], s[0:1], 0x48
	v_mov_b32_e32 v3, 0
	s_waitcnt lgkmcnt(0)
	s_lshl_b64 s[50:51], s[50:51], 1
	s_barrier
	ds_read_b32 v2, v3
	s_add_u32 s0, s48, s50
	s_addc_u32 s1, s49, s51
	s_add_u32 s4, s52, s50
	s_mul_i32 s3, s65, s2
	s_mul_hi_u32 s6, s64, s2
	s_addc_u32 s5, s53, s51
	s_add_i32 s3, s6, s3
	s_movk_i32 s6, 0x1500
	s_waitcnt lgkmcnt(0)
	v_mul_lo_u32 v4, v2, s6
	v_mov_b32_e32 v5, v3
	v_lshlrev_b64 v[42:43], 1, v[4:5]
	s_mul_i32 s2, s64, s2
	v_lshl_add_u64 v[52:53], s[4:5], 0, v[42:43]
	s_add_u32 s4, s60, -1
	v_readfirstlane_b32 s59, v2
	v_lshl_add_u64 v[2:3], s[2:3], 0, v[2:3]
	s_addc_u32 s5, s61, -1
	v_cmp_le_u64_e64 s[2:3], s[4:5], v[2:3]
	v_lshl_add_u64 v[54:55], s[0:1], 0, v[42:43]
	s_mov_b64 s[0:1], -1
	s_and_b64 vcc, exec, s[2:3]
	s_mul_i32 s33, s4, 0xffffeb00
	s_barrier
	s_barrier
	s_cbranch_vccz .LBB1074_69
; %bb.5:
	flat_load_ushort v1, v[54:55]
	s_add_i32 s60, s33, s58
	v_cmp_gt_u32_e32 vcc, s60, v0
	s_waitcnt vmcnt(0) lgkmcnt(0)
	v_mov_b32_e32 v29, v1
	s_and_saveexec_b64 s[0:1], vcc
	s_cbranch_execz .LBB1074_7
; %bb.6:
	v_lshlrev_b32_e32 v2, 1, v0
	v_mov_b32_e32 v3, 0
	v_lshl_add_u64 v[2:3], v[54:55], 0, v[2:3]
	flat_load_ushort v29, v[2:3]
.LBB1074_7:
	s_or_b64 exec, exec, s[0:1]
	v_or_b32_e32 v2, 0x100, v0
	v_cmp_gt_u32_e64 s[4:5], s60, v2
	v_mov_b32_e32 v30, v1
	s_and_saveexec_b64 s[0:1], s[4:5]
	s_cbranch_execz .LBB1074_9
; %bb.8:
	v_lshlrev_b32_e32 v2, 1, v0
	v_mov_b32_e32 v3, 0
	v_lshl_add_u64 v[2:3], v[54:55], 0, v[2:3]
	flat_load_ushort v30, v[2:3] offset:512
.LBB1074_9:
	s_or_b64 exec, exec, s[0:1]
	v_or_b32_e32 v2, 0x200, v0
	v_cmp_gt_u32_e64 s[6:7], s60, v2
	v_mov_b32_e32 v31, v1
	s_and_saveexec_b64 s[0:1], s[6:7]
	s_cbranch_execz .LBB1074_11
; %bb.10:
	v_lshlrev_b32_e32 v2, 1, v0
	v_mov_b32_e32 v3, 0
	v_lshl_add_u64 v[2:3], v[54:55], 0, v[2:3]
	flat_load_ushort v31, v[2:3] offset:1024
.LBB1074_11:
	;; [unrolled: 12-line block ×7, first 2 shown]
	s_or_b64 exec, exec, s[0:1]
	v_or_b32_e32 v2, 0x800, v0
	v_cmp_gt_u32_e64 s[18:19], s60, v2
	v_lshlrev_b32_e32 v2, 1, v2
	v_mov_b32_e32 v3, v1
	s_and_saveexec_b64 s[0:1], s[18:19]
	s_cbranch_execz .LBB1074_23
; %bb.22:
	v_mov_b32_e32 v3, 0
	v_lshl_add_u64 v[4:5], v[54:55], 0, v[2:3]
	flat_load_ushort v3, v[4:5]
.LBB1074_23:
	s_or_b64 exec, exec, s[0:1]
	v_or_b32_e32 v4, 0x900, v0
	v_cmp_gt_u32_e64 s[20:21], s60, v4
	v_lshlrev_b32_e32 v4, 1, v4
	v_mov_b32_e32 v5, v1
	s_and_saveexec_b64 s[0:1], s[20:21]
	s_cbranch_execz .LBB1074_25
; %bb.24:
	v_mov_b32_e32 v5, 0
	v_lshl_add_u64 v[6:7], v[54:55], 0, v[4:5]
	flat_load_ushort v5, v[6:7]
.LBB1074_25:
	;; [unrolled: 12-line block ×12, first 2 shown]
	s_or_b64 exec, exec, s[0:1]
	v_or_b32_e32 v26, 0x1400, v0
	v_cmp_gt_u32_e64 s[44:45], s60, v26
	v_mov_b32_e32 v27, 0
	v_lshlrev_b32_e32 v26, 1, v26
	s_and_saveexec_b64 s[0:1], s[44:45]
	s_cbranch_execz .LBB1074_47
; %bb.46:
	v_lshl_add_u64 v[38:39], v[54:55], 0, v[26:27]
	flat_load_ushort v1, v[38:39]
.LBB1074_47:
	s_or_b64 exec, exec, s[0:1]
	v_lshlrev_b32_e32 v28, 1, v0
	s_waitcnt vmcnt(0) lgkmcnt(0)
	ds_write_b16 v28, v29
	ds_write_b16 v28, v30 offset:512
	ds_write_b16 v28, v31 offset:1024
	;; [unrolled: 1-line block ×20, first 2 shown]
	s_waitcnt lgkmcnt(0)
	s_barrier
	flat_load_ushort v1, v[54:55]
	v_mad_u32_u24 v3, v0, 40, v28
	s_movk_i32 s0, 0xffd8
	ds_read_u16 v59, v3
	ds_read_b128 v[38:41], v3 offset:2
	ds_read_b128 v[34:37], v3 offset:18
	ds_read_b64 v[56:57], v3 offset:34
	v_mad_i32_i24 v30, v0, s0, v3
	s_movk_i32 s0, 0xff
	v_cmp_ne_u32_e64 s[0:1], s0, v0
	s_waitcnt lgkmcnt(0)
	ds_write_b16 v30, v59 offset:11264
	s_waitcnt lgkmcnt(0)
	s_barrier
	s_and_saveexec_b64 s[48:49], s[0:1]
	s_cbranch_execz .LBB1074_49
; %bb.48:
	s_waitcnt vmcnt(0)
	ds_read_u16 v1, v28 offset:11266
.LBB1074_49:
	s_or_b64 exec, exec, s[48:49]
	v_mov_b32_e32 v29, 0
	s_waitcnt lgkmcnt(0)
	s_barrier
	s_waitcnt lgkmcnt(0)
                                        ; implicit-def: $vgpr31
	s_and_saveexec_b64 s[0:1], vcc
	s_cbranch_execz .LBB1074_70
; %bb.50:
	v_lshl_add_u64 v[32:33], v[52:53], 0, v[28:29]
	flat_load_sshort v31, v[32:33]
	s_or_b64 exec, exec, s[0:1]
                                        ; implicit-def: $vgpr32
	s_and_saveexec_b64 s[0:1], s[4:5]
	s_cbranch_execnz .LBB1074_71
.LBB1074_51:
	s_or_b64 exec, exec, s[0:1]
                                        ; implicit-def: $vgpr33
	s_and_saveexec_b64 s[0:1], s[6:7]
	s_cbranch_execz .LBB1074_72
.LBB1074_52:
	v_mov_b32_e32 v29, 0
	v_lshl_add_u64 v[44:45], v[52:53], 0, v[28:29]
	flat_load_sshort v33, v[44:45] offset:1024
	s_or_b64 exec, exec, s[0:1]
                                        ; implicit-def: $vgpr44
	s_and_saveexec_b64 s[0:1], s[8:9]
	s_cbranch_execnz .LBB1074_73
.LBB1074_53:
	s_or_b64 exec, exec, s[0:1]
                                        ; implicit-def: $vgpr45
	s_and_saveexec_b64 s[0:1], s[10:11]
	s_cbranch_execz .LBB1074_74
.LBB1074_54:
	v_mov_b32_e32 v29, 0
	v_lshl_add_u64 v[46:47], v[52:53], 0, v[28:29]
	flat_load_sshort v45, v[46:47] offset:2048
	s_or_b64 exec, exec, s[0:1]
                                        ; implicit-def: $vgpr46
	s_and_saveexec_b64 s[0:1], s[12:13]
	s_cbranch_execnz .LBB1074_75
.LBB1074_55:
	s_or_b64 exec, exec, s[0:1]
                                        ; implicit-def: $vgpr47
	s_and_saveexec_b64 s[0:1], s[14:15]
	s_cbranch_execz .LBB1074_76
.LBB1074_56:
	v_mov_b32_e32 v29, 0
	v_lshl_add_u64 v[48:49], v[52:53], 0, v[28:29]
	flat_load_sshort v47, v[48:49] offset:3072
	s_or_b64 exec, exec, s[0:1]
                                        ; implicit-def: $vgpr29
	s_and_saveexec_b64 s[0:1], s[16:17]
	s_cbranch_execnz .LBB1074_77
.LBB1074_57:
	s_or_b64 exec, exec, s[0:1]
                                        ; implicit-def: $vgpr3
	s_and_saveexec_b64 s[0:1], s[18:19]
	s_cbranch_execz .LBB1074_78
.LBB1074_58:
	v_mov_b32_e32 v3, 0
	v_lshl_add_u64 v[2:3], v[52:53], 0, v[2:3]
	flat_load_sshort v3, v[2:3]
	s_or_b64 exec, exec, s[0:1]
                                        ; implicit-def: $vgpr2
	s_and_saveexec_b64 s[0:1], s[20:21]
	s_cbranch_execnz .LBB1074_79
.LBB1074_59:
	s_or_b64 exec, exec, s[0:1]
                                        ; implicit-def: $vgpr4
	s_and_saveexec_b64 s[0:1], s[22:23]
	s_cbranch_execz .LBB1074_80
.LBB1074_60:
	v_mov_b32_e32 v7, 0
	v_lshl_add_u64 v[4:5], v[52:53], 0, v[6:7]
	flat_load_sshort v4, v[4:5]
	s_or_b64 exec, exec, s[0:1]
                                        ; implicit-def: $vgpr5
	s_and_saveexec_b64 s[0:1], s[24:25]
	s_cbranch_execnz .LBB1074_81
.LBB1074_61:
	s_or_b64 exec, exec, s[0:1]
                                        ; implicit-def: $vgpr6
	s_and_saveexec_b64 s[0:1], s[26:27]
	s_cbranch_execz .LBB1074_82
.LBB1074_62:
	v_mov_b32_e32 v11, 0
	v_lshl_add_u64 v[6:7], v[52:53], 0, v[10:11]
	flat_load_sshort v6, v[6:7]
	s_or_b64 exec, exec, s[0:1]
                                        ; implicit-def: $vgpr7
	s_and_saveexec_b64 s[0:1], s[28:29]
	s_cbranch_execnz .LBB1074_83
.LBB1074_63:
	s_or_b64 exec, exec, s[0:1]
                                        ; implicit-def: $vgpr8
	s_and_saveexec_b64 s[0:1], s[30:31]
	s_cbranch_execz .LBB1074_84
.LBB1074_64:
	v_mov_b32_e32 v15, 0
	v_lshl_add_u64 v[8:9], v[52:53], 0, v[14:15]
	flat_load_sshort v8, v[8:9]
	s_or_b64 exec, exec, s[0:1]
                                        ; implicit-def: $vgpr9
	s_and_saveexec_b64 s[0:1], s[34:35]
	s_cbranch_execnz .LBB1074_85
.LBB1074_65:
	s_or_b64 exec, exec, s[0:1]
                                        ; implicit-def: $vgpr10
	s_and_saveexec_b64 s[0:1], s[36:37]
	s_cbranch_execz .LBB1074_86
.LBB1074_66:
	v_mov_b32_e32 v19, 0
	v_lshl_add_u64 v[10:11], v[52:53], 0, v[18:19]
	flat_load_sshort v10, v[10:11]
	s_or_b64 exec, exec, s[0:1]
                                        ; implicit-def: $vgpr11
	s_and_saveexec_b64 s[0:1], s[38:39]
	s_cbranch_execnz .LBB1074_87
.LBB1074_67:
	s_or_b64 exec, exec, s[0:1]
                                        ; implicit-def: $vgpr12
	s_and_saveexec_b64 s[0:1], s[40:41]
	s_cbranch_execz .LBB1074_88
.LBB1074_68:
	v_mov_b32_e32 v23, 0
	v_lshl_add_u64 v[12:13], v[52:53], 0, v[22:23]
	flat_load_sshort v12, v[12:13]
	s_or_b64 exec, exec, s[0:1]
                                        ; implicit-def: $vgpr13
	s_and_saveexec_b64 s[0:1], s[42:43]
	s_cbranch_execz .LBB1074_90
	s_branch .LBB1074_89
.LBB1074_69:
	s_mov_b64 s[16:17], 0
                                        ; implicit-def: $sgpr14_sgpr15
                                        ; implicit-def: $vgpr2_vgpr3_vgpr4_vgpr5_vgpr6_vgpr7_vgpr8_vgpr9
                                        ; implicit-def: $vgpr10_vgpr11_vgpr12_vgpr13_vgpr14_vgpr15_vgpr16_vgpr17
                                        ; implicit-def: $vgpr18_vgpr19_vgpr20_vgpr21_vgpr22_vgpr23_vgpr24_vgpr25
                                        ; implicit-def: $vgpr26_vgpr27_vgpr28_vgpr29_vgpr30_vgpr31_vgpr32_vgpr33
                                        ; implicit-def: $vgpr58
                                        ; implicit-def: $vgpr44_vgpr45
                                        ; implicit-def: $vgpr46_vgpr47
                                        ; implicit-def: $vgpr48_vgpr49
                                        ; implicit-def: $vgpr50_vgpr51
                                        ; implicit-def: $sgpr4_sgpr5
	s_and_b64 vcc, exec, s[0:1]
	v_lshlrev_b32_e32 v56, 1, v0
	s_cbranch_vccz .LBB1074_140
	s_branch .LBB1074_135
.LBB1074_70:
	s_or_b64 exec, exec, s[0:1]
                                        ; implicit-def: $vgpr32
	s_and_saveexec_b64 s[0:1], s[4:5]
	s_cbranch_execz .LBB1074_51
.LBB1074_71:
	v_mov_b32_e32 v29, 0
	v_lshl_add_u64 v[32:33], v[52:53], 0, v[28:29]
	flat_load_sshort v32, v[32:33] offset:512
	s_or_b64 exec, exec, s[0:1]
                                        ; implicit-def: $vgpr33
	s_and_saveexec_b64 s[0:1], s[6:7]
	s_cbranch_execnz .LBB1074_52
.LBB1074_72:
	s_or_b64 exec, exec, s[0:1]
                                        ; implicit-def: $vgpr44
	s_and_saveexec_b64 s[0:1], s[8:9]
	s_cbranch_execz .LBB1074_53
.LBB1074_73:
	v_mov_b32_e32 v29, 0
	v_lshl_add_u64 v[44:45], v[52:53], 0, v[28:29]
	flat_load_sshort v44, v[44:45] offset:1536
	s_or_b64 exec, exec, s[0:1]
                                        ; implicit-def: $vgpr45
	s_and_saveexec_b64 s[0:1], s[10:11]
	s_cbranch_execnz .LBB1074_54
.LBB1074_74:
	s_or_b64 exec, exec, s[0:1]
                                        ; implicit-def: $vgpr46
	s_and_saveexec_b64 s[0:1], s[12:13]
	s_cbranch_execz .LBB1074_55
.LBB1074_75:
	v_mov_b32_e32 v29, 0
	v_lshl_add_u64 v[46:47], v[52:53], 0, v[28:29]
	flat_load_sshort v46, v[46:47] offset:2560
	s_or_b64 exec, exec, s[0:1]
                                        ; implicit-def: $vgpr47
	s_and_saveexec_b64 s[0:1], s[14:15]
	s_cbranch_execnz .LBB1074_56
.LBB1074_76:
	s_or_b64 exec, exec, s[0:1]
                                        ; implicit-def: $vgpr29
	s_and_saveexec_b64 s[0:1], s[16:17]
	s_cbranch_execz .LBB1074_57
.LBB1074_77:
	v_mov_b32_e32 v29, 0
	v_lshl_add_u64 v[28:29], v[52:53], 0, v[28:29]
	flat_load_sshort v29, v[28:29] offset:3584
	s_or_b64 exec, exec, s[0:1]
                                        ; implicit-def: $vgpr3
	s_and_saveexec_b64 s[0:1], s[18:19]
	s_cbranch_execnz .LBB1074_58
.LBB1074_78:
	s_or_b64 exec, exec, s[0:1]
                                        ; implicit-def: $vgpr2
	s_and_saveexec_b64 s[0:1], s[20:21]
	s_cbranch_execz .LBB1074_59
.LBB1074_79:
	v_mov_b32_e32 v5, 0
	v_lshl_add_u64 v[4:5], v[52:53], 0, v[4:5]
	flat_load_sshort v2, v[4:5]
	s_or_b64 exec, exec, s[0:1]
                                        ; implicit-def: $vgpr4
	s_and_saveexec_b64 s[0:1], s[22:23]
	s_cbranch_execnz .LBB1074_60
.LBB1074_80:
	s_or_b64 exec, exec, s[0:1]
                                        ; implicit-def: $vgpr5
	s_and_saveexec_b64 s[0:1], s[24:25]
	s_cbranch_execz .LBB1074_61
.LBB1074_81:
	v_mov_b32_e32 v9, 0
	v_lshl_add_u64 v[6:7], v[52:53], 0, v[8:9]
	flat_load_sshort v5, v[6:7]
	s_or_b64 exec, exec, s[0:1]
                                        ; implicit-def: $vgpr6
	s_and_saveexec_b64 s[0:1], s[26:27]
	s_cbranch_execnz .LBB1074_62
.LBB1074_82:
	s_or_b64 exec, exec, s[0:1]
                                        ; implicit-def: $vgpr7
	s_and_saveexec_b64 s[0:1], s[28:29]
	s_cbranch_execz .LBB1074_63
.LBB1074_83:
	v_mov_b32_e32 v13, 0
	v_lshl_add_u64 v[8:9], v[52:53], 0, v[12:13]
	flat_load_sshort v7, v[8:9]
	s_or_b64 exec, exec, s[0:1]
                                        ; implicit-def: $vgpr8
	s_and_saveexec_b64 s[0:1], s[30:31]
	s_cbranch_execnz .LBB1074_64
.LBB1074_84:
	s_or_b64 exec, exec, s[0:1]
                                        ; implicit-def: $vgpr9
	s_and_saveexec_b64 s[0:1], s[34:35]
	s_cbranch_execz .LBB1074_65
.LBB1074_85:
	v_mov_b32_e32 v17, 0
	v_lshl_add_u64 v[10:11], v[52:53], 0, v[16:17]
	flat_load_sshort v9, v[10:11]
	s_or_b64 exec, exec, s[0:1]
                                        ; implicit-def: $vgpr10
	s_and_saveexec_b64 s[0:1], s[36:37]
	s_cbranch_execnz .LBB1074_66
.LBB1074_86:
	s_or_b64 exec, exec, s[0:1]
                                        ; implicit-def: $vgpr11
	s_and_saveexec_b64 s[0:1], s[38:39]
	s_cbranch_execz .LBB1074_67
.LBB1074_87:
	v_mov_b32_e32 v21, 0
	v_lshl_add_u64 v[12:13], v[52:53], 0, v[20:21]
	flat_load_sshort v11, v[12:13]
	s_or_b64 exec, exec, s[0:1]
                                        ; implicit-def: $vgpr12
	s_and_saveexec_b64 s[0:1], s[40:41]
	s_cbranch_execnz .LBB1074_68
.LBB1074_88:
	s_or_b64 exec, exec, s[0:1]
                                        ; implicit-def: $vgpr13
	s_and_saveexec_b64 s[0:1], s[42:43]
	s_cbranch_execz .LBB1074_90
.LBB1074_89:
	v_mov_b32_e32 v25, 0
	v_lshl_add_u64 v[14:15], v[52:53], 0, v[24:25]
	flat_load_sshort v13, v[14:15]
.LBB1074_90:
	s_or_b64 exec, exec, s[0:1]
	v_mul_u32_u24_e32 v60, 21, v0
                                        ; implicit-def: $vgpr14
	s_and_saveexec_b64 s[0:1], s[44:45]
	s_cbranch_execz .LBB1074_92
; %bb.91:
	v_mov_b32_e32 v27, 0
	v_lshl_add_u64 v[14:15], v[52:53], 0, v[26:27]
	flat_load_sshort v14, v[14:15]
.LBB1074_92:
	s_or_b64 exec, exec, s[0:1]
	s_mov_b32 s4, 0
	v_lshl_add_u32 v61, v0, 1, v30
	s_mov_b32 s5, s4
	s_waitcnt vmcnt(0) lgkmcnt(0)
	ds_write2st64_b32 v61, v31, v32 offset1:4
	ds_write2st64_b32 v61, v33, v44 offset0:8 offset1:12
	ds_write2st64_b32 v61, v45, v46 offset0:16 offset1:20
	;; [unrolled: 1-line block ×9, first 2 shown]
	ds_write_b32 v61, v14 offset:20480
	s_mov_b32 s6, s4
	s_mov_b32 s7, s4
	s_mov_b32 s8, s4
	s_mov_b32 s9, s4
	s_mov_b32 s10, s4
	s_mov_b32 s11, s4
	v_mov_b64_e32 v[2:3], s[4:5]
	v_mov_b64_e32 v[8:9], s[10:11]
	;; [unrolled: 1-line block ×8, first 2 shown]
	v_cmp_gt_u32_e32 vcc, s60, v60
	s_mov_b64 s[16:17], 0
	s_mov_b64 s[0:1], 0
	v_mov_b64_e32 v[14:15], v[6:7]
	v_mov_b64_e32 v[12:13], v[4:5]
	;; [unrolled: 1-line block ×12, first 2 shown]
	s_waitcnt lgkmcnt(0)
	s_barrier
	s_waitcnt lgkmcnt(0)
                                        ; implicit-def: $sgpr14_sgpr15
                                        ; implicit-def: $vgpr58
	s_and_saveexec_b64 s[12:13], vcc
	s_cbranch_execz .LBB1074_134
; %bb.93:
	s_movk_i32 s14, 0x50
	v_mad_u32_u24 v2, v0, s14, v61
	ds_read_b32 v2, v2
	v_mov_b32_e32 v4, s66
	v_cmp_eq_u16_e32 vcc, v59, v38
	v_add_u32_e32 v3, 1, v60
	v_mov_b64_e32 v[46:47], 0
	s_waitcnt lgkmcnt(0)
	v_cndmask_b32_e32 v44, v4, v2, vcc
	v_cmp_ne_u16_e32 vcc, v59, v38
	s_mov_b64 s[18:19], 0
	v_mov_b64_e32 v[48:49], v[46:47]
	v_cndmask_b32_e64 v45, 0, 1, vcc
	v_cmp_gt_u32_e32 vcc, s60, v3
	v_mov_b64_e32 v[2:3], s[4:5]
	v_mov_b64_e32 v[8:9], s[10:11]
	;; [unrolled: 1-line block ×17, first 2 shown]
                                        ; implicit-def: $sgpr4_sgpr5
                                        ; implicit-def: $vgpr58
	s_and_saveexec_b64 s[14:15], vcc
	s_cbranch_execz .LBB1074_133
; %bb.94:
	v_mul_u32_u24_e32 v2, 0x50, v0
	v_add_u32_e32 v61, v61, v2
	ds_read2_b32 v[58:59], v61 offset0:1 offset1:2
	v_cmp_ne_u16_sdwa s[4:5], v38, v38 src0_sel:DWORD src1_sel:WORD_1
	v_add_u32_e32 v2, 2, v60
	v_mov_b32_e32 v3, s66
	v_cndmask_b32_e64 v9, 0, 1, s[4:5]
	s_mov_b32 s4, 0
	s_mov_b32 s10, s4
	;; [unrolled: 1-line block ×3, first 2 shown]
	v_cmp_eq_u16_sdwa vcc, v38, v38 src0_sel:DWORD src1_sel:WORD_1
	s_mov_b32 s5, s4
	s_mov_b32 s6, s4
	;; [unrolled: 1-line block ×5, first 2 shown]
	v_mov_b64_e32 v[16:17], s[10:11]
	s_waitcnt lgkmcnt(0)
	v_cndmask_b32_e32 v8, v3, v58, vcc
	v_cmp_gt_u32_e32 vcc, s60, v2
	v_mov_b32_e32 v2, 0
	v_mov_b64_e32 v[14:15], s[8:9]
	v_mov_b64_e32 v[12:13], s[6:7]
	;; [unrolled: 1-line block ×6, first 2 shown]
	v_mov_b32_e32 v3, v2
	v_mov_b32_e32 v4, v2
	;; [unrolled: 1-line block ×5, first 2 shown]
	s_mov_b64 s[20:21], 0
	v_mov_b64_e32 v[22:23], v[14:15]
	v_mov_b64_e32 v[20:21], v[12:13]
	;; [unrolled: 1-line block ×8, first 2 shown]
                                        ; implicit-def: $sgpr22_sgpr23
                                        ; implicit-def: $vgpr58
	s_and_saveexec_b64 s[16:17], vcc
	s_cbranch_execz .LBB1074_132
; %bb.95:
	v_mov_b64_e32 v[16:17], s[10:11]
	v_add_u32_e32 v3, 3, v60
	v_mov_b32_e32 v4, s66
	v_cmp_eq_u16_sdwa vcc, v38, v39 src0_sel:WORD_1 src1_sel:DWORD
	v_cmp_ne_u16_sdwa s[18:19], v38, v39 src0_sel:WORD_1 src1_sel:DWORD
	v_mov_b64_e32 v[14:15], s[8:9]
	v_mov_b64_e32 v[12:13], s[6:7]
	;; [unrolled: 1-line block ×6, first 2 shown]
	v_cndmask_b32_e32 v6, v4, v59, vcc
	v_cndmask_b32_e64 v7, 0, 1, s[18:19]
	v_cmp_gt_u32_e32 vcc, s60, v3
	v_mov_b32_e32 v3, v2
	v_mov_b32_e32 v4, v2
	;; [unrolled: 1-line block ×3, first 2 shown]
	s_mov_b64 s[22:23], 0
	v_mov_b64_e32 v[22:23], v[14:15]
	v_mov_b64_e32 v[20:21], v[12:13]
	v_mov_b64_e32 v[18:19], v[10:11]
	v_mov_b64_e32 v[30:31], v[14:15]
	v_mov_b64_e32 v[28:29], v[12:13]
	v_mov_b64_e32 v[26:27], v[10:11]
	v_mov_b64_e32 v[48:49], v[46:47]
	v_mov_b64_e32 v[50:51], v[46:47]
                                        ; implicit-def: $sgpr4_sgpr5
                                        ; implicit-def: $vgpr58
	s_and_saveexec_b64 s[18:19], vcc
	s_cbranch_execz .LBB1074_131
; %bb.96:
	ds_read2_b32 v[58:59], v61 offset0:3 offset1:4
	v_cmp_ne_u16_sdwa s[4:5], v39, v39 src0_sel:DWORD src1_sel:WORD_1
	v_add_u32_e32 v2, 4, v60
	v_mov_b32_e32 v3, s66
	v_cndmask_b32_e64 v5, 0, 1, s[4:5]
	s_mov_b32 s4, 0
	s_mov_b32 s10, s4
	;; [unrolled: 1-line block ×8, first 2 shown]
	v_mov_b64_e32 v[16:17], s[10:11]
	v_cmp_eq_u16_sdwa vcc, v39, v39 src0_sel:DWORD src1_sel:WORD_1
	v_mov_b64_e32 v[14:15], s[8:9]
	v_mov_b64_e32 v[12:13], s[6:7]
	;; [unrolled: 1-line block ×6, first 2 shown]
	s_waitcnt lgkmcnt(0)
	v_cndmask_b32_e32 v4, v3, v58, vcc
	v_cmp_gt_u32_e32 vcc, s60, v2
	v_mov_b32_e32 v2, s4
	v_mov_b32_e32 v3, s4
	s_mov_b64 s[24:25], 0
	v_mov_b64_e32 v[22:23], v[14:15]
	v_mov_b64_e32 v[20:21], v[12:13]
	v_mov_b64_e32 v[18:19], v[10:11]
	v_mov_b64_e32 v[30:31], v[14:15]
	v_mov_b64_e32 v[28:29], v[12:13]
	v_mov_b64_e32 v[26:27], v[10:11]
	v_mov_b64_e32 v[48:49], v[46:47]
	v_mov_b64_e32 v[50:51], v[46:47]
                                        ; implicit-def: $sgpr26_sgpr27
                                        ; implicit-def: $vgpr58
	s_and_saveexec_b64 s[20:21], vcc
	s_cbranch_execz .LBB1074_130
; %bb.97:
	v_add_u32_e32 v10, 5, v60
	v_mov_b32_e32 v2, s66
	v_cmp_eq_u16_sdwa vcc, v39, v40 src0_sel:WORD_1 src1_sel:DWORD
	v_cmp_ne_u16_sdwa s[22:23], v39, v40 src0_sel:WORD_1 src1_sel:DWORD
	v_mov_b64_e32 v[46:47], 0
	v_cndmask_b32_e32 v2, v2, v59, vcc
	v_cmp_gt_u32_e32 vcc, s60, v10
	v_mov_b64_e32 v[16:17], s[10:11]
	v_mov_b64_e32 v[14:15], s[8:9]
	;; [unrolled: 1-line block ×6, first 2 shown]
	v_cndmask_b32_e64 v3, 0, 1, s[22:23]
	s_mov_b64 s[26:27], 0
	v_mov_b64_e32 v[22:23], v[14:15]
	v_mov_b64_e32 v[20:21], v[12:13]
	;; [unrolled: 1-line block ×8, first 2 shown]
                                        ; implicit-def: $sgpr4_sgpr5
                                        ; implicit-def: $vgpr58
	s_and_saveexec_b64 s[22:23], vcc
	s_cbranch_execz .LBB1074_129
; %bb.98:
	ds_read2_b32 v[38:39], v61 offset0:5 offset1:6
	v_cmp_ne_u16_sdwa s[4:5], v40, v40 src0_sel:DWORD src1_sel:WORD_1
	v_add_u32_e32 v10, 6, v60
	v_mov_b32_e32 v11, s66
	v_cndmask_b32_e64 v47, 0, 1, s[4:5]
	s_mov_b32 s4, 0
	v_cmp_eq_u16_sdwa vcc, v40, v40 src0_sel:DWORD src1_sel:WORD_1
	s_mov_b32 s10, s4
	s_mov_b32 s11, s4
	s_waitcnt lgkmcnt(0)
	v_cndmask_b32_e32 v46, v11, v38, vcc
	v_cmp_gt_u32_e32 vcc, s60, v10
	s_mov_b32 s5, s4
	s_mov_b32 s6, s4
	;; [unrolled: 1-line block ×5, first 2 shown]
	v_mov_b64_e32 v[16:17], s[10:11]
	v_mov_b64_e32 v[14:15], s[8:9]
	;; [unrolled: 1-line block ×7, first 2 shown]
	s_mov_b64 s[28:29], 0
	v_mov_b64_e32 v[22:23], v[14:15]
	v_mov_b64_e32 v[20:21], v[12:13]
	;; [unrolled: 1-line block ×7, first 2 shown]
                                        ; implicit-def: $sgpr30_sgpr31
                                        ; implicit-def: $vgpr58
	s_and_saveexec_b64 s[24:25], vcc
	s_cbranch_execz .LBB1074_128
; %bb.99:
	v_add_u32_e32 v10, 7, v60
	v_mov_b32_e32 v11, s66
	v_cmp_eq_u16_sdwa vcc, v40, v41 src0_sel:WORD_1 src1_sel:DWORD
	v_mov_b64_e32 v[24:25], s[10:11]
	v_cmp_ne_u16_sdwa s[26:27], v40, v41 src0_sel:WORD_1 src1_sel:DWORD
	v_cndmask_b32_e32 v16, v11, v39, vcc
	v_cmp_gt_u32_e32 vcc, s60, v10
	v_mov_b32_e32 v10, 0
	v_mov_b64_e32 v[22:23], s[8:9]
	v_mov_b64_e32 v[20:21], s[6:7]
	;; [unrolled: 1-line block ×5, first 2 shown]
	v_cndmask_b32_e64 v17, 0, 1, s[26:27]
	v_mov_b32_e32 v11, v10
	v_mov_b32_e32 v12, v10
	;; [unrolled: 1-line block ×5, first 2 shown]
	s_mov_b64 s[30:31], 0
	v_mov_b64_e32 v[30:31], v[22:23]
	v_mov_b64_e32 v[28:29], v[20:21]
	;; [unrolled: 1-line block ×4, first 2 shown]
                                        ; implicit-def: $sgpr4_sgpr5
                                        ; implicit-def: $vgpr58
	s_and_saveexec_b64 s[26:27], vcc
	s_cbranch_execz .LBB1074_127
; %bb.100:
	ds_read2_b32 v[38:39], v61 offset0:7 offset1:8
	v_cmp_ne_u16_sdwa s[4:5], v41, v41 src0_sel:DWORD src1_sel:WORD_1
	v_add_u32_e32 v11, 8, v60
	v_mov_b32_e32 v12, s66
	v_cndmask_b32_e64 v15, 0, 1, s[4:5]
	s_mov_b32 s4, 0
	s_mov_b32 s10, s4
	;; [unrolled: 1-line block ×8, first 2 shown]
	v_mov_b64_e32 v[24:25], s[10:11]
	v_cmp_eq_u16_sdwa vcc, v41, v41 src0_sel:DWORD src1_sel:WORD_1
	v_mov_b64_e32 v[22:23], s[8:9]
	v_mov_b64_e32 v[20:21], s[6:7]
	;; [unrolled: 1-line block ×5, first 2 shown]
	s_waitcnt lgkmcnt(0)
	v_cndmask_b32_e32 v14, v12, v38, vcc
	v_cmp_gt_u32_e32 vcc, s60, v11
	v_mov_b32_e32 v11, v10
	v_mov_b32_e32 v12, v10
	v_mov_b32_e32 v13, v10
	s_mov_b64 s[34:35], 0
	v_mov_b64_e32 v[30:31], v[22:23]
	v_mov_b64_e32 v[28:29], v[20:21]
	;; [unrolled: 1-line block ×4, first 2 shown]
                                        ; implicit-def: $sgpr36_sgpr37
                                        ; implicit-def: $vgpr58
	s_and_saveexec_b64 s[28:29], vcc
	s_cbranch_execz .LBB1074_126
; %bb.101:
	v_mov_b64_e32 v[24:25], s[10:11]
	v_add_u32_e32 v10, 9, v60
	v_mov_b32_e32 v11, s66
	v_cmp_eq_u16_sdwa vcc, v41, v34 src0_sel:WORD_1 src1_sel:DWORD
	v_cmp_ne_u16_sdwa s[30:31], v41, v34 src0_sel:WORD_1 src1_sel:DWORD
	v_mov_b64_e32 v[22:23], s[8:9]
	v_mov_b64_e32 v[20:21], s[6:7]
	;; [unrolled: 1-line block ×5, first 2 shown]
	v_cndmask_b32_e32 v12, v11, v39, vcc
	v_cndmask_b32_e64 v13, 0, 1, s[30:31]
	v_cmp_gt_u32_e32 vcc, s60, v10
	v_mov_b32_e32 v10, s4
	v_mov_b32_e32 v11, s4
	s_mov_b64 s[36:37], 0
	v_mov_b64_e32 v[30:31], v[22:23]
	v_mov_b64_e32 v[28:29], v[20:21]
	;; [unrolled: 1-line block ×4, first 2 shown]
                                        ; implicit-def: $sgpr4_sgpr5
                                        ; implicit-def: $vgpr58
	s_and_saveexec_b64 s[30:31], vcc
	s_cbranch_execz .LBB1074_125
; %bb.102:
	ds_read2_b32 v[38:39], v61 offset0:9 offset1:10
	v_cmp_ne_u16_sdwa s[4:5], v34, v34 src0_sel:DWORD src1_sel:WORD_1
	v_add_u32_e32 v18, 10, v60
	v_mov_b32_e32 v10, s66
	v_cndmask_b32_e64 v11, 0, 1, s[4:5]
	s_mov_b32 s4, 0
	v_cmp_eq_u16_sdwa vcc, v34, v34 src0_sel:DWORD src1_sel:WORD_1
	s_mov_b32 s10, s4
	s_mov_b32 s11, s4
	s_waitcnt lgkmcnt(0)
	v_cndmask_b32_e32 v10, v10, v38, vcc
	v_cmp_gt_u32_e32 vcc, s60, v18
	s_mov_b32 s5, s4
	s_mov_b32 s6, s4
	;; [unrolled: 1-line block ×5, first 2 shown]
	v_mov_b64_e32 v[24:25], s[10:11]
	v_mov_b64_e32 v[22:23], s[8:9]
	;; [unrolled: 1-line block ×6, first 2 shown]
	s_mov_b64 s[38:39], 0
	v_mov_b64_e32 v[30:31], v[22:23]
	v_mov_b64_e32 v[28:29], v[20:21]
	;; [unrolled: 1-line block ×4, first 2 shown]
                                        ; implicit-def: $sgpr40_sgpr41
                                        ; implicit-def: $vgpr58
	s_and_saveexec_b64 s[34:35], vcc
	s_cbranch_execz .LBB1074_124
; %bb.103:
	v_add_u32_e32 v18, 11, v60
	v_mov_b32_e32 v19, s66
	v_cmp_eq_u16_sdwa vcc, v34, v35 src0_sel:WORD_1 src1_sel:DWORD
	v_cmp_ne_u16_sdwa s[36:37], v34, v35 src0_sel:WORD_1 src1_sel:DWORD
	v_mov_b64_e32 v[50:51], 0
	v_cndmask_b32_e32 v48, v19, v39, vcc
	v_cmp_gt_u32_e32 vcc, s60, v18
	v_mov_b64_e32 v[24:25], s[10:11]
	v_mov_b64_e32 v[22:23], s[8:9]
	;; [unrolled: 1-line block ×5, first 2 shown]
	v_cndmask_b32_e64 v49, 0, 1, s[36:37]
	v_mov_b64_e32 v[30:31], v[22:23]
	v_mov_b64_e32 v[28:29], v[20:21]
	;; [unrolled: 1-line block ×3, first 2 shown]
                                        ; implicit-def: $sgpr4_sgpr5
                                        ; implicit-def: $vgpr58
	s_and_saveexec_b64 s[36:37], vcc
	s_cbranch_execz .LBB1074_123
; %bb.104:
	ds_read2_b32 v[38:39], v61 offset0:11 offset1:12
	v_cmp_ne_u16_sdwa s[4:5], v35, v35 src0_sel:DWORD src1_sel:WORD_1
	v_add_u32_e32 v18, 12, v60
	v_mov_b32_e32 v19, s66
	v_cndmask_b32_e64 v25, 0, 1, s[4:5]
	s_mov_b32 s4, 0
	v_cmp_eq_u16_sdwa vcc, v35, v35 src0_sel:DWORD src1_sel:WORD_1
	s_mov_b32 s10, s4
	s_mov_b32 s11, s4
	s_waitcnt lgkmcnt(0)
	v_cndmask_b32_e32 v24, v19, v38, vcc
	v_cmp_gt_u32_e32 vcc, s60, v18
	v_mov_b32_e32 v18, 0
	s_mov_b32 s5, s4
	s_mov_b32 s6, s4
	s_mov_b32 s7, s4
	s_mov_b32 s8, s4
	s_mov_b32 s9, s4
	v_mov_b64_e32 v[32:33], s[10:11]
	v_mov_b32_e32 v19, v18
	v_mov_b32_e32 v20, v18
	;; [unrolled: 1-line block ×5, first 2 shown]
	s_mov_b64 s[40:41], 0
	v_mov_b64_e32 v[30:31], s[8:9]
	v_mov_b64_e32 v[28:29], s[6:7]
	;; [unrolled: 1-line block ×4, first 2 shown]
                                        ; implicit-def: $sgpr44_sgpr45
                                        ; implicit-def: $vgpr58
	s_and_saveexec_b64 s[38:39], vcc
	s_cbranch_execz .LBB1074_122
; %bb.105:
	v_add_u32_e32 v19, 13, v60
	v_mov_b32_e32 v20, s66
	v_cmp_eq_u16_sdwa vcc, v35, v36 src0_sel:WORD_1 src1_sel:DWORD
	v_cmp_ne_u16_sdwa s[40:41], v35, v36 src0_sel:WORD_1 src1_sel:DWORD
	v_mov_b64_e32 v[32:33], s[10:11]
	v_cndmask_b32_e32 v22, v20, v39, vcc
	v_cndmask_b32_e64 v23, 0, 1, s[40:41]
	v_cmp_gt_u32_e32 vcc, s60, v19
	v_mov_b32_e32 v19, v18
	v_mov_b32_e32 v20, v18
	;; [unrolled: 1-line block ×3, first 2 shown]
	s_mov_b64 s[42:43], 0
	v_mov_b64_e32 v[30:31], s[8:9]
	v_mov_b64_e32 v[28:29], s[6:7]
	;; [unrolled: 1-line block ×4, first 2 shown]
                                        ; implicit-def: $sgpr4_sgpr5
                                        ; implicit-def: $vgpr58
	s_and_saveexec_b64 s[40:41], vcc
	s_cbranch_execz .LBB1074_121
; %bb.106:
	ds_read2_b32 v[34:35], v61 offset0:13 offset1:14
	v_cmp_ne_u16_sdwa s[4:5], v36, v36 src0_sel:DWORD src1_sel:WORD_1
	v_add_u32_e32 v18, 14, v60
	v_mov_b32_e32 v19, s66
	v_cndmask_b32_e64 v21, 0, 1, s[4:5]
	s_mov_b32 s4, 0
	s_mov_b32 s10, s4
	;; [unrolled: 1-line block ×3, first 2 shown]
	v_cmp_eq_u16_sdwa vcc, v36, v36 src0_sel:DWORD src1_sel:WORD_1
	s_mov_b32 s5, s4
	s_mov_b32 s6, s4
	;; [unrolled: 1-line block ×5, first 2 shown]
	v_mov_b64_e32 v[32:33], s[10:11]
	s_waitcnt lgkmcnt(0)
	v_cndmask_b32_e32 v20, v19, v34, vcc
	v_cmp_gt_u32_e32 vcc, s60, v18
	v_mov_b32_e32 v18, s4
	v_mov_b32_e32 v19, s4
	s_mov_b64 s[44:45], 0
	v_mov_b64_e32 v[30:31], s[8:9]
	v_mov_b64_e32 v[28:29], s[6:7]
	;; [unrolled: 1-line block ×4, first 2 shown]
                                        ; implicit-def: $sgpr48_sgpr49
                                        ; implicit-def: $vgpr58
	s_and_saveexec_b64 s[42:43], vcc
	s_cbranch_execz .LBB1074_120
; %bb.107:
	v_add_u32_e32 v26, 15, v60
	v_mov_b32_e32 v18, s66
	v_cmp_eq_u16_sdwa vcc, v36, v37 src0_sel:WORD_1 src1_sel:DWORD
	v_cmp_ne_u16_sdwa s[44:45], v36, v37 src0_sel:WORD_1 src1_sel:DWORD
	v_mov_b64_e32 v[50:51], 0
	v_cndmask_b32_e32 v18, v18, v35, vcc
	v_cmp_gt_u32_e32 vcc, s60, v26
	v_mov_b64_e32 v[32:33], s[10:11]
	v_cndmask_b32_e64 v19, 0, 1, s[44:45]
	s_mov_b64 s[44:45], 0
	v_mov_b64_e32 v[30:31], s[8:9]
	v_mov_b64_e32 v[28:29], s[6:7]
	;; [unrolled: 1-line block ×3, first 2 shown]
                                        ; implicit-def: $sgpr6_sgpr7
                                        ; implicit-def: $vgpr58
	s_and_saveexec_b64 s[4:5], vcc
	s_cbranch_execz .LBB1074_119
; %bb.108:
	ds_read2_b32 v[34:35], v61 offset0:15 offset1:16
	s_mov_b32 s68, 0
	v_add_u32_e32 v26, 16, v60
	v_mov_b32_e32 v27, s66
	v_cmp_eq_u16_sdwa vcc, v37, v37 src0_sel:DWORD src1_sel:WORD_1
	s_mov_b32 s69, s68
	v_cmp_ne_u16_sdwa s[6:7], v37, v37 src0_sel:DWORD src1_sel:WORD_1
	s_waitcnt lgkmcnt(0)
	v_cndmask_b32_e32 v50, v27, v34, vcc
	v_cmp_gt_u32_e32 vcc, s60, v26
	s_mov_b32 s70, s68
	s_mov_b32 s71, s68
	;; [unrolled: 1-line block ×6, first 2 shown]
	v_mov_b64_e32 v[26:27], s[68:69]
	v_cndmask_b32_e64 v51, 0, 1, s[6:7]
	s_mov_b64 s[8:9], 0
	v_mov_b64_e32 v[28:29], s[70:71]
	v_mov_b64_e32 v[30:31], s[72:73]
	;; [unrolled: 1-line block ×3, first 2 shown]
                                        ; implicit-def: $sgpr44_sgpr45
                                        ; implicit-def: $vgpr58
	s_and_saveexec_b64 s[6:7], vcc
	s_cbranch_execz .LBB1074_118
; %bb.109:
	v_add_u32_e32 v28, 17, v60
	v_mov_b32_e32 v26, s66
	v_cmp_eq_u16_sdwa vcc, v37, v56 src0_sel:WORD_1 src1_sel:DWORD
	v_cmp_ne_u16_sdwa s[8:9], v37, v56 src0_sel:WORD_1 src1_sel:DWORD
	v_mov_b32_e32 v30, 0
	v_cndmask_b32_e32 v26, v26, v35, vcc
	v_cndmask_b32_e64 v27, 0, 1, s[8:9]
	v_cmp_gt_u32_e32 vcc, s60, v28
	v_mov_b32_e32 v28, v30
	v_mov_b32_e32 v29, v30
	;; [unrolled: 1-line block ×5, first 2 shown]
	s_mov_b64 s[10:11], 0
                                        ; implicit-def: $sgpr48_sgpr49
                                        ; implicit-def: $vgpr58
	s_and_saveexec_b64 s[8:9], vcc
	s_cbranch_execz .LBB1074_117
; %bb.110:
	ds_read2_b32 v[34:35], v61 offset0:17 offset1:18
	v_add_u32_e32 v31, 18, v60
	v_mov_b32_e32 v28, s66
	v_cmp_eq_u16_sdwa vcc, v56, v56 src0_sel:DWORD src1_sel:WORD_1
	v_cmp_ne_u16_sdwa s[10:11], v56, v56 src0_sel:DWORD src1_sel:WORD_1
	s_mov_b32 s48, 0
	s_waitcnt lgkmcnt(0)
	v_cndmask_b32_e32 v28, v28, v34, vcc
	v_cndmask_b32_e64 v29, 0, 1, s[10:11]
	v_cmp_gt_u32_e32 vcc, s60, v31
	v_mov_b32_e32 v31, v30
	v_mov_b32_e32 v32, v30
	v_mov_b32_e32 v33, v30
	s_mov_b64 s[44:45], 0
                                        ; implicit-def: $sgpr52_sgpr53
                                        ; implicit-def: $vgpr58
	s_and_saveexec_b64 s[10:11], vcc
	s_cbranch_execz .LBB1074_116
; %bb.111:
	v_add_u32_e32 v32, 19, v60
	v_mov_b32_e32 v30, s66
	v_cmp_eq_u16_sdwa vcc, v56, v57 src0_sel:WORD_1 src1_sel:DWORD
	v_cmp_ne_u16_sdwa s[44:45], v56, v57 src0_sel:WORD_1 src1_sel:DWORD
	v_mov_b32_e32 v33, s48
	v_cndmask_b32_e32 v30, v30, v35, vcc
	v_cndmask_b32_e64 v31, 0, 1, s[44:45]
	v_cmp_gt_u32_e32 vcc, s60, v32
	v_mov_b32_e32 v32, s48
	s_mov_b64 s[48:49], 0
                                        ; implicit-def: $sgpr52_sgpr53
                                        ; implicit-def: $vgpr58
	s_and_saveexec_b64 s[44:45], vcc
	s_cbranch_execz .LBB1074_115
; %bb.112:
	ds_read2_b32 v[34:35], v61 offset0:19 offset1:20
	v_add_u32_e32 v36, 20, v60
	v_mov_b32_e32 v32, s66
	v_cmp_eq_u16_sdwa vcc, v57, v57 src0_sel:DWORD src1_sel:WORD_1
	v_cmp_ne_u16_sdwa s[48:49], v57, v57 src0_sel:DWORD src1_sel:WORD_1
                                        ; implicit-def: $sgpr52_sgpr53
                                        ; implicit-def: $vgpr58
	s_waitcnt lgkmcnt(0)
	v_cndmask_b32_e32 v32, v32, v34, vcc
	v_cndmask_b32_e64 v33, 0, 1, s[48:49]
	v_cmp_gt_u32_e32 vcc, s60, v36
	s_mov_b64 s[48:49], 0
	s_and_saveexec_b64 s[60:61], vcc
	s_xor_b64 s[60:61], exec, s[60:61]
; %bb.113:
	v_mov_b32_e32 v34, s66
	v_cmp_ne_u16_sdwa vcc, v57, v1 src0_sel:WORD_1 src1_sel:DWORD
	s_mov_b64 s[48:49], exec
	s_and_b64 s[52:53], vcc, exec
	v_cndmask_b32_e32 v58, v35, v34, vcc
; %bb.114:
	s_or_b64 exec, exec, s[60:61]
	s_and_b64 s[52:53], s[52:53], exec
	s_and_b64 s[48:49], s[48:49], exec
.LBB1074_115:
	s_or_b64 exec, exec, s[44:45]
	s_and_b64 s[52:53], s[52:53], exec
	s_and_b64 s[44:45], s[48:49], exec
.LBB1074_116:
	s_or_b64 exec, exec, s[10:11]
	s_and_b64 s[48:49], s[52:53], exec
	s_and_b64 s[10:11], s[44:45], exec
.LBB1074_117:
	s_or_b64 exec, exec, s[8:9]
	s_and_b64 s[44:45], s[48:49], exec
	s_and_b64 s[8:9], s[10:11], exec
.LBB1074_118:
	s_or_b64 exec, exec, s[6:7]
	s_and_b64 s[6:7], s[44:45], exec
	s_and_b64 s[44:45], s[8:9], exec
.LBB1074_119:
	s_or_b64 exec, exec, s[4:5]
	s_and_b64 s[48:49], s[6:7], exec
	s_and_b64 s[44:45], s[44:45], exec
.LBB1074_120:
	s_or_b64 exec, exec, s[42:43]
	s_and_b64 s[4:5], s[48:49], exec
	s_and_b64 s[42:43], s[44:45], exec
.LBB1074_121:
	s_or_b64 exec, exec, s[40:41]
	s_and_b64 s[44:45], s[4:5], exec
	s_and_b64 s[40:41], s[42:43], exec
.LBB1074_122:
	s_or_b64 exec, exec, s[38:39]
	s_and_b64 s[4:5], s[44:45], exec
	s_and_b64 s[38:39], s[40:41], exec
.LBB1074_123:
	s_or_b64 exec, exec, s[36:37]
	s_and_b64 s[40:41], s[4:5], exec
	s_and_b64 s[36:37], s[38:39], exec
.LBB1074_124:
	s_or_b64 exec, exec, s[34:35]
	s_and_b64 s[4:5], s[40:41], exec
	s_and_b64 s[34:35], s[36:37], exec
.LBB1074_125:
	s_or_b64 exec, exec, s[30:31]
	s_and_b64 s[36:37], s[4:5], exec
	s_and_b64 s[30:31], s[34:35], exec
.LBB1074_126:
	s_or_b64 exec, exec, s[28:29]
	s_and_b64 s[4:5], s[36:37], exec
	s_and_b64 s[28:29], s[30:31], exec
.LBB1074_127:
	s_or_b64 exec, exec, s[26:27]
	s_and_b64 s[30:31], s[4:5], exec
	s_and_b64 s[26:27], s[28:29], exec
.LBB1074_128:
	s_or_b64 exec, exec, s[24:25]
	s_and_b64 s[4:5], s[30:31], exec
	s_and_b64 s[24:25], s[26:27], exec
.LBB1074_129:
	s_or_b64 exec, exec, s[22:23]
	s_and_b64 s[26:27], s[4:5], exec
	s_and_b64 s[22:23], s[24:25], exec
.LBB1074_130:
	s_or_b64 exec, exec, s[20:21]
	s_and_b64 s[4:5], s[26:27], exec
	s_and_b64 s[20:21], s[22:23], exec
.LBB1074_131:
	s_or_b64 exec, exec, s[18:19]
	s_and_b64 s[22:23], s[4:5], exec
	s_and_b64 s[18:19], s[20:21], exec
.LBB1074_132:
	s_or_b64 exec, exec, s[16:17]
	s_and_b64 s[4:5], s[22:23], exec
	s_and_b64 s[16:17], s[18:19], exec
.LBB1074_133:
	s_or_b64 exec, exec, s[14:15]
	s_and_b64 s[14:15], s[4:5], exec
	s_and_b64 s[16:17], s[16:17], exec
.LBB1074_134:
	s_or_b64 exec, exec, s[12:13]
	s_mov_b64 s[4:5], 0
	s_and_b64 vcc, exec, s[0:1]
	v_lshlrev_b32_e32 v56, 1, v0
	s_cbranch_vccz .LBB1074_140
.LBB1074_135:
	v_mov_b32_e32 v57, 0
	v_lshl_add_u64 v[2:3], v[54:55], 0, v[56:57]
	v_add_co_u32_e32 v4, vcc, 0x1000, v2
	flat_load_ushort v1, v[2:3]
	flat_load_ushort v6, v[2:3] offset:512
	flat_load_ushort v7, v[2:3] offset:1024
	flat_load_ushort v8, v[2:3] offset:1536
	flat_load_ushort v9, v[2:3] offset:2048
	flat_load_ushort v10, v[2:3] offset:2560
	flat_load_ushort v11, v[2:3] offset:3072
	flat_load_ushort v12, v[2:3] offset:3584
	v_addc_co_u32_e32 v5, vcc, 0, v3, vcc
	v_add_co_u32_e32 v2, vcc, 0x2000, v2
	flat_load_ushort v13, v[4:5]
	flat_load_ushort v14, v[4:5] offset:512
	flat_load_ushort v15, v[4:5] offset:1024
	;; [unrolled: 1-line block ×7, first 2 shown]
	v_addc_co_u32_e32 v3, vcc, 0, v3, vcc
	flat_load_ushort v4, v[2:3]
	flat_load_ushort v5, v[2:3] offset:512
	flat_load_ushort v21, v[2:3] offset:1024
	;; [unrolled: 1-line block ×4, first 2 shown]
	v_add_co_u32_e32 v2, vcc, 0x2000, v54
	s_movk_i32 s4, 0xffd8
	s_nop 0
	v_addc_co_u32_e32 v3, vcc, 0, v55, vcc
	s_mov_b32 s0, 0
	s_mov_b32 s1, 1
	s_movk_i32 s7, 0x1000
	s_movk_i32 s6, 0x2000
	s_waitcnt vmcnt(0) lgkmcnt(0)
	ds_write_b16 v56, v1
	ds_write_b16 v56, v6 offset:512
	ds_write_b16 v56, v7 offset:1024
	;; [unrolled: 1-line block ×20, first 2 shown]
	s_waitcnt lgkmcnt(0)
	s_barrier
	flat_load_ushort v1, v[2:3] offset:2560
	v_mad_u32_u24 v2, v0, 40, v56
	ds_read_b96 v[8:10], v2
	ds_read_b64 v[18:19], v2 offset:12
	ds_read_b96 v[26:28], v2 offset:20
	ds_read_b64 v[34:35], v2 offset:32
	ds_read_u16 v40, v2 offset:40
	v_mad_i32_i24 v2, v0, s4, v2
	s_movk_i32 s4, 0xff
	v_cmp_ne_u32_e32 vcc, s4, v0
	s_waitcnt lgkmcnt(0)
	ds_write_b16 v2, v8 offset:11264
	s_waitcnt lgkmcnt(0)
	s_barrier
	s_and_saveexec_b64 s[4:5], vcc
	s_cbranch_execz .LBB1074_137
; %bb.136:
	s_waitcnt vmcnt(0)
	ds_read_u16 v1, v56 offset:11266
.LBB1074_137:
	s_or_b64 exec, exec, s[4:5]
	v_lshl_add_u64 v[4:5], v[52:53], 0, v[56:57]
	v_add_co_u32_e32 v6, vcc, s7, v4
	s_waitcnt lgkmcnt(0)
	s_nop 0
	v_addc_co_u32_e32 v7, vcc, 0, v5, vcc
	s_barrier
	flat_load_sshort v3, v[4:5]
	flat_load_sshort v12, v[4:5] offset:512
	flat_load_sshort v13, v[4:5] offset:1024
	;; [unrolled: 1-line block ×7, first 2 shown]
	v_add_co_u32_e32 v4, vcc, s6, v4
	flat_load_sshort v21, v[6:7]
	flat_load_sshort v22, v[6:7] offset:512
	flat_load_sshort v23, v[6:7] offset:1024
	;; [unrolled: 1-line block ×7, first 2 shown]
	v_addc_co_u32_e32 v5, vcc, 0, v5, vcc
	flat_load_sshort v6, v[4:5]
	flat_load_sshort v7, v[4:5] offset:512
	flat_load_sshort v32, v[4:5] offset:1024
	;; [unrolled: 1-line block ×4, first 2 shown]
	v_lshl_add_u32 v2, v0, 1, v2
	s_movk_i32 s4, 0x50
	v_mad_u32_u24 v41, v0, s4, v2
	v_alignbit_b32 v11, v10, v9, 16
	v_cmp_eq_u16_sdwa s[4:5], v8, v8 src0_sel:DWORD src1_sel:WORD_1
	v_mov_b64_e32 v[44:45], s[0:1]
	s_waitcnt vmcnt(0) lgkmcnt(0)
	ds_write2st64_b32 v2, v3, v12 offset1:4
	ds_write2st64_b32 v2, v13, v14 offset0:8 offset1:12
	ds_write2st64_b32 v2, v15, v16 offset0:16 offset1:20
	;; [unrolled: 1-line block ×9, first 2 shown]
	ds_write_b32 v2, v36 offset:20480
	s_waitcnt lgkmcnt(0)
	s_barrier
	ds_read2_b32 v[12:13], v41 offset0:8 offset1:9
	ds_read2_b32 v[14:15], v41 offset0:6 offset1:7
	;; [unrolled: 1-line block ×10, first 2 shown]
	v_alignbit_b32 v16, v9, v8, 16
	v_mov_b32_e32 v3, s66
	s_and_saveexec_b64 s[0:1], s[4:5]
	s_cbranch_execz .LBB1074_139
; %bb.138:
	v_mul_u32_u24_e32 v3, 0x50, v0
	v_add_u32_e32 v2, v2, v3
	ds_read_b32 v3, v2
	v_mov_b64_e32 v[44:45], 0
.LBB1074_139:
	s_or_b64 exec, exec, s[0:1]
	v_mov_b32_e32 v41, s66
	v_cmp_eq_u16_sdwa vcc, v11, v10 src0_sel:WORD_1 src1_sel:WORD_1
	v_cmp_ne_u16_sdwa s[0:1], v11, v10 src0_sel:WORD_1 src1_sel:WORD_1
	s_waitcnt lgkmcnt(0)
	v_or_b32_e32 v44, v44, v3
	v_cndmask_b32_e32 v2, v41, v5, vcc
	v_cmp_eq_u16_sdwa vcc, v16, v16 src0_sel:DWORD src1_sel:WORD_1
	v_cndmask_b32_e64 v3, 0, 1, s[0:1]
	v_cmp_ne_u16_sdwa s[0:1], v16, v16 src0_sel:DWORD src1_sel:WORD_1
	v_cndmask_b32_e32 v8, v41, v6, vcc
	v_cmp_eq_u16_sdwa vcc, v16, v11 src0_sel:WORD_1 src1_sel:DWORD
	v_cndmask_b32_e64 v9, 0, 1, s[0:1]
	v_cmp_ne_u16_sdwa s[0:1], v16, v11 src0_sel:WORD_1 src1_sel:DWORD
	v_cndmask_b32_e32 v6, v41, v7, vcc
	v_cmp_eq_u16_sdwa vcc, v11, v11 src0_sel:DWORD src1_sel:WORD_1
	v_cndmask_b32_e64 v7, 0, 1, s[0:1]
	v_cmp_ne_u16_sdwa s[0:1], v11, v11 src0_sel:DWORD src1_sel:WORD_1
	v_cndmask_b32_e32 v4, v41, v4, vcc
	v_cmp_eq_u16_sdwa vcc, v10, v18 src0_sel:WORD_1 src1_sel:DWORD
	v_cndmask_b32_e64 v5, 0, 1, s[0:1]
	v_cmp_ne_u16_sdwa s[0:1], v10, v18 src0_sel:WORD_1 src1_sel:DWORD
	;; [unrolled: 8-line block ×3, first 2 shown]
	v_cndmask_b32_e32 v14, v41, v15, vcc
	v_cmp_eq_u16_sdwa vcc, v19, v19 src0_sel:DWORD src1_sel:WORD_1
	v_cndmask_b32_e64 v15, 0, 1, s[0:1]
	v_cmp_ne_u16_sdwa s[0:1], v19, v19 src0_sel:DWORD src1_sel:WORD_1
	v_cndmask_b32_e32 v12, v41, v12, vcc
	v_cmp_eq_u16_sdwa vcc, v19, v26 src0_sel:WORD_1 src1_sel:DWORD
	v_cmp_ne_u16_e64 s[14:15], v40, v1
	s_mov_b64 s[16:17], -1
	v_cndmask_b32_e32 v10, v41, v13, vcc
	v_cndmask_b32_e64 v13, 0, 1, s[0:1]
	v_cmp_ne_u16_sdwa s[0:1], v19, v26 src0_sel:WORD_1 src1_sel:DWORD
	v_cmp_eq_u16_sdwa vcc, v26, v26 src0_sel:DWORD src1_sel:WORD_1
	v_cndmask_b32_e64 v58, v37, v41, s[14:15]
	v_cndmask_b32_e64 v11, 0, 1, s[0:1]
	v_cndmask_b32_e32 v48, v41, v25, vcc
	v_cmp_ne_u16_sdwa s[0:1], v26, v26 src0_sel:DWORD src1_sel:WORD_1
	v_cmp_eq_u16_sdwa vcc, v26, v27 src0_sel:WORD_1 src1_sel:DWORD
                                        ; implicit-def: $sgpr4_sgpr5
	s_nop 0
	v_cndmask_b32_e64 v49, 0, 1, s[0:1]
	v_cndmask_b32_e32 v24, v41, v22, vcc
	v_cmp_eq_u16_sdwa vcc, v27, v27 src0_sel:DWORD src1_sel:WORD_1
	v_cmp_ne_u16_sdwa s[0:1], v26, v27 src0_sel:WORD_1 src1_sel:DWORD
	s_nop 0
	v_cndmask_b32_e32 v22, v41, v23, vcc
	v_cmp_eq_u16_sdwa vcc, v27, v28 src0_sel:WORD_1 src1_sel:DWORD
	v_cndmask_b32_e64 v25, 0, 1, s[0:1]
	v_cmp_ne_u16_sdwa s[0:1], v27, v27 src0_sel:DWORD src1_sel:WORD_1
	v_cndmask_b32_e32 v20, v41, v20, vcc
	v_cmp_eq_u16_sdwa vcc, v28, v28 src0_sel:DWORD src1_sel:WORD_1
	v_cndmask_b32_e64 v23, 0, 1, s[0:1]
	v_cmp_ne_u16_sdwa s[0:1], v27, v28 src0_sel:WORD_1 src1_sel:DWORD
	v_cndmask_b32_e32 v18, v41, v21, vcc
	v_cmp_eq_u16_sdwa vcc, v28, v34 src0_sel:WORD_1 src1_sel:DWORD
	v_cndmask_b32_e64 v21, 0, 1, s[0:1]
	v_cmp_ne_u16_sdwa s[0:1], v28, v28 src0_sel:DWORD src1_sel:WORD_1
	v_cndmask_b32_e32 v50, v41, v36, vcc
	v_cmp_eq_u16_sdwa vcc, v35, v40 src0_sel:WORD_1 src1_sel:DWORD
	v_cndmask_b32_e64 v19, 0, 1, s[0:1]
	v_cmp_ne_u16_sdwa s[0:1], v28, v34 src0_sel:WORD_1 src1_sel:DWORD
	v_cndmask_b32_e32 v32, v41, v31, vcc
	v_cmp_eq_u16_sdwa vcc, v35, v35 src0_sel:DWORD src1_sel:WORD_1
	v_cndmask_b32_e64 v51, 0, 1, s[0:1]
	v_cmp_ne_u16_sdwa s[0:1], v35, v40 src0_sel:WORD_1 src1_sel:DWORD
	v_cndmask_b32_e32 v30, v41, v30, vcc
	v_cmp_eq_u16_sdwa vcc, v34, v35 src0_sel:WORD_1 src1_sel:DWORD
	v_cndmask_b32_e64 v33, 0, 1, s[0:1]
	v_cmp_ne_u16_sdwa s[0:1], v35, v35 src0_sel:DWORD src1_sel:WORD_1
	v_cndmask_b32_e32 v28, v41, v39, vcc
	v_cmp_eq_u16_sdwa vcc, v34, v34 src0_sel:DWORD src1_sel:WORD_1
	v_cndmask_b32_e64 v31, 0, 1, s[0:1]
	v_cmp_ne_u16_sdwa s[0:1], v34, v35 src0_sel:WORD_1 src1_sel:DWORD
	v_cndmask_b32_e32 v26, v41, v38, vcc
	s_nop 0
	v_cndmask_b32_e64 v29, 0, 1, s[0:1]
	v_cmp_ne_u16_sdwa s[0:1], v34, v34 src0_sel:DWORD src1_sel:WORD_1
	s_nop 1
	v_cndmask_b32_e64 v27, 0, 1, s[0:1]
.LBB1074_140:
	v_mov_b64_e32 v[52:53], s[4:5]
	s_and_saveexec_b64 s[0:1], s[16:17]
; %bb.141:
	v_cndmask_b32_e64 v59, 0, 1, s[14:15]
	v_mov_b64_e32 v[52:53], v[58:59]
; %bb.142:
	s_or_b64 exec, exec, s[0:1]
	s_mov_b32 s0, 0
	s_cmp_lg_u32 s59, 0
	v_mbcnt_lo_u32_b32 v60, -1, 0
	v_lshrrev_b32_e32 v1, 6, v0
	v_or_b32_e32 v57, 63, v0
	s_barrier
	s_cbranch_scc0 .LBB1074_171
; %bb.143:
	s_mov_b32 s1, 1
	v_cmp_gt_u64_e64 s[4:5], s[0:1], v[8:9]
	v_cmp_gt_u64_e64 s[6:7], s[0:1], v[6:7]
	v_cmp_gt_u64_e64 s[8:9], s[0:1], v[4:5]
	v_cndmask_b32_e64 v34, 0, v44, s[4:5]
	v_add_u32_e32 v34, v34, v8
	v_cndmask_b32_e64 v34, 0, v34, s[6:7]
	v_add_u32_e32 v34, v34, v6
	v_cndmask_b32_e64 v34, 0, v34, s[8:9]
	v_add_u32_e32 v34, v34, v4
	v_cmp_gt_u64_e64 s[10:11], s[0:1], v[2:3]
	v_cmp_gt_u64_e64 s[12:13], s[0:1], v[46:47]
	v_cmp_gt_u64_e64 s[14:15], s[0:1], v[16:17]
	v_cndmask_b32_e64 v34, 0, v34, s[10:11]
	v_add_u32_e32 v34, v34, v2
	v_cndmask_b32_e64 v34, 0, v34, s[12:13]
	v_add_u32_e32 v34, v34, v46
	v_cndmask_b32_e64 v34, 0, v34, s[14:15]
	v_add_u32_e32 v34, v34, v16
	;; [unrolled: 9-line block ×4, first 2 shown]
	v_cmp_gt_u64_e64 s[28:29], s[0:1], v[20:21]
	v_cmp_gt_u64_e64 s[30:31], s[0:1], v[18:19]
	;; [unrolled: 1-line block ×3, first 2 shown]
	v_cndmask_b32_e64 v34, 0, v34, s[28:29]
	v_add_u32_e32 v34, v34, v20
	v_cndmask_b32_e64 v34, 0, v34, s[30:31]
	v_add_u32_e32 v34, v34, v18
	v_or_b32_e32 v35, v53, v33
	v_cndmask_b32_e64 v34, 0, v34, s[34:35]
	v_or3_b32 v35, v35, v31, v29
	v_add_u32_e32 v34, v34, v50
	v_cmp_gt_u64_e64 s[36:37], s[0:1], v[26:27]
	v_or3_b32 v35, v35, v27, v51
	v_or3_b32 v35, v35, v19, v21
	v_cndmask_b32_e64 v34, 0, v34, s[36:37]
	v_add_u32_e32 v34, v34, v26
	v_cmp_gt_u64_e64 s[38:39], s[0:1], v[28:29]
	v_or3_b32 v35, v35, v23, v25
	v_or3_b32 v35, v35, v49, v11
	v_cndmask_b32_e64 v34, 0, v34, s[38:39]
	;; [unrolled: 5-line block ×4, first 2 shown]
	v_add_u32_e32 v34, v34, v32
	v_cmp_gt_u64_e32 vcc, s[0:1], v[52:53]
	v_and_b32_e32 v35, 1, v35
	v_mbcnt_hi_u32_b32 v65, -1, v60
	v_cndmask_b32_e32 v34, 0, v34, vcc
	v_cmp_eq_u32_e32 vcc, 1, v35
	v_add_u32_e32 v34, v34, v52
	v_and_b32_e32 v37, 15, v65
	v_cndmask_b32_e64 v35, v45, 1, vcc
	v_and_b32_e32 v36, 0xff, v35
	v_mov_b32_dpp v38, v34 row_shr:1 row_mask:0xf bank_mask:0xf
	v_cmp_eq_u16_e32 vcc, 0, v36
	v_mov_b32_dpp v39, v36 row_shr:1 row_mask:0xf bank_mask:0xf
	v_and_b32_e32 v40, 1, v35
	v_cndmask_b32_e32 v38, 0, v38, vcc
	v_and_b32_e32 v39, 1, v39
	v_cmp_eq_u32_e32 vcc, 1, v40
	s_nop 1
	v_cndmask_b32_e64 v39, v39, 1, vcc
	v_and_b32_e32 v40, 0xffff, v39
	v_cmp_eq_u32_e32 vcc, 0, v37
	s_nop 1
	v_cndmask_b32_e32 v35, v39, v35, vcc
	v_cndmask_b32_e32 v36, v40, v36, vcc
	v_and_b32_e32 v41, 1, v35
	v_cndmask_b32_e64 v38, v38, 0, vcc
	v_mov_b32_dpp v39, v36 row_shr:2 row_mask:0xf bank_mask:0xf
	v_and_b32_e32 v39, 1, v39
	v_cmp_eq_u32_e32 vcc, 1, v41
	v_mov_b32_e32 v40, 0
	v_add_u32_e32 v34, v38, v34
	v_cndmask_b32_e64 v39, v39, 1, vcc
	v_and_b32_e32 v41, 0xffff, v39
	v_cmp_lt_u32_e32 vcc, 1, v37
	v_cmp_eq_u16_sdwa s[0:1], v35, v40 src0_sel:BYTE_0 src1_sel:DWORD
	v_mov_b32_dpp v38, v34 row_shr:2 row_mask:0xf bank_mask:0xf
	v_cndmask_b32_e32 v35, v35, v39, vcc
	v_cndmask_b32_e32 v36, v36, v41, vcc
	s_and_b64 vcc, vcc, s[0:1]
	v_and_b32_e32 v41, 1, v35
	v_mov_b32_dpp v39, v36 row_shr:4 row_mask:0xf bank_mask:0xf
	v_cndmask_b32_e32 v38, 0, v38, vcc
	v_and_b32_e32 v39, 1, v39
	v_cmp_eq_u32_e32 vcc, 1, v41
	v_add_u32_e32 v34, v38, v34
	v_cmp_eq_u16_sdwa s[0:1], v35, v40 src0_sel:BYTE_0 src1_sel:DWORD
	v_cndmask_b32_e64 v39, v39, 1, vcc
	v_and_b32_e32 v41, 0xffff, v39
	v_cmp_lt_u32_e32 vcc, 3, v37
	v_mov_b32_dpp v38, v34 row_shr:4 row_mask:0xf bank_mask:0xf
	s_nop 0
	v_cndmask_b32_e32 v35, v35, v39, vcc
	v_cndmask_b32_e32 v36, v36, v41, vcc
	s_and_b64 vcc, vcc, s[0:1]
	v_and_b32_e32 v41, 1, v35
	v_mov_b32_dpp v39, v36 row_shr:8 row_mask:0xf bank_mask:0xf
	v_cndmask_b32_e32 v38, 0, v38, vcc
	v_and_b32_e32 v39, 1, v39
	v_cmp_eq_u32_e32 vcc, 1, v41
	v_add_u32_e32 v34, v38, v34
	v_cmp_eq_u16_sdwa s[0:1], v35, v40 src0_sel:BYTE_0 src1_sel:DWORD
	v_cndmask_b32_e64 v39, v39, 1, vcc
	v_and_b32_e32 v41, 0xffff, v39
	v_cmp_lt_u32_e32 vcc, 7, v37
	v_mov_b32_dpp v38, v34 row_shr:8 row_mask:0xf bank_mask:0xf
	s_nop 0
	v_cndmask_b32_e32 v35, v35, v39, vcc
	v_cndmask_b32_e32 v36, v36, v41, vcc
	s_and_b64 vcc, vcc, s[0:1]
	v_cndmask_b32_e32 v37, 0, v38, vcc
	v_add_u32_e32 v34, v37, v34
	v_mov_b32_dpp v38, v36 row_bcast:15 row_mask:0xf bank_mask:0xf
	v_cmp_eq_u16_sdwa vcc, v35, v40 src0_sel:BYTE_0 src1_sel:DWORD
	v_mov_b32_dpp v37, v34 row_bcast:15 row_mask:0xf bank_mask:0xf
	v_and_b32_e32 v54, 1, v35
	v_cndmask_b32_e32 v37, 0, v37, vcc
	v_and_b32_e32 v38, 1, v38
	v_cmp_eq_u32_e32 vcc, 1, v54
	v_and_b32_e32 v41, 16, v65
	v_bfe_i32 v39, v65, 4, 1
	v_cndmask_b32_e64 v38, v38, 1, vcc
	v_and_b32_e32 v54, 0xffff, v38
	v_cmp_eq_u32_e32 vcc, 0, v41
	v_and_b32_e32 v37, v39, v37
	v_add_u32_e32 v34, v37, v34
	v_cndmask_b32_e32 v35, v38, v35, vcc
	v_cndmask_b32_e32 v36, v54, v36, vcc
	v_and_b32_e32 v37, 1, v35
	v_cmp_eq_u32_e32 vcc, 1, v37
	v_mov_b32_dpp v36, v36 row_bcast:31 row_mask:0xf bank_mask:0xf
	v_and_b32_e32 v36, 1, v36
	v_cmp_eq_u16_sdwa s[0:1], v35, v40 src0_sel:BYTE_0 src1_sel:DWORD
	v_cndmask_b32_e64 v36, v36, 1, vcc
	v_cmp_lt_u32_e32 vcc, 31, v65
	v_mov_b32_dpp v38, v34 row_bcast:31 row_mask:0xf bank_mask:0xf
	s_nop 0
	v_cndmask_b32_e32 v37, v35, v36, vcc
	s_and_b64 vcc, vcc, s[0:1]
	v_cndmask_b32_e32 v35, 0, v38, vcc
	v_add_u32_e32 v36, v35, v34
	v_cmp_eq_u32_e32 vcc, v57, v0
	s_and_saveexec_b64 s[0:1], vcc
	s_cbranch_execz .LBB1074_145
; %bb.144:
	v_lshlrev_b32_e32 v34, 3, v1
	ds_write_b32 v34, v36
	ds_write_b8 v34, v37 offset:4
.LBB1074_145:
	s_or_b64 exec, exec, s[0:1]
	v_cmp_gt_u32_e32 vcc, 4, v0
	s_waitcnt lgkmcnt(0)
	s_barrier
	s_and_saveexec_b64 s[0:1], vcc
	s_cbranch_execz .LBB1074_149
; %bb.146:
	v_lshlrev_b32_e32 v38, 3, v0
	ds_read_b64 v[34:35], v38
	v_and_b32_e32 v39, 3, v65
	v_cmp_ne_u32_e32 vcc, 0, v39
	s_waitcnt lgkmcnt(0)
	v_mov_b32_dpp v40, v34 row_shr:1 row_mask:0xf bank_mask:0xf
	v_mov_b32_dpp v54, v35 row_shr:1 row_mask:0xf bank_mask:0xf
	v_mov_b32_e32 v41, v35
	s_and_saveexec_b64 s[44:45], vcc
	s_cbranch_execz .LBB1074_148
; %bb.147:
	v_and_b32_e32 v41, 1, v35
	v_and_b32_e32 v54, 1, v54
	v_cmp_eq_u32_e32 vcc, 1, v41
	v_mov_b32_e32 v41, 0
	s_movk_i32 s48, 0xff00
	v_cndmask_b32_e64 v54, v54, 1, vcc
	v_cmp_eq_u16_sdwa vcc, v35, v41 src0_sel:BYTE_0 src1_sel:DWORD
	s_nop 1
	v_cndmask_b32_e32 v40, 0, v40, vcc
	v_add_u32_e32 v34, v40, v34
	v_and_b32_e32 v40, 0xffff, v54
	v_and_or_b32 v41, v35, s48, v40
	v_mov_b32_e32 v35, v54
.LBB1074_148:
	s_or_b64 exec, exec, s[44:45]
	v_mov_b32_dpp v41, v41 row_shr:2 row_mask:0xf bank_mask:0xf
	v_and_b32_e32 v54, 1, v35
	v_and_b32_e32 v41, 1, v41
	v_cmp_eq_u32_e32 vcc, 1, v54
	v_mov_b32_e32 v54, 0
	v_cmp_eq_u16_sdwa s[44:45], v35, v54 src0_sel:BYTE_0 src1_sel:DWORD
	v_cndmask_b32_e64 v41, v41, 1, vcc
	v_cmp_lt_u32_e32 vcc, 1, v39
	v_mov_b32_dpp v40, v34 row_shr:2 row_mask:0xf bank_mask:0xf
	s_nop 0
	v_cndmask_b32_e32 v35, v35, v41, vcc
	s_and_b64 vcc, vcc, s[44:45]
	v_cndmask_b32_e32 v39, 0, v40, vcc
	v_add_u32_e32 v34, v39, v34
	ds_write_b32 v38, v34
	ds_write_b8 v38, v35 offset:4
.LBB1074_149:
	s_or_b64 exec, exec, s[0:1]
	v_cmp_gt_u32_e32 vcc, 64, v0
	v_cmp_lt_u32_e64 s[0:1], 63, v0
	v_mov_b32_e32 v61, 0
	v_mov_b32_e32 v62, 0
	s_waitcnt lgkmcnt(0)
	s_barrier
	s_and_saveexec_b64 s[44:45], s[0:1]
	s_cbranch_execz .LBB1074_151
; %bb.150:
	v_lshl_add_u32 v34, v1, 3, -8
	ds_read_b32 v61, v34
	ds_read_u8 v62, v34 offset:4
	v_mov_b32_e32 v35, 0
	v_and_b32_e32 v38, 1, v37
	v_cmp_eq_u16_sdwa s[0:1], v37, v35 src0_sel:BYTE_0 src1_sel:DWORD
	s_waitcnt lgkmcnt(1)
	s_nop 0
	v_cndmask_b32_e64 v34, 0, v61, s[0:1]
	v_cmp_eq_u32_e64 s[0:1], 1, v38
	v_add_u32_e32 v36, v34, v36
	s_waitcnt lgkmcnt(0)
	v_cndmask_b32_e64 v37, v62, 1, s[0:1]
.LBB1074_151:
	s_or_b64 exec, exec, s[44:45]
	v_and_b32_e32 v34, 0xff, v37
	v_add_u32_e32 v35, -1, v65
	v_and_b32_e32 v37, 64, v65
	v_cmp_lt_i32_e64 s[0:1], v35, v37
	v_cmp_eq_u32_e64 s[44:45], 0, v65
	s_nop 0
	v_cndmask_b32_e64 v35, v35, v65, s[0:1]
	v_lshlrev_b32_e32 v35, 2, v35
	ds_bpermute_b32 v63, v35, v36
	ds_bpermute_b32 v64, v35, v34
	s_and_saveexec_b64 s[48:49], vcc
	s_cbranch_execz .LBB1074_170
; %bb.152:
	v_mov_b32_e32 v37, 0
	ds_read_b64 v[34:35], v37 offset:24
	s_waitcnt lgkmcnt(0)
	v_readfirstlane_b32 s67, v35
	s_and_saveexec_b64 s[0:1], s[44:45]
	s_cbranch_execz .LBB1074_154
; %bb.153:
	s_add_i32 s52, s59, 64
	s_mov_b32 s53, 0
	s_lshl_b64 s[60:61], s[52:53], 4
	s_add_u32 s60, s56, s60
	s_addc_u32 s61, s57, s61
	s_and_b32 s69, s67, 0xff000000
	s_mov_b32 s68, s53
	s_and_b32 s71, s67, 0xff0000
	s_mov_b32 s70, s53
	s_or_b64 s[68:69], s[70:71], s[68:69]
	s_and_b32 s71, s67, 0xff00
	s_or_b64 s[68:69], s[68:69], s[70:71]
	s_and_b32 s71, s67, 0xff
	s_or_b64 s[52:53], s[68:69], s[70:71]
	v_mov_b32_e32 v35, s53
	v_mov_b32_e32 v36, 1
	v_mov_b64_e32 v[38:39], s[60:61]
	;;#ASMSTART
	global_store_dwordx4 v[38:39], v[34:37] off sc1	
s_waitcnt vmcnt(0)
	;;#ASMEND
.LBB1074_154:
	s_or_b64 exec, exec, s[0:1]
	v_xad_u32 v54, v65, -1, s59
	v_add_u32_e32 v36, 64, v54
	v_lshl_add_u64 v[58:59], v[36:37], 4, s[56:57]
	;;#ASMSTART
	global_load_dwordx4 v[38:41], v[58:59] off sc1	
s_waitcnt vmcnt(0)
	;;#ASMEND
	s_nop 0
	v_and_b32_e32 v35, 0xff0000, v38
	v_and_b32_e32 v36, 0xff000000, v38
	v_and_b32_e32 v39, 0xff, v39
	v_or_b32_sdwa v35, v38, v35 dst_sel:DWORD dst_unused:UNUSED_PAD src0_sel:WORD_0 src1_sel:DWORD
	v_or3_b32 v39, 0, 0, v39
	v_or3_b32 v38, v35, v36, 0
	v_cmp_eq_u16_sdwa s[52:53], v40, v37 src0_sel:BYTE_0 src1_sel:DWORD
	s_and_saveexec_b64 s[0:1], s[52:53]
	s_cbranch_execz .LBB1074_158
; %bb.155:
	s_mov_b64 s[52:53], 0
	v_mov_b32_e32 v35, 0
.LBB1074_156:                           ; =>This Inner Loop Header: Depth=1
	;;#ASMSTART
	global_load_dwordx4 v[38:41], v[58:59] off sc1	
s_waitcnt vmcnt(0)
	;;#ASMEND
	s_nop 0
	v_cmp_ne_u16_sdwa s[60:61], v40, v35 src0_sel:BYTE_0 src1_sel:DWORD
	s_or_b64 s[52:53], s[60:61], s[52:53]
	s_andn2_b64 exec, exec, s[52:53]
	s_cbranch_execnz .LBB1074_156
; %bb.157:
	s_or_b64 exec, exec, s[52:53]
	v_and_b32_e32 v39, 0xff, v39
.LBB1074_158:
	s_or_b64 exec, exec, s[0:1]
	v_mov_b32_e32 v35, 2
	v_cmp_eq_u16_sdwa s[0:1], v40, v35 src0_sel:BYTE_0 src1_sel:DWORD
	v_lshlrev_b64 v[36:37], v65, -1
	v_and_b32_e32 v66, 63, v65
	v_and_b32_e32 v41, s1, v37
	v_or_b32_e32 v41, 0x80000000, v41
	v_and_b32_e32 v55, s0, v36
	v_ffbl_b32_e32 v41, v41
	v_add_u32_e32 v41, 32, v41
	v_ffbl_b32_e32 v55, v55
	v_cmp_ne_u32_e32 vcc, 63, v66
	v_min_u32_e32 v41, v55, v41
	s_mov_b32 s52, 0
	v_addc_co_u32_e32 v55, vcc, 0, v65, vcc
	v_lshlrev_b32_e32 v67, 2, v55
	ds_bpermute_b32 v55, v67, v39
	ds_bpermute_b32 v58, v67, v38
	v_and_b32_e32 v59, 1, v39
	s_mov_b32 s53, 1
	v_cmp_eq_u32_e32 vcc, 1, v59
	s_waitcnt lgkmcnt(1)
	v_and_b32_e32 v55, 1, v55
	v_cmp_lt_u32_e64 s[0:1], v66, v41
	v_cndmask_b32_e64 v55, v55, 1, vcc
	v_cmp_gt_u64_e32 vcc, s[52:53], v[38:39]
	s_and_b64 vcc, s[0:1], vcc
	v_and_b32_e32 v59, 0xffff, v55
	v_cndmask_b32_e64 v70, v39, v55, s[0:1]
	s_waitcnt lgkmcnt(0)
	v_cndmask_b32_e32 v55, 0, v58, vcc
	v_cmp_gt_u32_e32 vcc, 62, v66
	v_cndmask_b32_e64 v39, v39, v59, s[0:1]
	v_add_u32_e32 v38, v55, v38
	v_cndmask_b32_e64 v58, 0, 1, vcc
	v_lshlrev_b32_e32 v58, 1, v58
	v_add_lshl_u32 v68, v58, v65, 2
	ds_bpermute_b32 v58, v68, v39
	ds_bpermute_b32 v59, v68, v38
	v_and_b32_e32 v55, 1, v70
	v_cmp_eq_u32_e32 vcc, 1, v55
	v_mov_b32_e32 v55, 0
	s_waitcnt lgkmcnt(1)
	v_and_b32_e32 v58, 1, v58
	v_add_u32_e32 v69, 2, v66
	v_cndmask_b32_e64 v58, v58, 1, vcc
	v_cmp_eq_u16_sdwa vcc, v70, v55 src0_sel:BYTE_0 src1_sel:DWORD
	v_and_b32_e32 v71, 0xffff, v58
	v_add_u32_e32 v78, 32, v66
	s_waitcnt lgkmcnt(0)
	v_cndmask_b32_e32 v59, 0, v59, vcc
	v_cmp_gt_u32_e32 vcc, v69, v41
	s_nop 1
	v_cndmask_b32_e32 v58, v58, v70, vcc
	v_cndmask_b32_e64 v59, v59, 0, vcc
	v_cndmask_b32_e32 v39, v71, v39, vcc
	v_cmp_gt_u32_e32 vcc, 60, v66
	v_add_u32_e32 v38, v59, v38
	v_and_b32_e32 v73, 1, v58
	v_cndmask_b32_e64 v70, 0, 1, vcc
	v_lshlrev_b32_e32 v70, 2, v70
	v_add_lshl_u32 v70, v70, v65, 2
	ds_bpermute_b32 v72, v70, v39
	ds_bpermute_b32 v59, v70, v38
	v_cmp_eq_u32_e32 vcc, 1, v73
	v_add_u32_e32 v71, 4, v66
	s_waitcnt lgkmcnt(1)
	v_and_b32_e32 v72, 1, v72
	v_cndmask_b32_e64 v72, v72, 1, vcc
	v_cmp_eq_u16_sdwa vcc, v58, v55 src0_sel:BYTE_0 src1_sel:DWORD
	v_and_b32_e32 v73, 0xffff, v72
	s_waitcnt lgkmcnt(0)
	v_cndmask_b32_e32 v59, 0, v59, vcc
	v_cmp_gt_u32_e32 vcc, v71, v41
	s_nop 1
	v_cndmask_b32_e32 v58, v72, v58, vcc
	v_cndmask_b32_e64 v59, v59, 0, vcc
	v_cndmask_b32_e32 v39, v73, v39, vcc
	v_cmp_gt_u32_e32 vcc, 56, v66
	v_add_u32_e32 v38, v59, v38
	v_and_b32_e32 v75, 1, v58
	v_cndmask_b32_e64 v72, 0, 1, vcc
	v_lshlrev_b32_e32 v72, 3, v72
	v_add_lshl_u32 v72, v72, v65, 2
	ds_bpermute_b32 v74, v72, v39
	ds_bpermute_b32 v59, v72, v38
	v_cmp_eq_u32_e32 vcc, 1, v75
	v_add_u32_e32 v73, 8, v66
	s_waitcnt lgkmcnt(1)
	v_and_b32_e32 v74, 1, v74
	v_cndmask_b32_e64 v74, v74, 1, vcc
	v_cmp_eq_u16_sdwa vcc, v58, v55 src0_sel:BYTE_0 src1_sel:DWORD
	v_and_b32_e32 v75, 0xffff, v74
	;; [unrolled: 22-line block ×3, first 2 shown]
	s_waitcnt lgkmcnt(0)
	v_cndmask_b32_e32 v59, 0, v59, vcc
	v_cmp_gt_u32_e32 vcc, v75, v41
	s_nop 1
	v_cndmask_b32_e32 v58, v76, v58, vcc
	v_cndmask_b32_e64 v59, v59, 0, vcc
	v_cndmask_b32_e32 v39, v77, v39, vcc
	v_cmp_gt_u32_e32 vcc, 32, v66
	v_add_u32_e32 v38, v59, v38
	s_nop 0
	v_cndmask_b32_e64 v76, 0, 1, vcc
	v_lshlrev_b32_e32 v76, 5, v76
	v_add_lshl_u32 v77, v76, v65, 2
	ds_bpermute_b32 v39, v77, v39
	ds_bpermute_b32 v59, v77, v38
	v_and_b32_e32 v65, 1, v58
	v_cmp_eq_u32_e32 vcc, 1, v65
	s_waitcnt lgkmcnt(1)
	v_and_b32_e32 v39, 1, v39
	v_cndmask_b32_e64 v39, v39, 1, vcc
	v_cmp_eq_u16_sdwa vcc, v58, v55 src0_sel:BYTE_0 src1_sel:DWORD
	s_waitcnt lgkmcnt(0)
	s_nop 0
	v_cndmask_b32_e32 v59, 0, v59, vcc
	v_cmp_gt_u32_e32 vcc, v78, v41
	s_nop 1
	v_cndmask_b32_e64 v41, v59, 0, vcc
	v_cndmask_b32_e32 v39, v39, v58, vcc
	v_add_u32_e32 v38, v41, v38
	s_branch .LBB1074_160
.LBB1074_159:                           ;   in Loop: Header=BB1074_160 Depth=1
	s_or_b64 exec, exec, s[0:1]
	v_cmp_eq_u16_sdwa s[0:1], v40, v35 src0_sel:BYTE_0 src1_sel:DWORD
	ds_bpermute_b32 v59, v67, v39
	v_and_b32_e32 v79, 1, v39
	v_and_b32_e32 v41, s1, v37
	v_or_b32_e32 v41, 0x80000000, v41
	v_and_b32_e32 v58, s0, v36
	v_ffbl_b32_e32 v41, v41
	v_add_u32_e32 v41, 32, v41
	v_ffbl_b32_e32 v58, v58
	v_min_u32_e32 v41, v58, v41
	ds_bpermute_b32 v58, v67, v38
	s_waitcnt lgkmcnt(1)
	v_and_b32_e32 v59, 1, v59
	v_cmp_eq_u32_e32 vcc, 1, v79
	v_cmp_lt_u32_e64 s[0:1], v66, v41
	v_subrev_u32_e32 v54, 64, v54
	v_cndmask_b32_e64 v59, v59, 1, vcc
	v_cmp_gt_u64_e32 vcc, s[52:53], v[38:39]
	v_and_b32_e32 v79, 0xffff, v59
	v_cndmask_b32_e64 v59, v39, v59, s[0:1]
	v_cndmask_b32_e64 v39, v39, v79, s[0:1]
	s_and_b64 vcc, s[0:1], vcc
	ds_bpermute_b32 v79, v68, v39
	s_waitcnt lgkmcnt(1)
	v_cndmask_b32_e32 v58, 0, v58, vcc
	v_add_u32_e32 v38, v58, v38
	ds_bpermute_b32 v58, v68, v38
	v_and_b32_e32 v80, 1, v59
	s_waitcnt lgkmcnt(1)
	v_and_b32_e32 v79, 1, v79
	v_cmp_eq_u32_e32 vcc, 1, v80
	s_nop 1
	v_cndmask_b32_e64 v79, v79, 1, vcc
	v_cmp_eq_u16_sdwa vcc, v59, v55 src0_sel:BYTE_0 src1_sel:DWORD
	v_and_b32_e32 v80, 0xffff, v79
	s_waitcnt lgkmcnt(0)
	v_cndmask_b32_e32 v58, 0, v58, vcc
	v_cmp_gt_u32_e32 vcc, v69, v41
	s_nop 1
	v_cndmask_b32_e32 v39, v80, v39, vcc
	v_cndmask_b32_e32 v59, v79, v59, vcc
	ds_bpermute_b32 v79, v70, v39
	v_cndmask_b32_e64 v58, v58, 0, vcc
	v_add_u32_e32 v38, v58, v38
	ds_bpermute_b32 v58, v70, v38
	v_and_b32_e32 v80, 1, v59
	s_waitcnt lgkmcnt(1)
	v_and_b32_e32 v79, 1, v79
	v_cmp_eq_u32_e32 vcc, 1, v80
	s_nop 1
	v_cndmask_b32_e64 v79, v79, 1, vcc
	v_cmp_eq_u16_sdwa vcc, v59, v55 src0_sel:BYTE_0 src1_sel:DWORD
	v_and_b32_e32 v80, 0xffff, v79
	s_waitcnt lgkmcnt(0)
	v_cndmask_b32_e32 v58, 0, v58, vcc
	v_cmp_gt_u32_e32 vcc, v71, v41
	s_nop 1
	v_cndmask_b32_e32 v39, v80, v39, vcc
	v_cndmask_b32_e32 v59, v79, v59, vcc
	ds_bpermute_b32 v79, v72, v39
	v_cndmask_b32_e64 v58, v58, 0, vcc
	v_add_u32_e32 v38, v58, v38
	ds_bpermute_b32 v58, v72, v38
	v_and_b32_e32 v80, 1, v59
	s_waitcnt lgkmcnt(1)
	v_and_b32_e32 v79, 1, v79
	v_cmp_eq_u32_e32 vcc, 1, v80
	s_nop 1
	v_cndmask_b32_e64 v79, v79, 1, vcc
	v_cmp_eq_u16_sdwa vcc, v59, v55 src0_sel:BYTE_0 src1_sel:DWORD
	v_and_b32_e32 v80, 0xffff, v79
	s_waitcnt lgkmcnt(0)
	v_cndmask_b32_e32 v58, 0, v58, vcc
	v_cmp_gt_u32_e32 vcc, v73, v41
	s_nop 1
	v_cndmask_b32_e32 v39, v80, v39, vcc
	v_cndmask_b32_e32 v59, v79, v59, vcc
	ds_bpermute_b32 v79, v74, v39
	v_cndmask_b32_e64 v58, v58, 0, vcc
	v_add_u32_e32 v38, v58, v38
	ds_bpermute_b32 v58, v74, v38
	v_and_b32_e32 v80, 1, v59
	s_waitcnt lgkmcnt(1)
	v_and_b32_e32 v79, 1, v79
	v_cmp_eq_u32_e32 vcc, 1, v80
	s_nop 1
	v_cndmask_b32_e64 v79, v79, 1, vcc
	v_cmp_eq_u16_sdwa vcc, v59, v55 src0_sel:BYTE_0 src1_sel:DWORD
	v_and_b32_e32 v80, 0xffff, v79
	s_waitcnt lgkmcnt(0)
	v_cndmask_b32_e32 v58, 0, v58, vcc
	v_cmp_gt_u32_e32 vcc, v75, v41
	s_nop 1
	v_cndmask_b32_e64 v58, v58, 0, vcc
	v_cndmask_b32_e32 v39, v80, v39, vcc
	ds_bpermute_b32 v39, v77, v39
	v_add_u32_e32 v38, v58, v38
	ds_bpermute_b32 v58, v77, v38
	v_cndmask_b32_e32 v59, v79, v59, vcc
	v_and_b32_e32 v79, 1, v59
	v_cmp_eq_u32_e32 vcc, 1, v79
	s_waitcnt lgkmcnt(1)
	s_nop 0
	v_cndmask_b32_e64 v39, v39, 1, vcc
	v_cmp_eq_u16_sdwa vcc, v59, v55 src0_sel:BYTE_0 src1_sel:DWORD
	s_waitcnt lgkmcnt(0)
	s_nop 0
	v_cndmask_b32_e32 v58, 0, v58, vcc
	v_cmp_gt_u32_e32 vcc, v78, v41
	s_nop 1
	v_cndmask_b32_e64 v41, v58, 0, vcc
	v_cndmask_b32_e32 v39, v39, v59, vcc
	v_add_u32_e32 v38, v41, v38
	v_cmp_eq_u16_sdwa vcc, v65, v55 src0_sel:BYTE_0 src1_sel:DWORD
	v_and_b32_e32 v41, 1, v65
	v_and_b32_e32 v39, 1, v39
	v_cndmask_b32_e32 v38, 0, v38, vcc
	v_cmp_eq_u32_e32 vcc, 1, v41
	v_add_u32_e32 v38, v38, v76
	s_nop 0
	v_cndmask_b32_e64 v39, v39, 1, vcc
.LBB1074_160:                           ; =>This Loop Header: Depth=1
                                        ;     Child Loop BB1074_163 Depth 2
	v_cmp_ne_u16_sdwa s[0:1], v40, v35 src0_sel:BYTE_0 src1_sel:DWORD
	v_mov_b32_e32 v65, v39
	v_mov_b32_e32 v76, v38
	v_cndmask_b32_e64 v39, 0, 1, s[0:1]
	;;#ASMSTART
	;;#ASMEND
	s_nop 0
	v_cmp_ne_u32_e32 vcc, 0, v39
	s_cmp_lg_u64 vcc, exec
	s_cbranch_scc1 .LBB1074_165
; %bb.161:                              ;   in Loop: Header=BB1074_160 Depth=1
	v_lshl_add_u64 v[58:59], v[54:55], 4, s[56:57]
	;;#ASMSTART
	global_load_dwordx4 v[38:41], v[58:59] off sc1	
s_waitcnt vmcnt(0)
	;;#ASMEND
	s_nop 0
	v_and_b32_e32 v41, 0xff0000, v38
	v_and_b32_e32 v79, 0xff000000, v38
	;; [unrolled: 1-line block ×3, first 2 shown]
	v_or_b32_sdwa v38, v38, v41 dst_sel:DWORD dst_unused:UNUSED_PAD src0_sel:WORD_0 src1_sel:DWORD
	v_or3_b32 v39, 0, 0, v39
	v_or3_b32 v38, v38, v79, 0
	v_cmp_eq_u16_sdwa s[60:61], v40, v55 src0_sel:BYTE_0 src1_sel:DWORD
	s_and_saveexec_b64 s[0:1], s[60:61]
	s_cbranch_execz .LBB1074_159
; %bb.162:                              ;   in Loop: Header=BB1074_160 Depth=1
	s_mov_b64 s[60:61], 0
.LBB1074_163:                           ;   Parent Loop BB1074_160 Depth=1
                                        ; =>  This Inner Loop Header: Depth=2
	;;#ASMSTART
	global_load_dwordx4 v[38:41], v[58:59] off sc1	
s_waitcnt vmcnt(0)
	;;#ASMEND
	s_nop 0
	v_cmp_ne_u16_sdwa s[68:69], v40, v55 src0_sel:BYTE_0 src1_sel:DWORD
	s_or_b64 s[60:61], s[68:69], s[60:61]
	s_andn2_b64 exec, exec, s[60:61]
	s_cbranch_execnz .LBB1074_163
; %bb.164:                              ;   in Loop: Header=BB1074_160 Depth=1
	s_or_b64 exec, exec, s[60:61]
	v_and_b32_e32 v39, 0xff, v39
	s_branch .LBB1074_159
.LBB1074_165:                           ;   in Loop: Header=BB1074_160 Depth=1
                                        ; implicit-def: $vgpr39
                                        ; implicit-def: $vgpr38
                                        ; implicit-def: $vgpr40
	s_cbranch_execz .LBB1074_160
; %bb.166:
	s_and_saveexec_b64 s[0:1], s[44:45]
	s_cbranch_execz .LBB1074_168
; %bb.167:
	s_and_b32 s52, s67, 0xff
	s_cmp_eq_u32 s52, 0
	s_cselect_b64 vcc, -1, 0
	s_bitcmp1_b32 s67, 0
	s_mov_b32 s53, 0
	s_cselect_b64 s[60:61], -1, 0
	s_add_i32 s52, s59, 64
	s_lshl_b64 s[52:53], s[52:53], 4
	v_cndmask_b32_e32 v35, 0, v76, vcc
	s_add_u32 s52, s56, s52
	v_add_u32_e32 v34, v35, v34
	v_and_b32_e32 v35, 1, v65
	s_addc_u32 s53, s57, s53
	v_mov_b32_e32 v37, 0
	v_cndmask_b32_e64 v35, v35, 1, s[60:61]
	v_mov_b32_e32 v36, 2
	v_mov_b64_e32 v[38:39], s[52:53]
	;;#ASMSTART
	global_store_dwordx4 v[38:39], v[34:37] off sc1	
s_waitcnt vmcnt(0)
	;;#ASMEND
.LBB1074_168:
	s_or_b64 exec, exec, s[0:1]
	s_and_b64 exec, exec, s[46:47]
	s_cbranch_execz .LBB1074_170
; %bb.169:
	v_mov_b32_e32 v34, 0
	ds_write_b32 v34, v76 offset:24
	ds_write_b8 v34, v65 offset:28
.LBB1074_170:
	s_or_b64 exec, exec, s[48:49]
	v_mov_b32_e32 v34, 0
	s_waitcnt lgkmcnt(0)
	s_barrier
	ds_read_b32 v35, v34 offset:24
	v_cndmask_b32_e64 v36, v64, v62, s[44:45]
	v_cmp_eq_u16_sdwa vcc, v36, v34 src0_sel:BYTE_0 src1_sel:DWORD
	v_cndmask_b32_e64 v37, v63, v61, s[44:45]
	s_waitcnt lgkmcnt(0)
	v_cndmask_b32_e32 v36, 0, v35, vcc
	v_add_u32_e32 v36, v36, v37
	v_cndmask_b32_e64 v40, v36, v35, s[46:47]
	v_and_b32_e32 v35, 0xff, v45
	v_cmp_eq_u64_e32 vcc, 0, v[34:35]
	s_nop 1
	v_cndmask_b32_e32 v34, 0, v40, vcc
	v_add_u32_e32 v35, v34, v44
	v_cndmask_b32_e64 v34, 0, v35, s[4:5]
	v_add_u32_e32 v36, v34, v8
	v_cndmask_b32_e64 v34, 0, v36, s[6:7]
	;; [unrolled: 2-line block ×19, first 2 shown]
	v_add_u32_e32 v34, v34, v32
	s_branch .LBB1074_185
.LBB1074_171:
                                        ; implicit-def: $vgpr69
                                        ; implicit-def: $vgpr68
                                        ; implicit-def: $vgpr67
                                        ; implicit-def: $vgpr66
                                        ; implicit-def: $vgpr65
                                        ; implicit-def: $vgpr64
                                        ; implicit-def: $vgpr63
                                        ; implicit-def: $vgpr62
                                        ; implicit-def: $vgpr61
                                        ; implicit-def: $vgpr59
                                        ; implicit-def: $vgpr58
                                        ; implicit-def: $vgpr55
                                        ; implicit-def: $vgpr54
                                        ; implicit-def: $vgpr41
                                        ; implicit-def: $vgpr39
                                        ; implicit-def: $vgpr38
                                        ; implicit-def: $vgpr37
                                        ; implicit-def: $vgpr36
                                        ; implicit-def: $vgpr35
                                        ; implicit-def: $vgpr40
                                        ; implicit-def: $vgpr34
	s_cbranch_execz .LBB1074_185
; %bb.172:
	s_cmp_lg_u64 s[64:65], 0
	s_cselect_b32 s5, s63, 0
	s_cselect_b32 s4, s62, 0
	s_mov_b32 s0, 0
	s_cmp_eq_u64 s[4:5], 0
	v_mov_b32_e32 v70, s66
	s_cbranch_scc1 .LBB1074_174
; %bb.173:
	v_mov_b32_e32 v34, 0
	global_load_dword v70, v34, s[4:5]
.LBB1074_174:
	s_mov_b32 s1, 1
	v_cmp_gt_u64_e32 vcc, s[0:1], v[8:9]
	v_cmp_gt_u64_e64 s[4:5], s[0:1], v[6:7]
	v_cmp_gt_u64_e64 s[6:7], s[0:1], v[4:5]
	v_cndmask_b32_e32 v35, 0, v44, vcc
	v_add_u32_e32 v35, v35, v8
	v_cndmask_b32_e64 v35, 0, v35, s[4:5]
	v_add_u32_e32 v35, v35, v6
	v_cndmask_b32_e64 v35, 0, v35, s[6:7]
	v_add_u32_e32 v35, v35, v4
	v_cmp_gt_u64_e64 s[8:9], s[0:1], v[2:3]
	v_cmp_gt_u64_e64 s[10:11], s[0:1], v[46:47]
	v_cmp_gt_u64_e64 s[12:13], s[0:1], v[16:17]
	v_cndmask_b32_e64 v35, 0, v35, s[8:9]
	v_add_u32_e32 v35, v35, v2
	v_cndmask_b32_e64 v35, 0, v35, s[10:11]
	v_add_u32_e32 v35, v35, v46
	v_cndmask_b32_e64 v35, 0, v35, s[12:13]
	v_add_u32_e32 v35, v35, v16
	v_cmp_gt_u64_e64 s[14:15], s[0:1], v[14:15]
	v_cmp_gt_u64_e64 s[16:17], s[0:1], v[12:13]
	v_cmp_gt_u64_e64 s[18:19], s[0:1], v[10:11]
	v_cndmask_b32_e64 v35, 0, v35, s[14:15]
	;; [unrolled: 9-line block ×5, first 2 shown]
	v_add_u32_e32 v35, v35, v26
	v_cndmask_b32_e64 v35, 0, v35, s[36:37]
	v_add_u32_e32 v35, v35, v28
	v_cndmask_b32_e64 v35, 0, v35, s[38:39]
	v_add_u32_e32 v35, v35, v30
	v_cmp_gt_u64_e64 s[40:41], s[0:1], v[32:33]
	v_or_b32_e32 v23, v31, v23
	v_mov_b32_e32 v34, 0
	v_cndmask_b32_e64 v35, 0, v35, s[40:41]
	v_add_u32_e32 v35, v35, v32
	v_cmp_gt_u64_e64 s[0:1], s[0:1], v[52:53]
	v_or_b32_e32 v25, v33, v25
	v_or3_b32 v7, v23, v15, v7
	v_cndmask_b32_e64 v35, 0, v35, s[0:1]
	v_or_b32_e32 v19, v27, v19
	v_or3_b32 v9, v25, v17, v9
	v_and_b32_e32 v41, 1, v7
	v_mov_b32_e32 v40, v34
	v_and_b32_e32 v36, 1, v47
	v_add_u32_e32 v47, v35, v52
	v_and_b32_e32 v35, 1, v53
	v_or_b32_e32 v21, v29, v21
	v_or3_b32 v3, v19, v11, v3
	v_and_b32_e32 v39, 1, v9
	v_mov_b32_e32 v38, v34
	v_cmp_ne_u64_e64 s[44:45], 0, v[40:41]
	v_cmp_eq_u32_e64 s[0:1], 1, v35
	v_or3_b32 v5, v21, v13, v5
	v_and_b32_e32 v35, 1, v3
	v_cndmask_b32_e64 v3, 0, 1, s[44:45]
	v_cmp_ne_u64_e64 s[44:45], 0, v[38:39]
	v_cmp_eq_u32_e64 s[42:43], 1, v36
	v_and_b32_e32 v37, 1, v5
	v_mov_b32_e32 v36, v34
	v_cndmask_b32_e64 v5, 0, 1, s[44:45]
	v_lshlrev_b16_e32 v3, 2, v3
	v_lshlrev_b16_e32 v5, 3, v5
	v_cmp_ne_u64_e64 s[44:45], 0, v[36:37]
	v_or_b32_e32 v3, v5, v3
	v_mov_b32_dpp v11, v47 row_shr:1 row_mask:0xf bank_mask:0xf
	v_cndmask_b32_e64 v5, 0, 1, s[44:45]
	v_cmp_ne_u64_e64 s[44:45], 0, v[34:35]
	v_lshlrev_b16_e32 v5, 1, v5
	s_nop 0
	v_cndmask_b32_e64 v7, 0, 1, s[44:45]
	v_or_b32_e32 v5, v7, v5
	v_and_b32_e32 v5, 3, v5
	v_or_b32_e32 v3, v5, v3
	v_and_b32_e32 v3, 15, v3
	v_cmp_ne_u16_e64 s[44:45], 0, v3
	v_or_b32_e32 v3, v51, v49
	v_and_b32_e32 v3, 1, v3
	s_or_b64 s[44:45], s[0:1], s[44:45]
	v_cmp_eq_u32_e64 s[0:1], 1, v3
	s_or_b64 s[0:1], s[44:45], s[0:1]
	s_or_b64 s[0:1], s[0:1], s[42:43]
	v_cndmask_b32_e64 v5, v45, 1, s[0:1]
	v_and_b32_e32 v7, 0xff, v5
	v_cmp_eq_u16_e64 s[0:1], 0, v7
	v_and_b32_e32 v15, 1, v5
	v_mov_b32_dpp v13, v7 row_shr:1 row_mask:0xf bank_mask:0xf
	v_mbcnt_hi_u32_b32 v3, -1, v60
	v_cndmask_b32_e64 v11, 0, v11, s[0:1]
	v_and_b32_e32 v13, 1, v13
	v_cmp_eq_u32_e64 s[0:1], 1, v15
	v_and_b32_e32 v9, 15, v3
	s_nop 0
	v_cndmask_b32_e64 v13, v13, 1, s[0:1]
	v_and_b32_e32 v15, 0xffff, v13
	v_cmp_eq_u32_e64 s[0:1], 0, v9
	s_nop 1
	v_cndmask_b32_e64 v5, v13, v5, s[0:1]
	v_cndmask_b32_e64 v7, v15, v7, s[0:1]
	v_and_b32_e32 v17, 1, v5
	v_cndmask_b32_e64 v11, v11, 0, s[0:1]
	v_mov_b32_dpp v15, v7 row_shr:2 row_mask:0xf bank_mask:0xf
	v_and_b32_e32 v15, 1, v15
	v_cmp_eq_u32_e64 s[0:1], 1, v17
	v_add_u32_e32 v11, v11, v47
	v_cmp_eq_u16_sdwa s[42:43], v5, v34 src0_sel:BYTE_0 src1_sel:DWORD
	v_cndmask_b32_e64 v15, v15, 1, s[0:1]
	v_and_b32_e32 v17, 0xffff, v15
	v_cmp_lt_u32_e64 s[0:1], 1, v9
	v_mov_b32_dpp v13, v11 row_shr:2 row_mask:0xf bank_mask:0xf
	s_nop 0
	v_cndmask_b32_e64 v5, v5, v15, s[0:1]
	v_cndmask_b32_e64 v7, v7, v17, s[0:1]
	s_and_b64 s[0:1], s[0:1], s[42:43]
	v_and_b32_e32 v17, 1, v5
	v_mov_b32_dpp v15, v7 row_shr:4 row_mask:0xf bank_mask:0xf
	v_cndmask_b32_e64 v13, 0, v13, s[0:1]
	v_and_b32_e32 v15, 1, v15
	v_cmp_eq_u32_e64 s[0:1], 1, v17
	v_add_u32_e32 v11, v13, v11
	v_cmp_eq_u16_sdwa s[42:43], v5, v34 src0_sel:BYTE_0 src1_sel:DWORD
	v_cndmask_b32_e64 v15, v15, 1, s[0:1]
	v_and_b32_e32 v17, 0xffff, v15
	v_cmp_lt_u32_e64 s[0:1], 3, v9
	v_mov_b32_dpp v13, v11 row_shr:4 row_mask:0xf bank_mask:0xf
	s_nop 0
	v_cndmask_b32_e64 v5, v5, v15, s[0:1]
	v_cndmask_b32_e64 v7, v7, v17, s[0:1]
	s_and_b64 s[0:1], s[0:1], s[42:43]
	v_and_b32_e32 v17, 1, v5
	v_mov_b32_dpp v15, v7 row_shr:8 row_mask:0xf bank_mask:0xf
	v_cndmask_b32_e64 v13, 0, v13, s[0:1]
	v_and_b32_e32 v15, 1, v15
	v_cmp_eq_u32_e64 s[0:1], 1, v17
	v_add_u32_e32 v11, v13, v11
	v_cmp_eq_u16_sdwa s[42:43], v5, v34 src0_sel:BYTE_0 src1_sel:DWORD
	v_cndmask_b32_e64 v15, v15, 1, s[0:1]
	v_and_b32_e32 v17, 0xffff, v15
	v_cmp_lt_u32_e64 s[0:1], 7, v9
	v_mov_b32_dpp v13, v11 row_shr:8 row_mask:0xf bank_mask:0xf
	s_nop 0
	v_cndmask_b32_e64 v5, v5, v15, s[0:1]
	v_cndmask_b32_e64 v7, v7, v17, s[0:1]
	s_and_b64 s[0:1], s[0:1], s[42:43]
	v_cndmask_b32_e64 v9, 0, v13, s[0:1]
	v_add_u32_e32 v9, v9, v11
	v_mov_b32_dpp v13, v7 row_bcast:15 row_mask:0xf bank_mask:0xf
	v_cmp_eq_u16_sdwa s[0:1], v5, v34 src0_sel:BYTE_0 src1_sel:DWORD
	v_mov_b32_dpp v11, v9 row_bcast:15 row_mask:0xf bank_mask:0xf
	v_and_b32_e32 v19, 1, v5
	v_cndmask_b32_e64 v11, 0, v11, s[0:1]
	v_and_b32_e32 v13, 1, v13
	v_cmp_eq_u32_e64 s[0:1], 1, v19
	v_and_b32_e32 v17, 16, v3
	v_bfe_i32 v15, v3, 4, 1
	v_cndmask_b32_e64 v13, v13, 1, s[0:1]
	v_and_b32_e32 v19, 0xffff, v13
	v_cmp_eq_u32_e64 s[0:1], 0, v17
	v_and_b32_e32 v11, v15, v11
	v_add_u32_e32 v9, v11, v9
	v_cndmask_b32_e64 v5, v13, v5, s[0:1]
	v_cndmask_b32_e64 v7, v19, v7, s[0:1]
	v_and_b32_e32 v13, 1, v5
	v_cmp_eq_u32_e64 s[0:1], 1, v13
	v_mov_b32_dpp v7, v7 row_bcast:31 row_mask:0xf bank_mask:0xf
	v_and_b32_e32 v7, 1, v7
	v_cmp_eq_u16_sdwa s[42:43], v5, v34 src0_sel:BYTE_0 src1_sel:DWORD
	v_cndmask_b32_e64 v7, v7, 1, s[0:1]
	v_cmp_lt_u32_e64 s[0:1], 31, v3
	v_mov_b32_dpp v11, v9 row_bcast:31 row_mask:0xf bank_mask:0xf
	s_nop 0
	v_cndmask_b32_e64 v5, v5, v7, s[0:1]
	s_and_b64 s[0:1], s[0:1], s[42:43]
	v_cndmask_b32_e64 v7, 0, v11, s[0:1]
	v_add_u32_e32 v7, v7, v9
	v_cmp_eq_u32_e64 s[0:1], v57, v0
	s_and_saveexec_b64 s[42:43], s[0:1]
	s_cbranch_execz .LBB1074_176
; %bb.175:
	v_lshlrev_b32_e32 v9, 3, v1
	ds_write_b32 v9, v7
	ds_write_b8 v9, v5 offset:4
.LBB1074_176:
	s_or_b64 exec, exec, s[42:43]
	v_cmp_gt_u32_e64 s[0:1], 4, v0
	s_waitcnt lgkmcnt(0)
	s_barrier
	s_and_saveexec_b64 s[42:43], s[0:1]
	s_cbranch_execz .LBB1074_180
; %bb.177:
	v_lshlrev_b32_e32 v9, 3, v0
	ds_read_b64 v[34:35], v9
	v_and_b32_e32 v11, 3, v3
	v_cmp_ne_u32_e64 s[0:1], 0, v11
	s_waitcnt lgkmcnt(0)
	v_mov_b32_dpp v13, v34 row_shr:1 row_mask:0xf bank_mask:0xf
	v_mov_b32_dpp v17, v35 row_shr:1 row_mask:0xf bank_mask:0xf
	v_mov_b32_e32 v15, v35
	s_and_saveexec_b64 s[44:45], s[0:1]
	s_cbranch_execz .LBB1074_179
; %bb.178:
	v_and_b32_e32 v15, 1, v35
	v_and_b32_e32 v17, 1, v17
	v_cmp_eq_u32_e64 s[0:1], 1, v15
	v_mov_b32_e32 v15, 0
	s_nop 0
	v_cndmask_b32_e64 v17, v17, 1, s[0:1]
	v_cmp_eq_u16_sdwa s[0:1], v35, v15 src0_sel:BYTE_0 src1_sel:DWORD
	s_nop 1
	v_cndmask_b32_e64 v13, 0, v13, s[0:1]
	v_add_u32_e32 v34, v13, v34
	v_and_b32_e32 v13, 0xffff, v17
	s_movk_i32 s0, 0xff00
	v_and_or_b32 v15, v35, s0, v13
	v_mov_b32_e32 v35, v17
.LBB1074_179:
	s_or_b64 exec, exec, s[44:45]
	v_mov_b32_dpp v15, v15 row_shr:2 row_mask:0xf bank_mask:0xf
	v_and_b32_e32 v17, 1, v35
	v_and_b32_e32 v15, 1, v15
	v_cmp_eq_u32_e64 s[0:1], 1, v17
	v_mov_b32_e32 v17, 0
	v_cmp_eq_u16_sdwa s[44:45], v35, v17 src0_sel:BYTE_0 src1_sel:DWORD
	v_cndmask_b32_e64 v15, v15, 1, s[0:1]
	v_cmp_lt_u32_e64 s[0:1], 1, v11
	v_mov_b32_dpp v13, v34 row_shr:2 row_mask:0xf bank_mask:0xf
	s_nop 0
	v_cndmask_b32_e64 v11, v35, v15, s[0:1]
	s_and_b64 s[0:1], s[0:1], s[44:45]
	v_cndmask_b32_e64 v13, 0, v13, s[0:1]
	v_add_u32_e32 v13, v13, v34
	ds_write_b32 v9, v13
	ds_write_b8 v9, v11 offset:4
.LBB1074_180:
	s_or_b64 exec, exec, s[42:43]
	v_cmp_lt_u32_e64 s[0:1], 63, v0
	s_waitcnt vmcnt(0)
	v_mov_b32_e32 v9, v70
	s_waitcnt lgkmcnt(0)
	s_barrier
	s_and_saveexec_b64 s[42:43], s[0:1]
	s_cbranch_execz .LBB1074_182
; %bb.181:
	v_lshl_add_u32 v1, v1, 3, -8
	ds_read_u8 v9, v1 offset:4
	ds_read_b32 v1, v1
	s_waitcnt lgkmcnt(1)
	v_cmp_eq_u16_e64 s[0:1], 0, v9
	s_nop 1
	v_cndmask_b32_e64 v9, 0, v70, s[0:1]
	s_waitcnt lgkmcnt(0)
	v_add_u32_e32 v9, v9, v1
.LBB1074_182:
	s_or_b64 exec, exec, s[42:43]
	v_mov_b32_e32 v34, 0
	v_cmp_eq_u16_sdwa s[0:1], v5, v34 src0_sel:BYTE_0 src1_sel:DWORD
	v_add_u32_e32 v5, -1, v3
	v_and_b32_e32 v35, 0xff, v45
	v_cndmask_b32_e64 v1, 0, v9, s[0:1]
	v_add_u32_e32 v1, v1, v7
	v_and_b32_e32 v7, 64, v3
	v_cmp_lt_i32_e64 s[0:1], v5, v7
	s_nop 1
	v_cndmask_b32_e64 v5, v5, v3, s[0:1]
	v_lshlrev_b32_e32 v5, 2, v5
	ds_bpermute_b32 v1, v5, v1
	v_cmp_eq_u32_e64 s[0:1], 0, v3
	s_waitcnt lgkmcnt(0)
	s_nop 0
	v_cndmask_b32_e64 v40, v1, v9, s[0:1]
	v_cndmask_b32_e64 v1, v40, v70, s[46:47]
	v_cmp_eq_u64_e64 s[0:1], 0, v[34:35]
	s_nop 1
	v_cndmask_b32_e64 v1, 0, v1, s[0:1]
	v_add_u32_e32 v35, v1, v44
	v_cndmask_b32_e32 v1, 0, v35, vcc
	v_add_u32_e32 v36, v1, v8
	v_cndmask_b32_e64 v1, 0, v36, s[4:5]
	v_add_u32_e32 v37, v1, v6
	v_cndmask_b32_e64 v1, 0, v37, s[6:7]
	;; [unrolled: 2-line block ×18, first 2 shown]
	s_and_saveexec_b64 s[0:1], s[46:47]
	s_cbranch_execz .LBB1074_184
; %bb.183:
	ds_read_u8 v3, v34 offset:28
	ds_read_b32 v2, v34 offset:24
	s_add_u32 s4, s56, 0x400
	s_addc_u32 s5, s57, 0
	v_mov_b32_e32 v5, v34
	s_waitcnt lgkmcnt(1)
	v_cmp_eq_u16_e32 vcc, 0, v3
	v_and_b32_e32 v3, 0xffff, v3
	v_mov_b64_e32 v[6:7], s[4:5]
	v_cndmask_b32_e32 v4, 0, v70, vcc
	s_waitcnt lgkmcnt(0)
	v_add_u32_e32 v2, v4, v2
	v_mov_b32_e32 v4, 2
	;;#ASMSTART
	global_store_dwordx4 v[6:7], v[2:5] off sc1	
s_waitcnt vmcnt(0)
	;;#ASMEND
	v_mov_b32_e32 v40, v70
.LBB1074_184:
	s_or_b64 exec, exec, s[0:1]
	v_add_u32_e32 v34, v1, v32
.LBB1074_185:
	s_add_u32 s0, s54, s50
	s_addc_u32 s1, s55, s51
	v_lshl_add_u64 v[2:3], s[0:1], 0, v[42:43]
	s_and_b64 vcc, exec, s[2:3]
	s_cbranch_vccz .LBB1074_227
; %bb.186:
	s_movk_i32 s0, 0x54
	v_mul_i32_i24_e32 v26, 0xffffffb0, v0
	v_mul_u32_u24_e32 v1, 0x54, v0
	v_mad_u32_u24 v4, v0, s0, v26
	s_barrier
	ds_write2_b32 v1, v40, v35 offset1:1
	ds_write2_b32 v1, v36, v37 offset0:2 offset1:3
	ds_write2_b32 v1, v38, v39 offset0:4 offset1:5
	;; [unrolled: 1-line block ×9, first 2 shown]
	ds_write_b32 v1, v34 offset:80
	s_waitcnt lgkmcnt(0)
	s_barrier
	ds_read2st64_b32 v[24:25], v4 offset0:4 offset1:8
	ds_read2st64_b32 v[22:23], v4 offset0:12 offset1:16
	;; [unrolled: 1-line block ×10, first 2 shown]
	s_add_i32 s33, s33, s58
	v_mov_b32_e32 v57, 0
	v_lshl_add_u64 v[6:7], v[2:3], 0, v[56:57]
	v_cmp_gt_u32_e32 vcc, s33, v0
	s_and_saveexec_b64 s[0:1], vcc
	s_cbranch_execz .LBB1074_188
; %bb.187:
	v_add_u32_e32 v1, v1, v26
	ds_read_b32 v1, v1
	s_waitcnt lgkmcnt(0)
	flat_store_short v[6:7], v1
.LBB1074_188:
	s_or_b64 exec, exec, s[0:1]
	v_or_b32_e32 v1, 0x100, v0
	v_cmp_gt_u32_e32 vcc, s33, v1
	s_and_saveexec_b64 s[0:1], vcc
	s_cbranch_execz .LBB1074_190
; %bb.189:
	s_waitcnt lgkmcnt(0)
	flat_store_short v[6:7], v24 offset:512
.LBB1074_190:
	s_or_b64 exec, exec, s[0:1]
	v_or_b32_e32 v1, 0x200, v0
	v_cmp_gt_u32_e32 vcc, s33, v1
	s_and_saveexec_b64 s[0:1], vcc
	s_cbranch_execz .LBB1074_192
; %bb.191:
	s_waitcnt lgkmcnt(0)
	flat_store_short v[6:7], v25 offset:1024
.LBB1074_192:
	;; [unrolled: 9-line block ×7, first 2 shown]
	s_or_b64 exec, exec, s[0:1]
	v_or_b32_e32 v1, 0x800, v0
	v_cmp_gt_u32_e32 vcc, s33, v1
	s_and_saveexec_b64 s[0:1], vcc
	s_cbranch_execz .LBB1074_204
; %bb.203:
	s_waitcnt lgkmcnt(0)
	v_add_co_u32_e32 v20, vcc, 0x1000, v6
	s_nop 1
	v_addc_co_u32_e32 v21, vcc, 0, v7, vcc
	flat_store_short v[20:21], v19
.LBB1074_204:
	s_or_b64 exec, exec, s[0:1]
	v_or_b32_e32 v1, 0x900, v0
	v_cmp_gt_u32_e32 vcc, s33, v1
	s_and_saveexec_b64 s[0:1], vcc
	s_cbranch_execz .LBB1074_206
; %bb.205:
	s_waitcnt lgkmcnt(0)
	v_add_co_u32_e32 v18, vcc, 0x1000, v6
	s_nop 1
	v_addc_co_u32_e32 v19, vcc, 0, v7, vcc
	flat_store_short v[18:19], v16 offset:512
.LBB1074_206:
	s_or_b64 exec, exec, s[0:1]
	v_or_b32_e32 v1, 0xa00, v0
	v_cmp_gt_u32_e32 vcc, s33, v1
	s_and_saveexec_b64 s[0:1], vcc
	s_cbranch_execz .LBB1074_208
; %bb.207:
	s_waitcnt lgkmcnt(0)
	v_add_co_u32_e32 v18, vcc, 0x1000, v6
	s_nop 1
	v_addc_co_u32_e32 v19, vcc, 0, v7, vcc
	flat_store_short v[18:19], v17 offset:1024
.LBB1074_208:
	;; [unrolled: 12-line block ×7, first 2 shown]
	s_or_b64 exec, exec, s[0:1]
	v_or_b32_e32 v1, 0x1000, v0
	v_cmp_gt_u32_e32 vcc, s33, v1
	s_and_saveexec_b64 s[0:1], vcc
	s_cbranch_execz .LBB1074_220
; %bb.219:
	s_waitcnt lgkmcnt(0)
	v_add_co_u32_e32 v12, vcc, 0x2000, v6
	s_nop 1
	v_addc_co_u32_e32 v13, vcc, 0, v7, vcc
	flat_store_short v[12:13], v11
.LBB1074_220:
	s_or_b64 exec, exec, s[0:1]
	v_or_b32_e32 v1, 0x1100, v0
	v_cmp_gt_u32_e32 vcc, s33, v1
	s_and_saveexec_b64 s[0:1], vcc
	s_cbranch_execz .LBB1074_222
; %bb.221:
	s_waitcnt lgkmcnt(0)
	v_add_co_u32_e32 v10, vcc, 0x2000, v6
	s_nop 1
	v_addc_co_u32_e32 v11, vcc, 0, v7, vcc
	flat_store_short v[10:11], v8 offset:512
.LBB1074_222:
	s_or_b64 exec, exec, s[0:1]
	v_or_b32_e32 v1, 0x1200, v0
	v_cmp_gt_u32_e32 vcc, s33, v1
	s_and_saveexec_b64 s[0:1], vcc
	s_cbranch_execz .LBB1074_224
; %bb.223:
	s_waitcnt lgkmcnt(0)
	v_add_co_u32_e32 v10, vcc, 0x2000, v6
	s_nop 1
	v_addc_co_u32_e32 v11, vcc, 0, v7, vcc
	flat_store_short v[10:11], v9 offset:1024
.LBB1074_224:
	s_or_b64 exec, exec, s[0:1]
	v_or_b32_e32 v1, 0x1300, v0
	v_cmp_gt_u32_e32 vcc, s33, v1
	s_and_saveexec_b64 s[0:1], vcc
	s_cbranch_execz .LBB1074_226
; %bb.225:
	v_add_co_u32_e32 v6, vcc, 0x2000, v6
	s_nop 1
	v_addc_co_u32_e32 v7, vcc, 0, v7, vcc
	s_waitcnt lgkmcnt(0)
	flat_store_short v[6:7], v4 offset:1536
.LBB1074_226:
	s_or_b64 exec, exec, s[0:1]
	s_waitcnt lgkmcnt(0)
	v_or_b32_e32 v4, 0x1400, v0
	v_mov_b32_e32 v1, v57
	v_cmp_gt_u32_e64 s[0:1], s33, v4
	s_branch .LBB1074_229
.LBB1074_227:
	s_mov_b64 s[0:1], 0
                                        ; implicit-def: $vgpr5
	s_cbranch_execz .LBB1074_229
; %bb.228:
	v_mul_u32_u24_e32 v1, 0x54, v0
	s_barrier
	s_movk_i32 s2, 0x54
	ds_write2_b32 v1, v40, v35 offset1:1
	ds_write2_b32 v1, v36, v37 offset0:2 offset1:3
	ds_write2_b32 v1, v38, v39 offset0:4 offset1:5
	;; [unrolled: 1-line block ×9, first 2 shown]
	ds_write_b32 v1, v34 offset:80
	v_mov_b32_e32 v1, 0
	v_mul_i32_i24_e32 v4, 0xffffffb0, v0
	v_mad_u32_u24 v4, v0, s2, v4
	v_mov_b32_e32 v57, v1
	s_waitcnt lgkmcnt(0)
	s_barrier
	ds_read2st64_b32 v[6:7], v4 offset1:4
	ds_read2st64_b32 v[8:9], v4 offset0:8 offset1:12
	ds_read2st64_b32 v[10:11], v4 offset0:16 offset1:20
	;; [unrolled: 1-line block ×9, first 2 shown]
	ds_read_b32 v5, v4 offset:20480
	v_lshl_add_u64 v[26:27], v[2:3], 0, v[56:57]
	s_movk_i32 s2, 0x1000
	s_waitcnt lgkmcnt(0)
	flat_store_short v[26:27], v6
	flat_store_short v[26:27], v7 offset:512
	flat_store_short v[26:27], v8 offset:1024
	;; [unrolled: 1-line block ×7, first 2 shown]
	v_add_co_u32_e32 v6, vcc, s2, v26
	s_or_b64 s[0:1], s[0:1], exec
	s_nop 0
	v_addc_co_u32_e32 v7, vcc, 0, v27, vcc
	flat_store_short v[6:7], v14
	flat_store_short v[6:7], v15 offset:512
	flat_store_short v[6:7], v16 offset:1024
	flat_store_short v[6:7], v17 offset:1536
	flat_store_short v[6:7], v18 offset:2048
	flat_store_short v[6:7], v19 offset:2560
	flat_store_short v[6:7], v20 offset:3072
	flat_store_short v[6:7], v21 offset:3584
	v_add_co_u32_e32 v6, vcc, 0x2000, v26
	s_nop 1
	v_addc_co_u32_e32 v7, vcc, 0, v27, vcc
	flat_store_short v[6:7], v22
	flat_store_short v[6:7], v23 offset:512
	flat_store_short v[6:7], v24 offset:1024
	;; [unrolled: 1-line block ×3, first 2 shown]
.LBB1074_229:
	s_and_saveexec_b64 s[2:3], s[0:1]
	s_cbranch_execz .LBB1074_231
; %bb.230:
	v_lshl_add_u64 v[0:1], v[0:1], 1, v[2:3]
	v_add_co_u32_e32 v0, vcc, 0x2000, v0
	s_nop 1
	v_addc_co_u32_e32 v1, vcc, 0, v1, vcc
	flat_store_short v[0:1], v5 offset:2048
	s_endpgm
.LBB1074_231:
	s_endpgm
	.section	.rodata,"a",@progbits
	.p2align	6, 0x0
	.amdhsa_kernel _ZN7rocprim17ROCPRIM_400000_NS6detail17trampoline_kernelINS0_14default_configENS1_27scan_by_key_config_selectorIsiEEZZNS1_16scan_by_key_implILNS1_25lookback_scan_determinismE0ELb1ES3_N6thrust23THRUST_200600_302600_NS6detail15normal_iteratorINS9_10device_ptrIsEEEESE_SE_iNS9_4plusIvEENS9_8equal_toIvEEiEE10hipError_tPvRmT2_T3_T4_T5_mT6_T7_P12ihipStream_tbENKUlT_T0_E_clISt17integral_constantIbLb0EESY_IbLb1EEEEDaSU_SV_EUlSU_E_NS1_11comp_targetILNS1_3genE5ELNS1_11target_archE942ELNS1_3gpuE9ELNS1_3repE0EEENS1_30default_config_static_selectorELNS0_4arch9wavefront6targetE1EEEvT1_
		.amdhsa_group_segment_fixed_size 21504
		.amdhsa_private_segment_fixed_size 0
		.amdhsa_kernarg_size 112
		.amdhsa_user_sgpr_count 2
		.amdhsa_user_sgpr_dispatch_ptr 0
		.amdhsa_user_sgpr_queue_ptr 0
		.amdhsa_user_sgpr_kernarg_segment_ptr 1
		.amdhsa_user_sgpr_dispatch_id 0
		.amdhsa_user_sgpr_kernarg_preload_length 0
		.amdhsa_user_sgpr_kernarg_preload_offset 0
		.amdhsa_user_sgpr_private_segment_size 0
		.amdhsa_uses_dynamic_stack 0
		.amdhsa_enable_private_segment 0
		.amdhsa_system_sgpr_workgroup_id_x 1
		.amdhsa_system_sgpr_workgroup_id_y 0
		.amdhsa_system_sgpr_workgroup_id_z 0
		.amdhsa_system_sgpr_workgroup_info 0
		.amdhsa_system_vgpr_workitem_id 0
		.amdhsa_next_free_vgpr 81
		.amdhsa_next_free_sgpr 76
		.amdhsa_accum_offset 84
		.amdhsa_reserve_vcc 1
		.amdhsa_float_round_mode_32 0
		.amdhsa_float_round_mode_16_64 0
		.amdhsa_float_denorm_mode_32 3
		.amdhsa_float_denorm_mode_16_64 3
		.amdhsa_dx10_clamp 1
		.amdhsa_ieee_mode 1
		.amdhsa_fp16_overflow 0
		.amdhsa_tg_split 0
		.amdhsa_exception_fp_ieee_invalid_op 0
		.amdhsa_exception_fp_denorm_src 0
		.amdhsa_exception_fp_ieee_div_zero 0
		.amdhsa_exception_fp_ieee_overflow 0
		.amdhsa_exception_fp_ieee_underflow 0
		.amdhsa_exception_fp_ieee_inexact 0
		.amdhsa_exception_int_div_zero 0
	.end_amdhsa_kernel
	.section	.text._ZN7rocprim17ROCPRIM_400000_NS6detail17trampoline_kernelINS0_14default_configENS1_27scan_by_key_config_selectorIsiEEZZNS1_16scan_by_key_implILNS1_25lookback_scan_determinismE0ELb1ES3_N6thrust23THRUST_200600_302600_NS6detail15normal_iteratorINS9_10device_ptrIsEEEESE_SE_iNS9_4plusIvEENS9_8equal_toIvEEiEE10hipError_tPvRmT2_T3_T4_T5_mT6_T7_P12ihipStream_tbENKUlT_T0_E_clISt17integral_constantIbLb0EESY_IbLb1EEEEDaSU_SV_EUlSU_E_NS1_11comp_targetILNS1_3genE5ELNS1_11target_archE942ELNS1_3gpuE9ELNS1_3repE0EEENS1_30default_config_static_selectorELNS0_4arch9wavefront6targetE1EEEvT1_,"axG",@progbits,_ZN7rocprim17ROCPRIM_400000_NS6detail17trampoline_kernelINS0_14default_configENS1_27scan_by_key_config_selectorIsiEEZZNS1_16scan_by_key_implILNS1_25lookback_scan_determinismE0ELb1ES3_N6thrust23THRUST_200600_302600_NS6detail15normal_iteratorINS9_10device_ptrIsEEEESE_SE_iNS9_4plusIvEENS9_8equal_toIvEEiEE10hipError_tPvRmT2_T3_T4_T5_mT6_T7_P12ihipStream_tbENKUlT_T0_E_clISt17integral_constantIbLb0EESY_IbLb1EEEEDaSU_SV_EUlSU_E_NS1_11comp_targetILNS1_3genE5ELNS1_11target_archE942ELNS1_3gpuE9ELNS1_3repE0EEENS1_30default_config_static_selectorELNS0_4arch9wavefront6targetE1EEEvT1_,comdat
.Lfunc_end1074:
	.size	_ZN7rocprim17ROCPRIM_400000_NS6detail17trampoline_kernelINS0_14default_configENS1_27scan_by_key_config_selectorIsiEEZZNS1_16scan_by_key_implILNS1_25lookback_scan_determinismE0ELb1ES3_N6thrust23THRUST_200600_302600_NS6detail15normal_iteratorINS9_10device_ptrIsEEEESE_SE_iNS9_4plusIvEENS9_8equal_toIvEEiEE10hipError_tPvRmT2_T3_T4_T5_mT6_T7_P12ihipStream_tbENKUlT_T0_E_clISt17integral_constantIbLb0EESY_IbLb1EEEEDaSU_SV_EUlSU_E_NS1_11comp_targetILNS1_3genE5ELNS1_11target_archE942ELNS1_3gpuE9ELNS1_3repE0EEENS1_30default_config_static_selectorELNS0_4arch9wavefront6targetE1EEEvT1_, .Lfunc_end1074-_ZN7rocprim17ROCPRIM_400000_NS6detail17trampoline_kernelINS0_14default_configENS1_27scan_by_key_config_selectorIsiEEZZNS1_16scan_by_key_implILNS1_25lookback_scan_determinismE0ELb1ES3_N6thrust23THRUST_200600_302600_NS6detail15normal_iteratorINS9_10device_ptrIsEEEESE_SE_iNS9_4plusIvEENS9_8equal_toIvEEiEE10hipError_tPvRmT2_T3_T4_T5_mT6_T7_P12ihipStream_tbENKUlT_T0_E_clISt17integral_constantIbLb0EESY_IbLb1EEEEDaSU_SV_EUlSU_E_NS1_11comp_targetILNS1_3genE5ELNS1_11target_archE942ELNS1_3gpuE9ELNS1_3repE0EEENS1_30default_config_static_selectorELNS0_4arch9wavefront6targetE1EEEvT1_
                                        ; -- End function
	.section	.AMDGPU.csdata,"",@progbits
; Kernel info:
; codeLenInByte = 14860
; NumSgprs: 82
; NumVgprs: 81
; NumAgprs: 0
; TotalNumVgprs: 81
; ScratchSize: 0
; MemoryBound: 0
; FloatMode: 240
; IeeeMode: 1
; LDSByteSize: 21504 bytes/workgroup (compile time only)
; SGPRBlocks: 10
; VGPRBlocks: 10
; NumSGPRsForWavesPerEU: 82
; NumVGPRsForWavesPerEU: 81
; AccumOffset: 84
; Occupancy: 3
; WaveLimiterHint : 1
; COMPUTE_PGM_RSRC2:SCRATCH_EN: 0
; COMPUTE_PGM_RSRC2:USER_SGPR: 2
; COMPUTE_PGM_RSRC2:TRAP_HANDLER: 0
; COMPUTE_PGM_RSRC2:TGID_X_EN: 1
; COMPUTE_PGM_RSRC2:TGID_Y_EN: 0
; COMPUTE_PGM_RSRC2:TGID_Z_EN: 0
; COMPUTE_PGM_RSRC2:TIDIG_COMP_CNT: 0
; COMPUTE_PGM_RSRC3_GFX90A:ACCUM_OFFSET: 20
; COMPUTE_PGM_RSRC3_GFX90A:TG_SPLIT: 0
	.section	.text._ZN7rocprim17ROCPRIM_400000_NS6detail17trampoline_kernelINS0_14default_configENS1_27scan_by_key_config_selectorIsiEEZZNS1_16scan_by_key_implILNS1_25lookback_scan_determinismE0ELb1ES3_N6thrust23THRUST_200600_302600_NS6detail15normal_iteratorINS9_10device_ptrIsEEEESE_SE_iNS9_4plusIvEENS9_8equal_toIvEEiEE10hipError_tPvRmT2_T3_T4_T5_mT6_T7_P12ihipStream_tbENKUlT_T0_E_clISt17integral_constantIbLb0EESY_IbLb1EEEEDaSU_SV_EUlSU_E_NS1_11comp_targetILNS1_3genE4ELNS1_11target_archE910ELNS1_3gpuE8ELNS1_3repE0EEENS1_30default_config_static_selectorELNS0_4arch9wavefront6targetE1EEEvT1_,"axG",@progbits,_ZN7rocprim17ROCPRIM_400000_NS6detail17trampoline_kernelINS0_14default_configENS1_27scan_by_key_config_selectorIsiEEZZNS1_16scan_by_key_implILNS1_25lookback_scan_determinismE0ELb1ES3_N6thrust23THRUST_200600_302600_NS6detail15normal_iteratorINS9_10device_ptrIsEEEESE_SE_iNS9_4plusIvEENS9_8equal_toIvEEiEE10hipError_tPvRmT2_T3_T4_T5_mT6_T7_P12ihipStream_tbENKUlT_T0_E_clISt17integral_constantIbLb0EESY_IbLb1EEEEDaSU_SV_EUlSU_E_NS1_11comp_targetILNS1_3genE4ELNS1_11target_archE910ELNS1_3gpuE8ELNS1_3repE0EEENS1_30default_config_static_selectorELNS0_4arch9wavefront6targetE1EEEvT1_,comdat
	.protected	_ZN7rocprim17ROCPRIM_400000_NS6detail17trampoline_kernelINS0_14default_configENS1_27scan_by_key_config_selectorIsiEEZZNS1_16scan_by_key_implILNS1_25lookback_scan_determinismE0ELb1ES3_N6thrust23THRUST_200600_302600_NS6detail15normal_iteratorINS9_10device_ptrIsEEEESE_SE_iNS9_4plusIvEENS9_8equal_toIvEEiEE10hipError_tPvRmT2_T3_T4_T5_mT6_T7_P12ihipStream_tbENKUlT_T0_E_clISt17integral_constantIbLb0EESY_IbLb1EEEEDaSU_SV_EUlSU_E_NS1_11comp_targetILNS1_3genE4ELNS1_11target_archE910ELNS1_3gpuE8ELNS1_3repE0EEENS1_30default_config_static_selectorELNS0_4arch9wavefront6targetE1EEEvT1_ ; -- Begin function _ZN7rocprim17ROCPRIM_400000_NS6detail17trampoline_kernelINS0_14default_configENS1_27scan_by_key_config_selectorIsiEEZZNS1_16scan_by_key_implILNS1_25lookback_scan_determinismE0ELb1ES3_N6thrust23THRUST_200600_302600_NS6detail15normal_iteratorINS9_10device_ptrIsEEEESE_SE_iNS9_4plusIvEENS9_8equal_toIvEEiEE10hipError_tPvRmT2_T3_T4_T5_mT6_T7_P12ihipStream_tbENKUlT_T0_E_clISt17integral_constantIbLb0EESY_IbLb1EEEEDaSU_SV_EUlSU_E_NS1_11comp_targetILNS1_3genE4ELNS1_11target_archE910ELNS1_3gpuE8ELNS1_3repE0EEENS1_30default_config_static_selectorELNS0_4arch9wavefront6targetE1EEEvT1_
	.globl	_ZN7rocprim17ROCPRIM_400000_NS6detail17trampoline_kernelINS0_14default_configENS1_27scan_by_key_config_selectorIsiEEZZNS1_16scan_by_key_implILNS1_25lookback_scan_determinismE0ELb1ES3_N6thrust23THRUST_200600_302600_NS6detail15normal_iteratorINS9_10device_ptrIsEEEESE_SE_iNS9_4plusIvEENS9_8equal_toIvEEiEE10hipError_tPvRmT2_T3_T4_T5_mT6_T7_P12ihipStream_tbENKUlT_T0_E_clISt17integral_constantIbLb0EESY_IbLb1EEEEDaSU_SV_EUlSU_E_NS1_11comp_targetILNS1_3genE4ELNS1_11target_archE910ELNS1_3gpuE8ELNS1_3repE0EEENS1_30default_config_static_selectorELNS0_4arch9wavefront6targetE1EEEvT1_
	.p2align	8
	.type	_ZN7rocprim17ROCPRIM_400000_NS6detail17trampoline_kernelINS0_14default_configENS1_27scan_by_key_config_selectorIsiEEZZNS1_16scan_by_key_implILNS1_25lookback_scan_determinismE0ELb1ES3_N6thrust23THRUST_200600_302600_NS6detail15normal_iteratorINS9_10device_ptrIsEEEESE_SE_iNS9_4plusIvEENS9_8equal_toIvEEiEE10hipError_tPvRmT2_T3_T4_T5_mT6_T7_P12ihipStream_tbENKUlT_T0_E_clISt17integral_constantIbLb0EESY_IbLb1EEEEDaSU_SV_EUlSU_E_NS1_11comp_targetILNS1_3genE4ELNS1_11target_archE910ELNS1_3gpuE8ELNS1_3repE0EEENS1_30default_config_static_selectorELNS0_4arch9wavefront6targetE1EEEvT1_,@function
_ZN7rocprim17ROCPRIM_400000_NS6detail17trampoline_kernelINS0_14default_configENS1_27scan_by_key_config_selectorIsiEEZZNS1_16scan_by_key_implILNS1_25lookback_scan_determinismE0ELb1ES3_N6thrust23THRUST_200600_302600_NS6detail15normal_iteratorINS9_10device_ptrIsEEEESE_SE_iNS9_4plusIvEENS9_8equal_toIvEEiEE10hipError_tPvRmT2_T3_T4_T5_mT6_T7_P12ihipStream_tbENKUlT_T0_E_clISt17integral_constantIbLb0EESY_IbLb1EEEEDaSU_SV_EUlSU_E_NS1_11comp_targetILNS1_3genE4ELNS1_11target_archE910ELNS1_3gpuE8ELNS1_3repE0EEENS1_30default_config_static_selectorELNS0_4arch9wavefront6targetE1EEEvT1_: ; @_ZN7rocprim17ROCPRIM_400000_NS6detail17trampoline_kernelINS0_14default_configENS1_27scan_by_key_config_selectorIsiEEZZNS1_16scan_by_key_implILNS1_25lookback_scan_determinismE0ELb1ES3_N6thrust23THRUST_200600_302600_NS6detail15normal_iteratorINS9_10device_ptrIsEEEESE_SE_iNS9_4plusIvEENS9_8equal_toIvEEiEE10hipError_tPvRmT2_T3_T4_T5_mT6_T7_P12ihipStream_tbENKUlT_T0_E_clISt17integral_constantIbLb0EESY_IbLb1EEEEDaSU_SV_EUlSU_E_NS1_11comp_targetILNS1_3genE4ELNS1_11target_archE910ELNS1_3gpuE8ELNS1_3repE0EEENS1_30default_config_static_selectorELNS0_4arch9wavefront6targetE1EEEvT1_
; %bb.0:
	.section	.rodata,"a",@progbits
	.p2align	6, 0x0
	.amdhsa_kernel _ZN7rocprim17ROCPRIM_400000_NS6detail17trampoline_kernelINS0_14default_configENS1_27scan_by_key_config_selectorIsiEEZZNS1_16scan_by_key_implILNS1_25lookback_scan_determinismE0ELb1ES3_N6thrust23THRUST_200600_302600_NS6detail15normal_iteratorINS9_10device_ptrIsEEEESE_SE_iNS9_4plusIvEENS9_8equal_toIvEEiEE10hipError_tPvRmT2_T3_T4_T5_mT6_T7_P12ihipStream_tbENKUlT_T0_E_clISt17integral_constantIbLb0EESY_IbLb1EEEEDaSU_SV_EUlSU_E_NS1_11comp_targetILNS1_3genE4ELNS1_11target_archE910ELNS1_3gpuE8ELNS1_3repE0EEENS1_30default_config_static_selectorELNS0_4arch9wavefront6targetE1EEEvT1_
		.amdhsa_group_segment_fixed_size 0
		.amdhsa_private_segment_fixed_size 0
		.amdhsa_kernarg_size 112
		.amdhsa_user_sgpr_count 2
		.amdhsa_user_sgpr_dispatch_ptr 0
		.amdhsa_user_sgpr_queue_ptr 0
		.amdhsa_user_sgpr_kernarg_segment_ptr 1
		.amdhsa_user_sgpr_dispatch_id 0
		.amdhsa_user_sgpr_kernarg_preload_length 0
		.amdhsa_user_sgpr_kernarg_preload_offset 0
		.amdhsa_user_sgpr_private_segment_size 0
		.amdhsa_uses_dynamic_stack 0
		.amdhsa_enable_private_segment 0
		.amdhsa_system_sgpr_workgroup_id_x 1
		.amdhsa_system_sgpr_workgroup_id_y 0
		.amdhsa_system_sgpr_workgroup_id_z 0
		.amdhsa_system_sgpr_workgroup_info 0
		.amdhsa_system_vgpr_workitem_id 0
		.amdhsa_next_free_vgpr 1
		.amdhsa_next_free_sgpr 0
		.amdhsa_accum_offset 4
		.amdhsa_reserve_vcc 0
		.amdhsa_float_round_mode_32 0
		.amdhsa_float_round_mode_16_64 0
		.amdhsa_float_denorm_mode_32 3
		.amdhsa_float_denorm_mode_16_64 3
		.amdhsa_dx10_clamp 1
		.amdhsa_ieee_mode 1
		.amdhsa_fp16_overflow 0
		.amdhsa_tg_split 0
		.amdhsa_exception_fp_ieee_invalid_op 0
		.amdhsa_exception_fp_denorm_src 0
		.amdhsa_exception_fp_ieee_div_zero 0
		.amdhsa_exception_fp_ieee_overflow 0
		.amdhsa_exception_fp_ieee_underflow 0
		.amdhsa_exception_fp_ieee_inexact 0
		.amdhsa_exception_int_div_zero 0
	.end_amdhsa_kernel
	.section	.text._ZN7rocprim17ROCPRIM_400000_NS6detail17trampoline_kernelINS0_14default_configENS1_27scan_by_key_config_selectorIsiEEZZNS1_16scan_by_key_implILNS1_25lookback_scan_determinismE0ELb1ES3_N6thrust23THRUST_200600_302600_NS6detail15normal_iteratorINS9_10device_ptrIsEEEESE_SE_iNS9_4plusIvEENS9_8equal_toIvEEiEE10hipError_tPvRmT2_T3_T4_T5_mT6_T7_P12ihipStream_tbENKUlT_T0_E_clISt17integral_constantIbLb0EESY_IbLb1EEEEDaSU_SV_EUlSU_E_NS1_11comp_targetILNS1_3genE4ELNS1_11target_archE910ELNS1_3gpuE8ELNS1_3repE0EEENS1_30default_config_static_selectorELNS0_4arch9wavefront6targetE1EEEvT1_,"axG",@progbits,_ZN7rocprim17ROCPRIM_400000_NS6detail17trampoline_kernelINS0_14default_configENS1_27scan_by_key_config_selectorIsiEEZZNS1_16scan_by_key_implILNS1_25lookback_scan_determinismE0ELb1ES3_N6thrust23THRUST_200600_302600_NS6detail15normal_iteratorINS9_10device_ptrIsEEEESE_SE_iNS9_4plusIvEENS9_8equal_toIvEEiEE10hipError_tPvRmT2_T3_T4_T5_mT6_T7_P12ihipStream_tbENKUlT_T0_E_clISt17integral_constantIbLb0EESY_IbLb1EEEEDaSU_SV_EUlSU_E_NS1_11comp_targetILNS1_3genE4ELNS1_11target_archE910ELNS1_3gpuE8ELNS1_3repE0EEENS1_30default_config_static_selectorELNS0_4arch9wavefront6targetE1EEEvT1_,comdat
.Lfunc_end1075:
	.size	_ZN7rocprim17ROCPRIM_400000_NS6detail17trampoline_kernelINS0_14default_configENS1_27scan_by_key_config_selectorIsiEEZZNS1_16scan_by_key_implILNS1_25lookback_scan_determinismE0ELb1ES3_N6thrust23THRUST_200600_302600_NS6detail15normal_iteratorINS9_10device_ptrIsEEEESE_SE_iNS9_4plusIvEENS9_8equal_toIvEEiEE10hipError_tPvRmT2_T3_T4_T5_mT6_T7_P12ihipStream_tbENKUlT_T0_E_clISt17integral_constantIbLb0EESY_IbLb1EEEEDaSU_SV_EUlSU_E_NS1_11comp_targetILNS1_3genE4ELNS1_11target_archE910ELNS1_3gpuE8ELNS1_3repE0EEENS1_30default_config_static_selectorELNS0_4arch9wavefront6targetE1EEEvT1_, .Lfunc_end1075-_ZN7rocprim17ROCPRIM_400000_NS6detail17trampoline_kernelINS0_14default_configENS1_27scan_by_key_config_selectorIsiEEZZNS1_16scan_by_key_implILNS1_25lookback_scan_determinismE0ELb1ES3_N6thrust23THRUST_200600_302600_NS6detail15normal_iteratorINS9_10device_ptrIsEEEESE_SE_iNS9_4plusIvEENS9_8equal_toIvEEiEE10hipError_tPvRmT2_T3_T4_T5_mT6_T7_P12ihipStream_tbENKUlT_T0_E_clISt17integral_constantIbLb0EESY_IbLb1EEEEDaSU_SV_EUlSU_E_NS1_11comp_targetILNS1_3genE4ELNS1_11target_archE910ELNS1_3gpuE8ELNS1_3repE0EEENS1_30default_config_static_selectorELNS0_4arch9wavefront6targetE1EEEvT1_
                                        ; -- End function
	.section	.AMDGPU.csdata,"",@progbits
; Kernel info:
; codeLenInByte = 0
; NumSgprs: 6
; NumVgprs: 0
; NumAgprs: 0
; TotalNumVgprs: 0
; ScratchSize: 0
; MemoryBound: 0
; FloatMode: 240
; IeeeMode: 1
; LDSByteSize: 0 bytes/workgroup (compile time only)
; SGPRBlocks: 0
; VGPRBlocks: 0
; NumSGPRsForWavesPerEU: 6
; NumVGPRsForWavesPerEU: 1
; AccumOffset: 4
; Occupancy: 8
; WaveLimiterHint : 0
; COMPUTE_PGM_RSRC2:SCRATCH_EN: 0
; COMPUTE_PGM_RSRC2:USER_SGPR: 2
; COMPUTE_PGM_RSRC2:TRAP_HANDLER: 0
; COMPUTE_PGM_RSRC2:TGID_X_EN: 1
; COMPUTE_PGM_RSRC2:TGID_Y_EN: 0
; COMPUTE_PGM_RSRC2:TGID_Z_EN: 0
; COMPUTE_PGM_RSRC2:TIDIG_COMP_CNT: 0
; COMPUTE_PGM_RSRC3_GFX90A:ACCUM_OFFSET: 0
; COMPUTE_PGM_RSRC3_GFX90A:TG_SPLIT: 0
	.section	.text._ZN7rocprim17ROCPRIM_400000_NS6detail17trampoline_kernelINS0_14default_configENS1_27scan_by_key_config_selectorIsiEEZZNS1_16scan_by_key_implILNS1_25lookback_scan_determinismE0ELb1ES3_N6thrust23THRUST_200600_302600_NS6detail15normal_iteratorINS9_10device_ptrIsEEEESE_SE_iNS9_4plusIvEENS9_8equal_toIvEEiEE10hipError_tPvRmT2_T3_T4_T5_mT6_T7_P12ihipStream_tbENKUlT_T0_E_clISt17integral_constantIbLb0EESY_IbLb1EEEEDaSU_SV_EUlSU_E_NS1_11comp_targetILNS1_3genE3ELNS1_11target_archE908ELNS1_3gpuE7ELNS1_3repE0EEENS1_30default_config_static_selectorELNS0_4arch9wavefront6targetE1EEEvT1_,"axG",@progbits,_ZN7rocprim17ROCPRIM_400000_NS6detail17trampoline_kernelINS0_14default_configENS1_27scan_by_key_config_selectorIsiEEZZNS1_16scan_by_key_implILNS1_25lookback_scan_determinismE0ELb1ES3_N6thrust23THRUST_200600_302600_NS6detail15normal_iteratorINS9_10device_ptrIsEEEESE_SE_iNS9_4plusIvEENS9_8equal_toIvEEiEE10hipError_tPvRmT2_T3_T4_T5_mT6_T7_P12ihipStream_tbENKUlT_T0_E_clISt17integral_constantIbLb0EESY_IbLb1EEEEDaSU_SV_EUlSU_E_NS1_11comp_targetILNS1_3genE3ELNS1_11target_archE908ELNS1_3gpuE7ELNS1_3repE0EEENS1_30default_config_static_selectorELNS0_4arch9wavefront6targetE1EEEvT1_,comdat
	.protected	_ZN7rocprim17ROCPRIM_400000_NS6detail17trampoline_kernelINS0_14default_configENS1_27scan_by_key_config_selectorIsiEEZZNS1_16scan_by_key_implILNS1_25lookback_scan_determinismE0ELb1ES3_N6thrust23THRUST_200600_302600_NS6detail15normal_iteratorINS9_10device_ptrIsEEEESE_SE_iNS9_4plusIvEENS9_8equal_toIvEEiEE10hipError_tPvRmT2_T3_T4_T5_mT6_T7_P12ihipStream_tbENKUlT_T0_E_clISt17integral_constantIbLb0EESY_IbLb1EEEEDaSU_SV_EUlSU_E_NS1_11comp_targetILNS1_3genE3ELNS1_11target_archE908ELNS1_3gpuE7ELNS1_3repE0EEENS1_30default_config_static_selectorELNS0_4arch9wavefront6targetE1EEEvT1_ ; -- Begin function _ZN7rocprim17ROCPRIM_400000_NS6detail17trampoline_kernelINS0_14default_configENS1_27scan_by_key_config_selectorIsiEEZZNS1_16scan_by_key_implILNS1_25lookback_scan_determinismE0ELb1ES3_N6thrust23THRUST_200600_302600_NS6detail15normal_iteratorINS9_10device_ptrIsEEEESE_SE_iNS9_4plusIvEENS9_8equal_toIvEEiEE10hipError_tPvRmT2_T3_T4_T5_mT6_T7_P12ihipStream_tbENKUlT_T0_E_clISt17integral_constantIbLb0EESY_IbLb1EEEEDaSU_SV_EUlSU_E_NS1_11comp_targetILNS1_3genE3ELNS1_11target_archE908ELNS1_3gpuE7ELNS1_3repE0EEENS1_30default_config_static_selectorELNS0_4arch9wavefront6targetE1EEEvT1_
	.globl	_ZN7rocprim17ROCPRIM_400000_NS6detail17trampoline_kernelINS0_14default_configENS1_27scan_by_key_config_selectorIsiEEZZNS1_16scan_by_key_implILNS1_25lookback_scan_determinismE0ELb1ES3_N6thrust23THRUST_200600_302600_NS6detail15normal_iteratorINS9_10device_ptrIsEEEESE_SE_iNS9_4plusIvEENS9_8equal_toIvEEiEE10hipError_tPvRmT2_T3_T4_T5_mT6_T7_P12ihipStream_tbENKUlT_T0_E_clISt17integral_constantIbLb0EESY_IbLb1EEEEDaSU_SV_EUlSU_E_NS1_11comp_targetILNS1_3genE3ELNS1_11target_archE908ELNS1_3gpuE7ELNS1_3repE0EEENS1_30default_config_static_selectorELNS0_4arch9wavefront6targetE1EEEvT1_
	.p2align	8
	.type	_ZN7rocprim17ROCPRIM_400000_NS6detail17trampoline_kernelINS0_14default_configENS1_27scan_by_key_config_selectorIsiEEZZNS1_16scan_by_key_implILNS1_25lookback_scan_determinismE0ELb1ES3_N6thrust23THRUST_200600_302600_NS6detail15normal_iteratorINS9_10device_ptrIsEEEESE_SE_iNS9_4plusIvEENS9_8equal_toIvEEiEE10hipError_tPvRmT2_T3_T4_T5_mT6_T7_P12ihipStream_tbENKUlT_T0_E_clISt17integral_constantIbLb0EESY_IbLb1EEEEDaSU_SV_EUlSU_E_NS1_11comp_targetILNS1_3genE3ELNS1_11target_archE908ELNS1_3gpuE7ELNS1_3repE0EEENS1_30default_config_static_selectorELNS0_4arch9wavefront6targetE1EEEvT1_,@function
_ZN7rocprim17ROCPRIM_400000_NS6detail17trampoline_kernelINS0_14default_configENS1_27scan_by_key_config_selectorIsiEEZZNS1_16scan_by_key_implILNS1_25lookback_scan_determinismE0ELb1ES3_N6thrust23THRUST_200600_302600_NS6detail15normal_iteratorINS9_10device_ptrIsEEEESE_SE_iNS9_4plusIvEENS9_8equal_toIvEEiEE10hipError_tPvRmT2_T3_T4_T5_mT6_T7_P12ihipStream_tbENKUlT_T0_E_clISt17integral_constantIbLb0EESY_IbLb1EEEEDaSU_SV_EUlSU_E_NS1_11comp_targetILNS1_3genE3ELNS1_11target_archE908ELNS1_3gpuE7ELNS1_3repE0EEENS1_30default_config_static_selectorELNS0_4arch9wavefront6targetE1EEEvT1_: ; @_ZN7rocprim17ROCPRIM_400000_NS6detail17trampoline_kernelINS0_14default_configENS1_27scan_by_key_config_selectorIsiEEZZNS1_16scan_by_key_implILNS1_25lookback_scan_determinismE0ELb1ES3_N6thrust23THRUST_200600_302600_NS6detail15normal_iteratorINS9_10device_ptrIsEEEESE_SE_iNS9_4plusIvEENS9_8equal_toIvEEiEE10hipError_tPvRmT2_T3_T4_T5_mT6_T7_P12ihipStream_tbENKUlT_T0_E_clISt17integral_constantIbLb0EESY_IbLb1EEEEDaSU_SV_EUlSU_E_NS1_11comp_targetILNS1_3genE3ELNS1_11target_archE908ELNS1_3gpuE7ELNS1_3repE0EEENS1_30default_config_static_selectorELNS0_4arch9wavefront6targetE1EEEvT1_
; %bb.0:
	.section	.rodata,"a",@progbits
	.p2align	6, 0x0
	.amdhsa_kernel _ZN7rocprim17ROCPRIM_400000_NS6detail17trampoline_kernelINS0_14default_configENS1_27scan_by_key_config_selectorIsiEEZZNS1_16scan_by_key_implILNS1_25lookback_scan_determinismE0ELb1ES3_N6thrust23THRUST_200600_302600_NS6detail15normal_iteratorINS9_10device_ptrIsEEEESE_SE_iNS9_4plusIvEENS9_8equal_toIvEEiEE10hipError_tPvRmT2_T3_T4_T5_mT6_T7_P12ihipStream_tbENKUlT_T0_E_clISt17integral_constantIbLb0EESY_IbLb1EEEEDaSU_SV_EUlSU_E_NS1_11comp_targetILNS1_3genE3ELNS1_11target_archE908ELNS1_3gpuE7ELNS1_3repE0EEENS1_30default_config_static_selectorELNS0_4arch9wavefront6targetE1EEEvT1_
		.amdhsa_group_segment_fixed_size 0
		.amdhsa_private_segment_fixed_size 0
		.amdhsa_kernarg_size 112
		.amdhsa_user_sgpr_count 2
		.amdhsa_user_sgpr_dispatch_ptr 0
		.amdhsa_user_sgpr_queue_ptr 0
		.amdhsa_user_sgpr_kernarg_segment_ptr 1
		.amdhsa_user_sgpr_dispatch_id 0
		.amdhsa_user_sgpr_kernarg_preload_length 0
		.amdhsa_user_sgpr_kernarg_preload_offset 0
		.amdhsa_user_sgpr_private_segment_size 0
		.amdhsa_uses_dynamic_stack 0
		.amdhsa_enable_private_segment 0
		.amdhsa_system_sgpr_workgroup_id_x 1
		.amdhsa_system_sgpr_workgroup_id_y 0
		.amdhsa_system_sgpr_workgroup_id_z 0
		.amdhsa_system_sgpr_workgroup_info 0
		.amdhsa_system_vgpr_workitem_id 0
		.amdhsa_next_free_vgpr 1
		.amdhsa_next_free_sgpr 0
		.amdhsa_accum_offset 4
		.amdhsa_reserve_vcc 0
		.amdhsa_float_round_mode_32 0
		.amdhsa_float_round_mode_16_64 0
		.amdhsa_float_denorm_mode_32 3
		.amdhsa_float_denorm_mode_16_64 3
		.amdhsa_dx10_clamp 1
		.amdhsa_ieee_mode 1
		.amdhsa_fp16_overflow 0
		.amdhsa_tg_split 0
		.amdhsa_exception_fp_ieee_invalid_op 0
		.amdhsa_exception_fp_denorm_src 0
		.amdhsa_exception_fp_ieee_div_zero 0
		.amdhsa_exception_fp_ieee_overflow 0
		.amdhsa_exception_fp_ieee_underflow 0
		.amdhsa_exception_fp_ieee_inexact 0
		.amdhsa_exception_int_div_zero 0
	.end_amdhsa_kernel
	.section	.text._ZN7rocprim17ROCPRIM_400000_NS6detail17trampoline_kernelINS0_14default_configENS1_27scan_by_key_config_selectorIsiEEZZNS1_16scan_by_key_implILNS1_25lookback_scan_determinismE0ELb1ES3_N6thrust23THRUST_200600_302600_NS6detail15normal_iteratorINS9_10device_ptrIsEEEESE_SE_iNS9_4plusIvEENS9_8equal_toIvEEiEE10hipError_tPvRmT2_T3_T4_T5_mT6_T7_P12ihipStream_tbENKUlT_T0_E_clISt17integral_constantIbLb0EESY_IbLb1EEEEDaSU_SV_EUlSU_E_NS1_11comp_targetILNS1_3genE3ELNS1_11target_archE908ELNS1_3gpuE7ELNS1_3repE0EEENS1_30default_config_static_selectorELNS0_4arch9wavefront6targetE1EEEvT1_,"axG",@progbits,_ZN7rocprim17ROCPRIM_400000_NS6detail17trampoline_kernelINS0_14default_configENS1_27scan_by_key_config_selectorIsiEEZZNS1_16scan_by_key_implILNS1_25lookback_scan_determinismE0ELb1ES3_N6thrust23THRUST_200600_302600_NS6detail15normal_iteratorINS9_10device_ptrIsEEEESE_SE_iNS9_4plusIvEENS9_8equal_toIvEEiEE10hipError_tPvRmT2_T3_T4_T5_mT6_T7_P12ihipStream_tbENKUlT_T0_E_clISt17integral_constantIbLb0EESY_IbLb1EEEEDaSU_SV_EUlSU_E_NS1_11comp_targetILNS1_3genE3ELNS1_11target_archE908ELNS1_3gpuE7ELNS1_3repE0EEENS1_30default_config_static_selectorELNS0_4arch9wavefront6targetE1EEEvT1_,comdat
.Lfunc_end1076:
	.size	_ZN7rocprim17ROCPRIM_400000_NS6detail17trampoline_kernelINS0_14default_configENS1_27scan_by_key_config_selectorIsiEEZZNS1_16scan_by_key_implILNS1_25lookback_scan_determinismE0ELb1ES3_N6thrust23THRUST_200600_302600_NS6detail15normal_iteratorINS9_10device_ptrIsEEEESE_SE_iNS9_4plusIvEENS9_8equal_toIvEEiEE10hipError_tPvRmT2_T3_T4_T5_mT6_T7_P12ihipStream_tbENKUlT_T0_E_clISt17integral_constantIbLb0EESY_IbLb1EEEEDaSU_SV_EUlSU_E_NS1_11comp_targetILNS1_3genE3ELNS1_11target_archE908ELNS1_3gpuE7ELNS1_3repE0EEENS1_30default_config_static_selectorELNS0_4arch9wavefront6targetE1EEEvT1_, .Lfunc_end1076-_ZN7rocprim17ROCPRIM_400000_NS6detail17trampoline_kernelINS0_14default_configENS1_27scan_by_key_config_selectorIsiEEZZNS1_16scan_by_key_implILNS1_25lookback_scan_determinismE0ELb1ES3_N6thrust23THRUST_200600_302600_NS6detail15normal_iteratorINS9_10device_ptrIsEEEESE_SE_iNS9_4plusIvEENS9_8equal_toIvEEiEE10hipError_tPvRmT2_T3_T4_T5_mT6_T7_P12ihipStream_tbENKUlT_T0_E_clISt17integral_constantIbLb0EESY_IbLb1EEEEDaSU_SV_EUlSU_E_NS1_11comp_targetILNS1_3genE3ELNS1_11target_archE908ELNS1_3gpuE7ELNS1_3repE0EEENS1_30default_config_static_selectorELNS0_4arch9wavefront6targetE1EEEvT1_
                                        ; -- End function
	.section	.AMDGPU.csdata,"",@progbits
; Kernel info:
; codeLenInByte = 0
; NumSgprs: 6
; NumVgprs: 0
; NumAgprs: 0
; TotalNumVgprs: 0
; ScratchSize: 0
; MemoryBound: 0
; FloatMode: 240
; IeeeMode: 1
; LDSByteSize: 0 bytes/workgroup (compile time only)
; SGPRBlocks: 0
; VGPRBlocks: 0
; NumSGPRsForWavesPerEU: 6
; NumVGPRsForWavesPerEU: 1
; AccumOffset: 4
; Occupancy: 8
; WaveLimiterHint : 0
; COMPUTE_PGM_RSRC2:SCRATCH_EN: 0
; COMPUTE_PGM_RSRC2:USER_SGPR: 2
; COMPUTE_PGM_RSRC2:TRAP_HANDLER: 0
; COMPUTE_PGM_RSRC2:TGID_X_EN: 1
; COMPUTE_PGM_RSRC2:TGID_Y_EN: 0
; COMPUTE_PGM_RSRC2:TGID_Z_EN: 0
; COMPUTE_PGM_RSRC2:TIDIG_COMP_CNT: 0
; COMPUTE_PGM_RSRC3_GFX90A:ACCUM_OFFSET: 0
; COMPUTE_PGM_RSRC3_GFX90A:TG_SPLIT: 0
	.section	.text._ZN7rocprim17ROCPRIM_400000_NS6detail17trampoline_kernelINS0_14default_configENS1_27scan_by_key_config_selectorIsiEEZZNS1_16scan_by_key_implILNS1_25lookback_scan_determinismE0ELb1ES3_N6thrust23THRUST_200600_302600_NS6detail15normal_iteratorINS9_10device_ptrIsEEEESE_SE_iNS9_4plusIvEENS9_8equal_toIvEEiEE10hipError_tPvRmT2_T3_T4_T5_mT6_T7_P12ihipStream_tbENKUlT_T0_E_clISt17integral_constantIbLb0EESY_IbLb1EEEEDaSU_SV_EUlSU_E_NS1_11comp_targetILNS1_3genE2ELNS1_11target_archE906ELNS1_3gpuE6ELNS1_3repE0EEENS1_30default_config_static_selectorELNS0_4arch9wavefront6targetE1EEEvT1_,"axG",@progbits,_ZN7rocprim17ROCPRIM_400000_NS6detail17trampoline_kernelINS0_14default_configENS1_27scan_by_key_config_selectorIsiEEZZNS1_16scan_by_key_implILNS1_25lookback_scan_determinismE0ELb1ES3_N6thrust23THRUST_200600_302600_NS6detail15normal_iteratorINS9_10device_ptrIsEEEESE_SE_iNS9_4plusIvEENS9_8equal_toIvEEiEE10hipError_tPvRmT2_T3_T4_T5_mT6_T7_P12ihipStream_tbENKUlT_T0_E_clISt17integral_constantIbLb0EESY_IbLb1EEEEDaSU_SV_EUlSU_E_NS1_11comp_targetILNS1_3genE2ELNS1_11target_archE906ELNS1_3gpuE6ELNS1_3repE0EEENS1_30default_config_static_selectorELNS0_4arch9wavefront6targetE1EEEvT1_,comdat
	.protected	_ZN7rocprim17ROCPRIM_400000_NS6detail17trampoline_kernelINS0_14default_configENS1_27scan_by_key_config_selectorIsiEEZZNS1_16scan_by_key_implILNS1_25lookback_scan_determinismE0ELb1ES3_N6thrust23THRUST_200600_302600_NS6detail15normal_iteratorINS9_10device_ptrIsEEEESE_SE_iNS9_4plusIvEENS9_8equal_toIvEEiEE10hipError_tPvRmT2_T3_T4_T5_mT6_T7_P12ihipStream_tbENKUlT_T0_E_clISt17integral_constantIbLb0EESY_IbLb1EEEEDaSU_SV_EUlSU_E_NS1_11comp_targetILNS1_3genE2ELNS1_11target_archE906ELNS1_3gpuE6ELNS1_3repE0EEENS1_30default_config_static_selectorELNS0_4arch9wavefront6targetE1EEEvT1_ ; -- Begin function _ZN7rocprim17ROCPRIM_400000_NS6detail17trampoline_kernelINS0_14default_configENS1_27scan_by_key_config_selectorIsiEEZZNS1_16scan_by_key_implILNS1_25lookback_scan_determinismE0ELb1ES3_N6thrust23THRUST_200600_302600_NS6detail15normal_iteratorINS9_10device_ptrIsEEEESE_SE_iNS9_4plusIvEENS9_8equal_toIvEEiEE10hipError_tPvRmT2_T3_T4_T5_mT6_T7_P12ihipStream_tbENKUlT_T0_E_clISt17integral_constantIbLb0EESY_IbLb1EEEEDaSU_SV_EUlSU_E_NS1_11comp_targetILNS1_3genE2ELNS1_11target_archE906ELNS1_3gpuE6ELNS1_3repE0EEENS1_30default_config_static_selectorELNS0_4arch9wavefront6targetE1EEEvT1_
	.globl	_ZN7rocprim17ROCPRIM_400000_NS6detail17trampoline_kernelINS0_14default_configENS1_27scan_by_key_config_selectorIsiEEZZNS1_16scan_by_key_implILNS1_25lookback_scan_determinismE0ELb1ES3_N6thrust23THRUST_200600_302600_NS6detail15normal_iteratorINS9_10device_ptrIsEEEESE_SE_iNS9_4plusIvEENS9_8equal_toIvEEiEE10hipError_tPvRmT2_T3_T4_T5_mT6_T7_P12ihipStream_tbENKUlT_T0_E_clISt17integral_constantIbLb0EESY_IbLb1EEEEDaSU_SV_EUlSU_E_NS1_11comp_targetILNS1_3genE2ELNS1_11target_archE906ELNS1_3gpuE6ELNS1_3repE0EEENS1_30default_config_static_selectorELNS0_4arch9wavefront6targetE1EEEvT1_
	.p2align	8
	.type	_ZN7rocprim17ROCPRIM_400000_NS6detail17trampoline_kernelINS0_14default_configENS1_27scan_by_key_config_selectorIsiEEZZNS1_16scan_by_key_implILNS1_25lookback_scan_determinismE0ELb1ES3_N6thrust23THRUST_200600_302600_NS6detail15normal_iteratorINS9_10device_ptrIsEEEESE_SE_iNS9_4plusIvEENS9_8equal_toIvEEiEE10hipError_tPvRmT2_T3_T4_T5_mT6_T7_P12ihipStream_tbENKUlT_T0_E_clISt17integral_constantIbLb0EESY_IbLb1EEEEDaSU_SV_EUlSU_E_NS1_11comp_targetILNS1_3genE2ELNS1_11target_archE906ELNS1_3gpuE6ELNS1_3repE0EEENS1_30default_config_static_selectorELNS0_4arch9wavefront6targetE1EEEvT1_,@function
_ZN7rocprim17ROCPRIM_400000_NS6detail17trampoline_kernelINS0_14default_configENS1_27scan_by_key_config_selectorIsiEEZZNS1_16scan_by_key_implILNS1_25lookback_scan_determinismE0ELb1ES3_N6thrust23THRUST_200600_302600_NS6detail15normal_iteratorINS9_10device_ptrIsEEEESE_SE_iNS9_4plusIvEENS9_8equal_toIvEEiEE10hipError_tPvRmT2_T3_T4_T5_mT6_T7_P12ihipStream_tbENKUlT_T0_E_clISt17integral_constantIbLb0EESY_IbLb1EEEEDaSU_SV_EUlSU_E_NS1_11comp_targetILNS1_3genE2ELNS1_11target_archE906ELNS1_3gpuE6ELNS1_3repE0EEENS1_30default_config_static_selectorELNS0_4arch9wavefront6targetE1EEEvT1_: ; @_ZN7rocprim17ROCPRIM_400000_NS6detail17trampoline_kernelINS0_14default_configENS1_27scan_by_key_config_selectorIsiEEZZNS1_16scan_by_key_implILNS1_25lookback_scan_determinismE0ELb1ES3_N6thrust23THRUST_200600_302600_NS6detail15normal_iteratorINS9_10device_ptrIsEEEESE_SE_iNS9_4plusIvEENS9_8equal_toIvEEiEE10hipError_tPvRmT2_T3_T4_T5_mT6_T7_P12ihipStream_tbENKUlT_T0_E_clISt17integral_constantIbLb0EESY_IbLb1EEEEDaSU_SV_EUlSU_E_NS1_11comp_targetILNS1_3genE2ELNS1_11target_archE906ELNS1_3gpuE6ELNS1_3repE0EEENS1_30default_config_static_selectorELNS0_4arch9wavefront6targetE1EEEvT1_
; %bb.0:
	.section	.rodata,"a",@progbits
	.p2align	6, 0x0
	.amdhsa_kernel _ZN7rocprim17ROCPRIM_400000_NS6detail17trampoline_kernelINS0_14default_configENS1_27scan_by_key_config_selectorIsiEEZZNS1_16scan_by_key_implILNS1_25lookback_scan_determinismE0ELb1ES3_N6thrust23THRUST_200600_302600_NS6detail15normal_iteratorINS9_10device_ptrIsEEEESE_SE_iNS9_4plusIvEENS9_8equal_toIvEEiEE10hipError_tPvRmT2_T3_T4_T5_mT6_T7_P12ihipStream_tbENKUlT_T0_E_clISt17integral_constantIbLb0EESY_IbLb1EEEEDaSU_SV_EUlSU_E_NS1_11comp_targetILNS1_3genE2ELNS1_11target_archE906ELNS1_3gpuE6ELNS1_3repE0EEENS1_30default_config_static_selectorELNS0_4arch9wavefront6targetE1EEEvT1_
		.amdhsa_group_segment_fixed_size 0
		.amdhsa_private_segment_fixed_size 0
		.amdhsa_kernarg_size 112
		.amdhsa_user_sgpr_count 2
		.amdhsa_user_sgpr_dispatch_ptr 0
		.amdhsa_user_sgpr_queue_ptr 0
		.amdhsa_user_sgpr_kernarg_segment_ptr 1
		.amdhsa_user_sgpr_dispatch_id 0
		.amdhsa_user_sgpr_kernarg_preload_length 0
		.amdhsa_user_sgpr_kernarg_preload_offset 0
		.amdhsa_user_sgpr_private_segment_size 0
		.amdhsa_uses_dynamic_stack 0
		.amdhsa_enable_private_segment 0
		.amdhsa_system_sgpr_workgroup_id_x 1
		.amdhsa_system_sgpr_workgroup_id_y 0
		.amdhsa_system_sgpr_workgroup_id_z 0
		.amdhsa_system_sgpr_workgroup_info 0
		.amdhsa_system_vgpr_workitem_id 0
		.amdhsa_next_free_vgpr 1
		.amdhsa_next_free_sgpr 0
		.amdhsa_accum_offset 4
		.amdhsa_reserve_vcc 0
		.amdhsa_float_round_mode_32 0
		.amdhsa_float_round_mode_16_64 0
		.amdhsa_float_denorm_mode_32 3
		.amdhsa_float_denorm_mode_16_64 3
		.amdhsa_dx10_clamp 1
		.amdhsa_ieee_mode 1
		.amdhsa_fp16_overflow 0
		.amdhsa_tg_split 0
		.amdhsa_exception_fp_ieee_invalid_op 0
		.amdhsa_exception_fp_denorm_src 0
		.amdhsa_exception_fp_ieee_div_zero 0
		.amdhsa_exception_fp_ieee_overflow 0
		.amdhsa_exception_fp_ieee_underflow 0
		.amdhsa_exception_fp_ieee_inexact 0
		.amdhsa_exception_int_div_zero 0
	.end_amdhsa_kernel
	.section	.text._ZN7rocprim17ROCPRIM_400000_NS6detail17trampoline_kernelINS0_14default_configENS1_27scan_by_key_config_selectorIsiEEZZNS1_16scan_by_key_implILNS1_25lookback_scan_determinismE0ELb1ES3_N6thrust23THRUST_200600_302600_NS6detail15normal_iteratorINS9_10device_ptrIsEEEESE_SE_iNS9_4plusIvEENS9_8equal_toIvEEiEE10hipError_tPvRmT2_T3_T4_T5_mT6_T7_P12ihipStream_tbENKUlT_T0_E_clISt17integral_constantIbLb0EESY_IbLb1EEEEDaSU_SV_EUlSU_E_NS1_11comp_targetILNS1_3genE2ELNS1_11target_archE906ELNS1_3gpuE6ELNS1_3repE0EEENS1_30default_config_static_selectorELNS0_4arch9wavefront6targetE1EEEvT1_,"axG",@progbits,_ZN7rocprim17ROCPRIM_400000_NS6detail17trampoline_kernelINS0_14default_configENS1_27scan_by_key_config_selectorIsiEEZZNS1_16scan_by_key_implILNS1_25lookback_scan_determinismE0ELb1ES3_N6thrust23THRUST_200600_302600_NS6detail15normal_iteratorINS9_10device_ptrIsEEEESE_SE_iNS9_4plusIvEENS9_8equal_toIvEEiEE10hipError_tPvRmT2_T3_T4_T5_mT6_T7_P12ihipStream_tbENKUlT_T0_E_clISt17integral_constantIbLb0EESY_IbLb1EEEEDaSU_SV_EUlSU_E_NS1_11comp_targetILNS1_3genE2ELNS1_11target_archE906ELNS1_3gpuE6ELNS1_3repE0EEENS1_30default_config_static_selectorELNS0_4arch9wavefront6targetE1EEEvT1_,comdat
.Lfunc_end1077:
	.size	_ZN7rocprim17ROCPRIM_400000_NS6detail17trampoline_kernelINS0_14default_configENS1_27scan_by_key_config_selectorIsiEEZZNS1_16scan_by_key_implILNS1_25lookback_scan_determinismE0ELb1ES3_N6thrust23THRUST_200600_302600_NS6detail15normal_iteratorINS9_10device_ptrIsEEEESE_SE_iNS9_4plusIvEENS9_8equal_toIvEEiEE10hipError_tPvRmT2_T3_T4_T5_mT6_T7_P12ihipStream_tbENKUlT_T0_E_clISt17integral_constantIbLb0EESY_IbLb1EEEEDaSU_SV_EUlSU_E_NS1_11comp_targetILNS1_3genE2ELNS1_11target_archE906ELNS1_3gpuE6ELNS1_3repE0EEENS1_30default_config_static_selectorELNS0_4arch9wavefront6targetE1EEEvT1_, .Lfunc_end1077-_ZN7rocprim17ROCPRIM_400000_NS6detail17trampoline_kernelINS0_14default_configENS1_27scan_by_key_config_selectorIsiEEZZNS1_16scan_by_key_implILNS1_25lookback_scan_determinismE0ELb1ES3_N6thrust23THRUST_200600_302600_NS6detail15normal_iteratorINS9_10device_ptrIsEEEESE_SE_iNS9_4plusIvEENS9_8equal_toIvEEiEE10hipError_tPvRmT2_T3_T4_T5_mT6_T7_P12ihipStream_tbENKUlT_T0_E_clISt17integral_constantIbLb0EESY_IbLb1EEEEDaSU_SV_EUlSU_E_NS1_11comp_targetILNS1_3genE2ELNS1_11target_archE906ELNS1_3gpuE6ELNS1_3repE0EEENS1_30default_config_static_selectorELNS0_4arch9wavefront6targetE1EEEvT1_
                                        ; -- End function
	.section	.AMDGPU.csdata,"",@progbits
; Kernel info:
; codeLenInByte = 0
; NumSgprs: 6
; NumVgprs: 0
; NumAgprs: 0
; TotalNumVgprs: 0
; ScratchSize: 0
; MemoryBound: 0
; FloatMode: 240
; IeeeMode: 1
; LDSByteSize: 0 bytes/workgroup (compile time only)
; SGPRBlocks: 0
; VGPRBlocks: 0
; NumSGPRsForWavesPerEU: 6
; NumVGPRsForWavesPerEU: 1
; AccumOffset: 4
; Occupancy: 8
; WaveLimiterHint : 0
; COMPUTE_PGM_RSRC2:SCRATCH_EN: 0
; COMPUTE_PGM_RSRC2:USER_SGPR: 2
; COMPUTE_PGM_RSRC2:TRAP_HANDLER: 0
; COMPUTE_PGM_RSRC2:TGID_X_EN: 1
; COMPUTE_PGM_RSRC2:TGID_Y_EN: 0
; COMPUTE_PGM_RSRC2:TGID_Z_EN: 0
; COMPUTE_PGM_RSRC2:TIDIG_COMP_CNT: 0
; COMPUTE_PGM_RSRC3_GFX90A:ACCUM_OFFSET: 0
; COMPUTE_PGM_RSRC3_GFX90A:TG_SPLIT: 0
	.section	.text._ZN7rocprim17ROCPRIM_400000_NS6detail17trampoline_kernelINS0_14default_configENS1_27scan_by_key_config_selectorIsiEEZZNS1_16scan_by_key_implILNS1_25lookback_scan_determinismE0ELb1ES3_N6thrust23THRUST_200600_302600_NS6detail15normal_iteratorINS9_10device_ptrIsEEEESE_SE_iNS9_4plusIvEENS9_8equal_toIvEEiEE10hipError_tPvRmT2_T3_T4_T5_mT6_T7_P12ihipStream_tbENKUlT_T0_E_clISt17integral_constantIbLb0EESY_IbLb1EEEEDaSU_SV_EUlSU_E_NS1_11comp_targetILNS1_3genE10ELNS1_11target_archE1200ELNS1_3gpuE4ELNS1_3repE0EEENS1_30default_config_static_selectorELNS0_4arch9wavefront6targetE1EEEvT1_,"axG",@progbits,_ZN7rocprim17ROCPRIM_400000_NS6detail17trampoline_kernelINS0_14default_configENS1_27scan_by_key_config_selectorIsiEEZZNS1_16scan_by_key_implILNS1_25lookback_scan_determinismE0ELb1ES3_N6thrust23THRUST_200600_302600_NS6detail15normal_iteratorINS9_10device_ptrIsEEEESE_SE_iNS9_4plusIvEENS9_8equal_toIvEEiEE10hipError_tPvRmT2_T3_T4_T5_mT6_T7_P12ihipStream_tbENKUlT_T0_E_clISt17integral_constantIbLb0EESY_IbLb1EEEEDaSU_SV_EUlSU_E_NS1_11comp_targetILNS1_3genE10ELNS1_11target_archE1200ELNS1_3gpuE4ELNS1_3repE0EEENS1_30default_config_static_selectorELNS0_4arch9wavefront6targetE1EEEvT1_,comdat
	.protected	_ZN7rocprim17ROCPRIM_400000_NS6detail17trampoline_kernelINS0_14default_configENS1_27scan_by_key_config_selectorIsiEEZZNS1_16scan_by_key_implILNS1_25lookback_scan_determinismE0ELb1ES3_N6thrust23THRUST_200600_302600_NS6detail15normal_iteratorINS9_10device_ptrIsEEEESE_SE_iNS9_4plusIvEENS9_8equal_toIvEEiEE10hipError_tPvRmT2_T3_T4_T5_mT6_T7_P12ihipStream_tbENKUlT_T0_E_clISt17integral_constantIbLb0EESY_IbLb1EEEEDaSU_SV_EUlSU_E_NS1_11comp_targetILNS1_3genE10ELNS1_11target_archE1200ELNS1_3gpuE4ELNS1_3repE0EEENS1_30default_config_static_selectorELNS0_4arch9wavefront6targetE1EEEvT1_ ; -- Begin function _ZN7rocprim17ROCPRIM_400000_NS6detail17trampoline_kernelINS0_14default_configENS1_27scan_by_key_config_selectorIsiEEZZNS1_16scan_by_key_implILNS1_25lookback_scan_determinismE0ELb1ES3_N6thrust23THRUST_200600_302600_NS6detail15normal_iteratorINS9_10device_ptrIsEEEESE_SE_iNS9_4plusIvEENS9_8equal_toIvEEiEE10hipError_tPvRmT2_T3_T4_T5_mT6_T7_P12ihipStream_tbENKUlT_T0_E_clISt17integral_constantIbLb0EESY_IbLb1EEEEDaSU_SV_EUlSU_E_NS1_11comp_targetILNS1_3genE10ELNS1_11target_archE1200ELNS1_3gpuE4ELNS1_3repE0EEENS1_30default_config_static_selectorELNS0_4arch9wavefront6targetE1EEEvT1_
	.globl	_ZN7rocprim17ROCPRIM_400000_NS6detail17trampoline_kernelINS0_14default_configENS1_27scan_by_key_config_selectorIsiEEZZNS1_16scan_by_key_implILNS1_25lookback_scan_determinismE0ELb1ES3_N6thrust23THRUST_200600_302600_NS6detail15normal_iteratorINS9_10device_ptrIsEEEESE_SE_iNS9_4plusIvEENS9_8equal_toIvEEiEE10hipError_tPvRmT2_T3_T4_T5_mT6_T7_P12ihipStream_tbENKUlT_T0_E_clISt17integral_constantIbLb0EESY_IbLb1EEEEDaSU_SV_EUlSU_E_NS1_11comp_targetILNS1_3genE10ELNS1_11target_archE1200ELNS1_3gpuE4ELNS1_3repE0EEENS1_30default_config_static_selectorELNS0_4arch9wavefront6targetE1EEEvT1_
	.p2align	8
	.type	_ZN7rocprim17ROCPRIM_400000_NS6detail17trampoline_kernelINS0_14default_configENS1_27scan_by_key_config_selectorIsiEEZZNS1_16scan_by_key_implILNS1_25lookback_scan_determinismE0ELb1ES3_N6thrust23THRUST_200600_302600_NS6detail15normal_iteratorINS9_10device_ptrIsEEEESE_SE_iNS9_4plusIvEENS9_8equal_toIvEEiEE10hipError_tPvRmT2_T3_T4_T5_mT6_T7_P12ihipStream_tbENKUlT_T0_E_clISt17integral_constantIbLb0EESY_IbLb1EEEEDaSU_SV_EUlSU_E_NS1_11comp_targetILNS1_3genE10ELNS1_11target_archE1200ELNS1_3gpuE4ELNS1_3repE0EEENS1_30default_config_static_selectorELNS0_4arch9wavefront6targetE1EEEvT1_,@function
_ZN7rocprim17ROCPRIM_400000_NS6detail17trampoline_kernelINS0_14default_configENS1_27scan_by_key_config_selectorIsiEEZZNS1_16scan_by_key_implILNS1_25lookback_scan_determinismE0ELb1ES3_N6thrust23THRUST_200600_302600_NS6detail15normal_iteratorINS9_10device_ptrIsEEEESE_SE_iNS9_4plusIvEENS9_8equal_toIvEEiEE10hipError_tPvRmT2_T3_T4_T5_mT6_T7_P12ihipStream_tbENKUlT_T0_E_clISt17integral_constantIbLb0EESY_IbLb1EEEEDaSU_SV_EUlSU_E_NS1_11comp_targetILNS1_3genE10ELNS1_11target_archE1200ELNS1_3gpuE4ELNS1_3repE0EEENS1_30default_config_static_selectorELNS0_4arch9wavefront6targetE1EEEvT1_: ; @_ZN7rocprim17ROCPRIM_400000_NS6detail17trampoline_kernelINS0_14default_configENS1_27scan_by_key_config_selectorIsiEEZZNS1_16scan_by_key_implILNS1_25lookback_scan_determinismE0ELb1ES3_N6thrust23THRUST_200600_302600_NS6detail15normal_iteratorINS9_10device_ptrIsEEEESE_SE_iNS9_4plusIvEENS9_8equal_toIvEEiEE10hipError_tPvRmT2_T3_T4_T5_mT6_T7_P12ihipStream_tbENKUlT_T0_E_clISt17integral_constantIbLb0EESY_IbLb1EEEEDaSU_SV_EUlSU_E_NS1_11comp_targetILNS1_3genE10ELNS1_11target_archE1200ELNS1_3gpuE4ELNS1_3repE0EEENS1_30default_config_static_selectorELNS0_4arch9wavefront6targetE1EEEvT1_
; %bb.0:
	.section	.rodata,"a",@progbits
	.p2align	6, 0x0
	.amdhsa_kernel _ZN7rocprim17ROCPRIM_400000_NS6detail17trampoline_kernelINS0_14default_configENS1_27scan_by_key_config_selectorIsiEEZZNS1_16scan_by_key_implILNS1_25lookback_scan_determinismE0ELb1ES3_N6thrust23THRUST_200600_302600_NS6detail15normal_iteratorINS9_10device_ptrIsEEEESE_SE_iNS9_4plusIvEENS9_8equal_toIvEEiEE10hipError_tPvRmT2_T3_T4_T5_mT6_T7_P12ihipStream_tbENKUlT_T0_E_clISt17integral_constantIbLb0EESY_IbLb1EEEEDaSU_SV_EUlSU_E_NS1_11comp_targetILNS1_3genE10ELNS1_11target_archE1200ELNS1_3gpuE4ELNS1_3repE0EEENS1_30default_config_static_selectorELNS0_4arch9wavefront6targetE1EEEvT1_
		.amdhsa_group_segment_fixed_size 0
		.amdhsa_private_segment_fixed_size 0
		.amdhsa_kernarg_size 112
		.amdhsa_user_sgpr_count 2
		.amdhsa_user_sgpr_dispatch_ptr 0
		.amdhsa_user_sgpr_queue_ptr 0
		.amdhsa_user_sgpr_kernarg_segment_ptr 1
		.amdhsa_user_sgpr_dispatch_id 0
		.amdhsa_user_sgpr_kernarg_preload_length 0
		.amdhsa_user_sgpr_kernarg_preload_offset 0
		.amdhsa_user_sgpr_private_segment_size 0
		.amdhsa_uses_dynamic_stack 0
		.amdhsa_enable_private_segment 0
		.amdhsa_system_sgpr_workgroup_id_x 1
		.amdhsa_system_sgpr_workgroup_id_y 0
		.amdhsa_system_sgpr_workgroup_id_z 0
		.amdhsa_system_sgpr_workgroup_info 0
		.amdhsa_system_vgpr_workitem_id 0
		.amdhsa_next_free_vgpr 1
		.amdhsa_next_free_sgpr 0
		.amdhsa_accum_offset 4
		.amdhsa_reserve_vcc 0
		.amdhsa_float_round_mode_32 0
		.amdhsa_float_round_mode_16_64 0
		.amdhsa_float_denorm_mode_32 3
		.amdhsa_float_denorm_mode_16_64 3
		.amdhsa_dx10_clamp 1
		.amdhsa_ieee_mode 1
		.amdhsa_fp16_overflow 0
		.amdhsa_tg_split 0
		.amdhsa_exception_fp_ieee_invalid_op 0
		.amdhsa_exception_fp_denorm_src 0
		.amdhsa_exception_fp_ieee_div_zero 0
		.amdhsa_exception_fp_ieee_overflow 0
		.amdhsa_exception_fp_ieee_underflow 0
		.amdhsa_exception_fp_ieee_inexact 0
		.amdhsa_exception_int_div_zero 0
	.end_amdhsa_kernel
	.section	.text._ZN7rocprim17ROCPRIM_400000_NS6detail17trampoline_kernelINS0_14default_configENS1_27scan_by_key_config_selectorIsiEEZZNS1_16scan_by_key_implILNS1_25lookback_scan_determinismE0ELb1ES3_N6thrust23THRUST_200600_302600_NS6detail15normal_iteratorINS9_10device_ptrIsEEEESE_SE_iNS9_4plusIvEENS9_8equal_toIvEEiEE10hipError_tPvRmT2_T3_T4_T5_mT6_T7_P12ihipStream_tbENKUlT_T0_E_clISt17integral_constantIbLb0EESY_IbLb1EEEEDaSU_SV_EUlSU_E_NS1_11comp_targetILNS1_3genE10ELNS1_11target_archE1200ELNS1_3gpuE4ELNS1_3repE0EEENS1_30default_config_static_selectorELNS0_4arch9wavefront6targetE1EEEvT1_,"axG",@progbits,_ZN7rocprim17ROCPRIM_400000_NS6detail17trampoline_kernelINS0_14default_configENS1_27scan_by_key_config_selectorIsiEEZZNS1_16scan_by_key_implILNS1_25lookback_scan_determinismE0ELb1ES3_N6thrust23THRUST_200600_302600_NS6detail15normal_iteratorINS9_10device_ptrIsEEEESE_SE_iNS9_4plusIvEENS9_8equal_toIvEEiEE10hipError_tPvRmT2_T3_T4_T5_mT6_T7_P12ihipStream_tbENKUlT_T0_E_clISt17integral_constantIbLb0EESY_IbLb1EEEEDaSU_SV_EUlSU_E_NS1_11comp_targetILNS1_3genE10ELNS1_11target_archE1200ELNS1_3gpuE4ELNS1_3repE0EEENS1_30default_config_static_selectorELNS0_4arch9wavefront6targetE1EEEvT1_,comdat
.Lfunc_end1078:
	.size	_ZN7rocprim17ROCPRIM_400000_NS6detail17trampoline_kernelINS0_14default_configENS1_27scan_by_key_config_selectorIsiEEZZNS1_16scan_by_key_implILNS1_25lookback_scan_determinismE0ELb1ES3_N6thrust23THRUST_200600_302600_NS6detail15normal_iteratorINS9_10device_ptrIsEEEESE_SE_iNS9_4plusIvEENS9_8equal_toIvEEiEE10hipError_tPvRmT2_T3_T4_T5_mT6_T7_P12ihipStream_tbENKUlT_T0_E_clISt17integral_constantIbLb0EESY_IbLb1EEEEDaSU_SV_EUlSU_E_NS1_11comp_targetILNS1_3genE10ELNS1_11target_archE1200ELNS1_3gpuE4ELNS1_3repE0EEENS1_30default_config_static_selectorELNS0_4arch9wavefront6targetE1EEEvT1_, .Lfunc_end1078-_ZN7rocprim17ROCPRIM_400000_NS6detail17trampoline_kernelINS0_14default_configENS1_27scan_by_key_config_selectorIsiEEZZNS1_16scan_by_key_implILNS1_25lookback_scan_determinismE0ELb1ES3_N6thrust23THRUST_200600_302600_NS6detail15normal_iteratorINS9_10device_ptrIsEEEESE_SE_iNS9_4plusIvEENS9_8equal_toIvEEiEE10hipError_tPvRmT2_T3_T4_T5_mT6_T7_P12ihipStream_tbENKUlT_T0_E_clISt17integral_constantIbLb0EESY_IbLb1EEEEDaSU_SV_EUlSU_E_NS1_11comp_targetILNS1_3genE10ELNS1_11target_archE1200ELNS1_3gpuE4ELNS1_3repE0EEENS1_30default_config_static_selectorELNS0_4arch9wavefront6targetE1EEEvT1_
                                        ; -- End function
	.section	.AMDGPU.csdata,"",@progbits
; Kernel info:
; codeLenInByte = 0
; NumSgprs: 6
; NumVgprs: 0
; NumAgprs: 0
; TotalNumVgprs: 0
; ScratchSize: 0
; MemoryBound: 0
; FloatMode: 240
; IeeeMode: 1
; LDSByteSize: 0 bytes/workgroup (compile time only)
; SGPRBlocks: 0
; VGPRBlocks: 0
; NumSGPRsForWavesPerEU: 6
; NumVGPRsForWavesPerEU: 1
; AccumOffset: 4
; Occupancy: 8
; WaveLimiterHint : 0
; COMPUTE_PGM_RSRC2:SCRATCH_EN: 0
; COMPUTE_PGM_RSRC2:USER_SGPR: 2
; COMPUTE_PGM_RSRC2:TRAP_HANDLER: 0
; COMPUTE_PGM_RSRC2:TGID_X_EN: 1
; COMPUTE_PGM_RSRC2:TGID_Y_EN: 0
; COMPUTE_PGM_RSRC2:TGID_Z_EN: 0
; COMPUTE_PGM_RSRC2:TIDIG_COMP_CNT: 0
; COMPUTE_PGM_RSRC3_GFX90A:ACCUM_OFFSET: 0
; COMPUTE_PGM_RSRC3_GFX90A:TG_SPLIT: 0
	.section	.text._ZN7rocprim17ROCPRIM_400000_NS6detail17trampoline_kernelINS0_14default_configENS1_27scan_by_key_config_selectorIsiEEZZNS1_16scan_by_key_implILNS1_25lookback_scan_determinismE0ELb1ES3_N6thrust23THRUST_200600_302600_NS6detail15normal_iteratorINS9_10device_ptrIsEEEESE_SE_iNS9_4plusIvEENS9_8equal_toIvEEiEE10hipError_tPvRmT2_T3_T4_T5_mT6_T7_P12ihipStream_tbENKUlT_T0_E_clISt17integral_constantIbLb0EESY_IbLb1EEEEDaSU_SV_EUlSU_E_NS1_11comp_targetILNS1_3genE9ELNS1_11target_archE1100ELNS1_3gpuE3ELNS1_3repE0EEENS1_30default_config_static_selectorELNS0_4arch9wavefront6targetE1EEEvT1_,"axG",@progbits,_ZN7rocprim17ROCPRIM_400000_NS6detail17trampoline_kernelINS0_14default_configENS1_27scan_by_key_config_selectorIsiEEZZNS1_16scan_by_key_implILNS1_25lookback_scan_determinismE0ELb1ES3_N6thrust23THRUST_200600_302600_NS6detail15normal_iteratorINS9_10device_ptrIsEEEESE_SE_iNS9_4plusIvEENS9_8equal_toIvEEiEE10hipError_tPvRmT2_T3_T4_T5_mT6_T7_P12ihipStream_tbENKUlT_T0_E_clISt17integral_constantIbLb0EESY_IbLb1EEEEDaSU_SV_EUlSU_E_NS1_11comp_targetILNS1_3genE9ELNS1_11target_archE1100ELNS1_3gpuE3ELNS1_3repE0EEENS1_30default_config_static_selectorELNS0_4arch9wavefront6targetE1EEEvT1_,comdat
	.protected	_ZN7rocprim17ROCPRIM_400000_NS6detail17trampoline_kernelINS0_14default_configENS1_27scan_by_key_config_selectorIsiEEZZNS1_16scan_by_key_implILNS1_25lookback_scan_determinismE0ELb1ES3_N6thrust23THRUST_200600_302600_NS6detail15normal_iteratorINS9_10device_ptrIsEEEESE_SE_iNS9_4plusIvEENS9_8equal_toIvEEiEE10hipError_tPvRmT2_T3_T4_T5_mT6_T7_P12ihipStream_tbENKUlT_T0_E_clISt17integral_constantIbLb0EESY_IbLb1EEEEDaSU_SV_EUlSU_E_NS1_11comp_targetILNS1_3genE9ELNS1_11target_archE1100ELNS1_3gpuE3ELNS1_3repE0EEENS1_30default_config_static_selectorELNS0_4arch9wavefront6targetE1EEEvT1_ ; -- Begin function _ZN7rocprim17ROCPRIM_400000_NS6detail17trampoline_kernelINS0_14default_configENS1_27scan_by_key_config_selectorIsiEEZZNS1_16scan_by_key_implILNS1_25lookback_scan_determinismE0ELb1ES3_N6thrust23THRUST_200600_302600_NS6detail15normal_iteratorINS9_10device_ptrIsEEEESE_SE_iNS9_4plusIvEENS9_8equal_toIvEEiEE10hipError_tPvRmT2_T3_T4_T5_mT6_T7_P12ihipStream_tbENKUlT_T0_E_clISt17integral_constantIbLb0EESY_IbLb1EEEEDaSU_SV_EUlSU_E_NS1_11comp_targetILNS1_3genE9ELNS1_11target_archE1100ELNS1_3gpuE3ELNS1_3repE0EEENS1_30default_config_static_selectorELNS0_4arch9wavefront6targetE1EEEvT1_
	.globl	_ZN7rocprim17ROCPRIM_400000_NS6detail17trampoline_kernelINS0_14default_configENS1_27scan_by_key_config_selectorIsiEEZZNS1_16scan_by_key_implILNS1_25lookback_scan_determinismE0ELb1ES3_N6thrust23THRUST_200600_302600_NS6detail15normal_iteratorINS9_10device_ptrIsEEEESE_SE_iNS9_4plusIvEENS9_8equal_toIvEEiEE10hipError_tPvRmT2_T3_T4_T5_mT6_T7_P12ihipStream_tbENKUlT_T0_E_clISt17integral_constantIbLb0EESY_IbLb1EEEEDaSU_SV_EUlSU_E_NS1_11comp_targetILNS1_3genE9ELNS1_11target_archE1100ELNS1_3gpuE3ELNS1_3repE0EEENS1_30default_config_static_selectorELNS0_4arch9wavefront6targetE1EEEvT1_
	.p2align	8
	.type	_ZN7rocprim17ROCPRIM_400000_NS6detail17trampoline_kernelINS0_14default_configENS1_27scan_by_key_config_selectorIsiEEZZNS1_16scan_by_key_implILNS1_25lookback_scan_determinismE0ELb1ES3_N6thrust23THRUST_200600_302600_NS6detail15normal_iteratorINS9_10device_ptrIsEEEESE_SE_iNS9_4plusIvEENS9_8equal_toIvEEiEE10hipError_tPvRmT2_T3_T4_T5_mT6_T7_P12ihipStream_tbENKUlT_T0_E_clISt17integral_constantIbLb0EESY_IbLb1EEEEDaSU_SV_EUlSU_E_NS1_11comp_targetILNS1_3genE9ELNS1_11target_archE1100ELNS1_3gpuE3ELNS1_3repE0EEENS1_30default_config_static_selectorELNS0_4arch9wavefront6targetE1EEEvT1_,@function
_ZN7rocprim17ROCPRIM_400000_NS6detail17trampoline_kernelINS0_14default_configENS1_27scan_by_key_config_selectorIsiEEZZNS1_16scan_by_key_implILNS1_25lookback_scan_determinismE0ELb1ES3_N6thrust23THRUST_200600_302600_NS6detail15normal_iteratorINS9_10device_ptrIsEEEESE_SE_iNS9_4plusIvEENS9_8equal_toIvEEiEE10hipError_tPvRmT2_T3_T4_T5_mT6_T7_P12ihipStream_tbENKUlT_T0_E_clISt17integral_constantIbLb0EESY_IbLb1EEEEDaSU_SV_EUlSU_E_NS1_11comp_targetILNS1_3genE9ELNS1_11target_archE1100ELNS1_3gpuE3ELNS1_3repE0EEENS1_30default_config_static_selectorELNS0_4arch9wavefront6targetE1EEEvT1_: ; @_ZN7rocprim17ROCPRIM_400000_NS6detail17trampoline_kernelINS0_14default_configENS1_27scan_by_key_config_selectorIsiEEZZNS1_16scan_by_key_implILNS1_25lookback_scan_determinismE0ELb1ES3_N6thrust23THRUST_200600_302600_NS6detail15normal_iteratorINS9_10device_ptrIsEEEESE_SE_iNS9_4plusIvEENS9_8equal_toIvEEiEE10hipError_tPvRmT2_T3_T4_T5_mT6_T7_P12ihipStream_tbENKUlT_T0_E_clISt17integral_constantIbLb0EESY_IbLb1EEEEDaSU_SV_EUlSU_E_NS1_11comp_targetILNS1_3genE9ELNS1_11target_archE1100ELNS1_3gpuE3ELNS1_3repE0EEENS1_30default_config_static_selectorELNS0_4arch9wavefront6targetE1EEEvT1_
; %bb.0:
	.section	.rodata,"a",@progbits
	.p2align	6, 0x0
	.amdhsa_kernel _ZN7rocprim17ROCPRIM_400000_NS6detail17trampoline_kernelINS0_14default_configENS1_27scan_by_key_config_selectorIsiEEZZNS1_16scan_by_key_implILNS1_25lookback_scan_determinismE0ELb1ES3_N6thrust23THRUST_200600_302600_NS6detail15normal_iteratorINS9_10device_ptrIsEEEESE_SE_iNS9_4plusIvEENS9_8equal_toIvEEiEE10hipError_tPvRmT2_T3_T4_T5_mT6_T7_P12ihipStream_tbENKUlT_T0_E_clISt17integral_constantIbLb0EESY_IbLb1EEEEDaSU_SV_EUlSU_E_NS1_11comp_targetILNS1_3genE9ELNS1_11target_archE1100ELNS1_3gpuE3ELNS1_3repE0EEENS1_30default_config_static_selectorELNS0_4arch9wavefront6targetE1EEEvT1_
		.amdhsa_group_segment_fixed_size 0
		.amdhsa_private_segment_fixed_size 0
		.amdhsa_kernarg_size 112
		.amdhsa_user_sgpr_count 2
		.amdhsa_user_sgpr_dispatch_ptr 0
		.amdhsa_user_sgpr_queue_ptr 0
		.amdhsa_user_sgpr_kernarg_segment_ptr 1
		.amdhsa_user_sgpr_dispatch_id 0
		.amdhsa_user_sgpr_kernarg_preload_length 0
		.amdhsa_user_sgpr_kernarg_preload_offset 0
		.amdhsa_user_sgpr_private_segment_size 0
		.amdhsa_uses_dynamic_stack 0
		.amdhsa_enable_private_segment 0
		.amdhsa_system_sgpr_workgroup_id_x 1
		.amdhsa_system_sgpr_workgroup_id_y 0
		.amdhsa_system_sgpr_workgroup_id_z 0
		.amdhsa_system_sgpr_workgroup_info 0
		.amdhsa_system_vgpr_workitem_id 0
		.amdhsa_next_free_vgpr 1
		.amdhsa_next_free_sgpr 0
		.amdhsa_accum_offset 4
		.amdhsa_reserve_vcc 0
		.amdhsa_float_round_mode_32 0
		.amdhsa_float_round_mode_16_64 0
		.amdhsa_float_denorm_mode_32 3
		.amdhsa_float_denorm_mode_16_64 3
		.amdhsa_dx10_clamp 1
		.amdhsa_ieee_mode 1
		.amdhsa_fp16_overflow 0
		.amdhsa_tg_split 0
		.amdhsa_exception_fp_ieee_invalid_op 0
		.amdhsa_exception_fp_denorm_src 0
		.amdhsa_exception_fp_ieee_div_zero 0
		.amdhsa_exception_fp_ieee_overflow 0
		.amdhsa_exception_fp_ieee_underflow 0
		.amdhsa_exception_fp_ieee_inexact 0
		.amdhsa_exception_int_div_zero 0
	.end_amdhsa_kernel
	.section	.text._ZN7rocprim17ROCPRIM_400000_NS6detail17trampoline_kernelINS0_14default_configENS1_27scan_by_key_config_selectorIsiEEZZNS1_16scan_by_key_implILNS1_25lookback_scan_determinismE0ELb1ES3_N6thrust23THRUST_200600_302600_NS6detail15normal_iteratorINS9_10device_ptrIsEEEESE_SE_iNS9_4plusIvEENS9_8equal_toIvEEiEE10hipError_tPvRmT2_T3_T4_T5_mT6_T7_P12ihipStream_tbENKUlT_T0_E_clISt17integral_constantIbLb0EESY_IbLb1EEEEDaSU_SV_EUlSU_E_NS1_11comp_targetILNS1_3genE9ELNS1_11target_archE1100ELNS1_3gpuE3ELNS1_3repE0EEENS1_30default_config_static_selectorELNS0_4arch9wavefront6targetE1EEEvT1_,"axG",@progbits,_ZN7rocprim17ROCPRIM_400000_NS6detail17trampoline_kernelINS0_14default_configENS1_27scan_by_key_config_selectorIsiEEZZNS1_16scan_by_key_implILNS1_25lookback_scan_determinismE0ELb1ES3_N6thrust23THRUST_200600_302600_NS6detail15normal_iteratorINS9_10device_ptrIsEEEESE_SE_iNS9_4plusIvEENS9_8equal_toIvEEiEE10hipError_tPvRmT2_T3_T4_T5_mT6_T7_P12ihipStream_tbENKUlT_T0_E_clISt17integral_constantIbLb0EESY_IbLb1EEEEDaSU_SV_EUlSU_E_NS1_11comp_targetILNS1_3genE9ELNS1_11target_archE1100ELNS1_3gpuE3ELNS1_3repE0EEENS1_30default_config_static_selectorELNS0_4arch9wavefront6targetE1EEEvT1_,comdat
.Lfunc_end1079:
	.size	_ZN7rocprim17ROCPRIM_400000_NS6detail17trampoline_kernelINS0_14default_configENS1_27scan_by_key_config_selectorIsiEEZZNS1_16scan_by_key_implILNS1_25lookback_scan_determinismE0ELb1ES3_N6thrust23THRUST_200600_302600_NS6detail15normal_iteratorINS9_10device_ptrIsEEEESE_SE_iNS9_4plusIvEENS9_8equal_toIvEEiEE10hipError_tPvRmT2_T3_T4_T5_mT6_T7_P12ihipStream_tbENKUlT_T0_E_clISt17integral_constantIbLb0EESY_IbLb1EEEEDaSU_SV_EUlSU_E_NS1_11comp_targetILNS1_3genE9ELNS1_11target_archE1100ELNS1_3gpuE3ELNS1_3repE0EEENS1_30default_config_static_selectorELNS0_4arch9wavefront6targetE1EEEvT1_, .Lfunc_end1079-_ZN7rocprim17ROCPRIM_400000_NS6detail17trampoline_kernelINS0_14default_configENS1_27scan_by_key_config_selectorIsiEEZZNS1_16scan_by_key_implILNS1_25lookback_scan_determinismE0ELb1ES3_N6thrust23THRUST_200600_302600_NS6detail15normal_iteratorINS9_10device_ptrIsEEEESE_SE_iNS9_4plusIvEENS9_8equal_toIvEEiEE10hipError_tPvRmT2_T3_T4_T5_mT6_T7_P12ihipStream_tbENKUlT_T0_E_clISt17integral_constantIbLb0EESY_IbLb1EEEEDaSU_SV_EUlSU_E_NS1_11comp_targetILNS1_3genE9ELNS1_11target_archE1100ELNS1_3gpuE3ELNS1_3repE0EEENS1_30default_config_static_selectorELNS0_4arch9wavefront6targetE1EEEvT1_
                                        ; -- End function
	.section	.AMDGPU.csdata,"",@progbits
; Kernel info:
; codeLenInByte = 0
; NumSgprs: 6
; NumVgprs: 0
; NumAgprs: 0
; TotalNumVgprs: 0
; ScratchSize: 0
; MemoryBound: 0
; FloatMode: 240
; IeeeMode: 1
; LDSByteSize: 0 bytes/workgroup (compile time only)
; SGPRBlocks: 0
; VGPRBlocks: 0
; NumSGPRsForWavesPerEU: 6
; NumVGPRsForWavesPerEU: 1
; AccumOffset: 4
; Occupancy: 8
; WaveLimiterHint : 0
; COMPUTE_PGM_RSRC2:SCRATCH_EN: 0
; COMPUTE_PGM_RSRC2:USER_SGPR: 2
; COMPUTE_PGM_RSRC2:TRAP_HANDLER: 0
; COMPUTE_PGM_RSRC2:TGID_X_EN: 1
; COMPUTE_PGM_RSRC2:TGID_Y_EN: 0
; COMPUTE_PGM_RSRC2:TGID_Z_EN: 0
; COMPUTE_PGM_RSRC2:TIDIG_COMP_CNT: 0
; COMPUTE_PGM_RSRC3_GFX90A:ACCUM_OFFSET: 0
; COMPUTE_PGM_RSRC3_GFX90A:TG_SPLIT: 0
	.section	.text._ZN7rocprim17ROCPRIM_400000_NS6detail17trampoline_kernelINS0_14default_configENS1_27scan_by_key_config_selectorIsiEEZZNS1_16scan_by_key_implILNS1_25lookback_scan_determinismE0ELb1ES3_N6thrust23THRUST_200600_302600_NS6detail15normal_iteratorINS9_10device_ptrIsEEEESE_SE_iNS9_4plusIvEENS9_8equal_toIvEEiEE10hipError_tPvRmT2_T3_T4_T5_mT6_T7_P12ihipStream_tbENKUlT_T0_E_clISt17integral_constantIbLb0EESY_IbLb1EEEEDaSU_SV_EUlSU_E_NS1_11comp_targetILNS1_3genE8ELNS1_11target_archE1030ELNS1_3gpuE2ELNS1_3repE0EEENS1_30default_config_static_selectorELNS0_4arch9wavefront6targetE1EEEvT1_,"axG",@progbits,_ZN7rocprim17ROCPRIM_400000_NS6detail17trampoline_kernelINS0_14default_configENS1_27scan_by_key_config_selectorIsiEEZZNS1_16scan_by_key_implILNS1_25lookback_scan_determinismE0ELb1ES3_N6thrust23THRUST_200600_302600_NS6detail15normal_iteratorINS9_10device_ptrIsEEEESE_SE_iNS9_4plusIvEENS9_8equal_toIvEEiEE10hipError_tPvRmT2_T3_T4_T5_mT6_T7_P12ihipStream_tbENKUlT_T0_E_clISt17integral_constantIbLb0EESY_IbLb1EEEEDaSU_SV_EUlSU_E_NS1_11comp_targetILNS1_3genE8ELNS1_11target_archE1030ELNS1_3gpuE2ELNS1_3repE0EEENS1_30default_config_static_selectorELNS0_4arch9wavefront6targetE1EEEvT1_,comdat
	.protected	_ZN7rocprim17ROCPRIM_400000_NS6detail17trampoline_kernelINS0_14default_configENS1_27scan_by_key_config_selectorIsiEEZZNS1_16scan_by_key_implILNS1_25lookback_scan_determinismE0ELb1ES3_N6thrust23THRUST_200600_302600_NS6detail15normal_iteratorINS9_10device_ptrIsEEEESE_SE_iNS9_4plusIvEENS9_8equal_toIvEEiEE10hipError_tPvRmT2_T3_T4_T5_mT6_T7_P12ihipStream_tbENKUlT_T0_E_clISt17integral_constantIbLb0EESY_IbLb1EEEEDaSU_SV_EUlSU_E_NS1_11comp_targetILNS1_3genE8ELNS1_11target_archE1030ELNS1_3gpuE2ELNS1_3repE0EEENS1_30default_config_static_selectorELNS0_4arch9wavefront6targetE1EEEvT1_ ; -- Begin function _ZN7rocprim17ROCPRIM_400000_NS6detail17trampoline_kernelINS0_14default_configENS1_27scan_by_key_config_selectorIsiEEZZNS1_16scan_by_key_implILNS1_25lookback_scan_determinismE0ELb1ES3_N6thrust23THRUST_200600_302600_NS6detail15normal_iteratorINS9_10device_ptrIsEEEESE_SE_iNS9_4plusIvEENS9_8equal_toIvEEiEE10hipError_tPvRmT2_T3_T4_T5_mT6_T7_P12ihipStream_tbENKUlT_T0_E_clISt17integral_constantIbLb0EESY_IbLb1EEEEDaSU_SV_EUlSU_E_NS1_11comp_targetILNS1_3genE8ELNS1_11target_archE1030ELNS1_3gpuE2ELNS1_3repE0EEENS1_30default_config_static_selectorELNS0_4arch9wavefront6targetE1EEEvT1_
	.globl	_ZN7rocprim17ROCPRIM_400000_NS6detail17trampoline_kernelINS0_14default_configENS1_27scan_by_key_config_selectorIsiEEZZNS1_16scan_by_key_implILNS1_25lookback_scan_determinismE0ELb1ES3_N6thrust23THRUST_200600_302600_NS6detail15normal_iteratorINS9_10device_ptrIsEEEESE_SE_iNS9_4plusIvEENS9_8equal_toIvEEiEE10hipError_tPvRmT2_T3_T4_T5_mT6_T7_P12ihipStream_tbENKUlT_T0_E_clISt17integral_constantIbLb0EESY_IbLb1EEEEDaSU_SV_EUlSU_E_NS1_11comp_targetILNS1_3genE8ELNS1_11target_archE1030ELNS1_3gpuE2ELNS1_3repE0EEENS1_30default_config_static_selectorELNS0_4arch9wavefront6targetE1EEEvT1_
	.p2align	8
	.type	_ZN7rocprim17ROCPRIM_400000_NS6detail17trampoline_kernelINS0_14default_configENS1_27scan_by_key_config_selectorIsiEEZZNS1_16scan_by_key_implILNS1_25lookback_scan_determinismE0ELb1ES3_N6thrust23THRUST_200600_302600_NS6detail15normal_iteratorINS9_10device_ptrIsEEEESE_SE_iNS9_4plusIvEENS9_8equal_toIvEEiEE10hipError_tPvRmT2_T3_T4_T5_mT6_T7_P12ihipStream_tbENKUlT_T0_E_clISt17integral_constantIbLb0EESY_IbLb1EEEEDaSU_SV_EUlSU_E_NS1_11comp_targetILNS1_3genE8ELNS1_11target_archE1030ELNS1_3gpuE2ELNS1_3repE0EEENS1_30default_config_static_selectorELNS0_4arch9wavefront6targetE1EEEvT1_,@function
_ZN7rocprim17ROCPRIM_400000_NS6detail17trampoline_kernelINS0_14default_configENS1_27scan_by_key_config_selectorIsiEEZZNS1_16scan_by_key_implILNS1_25lookback_scan_determinismE0ELb1ES3_N6thrust23THRUST_200600_302600_NS6detail15normal_iteratorINS9_10device_ptrIsEEEESE_SE_iNS9_4plusIvEENS9_8equal_toIvEEiEE10hipError_tPvRmT2_T3_T4_T5_mT6_T7_P12ihipStream_tbENKUlT_T0_E_clISt17integral_constantIbLb0EESY_IbLb1EEEEDaSU_SV_EUlSU_E_NS1_11comp_targetILNS1_3genE8ELNS1_11target_archE1030ELNS1_3gpuE2ELNS1_3repE0EEENS1_30default_config_static_selectorELNS0_4arch9wavefront6targetE1EEEvT1_: ; @_ZN7rocprim17ROCPRIM_400000_NS6detail17trampoline_kernelINS0_14default_configENS1_27scan_by_key_config_selectorIsiEEZZNS1_16scan_by_key_implILNS1_25lookback_scan_determinismE0ELb1ES3_N6thrust23THRUST_200600_302600_NS6detail15normal_iteratorINS9_10device_ptrIsEEEESE_SE_iNS9_4plusIvEENS9_8equal_toIvEEiEE10hipError_tPvRmT2_T3_T4_T5_mT6_T7_P12ihipStream_tbENKUlT_T0_E_clISt17integral_constantIbLb0EESY_IbLb1EEEEDaSU_SV_EUlSU_E_NS1_11comp_targetILNS1_3genE8ELNS1_11target_archE1030ELNS1_3gpuE2ELNS1_3repE0EEENS1_30default_config_static_selectorELNS0_4arch9wavefront6targetE1EEEvT1_
; %bb.0:
	.section	.rodata,"a",@progbits
	.p2align	6, 0x0
	.amdhsa_kernel _ZN7rocprim17ROCPRIM_400000_NS6detail17trampoline_kernelINS0_14default_configENS1_27scan_by_key_config_selectorIsiEEZZNS1_16scan_by_key_implILNS1_25lookback_scan_determinismE0ELb1ES3_N6thrust23THRUST_200600_302600_NS6detail15normal_iteratorINS9_10device_ptrIsEEEESE_SE_iNS9_4plusIvEENS9_8equal_toIvEEiEE10hipError_tPvRmT2_T3_T4_T5_mT6_T7_P12ihipStream_tbENKUlT_T0_E_clISt17integral_constantIbLb0EESY_IbLb1EEEEDaSU_SV_EUlSU_E_NS1_11comp_targetILNS1_3genE8ELNS1_11target_archE1030ELNS1_3gpuE2ELNS1_3repE0EEENS1_30default_config_static_selectorELNS0_4arch9wavefront6targetE1EEEvT1_
		.amdhsa_group_segment_fixed_size 0
		.amdhsa_private_segment_fixed_size 0
		.amdhsa_kernarg_size 112
		.amdhsa_user_sgpr_count 2
		.amdhsa_user_sgpr_dispatch_ptr 0
		.amdhsa_user_sgpr_queue_ptr 0
		.amdhsa_user_sgpr_kernarg_segment_ptr 1
		.amdhsa_user_sgpr_dispatch_id 0
		.amdhsa_user_sgpr_kernarg_preload_length 0
		.amdhsa_user_sgpr_kernarg_preload_offset 0
		.amdhsa_user_sgpr_private_segment_size 0
		.amdhsa_uses_dynamic_stack 0
		.amdhsa_enable_private_segment 0
		.amdhsa_system_sgpr_workgroup_id_x 1
		.amdhsa_system_sgpr_workgroup_id_y 0
		.amdhsa_system_sgpr_workgroup_id_z 0
		.amdhsa_system_sgpr_workgroup_info 0
		.amdhsa_system_vgpr_workitem_id 0
		.amdhsa_next_free_vgpr 1
		.amdhsa_next_free_sgpr 0
		.amdhsa_accum_offset 4
		.amdhsa_reserve_vcc 0
		.amdhsa_float_round_mode_32 0
		.amdhsa_float_round_mode_16_64 0
		.amdhsa_float_denorm_mode_32 3
		.amdhsa_float_denorm_mode_16_64 3
		.amdhsa_dx10_clamp 1
		.amdhsa_ieee_mode 1
		.amdhsa_fp16_overflow 0
		.amdhsa_tg_split 0
		.amdhsa_exception_fp_ieee_invalid_op 0
		.amdhsa_exception_fp_denorm_src 0
		.amdhsa_exception_fp_ieee_div_zero 0
		.amdhsa_exception_fp_ieee_overflow 0
		.amdhsa_exception_fp_ieee_underflow 0
		.amdhsa_exception_fp_ieee_inexact 0
		.amdhsa_exception_int_div_zero 0
	.end_amdhsa_kernel
	.section	.text._ZN7rocprim17ROCPRIM_400000_NS6detail17trampoline_kernelINS0_14default_configENS1_27scan_by_key_config_selectorIsiEEZZNS1_16scan_by_key_implILNS1_25lookback_scan_determinismE0ELb1ES3_N6thrust23THRUST_200600_302600_NS6detail15normal_iteratorINS9_10device_ptrIsEEEESE_SE_iNS9_4plusIvEENS9_8equal_toIvEEiEE10hipError_tPvRmT2_T3_T4_T5_mT6_T7_P12ihipStream_tbENKUlT_T0_E_clISt17integral_constantIbLb0EESY_IbLb1EEEEDaSU_SV_EUlSU_E_NS1_11comp_targetILNS1_3genE8ELNS1_11target_archE1030ELNS1_3gpuE2ELNS1_3repE0EEENS1_30default_config_static_selectorELNS0_4arch9wavefront6targetE1EEEvT1_,"axG",@progbits,_ZN7rocprim17ROCPRIM_400000_NS6detail17trampoline_kernelINS0_14default_configENS1_27scan_by_key_config_selectorIsiEEZZNS1_16scan_by_key_implILNS1_25lookback_scan_determinismE0ELb1ES3_N6thrust23THRUST_200600_302600_NS6detail15normal_iteratorINS9_10device_ptrIsEEEESE_SE_iNS9_4plusIvEENS9_8equal_toIvEEiEE10hipError_tPvRmT2_T3_T4_T5_mT6_T7_P12ihipStream_tbENKUlT_T0_E_clISt17integral_constantIbLb0EESY_IbLb1EEEEDaSU_SV_EUlSU_E_NS1_11comp_targetILNS1_3genE8ELNS1_11target_archE1030ELNS1_3gpuE2ELNS1_3repE0EEENS1_30default_config_static_selectorELNS0_4arch9wavefront6targetE1EEEvT1_,comdat
.Lfunc_end1080:
	.size	_ZN7rocprim17ROCPRIM_400000_NS6detail17trampoline_kernelINS0_14default_configENS1_27scan_by_key_config_selectorIsiEEZZNS1_16scan_by_key_implILNS1_25lookback_scan_determinismE0ELb1ES3_N6thrust23THRUST_200600_302600_NS6detail15normal_iteratorINS9_10device_ptrIsEEEESE_SE_iNS9_4plusIvEENS9_8equal_toIvEEiEE10hipError_tPvRmT2_T3_T4_T5_mT6_T7_P12ihipStream_tbENKUlT_T0_E_clISt17integral_constantIbLb0EESY_IbLb1EEEEDaSU_SV_EUlSU_E_NS1_11comp_targetILNS1_3genE8ELNS1_11target_archE1030ELNS1_3gpuE2ELNS1_3repE0EEENS1_30default_config_static_selectorELNS0_4arch9wavefront6targetE1EEEvT1_, .Lfunc_end1080-_ZN7rocprim17ROCPRIM_400000_NS6detail17trampoline_kernelINS0_14default_configENS1_27scan_by_key_config_selectorIsiEEZZNS1_16scan_by_key_implILNS1_25lookback_scan_determinismE0ELb1ES3_N6thrust23THRUST_200600_302600_NS6detail15normal_iteratorINS9_10device_ptrIsEEEESE_SE_iNS9_4plusIvEENS9_8equal_toIvEEiEE10hipError_tPvRmT2_T3_T4_T5_mT6_T7_P12ihipStream_tbENKUlT_T0_E_clISt17integral_constantIbLb0EESY_IbLb1EEEEDaSU_SV_EUlSU_E_NS1_11comp_targetILNS1_3genE8ELNS1_11target_archE1030ELNS1_3gpuE2ELNS1_3repE0EEENS1_30default_config_static_selectorELNS0_4arch9wavefront6targetE1EEEvT1_
                                        ; -- End function
	.section	.AMDGPU.csdata,"",@progbits
; Kernel info:
; codeLenInByte = 0
; NumSgprs: 6
; NumVgprs: 0
; NumAgprs: 0
; TotalNumVgprs: 0
; ScratchSize: 0
; MemoryBound: 0
; FloatMode: 240
; IeeeMode: 1
; LDSByteSize: 0 bytes/workgroup (compile time only)
; SGPRBlocks: 0
; VGPRBlocks: 0
; NumSGPRsForWavesPerEU: 6
; NumVGPRsForWavesPerEU: 1
; AccumOffset: 4
; Occupancy: 8
; WaveLimiterHint : 0
; COMPUTE_PGM_RSRC2:SCRATCH_EN: 0
; COMPUTE_PGM_RSRC2:USER_SGPR: 2
; COMPUTE_PGM_RSRC2:TRAP_HANDLER: 0
; COMPUTE_PGM_RSRC2:TGID_X_EN: 1
; COMPUTE_PGM_RSRC2:TGID_Y_EN: 0
; COMPUTE_PGM_RSRC2:TGID_Z_EN: 0
; COMPUTE_PGM_RSRC2:TIDIG_COMP_CNT: 0
; COMPUTE_PGM_RSRC3_GFX90A:ACCUM_OFFSET: 0
; COMPUTE_PGM_RSRC3_GFX90A:TG_SPLIT: 0
	.section	.text._ZN6thrust23THRUST_200600_302600_NS11hip_rocprim14__parallel_for6kernelILj256ENS1_11__transform17unary_transform_fINS0_7pointerIiNS1_3tagENS0_11use_defaultES8_EENS0_10device_ptrIdEENS4_14no_stencil_tagENS0_8identityIiEENS4_21always_true_predicateEEElLj1EEEvT0_T1_SI_,"axG",@progbits,_ZN6thrust23THRUST_200600_302600_NS11hip_rocprim14__parallel_for6kernelILj256ENS1_11__transform17unary_transform_fINS0_7pointerIiNS1_3tagENS0_11use_defaultES8_EENS0_10device_ptrIdEENS4_14no_stencil_tagENS0_8identityIiEENS4_21always_true_predicateEEElLj1EEEvT0_T1_SI_,comdat
	.protected	_ZN6thrust23THRUST_200600_302600_NS11hip_rocprim14__parallel_for6kernelILj256ENS1_11__transform17unary_transform_fINS0_7pointerIiNS1_3tagENS0_11use_defaultES8_EENS0_10device_ptrIdEENS4_14no_stencil_tagENS0_8identityIiEENS4_21always_true_predicateEEElLj1EEEvT0_T1_SI_ ; -- Begin function _ZN6thrust23THRUST_200600_302600_NS11hip_rocprim14__parallel_for6kernelILj256ENS1_11__transform17unary_transform_fINS0_7pointerIiNS1_3tagENS0_11use_defaultES8_EENS0_10device_ptrIdEENS4_14no_stencil_tagENS0_8identityIiEENS4_21always_true_predicateEEElLj1EEEvT0_T1_SI_
	.globl	_ZN6thrust23THRUST_200600_302600_NS11hip_rocprim14__parallel_for6kernelILj256ENS1_11__transform17unary_transform_fINS0_7pointerIiNS1_3tagENS0_11use_defaultES8_EENS0_10device_ptrIdEENS4_14no_stencil_tagENS0_8identityIiEENS4_21always_true_predicateEEElLj1EEEvT0_T1_SI_
	.p2align	8
	.type	_ZN6thrust23THRUST_200600_302600_NS11hip_rocprim14__parallel_for6kernelILj256ENS1_11__transform17unary_transform_fINS0_7pointerIiNS1_3tagENS0_11use_defaultES8_EENS0_10device_ptrIdEENS4_14no_stencil_tagENS0_8identityIiEENS4_21always_true_predicateEEElLj1EEEvT0_T1_SI_,@function
_ZN6thrust23THRUST_200600_302600_NS11hip_rocprim14__parallel_for6kernelILj256ENS1_11__transform17unary_transform_fINS0_7pointerIiNS1_3tagENS0_11use_defaultES8_EENS0_10device_ptrIdEENS4_14no_stencil_tagENS0_8identityIiEENS4_21always_true_predicateEEElLj1EEEvT0_T1_SI_: ; @_ZN6thrust23THRUST_200600_302600_NS11hip_rocprim14__parallel_for6kernelILj256ENS1_11__transform17unary_transform_fINS0_7pointerIiNS1_3tagENS0_11use_defaultES8_EENS0_10device_ptrIdEENS4_14no_stencil_tagENS0_8identityIiEENS4_21always_true_predicateEEElLj1EEEvT0_T1_SI_
; %bb.0:
	s_load_dwordx4 s[8:11], s[0:1], 0x18
	s_load_dwordx4 s[4:7], s[0:1], 0x0
	s_lshl_b32 s0, s2, 8
	v_mov_b64_e32 v[2:3], 0x100
	s_waitcnt lgkmcnt(0)
	s_add_u32 s0, s0, s10
	s_addc_u32 s1, 0, s11
	s_sub_u32 s2, s8, s0
	s_subb_u32 s3, s9, s1
	v_cmp_lt_i64_e32 vcc, s[2:3], v[2:3]
	s_and_b64 s[8:9], vcc, exec
	s_cselect_b32 s8, s2, 0x100
	s_cmpk_lg_i32 s8, 0x100
	s_mov_b64 s[2:3], -1
	s_cbranch_scc1 .LBB1081_3
; %bb.1:
	s_andn2_b64 vcc, exec, s[2:3]
	s_cbranch_vccz .LBB1081_6
.LBB1081_2:
	s_endpgm
.LBB1081_3:
	v_cmp_gt_u32_e32 vcc, s8, v0
	s_and_saveexec_b64 s[2:3], vcc
	s_cbranch_execz .LBB1081_5
; %bb.4:
	v_mov_b32_e32 v1, 0
	v_lshl_add_u64 v[2:3], s[0:1], 0, v[0:1]
	v_lshl_add_u64 v[4:5], v[2:3], 2, s[4:5]
	flat_load_dword v1, v[4:5]
	v_lshl_add_u64 v[2:3], v[2:3], 3, s[6:7]
	s_waitcnt vmcnt(0) lgkmcnt(0)
	v_cvt_f64_i32_e32 v[4:5], v1
	flat_store_dwordx2 v[2:3], v[4:5]
.LBB1081_5:
	s_or_b64 exec, exec, s[2:3]
	s_cbranch_execnz .LBB1081_2
.LBB1081_6:
	v_mov_b32_e32 v1, 0
	v_lshl_add_u64 v[0:1], s[0:1], 0, v[0:1]
	v_lshl_add_u64 v[2:3], v[0:1], 2, s[4:5]
	flat_load_dword v2, v[2:3]
	v_lshl_add_u64 v[0:1], v[0:1], 3, s[6:7]
	s_waitcnt vmcnt(0) lgkmcnt(0)
	v_cvt_f64_i32_e32 v[2:3], v2
	flat_store_dwordx2 v[0:1], v[2:3]
	s_endpgm
	.section	.rodata,"a",@progbits
	.p2align	6, 0x0
	.amdhsa_kernel _ZN6thrust23THRUST_200600_302600_NS11hip_rocprim14__parallel_for6kernelILj256ENS1_11__transform17unary_transform_fINS0_7pointerIiNS1_3tagENS0_11use_defaultES8_EENS0_10device_ptrIdEENS4_14no_stencil_tagENS0_8identityIiEENS4_21always_true_predicateEEElLj1EEEvT0_T1_SI_
		.amdhsa_group_segment_fixed_size 0
		.amdhsa_private_segment_fixed_size 0
		.amdhsa_kernarg_size 40
		.amdhsa_user_sgpr_count 2
		.amdhsa_user_sgpr_dispatch_ptr 0
		.amdhsa_user_sgpr_queue_ptr 0
		.amdhsa_user_sgpr_kernarg_segment_ptr 1
		.amdhsa_user_sgpr_dispatch_id 0
		.amdhsa_user_sgpr_kernarg_preload_length 0
		.amdhsa_user_sgpr_kernarg_preload_offset 0
		.amdhsa_user_sgpr_private_segment_size 0
		.amdhsa_uses_dynamic_stack 0
		.amdhsa_enable_private_segment 0
		.amdhsa_system_sgpr_workgroup_id_x 1
		.amdhsa_system_sgpr_workgroup_id_y 0
		.amdhsa_system_sgpr_workgroup_id_z 0
		.amdhsa_system_sgpr_workgroup_info 0
		.amdhsa_system_vgpr_workitem_id 0
		.amdhsa_next_free_vgpr 6
		.amdhsa_next_free_sgpr 12
		.amdhsa_accum_offset 8
		.amdhsa_reserve_vcc 1
		.amdhsa_float_round_mode_32 0
		.amdhsa_float_round_mode_16_64 0
		.amdhsa_float_denorm_mode_32 3
		.amdhsa_float_denorm_mode_16_64 3
		.amdhsa_dx10_clamp 1
		.amdhsa_ieee_mode 1
		.amdhsa_fp16_overflow 0
		.amdhsa_tg_split 0
		.amdhsa_exception_fp_ieee_invalid_op 0
		.amdhsa_exception_fp_denorm_src 0
		.amdhsa_exception_fp_ieee_div_zero 0
		.amdhsa_exception_fp_ieee_overflow 0
		.amdhsa_exception_fp_ieee_underflow 0
		.amdhsa_exception_fp_ieee_inexact 0
		.amdhsa_exception_int_div_zero 0
	.end_amdhsa_kernel
	.section	.text._ZN6thrust23THRUST_200600_302600_NS11hip_rocprim14__parallel_for6kernelILj256ENS1_11__transform17unary_transform_fINS0_7pointerIiNS1_3tagENS0_11use_defaultES8_EENS0_10device_ptrIdEENS4_14no_stencil_tagENS0_8identityIiEENS4_21always_true_predicateEEElLj1EEEvT0_T1_SI_,"axG",@progbits,_ZN6thrust23THRUST_200600_302600_NS11hip_rocprim14__parallel_for6kernelILj256ENS1_11__transform17unary_transform_fINS0_7pointerIiNS1_3tagENS0_11use_defaultES8_EENS0_10device_ptrIdEENS4_14no_stencil_tagENS0_8identityIiEENS4_21always_true_predicateEEElLj1EEEvT0_T1_SI_,comdat
.Lfunc_end1081:
	.size	_ZN6thrust23THRUST_200600_302600_NS11hip_rocprim14__parallel_for6kernelILj256ENS1_11__transform17unary_transform_fINS0_7pointerIiNS1_3tagENS0_11use_defaultES8_EENS0_10device_ptrIdEENS4_14no_stencil_tagENS0_8identityIiEENS4_21always_true_predicateEEElLj1EEEvT0_T1_SI_, .Lfunc_end1081-_ZN6thrust23THRUST_200600_302600_NS11hip_rocprim14__parallel_for6kernelILj256ENS1_11__transform17unary_transform_fINS0_7pointerIiNS1_3tagENS0_11use_defaultES8_EENS0_10device_ptrIdEENS4_14no_stencil_tagENS0_8identityIiEENS4_21always_true_predicateEEElLj1EEEvT0_T1_SI_
                                        ; -- End function
	.section	.AMDGPU.csdata,"",@progbits
; Kernel info:
; codeLenInByte = 216
; NumSgprs: 18
; NumVgprs: 6
; NumAgprs: 0
; TotalNumVgprs: 6
; ScratchSize: 0
; MemoryBound: 0
; FloatMode: 240
; IeeeMode: 1
; LDSByteSize: 0 bytes/workgroup (compile time only)
; SGPRBlocks: 2
; VGPRBlocks: 0
; NumSGPRsForWavesPerEU: 18
; NumVGPRsForWavesPerEU: 6
; AccumOffset: 8
; Occupancy: 8
; WaveLimiterHint : 0
; COMPUTE_PGM_RSRC2:SCRATCH_EN: 0
; COMPUTE_PGM_RSRC2:USER_SGPR: 2
; COMPUTE_PGM_RSRC2:TRAP_HANDLER: 0
; COMPUTE_PGM_RSRC2:TGID_X_EN: 1
; COMPUTE_PGM_RSRC2:TGID_Y_EN: 0
; COMPUTE_PGM_RSRC2:TGID_Z_EN: 0
; COMPUTE_PGM_RSRC2:TIDIG_COMP_CNT: 0
; COMPUTE_PGM_RSRC3_GFX90A:ACCUM_OFFSET: 1
; COMPUTE_PGM_RSRC3_GFX90A:TG_SPLIT: 0
	.section	.text._ZN6thrust23THRUST_200600_302600_NS11hip_rocprim14__parallel_for6kernelILj256ENS1_20__uninitialized_fill7functorINS0_10device_ptrIdEEdEEmLj1EEEvT0_T1_SA_,"axG",@progbits,_ZN6thrust23THRUST_200600_302600_NS11hip_rocprim14__parallel_for6kernelILj256ENS1_20__uninitialized_fill7functorINS0_10device_ptrIdEEdEEmLj1EEEvT0_T1_SA_,comdat
	.protected	_ZN6thrust23THRUST_200600_302600_NS11hip_rocprim14__parallel_for6kernelILj256ENS1_20__uninitialized_fill7functorINS0_10device_ptrIdEEdEEmLj1EEEvT0_T1_SA_ ; -- Begin function _ZN6thrust23THRUST_200600_302600_NS11hip_rocprim14__parallel_for6kernelILj256ENS1_20__uninitialized_fill7functorINS0_10device_ptrIdEEdEEmLj1EEEvT0_T1_SA_
	.globl	_ZN6thrust23THRUST_200600_302600_NS11hip_rocprim14__parallel_for6kernelILj256ENS1_20__uninitialized_fill7functorINS0_10device_ptrIdEEdEEmLj1EEEvT0_T1_SA_
	.p2align	8
	.type	_ZN6thrust23THRUST_200600_302600_NS11hip_rocprim14__parallel_for6kernelILj256ENS1_20__uninitialized_fill7functorINS0_10device_ptrIdEEdEEmLj1EEEvT0_T1_SA_,@function
_ZN6thrust23THRUST_200600_302600_NS11hip_rocprim14__parallel_for6kernelILj256ENS1_20__uninitialized_fill7functorINS0_10device_ptrIdEEdEEmLj1EEEvT0_T1_SA_: ; @_ZN6thrust23THRUST_200600_302600_NS11hip_rocprim14__parallel_for6kernelILj256ENS1_20__uninitialized_fill7functorINS0_10device_ptrIdEEdEEmLj1EEEvT0_T1_SA_
; %bb.0:
	s_load_dwordx8 s[4:11], s[0:1], 0x0
	s_lshl_b32 s0, s2, 8
	v_mov_b64_e32 v[2:3], 0x100
	s_waitcnt lgkmcnt(0)
	s_add_u32 s0, s0, s10
	s_addc_u32 s1, 0, s11
	s_sub_u32 s2, s8, s0
	s_subb_u32 s3, s9, s1
	v_cmp_lt_u64_e32 vcc, s[2:3], v[2:3]
	s_cbranch_vccz .LBB1082_2
; %bb.1:
	v_cmp_gt_u32_e32 vcc, s2, v0
	s_and_b64 s[2:3], vcc, exec
	s_cbranch_execz .LBB1082_3
	s_branch .LBB1082_4
.LBB1082_2:
	s_mov_b64 s[2:3], 0
.LBB1082_3:
	s_or_b64 s[2:3], s[2:3], exec
.LBB1082_4:
	s_and_saveexec_b64 s[8:9], s[2:3]
	s_cbranch_execnz .LBB1082_6
; %bb.5:
	s_endpgm
.LBB1082_6:
	s_lshl_b64 s[0:1], s[0:1], 3
	s_add_u32 s0, s4, s0
	v_mov_b32_e32 v1, 0
	s_addc_u32 s1, s5, s1
	v_mov_b32_e32 v2, s6
	v_mov_b32_e32 v3, s7
	v_lshl_add_u64 v[0:1], v[0:1], 3, s[0:1]
	flat_store_dwordx2 v[0:1], v[2:3]
	s_endpgm
	.section	.rodata,"a",@progbits
	.p2align	6, 0x0
	.amdhsa_kernel _ZN6thrust23THRUST_200600_302600_NS11hip_rocprim14__parallel_for6kernelILj256ENS1_20__uninitialized_fill7functorINS0_10device_ptrIdEEdEEmLj1EEEvT0_T1_SA_
		.amdhsa_group_segment_fixed_size 0
		.amdhsa_private_segment_fixed_size 0
		.amdhsa_kernarg_size 32
		.amdhsa_user_sgpr_count 2
		.amdhsa_user_sgpr_dispatch_ptr 0
		.amdhsa_user_sgpr_queue_ptr 0
		.amdhsa_user_sgpr_kernarg_segment_ptr 1
		.amdhsa_user_sgpr_dispatch_id 0
		.amdhsa_user_sgpr_kernarg_preload_length 0
		.amdhsa_user_sgpr_kernarg_preload_offset 0
		.amdhsa_user_sgpr_private_segment_size 0
		.amdhsa_uses_dynamic_stack 0
		.amdhsa_enable_private_segment 0
		.amdhsa_system_sgpr_workgroup_id_x 1
		.amdhsa_system_sgpr_workgroup_id_y 0
		.amdhsa_system_sgpr_workgroup_id_z 0
		.amdhsa_system_sgpr_workgroup_info 0
		.amdhsa_system_vgpr_workitem_id 0
		.amdhsa_next_free_vgpr 4
		.amdhsa_next_free_sgpr 12
		.amdhsa_accum_offset 4
		.amdhsa_reserve_vcc 1
		.amdhsa_float_round_mode_32 0
		.amdhsa_float_round_mode_16_64 0
		.amdhsa_float_denorm_mode_32 3
		.amdhsa_float_denorm_mode_16_64 3
		.amdhsa_dx10_clamp 1
		.amdhsa_ieee_mode 1
		.amdhsa_fp16_overflow 0
		.amdhsa_tg_split 0
		.amdhsa_exception_fp_ieee_invalid_op 0
		.amdhsa_exception_fp_denorm_src 0
		.amdhsa_exception_fp_ieee_div_zero 0
		.amdhsa_exception_fp_ieee_overflow 0
		.amdhsa_exception_fp_ieee_underflow 0
		.amdhsa_exception_fp_ieee_inexact 0
		.amdhsa_exception_int_div_zero 0
	.end_amdhsa_kernel
	.section	.text._ZN6thrust23THRUST_200600_302600_NS11hip_rocprim14__parallel_for6kernelILj256ENS1_20__uninitialized_fill7functorINS0_10device_ptrIdEEdEEmLj1EEEvT0_T1_SA_,"axG",@progbits,_ZN6thrust23THRUST_200600_302600_NS11hip_rocprim14__parallel_for6kernelILj256ENS1_20__uninitialized_fill7functorINS0_10device_ptrIdEEdEEmLj1EEEvT0_T1_SA_,comdat
.Lfunc_end1082:
	.size	_ZN6thrust23THRUST_200600_302600_NS11hip_rocprim14__parallel_for6kernelILj256ENS1_20__uninitialized_fill7functorINS0_10device_ptrIdEEdEEmLj1EEEvT0_T1_SA_, .Lfunc_end1082-_ZN6thrust23THRUST_200600_302600_NS11hip_rocprim14__parallel_for6kernelILj256ENS1_20__uninitialized_fill7functorINS0_10device_ptrIdEEdEEmLj1EEEvT0_T1_SA_
                                        ; -- End function
	.section	.AMDGPU.csdata,"",@progbits
; Kernel info:
; codeLenInByte = 128
; NumSgprs: 18
; NumVgprs: 4
; NumAgprs: 0
; TotalNumVgprs: 4
; ScratchSize: 0
; MemoryBound: 0
; FloatMode: 240
; IeeeMode: 1
; LDSByteSize: 0 bytes/workgroup (compile time only)
; SGPRBlocks: 2
; VGPRBlocks: 0
; NumSGPRsForWavesPerEU: 18
; NumVGPRsForWavesPerEU: 4
; AccumOffset: 4
; Occupancy: 8
; WaveLimiterHint : 0
; COMPUTE_PGM_RSRC2:SCRATCH_EN: 0
; COMPUTE_PGM_RSRC2:USER_SGPR: 2
; COMPUTE_PGM_RSRC2:TRAP_HANDLER: 0
; COMPUTE_PGM_RSRC2:TGID_X_EN: 1
; COMPUTE_PGM_RSRC2:TGID_Y_EN: 0
; COMPUTE_PGM_RSRC2:TGID_Z_EN: 0
; COMPUTE_PGM_RSRC2:TIDIG_COMP_CNT: 0
; COMPUTE_PGM_RSRC3_GFX90A:ACCUM_OFFSET: 0
; COMPUTE_PGM_RSRC3_GFX90A:TG_SPLIT: 0
	.section	.text._ZN7rocprim17ROCPRIM_400000_NS6detail30init_device_scan_by_key_kernelINS1_19lookback_scan_stateINS0_5tupleIJdbEEELb0ELb0EEEN6thrust23THRUST_200600_302600_NS6detail15normal_iteratorINS8_10device_ptrIiEEEEjNS1_16block_id_wrapperIjLb0EEEEEvT_jjPNSG_10value_typeET0_PNSt15iterator_traitsISJ_E10value_typeEmT1_T2_,"axG",@progbits,_ZN7rocprim17ROCPRIM_400000_NS6detail30init_device_scan_by_key_kernelINS1_19lookback_scan_stateINS0_5tupleIJdbEEELb0ELb0EEEN6thrust23THRUST_200600_302600_NS6detail15normal_iteratorINS8_10device_ptrIiEEEEjNS1_16block_id_wrapperIjLb0EEEEEvT_jjPNSG_10value_typeET0_PNSt15iterator_traitsISJ_E10value_typeEmT1_T2_,comdat
	.protected	_ZN7rocprim17ROCPRIM_400000_NS6detail30init_device_scan_by_key_kernelINS1_19lookback_scan_stateINS0_5tupleIJdbEEELb0ELb0EEEN6thrust23THRUST_200600_302600_NS6detail15normal_iteratorINS8_10device_ptrIiEEEEjNS1_16block_id_wrapperIjLb0EEEEEvT_jjPNSG_10value_typeET0_PNSt15iterator_traitsISJ_E10value_typeEmT1_T2_ ; -- Begin function _ZN7rocprim17ROCPRIM_400000_NS6detail30init_device_scan_by_key_kernelINS1_19lookback_scan_stateINS0_5tupleIJdbEEELb0ELb0EEEN6thrust23THRUST_200600_302600_NS6detail15normal_iteratorINS8_10device_ptrIiEEEEjNS1_16block_id_wrapperIjLb0EEEEEvT_jjPNSG_10value_typeET0_PNSt15iterator_traitsISJ_E10value_typeEmT1_T2_
	.globl	_ZN7rocprim17ROCPRIM_400000_NS6detail30init_device_scan_by_key_kernelINS1_19lookback_scan_stateINS0_5tupleIJdbEEELb0ELb0EEEN6thrust23THRUST_200600_302600_NS6detail15normal_iteratorINS8_10device_ptrIiEEEEjNS1_16block_id_wrapperIjLb0EEEEEvT_jjPNSG_10value_typeET0_PNSt15iterator_traitsISJ_E10value_typeEmT1_T2_
	.p2align	8
	.type	_ZN7rocprim17ROCPRIM_400000_NS6detail30init_device_scan_by_key_kernelINS1_19lookback_scan_stateINS0_5tupleIJdbEEELb0ELb0EEEN6thrust23THRUST_200600_302600_NS6detail15normal_iteratorINS8_10device_ptrIiEEEEjNS1_16block_id_wrapperIjLb0EEEEEvT_jjPNSG_10value_typeET0_PNSt15iterator_traitsISJ_E10value_typeEmT1_T2_,@function
_ZN7rocprim17ROCPRIM_400000_NS6detail30init_device_scan_by_key_kernelINS1_19lookback_scan_stateINS0_5tupleIJdbEEELb0ELb0EEEN6thrust23THRUST_200600_302600_NS6detail15normal_iteratorINS8_10device_ptrIiEEEEjNS1_16block_id_wrapperIjLb0EEEEEvT_jjPNSG_10value_typeET0_PNSt15iterator_traitsISJ_E10value_typeEmT1_T2_: ; @_ZN7rocprim17ROCPRIM_400000_NS6detail30init_device_scan_by_key_kernelINS1_19lookback_scan_stateINS0_5tupleIJdbEEELb0ELb0EEEN6thrust23THRUST_200600_302600_NS6detail15normal_iteratorINS8_10device_ptrIiEEEEjNS1_16block_id_wrapperIjLb0EEEEEvT_jjPNSG_10value_typeET0_PNSt15iterator_traitsISJ_E10value_typeEmT1_T2_
; %bb.0:
	s_load_dword s3, s[0:1], 0x54
	s_load_dwordx8 s[4:11], s[0:1], 0x10
	s_load_dword s20, s[0:1], 0x48
	s_waitcnt lgkmcnt(0)
	s_and_b32 s21, s3, 0xffff
	s_mul_i32 s2, s2, s21
	s_cmp_eq_u64 s[8:9], 0
	v_add_u32_e32 v0, s2, v0
	s_cbranch_scc1 .LBB1083_7
; %bb.1:
	s_cmp_lt_u32 s7, s6
	s_cselect_b32 s2, s7, 0
	s_mov_b32 s17, 0
	v_cmp_eq_u32_e32 vcc, s2, v0
	s_and_saveexec_b64 s[2:3], vcc
	s_cbranch_execz .LBB1083_6
; %bb.2:
	s_add_i32 s16, s7, 64
	v_mov_b32_e32 v1, s16
	global_load_ubyte v1, v1, s[4:5] sc1
	s_load_dwordx4 s[12:15], s[0:1], 0x0
	s_add_u32 s18, s4, s16
	s_addc_u32 s19, s5, 0
	s_waitcnt vmcnt(0)
	v_cmp_ne_u16_e32 vcc, 0, v1
	v_readfirstlane_b32 s7, v1
	s_cbranch_vccnz .LBB1083_5
; %bb.3:
	v_mov_b32_e32 v1, 0
.LBB1083_4:                             ; =>This Inner Loop Header: Depth=1
	global_load_ubyte v2, v1, s[18:19] sc1
	s_waitcnt vmcnt(0)
	v_cmp_eq_u16_e32 vcc, 0, v2
	v_readfirstlane_b32 s7, v2
	s_cbranch_vccnz .LBB1083_4
.LBB1083_5:
	s_and_b32 s7, 0xffff, s7
	s_cmp_eq_u32 s7, 1
	s_waitcnt lgkmcnt(0)
	s_cselect_b32 s7, s13, s15
	s_cselect_b32 s14, s12, s14
	s_lshl_b64 s[12:13], s[16:17], 4
	s_add_u32 s12, s14, s12
	s_addc_u32 s13, s7, s13
	v_mov_b32_e32 v1, 0
	s_waitcnt vmcnt(0)
	global_load_dword v2, v1, s[12:13] sc1
	global_load_dword v3, v1, s[12:13] offset:4 sc1
	global_load_dword v4, v1, s[12:13] offset:8 sc1
	;; [unrolled: 1-line block ×3, first 2 shown]
	s_waitcnt vmcnt(2)
	global_store_dwordx2 v1, v[2:3], s[8:9]
	s_waitcnt vmcnt(2)
	global_store_byte v1, v4, s[8:9] offset:8
.LBB1083_6:
	s_or_b64 exec, exec, s[2:3]
.LBB1083_7:
	v_cmp_gt_u32_e32 vcc, s6, v0
	s_and_saveexec_b64 s[2:3], vcc
	s_cbranch_execz .LBB1083_9
; %bb.8:
	v_add_u32_e32 v1, 64, v0
	v_mov_b32_e32 v2, 0
	global_store_byte v1, v2, s[4:5]
.LBB1083_9:
	s_or_b64 exec, exec, s[2:3]
	v_cmp_gt_u32_e32 vcc, 64, v0
	v_mov_b32_e32 v1, 0
	s_and_saveexec_b64 s[2:3], vcc
	s_cbranch_execz .LBB1083_11
; %bb.10:
	v_lshl_add_u64 v[2:3], s[4:5], 0, v[0:1]
	v_mov_b32_e32 v4, 0xff
	global_store_byte v[2:3], v4, off
.LBB1083_11:
	s_or_b64 exec, exec, s[2:3]
	s_load_dwordx2 s[2:3], s[0:1], 0x38
	s_waitcnt lgkmcnt(0)
	v_cmp_gt_u64_e32 vcc, s[2:3], v[0:1]
	s_and_saveexec_b64 s[4:5], vcc
	s_cbranch_execz .LBB1083_14
; %bb.12:
	s_load_dword s12, s[0:1], 0x40
	s_load_dwordx2 s[6:7], s[0:1], 0x30
	s_mov_b32 s5, 0
	s_mov_b32 s1, s5
	s_mul_i32 s0, s20, s21
	s_waitcnt lgkmcnt(0)
	s_add_i32 s4, s12, -1
	s_lshl_b64 s[4:5], s[4:5], 2
	s_add_u32 s4, s10, s4
	v_mad_u64_u32 v[2:3], s[8:9], s12, v0, 0
	s_addc_u32 s5, s11, s5
	v_lshl_add_u64 v[2:3], v[2:3], 2, s[4:5]
	s_mul_hi_u32 s5, s12, s0
	s_mul_i32 s4, s12, s0
	s_lshl_b64 s[4:5], s[4:5], 2
	s_waitcnt vmcnt(2)
	v_lshl_add_u64 v[4:5], v[0:1], 2, s[6:7]
	s_lshl_b64 s[6:7], s[0:1], 2
	s_mov_b64 s[8:9], 0
.LBB1083_13:                            ; =>This Inner Loop Header: Depth=1
	global_load_dword v6, v[2:3], off
	v_lshl_add_u64 v[0:1], v[0:1], 0, s[0:1]
	v_cmp_le_u64_e32 vcc, s[2:3], v[0:1]
	v_lshl_add_u64 v[2:3], v[2:3], 0, s[4:5]
	s_or_b64 s[8:9], vcc, s[8:9]
	s_waitcnt vmcnt(0)
	global_store_dword v[4:5], v6, off
	v_lshl_add_u64 v[4:5], v[4:5], 0, s[6:7]
	s_andn2_b64 exec, exec, s[8:9]
	s_cbranch_execnz .LBB1083_13
.LBB1083_14:
	s_endpgm
	.section	.rodata,"a",@progbits
	.p2align	6, 0x0
	.amdhsa_kernel _ZN7rocprim17ROCPRIM_400000_NS6detail30init_device_scan_by_key_kernelINS1_19lookback_scan_stateINS0_5tupleIJdbEEELb0ELb0EEEN6thrust23THRUST_200600_302600_NS6detail15normal_iteratorINS8_10device_ptrIiEEEEjNS1_16block_id_wrapperIjLb0EEEEEvT_jjPNSG_10value_typeET0_PNSt15iterator_traitsISJ_E10value_typeEmT1_T2_
		.amdhsa_group_segment_fixed_size 0
		.amdhsa_private_segment_fixed_size 0
		.amdhsa_kernarg_size 328
		.amdhsa_user_sgpr_count 2
		.amdhsa_user_sgpr_dispatch_ptr 0
		.amdhsa_user_sgpr_queue_ptr 0
		.amdhsa_user_sgpr_kernarg_segment_ptr 1
		.amdhsa_user_sgpr_dispatch_id 0
		.amdhsa_user_sgpr_kernarg_preload_length 0
		.amdhsa_user_sgpr_kernarg_preload_offset 0
		.amdhsa_user_sgpr_private_segment_size 0
		.amdhsa_uses_dynamic_stack 0
		.amdhsa_enable_private_segment 0
		.amdhsa_system_sgpr_workgroup_id_x 1
		.amdhsa_system_sgpr_workgroup_id_y 0
		.amdhsa_system_sgpr_workgroup_id_z 0
		.amdhsa_system_sgpr_workgroup_info 0
		.amdhsa_system_vgpr_workitem_id 0
		.amdhsa_next_free_vgpr 7
		.amdhsa_next_free_sgpr 22
		.amdhsa_accum_offset 8
		.amdhsa_reserve_vcc 1
		.amdhsa_float_round_mode_32 0
		.amdhsa_float_round_mode_16_64 0
		.amdhsa_float_denorm_mode_32 3
		.amdhsa_float_denorm_mode_16_64 3
		.amdhsa_dx10_clamp 1
		.amdhsa_ieee_mode 1
		.amdhsa_fp16_overflow 0
		.amdhsa_tg_split 0
		.amdhsa_exception_fp_ieee_invalid_op 0
		.amdhsa_exception_fp_denorm_src 0
		.amdhsa_exception_fp_ieee_div_zero 0
		.amdhsa_exception_fp_ieee_overflow 0
		.amdhsa_exception_fp_ieee_underflow 0
		.amdhsa_exception_fp_ieee_inexact 0
		.amdhsa_exception_int_div_zero 0
	.end_amdhsa_kernel
	.section	.text._ZN7rocprim17ROCPRIM_400000_NS6detail30init_device_scan_by_key_kernelINS1_19lookback_scan_stateINS0_5tupleIJdbEEELb0ELb0EEEN6thrust23THRUST_200600_302600_NS6detail15normal_iteratorINS8_10device_ptrIiEEEEjNS1_16block_id_wrapperIjLb0EEEEEvT_jjPNSG_10value_typeET0_PNSt15iterator_traitsISJ_E10value_typeEmT1_T2_,"axG",@progbits,_ZN7rocprim17ROCPRIM_400000_NS6detail30init_device_scan_by_key_kernelINS1_19lookback_scan_stateINS0_5tupleIJdbEEELb0ELb0EEEN6thrust23THRUST_200600_302600_NS6detail15normal_iteratorINS8_10device_ptrIiEEEEjNS1_16block_id_wrapperIjLb0EEEEEvT_jjPNSG_10value_typeET0_PNSt15iterator_traitsISJ_E10value_typeEmT1_T2_,comdat
.Lfunc_end1083:
	.size	_ZN7rocprim17ROCPRIM_400000_NS6detail30init_device_scan_by_key_kernelINS1_19lookback_scan_stateINS0_5tupleIJdbEEELb0ELb0EEEN6thrust23THRUST_200600_302600_NS6detail15normal_iteratorINS8_10device_ptrIiEEEEjNS1_16block_id_wrapperIjLb0EEEEEvT_jjPNSG_10value_typeET0_PNSt15iterator_traitsISJ_E10value_typeEmT1_T2_, .Lfunc_end1083-_ZN7rocprim17ROCPRIM_400000_NS6detail30init_device_scan_by_key_kernelINS1_19lookback_scan_stateINS0_5tupleIJdbEEELb0ELb0EEEN6thrust23THRUST_200600_302600_NS6detail15normal_iteratorINS8_10device_ptrIiEEEEjNS1_16block_id_wrapperIjLb0EEEEEvT_jjPNSG_10value_typeET0_PNSt15iterator_traitsISJ_E10value_typeEmT1_T2_
                                        ; -- End function
	.section	.AMDGPU.csdata,"",@progbits
; Kernel info:
; codeLenInByte = 516
; NumSgprs: 28
; NumVgprs: 7
; NumAgprs: 0
; TotalNumVgprs: 7
; ScratchSize: 0
; MemoryBound: 0
; FloatMode: 240
; IeeeMode: 1
; LDSByteSize: 0 bytes/workgroup (compile time only)
; SGPRBlocks: 3
; VGPRBlocks: 0
; NumSGPRsForWavesPerEU: 28
; NumVGPRsForWavesPerEU: 7
; AccumOffset: 8
; Occupancy: 8
; WaveLimiterHint : 0
; COMPUTE_PGM_RSRC2:SCRATCH_EN: 0
; COMPUTE_PGM_RSRC2:USER_SGPR: 2
; COMPUTE_PGM_RSRC2:TRAP_HANDLER: 0
; COMPUTE_PGM_RSRC2:TGID_X_EN: 1
; COMPUTE_PGM_RSRC2:TGID_Y_EN: 0
; COMPUTE_PGM_RSRC2:TGID_Z_EN: 0
; COMPUTE_PGM_RSRC2:TIDIG_COMP_CNT: 0
; COMPUTE_PGM_RSRC3_GFX90A:ACCUM_OFFSET: 1
; COMPUTE_PGM_RSRC3_GFX90A:TG_SPLIT: 0
	.section	.text._ZN7rocprim17ROCPRIM_400000_NS6detail30init_device_scan_by_key_kernelINS1_19lookback_scan_stateINS0_5tupleIJdbEEELb0ELb0EEENS1_16block_id_wrapperIjLb0EEEEEvT_jjPNS9_10value_typeET0_,"axG",@progbits,_ZN7rocprim17ROCPRIM_400000_NS6detail30init_device_scan_by_key_kernelINS1_19lookback_scan_stateINS0_5tupleIJdbEEELb0ELb0EEENS1_16block_id_wrapperIjLb0EEEEEvT_jjPNS9_10value_typeET0_,comdat
	.protected	_ZN7rocprim17ROCPRIM_400000_NS6detail30init_device_scan_by_key_kernelINS1_19lookback_scan_stateINS0_5tupleIJdbEEELb0ELb0EEENS1_16block_id_wrapperIjLb0EEEEEvT_jjPNS9_10value_typeET0_ ; -- Begin function _ZN7rocprim17ROCPRIM_400000_NS6detail30init_device_scan_by_key_kernelINS1_19lookback_scan_stateINS0_5tupleIJdbEEELb0ELb0EEENS1_16block_id_wrapperIjLb0EEEEEvT_jjPNS9_10value_typeET0_
	.globl	_ZN7rocprim17ROCPRIM_400000_NS6detail30init_device_scan_by_key_kernelINS1_19lookback_scan_stateINS0_5tupleIJdbEEELb0ELb0EEENS1_16block_id_wrapperIjLb0EEEEEvT_jjPNS9_10value_typeET0_
	.p2align	8
	.type	_ZN7rocprim17ROCPRIM_400000_NS6detail30init_device_scan_by_key_kernelINS1_19lookback_scan_stateINS0_5tupleIJdbEEELb0ELb0EEENS1_16block_id_wrapperIjLb0EEEEEvT_jjPNS9_10value_typeET0_,@function
_ZN7rocprim17ROCPRIM_400000_NS6detail30init_device_scan_by_key_kernelINS1_19lookback_scan_stateINS0_5tupleIJdbEEELb0ELb0EEENS1_16block_id_wrapperIjLb0EEEEEvT_jjPNS9_10value_typeET0_: ; @_ZN7rocprim17ROCPRIM_400000_NS6detail30init_device_scan_by_key_kernelINS1_19lookback_scan_stateINS0_5tupleIJdbEEELb0ELb0EEENS1_16block_id_wrapperIjLb0EEEEEvT_jjPNS9_10value_typeET0_
; %bb.0:
	s_load_dword s3, s[0:1], 0x3c
	s_load_dwordx2 s[8:9], s[0:1], 0x20
	s_load_dwordx4 s[4:7], s[0:1], 0x10
	s_waitcnt lgkmcnt(0)
	s_and_b32 s3, s3, 0xffff
	s_mul_i32 s2, s2, s3
	s_cmp_eq_u64 s[8:9], 0
	v_add_u32_e32 v0, s2, v0
	s_cbranch_scc1 .LBB1084_7
; %bb.1:
	s_cmp_lt_u32 s7, s6
	s_cselect_b32 s2, s7, 0
	s_mov_b32 s13, 0
	v_cmp_eq_u32_e32 vcc, s2, v0
	s_and_saveexec_b64 s[10:11], vcc
	s_cbranch_execz .LBB1084_6
; %bb.2:
	s_add_i32 s12, s7, 64
	v_mov_b32_e32 v1, s12
	global_load_ubyte v1, v1, s[4:5] sc1
	s_load_dwordx4 s[0:3], s[0:1], 0x0
	s_add_u32 s14, s4, s12
	s_addc_u32 s15, s5, 0
	s_waitcnt vmcnt(0)
	v_cmp_ne_u16_e32 vcc, 0, v1
	v_readfirstlane_b32 s7, v1
	s_cbranch_vccnz .LBB1084_5
; %bb.3:
	v_mov_b32_e32 v1, 0
.LBB1084_4:                             ; =>This Inner Loop Header: Depth=1
	global_load_ubyte v2, v1, s[14:15] sc1
	s_waitcnt vmcnt(0)
	v_cmp_eq_u16_e32 vcc, 0, v2
	v_readfirstlane_b32 s7, v2
	s_cbranch_vccnz .LBB1084_4
.LBB1084_5:
	s_and_b32 s7, 0xffff, s7
	s_cmp_eq_u32 s7, 1
	s_waitcnt lgkmcnt(0)
	s_cselect_b32 s3, s1, s3
	s_cselect_b32 s2, s0, s2
	s_lshl_b64 s[0:1], s[12:13], 4
	s_add_u32 s0, s2, s0
	s_addc_u32 s1, s3, s1
	v_mov_b32_e32 v1, 0
	s_waitcnt vmcnt(0)
	global_load_dword v2, v1, s[0:1] sc1
	global_load_dword v3, v1, s[0:1] offset:4 sc1
	global_load_dword v4, v1, s[0:1] offset:8 sc1
	;; [unrolled: 1-line block ×3, first 2 shown]
	s_waitcnt vmcnt(2)
	global_store_dwordx2 v1, v[2:3], s[8:9]
	s_waitcnt vmcnt(2)
	global_store_byte v1, v4, s[8:9] offset:8
.LBB1084_6:
	s_or_b64 exec, exec, s[10:11]
.LBB1084_7:
	v_cmp_gt_u32_e32 vcc, s6, v0
	s_and_saveexec_b64 s[0:1], vcc
	s_cbranch_execnz .LBB1084_10
; %bb.8:
	s_or_b64 exec, exec, s[0:1]
	v_cmp_gt_u32_e32 vcc, 64, v0
	s_and_saveexec_b64 s[0:1], vcc
	s_cbranch_execnz .LBB1084_11
.LBB1084_9:
	s_endpgm
.LBB1084_10:
	v_add_u32_e32 v1, 64, v0
	v_mov_b32_e32 v2, 0
	global_store_byte v1, v2, s[4:5]
	s_or_b64 exec, exec, s[0:1]
	v_cmp_gt_u32_e32 vcc, 64, v0
	s_and_saveexec_b64 s[0:1], vcc
	s_cbranch_execz .LBB1084_9
.LBB1084_11:
	v_mov_b32_e32 v1, 0xff
	global_store_byte v0, v1, s[4:5]
	s_endpgm
	.section	.rodata,"a",@progbits
	.p2align	6, 0x0
	.amdhsa_kernel _ZN7rocprim17ROCPRIM_400000_NS6detail30init_device_scan_by_key_kernelINS1_19lookback_scan_stateINS0_5tupleIJdbEEELb0ELb0EEENS1_16block_id_wrapperIjLb0EEEEEvT_jjPNS9_10value_typeET0_
		.amdhsa_group_segment_fixed_size 0
		.amdhsa_private_segment_fixed_size 0
		.amdhsa_kernarg_size 304
		.amdhsa_user_sgpr_count 2
		.amdhsa_user_sgpr_dispatch_ptr 0
		.amdhsa_user_sgpr_queue_ptr 0
		.amdhsa_user_sgpr_kernarg_segment_ptr 1
		.amdhsa_user_sgpr_dispatch_id 0
		.amdhsa_user_sgpr_kernarg_preload_length 0
		.amdhsa_user_sgpr_kernarg_preload_offset 0
		.amdhsa_user_sgpr_private_segment_size 0
		.amdhsa_uses_dynamic_stack 0
		.amdhsa_enable_private_segment 0
		.amdhsa_system_sgpr_workgroup_id_x 1
		.amdhsa_system_sgpr_workgroup_id_y 0
		.amdhsa_system_sgpr_workgroup_id_z 0
		.amdhsa_system_sgpr_workgroup_info 0
		.amdhsa_system_vgpr_workitem_id 0
		.amdhsa_next_free_vgpr 6
		.amdhsa_next_free_sgpr 16
		.amdhsa_accum_offset 8
		.amdhsa_reserve_vcc 1
		.amdhsa_float_round_mode_32 0
		.amdhsa_float_round_mode_16_64 0
		.amdhsa_float_denorm_mode_32 3
		.amdhsa_float_denorm_mode_16_64 3
		.amdhsa_dx10_clamp 1
		.amdhsa_ieee_mode 1
		.amdhsa_fp16_overflow 0
		.amdhsa_tg_split 0
		.amdhsa_exception_fp_ieee_invalid_op 0
		.amdhsa_exception_fp_denorm_src 0
		.amdhsa_exception_fp_ieee_div_zero 0
		.amdhsa_exception_fp_ieee_overflow 0
		.amdhsa_exception_fp_ieee_underflow 0
		.amdhsa_exception_fp_ieee_inexact 0
		.amdhsa_exception_int_div_zero 0
	.end_amdhsa_kernel
	.section	.text._ZN7rocprim17ROCPRIM_400000_NS6detail30init_device_scan_by_key_kernelINS1_19lookback_scan_stateINS0_5tupleIJdbEEELb0ELb0EEENS1_16block_id_wrapperIjLb0EEEEEvT_jjPNS9_10value_typeET0_,"axG",@progbits,_ZN7rocprim17ROCPRIM_400000_NS6detail30init_device_scan_by_key_kernelINS1_19lookback_scan_stateINS0_5tupleIJdbEEELb0ELb0EEENS1_16block_id_wrapperIjLb0EEEEEvT_jjPNS9_10value_typeET0_,comdat
.Lfunc_end1084:
	.size	_ZN7rocprim17ROCPRIM_400000_NS6detail30init_device_scan_by_key_kernelINS1_19lookback_scan_stateINS0_5tupleIJdbEEELb0ELb0EEENS1_16block_id_wrapperIjLb0EEEEEvT_jjPNS9_10value_typeET0_, .Lfunc_end1084-_ZN7rocprim17ROCPRIM_400000_NS6detail30init_device_scan_by_key_kernelINS1_19lookback_scan_stateINS0_5tupleIJdbEEELb0ELb0EEENS1_16block_id_wrapperIjLb0EEEEEvT_jjPNS9_10value_typeET0_
                                        ; -- End function
	.section	.AMDGPU.csdata,"",@progbits
; Kernel info:
; codeLenInByte = 340
; NumSgprs: 22
; NumVgprs: 6
; NumAgprs: 0
; TotalNumVgprs: 6
; ScratchSize: 0
; MemoryBound: 0
; FloatMode: 240
; IeeeMode: 1
; LDSByteSize: 0 bytes/workgroup (compile time only)
; SGPRBlocks: 2
; VGPRBlocks: 0
; NumSGPRsForWavesPerEU: 22
; NumVGPRsForWavesPerEU: 6
; AccumOffset: 8
; Occupancy: 8
; WaveLimiterHint : 0
; COMPUTE_PGM_RSRC2:SCRATCH_EN: 0
; COMPUTE_PGM_RSRC2:USER_SGPR: 2
; COMPUTE_PGM_RSRC2:TRAP_HANDLER: 0
; COMPUTE_PGM_RSRC2:TGID_X_EN: 1
; COMPUTE_PGM_RSRC2:TGID_Y_EN: 0
; COMPUTE_PGM_RSRC2:TGID_Z_EN: 0
; COMPUTE_PGM_RSRC2:TIDIG_COMP_CNT: 0
; COMPUTE_PGM_RSRC3_GFX90A:ACCUM_OFFSET: 1
; COMPUTE_PGM_RSRC3_GFX90A:TG_SPLIT: 0
	.section	.text._ZN7rocprim17ROCPRIM_400000_NS6detail17trampoline_kernelINS0_14default_configENS1_27scan_by_key_config_selectorIidEEZZNS1_16scan_by_key_implILNS1_25lookback_scan_determinismE0ELb0ES3_N6thrust23THRUST_200600_302600_NS6detail15normal_iteratorINS9_10device_ptrIiEEEENSB_INSC_IdEEEESG_dNS9_4plusIvEENS9_8equal_toIvEEdEE10hipError_tPvRmT2_T3_T4_T5_mT6_T7_P12ihipStream_tbENKUlT_T0_E_clISt17integral_constantIbLb0EES11_EEDaSW_SX_EUlSW_E_NS1_11comp_targetILNS1_3genE0ELNS1_11target_archE4294967295ELNS1_3gpuE0ELNS1_3repE0EEENS1_30default_config_static_selectorELNS0_4arch9wavefront6targetE1EEEvT1_,"axG",@progbits,_ZN7rocprim17ROCPRIM_400000_NS6detail17trampoline_kernelINS0_14default_configENS1_27scan_by_key_config_selectorIidEEZZNS1_16scan_by_key_implILNS1_25lookback_scan_determinismE0ELb0ES3_N6thrust23THRUST_200600_302600_NS6detail15normal_iteratorINS9_10device_ptrIiEEEENSB_INSC_IdEEEESG_dNS9_4plusIvEENS9_8equal_toIvEEdEE10hipError_tPvRmT2_T3_T4_T5_mT6_T7_P12ihipStream_tbENKUlT_T0_E_clISt17integral_constantIbLb0EES11_EEDaSW_SX_EUlSW_E_NS1_11comp_targetILNS1_3genE0ELNS1_11target_archE4294967295ELNS1_3gpuE0ELNS1_3repE0EEENS1_30default_config_static_selectorELNS0_4arch9wavefront6targetE1EEEvT1_,comdat
	.protected	_ZN7rocprim17ROCPRIM_400000_NS6detail17trampoline_kernelINS0_14default_configENS1_27scan_by_key_config_selectorIidEEZZNS1_16scan_by_key_implILNS1_25lookback_scan_determinismE0ELb0ES3_N6thrust23THRUST_200600_302600_NS6detail15normal_iteratorINS9_10device_ptrIiEEEENSB_INSC_IdEEEESG_dNS9_4plusIvEENS9_8equal_toIvEEdEE10hipError_tPvRmT2_T3_T4_T5_mT6_T7_P12ihipStream_tbENKUlT_T0_E_clISt17integral_constantIbLb0EES11_EEDaSW_SX_EUlSW_E_NS1_11comp_targetILNS1_3genE0ELNS1_11target_archE4294967295ELNS1_3gpuE0ELNS1_3repE0EEENS1_30default_config_static_selectorELNS0_4arch9wavefront6targetE1EEEvT1_ ; -- Begin function _ZN7rocprim17ROCPRIM_400000_NS6detail17trampoline_kernelINS0_14default_configENS1_27scan_by_key_config_selectorIidEEZZNS1_16scan_by_key_implILNS1_25lookback_scan_determinismE0ELb0ES3_N6thrust23THRUST_200600_302600_NS6detail15normal_iteratorINS9_10device_ptrIiEEEENSB_INSC_IdEEEESG_dNS9_4plusIvEENS9_8equal_toIvEEdEE10hipError_tPvRmT2_T3_T4_T5_mT6_T7_P12ihipStream_tbENKUlT_T0_E_clISt17integral_constantIbLb0EES11_EEDaSW_SX_EUlSW_E_NS1_11comp_targetILNS1_3genE0ELNS1_11target_archE4294967295ELNS1_3gpuE0ELNS1_3repE0EEENS1_30default_config_static_selectorELNS0_4arch9wavefront6targetE1EEEvT1_
	.globl	_ZN7rocprim17ROCPRIM_400000_NS6detail17trampoline_kernelINS0_14default_configENS1_27scan_by_key_config_selectorIidEEZZNS1_16scan_by_key_implILNS1_25lookback_scan_determinismE0ELb0ES3_N6thrust23THRUST_200600_302600_NS6detail15normal_iteratorINS9_10device_ptrIiEEEENSB_INSC_IdEEEESG_dNS9_4plusIvEENS9_8equal_toIvEEdEE10hipError_tPvRmT2_T3_T4_T5_mT6_T7_P12ihipStream_tbENKUlT_T0_E_clISt17integral_constantIbLb0EES11_EEDaSW_SX_EUlSW_E_NS1_11comp_targetILNS1_3genE0ELNS1_11target_archE4294967295ELNS1_3gpuE0ELNS1_3repE0EEENS1_30default_config_static_selectorELNS0_4arch9wavefront6targetE1EEEvT1_
	.p2align	8
	.type	_ZN7rocprim17ROCPRIM_400000_NS6detail17trampoline_kernelINS0_14default_configENS1_27scan_by_key_config_selectorIidEEZZNS1_16scan_by_key_implILNS1_25lookback_scan_determinismE0ELb0ES3_N6thrust23THRUST_200600_302600_NS6detail15normal_iteratorINS9_10device_ptrIiEEEENSB_INSC_IdEEEESG_dNS9_4plusIvEENS9_8equal_toIvEEdEE10hipError_tPvRmT2_T3_T4_T5_mT6_T7_P12ihipStream_tbENKUlT_T0_E_clISt17integral_constantIbLb0EES11_EEDaSW_SX_EUlSW_E_NS1_11comp_targetILNS1_3genE0ELNS1_11target_archE4294967295ELNS1_3gpuE0ELNS1_3repE0EEENS1_30default_config_static_selectorELNS0_4arch9wavefront6targetE1EEEvT1_,@function
_ZN7rocprim17ROCPRIM_400000_NS6detail17trampoline_kernelINS0_14default_configENS1_27scan_by_key_config_selectorIidEEZZNS1_16scan_by_key_implILNS1_25lookback_scan_determinismE0ELb0ES3_N6thrust23THRUST_200600_302600_NS6detail15normal_iteratorINS9_10device_ptrIiEEEENSB_INSC_IdEEEESG_dNS9_4plusIvEENS9_8equal_toIvEEdEE10hipError_tPvRmT2_T3_T4_T5_mT6_T7_P12ihipStream_tbENKUlT_T0_E_clISt17integral_constantIbLb0EES11_EEDaSW_SX_EUlSW_E_NS1_11comp_targetILNS1_3genE0ELNS1_11target_archE4294967295ELNS1_3gpuE0ELNS1_3repE0EEENS1_30default_config_static_selectorELNS0_4arch9wavefront6targetE1EEEvT1_: ; @_ZN7rocprim17ROCPRIM_400000_NS6detail17trampoline_kernelINS0_14default_configENS1_27scan_by_key_config_selectorIidEEZZNS1_16scan_by_key_implILNS1_25lookback_scan_determinismE0ELb0ES3_N6thrust23THRUST_200600_302600_NS6detail15normal_iteratorINS9_10device_ptrIiEEEENSB_INSC_IdEEEESG_dNS9_4plusIvEENS9_8equal_toIvEEdEE10hipError_tPvRmT2_T3_T4_T5_mT6_T7_P12ihipStream_tbENKUlT_T0_E_clISt17integral_constantIbLb0EES11_EEDaSW_SX_EUlSW_E_NS1_11comp_targetILNS1_3genE0ELNS1_11target_archE4294967295ELNS1_3gpuE0ELNS1_3repE0EEENS1_30default_config_static_selectorELNS0_4arch9wavefront6targetE1EEEvT1_
; %bb.0:
	.section	.rodata,"a",@progbits
	.p2align	6, 0x0
	.amdhsa_kernel _ZN7rocprim17ROCPRIM_400000_NS6detail17trampoline_kernelINS0_14default_configENS1_27scan_by_key_config_selectorIidEEZZNS1_16scan_by_key_implILNS1_25lookback_scan_determinismE0ELb0ES3_N6thrust23THRUST_200600_302600_NS6detail15normal_iteratorINS9_10device_ptrIiEEEENSB_INSC_IdEEEESG_dNS9_4plusIvEENS9_8equal_toIvEEdEE10hipError_tPvRmT2_T3_T4_T5_mT6_T7_P12ihipStream_tbENKUlT_T0_E_clISt17integral_constantIbLb0EES11_EEDaSW_SX_EUlSW_E_NS1_11comp_targetILNS1_3genE0ELNS1_11target_archE4294967295ELNS1_3gpuE0ELNS1_3repE0EEENS1_30default_config_static_selectorELNS0_4arch9wavefront6targetE1EEEvT1_
		.amdhsa_group_segment_fixed_size 0
		.amdhsa_private_segment_fixed_size 0
		.amdhsa_kernarg_size 136
		.amdhsa_user_sgpr_count 2
		.amdhsa_user_sgpr_dispatch_ptr 0
		.amdhsa_user_sgpr_queue_ptr 0
		.amdhsa_user_sgpr_kernarg_segment_ptr 1
		.amdhsa_user_sgpr_dispatch_id 0
		.amdhsa_user_sgpr_kernarg_preload_length 0
		.amdhsa_user_sgpr_kernarg_preload_offset 0
		.amdhsa_user_sgpr_private_segment_size 0
		.amdhsa_uses_dynamic_stack 0
		.amdhsa_enable_private_segment 0
		.amdhsa_system_sgpr_workgroup_id_x 1
		.amdhsa_system_sgpr_workgroup_id_y 0
		.amdhsa_system_sgpr_workgroup_id_z 0
		.amdhsa_system_sgpr_workgroup_info 0
		.amdhsa_system_vgpr_workitem_id 0
		.amdhsa_next_free_vgpr 1
		.amdhsa_next_free_sgpr 0
		.amdhsa_accum_offset 4
		.amdhsa_reserve_vcc 0
		.amdhsa_float_round_mode_32 0
		.amdhsa_float_round_mode_16_64 0
		.amdhsa_float_denorm_mode_32 3
		.amdhsa_float_denorm_mode_16_64 3
		.amdhsa_dx10_clamp 1
		.amdhsa_ieee_mode 1
		.amdhsa_fp16_overflow 0
		.amdhsa_tg_split 0
		.amdhsa_exception_fp_ieee_invalid_op 0
		.amdhsa_exception_fp_denorm_src 0
		.amdhsa_exception_fp_ieee_div_zero 0
		.amdhsa_exception_fp_ieee_overflow 0
		.amdhsa_exception_fp_ieee_underflow 0
		.amdhsa_exception_fp_ieee_inexact 0
		.amdhsa_exception_int_div_zero 0
	.end_amdhsa_kernel
	.section	.text._ZN7rocprim17ROCPRIM_400000_NS6detail17trampoline_kernelINS0_14default_configENS1_27scan_by_key_config_selectorIidEEZZNS1_16scan_by_key_implILNS1_25lookback_scan_determinismE0ELb0ES3_N6thrust23THRUST_200600_302600_NS6detail15normal_iteratorINS9_10device_ptrIiEEEENSB_INSC_IdEEEESG_dNS9_4plusIvEENS9_8equal_toIvEEdEE10hipError_tPvRmT2_T3_T4_T5_mT6_T7_P12ihipStream_tbENKUlT_T0_E_clISt17integral_constantIbLb0EES11_EEDaSW_SX_EUlSW_E_NS1_11comp_targetILNS1_3genE0ELNS1_11target_archE4294967295ELNS1_3gpuE0ELNS1_3repE0EEENS1_30default_config_static_selectorELNS0_4arch9wavefront6targetE1EEEvT1_,"axG",@progbits,_ZN7rocprim17ROCPRIM_400000_NS6detail17trampoline_kernelINS0_14default_configENS1_27scan_by_key_config_selectorIidEEZZNS1_16scan_by_key_implILNS1_25lookback_scan_determinismE0ELb0ES3_N6thrust23THRUST_200600_302600_NS6detail15normal_iteratorINS9_10device_ptrIiEEEENSB_INSC_IdEEEESG_dNS9_4plusIvEENS9_8equal_toIvEEdEE10hipError_tPvRmT2_T3_T4_T5_mT6_T7_P12ihipStream_tbENKUlT_T0_E_clISt17integral_constantIbLb0EES11_EEDaSW_SX_EUlSW_E_NS1_11comp_targetILNS1_3genE0ELNS1_11target_archE4294967295ELNS1_3gpuE0ELNS1_3repE0EEENS1_30default_config_static_selectorELNS0_4arch9wavefront6targetE1EEEvT1_,comdat
.Lfunc_end1085:
	.size	_ZN7rocprim17ROCPRIM_400000_NS6detail17trampoline_kernelINS0_14default_configENS1_27scan_by_key_config_selectorIidEEZZNS1_16scan_by_key_implILNS1_25lookback_scan_determinismE0ELb0ES3_N6thrust23THRUST_200600_302600_NS6detail15normal_iteratorINS9_10device_ptrIiEEEENSB_INSC_IdEEEESG_dNS9_4plusIvEENS9_8equal_toIvEEdEE10hipError_tPvRmT2_T3_T4_T5_mT6_T7_P12ihipStream_tbENKUlT_T0_E_clISt17integral_constantIbLb0EES11_EEDaSW_SX_EUlSW_E_NS1_11comp_targetILNS1_3genE0ELNS1_11target_archE4294967295ELNS1_3gpuE0ELNS1_3repE0EEENS1_30default_config_static_selectorELNS0_4arch9wavefront6targetE1EEEvT1_, .Lfunc_end1085-_ZN7rocprim17ROCPRIM_400000_NS6detail17trampoline_kernelINS0_14default_configENS1_27scan_by_key_config_selectorIidEEZZNS1_16scan_by_key_implILNS1_25lookback_scan_determinismE0ELb0ES3_N6thrust23THRUST_200600_302600_NS6detail15normal_iteratorINS9_10device_ptrIiEEEENSB_INSC_IdEEEESG_dNS9_4plusIvEENS9_8equal_toIvEEdEE10hipError_tPvRmT2_T3_T4_T5_mT6_T7_P12ihipStream_tbENKUlT_T0_E_clISt17integral_constantIbLb0EES11_EEDaSW_SX_EUlSW_E_NS1_11comp_targetILNS1_3genE0ELNS1_11target_archE4294967295ELNS1_3gpuE0ELNS1_3repE0EEENS1_30default_config_static_selectorELNS0_4arch9wavefront6targetE1EEEvT1_
                                        ; -- End function
	.section	.AMDGPU.csdata,"",@progbits
; Kernel info:
; codeLenInByte = 0
; NumSgprs: 6
; NumVgprs: 0
; NumAgprs: 0
; TotalNumVgprs: 0
; ScratchSize: 0
; MemoryBound: 0
; FloatMode: 240
; IeeeMode: 1
; LDSByteSize: 0 bytes/workgroup (compile time only)
; SGPRBlocks: 0
; VGPRBlocks: 0
; NumSGPRsForWavesPerEU: 6
; NumVGPRsForWavesPerEU: 1
; AccumOffset: 4
; Occupancy: 8
; WaveLimiterHint : 0
; COMPUTE_PGM_RSRC2:SCRATCH_EN: 0
; COMPUTE_PGM_RSRC2:USER_SGPR: 2
; COMPUTE_PGM_RSRC2:TRAP_HANDLER: 0
; COMPUTE_PGM_RSRC2:TGID_X_EN: 1
; COMPUTE_PGM_RSRC2:TGID_Y_EN: 0
; COMPUTE_PGM_RSRC2:TGID_Z_EN: 0
; COMPUTE_PGM_RSRC2:TIDIG_COMP_CNT: 0
; COMPUTE_PGM_RSRC3_GFX90A:ACCUM_OFFSET: 0
; COMPUTE_PGM_RSRC3_GFX90A:TG_SPLIT: 0
	.section	.text._ZN7rocprim17ROCPRIM_400000_NS6detail17trampoline_kernelINS0_14default_configENS1_27scan_by_key_config_selectorIidEEZZNS1_16scan_by_key_implILNS1_25lookback_scan_determinismE0ELb0ES3_N6thrust23THRUST_200600_302600_NS6detail15normal_iteratorINS9_10device_ptrIiEEEENSB_INSC_IdEEEESG_dNS9_4plusIvEENS9_8equal_toIvEEdEE10hipError_tPvRmT2_T3_T4_T5_mT6_T7_P12ihipStream_tbENKUlT_T0_E_clISt17integral_constantIbLb0EES11_EEDaSW_SX_EUlSW_E_NS1_11comp_targetILNS1_3genE10ELNS1_11target_archE1201ELNS1_3gpuE5ELNS1_3repE0EEENS1_30default_config_static_selectorELNS0_4arch9wavefront6targetE1EEEvT1_,"axG",@progbits,_ZN7rocprim17ROCPRIM_400000_NS6detail17trampoline_kernelINS0_14default_configENS1_27scan_by_key_config_selectorIidEEZZNS1_16scan_by_key_implILNS1_25lookback_scan_determinismE0ELb0ES3_N6thrust23THRUST_200600_302600_NS6detail15normal_iteratorINS9_10device_ptrIiEEEENSB_INSC_IdEEEESG_dNS9_4plusIvEENS9_8equal_toIvEEdEE10hipError_tPvRmT2_T3_T4_T5_mT6_T7_P12ihipStream_tbENKUlT_T0_E_clISt17integral_constantIbLb0EES11_EEDaSW_SX_EUlSW_E_NS1_11comp_targetILNS1_3genE10ELNS1_11target_archE1201ELNS1_3gpuE5ELNS1_3repE0EEENS1_30default_config_static_selectorELNS0_4arch9wavefront6targetE1EEEvT1_,comdat
	.protected	_ZN7rocprim17ROCPRIM_400000_NS6detail17trampoline_kernelINS0_14default_configENS1_27scan_by_key_config_selectorIidEEZZNS1_16scan_by_key_implILNS1_25lookback_scan_determinismE0ELb0ES3_N6thrust23THRUST_200600_302600_NS6detail15normal_iteratorINS9_10device_ptrIiEEEENSB_INSC_IdEEEESG_dNS9_4plusIvEENS9_8equal_toIvEEdEE10hipError_tPvRmT2_T3_T4_T5_mT6_T7_P12ihipStream_tbENKUlT_T0_E_clISt17integral_constantIbLb0EES11_EEDaSW_SX_EUlSW_E_NS1_11comp_targetILNS1_3genE10ELNS1_11target_archE1201ELNS1_3gpuE5ELNS1_3repE0EEENS1_30default_config_static_selectorELNS0_4arch9wavefront6targetE1EEEvT1_ ; -- Begin function _ZN7rocprim17ROCPRIM_400000_NS6detail17trampoline_kernelINS0_14default_configENS1_27scan_by_key_config_selectorIidEEZZNS1_16scan_by_key_implILNS1_25lookback_scan_determinismE0ELb0ES3_N6thrust23THRUST_200600_302600_NS6detail15normal_iteratorINS9_10device_ptrIiEEEENSB_INSC_IdEEEESG_dNS9_4plusIvEENS9_8equal_toIvEEdEE10hipError_tPvRmT2_T3_T4_T5_mT6_T7_P12ihipStream_tbENKUlT_T0_E_clISt17integral_constantIbLb0EES11_EEDaSW_SX_EUlSW_E_NS1_11comp_targetILNS1_3genE10ELNS1_11target_archE1201ELNS1_3gpuE5ELNS1_3repE0EEENS1_30default_config_static_selectorELNS0_4arch9wavefront6targetE1EEEvT1_
	.globl	_ZN7rocprim17ROCPRIM_400000_NS6detail17trampoline_kernelINS0_14default_configENS1_27scan_by_key_config_selectorIidEEZZNS1_16scan_by_key_implILNS1_25lookback_scan_determinismE0ELb0ES3_N6thrust23THRUST_200600_302600_NS6detail15normal_iteratorINS9_10device_ptrIiEEEENSB_INSC_IdEEEESG_dNS9_4plusIvEENS9_8equal_toIvEEdEE10hipError_tPvRmT2_T3_T4_T5_mT6_T7_P12ihipStream_tbENKUlT_T0_E_clISt17integral_constantIbLb0EES11_EEDaSW_SX_EUlSW_E_NS1_11comp_targetILNS1_3genE10ELNS1_11target_archE1201ELNS1_3gpuE5ELNS1_3repE0EEENS1_30default_config_static_selectorELNS0_4arch9wavefront6targetE1EEEvT1_
	.p2align	8
	.type	_ZN7rocprim17ROCPRIM_400000_NS6detail17trampoline_kernelINS0_14default_configENS1_27scan_by_key_config_selectorIidEEZZNS1_16scan_by_key_implILNS1_25lookback_scan_determinismE0ELb0ES3_N6thrust23THRUST_200600_302600_NS6detail15normal_iteratorINS9_10device_ptrIiEEEENSB_INSC_IdEEEESG_dNS9_4plusIvEENS9_8equal_toIvEEdEE10hipError_tPvRmT2_T3_T4_T5_mT6_T7_P12ihipStream_tbENKUlT_T0_E_clISt17integral_constantIbLb0EES11_EEDaSW_SX_EUlSW_E_NS1_11comp_targetILNS1_3genE10ELNS1_11target_archE1201ELNS1_3gpuE5ELNS1_3repE0EEENS1_30default_config_static_selectorELNS0_4arch9wavefront6targetE1EEEvT1_,@function
_ZN7rocprim17ROCPRIM_400000_NS6detail17trampoline_kernelINS0_14default_configENS1_27scan_by_key_config_selectorIidEEZZNS1_16scan_by_key_implILNS1_25lookback_scan_determinismE0ELb0ES3_N6thrust23THRUST_200600_302600_NS6detail15normal_iteratorINS9_10device_ptrIiEEEENSB_INSC_IdEEEESG_dNS9_4plusIvEENS9_8equal_toIvEEdEE10hipError_tPvRmT2_T3_T4_T5_mT6_T7_P12ihipStream_tbENKUlT_T0_E_clISt17integral_constantIbLb0EES11_EEDaSW_SX_EUlSW_E_NS1_11comp_targetILNS1_3genE10ELNS1_11target_archE1201ELNS1_3gpuE5ELNS1_3repE0EEENS1_30default_config_static_selectorELNS0_4arch9wavefront6targetE1EEEvT1_: ; @_ZN7rocprim17ROCPRIM_400000_NS6detail17trampoline_kernelINS0_14default_configENS1_27scan_by_key_config_selectorIidEEZZNS1_16scan_by_key_implILNS1_25lookback_scan_determinismE0ELb0ES3_N6thrust23THRUST_200600_302600_NS6detail15normal_iteratorINS9_10device_ptrIiEEEENSB_INSC_IdEEEESG_dNS9_4plusIvEENS9_8equal_toIvEEdEE10hipError_tPvRmT2_T3_T4_T5_mT6_T7_P12ihipStream_tbENKUlT_T0_E_clISt17integral_constantIbLb0EES11_EEDaSW_SX_EUlSW_E_NS1_11comp_targetILNS1_3genE10ELNS1_11target_archE1201ELNS1_3gpuE5ELNS1_3repE0EEENS1_30default_config_static_selectorELNS0_4arch9wavefront6targetE1EEEvT1_
; %bb.0:
	.section	.rodata,"a",@progbits
	.p2align	6, 0x0
	.amdhsa_kernel _ZN7rocprim17ROCPRIM_400000_NS6detail17trampoline_kernelINS0_14default_configENS1_27scan_by_key_config_selectorIidEEZZNS1_16scan_by_key_implILNS1_25lookback_scan_determinismE0ELb0ES3_N6thrust23THRUST_200600_302600_NS6detail15normal_iteratorINS9_10device_ptrIiEEEENSB_INSC_IdEEEESG_dNS9_4plusIvEENS9_8equal_toIvEEdEE10hipError_tPvRmT2_T3_T4_T5_mT6_T7_P12ihipStream_tbENKUlT_T0_E_clISt17integral_constantIbLb0EES11_EEDaSW_SX_EUlSW_E_NS1_11comp_targetILNS1_3genE10ELNS1_11target_archE1201ELNS1_3gpuE5ELNS1_3repE0EEENS1_30default_config_static_selectorELNS0_4arch9wavefront6targetE1EEEvT1_
		.amdhsa_group_segment_fixed_size 0
		.amdhsa_private_segment_fixed_size 0
		.amdhsa_kernarg_size 136
		.amdhsa_user_sgpr_count 2
		.amdhsa_user_sgpr_dispatch_ptr 0
		.amdhsa_user_sgpr_queue_ptr 0
		.amdhsa_user_sgpr_kernarg_segment_ptr 1
		.amdhsa_user_sgpr_dispatch_id 0
		.amdhsa_user_sgpr_kernarg_preload_length 0
		.amdhsa_user_sgpr_kernarg_preload_offset 0
		.amdhsa_user_sgpr_private_segment_size 0
		.amdhsa_uses_dynamic_stack 0
		.amdhsa_enable_private_segment 0
		.amdhsa_system_sgpr_workgroup_id_x 1
		.amdhsa_system_sgpr_workgroup_id_y 0
		.amdhsa_system_sgpr_workgroup_id_z 0
		.amdhsa_system_sgpr_workgroup_info 0
		.amdhsa_system_vgpr_workitem_id 0
		.amdhsa_next_free_vgpr 1
		.amdhsa_next_free_sgpr 0
		.amdhsa_accum_offset 4
		.amdhsa_reserve_vcc 0
		.amdhsa_float_round_mode_32 0
		.amdhsa_float_round_mode_16_64 0
		.amdhsa_float_denorm_mode_32 3
		.amdhsa_float_denorm_mode_16_64 3
		.amdhsa_dx10_clamp 1
		.amdhsa_ieee_mode 1
		.amdhsa_fp16_overflow 0
		.amdhsa_tg_split 0
		.amdhsa_exception_fp_ieee_invalid_op 0
		.amdhsa_exception_fp_denorm_src 0
		.amdhsa_exception_fp_ieee_div_zero 0
		.amdhsa_exception_fp_ieee_overflow 0
		.amdhsa_exception_fp_ieee_underflow 0
		.amdhsa_exception_fp_ieee_inexact 0
		.amdhsa_exception_int_div_zero 0
	.end_amdhsa_kernel
	.section	.text._ZN7rocprim17ROCPRIM_400000_NS6detail17trampoline_kernelINS0_14default_configENS1_27scan_by_key_config_selectorIidEEZZNS1_16scan_by_key_implILNS1_25lookback_scan_determinismE0ELb0ES3_N6thrust23THRUST_200600_302600_NS6detail15normal_iteratorINS9_10device_ptrIiEEEENSB_INSC_IdEEEESG_dNS9_4plusIvEENS9_8equal_toIvEEdEE10hipError_tPvRmT2_T3_T4_T5_mT6_T7_P12ihipStream_tbENKUlT_T0_E_clISt17integral_constantIbLb0EES11_EEDaSW_SX_EUlSW_E_NS1_11comp_targetILNS1_3genE10ELNS1_11target_archE1201ELNS1_3gpuE5ELNS1_3repE0EEENS1_30default_config_static_selectorELNS0_4arch9wavefront6targetE1EEEvT1_,"axG",@progbits,_ZN7rocprim17ROCPRIM_400000_NS6detail17trampoline_kernelINS0_14default_configENS1_27scan_by_key_config_selectorIidEEZZNS1_16scan_by_key_implILNS1_25lookback_scan_determinismE0ELb0ES3_N6thrust23THRUST_200600_302600_NS6detail15normal_iteratorINS9_10device_ptrIiEEEENSB_INSC_IdEEEESG_dNS9_4plusIvEENS9_8equal_toIvEEdEE10hipError_tPvRmT2_T3_T4_T5_mT6_T7_P12ihipStream_tbENKUlT_T0_E_clISt17integral_constantIbLb0EES11_EEDaSW_SX_EUlSW_E_NS1_11comp_targetILNS1_3genE10ELNS1_11target_archE1201ELNS1_3gpuE5ELNS1_3repE0EEENS1_30default_config_static_selectorELNS0_4arch9wavefront6targetE1EEEvT1_,comdat
.Lfunc_end1086:
	.size	_ZN7rocprim17ROCPRIM_400000_NS6detail17trampoline_kernelINS0_14default_configENS1_27scan_by_key_config_selectorIidEEZZNS1_16scan_by_key_implILNS1_25lookback_scan_determinismE0ELb0ES3_N6thrust23THRUST_200600_302600_NS6detail15normal_iteratorINS9_10device_ptrIiEEEENSB_INSC_IdEEEESG_dNS9_4plusIvEENS9_8equal_toIvEEdEE10hipError_tPvRmT2_T3_T4_T5_mT6_T7_P12ihipStream_tbENKUlT_T0_E_clISt17integral_constantIbLb0EES11_EEDaSW_SX_EUlSW_E_NS1_11comp_targetILNS1_3genE10ELNS1_11target_archE1201ELNS1_3gpuE5ELNS1_3repE0EEENS1_30default_config_static_selectorELNS0_4arch9wavefront6targetE1EEEvT1_, .Lfunc_end1086-_ZN7rocprim17ROCPRIM_400000_NS6detail17trampoline_kernelINS0_14default_configENS1_27scan_by_key_config_selectorIidEEZZNS1_16scan_by_key_implILNS1_25lookback_scan_determinismE0ELb0ES3_N6thrust23THRUST_200600_302600_NS6detail15normal_iteratorINS9_10device_ptrIiEEEENSB_INSC_IdEEEESG_dNS9_4plusIvEENS9_8equal_toIvEEdEE10hipError_tPvRmT2_T3_T4_T5_mT6_T7_P12ihipStream_tbENKUlT_T0_E_clISt17integral_constantIbLb0EES11_EEDaSW_SX_EUlSW_E_NS1_11comp_targetILNS1_3genE10ELNS1_11target_archE1201ELNS1_3gpuE5ELNS1_3repE0EEENS1_30default_config_static_selectorELNS0_4arch9wavefront6targetE1EEEvT1_
                                        ; -- End function
	.section	.AMDGPU.csdata,"",@progbits
; Kernel info:
; codeLenInByte = 0
; NumSgprs: 6
; NumVgprs: 0
; NumAgprs: 0
; TotalNumVgprs: 0
; ScratchSize: 0
; MemoryBound: 0
; FloatMode: 240
; IeeeMode: 1
; LDSByteSize: 0 bytes/workgroup (compile time only)
; SGPRBlocks: 0
; VGPRBlocks: 0
; NumSGPRsForWavesPerEU: 6
; NumVGPRsForWavesPerEU: 1
; AccumOffset: 4
; Occupancy: 8
; WaveLimiterHint : 0
; COMPUTE_PGM_RSRC2:SCRATCH_EN: 0
; COMPUTE_PGM_RSRC2:USER_SGPR: 2
; COMPUTE_PGM_RSRC2:TRAP_HANDLER: 0
; COMPUTE_PGM_RSRC2:TGID_X_EN: 1
; COMPUTE_PGM_RSRC2:TGID_Y_EN: 0
; COMPUTE_PGM_RSRC2:TGID_Z_EN: 0
; COMPUTE_PGM_RSRC2:TIDIG_COMP_CNT: 0
; COMPUTE_PGM_RSRC3_GFX90A:ACCUM_OFFSET: 0
; COMPUTE_PGM_RSRC3_GFX90A:TG_SPLIT: 0
	.section	.text._ZN7rocprim17ROCPRIM_400000_NS6detail17trampoline_kernelINS0_14default_configENS1_27scan_by_key_config_selectorIidEEZZNS1_16scan_by_key_implILNS1_25lookback_scan_determinismE0ELb0ES3_N6thrust23THRUST_200600_302600_NS6detail15normal_iteratorINS9_10device_ptrIiEEEENSB_INSC_IdEEEESG_dNS9_4plusIvEENS9_8equal_toIvEEdEE10hipError_tPvRmT2_T3_T4_T5_mT6_T7_P12ihipStream_tbENKUlT_T0_E_clISt17integral_constantIbLb0EES11_EEDaSW_SX_EUlSW_E_NS1_11comp_targetILNS1_3genE5ELNS1_11target_archE942ELNS1_3gpuE9ELNS1_3repE0EEENS1_30default_config_static_selectorELNS0_4arch9wavefront6targetE1EEEvT1_,"axG",@progbits,_ZN7rocprim17ROCPRIM_400000_NS6detail17trampoline_kernelINS0_14default_configENS1_27scan_by_key_config_selectorIidEEZZNS1_16scan_by_key_implILNS1_25lookback_scan_determinismE0ELb0ES3_N6thrust23THRUST_200600_302600_NS6detail15normal_iteratorINS9_10device_ptrIiEEEENSB_INSC_IdEEEESG_dNS9_4plusIvEENS9_8equal_toIvEEdEE10hipError_tPvRmT2_T3_T4_T5_mT6_T7_P12ihipStream_tbENKUlT_T0_E_clISt17integral_constantIbLb0EES11_EEDaSW_SX_EUlSW_E_NS1_11comp_targetILNS1_3genE5ELNS1_11target_archE942ELNS1_3gpuE9ELNS1_3repE0EEENS1_30default_config_static_selectorELNS0_4arch9wavefront6targetE1EEEvT1_,comdat
	.protected	_ZN7rocprim17ROCPRIM_400000_NS6detail17trampoline_kernelINS0_14default_configENS1_27scan_by_key_config_selectorIidEEZZNS1_16scan_by_key_implILNS1_25lookback_scan_determinismE0ELb0ES3_N6thrust23THRUST_200600_302600_NS6detail15normal_iteratorINS9_10device_ptrIiEEEENSB_INSC_IdEEEESG_dNS9_4plusIvEENS9_8equal_toIvEEdEE10hipError_tPvRmT2_T3_T4_T5_mT6_T7_P12ihipStream_tbENKUlT_T0_E_clISt17integral_constantIbLb0EES11_EEDaSW_SX_EUlSW_E_NS1_11comp_targetILNS1_3genE5ELNS1_11target_archE942ELNS1_3gpuE9ELNS1_3repE0EEENS1_30default_config_static_selectorELNS0_4arch9wavefront6targetE1EEEvT1_ ; -- Begin function _ZN7rocprim17ROCPRIM_400000_NS6detail17trampoline_kernelINS0_14default_configENS1_27scan_by_key_config_selectorIidEEZZNS1_16scan_by_key_implILNS1_25lookback_scan_determinismE0ELb0ES3_N6thrust23THRUST_200600_302600_NS6detail15normal_iteratorINS9_10device_ptrIiEEEENSB_INSC_IdEEEESG_dNS9_4plusIvEENS9_8equal_toIvEEdEE10hipError_tPvRmT2_T3_T4_T5_mT6_T7_P12ihipStream_tbENKUlT_T0_E_clISt17integral_constantIbLb0EES11_EEDaSW_SX_EUlSW_E_NS1_11comp_targetILNS1_3genE5ELNS1_11target_archE942ELNS1_3gpuE9ELNS1_3repE0EEENS1_30default_config_static_selectorELNS0_4arch9wavefront6targetE1EEEvT1_
	.globl	_ZN7rocprim17ROCPRIM_400000_NS6detail17trampoline_kernelINS0_14default_configENS1_27scan_by_key_config_selectorIidEEZZNS1_16scan_by_key_implILNS1_25lookback_scan_determinismE0ELb0ES3_N6thrust23THRUST_200600_302600_NS6detail15normal_iteratorINS9_10device_ptrIiEEEENSB_INSC_IdEEEESG_dNS9_4plusIvEENS9_8equal_toIvEEdEE10hipError_tPvRmT2_T3_T4_T5_mT6_T7_P12ihipStream_tbENKUlT_T0_E_clISt17integral_constantIbLb0EES11_EEDaSW_SX_EUlSW_E_NS1_11comp_targetILNS1_3genE5ELNS1_11target_archE942ELNS1_3gpuE9ELNS1_3repE0EEENS1_30default_config_static_selectorELNS0_4arch9wavefront6targetE1EEEvT1_
	.p2align	8
	.type	_ZN7rocprim17ROCPRIM_400000_NS6detail17trampoline_kernelINS0_14default_configENS1_27scan_by_key_config_selectorIidEEZZNS1_16scan_by_key_implILNS1_25lookback_scan_determinismE0ELb0ES3_N6thrust23THRUST_200600_302600_NS6detail15normal_iteratorINS9_10device_ptrIiEEEENSB_INSC_IdEEEESG_dNS9_4plusIvEENS9_8equal_toIvEEdEE10hipError_tPvRmT2_T3_T4_T5_mT6_T7_P12ihipStream_tbENKUlT_T0_E_clISt17integral_constantIbLb0EES11_EEDaSW_SX_EUlSW_E_NS1_11comp_targetILNS1_3genE5ELNS1_11target_archE942ELNS1_3gpuE9ELNS1_3repE0EEENS1_30default_config_static_selectorELNS0_4arch9wavefront6targetE1EEEvT1_,@function
_ZN7rocprim17ROCPRIM_400000_NS6detail17trampoline_kernelINS0_14default_configENS1_27scan_by_key_config_selectorIidEEZZNS1_16scan_by_key_implILNS1_25lookback_scan_determinismE0ELb0ES3_N6thrust23THRUST_200600_302600_NS6detail15normal_iteratorINS9_10device_ptrIiEEEENSB_INSC_IdEEEESG_dNS9_4plusIvEENS9_8equal_toIvEEdEE10hipError_tPvRmT2_T3_T4_T5_mT6_T7_P12ihipStream_tbENKUlT_T0_E_clISt17integral_constantIbLb0EES11_EEDaSW_SX_EUlSW_E_NS1_11comp_targetILNS1_3genE5ELNS1_11target_archE942ELNS1_3gpuE9ELNS1_3repE0EEENS1_30default_config_static_selectorELNS0_4arch9wavefront6targetE1EEEvT1_: ; @_ZN7rocprim17ROCPRIM_400000_NS6detail17trampoline_kernelINS0_14default_configENS1_27scan_by_key_config_selectorIidEEZZNS1_16scan_by_key_implILNS1_25lookback_scan_determinismE0ELb0ES3_N6thrust23THRUST_200600_302600_NS6detail15normal_iteratorINS9_10device_ptrIiEEEENSB_INSC_IdEEEESG_dNS9_4plusIvEENS9_8equal_toIvEEdEE10hipError_tPvRmT2_T3_T4_T5_mT6_T7_P12ihipStream_tbENKUlT_T0_E_clISt17integral_constantIbLb0EES11_EEDaSW_SX_EUlSW_E_NS1_11comp_targetILNS1_3genE5ELNS1_11target_archE942ELNS1_3gpuE9ELNS1_3repE0EEENS1_30default_config_static_selectorELNS0_4arch9wavefront6targetE1EEEvT1_
; %bb.0:
	s_load_dwordx8 s[92:99], s[0:1], 0x0
	s_load_dwordx8 s[84:91], s[0:1], 0x30
	s_load_dwordx2 s[4:5], s[0:1], 0x50
	s_load_dword s3, s[0:1], 0x58
	s_load_dwordx8 s[16:23], s[0:1], 0x60
	s_waitcnt lgkmcnt(0)
	s_lshl_b64 s[0:1], s[94:95], 2
	s_add_u32 s8, s92, s0
	s_addc_u32 s9, s93, s1
	s_lshl_b64 s[92:93], s[94:95], 3
	s_add_u32 s10, s96, s92
	s_addc_u32 s11, s97, s93
	s_mov_b64 s[96:97], s[4:5]
	s_mul_i32 s0, s97, s3
	s_mul_hi_u32 s1, s96, s3
	s_add_i32 s12, s1, s0
	s_cmp_lg_u64 s[20:21], 0
	s_mul_i32 s0, s2, 0x1500
	s_mov_b32 s1, 0
	s_cselect_b64 s[52:53], -1, 0
	s_lshl_b64 s[4:5], s[0:1], 2
	s_add_u32 s50, s8, s4
	s_addc_u32 s51, s9, s5
	s_lshl_b64 s[94:95], s[0:1], 3
	s_add_u32 s48, s10, s94
	s_mul_i32 s3, s96, s3
	s_addc_u32 s49, s11, s95
	s_add_u32 s54, s3, s2
	s_addc_u32 s55, s12, 0
	s_mov_b64 s[14:15], s[18:19]
	s_mov_b64 s[18:19], s[22:23]
                                        ; implicit-def: $vgpr133 : SGPR spill to VGPR lane
	s_add_u32 s4, s16, -1
	v_writelane_b32 v133, s12, 0
	s_addc_u32 s5, s17, -1
	v_mov_b64_e32 v[2:3], s[4:5]
	v_writelane_b32 v133, s13, 1
	v_writelane_b32 v133, s14, 2
	;; [unrolled: 1-line block ×5, first 2 shown]
	v_cmp_ge_u64_e64 s[0:1], s[54:55], v[2:3]
	s_mov_b64 s[6:7], 0
	s_mov_b64 s[10:11], -1
	v_writelane_b32 v133, s18, 6
	s_and_b64 vcc, exec, s[0:1]
	s_mul_i32 s33, s4, 0xffffeb00
	s_barrier
	v_writelane_b32 v133, s19, 7
	s_cbranch_vccz .LBB1087_112
; %bb.1:
	v_mov_b64_e32 v[2:3], s[50:51]
	flat_load_dword v2, v[2:3]
	s_add_i32 s64, s33, s90
	v_cmp_gt_u32_e64 s[46:47], s64, v0
	s_waitcnt vmcnt(0) lgkmcnt(0)
	v_mov_b32_e32 v4, v2
	s_and_saveexec_b64 s[4:5], s[46:47]
	s_cbranch_execz .LBB1087_3
; %bb.2:
	v_lshlrev_b32_e32 v4, 2, v0
	v_mov_b32_e32 v5, 0
	v_lshl_add_u64 v[4:5], s[50:51], 0, v[4:5]
	flat_load_dword v4, v[4:5]
.LBB1087_3:
	s_or_b64 exec, exec, s[4:5]
	v_or_b32_e32 v1, 0x100, v0
	v_cmp_gt_u32_e64 s[4:5], s64, v1
	v_mov_b32_e32 v5, v2
	s_and_saveexec_b64 s[6:7], s[4:5]
	s_cbranch_execz .LBB1087_5
; %bb.4:
	v_lshlrev_b32_e32 v6, 2, v0
	v_mov_b32_e32 v7, 0
	v_lshl_add_u64 v[6:7], s[50:51], 0, v[6:7]
	flat_load_dword v5, v[6:7] offset:1024
.LBB1087_5:
	s_or_b64 exec, exec, s[6:7]
	v_or_b32_e32 v1, 0x200, v0
	v_cmp_gt_u32_e64 s[6:7], s64, v1
	v_mov_b32_e32 v6, v2
	s_and_saveexec_b64 s[8:9], s[6:7]
	s_cbranch_execz .LBB1087_7
; %bb.6:
	v_lshlrev_b32_e32 v6, 2, v0
	v_mov_b32_e32 v7, 0
	v_lshl_add_u64 v[6:7], s[50:51], 0, v[6:7]
	flat_load_dword v6, v[6:7] offset:2048
.LBB1087_7:
	;; [unrolled: 12-line block ×3, first 2 shown]
	s_or_b64 exec, exec, s[10:11]
	v_or_b32_e32 v20, 0x400, v0
	v_cmp_gt_u32_e64 s[10:11], s64, v20
	v_mov_b32_e32 v8, v2
	s_and_saveexec_b64 s[12:13], s[10:11]
	s_cbranch_execz .LBB1087_11
; %bb.10:
	v_lshlrev_b32_e32 v8, 2, v20
	v_mov_b32_e32 v9, 0
	v_lshl_add_u64 v[8:9], s[50:51], 0, v[8:9]
	flat_load_dword v8, v[8:9]
.LBB1087_11:
	s_or_b64 exec, exec, s[12:13]
	v_or_b32_e32 v22, 0x500, v0
	v_cmp_gt_u32_e64 s[12:13], s64, v22
	v_mov_b32_e32 v9, v2
	s_and_saveexec_b64 s[14:15], s[12:13]
	s_cbranch_execz .LBB1087_13
; %bb.12:
	v_lshlrev_b32_e32 v10, 2, v22
	v_mov_b32_e32 v11, 0
	v_lshl_add_u64 v[10:11], s[50:51], 0, v[10:11]
	flat_load_dword v9, v[10:11]
.LBB1087_13:
	;; [unrolled: 12-line block ×16, first 2 shown]
	s_or_b64 exec, exec, s[44:45]
	v_or_b32_e32 v65, 0x1400, v0
	v_cmp_gt_u32_e64 s[44:45], s64, v65
	v_mov_b32_e32 v3, 0
	s_and_saveexec_b64 s[56:57], s[44:45]
	s_cbranch_execz .LBB1087_43
; %bb.42:
	v_lshlrev_b32_e32 v2, 2, v65
	v_lshl_add_u64 v[2:3], s[50:51], 0, v[2:3]
	flat_load_dword v2, v[2:3]
.LBB1087_43:
	s_or_b64 exec, exec, s[56:57]
	v_lshlrev_b32_e32 v3, 2, v0
	s_movk_i32 s3, 0x50
	s_waitcnt vmcnt(0) lgkmcnt(0)
	ds_write2st64_b32 v3, v4, v5 offset1:4
	ds_write2st64_b32 v3, v6, v7 offset0:8 offset1:12
	ds_write2st64_b32 v3, v8, v9 offset0:16 offset1:20
	ds_write2st64_b32 v3, v10, v11 offset0:24 offset1:28
	ds_write2st64_b32 v3, v12, v13 offset0:32 offset1:36
	ds_write2st64_b32 v3, v14, v15 offset0:40 offset1:44
	ds_write2st64_b32 v3, v16, v17 offset0:48 offset1:52
	ds_write2st64_b32 v3, v19, v21 offset0:56 offset1:60
	ds_write2st64_b32 v3, v23, v24 offset0:64 offset1:68
	ds_write2st64_b32 v3, v25, v27 offset0:72 offset1:76
	ds_write_b32 v3, v2 offset:20480
	v_mad_u32_u24 v2, v0, s3, v3
	s_waitcnt lgkmcnt(0)
	s_barrier
	ds_read2_b32 v[40:41], v2 offset0:7 offset1:8
	ds_read2_b32 v[44:45], v2 offset0:5 offset1:6
	;; [unrolled: 1-line block ×3, first 2 shown]
	ds_read2_b32 v[36:37], v2 offset1:1
	ds_read2_b32 v[32:33], v2 offset0:4 offset1:9
	ds_read2_b32 v[8:9], v2 offset0:15 offset1:16
	ds_read_b32 v64, v2 offset:56
	ds_read2_b32 v[16:17], v2 offset0:12 offset1:13
	ds_read2_b32 v[24:25], v2 offset0:10 offset1:11
	;; [unrolled: 1-line block ×4, first 2 shown]
	s_cmp_eq_u64 s[54:55], 0
	s_mov_b64 s[56:57], s[50:51]
	s_cbranch_scc1 .LBB1087_47
; %bb.44:
	s_andn2_b64 vcc, exec, s[52:53]
	s_cbranch_vccnz .LBB1087_287
; %bb.45:
	v_readlane_b32 s68, v133, 0
	v_readlane_b32 s74, v133, 6
	;; [unrolled: 1-line block ×3, first 2 shown]
	s_lshl_b64 s[56:57], s[54:55], 2
	s_mov_b64 s[62:63], s[74:75]
	s_add_u32 s3, s62, s56
	s_addc_u32 s57, s63, s57
	s_add_u32 s56, s3, -4
	s_addc_u32 s57, s57, -1
	v_readlane_b32 s69, v133, 1
	v_readlane_b32 s70, v133, 2
	;; [unrolled: 1-line block ×5, first 2 shown]
	s_cbranch_execnz .LBB1087_47
.LBB1087_46:
	s_add_u32 s56, s50, -4
	s_addc_u32 s57, s51, -1
.LBB1087_47:
	v_mov_b64_e32 v[6:7], s[56:57]
	flat_load_dword v68, v[6:7]
	s_movk_i32 s3, 0xffb0
	v_mad_i32_i24 v66, v0, s3, v2
	v_cmp_ne_u32_e32 vcc, 0, v0
	s_waitcnt lgkmcnt(0)
	ds_write_b32 v66, v5 offset:21504
	s_waitcnt lgkmcnt(0)
	s_barrier
	s_and_saveexec_b64 s[56:57], vcc
	s_cbranch_execz .LBB1087_49
; %bb.48:
	s_waitcnt vmcnt(0)
	ds_read_b32 v68, v66 offset:21500
.LBB1087_49:
	s_or_b64 exec, exec, s[56:57]
	v_mov_b32_e32 v7, 0
	s_waitcnt lgkmcnt(0)
	s_barrier
	s_waitcnt lgkmcnt(0)
                                        ; implicit-def: $vgpr2_vgpr3
	s_and_saveexec_b64 s[56:57], s[46:47]
	s_cbranch_execnz .LBB1087_267
; %bb.50:
	s_or_b64 exec, exec, s[56:57]
                                        ; implicit-def: $vgpr6_vgpr7
	s_and_saveexec_b64 s[46:47], s[4:5]
	s_cbranch_execnz .LBB1087_268
.LBB1087_51:
	s_or_b64 exec, exec, s[46:47]
                                        ; implicit-def: $vgpr10_vgpr11
	s_and_saveexec_b64 s[4:5], s[6:7]
	s_cbranch_execnz .LBB1087_269
.LBB1087_52:
	s_or_b64 exec, exec, s[4:5]
                                        ; implicit-def: $vgpr14_vgpr15
	s_and_saveexec_b64 s[4:5], s[8:9]
	s_cbranch_execnz .LBB1087_270
.LBB1087_53:
	s_or_b64 exec, exec, s[4:5]
                                        ; implicit-def: $vgpr18_vgpr19
	s_and_saveexec_b64 s[4:5], s[10:11]
	s_cbranch_execnz .LBB1087_271
.LBB1087_54:
	s_or_b64 exec, exec, s[4:5]
                                        ; implicit-def: $vgpr20_vgpr21
	s_and_saveexec_b64 s[4:5], s[12:13]
	s_cbranch_execnz .LBB1087_272
.LBB1087_55:
	s_or_b64 exec, exec, s[4:5]
                                        ; implicit-def: $vgpr22_vgpr23
	s_and_saveexec_b64 s[4:5], s[14:15]
	s_cbranch_execnz .LBB1087_273
.LBB1087_56:
	s_or_b64 exec, exec, s[4:5]
                                        ; implicit-def: $vgpr26_vgpr27
	s_and_saveexec_b64 s[4:5], s[16:17]
	s_cbranch_execnz .LBB1087_274
.LBB1087_57:
	s_or_b64 exec, exec, s[4:5]
                                        ; implicit-def: $vgpr30_vgpr31
	s_and_saveexec_b64 s[4:5], s[18:19]
	s_cbranch_execnz .LBB1087_275
.LBB1087_58:
	s_or_b64 exec, exec, s[4:5]
                                        ; implicit-def: $vgpr34_vgpr35
	s_and_saveexec_b64 s[4:5], s[20:21]
	s_cbranch_execnz .LBB1087_276
.LBB1087_59:
	s_or_b64 exec, exec, s[4:5]
                                        ; implicit-def: $vgpr38_vgpr39
	s_and_saveexec_b64 s[4:5], s[22:23]
	s_cbranch_execnz .LBB1087_277
.LBB1087_60:
	s_or_b64 exec, exec, s[4:5]
                                        ; implicit-def: $vgpr42_vgpr43
	s_and_saveexec_b64 s[4:5], s[24:25]
	s_cbranch_execnz .LBB1087_278
.LBB1087_61:
	s_or_b64 exec, exec, s[4:5]
                                        ; implicit-def: $vgpr46_vgpr47
	s_and_saveexec_b64 s[4:5], s[26:27]
	s_cbranch_execnz .LBB1087_279
.LBB1087_62:
	s_or_b64 exec, exec, s[4:5]
                                        ; implicit-def: $vgpr48_vgpr49
	s_and_saveexec_b64 s[4:5], s[28:29]
	s_cbranch_execnz .LBB1087_280
.LBB1087_63:
	s_or_b64 exec, exec, s[4:5]
                                        ; implicit-def: $vgpr50_vgpr51
	s_and_saveexec_b64 s[4:5], s[30:31]
	s_cbranch_execnz .LBB1087_281
.LBB1087_64:
	s_or_b64 exec, exec, s[4:5]
                                        ; implicit-def: $vgpr52_vgpr53
	s_and_saveexec_b64 s[4:5], s[34:35]
	s_cbranch_execnz .LBB1087_282
.LBB1087_65:
	s_or_b64 exec, exec, s[4:5]
                                        ; implicit-def: $vgpr54_vgpr55
	s_and_saveexec_b64 s[4:5], s[36:37]
	s_cbranch_execnz .LBB1087_283
.LBB1087_66:
	s_or_b64 exec, exec, s[4:5]
                                        ; implicit-def: $vgpr56_vgpr57
	s_and_saveexec_b64 s[4:5], s[38:39]
	s_cbranch_execnz .LBB1087_284
.LBB1087_67:
	s_or_b64 exec, exec, s[4:5]
                                        ; implicit-def: $vgpr58_vgpr59
	s_and_saveexec_b64 s[4:5], s[40:41]
	s_cbranch_execnz .LBB1087_285
.LBB1087_68:
	s_or_b64 exec, exec, s[4:5]
                                        ; implicit-def: $vgpr60_vgpr61
	s_and_saveexec_b64 s[4:5], s[42:43]
	s_cbranch_execnz .LBB1087_286
.LBB1087_69:
	s_or_b64 exec, exec, s[4:5]
                                        ; implicit-def: $vgpr62_vgpr63
	s_and_saveexec_b64 s[4:5], s[44:45]
	s_cbranch_execz .LBB1087_71
.LBB1087_70:
	v_lshlrev_b32_e32 v62, 3, v65
	v_mov_b32_e32 v63, 0
	v_lshl_add_u64 v[62:63], s[48:49], 0, v[62:63]
	flat_load_dwordx2 v[62:63], v[62:63]
.LBB1087_71:
	s_or_b64 exec, exec, s[4:5]
	v_lshl_add_u32 v69, v0, 2, v66
	v_mul_u32_u24_e32 v65, 21, v0
	s_waitcnt vmcnt(0) lgkmcnt(0)
	ds_write2st64_b64 v69, v[2:3], v[6:7] offset1:4
	ds_write2st64_b64 v69, v[10:11], v[14:15] offset0:8 offset1:12
	ds_write2st64_b64 v69, v[18:19], v[20:21] offset0:16 offset1:20
	;; [unrolled: 1-line block ×9, first 2 shown]
	ds_write_b64 v69, v[62:63] offset:40960
	v_mov_b64_e32 v[10:11], 0
	v_cmp_gt_u32_e32 vcc, s64, v65
	s_mov_b64 s[6:7], 0
	s_mov_b64 s[10:11], 0
	s_mov_b32 s3, 0
	v_mov_b32_e32 v128, 0
	v_mov_b32_e32 v122, 0
	;; [unrolled: 1-line block ×5, first 2 shown]
	v_mov_b64_e32 v[70:71], v[10:11]
	v_mov_b64_e32 v[78:79], v[10:11]
	;; [unrolled: 1-line block ×8, first 2 shown]
	v_mov_b32_e32 v124, 0
	v_mov_b64_e32 v[38:39], v[10:11]
	v_mov_b64_e32 v[50:51], v[10:11]
	;; [unrolled: 1-line block ×5, first 2 shown]
	v_mov_b32_e32 v123, 0
	v_mov_b64_e32 v[34:35], v[10:11]
	v_mov_b64_e32 v[14:15], v[10:11]
	v_mov_b64_e32 v[26:27], v[10:11]
	v_mov_b64_e32 v[6:7], v[10:11]
	v_mov_b64_e32 v[18:19], v[10:11]
	v_mov_b32_e32 v1, 0
	v_mov_b64_e32 v[2:3], v[10:11]
	s_waitcnt lgkmcnt(0)
	s_barrier
	s_waitcnt lgkmcnt(0)
                                        ; implicit-def: $sgpr4_sgpr5
                                        ; implicit-def: $vgpr83
                                        ; implicit-def: $vgpr82
                                        ; implicit-def: $vgpr84
                                        ; implicit-def: $vgpr85
	s_and_saveexec_b64 s[12:13], vcc
	s_cbranch_execz .LBB1087_111
; %bb.72:
	s_movk_i32 s4, 0xa0
	v_mad_u32_u24 v2, v0, s4, v69
	ds_read_b64 v[2:3], v2
	v_cmp_ne_u32_e32 vcc, v68, v36
	v_add_u32_e32 v6, 1, v65
	v_mov_b64_e32 v[10:11], 0
	v_cndmask_b32_e64 v1, 0, 1, vcc
	v_cmp_gt_u32_e32 vcc, s64, v6
	s_mov_b64 s[18:19], 0
	v_mov_b32_e32 v128, 0
	v_mov_b32_e32 v122, 0
	;; [unrolled: 1-line block ×5, first 2 shown]
	v_mov_b64_e32 v[70:71], v[10:11]
	v_mov_b64_e32 v[78:79], v[10:11]
	;; [unrolled: 1-line block ×8, first 2 shown]
	v_mov_b32_e32 v124, 0
	v_mov_b64_e32 v[38:39], v[10:11]
	v_mov_b64_e32 v[50:51], v[10:11]
	;; [unrolled: 1-line block ×5, first 2 shown]
	v_mov_b32_e32 v123, 0
	v_mov_b64_e32 v[34:35], v[10:11]
	v_mov_b64_e32 v[14:15], v[10:11]
	;; [unrolled: 1-line block ×5, first 2 shown]
                                        ; implicit-def: $sgpr4_sgpr5
                                        ; implicit-def: $vgpr83
                                        ; implicit-def: $vgpr82
                                        ; implicit-def: $vgpr84
                                        ; implicit-def: $vgpr85
	s_and_saveexec_b64 s[14:15], vcc
	s_cbranch_execz .LBB1087_110
; %bb.73:
	v_mul_u32_u24_e32 v6, 0xa0, v0
	v_add_u32_e32 v48, v69, v6
	ds_read2_b64 v[18:21], v48 offset0:1 offset1:2
	v_cmp_ne_u32_e64 s[8:9], v36, v37
	v_add_u32_e32 v6, 2, v65
	v_mov_b64_e32 v[10:11], 0
	v_cmp_ne_u32_e32 vcc, v28, v29
	v_cmp_ne_u32_e64 s[6:7], v29, v32
	v_cmp_ne_u32_e64 s[4:5], v37, v28
	v_cndmask_b32_e64 v128, 0, 1, s[8:9]
	v_cmp_gt_u32_e64 s[8:9], s64, v6
	s_mov_b64 s[20:21], 0
	v_mov_b32_e32 v127, 0
	v_mov_b32_e32 v122, 0
	;; [unrolled: 1-line block ×4, first 2 shown]
	v_mov_b64_e32 v[70:71], v[10:11]
	v_mov_b64_e32 v[78:79], v[10:11]
	;; [unrolled: 1-line block ×8, first 2 shown]
	v_mov_b32_e32 v124, 0
	v_mov_b64_e32 v[38:39], v[10:11]
	v_mov_b64_e32 v[50:51], v[10:11]
	;; [unrolled: 1-line block ×5, first 2 shown]
	v_mov_b32_e32 v123, 0
	v_mov_b64_e32 v[34:35], v[10:11]
	v_mov_b64_e32 v[14:15], v[10:11]
	;; [unrolled: 1-line block ×4, first 2 shown]
                                        ; implicit-def: $sgpr22_sgpr23
                                        ; implicit-def: $vgpr83
                                        ; implicit-def: $vgpr82
                                        ; implicit-def: $vgpr84
                                        ; implicit-def: $vgpr85
	s_and_saveexec_b64 s[16:17], s[8:9]
	s_cbranch_execz .LBB1087_109
; %bb.74:
	v_cndmask_b32_e64 v6, 0, 1, s[4:5]
	v_cndmask_b32_e64 v7, 0, 1, s[6:7]
	v_lshlrev_b16_e32 v6, 8, v6
	v_lshlrev_b16_e32 v7, 8, v7
	v_cndmask_b32_e64 v10, 0, 1, vcc
	v_or_b32_e32 v6, v128, v6
	v_or_b32_sdwa v7, v10, v7 dst_sel:WORD_1 dst_unused:UNUSED_PAD src0_sel:DWORD src1_sel:DWORD
	v_add_u32_e32 v10, 3, v65
	v_or_b32_sdwa v83, v6, v7 dst_sel:DWORD dst_unused:UNUSED_PAD src0_sel:WORD_0 src1_sel:DWORD
	v_cmp_gt_u32_e32 vcc, s64, v10
	v_mov_b64_e32 v[10:11], 0
	v_and_b32_e32 v128, 0xffff, v83
	s_waitcnt lgkmcnt(0)
	v_mov_b32_e32 v6, v20
	v_mov_b32_e32 v7, v21
	s_mov_b64 s[4:5], 0
	v_mov_b32_e32 v127, 0
	v_mov_b32_e32 v122, 0
	;; [unrolled: 1-line block ×4, first 2 shown]
	v_mov_b64_e32 v[70:71], v[10:11]
	v_mov_b64_e32 v[78:79], v[10:11]
	;; [unrolled: 1-line block ×8, first 2 shown]
	v_mov_b32_e32 v124, 0
	v_mov_b64_e32 v[38:39], v[10:11]
	v_mov_b64_e32 v[50:51], v[10:11]
	;; [unrolled: 1-line block ×5, first 2 shown]
	v_mov_b32_e32 v123, 0
	v_mov_b64_e32 v[34:35], v[10:11]
	v_mov_b64_e32 v[14:15], v[10:11]
	;; [unrolled: 1-line block ×3, first 2 shown]
                                        ; implicit-def: $sgpr6_sgpr7
                                        ; implicit-def: $vgpr82
                                        ; implicit-def: $vgpr84
                                        ; implicit-def: $vgpr85
	s_and_saveexec_b64 s[18:19], vcc
	s_cbranch_execz .LBB1087_108
; %bb.75:
	ds_read2_b64 v[26:29], v48 offset0:3 offset1:4
	v_add_u32_e32 v10, 4, v65
	v_cmp_gt_u32_e32 vcc, s64, v10
	v_mov_b64_e32 v[10:11], 0
	v_and_b32_e32 v128, 0xffffff, v83
	s_mov_b64 s[6:7], 0
	v_mov_b32_e32 v127, 0
	v_mov_b32_e32 v122, 0
	;; [unrolled: 1-line block ×4, first 2 shown]
	v_mov_b64_e32 v[70:71], v[10:11]
	v_mov_b64_e32 v[78:79], v[10:11]
	;; [unrolled: 1-line block ×8, first 2 shown]
	v_mov_b32_e32 v124, 0
	v_mov_b64_e32 v[38:39], v[10:11]
	v_mov_b64_e32 v[50:51], v[10:11]
	;; [unrolled: 1-line block ×5, first 2 shown]
	v_mov_b32_e32 v123, 0
	v_mov_b64_e32 v[34:35], v[10:11]
	v_mov_b64_e32 v[14:15], v[10:11]
                                        ; implicit-def: $sgpr8_sgpr9
                                        ; implicit-def: $vgpr82
                                        ; implicit-def: $vgpr84
                                        ; implicit-def: $vgpr85
	s_and_saveexec_b64 s[20:21], vcc
	s_cbranch_execz .LBB1087_107
; %bb.76:
	v_add_u32_e32 v10, 5, v65
	v_cmp_gt_u32_e32 vcc, s64, v10
	v_mov_b64_e32 v[10:11], 0
	s_waitcnt lgkmcnt(0)
	v_mov_b32_e32 v14, v28
	v_mov_b32_e32 v15, v29
	;; [unrolled: 1-line block ×6, first 2 shown]
	v_mov_b64_e32 v[70:71], v[10:11]
	v_mov_b64_e32 v[78:79], v[10:11]
	;; [unrolled: 1-line block ×8, first 2 shown]
	v_mov_b32_e32 v124, 0
	v_mov_b64_e32 v[38:39], v[10:11]
	v_mov_b64_e32 v[50:51], v[10:11]
	;; [unrolled: 1-line block ×5, first 2 shown]
	v_mov_b32_e32 v123, 0
	v_mov_b64_e32 v[34:35], v[10:11]
                                        ; implicit-def: $sgpr8_sgpr9
                                        ; implicit-def: $vgpr82
                                        ; implicit-def: $vgpr84
                                        ; implicit-def: $vgpr85
	s_and_saveexec_b64 s[22:23], vcc
	s_cbranch_execz .LBB1087_106
; %bb.77:
	ds_read2_b64 v[34:37], v48 offset0:5 offset1:6
	v_cmp_ne_u32_e32 vcc, v32, v44
	v_add_u32_e32 v10, 6, v65
	s_mov_b64 s[28:29], 0
	v_cndmask_b32_e64 v123, 0, 1, vcc
	v_cmp_gt_u32_e32 vcc, s64, v10
	v_mov_b64_e32 v[10:11], 0
	v_mov_b32_e32 v127, 0
	v_mov_b32_e32 v122, 0
	;; [unrolled: 1-line block ×4, first 2 shown]
	v_mov_b64_e32 v[70:71], v[10:11]
	v_mov_b64_e32 v[78:79], v[10:11]
	;; [unrolled: 1-line block ×8, first 2 shown]
	v_mov_b32_e32 v124, 0
	v_mov_b64_e32 v[38:39], v[10:11]
	v_mov_b64_e32 v[50:51], v[10:11]
	;; [unrolled: 1-line block ×5, first 2 shown]
                                        ; implicit-def: $sgpr6_sgpr7
                                        ; implicit-def: $vgpr82
                                        ; implicit-def: $vgpr84
                                        ; implicit-def: $vgpr85
	s_and_saveexec_b64 s[24:25], vcc
	s_cbranch_execz .LBB1087_105
; %bb.78:
	v_cmp_ne_u32_e64 s[8:9], v44, v45
	v_add_u32_e32 v10, 7, v65
	s_waitcnt lgkmcnt(0)
	v_mov_b32_e32 v22, v36
	v_cndmask_b32_e64 v127, 0, 1, s[8:9]
	v_cmp_gt_u32_e64 s[8:9], s64, v10
	v_mov_b64_e32 v[10:11], 0
	v_mov_b32_e32 v23, v37
	v_cmp_ne_u32_e32 vcc, v40, v41
	v_cmp_ne_u32_e64 s[6:7], v41, v33
	v_cmp_ne_u32_e64 s[4:5], v45, v40
	s_mov_b64 s[30:31], 0
	v_mov_b32_e32 v126, 0
	v_mov_b32_e32 v122, 0
	;; [unrolled: 1-line block ×3, first 2 shown]
	v_mov_b64_e32 v[70:71], v[10:11]
	v_mov_b64_e32 v[78:79], v[10:11]
	;; [unrolled: 1-line block ×8, first 2 shown]
	v_mov_b32_e32 v124, 0
	v_mov_b64_e32 v[38:39], v[10:11]
	v_mov_b64_e32 v[50:51], v[10:11]
	;; [unrolled: 1-line block ×4, first 2 shown]
                                        ; implicit-def: $sgpr34_sgpr35
                                        ; implicit-def: $vgpr82
                                        ; implicit-def: $vgpr84
                                        ; implicit-def: $vgpr85
	s_and_saveexec_b64 s[26:27], s[8:9]
	s_cbranch_execz .LBB1087_104
; %bb.79:
	v_cndmask_b32_e64 v10, 0, 1, s[4:5]
	v_cndmask_b32_e64 v11, 0, 1, s[6:7]
	v_lshlrev_b16_e32 v10, 8, v10
	v_lshlrev_b16_e32 v11, 8, v11
	v_cndmask_b32_e64 v20, 0, 1, vcc
	ds_read2_b64 v[42:45], v48 offset0:7 offset1:8
	v_or_b32_e32 v10, v127, v10
	v_or_b32_sdwa v11, v20, v11 dst_sel:WORD_1 dst_unused:UNUSED_PAD src0_sel:DWORD src1_sel:DWORD
	s_mov_b64 s[4:5], 0
	v_or_b32_sdwa v82, v10, v11 dst_sel:DWORD dst_unused:UNUSED_PAD src0_sel:WORD_0 src1_sel:DWORD
	v_add_u32_e32 v10, 8, v65
	v_cmp_gt_u32_e32 vcc, s64, v10
	v_mov_b64_e32 v[10:11], 0
	v_and_b32_e32 v127, 0xffff, v82
	v_mov_b32_e32 v126, 0
	v_mov_b32_e32 v122, 0
	;; [unrolled: 1-line block ×3, first 2 shown]
	v_mov_b64_e32 v[70:71], v[10:11]
	v_mov_b64_e32 v[78:79], v[10:11]
	;; [unrolled: 1-line block ×8, first 2 shown]
	v_mov_b32_e32 v124, 0
	v_mov_b64_e32 v[38:39], v[10:11]
	v_mov_b64_e32 v[50:51], v[10:11]
	;; [unrolled: 1-line block ×3, first 2 shown]
                                        ; implicit-def: $sgpr6_sgpr7
                                        ; implicit-def: $vgpr84
                                        ; implicit-def: $vgpr85
	s_and_saveexec_b64 s[28:29], vcc
	s_cbranch_execz .LBB1087_103
; %bb.80:
	v_add_u32_e32 v10, 9, v65
	v_cmp_gt_u32_e32 vcc, s64, v10
	v_mov_b64_e32 v[10:11], 0
	s_waitcnt lgkmcnt(0)
	v_mov_b32_e32 v30, v44
	v_mov_b32_e32 v31, v45
	v_and_b32_e32 v127, 0xffffff, v82
	s_mov_b64 s[6:7], 0
	v_mov_b32_e32 v126, 0
	v_mov_b32_e32 v122, 0
	;; [unrolled: 1-line block ×3, first 2 shown]
	v_mov_b64_e32 v[70:71], v[10:11]
	v_mov_b64_e32 v[78:79], v[10:11]
	;; [unrolled: 1-line block ×8, first 2 shown]
	v_mov_b32_e32 v124, 0
	v_mov_b64_e32 v[38:39], v[10:11]
	v_mov_b64_e32 v[50:51], v[10:11]
                                        ; implicit-def: $sgpr8_sgpr9
                                        ; implicit-def: $vgpr84
                                        ; implicit-def: $vgpr85
	s_and_saveexec_b64 s[30:31], vcc
	s_cbranch_execz .LBB1087_102
; %bb.81:
	ds_read2_b64 v[50:53], v48 offset0:9 offset1:10
	v_add_u32_e32 v10, 10, v65
	v_cmp_gt_u32_e32 vcc, s64, v10
	v_mov_b64_e32 v[10:11], 0
	v_mov_b32_e32 v126, 0
	v_mov_b32_e32 v122, 0
	;; [unrolled: 1-line block ×3, first 2 shown]
	v_mov_b64_e32 v[70:71], v[10:11]
	v_mov_b64_e32 v[78:79], v[10:11]
	v_mov_b64_e32 v[62:63], v[10:11]
	v_mov_b64_e32 v[74:75], v[10:11]
	v_mov_b64_e32 v[54:55], v[10:11]
	v_mov_b64_e32 v[66:67], v[10:11]
	v_mov_b64_e32 v[46:47], v[10:11]
	v_mov_b64_e32 v[58:59], v[10:11]
	v_mov_b32_e32 v124, 0
	v_mov_b64_e32 v[38:39], v[10:11]
                                        ; implicit-def: $sgpr8_sgpr9
                                        ; implicit-def: $vgpr84
                                        ; implicit-def: $vgpr85
	s_and_saveexec_b64 s[34:35], vcc
	s_cbranch_execz .LBB1087_101
; %bb.82:
	v_cmp_ne_u32_e32 vcc, v33, v24
	v_add_u32_e32 v10, 11, v65
	s_waitcnt lgkmcnt(0)
	v_mov_b32_e32 v38, v52
	v_cndmask_b32_e64 v124, 0, 1, vcc
	v_cmp_gt_u32_e32 vcc, s64, v10
	v_mov_b64_e32 v[10:11], 0
	v_mov_b32_e32 v39, v53
	s_mov_b64 s[40:41], 0
	v_mov_b32_e32 v126, 0
	v_mov_b32_e32 v122, 0
	;; [unrolled: 1-line block ×3, first 2 shown]
	v_mov_b64_e32 v[70:71], v[10:11]
	v_mov_b64_e32 v[78:79], v[10:11]
	v_mov_b64_e32 v[62:63], v[10:11]
	v_mov_b64_e32 v[74:75], v[10:11]
	v_mov_b64_e32 v[54:55], v[10:11]
	v_mov_b64_e32 v[66:67], v[10:11]
	v_mov_b64_e32 v[46:47], v[10:11]
	v_mov_b64_e32 v[58:59], v[10:11]
                                        ; implicit-def: $sgpr6_sgpr7
                                        ; implicit-def: $vgpr84
                                        ; implicit-def: $vgpr85
	s_and_saveexec_b64 s[36:37], vcc
	s_cbranch_execz .LBB1087_100
; %bb.83:
	ds_read2_b64 v[58:61], v48 offset0:11 offset1:12
	v_cmp_ne_u32_e64 s[8:9], v24, v25
	v_add_u32_e32 v10, 12, v65
	v_cmp_ne_u32_e32 vcc, v16, v17
	v_cndmask_b32_e64 v126, 0, 1, s[8:9]
	v_cmp_gt_u32_e64 s[8:9], s64, v10
	v_mov_b64_e32 v[10:11], 0
	v_cmp_ne_u32_e64 s[6:7], v17, v64
	v_cmp_ne_u32_e64 s[4:5], v25, v16
	s_mov_b64 s[42:43], 0
	v_mov_b32_e32 v125, 0
	v_mov_b32_e32 v122, 0
	v_mov_b64_e32 v[70:71], v[10:11]
	v_mov_b64_e32 v[78:79], v[10:11]
	;; [unrolled: 1-line block ×7, first 2 shown]
                                        ; implicit-def: $sgpr44_sgpr45
                                        ; implicit-def: $vgpr84
                                        ; implicit-def: $vgpr85
	s_and_saveexec_b64 s[38:39], s[8:9]
	s_cbranch_execz .LBB1087_99
; %bb.84:
	v_cndmask_b32_e64 v10, 0, 1, s[4:5]
	v_cndmask_b32_e64 v11, 0, 1, s[6:7]
	v_lshlrev_b16_e32 v10, 8, v10
	v_lshlrev_b16_e32 v11, 8, v11
	v_cndmask_b32_e64 v16, 0, 1, vcc
	v_or_b32_e32 v10, v126, v10
	v_or_b32_sdwa v11, v16, v11 dst_sel:WORD_1 dst_unused:UNUSED_PAD src0_sel:DWORD src1_sel:DWORD
	s_waitcnt lgkmcnt(0)
	v_mov_b32_e32 v46, v60
	v_or_b32_sdwa v84, v10, v11 dst_sel:DWORD dst_unused:UNUSED_PAD src0_sel:WORD_0 src1_sel:DWORD
	v_add_u32_e32 v10, 13, v65
	v_cmp_gt_u32_e32 vcc, s64, v10
	v_mov_b64_e32 v[10:11], 0
	v_and_b32_e32 v126, 0xffff, v84
	v_mov_b32_e32 v47, v61
	s_mov_b64 s[4:5], 0
	v_mov_b32_e32 v125, 0
	v_mov_b32_e32 v122, 0
	v_mov_b64_e32 v[70:71], v[10:11]
	v_mov_b64_e32 v[78:79], v[10:11]
	;; [unrolled: 1-line block ×6, first 2 shown]
                                        ; implicit-def: $sgpr6_sgpr7
                                        ; implicit-def: $vgpr85
	s_and_saveexec_b64 s[40:41], vcc
	s_cbranch_execz .LBB1087_98
; %bb.85:
	ds_read2_b64 v[66:69], v48 offset0:13 offset1:14
	v_add_u32_e32 v10, 14, v65
	v_cmp_gt_u32_e32 vcc, s64, v10
	v_mov_b64_e32 v[10:11], 0
	v_and_b32_e32 v126, 0xffffff, v84
	s_mov_b64 s[6:7], 0
	v_mov_b32_e32 v125, 0
	v_mov_b32_e32 v122, 0
	v_mov_b64_e32 v[70:71], v[10:11]
	v_mov_b64_e32 v[78:79], v[10:11]
	;; [unrolled: 1-line block ×5, first 2 shown]
                                        ; implicit-def: $sgpr8_sgpr9
                                        ; implicit-def: $vgpr85
	s_and_saveexec_b64 s[42:43], vcc
	s_cbranch_execz .LBB1087_97
; %bb.86:
	v_add_u32_e32 v10, 15, v65
	v_cmp_gt_u32_e32 vcc, s64, v10
	v_mov_b64_e32 v[10:11], 0
	s_waitcnt lgkmcnt(0)
	v_mov_b32_e32 v54, v68
	v_mov_b32_e32 v55, v69
	;; [unrolled: 1-line block ×4, first 2 shown]
	v_mov_b64_e32 v[70:71], v[10:11]
	v_mov_b64_e32 v[78:79], v[10:11]
	;; [unrolled: 1-line block ×4, first 2 shown]
                                        ; implicit-def: $sgpr8_sgpr9
                                        ; implicit-def: $vgpr85
	s_and_saveexec_b64 s[44:45], vcc
	s_cbranch_execz .LBB1087_96
; %bb.87:
	ds_read2_b64 v[74:77], v48 offset0:15 offset1:16
	v_cmp_ne_u32_e32 vcc, v64, v8
	v_add_u32_e32 v10, 16, v65
	s_mov_b64 s[58:59], 0
	v_cndmask_b32_e64 v122, 0, 1, vcc
	v_cmp_gt_u32_e32 vcc, s64, v10
	v_mov_b64_e32 v[10:11], 0
	v_mov_b32_e32 v125, 0
	v_mov_b64_e32 v[70:71], v[10:11]
	v_mov_b64_e32 v[78:79], v[10:11]
	;; [unrolled: 1-line block ×3, first 2 shown]
                                        ; implicit-def: $sgpr6_sgpr7
                                        ; implicit-def: $vgpr85
	s_and_saveexec_b64 s[46:47], vcc
	s_cbranch_execz .LBB1087_95
; %bb.88:
	v_cmp_ne_u32_e64 s[8:9], v8, v9
	v_add_u32_e32 v8, 17, v65
	v_mov_b64_e32 v[10:11], 0
	s_waitcnt lgkmcnt(0)
	v_mov_b32_e32 v62, v76
	v_mov_b32_e32 v63, v77
	v_cmp_ne_u32_e32 vcc, v12, v13
	v_cmp_ne_u32_e64 s[6:7], v13, v4
	v_cmp_ne_u32_e64 s[4:5], v9, v12
	v_cndmask_b32_e64 v125, 0, 1, s[8:9]
	v_cmp_gt_u32_e64 s[8:9], s64, v8
	s_mov_b64 s[60:61], 0
	v_mov_b64_e32 v[70:71], v[10:11]
	v_mov_b64_e32 v[78:79], v[10:11]
                                        ; implicit-def: $sgpr62_sgpr63
                                        ; implicit-def: $vgpr85
	s_and_saveexec_b64 s[56:57], s[8:9]
	s_cbranch_execz .LBB1087_94
; %bb.89:
	v_cndmask_b32_e64 v8, 0, 1, s[4:5]
	v_cndmask_b32_e64 v9, 0, 1, s[6:7]
	ds_read2_b64 v[78:81], v48 offset0:17 offset1:18
	v_lshlrev_b16_e32 v8, 8, v8
	v_lshlrev_b16_e32 v9, 8, v9
	v_cndmask_b32_e64 v10, 0, 1, vcc
	v_or_b32_e32 v8, v125, v8
	v_or_b32_sdwa v9, v10, v9 dst_sel:WORD_1 dst_unused:UNUSED_PAD src0_sel:DWORD src1_sel:DWORD
	v_mov_b64_e32 v[10:11], 0
	v_or_b32_sdwa v85, v8, v9 dst_sel:DWORD dst_unused:UNUSED_PAD src0_sel:WORD_0 src1_sel:DWORD
	v_add_u32_e32 v8, 18, v65
	v_and_b32_e32 v125, 0xffff, v85
	v_cmp_gt_u32_e32 vcc, s64, v8
	s_mov_b64 s[4:5], 0
	v_mov_b64_e32 v[70:71], v[10:11]
                                        ; implicit-def: $sgpr8_sgpr9
	s_and_saveexec_b64 s[6:7], vcc
	s_cbranch_execz .LBB1087_93
; %bb.90:
	v_add_u32_e32 v8, 19, v65
	s_waitcnt lgkmcnt(0)
	v_mov_b32_e32 v70, v80
	v_mov_b32_e32 v71, v81
	v_cmp_gt_u32_e32 vcc, s64, v8
	v_and_b32_e32 v125, 0xffffff, v85
	v_mov_b64_e32 v[10:11], 0
                                        ; implicit-def: $sgpr8_sgpr9
	s_and_saveexec_b64 s[58:59], vcc
	s_xor_b64 s[58:59], exec, s[58:59]
	s_cbranch_execz .LBB1087_92
; %bb.91:
	ds_read2_b64 v[10:13], v48 offset0:19 offset1:20
	v_cmp_ne_u32_e32 vcc, v4, v5
	v_add_u32_e32 v4, 20, v65
	v_cmp_gt_u32_e64 s[4:5], s64, v4
	s_and_b64 s[8:9], vcc, exec
	s_and_b64 s[4:5], s[4:5], exec
	s_waitcnt lgkmcnt(0)
	v_mov_b64_e32 v[72:73], v[10:11]
	v_mov_b32_e32 v125, v85
.LBB1087_92:
	s_or_b64 exec, exec, s[58:59]
	s_and_b64 s[8:9], s[8:9], exec
	s_and_b64 s[60:61], s[4:5], exec
.LBB1087_93:
	s_or_b64 exec, exec, s[6:7]
	s_and_b64 s[62:63], s[8:9], exec
	s_and_b64 s[58:59], s[60:61], exec
	s_waitcnt lgkmcnt(0)
	v_mov_b64_e32 v[64:65], v[78:79]
	v_mov_b64_e32 v[56:57], v[74:75]
	;; [unrolled: 1-line block ×9, first 2 shown]
.LBB1087_94:
	s_or_b64 exec, exec, s[56:57]
	s_and_b64 s[6:7], s[62:63], exec
	s_and_b64 s[4:5], s[58:59], exec
.LBB1087_95:
	s_or_b64 exec, exec, s[46:47]
	s_and_b64 s[8:9], s[6:7], exec
	s_and_b64 s[6:7], s[4:5], exec
.LBB1087_96:
	s_or_b64 exec, exec, s[44:45]
	s_and_b64 s[8:9], s[8:9], exec
	s_and_b64 s[4:5], s[6:7], exec
	v_mov_b32_e32 v126, v84
.LBB1087_97:
	s_or_b64 exec, exec, s[42:43]
	s_and_b64 s[6:7], s[8:9], exec
	s_and_b64 s[42:43], s[4:5], exec
.LBB1087_98:
	s_or_b64 exec, exec, s[40:41]
	s_and_b64 s[44:45], s[6:7], exec
	s_and_b64 s[40:41], s[42:43], exec
.LBB1087_99:
	s_or_b64 exec, exec, s[38:39]
	s_and_b64 s[6:7], s[44:45], exec
	s_and_b64 s[4:5], s[40:41], exec
.LBB1087_100:
	s_or_b64 exec, exec, s[36:37]
	s_and_b64 s[8:9], s[6:7], exec
	s_and_b64 s[6:7], s[4:5], exec
.LBB1087_101:
	s_or_b64 exec, exec, s[34:35]
	s_and_b64 s[8:9], s[8:9], exec
	s_and_b64 s[4:5], s[6:7], exec
	v_mov_b32_e32 v127, v82
.LBB1087_102:
	s_or_b64 exec, exec, s[30:31]
	s_and_b64 s[6:7], s[8:9], exec
	s_and_b64 s[30:31], s[4:5], exec
.LBB1087_103:
	s_or_b64 exec, exec, s[28:29]
	s_and_b64 s[34:35], s[6:7], exec
	s_and_b64 s[28:29], s[30:31], exec
.LBB1087_104:
	s_or_b64 exec, exec, s[26:27]
	s_and_b64 s[6:7], s[34:35], exec
	s_and_b64 s[4:5], s[28:29], exec
.LBB1087_105:
	s_or_b64 exec, exec, s[24:25]
	s_and_b64 s[8:9], s[6:7], exec
	s_and_b64 s[6:7], s[4:5], exec
.LBB1087_106:
	s_or_b64 exec, exec, s[22:23]
	s_and_b64 s[8:9], s[8:9], exec
	s_and_b64 s[4:5], s[6:7], exec
	v_mov_b32_e32 v128, v83
.LBB1087_107:
	s_or_b64 exec, exec, s[20:21]
	s_and_b64 s[6:7], s[8:9], exec
	s_and_b64 s[20:21], s[4:5], exec
.LBB1087_108:
	s_or_b64 exec, exec, s[18:19]
	s_and_b64 s[22:23], s[6:7], exec
	s_and_b64 s[18:19], s[20:21], exec
.LBB1087_109:
	s_or_b64 exec, exec, s[16:17]
	s_and_b64 s[4:5], s[22:23], exec
	s_and_b64 s[6:7], s[18:19], exec
.LBB1087_110:
	s_or_b64 exec, exec, s[14:15]
	s_and_b64 s[4:5], s[4:5], exec
	s_and_b64 s[6:7], s[6:7], exec
.LBB1087_111:
	s_or_b64 exec, exec, s[12:13]
	s_mov_b64 s[8:9], 0
	s_and_b64 vcc, exec, s[10:11]
	s_cbranch_vccnz .LBB1087_113
	s_branch .LBB1087_121
.LBB1087_112:
                                        ; implicit-def: $sgpr4_sgpr5
                                        ; implicit-def: $vgpr83
                                        ; implicit-def: $vgpr82
                                        ; implicit-def: $vgpr84
                                        ; implicit-def: $vgpr85
                                        ; implicit-def: $vgpr12_vgpr13
                                        ; implicit-def: $vgpr72_vgpr73
                                        ; implicit-def: $vgpr64_vgpr65
                                        ; implicit-def: $vgpr122
                                        ; implicit-def: $vgpr56_vgpr57
                                        ; implicit-def: $vgpr48_vgpr49
                                        ; implicit-def: $vgpr40_vgpr41
                                        ; implicit-def: $vgpr124
                                        ; implicit-def: $vgpr32_vgpr33
                                        ; implicit-def: $vgpr24_vgpr25
                                        ; implicit-def: $vgpr123
                                        ; implicit-def: $vgpr16_vgpr17
                                        ; implicit-def: $vgpr8_vgpr9
                                        ; implicit-def: $vgpr4_vgpr5
                                        ; implicit-def: $vgpr1
                                        ; implicit-def: $vgpr128
                                        ; implicit-def: $vgpr127
                                        ; implicit-def: $vgpr126
                                        ; implicit-def: $vgpr125
                                        ; implicit-def: $sgpr3
                                        ; implicit-def: $sgpr8_sgpr9
                                        ; implicit-def: $vgpr78_vgpr79
                                        ; implicit-def: $vgpr74_vgpr75
                                        ; implicit-def: $vgpr66_vgpr67
                                        ; implicit-def: $vgpr58_vgpr59
                                        ; implicit-def: $vgpr50_vgpr51
                                        ; implicit-def: $vgpr42_vgpr43
                                        ; implicit-def: $vgpr34_vgpr35
                                        ; implicit-def: $vgpr26_vgpr27
                                        ; implicit-def: $vgpr18_vgpr19
	s_and_b64 vcc, exec, s[10:11]
	s_cbranch_vccz .LBB1087_121
.LBB1087_113:
	s_waitcnt lgkmcnt(0)
	v_mov_b32_e32 v3, 0
	v_lshlrev_b32_e32 v2, 2, v0
	v_lshl_add_u64 v[4:5], s[50:51], 0, v[2:3]
	v_add_co_u32_e32 v6, vcc, 0x1000, v4
	s_movk_i32 s3, 0x50
	s_nop 0
	v_addc_co_u32_e32 v7, vcc, 0, v5, vcc
	flat_load_dword v1, v[4:5]
	flat_load_dword v3, v[4:5] offset:1024
	flat_load_dword v10, v[4:5] offset:2048
	;; [unrolled: 1-line block ×3, first 2 shown]
	flat_load_dword v12, v[6:7]
	flat_load_dword v13, v[6:7] offset:1024
	flat_load_dword v14, v[6:7] offset:2048
	;; [unrolled: 1-line block ×3, first 2 shown]
	v_add_co_u32_e32 v6, vcc, 0x2000, v4
	v_mad_u32_u24 v23, v0, s3, v2
	s_nop 0
	v_addc_co_u32_e32 v7, vcc, 0, v5, vcc
	v_add_co_u32_e32 v8, vcc, 0x3000, v4
	s_cmp_eq_u64 s[54:55], 0
	s_nop 0
	v_addc_co_u32_e32 v9, vcc, 0, v5, vcc
	flat_load_dword v16, v[6:7]
	flat_load_dword v17, v[6:7] offset:1024
	flat_load_dword v18, v[6:7] offset:2048
	;; [unrolled: 1-line block ×3, first 2 shown]
	flat_load_dword v20, v[8:9]
	flat_load_dword v21, v[8:9] offset:1024
	flat_load_dword v22, v[8:9] offset:2048
	;; [unrolled: 1-line block ×3, first 2 shown]
	v_add_co_u32_e32 v6, vcc, 0x4000, v4
	s_nop 1
	v_addc_co_u32_e32 v7, vcc, 0, v5, vcc
	v_add_co_u32_e32 v4, vcc, 0x5000, v4
	s_nop 1
	v_addc_co_u32_e32 v5, vcc, 0, v5, vcc
	flat_load_dword v8, v[6:7]
	flat_load_dword v9, v[6:7] offset:1024
	flat_load_dword v25, v[6:7] offset:2048
	flat_load_dword v26, v[6:7] offset:3072
	flat_load_dword v27, v[4:5]
	s_waitcnt vmcnt(0) lgkmcnt(0)
	ds_write2st64_b32 v2, v1, v3 offset1:4
	ds_write2st64_b32 v2, v10, v11 offset0:8 offset1:12
	ds_write2st64_b32 v2, v12, v13 offset0:16 offset1:20
	;; [unrolled: 1-line block ×9, first 2 shown]
	ds_write_b32 v2, v27 offset:20480
	s_waitcnt lgkmcnt(0)
	s_barrier
	ds_read2_b32 v[8:9], v23 offset0:7 offset1:8
	ds_read2_b32 v[6:7], v23 offset0:5 offset1:6
	;; [unrolled: 1-line block ×3, first 2 shown]
	ds_read2_b32 v[10:11], v23 offset1:1
	ds_read2_b32 v[4:5], v23 offset0:4 offset1:9
	ds_read2_b32 v[16:17], v23 offset0:15 offset1:16
	ds_read_b32 v22, v23 offset:56
	ds_read2_b32 v[14:15], v23 offset0:12 offset1:13
	ds_read2_b32 v[12:13], v23 offset0:10 offset1:11
	;; [unrolled: 1-line block ×4, first 2 shown]
	s_cbranch_scc1 .LBB1087_118
; %bb.114:
	s_andn2_b64 vcc, exec, s[52:53]
	s_cbranch_vccnz .LBB1087_288
; %bb.115:
	v_readlane_b32 s8, v133, 0
	v_readlane_b32 s10, v133, 2
	;; [unrolled: 1-line block ×5, first 2 shown]
	s_lshl_b64 s[4:5], s[54:55], 2
	s_mov_b64 s[10:11], s[14:15]
	s_add_u32 s3, s10, s4
	s_addc_u32 s5, s11, s5
	s_add_u32 s4, s3, -4
	s_addc_u32 s5, s5, -1
	v_readlane_b32 s9, v133, 1
	v_readlane_b32 s12, v133, 4
	;; [unrolled: 1-line block ×3, first 2 shown]
	s_cbranch_execnz .LBB1087_117
.LBB1087_116:
	s_add_u32 s4, s50, -4
	s_addc_u32 s5, s51, -1
.LBB1087_117:
	s_mov_b64 s[50:51], s[4:5]
.LBB1087_118:
	v_mov_b64_e32 v[24:25], s[50:51]
	flat_load_dword v1, v[24:25]
	s_movk_i32 s3, 0xffb0
	v_mad_i32_i24 v23, v0, s3, v23
	v_cmp_ne_u32_e32 vcc, 0, v0
	s_waitcnt lgkmcnt(0)
	ds_write_b32 v23, v21 offset:21504
	s_waitcnt lgkmcnt(0)
	s_barrier
	s_and_saveexec_b64 s[4:5], vcc
	s_cbranch_execz .LBB1087_120
; %bb.119:
	s_waitcnt vmcnt(0)
	ds_read_b32 v1, v23 offset:21500
.LBB1087_120:
	s_or_b64 exec, exec, s[4:5]
	v_lshlrev_b32_e32 v24, 3, v0
	v_mov_b32_e32 v25, 0
	v_lshl_add_u64 v[24:25], s[48:49], 0, v[24:25]
	s_movk_i32 s3, 0x1000
	v_add_co_u32_e32 v26, vcc, s3, v24
	s_movk_i32 s3, 0x2000
	s_nop 0
	v_addc_co_u32_e32 v27, vcc, 0, v25, vcc
	s_waitcnt lgkmcnt(0)
	s_barrier
	flat_load_dwordx2 v[28:29], v[24:25]
	flat_load_dwordx2 v[30:31], v[24:25] offset:2048
	flat_load_dwordx2 v[32:33], v[26:27]
	flat_load_dwordx2 v[34:35], v[26:27] offset:2048
	v_add_co_u32_e32 v26, vcc, s3, v24
	s_movk_i32 s3, 0x3000
	s_nop 0
	v_addc_co_u32_e32 v27, vcc, 0, v25, vcc
	v_add_co_u32_e32 v36, vcc, s3, v24
	s_movk_i32 s3, 0x4000
	s_nop 0
	v_addc_co_u32_e32 v37, vcc, 0, v25, vcc
	flat_load_dwordx2 v[38:39], v[26:27]
	flat_load_dwordx2 v[40:41], v[26:27] offset:2048
	flat_load_dwordx2 v[42:43], v[36:37]
	flat_load_dwordx2 v[44:45], v[36:37] offset:2048
	v_add_co_u32_e32 v26, vcc, s3, v24
	s_movk_i32 s3, 0x5000
	s_nop 0
	v_addc_co_u32_e32 v27, vcc, 0, v25, vcc
	v_add_co_u32_e32 v36, vcc, s3, v24
	s_movk_i32 s3, 0x6000
	s_nop 0
	v_addc_co_u32_e32 v37, vcc, 0, v25, vcc
	flat_load_dwordx2 v[46:47], v[26:27]
	flat_load_dwordx2 v[48:49], v[26:27] offset:2048
	flat_load_dwordx2 v[50:51], v[36:37]
	flat_load_dwordx2 v[52:53], v[36:37] offset:2048
	v_add_co_u32_e32 v26, vcc, s3, v24
	s_movk_i32 s3, 0x7000
	s_nop 0
	v_addc_co_u32_e32 v27, vcc, 0, v25, vcc
	v_add_co_u32_e32 v36, vcc, s3, v24
	s_mov_b32 s3, 0x8000
	s_nop 0
	v_addc_co_u32_e32 v37, vcc, 0, v25, vcc
	flat_load_dwordx2 v[54:55], v[26:27]
	flat_load_dwordx2 v[56:57], v[26:27] offset:2048
	flat_load_dwordx2 v[58:59], v[36:37]
	flat_load_dwordx2 v[60:61], v[36:37] offset:2048
	v_add_co_u32_e32 v26, vcc, s3, v24
	s_mov_b32 s3, 0x9000
	s_nop 0
	v_addc_co_u32_e32 v27, vcc, 0, v25, vcc
	v_add_co_u32_e32 v36, vcc, s3, v24
	s_mov_b32 s3, 0xa000
	s_nop 0
	v_addc_co_u32_e32 v37, vcc, 0, v25, vcc
	flat_load_dwordx2 v[62:63], v[26:27]
	flat_load_dwordx2 v[64:65], v[26:27] offset:2048
	flat_load_dwordx2 v[66:67], v[36:37]
	flat_load_dwordx2 v[68:69], v[36:37] offset:2048
	v_add_co_u32_e32 v24, vcc, s3, v24
	v_cmp_ne_u32_e64 s[4:5], v20, v21
	s_nop 0
	v_addc_co_u32_e32 v25, vcc, 0, v25, vcc
	flat_load_dwordx2 v[24:25], v[24:25]
	v_cmp_ne_u32_e32 vcc, v17, v18
	s_movk_i32 s3, 0xa0
	s_mov_b64 s[6:7], -1
	v_cndmask_b32_e64 v21, 0, 1, vcc
	v_cmp_ne_u32_e32 vcc, v16, v17
	v_lshlrev_b16_e32 v21, 8, v21
                                        ; implicit-def: $vgpr128
                                        ; implicit-def: $vgpr127
                                        ; implicit-def: $vgpr126
                                        ; implicit-def: $vgpr125
                                        ; implicit-def: $sgpr8_sgpr9
                                        ; implicit-def: $vgpr78_vgpr79
                                        ; implicit-def: $vgpr74_vgpr75
                                        ; implicit-def: $vgpr26_vgpr27
	s_nop 0
	v_cndmask_b32_e64 v17, 0, 1, vcc
	v_cmp_ne_u32_e32 vcc, v19, v20
	v_or_b32_e32 v17, v17, v21
	s_nop 0
	v_cndmask_b32_e64 v20, 0, 1, vcc
	v_cmp_ne_u32_e32 vcc, v18, v19
	v_lshlrev_b16_e32 v20, 8, v20
	s_nop 0
	v_cndmask_b32_e64 v18, 0, 1, vcc
	v_cmp_ne_u32_e32 vcc, v22, v16
	v_or_b32_sdwa v18, v18, v20 dst_sel:WORD_1 dst_unused:UNUSED_PAD src0_sel:DWORD src1_sel:DWORD
	s_nop 0
	v_cndmask_b32_e64 v122, 0, 1, vcc
	v_cmp_ne_u32_e32 vcc, v13, v14
	v_or_b32_sdwa v85, v17, v18 dst_sel:DWORD dst_unused:UNUSED_PAD src0_sel:WORD_0 src1_sel:DWORD
	s_nop 0
	v_cndmask_b32_e64 v16, 0, 1, vcc
	v_cmp_ne_u32_e32 vcc, v12, v13
	v_lshlrev_b16_e32 v16, 8, v16
	s_nop 0
	v_cndmask_b32_e64 v13, 0, 1, vcc
	v_cmp_ne_u32_e32 vcc, v15, v22
	v_or_b32_e32 v13, v13, v16
	s_nop 0
	v_cndmask_b32_e64 v16, 0, 1, vcc
	v_cmp_ne_u32_e32 vcc, v14, v15
	v_lshlrev_b16_e32 v16, 8, v16
	s_nop 0
	v_cndmask_b32_e64 v14, 0, 1, vcc
	v_cmp_ne_u32_e32 vcc, v5, v12
	v_or_b32_sdwa v14, v14, v16 dst_sel:WORD_1 dst_unused:UNUSED_PAD src0_sel:DWORD src1_sel:DWORD
	s_nop 0
	v_cndmask_b32_e64 v124, 0, 1, vcc
	v_cmp_ne_u32_e32 vcc, v7, v8
	v_or_b32_sdwa v84, v13, v14 dst_sel:DWORD dst_unused:UNUSED_PAD src0_sel:WORD_0 src1_sel:DWORD
	s_nop 0
	v_cndmask_b32_e64 v12, 0, 1, vcc
	v_cmp_ne_u32_e32 vcc, v6, v7
	v_lshlrev_b16_e32 v12, 8, v12
	;; [unrolled: 20-line block ×3, first 2 shown]
	s_nop 0
	v_cndmask_b32_e64 v6, 0, 1, vcc
	v_cmp_ne_u32_e32 vcc, v3, v4
	v_or_b32_e32 v11, v6, v5
	s_nop 0
	v_cndmask_b32_e64 v4, 0, 1, vcc
	v_cmp_ne_u32_e32 vcc, v2, v3
	v_lshlrev_b16_e32 v4, 8, v4
	s_nop 0
	v_cndmask_b32_e64 v2, 0, 1, vcc
	v_or_b32_sdwa v18, v2, v4 dst_sel:WORD_1 dst_unused:UNUSED_PAD src0_sel:DWORD src1_sel:DWORD
	v_lshl_add_u32 v2, v0, 2, v23
	v_mad_u32_u24 v12, v0, s3, v2
	s_waitcnt vmcnt(0) lgkmcnt(0)
	ds_write2st64_b64 v2, v[28:29], v[30:31] offset1:4
	ds_write2st64_b64 v2, v[32:33], v[34:35] offset0:8 offset1:12
	ds_write2st64_b64 v2, v[38:39], v[40:41] offset0:16 offset1:20
	;; [unrolled: 1-line block ×9, first 2 shown]
	ds_write_b64 v2, v[24:25] offset:40960
	s_waitcnt lgkmcnt(0)
	s_barrier
	ds_read2_b64 v[2:5], v12 offset1:1
	ds_read2_b64 v[6:9], v12 offset0:2 offset1:3
	ds_read2_b64 v[14:17], v12 offset0:4 offset1:5
	;; [unrolled: 1-line block ×9, first 2 shown]
	ds_read_b64 v[12:13], v12 offset:160
	v_cmp_ne_u32_e32 vcc, v1, v10
	v_or_b32_sdwa v83, v11, v18 dst_sel:DWORD dst_unused:UNUSED_PAD src0_sel:WORD_0 src1_sel:DWORD
                                        ; implicit-def: $sgpr3
                                        ; implicit-def: $vgpr66_vgpr67
                                        ; implicit-def: $vgpr58_vgpr59
                                        ; implicit-def: $vgpr50_vgpr51
                                        ; implicit-def: $vgpr42_vgpr43
                                        ; implicit-def: $vgpr34_vgpr35
                                        ; implicit-def: $vgpr18_vgpr19
	s_nop 0
	v_cndmask_b32_e64 v1, 0, 1, vcc
.LBB1087_121:
	s_waitcnt lgkmcnt(0)
	v_mov_b64_e32 v[20:21], s[8:9]
	v_mov_b32_e32 v36, s3
	s_and_saveexec_b64 s[8:9], s[6:7]
	s_cbranch_execz .LBB1087_123
; %bb.122:
	v_cndmask_b32_e64 v36, 0, 1, s[4:5]
	v_mov_b64_e32 v[18:19], v[4:5]
	v_mov_b64_e32 v[26:27], v[8:9]
	;; [unrolled: 1-line block ×11, first 2 shown]
	v_mov_b32_e32 v125, v85
	v_mov_b32_e32 v126, v84
	;; [unrolled: 1-line block ×4, first 2 shown]
.LBB1087_123:
	s_or_b64 exec, exec, s[8:9]
	v_and_b32_e32 v131, 1, v123
	v_and_b32_e32 v129, 1, v124
	v_and_b32_e32 v40, 1, v122
	v_and_b32_e32 v33, 1, v36
	s_cmp_lg_u32 s2, 0
	v_lshrrev_b32_e32 v132, 8, v128
	v_cmp_eq_u32_e32 vcc, 1, v131
	v_lshrrev_b32_e32 v130, 8, v127
	v_cmp_eq_u32_e64 s[44:45], 1, v129
	v_lshrrev_b32_e32 v41, 8, v126
	v_cmp_eq_u32_e64 s[46:47], 1, v40
	;; [unrolled: 2-line block ×3, first 2 shown]
	v_mbcnt_lo_u32_b32 v32, -1, 0
	s_barrier
	s_cbranch_scc0 .LBB1087_190
; %bb.124:
	v_mov_b32_e32 v8, 0
	v_and_b32_e32 v9, 1, v128
	s_movk_i32 s3, 0xff
	v_add_f64 v[4:5], v[2:3], v[18:19]
	v_cmp_eq_u16_sdwa s[66:67], v128, v8 src0_sel:BYTE_0 src1_sel:DWORD
	v_cmp_eq_u32_e64 s[48:49], 1, v9
	v_and_b32_e32 v9, 0x100, v128
	v_cndmask_b32_e64 v5, v19, v5, s[66:67]
	v_cndmask_b32_e64 v4, v18, v4, s[66:67]
	v_cmp_ne_u32_e64 s[52:53], 0, v9
	v_and_b32_sdwa v9, v128, s3 dst_sel:DWORD dst_unused:UNUSED_PAD src0_sel:WORD_1 src1_sel:DWORD
	v_add_f64 v[4:5], v[6:7], v[4:5]
	v_cmp_eq_u16_sdwa s[4:5], v132, v8 src0_sel:BYTE_0 src1_sel:DWORD
	v_cmp_eq_u16_e64 s[6:7], 0, v9
	v_and_b32_e32 v9, 0x10000, v128
	v_cndmask_b32_e64 v5, v7, v5, s[4:5]
	v_cndmask_b32_e64 v4, v6, v4, s[4:5]
	v_cmp_ne_u32_e64 s[54:55], 0, v9
	v_and_b32_e32 v9, 0x1000000, v128
	v_add_f64 v[4:5], v[26:27], v[4:5]
	v_cmp_ne_u32_e64 s[56:57], 0, v9
	v_and_b32_e32 v9, 1, v127
	v_cndmask_b32_e64 v5, v27, v5, s[6:7]
	v_cndmask_b32_e64 v4, v26, v4, s[6:7]
	v_cmp_eq_u32_e64 s[58:59], 1, v9
	v_and_b32_e32 v9, 0x100, v127
	v_add_f64 v[4:5], v[14:15], v[4:5]
	v_cmp_eq_u16_sdwa s[8:9], v128, v8 src0_sel:BYTE_3 src1_sel:DWORD
	v_cmp_ne_u32_e64 s[60:61], 0, v9
	v_and_b32_sdwa v9, v127, s3 dst_sel:DWORD dst_unused:UNUSED_PAD src0_sel:WORD_1 src1_sel:DWORD
	v_cndmask_b32_e64 v5, v15, v5, s[8:9]
	v_cndmask_b32_e64 v4, v14, v4, s[8:9]
	v_cmp_eq_u16_e64 s[16:17], 0, v9
	v_and_b32_e32 v9, 0x10000, v127
	v_add_f64 v[4:5], v[34:35], v[4:5]
	v_cmp_eq_u16_sdwa s[10:11], v123, v8 src0_sel:BYTE_0 src1_sel:DWORD
	v_cmp_ne_u32_e64 s[62:63], 0, v9
	v_and_b32_e32 v9, 0x1000000, v127
	v_cndmask_b32_e64 v5, v35, v5, s[10:11]
	v_cndmask_b32_e64 v4, v34, v4, s[10:11]
	v_cmp_ne_u32_e64 s[64:65], 0, v9
	v_and_b32_e32 v9, 1, v126
	v_add_f64 v[4:5], v[22:23], v[4:5]
	v_cmp_eq_u16_sdwa s[12:13], v127, v8 src0_sel:BYTE_0 src1_sel:DWORD
	v_cmp_eq_u32_e64 s[68:69], 1, v9
	v_and_b32_e32 v9, 0x100, v126
	v_cndmask_b32_e64 v5, v23, v5, s[12:13]
	v_cndmask_b32_e64 v4, v22, v4, s[12:13]
	v_cmp_ne_u32_e64 s[70:71], 0, v9
	v_and_b32_sdwa v9, v126, s3 dst_sel:DWORD dst_unused:UNUSED_PAD src0_sel:WORD_1 src1_sel:DWORD
	v_add_f64 v[4:5], v[42:43], v[4:5]
	v_cmp_eq_u16_sdwa s[14:15], v130, v8 src0_sel:BYTE_0 src1_sel:DWORD
	v_cmp_eq_u16_e64 s[26:27], 0, v9
	v_and_b32_e32 v9, 0x10000, v126
	v_cndmask_b32_e64 v5, v43, v5, s[14:15]
	v_cndmask_b32_e64 v4, v42, v4, s[14:15]
	v_cmp_ne_u32_e64 s[72:73], 0, v9
	v_and_b32_e32 v9, 0x1000000, v126
	v_add_f64 v[4:5], v[30:31], v[4:5]
	v_cmp_ne_u32_e64 s[74:75], 0, v9
	v_and_b32_e32 v9, 1, v125
	v_cndmask_b32_e64 v5, v31, v5, s[16:17]
	v_cndmask_b32_e64 v4, v30, v4, s[16:17]
	v_cmp_eq_u32_e64 s[76:77], 1, v9
	v_and_b32_e32 v9, 0x100, v125
	v_add_f64 v[4:5], v[50:51], v[4:5]
	v_cmp_eq_u16_sdwa s[18:19], v127, v8 src0_sel:BYTE_3 src1_sel:DWORD
	v_cmp_ne_u32_e64 s[78:79], 0, v9
	v_and_b32_sdwa v9, v125, s3 dst_sel:DWORD dst_unused:UNUSED_PAD src0_sel:WORD_1 src1_sel:DWORD
	v_cndmask_b32_e64 v5, v51, v5, s[18:19]
	v_cndmask_b32_e64 v4, v50, v4, s[18:19]
	v_cmp_eq_u16_e64 s[38:39], 0, v9
	v_and_b32_e32 v9, 0x10000, v125
	v_add_f64 v[4:5], v[38:39], v[4:5]
	v_cmp_eq_u16_sdwa s[20:21], v124, v8 src0_sel:BYTE_0 src1_sel:DWORD
	v_cmp_ne_u32_e64 s[80:81], 0, v9
	v_and_b32_e32 v9, 0x1000000, v125
	v_cndmask_b32_e64 v5, v39, v5, s[20:21]
	v_cndmask_b32_e64 v4, v38, v4, s[20:21]
	v_cmp_ne_u32_e64 s[82:83], 0, v9
	v_add_f64 v[4:5], v[58:59], v[4:5]
	v_cmp_eq_u16_sdwa s[22:23], v126, v8 src0_sel:BYTE_0 src1_sel:DWORD
	s_or_b64 s[50:51], s[50:51], s[82:83]
	s_or_b64 s[50:51], s[50:51], s[80:81]
	v_cndmask_b32_e64 v5, v59, v5, s[22:23]
	v_cndmask_b32_e64 v4, v58, v4, s[22:23]
	v_add_f64 v[4:5], v[46:47], v[4:5]
	v_cmp_eq_u16_sdwa s[24:25], v41, v8 src0_sel:BYTE_0 src1_sel:DWORD
	s_or_b64 s[50:51], s[50:51], s[78:79]
	s_or_b64 s[50:51], s[50:51], s[76:77]
	v_cndmask_b32_e64 v5, v47, v5, s[24:25]
	v_cndmask_b32_e64 v4, v46, v4, s[24:25]
	v_add_f64 v[4:5], v[66:67], v[4:5]
	s_or_b64 s[46:47], s[50:51], s[46:47]
	v_cndmask_b32_e64 v5, v67, v5, s[26:27]
	v_cndmask_b32_e64 v4, v66, v4, s[26:27]
	s_or_b64 s[46:47], s[46:47], s[74:75]
	v_add_f64 v[4:5], v[54:55], v[4:5]
	v_cmp_eq_u16_sdwa s[28:29], v126, v8 src0_sel:BYTE_3 src1_sel:DWORD
	s_or_b64 s[46:47], s[46:47], s[72:73]
	s_or_b64 s[46:47], s[46:47], s[70:71]
	v_cndmask_b32_e64 v5, v55, v5, s[28:29]
	v_cndmask_b32_e64 v4, v54, v4, s[28:29]
	v_add_f64 v[4:5], v[74:75], v[4:5]
	v_cmp_eq_u16_sdwa s[30:31], v122, v8 src0_sel:BYTE_0 src1_sel:DWORD
	s_or_b64 s[46:47], s[46:47], s[68:69]
	s_or_b64 s[44:45], s[46:47], s[44:45]
	v_cndmask_b32_e64 v5, v75, v5, s[30:31]
	v_cndmask_b32_e64 v4, v74, v4, s[30:31]
	v_add_f64 v[4:5], v[62:63], v[4:5]
	v_cmp_eq_u16_sdwa s[34:35], v125, v8 src0_sel:BYTE_0 src1_sel:DWORD
	;; [unrolled: 6-line block ×3, first 2 shown]
	s_or_b64 s[44:45], s[44:45], s[60:61]
	s_or_b64 s[44:45], s[44:45], s[58:59]
	v_cndmask_b32_e64 v5, v79, v5, s[36:37]
	v_cndmask_b32_e64 v4, v78, v4, s[36:37]
	v_add_f64 v[4:5], v[70:71], v[4:5]
	s_or_b64 s[44:45], s[44:45], vcc
	v_cndmask_b32_e64 v5, v71, v5, s[38:39]
	v_cndmask_b32_e64 v4, v70, v4, s[38:39]
	s_or_b64 s[44:45], s[44:45], s[56:57]
	v_add_f64 v[4:5], v[10:11], v[4:5]
	v_cmp_eq_u16_sdwa s[40:41], v125, v8 src0_sel:BYTE_3 src1_sel:DWORD
	s_or_b64 s[44:45], s[44:45], s[54:55]
	s_or_b64 s[44:45], s[44:45], s[52:53]
	v_cndmask_b32_e64 v5, v11, v5, s[40:41]
	v_cndmask_b32_e64 v4, v10, v4, s[40:41]
	v_and_b32_e32 v12, 0xff, v1
	v_add_f64 v[4:5], v[20:21], v[4:5]
	v_cmp_eq_u16_sdwa s[42:43], v36, v8 src0_sel:BYTE_0 src1_sel:DWORD
	s_or_b64 s[44:45], s[44:45], s[48:49]
	v_mbcnt_hi_u32_b32 v28, -1, v32
	v_cndmask_b32_e64 v9, v21, v5, s[42:43]
	v_cndmask_b32_e64 v8, v20, v4, s[42:43]
	;; [unrolled: 1-line block ×3, first 2 shown]
	v_and_b32_e32 v12, 15, v28
	v_mov_b32_dpp v4, v8 row_shr:1 row_mask:0xf bank_mask:0xf
	v_mov_b32_dpp v5, v9 row_shr:1 row_mask:0xf bank_mask:0xf
	;; [unrolled: 1-line block ×3, first 2 shown]
	v_cmp_ne_u32_e32 vcc, 0, v12
	s_and_saveexec_b64 s[44:45], vcc
; %bb.125:
	v_add_f64 v[4:5], v[8:9], v[4:5]
	v_cmp_eq_u32_e32 vcc, 0, v16
	v_and_or_b32 v16, v13, 1, v16
	s_nop 0
	v_cndmask_b32_e32 v9, v9, v5, vcc
	v_cndmask_b32_e32 v8, v8, v4, vcc
; %bb.126:
	s_or_b64 exec, exec, s[44:45]
	s_nop 0
	v_mov_b32_dpp v4, v8 row_shr:2 row_mask:0xf bank_mask:0xf
	v_mov_b32_dpp v5, v9 row_shr:2 row_mask:0xf bank_mask:0xf
	v_mov_b32_dpp v13, v16 row_shr:2 row_mask:0xf bank_mask:0xf
	v_cmp_lt_u32_e32 vcc, 1, v12
	s_and_saveexec_b64 s[44:45], vcc
; %bb.127:
	v_add_f64 v[4:5], v[8:9], v[4:5]
	v_cmp_eq_u32_e32 vcc, 0, v16
	s_nop 1
	v_cndmask_b32_e32 v8, v8, v4, vcc
	v_or_b32_e32 v4, v13, v16
	v_cndmask_b32_e32 v9, v9, v5, vcc
	v_and_b32_e32 v16, 1, v4
; %bb.128:
	s_or_b64 exec, exec, s[44:45]
	v_mov_b32_dpp v4, v8 row_shr:4 row_mask:0xf bank_mask:0xf
	v_mov_b32_dpp v5, v9 row_shr:4 row_mask:0xf bank_mask:0xf
	v_mov_b32_dpp v13, v16 row_shr:4 row_mask:0xf bank_mask:0xf
	v_cmp_lt_u32_e32 vcc, 3, v12
	s_and_saveexec_b64 s[44:45], vcc
; %bb.129:
	v_add_f64 v[4:5], v[8:9], v[4:5]
	v_cmp_eq_u32_e32 vcc, 0, v16
	s_nop 1
	v_cndmask_b32_e32 v8, v8, v4, vcc
	v_or_b32_e32 v4, v13, v16
	v_cndmask_b32_e32 v9, v9, v5, vcc
	v_and_b32_e32 v16, 1, v4
; %bb.130:
	s_or_b64 exec, exec, s[44:45]
	;; [unrolled: 15-line block ×3, first 2 shown]
	v_and_b32_e32 v13, 16, v28
	v_mov_b32_dpp v4, v8 row_bcast:15 row_mask:0xf bank_mask:0xf
	v_mov_b32_dpp v5, v9 row_bcast:15 row_mask:0xf bank_mask:0xf
	;; [unrolled: 1-line block ×3, first 2 shown]
	v_cmp_ne_u32_e32 vcc, 0, v13
	s_and_saveexec_b64 s[44:45], vcc
; %bb.133:
	v_add_f64 v[4:5], v[8:9], v[4:5]
	v_cmp_eq_u32_e32 vcc, 0, v16
	s_nop 1
	v_cndmask_b32_e32 v8, v8, v4, vcc
	v_or_b32_e32 v4, v12, v16
	v_cndmask_b32_e32 v9, v9, v5, vcc
	v_and_b32_e32 v16, 1, v4
; %bb.134:
	s_or_b64 exec, exec, s[44:45]
	v_mov_b32_dpp v4, v8 row_bcast:31 row_mask:0xf bank_mask:0xf
	v_mov_b32_dpp v5, v9 row_bcast:31 row_mask:0xf bank_mask:0xf
	;; [unrolled: 1-line block ×3, first 2 shown]
	v_cmp_lt_u32_e32 vcc, 31, v28
	v_mov_b32_e32 v12, v16
	s_and_saveexec_b64 s[44:45], vcc
; %bb.135:
	v_add_f64 v[4:5], v[8:9], v[4:5]
	v_cmp_eq_u32_e32 vcc, 0, v16
	s_nop 1
	v_cndmask_b32_e32 v8, v8, v4, vcc
	v_or_b32_e32 v4, v13, v16
	v_cndmask_b32_e32 v9, v9, v5, vcc
	v_and_b32_e32 v12, 1, v4
	v_and_b32_e32 v16, 1, v4
; %bb.136:
	s_or_b64 exec, exec, s[44:45]
	v_or_b32_e32 v4, 63, v0
	v_lshrrev_b32_e32 v17, 6, v0
	v_cmp_eq_u32_e32 vcc, v4, v0
	s_and_saveexec_b64 s[44:45], vcc
	s_cbranch_execz .LBB1087_138
; %bb.137:
	v_lshlrev_b32_e32 v4, 4, v17
	ds_write_b64 v4, v[8:9]
	ds_write_b8 v4, v12 offset:8
.LBB1087_138:
	s_or_b64 exec, exec, s[44:45]
	v_cmp_gt_u32_e32 vcc, 4, v0
	s_waitcnt lgkmcnt(0)
	s_barrier
	s_and_saveexec_b64 s[46:47], vcc
	s_cbranch_execz .LBB1087_144
; %bb.139:
	v_lshlrev_b32_e32 v24, 4, v0
	ds_read_b64 v[4:5], v24
	ds_read_b32 v25, v24 offset:8
	v_and_b32_e32 v29, 3, v28
	v_cmp_ne_u32_e32 vcc, 0, v29
	s_waitcnt lgkmcnt(1)
	v_mov_b32_dpp v12, v4 row_shr:1 row_mask:0xf bank_mask:0xf
	v_mov_b32_dpp v13, v5 row_shr:1 row_mask:0xf bank_mask:0xf
	s_waitcnt lgkmcnt(0)
	v_mov_b32_dpp v48, v25 row_shr:1 row_mask:0xf bank_mask:0xf
	v_mov_b32_e32 v45, v25
	v_mov_b32_e32 v44, v25
	s_and_saveexec_b64 s[44:45], vcc
; %bb.140:
	v_mov_b32_e32 v44, 0
	v_add_f64 v[12:13], v[4:5], v[12:13]
	v_cmp_eq_u16_sdwa vcc, v25, v44 src0_sel:BYTE_0 src1_sel:DWORD
	s_movk_i32 s3, 0xff00
	s_nop 0
	v_cndmask_b32_e32 v4, v4, v12, vcc
	v_or_b32_e32 v12, v48, v25
	v_and_b32_e32 v44, 1, v12
	v_cndmask_b32_e32 v5, v5, v13, vcc
	v_and_b32_e32 v45, 1, v12
	v_and_or_b32 v25, v25, s3, v44
; %bb.141:
	s_or_b64 exec, exec, s[44:45]
	v_mov_b32_dpp v12, v4 row_shr:2 row_mask:0xf bank_mask:0xf
	v_mov_b32_dpp v13, v5 row_shr:2 row_mask:0xf bank_mask:0xf
	;; [unrolled: 1-line block ×3, first 2 shown]
	v_cmp_lt_u32_e32 vcc, 1, v29
	s_and_saveexec_b64 s[48:49], vcc
; %bb.142:
	v_mov_b32_e32 v29, 0
	v_add_f64 v[12:13], v[4:5], v[12:13]
	v_cmp_eq_u16_sdwa vcc, v44, v29 src0_sel:BYTE_0 src1_sel:DWORD
	s_nop 1
	v_cndmask_b32_e32 v4, v4, v12, vcc
	v_and_b32_e32 v12, 1, v44
	v_cndmask_b32_e32 v5, v5, v13, vcc
	v_cmp_eq_u32_e32 vcc, 1, v12
	v_and_b32_e32 v12, 1, v25
	v_cmp_eq_u32_e64 s[44:45], 1, v12
	s_or_b64 s[44:45], vcc, s[44:45]
	s_nop 0
	v_cndmask_b32_e64 v45, 0, 1, s[44:45]
; %bb.143:
	s_or_b64 exec, exec, s[48:49]
	ds_write_b64 v24, v[4:5]
	ds_write_b8 v24, v45 offset:8
.LBB1087_144:
	s_or_b64 exec, exec, s[46:47]
	v_cmp_gt_u32_e32 vcc, 64, v0
	v_cmp_lt_u32_e64 s[44:45], 63, v0
	v_mov_b32_e32 v44, 0
	v_mov_b64_e32 v[4:5], 0
	s_waitcnt lgkmcnt(0)
	s_barrier
	s_and_saveexec_b64 s[46:47], s[44:45]
	s_cbranch_execz .LBB1087_146
; %bb.145:
	v_lshl_add_u32 v12, v17, 4, -16
	ds_read_b64 v[4:5], v12
	ds_read_u8 v44, v12 offset:8
	v_and_b32_e32 v17, 1, v16
	v_cmp_eq_u32_e64 s[44:45], 0, v16
	s_waitcnt lgkmcnt(1)
	v_add_f64 v[12:13], v[8:9], v[4:5]
	v_cndmask_b32_e64 v9, v9, v13, s[44:45]
	v_cndmask_b32_e64 v8, v8, v12, s[44:45]
	v_cmp_eq_u32_e64 s[44:45], 1, v17
	s_waitcnt lgkmcnt(0)
	s_nop 0
	v_cndmask_b32_e64 v16, v44, 1, s[44:45]
.LBB1087_146:
	s_or_b64 exec, exec, s[46:47]
	v_add_u32_e32 v12, -1, v28
	v_and_b32_e32 v13, 64, v28
	v_cmp_lt_i32_e64 s[44:45], v12, v13
	s_nop 1
	v_cndmask_b32_e64 v12, v12, v28, s[44:45]
	v_lshlrev_b32_e32 v12, 2, v12
	ds_bpermute_b32 v45, v12, v8
	ds_bpermute_b32 v48, v12, v9
	;; [unrolled: 1-line block ×3, first 2 shown]
	v_cmp_eq_u32_e64 s[44:45], 0, v28
	s_and_saveexec_b64 s[48:49], vcc
	s_cbranch_execz .LBB1087_189
; %bb.147:
	v_mov_b32_e32 v13, 0
	ds_read2_b64 v[80:83], v13 offset0:6 offset1:7
	s_and_saveexec_b64 s[46:47], s[44:45]
	s_cbranch_execz .LBB1087_149
; %bb.148:
	s_add_i32 s50, s2, 64
	s_mov_b32 s51, 0
	s_lshl_b64 s[52:53], s[50:51], 4
	s_add_u32 s52, s84, s52
	s_addc_u32 s53, s85, s53
	v_mov_b32_e32 v8, s50
	v_mov_b32_e32 v9, 1
	s_waitcnt lgkmcnt(0)
	global_store_dword v13, v80, s[52:53] sc1
	global_store_dword v13, v81, s[52:53] offset:4 sc1
	global_store_dword v13, v82, s[52:53] offset:8 sc1
	;; [unrolled: 1-line block ×3, first 2 shown]
	s_waitcnt vmcnt(0)
	global_store_byte v8, v9, s[88:89] sc1
.LBB1087_149:
	s_or_b64 exec, exec, s[46:47]
	v_xad_u32 v8, v28, -1, s2
	v_add_u32_e32 v12, 64, v8
	global_load_ubyte v52, v12, s[88:89] sc1
	s_waitcnt vmcnt(0)
	v_cmp_eq_u16_e32 vcc, 0, v52
	s_and_saveexec_b64 s[46:47], vcc
	s_cbranch_execz .LBB1087_153
; %bb.150:
	v_lshl_add_u64 v[16:17], s[88:89], 0, v[12:13]
	s_mov_b64 s[50:51], 0
.LBB1087_151:                           ; =>This Inner Loop Header: Depth=1
	global_load_ubyte v52, v[16:17], off sc1
	s_waitcnt vmcnt(0)
	v_cmp_ne_u16_e32 vcc, 0, v52
	s_or_b64 s[50:51], vcc, s[50:51]
	s_andn2_b64 exec, exec, s[50:51]
	s_cbranch_execnz .LBB1087_151
; %bb.152:
	s_or_b64 exec, exec, s[50:51]
.LBB1087_153:
	s_or_b64 exec, exec, s[46:47]
	v_mov_b32_e32 v9, s87
	v_mov_b32_e32 v16, s85
	v_cmp_eq_u16_e32 vcc, 1, v52
	s_waitcnt vmcnt(0) lgkmcnt(0)
	s_nop 0
	v_cndmask_b32_e32 v17, v9, v16, vcc
	v_mov_b32_e32 v9, s86
	v_mov_b32_e32 v16, s84
	v_cndmask_b32_e32 v16, v9, v16, vcc
	v_lshl_add_u64 v[12:13], v[12:13], 4, v[16:17]
	global_load_dword v24, v[12:13], off sc1
	global_load_dword v25, v[12:13], off offset:4 sc1
	global_load_dword v29, v[12:13], off offset:8 sc1
	;; [unrolled: 1-line block ×3, first 2 shown]
	v_cmp_eq_u16_e32 vcc, 2, v52
	v_lshlrev_b64 v[12:13], v28, -1
	v_and_b32_e32 v53, 63, v28
	s_waitcnt vmcnt(0)
	v_and_b32_e32 v9, vcc_hi, v13
	v_and_b32_e32 v60, vcc_lo, v12
	v_cmp_ne_u32_e32 vcc, 63, v53
	v_or_b32_e32 v9, 0x80000000, v9
	v_ffbl_b32_e32 v9, v9
	v_addc_co_u32_e32 v16, vcc, 0, v28, vcc
	v_lshlrev_b32_e32 v56, 2, v16
	v_add_u32_e32 v9, 32, v9
	v_ffbl_b32_e32 v60, v60
	v_min_u32_e32 v9, v60, v9
	v_cmp_lt_u32_e32 vcc, v53, v9
	ds_bpermute_b32 v16, v56, v24
	ds_bpermute_b32 v17, v56, v25
	v_and_b32_e32 v73, 0xff, v29
	ds_bpermute_b32 v57, v56, v73
	s_and_saveexec_b64 s[46:47], vcc
	s_cbranch_execz .LBB1087_155
; %bb.154:
	v_mov_b32_e32 v60, 0
	s_waitcnt lgkmcnt(1)
	v_add_f64 v[16:17], v[24:25], v[16:17]
	v_cmp_eq_u16_sdwa vcc, v29, v60 src0_sel:BYTE_0 src1_sel:DWORD
	s_nop 1
	v_cndmask_b32_e32 v24, v24, v16, vcc
	s_waitcnt lgkmcnt(0)
	v_or_b32_e32 v16, v57, v29
	v_cndmask_b32_e32 v25, v25, v17, vcc
	v_and_b32_e32 v29, 1, v16
	v_and_b32_e32 v73, 1, v16
.LBB1087_155:
	s_or_b64 exec, exec, s[46:47]
	v_cmp_gt_u32_e32 vcc, 62, v53
	v_add_u32_e32 v60, 2, v53
	s_waitcnt lgkmcnt(2)
	v_cndmask_b32_e64 v16, 0, 1, vcc
	v_lshlrev_b32_e32 v16, 1, v16
	s_waitcnt lgkmcnt(0)
	v_add_lshl_u32 v57, v16, v28, 2
	ds_bpermute_b32 v16, v57, v24
	ds_bpermute_b32 v17, v57, v25
	ds_bpermute_b32 v61, v57, v73
	v_cmp_le_u32_e32 vcc, v60, v9
	s_and_saveexec_b64 s[50:51], vcc
	s_cbranch_execz .LBB1087_157
; %bb.156:
	v_mov_b32_e32 v64, 0
	s_waitcnt lgkmcnt(1)
	v_add_f64 v[16:17], v[24:25], v[16:17]
	v_cmp_eq_u16_sdwa vcc, v29, v64 src0_sel:BYTE_0 src1_sel:DWORD
	s_nop 1
	v_cndmask_b32_e32 v24, v24, v16, vcc
	v_and_b32_e32 v16, 1, v29
	v_cndmask_b32_e32 v25, v25, v17, vcc
	v_cmp_eq_u32_e32 vcc, 1, v16
	s_waitcnt lgkmcnt(0)
	v_and_b32_e32 v16, 1, v61
	v_cmp_eq_u32_e64 s[46:47], 1, v16
	s_or_b64 s[46:47], vcc, s[46:47]
	s_nop 0
	v_cndmask_b32_e64 v29, 0, 1, s[46:47]
	v_cndmask_b32_e64 v73, 0, 1, s[46:47]
.LBB1087_157:
	s_or_b64 exec, exec, s[50:51]
	v_cmp_gt_u32_e32 vcc, 60, v53
	v_add_u32_e32 v64, 4, v53
	s_waitcnt lgkmcnt(2)
	v_cndmask_b32_e64 v16, 0, 1, vcc
	v_lshlrev_b32_e32 v16, 2, v16
	s_waitcnt lgkmcnt(0)
	v_add_lshl_u32 v61, v16, v28, 2
	ds_bpermute_b32 v16, v61, v24
	ds_bpermute_b32 v17, v61, v25
	ds_bpermute_b32 v65, v61, v73
	v_cmp_le_u32_e32 vcc, v64, v9
	s_and_saveexec_b64 s[50:51], vcc
	s_cbranch_execz .LBB1087_159
; %bb.158:
	v_mov_b32_e32 v68, 0
	s_waitcnt lgkmcnt(1)
	v_add_f64 v[16:17], v[24:25], v[16:17]
	v_cmp_eq_u16_sdwa vcc, v29, v68 src0_sel:BYTE_0 src1_sel:DWORD
	s_nop 1
	v_cndmask_b32_e32 v24, v24, v16, vcc
	v_and_b32_e32 v16, 1, v29
	v_cndmask_b32_e32 v25, v25, v17, vcc
	v_cmp_eq_u32_e32 vcc, 1, v16
	s_waitcnt lgkmcnt(0)
	v_and_b32_e32 v16, 1, v65
	v_cmp_eq_u32_e64 s[46:47], 1, v16
	s_or_b64 s[46:47], vcc, s[46:47]
	s_nop 0
	v_cndmask_b32_e64 v29, 0, 1, s[46:47]
	v_cndmask_b32_e64 v73, 0, 1, s[46:47]
.LBB1087_159:
	;; [unrolled: 32-line block ×4, first 2 shown]
	s_or_b64 exec, exec, s[50:51]
	v_cmp_gt_u32_e32 vcc, 32, v53
	v_add_u32_e32 v77, 32, v53
	s_waitcnt lgkmcnt(2)
	v_cndmask_b32_e64 v16, 0, 1, vcc
	v_lshlrev_b32_e32 v16, 5, v16
	s_waitcnt lgkmcnt(0)
	v_add_lshl_u32 v76, v16, v28, 2
	ds_bpermute_b32 v16, v76, v24
	ds_bpermute_b32 v17, v76, v25
	;; [unrolled: 1-line block ×3, first 2 shown]
	v_cmp_le_u32_e32 vcc, v77, v9
	s_and_saveexec_b64 s[50:51], vcc
	s_cbranch_execz .LBB1087_165
; %bb.164:
	v_mov_b32_e32 v9, 0
	s_waitcnt lgkmcnt(1)
	v_add_f64 v[16:17], v[24:25], v[16:17]
	v_cmp_eq_u16_sdwa vcc, v29, v9 src0_sel:BYTE_0 src1_sel:DWORD
	v_and_b32_e32 v9, 1, v29
	s_nop 0
	v_cndmask_b32_e32 v25, v25, v17, vcc
	v_cndmask_b32_e32 v24, v24, v16, vcc
	v_cmp_eq_u32_e32 vcc, 1, v9
	s_waitcnt lgkmcnt(0)
	v_and_b32_e32 v9, 1, v28
	v_cmp_eq_u32_e64 s[46:47], 1, v9
	s_or_b64 s[46:47], vcc, s[46:47]
	s_nop 0
	v_cndmask_b32_e64 v29, 0, 1, s[46:47]
.LBB1087_165:
	s_or_b64 exec, exec, s[50:51]
	v_mov_b32_e32 v9, 0
	v_mov_b32_e32 v83, 2
	s_branch .LBB1087_167
.LBB1087_166:                           ;   in Loop: Header=BB1087_167 Depth=1
	s_or_b64 exec, exec, s[52:53]
	v_add_f64 v[24:25], v[16:17], v[24:25]
	v_cmp_eq_u16_sdwa vcc, v73, v9 src0_sel:BYTE_0 src1_sel:DWORD
	s_waitcnt lgkmcnt(2)
	v_and_b32_e32 v28, 1, v73
	v_subrev_u32_e32 v8, 64, v8
	v_cndmask_b32_e32 v25, v17, v25, vcc
	v_cndmask_b32_e32 v24, v16, v24, vcc
	v_cmp_eq_u32_e32 vcc, 1, v28
	s_or_b64 s[46:47], vcc, s[50:51]
	s_waitcnt lgkmcnt(1)
	v_cndmask_b32_e64 v29, 0, 1, s[46:47]
.LBB1087_167:                           ; =>This Loop Header: Depth=1
                                        ;     Child Loop BB1087_170 Depth 2
	v_cmp_ne_u16_sdwa s[46:47], v52, v83 src0_sel:BYTE_0 src1_sel:DWORD
	v_mov_b32_e32 v73, v29
	s_waitcnt lgkmcnt(2)
	v_cndmask_b32_e64 v16, 0, 1, s[46:47]
	;;#ASMSTART
	;;#ASMEND
	s_nop 0
	v_cmp_ne_u32_e32 vcc, 0, v16
	s_cmp_lg_u64 vcc, exec
	s_waitcnt lgkmcnt(1)
	v_mov_b64_e32 v[16:17], v[24:25]
	s_cbranch_scc1 .LBB1087_184
; %bb.168:                              ;   in Loop: Header=BB1087_167 Depth=1
	global_load_ubyte v52, v8, s[88:89] sc1
	s_waitcnt vmcnt(0)
	v_cmp_eq_u16_e32 vcc, 0, v52
	s_and_saveexec_b64 s[46:47], vcc
	s_cbranch_execz .LBB1087_172
; %bb.169:                              ;   in Loop: Header=BB1087_167 Depth=1
	v_lshl_add_u64 v[24:25], s[88:89], 0, v[8:9]
	s_mov_b64 s[50:51], 0
.LBB1087_170:                           ;   Parent Loop BB1087_167 Depth=1
                                        ; =>  This Inner Loop Header: Depth=2
	global_load_ubyte v52, v[24:25], off sc1
	s_waitcnt vmcnt(0)
	v_cmp_ne_u16_e32 vcc, 0, v52
	s_or_b64 s[50:51], vcc, s[50:51]
	s_andn2_b64 exec, exec, s[50:51]
	s_cbranch_execnz .LBB1087_170
; %bb.171:                              ;   in Loop: Header=BB1087_167 Depth=1
	s_or_b64 exec, exec, s[50:51]
.LBB1087_172:                           ;   in Loop: Header=BB1087_167 Depth=1
	s_or_b64 exec, exec, s[46:47]
	v_mov_b32_e32 v24, s87
	v_mov_b32_e32 v25, s85
	v_cmp_eq_u16_e32 vcc, 1, v52
	s_waitcnt lgkmcnt(0)
	v_mov_b32_e32 v28, s84
	s_waitcnt vmcnt(0)
	v_cndmask_b32_e32 v25, v24, v25, vcc
	v_mov_b32_e32 v24, s86
	v_cndmask_b32_e32 v24, v24, v28, vcc
	v_lshl_add_u64 v[28:29], v[8:9], 4, v[24:25]
	global_load_dword v24, v[28:29], off sc1
	global_load_dword v25, v[28:29], off offset:4 sc1
	global_load_dword v84, v[28:29], off offset:8 sc1
	s_nop 0
	global_load_dword v28, v[28:29], off offset:12 sc1
	v_cmp_eq_u16_e32 vcc, 2, v52
	s_waitcnt vmcnt(2)
	ds_bpermute_b32 v29, v56, v25
	s_waitcnt vmcnt(0)
	v_and_b32_e32 v28, vcc_hi, v13
	v_or_b32_e32 v28, 0x80000000, v28
	v_and_b32_e32 v86, 0xff, v84
	v_ffbl_b32_e32 v88, v28
	ds_bpermute_b32 v28, v56, v24
	ds_bpermute_b32 v87, v56, v86
	v_and_b32_e32 v85, vcc_lo, v12
	v_add_u32_e32 v88, 32, v88
	v_ffbl_b32_e32 v85, v85
	v_min_u32_e32 v85, v85, v88
	v_cmp_lt_u32_e32 vcc, v53, v85
	s_and_saveexec_b64 s[46:47], vcc
	s_cbranch_execz .LBB1087_174
; %bb.173:                              ;   in Loop: Header=BB1087_167 Depth=1
	s_waitcnt lgkmcnt(1)
	v_add_f64 v[28:29], v[24:25], v[28:29]
	v_cmp_eq_u16_sdwa vcc, v84, v9 src0_sel:BYTE_0 src1_sel:DWORD
	s_nop 1
	v_cndmask_b32_e32 v24, v24, v28, vcc
	s_waitcnt lgkmcnt(0)
	v_or_b32_e32 v28, v87, v84
	v_cndmask_b32_e32 v25, v25, v29, vcc
	v_and_b32_e32 v84, 1, v28
	v_and_b32_e32 v86, 1, v28
.LBB1087_174:                           ;   in Loop: Header=BB1087_167 Depth=1
	s_or_b64 exec, exec, s[46:47]
	s_waitcnt lgkmcnt(1)
	ds_bpermute_b32 v28, v57, v24
	ds_bpermute_b32 v29, v57, v25
	s_waitcnt lgkmcnt(2)
	ds_bpermute_b32 v87, v57, v86
	v_and_b32_e32 v88, 1, v84
	v_cmp_le_u32_e32 vcc, v60, v85
	v_cmp_eq_u32_e64 s[50:51], 1, v88
	s_and_saveexec_b64 s[46:47], vcc
	s_cbranch_execz .LBB1087_176
; %bb.175:                              ;   in Loop: Header=BB1087_167 Depth=1
	s_waitcnt lgkmcnt(1)
	v_add_f64 v[28:29], v[24:25], v[28:29]
	v_cmp_eq_u16_sdwa vcc, v84, v9 src0_sel:BYTE_0 src1_sel:DWORD
	s_nop 1
	v_cndmask_b32_e32 v24, v24, v28, vcc
	s_waitcnt lgkmcnt(0)
	v_and_b32_e32 v28, 1, v87
	v_cndmask_b32_e32 v25, v25, v29, vcc
	v_cmp_eq_u32_e32 vcc, 1, v28
	s_or_b64 s[52:53], s[50:51], vcc
	v_cndmask_b32_e64 v84, 0, 1, s[52:53]
	v_cndmask_b32_e64 v86, 0, 1, s[52:53]
	s_andn2_b64 s[50:51], s[50:51], exec
	s_and_b64 s[52:53], s[52:53], exec
	s_or_b64 s[50:51], s[50:51], s[52:53]
.LBB1087_176:                           ;   in Loop: Header=BB1087_167 Depth=1
	s_or_b64 exec, exec, s[46:47]
	s_waitcnt lgkmcnt(2)
	ds_bpermute_b32 v28, v61, v24
	s_waitcnt lgkmcnt(2)
	ds_bpermute_b32 v29, v61, v25
	s_waitcnt lgkmcnt(2)
	ds_bpermute_b32 v87, v61, v86
	v_cmp_le_u32_e32 vcc, v64, v85
	s_and_saveexec_b64 s[52:53], vcc
	s_cbranch_execz .LBB1087_178
; %bb.177:                              ;   in Loop: Header=BB1087_167 Depth=1
	s_waitcnt lgkmcnt(1)
	v_add_f64 v[28:29], v[24:25], v[28:29]
	v_cmp_eq_u16_sdwa vcc, v84, v9 src0_sel:BYTE_0 src1_sel:DWORD
	s_andn2_b64 s[50:51], s[50:51], exec
	s_nop 0
	v_cndmask_b32_e32 v24, v24, v28, vcc
	v_and_b32_e32 v28, 1, v84
	v_cndmask_b32_e32 v25, v25, v29, vcc
	v_cmp_eq_u32_e32 vcc, 1, v28
	s_waitcnt lgkmcnt(0)
	v_and_b32_e32 v28, 1, v87
	v_cmp_eq_u32_e64 s[46:47], 1, v28
	s_or_b64 s[46:47], vcc, s[46:47]
	s_nop 0
	v_cndmask_b32_e64 v84, 0, 1, s[46:47]
	v_cndmask_b32_e64 v86, 0, 1, s[46:47]
	s_and_b64 s[46:47], s[46:47], exec
	s_or_b64 s[50:51], s[50:51], s[46:47]
.LBB1087_178:                           ;   in Loop: Header=BB1087_167 Depth=1
	s_or_b64 exec, exec, s[52:53]
	s_waitcnt lgkmcnt(2)
	ds_bpermute_b32 v28, v65, v24
	s_waitcnt lgkmcnt(2)
	ds_bpermute_b32 v29, v65, v25
	s_waitcnt lgkmcnt(2)
	ds_bpermute_b32 v87, v65, v86
	v_cmp_le_u32_e32 vcc, v68, v85
	s_and_saveexec_b64 s[52:53], vcc
	s_cbranch_execz .LBB1087_180
; %bb.179:                              ;   in Loop: Header=BB1087_167 Depth=1
	s_waitcnt lgkmcnt(1)
	v_add_f64 v[28:29], v[24:25], v[28:29]
	v_cmp_eq_u16_sdwa vcc, v84, v9 src0_sel:BYTE_0 src1_sel:DWORD
	s_andn2_b64 s[50:51], s[50:51], exec
	s_nop 0
	v_cndmask_b32_e32 v24, v24, v28, vcc
	v_and_b32_e32 v28, 1, v84
	v_cndmask_b32_e32 v25, v25, v29, vcc
	v_cmp_eq_u32_e32 vcc, 1, v28
	s_waitcnt lgkmcnt(0)
	v_and_b32_e32 v28, 1, v87
	v_cmp_eq_u32_e64 s[46:47], 1, v28
	s_or_b64 s[46:47], vcc, s[46:47]
	s_nop 0
	v_cndmask_b32_e64 v84, 0, 1, s[46:47]
	v_cndmask_b32_e64 v86, 0, 1, s[46:47]
	s_and_b64 s[46:47], s[46:47], exec
	s_or_b64 s[50:51], s[50:51], s[46:47]
.LBB1087_180:                           ;   in Loop: Header=BB1087_167 Depth=1
	;; [unrolled: 30-line block ×3, first 2 shown]
	s_or_b64 exec, exec, s[52:53]
	s_waitcnt lgkmcnt(2)
	ds_bpermute_b32 v28, v76, v24
	s_waitcnt lgkmcnt(2)
	ds_bpermute_b32 v29, v76, v25
	ds_bpermute_b32 v86, v76, v86
	v_cmp_le_u32_e32 vcc, v77, v85
	s_and_saveexec_b64 s[52:53], vcc
	s_cbranch_execz .LBB1087_166
; %bb.183:                              ;   in Loop: Header=BB1087_167 Depth=1
	s_waitcnt lgkmcnt(1)
	v_add_f64 v[28:29], v[24:25], v[28:29]
	v_cmp_eq_u16_sdwa vcc, v84, v9 src0_sel:BYTE_0 src1_sel:DWORD
	s_andn2_b64 s[50:51], s[50:51], exec
	s_nop 0
	v_cndmask_b32_e32 v24, v24, v28, vcc
	v_and_b32_e32 v28, 1, v84
	v_cndmask_b32_e32 v25, v25, v29, vcc
	v_cmp_eq_u32_e32 vcc, 1, v28
	s_waitcnt lgkmcnt(0)
	v_and_b32_e32 v28, 1, v86
	v_cmp_eq_u32_e64 s[46:47], 1, v28
	s_or_b64 s[46:47], vcc, s[46:47]
	s_and_b64 s[46:47], s[46:47], exec
	s_or_b64 s[50:51], s[50:51], s[46:47]
	s_branch .LBB1087_166
.LBB1087_184:                           ;   in Loop: Header=BB1087_167 Depth=1
                                        ; implicit-def: $vgpr29
                                        ; implicit-def: $vgpr24_vgpr25
                                        ; implicit-def: $vgpr52
	s_cbranch_execz .LBB1087_167
; %bb.185:
	s_and_saveexec_b64 s[46:47], s[44:45]
	s_cbranch_execz .LBB1087_187
; %bb.186:
	s_mov_b32 s3, 0
	s_add_i32 s2, s2, 64
	v_mov_b32_e32 v12, 0
	s_lshl_b64 s[50:51], s[2:3], 4
	v_add_f64 v[8:9], v[80:81], v[16:17]
	v_cmp_eq_u32_sdwa vcc, v82, v12 src0_sel:BYTE_0 src1_sel:DWORD
	v_and_b32_e32 v13, 1, v82
	s_add_u32 s50, s86, s50
	v_cndmask_b32_e32 v9, v81, v9, vcc
	v_cndmask_b32_e32 v8, v80, v8, vcc
	v_and_b32_e32 v24, 1, v73
	v_cmp_eq_u32_e32 vcc, 1, v13
	s_addc_u32 s51, s87, s51
	s_nop 0
	v_cndmask_b32_e64 v13, v24, 1, vcc
	global_store_dword v12, v8, s[50:51] sc1
	global_store_dword v12, v9, s[50:51] offset:4 sc1
	global_store_dword v12, v13, s[50:51] offset:8 sc1
	;; [unrolled: 1-line block ×3, first 2 shown]
	v_mov_b32_e32 v8, s2
	v_mov_b32_e32 v9, 2
	s_waitcnt vmcnt(0) lgkmcnt(0)
	global_store_byte v8, v9, s[88:89] sc1
.LBB1087_187:
	s_or_b64 exec, exec, s[46:47]
	v_cmp_eq_u32_e32 vcc, 0, v0
	s_and_b64 exec, exec, vcc
	s_cbranch_execz .LBB1087_189
; %bb.188:
	v_mov_b32_e32 v8, 0
	ds_write_b64 v8, v[16:17] offset:48
	ds_write_b8 v8, v73 offset:56
.LBB1087_189:
	s_or_b64 exec, exec, s[48:49]
	s_waitcnt lgkmcnt(0)
	v_cndmask_b32_e64 v12, v49, v44, s[44:45]
	v_mov_b32_e32 v13, 0
	s_barrier
	ds_read_b64 v[8:9], v13 offset:48
	v_and_b32_e32 v16, 1, v1
	v_and_b32_e32 v12, 1, v12
	v_cndmask_b32_e64 v5, v48, v5, s[44:45]
	v_cndmask_b32_e64 v4, v45, v4, s[44:45]
	v_cmp_eq_u32_e32 vcc, 1, v16
	v_cmp_eq_u32_e64 s[2:3], 1, v12
	s_or_b64 s[2:3], vcc, s[2:3]
	v_add_f64 v[4:5], v[2:3], v[4:5]
	v_cmp_eq_u16_sdwa vcc, v1, v13 src0_sel:BYTE_0 src1_sel:DWORD
	v_cndmask_b32_e64 v12, 0, 1, s[2:3]
	s_nop 0
	v_cndmask_b32_e32 v4, v2, v4, vcc
	v_cndmask_b32_e32 v5, v3, v5, vcc
	v_cmp_eq_u32_e32 vcc, 0, v0
	s_nop 1
	v_cndmask_b32_e32 v12, v12, v1, vcc
	v_cndmask_b32_e32 v5, v5, v3, vcc
	v_cndmask_b32_e32 v4, v4, v2, vcc
	s_waitcnt lgkmcnt(0)
	v_add_f64 v[8:9], v[4:5], v[8:9]
	v_cmp_eq_u16_sdwa vcc, v12, v13 src0_sel:BYTE_0 src1_sel:DWORD
	s_nop 1
	v_cndmask_b32_e32 v115, v5, v9, vcc
	v_cndmask_b32_e32 v114, v4, v8, vcc
	v_add_f64 v[4:5], v[18:19], v[114:115]
	v_cndmask_b32_e64 v45, v19, v5, s[66:67]
	v_cndmask_b32_e64 v44, v18, v4, s[66:67]
	v_add_f64 v[4:5], v[6:7], v[44:45]
	v_cndmask_b32_e64 v81, v7, v5, s[4:5]
	v_cndmask_b32_e64 v80, v6, v4, s[4:5]
	;; [unrolled: 3-line block ×20, first 2 shown]
	s_branch .LBB1087_220
.LBB1087_190:
                                        ; implicit-def: $vgpr112_vgpr113_vgpr114_vgpr115
                                        ; implicit-def: $vgpr120_vgpr121
                                        ; implicit-def: $vgpr118_vgpr119
                                        ; implicit-def: $vgpr76_vgpr77
                                        ; implicit-def: $vgpr72_vgpr73
                                        ; implicit-def: $vgpr68_vgpr69
                                        ; implicit-def: $vgpr64_vgpr65
                                        ; implicit-def: $vgpr60_vgpr61
                                        ; implicit-def: $vgpr56_vgpr57
                                        ; implicit-def: $vgpr52_vgpr53
                                        ; implicit-def: $vgpr48_vgpr49
                                        ; implicit-def: $vgpr44_vgpr45
                                        ; implicit-def: $vgpr108_vgpr109_vgpr110_vgpr111
                                        ; implicit-def: $vgpr104_vgpr105_vgpr106_vgpr107
                                        ; implicit-def: $vgpr100_vgpr101_vgpr102_vgpr103
                                        ; implicit-def: $vgpr96_vgpr97_vgpr98_vgpr99
                                        ; implicit-def: $vgpr92_vgpr93_vgpr94_vgpr95
                                        ; implicit-def: $vgpr88_vgpr89_vgpr90_vgpr91
                                        ; implicit-def: $vgpr84_vgpr85_vgpr86_vgpr87
                                        ; implicit-def: $vgpr80_vgpr81_vgpr82_vgpr83
                                        ; implicit-def: $vgpr114_vgpr115_vgpr116_vgpr117
	s_cbranch_execz .LBB1087_220
; %bb.191:
	v_readlane_b32 s4, v133, 0
	v_readlane_b32 s6, v133, 2
	;; [unrolled: 1-line block ×3, first 2 shown]
	s_cmp_lg_u64 s[96:97], 0
	v_readlane_b32 s5, v133, 1
	s_mov_b64 s[2:3], s[6:7]
	s_cselect_b32 s5, s3, 0
	s_cselect_b32 s4, s2, 0
	s_cmp_lg_u64 s[4:5], 0
	v_readlane_b32 s8, v133, 4
	v_readlane_b32 s9, v133, 5
	s_cselect_b64 s[6:7], -1, 0
	v_cmp_eq_u32_e32 vcc, 0, v0
	v_cmp_ne_u32_e64 s[2:3], 0, v0
	s_and_b64 s[8:9], vcc, s[6:7]
	v_readlane_b32 s10, v133, 6
	v_readlane_b32 s11, v133, 7
	s_and_saveexec_b64 s[6:7], s[8:9]
	s_cbranch_execz .LBB1087_193
; %bb.192:
	v_mov_b32_e32 v8, 0
	global_load_dwordx2 v[4:5], v8, s[4:5]
	global_load_ubyte v9, v8, s[4:5] offset:8
	v_cmp_eq_u16_sdwa s[4:5], v1, v8 src0_sel:BYTE_0 src1_sel:DWORD
	s_waitcnt vmcnt(1)
	v_add_f64 v[4:5], v[2:3], v[4:5]
	s_waitcnt vmcnt(0)
	v_or_b32_e32 v9, v1, v9
	v_cndmask_b32_e64 v3, v3, v5, s[4:5]
	v_cndmask_b32_e64 v2, v2, v4, s[4:5]
	v_and_b32_e32 v1, 1, v9
.LBB1087_193:
	s_or_b64 exec, exec, s[6:7]
	v_mov_b32_e32 v9, 0
	v_add_f64 v[4:5], v[18:19], v[2:3]
	v_cmp_eq_u16_sdwa s[4:5], v128, v9 src0_sel:BYTE_0 src1_sel:DWORD
	s_movk_i32 s40, 0xff
	v_cmp_eq_u16_sdwa s[6:7], v132, v9 src0_sel:BYTE_0 src1_sel:DWORD
	v_cndmask_b32_e64 v45, v19, v5, s[4:5]
	v_cndmask_b32_e64 v44, v18, v4, s[4:5]
	v_add_f64 v[4:5], v[6:7], v[44:45]
	v_cndmask_b32_e64 v81, v7, v5, s[6:7]
	v_cndmask_b32_e64 v80, v6, v4, s[6:7]
	v_and_b32_sdwa v12, v128, s40 dst_sel:DWORD dst_unused:UNUSED_PAD src0_sel:WORD_1 src1_sel:DWORD
	v_add_f64 v[4:5], v[26:27], v[80:81]
	v_cmp_eq_u16_e64 s[8:9], 0, v12
	v_cmp_eq_u16_sdwa s[10:11], v128, v9 src0_sel:BYTE_3 src1_sel:DWORD
	v_cmp_eq_u16_sdwa s[12:13], v123, v9 src0_sel:BYTE_0 src1_sel:DWORD
	v_cndmask_b32_e64 v49, v27, v5, s[8:9]
	v_cndmask_b32_e64 v48, v26, v4, s[8:9]
	v_add_f64 v[4:5], v[14:15], v[48:49]
	v_cndmask_b32_e64 v85, v15, v5, s[10:11]
	v_cndmask_b32_e64 v84, v14, v4, s[10:11]
	v_add_f64 v[4:5], v[34:35], v[84:85]
	v_cndmask_b32_e64 v53, v35, v5, s[12:13]
	v_cndmask_b32_e64 v52, v34, v4, s[12:13]
	v_add_f64 v[4:5], v[22:23], v[52:53]
	v_cmp_eq_u16_sdwa s[14:15], v127, v9 src0_sel:BYTE_0 src1_sel:DWORD
	v_cmp_eq_u16_sdwa s[16:17], v130, v9 src0_sel:BYTE_0 src1_sel:DWORD
	v_and_b32_sdwa v12, v127, s40 dst_sel:DWORD dst_unused:UNUSED_PAD src0_sel:WORD_1 src1_sel:DWORD
	v_cndmask_b32_e64 v89, v23, v5, s[14:15]
	v_cndmask_b32_e64 v88, v22, v4, s[14:15]
	v_add_f64 v[4:5], v[42:43], v[88:89]
	v_cndmask_b32_e64 v57, v43, v5, s[16:17]
	v_cndmask_b32_e64 v56, v42, v4, s[16:17]
	v_add_f64 v[4:5], v[30:31], v[56:57]
	v_cmp_eq_u16_e64 s[18:19], 0, v12
	v_cmp_eq_u16_sdwa s[20:21], v127, v9 src0_sel:BYTE_3 src1_sel:DWORD
	v_cmp_eq_u16_sdwa s[22:23], v124, v9 src0_sel:BYTE_0 src1_sel:DWORD
	v_cndmask_b32_e64 v93, v31, v5, s[18:19]
	v_cndmask_b32_e64 v92, v30, v4, s[18:19]
	v_add_f64 v[4:5], v[50:51], v[92:93]
	v_cndmask_b32_e64 v61, v51, v5, s[20:21]
	v_cndmask_b32_e64 v60, v50, v4, s[20:21]
	v_add_f64 v[4:5], v[38:39], v[60:61]
	v_cndmask_b32_e64 v97, v39, v5, s[22:23]
	v_cndmask_b32_e64 v96, v38, v4, s[22:23]
	v_add_f64 v[4:5], v[58:59], v[96:97]
	v_cmp_eq_u16_sdwa s[24:25], v126, v9 src0_sel:BYTE_0 src1_sel:DWORD
	v_cmp_eq_u16_sdwa s[26:27], v41, v9 src0_sel:BYTE_0 src1_sel:DWORD
	v_and_b32_sdwa v12, v126, s40 dst_sel:DWORD dst_unused:UNUSED_PAD src0_sel:WORD_1 src1_sel:DWORD
	v_cndmask_b32_e64 v65, v59, v5, s[24:25]
	v_cndmask_b32_e64 v64, v58, v4, s[24:25]
	v_add_f64 v[4:5], v[46:47], v[64:65]
	v_cndmask_b32_e64 v101, v47, v5, s[26:27]
	v_cndmask_b32_e64 v100, v46, v4, s[26:27]
	;; [unrolled: 21-line block ×3, first 2 shown]
	v_add_f64 v[4:5], v[70:71], v[76:77]
	v_cmp_eq_u16_e64 s[40:41], 0, v12
	v_cmp_eq_u16_sdwa s[42:43], v125, v9 src0_sel:BYTE_3 src1_sel:DWORD
	v_cmp_eq_u16_sdwa s[44:45], v36, v9 src0_sel:BYTE_0 src1_sel:DWORD
	v_cndmask_b32_e64 v113, v71, v5, s[40:41]
	v_cndmask_b32_e64 v112, v70, v4, s[40:41]
	v_add_f64 v[4:5], v[10:11], v[112:113]
	v_cndmask_b32_e64 v119, v11, v5, s[42:43]
	v_cndmask_b32_e64 v118, v10, v4, s[42:43]
	v_add_f64 v[4:5], v[20:21], v[118:119]
	v_cndmask_b32_e64 v120, v20, v4, s[44:45]
	v_or_b32_e32 v4, v125, v126
	v_or3_b32 v4, v4, v127, v128
	v_lshrrev_b16_e32 v9, 7, v4
	v_cndmask_b32_e64 v121, v21, v5, s[44:45]
	v_and_b32_e32 v5, 1, v4
	v_and_b32_e32 v9, 2, v9
	v_or_b32_e32 v5, v5, v9
	v_lshrrev_b32_e32 v9, 23, v4
	v_mov_b32_e32 v12, 1
	v_and_b32_e32 v9, 2, v9
	v_and_b32_sdwa v4, v4, v12 dst_sel:DWORD dst_unused:UNUSED_PAD src0_sel:WORD_1 src1_sel:DWORD
	v_or_b32_e32 v4, v4, v9
	v_lshlrev_b16_e32 v4, 2, v4
	v_or_b32_e32 v4, v5, v4
	v_cmp_eq_u32_e64 s[52:53], 1, v33
	v_cmp_ne_u16_e64 s[54:55], 0, v4
	v_cmp_eq_u32_e64 s[50:51], 1, v40
	s_or_b64 s[52:53], s[54:55], s[52:53]
	v_cmp_eq_u32_e64 s[48:49], 1, v129
	s_or_b64 s[50:51], s[52:53], s[50:51]
	;; [unrolled: 2-line block ×3, first 2 shown]
	v_and_b32_e32 v8, 0xff, v1
	s_or_b64 s[46:47], s[48:49], s[46:47]
	v_mbcnt_hi_u32_b32 v16, -1, v32
	v_cndmask_b32_e64 v17, v8, 1, s[46:47]
	v_and_b32_e32 v24, 15, v16
	v_mov_b32_dpp v12, v120 row_shr:1 row_mask:0xf bank_mask:0xf
	v_mov_b32_dpp v13, v121 row_shr:1 row_mask:0xf bank_mask:0xf
	;; [unrolled: 1-line block ×3, first 2 shown]
	v_cmp_ne_u32_e64 s[46:47], 0, v24
	v_mov_b64_e32 v[4:5], v[120:121]
	v_mov_b32_e32 v9, v121
	v_mov_b32_e32 v8, v120
	s_and_saveexec_b64 s[48:49], s[46:47]
; %bb.194:
	v_add_f64 v[4:5], v[120:121], v[12:13]
	v_cmp_eq_u32_e64 s[46:47], 0, v17
	v_and_or_b32 v17, v25, 1, v17
	s_nop 0
	v_cndmask_b32_e64 v5, v121, v5, s[46:47]
	v_cndmask_b32_e64 v4, v120, v4, s[46:47]
	v_mov_b32_e32 v9, v5
	v_mov_b32_e32 v8, v4
; %bb.195:
	s_or_b64 exec, exec, s[48:49]
	s_nop 0
	v_mov_b32_dpp v12, v8 row_shr:2 row_mask:0xf bank_mask:0xf
	v_mov_b32_dpp v13, v9 row_shr:2 row_mask:0xf bank_mask:0xf
	v_mov_b32_dpp v25, v17 row_shr:2 row_mask:0xf bank_mask:0xf
	v_cmp_lt_u32_e64 s[46:47], 1, v24
	s_and_saveexec_b64 s[48:49], s[46:47]
; %bb.196:
	v_add_f64 v[8:9], v[4:5], v[12:13]
	v_cmp_eq_u32_e64 s[46:47], 0, v17
	s_nop 1
	v_cndmask_b32_e64 v9, v5, v9, s[46:47]
	v_cndmask_b32_e64 v8, v4, v8, s[46:47]
	v_or_b32_e32 v4, v25, v17
	v_and_b32_e32 v17, 1, v4
	v_mov_b64_e32 v[4:5], v[8:9]
; %bb.197:
	s_or_b64 exec, exec, s[48:49]
	v_mov_b32_dpp v12, v8 row_shr:4 row_mask:0xf bank_mask:0xf
	v_mov_b32_dpp v13, v9 row_shr:4 row_mask:0xf bank_mask:0xf
	v_mov_b32_dpp v25, v17 row_shr:4 row_mask:0xf bank_mask:0xf
	v_cmp_lt_u32_e64 s[46:47], 3, v24
	s_and_saveexec_b64 s[48:49], s[46:47]
; %bb.198:
	v_add_f64 v[8:9], v[4:5], v[12:13]
	v_cmp_eq_u32_e64 s[46:47], 0, v17
	s_nop 1
	v_cndmask_b32_e64 v9, v5, v9, s[46:47]
	v_cndmask_b32_e64 v8, v4, v8, s[46:47]
	v_or_b32_e32 v4, v25, v17
	v_and_b32_e32 v17, 1, v4
	v_mov_b64_e32 v[4:5], v[8:9]
; %bb.199:
	s_or_b64 exec, exec, s[48:49]
	;; [unrolled: 16-line block ×3, first 2 shown]
	v_and_b32_e32 v25, 16, v16
	v_mov_b32_dpp v12, v8 row_bcast:15 row_mask:0xf bank_mask:0xf
	v_mov_b32_dpp v13, v9 row_bcast:15 row_mask:0xf bank_mask:0xf
	v_mov_b32_dpp v24, v17 row_bcast:15 row_mask:0xf bank_mask:0xf
	v_cmp_ne_u32_e64 s[46:47], 0, v25
	s_and_saveexec_b64 s[48:49], s[46:47]
; %bb.202:
	v_add_f64 v[8:9], v[4:5], v[12:13]
	v_cmp_eq_u32_e64 s[46:47], 0, v17
	s_nop 1
	v_cndmask_b32_e64 v5, v5, v9, s[46:47]
	v_cndmask_b32_e64 v4, v4, v8, s[46:47]
	v_or_b32_e32 v8, v24, v17
	v_and_b32_e32 v17, 1, v8
	v_mov_b32_e32 v9, v5
	v_mov_b32_e32 v8, v4
; %bb.203:
	s_or_b64 exec, exec, s[48:49]
	s_nop 0
	v_mov_b32_dpp v8, v8 row_bcast:31 row_mask:0xf bank_mask:0xf
	v_mov_b32_dpp v9, v9 row_bcast:31 row_mask:0xf bank_mask:0xf
	;; [unrolled: 1-line block ×3, first 2 shown]
	v_cmp_lt_u32_e64 s[46:47], 31, v16
	v_mov_b32_e32 v12, v17
	s_and_saveexec_b64 s[48:49], s[46:47]
; %bb.204:
	v_add_f64 v[8:9], v[4:5], v[8:9]
	v_cmp_eq_u32_e64 s[46:47], 0, v17
	s_nop 1
	v_cndmask_b32_e64 v4, v4, v8, s[46:47]
	v_or_b32_e32 v8, v13, v17
	v_cndmask_b32_e64 v5, v5, v9, s[46:47]
	v_and_b32_e32 v12, 1, v8
	v_and_b32_e32 v17, 1, v8
; %bb.205:
	s_or_b64 exec, exec, s[48:49]
	v_or_b32_e32 v8, 63, v0
	v_lshrrev_b32_e32 v24, 6, v0
	v_cmp_eq_u32_e64 s[46:47], v8, v0
	s_and_saveexec_b64 s[48:49], s[46:47]
	s_cbranch_execz .LBB1087_207
; %bb.206:
	v_lshlrev_b32_e32 v8, 4, v24
	ds_write_b64 v8, v[4:5]
	ds_write_b8 v8, v12 offset:8
.LBB1087_207:
	s_or_b64 exec, exec, s[48:49]
	v_cmp_gt_u32_e64 s[46:47], 4, v0
	s_waitcnt lgkmcnt(0)
	s_barrier
	s_and_saveexec_b64 s[50:51], s[46:47]
	s_cbranch_execz .LBB1087_213
; %bb.208:
	v_lshlrev_b32_e32 v25, 4, v0
	ds_read_b64 v[8:9], v25
	ds_read_b32 v28, v25 offset:8
	v_and_b32_e32 v29, 3, v16
	v_cmp_ne_u32_e64 s[46:47], 0, v29
	s_waitcnt lgkmcnt(1)
	v_mov_b32_dpp v12, v8 row_shr:1 row_mask:0xf bank_mask:0xf
	v_mov_b32_dpp v13, v9 row_shr:1 row_mask:0xf bank_mask:0xf
	s_waitcnt lgkmcnt(0)
	v_mov_b32_dpp v36, v28 row_shr:1 row_mask:0xf bank_mask:0xf
	v_mov_b32_e32 v33, v28
	v_mov_b32_e32 v32, v28
	s_and_saveexec_b64 s[48:49], s[46:47]
; %bb.209:
	v_mov_b32_e32 v32, 0
	v_add_f64 v[12:13], v[8:9], v[12:13]
	v_cmp_eq_u16_sdwa s[46:47], v28, v32 src0_sel:BYTE_0 src1_sel:DWORD
	s_nop 1
	v_cndmask_b32_e64 v8, v8, v12, s[46:47]
	v_or_b32_e32 v12, v36, v28
	v_cndmask_b32_e64 v9, v9, v13, s[46:47]
	v_and_b32_e32 v32, 1, v12
	s_movk_i32 s46, 0xff00
	v_and_b32_e32 v33, 1, v12
	v_and_or_b32 v28, v28, s46, v32
; %bb.210:
	s_or_b64 exec, exec, s[48:49]
	v_mov_b32_dpp v12, v8 row_shr:2 row_mask:0xf bank_mask:0xf
	v_mov_b32_dpp v13, v9 row_shr:2 row_mask:0xf bank_mask:0xf
	;; [unrolled: 1-line block ×3, first 2 shown]
	v_cmp_lt_u32_e64 s[46:47], 1, v29
	s_and_saveexec_b64 s[52:53], s[46:47]
; %bb.211:
	v_mov_b32_e32 v29, 0
	v_add_f64 v[12:13], v[8:9], v[12:13]
	v_cmp_eq_u16_sdwa s[46:47], v32, v29 src0_sel:BYTE_0 src1_sel:DWORD
	s_nop 1
	v_cndmask_b32_e64 v8, v8, v12, s[46:47]
	v_and_b32_e32 v12, 1, v32
	v_cndmask_b32_e64 v9, v9, v13, s[46:47]
	v_cmp_eq_u32_e64 s[46:47], 1, v12
	v_and_b32_e32 v12, 1, v28
	v_cmp_eq_u32_e64 s[48:49], 1, v12
	s_or_b64 s[46:47], s[46:47], s[48:49]
	v_cndmask_b32_e64 v33, 0, 1, s[46:47]
; %bb.212:
	s_or_b64 exec, exec, s[52:53]
	ds_write_b64 v25, v[8:9]
	ds_write_b8 v25, v33 offset:8
.LBB1087_213:
	s_or_b64 exec, exec, s[50:51]
	v_cmp_lt_u32_e64 s[46:47], 63, v0
	v_mov_b64_e32 v[8:9], 0
	s_waitcnt lgkmcnt(0)
	s_barrier
	s_and_saveexec_b64 s[48:49], s[46:47]
	s_cbranch_execz .LBB1087_215
; %bb.214:
	v_lshl_add_u32 v8, v24, 4, -16
	ds_read_b64 v[8:9], v8
	v_cmp_eq_u32_e64 s[46:47], 0, v17
	s_waitcnt lgkmcnt(0)
	v_add_f64 v[12:13], v[4:5], v[8:9]
	v_cndmask_b32_e64 v5, v5, v13, s[46:47]
	v_cndmask_b32_e64 v4, v4, v12, s[46:47]
.LBB1087_215:
	s_or_b64 exec, exec, s[48:49]
	v_add_u32_e32 v12, -1, v16
	v_and_b32_e32 v13, 64, v16
	v_cmp_lt_i32_e64 s[46:47], v12, v13
	s_nop 1
	v_cndmask_b32_e64 v12, v12, v16, s[46:47]
	v_lshlrev_b32_e32 v12, 2, v12
	ds_bpermute_b32 v4, v12, v4
	ds_bpermute_b32 v5, v12, v5
	s_and_saveexec_b64 s[46:47], s[2:3]
	s_cbranch_execz .LBB1087_217
; %bb.216:
	v_cmp_eq_u32_e64 s[2:3], 0, v16
	v_mov_b32_e32 v12, 0
	;;#ASMSTART
	;;#ASMEND
	s_waitcnt lgkmcnt(0)
	v_cndmask_b32_e64 v5, v5, v9, s[2:3]
	v_cndmask_b32_e64 v4, v4, v8, s[2:3]
	v_add_f64 v[4:5], v[2:3], v[4:5]
	v_cmp_eq_u16_sdwa s[2:3], v1, v12 src0_sel:BYTE_0 src1_sel:DWORD
	s_nop 1
	v_cndmask_b32_e64 v3, v3, v5, s[2:3]
	v_cndmask_b32_e64 v2, v2, v4, s[2:3]
	v_add_f64 v[4:5], v[18:19], v[2:3]
	v_cndmask_b32_e64 v45, v19, v5, s[4:5]
	v_cndmask_b32_e64 v44, v18, v4, s[4:5]
	v_add_f64 v[4:5], v[6:7], v[44:45]
	;; [unrolled: 3-line block ×20, first 2 shown]
	v_cndmask_b32_e64 v121, v21, v5, s[44:45]
	v_cndmask_b32_e64 v120, v20, v4, s[44:45]
.LBB1087_217:
	s_or_b64 exec, exec, s[46:47]
	s_and_saveexec_b64 s[2:3], vcc
	s_cbranch_execz .LBB1087_219
; %bb.218:
	v_mov_b32_e32 v1, 0
	s_waitcnt lgkmcnt(0)
	ds_read_b64 v[4:5], v1 offset:48
	ds_read_u8 v6, v1 offset:56
	s_waitcnt lgkmcnt(1)
	global_store_dword v1, v4, s[86:87] offset:1024 sc1
	global_store_dword v1, v5, s[86:87] offset:1028 sc1
	s_waitcnt lgkmcnt(0)
	global_store_dword v1, v6, s[86:87] offset:1032 sc1
	global_store_dword v1, v1, s[86:87] offset:1036 sc1
	v_mov_b32_e32 v4, 2
	s_waitcnt vmcnt(0)
	global_store_byte v1, v4, s[88:89] offset:64 sc1
.LBB1087_219:
	s_or_b64 exec, exec, s[2:3]
	v_mov_b64_e32 v[114:115], v[2:3]
.LBB1087_220:
	s_add_u32 s2, s98, s92
	s_addc_u32 s3, s99, s93
	s_add_u32 s2, s2, s94
	s_addc_u32 s3, s3, s95
	s_and_b64 vcc, exec, s[0:1]
	v_lshlrev_b32_e32 v42, 3, v0
	s_cbranch_vccz .LBB1087_262
; %bb.221:
	s_movk_i32 s0, 0xa8
	v_mul_i32_i24_e32 v50, 0xffffff60, v0
	v_mul_u32_u24_e32 v1, 0xa8, v0
	v_mad_u32_u24 v2, v0, s0, v50
	s_waitcnt lgkmcnt(0)
	s_barrier
	ds_write2_b64 v1, v[114:115], v[44:45] offset1:1
	ds_write2_b64 v1, v[80:81], v[48:49] offset0:2 offset1:3
	ds_write2_b64 v1, v[84:85], v[52:53] offset0:4 offset1:5
	;; [unrolled: 1-line block ×9, first 2 shown]
	ds_write_b64 v1, v[120:121] offset:160
	s_waitcnt lgkmcnt(0)
	s_barrier
	ds_read2st64_b64 v[38:41], v2 offset0:4 offset1:8
	ds_read2st64_b64 v[34:37], v2 offset0:12 offset1:16
	;; [unrolled: 1-line block ×10, first 2 shown]
	s_add_i32 s33, s33, s90
	v_mov_b32_e32 v43, 0
	v_lshl_add_u64 v[46:47], s[2:3], 0, v[42:43]
	v_cmp_gt_u32_e32 vcc, s33, v0
	s_and_saveexec_b64 s[0:1], vcc
	s_cbranch_execz .LBB1087_223
; %bb.222:
	v_add_u32_e32 v1, v1, v50
	ds_read_b64 v[50:51], v1
	s_waitcnt lgkmcnt(0)
	flat_store_dwordx2 v[46:47], v[50:51]
.LBB1087_223:
	s_or_b64 exec, exec, s[0:1]
	v_or_b32_e32 v1, 0x100, v0
	v_cmp_gt_u32_e32 vcc, s33, v1
	s_and_saveexec_b64 s[0:1], vcc
	s_cbranch_execz .LBB1087_225
; %bb.224:
	s_waitcnt lgkmcnt(0)
	flat_store_dwordx2 v[46:47], v[38:39] offset:2048
.LBB1087_225:
	s_or_b64 exec, exec, s[0:1]
	v_or_b32_e32 v1, 0x200, v0
	v_cmp_gt_u32_e32 vcc, s33, v1
	s_and_saveexec_b64 s[0:1], vcc
	s_cbranch_execz .LBB1087_227
; %bb.226:
	s_waitcnt lgkmcnt(0)
	v_add_co_u32_e32 v38, vcc, 0x1000, v46
	s_nop 1
	v_addc_co_u32_e32 v39, vcc, 0, v47, vcc
	flat_store_dwordx2 v[38:39], v[40:41]
.LBB1087_227:
	s_or_b64 exec, exec, s[0:1]
	v_or_b32_e32 v1, 0x300, v0
	v_cmp_gt_u32_e32 vcc, s33, v1
	s_and_saveexec_b64 s[0:1], vcc
	s_cbranch_execz .LBB1087_229
; %bb.228:
	s_waitcnt lgkmcnt(0)
	v_add_co_u32_e32 v38, vcc, 0x1000, v46
	s_nop 1
	v_addc_co_u32_e32 v39, vcc, 0, v47, vcc
	flat_store_dwordx2 v[38:39], v[34:35] offset:2048
.LBB1087_229:
	s_or_b64 exec, exec, s[0:1]
	v_or_b32_e32 v1, 0x400, v0
	v_cmp_gt_u32_e32 vcc, s33, v1
	s_and_saveexec_b64 s[0:1], vcc
	s_cbranch_execz .LBB1087_231
; %bb.230:
	s_waitcnt lgkmcnt(0)
	v_add_co_u32_e32 v34, vcc, 0x2000, v46
	s_nop 1
	v_addc_co_u32_e32 v35, vcc, 0, v47, vcc
	flat_store_dwordx2 v[34:35], v[36:37]
.LBB1087_231:
	s_or_b64 exec, exec, s[0:1]
	v_or_b32_e32 v1, 0x500, v0
	v_cmp_gt_u32_e32 vcc, s33, v1
	s_and_saveexec_b64 s[0:1], vcc
	s_cbranch_execz .LBB1087_233
; %bb.232:
	s_waitcnt lgkmcnt(0)
	v_add_co_u32_e32 v34, vcc, 0x2000, v46
	s_nop 1
	v_addc_co_u32_e32 v35, vcc, 0, v47, vcc
	flat_store_dwordx2 v[34:35], v[30:31] offset:2048
.LBB1087_233:
	;; [unrolled: 24-line block ×9, first 2 shown]
	s_or_b64 exec, exec, s[0:1]
	s_waitcnt lgkmcnt(0)
	v_or_b32_e32 v2, 0x1400, v0
	v_mov_b32_e32 v1, v43
	v_cmp_gt_u32_e64 s[0:1], s33, v2
	s_branch .LBB1087_264
.LBB1087_262:
	s_mov_b64 s[0:1], 0
                                        ; implicit-def: $vgpr4_vgpr5
	s_cbranch_execz .LBB1087_264
; %bb.263:
	v_mul_u32_u24_e32 v1, 0xa8, v0
	s_waitcnt lgkmcnt(0)
	s_barrier
	s_movk_i32 s4, 0xa8
	ds_write2_b64 v1, v[114:115], v[44:45] offset1:1
	ds_write2_b64 v1, v[80:81], v[48:49] offset0:2 offset1:3
	ds_write2_b64 v1, v[84:85], v[52:53] offset0:4 offset1:5
	;; [unrolled: 1-line block ×9, first 2 shown]
	ds_write_b64 v1, v[120:121] offset:160
	v_mov_b32_e32 v1, 0
	v_mul_i32_i24_e32 v2, 0xffffff60, v0
	v_mad_u32_u24 v2, v0, s4, v2
	v_mov_b32_e32 v43, v1
	s_waitcnt lgkmcnt(0)
	s_barrier
	ds_read2st64_b64 v[6:9], v2 offset1:4
	ds_read2st64_b64 v[10:13], v2 offset0:8 offset1:12
	ds_read2st64_b64 v[14:17], v2 offset0:16 offset1:20
	;; [unrolled: 1-line block ×9, first 2 shown]
	ds_read_b64 v[4:5], v2 offset:40960
	v_lshl_add_u64 v[2:3], s[2:3], 0, v[42:43]
	s_movk_i32 s4, 0x1000
	s_waitcnt lgkmcnt(0)
	flat_store_dwordx2 v[2:3], v[6:7]
	flat_store_dwordx2 v[2:3], v[8:9] offset:2048
	v_add_co_u32_e32 v6, vcc, s4, v2
	s_movk_i32 s4, 0x2000
	s_nop 0
	v_addc_co_u32_e32 v7, vcc, 0, v3, vcc
	flat_store_dwordx2 v[6:7], v[10:11]
	flat_store_dwordx2 v[6:7], v[12:13] offset:2048
	v_add_co_u32_e32 v6, vcc, s4, v2
	s_movk_i32 s4, 0x3000
	s_nop 0
	v_addc_co_u32_e32 v7, vcc, 0, v3, vcc
	;; [unrolled: 6-line block ×6, first 2 shown]
	flat_store_dwordx2 v[6:7], v[30:31]
	flat_store_dwordx2 v[6:7], v[32:33] offset:2048
	v_add_co_u32_e32 v6, vcc, s4, v2
	s_or_b64 s[0:1], s[0:1], exec
	s_nop 0
	v_addc_co_u32_e32 v7, vcc, 0, v3, vcc
	flat_store_dwordx2 v[6:7], v[34:35]
	flat_store_dwordx2 v[6:7], v[36:37] offset:2048
	v_add_co_u32_e32 v6, vcc, 0x8000, v2
	s_nop 1
	v_addc_co_u32_e32 v7, vcc, 0, v3, vcc
	v_add_co_u32_e32 v2, vcc, 0x9000, v2
	flat_store_dwordx2 v[6:7], v[38:39]
	flat_store_dwordx2 v[6:7], v[40:41] offset:2048
	v_addc_co_u32_e32 v3, vcc, 0, v3, vcc
	flat_store_dwordx2 v[2:3], v[44:45]
	flat_store_dwordx2 v[2:3], v[46:47] offset:2048
.LBB1087_264:
	s_and_saveexec_b64 s[4:5], s[0:1]
	s_cbranch_execnz .LBB1087_266
; %bb.265:
	s_endpgm
.LBB1087_266:
	v_lshl_add_u64 v[0:1], v[0:1], 3, s[2:3]
	v_add_co_u32_e32 v0, vcc, 0xa000, v0
	s_nop 1
	v_addc_co_u32_e32 v1, vcc, 0, v1, vcc
	s_waitcnt lgkmcnt(0)
	flat_store_dwordx2 v[0:1], v[4:5]
	s_endpgm
.LBB1087_267:
	v_lshlrev_b32_e32 v6, 3, v0
	v_lshl_add_u64 v[2:3], s[48:49], 0, v[6:7]
	flat_load_dwordx2 v[2:3], v[2:3]
	s_or_b64 exec, exec, s[56:57]
                                        ; implicit-def: $vgpr6_vgpr7
	s_and_saveexec_b64 s[46:47], s[4:5]
	s_cbranch_execz .LBB1087_51
.LBB1087_268:
	v_lshlrev_b32_e32 v6, 3, v0
	v_mov_b32_e32 v7, 0
	v_lshl_add_u64 v[6:7], s[48:49], 0, v[6:7]
	flat_load_dwordx2 v[6:7], v[6:7] offset:2048
	s_or_b64 exec, exec, s[46:47]
                                        ; implicit-def: $vgpr10_vgpr11
	s_and_saveexec_b64 s[4:5], s[6:7]
	s_cbranch_execz .LBB1087_52
.LBB1087_269:
	v_lshlrev_b32_e32 v10, 3, v1
	v_mov_b32_e32 v11, 0
	v_lshl_add_u64 v[10:11], s[48:49], 0, v[10:11]
	flat_load_dwordx2 v[10:11], v[10:11]
	s_or_b64 exec, exec, s[4:5]
                                        ; implicit-def: $vgpr14_vgpr15
	s_and_saveexec_b64 s[4:5], s[8:9]
	s_cbranch_execz .LBB1087_53
.LBB1087_270:
	v_lshlrev_b32_e32 v14, 3, v18
	v_mov_b32_e32 v15, 0
	v_lshl_add_u64 v[14:15], s[48:49], 0, v[14:15]
	flat_load_dwordx2 v[14:15], v[14:15]
	s_or_b64 exec, exec, s[4:5]
                                        ; implicit-def: $vgpr18_vgpr19
	s_and_saveexec_b64 s[4:5], s[10:11]
	s_cbranch_execz .LBB1087_54
.LBB1087_271:
	v_lshlrev_b32_e32 v18, 3, v20
	v_mov_b32_e32 v19, 0
	v_lshl_add_u64 v[18:19], s[48:49], 0, v[18:19]
	flat_load_dwordx2 v[18:19], v[18:19]
	s_or_b64 exec, exec, s[4:5]
                                        ; implicit-def: $vgpr20_vgpr21
	s_and_saveexec_b64 s[4:5], s[12:13]
	s_cbranch_execz .LBB1087_55
.LBB1087_272:
	v_lshlrev_b32_e32 v20, 3, v22
	v_mov_b32_e32 v21, 0
	v_lshl_add_u64 v[20:21], s[48:49], 0, v[20:21]
	flat_load_dwordx2 v[20:21], v[20:21]
	s_or_b64 exec, exec, s[4:5]
                                        ; implicit-def: $vgpr22_vgpr23
	s_and_saveexec_b64 s[4:5], s[14:15]
	s_cbranch_execz .LBB1087_56
.LBB1087_273:
	v_lshlrev_b32_e32 v22, 3, v26
	v_mov_b32_e32 v23, 0
	v_lshl_add_u64 v[22:23], s[48:49], 0, v[22:23]
	flat_load_dwordx2 v[22:23], v[22:23]
	s_or_b64 exec, exec, s[4:5]
                                        ; implicit-def: $vgpr26_vgpr27
	s_and_saveexec_b64 s[4:5], s[16:17]
	s_cbranch_execz .LBB1087_57
.LBB1087_274:
	v_lshlrev_b32_e32 v26, 3, v30
	v_mov_b32_e32 v27, 0
	v_lshl_add_u64 v[26:27], s[48:49], 0, v[26:27]
	flat_load_dwordx2 v[26:27], v[26:27]
	s_or_b64 exec, exec, s[4:5]
                                        ; implicit-def: $vgpr30_vgpr31
	s_and_saveexec_b64 s[4:5], s[18:19]
	s_cbranch_execz .LBB1087_58
.LBB1087_275:
	v_lshlrev_b32_e32 v30, 3, v34
	v_mov_b32_e32 v31, 0
	v_lshl_add_u64 v[30:31], s[48:49], 0, v[30:31]
	flat_load_dwordx2 v[30:31], v[30:31]
	s_or_b64 exec, exec, s[4:5]
                                        ; implicit-def: $vgpr34_vgpr35
	s_and_saveexec_b64 s[4:5], s[20:21]
	s_cbranch_execz .LBB1087_59
.LBB1087_276:
	v_lshlrev_b32_e32 v34, 3, v38
	v_mov_b32_e32 v35, 0
	v_lshl_add_u64 v[34:35], s[48:49], 0, v[34:35]
	flat_load_dwordx2 v[34:35], v[34:35]
	s_or_b64 exec, exec, s[4:5]
                                        ; implicit-def: $vgpr38_vgpr39
	s_and_saveexec_b64 s[4:5], s[22:23]
	s_cbranch_execz .LBB1087_60
.LBB1087_277:
	v_lshlrev_b32_e32 v38, 3, v42
	v_mov_b32_e32 v39, 0
	v_lshl_add_u64 v[38:39], s[48:49], 0, v[38:39]
	flat_load_dwordx2 v[38:39], v[38:39]
	s_or_b64 exec, exec, s[4:5]
                                        ; implicit-def: $vgpr42_vgpr43
	s_and_saveexec_b64 s[4:5], s[24:25]
	s_cbranch_execz .LBB1087_61
.LBB1087_278:
	v_lshlrev_b32_e32 v42, 3, v46
	v_mov_b32_e32 v43, 0
	v_lshl_add_u64 v[42:43], s[48:49], 0, v[42:43]
	flat_load_dwordx2 v[42:43], v[42:43]
	s_or_b64 exec, exec, s[4:5]
                                        ; implicit-def: $vgpr46_vgpr47
	s_and_saveexec_b64 s[4:5], s[26:27]
	s_cbranch_execz .LBB1087_62
.LBB1087_279:
	v_lshlrev_b32_e32 v46, 3, v48
	v_mov_b32_e32 v47, 0
	v_lshl_add_u64 v[46:47], s[48:49], 0, v[46:47]
	flat_load_dwordx2 v[46:47], v[46:47]
	s_or_b64 exec, exec, s[4:5]
                                        ; implicit-def: $vgpr48_vgpr49
	s_and_saveexec_b64 s[4:5], s[28:29]
	s_cbranch_execz .LBB1087_63
.LBB1087_280:
	v_lshlrev_b32_e32 v48, 3, v50
	v_mov_b32_e32 v49, 0
	v_lshl_add_u64 v[48:49], s[48:49], 0, v[48:49]
	flat_load_dwordx2 v[48:49], v[48:49]
	s_or_b64 exec, exec, s[4:5]
                                        ; implicit-def: $vgpr50_vgpr51
	s_and_saveexec_b64 s[4:5], s[30:31]
	s_cbranch_execz .LBB1087_64
.LBB1087_281:
	v_lshlrev_b32_e32 v50, 3, v52
	v_mov_b32_e32 v51, 0
	v_lshl_add_u64 v[50:51], s[48:49], 0, v[50:51]
	flat_load_dwordx2 v[50:51], v[50:51]
	s_or_b64 exec, exec, s[4:5]
                                        ; implicit-def: $vgpr52_vgpr53
	s_and_saveexec_b64 s[4:5], s[34:35]
	s_cbranch_execz .LBB1087_65
.LBB1087_282:
	v_lshlrev_b32_e32 v52, 3, v54
	v_mov_b32_e32 v53, 0
	v_lshl_add_u64 v[52:53], s[48:49], 0, v[52:53]
	flat_load_dwordx2 v[52:53], v[52:53]
	s_or_b64 exec, exec, s[4:5]
                                        ; implicit-def: $vgpr54_vgpr55
	s_and_saveexec_b64 s[4:5], s[36:37]
	s_cbranch_execz .LBB1087_66
.LBB1087_283:
	v_lshlrev_b32_e32 v54, 3, v56
	v_mov_b32_e32 v55, 0
	v_lshl_add_u64 v[54:55], s[48:49], 0, v[54:55]
	flat_load_dwordx2 v[54:55], v[54:55]
	s_or_b64 exec, exec, s[4:5]
                                        ; implicit-def: $vgpr56_vgpr57
	s_and_saveexec_b64 s[4:5], s[38:39]
	s_cbranch_execz .LBB1087_67
.LBB1087_284:
	v_lshlrev_b32_e32 v56, 3, v58
	v_mov_b32_e32 v57, 0
	v_lshl_add_u64 v[56:57], s[48:49], 0, v[56:57]
	flat_load_dwordx2 v[56:57], v[56:57]
	s_or_b64 exec, exec, s[4:5]
                                        ; implicit-def: $vgpr58_vgpr59
	s_and_saveexec_b64 s[4:5], s[40:41]
	s_cbranch_execz .LBB1087_68
.LBB1087_285:
	v_lshlrev_b32_e32 v58, 3, v60
	v_mov_b32_e32 v59, 0
	v_lshl_add_u64 v[58:59], s[48:49], 0, v[58:59]
	flat_load_dwordx2 v[58:59], v[58:59]
	s_or_b64 exec, exec, s[4:5]
                                        ; implicit-def: $vgpr60_vgpr61
	s_and_saveexec_b64 s[4:5], s[42:43]
	s_cbranch_execz .LBB1087_69
.LBB1087_286:
	v_lshlrev_b32_e32 v60, 3, v62
	v_mov_b32_e32 v61, 0
	v_lshl_add_u64 v[60:61], s[48:49], 0, v[60:61]
	flat_load_dwordx2 v[60:61], v[60:61]
	s_or_b64 exec, exec, s[4:5]
                                        ; implicit-def: $vgpr62_vgpr63
	s_and_saveexec_b64 s[4:5], s[44:45]
	s_cbranch_execnz .LBB1087_70
	s_branch .LBB1087_71
.LBB1087_287:
                                        ; implicit-def: $sgpr56_sgpr57
	s_branch .LBB1087_46
.LBB1087_288:
                                        ; implicit-def: $sgpr4_sgpr5
	s_branch .LBB1087_116
	.section	.rodata,"a",@progbits
	.p2align	6, 0x0
	.amdhsa_kernel _ZN7rocprim17ROCPRIM_400000_NS6detail17trampoline_kernelINS0_14default_configENS1_27scan_by_key_config_selectorIidEEZZNS1_16scan_by_key_implILNS1_25lookback_scan_determinismE0ELb0ES3_N6thrust23THRUST_200600_302600_NS6detail15normal_iteratorINS9_10device_ptrIiEEEENSB_INSC_IdEEEESG_dNS9_4plusIvEENS9_8equal_toIvEEdEE10hipError_tPvRmT2_T3_T4_T5_mT6_T7_P12ihipStream_tbENKUlT_T0_E_clISt17integral_constantIbLb0EES11_EEDaSW_SX_EUlSW_E_NS1_11comp_targetILNS1_3genE5ELNS1_11target_archE942ELNS1_3gpuE9ELNS1_3repE0EEENS1_30default_config_static_selectorELNS0_4arch9wavefront6targetE1EEEvT1_
		.amdhsa_group_segment_fixed_size 43008
		.amdhsa_private_segment_fixed_size 0
		.amdhsa_kernarg_size 136
		.amdhsa_user_sgpr_count 2
		.amdhsa_user_sgpr_dispatch_ptr 0
		.amdhsa_user_sgpr_queue_ptr 0
		.amdhsa_user_sgpr_kernarg_segment_ptr 1
		.amdhsa_user_sgpr_dispatch_id 0
		.amdhsa_user_sgpr_kernarg_preload_length 0
		.amdhsa_user_sgpr_kernarg_preload_offset 0
		.amdhsa_user_sgpr_private_segment_size 0
		.amdhsa_uses_dynamic_stack 0
		.amdhsa_enable_private_segment 0
		.amdhsa_system_sgpr_workgroup_id_x 1
		.amdhsa_system_sgpr_workgroup_id_y 0
		.amdhsa_system_sgpr_workgroup_id_z 0
		.amdhsa_system_sgpr_workgroup_info 0
		.amdhsa_system_vgpr_workitem_id 0
		.amdhsa_next_free_vgpr 134
		.amdhsa_next_free_sgpr 100
		.amdhsa_accum_offset 136
		.amdhsa_reserve_vcc 1
		.amdhsa_float_round_mode_32 0
		.amdhsa_float_round_mode_16_64 0
		.amdhsa_float_denorm_mode_32 3
		.amdhsa_float_denorm_mode_16_64 3
		.amdhsa_dx10_clamp 1
		.amdhsa_ieee_mode 1
		.amdhsa_fp16_overflow 0
		.amdhsa_tg_split 0
		.amdhsa_exception_fp_ieee_invalid_op 0
		.amdhsa_exception_fp_denorm_src 0
		.amdhsa_exception_fp_ieee_div_zero 0
		.amdhsa_exception_fp_ieee_overflow 0
		.amdhsa_exception_fp_ieee_underflow 0
		.amdhsa_exception_fp_ieee_inexact 0
		.amdhsa_exception_int_div_zero 0
	.end_amdhsa_kernel
	.section	.text._ZN7rocprim17ROCPRIM_400000_NS6detail17trampoline_kernelINS0_14default_configENS1_27scan_by_key_config_selectorIidEEZZNS1_16scan_by_key_implILNS1_25lookback_scan_determinismE0ELb0ES3_N6thrust23THRUST_200600_302600_NS6detail15normal_iteratorINS9_10device_ptrIiEEEENSB_INSC_IdEEEESG_dNS9_4plusIvEENS9_8equal_toIvEEdEE10hipError_tPvRmT2_T3_T4_T5_mT6_T7_P12ihipStream_tbENKUlT_T0_E_clISt17integral_constantIbLb0EES11_EEDaSW_SX_EUlSW_E_NS1_11comp_targetILNS1_3genE5ELNS1_11target_archE942ELNS1_3gpuE9ELNS1_3repE0EEENS1_30default_config_static_selectorELNS0_4arch9wavefront6targetE1EEEvT1_,"axG",@progbits,_ZN7rocprim17ROCPRIM_400000_NS6detail17trampoline_kernelINS0_14default_configENS1_27scan_by_key_config_selectorIidEEZZNS1_16scan_by_key_implILNS1_25lookback_scan_determinismE0ELb0ES3_N6thrust23THRUST_200600_302600_NS6detail15normal_iteratorINS9_10device_ptrIiEEEENSB_INSC_IdEEEESG_dNS9_4plusIvEENS9_8equal_toIvEEdEE10hipError_tPvRmT2_T3_T4_T5_mT6_T7_P12ihipStream_tbENKUlT_T0_E_clISt17integral_constantIbLb0EES11_EEDaSW_SX_EUlSW_E_NS1_11comp_targetILNS1_3genE5ELNS1_11target_archE942ELNS1_3gpuE9ELNS1_3repE0EEENS1_30default_config_static_selectorELNS0_4arch9wavefront6targetE1EEEvT1_,comdat
.Lfunc_end1087:
	.size	_ZN7rocprim17ROCPRIM_400000_NS6detail17trampoline_kernelINS0_14default_configENS1_27scan_by_key_config_selectorIidEEZZNS1_16scan_by_key_implILNS1_25lookback_scan_determinismE0ELb0ES3_N6thrust23THRUST_200600_302600_NS6detail15normal_iteratorINS9_10device_ptrIiEEEENSB_INSC_IdEEEESG_dNS9_4plusIvEENS9_8equal_toIvEEdEE10hipError_tPvRmT2_T3_T4_T5_mT6_T7_P12ihipStream_tbENKUlT_T0_E_clISt17integral_constantIbLb0EES11_EEDaSW_SX_EUlSW_E_NS1_11comp_targetILNS1_3genE5ELNS1_11target_archE942ELNS1_3gpuE9ELNS1_3repE0EEENS1_30default_config_static_selectorELNS0_4arch9wavefront6targetE1EEEvT1_, .Lfunc_end1087-_ZN7rocprim17ROCPRIM_400000_NS6detail17trampoline_kernelINS0_14default_configENS1_27scan_by_key_config_selectorIidEEZZNS1_16scan_by_key_implILNS1_25lookback_scan_determinismE0ELb0ES3_N6thrust23THRUST_200600_302600_NS6detail15normal_iteratorINS9_10device_ptrIiEEEENSB_INSC_IdEEEESG_dNS9_4plusIvEENS9_8equal_toIvEEdEE10hipError_tPvRmT2_T3_T4_T5_mT6_T7_P12ihipStream_tbENKUlT_T0_E_clISt17integral_constantIbLb0EES11_EEDaSW_SX_EUlSW_E_NS1_11comp_targetILNS1_3genE5ELNS1_11target_archE942ELNS1_3gpuE9ELNS1_3repE0EEENS1_30default_config_static_selectorELNS0_4arch9wavefront6targetE1EEEvT1_
                                        ; -- End function
	.section	.AMDGPU.csdata,"",@progbits
; Kernel info:
; codeLenInByte = 17100
; NumSgprs: 106
; NumVgprs: 134
; NumAgprs: 0
; TotalNumVgprs: 134
; ScratchSize: 0
; MemoryBound: 0
; FloatMode: 240
; IeeeMode: 1
; LDSByteSize: 43008 bytes/workgroup (compile time only)
; SGPRBlocks: 13
; VGPRBlocks: 16
; NumSGPRsForWavesPerEU: 106
; NumVGPRsForWavesPerEU: 134
; AccumOffset: 136
; Occupancy: 1
; WaveLimiterHint : 1
; COMPUTE_PGM_RSRC2:SCRATCH_EN: 0
; COMPUTE_PGM_RSRC2:USER_SGPR: 2
; COMPUTE_PGM_RSRC2:TRAP_HANDLER: 0
; COMPUTE_PGM_RSRC2:TGID_X_EN: 1
; COMPUTE_PGM_RSRC2:TGID_Y_EN: 0
; COMPUTE_PGM_RSRC2:TGID_Z_EN: 0
; COMPUTE_PGM_RSRC2:TIDIG_COMP_CNT: 0
; COMPUTE_PGM_RSRC3_GFX90A:ACCUM_OFFSET: 33
; COMPUTE_PGM_RSRC3_GFX90A:TG_SPLIT: 0
	.section	.text._ZN7rocprim17ROCPRIM_400000_NS6detail17trampoline_kernelINS0_14default_configENS1_27scan_by_key_config_selectorIidEEZZNS1_16scan_by_key_implILNS1_25lookback_scan_determinismE0ELb0ES3_N6thrust23THRUST_200600_302600_NS6detail15normal_iteratorINS9_10device_ptrIiEEEENSB_INSC_IdEEEESG_dNS9_4plusIvEENS9_8equal_toIvEEdEE10hipError_tPvRmT2_T3_T4_T5_mT6_T7_P12ihipStream_tbENKUlT_T0_E_clISt17integral_constantIbLb0EES11_EEDaSW_SX_EUlSW_E_NS1_11comp_targetILNS1_3genE4ELNS1_11target_archE910ELNS1_3gpuE8ELNS1_3repE0EEENS1_30default_config_static_selectorELNS0_4arch9wavefront6targetE1EEEvT1_,"axG",@progbits,_ZN7rocprim17ROCPRIM_400000_NS6detail17trampoline_kernelINS0_14default_configENS1_27scan_by_key_config_selectorIidEEZZNS1_16scan_by_key_implILNS1_25lookback_scan_determinismE0ELb0ES3_N6thrust23THRUST_200600_302600_NS6detail15normal_iteratorINS9_10device_ptrIiEEEENSB_INSC_IdEEEESG_dNS9_4plusIvEENS9_8equal_toIvEEdEE10hipError_tPvRmT2_T3_T4_T5_mT6_T7_P12ihipStream_tbENKUlT_T0_E_clISt17integral_constantIbLb0EES11_EEDaSW_SX_EUlSW_E_NS1_11comp_targetILNS1_3genE4ELNS1_11target_archE910ELNS1_3gpuE8ELNS1_3repE0EEENS1_30default_config_static_selectorELNS0_4arch9wavefront6targetE1EEEvT1_,comdat
	.protected	_ZN7rocprim17ROCPRIM_400000_NS6detail17trampoline_kernelINS0_14default_configENS1_27scan_by_key_config_selectorIidEEZZNS1_16scan_by_key_implILNS1_25lookback_scan_determinismE0ELb0ES3_N6thrust23THRUST_200600_302600_NS6detail15normal_iteratorINS9_10device_ptrIiEEEENSB_INSC_IdEEEESG_dNS9_4plusIvEENS9_8equal_toIvEEdEE10hipError_tPvRmT2_T3_T4_T5_mT6_T7_P12ihipStream_tbENKUlT_T0_E_clISt17integral_constantIbLb0EES11_EEDaSW_SX_EUlSW_E_NS1_11comp_targetILNS1_3genE4ELNS1_11target_archE910ELNS1_3gpuE8ELNS1_3repE0EEENS1_30default_config_static_selectorELNS0_4arch9wavefront6targetE1EEEvT1_ ; -- Begin function _ZN7rocprim17ROCPRIM_400000_NS6detail17trampoline_kernelINS0_14default_configENS1_27scan_by_key_config_selectorIidEEZZNS1_16scan_by_key_implILNS1_25lookback_scan_determinismE0ELb0ES3_N6thrust23THRUST_200600_302600_NS6detail15normal_iteratorINS9_10device_ptrIiEEEENSB_INSC_IdEEEESG_dNS9_4plusIvEENS9_8equal_toIvEEdEE10hipError_tPvRmT2_T3_T4_T5_mT6_T7_P12ihipStream_tbENKUlT_T0_E_clISt17integral_constantIbLb0EES11_EEDaSW_SX_EUlSW_E_NS1_11comp_targetILNS1_3genE4ELNS1_11target_archE910ELNS1_3gpuE8ELNS1_3repE0EEENS1_30default_config_static_selectorELNS0_4arch9wavefront6targetE1EEEvT1_
	.globl	_ZN7rocprim17ROCPRIM_400000_NS6detail17trampoline_kernelINS0_14default_configENS1_27scan_by_key_config_selectorIidEEZZNS1_16scan_by_key_implILNS1_25lookback_scan_determinismE0ELb0ES3_N6thrust23THRUST_200600_302600_NS6detail15normal_iteratorINS9_10device_ptrIiEEEENSB_INSC_IdEEEESG_dNS9_4plusIvEENS9_8equal_toIvEEdEE10hipError_tPvRmT2_T3_T4_T5_mT6_T7_P12ihipStream_tbENKUlT_T0_E_clISt17integral_constantIbLb0EES11_EEDaSW_SX_EUlSW_E_NS1_11comp_targetILNS1_3genE4ELNS1_11target_archE910ELNS1_3gpuE8ELNS1_3repE0EEENS1_30default_config_static_selectorELNS0_4arch9wavefront6targetE1EEEvT1_
	.p2align	8
	.type	_ZN7rocprim17ROCPRIM_400000_NS6detail17trampoline_kernelINS0_14default_configENS1_27scan_by_key_config_selectorIidEEZZNS1_16scan_by_key_implILNS1_25lookback_scan_determinismE0ELb0ES3_N6thrust23THRUST_200600_302600_NS6detail15normal_iteratorINS9_10device_ptrIiEEEENSB_INSC_IdEEEESG_dNS9_4plusIvEENS9_8equal_toIvEEdEE10hipError_tPvRmT2_T3_T4_T5_mT6_T7_P12ihipStream_tbENKUlT_T0_E_clISt17integral_constantIbLb0EES11_EEDaSW_SX_EUlSW_E_NS1_11comp_targetILNS1_3genE4ELNS1_11target_archE910ELNS1_3gpuE8ELNS1_3repE0EEENS1_30default_config_static_selectorELNS0_4arch9wavefront6targetE1EEEvT1_,@function
_ZN7rocprim17ROCPRIM_400000_NS6detail17trampoline_kernelINS0_14default_configENS1_27scan_by_key_config_selectorIidEEZZNS1_16scan_by_key_implILNS1_25lookback_scan_determinismE0ELb0ES3_N6thrust23THRUST_200600_302600_NS6detail15normal_iteratorINS9_10device_ptrIiEEEENSB_INSC_IdEEEESG_dNS9_4plusIvEENS9_8equal_toIvEEdEE10hipError_tPvRmT2_T3_T4_T5_mT6_T7_P12ihipStream_tbENKUlT_T0_E_clISt17integral_constantIbLb0EES11_EEDaSW_SX_EUlSW_E_NS1_11comp_targetILNS1_3genE4ELNS1_11target_archE910ELNS1_3gpuE8ELNS1_3repE0EEENS1_30default_config_static_selectorELNS0_4arch9wavefront6targetE1EEEvT1_: ; @_ZN7rocprim17ROCPRIM_400000_NS6detail17trampoline_kernelINS0_14default_configENS1_27scan_by_key_config_selectorIidEEZZNS1_16scan_by_key_implILNS1_25lookback_scan_determinismE0ELb0ES3_N6thrust23THRUST_200600_302600_NS6detail15normal_iteratorINS9_10device_ptrIiEEEENSB_INSC_IdEEEESG_dNS9_4plusIvEENS9_8equal_toIvEEdEE10hipError_tPvRmT2_T3_T4_T5_mT6_T7_P12ihipStream_tbENKUlT_T0_E_clISt17integral_constantIbLb0EES11_EEDaSW_SX_EUlSW_E_NS1_11comp_targetILNS1_3genE4ELNS1_11target_archE910ELNS1_3gpuE8ELNS1_3repE0EEENS1_30default_config_static_selectorELNS0_4arch9wavefront6targetE1EEEvT1_
; %bb.0:
	.section	.rodata,"a",@progbits
	.p2align	6, 0x0
	.amdhsa_kernel _ZN7rocprim17ROCPRIM_400000_NS6detail17trampoline_kernelINS0_14default_configENS1_27scan_by_key_config_selectorIidEEZZNS1_16scan_by_key_implILNS1_25lookback_scan_determinismE0ELb0ES3_N6thrust23THRUST_200600_302600_NS6detail15normal_iteratorINS9_10device_ptrIiEEEENSB_INSC_IdEEEESG_dNS9_4plusIvEENS9_8equal_toIvEEdEE10hipError_tPvRmT2_T3_T4_T5_mT6_T7_P12ihipStream_tbENKUlT_T0_E_clISt17integral_constantIbLb0EES11_EEDaSW_SX_EUlSW_E_NS1_11comp_targetILNS1_3genE4ELNS1_11target_archE910ELNS1_3gpuE8ELNS1_3repE0EEENS1_30default_config_static_selectorELNS0_4arch9wavefront6targetE1EEEvT1_
		.amdhsa_group_segment_fixed_size 0
		.amdhsa_private_segment_fixed_size 0
		.amdhsa_kernarg_size 136
		.amdhsa_user_sgpr_count 2
		.amdhsa_user_sgpr_dispatch_ptr 0
		.amdhsa_user_sgpr_queue_ptr 0
		.amdhsa_user_sgpr_kernarg_segment_ptr 1
		.amdhsa_user_sgpr_dispatch_id 0
		.amdhsa_user_sgpr_kernarg_preload_length 0
		.amdhsa_user_sgpr_kernarg_preload_offset 0
		.amdhsa_user_sgpr_private_segment_size 0
		.amdhsa_uses_dynamic_stack 0
		.amdhsa_enable_private_segment 0
		.amdhsa_system_sgpr_workgroup_id_x 1
		.amdhsa_system_sgpr_workgroup_id_y 0
		.amdhsa_system_sgpr_workgroup_id_z 0
		.amdhsa_system_sgpr_workgroup_info 0
		.amdhsa_system_vgpr_workitem_id 0
		.amdhsa_next_free_vgpr 1
		.amdhsa_next_free_sgpr 0
		.amdhsa_accum_offset 4
		.amdhsa_reserve_vcc 0
		.amdhsa_float_round_mode_32 0
		.amdhsa_float_round_mode_16_64 0
		.amdhsa_float_denorm_mode_32 3
		.amdhsa_float_denorm_mode_16_64 3
		.amdhsa_dx10_clamp 1
		.amdhsa_ieee_mode 1
		.amdhsa_fp16_overflow 0
		.amdhsa_tg_split 0
		.amdhsa_exception_fp_ieee_invalid_op 0
		.amdhsa_exception_fp_denorm_src 0
		.amdhsa_exception_fp_ieee_div_zero 0
		.amdhsa_exception_fp_ieee_overflow 0
		.amdhsa_exception_fp_ieee_underflow 0
		.amdhsa_exception_fp_ieee_inexact 0
		.amdhsa_exception_int_div_zero 0
	.end_amdhsa_kernel
	.section	.text._ZN7rocprim17ROCPRIM_400000_NS6detail17trampoline_kernelINS0_14default_configENS1_27scan_by_key_config_selectorIidEEZZNS1_16scan_by_key_implILNS1_25lookback_scan_determinismE0ELb0ES3_N6thrust23THRUST_200600_302600_NS6detail15normal_iteratorINS9_10device_ptrIiEEEENSB_INSC_IdEEEESG_dNS9_4plusIvEENS9_8equal_toIvEEdEE10hipError_tPvRmT2_T3_T4_T5_mT6_T7_P12ihipStream_tbENKUlT_T0_E_clISt17integral_constantIbLb0EES11_EEDaSW_SX_EUlSW_E_NS1_11comp_targetILNS1_3genE4ELNS1_11target_archE910ELNS1_3gpuE8ELNS1_3repE0EEENS1_30default_config_static_selectorELNS0_4arch9wavefront6targetE1EEEvT1_,"axG",@progbits,_ZN7rocprim17ROCPRIM_400000_NS6detail17trampoline_kernelINS0_14default_configENS1_27scan_by_key_config_selectorIidEEZZNS1_16scan_by_key_implILNS1_25lookback_scan_determinismE0ELb0ES3_N6thrust23THRUST_200600_302600_NS6detail15normal_iteratorINS9_10device_ptrIiEEEENSB_INSC_IdEEEESG_dNS9_4plusIvEENS9_8equal_toIvEEdEE10hipError_tPvRmT2_T3_T4_T5_mT6_T7_P12ihipStream_tbENKUlT_T0_E_clISt17integral_constantIbLb0EES11_EEDaSW_SX_EUlSW_E_NS1_11comp_targetILNS1_3genE4ELNS1_11target_archE910ELNS1_3gpuE8ELNS1_3repE0EEENS1_30default_config_static_selectorELNS0_4arch9wavefront6targetE1EEEvT1_,comdat
.Lfunc_end1088:
	.size	_ZN7rocprim17ROCPRIM_400000_NS6detail17trampoline_kernelINS0_14default_configENS1_27scan_by_key_config_selectorIidEEZZNS1_16scan_by_key_implILNS1_25lookback_scan_determinismE0ELb0ES3_N6thrust23THRUST_200600_302600_NS6detail15normal_iteratorINS9_10device_ptrIiEEEENSB_INSC_IdEEEESG_dNS9_4plusIvEENS9_8equal_toIvEEdEE10hipError_tPvRmT2_T3_T4_T5_mT6_T7_P12ihipStream_tbENKUlT_T0_E_clISt17integral_constantIbLb0EES11_EEDaSW_SX_EUlSW_E_NS1_11comp_targetILNS1_3genE4ELNS1_11target_archE910ELNS1_3gpuE8ELNS1_3repE0EEENS1_30default_config_static_selectorELNS0_4arch9wavefront6targetE1EEEvT1_, .Lfunc_end1088-_ZN7rocprim17ROCPRIM_400000_NS6detail17trampoline_kernelINS0_14default_configENS1_27scan_by_key_config_selectorIidEEZZNS1_16scan_by_key_implILNS1_25lookback_scan_determinismE0ELb0ES3_N6thrust23THRUST_200600_302600_NS6detail15normal_iteratorINS9_10device_ptrIiEEEENSB_INSC_IdEEEESG_dNS9_4plusIvEENS9_8equal_toIvEEdEE10hipError_tPvRmT2_T3_T4_T5_mT6_T7_P12ihipStream_tbENKUlT_T0_E_clISt17integral_constantIbLb0EES11_EEDaSW_SX_EUlSW_E_NS1_11comp_targetILNS1_3genE4ELNS1_11target_archE910ELNS1_3gpuE8ELNS1_3repE0EEENS1_30default_config_static_selectorELNS0_4arch9wavefront6targetE1EEEvT1_
                                        ; -- End function
	.section	.AMDGPU.csdata,"",@progbits
; Kernel info:
; codeLenInByte = 0
; NumSgprs: 6
; NumVgprs: 0
; NumAgprs: 0
; TotalNumVgprs: 0
; ScratchSize: 0
; MemoryBound: 0
; FloatMode: 240
; IeeeMode: 1
; LDSByteSize: 0 bytes/workgroup (compile time only)
; SGPRBlocks: 0
; VGPRBlocks: 0
; NumSGPRsForWavesPerEU: 6
; NumVGPRsForWavesPerEU: 1
; AccumOffset: 4
; Occupancy: 8
; WaveLimiterHint : 0
; COMPUTE_PGM_RSRC2:SCRATCH_EN: 0
; COMPUTE_PGM_RSRC2:USER_SGPR: 2
; COMPUTE_PGM_RSRC2:TRAP_HANDLER: 0
; COMPUTE_PGM_RSRC2:TGID_X_EN: 1
; COMPUTE_PGM_RSRC2:TGID_Y_EN: 0
; COMPUTE_PGM_RSRC2:TGID_Z_EN: 0
; COMPUTE_PGM_RSRC2:TIDIG_COMP_CNT: 0
; COMPUTE_PGM_RSRC3_GFX90A:ACCUM_OFFSET: 0
; COMPUTE_PGM_RSRC3_GFX90A:TG_SPLIT: 0
	.section	.text._ZN7rocprim17ROCPRIM_400000_NS6detail17trampoline_kernelINS0_14default_configENS1_27scan_by_key_config_selectorIidEEZZNS1_16scan_by_key_implILNS1_25lookback_scan_determinismE0ELb0ES3_N6thrust23THRUST_200600_302600_NS6detail15normal_iteratorINS9_10device_ptrIiEEEENSB_INSC_IdEEEESG_dNS9_4plusIvEENS9_8equal_toIvEEdEE10hipError_tPvRmT2_T3_T4_T5_mT6_T7_P12ihipStream_tbENKUlT_T0_E_clISt17integral_constantIbLb0EES11_EEDaSW_SX_EUlSW_E_NS1_11comp_targetILNS1_3genE3ELNS1_11target_archE908ELNS1_3gpuE7ELNS1_3repE0EEENS1_30default_config_static_selectorELNS0_4arch9wavefront6targetE1EEEvT1_,"axG",@progbits,_ZN7rocprim17ROCPRIM_400000_NS6detail17trampoline_kernelINS0_14default_configENS1_27scan_by_key_config_selectorIidEEZZNS1_16scan_by_key_implILNS1_25lookback_scan_determinismE0ELb0ES3_N6thrust23THRUST_200600_302600_NS6detail15normal_iteratorINS9_10device_ptrIiEEEENSB_INSC_IdEEEESG_dNS9_4plusIvEENS9_8equal_toIvEEdEE10hipError_tPvRmT2_T3_T4_T5_mT6_T7_P12ihipStream_tbENKUlT_T0_E_clISt17integral_constantIbLb0EES11_EEDaSW_SX_EUlSW_E_NS1_11comp_targetILNS1_3genE3ELNS1_11target_archE908ELNS1_3gpuE7ELNS1_3repE0EEENS1_30default_config_static_selectorELNS0_4arch9wavefront6targetE1EEEvT1_,comdat
	.protected	_ZN7rocprim17ROCPRIM_400000_NS6detail17trampoline_kernelINS0_14default_configENS1_27scan_by_key_config_selectorIidEEZZNS1_16scan_by_key_implILNS1_25lookback_scan_determinismE0ELb0ES3_N6thrust23THRUST_200600_302600_NS6detail15normal_iteratorINS9_10device_ptrIiEEEENSB_INSC_IdEEEESG_dNS9_4plusIvEENS9_8equal_toIvEEdEE10hipError_tPvRmT2_T3_T4_T5_mT6_T7_P12ihipStream_tbENKUlT_T0_E_clISt17integral_constantIbLb0EES11_EEDaSW_SX_EUlSW_E_NS1_11comp_targetILNS1_3genE3ELNS1_11target_archE908ELNS1_3gpuE7ELNS1_3repE0EEENS1_30default_config_static_selectorELNS0_4arch9wavefront6targetE1EEEvT1_ ; -- Begin function _ZN7rocprim17ROCPRIM_400000_NS6detail17trampoline_kernelINS0_14default_configENS1_27scan_by_key_config_selectorIidEEZZNS1_16scan_by_key_implILNS1_25lookback_scan_determinismE0ELb0ES3_N6thrust23THRUST_200600_302600_NS6detail15normal_iteratorINS9_10device_ptrIiEEEENSB_INSC_IdEEEESG_dNS9_4plusIvEENS9_8equal_toIvEEdEE10hipError_tPvRmT2_T3_T4_T5_mT6_T7_P12ihipStream_tbENKUlT_T0_E_clISt17integral_constantIbLb0EES11_EEDaSW_SX_EUlSW_E_NS1_11comp_targetILNS1_3genE3ELNS1_11target_archE908ELNS1_3gpuE7ELNS1_3repE0EEENS1_30default_config_static_selectorELNS0_4arch9wavefront6targetE1EEEvT1_
	.globl	_ZN7rocprim17ROCPRIM_400000_NS6detail17trampoline_kernelINS0_14default_configENS1_27scan_by_key_config_selectorIidEEZZNS1_16scan_by_key_implILNS1_25lookback_scan_determinismE0ELb0ES3_N6thrust23THRUST_200600_302600_NS6detail15normal_iteratorINS9_10device_ptrIiEEEENSB_INSC_IdEEEESG_dNS9_4plusIvEENS9_8equal_toIvEEdEE10hipError_tPvRmT2_T3_T4_T5_mT6_T7_P12ihipStream_tbENKUlT_T0_E_clISt17integral_constantIbLb0EES11_EEDaSW_SX_EUlSW_E_NS1_11comp_targetILNS1_3genE3ELNS1_11target_archE908ELNS1_3gpuE7ELNS1_3repE0EEENS1_30default_config_static_selectorELNS0_4arch9wavefront6targetE1EEEvT1_
	.p2align	8
	.type	_ZN7rocprim17ROCPRIM_400000_NS6detail17trampoline_kernelINS0_14default_configENS1_27scan_by_key_config_selectorIidEEZZNS1_16scan_by_key_implILNS1_25lookback_scan_determinismE0ELb0ES3_N6thrust23THRUST_200600_302600_NS6detail15normal_iteratorINS9_10device_ptrIiEEEENSB_INSC_IdEEEESG_dNS9_4plusIvEENS9_8equal_toIvEEdEE10hipError_tPvRmT2_T3_T4_T5_mT6_T7_P12ihipStream_tbENKUlT_T0_E_clISt17integral_constantIbLb0EES11_EEDaSW_SX_EUlSW_E_NS1_11comp_targetILNS1_3genE3ELNS1_11target_archE908ELNS1_3gpuE7ELNS1_3repE0EEENS1_30default_config_static_selectorELNS0_4arch9wavefront6targetE1EEEvT1_,@function
_ZN7rocprim17ROCPRIM_400000_NS6detail17trampoline_kernelINS0_14default_configENS1_27scan_by_key_config_selectorIidEEZZNS1_16scan_by_key_implILNS1_25lookback_scan_determinismE0ELb0ES3_N6thrust23THRUST_200600_302600_NS6detail15normal_iteratorINS9_10device_ptrIiEEEENSB_INSC_IdEEEESG_dNS9_4plusIvEENS9_8equal_toIvEEdEE10hipError_tPvRmT2_T3_T4_T5_mT6_T7_P12ihipStream_tbENKUlT_T0_E_clISt17integral_constantIbLb0EES11_EEDaSW_SX_EUlSW_E_NS1_11comp_targetILNS1_3genE3ELNS1_11target_archE908ELNS1_3gpuE7ELNS1_3repE0EEENS1_30default_config_static_selectorELNS0_4arch9wavefront6targetE1EEEvT1_: ; @_ZN7rocprim17ROCPRIM_400000_NS6detail17trampoline_kernelINS0_14default_configENS1_27scan_by_key_config_selectorIidEEZZNS1_16scan_by_key_implILNS1_25lookback_scan_determinismE0ELb0ES3_N6thrust23THRUST_200600_302600_NS6detail15normal_iteratorINS9_10device_ptrIiEEEENSB_INSC_IdEEEESG_dNS9_4plusIvEENS9_8equal_toIvEEdEE10hipError_tPvRmT2_T3_T4_T5_mT6_T7_P12ihipStream_tbENKUlT_T0_E_clISt17integral_constantIbLb0EES11_EEDaSW_SX_EUlSW_E_NS1_11comp_targetILNS1_3genE3ELNS1_11target_archE908ELNS1_3gpuE7ELNS1_3repE0EEENS1_30default_config_static_selectorELNS0_4arch9wavefront6targetE1EEEvT1_
; %bb.0:
	.section	.rodata,"a",@progbits
	.p2align	6, 0x0
	.amdhsa_kernel _ZN7rocprim17ROCPRIM_400000_NS6detail17trampoline_kernelINS0_14default_configENS1_27scan_by_key_config_selectorIidEEZZNS1_16scan_by_key_implILNS1_25lookback_scan_determinismE0ELb0ES3_N6thrust23THRUST_200600_302600_NS6detail15normal_iteratorINS9_10device_ptrIiEEEENSB_INSC_IdEEEESG_dNS9_4plusIvEENS9_8equal_toIvEEdEE10hipError_tPvRmT2_T3_T4_T5_mT6_T7_P12ihipStream_tbENKUlT_T0_E_clISt17integral_constantIbLb0EES11_EEDaSW_SX_EUlSW_E_NS1_11comp_targetILNS1_3genE3ELNS1_11target_archE908ELNS1_3gpuE7ELNS1_3repE0EEENS1_30default_config_static_selectorELNS0_4arch9wavefront6targetE1EEEvT1_
		.amdhsa_group_segment_fixed_size 0
		.amdhsa_private_segment_fixed_size 0
		.amdhsa_kernarg_size 136
		.amdhsa_user_sgpr_count 2
		.amdhsa_user_sgpr_dispatch_ptr 0
		.amdhsa_user_sgpr_queue_ptr 0
		.amdhsa_user_sgpr_kernarg_segment_ptr 1
		.amdhsa_user_sgpr_dispatch_id 0
		.amdhsa_user_sgpr_kernarg_preload_length 0
		.amdhsa_user_sgpr_kernarg_preload_offset 0
		.amdhsa_user_sgpr_private_segment_size 0
		.amdhsa_uses_dynamic_stack 0
		.amdhsa_enable_private_segment 0
		.amdhsa_system_sgpr_workgroup_id_x 1
		.amdhsa_system_sgpr_workgroup_id_y 0
		.amdhsa_system_sgpr_workgroup_id_z 0
		.amdhsa_system_sgpr_workgroup_info 0
		.amdhsa_system_vgpr_workitem_id 0
		.amdhsa_next_free_vgpr 1
		.amdhsa_next_free_sgpr 0
		.amdhsa_accum_offset 4
		.amdhsa_reserve_vcc 0
		.amdhsa_float_round_mode_32 0
		.amdhsa_float_round_mode_16_64 0
		.amdhsa_float_denorm_mode_32 3
		.amdhsa_float_denorm_mode_16_64 3
		.amdhsa_dx10_clamp 1
		.amdhsa_ieee_mode 1
		.amdhsa_fp16_overflow 0
		.amdhsa_tg_split 0
		.amdhsa_exception_fp_ieee_invalid_op 0
		.amdhsa_exception_fp_denorm_src 0
		.amdhsa_exception_fp_ieee_div_zero 0
		.amdhsa_exception_fp_ieee_overflow 0
		.amdhsa_exception_fp_ieee_underflow 0
		.amdhsa_exception_fp_ieee_inexact 0
		.amdhsa_exception_int_div_zero 0
	.end_amdhsa_kernel
	.section	.text._ZN7rocprim17ROCPRIM_400000_NS6detail17trampoline_kernelINS0_14default_configENS1_27scan_by_key_config_selectorIidEEZZNS1_16scan_by_key_implILNS1_25lookback_scan_determinismE0ELb0ES3_N6thrust23THRUST_200600_302600_NS6detail15normal_iteratorINS9_10device_ptrIiEEEENSB_INSC_IdEEEESG_dNS9_4plusIvEENS9_8equal_toIvEEdEE10hipError_tPvRmT2_T3_T4_T5_mT6_T7_P12ihipStream_tbENKUlT_T0_E_clISt17integral_constantIbLb0EES11_EEDaSW_SX_EUlSW_E_NS1_11comp_targetILNS1_3genE3ELNS1_11target_archE908ELNS1_3gpuE7ELNS1_3repE0EEENS1_30default_config_static_selectorELNS0_4arch9wavefront6targetE1EEEvT1_,"axG",@progbits,_ZN7rocprim17ROCPRIM_400000_NS6detail17trampoline_kernelINS0_14default_configENS1_27scan_by_key_config_selectorIidEEZZNS1_16scan_by_key_implILNS1_25lookback_scan_determinismE0ELb0ES3_N6thrust23THRUST_200600_302600_NS6detail15normal_iteratorINS9_10device_ptrIiEEEENSB_INSC_IdEEEESG_dNS9_4plusIvEENS9_8equal_toIvEEdEE10hipError_tPvRmT2_T3_T4_T5_mT6_T7_P12ihipStream_tbENKUlT_T0_E_clISt17integral_constantIbLb0EES11_EEDaSW_SX_EUlSW_E_NS1_11comp_targetILNS1_3genE3ELNS1_11target_archE908ELNS1_3gpuE7ELNS1_3repE0EEENS1_30default_config_static_selectorELNS0_4arch9wavefront6targetE1EEEvT1_,comdat
.Lfunc_end1089:
	.size	_ZN7rocprim17ROCPRIM_400000_NS6detail17trampoline_kernelINS0_14default_configENS1_27scan_by_key_config_selectorIidEEZZNS1_16scan_by_key_implILNS1_25lookback_scan_determinismE0ELb0ES3_N6thrust23THRUST_200600_302600_NS6detail15normal_iteratorINS9_10device_ptrIiEEEENSB_INSC_IdEEEESG_dNS9_4plusIvEENS9_8equal_toIvEEdEE10hipError_tPvRmT2_T3_T4_T5_mT6_T7_P12ihipStream_tbENKUlT_T0_E_clISt17integral_constantIbLb0EES11_EEDaSW_SX_EUlSW_E_NS1_11comp_targetILNS1_3genE3ELNS1_11target_archE908ELNS1_3gpuE7ELNS1_3repE0EEENS1_30default_config_static_selectorELNS0_4arch9wavefront6targetE1EEEvT1_, .Lfunc_end1089-_ZN7rocprim17ROCPRIM_400000_NS6detail17trampoline_kernelINS0_14default_configENS1_27scan_by_key_config_selectorIidEEZZNS1_16scan_by_key_implILNS1_25lookback_scan_determinismE0ELb0ES3_N6thrust23THRUST_200600_302600_NS6detail15normal_iteratorINS9_10device_ptrIiEEEENSB_INSC_IdEEEESG_dNS9_4plusIvEENS9_8equal_toIvEEdEE10hipError_tPvRmT2_T3_T4_T5_mT6_T7_P12ihipStream_tbENKUlT_T0_E_clISt17integral_constantIbLb0EES11_EEDaSW_SX_EUlSW_E_NS1_11comp_targetILNS1_3genE3ELNS1_11target_archE908ELNS1_3gpuE7ELNS1_3repE0EEENS1_30default_config_static_selectorELNS0_4arch9wavefront6targetE1EEEvT1_
                                        ; -- End function
	.section	.AMDGPU.csdata,"",@progbits
; Kernel info:
; codeLenInByte = 0
; NumSgprs: 6
; NumVgprs: 0
; NumAgprs: 0
; TotalNumVgprs: 0
; ScratchSize: 0
; MemoryBound: 0
; FloatMode: 240
; IeeeMode: 1
; LDSByteSize: 0 bytes/workgroup (compile time only)
; SGPRBlocks: 0
; VGPRBlocks: 0
; NumSGPRsForWavesPerEU: 6
; NumVGPRsForWavesPerEU: 1
; AccumOffset: 4
; Occupancy: 8
; WaveLimiterHint : 0
; COMPUTE_PGM_RSRC2:SCRATCH_EN: 0
; COMPUTE_PGM_RSRC2:USER_SGPR: 2
; COMPUTE_PGM_RSRC2:TRAP_HANDLER: 0
; COMPUTE_PGM_RSRC2:TGID_X_EN: 1
; COMPUTE_PGM_RSRC2:TGID_Y_EN: 0
; COMPUTE_PGM_RSRC2:TGID_Z_EN: 0
; COMPUTE_PGM_RSRC2:TIDIG_COMP_CNT: 0
; COMPUTE_PGM_RSRC3_GFX90A:ACCUM_OFFSET: 0
; COMPUTE_PGM_RSRC3_GFX90A:TG_SPLIT: 0
	.section	.text._ZN7rocprim17ROCPRIM_400000_NS6detail17trampoline_kernelINS0_14default_configENS1_27scan_by_key_config_selectorIidEEZZNS1_16scan_by_key_implILNS1_25lookback_scan_determinismE0ELb0ES3_N6thrust23THRUST_200600_302600_NS6detail15normal_iteratorINS9_10device_ptrIiEEEENSB_INSC_IdEEEESG_dNS9_4plusIvEENS9_8equal_toIvEEdEE10hipError_tPvRmT2_T3_T4_T5_mT6_T7_P12ihipStream_tbENKUlT_T0_E_clISt17integral_constantIbLb0EES11_EEDaSW_SX_EUlSW_E_NS1_11comp_targetILNS1_3genE2ELNS1_11target_archE906ELNS1_3gpuE6ELNS1_3repE0EEENS1_30default_config_static_selectorELNS0_4arch9wavefront6targetE1EEEvT1_,"axG",@progbits,_ZN7rocprim17ROCPRIM_400000_NS6detail17trampoline_kernelINS0_14default_configENS1_27scan_by_key_config_selectorIidEEZZNS1_16scan_by_key_implILNS1_25lookback_scan_determinismE0ELb0ES3_N6thrust23THRUST_200600_302600_NS6detail15normal_iteratorINS9_10device_ptrIiEEEENSB_INSC_IdEEEESG_dNS9_4plusIvEENS9_8equal_toIvEEdEE10hipError_tPvRmT2_T3_T4_T5_mT6_T7_P12ihipStream_tbENKUlT_T0_E_clISt17integral_constantIbLb0EES11_EEDaSW_SX_EUlSW_E_NS1_11comp_targetILNS1_3genE2ELNS1_11target_archE906ELNS1_3gpuE6ELNS1_3repE0EEENS1_30default_config_static_selectorELNS0_4arch9wavefront6targetE1EEEvT1_,comdat
	.protected	_ZN7rocprim17ROCPRIM_400000_NS6detail17trampoline_kernelINS0_14default_configENS1_27scan_by_key_config_selectorIidEEZZNS1_16scan_by_key_implILNS1_25lookback_scan_determinismE0ELb0ES3_N6thrust23THRUST_200600_302600_NS6detail15normal_iteratorINS9_10device_ptrIiEEEENSB_INSC_IdEEEESG_dNS9_4plusIvEENS9_8equal_toIvEEdEE10hipError_tPvRmT2_T3_T4_T5_mT6_T7_P12ihipStream_tbENKUlT_T0_E_clISt17integral_constantIbLb0EES11_EEDaSW_SX_EUlSW_E_NS1_11comp_targetILNS1_3genE2ELNS1_11target_archE906ELNS1_3gpuE6ELNS1_3repE0EEENS1_30default_config_static_selectorELNS0_4arch9wavefront6targetE1EEEvT1_ ; -- Begin function _ZN7rocprim17ROCPRIM_400000_NS6detail17trampoline_kernelINS0_14default_configENS1_27scan_by_key_config_selectorIidEEZZNS1_16scan_by_key_implILNS1_25lookback_scan_determinismE0ELb0ES3_N6thrust23THRUST_200600_302600_NS6detail15normal_iteratorINS9_10device_ptrIiEEEENSB_INSC_IdEEEESG_dNS9_4plusIvEENS9_8equal_toIvEEdEE10hipError_tPvRmT2_T3_T4_T5_mT6_T7_P12ihipStream_tbENKUlT_T0_E_clISt17integral_constantIbLb0EES11_EEDaSW_SX_EUlSW_E_NS1_11comp_targetILNS1_3genE2ELNS1_11target_archE906ELNS1_3gpuE6ELNS1_3repE0EEENS1_30default_config_static_selectorELNS0_4arch9wavefront6targetE1EEEvT1_
	.globl	_ZN7rocprim17ROCPRIM_400000_NS6detail17trampoline_kernelINS0_14default_configENS1_27scan_by_key_config_selectorIidEEZZNS1_16scan_by_key_implILNS1_25lookback_scan_determinismE0ELb0ES3_N6thrust23THRUST_200600_302600_NS6detail15normal_iteratorINS9_10device_ptrIiEEEENSB_INSC_IdEEEESG_dNS9_4plusIvEENS9_8equal_toIvEEdEE10hipError_tPvRmT2_T3_T4_T5_mT6_T7_P12ihipStream_tbENKUlT_T0_E_clISt17integral_constantIbLb0EES11_EEDaSW_SX_EUlSW_E_NS1_11comp_targetILNS1_3genE2ELNS1_11target_archE906ELNS1_3gpuE6ELNS1_3repE0EEENS1_30default_config_static_selectorELNS0_4arch9wavefront6targetE1EEEvT1_
	.p2align	8
	.type	_ZN7rocprim17ROCPRIM_400000_NS6detail17trampoline_kernelINS0_14default_configENS1_27scan_by_key_config_selectorIidEEZZNS1_16scan_by_key_implILNS1_25lookback_scan_determinismE0ELb0ES3_N6thrust23THRUST_200600_302600_NS6detail15normal_iteratorINS9_10device_ptrIiEEEENSB_INSC_IdEEEESG_dNS9_4plusIvEENS9_8equal_toIvEEdEE10hipError_tPvRmT2_T3_T4_T5_mT6_T7_P12ihipStream_tbENKUlT_T0_E_clISt17integral_constantIbLb0EES11_EEDaSW_SX_EUlSW_E_NS1_11comp_targetILNS1_3genE2ELNS1_11target_archE906ELNS1_3gpuE6ELNS1_3repE0EEENS1_30default_config_static_selectorELNS0_4arch9wavefront6targetE1EEEvT1_,@function
_ZN7rocprim17ROCPRIM_400000_NS6detail17trampoline_kernelINS0_14default_configENS1_27scan_by_key_config_selectorIidEEZZNS1_16scan_by_key_implILNS1_25lookback_scan_determinismE0ELb0ES3_N6thrust23THRUST_200600_302600_NS6detail15normal_iteratorINS9_10device_ptrIiEEEENSB_INSC_IdEEEESG_dNS9_4plusIvEENS9_8equal_toIvEEdEE10hipError_tPvRmT2_T3_T4_T5_mT6_T7_P12ihipStream_tbENKUlT_T0_E_clISt17integral_constantIbLb0EES11_EEDaSW_SX_EUlSW_E_NS1_11comp_targetILNS1_3genE2ELNS1_11target_archE906ELNS1_3gpuE6ELNS1_3repE0EEENS1_30default_config_static_selectorELNS0_4arch9wavefront6targetE1EEEvT1_: ; @_ZN7rocprim17ROCPRIM_400000_NS6detail17trampoline_kernelINS0_14default_configENS1_27scan_by_key_config_selectorIidEEZZNS1_16scan_by_key_implILNS1_25lookback_scan_determinismE0ELb0ES3_N6thrust23THRUST_200600_302600_NS6detail15normal_iteratorINS9_10device_ptrIiEEEENSB_INSC_IdEEEESG_dNS9_4plusIvEENS9_8equal_toIvEEdEE10hipError_tPvRmT2_T3_T4_T5_mT6_T7_P12ihipStream_tbENKUlT_T0_E_clISt17integral_constantIbLb0EES11_EEDaSW_SX_EUlSW_E_NS1_11comp_targetILNS1_3genE2ELNS1_11target_archE906ELNS1_3gpuE6ELNS1_3repE0EEENS1_30default_config_static_selectorELNS0_4arch9wavefront6targetE1EEEvT1_
; %bb.0:
	.section	.rodata,"a",@progbits
	.p2align	6, 0x0
	.amdhsa_kernel _ZN7rocprim17ROCPRIM_400000_NS6detail17trampoline_kernelINS0_14default_configENS1_27scan_by_key_config_selectorIidEEZZNS1_16scan_by_key_implILNS1_25lookback_scan_determinismE0ELb0ES3_N6thrust23THRUST_200600_302600_NS6detail15normal_iteratorINS9_10device_ptrIiEEEENSB_INSC_IdEEEESG_dNS9_4plusIvEENS9_8equal_toIvEEdEE10hipError_tPvRmT2_T3_T4_T5_mT6_T7_P12ihipStream_tbENKUlT_T0_E_clISt17integral_constantIbLb0EES11_EEDaSW_SX_EUlSW_E_NS1_11comp_targetILNS1_3genE2ELNS1_11target_archE906ELNS1_3gpuE6ELNS1_3repE0EEENS1_30default_config_static_selectorELNS0_4arch9wavefront6targetE1EEEvT1_
		.amdhsa_group_segment_fixed_size 0
		.amdhsa_private_segment_fixed_size 0
		.amdhsa_kernarg_size 136
		.amdhsa_user_sgpr_count 2
		.amdhsa_user_sgpr_dispatch_ptr 0
		.amdhsa_user_sgpr_queue_ptr 0
		.amdhsa_user_sgpr_kernarg_segment_ptr 1
		.amdhsa_user_sgpr_dispatch_id 0
		.amdhsa_user_sgpr_kernarg_preload_length 0
		.amdhsa_user_sgpr_kernarg_preload_offset 0
		.amdhsa_user_sgpr_private_segment_size 0
		.amdhsa_uses_dynamic_stack 0
		.amdhsa_enable_private_segment 0
		.amdhsa_system_sgpr_workgroup_id_x 1
		.amdhsa_system_sgpr_workgroup_id_y 0
		.amdhsa_system_sgpr_workgroup_id_z 0
		.amdhsa_system_sgpr_workgroup_info 0
		.amdhsa_system_vgpr_workitem_id 0
		.amdhsa_next_free_vgpr 1
		.amdhsa_next_free_sgpr 0
		.amdhsa_accum_offset 4
		.amdhsa_reserve_vcc 0
		.amdhsa_float_round_mode_32 0
		.amdhsa_float_round_mode_16_64 0
		.amdhsa_float_denorm_mode_32 3
		.amdhsa_float_denorm_mode_16_64 3
		.amdhsa_dx10_clamp 1
		.amdhsa_ieee_mode 1
		.amdhsa_fp16_overflow 0
		.amdhsa_tg_split 0
		.amdhsa_exception_fp_ieee_invalid_op 0
		.amdhsa_exception_fp_denorm_src 0
		.amdhsa_exception_fp_ieee_div_zero 0
		.amdhsa_exception_fp_ieee_overflow 0
		.amdhsa_exception_fp_ieee_underflow 0
		.amdhsa_exception_fp_ieee_inexact 0
		.amdhsa_exception_int_div_zero 0
	.end_amdhsa_kernel
	.section	.text._ZN7rocprim17ROCPRIM_400000_NS6detail17trampoline_kernelINS0_14default_configENS1_27scan_by_key_config_selectorIidEEZZNS1_16scan_by_key_implILNS1_25lookback_scan_determinismE0ELb0ES3_N6thrust23THRUST_200600_302600_NS6detail15normal_iteratorINS9_10device_ptrIiEEEENSB_INSC_IdEEEESG_dNS9_4plusIvEENS9_8equal_toIvEEdEE10hipError_tPvRmT2_T3_T4_T5_mT6_T7_P12ihipStream_tbENKUlT_T0_E_clISt17integral_constantIbLb0EES11_EEDaSW_SX_EUlSW_E_NS1_11comp_targetILNS1_3genE2ELNS1_11target_archE906ELNS1_3gpuE6ELNS1_3repE0EEENS1_30default_config_static_selectorELNS0_4arch9wavefront6targetE1EEEvT1_,"axG",@progbits,_ZN7rocprim17ROCPRIM_400000_NS6detail17trampoline_kernelINS0_14default_configENS1_27scan_by_key_config_selectorIidEEZZNS1_16scan_by_key_implILNS1_25lookback_scan_determinismE0ELb0ES3_N6thrust23THRUST_200600_302600_NS6detail15normal_iteratorINS9_10device_ptrIiEEEENSB_INSC_IdEEEESG_dNS9_4plusIvEENS9_8equal_toIvEEdEE10hipError_tPvRmT2_T3_T4_T5_mT6_T7_P12ihipStream_tbENKUlT_T0_E_clISt17integral_constantIbLb0EES11_EEDaSW_SX_EUlSW_E_NS1_11comp_targetILNS1_3genE2ELNS1_11target_archE906ELNS1_3gpuE6ELNS1_3repE0EEENS1_30default_config_static_selectorELNS0_4arch9wavefront6targetE1EEEvT1_,comdat
.Lfunc_end1090:
	.size	_ZN7rocprim17ROCPRIM_400000_NS6detail17trampoline_kernelINS0_14default_configENS1_27scan_by_key_config_selectorIidEEZZNS1_16scan_by_key_implILNS1_25lookback_scan_determinismE0ELb0ES3_N6thrust23THRUST_200600_302600_NS6detail15normal_iteratorINS9_10device_ptrIiEEEENSB_INSC_IdEEEESG_dNS9_4plusIvEENS9_8equal_toIvEEdEE10hipError_tPvRmT2_T3_T4_T5_mT6_T7_P12ihipStream_tbENKUlT_T0_E_clISt17integral_constantIbLb0EES11_EEDaSW_SX_EUlSW_E_NS1_11comp_targetILNS1_3genE2ELNS1_11target_archE906ELNS1_3gpuE6ELNS1_3repE0EEENS1_30default_config_static_selectorELNS0_4arch9wavefront6targetE1EEEvT1_, .Lfunc_end1090-_ZN7rocprim17ROCPRIM_400000_NS6detail17trampoline_kernelINS0_14default_configENS1_27scan_by_key_config_selectorIidEEZZNS1_16scan_by_key_implILNS1_25lookback_scan_determinismE0ELb0ES3_N6thrust23THRUST_200600_302600_NS6detail15normal_iteratorINS9_10device_ptrIiEEEENSB_INSC_IdEEEESG_dNS9_4plusIvEENS9_8equal_toIvEEdEE10hipError_tPvRmT2_T3_T4_T5_mT6_T7_P12ihipStream_tbENKUlT_T0_E_clISt17integral_constantIbLb0EES11_EEDaSW_SX_EUlSW_E_NS1_11comp_targetILNS1_3genE2ELNS1_11target_archE906ELNS1_3gpuE6ELNS1_3repE0EEENS1_30default_config_static_selectorELNS0_4arch9wavefront6targetE1EEEvT1_
                                        ; -- End function
	.section	.AMDGPU.csdata,"",@progbits
; Kernel info:
; codeLenInByte = 0
; NumSgprs: 6
; NumVgprs: 0
; NumAgprs: 0
; TotalNumVgprs: 0
; ScratchSize: 0
; MemoryBound: 0
; FloatMode: 240
; IeeeMode: 1
; LDSByteSize: 0 bytes/workgroup (compile time only)
; SGPRBlocks: 0
; VGPRBlocks: 0
; NumSGPRsForWavesPerEU: 6
; NumVGPRsForWavesPerEU: 1
; AccumOffset: 4
; Occupancy: 8
; WaveLimiterHint : 0
; COMPUTE_PGM_RSRC2:SCRATCH_EN: 0
; COMPUTE_PGM_RSRC2:USER_SGPR: 2
; COMPUTE_PGM_RSRC2:TRAP_HANDLER: 0
; COMPUTE_PGM_RSRC2:TGID_X_EN: 1
; COMPUTE_PGM_RSRC2:TGID_Y_EN: 0
; COMPUTE_PGM_RSRC2:TGID_Z_EN: 0
; COMPUTE_PGM_RSRC2:TIDIG_COMP_CNT: 0
; COMPUTE_PGM_RSRC3_GFX90A:ACCUM_OFFSET: 0
; COMPUTE_PGM_RSRC3_GFX90A:TG_SPLIT: 0
	.section	.text._ZN7rocprim17ROCPRIM_400000_NS6detail17trampoline_kernelINS0_14default_configENS1_27scan_by_key_config_selectorIidEEZZNS1_16scan_by_key_implILNS1_25lookback_scan_determinismE0ELb0ES3_N6thrust23THRUST_200600_302600_NS6detail15normal_iteratorINS9_10device_ptrIiEEEENSB_INSC_IdEEEESG_dNS9_4plusIvEENS9_8equal_toIvEEdEE10hipError_tPvRmT2_T3_T4_T5_mT6_T7_P12ihipStream_tbENKUlT_T0_E_clISt17integral_constantIbLb0EES11_EEDaSW_SX_EUlSW_E_NS1_11comp_targetILNS1_3genE10ELNS1_11target_archE1200ELNS1_3gpuE4ELNS1_3repE0EEENS1_30default_config_static_selectorELNS0_4arch9wavefront6targetE1EEEvT1_,"axG",@progbits,_ZN7rocprim17ROCPRIM_400000_NS6detail17trampoline_kernelINS0_14default_configENS1_27scan_by_key_config_selectorIidEEZZNS1_16scan_by_key_implILNS1_25lookback_scan_determinismE0ELb0ES3_N6thrust23THRUST_200600_302600_NS6detail15normal_iteratorINS9_10device_ptrIiEEEENSB_INSC_IdEEEESG_dNS9_4plusIvEENS9_8equal_toIvEEdEE10hipError_tPvRmT2_T3_T4_T5_mT6_T7_P12ihipStream_tbENKUlT_T0_E_clISt17integral_constantIbLb0EES11_EEDaSW_SX_EUlSW_E_NS1_11comp_targetILNS1_3genE10ELNS1_11target_archE1200ELNS1_3gpuE4ELNS1_3repE0EEENS1_30default_config_static_selectorELNS0_4arch9wavefront6targetE1EEEvT1_,comdat
	.protected	_ZN7rocprim17ROCPRIM_400000_NS6detail17trampoline_kernelINS0_14default_configENS1_27scan_by_key_config_selectorIidEEZZNS1_16scan_by_key_implILNS1_25lookback_scan_determinismE0ELb0ES3_N6thrust23THRUST_200600_302600_NS6detail15normal_iteratorINS9_10device_ptrIiEEEENSB_INSC_IdEEEESG_dNS9_4plusIvEENS9_8equal_toIvEEdEE10hipError_tPvRmT2_T3_T4_T5_mT6_T7_P12ihipStream_tbENKUlT_T0_E_clISt17integral_constantIbLb0EES11_EEDaSW_SX_EUlSW_E_NS1_11comp_targetILNS1_3genE10ELNS1_11target_archE1200ELNS1_3gpuE4ELNS1_3repE0EEENS1_30default_config_static_selectorELNS0_4arch9wavefront6targetE1EEEvT1_ ; -- Begin function _ZN7rocprim17ROCPRIM_400000_NS6detail17trampoline_kernelINS0_14default_configENS1_27scan_by_key_config_selectorIidEEZZNS1_16scan_by_key_implILNS1_25lookback_scan_determinismE0ELb0ES3_N6thrust23THRUST_200600_302600_NS6detail15normal_iteratorINS9_10device_ptrIiEEEENSB_INSC_IdEEEESG_dNS9_4plusIvEENS9_8equal_toIvEEdEE10hipError_tPvRmT2_T3_T4_T5_mT6_T7_P12ihipStream_tbENKUlT_T0_E_clISt17integral_constantIbLb0EES11_EEDaSW_SX_EUlSW_E_NS1_11comp_targetILNS1_3genE10ELNS1_11target_archE1200ELNS1_3gpuE4ELNS1_3repE0EEENS1_30default_config_static_selectorELNS0_4arch9wavefront6targetE1EEEvT1_
	.globl	_ZN7rocprim17ROCPRIM_400000_NS6detail17trampoline_kernelINS0_14default_configENS1_27scan_by_key_config_selectorIidEEZZNS1_16scan_by_key_implILNS1_25lookback_scan_determinismE0ELb0ES3_N6thrust23THRUST_200600_302600_NS6detail15normal_iteratorINS9_10device_ptrIiEEEENSB_INSC_IdEEEESG_dNS9_4plusIvEENS9_8equal_toIvEEdEE10hipError_tPvRmT2_T3_T4_T5_mT6_T7_P12ihipStream_tbENKUlT_T0_E_clISt17integral_constantIbLb0EES11_EEDaSW_SX_EUlSW_E_NS1_11comp_targetILNS1_3genE10ELNS1_11target_archE1200ELNS1_3gpuE4ELNS1_3repE0EEENS1_30default_config_static_selectorELNS0_4arch9wavefront6targetE1EEEvT1_
	.p2align	8
	.type	_ZN7rocprim17ROCPRIM_400000_NS6detail17trampoline_kernelINS0_14default_configENS1_27scan_by_key_config_selectorIidEEZZNS1_16scan_by_key_implILNS1_25lookback_scan_determinismE0ELb0ES3_N6thrust23THRUST_200600_302600_NS6detail15normal_iteratorINS9_10device_ptrIiEEEENSB_INSC_IdEEEESG_dNS9_4plusIvEENS9_8equal_toIvEEdEE10hipError_tPvRmT2_T3_T4_T5_mT6_T7_P12ihipStream_tbENKUlT_T0_E_clISt17integral_constantIbLb0EES11_EEDaSW_SX_EUlSW_E_NS1_11comp_targetILNS1_3genE10ELNS1_11target_archE1200ELNS1_3gpuE4ELNS1_3repE0EEENS1_30default_config_static_selectorELNS0_4arch9wavefront6targetE1EEEvT1_,@function
_ZN7rocprim17ROCPRIM_400000_NS6detail17trampoline_kernelINS0_14default_configENS1_27scan_by_key_config_selectorIidEEZZNS1_16scan_by_key_implILNS1_25lookback_scan_determinismE0ELb0ES3_N6thrust23THRUST_200600_302600_NS6detail15normal_iteratorINS9_10device_ptrIiEEEENSB_INSC_IdEEEESG_dNS9_4plusIvEENS9_8equal_toIvEEdEE10hipError_tPvRmT2_T3_T4_T5_mT6_T7_P12ihipStream_tbENKUlT_T0_E_clISt17integral_constantIbLb0EES11_EEDaSW_SX_EUlSW_E_NS1_11comp_targetILNS1_3genE10ELNS1_11target_archE1200ELNS1_3gpuE4ELNS1_3repE0EEENS1_30default_config_static_selectorELNS0_4arch9wavefront6targetE1EEEvT1_: ; @_ZN7rocprim17ROCPRIM_400000_NS6detail17trampoline_kernelINS0_14default_configENS1_27scan_by_key_config_selectorIidEEZZNS1_16scan_by_key_implILNS1_25lookback_scan_determinismE0ELb0ES3_N6thrust23THRUST_200600_302600_NS6detail15normal_iteratorINS9_10device_ptrIiEEEENSB_INSC_IdEEEESG_dNS9_4plusIvEENS9_8equal_toIvEEdEE10hipError_tPvRmT2_T3_T4_T5_mT6_T7_P12ihipStream_tbENKUlT_T0_E_clISt17integral_constantIbLb0EES11_EEDaSW_SX_EUlSW_E_NS1_11comp_targetILNS1_3genE10ELNS1_11target_archE1200ELNS1_3gpuE4ELNS1_3repE0EEENS1_30default_config_static_selectorELNS0_4arch9wavefront6targetE1EEEvT1_
; %bb.0:
	.section	.rodata,"a",@progbits
	.p2align	6, 0x0
	.amdhsa_kernel _ZN7rocprim17ROCPRIM_400000_NS6detail17trampoline_kernelINS0_14default_configENS1_27scan_by_key_config_selectorIidEEZZNS1_16scan_by_key_implILNS1_25lookback_scan_determinismE0ELb0ES3_N6thrust23THRUST_200600_302600_NS6detail15normal_iteratorINS9_10device_ptrIiEEEENSB_INSC_IdEEEESG_dNS9_4plusIvEENS9_8equal_toIvEEdEE10hipError_tPvRmT2_T3_T4_T5_mT6_T7_P12ihipStream_tbENKUlT_T0_E_clISt17integral_constantIbLb0EES11_EEDaSW_SX_EUlSW_E_NS1_11comp_targetILNS1_3genE10ELNS1_11target_archE1200ELNS1_3gpuE4ELNS1_3repE0EEENS1_30default_config_static_selectorELNS0_4arch9wavefront6targetE1EEEvT1_
		.amdhsa_group_segment_fixed_size 0
		.amdhsa_private_segment_fixed_size 0
		.amdhsa_kernarg_size 136
		.amdhsa_user_sgpr_count 2
		.amdhsa_user_sgpr_dispatch_ptr 0
		.amdhsa_user_sgpr_queue_ptr 0
		.amdhsa_user_sgpr_kernarg_segment_ptr 1
		.amdhsa_user_sgpr_dispatch_id 0
		.amdhsa_user_sgpr_kernarg_preload_length 0
		.amdhsa_user_sgpr_kernarg_preload_offset 0
		.amdhsa_user_sgpr_private_segment_size 0
		.amdhsa_uses_dynamic_stack 0
		.amdhsa_enable_private_segment 0
		.amdhsa_system_sgpr_workgroup_id_x 1
		.amdhsa_system_sgpr_workgroup_id_y 0
		.amdhsa_system_sgpr_workgroup_id_z 0
		.amdhsa_system_sgpr_workgroup_info 0
		.amdhsa_system_vgpr_workitem_id 0
		.amdhsa_next_free_vgpr 1
		.amdhsa_next_free_sgpr 0
		.amdhsa_accum_offset 4
		.amdhsa_reserve_vcc 0
		.amdhsa_float_round_mode_32 0
		.amdhsa_float_round_mode_16_64 0
		.amdhsa_float_denorm_mode_32 3
		.amdhsa_float_denorm_mode_16_64 3
		.amdhsa_dx10_clamp 1
		.amdhsa_ieee_mode 1
		.amdhsa_fp16_overflow 0
		.amdhsa_tg_split 0
		.amdhsa_exception_fp_ieee_invalid_op 0
		.amdhsa_exception_fp_denorm_src 0
		.amdhsa_exception_fp_ieee_div_zero 0
		.amdhsa_exception_fp_ieee_overflow 0
		.amdhsa_exception_fp_ieee_underflow 0
		.amdhsa_exception_fp_ieee_inexact 0
		.amdhsa_exception_int_div_zero 0
	.end_amdhsa_kernel
	.section	.text._ZN7rocprim17ROCPRIM_400000_NS6detail17trampoline_kernelINS0_14default_configENS1_27scan_by_key_config_selectorIidEEZZNS1_16scan_by_key_implILNS1_25lookback_scan_determinismE0ELb0ES3_N6thrust23THRUST_200600_302600_NS6detail15normal_iteratorINS9_10device_ptrIiEEEENSB_INSC_IdEEEESG_dNS9_4plusIvEENS9_8equal_toIvEEdEE10hipError_tPvRmT2_T3_T4_T5_mT6_T7_P12ihipStream_tbENKUlT_T0_E_clISt17integral_constantIbLb0EES11_EEDaSW_SX_EUlSW_E_NS1_11comp_targetILNS1_3genE10ELNS1_11target_archE1200ELNS1_3gpuE4ELNS1_3repE0EEENS1_30default_config_static_selectorELNS0_4arch9wavefront6targetE1EEEvT1_,"axG",@progbits,_ZN7rocprim17ROCPRIM_400000_NS6detail17trampoline_kernelINS0_14default_configENS1_27scan_by_key_config_selectorIidEEZZNS1_16scan_by_key_implILNS1_25lookback_scan_determinismE0ELb0ES3_N6thrust23THRUST_200600_302600_NS6detail15normal_iteratorINS9_10device_ptrIiEEEENSB_INSC_IdEEEESG_dNS9_4plusIvEENS9_8equal_toIvEEdEE10hipError_tPvRmT2_T3_T4_T5_mT6_T7_P12ihipStream_tbENKUlT_T0_E_clISt17integral_constantIbLb0EES11_EEDaSW_SX_EUlSW_E_NS1_11comp_targetILNS1_3genE10ELNS1_11target_archE1200ELNS1_3gpuE4ELNS1_3repE0EEENS1_30default_config_static_selectorELNS0_4arch9wavefront6targetE1EEEvT1_,comdat
.Lfunc_end1091:
	.size	_ZN7rocprim17ROCPRIM_400000_NS6detail17trampoline_kernelINS0_14default_configENS1_27scan_by_key_config_selectorIidEEZZNS1_16scan_by_key_implILNS1_25lookback_scan_determinismE0ELb0ES3_N6thrust23THRUST_200600_302600_NS6detail15normal_iteratorINS9_10device_ptrIiEEEENSB_INSC_IdEEEESG_dNS9_4plusIvEENS9_8equal_toIvEEdEE10hipError_tPvRmT2_T3_T4_T5_mT6_T7_P12ihipStream_tbENKUlT_T0_E_clISt17integral_constantIbLb0EES11_EEDaSW_SX_EUlSW_E_NS1_11comp_targetILNS1_3genE10ELNS1_11target_archE1200ELNS1_3gpuE4ELNS1_3repE0EEENS1_30default_config_static_selectorELNS0_4arch9wavefront6targetE1EEEvT1_, .Lfunc_end1091-_ZN7rocprim17ROCPRIM_400000_NS6detail17trampoline_kernelINS0_14default_configENS1_27scan_by_key_config_selectorIidEEZZNS1_16scan_by_key_implILNS1_25lookback_scan_determinismE0ELb0ES3_N6thrust23THRUST_200600_302600_NS6detail15normal_iteratorINS9_10device_ptrIiEEEENSB_INSC_IdEEEESG_dNS9_4plusIvEENS9_8equal_toIvEEdEE10hipError_tPvRmT2_T3_T4_T5_mT6_T7_P12ihipStream_tbENKUlT_T0_E_clISt17integral_constantIbLb0EES11_EEDaSW_SX_EUlSW_E_NS1_11comp_targetILNS1_3genE10ELNS1_11target_archE1200ELNS1_3gpuE4ELNS1_3repE0EEENS1_30default_config_static_selectorELNS0_4arch9wavefront6targetE1EEEvT1_
                                        ; -- End function
	.section	.AMDGPU.csdata,"",@progbits
; Kernel info:
; codeLenInByte = 0
; NumSgprs: 6
; NumVgprs: 0
; NumAgprs: 0
; TotalNumVgprs: 0
; ScratchSize: 0
; MemoryBound: 0
; FloatMode: 240
; IeeeMode: 1
; LDSByteSize: 0 bytes/workgroup (compile time only)
; SGPRBlocks: 0
; VGPRBlocks: 0
; NumSGPRsForWavesPerEU: 6
; NumVGPRsForWavesPerEU: 1
; AccumOffset: 4
; Occupancy: 8
; WaveLimiterHint : 0
; COMPUTE_PGM_RSRC2:SCRATCH_EN: 0
; COMPUTE_PGM_RSRC2:USER_SGPR: 2
; COMPUTE_PGM_RSRC2:TRAP_HANDLER: 0
; COMPUTE_PGM_RSRC2:TGID_X_EN: 1
; COMPUTE_PGM_RSRC2:TGID_Y_EN: 0
; COMPUTE_PGM_RSRC2:TGID_Z_EN: 0
; COMPUTE_PGM_RSRC2:TIDIG_COMP_CNT: 0
; COMPUTE_PGM_RSRC3_GFX90A:ACCUM_OFFSET: 0
; COMPUTE_PGM_RSRC3_GFX90A:TG_SPLIT: 0
	.section	.text._ZN7rocprim17ROCPRIM_400000_NS6detail17trampoline_kernelINS0_14default_configENS1_27scan_by_key_config_selectorIidEEZZNS1_16scan_by_key_implILNS1_25lookback_scan_determinismE0ELb0ES3_N6thrust23THRUST_200600_302600_NS6detail15normal_iteratorINS9_10device_ptrIiEEEENSB_INSC_IdEEEESG_dNS9_4plusIvEENS9_8equal_toIvEEdEE10hipError_tPvRmT2_T3_T4_T5_mT6_T7_P12ihipStream_tbENKUlT_T0_E_clISt17integral_constantIbLb0EES11_EEDaSW_SX_EUlSW_E_NS1_11comp_targetILNS1_3genE9ELNS1_11target_archE1100ELNS1_3gpuE3ELNS1_3repE0EEENS1_30default_config_static_selectorELNS0_4arch9wavefront6targetE1EEEvT1_,"axG",@progbits,_ZN7rocprim17ROCPRIM_400000_NS6detail17trampoline_kernelINS0_14default_configENS1_27scan_by_key_config_selectorIidEEZZNS1_16scan_by_key_implILNS1_25lookback_scan_determinismE0ELb0ES3_N6thrust23THRUST_200600_302600_NS6detail15normal_iteratorINS9_10device_ptrIiEEEENSB_INSC_IdEEEESG_dNS9_4plusIvEENS9_8equal_toIvEEdEE10hipError_tPvRmT2_T3_T4_T5_mT6_T7_P12ihipStream_tbENKUlT_T0_E_clISt17integral_constantIbLb0EES11_EEDaSW_SX_EUlSW_E_NS1_11comp_targetILNS1_3genE9ELNS1_11target_archE1100ELNS1_3gpuE3ELNS1_3repE0EEENS1_30default_config_static_selectorELNS0_4arch9wavefront6targetE1EEEvT1_,comdat
	.protected	_ZN7rocprim17ROCPRIM_400000_NS6detail17trampoline_kernelINS0_14default_configENS1_27scan_by_key_config_selectorIidEEZZNS1_16scan_by_key_implILNS1_25lookback_scan_determinismE0ELb0ES3_N6thrust23THRUST_200600_302600_NS6detail15normal_iteratorINS9_10device_ptrIiEEEENSB_INSC_IdEEEESG_dNS9_4plusIvEENS9_8equal_toIvEEdEE10hipError_tPvRmT2_T3_T4_T5_mT6_T7_P12ihipStream_tbENKUlT_T0_E_clISt17integral_constantIbLb0EES11_EEDaSW_SX_EUlSW_E_NS1_11comp_targetILNS1_3genE9ELNS1_11target_archE1100ELNS1_3gpuE3ELNS1_3repE0EEENS1_30default_config_static_selectorELNS0_4arch9wavefront6targetE1EEEvT1_ ; -- Begin function _ZN7rocprim17ROCPRIM_400000_NS6detail17trampoline_kernelINS0_14default_configENS1_27scan_by_key_config_selectorIidEEZZNS1_16scan_by_key_implILNS1_25lookback_scan_determinismE0ELb0ES3_N6thrust23THRUST_200600_302600_NS6detail15normal_iteratorINS9_10device_ptrIiEEEENSB_INSC_IdEEEESG_dNS9_4plusIvEENS9_8equal_toIvEEdEE10hipError_tPvRmT2_T3_T4_T5_mT6_T7_P12ihipStream_tbENKUlT_T0_E_clISt17integral_constantIbLb0EES11_EEDaSW_SX_EUlSW_E_NS1_11comp_targetILNS1_3genE9ELNS1_11target_archE1100ELNS1_3gpuE3ELNS1_3repE0EEENS1_30default_config_static_selectorELNS0_4arch9wavefront6targetE1EEEvT1_
	.globl	_ZN7rocprim17ROCPRIM_400000_NS6detail17trampoline_kernelINS0_14default_configENS1_27scan_by_key_config_selectorIidEEZZNS1_16scan_by_key_implILNS1_25lookback_scan_determinismE0ELb0ES3_N6thrust23THRUST_200600_302600_NS6detail15normal_iteratorINS9_10device_ptrIiEEEENSB_INSC_IdEEEESG_dNS9_4plusIvEENS9_8equal_toIvEEdEE10hipError_tPvRmT2_T3_T4_T5_mT6_T7_P12ihipStream_tbENKUlT_T0_E_clISt17integral_constantIbLb0EES11_EEDaSW_SX_EUlSW_E_NS1_11comp_targetILNS1_3genE9ELNS1_11target_archE1100ELNS1_3gpuE3ELNS1_3repE0EEENS1_30default_config_static_selectorELNS0_4arch9wavefront6targetE1EEEvT1_
	.p2align	8
	.type	_ZN7rocprim17ROCPRIM_400000_NS6detail17trampoline_kernelINS0_14default_configENS1_27scan_by_key_config_selectorIidEEZZNS1_16scan_by_key_implILNS1_25lookback_scan_determinismE0ELb0ES3_N6thrust23THRUST_200600_302600_NS6detail15normal_iteratorINS9_10device_ptrIiEEEENSB_INSC_IdEEEESG_dNS9_4plusIvEENS9_8equal_toIvEEdEE10hipError_tPvRmT2_T3_T4_T5_mT6_T7_P12ihipStream_tbENKUlT_T0_E_clISt17integral_constantIbLb0EES11_EEDaSW_SX_EUlSW_E_NS1_11comp_targetILNS1_3genE9ELNS1_11target_archE1100ELNS1_3gpuE3ELNS1_3repE0EEENS1_30default_config_static_selectorELNS0_4arch9wavefront6targetE1EEEvT1_,@function
_ZN7rocprim17ROCPRIM_400000_NS6detail17trampoline_kernelINS0_14default_configENS1_27scan_by_key_config_selectorIidEEZZNS1_16scan_by_key_implILNS1_25lookback_scan_determinismE0ELb0ES3_N6thrust23THRUST_200600_302600_NS6detail15normal_iteratorINS9_10device_ptrIiEEEENSB_INSC_IdEEEESG_dNS9_4plusIvEENS9_8equal_toIvEEdEE10hipError_tPvRmT2_T3_T4_T5_mT6_T7_P12ihipStream_tbENKUlT_T0_E_clISt17integral_constantIbLb0EES11_EEDaSW_SX_EUlSW_E_NS1_11comp_targetILNS1_3genE9ELNS1_11target_archE1100ELNS1_3gpuE3ELNS1_3repE0EEENS1_30default_config_static_selectorELNS0_4arch9wavefront6targetE1EEEvT1_: ; @_ZN7rocprim17ROCPRIM_400000_NS6detail17trampoline_kernelINS0_14default_configENS1_27scan_by_key_config_selectorIidEEZZNS1_16scan_by_key_implILNS1_25lookback_scan_determinismE0ELb0ES3_N6thrust23THRUST_200600_302600_NS6detail15normal_iteratorINS9_10device_ptrIiEEEENSB_INSC_IdEEEESG_dNS9_4plusIvEENS9_8equal_toIvEEdEE10hipError_tPvRmT2_T3_T4_T5_mT6_T7_P12ihipStream_tbENKUlT_T0_E_clISt17integral_constantIbLb0EES11_EEDaSW_SX_EUlSW_E_NS1_11comp_targetILNS1_3genE9ELNS1_11target_archE1100ELNS1_3gpuE3ELNS1_3repE0EEENS1_30default_config_static_selectorELNS0_4arch9wavefront6targetE1EEEvT1_
; %bb.0:
	.section	.rodata,"a",@progbits
	.p2align	6, 0x0
	.amdhsa_kernel _ZN7rocprim17ROCPRIM_400000_NS6detail17trampoline_kernelINS0_14default_configENS1_27scan_by_key_config_selectorIidEEZZNS1_16scan_by_key_implILNS1_25lookback_scan_determinismE0ELb0ES3_N6thrust23THRUST_200600_302600_NS6detail15normal_iteratorINS9_10device_ptrIiEEEENSB_INSC_IdEEEESG_dNS9_4plusIvEENS9_8equal_toIvEEdEE10hipError_tPvRmT2_T3_T4_T5_mT6_T7_P12ihipStream_tbENKUlT_T0_E_clISt17integral_constantIbLb0EES11_EEDaSW_SX_EUlSW_E_NS1_11comp_targetILNS1_3genE9ELNS1_11target_archE1100ELNS1_3gpuE3ELNS1_3repE0EEENS1_30default_config_static_selectorELNS0_4arch9wavefront6targetE1EEEvT1_
		.amdhsa_group_segment_fixed_size 0
		.amdhsa_private_segment_fixed_size 0
		.amdhsa_kernarg_size 136
		.amdhsa_user_sgpr_count 2
		.amdhsa_user_sgpr_dispatch_ptr 0
		.amdhsa_user_sgpr_queue_ptr 0
		.amdhsa_user_sgpr_kernarg_segment_ptr 1
		.amdhsa_user_sgpr_dispatch_id 0
		.amdhsa_user_sgpr_kernarg_preload_length 0
		.amdhsa_user_sgpr_kernarg_preload_offset 0
		.amdhsa_user_sgpr_private_segment_size 0
		.amdhsa_uses_dynamic_stack 0
		.amdhsa_enable_private_segment 0
		.amdhsa_system_sgpr_workgroup_id_x 1
		.amdhsa_system_sgpr_workgroup_id_y 0
		.amdhsa_system_sgpr_workgroup_id_z 0
		.amdhsa_system_sgpr_workgroup_info 0
		.amdhsa_system_vgpr_workitem_id 0
		.amdhsa_next_free_vgpr 1
		.amdhsa_next_free_sgpr 0
		.amdhsa_accum_offset 4
		.amdhsa_reserve_vcc 0
		.amdhsa_float_round_mode_32 0
		.amdhsa_float_round_mode_16_64 0
		.amdhsa_float_denorm_mode_32 3
		.amdhsa_float_denorm_mode_16_64 3
		.amdhsa_dx10_clamp 1
		.amdhsa_ieee_mode 1
		.amdhsa_fp16_overflow 0
		.amdhsa_tg_split 0
		.amdhsa_exception_fp_ieee_invalid_op 0
		.amdhsa_exception_fp_denorm_src 0
		.amdhsa_exception_fp_ieee_div_zero 0
		.amdhsa_exception_fp_ieee_overflow 0
		.amdhsa_exception_fp_ieee_underflow 0
		.amdhsa_exception_fp_ieee_inexact 0
		.amdhsa_exception_int_div_zero 0
	.end_amdhsa_kernel
	.section	.text._ZN7rocprim17ROCPRIM_400000_NS6detail17trampoline_kernelINS0_14default_configENS1_27scan_by_key_config_selectorIidEEZZNS1_16scan_by_key_implILNS1_25lookback_scan_determinismE0ELb0ES3_N6thrust23THRUST_200600_302600_NS6detail15normal_iteratorINS9_10device_ptrIiEEEENSB_INSC_IdEEEESG_dNS9_4plusIvEENS9_8equal_toIvEEdEE10hipError_tPvRmT2_T3_T4_T5_mT6_T7_P12ihipStream_tbENKUlT_T0_E_clISt17integral_constantIbLb0EES11_EEDaSW_SX_EUlSW_E_NS1_11comp_targetILNS1_3genE9ELNS1_11target_archE1100ELNS1_3gpuE3ELNS1_3repE0EEENS1_30default_config_static_selectorELNS0_4arch9wavefront6targetE1EEEvT1_,"axG",@progbits,_ZN7rocprim17ROCPRIM_400000_NS6detail17trampoline_kernelINS0_14default_configENS1_27scan_by_key_config_selectorIidEEZZNS1_16scan_by_key_implILNS1_25lookback_scan_determinismE0ELb0ES3_N6thrust23THRUST_200600_302600_NS6detail15normal_iteratorINS9_10device_ptrIiEEEENSB_INSC_IdEEEESG_dNS9_4plusIvEENS9_8equal_toIvEEdEE10hipError_tPvRmT2_T3_T4_T5_mT6_T7_P12ihipStream_tbENKUlT_T0_E_clISt17integral_constantIbLb0EES11_EEDaSW_SX_EUlSW_E_NS1_11comp_targetILNS1_3genE9ELNS1_11target_archE1100ELNS1_3gpuE3ELNS1_3repE0EEENS1_30default_config_static_selectorELNS0_4arch9wavefront6targetE1EEEvT1_,comdat
.Lfunc_end1092:
	.size	_ZN7rocprim17ROCPRIM_400000_NS6detail17trampoline_kernelINS0_14default_configENS1_27scan_by_key_config_selectorIidEEZZNS1_16scan_by_key_implILNS1_25lookback_scan_determinismE0ELb0ES3_N6thrust23THRUST_200600_302600_NS6detail15normal_iteratorINS9_10device_ptrIiEEEENSB_INSC_IdEEEESG_dNS9_4plusIvEENS9_8equal_toIvEEdEE10hipError_tPvRmT2_T3_T4_T5_mT6_T7_P12ihipStream_tbENKUlT_T0_E_clISt17integral_constantIbLb0EES11_EEDaSW_SX_EUlSW_E_NS1_11comp_targetILNS1_3genE9ELNS1_11target_archE1100ELNS1_3gpuE3ELNS1_3repE0EEENS1_30default_config_static_selectorELNS0_4arch9wavefront6targetE1EEEvT1_, .Lfunc_end1092-_ZN7rocprim17ROCPRIM_400000_NS6detail17trampoline_kernelINS0_14default_configENS1_27scan_by_key_config_selectorIidEEZZNS1_16scan_by_key_implILNS1_25lookback_scan_determinismE0ELb0ES3_N6thrust23THRUST_200600_302600_NS6detail15normal_iteratorINS9_10device_ptrIiEEEENSB_INSC_IdEEEESG_dNS9_4plusIvEENS9_8equal_toIvEEdEE10hipError_tPvRmT2_T3_T4_T5_mT6_T7_P12ihipStream_tbENKUlT_T0_E_clISt17integral_constantIbLb0EES11_EEDaSW_SX_EUlSW_E_NS1_11comp_targetILNS1_3genE9ELNS1_11target_archE1100ELNS1_3gpuE3ELNS1_3repE0EEENS1_30default_config_static_selectorELNS0_4arch9wavefront6targetE1EEEvT1_
                                        ; -- End function
	.section	.AMDGPU.csdata,"",@progbits
; Kernel info:
; codeLenInByte = 0
; NumSgprs: 6
; NumVgprs: 0
; NumAgprs: 0
; TotalNumVgprs: 0
; ScratchSize: 0
; MemoryBound: 0
; FloatMode: 240
; IeeeMode: 1
; LDSByteSize: 0 bytes/workgroup (compile time only)
; SGPRBlocks: 0
; VGPRBlocks: 0
; NumSGPRsForWavesPerEU: 6
; NumVGPRsForWavesPerEU: 1
; AccumOffset: 4
; Occupancy: 8
; WaveLimiterHint : 0
; COMPUTE_PGM_RSRC2:SCRATCH_EN: 0
; COMPUTE_PGM_RSRC2:USER_SGPR: 2
; COMPUTE_PGM_RSRC2:TRAP_HANDLER: 0
; COMPUTE_PGM_RSRC2:TGID_X_EN: 1
; COMPUTE_PGM_RSRC2:TGID_Y_EN: 0
; COMPUTE_PGM_RSRC2:TGID_Z_EN: 0
; COMPUTE_PGM_RSRC2:TIDIG_COMP_CNT: 0
; COMPUTE_PGM_RSRC3_GFX90A:ACCUM_OFFSET: 0
; COMPUTE_PGM_RSRC3_GFX90A:TG_SPLIT: 0
	.section	.text._ZN7rocprim17ROCPRIM_400000_NS6detail17trampoline_kernelINS0_14default_configENS1_27scan_by_key_config_selectorIidEEZZNS1_16scan_by_key_implILNS1_25lookback_scan_determinismE0ELb0ES3_N6thrust23THRUST_200600_302600_NS6detail15normal_iteratorINS9_10device_ptrIiEEEENSB_INSC_IdEEEESG_dNS9_4plusIvEENS9_8equal_toIvEEdEE10hipError_tPvRmT2_T3_T4_T5_mT6_T7_P12ihipStream_tbENKUlT_T0_E_clISt17integral_constantIbLb0EES11_EEDaSW_SX_EUlSW_E_NS1_11comp_targetILNS1_3genE8ELNS1_11target_archE1030ELNS1_3gpuE2ELNS1_3repE0EEENS1_30default_config_static_selectorELNS0_4arch9wavefront6targetE1EEEvT1_,"axG",@progbits,_ZN7rocprim17ROCPRIM_400000_NS6detail17trampoline_kernelINS0_14default_configENS1_27scan_by_key_config_selectorIidEEZZNS1_16scan_by_key_implILNS1_25lookback_scan_determinismE0ELb0ES3_N6thrust23THRUST_200600_302600_NS6detail15normal_iteratorINS9_10device_ptrIiEEEENSB_INSC_IdEEEESG_dNS9_4plusIvEENS9_8equal_toIvEEdEE10hipError_tPvRmT2_T3_T4_T5_mT6_T7_P12ihipStream_tbENKUlT_T0_E_clISt17integral_constantIbLb0EES11_EEDaSW_SX_EUlSW_E_NS1_11comp_targetILNS1_3genE8ELNS1_11target_archE1030ELNS1_3gpuE2ELNS1_3repE0EEENS1_30default_config_static_selectorELNS0_4arch9wavefront6targetE1EEEvT1_,comdat
	.protected	_ZN7rocprim17ROCPRIM_400000_NS6detail17trampoline_kernelINS0_14default_configENS1_27scan_by_key_config_selectorIidEEZZNS1_16scan_by_key_implILNS1_25lookback_scan_determinismE0ELb0ES3_N6thrust23THRUST_200600_302600_NS6detail15normal_iteratorINS9_10device_ptrIiEEEENSB_INSC_IdEEEESG_dNS9_4plusIvEENS9_8equal_toIvEEdEE10hipError_tPvRmT2_T3_T4_T5_mT6_T7_P12ihipStream_tbENKUlT_T0_E_clISt17integral_constantIbLb0EES11_EEDaSW_SX_EUlSW_E_NS1_11comp_targetILNS1_3genE8ELNS1_11target_archE1030ELNS1_3gpuE2ELNS1_3repE0EEENS1_30default_config_static_selectorELNS0_4arch9wavefront6targetE1EEEvT1_ ; -- Begin function _ZN7rocprim17ROCPRIM_400000_NS6detail17trampoline_kernelINS0_14default_configENS1_27scan_by_key_config_selectorIidEEZZNS1_16scan_by_key_implILNS1_25lookback_scan_determinismE0ELb0ES3_N6thrust23THRUST_200600_302600_NS6detail15normal_iteratorINS9_10device_ptrIiEEEENSB_INSC_IdEEEESG_dNS9_4plusIvEENS9_8equal_toIvEEdEE10hipError_tPvRmT2_T3_T4_T5_mT6_T7_P12ihipStream_tbENKUlT_T0_E_clISt17integral_constantIbLb0EES11_EEDaSW_SX_EUlSW_E_NS1_11comp_targetILNS1_3genE8ELNS1_11target_archE1030ELNS1_3gpuE2ELNS1_3repE0EEENS1_30default_config_static_selectorELNS0_4arch9wavefront6targetE1EEEvT1_
	.globl	_ZN7rocprim17ROCPRIM_400000_NS6detail17trampoline_kernelINS0_14default_configENS1_27scan_by_key_config_selectorIidEEZZNS1_16scan_by_key_implILNS1_25lookback_scan_determinismE0ELb0ES3_N6thrust23THRUST_200600_302600_NS6detail15normal_iteratorINS9_10device_ptrIiEEEENSB_INSC_IdEEEESG_dNS9_4plusIvEENS9_8equal_toIvEEdEE10hipError_tPvRmT2_T3_T4_T5_mT6_T7_P12ihipStream_tbENKUlT_T0_E_clISt17integral_constantIbLb0EES11_EEDaSW_SX_EUlSW_E_NS1_11comp_targetILNS1_3genE8ELNS1_11target_archE1030ELNS1_3gpuE2ELNS1_3repE0EEENS1_30default_config_static_selectorELNS0_4arch9wavefront6targetE1EEEvT1_
	.p2align	8
	.type	_ZN7rocprim17ROCPRIM_400000_NS6detail17trampoline_kernelINS0_14default_configENS1_27scan_by_key_config_selectorIidEEZZNS1_16scan_by_key_implILNS1_25lookback_scan_determinismE0ELb0ES3_N6thrust23THRUST_200600_302600_NS6detail15normal_iteratorINS9_10device_ptrIiEEEENSB_INSC_IdEEEESG_dNS9_4plusIvEENS9_8equal_toIvEEdEE10hipError_tPvRmT2_T3_T4_T5_mT6_T7_P12ihipStream_tbENKUlT_T0_E_clISt17integral_constantIbLb0EES11_EEDaSW_SX_EUlSW_E_NS1_11comp_targetILNS1_3genE8ELNS1_11target_archE1030ELNS1_3gpuE2ELNS1_3repE0EEENS1_30default_config_static_selectorELNS0_4arch9wavefront6targetE1EEEvT1_,@function
_ZN7rocprim17ROCPRIM_400000_NS6detail17trampoline_kernelINS0_14default_configENS1_27scan_by_key_config_selectorIidEEZZNS1_16scan_by_key_implILNS1_25lookback_scan_determinismE0ELb0ES3_N6thrust23THRUST_200600_302600_NS6detail15normal_iteratorINS9_10device_ptrIiEEEENSB_INSC_IdEEEESG_dNS9_4plusIvEENS9_8equal_toIvEEdEE10hipError_tPvRmT2_T3_T4_T5_mT6_T7_P12ihipStream_tbENKUlT_T0_E_clISt17integral_constantIbLb0EES11_EEDaSW_SX_EUlSW_E_NS1_11comp_targetILNS1_3genE8ELNS1_11target_archE1030ELNS1_3gpuE2ELNS1_3repE0EEENS1_30default_config_static_selectorELNS0_4arch9wavefront6targetE1EEEvT1_: ; @_ZN7rocprim17ROCPRIM_400000_NS6detail17trampoline_kernelINS0_14default_configENS1_27scan_by_key_config_selectorIidEEZZNS1_16scan_by_key_implILNS1_25lookback_scan_determinismE0ELb0ES3_N6thrust23THRUST_200600_302600_NS6detail15normal_iteratorINS9_10device_ptrIiEEEENSB_INSC_IdEEEESG_dNS9_4plusIvEENS9_8equal_toIvEEdEE10hipError_tPvRmT2_T3_T4_T5_mT6_T7_P12ihipStream_tbENKUlT_T0_E_clISt17integral_constantIbLb0EES11_EEDaSW_SX_EUlSW_E_NS1_11comp_targetILNS1_3genE8ELNS1_11target_archE1030ELNS1_3gpuE2ELNS1_3repE0EEENS1_30default_config_static_selectorELNS0_4arch9wavefront6targetE1EEEvT1_
; %bb.0:
	.section	.rodata,"a",@progbits
	.p2align	6, 0x0
	.amdhsa_kernel _ZN7rocprim17ROCPRIM_400000_NS6detail17trampoline_kernelINS0_14default_configENS1_27scan_by_key_config_selectorIidEEZZNS1_16scan_by_key_implILNS1_25lookback_scan_determinismE0ELb0ES3_N6thrust23THRUST_200600_302600_NS6detail15normal_iteratorINS9_10device_ptrIiEEEENSB_INSC_IdEEEESG_dNS9_4plusIvEENS9_8equal_toIvEEdEE10hipError_tPvRmT2_T3_T4_T5_mT6_T7_P12ihipStream_tbENKUlT_T0_E_clISt17integral_constantIbLb0EES11_EEDaSW_SX_EUlSW_E_NS1_11comp_targetILNS1_3genE8ELNS1_11target_archE1030ELNS1_3gpuE2ELNS1_3repE0EEENS1_30default_config_static_selectorELNS0_4arch9wavefront6targetE1EEEvT1_
		.amdhsa_group_segment_fixed_size 0
		.amdhsa_private_segment_fixed_size 0
		.amdhsa_kernarg_size 136
		.amdhsa_user_sgpr_count 2
		.amdhsa_user_sgpr_dispatch_ptr 0
		.amdhsa_user_sgpr_queue_ptr 0
		.amdhsa_user_sgpr_kernarg_segment_ptr 1
		.amdhsa_user_sgpr_dispatch_id 0
		.amdhsa_user_sgpr_kernarg_preload_length 0
		.amdhsa_user_sgpr_kernarg_preload_offset 0
		.amdhsa_user_sgpr_private_segment_size 0
		.amdhsa_uses_dynamic_stack 0
		.amdhsa_enable_private_segment 0
		.amdhsa_system_sgpr_workgroup_id_x 1
		.amdhsa_system_sgpr_workgroup_id_y 0
		.amdhsa_system_sgpr_workgroup_id_z 0
		.amdhsa_system_sgpr_workgroup_info 0
		.amdhsa_system_vgpr_workitem_id 0
		.amdhsa_next_free_vgpr 1
		.amdhsa_next_free_sgpr 0
		.amdhsa_accum_offset 4
		.amdhsa_reserve_vcc 0
		.amdhsa_float_round_mode_32 0
		.amdhsa_float_round_mode_16_64 0
		.amdhsa_float_denorm_mode_32 3
		.amdhsa_float_denorm_mode_16_64 3
		.amdhsa_dx10_clamp 1
		.amdhsa_ieee_mode 1
		.amdhsa_fp16_overflow 0
		.amdhsa_tg_split 0
		.amdhsa_exception_fp_ieee_invalid_op 0
		.amdhsa_exception_fp_denorm_src 0
		.amdhsa_exception_fp_ieee_div_zero 0
		.amdhsa_exception_fp_ieee_overflow 0
		.amdhsa_exception_fp_ieee_underflow 0
		.amdhsa_exception_fp_ieee_inexact 0
		.amdhsa_exception_int_div_zero 0
	.end_amdhsa_kernel
	.section	.text._ZN7rocprim17ROCPRIM_400000_NS6detail17trampoline_kernelINS0_14default_configENS1_27scan_by_key_config_selectorIidEEZZNS1_16scan_by_key_implILNS1_25lookback_scan_determinismE0ELb0ES3_N6thrust23THRUST_200600_302600_NS6detail15normal_iteratorINS9_10device_ptrIiEEEENSB_INSC_IdEEEESG_dNS9_4plusIvEENS9_8equal_toIvEEdEE10hipError_tPvRmT2_T3_T4_T5_mT6_T7_P12ihipStream_tbENKUlT_T0_E_clISt17integral_constantIbLb0EES11_EEDaSW_SX_EUlSW_E_NS1_11comp_targetILNS1_3genE8ELNS1_11target_archE1030ELNS1_3gpuE2ELNS1_3repE0EEENS1_30default_config_static_selectorELNS0_4arch9wavefront6targetE1EEEvT1_,"axG",@progbits,_ZN7rocprim17ROCPRIM_400000_NS6detail17trampoline_kernelINS0_14default_configENS1_27scan_by_key_config_selectorIidEEZZNS1_16scan_by_key_implILNS1_25lookback_scan_determinismE0ELb0ES3_N6thrust23THRUST_200600_302600_NS6detail15normal_iteratorINS9_10device_ptrIiEEEENSB_INSC_IdEEEESG_dNS9_4plusIvEENS9_8equal_toIvEEdEE10hipError_tPvRmT2_T3_T4_T5_mT6_T7_P12ihipStream_tbENKUlT_T0_E_clISt17integral_constantIbLb0EES11_EEDaSW_SX_EUlSW_E_NS1_11comp_targetILNS1_3genE8ELNS1_11target_archE1030ELNS1_3gpuE2ELNS1_3repE0EEENS1_30default_config_static_selectorELNS0_4arch9wavefront6targetE1EEEvT1_,comdat
.Lfunc_end1093:
	.size	_ZN7rocprim17ROCPRIM_400000_NS6detail17trampoline_kernelINS0_14default_configENS1_27scan_by_key_config_selectorIidEEZZNS1_16scan_by_key_implILNS1_25lookback_scan_determinismE0ELb0ES3_N6thrust23THRUST_200600_302600_NS6detail15normal_iteratorINS9_10device_ptrIiEEEENSB_INSC_IdEEEESG_dNS9_4plusIvEENS9_8equal_toIvEEdEE10hipError_tPvRmT2_T3_T4_T5_mT6_T7_P12ihipStream_tbENKUlT_T0_E_clISt17integral_constantIbLb0EES11_EEDaSW_SX_EUlSW_E_NS1_11comp_targetILNS1_3genE8ELNS1_11target_archE1030ELNS1_3gpuE2ELNS1_3repE0EEENS1_30default_config_static_selectorELNS0_4arch9wavefront6targetE1EEEvT1_, .Lfunc_end1093-_ZN7rocprim17ROCPRIM_400000_NS6detail17trampoline_kernelINS0_14default_configENS1_27scan_by_key_config_selectorIidEEZZNS1_16scan_by_key_implILNS1_25lookback_scan_determinismE0ELb0ES3_N6thrust23THRUST_200600_302600_NS6detail15normal_iteratorINS9_10device_ptrIiEEEENSB_INSC_IdEEEESG_dNS9_4plusIvEENS9_8equal_toIvEEdEE10hipError_tPvRmT2_T3_T4_T5_mT6_T7_P12ihipStream_tbENKUlT_T0_E_clISt17integral_constantIbLb0EES11_EEDaSW_SX_EUlSW_E_NS1_11comp_targetILNS1_3genE8ELNS1_11target_archE1030ELNS1_3gpuE2ELNS1_3repE0EEENS1_30default_config_static_selectorELNS0_4arch9wavefront6targetE1EEEvT1_
                                        ; -- End function
	.section	.AMDGPU.csdata,"",@progbits
; Kernel info:
; codeLenInByte = 0
; NumSgprs: 6
; NumVgprs: 0
; NumAgprs: 0
; TotalNumVgprs: 0
; ScratchSize: 0
; MemoryBound: 0
; FloatMode: 240
; IeeeMode: 1
; LDSByteSize: 0 bytes/workgroup (compile time only)
; SGPRBlocks: 0
; VGPRBlocks: 0
; NumSGPRsForWavesPerEU: 6
; NumVGPRsForWavesPerEU: 1
; AccumOffset: 4
; Occupancy: 8
; WaveLimiterHint : 0
; COMPUTE_PGM_RSRC2:SCRATCH_EN: 0
; COMPUTE_PGM_RSRC2:USER_SGPR: 2
; COMPUTE_PGM_RSRC2:TRAP_HANDLER: 0
; COMPUTE_PGM_RSRC2:TGID_X_EN: 1
; COMPUTE_PGM_RSRC2:TGID_Y_EN: 0
; COMPUTE_PGM_RSRC2:TGID_Z_EN: 0
; COMPUTE_PGM_RSRC2:TIDIG_COMP_CNT: 0
; COMPUTE_PGM_RSRC3_GFX90A:ACCUM_OFFSET: 0
; COMPUTE_PGM_RSRC3_GFX90A:TG_SPLIT: 0
	.section	.text._ZN7rocprim17ROCPRIM_400000_NS6detail30init_device_scan_by_key_kernelINS1_19lookback_scan_stateINS0_5tupleIJdbEEELb1ELb0EEEN6thrust23THRUST_200600_302600_NS6detail15normal_iteratorINS8_10device_ptrIiEEEEjNS1_16block_id_wrapperIjLb1EEEEEvT_jjPNSG_10value_typeET0_PNSt15iterator_traitsISJ_E10value_typeEmT1_T2_,"axG",@progbits,_ZN7rocprim17ROCPRIM_400000_NS6detail30init_device_scan_by_key_kernelINS1_19lookback_scan_stateINS0_5tupleIJdbEEELb1ELb0EEEN6thrust23THRUST_200600_302600_NS6detail15normal_iteratorINS8_10device_ptrIiEEEEjNS1_16block_id_wrapperIjLb1EEEEEvT_jjPNSG_10value_typeET0_PNSt15iterator_traitsISJ_E10value_typeEmT1_T2_,comdat
	.protected	_ZN7rocprim17ROCPRIM_400000_NS6detail30init_device_scan_by_key_kernelINS1_19lookback_scan_stateINS0_5tupleIJdbEEELb1ELb0EEEN6thrust23THRUST_200600_302600_NS6detail15normal_iteratorINS8_10device_ptrIiEEEEjNS1_16block_id_wrapperIjLb1EEEEEvT_jjPNSG_10value_typeET0_PNSt15iterator_traitsISJ_E10value_typeEmT1_T2_ ; -- Begin function _ZN7rocprim17ROCPRIM_400000_NS6detail30init_device_scan_by_key_kernelINS1_19lookback_scan_stateINS0_5tupleIJdbEEELb1ELb0EEEN6thrust23THRUST_200600_302600_NS6detail15normal_iteratorINS8_10device_ptrIiEEEEjNS1_16block_id_wrapperIjLb1EEEEEvT_jjPNSG_10value_typeET0_PNSt15iterator_traitsISJ_E10value_typeEmT1_T2_
	.globl	_ZN7rocprim17ROCPRIM_400000_NS6detail30init_device_scan_by_key_kernelINS1_19lookback_scan_stateINS0_5tupleIJdbEEELb1ELb0EEEN6thrust23THRUST_200600_302600_NS6detail15normal_iteratorINS8_10device_ptrIiEEEEjNS1_16block_id_wrapperIjLb1EEEEEvT_jjPNSG_10value_typeET0_PNSt15iterator_traitsISJ_E10value_typeEmT1_T2_
	.p2align	8
	.type	_ZN7rocprim17ROCPRIM_400000_NS6detail30init_device_scan_by_key_kernelINS1_19lookback_scan_stateINS0_5tupleIJdbEEELb1ELb0EEEN6thrust23THRUST_200600_302600_NS6detail15normal_iteratorINS8_10device_ptrIiEEEEjNS1_16block_id_wrapperIjLb1EEEEEvT_jjPNSG_10value_typeET0_PNSt15iterator_traitsISJ_E10value_typeEmT1_T2_,@function
_ZN7rocprim17ROCPRIM_400000_NS6detail30init_device_scan_by_key_kernelINS1_19lookback_scan_stateINS0_5tupleIJdbEEELb1ELb0EEEN6thrust23THRUST_200600_302600_NS6detail15normal_iteratorINS8_10device_ptrIiEEEEjNS1_16block_id_wrapperIjLb1EEEEEvT_jjPNSG_10value_typeET0_PNSt15iterator_traitsISJ_E10value_typeEmT1_T2_: ; @_ZN7rocprim17ROCPRIM_400000_NS6detail30init_device_scan_by_key_kernelINS1_19lookback_scan_stateINS0_5tupleIJdbEEELb1ELb0EEEN6thrust23THRUST_200600_302600_NS6detail15normal_iteratorINS8_10device_ptrIiEEEEjNS1_16block_id_wrapperIjLb1EEEEEvT_jjPNSG_10value_typeET0_PNSt15iterator_traitsISJ_E10value_typeEmT1_T2_
; %bb.0:
	s_load_dword s3, s[0:1], 0x5c
	s_load_dwordx8 s[4:11], s[0:1], 0x10
	s_load_dword s20, s[0:1], 0x50
	s_waitcnt lgkmcnt(0)
	s_and_b32 s21, s3, 0xffff
	s_mul_i32 s2, s2, s21
	s_cmp_eq_u64 s[8:9], 0
	v_add_u32_e32 v0, s2, v0
	s_cbranch_scc1 .LBB1094_11
; %bb.1:
	s_cmp_lt_u32 s7, s6
	s_cselect_b32 s2, s7, 0
	s_mov_b32 s17, 0
	v_cmp_eq_u32_e32 vcc, s2, v0
	s_and_saveexec_b64 s[2:3], vcc
	s_cbranch_execz .LBB1094_10
; %bb.2:
	s_add_i32 s16, s7, 64
	v_mov_b32_e32 v1, s16
	global_load_ubyte v1, v1, s[4:5] sc1
	s_load_dwordx4 s[12:15], s[0:1], 0x0
	s_add_u32 s18, s4, s16
	s_addc_u32 s19, s5, 0
	s_waitcnt vmcnt(0)
	v_cmp_ne_u16_e32 vcc, 0, v1
	v_readfirstlane_b32 s7, v1
	s_cbranch_vccz .LBB1094_4
; %bb.3:
	s_and_b32 s7, 0xffff, s7
	s_branch .LBB1094_9
.LBB1094_4:
	s_mov_b32 s7, 1
	v_mov_b32_e32 v1, 0
.LBB1094_5:                             ; =>This Loop Header: Depth=1
                                        ;     Child Loop BB1094_6 Depth 2
	s_max_u32 s22, s7, 1
.LBB1094_6:                             ;   Parent Loop BB1094_5 Depth=1
                                        ; =>  This Inner Loop Header: Depth=2
	s_add_i32 s22, s22, -1
	s_cmp_eq_u32 s22, 0
	s_sleep 1
	s_cbranch_scc0 .LBB1094_6
; %bb.7:                                ;   in Loop: Header=BB1094_5 Depth=1
	global_load_ubyte v2, v1, s[18:19] sc1
	s_cmp_lt_u32 s7, 32
	s_cselect_b64 s[22:23], -1, 0
	s_cmp_lg_u64 s[22:23], 0
	s_addc_u32 s7, s7, 0
	s_waitcnt vmcnt(0)
	v_cmp_ne_u16_e32 vcc, 0, v2
	v_readfirstlane_b32 s22, v2
	s_cbranch_vccz .LBB1094_5
; %bb.8:
	s_and_b32 s7, 0xffff, s22
.LBB1094_9:
	s_cmp_eq_u32 s7, 1
	s_waitcnt lgkmcnt(0)
	s_cselect_b32 s7, s13, s15
	s_cselect_b32 s14, s12, s14
	s_lshl_b64 s[12:13], s[16:17], 4
	s_add_u32 s12, s14, s12
	s_addc_u32 s13, s7, s13
	v_mov_b32_e32 v1, 0
	s_waitcnt vmcnt(0)
	global_load_dword v2, v1, s[12:13] sc1
	global_load_dword v3, v1, s[12:13] offset:4 sc1
	global_load_dword v4, v1, s[12:13] offset:8 sc1
	;; [unrolled: 1-line block ×3, first 2 shown]
	s_waitcnt vmcnt(2)
	global_store_dwordx2 v1, v[2:3], s[8:9]
	s_waitcnt vmcnt(2)
	global_store_byte v1, v4, s[8:9] offset:8
.LBB1094_10:
	s_or_b64 exec, exec, s[2:3]
.LBB1094_11:
	v_cmp_eq_u32_e32 vcc, 0, v0
	s_and_saveexec_b64 s[2:3], vcc
	s_cbranch_execz .LBB1094_13
; %bb.12:
	s_load_dwordx2 s[8:9], s[0:1], 0x48
	v_mov_b32_e32 v1, 0
	s_waitcnt lgkmcnt(0)
	global_store_dword v1, v1, s[8:9]
.LBB1094_13:
	s_or_b64 exec, exec, s[2:3]
	v_cmp_gt_u32_e32 vcc, s6, v0
	s_and_saveexec_b64 s[2:3], vcc
	s_cbranch_execz .LBB1094_15
; %bb.14:
	v_add_u32_e32 v1, 64, v0
	v_mov_b32_e32 v2, 0
	global_store_byte v1, v2, s[4:5]
.LBB1094_15:
	s_or_b64 exec, exec, s[2:3]
	v_cmp_gt_u32_e32 vcc, 64, v0
	v_mov_b32_e32 v1, 0
	s_and_saveexec_b64 s[2:3], vcc
	s_cbranch_execz .LBB1094_17
; %bb.16:
	v_lshl_add_u64 v[2:3], s[4:5], 0, v[0:1]
	v_mov_b32_e32 v4, 0xff
	global_store_byte v[2:3], v4, off
.LBB1094_17:
	s_or_b64 exec, exec, s[2:3]
	s_load_dwordx2 s[2:3], s[0:1], 0x38
	s_waitcnt lgkmcnt(0)
	v_cmp_gt_u64_e32 vcc, s[2:3], v[0:1]
	s_and_saveexec_b64 s[4:5], vcc
	s_cbranch_execz .LBB1094_20
; %bb.18:
	s_load_dword s12, s[0:1], 0x40
	s_load_dwordx2 s[6:7], s[0:1], 0x30
	s_mov_b32 s5, 0
	s_mov_b32 s1, s5
	s_mul_i32 s0, s20, s21
	s_waitcnt lgkmcnt(0)
	s_add_i32 s4, s12, -1
	s_lshl_b64 s[4:5], s[4:5], 2
	s_add_u32 s4, s10, s4
	v_mad_u64_u32 v[2:3], s[8:9], s12, v0, 0
	s_addc_u32 s5, s11, s5
	v_lshl_add_u64 v[2:3], v[2:3], 2, s[4:5]
	s_mul_hi_u32 s5, s12, s0
	s_mul_i32 s4, s12, s0
	s_lshl_b64 s[4:5], s[4:5], 2
	s_waitcnt vmcnt(2)
	v_lshl_add_u64 v[4:5], v[0:1], 2, s[6:7]
	s_lshl_b64 s[6:7], s[0:1], 2
	s_mov_b64 s[8:9], 0
.LBB1094_19:                            ; =>This Inner Loop Header: Depth=1
	global_load_dword v6, v[2:3], off
	v_lshl_add_u64 v[0:1], v[0:1], 0, s[0:1]
	v_cmp_le_u64_e32 vcc, s[2:3], v[0:1]
	v_lshl_add_u64 v[2:3], v[2:3], 0, s[4:5]
	s_or_b64 s[8:9], vcc, s[8:9]
	s_waitcnt vmcnt(0)
	global_store_dword v[4:5], v6, off
	v_lshl_add_u64 v[4:5], v[4:5], 0, s[6:7]
	s_andn2_b64 exec, exec, s[8:9]
	s_cbranch_execnz .LBB1094_19
.LBB1094_20:
	s_endpgm
	.section	.rodata,"a",@progbits
	.p2align	6, 0x0
	.amdhsa_kernel _ZN7rocprim17ROCPRIM_400000_NS6detail30init_device_scan_by_key_kernelINS1_19lookback_scan_stateINS0_5tupleIJdbEEELb1ELb0EEEN6thrust23THRUST_200600_302600_NS6detail15normal_iteratorINS8_10device_ptrIiEEEEjNS1_16block_id_wrapperIjLb1EEEEEvT_jjPNSG_10value_typeET0_PNSt15iterator_traitsISJ_E10value_typeEmT1_T2_
		.amdhsa_group_segment_fixed_size 0
		.amdhsa_private_segment_fixed_size 0
		.amdhsa_kernarg_size 336
		.amdhsa_user_sgpr_count 2
		.amdhsa_user_sgpr_dispatch_ptr 0
		.amdhsa_user_sgpr_queue_ptr 0
		.amdhsa_user_sgpr_kernarg_segment_ptr 1
		.amdhsa_user_sgpr_dispatch_id 0
		.amdhsa_user_sgpr_kernarg_preload_length 0
		.amdhsa_user_sgpr_kernarg_preload_offset 0
		.amdhsa_user_sgpr_private_segment_size 0
		.amdhsa_uses_dynamic_stack 0
		.amdhsa_enable_private_segment 0
		.amdhsa_system_sgpr_workgroup_id_x 1
		.amdhsa_system_sgpr_workgroup_id_y 0
		.amdhsa_system_sgpr_workgroup_id_z 0
		.amdhsa_system_sgpr_workgroup_info 0
		.amdhsa_system_vgpr_workitem_id 0
		.amdhsa_next_free_vgpr 7
		.amdhsa_next_free_sgpr 24
		.amdhsa_accum_offset 8
		.amdhsa_reserve_vcc 1
		.amdhsa_float_round_mode_32 0
		.amdhsa_float_round_mode_16_64 0
		.amdhsa_float_denorm_mode_32 3
		.amdhsa_float_denorm_mode_16_64 3
		.amdhsa_dx10_clamp 1
		.amdhsa_ieee_mode 1
		.amdhsa_fp16_overflow 0
		.amdhsa_tg_split 0
		.amdhsa_exception_fp_ieee_invalid_op 0
		.amdhsa_exception_fp_denorm_src 0
		.amdhsa_exception_fp_ieee_div_zero 0
		.amdhsa_exception_fp_ieee_overflow 0
		.amdhsa_exception_fp_ieee_underflow 0
		.amdhsa_exception_fp_ieee_inexact 0
		.amdhsa_exception_int_div_zero 0
	.end_amdhsa_kernel
	.section	.text._ZN7rocprim17ROCPRIM_400000_NS6detail30init_device_scan_by_key_kernelINS1_19lookback_scan_stateINS0_5tupleIJdbEEELb1ELb0EEEN6thrust23THRUST_200600_302600_NS6detail15normal_iteratorINS8_10device_ptrIiEEEEjNS1_16block_id_wrapperIjLb1EEEEEvT_jjPNSG_10value_typeET0_PNSt15iterator_traitsISJ_E10value_typeEmT1_T2_,"axG",@progbits,_ZN7rocprim17ROCPRIM_400000_NS6detail30init_device_scan_by_key_kernelINS1_19lookback_scan_stateINS0_5tupleIJdbEEELb1ELb0EEEN6thrust23THRUST_200600_302600_NS6detail15normal_iteratorINS8_10device_ptrIiEEEEjNS1_16block_id_wrapperIjLb1EEEEEvT_jjPNSG_10value_typeET0_PNSt15iterator_traitsISJ_E10value_typeEmT1_T2_,comdat
.Lfunc_end1094:
	.size	_ZN7rocprim17ROCPRIM_400000_NS6detail30init_device_scan_by_key_kernelINS1_19lookback_scan_stateINS0_5tupleIJdbEEELb1ELb0EEEN6thrust23THRUST_200600_302600_NS6detail15normal_iteratorINS8_10device_ptrIiEEEEjNS1_16block_id_wrapperIjLb1EEEEEvT_jjPNSG_10value_typeET0_PNSt15iterator_traitsISJ_E10value_typeEmT1_T2_, .Lfunc_end1094-_ZN7rocprim17ROCPRIM_400000_NS6detail30init_device_scan_by_key_kernelINS1_19lookback_scan_stateINS0_5tupleIJdbEEELb1ELb0EEEN6thrust23THRUST_200600_302600_NS6detail15normal_iteratorINS8_10device_ptrIiEEEEjNS1_16block_id_wrapperIjLb1EEEEEvT_jjPNSG_10value_typeET0_PNSt15iterator_traitsISJ_E10value_typeEmT1_T2_
                                        ; -- End function
	.section	.AMDGPU.csdata,"",@progbits
; Kernel info:
; codeLenInByte = 608
; NumSgprs: 30
; NumVgprs: 7
; NumAgprs: 0
; TotalNumVgprs: 7
; ScratchSize: 0
; MemoryBound: 0
; FloatMode: 240
; IeeeMode: 1
; LDSByteSize: 0 bytes/workgroup (compile time only)
; SGPRBlocks: 3
; VGPRBlocks: 0
; NumSGPRsForWavesPerEU: 30
; NumVGPRsForWavesPerEU: 7
; AccumOffset: 8
; Occupancy: 8
; WaveLimiterHint : 0
; COMPUTE_PGM_RSRC2:SCRATCH_EN: 0
; COMPUTE_PGM_RSRC2:USER_SGPR: 2
; COMPUTE_PGM_RSRC2:TRAP_HANDLER: 0
; COMPUTE_PGM_RSRC2:TGID_X_EN: 1
; COMPUTE_PGM_RSRC2:TGID_Y_EN: 0
; COMPUTE_PGM_RSRC2:TGID_Z_EN: 0
; COMPUTE_PGM_RSRC2:TIDIG_COMP_CNT: 0
; COMPUTE_PGM_RSRC3_GFX90A:ACCUM_OFFSET: 1
; COMPUTE_PGM_RSRC3_GFX90A:TG_SPLIT: 0
	.section	.text._ZN7rocprim17ROCPRIM_400000_NS6detail30init_device_scan_by_key_kernelINS1_19lookback_scan_stateINS0_5tupleIJdbEEELb1ELb0EEENS1_16block_id_wrapperIjLb1EEEEEvT_jjPNS9_10value_typeET0_,"axG",@progbits,_ZN7rocprim17ROCPRIM_400000_NS6detail30init_device_scan_by_key_kernelINS1_19lookback_scan_stateINS0_5tupleIJdbEEELb1ELb0EEENS1_16block_id_wrapperIjLb1EEEEEvT_jjPNS9_10value_typeET0_,comdat
	.protected	_ZN7rocprim17ROCPRIM_400000_NS6detail30init_device_scan_by_key_kernelINS1_19lookback_scan_stateINS0_5tupleIJdbEEELb1ELb0EEENS1_16block_id_wrapperIjLb1EEEEEvT_jjPNS9_10value_typeET0_ ; -- Begin function _ZN7rocprim17ROCPRIM_400000_NS6detail30init_device_scan_by_key_kernelINS1_19lookback_scan_stateINS0_5tupleIJdbEEELb1ELb0EEENS1_16block_id_wrapperIjLb1EEEEEvT_jjPNS9_10value_typeET0_
	.globl	_ZN7rocprim17ROCPRIM_400000_NS6detail30init_device_scan_by_key_kernelINS1_19lookback_scan_stateINS0_5tupleIJdbEEELb1ELb0EEENS1_16block_id_wrapperIjLb1EEEEEvT_jjPNS9_10value_typeET0_
	.p2align	8
	.type	_ZN7rocprim17ROCPRIM_400000_NS6detail30init_device_scan_by_key_kernelINS1_19lookback_scan_stateINS0_5tupleIJdbEEELb1ELb0EEENS1_16block_id_wrapperIjLb1EEEEEvT_jjPNS9_10value_typeET0_,@function
_ZN7rocprim17ROCPRIM_400000_NS6detail30init_device_scan_by_key_kernelINS1_19lookback_scan_stateINS0_5tupleIJdbEEELb1ELb0EEENS1_16block_id_wrapperIjLb1EEEEEvT_jjPNS9_10value_typeET0_: ; @_ZN7rocprim17ROCPRIM_400000_NS6detail30init_device_scan_by_key_kernelINS1_19lookback_scan_stateINS0_5tupleIJdbEEELb1ELb0EEENS1_16block_id_wrapperIjLb1EEEEEvT_jjPNS9_10value_typeET0_
; %bb.0:
	s_load_dword s3, s[0:1], 0x3c
	s_load_dwordx8 s[4:11], s[0:1], 0x10
	s_waitcnt lgkmcnt(0)
	s_and_b32 s3, s3, 0xffff
	s_mul_i32 s2, s2, s3
	s_cmp_eq_u64 s[8:9], 0
	v_add_u32_e32 v0, s2, v0
	s_cbranch_scc1 .LBB1095_11
; %bb.1:
	s_cmp_lt_u32 s7, s6
	s_cselect_b32 s2, s7, 0
	s_mov_b32 s15, 0
	v_cmp_eq_u32_e32 vcc, s2, v0
	s_and_saveexec_b64 s[12:13], vcc
	s_cbranch_execz .LBB1095_10
; %bb.2:
	s_add_i32 s14, s7, 64
	v_mov_b32_e32 v1, s14
	global_load_ubyte v1, v1, s[4:5] sc1
	s_load_dwordx4 s[0:3], s[0:1], 0x0
	s_add_u32 s16, s4, s14
	s_addc_u32 s17, s5, 0
	s_waitcnt vmcnt(0)
	v_cmp_ne_u16_e32 vcc, 0, v1
	v_readfirstlane_b32 s7, v1
	s_cbranch_vccz .LBB1095_4
; %bb.3:
	s_and_b32 s7, 0xffff, s7
	s_branch .LBB1095_9
.LBB1095_4:
	s_mov_b32 s7, 1
	v_mov_b32_e32 v1, 0
.LBB1095_5:                             ; =>This Loop Header: Depth=1
                                        ;     Child Loop BB1095_6 Depth 2
	s_max_u32 s18, s7, 1
.LBB1095_6:                             ;   Parent Loop BB1095_5 Depth=1
                                        ; =>  This Inner Loop Header: Depth=2
	s_add_i32 s18, s18, -1
	s_cmp_eq_u32 s18, 0
	s_sleep 1
	s_cbranch_scc0 .LBB1095_6
; %bb.7:                                ;   in Loop: Header=BB1095_5 Depth=1
	global_load_ubyte v2, v1, s[16:17] sc1
	s_cmp_lt_u32 s7, 32
	s_cselect_b64 s[18:19], -1, 0
	s_cmp_lg_u64 s[18:19], 0
	s_addc_u32 s7, s7, 0
	s_waitcnt vmcnt(0)
	v_cmp_ne_u16_e32 vcc, 0, v2
	v_readfirstlane_b32 s18, v2
	s_cbranch_vccz .LBB1095_5
; %bb.8:
	s_and_b32 s7, 0xffff, s18
.LBB1095_9:
	s_cmp_eq_u32 s7, 1
	s_waitcnt lgkmcnt(0)
	s_cselect_b32 s3, s1, s3
	s_cselect_b32 s2, s0, s2
	s_lshl_b64 s[0:1], s[14:15], 4
	s_add_u32 s0, s2, s0
	s_addc_u32 s1, s3, s1
	v_mov_b32_e32 v1, 0
	s_waitcnt vmcnt(0)
	global_load_dword v2, v1, s[0:1] sc1
	global_load_dword v3, v1, s[0:1] offset:4 sc1
	global_load_dword v4, v1, s[0:1] offset:8 sc1
	;; [unrolled: 1-line block ×3, first 2 shown]
	s_waitcnt vmcnt(2)
	global_store_dwordx2 v1, v[2:3], s[8:9]
	s_waitcnt vmcnt(2)
	global_store_byte v1, v4, s[8:9] offset:8
.LBB1095_10:
	s_or_b64 exec, exec, s[12:13]
.LBB1095_11:
	v_cmp_eq_u32_e32 vcc, 0, v0
	s_and_saveexec_b64 s[0:1], vcc
	s_cbranch_execnz .LBB1095_15
; %bb.12:
	s_or_b64 exec, exec, s[0:1]
	v_cmp_gt_u32_e32 vcc, s6, v0
	s_and_saveexec_b64 s[0:1], vcc
	s_cbranch_execnz .LBB1095_16
.LBB1095_13:
	s_or_b64 exec, exec, s[0:1]
	v_cmp_gt_u32_e32 vcc, 64, v0
	s_and_saveexec_b64 s[0:1], vcc
	s_cbranch_execnz .LBB1095_17
.LBB1095_14:
	s_endpgm
.LBB1095_15:
	v_mov_b32_e32 v1, 0
	global_store_dword v1, v1, s[10:11]
	s_or_b64 exec, exec, s[0:1]
	v_cmp_gt_u32_e32 vcc, s6, v0
	s_and_saveexec_b64 s[0:1], vcc
	s_cbranch_execz .LBB1095_13
.LBB1095_16:
	v_add_u32_e32 v1, 64, v0
	v_mov_b32_e32 v2, 0
	global_store_byte v1, v2, s[4:5]
	s_or_b64 exec, exec, s[0:1]
	v_cmp_gt_u32_e32 vcc, 64, v0
	s_and_saveexec_b64 s[0:1], vcc
	s_cbranch_execz .LBB1095_14
.LBB1095_17:
	v_mov_b32_e32 v1, 0xff
	global_store_byte v0, v1, s[4:5]
	s_endpgm
	.section	.rodata,"a",@progbits
	.p2align	6, 0x0
	.amdhsa_kernel _ZN7rocprim17ROCPRIM_400000_NS6detail30init_device_scan_by_key_kernelINS1_19lookback_scan_stateINS0_5tupleIJdbEEELb1ELb0EEENS1_16block_id_wrapperIjLb1EEEEEvT_jjPNS9_10value_typeET0_
		.amdhsa_group_segment_fixed_size 0
		.amdhsa_private_segment_fixed_size 0
		.amdhsa_kernarg_size 304
		.amdhsa_user_sgpr_count 2
		.amdhsa_user_sgpr_dispatch_ptr 0
		.amdhsa_user_sgpr_queue_ptr 0
		.amdhsa_user_sgpr_kernarg_segment_ptr 1
		.amdhsa_user_sgpr_dispatch_id 0
		.amdhsa_user_sgpr_kernarg_preload_length 0
		.amdhsa_user_sgpr_kernarg_preload_offset 0
		.amdhsa_user_sgpr_private_segment_size 0
		.amdhsa_uses_dynamic_stack 0
		.amdhsa_enable_private_segment 0
		.amdhsa_system_sgpr_workgroup_id_x 1
		.amdhsa_system_sgpr_workgroup_id_y 0
		.amdhsa_system_sgpr_workgroup_id_z 0
		.amdhsa_system_sgpr_workgroup_info 0
		.amdhsa_system_vgpr_workitem_id 0
		.amdhsa_next_free_vgpr 6
		.amdhsa_next_free_sgpr 20
		.amdhsa_accum_offset 8
		.amdhsa_reserve_vcc 1
		.amdhsa_float_round_mode_32 0
		.amdhsa_float_round_mode_16_64 0
		.amdhsa_float_denorm_mode_32 3
		.amdhsa_float_denorm_mode_16_64 3
		.amdhsa_dx10_clamp 1
		.amdhsa_ieee_mode 1
		.amdhsa_fp16_overflow 0
		.amdhsa_tg_split 0
		.amdhsa_exception_fp_ieee_invalid_op 0
		.amdhsa_exception_fp_denorm_src 0
		.amdhsa_exception_fp_ieee_div_zero 0
		.amdhsa_exception_fp_ieee_overflow 0
		.amdhsa_exception_fp_ieee_underflow 0
		.amdhsa_exception_fp_ieee_inexact 0
		.amdhsa_exception_int_div_zero 0
	.end_amdhsa_kernel
	.section	.text._ZN7rocprim17ROCPRIM_400000_NS6detail30init_device_scan_by_key_kernelINS1_19lookback_scan_stateINS0_5tupleIJdbEEELb1ELb0EEENS1_16block_id_wrapperIjLb1EEEEEvT_jjPNS9_10value_typeET0_,"axG",@progbits,_ZN7rocprim17ROCPRIM_400000_NS6detail30init_device_scan_by_key_kernelINS1_19lookback_scan_stateINS0_5tupleIJdbEEELb1ELb0EEENS1_16block_id_wrapperIjLb1EEEEEvT_jjPNS9_10value_typeET0_,comdat
.Lfunc_end1095:
	.size	_ZN7rocprim17ROCPRIM_400000_NS6detail30init_device_scan_by_key_kernelINS1_19lookback_scan_stateINS0_5tupleIJdbEEELb1ELb0EEENS1_16block_id_wrapperIjLb1EEEEEvT_jjPNS9_10value_typeET0_, .Lfunc_end1095-_ZN7rocprim17ROCPRIM_400000_NS6detail30init_device_scan_by_key_kernelINS1_19lookback_scan_stateINS0_5tupleIJdbEEELb1ELb0EEENS1_16block_id_wrapperIjLb1EEEEEvT_jjPNS9_10value_typeET0_
                                        ; -- End function
	.section	.AMDGPU.csdata,"",@progbits
; Kernel info:
; codeLenInByte = 428
; NumSgprs: 26
; NumVgprs: 6
; NumAgprs: 0
; TotalNumVgprs: 6
; ScratchSize: 0
; MemoryBound: 0
; FloatMode: 240
; IeeeMode: 1
; LDSByteSize: 0 bytes/workgroup (compile time only)
; SGPRBlocks: 3
; VGPRBlocks: 0
; NumSGPRsForWavesPerEU: 26
; NumVGPRsForWavesPerEU: 6
; AccumOffset: 8
; Occupancy: 8
; WaveLimiterHint : 0
; COMPUTE_PGM_RSRC2:SCRATCH_EN: 0
; COMPUTE_PGM_RSRC2:USER_SGPR: 2
; COMPUTE_PGM_RSRC2:TRAP_HANDLER: 0
; COMPUTE_PGM_RSRC2:TGID_X_EN: 1
; COMPUTE_PGM_RSRC2:TGID_Y_EN: 0
; COMPUTE_PGM_RSRC2:TGID_Z_EN: 0
; COMPUTE_PGM_RSRC2:TIDIG_COMP_CNT: 0
; COMPUTE_PGM_RSRC3_GFX90A:ACCUM_OFFSET: 1
; COMPUTE_PGM_RSRC3_GFX90A:TG_SPLIT: 0
	.section	.text._ZN7rocprim17ROCPRIM_400000_NS6detail17trampoline_kernelINS0_14default_configENS1_27scan_by_key_config_selectorIidEEZZNS1_16scan_by_key_implILNS1_25lookback_scan_determinismE0ELb0ES3_N6thrust23THRUST_200600_302600_NS6detail15normal_iteratorINS9_10device_ptrIiEEEENSB_INSC_IdEEEESG_dNS9_4plusIvEENS9_8equal_toIvEEdEE10hipError_tPvRmT2_T3_T4_T5_mT6_T7_P12ihipStream_tbENKUlT_T0_E_clISt17integral_constantIbLb1EES11_EEDaSW_SX_EUlSW_E_NS1_11comp_targetILNS1_3genE0ELNS1_11target_archE4294967295ELNS1_3gpuE0ELNS1_3repE0EEENS1_30default_config_static_selectorELNS0_4arch9wavefront6targetE1EEEvT1_,"axG",@progbits,_ZN7rocprim17ROCPRIM_400000_NS6detail17trampoline_kernelINS0_14default_configENS1_27scan_by_key_config_selectorIidEEZZNS1_16scan_by_key_implILNS1_25lookback_scan_determinismE0ELb0ES3_N6thrust23THRUST_200600_302600_NS6detail15normal_iteratorINS9_10device_ptrIiEEEENSB_INSC_IdEEEESG_dNS9_4plusIvEENS9_8equal_toIvEEdEE10hipError_tPvRmT2_T3_T4_T5_mT6_T7_P12ihipStream_tbENKUlT_T0_E_clISt17integral_constantIbLb1EES11_EEDaSW_SX_EUlSW_E_NS1_11comp_targetILNS1_3genE0ELNS1_11target_archE4294967295ELNS1_3gpuE0ELNS1_3repE0EEENS1_30default_config_static_selectorELNS0_4arch9wavefront6targetE1EEEvT1_,comdat
	.protected	_ZN7rocprim17ROCPRIM_400000_NS6detail17trampoline_kernelINS0_14default_configENS1_27scan_by_key_config_selectorIidEEZZNS1_16scan_by_key_implILNS1_25lookback_scan_determinismE0ELb0ES3_N6thrust23THRUST_200600_302600_NS6detail15normal_iteratorINS9_10device_ptrIiEEEENSB_INSC_IdEEEESG_dNS9_4plusIvEENS9_8equal_toIvEEdEE10hipError_tPvRmT2_T3_T4_T5_mT6_T7_P12ihipStream_tbENKUlT_T0_E_clISt17integral_constantIbLb1EES11_EEDaSW_SX_EUlSW_E_NS1_11comp_targetILNS1_3genE0ELNS1_11target_archE4294967295ELNS1_3gpuE0ELNS1_3repE0EEENS1_30default_config_static_selectorELNS0_4arch9wavefront6targetE1EEEvT1_ ; -- Begin function _ZN7rocprim17ROCPRIM_400000_NS6detail17trampoline_kernelINS0_14default_configENS1_27scan_by_key_config_selectorIidEEZZNS1_16scan_by_key_implILNS1_25lookback_scan_determinismE0ELb0ES3_N6thrust23THRUST_200600_302600_NS6detail15normal_iteratorINS9_10device_ptrIiEEEENSB_INSC_IdEEEESG_dNS9_4plusIvEENS9_8equal_toIvEEdEE10hipError_tPvRmT2_T3_T4_T5_mT6_T7_P12ihipStream_tbENKUlT_T0_E_clISt17integral_constantIbLb1EES11_EEDaSW_SX_EUlSW_E_NS1_11comp_targetILNS1_3genE0ELNS1_11target_archE4294967295ELNS1_3gpuE0ELNS1_3repE0EEENS1_30default_config_static_selectorELNS0_4arch9wavefront6targetE1EEEvT1_
	.globl	_ZN7rocprim17ROCPRIM_400000_NS6detail17trampoline_kernelINS0_14default_configENS1_27scan_by_key_config_selectorIidEEZZNS1_16scan_by_key_implILNS1_25lookback_scan_determinismE0ELb0ES3_N6thrust23THRUST_200600_302600_NS6detail15normal_iteratorINS9_10device_ptrIiEEEENSB_INSC_IdEEEESG_dNS9_4plusIvEENS9_8equal_toIvEEdEE10hipError_tPvRmT2_T3_T4_T5_mT6_T7_P12ihipStream_tbENKUlT_T0_E_clISt17integral_constantIbLb1EES11_EEDaSW_SX_EUlSW_E_NS1_11comp_targetILNS1_3genE0ELNS1_11target_archE4294967295ELNS1_3gpuE0ELNS1_3repE0EEENS1_30default_config_static_selectorELNS0_4arch9wavefront6targetE1EEEvT1_
	.p2align	8
	.type	_ZN7rocprim17ROCPRIM_400000_NS6detail17trampoline_kernelINS0_14default_configENS1_27scan_by_key_config_selectorIidEEZZNS1_16scan_by_key_implILNS1_25lookback_scan_determinismE0ELb0ES3_N6thrust23THRUST_200600_302600_NS6detail15normal_iteratorINS9_10device_ptrIiEEEENSB_INSC_IdEEEESG_dNS9_4plusIvEENS9_8equal_toIvEEdEE10hipError_tPvRmT2_T3_T4_T5_mT6_T7_P12ihipStream_tbENKUlT_T0_E_clISt17integral_constantIbLb1EES11_EEDaSW_SX_EUlSW_E_NS1_11comp_targetILNS1_3genE0ELNS1_11target_archE4294967295ELNS1_3gpuE0ELNS1_3repE0EEENS1_30default_config_static_selectorELNS0_4arch9wavefront6targetE1EEEvT1_,@function
_ZN7rocprim17ROCPRIM_400000_NS6detail17trampoline_kernelINS0_14default_configENS1_27scan_by_key_config_selectorIidEEZZNS1_16scan_by_key_implILNS1_25lookback_scan_determinismE0ELb0ES3_N6thrust23THRUST_200600_302600_NS6detail15normal_iteratorINS9_10device_ptrIiEEEENSB_INSC_IdEEEESG_dNS9_4plusIvEENS9_8equal_toIvEEdEE10hipError_tPvRmT2_T3_T4_T5_mT6_T7_P12ihipStream_tbENKUlT_T0_E_clISt17integral_constantIbLb1EES11_EEDaSW_SX_EUlSW_E_NS1_11comp_targetILNS1_3genE0ELNS1_11target_archE4294967295ELNS1_3gpuE0ELNS1_3repE0EEENS1_30default_config_static_selectorELNS0_4arch9wavefront6targetE1EEEvT1_: ; @_ZN7rocprim17ROCPRIM_400000_NS6detail17trampoline_kernelINS0_14default_configENS1_27scan_by_key_config_selectorIidEEZZNS1_16scan_by_key_implILNS1_25lookback_scan_determinismE0ELb0ES3_N6thrust23THRUST_200600_302600_NS6detail15normal_iteratorINS9_10device_ptrIiEEEENSB_INSC_IdEEEESG_dNS9_4plusIvEENS9_8equal_toIvEEdEE10hipError_tPvRmT2_T3_T4_T5_mT6_T7_P12ihipStream_tbENKUlT_T0_E_clISt17integral_constantIbLb1EES11_EEDaSW_SX_EUlSW_E_NS1_11comp_targetILNS1_3genE0ELNS1_11target_archE4294967295ELNS1_3gpuE0ELNS1_3repE0EEENS1_30default_config_static_selectorELNS0_4arch9wavefront6targetE1EEEvT1_
; %bb.0:
	.section	.rodata,"a",@progbits
	.p2align	6, 0x0
	.amdhsa_kernel _ZN7rocprim17ROCPRIM_400000_NS6detail17trampoline_kernelINS0_14default_configENS1_27scan_by_key_config_selectorIidEEZZNS1_16scan_by_key_implILNS1_25lookback_scan_determinismE0ELb0ES3_N6thrust23THRUST_200600_302600_NS6detail15normal_iteratorINS9_10device_ptrIiEEEENSB_INSC_IdEEEESG_dNS9_4plusIvEENS9_8equal_toIvEEdEE10hipError_tPvRmT2_T3_T4_T5_mT6_T7_P12ihipStream_tbENKUlT_T0_E_clISt17integral_constantIbLb1EES11_EEDaSW_SX_EUlSW_E_NS1_11comp_targetILNS1_3genE0ELNS1_11target_archE4294967295ELNS1_3gpuE0ELNS1_3repE0EEENS1_30default_config_static_selectorELNS0_4arch9wavefront6targetE1EEEvT1_
		.amdhsa_group_segment_fixed_size 0
		.amdhsa_private_segment_fixed_size 0
		.amdhsa_kernarg_size 136
		.amdhsa_user_sgpr_count 2
		.amdhsa_user_sgpr_dispatch_ptr 0
		.amdhsa_user_sgpr_queue_ptr 0
		.amdhsa_user_sgpr_kernarg_segment_ptr 1
		.amdhsa_user_sgpr_dispatch_id 0
		.amdhsa_user_sgpr_kernarg_preload_length 0
		.amdhsa_user_sgpr_kernarg_preload_offset 0
		.amdhsa_user_sgpr_private_segment_size 0
		.amdhsa_uses_dynamic_stack 0
		.amdhsa_enable_private_segment 0
		.amdhsa_system_sgpr_workgroup_id_x 1
		.amdhsa_system_sgpr_workgroup_id_y 0
		.amdhsa_system_sgpr_workgroup_id_z 0
		.amdhsa_system_sgpr_workgroup_info 0
		.amdhsa_system_vgpr_workitem_id 0
		.amdhsa_next_free_vgpr 1
		.amdhsa_next_free_sgpr 0
		.amdhsa_accum_offset 4
		.amdhsa_reserve_vcc 0
		.amdhsa_float_round_mode_32 0
		.amdhsa_float_round_mode_16_64 0
		.amdhsa_float_denorm_mode_32 3
		.amdhsa_float_denorm_mode_16_64 3
		.amdhsa_dx10_clamp 1
		.amdhsa_ieee_mode 1
		.amdhsa_fp16_overflow 0
		.amdhsa_tg_split 0
		.amdhsa_exception_fp_ieee_invalid_op 0
		.amdhsa_exception_fp_denorm_src 0
		.amdhsa_exception_fp_ieee_div_zero 0
		.amdhsa_exception_fp_ieee_overflow 0
		.amdhsa_exception_fp_ieee_underflow 0
		.amdhsa_exception_fp_ieee_inexact 0
		.amdhsa_exception_int_div_zero 0
	.end_amdhsa_kernel
	.section	.text._ZN7rocprim17ROCPRIM_400000_NS6detail17trampoline_kernelINS0_14default_configENS1_27scan_by_key_config_selectorIidEEZZNS1_16scan_by_key_implILNS1_25lookback_scan_determinismE0ELb0ES3_N6thrust23THRUST_200600_302600_NS6detail15normal_iteratorINS9_10device_ptrIiEEEENSB_INSC_IdEEEESG_dNS9_4plusIvEENS9_8equal_toIvEEdEE10hipError_tPvRmT2_T3_T4_T5_mT6_T7_P12ihipStream_tbENKUlT_T0_E_clISt17integral_constantIbLb1EES11_EEDaSW_SX_EUlSW_E_NS1_11comp_targetILNS1_3genE0ELNS1_11target_archE4294967295ELNS1_3gpuE0ELNS1_3repE0EEENS1_30default_config_static_selectorELNS0_4arch9wavefront6targetE1EEEvT1_,"axG",@progbits,_ZN7rocprim17ROCPRIM_400000_NS6detail17trampoline_kernelINS0_14default_configENS1_27scan_by_key_config_selectorIidEEZZNS1_16scan_by_key_implILNS1_25lookback_scan_determinismE0ELb0ES3_N6thrust23THRUST_200600_302600_NS6detail15normal_iteratorINS9_10device_ptrIiEEEENSB_INSC_IdEEEESG_dNS9_4plusIvEENS9_8equal_toIvEEdEE10hipError_tPvRmT2_T3_T4_T5_mT6_T7_P12ihipStream_tbENKUlT_T0_E_clISt17integral_constantIbLb1EES11_EEDaSW_SX_EUlSW_E_NS1_11comp_targetILNS1_3genE0ELNS1_11target_archE4294967295ELNS1_3gpuE0ELNS1_3repE0EEENS1_30default_config_static_selectorELNS0_4arch9wavefront6targetE1EEEvT1_,comdat
.Lfunc_end1096:
	.size	_ZN7rocprim17ROCPRIM_400000_NS6detail17trampoline_kernelINS0_14default_configENS1_27scan_by_key_config_selectorIidEEZZNS1_16scan_by_key_implILNS1_25lookback_scan_determinismE0ELb0ES3_N6thrust23THRUST_200600_302600_NS6detail15normal_iteratorINS9_10device_ptrIiEEEENSB_INSC_IdEEEESG_dNS9_4plusIvEENS9_8equal_toIvEEdEE10hipError_tPvRmT2_T3_T4_T5_mT6_T7_P12ihipStream_tbENKUlT_T0_E_clISt17integral_constantIbLb1EES11_EEDaSW_SX_EUlSW_E_NS1_11comp_targetILNS1_3genE0ELNS1_11target_archE4294967295ELNS1_3gpuE0ELNS1_3repE0EEENS1_30default_config_static_selectorELNS0_4arch9wavefront6targetE1EEEvT1_, .Lfunc_end1096-_ZN7rocprim17ROCPRIM_400000_NS6detail17trampoline_kernelINS0_14default_configENS1_27scan_by_key_config_selectorIidEEZZNS1_16scan_by_key_implILNS1_25lookback_scan_determinismE0ELb0ES3_N6thrust23THRUST_200600_302600_NS6detail15normal_iteratorINS9_10device_ptrIiEEEENSB_INSC_IdEEEESG_dNS9_4plusIvEENS9_8equal_toIvEEdEE10hipError_tPvRmT2_T3_T4_T5_mT6_T7_P12ihipStream_tbENKUlT_T0_E_clISt17integral_constantIbLb1EES11_EEDaSW_SX_EUlSW_E_NS1_11comp_targetILNS1_3genE0ELNS1_11target_archE4294967295ELNS1_3gpuE0ELNS1_3repE0EEENS1_30default_config_static_selectorELNS0_4arch9wavefront6targetE1EEEvT1_
                                        ; -- End function
	.section	.AMDGPU.csdata,"",@progbits
; Kernel info:
; codeLenInByte = 0
; NumSgprs: 6
; NumVgprs: 0
; NumAgprs: 0
; TotalNumVgprs: 0
; ScratchSize: 0
; MemoryBound: 0
; FloatMode: 240
; IeeeMode: 1
; LDSByteSize: 0 bytes/workgroup (compile time only)
; SGPRBlocks: 0
; VGPRBlocks: 0
; NumSGPRsForWavesPerEU: 6
; NumVGPRsForWavesPerEU: 1
; AccumOffset: 4
; Occupancy: 8
; WaveLimiterHint : 0
; COMPUTE_PGM_RSRC2:SCRATCH_EN: 0
; COMPUTE_PGM_RSRC2:USER_SGPR: 2
; COMPUTE_PGM_RSRC2:TRAP_HANDLER: 0
; COMPUTE_PGM_RSRC2:TGID_X_EN: 1
; COMPUTE_PGM_RSRC2:TGID_Y_EN: 0
; COMPUTE_PGM_RSRC2:TGID_Z_EN: 0
; COMPUTE_PGM_RSRC2:TIDIG_COMP_CNT: 0
; COMPUTE_PGM_RSRC3_GFX90A:ACCUM_OFFSET: 0
; COMPUTE_PGM_RSRC3_GFX90A:TG_SPLIT: 0
	.section	.text._ZN7rocprim17ROCPRIM_400000_NS6detail17trampoline_kernelINS0_14default_configENS1_27scan_by_key_config_selectorIidEEZZNS1_16scan_by_key_implILNS1_25lookback_scan_determinismE0ELb0ES3_N6thrust23THRUST_200600_302600_NS6detail15normal_iteratorINS9_10device_ptrIiEEEENSB_INSC_IdEEEESG_dNS9_4plusIvEENS9_8equal_toIvEEdEE10hipError_tPvRmT2_T3_T4_T5_mT6_T7_P12ihipStream_tbENKUlT_T0_E_clISt17integral_constantIbLb1EES11_EEDaSW_SX_EUlSW_E_NS1_11comp_targetILNS1_3genE10ELNS1_11target_archE1201ELNS1_3gpuE5ELNS1_3repE0EEENS1_30default_config_static_selectorELNS0_4arch9wavefront6targetE1EEEvT1_,"axG",@progbits,_ZN7rocprim17ROCPRIM_400000_NS6detail17trampoline_kernelINS0_14default_configENS1_27scan_by_key_config_selectorIidEEZZNS1_16scan_by_key_implILNS1_25lookback_scan_determinismE0ELb0ES3_N6thrust23THRUST_200600_302600_NS6detail15normal_iteratorINS9_10device_ptrIiEEEENSB_INSC_IdEEEESG_dNS9_4plusIvEENS9_8equal_toIvEEdEE10hipError_tPvRmT2_T3_T4_T5_mT6_T7_P12ihipStream_tbENKUlT_T0_E_clISt17integral_constantIbLb1EES11_EEDaSW_SX_EUlSW_E_NS1_11comp_targetILNS1_3genE10ELNS1_11target_archE1201ELNS1_3gpuE5ELNS1_3repE0EEENS1_30default_config_static_selectorELNS0_4arch9wavefront6targetE1EEEvT1_,comdat
	.protected	_ZN7rocprim17ROCPRIM_400000_NS6detail17trampoline_kernelINS0_14default_configENS1_27scan_by_key_config_selectorIidEEZZNS1_16scan_by_key_implILNS1_25lookback_scan_determinismE0ELb0ES3_N6thrust23THRUST_200600_302600_NS6detail15normal_iteratorINS9_10device_ptrIiEEEENSB_INSC_IdEEEESG_dNS9_4plusIvEENS9_8equal_toIvEEdEE10hipError_tPvRmT2_T3_T4_T5_mT6_T7_P12ihipStream_tbENKUlT_T0_E_clISt17integral_constantIbLb1EES11_EEDaSW_SX_EUlSW_E_NS1_11comp_targetILNS1_3genE10ELNS1_11target_archE1201ELNS1_3gpuE5ELNS1_3repE0EEENS1_30default_config_static_selectorELNS0_4arch9wavefront6targetE1EEEvT1_ ; -- Begin function _ZN7rocprim17ROCPRIM_400000_NS6detail17trampoline_kernelINS0_14default_configENS1_27scan_by_key_config_selectorIidEEZZNS1_16scan_by_key_implILNS1_25lookback_scan_determinismE0ELb0ES3_N6thrust23THRUST_200600_302600_NS6detail15normal_iteratorINS9_10device_ptrIiEEEENSB_INSC_IdEEEESG_dNS9_4plusIvEENS9_8equal_toIvEEdEE10hipError_tPvRmT2_T3_T4_T5_mT6_T7_P12ihipStream_tbENKUlT_T0_E_clISt17integral_constantIbLb1EES11_EEDaSW_SX_EUlSW_E_NS1_11comp_targetILNS1_3genE10ELNS1_11target_archE1201ELNS1_3gpuE5ELNS1_3repE0EEENS1_30default_config_static_selectorELNS0_4arch9wavefront6targetE1EEEvT1_
	.globl	_ZN7rocprim17ROCPRIM_400000_NS6detail17trampoline_kernelINS0_14default_configENS1_27scan_by_key_config_selectorIidEEZZNS1_16scan_by_key_implILNS1_25lookback_scan_determinismE0ELb0ES3_N6thrust23THRUST_200600_302600_NS6detail15normal_iteratorINS9_10device_ptrIiEEEENSB_INSC_IdEEEESG_dNS9_4plusIvEENS9_8equal_toIvEEdEE10hipError_tPvRmT2_T3_T4_T5_mT6_T7_P12ihipStream_tbENKUlT_T0_E_clISt17integral_constantIbLb1EES11_EEDaSW_SX_EUlSW_E_NS1_11comp_targetILNS1_3genE10ELNS1_11target_archE1201ELNS1_3gpuE5ELNS1_3repE0EEENS1_30default_config_static_selectorELNS0_4arch9wavefront6targetE1EEEvT1_
	.p2align	8
	.type	_ZN7rocprim17ROCPRIM_400000_NS6detail17trampoline_kernelINS0_14default_configENS1_27scan_by_key_config_selectorIidEEZZNS1_16scan_by_key_implILNS1_25lookback_scan_determinismE0ELb0ES3_N6thrust23THRUST_200600_302600_NS6detail15normal_iteratorINS9_10device_ptrIiEEEENSB_INSC_IdEEEESG_dNS9_4plusIvEENS9_8equal_toIvEEdEE10hipError_tPvRmT2_T3_T4_T5_mT6_T7_P12ihipStream_tbENKUlT_T0_E_clISt17integral_constantIbLb1EES11_EEDaSW_SX_EUlSW_E_NS1_11comp_targetILNS1_3genE10ELNS1_11target_archE1201ELNS1_3gpuE5ELNS1_3repE0EEENS1_30default_config_static_selectorELNS0_4arch9wavefront6targetE1EEEvT1_,@function
_ZN7rocprim17ROCPRIM_400000_NS6detail17trampoline_kernelINS0_14default_configENS1_27scan_by_key_config_selectorIidEEZZNS1_16scan_by_key_implILNS1_25lookback_scan_determinismE0ELb0ES3_N6thrust23THRUST_200600_302600_NS6detail15normal_iteratorINS9_10device_ptrIiEEEENSB_INSC_IdEEEESG_dNS9_4plusIvEENS9_8equal_toIvEEdEE10hipError_tPvRmT2_T3_T4_T5_mT6_T7_P12ihipStream_tbENKUlT_T0_E_clISt17integral_constantIbLb1EES11_EEDaSW_SX_EUlSW_E_NS1_11comp_targetILNS1_3genE10ELNS1_11target_archE1201ELNS1_3gpuE5ELNS1_3repE0EEENS1_30default_config_static_selectorELNS0_4arch9wavefront6targetE1EEEvT1_: ; @_ZN7rocprim17ROCPRIM_400000_NS6detail17trampoline_kernelINS0_14default_configENS1_27scan_by_key_config_selectorIidEEZZNS1_16scan_by_key_implILNS1_25lookback_scan_determinismE0ELb0ES3_N6thrust23THRUST_200600_302600_NS6detail15normal_iteratorINS9_10device_ptrIiEEEENSB_INSC_IdEEEESG_dNS9_4plusIvEENS9_8equal_toIvEEdEE10hipError_tPvRmT2_T3_T4_T5_mT6_T7_P12ihipStream_tbENKUlT_T0_E_clISt17integral_constantIbLb1EES11_EEDaSW_SX_EUlSW_E_NS1_11comp_targetILNS1_3genE10ELNS1_11target_archE1201ELNS1_3gpuE5ELNS1_3repE0EEENS1_30default_config_static_selectorELNS0_4arch9wavefront6targetE1EEEvT1_
; %bb.0:
	.section	.rodata,"a",@progbits
	.p2align	6, 0x0
	.amdhsa_kernel _ZN7rocprim17ROCPRIM_400000_NS6detail17trampoline_kernelINS0_14default_configENS1_27scan_by_key_config_selectorIidEEZZNS1_16scan_by_key_implILNS1_25lookback_scan_determinismE0ELb0ES3_N6thrust23THRUST_200600_302600_NS6detail15normal_iteratorINS9_10device_ptrIiEEEENSB_INSC_IdEEEESG_dNS9_4plusIvEENS9_8equal_toIvEEdEE10hipError_tPvRmT2_T3_T4_T5_mT6_T7_P12ihipStream_tbENKUlT_T0_E_clISt17integral_constantIbLb1EES11_EEDaSW_SX_EUlSW_E_NS1_11comp_targetILNS1_3genE10ELNS1_11target_archE1201ELNS1_3gpuE5ELNS1_3repE0EEENS1_30default_config_static_selectorELNS0_4arch9wavefront6targetE1EEEvT1_
		.amdhsa_group_segment_fixed_size 0
		.amdhsa_private_segment_fixed_size 0
		.amdhsa_kernarg_size 136
		.amdhsa_user_sgpr_count 2
		.amdhsa_user_sgpr_dispatch_ptr 0
		.amdhsa_user_sgpr_queue_ptr 0
		.amdhsa_user_sgpr_kernarg_segment_ptr 1
		.amdhsa_user_sgpr_dispatch_id 0
		.amdhsa_user_sgpr_kernarg_preload_length 0
		.amdhsa_user_sgpr_kernarg_preload_offset 0
		.amdhsa_user_sgpr_private_segment_size 0
		.amdhsa_uses_dynamic_stack 0
		.amdhsa_enable_private_segment 0
		.amdhsa_system_sgpr_workgroup_id_x 1
		.amdhsa_system_sgpr_workgroup_id_y 0
		.amdhsa_system_sgpr_workgroup_id_z 0
		.amdhsa_system_sgpr_workgroup_info 0
		.amdhsa_system_vgpr_workitem_id 0
		.amdhsa_next_free_vgpr 1
		.amdhsa_next_free_sgpr 0
		.amdhsa_accum_offset 4
		.amdhsa_reserve_vcc 0
		.amdhsa_float_round_mode_32 0
		.amdhsa_float_round_mode_16_64 0
		.amdhsa_float_denorm_mode_32 3
		.amdhsa_float_denorm_mode_16_64 3
		.amdhsa_dx10_clamp 1
		.amdhsa_ieee_mode 1
		.amdhsa_fp16_overflow 0
		.amdhsa_tg_split 0
		.amdhsa_exception_fp_ieee_invalid_op 0
		.amdhsa_exception_fp_denorm_src 0
		.amdhsa_exception_fp_ieee_div_zero 0
		.amdhsa_exception_fp_ieee_overflow 0
		.amdhsa_exception_fp_ieee_underflow 0
		.amdhsa_exception_fp_ieee_inexact 0
		.amdhsa_exception_int_div_zero 0
	.end_amdhsa_kernel
	.section	.text._ZN7rocprim17ROCPRIM_400000_NS6detail17trampoline_kernelINS0_14default_configENS1_27scan_by_key_config_selectorIidEEZZNS1_16scan_by_key_implILNS1_25lookback_scan_determinismE0ELb0ES3_N6thrust23THRUST_200600_302600_NS6detail15normal_iteratorINS9_10device_ptrIiEEEENSB_INSC_IdEEEESG_dNS9_4plusIvEENS9_8equal_toIvEEdEE10hipError_tPvRmT2_T3_T4_T5_mT6_T7_P12ihipStream_tbENKUlT_T0_E_clISt17integral_constantIbLb1EES11_EEDaSW_SX_EUlSW_E_NS1_11comp_targetILNS1_3genE10ELNS1_11target_archE1201ELNS1_3gpuE5ELNS1_3repE0EEENS1_30default_config_static_selectorELNS0_4arch9wavefront6targetE1EEEvT1_,"axG",@progbits,_ZN7rocprim17ROCPRIM_400000_NS6detail17trampoline_kernelINS0_14default_configENS1_27scan_by_key_config_selectorIidEEZZNS1_16scan_by_key_implILNS1_25lookback_scan_determinismE0ELb0ES3_N6thrust23THRUST_200600_302600_NS6detail15normal_iteratorINS9_10device_ptrIiEEEENSB_INSC_IdEEEESG_dNS9_4plusIvEENS9_8equal_toIvEEdEE10hipError_tPvRmT2_T3_T4_T5_mT6_T7_P12ihipStream_tbENKUlT_T0_E_clISt17integral_constantIbLb1EES11_EEDaSW_SX_EUlSW_E_NS1_11comp_targetILNS1_3genE10ELNS1_11target_archE1201ELNS1_3gpuE5ELNS1_3repE0EEENS1_30default_config_static_selectorELNS0_4arch9wavefront6targetE1EEEvT1_,comdat
.Lfunc_end1097:
	.size	_ZN7rocprim17ROCPRIM_400000_NS6detail17trampoline_kernelINS0_14default_configENS1_27scan_by_key_config_selectorIidEEZZNS1_16scan_by_key_implILNS1_25lookback_scan_determinismE0ELb0ES3_N6thrust23THRUST_200600_302600_NS6detail15normal_iteratorINS9_10device_ptrIiEEEENSB_INSC_IdEEEESG_dNS9_4plusIvEENS9_8equal_toIvEEdEE10hipError_tPvRmT2_T3_T4_T5_mT6_T7_P12ihipStream_tbENKUlT_T0_E_clISt17integral_constantIbLb1EES11_EEDaSW_SX_EUlSW_E_NS1_11comp_targetILNS1_3genE10ELNS1_11target_archE1201ELNS1_3gpuE5ELNS1_3repE0EEENS1_30default_config_static_selectorELNS0_4arch9wavefront6targetE1EEEvT1_, .Lfunc_end1097-_ZN7rocprim17ROCPRIM_400000_NS6detail17trampoline_kernelINS0_14default_configENS1_27scan_by_key_config_selectorIidEEZZNS1_16scan_by_key_implILNS1_25lookback_scan_determinismE0ELb0ES3_N6thrust23THRUST_200600_302600_NS6detail15normal_iteratorINS9_10device_ptrIiEEEENSB_INSC_IdEEEESG_dNS9_4plusIvEENS9_8equal_toIvEEdEE10hipError_tPvRmT2_T3_T4_T5_mT6_T7_P12ihipStream_tbENKUlT_T0_E_clISt17integral_constantIbLb1EES11_EEDaSW_SX_EUlSW_E_NS1_11comp_targetILNS1_3genE10ELNS1_11target_archE1201ELNS1_3gpuE5ELNS1_3repE0EEENS1_30default_config_static_selectorELNS0_4arch9wavefront6targetE1EEEvT1_
                                        ; -- End function
	.section	.AMDGPU.csdata,"",@progbits
; Kernel info:
; codeLenInByte = 0
; NumSgprs: 6
; NumVgprs: 0
; NumAgprs: 0
; TotalNumVgprs: 0
; ScratchSize: 0
; MemoryBound: 0
; FloatMode: 240
; IeeeMode: 1
; LDSByteSize: 0 bytes/workgroup (compile time only)
; SGPRBlocks: 0
; VGPRBlocks: 0
; NumSGPRsForWavesPerEU: 6
; NumVGPRsForWavesPerEU: 1
; AccumOffset: 4
; Occupancy: 8
; WaveLimiterHint : 0
; COMPUTE_PGM_RSRC2:SCRATCH_EN: 0
; COMPUTE_PGM_RSRC2:USER_SGPR: 2
; COMPUTE_PGM_RSRC2:TRAP_HANDLER: 0
; COMPUTE_PGM_RSRC2:TGID_X_EN: 1
; COMPUTE_PGM_RSRC2:TGID_Y_EN: 0
; COMPUTE_PGM_RSRC2:TGID_Z_EN: 0
; COMPUTE_PGM_RSRC2:TIDIG_COMP_CNT: 0
; COMPUTE_PGM_RSRC3_GFX90A:ACCUM_OFFSET: 0
; COMPUTE_PGM_RSRC3_GFX90A:TG_SPLIT: 0
	.section	.text._ZN7rocprim17ROCPRIM_400000_NS6detail17trampoline_kernelINS0_14default_configENS1_27scan_by_key_config_selectorIidEEZZNS1_16scan_by_key_implILNS1_25lookback_scan_determinismE0ELb0ES3_N6thrust23THRUST_200600_302600_NS6detail15normal_iteratorINS9_10device_ptrIiEEEENSB_INSC_IdEEEESG_dNS9_4plusIvEENS9_8equal_toIvEEdEE10hipError_tPvRmT2_T3_T4_T5_mT6_T7_P12ihipStream_tbENKUlT_T0_E_clISt17integral_constantIbLb1EES11_EEDaSW_SX_EUlSW_E_NS1_11comp_targetILNS1_3genE5ELNS1_11target_archE942ELNS1_3gpuE9ELNS1_3repE0EEENS1_30default_config_static_selectorELNS0_4arch9wavefront6targetE1EEEvT1_,"axG",@progbits,_ZN7rocprim17ROCPRIM_400000_NS6detail17trampoline_kernelINS0_14default_configENS1_27scan_by_key_config_selectorIidEEZZNS1_16scan_by_key_implILNS1_25lookback_scan_determinismE0ELb0ES3_N6thrust23THRUST_200600_302600_NS6detail15normal_iteratorINS9_10device_ptrIiEEEENSB_INSC_IdEEEESG_dNS9_4plusIvEENS9_8equal_toIvEEdEE10hipError_tPvRmT2_T3_T4_T5_mT6_T7_P12ihipStream_tbENKUlT_T0_E_clISt17integral_constantIbLb1EES11_EEDaSW_SX_EUlSW_E_NS1_11comp_targetILNS1_3genE5ELNS1_11target_archE942ELNS1_3gpuE9ELNS1_3repE0EEENS1_30default_config_static_selectorELNS0_4arch9wavefront6targetE1EEEvT1_,comdat
	.protected	_ZN7rocprim17ROCPRIM_400000_NS6detail17trampoline_kernelINS0_14default_configENS1_27scan_by_key_config_selectorIidEEZZNS1_16scan_by_key_implILNS1_25lookback_scan_determinismE0ELb0ES3_N6thrust23THRUST_200600_302600_NS6detail15normal_iteratorINS9_10device_ptrIiEEEENSB_INSC_IdEEEESG_dNS9_4plusIvEENS9_8equal_toIvEEdEE10hipError_tPvRmT2_T3_T4_T5_mT6_T7_P12ihipStream_tbENKUlT_T0_E_clISt17integral_constantIbLb1EES11_EEDaSW_SX_EUlSW_E_NS1_11comp_targetILNS1_3genE5ELNS1_11target_archE942ELNS1_3gpuE9ELNS1_3repE0EEENS1_30default_config_static_selectorELNS0_4arch9wavefront6targetE1EEEvT1_ ; -- Begin function _ZN7rocprim17ROCPRIM_400000_NS6detail17trampoline_kernelINS0_14default_configENS1_27scan_by_key_config_selectorIidEEZZNS1_16scan_by_key_implILNS1_25lookback_scan_determinismE0ELb0ES3_N6thrust23THRUST_200600_302600_NS6detail15normal_iteratorINS9_10device_ptrIiEEEENSB_INSC_IdEEEESG_dNS9_4plusIvEENS9_8equal_toIvEEdEE10hipError_tPvRmT2_T3_T4_T5_mT6_T7_P12ihipStream_tbENKUlT_T0_E_clISt17integral_constantIbLb1EES11_EEDaSW_SX_EUlSW_E_NS1_11comp_targetILNS1_3genE5ELNS1_11target_archE942ELNS1_3gpuE9ELNS1_3repE0EEENS1_30default_config_static_selectorELNS0_4arch9wavefront6targetE1EEEvT1_
	.globl	_ZN7rocprim17ROCPRIM_400000_NS6detail17trampoline_kernelINS0_14default_configENS1_27scan_by_key_config_selectorIidEEZZNS1_16scan_by_key_implILNS1_25lookback_scan_determinismE0ELb0ES3_N6thrust23THRUST_200600_302600_NS6detail15normal_iteratorINS9_10device_ptrIiEEEENSB_INSC_IdEEEESG_dNS9_4plusIvEENS9_8equal_toIvEEdEE10hipError_tPvRmT2_T3_T4_T5_mT6_T7_P12ihipStream_tbENKUlT_T0_E_clISt17integral_constantIbLb1EES11_EEDaSW_SX_EUlSW_E_NS1_11comp_targetILNS1_3genE5ELNS1_11target_archE942ELNS1_3gpuE9ELNS1_3repE0EEENS1_30default_config_static_selectorELNS0_4arch9wavefront6targetE1EEEvT1_
	.p2align	8
	.type	_ZN7rocprim17ROCPRIM_400000_NS6detail17trampoline_kernelINS0_14default_configENS1_27scan_by_key_config_selectorIidEEZZNS1_16scan_by_key_implILNS1_25lookback_scan_determinismE0ELb0ES3_N6thrust23THRUST_200600_302600_NS6detail15normal_iteratorINS9_10device_ptrIiEEEENSB_INSC_IdEEEESG_dNS9_4plusIvEENS9_8equal_toIvEEdEE10hipError_tPvRmT2_T3_T4_T5_mT6_T7_P12ihipStream_tbENKUlT_T0_E_clISt17integral_constantIbLb1EES11_EEDaSW_SX_EUlSW_E_NS1_11comp_targetILNS1_3genE5ELNS1_11target_archE942ELNS1_3gpuE9ELNS1_3repE0EEENS1_30default_config_static_selectorELNS0_4arch9wavefront6targetE1EEEvT1_,@function
_ZN7rocprim17ROCPRIM_400000_NS6detail17trampoline_kernelINS0_14default_configENS1_27scan_by_key_config_selectorIidEEZZNS1_16scan_by_key_implILNS1_25lookback_scan_determinismE0ELb0ES3_N6thrust23THRUST_200600_302600_NS6detail15normal_iteratorINS9_10device_ptrIiEEEENSB_INSC_IdEEEESG_dNS9_4plusIvEENS9_8equal_toIvEEdEE10hipError_tPvRmT2_T3_T4_T5_mT6_T7_P12ihipStream_tbENKUlT_T0_E_clISt17integral_constantIbLb1EES11_EEDaSW_SX_EUlSW_E_NS1_11comp_targetILNS1_3genE5ELNS1_11target_archE942ELNS1_3gpuE9ELNS1_3repE0EEENS1_30default_config_static_selectorELNS0_4arch9wavefront6targetE1EEEvT1_: ; @_ZN7rocprim17ROCPRIM_400000_NS6detail17trampoline_kernelINS0_14default_configENS1_27scan_by_key_config_selectorIidEEZZNS1_16scan_by_key_implILNS1_25lookback_scan_determinismE0ELb0ES3_N6thrust23THRUST_200600_302600_NS6detail15normal_iteratorINS9_10device_ptrIiEEEENSB_INSC_IdEEEESG_dNS9_4plusIvEENS9_8equal_toIvEEdEE10hipError_tPvRmT2_T3_T4_T5_mT6_T7_P12ihipStream_tbENKUlT_T0_E_clISt17integral_constantIbLb1EES11_EEDaSW_SX_EUlSW_E_NS1_11comp_targetILNS1_3genE5ELNS1_11target_archE942ELNS1_3gpuE9ELNS1_3repE0EEENS1_30default_config_static_selectorELNS0_4arch9wavefront6targetE1EEEvT1_
; %bb.0:
	s_load_dwordx8 s[88:95], s[0:1], 0x30
	s_load_dwordx2 s[14:15], s[0:1], 0x50
	v_cmp_ne_u32_e64 s[4:5], 0, v0
	v_cmp_eq_u32_e64 s[70:71], 0, v0
	s_and_saveexec_b64 s[2:3], s[70:71]
	s_cbranch_execz .LBB1098_4
; %bb.1:
	s_mov_b64 s[8:9], exec
	v_mbcnt_lo_u32_b32 v1, s8, 0
	v_mbcnt_hi_u32_b32 v1, s9, v1
	v_cmp_eq_u32_e32 vcc, 0, v1
                                        ; implicit-def: $vgpr2
	s_and_saveexec_b64 s[6:7], vcc
	s_cbranch_execz .LBB1098_3
; %bb.2:
	s_load_dwordx2 s[10:11], s[0:1], 0x80
	s_bcnt1_i32_b64 s8, s[8:9]
	v_mov_b32_e32 v2, 0
	v_mov_b32_e32 v3, s8
	s_waitcnt lgkmcnt(0)
	global_atomic_add v2, v2, v3, s[10:11] sc0
.LBB1098_3:
	s_or_b64 exec, exec, s[6:7]
	s_waitcnt vmcnt(0)
	v_readfirstlane_b32 s6, v2
	v_mov_b32_e32 v2, 0
	s_nop 0
	v_add_u32_e32 v1, s6, v1
	ds_write_b32 v2, v1
.LBB1098_4:
	s_or_b64 exec, exec, s[2:3]
	s_load_dwordx8 s[72:79], s[0:1], 0x0
	s_load_dword s2, s[0:1], 0x58
	s_load_dwordx8 s[60:67], s[0:1], 0x60
	v_mov_b32_e32 v1, 0
	s_waitcnt lgkmcnt(0)
	s_barrier
	ds_read_b32 v1, v1
	s_lshl_b64 s[0:1], s[74:75], 2
	s_add_u32 s8, s72, s0
	s_addc_u32 s9, s73, s1
	s_lshl_b64 s[96:97], s[74:75], 3
	s_add_u32 s10, s76, s96
	s_mul_i32 s0, s15, s2
	s_mul_hi_u32 s1, s14, s2
	s_addc_u32 s11, s77, s97
	s_add_i32 s12, s1, s0
	s_waitcnt lgkmcnt(0)
	v_readfirstlane_b32 s95, v1
                                        ; implicit-def: $vgpr133 : SGPR spill to VGPR lane
	s_cmp_lg_u64 s[64:65], 0
	s_mov_b32 s1, 0
	s_mul_i32 s0, s95, 0x1500
	v_writelane_b32 v133, s14, 0
	s_mul_i32 s13, s14, s2
	s_cselect_b64 s[54:55], -1, 0
	s_lshl_b64 s[2:3], s[0:1], 2
	s_add_u32 s52, s8, s2
	s_addc_u32 s53, s9, s3
	s_lshl_b64 s[98:99], s[0:1], 3
	s_add_u32 s50, s10, s98
	s_addc_u32 s51, s11, s99
	s_add_u32 s56, s13, s95
	s_addc_u32 s57, s12, 0
	s_add_u32 s0, s60, -1
	s_addc_u32 s1, s61, -1
	v_mov_b64_e32 v[2:3], s[0:1]
	v_cmp_ge_u64_e64 s[86:87], s[56:57], v[2:3]
	s_mov_b64 s[6:7], 0
	s_mov_b64 s[10:11], -1
	s_and_b64 vcc, exec, s[86:87]
	s_mul_i32 s33, s0, 0xffffeb00
	v_writelane_b32 v133, s15, 1
	s_barrier
	s_barrier
	s_cbranch_vccz .LBB1098_116
; %bb.5:
	v_mov_b64_e32 v[2:3], s[52:53]
	flat_load_dword v2, v[2:3]
	s_add_i32 s65, s33, s94
	v_cmp_gt_u32_e64 s[6:7], s65, v0
	s_waitcnt vmcnt(0) lgkmcnt(0)
	v_mov_b32_e32 v4, v2
	s_and_saveexec_b64 s[0:1], s[6:7]
	s_cbranch_execz .LBB1098_7
; %bb.6:
	v_lshlrev_b32_e32 v4, 2, v0
	v_mov_b32_e32 v5, 0
	v_lshl_add_u64 v[4:5], s[52:53], 0, v[4:5]
	flat_load_dword v4, v[4:5]
.LBB1098_7:
	s_or_b64 exec, exec, s[0:1]
	v_or_b32_e32 v1, 0x100, v0
	v_cmp_gt_u32_e64 s[8:9], s65, v1
	v_mov_b32_e32 v5, v2
	s_and_saveexec_b64 s[0:1], s[8:9]
	s_cbranch_execz .LBB1098_9
; %bb.8:
	v_lshlrev_b32_e32 v6, 2, v0
	v_mov_b32_e32 v7, 0
	v_lshl_add_u64 v[6:7], s[52:53], 0, v[6:7]
	flat_load_dword v5, v[6:7] offset:1024
.LBB1098_9:
	s_or_b64 exec, exec, s[0:1]
	v_or_b32_e32 v1, 0x200, v0
	v_cmp_gt_u32_e64 s[10:11], s65, v1
	v_mov_b32_e32 v6, v2
	s_and_saveexec_b64 s[0:1], s[10:11]
	s_cbranch_execz .LBB1098_11
; %bb.10:
	v_lshlrev_b32_e32 v6, 2, v0
	v_mov_b32_e32 v7, 0
	v_lshl_add_u64 v[6:7], s[52:53], 0, v[6:7]
	flat_load_dword v6, v[6:7] offset:2048
.LBB1098_11:
	s_or_b64 exec, exec, s[0:1]
	v_or_b32_e32 v18, 0x300, v0
	v_cmp_gt_u32_e64 s[12:13], s65, v18
	v_mov_b32_e32 v7, v2
	s_and_saveexec_b64 s[0:1], s[12:13]
	s_cbranch_execz .LBB1098_13
; %bb.12:
	v_lshlrev_b32_e32 v8, 2, v0
	v_mov_b32_e32 v9, 0
	v_lshl_add_u64 v[8:9], s[52:53], 0, v[8:9]
	flat_load_dword v7, v[8:9] offset:3072
.LBB1098_13:
	s_or_b64 exec, exec, s[0:1]
	v_or_b32_e32 v20, 0x400, v0
	v_cmp_gt_u32_e64 s[14:15], s65, v20
	v_mov_b32_e32 v8, v2
	s_and_saveexec_b64 s[0:1], s[14:15]
	s_cbranch_execz .LBB1098_15
; %bb.14:
	v_lshlrev_b32_e32 v8, 2, v20
	v_mov_b32_e32 v9, 0
	v_lshl_add_u64 v[8:9], s[52:53], 0, v[8:9]
	flat_load_dword v8, v[8:9]
.LBB1098_15:
	s_or_b64 exec, exec, s[0:1]
	v_or_b32_e32 v22, 0x500, v0
	v_cmp_gt_u32_e64 s[16:17], s65, v22
	v_mov_b32_e32 v9, v2
	s_and_saveexec_b64 s[0:1], s[16:17]
	s_cbranch_execz .LBB1098_17
; %bb.16:
	v_lshlrev_b32_e32 v10, 2, v22
	v_mov_b32_e32 v11, 0
	v_lshl_add_u64 v[10:11], s[52:53], 0, v[10:11]
	flat_load_dword v9, v[10:11]
.LBB1098_17:
	;; [unrolled: 12-line block ×16, first 2 shown]
	s_or_b64 exec, exec, s[0:1]
	v_or_b32_e32 v65, 0x1400, v0
	v_cmp_gt_u32_e64 s[48:49], s65, v65
	v_mov_b32_e32 v3, 0
	s_and_saveexec_b64 s[0:1], s[48:49]
	s_cbranch_execz .LBB1098_47
; %bb.46:
	v_lshlrev_b32_e32 v2, 2, v65
	v_lshl_add_u64 v[2:3], s[52:53], 0, v[2:3]
	flat_load_dword v2, v[2:3]
.LBB1098_47:
	s_or_b64 exec, exec, s[0:1]
	v_lshlrev_b32_e32 v3, 2, v0
	s_movk_i32 s0, 0x50
	s_waitcnt vmcnt(0) lgkmcnt(0)
	ds_write2st64_b32 v3, v4, v5 offset1:4
	ds_write2st64_b32 v3, v6, v7 offset0:8 offset1:12
	ds_write2st64_b32 v3, v8, v9 offset0:16 offset1:20
	;; [unrolled: 1-line block ×9, first 2 shown]
	ds_write_b32 v3, v2 offset:20480
	v_mad_u32_u24 v2, v0, s0, v3
	s_waitcnt lgkmcnt(0)
	s_barrier
	ds_read2_b32 v[40:41], v2 offset0:7 offset1:8
	ds_read2_b32 v[44:45], v2 offset0:5 offset1:6
	;; [unrolled: 1-line block ×3, first 2 shown]
	ds_read2_b32 v[36:37], v2 offset1:1
	ds_read2_b32 v[32:33], v2 offset0:4 offset1:9
	ds_read2_b32 v[8:9], v2 offset0:15 offset1:16
	ds_read_b32 v64, v2 offset:56
	ds_read2_b32 v[16:17], v2 offset0:12 offset1:13
	ds_read2_b32 v[24:25], v2 offset0:10 offset1:11
	;; [unrolled: 1-line block ×4, first 2 shown]
	s_cmp_eq_u64 s[56:57], 0
	s_mov_b64 s[0:1], s[52:53]
	s_cbranch_scc1 .LBB1098_51
; %bb.48:
	s_andn2_b64 vcc, exec, s[54:55]
	s_cbranch_vccnz .LBB1098_295
; %bb.49:
	s_lshl_b64 s[0:1], s[56:57], 2
	s_add_u32 s0, s66, s0
	s_addc_u32 s1, s67, s1
	s_add_u32 s0, s0, -4
	s_addc_u32 s1, s1, -1
	s_cbranch_execnz .LBB1098_51
.LBB1098_50:
	s_add_u32 s0, s52, -4
	s_addc_u32 s1, s53, -1
.LBB1098_51:
	v_mov_b64_e32 v[6:7], s[0:1]
	flat_load_dword v68, v[6:7]
	s_movk_i32 s0, 0xffb0
	v_mad_i32_i24 v66, v0, s0, v2
	s_waitcnt lgkmcnt(0)
	ds_write_b32 v66, v5 offset:21504
	s_waitcnt lgkmcnt(0)
	s_barrier
	s_and_saveexec_b64 s[0:1], s[4:5]
	s_cbranch_execz .LBB1098_53
; %bb.52:
	s_waitcnt vmcnt(0)
	ds_read_b32 v68, v66 offset:21500
.LBB1098_53:
	s_or_b64 exec, exec, s[0:1]
	v_mov_b32_e32 v7, 0
	s_waitcnt lgkmcnt(0)
	s_barrier
	s_waitcnt lgkmcnt(0)
                                        ; implicit-def: $vgpr2_vgpr3
	s_and_saveexec_b64 s[0:1], s[6:7]
	s_cbranch_execnz .LBB1098_275
; %bb.54:
	s_or_b64 exec, exec, s[0:1]
                                        ; implicit-def: $vgpr6_vgpr7
	s_and_saveexec_b64 s[0:1], s[8:9]
	s_cbranch_execnz .LBB1098_276
.LBB1098_55:
	s_or_b64 exec, exec, s[0:1]
                                        ; implicit-def: $vgpr10_vgpr11
	s_and_saveexec_b64 s[0:1], s[10:11]
	s_cbranch_execnz .LBB1098_277
.LBB1098_56:
	s_or_b64 exec, exec, s[0:1]
                                        ; implicit-def: $vgpr14_vgpr15
	s_and_saveexec_b64 s[0:1], s[12:13]
	s_cbranch_execnz .LBB1098_278
.LBB1098_57:
	s_or_b64 exec, exec, s[0:1]
                                        ; implicit-def: $vgpr18_vgpr19
	s_and_saveexec_b64 s[0:1], s[14:15]
	s_cbranch_execnz .LBB1098_279
.LBB1098_58:
	s_or_b64 exec, exec, s[0:1]
                                        ; implicit-def: $vgpr20_vgpr21
	s_and_saveexec_b64 s[0:1], s[16:17]
	s_cbranch_execnz .LBB1098_280
.LBB1098_59:
	s_or_b64 exec, exec, s[0:1]
                                        ; implicit-def: $vgpr22_vgpr23
	s_and_saveexec_b64 s[0:1], s[18:19]
	s_cbranch_execnz .LBB1098_281
.LBB1098_60:
	s_or_b64 exec, exec, s[0:1]
                                        ; implicit-def: $vgpr26_vgpr27
	s_and_saveexec_b64 s[0:1], s[20:21]
	s_cbranch_execnz .LBB1098_282
.LBB1098_61:
	s_or_b64 exec, exec, s[0:1]
                                        ; implicit-def: $vgpr30_vgpr31
	s_and_saveexec_b64 s[0:1], s[22:23]
	s_cbranch_execnz .LBB1098_283
.LBB1098_62:
	s_or_b64 exec, exec, s[0:1]
                                        ; implicit-def: $vgpr34_vgpr35
	s_and_saveexec_b64 s[0:1], s[24:25]
	s_cbranch_execnz .LBB1098_284
.LBB1098_63:
	s_or_b64 exec, exec, s[0:1]
                                        ; implicit-def: $vgpr38_vgpr39
	s_and_saveexec_b64 s[0:1], s[26:27]
	s_cbranch_execnz .LBB1098_285
.LBB1098_64:
	s_or_b64 exec, exec, s[0:1]
                                        ; implicit-def: $vgpr42_vgpr43
	s_and_saveexec_b64 s[0:1], s[28:29]
	s_cbranch_execnz .LBB1098_286
.LBB1098_65:
	s_or_b64 exec, exec, s[0:1]
                                        ; implicit-def: $vgpr46_vgpr47
	s_and_saveexec_b64 s[0:1], s[30:31]
	s_cbranch_execnz .LBB1098_287
.LBB1098_66:
	s_or_b64 exec, exec, s[0:1]
                                        ; implicit-def: $vgpr48_vgpr49
	s_and_saveexec_b64 s[0:1], s[34:35]
	s_cbranch_execnz .LBB1098_288
.LBB1098_67:
	s_or_b64 exec, exec, s[0:1]
                                        ; implicit-def: $vgpr50_vgpr51
	s_and_saveexec_b64 s[0:1], s[36:37]
	s_cbranch_execnz .LBB1098_289
.LBB1098_68:
	s_or_b64 exec, exec, s[0:1]
                                        ; implicit-def: $vgpr52_vgpr53
	s_and_saveexec_b64 s[0:1], s[38:39]
	s_cbranch_execnz .LBB1098_290
.LBB1098_69:
	s_or_b64 exec, exec, s[0:1]
                                        ; implicit-def: $vgpr54_vgpr55
	s_and_saveexec_b64 s[0:1], s[40:41]
	s_cbranch_execnz .LBB1098_291
.LBB1098_70:
	s_or_b64 exec, exec, s[0:1]
                                        ; implicit-def: $vgpr56_vgpr57
	s_and_saveexec_b64 s[0:1], s[42:43]
	s_cbranch_execnz .LBB1098_292
.LBB1098_71:
	s_or_b64 exec, exec, s[0:1]
                                        ; implicit-def: $vgpr58_vgpr59
	s_and_saveexec_b64 s[0:1], s[44:45]
	s_cbranch_execnz .LBB1098_293
.LBB1098_72:
	s_or_b64 exec, exec, s[0:1]
                                        ; implicit-def: $vgpr60_vgpr61
	s_and_saveexec_b64 s[0:1], s[46:47]
	s_cbranch_execnz .LBB1098_294
.LBB1098_73:
	s_or_b64 exec, exec, s[0:1]
                                        ; implicit-def: $vgpr62_vgpr63
	s_and_saveexec_b64 s[0:1], s[48:49]
	s_cbranch_execz .LBB1098_75
.LBB1098_74:
	v_lshlrev_b32_e32 v62, 3, v65
	v_mov_b32_e32 v63, 0
	v_lshl_add_u64 v[62:63], s[50:51], 0, v[62:63]
	flat_load_dwordx2 v[62:63], v[62:63]
.LBB1098_75:
	s_or_b64 exec, exec, s[0:1]
	v_lshl_add_u32 v69, v0, 2, v66
	v_mul_u32_u24_e32 v65, 21, v0
	s_waitcnt vmcnt(0) lgkmcnt(0)
	ds_write2st64_b64 v69, v[2:3], v[6:7] offset1:4
	ds_write2st64_b64 v69, v[10:11], v[14:15] offset0:8 offset1:12
	ds_write2st64_b64 v69, v[18:19], v[20:21] offset0:16 offset1:20
	ds_write2st64_b64 v69, v[22:23], v[26:27] offset0:24 offset1:28
	ds_write2st64_b64 v69, v[30:31], v[34:35] offset0:32 offset1:36
	ds_write2st64_b64 v69, v[38:39], v[42:43] offset0:40 offset1:44
	ds_write2st64_b64 v69, v[46:47], v[48:49] offset0:48 offset1:52
	ds_write2st64_b64 v69, v[50:51], v[52:53] offset0:56 offset1:60
	ds_write2st64_b64 v69, v[54:55], v[56:57] offset0:64 offset1:68
	ds_write2st64_b64 v69, v[58:59], v[60:61] offset0:72 offset1:76
	ds_write_b64 v69, v[62:63] offset:40960
	v_mov_b64_e32 v[10:11], 0
	v_cmp_gt_u32_e32 vcc, s65, v65
	s_mov_b64 s[6:7], 0
	s_mov_b64 s[10:11], 0
	s_mov_b32 s64, 0
	v_mov_b32_e32 v128, 0
	v_mov_b32_e32 v122, 0
	;; [unrolled: 1-line block ×5, first 2 shown]
	v_mov_b64_e32 v[70:71], v[10:11]
	v_mov_b64_e32 v[78:79], v[10:11]
	;; [unrolled: 1-line block ×8, first 2 shown]
	v_mov_b32_e32 v124, 0
	v_mov_b64_e32 v[38:39], v[10:11]
	v_mov_b64_e32 v[50:51], v[10:11]
	;; [unrolled: 1-line block ×5, first 2 shown]
	v_mov_b32_e32 v123, 0
	v_mov_b64_e32 v[34:35], v[10:11]
	v_mov_b64_e32 v[14:15], v[10:11]
	;; [unrolled: 1-line block ×5, first 2 shown]
	v_mov_b32_e32 v1, 0
	v_mov_b64_e32 v[2:3], v[10:11]
	s_waitcnt lgkmcnt(0)
	s_barrier
	s_waitcnt lgkmcnt(0)
                                        ; implicit-def: $sgpr0_sgpr1
                                        ; implicit-def: $vgpr83
                                        ; implicit-def: $vgpr82
                                        ; implicit-def: $vgpr84
                                        ; implicit-def: $vgpr85
	s_and_saveexec_b64 s[12:13], vcc
	s_cbranch_execz .LBB1098_115
; %bb.76:
	s_movk_i32 s0, 0xa0
	v_mad_u32_u24 v2, v0, s0, v69
	ds_read_b64 v[2:3], v2
	v_cmp_ne_u32_e32 vcc, v68, v36
	v_add_u32_e32 v6, 1, v65
	v_mov_b64_e32 v[10:11], 0
	v_cndmask_b32_e64 v1, 0, 1, vcc
	v_cmp_gt_u32_e32 vcc, s65, v6
	s_mov_b64 s[18:19], 0
	v_mov_b32_e32 v128, 0
	v_mov_b32_e32 v122, 0
	;; [unrolled: 1-line block ×5, first 2 shown]
	v_mov_b64_e32 v[70:71], v[10:11]
	v_mov_b64_e32 v[78:79], v[10:11]
	;; [unrolled: 1-line block ×8, first 2 shown]
	v_mov_b32_e32 v124, 0
	v_mov_b64_e32 v[38:39], v[10:11]
	v_mov_b64_e32 v[50:51], v[10:11]
	;; [unrolled: 1-line block ×5, first 2 shown]
	v_mov_b32_e32 v123, 0
	v_mov_b64_e32 v[34:35], v[10:11]
	v_mov_b64_e32 v[14:15], v[10:11]
	;; [unrolled: 1-line block ×5, first 2 shown]
                                        ; implicit-def: $sgpr0_sgpr1
                                        ; implicit-def: $vgpr83
                                        ; implicit-def: $vgpr82
                                        ; implicit-def: $vgpr84
                                        ; implicit-def: $vgpr85
	s_and_saveexec_b64 s[14:15], vcc
	s_cbranch_execz .LBB1098_114
; %bb.77:
	v_mul_u32_u24_e32 v6, 0xa0, v0
	v_add_u32_e32 v48, v69, v6
	ds_read2_b64 v[18:21], v48 offset0:1 offset1:2
	v_cmp_ne_u32_e64 s[0:1], v36, v37
	v_add_u32_e32 v6, 2, v65
	v_mov_b64_e32 v[10:11], 0
	v_cmp_ne_u32_e32 vcc, v28, v29
	v_cmp_ne_u32_e64 s[6:7], v29, v32
	v_cmp_ne_u32_e64 s[8:9], v37, v28
	v_cndmask_b32_e64 v128, 0, 1, s[0:1]
	v_cmp_gt_u32_e64 s[0:1], s65, v6
	s_mov_b64 s[20:21], 0
	v_mov_b32_e32 v127, 0
	v_mov_b32_e32 v122, 0
	;; [unrolled: 1-line block ×4, first 2 shown]
	v_mov_b64_e32 v[70:71], v[10:11]
	v_mov_b64_e32 v[78:79], v[10:11]
	;; [unrolled: 1-line block ×8, first 2 shown]
	v_mov_b32_e32 v124, 0
	v_mov_b64_e32 v[38:39], v[10:11]
	v_mov_b64_e32 v[50:51], v[10:11]
	;; [unrolled: 1-line block ×5, first 2 shown]
	v_mov_b32_e32 v123, 0
	v_mov_b64_e32 v[34:35], v[10:11]
	v_mov_b64_e32 v[14:15], v[10:11]
	;; [unrolled: 1-line block ×4, first 2 shown]
                                        ; implicit-def: $sgpr22_sgpr23
                                        ; implicit-def: $vgpr83
                                        ; implicit-def: $vgpr82
                                        ; implicit-def: $vgpr84
                                        ; implicit-def: $vgpr85
	s_and_saveexec_b64 s[16:17], s[0:1]
	s_cbranch_execz .LBB1098_113
; %bb.78:
	v_cndmask_b32_e64 v6, 0, 1, s[8:9]
	v_cndmask_b32_e64 v7, 0, 1, s[6:7]
	v_lshlrev_b16_e32 v6, 8, v6
	v_lshlrev_b16_e32 v7, 8, v7
	v_cndmask_b32_e64 v10, 0, 1, vcc
	v_or_b32_e32 v6, v128, v6
	v_or_b32_sdwa v7, v10, v7 dst_sel:WORD_1 dst_unused:UNUSED_PAD src0_sel:DWORD src1_sel:DWORD
	v_add_u32_e32 v10, 3, v65
	v_or_b32_sdwa v83, v6, v7 dst_sel:DWORD dst_unused:UNUSED_PAD src0_sel:WORD_0 src1_sel:DWORD
	v_cmp_gt_u32_e32 vcc, s65, v10
	v_mov_b64_e32 v[10:11], 0
	v_and_b32_e32 v128, 0xffff, v83
	s_waitcnt lgkmcnt(0)
	v_mov_b32_e32 v6, v20
	v_mov_b32_e32 v7, v21
	s_mov_b64 s[0:1], 0
	v_mov_b32_e32 v127, 0
	v_mov_b32_e32 v122, 0
	;; [unrolled: 1-line block ×4, first 2 shown]
	v_mov_b64_e32 v[70:71], v[10:11]
	v_mov_b64_e32 v[78:79], v[10:11]
	v_mov_b64_e32 v[62:63], v[10:11]
	v_mov_b64_e32 v[74:75], v[10:11]
	v_mov_b64_e32 v[54:55], v[10:11]
	v_mov_b64_e32 v[66:67], v[10:11]
	v_mov_b64_e32 v[46:47], v[10:11]
	v_mov_b64_e32 v[58:59], v[10:11]
	v_mov_b32_e32 v124, 0
	v_mov_b64_e32 v[38:39], v[10:11]
	v_mov_b64_e32 v[50:51], v[10:11]
	;; [unrolled: 1-line block ×5, first 2 shown]
	v_mov_b32_e32 v123, 0
	v_mov_b64_e32 v[34:35], v[10:11]
	v_mov_b64_e32 v[14:15], v[10:11]
	;; [unrolled: 1-line block ×3, first 2 shown]
                                        ; implicit-def: $sgpr6_sgpr7
                                        ; implicit-def: $vgpr82
                                        ; implicit-def: $vgpr84
                                        ; implicit-def: $vgpr85
	s_and_saveexec_b64 s[18:19], vcc
	s_cbranch_execz .LBB1098_112
; %bb.79:
	ds_read2_b64 v[26:29], v48 offset0:3 offset1:4
	v_add_u32_e32 v10, 4, v65
	v_cmp_gt_u32_e32 vcc, s65, v10
	v_mov_b64_e32 v[10:11], 0
	v_and_b32_e32 v128, 0xffffff, v83
	s_mov_b64 s[6:7], 0
	v_mov_b32_e32 v127, 0
	v_mov_b32_e32 v122, 0
	;; [unrolled: 1-line block ×4, first 2 shown]
	v_mov_b64_e32 v[70:71], v[10:11]
	v_mov_b64_e32 v[78:79], v[10:11]
	;; [unrolled: 1-line block ×8, first 2 shown]
	v_mov_b32_e32 v124, 0
	v_mov_b64_e32 v[38:39], v[10:11]
	v_mov_b64_e32 v[50:51], v[10:11]
	;; [unrolled: 1-line block ×5, first 2 shown]
	v_mov_b32_e32 v123, 0
	v_mov_b64_e32 v[34:35], v[10:11]
	v_mov_b64_e32 v[14:15], v[10:11]
                                        ; implicit-def: $sgpr8_sgpr9
                                        ; implicit-def: $vgpr82
                                        ; implicit-def: $vgpr84
                                        ; implicit-def: $vgpr85
	s_and_saveexec_b64 s[20:21], vcc
	s_cbranch_execz .LBB1098_111
; %bb.80:
	v_add_u32_e32 v10, 5, v65
	v_cmp_gt_u32_e32 vcc, s65, v10
	v_mov_b64_e32 v[10:11], 0
	s_waitcnt lgkmcnt(0)
	v_mov_b32_e32 v14, v28
	v_mov_b32_e32 v15, v29
	;; [unrolled: 1-line block ×6, first 2 shown]
	v_mov_b64_e32 v[70:71], v[10:11]
	v_mov_b64_e32 v[78:79], v[10:11]
	v_mov_b64_e32 v[62:63], v[10:11]
	v_mov_b64_e32 v[74:75], v[10:11]
	v_mov_b64_e32 v[54:55], v[10:11]
	v_mov_b64_e32 v[66:67], v[10:11]
	v_mov_b64_e32 v[46:47], v[10:11]
	v_mov_b64_e32 v[58:59], v[10:11]
	v_mov_b32_e32 v124, 0
	v_mov_b64_e32 v[38:39], v[10:11]
	v_mov_b64_e32 v[50:51], v[10:11]
	;; [unrolled: 1-line block ×5, first 2 shown]
	v_mov_b32_e32 v123, 0
	v_mov_b64_e32 v[34:35], v[10:11]
                                        ; implicit-def: $sgpr8_sgpr9
                                        ; implicit-def: $vgpr82
                                        ; implicit-def: $vgpr84
                                        ; implicit-def: $vgpr85
	s_and_saveexec_b64 s[22:23], vcc
	s_cbranch_execz .LBB1098_110
; %bb.81:
	ds_read2_b64 v[34:37], v48 offset0:5 offset1:6
	v_cmp_ne_u32_e32 vcc, v32, v44
	v_add_u32_e32 v10, 6, v65
	s_mov_b64 s[28:29], 0
	v_cndmask_b32_e64 v123, 0, 1, vcc
	v_cmp_gt_u32_e32 vcc, s65, v10
	v_mov_b64_e32 v[10:11], 0
	v_mov_b32_e32 v127, 0
	v_mov_b32_e32 v122, 0
	;; [unrolled: 1-line block ×4, first 2 shown]
	v_mov_b64_e32 v[70:71], v[10:11]
	v_mov_b64_e32 v[78:79], v[10:11]
	v_mov_b64_e32 v[62:63], v[10:11]
	v_mov_b64_e32 v[74:75], v[10:11]
	v_mov_b64_e32 v[54:55], v[10:11]
	v_mov_b64_e32 v[66:67], v[10:11]
	v_mov_b64_e32 v[46:47], v[10:11]
	v_mov_b64_e32 v[58:59], v[10:11]
	v_mov_b32_e32 v124, 0
	v_mov_b64_e32 v[38:39], v[10:11]
	v_mov_b64_e32 v[50:51], v[10:11]
	;; [unrolled: 1-line block ×5, first 2 shown]
                                        ; implicit-def: $sgpr6_sgpr7
                                        ; implicit-def: $vgpr82
                                        ; implicit-def: $vgpr84
                                        ; implicit-def: $vgpr85
	s_and_saveexec_b64 s[24:25], vcc
	s_cbranch_execz .LBB1098_109
; %bb.82:
	v_cmp_ne_u32_e64 s[0:1], v44, v45
	v_add_u32_e32 v10, 7, v65
	s_waitcnt lgkmcnt(0)
	v_mov_b32_e32 v22, v36
	v_cndmask_b32_e64 v127, 0, 1, s[0:1]
	v_cmp_gt_u32_e64 s[0:1], s65, v10
	v_mov_b64_e32 v[10:11], 0
	v_mov_b32_e32 v23, v37
	v_cmp_ne_u32_e32 vcc, v40, v41
	v_cmp_ne_u32_e64 s[6:7], v41, v33
	v_cmp_ne_u32_e64 s[8:9], v45, v40
	s_mov_b64 s[30:31], 0
	v_mov_b32_e32 v126, 0
	v_mov_b32_e32 v122, 0
	;; [unrolled: 1-line block ×3, first 2 shown]
	v_mov_b64_e32 v[70:71], v[10:11]
	v_mov_b64_e32 v[78:79], v[10:11]
	;; [unrolled: 1-line block ×8, first 2 shown]
	v_mov_b32_e32 v124, 0
	v_mov_b64_e32 v[38:39], v[10:11]
	v_mov_b64_e32 v[50:51], v[10:11]
	;; [unrolled: 1-line block ×4, first 2 shown]
                                        ; implicit-def: $sgpr34_sgpr35
                                        ; implicit-def: $vgpr82
                                        ; implicit-def: $vgpr84
                                        ; implicit-def: $vgpr85
	s_and_saveexec_b64 s[26:27], s[0:1]
	s_cbranch_execz .LBB1098_108
; %bb.83:
	v_cndmask_b32_e64 v10, 0, 1, s[8:9]
	v_cndmask_b32_e64 v11, 0, 1, s[6:7]
	v_lshlrev_b16_e32 v10, 8, v10
	v_lshlrev_b16_e32 v11, 8, v11
	v_cndmask_b32_e64 v20, 0, 1, vcc
	ds_read2_b64 v[42:45], v48 offset0:7 offset1:8
	v_or_b32_e32 v10, v127, v10
	v_or_b32_sdwa v11, v20, v11 dst_sel:WORD_1 dst_unused:UNUSED_PAD src0_sel:DWORD src1_sel:DWORD
	s_mov_b64 s[0:1], 0
	v_or_b32_sdwa v82, v10, v11 dst_sel:DWORD dst_unused:UNUSED_PAD src0_sel:WORD_0 src1_sel:DWORD
	v_add_u32_e32 v10, 8, v65
	v_cmp_gt_u32_e32 vcc, s65, v10
	v_mov_b64_e32 v[10:11], 0
	v_and_b32_e32 v127, 0xffff, v82
	v_mov_b32_e32 v126, 0
	v_mov_b32_e32 v122, 0
	;; [unrolled: 1-line block ×3, first 2 shown]
	v_mov_b64_e32 v[70:71], v[10:11]
	v_mov_b64_e32 v[78:79], v[10:11]
	v_mov_b64_e32 v[62:63], v[10:11]
	v_mov_b64_e32 v[74:75], v[10:11]
	v_mov_b64_e32 v[54:55], v[10:11]
	v_mov_b64_e32 v[66:67], v[10:11]
	v_mov_b64_e32 v[46:47], v[10:11]
	v_mov_b64_e32 v[58:59], v[10:11]
	v_mov_b32_e32 v124, 0
	v_mov_b64_e32 v[38:39], v[10:11]
	v_mov_b64_e32 v[50:51], v[10:11]
	;; [unrolled: 1-line block ×3, first 2 shown]
                                        ; implicit-def: $sgpr6_sgpr7
                                        ; implicit-def: $vgpr84
                                        ; implicit-def: $vgpr85
	s_and_saveexec_b64 s[28:29], vcc
	s_cbranch_execz .LBB1098_107
; %bb.84:
	v_add_u32_e32 v10, 9, v65
	v_cmp_gt_u32_e32 vcc, s65, v10
	v_mov_b64_e32 v[10:11], 0
	s_waitcnt lgkmcnt(0)
	v_mov_b32_e32 v30, v44
	v_mov_b32_e32 v31, v45
	v_and_b32_e32 v127, 0xffffff, v82
	s_mov_b64 s[6:7], 0
	v_mov_b32_e32 v126, 0
	v_mov_b32_e32 v122, 0
	;; [unrolled: 1-line block ×3, first 2 shown]
	v_mov_b64_e32 v[70:71], v[10:11]
	v_mov_b64_e32 v[78:79], v[10:11]
	;; [unrolled: 1-line block ×8, first 2 shown]
	v_mov_b32_e32 v124, 0
	v_mov_b64_e32 v[38:39], v[10:11]
	v_mov_b64_e32 v[50:51], v[10:11]
                                        ; implicit-def: $sgpr8_sgpr9
                                        ; implicit-def: $vgpr84
                                        ; implicit-def: $vgpr85
	s_and_saveexec_b64 s[30:31], vcc
	s_cbranch_execz .LBB1098_106
; %bb.85:
	ds_read2_b64 v[50:53], v48 offset0:9 offset1:10
	v_add_u32_e32 v10, 10, v65
	v_cmp_gt_u32_e32 vcc, s65, v10
	v_mov_b64_e32 v[10:11], 0
	v_mov_b32_e32 v126, 0
	v_mov_b32_e32 v122, 0
	;; [unrolled: 1-line block ×3, first 2 shown]
	v_mov_b64_e32 v[70:71], v[10:11]
	v_mov_b64_e32 v[78:79], v[10:11]
	;; [unrolled: 1-line block ×8, first 2 shown]
	v_mov_b32_e32 v124, 0
	v_mov_b64_e32 v[38:39], v[10:11]
                                        ; implicit-def: $sgpr8_sgpr9
                                        ; implicit-def: $vgpr84
                                        ; implicit-def: $vgpr85
	s_and_saveexec_b64 s[34:35], vcc
	s_cbranch_execz .LBB1098_105
; %bb.86:
	v_cmp_ne_u32_e32 vcc, v33, v24
	v_add_u32_e32 v10, 11, v65
	s_waitcnt lgkmcnt(0)
	v_mov_b32_e32 v38, v52
	v_cndmask_b32_e64 v124, 0, 1, vcc
	v_cmp_gt_u32_e32 vcc, s65, v10
	v_mov_b64_e32 v[10:11], 0
	v_mov_b32_e32 v39, v53
	s_mov_b64 s[40:41], 0
	v_mov_b32_e32 v126, 0
	v_mov_b32_e32 v122, 0
	;; [unrolled: 1-line block ×3, first 2 shown]
	v_mov_b64_e32 v[70:71], v[10:11]
	v_mov_b64_e32 v[78:79], v[10:11]
	v_mov_b64_e32 v[62:63], v[10:11]
	v_mov_b64_e32 v[74:75], v[10:11]
	v_mov_b64_e32 v[54:55], v[10:11]
	v_mov_b64_e32 v[66:67], v[10:11]
	v_mov_b64_e32 v[46:47], v[10:11]
	v_mov_b64_e32 v[58:59], v[10:11]
                                        ; implicit-def: $sgpr6_sgpr7
                                        ; implicit-def: $vgpr84
                                        ; implicit-def: $vgpr85
	s_and_saveexec_b64 s[36:37], vcc
	s_cbranch_execz .LBB1098_104
; %bb.87:
	ds_read2_b64 v[58:61], v48 offset0:11 offset1:12
	v_cmp_ne_u32_e64 s[0:1], v24, v25
	v_add_u32_e32 v10, 12, v65
	v_cmp_ne_u32_e32 vcc, v16, v17
	v_cndmask_b32_e64 v126, 0, 1, s[0:1]
	v_cmp_gt_u32_e64 s[0:1], s65, v10
	v_mov_b64_e32 v[10:11], 0
	v_cmp_ne_u32_e64 s[6:7], v17, v64
	v_cmp_ne_u32_e64 s[8:9], v25, v16
	s_mov_b64 s[42:43], 0
	v_mov_b32_e32 v125, 0
	v_mov_b32_e32 v122, 0
	v_mov_b64_e32 v[70:71], v[10:11]
	v_mov_b64_e32 v[78:79], v[10:11]
	;; [unrolled: 1-line block ×7, first 2 shown]
                                        ; implicit-def: $sgpr44_sgpr45
                                        ; implicit-def: $vgpr84
                                        ; implicit-def: $vgpr85
	s_and_saveexec_b64 s[38:39], s[0:1]
	s_cbranch_execz .LBB1098_103
; %bb.88:
	v_cndmask_b32_e64 v10, 0, 1, s[8:9]
	v_cndmask_b32_e64 v11, 0, 1, s[6:7]
	v_lshlrev_b16_e32 v10, 8, v10
	v_lshlrev_b16_e32 v11, 8, v11
	v_cndmask_b32_e64 v16, 0, 1, vcc
	v_or_b32_e32 v10, v126, v10
	v_or_b32_sdwa v11, v16, v11 dst_sel:WORD_1 dst_unused:UNUSED_PAD src0_sel:DWORD src1_sel:DWORD
	s_mov_b64 s[82:83], s[78:79]
	v_or_b32_sdwa v84, v10, v11 dst_sel:DWORD dst_unused:UNUSED_PAD src0_sel:WORD_0 src1_sel:DWORD
	v_add_u32_e32 v10, 13, v65
	v_cmp_gt_u32_e32 vcc, s65, v10
	v_mov_b64_e32 v[10:11], 0
	s_mov_b64 s[74:75], s[62:63]
	s_mov_b64 s[78:79], s[66:67]
	v_and_b32_e32 v126, 0xffff, v84
	s_waitcnt lgkmcnt(0)
	v_mov_b32_e32 v46, v60
	v_mov_b32_e32 v47, v61
	s_mov_b64 s[0:1], 0
	v_mov_b32_e32 v125, 0
	v_mov_b32_e32 v122, 0
	v_mov_b64_e32 v[70:71], v[10:11]
	v_mov_b64_e32 v[78:79], v[10:11]
	;; [unrolled: 1-line block ×6, first 2 shown]
                                        ; implicit-def: $sgpr6_sgpr7
                                        ; implicit-def: $vgpr85
	s_and_saveexec_b64 s[40:41], vcc
	s_cbranch_execz .LBB1098_102
; %bb.89:
	ds_read2_b64 v[66:69], v48 offset0:13 offset1:14
	v_add_u32_e32 v10, 14, v65
	v_cmp_gt_u32_e32 vcc, s65, v10
	v_mov_b64_e32 v[10:11], 0
	v_and_b32_e32 v126, 0xffffff, v84
	s_mov_b64 s[6:7], 0
	v_mov_b32_e32 v125, 0
	v_mov_b32_e32 v122, 0
	v_mov_b64_e32 v[70:71], v[10:11]
	v_mov_b64_e32 v[78:79], v[10:11]
	;; [unrolled: 1-line block ×5, first 2 shown]
                                        ; implicit-def: $sgpr8_sgpr9
                                        ; implicit-def: $vgpr85
	s_and_saveexec_b64 s[42:43], vcc
	s_cbranch_execz .LBB1098_101
; %bb.90:
	v_add_u32_e32 v10, 15, v65
	v_cmp_gt_u32_e32 vcc, s65, v10
	v_mov_b64_e32 v[10:11], 0
	s_waitcnt lgkmcnt(0)
	v_mov_b32_e32 v54, v68
	v_mov_b32_e32 v55, v69
	;; [unrolled: 1-line block ×4, first 2 shown]
	v_mov_b64_e32 v[70:71], v[10:11]
	v_mov_b64_e32 v[78:79], v[10:11]
	;; [unrolled: 1-line block ×4, first 2 shown]
                                        ; implicit-def: $sgpr8_sgpr9
                                        ; implicit-def: $vgpr85
	s_and_saveexec_b64 s[44:45], vcc
	s_cbranch_execz .LBB1098_100
; %bb.91:
	ds_read2_b64 v[74:77], v48 offset0:15 offset1:16
	v_cmp_ne_u32_e32 vcc, v64, v8
	v_add_u32_e32 v10, 16, v65
	s_mov_b64 s[58:59], 0
	v_cndmask_b32_e64 v122, 0, 1, vcc
	v_cmp_gt_u32_e32 vcc, s65, v10
	v_mov_b64_e32 v[10:11], 0
	v_mov_b32_e32 v125, 0
	v_mov_b64_e32 v[70:71], v[10:11]
	v_mov_b64_e32 v[78:79], v[10:11]
	;; [unrolled: 1-line block ×3, first 2 shown]
                                        ; implicit-def: $sgpr6_sgpr7
                                        ; implicit-def: $vgpr85
	s_and_saveexec_b64 s[46:47], vcc
	s_cbranch_execz .LBB1098_99
; %bb.92:
	v_cmp_ne_u32_e64 s[0:1], v8, v9
	v_add_u32_e32 v8, 17, v65
	v_mov_b64_e32 v[10:11], 0
	s_waitcnt lgkmcnt(0)
	v_mov_b32_e32 v62, v76
	v_mov_b32_e32 v63, v77
	v_cmp_ne_u32_e32 vcc, v12, v13
	v_cmp_ne_u32_e64 s[6:7], v13, v4
	v_cmp_ne_u32_e64 s[8:9], v9, v12
	v_cndmask_b32_e64 v125, 0, 1, s[0:1]
	v_cmp_gt_u32_e64 s[0:1], s65, v8
	s_mov_b64 s[60:61], 0
	v_mov_b64_e32 v[70:71], v[10:11]
	v_mov_b64_e32 v[78:79], v[10:11]
                                        ; implicit-def: $sgpr62_sgpr63
                                        ; implicit-def: $vgpr85
	s_and_saveexec_b64 s[48:49], s[0:1]
	s_cbranch_execz .LBB1098_98
; %bb.93:
	v_cndmask_b32_e64 v8, 0, 1, s[8:9]
	v_cndmask_b32_e64 v9, 0, 1, s[6:7]
	ds_read2_b64 v[78:81], v48 offset0:17 offset1:18
	v_lshlrev_b16_e32 v8, 8, v8
	v_lshlrev_b16_e32 v9, 8, v9
	v_cndmask_b32_e64 v10, 0, 1, vcc
	v_or_b32_e32 v8, v125, v8
	v_or_b32_sdwa v9, v10, v9 dst_sel:WORD_1 dst_unused:UNUSED_PAD src0_sel:DWORD src1_sel:DWORD
	v_mov_b64_e32 v[10:11], 0
	v_or_b32_sdwa v85, v8, v9 dst_sel:DWORD dst_unused:UNUSED_PAD src0_sel:WORD_0 src1_sel:DWORD
	v_add_u32_e32 v8, 18, v65
	v_and_b32_e32 v125, 0xffff, v85
	v_cmp_gt_u32_e32 vcc, s65, v8
	s_mov_b64 s[0:1], 0
	v_mov_b64_e32 v[70:71], v[10:11]
                                        ; implicit-def: $sgpr8_sgpr9
	s_and_saveexec_b64 s[6:7], vcc
	s_cbranch_execz .LBB1098_97
; %bb.94:
	v_add_u32_e32 v8, 19, v65
	s_waitcnt lgkmcnt(0)
	v_mov_b32_e32 v70, v80
	v_mov_b32_e32 v71, v81
	v_cmp_gt_u32_e32 vcc, s65, v8
	v_and_b32_e32 v125, 0xffffff, v85
	v_mov_b64_e32 v[10:11], 0
                                        ; implicit-def: $sgpr8_sgpr9
	s_and_saveexec_b64 s[58:59], vcc
	s_xor_b64 s[58:59], exec, s[58:59]
	s_cbranch_execz .LBB1098_96
; %bb.95:
	ds_read2_b64 v[10:13], v48 offset0:19 offset1:20
	v_cmp_ne_u32_e32 vcc, v4, v5
	v_add_u32_e32 v4, 20, v65
	v_cmp_gt_u32_e64 s[0:1], s65, v4
	s_and_b64 s[8:9], vcc, exec
	s_and_b64 s[0:1], s[0:1], exec
	s_waitcnt lgkmcnt(0)
	v_mov_b64_e32 v[72:73], v[10:11]
	v_mov_b32_e32 v125, v85
.LBB1098_96:
	s_or_b64 exec, exec, s[58:59]
	s_and_b64 s[8:9], s[8:9], exec
	s_and_b64 s[60:61], s[0:1], exec
.LBB1098_97:
	s_or_b64 exec, exec, s[6:7]
	s_and_b64 s[62:63], s[8:9], exec
	s_and_b64 s[58:59], s[60:61], exec
	s_waitcnt lgkmcnt(0)
	v_mov_b64_e32 v[64:65], v[78:79]
	v_mov_b64_e32 v[56:57], v[74:75]
	;; [unrolled: 1-line block ×9, first 2 shown]
.LBB1098_98:
	s_or_b64 exec, exec, s[48:49]
	s_and_b64 s[6:7], s[62:63], exec
	s_and_b64 s[0:1], s[58:59], exec
.LBB1098_99:
	s_or_b64 exec, exec, s[46:47]
	s_and_b64 s[8:9], s[6:7], exec
	s_and_b64 s[6:7], s[0:1], exec
.LBB1098_100:
	s_or_b64 exec, exec, s[44:45]
	s_and_b64 s[8:9], s[8:9], exec
	s_and_b64 s[0:1], s[6:7], exec
	v_mov_b32_e32 v126, v84
.LBB1098_101:
	s_or_b64 exec, exec, s[42:43]
	s_and_b64 s[6:7], s[8:9], exec
	s_and_b64 s[42:43], s[0:1], exec
.LBB1098_102:
	s_or_b64 exec, exec, s[40:41]
	s_and_b64 s[44:45], s[6:7], exec
	s_and_b64 s[40:41], s[42:43], exec
	s_mov_b64 s[62:63], s[74:75]
	s_mov_b64 s[66:67], s[78:79]
	;; [unrolled: 1-line block ×3, first 2 shown]
.LBB1098_103:
	s_or_b64 exec, exec, s[38:39]
	s_and_b64 s[6:7], s[44:45], exec
	s_and_b64 s[0:1], s[40:41], exec
.LBB1098_104:
	s_or_b64 exec, exec, s[36:37]
	s_and_b64 s[8:9], s[6:7], exec
	s_and_b64 s[6:7], s[0:1], exec
.LBB1098_105:
	s_or_b64 exec, exec, s[34:35]
	s_and_b64 s[8:9], s[8:9], exec
	s_and_b64 s[0:1], s[6:7], exec
	v_mov_b32_e32 v127, v82
.LBB1098_106:
	s_or_b64 exec, exec, s[30:31]
	s_and_b64 s[6:7], s[8:9], exec
	s_and_b64 s[30:31], s[0:1], exec
.LBB1098_107:
	s_or_b64 exec, exec, s[28:29]
	s_and_b64 s[34:35], s[6:7], exec
	s_and_b64 s[28:29], s[30:31], exec
.LBB1098_108:
	s_or_b64 exec, exec, s[26:27]
	s_and_b64 s[6:7], s[34:35], exec
	s_and_b64 s[0:1], s[28:29], exec
.LBB1098_109:
	s_or_b64 exec, exec, s[24:25]
	s_and_b64 s[8:9], s[6:7], exec
	s_and_b64 s[6:7], s[0:1], exec
.LBB1098_110:
	s_or_b64 exec, exec, s[22:23]
	s_and_b64 s[8:9], s[8:9], exec
	s_and_b64 s[0:1], s[6:7], exec
	v_mov_b32_e32 v128, v83
.LBB1098_111:
	s_or_b64 exec, exec, s[20:21]
	s_and_b64 s[6:7], s[8:9], exec
	s_and_b64 s[20:21], s[0:1], exec
.LBB1098_112:
	s_or_b64 exec, exec, s[18:19]
	s_and_b64 s[22:23], s[6:7], exec
	s_and_b64 s[18:19], s[20:21], exec
.LBB1098_113:
	s_or_b64 exec, exec, s[16:17]
	s_and_b64 s[0:1], s[22:23], exec
	s_and_b64 s[6:7], s[18:19], exec
.LBB1098_114:
	s_or_b64 exec, exec, s[14:15]
	s_and_b64 s[0:1], s[0:1], exec
	s_and_b64 s[6:7], s[6:7], exec
.LBB1098_115:
	s_or_b64 exec, exec, s[12:13]
	s_mov_b64 s[8:9], 0
	s_and_b64 vcc, exec, s[10:11]
	s_cbranch_vccnz .LBB1098_117
	s_branch .LBB1098_125
.LBB1098_116:
                                        ; implicit-def: $sgpr0_sgpr1
                                        ; implicit-def: $vgpr83
                                        ; implicit-def: $vgpr82
                                        ; implicit-def: $vgpr84
                                        ; implicit-def: $vgpr85
                                        ; implicit-def: $vgpr12_vgpr13
                                        ; implicit-def: $vgpr72_vgpr73
                                        ; implicit-def: $vgpr64_vgpr65
                                        ; implicit-def: $vgpr122
                                        ; implicit-def: $vgpr56_vgpr57
                                        ; implicit-def: $vgpr48_vgpr49
                                        ; implicit-def: $vgpr40_vgpr41
                                        ; implicit-def: $vgpr124
                                        ; implicit-def: $vgpr32_vgpr33
                                        ; implicit-def: $vgpr24_vgpr25
                                        ; implicit-def: $vgpr123
                                        ; implicit-def: $vgpr16_vgpr17
                                        ; implicit-def: $vgpr8_vgpr9
                                        ; implicit-def: $vgpr4_vgpr5
                                        ; implicit-def: $vgpr1
                                        ; implicit-def: $vgpr128
                                        ; implicit-def: $vgpr127
                                        ; implicit-def: $vgpr126
                                        ; implicit-def: $vgpr125
                                        ; implicit-def: $sgpr64
                                        ; implicit-def: $sgpr8_sgpr9
                                        ; implicit-def: $vgpr78_vgpr79
                                        ; implicit-def: $vgpr74_vgpr75
                                        ; implicit-def: $vgpr66_vgpr67
                                        ; implicit-def: $vgpr58_vgpr59
                                        ; implicit-def: $vgpr50_vgpr51
                                        ; implicit-def: $vgpr42_vgpr43
                                        ; implicit-def: $vgpr34_vgpr35
                                        ; implicit-def: $vgpr26_vgpr27
                                        ; implicit-def: $vgpr18_vgpr19
	s_and_b64 vcc, exec, s[10:11]
	s_cbranch_vccz .LBB1098_125
.LBB1098_117:
	s_waitcnt lgkmcnt(0)
	v_mov_b32_e32 v3, 0
	v_lshlrev_b32_e32 v2, 2, v0
	v_lshl_add_u64 v[4:5], s[52:53], 0, v[2:3]
	v_add_co_u32_e32 v6, vcc, 0x1000, v4
	s_movk_i32 s0, 0x50
	s_nop 0
	v_addc_co_u32_e32 v7, vcc, 0, v5, vcc
	flat_load_dword v1, v[4:5]
	flat_load_dword v3, v[4:5] offset:1024
	flat_load_dword v10, v[4:5] offset:2048
	;; [unrolled: 1-line block ×3, first 2 shown]
	flat_load_dword v12, v[6:7]
	flat_load_dword v13, v[6:7] offset:1024
	flat_load_dword v14, v[6:7] offset:2048
	;; [unrolled: 1-line block ×3, first 2 shown]
	v_add_co_u32_e32 v6, vcc, 0x2000, v4
	v_mad_u32_u24 v23, v0, s0, v2
	s_nop 0
	v_addc_co_u32_e32 v7, vcc, 0, v5, vcc
	v_add_co_u32_e32 v8, vcc, 0x3000, v4
	s_cmp_eq_u64 s[56:57], 0
	s_nop 0
	v_addc_co_u32_e32 v9, vcc, 0, v5, vcc
	flat_load_dword v16, v[6:7]
	flat_load_dword v17, v[6:7] offset:1024
	flat_load_dword v18, v[6:7] offset:2048
	;; [unrolled: 1-line block ×3, first 2 shown]
	flat_load_dword v20, v[8:9]
	flat_load_dword v21, v[8:9] offset:1024
	flat_load_dword v22, v[8:9] offset:2048
	;; [unrolled: 1-line block ×3, first 2 shown]
	v_add_co_u32_e32 v6, vcc, 0x4000, v4
	s_nop 1
	v_addc_co_u32_e32 v7, vcc, 0, v5, vcc
	v_add_co_u32_e32 v4, vcc, 0x5000, v4
	s_nop 1
	v_addc_co_u32_e32 v5, vcc, 0, v5, vcc
	flat_load_dword v8, v[6:7]
	flat_load_dword v9, v[6:7] offset:1024
	flat_load_dword v25, v[6:7] offset:2048
	;; [unrolled: 1-line block ×3, first 2 shown]
	flat_load_dword v27, v[4:5]
	s_waitcnt vmcnt(0) lgkmcnt(0)
	ds_write2st64_b32 v2, v1, v3 offset1:4
	ds_write2st64_b32 v2, v10, v11 offset0:8 offset1:12
	ds_write2st64_b32 v2, v12, v13 offset0:16 offset1:20
	;; [unrolled: 1-line block ×9, first 2 shown]
	ds_write_b32 v2, v27 offset:20480
	s_waitcnt lgkmcnt(0)
	s_barrier
	ds_read2_b32 v[8:9], v23 offset0:7 offset1:8
	ds_read2_b32 v[6:7], v23 offset0:5 offset1:6
	;; [unrolled: 1-line block ×3, first 2 shown]
	ds_read2_b32 v[10:11], v23 offset1:1
	ds_read2_b32 v[4:5], v23 offset0:4 offset1:9
	ds_read2_b32 v[16:17], v23 offset0:15 offset1:16
	ds_read_b32 v22, v23 offset:56
	ds_read2_b32 v[14:15], v23 offset0:12 offset1:13
	ds_read2_b32 v[12:13], v23 offset0:10 offset1:11
	;; [unrolled: 1-line block ×4, first 2 shown]
	s_cbranch_scc1 .LBB1098_122
; %bb.118:
	s_andn2_b64 vcc, exec, s[54:55]
	s_cbranch_vccnz .LBB1098_296
; %bb.119:
	s_lshl_b64 s[0:1], s[56:57], 2
	s_add_u32 s0, s66, s0
	s_addc_u32 s1, s67, s1
	s_add_u32 s0, s0, -4
	s_addc_u32 s1, s1, -1
	s_cbranch_execnz .LBB1098_121
.LBB1098_120:
	s_add_u32 s0, s52, -4
	s_addc_u32 s1, s53, -1
.LBB1098_121:
	s_mov_b64 s[52:53], s[0:1]
.LBB1098_122:
	v_mov_b64_e32 v[24:25], s[52:53]
	flat_load_dword v1, v[24:25]
	s_movk_i32 s0, 0xffb0
	v_mad_i32_i24 v23, v0, s0, v23
	s_waitcnt lgkmcnt(0)
	ds_write_b32 v23, v21 offset:21504
	s_waitcnt lgkmcnt(0)
	s_barrier
	s_and_saveexec_b64 s[0:1], s[4:5]
	s_cbranch_execz .LBB1098_124
; %bb.123:
	s_waitcnt vmcnt(0)
	ds_read_b32 v1, v23 offset:21500
.LBB1098_124:
	s_or_b64 exec, exec, s[0:1]
	v_lshlrev_b32_e32 v24, 3, v0
	v_mov_b32_e32 v25, 0
	v_lshl_add_u64 v[24:25], s[50:51], 0, v[24:25]
	s_movk_i32 s0, 0x1000
	v_add_co_u32_e32 v26, vcc, s0, v24
	s_movk_i32 s0, 0x2000
	s_nop 0
	v_addc_co_u32_e32 v27, vcc, 0, v25, vcc
	s_waitcnt lgkmcnt(0)
	s_barrier
	flat_load_dwordx2 v[28:29], v[24:25]
	flat_load_dwordx2 v[30:31], v[24:25] offset:2048
	flat_load_dwordx2 v[32:33], v[26:27]
	flat_load_dwordx2 v[34:35], v[26:27] offset:2048
	v_add_co_u32_e32 v26, vcc, s0, v24
	s_movk_i32 s0, 0x3000
	s_nop 0
	v_addc_co_u32_e32 v27, vcc, 0, v25, vcc
	v_add_co_u32_e32 v36, vcc, s0, v24
	s_movk_i32 s0, 0x4000
	s_nop 0
	v_addc_co_u32_e32 v37, vcc, 0, v25, vcc
	flat_load_dwordx2 v[38:39], v[26:27]
	flat_load_dwordx2 v[40:41], v[26:27] offset:2048
	flat_load_dwordx2 v[42:43], v[36:37]
	flat_load_dwordx2 v[44:45], v[36:37] offset:2048
	v_add_co_u32_e32 v26, vcc, s0, v24
	s_movk_i32 s0, 0x5000
	s_nop 0
	v_addc_co_u32_e32 v27, vcc, 0, v25, vcc
	v_add_co_u32_e32 v36, vcc, s0, v24
	s_movk_i32 s0, 0x6000
	s_nop 0
	v_addc_co_u32_e32 v37, vcc, 0, v25, vcc
	flat_load_dwordx2 v[46:47], v[26:27]
	flat_load_dwordx2 v[48:49], v[26:27] offset:2048
	flat_load_dwordx2 v[50:51], v[36:37]
	flat_load_dwordx2 v[52:53], v[36:37] offset:2048
	v_add_co_u32_e32 v26, vcc, s0, v24
	s_movk_i32 s0, 0x7000
	s_nop 0
	v_addc_co_u32_e32 v27, vcc, 0, v25, vcc
	v_add_co_u32_e32 v36, vcc, s0, v24
	s_mov_b32 s0, 0x8000
	s_nop 0
	v_addc_co_u32_e32 v37, vcc, 0, v25, vcc
	flat_load_dwordx2 v[54:55], v[26:27]
	flat_load_dwordx2 v[56:57], v[26:27] offset:2048
	flat_load_dwordx2 v[58:59], v[36:37]
	flat_load_dwordx2 v[60:61], v[36:37] offset:2048
	v_add_co_u32_e32 v26, vcc, s0, v24
	s_mov_b32 s0, 0x9000
	s_nop 0
	v_addc_co_u32_e32 v27, vcc, 0, v25, vcc
	v_add_co_u32_e32 v36, vcc, s0, v24
	s_mov_b32 s0, 0xa000
	s_nop 0
	v_addc_co_u32_e32 v37, vcc, 0, v25, vcc
	flat_load_dwordx2 v[62:63], v[26:27]
	flat_load_dwordx2 v[64:65], v[26:27] offset:2048
	flat_load_dwordx2 v[66:67], v[36:37]
	flat_load_dwordx2 v[68:69], v[36:37] offset:2048
	v_add_co_u32_e32 v24, vcc, s0, v24
	v_cmp_ne_u32_e64 s[0:1], v20, v21
	s_nop 0
	v_addc_co_u32_e32 v25, vcc, 0, v25, vcc
	flat_load_dwordx2 v[24:25], v[24:25]
	v_cmp_ne_u32_e32 vcc, v17, v18
	s_movk_i32 s6, 0xa0
                                        ; implicit-def: $vgpr128
                                        ; implicit-def: $vgpr127
                                        ; implicit-def: $vgpr126
                                        ; implicit-def: $vgpr125
                                        ; implicit-def: $sgpr64
                                        ; implicit-def: $sgpr8_sgpr9
                                        ; implicit-def: $vgpr78_vgpr79
                                        ; implicit-def: $vgpr74_vgpr75
                                        ; implicit-def: $vgpr26_vgpr27
	s_nop 0
	v_cndmask_b32_e64 v21, 0, 1, vcc
	v_cmp_ne_u32_e32 vcc, v16, v17
	v_lshlrev_b16_e32 v21, 8, v21
	s_nop 0
	v_cndmask_b32_e64 v17, 0, 1, vcc
	v_cmp_ne_u32_e32 vcc, v19, v20
	v_or_b32_e32 v17, v17, v21
	s_nop 0
	v_cndmask_b32_e64 v20, 0, 1, vcc
	v_cmp_ne_u32_e32 vcc, v18, v19
	v_lshlrev_b16_e32 v20, 8, v20
	s_nop 0
	v_cndmask_b32_e64 v18, 0, 1, vcc
	v_cmp_ne_u32_e32 vcc, v22, v16
	v_or_b32_sdwa v18, v18, v20 dst_sel:WORD_1 dst_unused:UNUSED_PAD src0_sel:DWORD src1_sel:DWORD
	s_nop 0
	v_cndmask_b32_e64 v122, 0, 1, vcc
	v_cmp_ne_u32_e32 vcc, v13, v14
	v_or_b32_sdwa v85, v17, v18 dst_sel:DWORD dst_unused:UNUSED_PAD src0_sel:WORD_0 src1_sel:DWORD
	s_nop 0
	v_cndmask_b32_e64 v16, 0, 1, vcc
	v_cmp_ne_u32_e32 vcc, v12, v13
	v_lshlrev_b16_e32 v16, 8, v16
	s_nop 0
	v_cndmask_b32_e64 v13, 0, 1, vcc
	v_cmp_ne_u32_e32 vcc, v15, v22
	v_or_b32_e32 v13, v13, v16
	s_nop 0
	v_cndmask_b32_e64 v16, 0, 1, vcc
	v_cmp_ne_u32_e32 vcc, v14, v15
	v_lshlrev_b16_e32 v16, 8, v16
	s_nop 0
	v_cndmask_b32_e64 v14, 0, 1, vcc
	v_cmp_ne_u32_e32 vcc, v5, v12
	v_or_b32_sdwa v14, v14, v16 dst_sel:WORD_1 dst_unused:UNUSED_PAD src0_sel:DWORD src1_sel:DWORD
	s_nop 0
	v_cndmask_b32_e64 v124, 0, 1, vcc
	v_cmp_ne_u32_e32 vcc, v7, v8
	v_or_b32_sdwa v84, v13, v14 dst_sel:DWORD dst_unused:UNUSED_PAD src0_sel:WORD_0 src1_sel:DWORD
	;; [unrolled: 20-line block ×3, first 2 shown]
	s_nop 0
	v_cndmask_b32_e64 v5, 0, 1, vcc
	v_cmp_ne_u32_e32 vcc, v10, v11
	v_lshlrev_b16_e32 v5, 8, v5
	s_nop 0
	v_cndmask_b32_e64 v6, 0, 1, vcc
	v_cmp_ne_u32_e32 vcc, v3, v4
	v_or_b32_e32 v11, v6, v5
	s_nop 0
	v_cndmask_b32_e64 v4, 0, 1, vcc
	v_cmp_ne_u32_e32 vcc, v2, v3
	v_lshlrev_b16_e32 v4, 8, v4
	s_nop 0
	v_cndmask_b32_e64 v2, 0, 1, vcc
	v_or_b32_sdwa v18, v2, v4 dst_sel:WORD_1 dst_unused:UNUSED_PAD src0_sel:DWORD src1_sel:DWORD
	v_lshl_add_u32 v2, v0, 2, v23
	v_mad_u32_u24 v12, v0, s6, v2
	s_waitcnt vmcnt(0) lgkmcnt(0)
	ds_write2st64_b64 v2, v[28:29], v[30:31] offset1:4
	ds_write2st64_b64 v2, v[32:33], v[34:35] offset0:8 offset1:12
	ds_write2st64_b64 v2, v[38:39], v[40:41] offset0:16 offset1:20
	;; [unrolled: 1-line block ×9, first 2 shown]
	ds_write_b64 v2, v[24:25] offset:40960
	s_waitcnt lgkmcnt(0)
	s_barrier
	ds_read2_b64 v[2:5], v12 offset1:1
	ds_read2_b64 v[6:9], v12 offset0:2 offset1:3
	ds_read2_b64 v[14:17], v12 offset0:4 offset1:5
	;; [unrolled: 1-line block ×9, first 2 shown]
	ds_read_b64 v[12:13], v12 offset:160
	v_cmp_ne_u32_e32 vcc, v1, v10
	v_or_b32_sdwa v83, v11, v18 dst_sel:DWORD dst_unused:UNUSED_PAD src0_sel:WORD_0 src1_sel:DWORD
	s_mov_b64 s[6:7], -1
	v_cndmask_b32_e64 v1, 0, 1, vcc
                                        ; implicit-def: $vgpr66_vgpr67
                                        ; implicit-def: $vgpr58_vgpr59
                                        ; implicit-def: $vgpr50_vgpr51
                                        ; implicit-def: $vgpr42_vgpr43
                                        ; implicit-def: $vgpr34_vgpr35
                                        ; implicit-def: $vgpr18_vgpr19
.LBB1098_125:
	s_mov_b64 s[14:15], s[62:63]
	s_waitcnt lgkmcnt(0)
	v_mov_b64_e32 v[20:21], s[8:9]
	v_mov_b32_e32 v36, s64
	s_and_saveexec_b64 s[8:9], s[6:7]
	s_cbranch_execz .LBB1098_127
; %bb.126:
	v_cndmask_b32_e64 v36, 0, 1, s[0:1]
	v_mov_b64_e32 v[18:19], v[4:5]
	v_mov_b64_e32 v[26:27], v[8:9]
	;; [unrolled: 1-line block ×11, first 2 shown]
	v_mov_b32_e32 v125, v85
	v_mov_b32_e32 v126, v84
	;; [unrolled: 1-line block ×4, first 2 shown]
.LBB1098_127:
	s_or_b64 exec, exec, s[8:9]
	v_and_b32_e32 v131, 1, v123
	v_and_b32_e32 v129, 1, v124
	v_and_b32_e32 v40, 1, v122
	v_and_b32_e32 v33, 1, v36
	s_cmp_lg_u32 s95, 0
	v_lshrrev_b32_e32 v132, 8, v128
	v_cmp_eq_u32_e32 vcc, 1, v131
	v_lshrrev_b32_e32 v130, 8, v127
	v_cmp_eq_u32_e64 s[48:49], 1, v129
	v_lshrrev_b32_e32 v41, 8, v126
	v_cmp_eq_u32_e64 s[50:51], 1, v40
	;; [unrolled: 2-line block ×3, first 2 shown]
	v_mbcnt_lo_u32_b32 v32, -1, 0
	s_barrier
	s_cbranch_scc0 .LBB1098_198
; %bb.128:
	v_mov_b32_e32 v8, 0
	v_and_b32_e32 v9, 1, v128
	s_movk_i32 s42, 0xff
	v_add_f64 v[4:5], v[2:3], v[18:19]
	v_cmp_eq_u16_sdwa s[6:7], v128, v8 src0_sel:BYTE_0 src1_sel:DWORD
	v_cmp_eq_u32_e64 s[52:53], 1, v9
	v_and_b32_e32 v9, 0x100, v128
	v_cndmask_b32_e64 v5, v19, v5, s[6:7]
	v_cndmask_b32_e64 v4, v18, v4, s[6:7]
	v_cmp_ne_u32_e64 s[56:57], 0, v9
	v_and_b32_sdwa v9, v128, s42 dst_sel:DWORD dst_unused:UNUSED_PAD src0_sel:WORD_1 src1_sel:DWORD
	v_add_f64 v[4:5], v[6:7], v[4:5]
	v_cmp_eq_u16_sdwa s[8:9], v132, v8 src0_sel:BYTE_0 src1_sel:DWORD
	v_cmp_eq_u16_e64 s[10:11], 0, v9
	v_and_b32_e32 v9, 0x10000, v128
	v_cndmask_b32_e64 v5, v7, v5, s[8:9]
	v_cndmask_b32_e64 v4, v6, v4, s[8:9]
	v_cmp_ne_u32_e64 s[58:59], 0, v9
	v_and_b32_e32 v9, 0x1000000, v128
	v_writelane_b32 v133, s72, 2
	v_add_f64 v[4:5], v[26:27], v[4:5]
	v_cmp_ne_u32_e64 s[60:61], 0, v9
	v_and_b32_e32 v9, 1, v127
	v_writelane_b32 v133, s73, 3
	v_cndmask_b32_e64 v5, v27, v5, s[10:11]
	v_cndmask_b32_e64 v4, v26, v4, s[10:11]
	v_cmp_eq_u32_e64 s[62:63], 1, v9
	v_and_b32_e32 v9, 0x100, v127
	v_writelane_b32 v133, s74, 4
	v_add_f64 v[4:5], v[14:15], v[4:5]
	v_cmp_eq_u16_sdwa s[12:13], v128, v8 src0_sel:BYTE_3 src1_sel:DWORD
	v_cmp_ne_u32_e64 s[64:65], 0, v9
	v_and_b32_sdwa v9, v127, s42 dst_sel:DWORD dst_unused:UNUSED_PAD src0_sel:WORD_1 src1_sel:DWORD
	v_writelane_b32 v133, s75, 5
	v_cndmask_b32_e64 v5, v15, v5, s[12:13]
	v_cndmask_b32_e64 v4, v14, v4, s[12:13]
	v_cmp_eq_u16_e64 s[20:21], 0, v9
	v_and_b32_e32 v9, 0x10000, v127
	v_writelane_b32 v133, s76, 6
	v_add_f64 v[4:5], v[34:35], v[4:5]
	v_cmp_eq_u16_sdwa s[16:17], v123, v8 src0_sel:BYTE_0 src1_sel:DWORD
	v_cmp_ne_u32_e64 s[66:67], 0, v9
	v_and_b32_e32 v9, 0x1000000, v127
	v_writelane_b32 v133, s77, 7
	v_cndmask_b32_e64 v5, v35, v5, s[16:17]
	v_cndmask_b32_e64 v4, v34, v4, s[16:17]
	v_cmp_ne_u32_e64 s[68:69], 0, v9
	v_and_b32_e32 v9, 1, v126
	v_writelane_b32 v133, s78, 8
	v_add_f64 v[4:5], v[22:23], v[4:5]
	v_cmp_eq_u16_sdwa s[18:19], v127, v8 src0_sel:BYTE_0 src1_sel:DWORD
	v_cmp_eq_u32_e64 s[0:1], 1, v9
	v_and_b32_e32 v9, 0x100, v126
	v_writelane_b32 v133, s79, 9
	v_cndmask_b32_e64 v5, v23, v5, s[18:19]
	v_cndmask_b32_e64 v4, v22, v4, s[18:19]
	v_cmp_ne_u32_e64 s[72:73], 0, v9
	v_and_b32_sdwa v9, v126, s42 dst_sel:DWORD dst_unused:UNUSED_PAD src0_sel:WORD_1 src1_sel:DWORD
	s_mov_b64 s[2:3], s[4:5]
	v_add_f64 v[4:5], v[42:43], v[4:5]
	v_cmp_eq_u16_sdwa s[4:5], v130, v8 src0_sel:BYTE_0 src1_sel:DWORD
	v_cmp_eq_u16_e64 s[30:31], 0, v9
	v_and_b32_e32 v9, 0x10000, v126
	v_cndmask_b32_e64 v5, v43, v5, s[4:5]
	v_cndmask_b32_e64 v4, v42, v4, s[4:5]
	v_cmp_ne_u32_e64 s[74:75], 0, v9
	v_and_b32_e32 v9, 0x1000000, v126
	v_add_f64 v[4:5], v[30:31], v[4:5]
	v_cmp_ne_u32_e64 s[76:77], 0, v9
	v_and_b32_e32 v9, 1, v125
	v_cndmask_b32_e64 v5, v31, v5, s[20:21]
	v_cndmask_b32_e64 v4, v30, v4, s[20:21]
	v_cmp_eq_u32_e64 s[78:79], 1, v9
	v_and_b32_e32 v9, 0x100, v125
	v_add_f64 v[4:5], v[50:51], v[4:5]
	v_cmp_eq_u16_sdwa s[22:23], v127, v8 src0_sel:BYTE_3 src1_sel:DWORD
	v_cmp_ne_u32_e64 s[80:81], 0, v9
	v_and_b32_sdwa v9, v125, s42 dst_sel:DWORD dst_unused:UNUSED_PAD src0_sel:WORD_1 src1_sel:DWORD
	v_cndmask_b32_e64 v5, v51, v5, s[22:23]
	v_cndmask_b32_e64 v4, v50, v4, s[22:23]
	v_cmp_eq_u16_e64 s[42:43], 0, v9
	v_and_b32_e32 v9, 0x10000, v125
	v_add_f64 v[4:5], v[38:39], v[4:5]
	v_cmp_eq_u16_sdwa s[24:25], v124, v8 src0_sel:BYTE_0 src1_sel:DWORD
	v_cmp_ne_u32_e64 s[82:83], 0, v9
	v_and_b32_e32 v9, 0x1000000, v125
	v_cndmask_b32_e64 v5, v39, v5, s[24:25]
	v_cndmask_b32_e64 v4, v38, v4, s[24:25]
	v_cmp_ne_u32_e64 s[84:85], 0, v9
	v_add_f64 v[4:5], v[58:59], v[4:5]
	v_cmp_eq_u16_sdwa s[26:27], v126, v8 src0_sel:BYTE_0 src1_sel:DWORD
	s_or_b64 s[54:55], s[54:55], s[84:85]
	s_or_b64 s[54:55], s[54:55], s[82:83]
	v_cndmask_b32_e64 v5, v59, v5, s[26:27]
	v_cndmask_b32_e64 v4, v58, v4, s[26:27]
	v_add_f64 v[4:5], v[46:47], v[4:5]
	v_cmp_eq_u16_sdwa s[28:29], v41, v8 src0_sel:BYTE_0 src1_sel:DWORD
	s_or_b64 s[54:55], s[54:55], s[80:81]
	s_or_b64 s[54:55], s[54:55], s[78:79]
	v_cndmask_b32_e64 v5, v47, v5, s[28:29]
	v_cndmask_b32_e64 v4, v46, v4, s[28:29]
	v_add_f64 v[4:5], v[66:67], v[4:5]
	s_or_b64 s[50:51], s[54:55], s[50:51]
	v_cndmask_b32_e64 v5, v67, v5, s[30:31]
	v_cndmask_b32_e64 v4, v66, v4, s[30:31]
	s_or_b64 s[50:51], s[50:51], s[76:77]
	v_add_f64 v[4:5], v[54:55], v[4:5]
	v_cmp_eq_u16_sdwa s[34:35], v126, v8 src0_sel:BYTE_3 src1_sel:DWORD
	s_or_b64 s[50:51], s[50:51], s[74:75]
	s_or_b64 s[50:51], s[50:51], s[72:73]
	v_cndmask_b32_e64 v5, v55, v5, s[34:35]
	v_cndmask_b32_e64 v4, v54, v4, s[34:35]
	v_add_f64 v[4:5], v[74:75], v[4:5]
	v_cmp_eq_u16_sdwa s[36:37], v122, v8 src0_sel:BYTE_0 src1_sel:DWORD
	s_or_b64 s[0:1], s[50:51], s[0:1]
	s_or_b64 s[0:1], s[0:1], s[48:49]
	v_cndmask_b32_e64 v5, v75, v5, s[36:37]
	v_cndmask_b32_e64 v4, v74, v4, s[36:37]
	v_add_f64 v[4:5], v[62:63], v[4:5]
	v_cmp_eq_u16_sdwa s[38:39], v125, v8 src0_sel:BYTE_0 src1_sel:DWORD
	;; [unrolled: 6-line block ×3, first 2 shown]
	s_or_b64 s[0:1], s[0:1], s[64:65]
	s_or_b64 s[0:1], s[0:1], s[62:63]
	v_cndmask_b32_e64 v5, v79, v5, s[40:41]
	v_cndmask_b32_e64 v4, v78, v4, s[40:41]
	v_add_f64 v[4:5], v[70:71], v[4:5]
	s_or_b64 s[0:1], s[0:1], vcc
	v_cndmask_b32_e64 v5, v71, v5, s[42:43]
	v_cndmask_b32_e64 v4, v70, v4, s[42:43]
	s_or_b64 s[0:1], s[0:1], s[60:61]
	v_add_f64 v[4:5], v[10:11], v[4:5]
	v_cmp_eq_u16_sdwa s[44:45], v125, v8 src0_sel:BYTE_3 src1_sel:DWORD
	s_or_b64 s[0:1], s[0:1], s[58:59]
	s_or_b64 s[0:1], s[0:1], s[56:57]
	v_cndmask_b32_e64 v5, v11, v5, s[44:45]
	v_cndmask_b32_e64 v4, v10, v4, s[44:45]
	v_and_b32_e32 v12, 0xff, v1
	v_add_f64 v[4:5], v[20:21], v[4:5]
	v_cmp_eq_u16_sdwa s[46:47], v36, v8 src0_sel:BYTE_0 src1_sel:DWORD
	s_or_b64 s[0:1], s[0:1], s[52:53]
	v_mbcnt_hi_u32_b32 v28, -1, v32
	v_cndmask_b32_e64 v9, v21, v5, s[46:47]
	v_cndmask_b32_e64 v8, v20, v4, s[46:47]
	;; [unrolled: 1-line block ×3, first 2 shown]
	v_and_b32_e32 v12, 15, v28
	v_mov_b32_dpp v4, v8 row_shr:1 row_mask:0xf bank_mask:0xf
	v_mov_b32_dpp v5, v9 row_shr:1 row_mask:0xf bank_mask:0xf
	;; [unrolled: 1-line block ×3, first 2 shown]
	v_cmp_ne_u32_e32 vcc, 0, v12
	s_and_saveexec_b64 s[0:1], vcc
; %bb.129:
	v_add_f64 v[4:5], v[8:9], v[4:5]
	v_cmp_eq_u32_e32 vcc, 0, v16
	v_and_or_b32 v16, v13, 1, v16
	s_nop 0
	v_cndmask_b32_e32 v9, v9, v5, vcc
	v_cndmask_b32_e32 v8, v8, v4, vcc
; %bb.130:
	s_or_b64 exec, exec, s[0:1]
	s_nop 0
	v_mov_b32_dpp v4, v8 row_shr:2 row_mask:0xf bank_mask:0xf
	v_mov_b32_dpp v5, v9 row_shr:2 row_mask:0xf bank_mask:0xf
	;; [unrolled: 1-line block ×3, first 2 shown]
	v_cmp_lt_u32_e32 vcc, 1, v12
	s_and_saveexec_b64 s[0:1], vcc
; %bb.131:
	v_add_f64 v[4:5], v[8:9], v[4:5]
	v_cmp_eq_u32_e32 vcc, 0, v16
	s_nop 1
	v_cndmask_b32_e32 v8, v8, v4, vcc
	v_or_b32_e32 v4, v13, v16
	v_cndmask_b32_e32 v9, v9, v5, vcc
	v_and_b32_e32 v16, 1, v4
; %bb.132:
	s_or_b64 exec, exec, s[0:1]
	v_mov_b32_dpp v4, v8 row_shr:4 row_mask:0xf bank_mask:0xf
	v_mov_b32_dpp v5, v9 row_shr:4 row_mask:0xf bank_mask:0xf
	;; [unrolled: 1-line block ×3, first 2 shown]
	v_cmp_lt_u32_e32 vcc, 3, v12
	s_and_saveexec_b64 s[0:1], vcc
	s_mov_b64 s[58:59], s[14:15]
; %bb.133:
	v_add_f64 v[4:5], v[8:9], v[4:5]
	v_cmp_eq_u32_e32 vcc, 0, v16
	s_nop 1
	v_cndmask_b32_e32 v8, v8, v4, vcc
	v_or_b32_e32 v4, v13, v16
	v_cndmask_b32_e32 v9, v9, v5, vcc
	v_and_b32_e32 v16, 1, v4
; %bb.134:
	s_or_b64 exec, exec, s[0:1]
	v_mov_b32_dpp v4, v8 row_shr:8 row_mask:0xf bank_mask:0xf
	v_mov_b32_dpp v5, v9 row_shr:8 row_mask:0xf bank_mask:0xf
	;; [unrolled: 1-line block ×3, first 2 shown]
	v_cmp_lt_u32_e32 vcc, 7, v12
	s_and_saveexec_b64 s[0:1], vcc
; %bb.135:
	v_add_f64 v[4:5], v[8:9], v[4:5]
	v_cmp_eq_u32_e32 vcc, 0, v16
	s_nop 1
	v_cndmask_b32_e32 v8, v8, v4, vcc
	v_or_b32_e32 v4, v13, v16
	v_cndmask_b32_e32 v9, v9, v5, vcc
	v_and_b32_e32 v16, 1, v4
; %bb.136:
	s_or_b64 exec, exec, s[0:1]
	v_and_b32_e32 v13, 16, v28
	v_mov_b32_dpp v4, v8 row_bcast:15 row_mask:0xf bank_mask:0xf
	v_mov_b32_dpp v5, v9 row_bcast:15 row_mask:0xf bank_mask:0xf
	;; [unrolled: 1-line block ×3, first 2 shown]
	v_cmp_ne_u32_e32 vcc, 0, v13
	s_and_saveexec_b64 s[0:1], vcc
; %bb.137:
	v_add_f64 v[4:5], v[8:9], v[4:5]
	v_cmp_eq_u32_e32 vcc, 0, v16
	s_nop 1
	v_cndmask_b32_e32 v8, v8, v4, vcc
	v_or_b32_e32 v4, v12, v16
	v_cndmask_b32_e32 v9, v9, v5, vcc
	v_and_b32_e32 v16, 1, v4
; %bb.138:
	s_or_b64 exec, exec, s[0:1]
	v_mov_b32_dpp v4, v8 row_bcast:31 row_mask:0xf bank_mask:0xf
	v_mov_b32_dpp v5, v9 row_bcast:31 row_mask:0xf bank_mask:0xf
	;; [unrolled: 1-line block ×3, first 2 shown]
	v_cmp_lt_u32_e32 vcc, 31, v28
	v_mov_b32_e32 v12, v16
	s_and_saveexec_b64 s[0:1], vcc
; %bb.139:
	v_add_f64 v[4:5], v[8:9], v[4:5]
	v_cmp_eq_u32_e32 vcc, 0, v16
	s_nop 1
	v_cndmask_b32_e32 v8, v8, v4, vcc
	v_or_b32_e32 v4, v13, v16
	v_cndmask_b32_e32 v9, v9, v5, vcc
	v_and_b32_e32 v12, 1, v4
	v_and_b32_e32 v16, 1, v4
; %bb.140:
	s_or_b64 exec, exec, s[0:1]
	v_or_b32_e32 v4, 63, v0
	v_lshrrev_b32_e32 v17, 6, v0
	v_cmp_eq_u32_e32 vcc, v4, v0
	s_and_saveexec_b64 s[0:1], vcc
	s_cbranch_execz .LBB1098_142
; %bb.141:
	v_lshlrev_b32_e32 v4, 4, v17
	ds_write_b64 v4, v[8:9]
	ds_write_b8 v4, v12 offset:8
.LBB1098_142:
	s_or_b64 exec, exec, s[0:1]
	v_cmp_gt_u32_e32 vcc, 4, v0
	s_waitcnt lgkmcnt(0)
	s_barrier
	s_and_saveexec_b64 s[48:49], vcc
	s_cbranch_execz .LBB1098_148
; %bb.143:
	v_lshlrev_b32_e32 v24, 4, v0
	ds_read_b64 v[4:5], v24
	ds_read_b32 v25, v24 offset:8
	v_and_b32_e32 v29, 3, v28
	v_cmp_ne_u32_e32 vcc, 0, v29
	s_waitcnt lgkmcnt(1)
	v_mov_b32_dpp v12, v4 row_shr:1 row_mask:0xf bank_mask:0xf
	v_mov_b32_dpp v13, v5 row_shr:1 row_mask:0xf bank_mask:0xf
	s_waitcnt lgkmcnt(0)
	v_mov_b32_dpp v48, v25 row_shr:1 row_mask:0xf bank_mask:0xf
	v_mov_b32_e32 v45, v25
	v_mov_b32_e32 v44, v25
	s_and_saveexec_b64 s[0:1], vcc
; %bb.144:
	v_mov_b32_e32 v44, 0
	v_add_f64 v[12:13], v[4:5], v[12:13]
	v_cmp_eq_u16_sdwa vcc, v25, v44 src0_sel:BYTE_0 src1_sel:DWORD
	s_movk_i32 s50, 0xff00
	s_nop 0
	v_cndmask_b32_e32 v4, v4, v12, vcc
	v_or_b32_e32 v12, v48, v25
	v_and_b32_e32 v44, 1, v12
	v_cndmask_b32_e32 v5, v5, v13, vcc
	v_and_b32_e32 v45, 1, v12
	v_and_or_b32 v25, v25, s50, v44
; %bb.145:
	s_or_b64 exec, exec, s[0:1]
	v_mov_b32_dpp v12, v4 row_shr:2 row_mask:0xf bank_mask:0xf
	v_mov_b32_dpp v13, v5 row_shr:2 row_mask:0xf bank_mask:0xf
	;; [unrolled: 1-line block ×3, first 2 shown]
	v_cmp_lt_u32_e32 vcc, 1, v29
	s_and_saveexec_b64 s[50:51], vcc
; %bb.146:
	v_mov_b32_e32 v29, 0
	v_add_f64 v[12:13], v[4:5], v[12:13]
	v_cmp_eq_u16_sdwa vcc, v44, v29 src0_sel:BYTE_0 src1_sel:DWORD
	s_nop 1
	v_cndmask_b32_e32 v4, v4, v12, vcc
	v_and_b32_e32 v12, 1, v44
	v_cndmask_b32_e32 v5, v5, v13, vcc
	v_cmp_eq_u32_e32 vcc, 1, v12
	v_and_b32_e32 v12, 1, v25
	v_cmp_eq_u32_e64 s[0:1], 1, v12
	s_or_b64 s[0:1], vcc, s[0:1]
	s_nop 0
	v_cndmask_b32_e64 v45, 0, 1, s[0:1]
; %bb.147:
	s_or_b64 exec, exec, s[50:51]
	ds_write_b64 v24, v[4:5]
	ds_write_b8 v24, v45 offset:8
.LBB1098_148:
	s_or_b64 exec, exec, s[48:49]
	v_cmp_gt_u32_e32 vcc, 64, v0
	v_cmp_lt_u32_e64 s[0:1], 63, v0
	v_mov_b32_e32 v44, 0
	v_mov_b64_e32 v[4:5], 0
	s_waitcnt lgkmcnt(0)
	s_barrier
	s_and_saveexec_b64 s[48:49], s[0:1]
	s_cbranch_execz .LBB1098_150
; %bb.149:
	v_lshl_add_u32 v12, v17, 4, -16
	ds_read_b64 v[4:5], v12
	ds_read_u8 v44, v12 offset:8
	v_and_b32_e32 v17, 1, v16
	v_cmp_eq_u32_e64 s[0:1], 0, v16
	s_waitcnt lgkmcnt(1)
	v_add_f64 v[12:13], v[8:9], v[4:5]
	v_cndmask_b32_e64 v9, v9, v13, s[0:1]
	v_cndmask_b32_e64 v8, v8, v12, s[0:1]
	v_cmp_eq_u32_e64 s[0:1], 1, v17
	s_waitcnt lgkmcnt(0)
	s_nop 0
	v_cndmask_b32_e64 v16, v44, 1, s[0:1]
.LBB1098_150:
	s_or_b64 exec, exec, s[48:49]
	v_add_u32_e32 v12, -1, v28
	v_and_b32_e32 v13, 64, v28
	v_cmp_lt_i32_e64 s[0:1], v12, v13
	v_cmp_eq_u32_e64 s[48:49], 0, v28
	s_nop 0
	v_cndmask_b32_e64 v12, v12, v28, s[0:1]
	v_lshlrev_b32_e32 v12, 2, v12
	ds_bpermute_b32 v45, v12, v8
	ds_bpermute_b32 v48, v12, v9
	;; [unrolled: 1-line block ×3, first 2 shown]
	s_and_saveexec_b64 s[50:51], vcc
	s_cbranch_execz .LBB1098_197
; %bb.151:
	v_mov_b32_e32 v13, 0
	ds_read2_b64 v[80:83], v13 offset0:6 offset1:7
	s_and_saveexec_b64 s[0:1], s[48:49]
	s_cbranch_execz .LBB1098_153
; %bb.152:
	s_add_i32 s52, s95, 64
	s_mov_b32 s53, 0
	s_lshl_b64 s[54:55], s[52:53], 4
	s_add_u32 s54, s88, s54
	s_addc_u32 s55, s89, s55
	v_mov_b32_e32 v8, s52
	v_mov_b32_e32 v9, 1
	s_waitcnt lgkmcnt(0)
	global_store_dword v13, v80, s[54:55] sc1
	global_store_dword v13, v81, s[54:55] offset:4 sc1
	global_store_dword v13, v82, s[54:55] offset:8 sc1
	;; [unrolled: 1-line block ×3, first 2 shown]
	s_waitcnt vmcnt(0)
	global_store_byte v8, v9, s[92:93] sc1
.LBB1098_153:
	s_or_b64 exec, exec, s[0:1]
	v_xad_u32 v8, v28, -1, s95
	v_add_u32_e32 v12, 64, v8
	global_load_ubyte v52, v12, s[92:93] sc1
	s_waitcnt vmcnt(0)
	v_cmp_eq_u16_e32 vcc, 0, v52
	s_and_saveexec_b64 s[0:1], vcc
	s_cbranch_execz .LBB1098_159
; %bb.154:
	v_lshl_add_u64 v[16:17], s[92:93], 0, v[12:13]
	s_mov_b32 s54, 1
	s_mov_b64 s[52:53], 0
.LBB1098_155:                           ; =>This Loop Header: Depth=1
                                        ;     Child Loop BB1098_156 Depth 2
	s_max_u32 s55, s54, 1
.LBB1098_156:                           ;   Parent Loop BB1098_155 Depth=1
                                        ; =>  This Inner Loop Header: Depth=2
	s_add_i32 s55, s55, -1
	s_cmp_eq_u32 s55, 0
	s_sleep 1
	s_cbranch_scc0 .LBB1098_156
; %bb.157:                              ;   in Loop: Header=BB1098_155 Depth=1
	global_load_ubyte v52, v[16:17], off sc1
	s_cmp_lt_u32 s54, 32
	s_cselect_b64 s[56:57], -1, 0
	s_cmp_lg_u64 s[56:57], 0
	s_addc_u32 s54, s54, 0
	s_waitcnt vmcnt(0)
	v_cmp_ne_u16_e32 vcc, 0, v52
	s_or_b64 s[52:53], vcc, s[52:53]
	s_andn2_b64 exec, exec, s[52:53]
	s_cbranch_execnz .LBB1098_155
; %bb.158:
	s_or_b64 exec, exec, s[52:53]
.LBB1098_159:
	s_or_b64 exec, exec, s[0:1]
	v_mov_b32_e32 v9, s91
	v_mov_b32_e32 v16, s89
	v_cmp_eq_u16_e32 vcc, 1, v52
	s_waitcnt vmcnt(0) lgkmcnt(0)
	s_nop 0
	v_cndmask_b32_e32 v17, v9, v16, vcc
	v_mov_b32_e32 v9, s90
	v_mov_b32_e32 v16, s88
	v_cndmask_b32_e32 v16, v9, v16, vcc
	v_lshl_add_u64 v[12:13], v[12:13], 4, v[16:17]
	global_load_dword v24, v[12:13], off sc1
	global_load_dword v25, v[12:13], off offset:4 sc1
	global_load_dword v29, v[12:13], off offset:8 sc1
	global_load_dword v9, v[12:13], off offset:12 sc1
	v_cmp_eq_u16_e32 vcc, 2, v52
	v_lshlrev_b64 v[12:13], v28, -1
	v_and_b32_e32 v53, 63, v28
	s_waitcnt vmcnt(0)
	v_and_b32_e32 v9, vcc_hi, v13
	v_and_b32_e32 v60, vcc_lo, v12
	v_cmp_ne_u32_e32 vcc, 63, v53
	v_or_b32_e32 v9, 0x80000000, v9
	v_ffbl_b32_e32 v9, v9
	v_addc_co_u32_e32 v16, vcc, 0, v28, vcc
	v_lshlrev_b32_e32 v56, 2, v16
	v_add_u32_e32 v9, 32, v9
	v_ffbl_b32_e32 v60, v60
	v_min_u32_e32 v9, v60, v9
	v_cmp_lt_u32_e32 vcc, v53, v9
	ds_bpermute_b32 v16, v56, v24
	ds_bpermute_b32 v17, v56, v25
	v_and_b32_e32 v73, 0xff, v29
	ds_bpermute_b32 v57, v56, v73
	s_and_saveexec_b64 s[0:1], vcc
	s_cbranch_execz .LBB1098_161
; %bb.160:
	v_mov_b32_e32 v60, 0
	s_waitcnt lgkmcnt(1)
	v_add_f64 v[16:17], v[24:25], v[16:17]
	v_cmp_eq_u16_sdwa vcc, v29, v60 src0_sel:BYTE_0 src1_sel:DWORD
	s_nop 1
	v_cndmask_b32_e32 v24, v24, v16, vcc
	s_waitcnt lgkmcnt(0)
	v_or_b32_e32 v16, v57, v29
	v_cndmask_b32_e32 v25, v25, v17, vcc
	v_and_b32_e32 v29, 1, v16
	v_and_b32_e32 v73, 1, v16
.LBB1098_161:
	s_or_b64 exec, exec, s[0:1]
	v_cmp_gt_u32_e32 vcc, 62, v53
	v_add_u32_e32 v60, 2, v53
	s_waitcnt lgkmcnt(2)
	v_cndmask_b32_e64 v16, 0, 1, vcc
	v_lshlrev_b32_e32 v16, 1, v16
	s_waitcnt lgkmcnt(0)
	v_add_lshl_u32 v57, v16, v28, 2
	ds_bpermute_b32 v16, v57, v24
	ds_bpermute_b32 v17, v57, v25
	ds_bpermute_b32 v61, v57, v73
	v_cmp_le_u32_e32 vcc, v60, v9
	s_and_saveexec_b64 s[52:53], vcc
	s_cbranch_execz .LBB1098_163
; %bb.162:
	v_mov_b32_e32 v64, 0
	s_waitcnt lgkmcnt(1)
	v_add_f64 v[16:17], v[24:25], v[16:17]
	v_cmp_eq_u16_sdwa vcc, v29, v64 src0_sel:BYTE_0 src1_sel:DWORD
	s_nop 1
	v_cndmask_b32_e32 v24, v24, v16, vcc
	v_and_b32_e32 v16, 1, v29
	v_cndmask_b32_e32 v25, v25, v17, vcc
	v_cmp_eq_u32_e32 vcc, 1, v16
	s_waitcnt lgkmcnt(0)
	v_and_b32_e32 v16, 1, v61
	v_cmp_eq_u32_e64 s[0:1], 1, v16
	s_or_b64 s[0:1], vcc, s[0:1]
	s_nop 0
	v_cndmask_b32_e64 v29, 0, 1, s[0:1]
	v_cndmask_b32_e64 v73, 0, 1, s[0:1]
.LBB1098_163:
	s_or_b64 exec, exec, s[52:53]
	v_cmp_gt_u32_e32 vcc, 60, v53
	v_add_u32_e32 v64, 4, v53
	s_waitcnt lgkmcnt(2)
	v_cndmask_b32_e64 v16, 0, 1, vcc
	v_lshlrev_b32_e32 v16, 2, v16
	s_waitcnt lgkmcnt(0)
	v_add_lshl_u32 v61, v16, v28, 2
	ds_bpermute_b32 v16, v61, v24
	ds_bpermute_b32 v17, v61, v25
	ds_bpermute_b32 v65, v61, v73
	v_cmp_le_u32_e32 vcc, v64, v9
	s_and_saveexec_b64 s[52:53], vcc
	s_cbranch_execz .LBB1098_165
; %bb.164:
	v_mov_b32_e32 v68, 0
	s_waitcnt lgkmcnt(1)
	v_add_f64 v[16:17], v[24:25], v[16:17]
	v_cmp_eq_u16_sdwa vcc, v29, v68 src0_sel:BYTE_0 src1_sel:DWORD
	s_nop 1
	v_cndmask_b32_e32 v24, v24, v16, vcc
	v_and_b32_e32 v16, 1, v29
	v_cndmask_b32_e32 v25, v25, v17, vcc
	v_cmp_eq_u32_e32 vcc, 1, v16
	s_waitcnt lgkmcnt(0)
	v_and_b32_e32 v16, 1, v65
	v_cmp_eq_u32_e64 s[0:1], 1, v16
	s_or_b64 s[0:1], vcc, s[0:1]
	s_nop 0
	v_cndmask_b32_e64 v29, 0, 1, s[0:1]
	v_cndmask_b32_e64 v73, 0, 1, s[0:1]
.LBB1098_165:
	;; [unrolled: 32-line block ×4, first 2 shown]
	s_or_b64 exec, exec, s[52:53]
	v_cmp_gt_u32_e32 vcc, 32, v53
	v_add_u32_e32 v77, 32, v53
	s_waitcnt lgkmcnt(2)
	v_cndmask_b32_e64 v16, 0, 1, vcc
	v_lshlrev_b32_e32 v16, 5, v16
	s_waitcnt lgkmcnt(0)
	v_add_lshl_u32 v76, v16, v28, 2
	ds_bpermute_b32 v16, v76, v24
	ds_bpermute_b32 v17, v76, v25
	;; [unrolled: 1-line block ×3, first 2 shown]
	v_cmp_le_u32_e32 vcc, v77, v9
	s_and_saveexec_b64 s[52:53], vcc
	s_cbranch_execz .LBB1098_171
; %bb.170:
	v_mov_b32_e32 v9, 0
	s_waitcnt lgkmcnt(1)
	v_add_f64 v[16:17], v[24:25], v[16:17]
	v_cmp_eq_u16_sdwa vcc, v29, v9 src0_sel:BYTE_0 src1_sel:DWORD
	v_and_b32_e32 v9, 1, v29
	s_nop 0
	v_cndmask_b32_e32 v25, v25, v17, vcc
	v_cndmask_b32_e32 v24, v24, v16, vcc
	v_cmp_eq_u32_e32 vcc, 1, v9
	s_waitcnt lgkmcnt(0)
	v_and_b32_e32 v9, 1, v28
	v_cmp_eq_u32_e64 s[0:1], 1, v9
	s_or_b64 s[0:1], vcc, s[0:1]
	s_nop 0
	v_cndmask_b32_e64 v29, 0, 1, s[0:1]
.LBB1098_171:
	s_or_b64 exec, exec, s[52:53]
	v_mov_b32_e32 v9, 0
	v_mov_b32_e32 v83, 2
	s_branch .LBB1098_173
.LBB1098_172:                           ;   in Loop: Header=BB1098_173 Depth=1
	s_or_b64 exec, exec, s[54:55]
	v_add_f64 v[24:25], v[16:17], v[24:25]
	v_cmp_eq_u16_sdwa vcc, v73, v9 src0_sel:BYTE_0 src1_sel:DWORD
	s_waitcnt lgkmcnt(2)
	v_and_b32_e32 v28, 1, v73
	v_subrev_u32_e32 v8, 64, v8
	v_cndmask_b32_e32 v25, v17, v25, vcc
	v_cndmask_b32_e32 v24, v16, v24, vcc
	v_cmp_eq_u32_e32 vcc, 1, v28
	s_or_b64 s[0:1], vcc, s[52:53]
	s_waitcnt lgkmcnt(1)
	v_cndmask_b32_e64 v29, 0, 1, s[0:1]
.LBB1098_173:                           ; =>This Loop Header: Depth=1
                                        ;     Child Loop BB1098_176 Depth 2
                                        ;       Child Loop BB1098_177 Depth 3
	v_cmp_ne_u16_sdwa s[0:1], v52, v83 src0_sel:BYTE_0 src1_sel:DWORD
	v_mov_b32_e32 v73, v29
	s_waitcnt lgkmcnt(2)
	v_cndmask_b32_e64 v16, 0, 1, s[0:1]
	;;#ASMSTART
	;;#ASMEND
	s_nop 0
	v_cmp_ne_u32_e32 vcc, 0, v16
	s_cmp_lg_u64 vcc, exec
	s_waitcnt lgkmcnt(1)
	v_mov_b64_e32 v[16:17], v[24:25]
	s_cbranch_scc1 .LBB1098_192
; %bb.174:                              ;   in Loop: Header=BB1098_173 Depth=1
	global_load_ubyte v52, v8, s[92:93] sc1
	s_waitcnt vmcnt(0)
	v_cmp_eq_u16_e32 vcc, 0, v52
	s_and_saveexec_b64 s[0:1], vcc
	s_cbranch_execz .LBB1098_180
; %bb.175:                              ;   in Loop: Header=BB1098_173 Depth=1
	v_lshl_add_u64 v[24:25], s[92:93], 0, v[8:9]
	s_mov_b32 s54, 1
	s_mov_b64 s[52:53], 0
.LBB1098_176:                           ;   Parent Loop BB1098_173 Depth=1
                                        ; =>  This Loop Header: Depth=2
                                        ;       Child Loop BB1098_177 Depth 3
	s_max_u32 s55, s54, 1
.LBB1098_177:                           ;   Parent Loop BB1098_173 Depth=1
                                        ;     Parent Loop BB1098_176 Depth=2
                                        ; =>    This Inner Loop Header: Depth=3
	s_add_i32 s55, s55, -1
	s_cmp_eq_u32 s55, 0
	s_sleep 1
	s_cbranch_scc0 .LBB1098_177
; %bb.178:                              ;   in Loop: Header=BB1098_176 Depth=2
	global_load_ubyte v52, v[24:25], off sc1
	s_cmp_lt_u32 s54, 32
	s_cselect_b64 s[56:57], -1, 0
	s_cmp_lg_u64 s[56:57], 0
	s_addc_u32 s54, s54, 0
	s_waitcnt vmcnt(0)
	v_cmp_ne_u16_e32 vcc, 0, v52
	s_or_b64 s[52:53], vcc, s[52:53]
	s_andn2_b64 exec, exec, s[52:53]
	s_cbranch_execnz .LBB1098_176
; %bb.179:                              ;   in Loop: Header=BB1098_173 Depth=1
	s_or_b64 exec, exec, s[52:53]
.LBB1098_180:                           ;   in Loop: Header=BB1098_173 Depth=1
	s_or_b64 exec, exec, s[0:1]
	v_mov_b32_e32 v24, s91
	v_mov_b32_e32 v25, s89
	v_cmp_eq_u16_e32 vcc, 1, v52
	s_waitcnt lgkmcnt(0)
	v_mov_b32_e32 v28, s88
	s_waitcnt vmcnt(0)
	v_cndmask_b32_e32 v25, v24, v25, vcc
	v_mov_b32_e32 v24, s90
	v_cndmask_b32_e32 v24, v24, v28, vcc
	v_lshl_add_u64 v[28:29], v[8:9], 4, v[24:25]
	global_load_dword v24, v[28:29], off sc1
	global_load_dword v25, v[28:29], off offset:4 sc1
	global_load_dword v84, v[28:29], off offset:8 sc1
	s_nop 0
	global_load_dword v28, v[28:29], off offset:12 sc1
	v_cmp_eq_u16_e32 vcc, 2, v52
	s_waitcnt vmcnt(2)
	ds_bpermute_b32 v29, v56, v25
	s_waitcnt vmcnt(0)
	v_and_b32_e32 v28, vcc_hi, v13
	v_or_b32_e32 v28, 0x80000000, v28
	v_and_b32_e32 v86, 0xff, v84
	v_ffbl_b32_e32 v88, v28
	ds_bpermute_b32 v28, v56, v24
	ds_bpermute_b32 v87, v56, v86
	v_and_b32_e32 v85, vcc_lo, v12
	v_add_u32_e32 v88, 32, v88
	v_ffbl_b32_e32 v85, v85
	v_min_u32_e32 v85, v85, v88
	v_cmp_lt_u32_e32 vcc, v53, v85
	s_and_saveexec_b64 s[0:1], vcc
	s_cbranch_execz .LBB1098_182
; %bb.181:                              ;   in Loop: Header=BB1098_173 Depth=1
	s_waitcnt lgkmcnt(1)
	v_add_f64 v[28:29], v[24:25], v[28:29]
	v_cmp_eq_u16_sdwa vcc, v84, v9 src0_sel:BYTE_0 src1_sel:DWORD
	s_nop 1
	v_cndmask_b32_e32 v24, v24, v28, vcc
	s_waitcnt lgkmcnt(0)
	v_or_b32_e32 v28, v87, v84
	v_cndmask_b32_e32 v25, v25, v29, vcc
	v_and_b32_e32 v84, 1, v28
	v_and_b32_e32 v86, 1, v28
.LBB1098_182:                           ;   in Loop: Header=BB1098_173 Depth=1
	s_or_b64 exec, exec, s[0:1]
	s_waitcnt lgkmcnt(1)
	ds_bpermute_b32 v28, v57, v24
	ds_bpermute_b32 v29, v57, v25
	s_waitcnt lgkmcnt(2)
	ds_bpermute_b32 v87, v57, v86
	v_and_b32_e32 v88, 1, v84
	v_cmp_le_u32_e32 vcc, v60, v85
	v_cmp_eq_u32_e64 s[52:53], 1, v88
	s_and_saveexec_b64 s[0:1], vcc
	s_cbranch_execz .LBB1098_184
; %bb.183:                              ;   in Loop: Header=BB1098_173 Depth=1
	s_waitcnt lgkmcnt(1)
	v_add_f64 v[28:29], v[24:25], v[28:29]
	v_cmp_eq_u16_sdwa vcc, v84, v9 src0_sel:BYTE_0 src1_sel:DWORD
	s_nop 1
	v_cndmask_b32_e32 v24, v24, v28, vcc
	s_waitcnt lgkmcnt(0)
	v_and_b32_e32 v28, 1, v87
	v_cndmask_b32_e32 v25, v25, v29, vcc
	v_cmp_eq_u32_e32 vcc, 1, v28
	s_or_b64 s[54:55], s[52:53], vcc
	v_cndmask_b32_e64 v84, 0, 1, s[54:55]
	v_cndmask_b32_e64 v86, 0, 1, s[54:55]
	s_andn2_b64 s[52:53], s[52:53], exec
	s_and_b64 s[54:55], s[54:55], exec
	s_or_b64 s[52:53], s[52:53], s[54:55]
.LBB1098_184:                           ;   in Loop: Header=BB1098_173 Depth=1
	s_or_b64 exec, exec, s[0:1]
	s_waitcnt lgkmcnt(2)
	ds_bpermute_b32 v28, v61, v24
	s_waitcnt lgkmcnt(2)
	ds_bpermute_b32 v29, v61, v25
	s_waitcnt lgkmcnt(2)
	ds_bpermute_b32 v87, v61, v86
	v_cmp_le_u32_e32 vcc, v64, v85
	s_and_saveexec_b64 s[54:55], vcc
	s_cbranch_execz .LBB1098_186
; %bb.185:                              ;   in Loop: Header=BB1098_173 Depth=1
	s_waitcnt lgkmcnt(1)
	v_add_f64 v[28:29], v[24:25], v[28:29]
	v_cmp_eq_u16_sdwa vcc, v84, v9 src0_sel:BYTE_0 src1_sel:DWORD
	s_andn2_b64 s[52:53], s[52:53], exec
	s_nop 0
	v_cndmask_b32_e32 v24, v24, v28, vcc
	v_and_b32_e32 v28, 1, v84
	v_cndmask_b32_e32 v25, v25, v29, vcc
	v_cmp_eq_u32_e32 vcc, 1, v28
	s_waitcnt lgkmcnt(0)
	v_and_b32_e32 v28, 1, v87
	v_cmp_eq_u32_e64 s[0:1], 1, v28
	s_or_b64 s[0:1], vcc, s[0:1]
	s_nop 0
	v_cndmask_b32_e64 v84, 0, 1, s[0:1]
	v_cndmask_b32_e64 v86, 0, 1, s[0:1]
	s_and_b64 s[0:1], s[0:1], exec
	s_or_b64 s[52:53], s[52:53], s[0:1]
.LBB1098_186:                           ;   in Loop: Header=BB1098_173 Depth=1
	s_or_b64 exec, exec, s[54:55]
	s_waitcnt lgkmcnt(2)
	ds_bpermute_b32 v28, v65, v24
	s_waitcnt lgkmcnt(2)
	ds_bpermute_b32 v29, v65, v25
	s_waitcnt lgkmcnt(2)
	ds_bpermute_b32 v87, v65, v86
	v_cmp_le_u32_e32 vcc, v68, v85
	s_and_saveexec_b64 s[54:55], vcc
	s_cbranch_execz .LBB1098_188
; %bb.187:                              ;   in Loop: Header=BB1098_173 Depth=1
	s_waitcnt lgkmcnt(1)
	v_add_f64 v[28:29], v[24:25], v[28:29]
	v_cmp_eq_u16_sdwa vcc, v84, v9 src0_sel:BYTE_0 src1_sel:DWORD
	s_andn2_b64 s[52:53], s[52:53], exec
	s_nop 0
	v_cndmask_b32_e32 v24, v24, v28, vcc
	v_and_b32_e32 v28, 1, v84
	v_cndmask_b32_e32 v25, v25, v29, vcc
	v_cmp_eq_u32_e32 vcc, 1, v28
	s_waitcnt lgkmcnt(0)
	v_and_b32_e32 v28, 1, v87
	v_cmp_eq_u32_e64 s[0:1], 1, v28
	s_or_b64 s[0:1], vcc, s[0:1]
	s_nop 0
	v_cndmask_b32_e64 v84, 0, 1, s[0:1]
	v_cndmask_b32_e64 v86, 0, 1, s[0:1]
	s_and_b64 s[0:1], s[0:1], exec
	s_or_b64 s[52:53], s[52:53], s[0:1]
.LBB1098_188:                           ;   in Loop: Header=BB1098_173 Depth=1
	s_or_b64 exec, exec, s[54:55]
	s_waitcnt lgkmcnt(2)
	ds_bpermute_b32 v28, v69, v24
	s_waitcnt lgkmcnt(2)
	ds_bpermute_b32 v29, v69, v25
	s_waitcnt lgkmcnt(2)
	ds_bpermute_b32 v87, v69, v86
	v_cmp_le_u32_e32 vcc, v72, v85
	s_and_saveexec_b64 s[54:55], vcc
	s_cbranch_execz .LBB1098_190
; %bb.189:                              ;   in Loop: Header=BB1098_173 Depth=1
	s_waitcnt lgkmcnt(1)
	v_add_f64 v[28:29], v[24:25], v[28:29]
	v_cmp_eq_u16_sdwa vcc, v84, v9 src0_sel:BYTE_0 src1_sel:DWORD
	s_andn2_b64 s[52:53], s[52:53], exec
	s_nop 0
	v_cndmask_b32_e32 v24, v24, v28, vcc
	v_and_b32_e32 v28, 1, v84
	v_cndmask_b32_e32 v25, v25, v29, vcc
	v_cmp_eq_u32_e32 vcc, 1, v28
	s_waitcnt lgkmcnt(0)
	v_and_b32_e32 v28, 1, v87
	v_cmp_eq_u32_e64 s[0:1], 1, v28
	s_or_b64 s[0:1], vcc, s[0:1]
	s_nop 0
	v_cndmask_b32_e64 v84, 0, 1, s[0:1]
	v_cndmask_b32_e64 v86, 0, 1, s[0:1]
	s_and_b64 s[0:1], s[0:1], exec
	s_or_b64 s[52:53], s[52:53], s[0:1]
.LBB1098_190:                           ;   in Loop: Header=BB1098_173 Depth=1
	s_or_b64 exec, exec, s[54:55]
	s_waitcnt lgkmcnt(2)
	ds_bpermute_b32 v28, v76, v24
	s_waitcnt lgkmcnt(2)
	ds_bpermute_b32 v29, v76, v25
	ds_bpermute_b32 v86, v76, v86
	v_cmp_le_u32_e32 vcc, v77, v85
	s_and_saveexec_b64 s[54:55], vcc
	s_cbranch_execz .LBB1098_172
; %bb.191:                              ;   in Loop: Header=BB1098_173 Depth=1
	s_waitcnt lgkmcnt(1)
	v_add_f64 v[28:29], v[24:25], v[28:29]
	v_cmp_eq_u16_sdwa vcc, v84, v9 src0_sel:BYTE_0 src1_sel:DWORD
	s_andn2_b64 s[52:53], s[52:53], exec
	s_nop 0
	v_cndmask_b32_e32 v24, v24, v28, vcc
	v_and_b32_e32 v28, 1, v84
	v_cndmask_b32_e32 v25, v25, v29, vcc
	v_cmp_eq_u32_e32 vcc, 1, v28
	s_waitcnt lgkmcnt(0)
	v_and_b32_e32 v28, 1, v86
	v_cmp_eq_u32_e64 s[0:1], 1, v28
	s_or_b64 s[0:1], vcc, s[0:1]
	s_and_b64 s[0:1], s[0:1], exec
	s_or_b64 s[52:53], s[52:53], s[0:1]
	s_branch .LBB1098_172
.LBB1098_192:                           ;   in Loop: Header=BB1098_173 Depth=1
                                        ; implicit-def: $vgpr29
                                        ; implicit-def: $vgpr24_vgpr25
                                        ; implicit-def: $vgpr52
	s_cbranch_execz .LBB1098_173
; %bb.193:
	s_and_saveexec_b64 s[0:1], s[48:49]
	s_cbranch_execz .LBB1098_195
; %bb.194:
	s_mov_b32 s53, 0
	s_add_i32 s52, s95, 64
	v_mov_b32_e32 v12, 0
	s_lshl_b64 s[54:55], s[52:53], 4
	v_add_f64 v[8:9], v[80:81], v[16:17]
	v_cmp_eq_u32_sdwa vcc, v82, v12 src0_sel:BYTE_0 src1_sel:DWORD
	v_and_b32_e32 v13, 1, v82
	s_add_u32 s54, s90, s54
	v_cndmask_b32_e32 v9, v81, v9, vcc
	v_cndmask_b32_e32 v8, v80, v8, vcc
	v_and_b32_e32 v24, 1, v73
	v_cmp_eq_u32_e32 vcc, 1, v13
	s_addc_u32 s55, s91, s55
	s_nop 0
	v_cndmask_b32_e64 v13, v24, 1, vcc
	global_store_dword v12, v8, s[54:55] sc1
	global_store_dword v12, v9, s[54:55] offset:4 sc1
	global_store_dword v12, v13, s[54:55] offset:8 sc1
	;; [unrolled: 1-line block ×3, first 2 shown]
	v_mov_b32_e32 v8, s52
	v_mov_b32_e32 v9, 2
	s_waitcnt vmcnt(0) lgkmcnt(0)
	global_store_byte v8, v9, s[92:93] sc1
.LBB1098_195:
	s_or_b64 exec, exec, s[0:1]
	s_and_b64 exec, exec, s[70:71]
	s_cbranch_execz .LBB1098_197
; %bb.196:
	v_mov_b32_e32 v8, 0
	ds_write_b64 v8, v[16:17] offset:48
	ds_write_b8 v8, v73 offset:56
.LBB1098_197:
	s_or_b64 exec, exec, s[50:51]
	s_waitcnt lgkmcnt(0)
	v_cndmask_b32_e64 v12, v49, v44, s[48:49]
	v_mov_b32_e32 v13, 0
	s_barrier
	ds_read_b64 v[8:9], v13 offset:48
	v_and_b32_e32 v16, 1, v1
	v_and_b32_e32 v12, 1, v12
	v_cndmask_b32_e64 v5, v48, v5, s[48:49]
	v_cndmask_b32_e64 v4, v45, v4, s[48:49]
	v_cmp_eq_u32_e32 vcc, 1, v16
	v_cmp_eq_u32_e64 s[0:1], 1, v12
	s_or_b64 s[0:1], vcc, s[0:1]
	v_add_f64 v[4:5], v[2:3], v[4:5]
	v_cmp_eq_u16_sdwa vcc, v1, v13 src0_sel:BYTE_0 src1_sel:DWORD
	v_cndmask_b32_e64 v12, 0, 1, s[0:1]
	v_cndmask_b32_e64 v12, v12, v1, s[70:71]
	v_cndmask_b32_e32 v4, v2, v4, vcc
	v_cndmask_b32_e32 v5, v3, v5, vcc
	v_cndmask_b32_e64 v5, v5, v3, s[70:71]
	v_cndmask_b32_e64 v4, v4, v2, s[70:71]
	s_waitcnt lgkmcnt(0)
	v_add_f64 v[8:9], v[4:5], v[8:9]
	v_cmp_eq_u16_sdwa vcc, v12, v13 src0_sel:BYTE_0 src1_sel:DWORD
	v_readlane_b32 s72, v133, 2
	s_nop 0
	v_cndmask_b32_e32 v115, v5, v9, vcc
	v_cndmask_b32_e32 v114, v4, v8, vcc
	v_add_f64 v[4:5], v[18:19], v[114:115]
	v_cndmask_b32_e64 v45, v19, v5, s[6:7]
	v_cndmask_b32_e64 v44, v18, v4, s[6:7]
	v_add_f64 v[4:5], v[6:7], v[44:45]
	v_cndmask_b32_e64 v81, v7, v5, s[8:9]
	v_cndmask_b32_e64 v80, v6, v4, s[8:9]
	;; [unrolled: 3-line block ×20, first 2 shown]
	s_mov_b64 s[4:5], s[2:3]
	v_readlane_b32 s78, v133, 8
	v_readlane_b32 s79, v133, 9
	;; [unrolled: 1-line block ×7, first 2 shown]
	s_branch .LBB1098_228
.LBB1098_198:
                                        ; implicit-def: $vgpr112_vgpr113_vgpr114_vgpr115
                                        ; implicit-def: $vgpr120_vgpr121
                                        ; implicit-def: $vgpr118_vgpr119
                                        ; implicit-def: $vgpr76_vgpr77
                                        ; implicit-def: $vgpr72_vgpr73
                                        ; implicit-def: $vgpr68_vgpr69
                                        ; implicit-def: $vgpr64_vgpr65
                                        ; implicit-def: $vgpr60_vgpr61
                                        ; implicit-def: $vgpr56_vgpr57
                                        ; implicit-def: $vgpr52_vgpr53
                                        ; implicit-def: $vgpr48_vgpr49
                                        ; implicit-def: $vgpr44_vgpr45
                                        ; implicit-def: $vgpr108_vgpr109_vgpr110_vgpr111
                                        ; implicit-def: $vgpr104_vgpr105_vgpr106_vgpr107
                                        ; implicit-def: $vgpr100_vgpr101_vgpr102_vgpr103
                                        ; implicit-def: $vgpr96_vgpr97_vgpr98_vgpr99
                                        ; implicit-def: $vgpr92_vgpr93_vgpr94_vgpr95
                                        ; implicit-def: $vgpr88_vgpr89_vgpr90_vgpr91
                                        ; implicit-def: $vgpr84_vgpr85_vgpr86_vgpr87
                                        ; implicit-def: $vgpr80_vgpr81_vgpr82_vgpr83
                                        ; implicit-def: $vgpr114_vgpr115_vgpr116_vgpr117
	s_mov_b64 s[58:59], s[14:15]
	s_cbranch_execz .LBB1098_228
; %bb.199:
	v_readlane_b32 s0, v133, 0
	v_readlane_b32 s1, v133, 1
	s_cmp_lg_u64 s[0:1], 0
	s_cselect_b32 s7, s59, 0
	s_cselect_b32 s6, s58, 0
	s_cmp_lg_u64 s[6:7], 0
	s_cselect_b64 s[0:1], -1, 0
	s_and_b64 s[8:9], s[70:71], s[0:1]
	s_and_saveexec_b64 s[0:1], s[8:9]
	s_cbranch_execz .LBB1098_201
; %bb.200:
	v_mov_b32_e32 v8, 0
	global_load_dwordx2 v[4:5], v8, s[6:7]
	global_load_ubyte v9, v8, s[6:7] offset:8
	v_cmp_eq_u16_sdwa vcc, v1, v8 src0_sel:BYTE_0 src1_sel:DWORD
	s_waitcnt vmcnt(1)
	v_add_f64 v[4:5], v[2:3], v[4:5]
	s_waitcnt vmcnt(0)
	v_or_b32_e32 v9, v1, v9
	v_cndmask_b32_e32 v3, v3, v5, vcc
	v_cndmask_b32_e32 v2, v2, v4, vcc
	v_and_b32_e32 v1, 1, v9
.LBB1098_201:
	s_or_b64 exec, exec, s[0:1]
	v_mov_b32_e32 v9, 0
	v_add_f64 v[4:5], v[18:19], v[2:3]
	v_cmp_eq_u16_sdwa vcc, v128, v9 src0_sel:BYTE_0 src1_sel:DWORD
	s_movk_i32 s40, 0xff
	v_cmp_eq_u16_sdwa s[6:7], v132, v9 src0_sel:BYTE_0 src1_sel:DWORD
	v_cndmask_b32_e32 v45, v19, v5, vcc
	v_cndmask_b32_e32 v44, v18, v4, vcc
	v_add_f64 v[4:5], v[6:7], v[44:45]
	v_cndmask_b32_e64 v81, v7, v5, s[6:7]
	v_cndmask_b32_e64 v80, v6, v4, s[6:7]
	v_and_b32_sdwa v12, v128, s40 dst_sel:DWORD dst_unused:UNUSED_PAD src0_sel:WORD_1 src1_sel:DWORD
	v_add_f64 v[4:5], v[26:27], v[80:81]
	v_cmp_eq_u16_e64 s[8:9], 0, v12
	v_cmp_eq_u16_sdwa s[10:11], v128, v9 src0_sel:BYTE_3 src1_sel:DWORD
	v_cmp_eq_u16_sdwa s[12:13], v123, v9 src0_sel:BYTE_0 src1_sel:DWORD
	v_cndmask_b32_e64 v49, v27, v5, s[8:9]
	v_cndmask_b32_e64 v48, v26, v4, s[8:9]
	v_add_f64 v[4:5], v[14:15], v[48:49]
	v_cndmask_b32_e64 v85, v15, v5, s[10:11]
	v_cndmask_b32_e64 v84, v14, v4, s[10:11]
	v_add_f64 v[4:5], v[34:35], v[84:85]
	v_cndmask_b32_e64 v53, v35, v5, s[12:13]
	v_cndmask_b32_e64 v52, v34, v4, s[12:13]
	v_add_f64 v[4:5], v[22:23], v[52:53]
	v_cmp_eq_u16_sdwa s[14:15], v127, v9 src0_sel:BYTE_0 src1_sel:DWORD
	v_cmp_eq_u16_sdwa s[16:17], v130, v9 src0_sel:BYTE_0 src1_sel:DWORD
	v_and_b32_sdwa v12, v127, s40 dst_sel:DWORD dst_unused:UNUSED_PAD src0_sel:WORD_1 src1_sel:DWORD
	v_cndmask_b32_e64 v89, v23, v5, s[14:15]
	v_cndmask_b32_e64 v88, v22, v4, s[14:15]
	v_add_f64 v[4:5], v[42:43], v[88:89]
	v_cndmask_b32_e64 v57, v43, v5, s[16:17]
	v_cndmask_b32_e64 v56, v42, v4, s[16:17]
	v_add_f64 v[4:5], v[30:31], v[56:57]
	v_cmp_eq_u16_e64 s[18:19], 0, v12
	v_cmp_eq_u16_sdwa s[20:21], v127, v9 src0_sel:BYTE_3 src1_sel:DWORD
	v_cmp_eq_u16_sdwa s[22:23], v124, v9 src0_sel:BYTE_0 src1_sel:DWORD
	v_cndmask_b32_e64 v93, v31, v5, s[18:19]
	v_cndmask_b32_e64 v92, v30, v4, s[18:19]
	v_add_f64 v[4:5], v[50:51], v[92:93]
	v_cndmask_b32_e64 v61, v51, v5, s[20:21]
	v_cndmask_b32_e64 v60, v50, v4, s[20:21]
	v_add_f64 v[4:5], v[38:39], v[60:61]
	v_cndmask_b32_e64 v97, v39, v5, s[22:23]
	v_cndmask_b32_e64 v96, v38, v4, s[22:23]
	v_add_f64 v[4:5], v[58:59], v[96:97]
	v_cmp_eq_u16_sdwa s[24:25], v126, v9 src0_sel:BYTE_0 src1_sel:DWORD
	v_cmp_eq_u16_sdwa s[26:27], v41, v9 src0_sel:BYTE_0 src1_sel:DWORD
	v_and_b32_sdwa v12, v126, s40 dst_sel:DWORD dst_unused:UNUSED_PAD src0_sel:WORD_1 src1_sel:DWORD
	v_cndmask_b32_e64 v65, v59, v5, s[24:25]
	v_cndmask_b32_e64 v64, v58, v4, s[24:25]
	v_add_f64 v[4:5], v[46:47], v[64:65]
	v_cndmask_b32_e64 v101, v47, v5, s[26:27]
	v_cndmask_b32_e64 v100, v46, v4, s[26:27]
	;; [unrolled: 21-line block ×3, first 2 shown]
	v_add_f64 v[4:5], v[70:71], v[76:77]
	v_cmp_eq_u16_e64 s[40:41], 0, v12
	v_cmp_eq_u16_sdwa s[42:43], v125, v9 src0_sel:BYTE_3 src1_sel:DWORD
	v_cmp_eq_u16_sdwa s[44:45], v36, v9 src0_sel:BYTE_0 src1_sel:DWORD
	v_cndmask_b32_e64 v113, v71, v5, s[40:41]
	v_cndmask_b32_e64 v112, v70, v4, s[40:41]
	v_add_f64 v[4:5], v[10:11], v[112:113]
	v_cndmask_b32_e64 v119, v11, v5, s[42:43]
	v_cndmask_b32_e64 v118, v10, v4, s[42:43]
	v_add_f64 v[4:5], v[20:21], v[118:119]
	v_cndmask_b32_e64 v120, v20, v4, s[44:45]
	v_or_b32_e32 v4, v125, v126
	v_or3_b32 v4, v4, v127, v128
	v_lshrrev_b16_e32 v9, 7, v4
	v_cndmask_b32_e64 v121, v21, v5, s[44:45]
	v_and_b32_e32 v5, 1, v4
	v_and_b32_e32 v9, 2, v9
	v_or_b32_e32 v5, v5, v9
	v_lshrrev_b32_e32 v9, 23, v4
	v_mov_b32_e32 v12, 1
	v_and_b32_e32 v9, 2, v9
	v_and_b32_sdwa v4, v4, v12 dst_sel:DWORD dst_unused:UNUSED_PAD src0_sel:WORD_1 src1_sel:DWORD
	v_or_b32_e32 v4, v4, v9
	v_lshlrev_b16_e32 v4, 2, v4
	v_or_b32_e32 v4, v5, v4
	v_cmp_eq_u32_e64 s[50:51], 1, v33
	v_cmp_ne_u16_e64 s[52:53], 0, v4
	v_cmp_eq_u32_e64 s[48:49], 1, v40
	s_or_b64 s[50:51], s[52:53], s[50:51]
	v_cmp_eq_u32_e64 s[0:1], 1, v129
	s_or_b64 s[48:49], s[50:51], s[48:49]
	;; [unrolled: 2-line block ×3, first 2 shown]
	v_and_b32_e32 v8, 0xff, v1
	s_or_b64 s[0:1], s[0:1], s[46:47]
	v_mbcnt_hi_u32_b32 v16, -1, v32
	v_cndmask_b32_e64 v17, v8, 1, s[0:1]
	v_and_b32_e32 v24, 15, v16
	v_mov_b32_dpp v12, v120 row_shr:1 row_mask:0xf bank_mask:0xf
	v_mov_b32_dpp v13, v121 row_shr:1 row_mask:0xf bank_mask:0xf
	;; [unrolled: 1-line block ×3, first 2 shown]
	v_cmp_ne_u32_e64 s[0:1], 0, v24
	v_mov_b64_e32 v[4:5], v[120:121]
	v_mov_b32_e32 v9, v121
	v_mov_b32_e32 v8, v120
	s_and_saveexec_b64 s[46:47], s[0:1]
; %bb.202:
	v_add_f64 v[4:5], v[120:121], v[12:13]
	v_cmp_eq_u32_e64 s[0:1], 0, v17
	v_and_or_b32 v17, v25, 1, v17
	s_nop 0
	v_cndmask_b32_e64 v5, v121, v5, s[0:1]
	v_cndmask_b32_e64 v4, v120, v4, s[0:1]
	v_mov_b32_e32 v9, v5
	v_mov_b32_e32 v8, v4
; %bb.203:
	s_or_b64 exec, exec, s[46:47]
	s_nop 0
	v_mov_b32_dpp v12, v8 row_shr:2 row_mask:0xf bank_mask:0xf
	v_mov_b32_dpp v13, v9 row_shr:2 row_mask:0xf bank_mask:0xf
	v_mov_b32_dpp v25, v17 row_shr:2 row_mask:0xf bank_mask:0xf
	v_cmp_lt_u32_e64 s[0:1], 1, v24
	s_and_saveexec_b64 s[46:47], s[0:1]
; %bb.204:
	v_add_f64 v[8:9], v[4:5], v[12:13]
	v_cmp_eq_u32_e64 s[0:1], 0, v17
	s_nop 1
	v_cndmask_b32_e64 v9, v5, v9, s[0:1]
	v_cndmask_b32_e64 v8, v4, v8, s[0:1]
	v_or_b32_e32 v4, v25, v17
	v_and_b32_e32 v17, 1, v4
	v_mov_b64_e32 v[4:5], v[8:9]
; %bb.205:
	s_or_b64 exec, exec, s[46:47]
	v_mov_b32_dpp v12, v8 row_shr:4 row_mask:0xf bank_mask:0xf
	v_mov_b32_dpp v13, v9 row_shr:4 row_mask:0xf bank_mask:0xf
	v_mov_b32_dpp v25, v17 row_shr:4 row_mask:0xf bank_mask:0xf
	v_cmp_lt_u32_e64 s[0:1], 3, v24
	s_and_saveexec_b64 s[46:47], s[0:1]
; %bb.206:
	v_add_f64 v[8:9], v[4:5], v[12:13]
	v_cmp_eq_u32_e64 s[0:1], 0, v17
	s_nop 1
	v_cndmask_b32_e64 v9, v5, v9, s[0:1]
	v_cndmask_b32_e64 v8, v4, v8, s[0:1]
	v_or_b32_e32 v4, v25, v17
	v_and_b32_e32 v17, 1, v4
	v_mov_b64_e32 v[4:5], v[8:9]
; %bb.207:
	s_or_b64 exec, exec, s[46:47]
	;; [unrolled: 16-line block ×3, first 2 shown]
	v_and_b32_e32 v25, 16, v16
	v_mov_b32_dpp v12, v8 row_bcast:15 row_mask:0xf bank_mask:0xf
	v_mov_b32_dpp v13, v9 row_bcast:15 row_mask:0xf bank_mask:0xf
	;; [unrolled: 1-line block ×3, first 2 shown]
	v_cmp_ne_u32_e64 s[0:1], 0, v25
	s_and_saveexec_b64 s[46:47], s[0:1]
; %bb.210:
	v_add_f64 v[8:9], v[4:5], v[12:13]
	v_cmp_eq_u32_e64 s[0:1], 0, v17
	s_nop 1
	v_cndmask_b32_e64 v5, v5, v9, s[0:1]
	v_cndmask_b32_e64 v4, v4, v8, s[0:1]
	v_or_b32_e32 v8, v24, v17
	v_and_b32_e32 v17, 1, v8
	v_mov_b32_e32 v9, v5
	v_mov_b32_e32 v8, v4
; %bb.211:
	s_or_b64 exec, exec, s[46:47]
	s_nop 0
	v_mov_b32_dpp v8, v8 row_bcast:31 row_mask:0xf bank_mask:0xf
	v_mov_b32_dpp v9, v9 row_bcast:31 row_mask:0xf bank_mask:0xf
	;; [unrolled: 1-line block ×3, first 2 shown]
	v_cmp_lt_u32_e64 s[0:1], 31, v16
	v_mov_b32_e32 v12, v17
	s_and_saveexec_b64 s[46:47], s[0:1]
; %bb.212:
	v_add_f64 v[8:9], v[4:5], v[8:9]
	v_cmp_eq_u32_e64 s[0:1], 0, v17
	s_nop 1
	v_cndmask_b32_e64 v4, v4, v8, s[0:1]
	v_or_b32_e32 v8, v13, v17
	v_cndmask_b32_e64 v5, v5, v9, s[0:1]
	v_and_b32_e32 v12, 1, v8
	v_and_b32_e32 v17, 1, v8
; %bb.213:
	s_or_b64 exec, exec, s[46:47]
	v_or_b32_e32 v8, 63, v0
	v_lshrrev_b32_e32 v24, 6, v0
	v_cmp_eq_u32_e64 s[0:1], v8, v0
	s_and_saveexec_b64 s[46:47], s[0:1]
	s_cbranch_execz .LBB1098_215
; %bb.214:
	v_lshlrev_b32_e32 v8, 4, v24
	ds_write_b64 v8, v[4:5]
	ds_write_b8 v8, v12 offset:8
.LBB1098_215:
	s_or_b64 exec, exec, s[46:47]
	v_cmp_gt_u32_e64 s[0:1], 4, v0
	s_waitcnt lgkmcnt(0)
	s_barrier
	s_and_saveexec_b64 s[48:49], s[0:1]
	s_cbranch_execz .LBB1098_221
; %bb.216:
	v_lshlrev_b32_e32 v25, 4, v0
	ds_read_b64 v[8:9], v25
	ds_read_b32 v28, v25 offset:8
	v_and_b32_e32 v29, 3, v16
	v_cmp_ne_u32_e64 s[0:1], 0, v29
	s_waitcnt lgkmcnt(1)
	v_mov_b32_dpp v12, v8 row_shr:1 row_mask:0xf bank_mask:0xf
	v_mov_b32_dpp v13, v9 row_shr:1 row_mask:0xf bank_mask:0xf
	s_waitcnt lgkmcnt(0)
	v_mov_b32_dpp v36, v28 row_shr:1 row_mask:0xf bank_mask:0xf
	v_mov_b32_e32 v33, v28
	v_mov_b32_e32 v32, v28
	s_and_saveexec_b64 s[46:47], s[0:1]
; %bb.217:
	v_mov_b32_e32 v32, 0
	v_add_f64 v[12:13], v[8:9], v[12:13]
	v_cmp_eq_u16_sdwa s[0:1], v28, v32 src0_sel:BYTE_0 src1_sel:DWORD
	s_nop 1
	v_cndmask_b32_e64 v8, v8, v12, s[0:1]
	v_or_b32_e32 v12, v36, v28
	v_cndmask_b32_e64 v9, v9, v13, s[0:1]
	v_and_b32_e32 v32, 1, v12
	s_movk_i32 s0, 0xff00
	v_and_b32_e32 v33, 1, v12
	v_and_or_b32 v28, v28, s0, v32
; %bb.218:
	s_or_b64 exec, exec, s[46:47]
	v_mov_b32_dpp v12, v8 row_shr:2 row_mask:0xf bank_mask:0xf
	v_mov_b32_dpp v13, v9 row_shr:2 row_mask:0xf bank_mask:0xf
	;; [unrolled: 1-line block ×3, first 2 shown]
	v_cmp_lt_u32_e64 s[0:1], 1, v29
	s_and_saveexec_b64 s[50:51], s[0:1]
; %bb.219:
	v_mov_b32_e32 v29, 0
	v_add_f64 v[12:13], v[8:9], v[12:13]
	v_cmp_eq_u16_sdwa s[0:1], v32, v29 src0_sel:BYTE_0 src1_sel:DWORD
	s_nop 1
	v_cndmask_b32_e64 v8, v8, v12, s[0:1]
	v_and_b32_e32 v12, 1, v32
	v_cndmask_b32_e64 v9, v9, v13, s[0:1]
	v_cmp_eq_u32_e64 s[0:1], 1, v12
	v_and_b32_e32 v12, 1, v28
	v_cmp_eq_u32_e64 s[46:47], 1, v12
	s_or_b64 s[0:1], s[0:1], s[46:47]
	v_cndmask_b32_e64 v33, 0, 1, s[0:1]
; %bb.220:
	s_or_b64 exec, exec, s[50:51]
	ds_write_b64 v25, v[8:9]
	ds_write_b8 v25, v33 offset:8
.LBB1098_221:
	s_or_b64 exec, exec, s[48:49]
	v_cmp_lt_u32_e64 s[0:1], 63, v0
	v_mov_b64_e32 v[8:9], 0
	s_waitcnt lgkmcnt(0)
	s_barrier
	s_and_saveexec_b64 s[46:47], s[0:1]
	s_cbranch_execz .LBB1098_223
; %bb.222:
	v_lshl_add_u32 v8, v24, 4, -16
	ds_read_b64 v[8:9], v8
	v_cmp_eq_u32_e64 s[0:1], 0, v17
	s_waitcnt lgkmcnt(0)
	v_add_f64 v[12:13], v[4:5], v[8:9]
	v_cndmask_b32_e64 v5, v5, v13, s[0:1]
	v_cndmask_b32_e64 v4, v4, v12, s[0:1]
.LBB1098_223:
	s_or_b64 exec, exec, s[46:47]
	v_add_u32_e32 v12, -1, v16
	v_and_b32_e32 v13, 64, v16
	v_cmp_lt_i32_e64 s[0:1], v12, v13
	s_nop 1
	v_cndmask_b32_e64 v12, v12, v16, s[0:1]
	v_lshlrev_b32_e32 v12, 2, v12
	ds_bpermute_b32 v4, v12, v4
	ds_bpermute_b32 v5, v12, v5
	s_and_saveexec_b64 s[46:47], s[4:5]
	s_cbranch_execz .LBB1098_225
; %bb.224:
	v_cmp_eq_u32_e64 s[0:1], 0, v16
	v_mov_b32_e32 v12, 0
	;;#ASMSTART
	;;#ASMEND
	s_waitcnt lgkmcnt(0)
	v_cndmask_b32_e64 v5, v5, v9, s[0:1]
	v_cndmask_b32_e64 v4, v4, v8, s[0:1]
	v_add_f64 v[4:5], v[2:3], v[4:5]
	v_cmp_eq_u16_sdwa s[0:1], v1, v12 src0_sel:BYTE_0 src1_sel:DWORD
	s_nop 1
	v_cndmask_b32_e64 v3, v3, v5, s[0:1]
	v_cndmask_b32_e64 v2, v2, v4, s[0:1]
	v_add_f64 v[4:5], v[18:19], v[2:3]
	v_cndmask_b32_e32 v45, v19, v5, vcc
	v_cndmask_b32_e32 v44, v18, v4, vcc
	v_add_f64 v[4:5], v[6:7], v[44:45]
	v_cndmask_b32_e64 v81, v7, v5, s[6:7]
	v_cndmask_b32_e64 v80, v6, v4, s[6:7]
	v_add_f64 v[4:5], v[26:27], v[80:81]
	v_cndmask_b32_e64 v49, v27, v5, s[8:9]
	v_cndmask_b32_e64 v48, v26, v4, s[8:9]
	;; [unrolled: 3-line block ×19, first 2 shown]
.LBB1098_225:
	s_or_b64 exec, exec, s[46:47]
	s_and_saveexec_b64 s[0:1], s[70:71]
	s_cbranch_execz .LBB1098_227
; %bb.226:
	v_mov_b32_e32 v1, 0
	s_waitcnt lgkmcnt(0)
	ds_read_b64 v[4:5], v1 offset:48
	ds_read_u8 v6, v1 offset:56
	s_waitcnt lgkmcnt(1)
	global_store_dword v1, v4, s[90:91] offset:1024 sc1
	global_store_dword v1, v5, s[90:91] offset:1028 sc1
	s_waitcnt lgkmcnt(0)
	global_store_dword v1, v6, s[90:91] offset:1032 sc1
	global_store_dword v1, v1, s[90:91] offset:1036 sc1
	v_mov_b32_e32 v4, 2
	s_waitcnt vmcnt(0)
	global_store_byte v1, v4, s[92:93] offset:64 sc1
.LBB1098_227:
	s_or_b64 exec, exec, s[0:1]
	v_mov_b64_e32 v[114:115], v[2:3]
.LBB1098_228:
	s_add_u32 s0, s78, s96
	s_addc_u32 s1, s79, s97
	s_add_u32 s0, s0, s98
	s_addc_u32 s1, s1, s99
	s_and_b64 vcc, exec, s[86:87]
	v_lshlrev_b32_e32 v42, 3, v0
	s_cbranch_vccz .LBB1098_270
; %bb.229:
	s_movk_i32 s2, 0xa8
	v_mul_i32_i24_e32 v50, 0xffffff60, v0
	v_mul_u32_u24_e32 v1, 0xa8, v0
	v_mad_u32_u24 v2, v0, s2, v50
	s_waitcnt lgkmcnt(0)
	s_barrier
	ds_write2_b64 v1, v[114:115], v[44:45] offset1:1
	ds_write2_b64 v1, v[80:81], v[48:49] offset0:2 offset1:3
	ds_write2_b64 v1, v[84:85], v[52:53] offset0:4 offset1:5
	;; [unrolled: 1-line block ×9, first 2 shown]
	ds_write_b64 v1, v[120:121] offset:160
	s_waitcnt lgkmcnt(0)
	s_barrier
	ds_read2st64_b64 v[38:41], v2 offset0:4 offset1:8
	ds_read2st64_b64 v[34:37], v2 offset0:12 offset1:16
	;; [unrolled: 1-line block ×10, first 2 shown]
	s_add_i32 s33, s33, s94
	v_mov_b32_e32 v43, 0
	v_lshl_add_u64 v[46:47], s[0:1], 0, v[42:43]
	v_cmp_gt_u32_e32 vcc, s33, v0
	s_and_saveexec_b64 s[2:3], vcc
	s_cbranch_execz .LBB1098_231
; %bb.230:
	v_add_u32_e32 v1, v1, v50
	ds_read_b64 v[50:51], v1
	s_waitcnt lgkmcnt(0)
	flat_store_dwordx2 v[46:47], v[50:51]
.LBB1098_231:
	s_or_b64 exec, exec, s[2:3]
	v_or_b32_e32 v1, 0x100, v0
	v_cmp_gt_u32_e32 vcc, s33, v1
	s_and_saveexec_b64 s[2:3], vcc
	s_cbranch_execz .LBB1098_233
; %bb.232:
	s_waitcnt lgkmcnt(0)
	flat_store_dwordx2 v[46:47], v[38:39] offset:2048
.LBB1098_233:
	s_or_b64 exec, exec, s[2:3]
	v_or_b32_e32 v1, 0x200, v0
	v_cmp_gt_u32_e32 vcc, s33, v1
	s_and_saveexec_b64 s[2:3], vcc
	s_cbranch_execz .LBB1098_235
; %bb.234:
	s_waitcnt lgkmcnt(0)
	v_add_co_u32_e32 v38, vcc, 0x1000, v46
	s_nop 1
	v_addc_co_u32_e32 v39, vcc, 0, v47, vcc
	flat_store_dwordx2 v[38:39], v[40:41]
.LBB1098_235:
	s_or_b64 exec, exec, s[2:3]
	v_or_b32_e32 v1, 0x300, v0
	v_cmp_gt_u32_e32 vcc, s33, v1
	s_and_saveexec_b64 s[2:3], vcc
	s_cbranch_execz .LBB1098_237
; %bb.236:
	s_waitcnt lgkmcnt(0)
	v_add_co_u32_e32 v38, vcc, 0x1000, v46
	s_nop 1
	v_addc_co_u32_e32 v39, vcc, 0, v47, vcc
	flat_store_dwordx2 v[38:39], v[34:35] offset:2048
.LBB1098_237:
	s_or_b64 exec, exec, s[2:3]
	v_or_b32_e32 v1, 0x400, v0
	v_cmp_gt_u32_e32 vcc, s33, v1
	s_and_saveexec_b64 s[2:3], vcc
	s_cbranch_execz .LBB1098_239
; %bb.238:
	s_waitcnt lgkmcnt(0)
	v_add_co_u32_e32 v34, vcc, 0x2000, v46
	s_nop 1
	v_addc_co_u32_e32 v35, vcc, 0, v47, vcc
	flat_store_dwordx2 v[34:35], v[36:37]
.LBB1098_239:
	s_or_b64 exec, exec, s[2:3]
	v_or_b32_e32 v1, 0x500, v0
	v_cmp_gt_u32_e32 vcc, s33, v1
	s_and_saveexec_b64 s[2:3], vcc
	s_cbranch_execz .LBB1098_241
; %bb.240:
	s_waitcnt lgkmcnt(0)
	v_add_co_u32_e32 v34, vcc, 0x2000, v46
	s_nop 1
	v_addc_co_u32_e32 v35, vcc, 0, v47, vcc
	flat_store_dwordx2 v[34:35], v[30:31] offset:2048
.LBB1098_241:
	;; [unrolled: 24-line block ×9, first 2 shown]
	s_or_b64 exec, exec, s[2:3]
	s_waitcnt lgkmcnt(0)
	v_or_b32_e32 v2, 0x1400, v0
	v_mov_b32_e32 v1, v43
	v_cmp_gt_u32_e64 s[2:3], s33, v2
	s_branch .LBB1098_272
.LBB1098_270:
	s_mov_b64 s[2:3], 0
                                        ; implicit-def: $vgpr4_vgpr5
	s_cbranch_execz .LBB1098_272
; %bb.271:
	v_mul_u32_u24_e32 v1, 0xa8, v0
	s_waitcnt lgkmcnt(0)
	s_barrier
	s_movk_i32 s4, 0xa8
	ds_write2_b64 v1, v[114:115], v[44:45] offset1:1
	ds_write2_b64 v1, v[80:81], v[48:49] offset0:2 offset1:3
	ds_write2_b64 v1, v[84:85], v[52:53] offset0:4 offset1:5
	;; [unrolled: 1-line block ×9, first 2 shown]
	ds_write_b64 v1, v[120:121] offset:160
	v_mov_b32_e32 v1, 0
	v_mul_i32_i24_e32 v2, 0xffffff60, v0
	v_mad_u32_u24 v2, v0, s4, v2
	v_mov_b32_e32 v43, v1
	s_waitcnt lgkmcnt(0)
	s_barrier
	ds_read2st64_b64 v[6:9], v2 offset1:4
	ds_read2st64_b64 v[10:13], v2 offset0:8 offset1:12
	ds_read2st64_b64 v[14:17], v2 offset0:16 offset1:20
	;; [unrolled: 1-line block ×9, first 2 shown]
	ds_read_b64 v[4:5], v2 offset:40960
	v_lshl_add_u64 v[2:3], s[0:1], 0, v[42:43]
	s_movk_i32 s4, 0x1000
	s_waitcnt lgkmcnt(0)
	flat_store_dwordx2 v[2:3], v[6:7]
	flat_store_dwordx2 v[2:3], v[8:9] offset:2048
	v_add_co_u32_e32 v6, vcc, s4, v2
	s_movk_i32 s4, 0x2000
	s_nop 0
	v_addc_co_u32_e32 v7, vcc, 0, v3, vcc
	flat_store_dwordx2 v[6:7], v[10:11]
	flat_store_dwordx2 v[6:7], v[12:13] offset:2048
	v_add_co_u32_e32 v6, vcc, s4, v2
	s_movk_i32 s4, 0x3000
	s_nop 0
	v_addc_co_u32_e32 v7, vcc, 0, v3, vcc
	;; [unrolled: 6-line block ×6, first 2 shown]
	flat_store_dwordx2 v[6:7], v[30:31]
	flat_store_dwordx2 v[6:7], v[32:33] offset:2048
	v_add_co_u32_e32 v6, vcc, s4, v2
	s_or_b64 s[2:3], s[2:3], exec
	s_nop 0
	v_addc_co_u32_e32 v7, vcc, 0, v3, vcc
	flat_store_dwordx2 v[6:7], v[34:35]
	flat_store_dwordx2 v[6:7], v[36:37] offset:2048
	v_add_co_u32_e32 v6, vcc, 0x8000, v2
	s_nop 1
	v_addc_co_u32_e32 v7, vcc, 0, v3, vcc
	v_add_co_u32_e32 v2, vcc, 0x9000, v2
	flat_store_dwordx2 v[6:7], v[38:39]
	flat_store_dwordx2 v[6:7], v[40:41] offset:2048
	v_addc_co_u32_e32 v3, vcc, 0, v3, vcc
	flat_store_dwordx2 v[2:3], v[44:45]
	flat_store_dwordx2 v[2:3], v[46:47] offset:2048
.LBB1098_272:
	s_and_saveexec_b64 s[4:5], s[2:3]
	s_cbranch_execnz .LBB1098_274
; %bb.273:
	s_endpgm
.LBB1098_274:
	v_lshl_add_u64 v[0:1], v[0:1], 3, s[0:1]
	v_add_co_u32_e32 v0, vcc, 0xa000, v0
	s_nop 1
	v_addc_co_u32_e32 v1, vcc, 0, v1, vcc
	s_waitcnt lgkmcnt(0)
	flat_store_dwordx2 v[0:1], v[4:5]
	s_endpgm
.LBB1098_275:
	v_lshlrev_b32_e32 v6, 3, v0
	v_lshl_add_u64 v[2:3], s[50:51], 0, v[6:7]
	flat_load_dwordx2 v[2:3], v[2:3]
	s_or_b64 exec, exec, s[0:1]
                                        ; implicit-def: $vgpr6_vgpr7
	s_and_saveexec_b64 s[0:1], s[8:9]
	s_cbranch_execz .LBB1098_55
.LBB1098_276:
	v_lshlrev_b32_e32 v6, 3, v0
	v_mov_b32_e32 v7, 0
	v_lshl_add_u64 v[6:7], s[50:51], 0, v[6:7]
	flat_load_dwordx2 v[6:7], v[6:7] offset:2048
	s_or_b64 exec, exec, s[0:1]
                                        ; implicit-def: $vgpr10_vgpr11
	s_and_saveexec_b64 s[0:1], s[10:11]
	s_cbranch_execz .LBB1098_56
.LBB1098_277:
	v_lshlrev_b32_e32 v10, 3, v1
	v_mov_b32_e32 v11, 0
	v_lshl_add_u64 v[10:11], s[50:51], 0, v[10:11]
	flat_load_dwordx2 v[10:11], v[10:11]
	s_or_b64 exec, exec, s[0:1]
                                        ; implicit-def: $vgpr14_vgpr15
	s_and_saveexec_b64 s[0:1], s[12:13]
	s_cbranch_execz .LBB1098_57
.LBB1098_278:
	v_lshlrev_b32_e32 v14, 3, v18
	v_mov_b32_e32 v15, 0
	v_lshl_add_u64 v[14:15], s[50:51], 0, v[14:15]
	flat_load_dwordx2 v[14:15], v[14:15]
	s_or_b64 exec, exec, s[0:1]
                                        ; implicit-def: $vgpr18_vgpr19
	s_and_saveexec_b64 s[0:1], s[14:15]
	s_cbranch_execz .LBB1098_58
.LBB1098_279:
	v_lshlrev_b32_e32 v18, 3, v20
	v_mov_b32_e32 v19, 0
	v_lshl_add_u64 v[18:19], s[50:51], 0, v[18:19]
	flat_load_dwordx2 v[18:19], v[18:19]
	s_or_b64 exec, exec, s[0:1]
                                        ; implicit-def: $vgpr20_vgpr21
	s_and_saveexec_b64 s[0:1], s[16:17]
	s_cbranch_execz .LBB1098_59
.LBB1098_280:
	v_lshlrev_b32_e32 v20, 3, v22
	v_mov_b32_e32 v21, 0
	v_lshl_add_u64 v[20:21], s[50:51], 0, v[20:21]
	flat_load_dwordx2 v[20:21], v[20:21]
	s_or_b64 exec, exec, s[0:1]
                                        ; implicit-def: $vgpr22_vgpr23
	s_and_saveexec_b64 s[0:1], s[18:19]
	s_cbranch_execz .LBB1098_60
.LBB1098_281:
	v_lshlrev_b32_e32 v22, 3, v26
	v_mov_b32_e32 v23, 0
	v_lshl_add_u64 v[22:23], s[50:51], 0, v[22:23]
	flat_load_dwordx2 v[22:23], v[22:23]
	s_or_b64 exec, exec, s[0:1]
                                        ; implicit-def: $vgpr26_vgpr27
	s_and_saveexec_b64 s[0:1], s[20:21]
	s_cbranch_execz .LBB1098_61
.LBB1098_282:
	v_lshlrev_b32_e32 v26, 3, v30
	v_mov_b32_e32 v27, 0
	v_lshl_add_u64 v[26:27], s[50:51], 0, v[26:27]
	flat_load_dwordx2 v[26:27], v[26:27]
	s_or_b64 exec, exec, s[0:1]
                                        ; implicit-def: $vgpr30_vgpr31
	s_and_saveexec_b64 s[0:1], s[22:23]
	s_cbranch_execz .LBB1098_62
.LBB1098_283:
	v_lshlrev_b32_e32 v30, 3, v34
	v_mov_b32_e32 v31, 0
	v_lshl_add_u64 v[30:31], s[50:51], 0, v[30:31]
	flat_load_dwordx2 v[30:31], v[30:31]
	s_or_b64 exec, exec, s[0:1]
                                        ; implicit-def: $vgpr34_vgpr35
	s_and_saveexec_b64 s[0:1], s[24:25]
	s_cbranch_execz .LBB1098_63
.LBB1098_284:
	v_lshlrev_b32_e32 v34, 3, v38
	v_mov_b32_e32 v35, 0
	v_lshl_add_u64 v[34:35], s[50:51], 0, v[34:35]
	flat_load_dwordx2 v[34:35], v[34:35]
	s_or_b64 exec, exec, s[0:1]
                                        ; implicit-def: $vgpr38_vgpr39
	s_and_saveexec_b64 s[0:1], s[26:27]
	s_cbranch_execz .LBB1098_64
.LBB1098_285:
	v_lshlrev_b32_e32 v38, 3, v42
	v_mov_b32_e32 v39, 0
	v_lshl_add_u64 v[38:39], s[50:51], 0, v[38:39]
	flat_load_dwordx2 v[38:39], v[38:39]
	s_or_b64 exec, exec, s[0:1]
                                        ; implicit-def: $vgpr42_vgpr43
	s_and_saveexec_b64 s[0:1], s[28:29]
	s_cbranch_execz .LBB1098_65
.LBB1098_286:
	v_lshlrev_b32_e32 v42, 3, v46
	v_mov_b32_e32 v43, 0
	v_lshl_add_u64 v[42:43], s[50:51], 0, v[42:43]
	flat_load_dwordx2 v[42:43], v[42:43]
	s_or_b64 exec, exec, s[0:1]
                                        ; implicit-def: $vgpr46_vgpr47
	s_and_saveexec_b64 s[0:1], s[30:31]
	s_cbranch_execz .LBB1098_66
.LBB1098_287:
	v_lshlrev_b32_e32 v46, 3, v48
	v_mov_b32_e32 v47, 0
	v_lshl_add_u64 v[46:47], s[50:51], 0, v[46:47]
	flat_load_dwordx2 v[46:47], v[46:47]
	s_or_b64 exec, exec, s[0:1]
                                        ; implicit-def: $vgpr48_vgpr49
	s_and_saveexec_b64 s[0:1], s[34:35]
	s_cbranch_execz .LBB1098_67
.LBB1098_288:
	v_lshlrev_b32_e32 v48, 3, v50
	v_mov_b32_e32 v49, 0
	v_lshl_add_u64 v[48:49], s[50:51], 0, v[48:49]
	flat_load_dwordx2 v[48:49], v[48:49]
	s_or_b64 exec, exec, s[0:1]
                                        ; implicit-def: $vgpr50_vgpr51
	s_and_saveexec_b64 s[0:1], s[36:37]
	s_cbranch_execz .LBB1098_68
.LBB1098_289:
	v_lshlrev_b32_e32 v50, 3, v52
	v_mov_b32_e32 v51, 0
	v_lshl_add_u64 v[50:51], s[50:51], 0, v[50:51]
	flat_load_dwordx2 v[50:51], v[50:51]
	s_or_b64 exec, exec, s[0:1]
                                        ; implicit-def: $vgpr52_vgpr53
	s_and_saveexec_b64 s[0:1], s[38:39]
	s_cbranch_execz .LBB1098_69
.LBB1098_290:
	v_lshlrev_b32_e32 v52, 3, v54
	v_mov_b32_e32 v53, 0
	v_lshl_add_u64 v[52:53], s[50:51], 0, v[52:53]
	flat_load_dwordx2 v[52:53], v[52:53]
	s_or_b64 exec, exec, s[0:1]
                                        ; implicit-def: $vgpr54_vgpr55
	s_and_saveexec_b64 s[0:1], s[40:41]
	s_cbranch_execz .LBB1098_70
.LBB1098_291:
	v_lshlrev_b32_e32 v54, 3, v56
	v_mov_b32_e32 v55, 0
	v_lshl_add_u64 v[54:55], s[50:51], 0, v[54:55]
	flat_load_dwordx2 v[54:55], v[54:55]
	s_or_b64 exec, exec, s[0:1]
                                        ; implicit-def: $vgpr56_vgpr57
	s_and_saveexec_b64 s[0:1], s[42:43]
	s_cbranch_execz .LBB1098_71
.LBB1098_292:
	v_lshlrev_b32_e32 v56, 3, v58
	v_mov_b32_e32 v57, 0
	v_lshl_add_u64 v[56:57], s[50:51], 0, v[56:57]
	flat_load_dwordx2 v[56:57], v[56:57]
	s_or_b64 exec, exec, s[0:1]
                                        ; implicit-def: $vgpr58_vgpr59
	s_and_saveexec_b64 s[0:1], s[44:45]
	s_cbranch_execz .LBB1098_72
.LBB1098_293:
	v_lshlrev_b32_e32 v58, 3, v60
	v_mov_b32_e32 v59, 0
	v_lshl_add_u64 v[58:59], s[50:51], 0, v[58:59]
	flat_load_dwordx2 v[58:59], v[58:59]
	s_or_b64 exec, exec, s[0:1]
                                        ; implicit-def: $vgpr60_vgpr61
	s_and_saveexec_b64 s[0:1], s[46:47]
	s_cbranch_execz .LBB1098_73
.LBB1098_294:
	v_lshlrev_b32_e32 v60, 3, v62
	v_mov_b32_e32 v61, 0
	v_lshl_add_u64 v[60:61], s[50:51], 0, v[60:61]
	flat_load_dwordx2 v[60:61], v[60:61]
	s_or_b64 exec, exec, s[0:1]
                                        ; implicit-def: $vgpr62_vgpr63
	s_and_saveexec_b64 s[0:1], s[48:49]
	s_cbranch_execnz .LBB1098_74
	s_branch .LBB1098_75
.LBB1098_295:
                                        ; implicit-def: $sgpr0_sgpr1
	s_branch .LBB1098_50
.LBB1098_296:
                                        ; implicit-def: $sgpr0_sgpr1
	s_branch .LBB1098_120
	.section	.rodata,"a",@progbits
	.p2align	6, 0x0
	.amdhsa_kernel _ZN7rocprim17ROCPRIM_400000_NS6detail17trampoline_kernelINS0_14default_configENS1_27scan_by_key_config_selectorIidEEZZNS1_16scan_by_key_implILNS1_25lookback_scan_determinismE0ELb0ES3_N6thrust23THRUST_200600_302600_NS6detail15normal_iteratorINS9_10device_ptrIiEEEENSB_INSC_IdEEEESG_dNS9_4plusIvEENS9_8equal_toIvEEdEE10hipError_tPvRmT2_T3_T4_T5_mT6_T7_P12ihipStream_tbENKUlT_T0_E_clISt17integral_constantIbLb1EES11_EEDaSW_SX_EUlSW_E_NS1_11comp_targetILNS1_3genE5ELNS1_11target_archE942ELNS1_3gpuE9ELNS1_3repE0EEENS1_30default_config_static_selectorELNS0_4arch9wavefront6targetE1EEEvT1_
		.amdhsa_group_segment_fixed_size 43008
		.amdhsa_private_segment_fixed_size 0
		.amdhsa_kernarg_size 136
		.amdhsa_user_sgpr_count 2
		.amdhsa_user_sgpr_dispatch_ptr 0
		.amdhsa_user_sgpr_queue_ptr 0
		.amdhsa_user_sgpr_kernarg_segment_ptr 1
		.amdhsa_user_sgpr_dispatch_id 0
		.amdhsa_user_sgpr_kernarg_preload_length 0
		.amdhsa_user_sgpr_kernarg_preload_offset 0
		.amdhsa_user_sgpr_private_segment_size 0
		.amdhsa_uses_dynamic_stack 0
		.amdhsa_enable_private_segment 0
		.amdhsa_system_sgpr_workgroup_id_x 1
		.amdhsa_system_sgpr_workgroup_id_y 0
		.amdhsa_system_sgpr_workgroup_id_z 0
		.amdhsa_system_sgpr_workgroup_info 0
		.amdhsa_system_vgpr_workitem_id 0
		.amdhsa_next_free_vgpr 134
		.amdhsa_next_free_sgpr 100
		.amdhsa_accum_offset 136
		.amdhsa_reserve_vcc 1
		.amdhsa_float_round_mode_32 0
		.amdhsa_float_round_mode_16_64 0
		.amdhsa_float_denorm_mode_32 3
		.amdhsa_float_denorm_mode_16_64 3
		.amdhsa_dx10_clamp 1
		.amdhsa_ieee_mode 1
		.amdhsa_fp16_overflow 0
		.amdhsa_tg_split 0
		.amdhsa_exception_fp_ieee_invalid_op 0
		.amdhsa_exception_fp_denorm_src 0
		.amdhsa_exception_fp_ieee_div_zero 0
		.amdhsa_exception_fp_ieee_overflow 0
		.amdhsa_exception_fp_ieee_underflow 0
		.amdhsa_exception_fp_ieee_inexact 0
		.amdhsa_exception_int_div_zero 0
	.end_amdhsa_kernel
	.section	.text._ZN7rocprim17ROCPRIM_400000_NS6detail17trampoline_kernelINS0_14default_configENS1_27scan_by_key_config_selectorIidEEZZNS1_16scan_by_key_implILNS1_25lookback_scan_determinismE0ELb0ES3_N6thrust23THRUST_200600_302600_NS6detail15normal_iteratorINS9_10device_ptrIiEEEENSB_INSC_IdEEEESG_dNS9_4plusIvEENS9_8equal_toIvEEdEE10hipError_tPvRmT2_T3_T4_T5_mT6_T7_P12ihipStream_tbENKUlT_T0_E_clISt17integral_constantIbLb1EES11_EEDaSW_SX_EUlSW_E_NS1_11comp_targetILNS1_3genE5ELNS1_11target_archE942ELNS1_3gpuE9ELNS1_3repE0EEENS1_30default_config_static_selectorELNS0_4arch9wavefront6targetE1EEEvT1_,"axG",@progbits,_ZN7rocprim17ROCPRIM_400000_NS6detail17trampoline_kernelINS0_14default_configENS1_27scan_by_key_config_selectorIidEEZZNS1_16scan_by_key_implILNS1_25lookback_scan_determinismE0ELb0ES3_N6thrust23THRUST_200600_302600_NS6detail15normal_iteratorINS9_10device_ptrIiEEEENSB_INSC_IdEEEESG_dNS9_4plusIvEENS9_8equal_toIvEEdEE10hipError_tPvRmT2_T3_T4_T5_mT6_T7_P12ihipStream_tbENKUlT_T0_E_clISt17integral_constantIbLb1EES11_EEDaSW_SX_EUlSW_E_NS1_11comp_targetILNS1_3genE5ELNS1_11target_archE942ELNS1_3gpuE9ELNS1_3repE0EEENS1_30default_config_static_selectorELNS0_4arch9wavefront6targetE1EEEvT1_,comdat
.Lfunc_end1098:
	.size	_ZN7rocprim17ROCPRIM_400000_NS6detail17trampoline_kernelINS0_14default_configENS1_27scan_by_key_config_selectorIidEEZZNS1_16scan_by_key_implILNS1_25lookback_scan_determinismE0ELb0ES3_N6thrust23THRUST_200600_302600_NS6detail15normal_iteratorINS9_10device_ptrIiEEEENSB_INSC_IdEEEESG_dNS9_4plusIvEENS9_8equal_toIvEEdEE10hipError_tPvRmT2_T3_T4_T5_mT6_T7_P12ihipStream_tbENKUlT_T0_E_clISt17integral_constantIbLb1EES11_EEDaSW_SX_EUlSW_E_NS1_11comp_targetILNS1_3genE5ELNS1_11target_archE942ELNS1_3gpuE9ELNS1_3repE0EEENS1_30default_config_static_selectorELNS0_4arch9wavefront6targetE1EEEvT1_, .Lfunc_end1098-_ZN7rocprim17ROCPRIM_400000_NS6detail17trampoline_kernelINS0_14default_configENS1_27scan_by_key_config_selectorIidEEZZNS1_16scan_by_key_implILNS1_25lookback_scan_determinismE0ELb0ES3_N6thrust23THRUST_200600_302600_NS6detail15normal_iteratorINS9_10device_ptrIiEEEENSB_INSC_IdEEEESG_dNS9_4plusIvEENS9_8equal_toIvEEdEE10hipError_tPvRmT2_T3_T4_T5_mT6_T7_P12ihipStream_tbENKUlT_T0_E_clISt17integral_constantIbLb1EES11_EEDaSW_SX_EUlSW_E_NS1_11comp_targetILNS1_3genE5ELNS1_11target_archE942ELNS1_3gpuE9ELNS1_3repE0EEENS1_30default_config_static_selectorELNS0_4arch9wavefront6targetE1EEEvT1_
                                        ; -- End function
	.section	.AMDGPU.csdata,"",@progbits
; Kernel info:
; codeLenInByte = 17208
; NumSgprs: 106
; NumVgprs: 134
; NumAgprs: 0
; TotalNumVgprs: 134
; ScratchSize: 0
; MemoryBound: 0
; FloatMode: 240
; IeeeMode: 1
; LDSByteSize: 43008 bytes/workgroup (compile time only)
; SGPRBlocks: 13
; VGPRBlocks: 16
; NumSGPRsForWavesPerEU: 106
; NumVGPRsForWavesPerEU: 134
; AccumOffset: 136
; Occupancy: 1
; WaveLimiterHint : 1
; COMPUTE_PGM_RSRC2:SCRATCH_EN: 0
; COMPUTE_PGM_RSRC2:USER_SGPR: 2
; COMPUTE_PGM_RSRC2:TRAP_HANDLER: 0
; COMPUTE_PGM_RSRC2:TGID_X_EN: 1
; COMPUTE_PGM_RSRC2:TGID_Y_EN: 0
; COMPUTE_PGM_RSRC2:TGID_Z_EN: 0
; COMPUTE_PGM_RSRC2:TIDIG_COMP_CNT: 0
; COMPUTE_PGM_RSRC3_GFX90A:ACCUM_OFFSET: 33
; COMPUTE_PGM_RSRC3_GFX90A:TG_SPLIT: 0
	.section	.text._ZN7rocprim17ROCPRIM_400000_NS6detail17trampoline_kernelINS0_14default_configENS1_27scan_by_key_config_selectorIidEEZZNS1_16scan_by_key_implILNS1_25lookback_scan_determinismE0ELb0ES3_N6thrust23THRUST_200600_302600_NS6detail15normal_iteratorINS9_10device_ptrIiEEEENSB_INSC_IdEEEESG_dNS9_4plusIvEENS9_8equal_toIvEEdEE10hipError_tPvRmT2_T3_T4_T5_mT6_T7_P12ihipStream_tbENKUlT_T0_E_clISt17integral_constantIbLb1EES11_EEDaSW_SX_EUlSW_E_NS1_11comp_targetILNS1_3genE4ELNS1_11target_archE910ELNS1_3gpuE8ELNS1_3repE0EEENS1_30default_config_static_selectorELNS0_4arch9wavefront6targetE1EEEvT1_,"axG",@progbits,_ZN7rocprim17ROCPRIM_400000_NS6detail17trampoline_kernelINS0_14default_configENS1_27scan_by_key_config_selectorIidEEZZNS1_16scan_by_key_implILNS1_25lookback_scan_determinismE0ELb0ES3_N6thrust23THRUST_200600_302600_NS6detail15normal_iteratorINS9_10device_ptrIiEEEENSB_INSC_IdEEEESG_dNS9_4plusIvEENS9_8equal_toIvEEdEE10hipError_tPvRmT2_T3_T4_T5_mT6_T7_P12ihipStream_tbENKUlT_T0_E_clISt17integral_constantIbLb1EES11_EEDaSW_SX_EUlSW_E_NS1_11comp_targetILNS1_3genE4ELNS1_11target_archE910ELNS1_3gpuE8ELNS1_3repE0EEENS1_30default_config_static_selectorELNS0_4arch9wavefront6targetE1EEEvT1_,comdat
	.protected	_ZN7rocprim17ROCPRIM_400000_NS6detail17trampoline_kernelINS0_14default_configENS1_27scan_by_key_config_selectorIidEEZZNS1_16scan_by_key_implILNS1_25lookback_scan_determinismE0ELb0ES3_N6thrust23THRUST_200600_302600_NS6detail15normal_iteratorINS9_10device_ptrIiEEEENSB_INSC_IdEEEESG_dNS9_4plusIvEENS9_8equal_toIvEEdEE10hipError_tPvRmT2_T3_T4_T5_mT6_T7_P12ihipStream_tbENKUlT_T0_E_clISt17integral_constantIbLb1EES11_EEDaSW_SX_EUlSW_E_NS1_11comp_targetILNS1_3genE4ELNS1_11target_archE910ELNS1_3gpuE8ELNS1_3repE0EEENS1_30default_config_static_selectorELNS0_4arch9wavefront6targetE1EEEvT1_ ; -- Begin function _ZN7rocprim17ROCPRIM_400000_NS6detail17trampoline_kernelINS0_14default_configENS1_27scan_by_key_config_selectorIidEEZZNS1_16scan_by_key_implILNS1_25lookback_scan_determinismE0ELb0ES3_N6thrust23THRUST_200600_302600_NS6detail15normal_iteratorINS9_10device_ptrIiEEEENSB_INSC_IdEEEESG_dNS9_4plusIvEENS9_8equal_toIvEEdEE10hipError_tPvRmT2_T3_T4_T5_mT6_T7_P12ihipStream_tbENKUlT_T0_E_clISt17integral_constantIbLb1EES11_EEDaSW_SX_EUlSW_E_NS1_11comp_targetILNS1_3genE4ELNS1_11target_archE910ELNS1_3gpuE8ELNS1_3repE0EEENS1_30default_config_static_selectorELNS0_4arch9wavefront6targetE1EEEvT1_
	.globl	_ZN7rocprim17ROCPRIM_400000_NS6detail17trampoline_kernelINS0_14default_configENS1_27scan_by_key_config_selectorIidEEZZNS1_16scan_by_key_implILNS1_25lookback_scan_determinismE0ELb0ES3_N6thrust23THRUST_200600_302600_NS6detail15normal_iteratorINS9_10device_ptrIiEEEENSB_INSC_IdEEEESG_dNS9_4plusIvEENS9_8equal_toIvEEdEE10hipError_tPvRmT2_T3_T4_T5_mT6_T7_P12ihipStream_tbENKUlT_T0_E_clISt17integral_constantIbLb1EES11_EEDaSW_SX_EUlSW_E_NS1_11comp_targetILNS1_3genE4ELNS1_11target_archE910ELNS1_3gpuE8ELNS1_3repE0EEENS1_30default_config_static_selectorELNS0_4arch9wavefront6targetE1EEEvT1_
	.p2align	8
	.type	_ZN7rocprim17ROCPRIM_400000_NS6detail17trampoline_kernelINS0_14default_configENS1_27scan_by_key_config_selectorIidEEZZNS1_16scan_by_key_implILNS1_25lookback_scan_determinismE0ELb0ES3_N6thrust23THRUST_200600_302600_NS6detail15normal_iteratorINS9_10device_ptrIiEEEENSB_INSC_IdEEEESG_dNS9_4plusIvEENS9_8equal_toIvEEdEE10hipError_tPvRmT2_T3_T4_T5_mT6_T7_P12ihipStream_tbENKUlT_T0_E_clISt17integral_constantIbLb1EES11_EEDaSW_SX_EUlSW_E_NS1_11comp_targetILNS1_3genE4ELNS1_11target_archE910ELNS1_3gpuE8ELNS1_3repE0EEENS1_30default_config_static_selectorELNS0_4arch9wavefront6targetE1EEEvT1_,@function
_ZN7rocprim17ROCPRIM_400000_NS6detail17trampoline_kernelINS0_14default_configENS1_27scan_by_key_config_selectorIidEEZZNS1_16scan_by_key_implILNS1_25lookback_scan_determinismE0ELb0ES3_N6thrust23THRUST_200600_302600_NS6detail15normal_iteratorINS9_10device_ptrIiEEEENSB_INSC_IdEEEESG_dNS9_4plusIvEENS9_8equal_toIvEEdEE10hipError_tPvRmT2_T3_T4_T5_mT6_T7_P12ihipStream_tbENKUlT_T0_E_clISt17integral_constantIbLb1EES11_EEDaSW_SX_EUlSW_E_NS1_11comp_targetILNS1_3genE4ELNS1_11target_archE910ELNS1_3gpuE8ELNS1_3repE0EEENS1_30default_config_static_selectorELNS0_4arch9wavefront6targetE1EEEvT1_: ; @_ZN7rocprim17ROCPRIM_400000_NS6detail17trampoline_kernelINS0_14default_configENS1_27scan_by_key_config_selectorIidEEZZNS1_16scan_by_key_implILNS1_25lookback_scan_determinismE0ELb0ES3_N6thrust23THRUST_200600_302600_NS6detail15normal_iteratorINS9_10device_ptrIiEEEENSB_INSC_IdEEEESG_dNS9_4plusIvEENS9_8equal_toIvEEdEE10hipError_tPvRmT2_T3_T4_T5_mT6_T7_P12ihipStream_tbENKUlT_T0_E_clISt17integral_constantIbLb1EES11_EEDaSW_SX_EUlSW_E_NS1_11comp_targetILNS1_3genE4ELNS1_11target_archE910ELNS1_3gpuE8ELNS1_3repE0EEENS1_30default_config_static_selectorELNS0_4arch9wavefront6targetE1EEEvT1_
; %bb.0:
	.section	.rodata,"a",@progbits
	.p2align	6, 0x0
	.amdhsa_kernel _ZN7rocprim17ROCPRIM_400000_NS6detail17trampoline_kernelINS0_14default_configENS1_27scan_by_key_config_selectorIidEEZZNS1_16scan_by_key_implILNS1_25lookback_scan_determinismE0ELb0ES3_N6thrust23THRUST_200600_302600_NS6detail15normal_iteratorINS9_10device_ptrIiEEEENSB_INSC_IdEEEESG_dNS9_4plusIvEENS9_8equal_toIvEEdEE10hipError_tPvRmT2_T3_T4_T5_mT6_T7_P12ihipStream_tbENKUlT_T0_E_clISt17integral_constantIbLb1EES11_EEDaSW_SX_EUlSW_E_NS1_11comp_targetILNS1_3genE4ELNS1_11target_archE910ELNS1_3gpuE8ELNS1_3repE0EEENS1_30default_config_static_selectorELNS0_4arch9wavefront6targetE1EEEvT1_
		.amdhsa_group_segment_fixed_size 0
		.amdhsa_private_segment_fixed_size 0
		.amdhsa_kernarg_size 136
		.amdhsa_user_sgpr_count 2
		.amdhsa_user_sgpr_dispatch_ptr 0
		.amdhsa_user_sgpr_queue_ptr 0
		.amdhsa_user_sgpr_kernarg_segment_ptr 1
		.amdhsa_user_sgpr_dispatch_id 0
		.amdhsa_user_sgpr_kernarg_preload_length 0
		.amdhsa_user_sgpr_kernarg_preload_offset 0
		.amdhsa_user_sgpr_private_segment_size 0
		.amdhsa_uses_dynamic_stack 0
		.amdhsa_enable_private_segment 0
		.amdhsa_system_sgpr_workgroup_id_x 1
		.amdhsa_system_sgpr_workgroup_id_y 0
		.amdhsa_system_sgpr_workgroup_id_z 0
		.amdhsa_system_sgpr_workgroup_info 0
		.amdhsa_system_vgpr_workitem_id 0
		.amdhsa_next_free_vgpr 1
		.amdhsa_next_free_sgpr 0
		.amdhsa_accum_offset 4
		.amdhsa_reserve_vcc 0
		.amdhsa_float_round_mode_32 0
		.amdhsa_float_round_mode_16_64 0
		.amdhsa_float_denorm_mode_32 3
		.amdhsa_float_denorm_mode_16_64 3
		.amdhsa_dx10_clamp 1
		.amdhsa_ieee_mode 1
		.amdhsa_fp16_overflow 0
		.amdhsa_tg_split 0
		.amdhsa_exception_fp_ieee_invalid_op 0
		.amdhsa_exception_fp_denorm_src 0
		.amdhsa_exception_fp_ieee_div_zero 0
		.amdhsa_exception_fp_ieee_overflow 0
		.amdhsa_exception_fp_ieee_underflow 0
		.amdhsa_exception_fp_ieee_inexact 0
		.amdhsa_exception_int_div_zero 0
	.end_amdhsa_kernel
	.section	.text._ZN7rocprim17ROCPRIM_400000_NS6detail17trampoline_kernelINS0_14default_configENS1_27scan_by_key_config_selectorIidEEZZNS1_16scan_by_key_implILNS1_25lookback_scan_determinismE0ELb0ES3_N6thrust23THRUST_200600_302600_NS6detail15normal_iteratorINS9_10device_ptrIiEEEENSB_INSC_IdEEEESG_dNS9_4plusIvEENS9_8equal_toIvEEdEE10hipError_tPvRmT2_T3_T4_T5_mT6_T7_P12ihipStream_tbENKUlT_T0_E_clISt17integral_constantIbLb1EES11_EEDaSW_SX_EUlSW_E_NS1_11comp_targetILNS1_3genE4ELNS1_11target_archE910ELNS1_3gpuE8ELNS1_3repE0EEENS1_30default_config_static_selectorELNS0_4arch9wavefront6targetE1EEEvT1_,"axG",@progbits,_ZN7rocprim17ROCPRIM_400000_NS6detail17trampoline_kernelINS0_14default_configENS1_27scan_by_key_config_selectorIidEEZZNS1_16scan_by_key_implILNS1_25lookback_scan_determinismE0ELb0ES3_N6thrust23THRUST_200600_302600_NS6detail15normal_iteratorINS9_10device_ptrIiEEEENSB_INSC_IdEEEESG_dNS9_4plusIvEENS9_8equal_toIvEEdEE10hipError_tPvRmT2_T3_T4_T5_mT6_T7_P12ihipStream_tbENKUlT_T0_E_clISt17integral_constantIbLb1EES11_EEDaSW_SX_EUlSW_E_NS1_11comp_targetILNS1_3genE4ELNS1_11target_archE910ELNS1_3gpuE8ELNS1_3repE0EEENS1_30default_config_static_selectorELNS0_4arch9wavefront6targetE1EEEvT1_,comdat
.Lfunc_end1099:
	.size	_ZN7rocprim17ROCPRIM_400000_NS6detail17trampoline_kernelINS0_14default_configENS1_27scan_by_key_config_selectorIidEEZZNS1_16scan_by_key_implILNS1_25lookback_scan_determinismE0ELb0ES3_N6thrust23THRUST_200600_302600_NS6detail15normal_iteratorINS9_10device_ptrIiEEEENSB_INSC_IdEEEESG_dNS9_4plusIvEENS9_8equal_toIvEEdEE10hipError_tPvRmT2_T3_T4_T5_mT6_T7_P12ihipStream_tbENKUlT_T0_E_clISt17integral_constantIbLb1EES11_EEDaSW_SX_EUlSW_E_NS1_11comp_targetILNS1_3genE4ELNS1_11target_archE910ELNS1_3gpuE8ELNS1_3repE0EEENS1_30default_config_static_selectorELNS0_4arch9wavefront6targetE1EEEvT1_, .Lfunc_end1099-_ZN7rocprim17ROCPRIM_400000_NS6detail17trampoline_kernelINS0_14default_configENS1_27scan_by_key_config_selectorIidEEZZNS1_16scan_by_key_implILNS1_25lookback_scan_determinismE0ELb0ES3_N6thrust23THRUST_200600_302600_NS6detail15normal_iteratorINS9_10device_ptrIiEEEENSB_INSC_IdEEEESG_dNS9_4plusIvEENS9_8equal_toIvEEdEE10hipError_tPvRmT2_T3_T4_T5_mT6_T7_P12ihipStream_tbENKUlT_T0_E_clISt17integral_constantIbLb1EES11_EEDaSW_SX_EUlSW_E_NS1_11comp_targetILNS1_3genE4ELNS1_11target_archE910ELNS1_3gpuE8ELNS1_3repE0EEENS1_30default_config_static_selectorELNS0_4arch9wavefront6targetE1EEEvT1_
                                        ; -- End function
	.section	.AMDGPU.csdata,"",@progbits
; Kernel info:
; codeLenInByte = 0
; NumSgprs: 6
; NumVgprs: 0
; NumAgprs: 0
; TotalNumVgprs: 0
; ScratchSize: 0
; MemoryBound: 0
; FloatMode: 240
; IeeeMode: 1
; LDSByteSize: 0 bytes/workgroup (compile time only)
; SGPRBlocks: 0
; VGPRBlocks: 0
; NumSGPRsForWavesPerEU: 6
; NumVGPRsForWavesPerEU: 1
; AccumOffset: 4
; Occupancy: 8
; WaveLimiterHint : 0
; COMPUTE_PGM_RSRC2:SCRATCH_EN: 0
; COMPUTE_PGM_RSRC2:USER_SGPR: 2
; COMPUTE_PGM_RSRC2:TRAP_HANDLER: 0
; COMPUTE_PGM_RSRC2:TGID_X_EN: 1
; COMPUTE_PGM_RSRC2:TGID_Y_EN: 0
; COMPUTE_PGM_RSRC2:TGID_Z_EN: 0
; COMPUTE_PGM_RSRC2:TIDIG_COMP_CNT: 0
; COMPUTE_PGM_RSRC3_GFX90A:ACCUM_OFFSET: 0
; COMPUTE_PGM_RSRC3_GFX90A:TG_SPLIT: 0
	.section	.text._ZN7rocprim17ROCPRIM_400000_NS6detail17trampoline_kernelINS0_14default_configENS1_27scan_by_key_config_selectorIidEEZZNS1_16scan_by_key_implILNS1_25lookback_scan_determinismE0ELb0ES3_N6thrust23THRUST_200600_302600_NS6detail15normal_iteratorINS9_10device_ptrIiEEEENSB_INSC_IdEEEESG_dNS9_4plusIvEENS9_8equal_toIvEEdEE10hipError_tPvRmT2_T3_T4_T5_mT6_T7_P12ihipStream_tbENKUlT_T0_E_clISt17integral_constantIbLb1EES11_EEDaSW_SX_EUlSW_E_NS1_11comp_targetILNS1_3genE3ELNS1_11target_archE908ELNS1_3gpuE7ELNS1_3repE0EEENS1_30default_config_static_selectorELNS0_4arch9wavefront6targetE1EEEvT1_,"axG",@progbits,_ZN7rocprim17ROCPRIM_400000_NS6detail17trampoline_kernelINS0_14default_configENS1_27scan_by_key_config_selectorIidEEZZNS1_16scan_by_key_implILNS1_25lookback_scan_determinismE0ELb0ES3_N6thrust23THRUST_200600_302600_NS6detail15normal_iteratorINS9_10device_ptrIiEEEENSB_INSC_IdEEEESG_dNS9_4plusIvEENS9_8equal_toIvEEdEE10hipError_tPvRmT2_T3_T4_T5_mT6_T7_P12ihipStream_tbENKUlT_T0_E_clISt17integral_constantIbLb1EES11_EEDaSW_SX_EUlSW_E_NS1_11comp_targetILNS1_3genE3ELNS1_11target_archE908ELNS1_3gpuE7ELNS1_3repE0EEENS1_30default_config_static_selectorELNS0_4arch9wavefront6targetE1EEEvT1_,comdat
	.protected	_ZN7rocprim17ROCPRIM_400000_NS6detail17trampoline_kernelINS0_14default_configENS1_27scan_by_key_config_selectorIidEEZZNS1_16scan_by_key_implILNS1_25lookback_scan_determinismE0ELb0ES3_N6thrust23THRUST_200600_302600_NS6detail15normal_iteratorINS9_10device_ptrIiEEEENSB_INSC_IdEEEESG_dNS9_4plusIvEENS9_8equal_toIvEEdEE10hipError_tPvRmT2_T3_T4_T5_mT6_T7_P12ihipStream_tbENKUlT_T0_E_clISt17integral_constantIbLb1EES11_EEDaSW_SX_EUlSW_E_NS1_11comp_targetILNS1_3genE3ELNS1_11target_archE908ELNS1_3gpuE7ELNS1_3repE0EEENS1_30default_config_static_selectorELNS0_4arch9wavefront6targetE1EEEvT1_ ; -- Begin function _ZN7rocprim17ROCPRIM_400000_NS6detail17trampoline_kernelINS0_14default_configENS1_27scan_by_key_config_selectorIidEEZZNS1_16scan_by_key_implILNS1_25lookback_scan_determinismE0ELb0ES3_N6thrust23THRUST_200600_302600_NS6detail15normal_iteratorINS9_10device_ptrIiEEEENSB_INSC_IdEEEESG_dNS9_4plusIvEENS9_8equal_toIvEEdEE10hipError_tPvRmT2_T3_T4_T5_mT6_T7_P12ihipStream_tbENKUlT_T0_E_clISt17integral_constantIbLb1EES11_EEDaSW_SX_EUlSW_E_NS1_11comp_targetILNS1_3genE3ELNS1_11target_archE908ELNS1_3gpuE7ELNS1_3repE0EEENS1_30default_config_static_selectorELNS0_4arch9wavefront6targetE1EEEvT1_
	.globl	_ZN7rocprim17ROCPRIM_400000_NS6detail17trampoline_kernelINS0_14default_configENS1_27scan_by_key_config_selectorIidEEZZNS1_16scan_by_key_implILNS1_25lookback_scan_determinismE0ELb0ES3_N6thrust23THRUST_200600_302600_NS6detail15normal_iteratorINS9_10device_ptrIiEEEENSB_INSC_IdEEEESG_dNS9_4plusIvEENS9_8equal_toIvEEdEE10hipError_tPvRmT2_T3_T4_T5_mT6_T7_P12ihipStream_tbENKUlT_T0_E_clISt17integral_constantIbLb1EES11_EEDaSW_SX_EUlSW_E_NS1_11comp_targetILNS1_3genE3ELNS1_11target_archE908ELNS1_3gpuE7ELNS1_3repE0EEENS1_30default_config_static_selectorELNS0_4arch9wavefront6targetE1EEEvT1_
	.p2align	8
	.type	_ZN7rocprim17ROCPRIM_400000_NS6detail17trampoline_kernelINS0_14default_configENS1_27scan_by_key_config_selectorIidEEZZNS1_16scan_by_key_implILNS1_25lookback_scan_determinismE0ELb0ES3_N6thrust23THRUST_200600_302600_NS6detail15normal_iteratorINS9_10device_ptrIiEEEENSB_INSC_IdEEEESG_dNS9_4plusIvEENS9_8equal_toIvEEdEE10hipError_tPvRmT2_T3_T4_T5_mT6_T7_P12ihipStream_tbENKUlT_T0_E_clISt17integral_constantIbLb1EES11_EEDaSW_SX_EUlSW_E_NS1_11comp_targetILNS1_3genE3ELNS1_11target_archE908ELNS1_3gpuE7ELNS1_3repE0EEENS1_30default_config_static_selectorELNS0_4arch9wavefront6targetE1EEEvT1_,@function
_ZN7rocprim17ROCPRIM_400000_NS6detail17trampoline_kernelINS0_14default_configENS1_27scan_by_key_config_selectorIidEEZZNS1_16scan_by_key_implILNS1_25lookback_scan_determinismE0ELb0ES3_N6thrust23THRUST_200600_302600_NS6detail15normal_iteratorINS9_10device_ptrIiEEEENSB_INSC_IdEEEESG_dNS9_4plusIvEENS9_8equal_toIvEEdEE10hipError_tPvRmT2_T3_T4_T5_mT6_T7_P12ihipStream_tbENKUlT_T0_E_clISt17integral_constantIbLb1EES11_EEDaSW_SX_EUlSW_E_NS1_11comp_targetILNS1_3genE3ELNS1_11target_archE908ELNS1_3gpuE7ELNS1_3repE0EEENS1_30default_config_static_selectorELNS0_4arch9wavefront6targetE1EEEvT1_: ; @_ZN7rocprim17ROCPRIM_400000_NS6detail17trampoline_kernelINS0_14default_configENS1_27scan_by_key_config_selectorIidEEZZNS1_16scan_by_key_implILNS1_25lookback_scan_determinismE0ELb0ES3_N6thrust23THRUST_200600_302600_NS6detail15normal_iteratorINS9_10device_ptrIiEEEENSB_INSC_IdEEEESG_dNS9_4plusIvEENS9_8equal_toIvEEdEE10hipError_tPvRmT2_T3_T4_T5_mT6_T7_P12ihipStream_tbENKUlT_T0_E_clISt17integral_constantIbLb1EES11_EEDaSW_SX_EUlSW_E_NS1_11comp_targetILNS1_3genE3ELNS1_11target_archE908ELNS1_3gpuE7ELNS1_3repE0EEENS1_30default_config_static_selectorELNS0_4arch9wavefront6targetE1EEEvT1_
; %bb.0:
	.section	.rodata,"a",@progbits
	.p2align	6, 0x0
	.amdhsa_kernel _ZN7rocprim17ROCPRIM_400000_NS6detail17trampoline_kernelINS0_14default_configENS1_27scan_by_key_config_selectorIidEEZZNS1_16scan_by_key_implILNS1_25lookback_scan_determinismE0ELb0ES3_N6thrust23THRUST_200600_302600_NS6detail15normal_iteratorINS9_10device_ptrIiEEEENSB_INSC_IdEEEESG_dNS9_4plusIvEENS9_8equal_toIvEEdEE10hipError_tPvRmT2_T3_T4_T5_mT6_T7_P12ihipStream_tbENKUlT_T0_E_clISt17integral_constantIbLb1EES11_EEDaSW_SX_EUlSW_E_NS1_11comp_targetILNS1_3genE3ELNS1_11target_archE908ELNS1_3gpuE7ELNS1_3repE0EEENS1_30default_config_static_selectorELNS0_4arch9wavefront6targetE1EEEvT1_
		.amdhsa_group_segment_fixed_size 0
		.amdhsa_private_segment_fixed_size 0
		.amdhsa_kernarg_size 136
		.amdhsa_user_sgpr_count 2
		.amdhsa_user_sgpr_dispatch_ptr 0
		.amdhsa_user_sgpr_queue_ptr 0
		.amdhsa_user_sgpr_kernarg_segment_ptr 1
		.amdhsa_user_sgpr_dispatch_id 0
		.amdhsa_user_sgpr_kernarg_preload_length 0
		.amdhsa_user_sgpr_kernarg_preload_offset 0
		.amdhsa_user_sgpr_private_segment_size 0
		.amdhsa_uses_dynamic_stack 0
		.amdhsa_enable_private_segment 0
		.amdhsa_system_sgpr_workgroup_id_x 1
		.amdhsa_system_sgpr_workgroup_id_y 0
		.amdhsa_system_sgpr_workgroup_id_z 0
		.amdhsa_system_sgpr_workgroup_info 0
		.amdhsa_system_vgpr_workitem_id 0
		.amdhsa_next_free_vgpr 1
		.amdhsa_next_free_sgpr 0
		.amdhsa_accum_offset 4
		.amdhsa_reserve_vcc 0
		.amdhsa_float_round_mode_32 0
		.amdhsa_float_round_mode_16_64 0
		.amdhsa_float_denorm_mode_32 3
		.amdhsa_float_denorm_mode_16_64 3
		.amdhsa_dx10_clamp 1
		.amdhsa_ieee_mode 1
		.amdhsa_fp16_overflow 0
		.amdhsa_tg_split 0
		.amdhsa_exception_fp_ieee_invalid_op 0
		.amdhsa_exception_fp_denorm_src 0
		.amdhsa_exception_fp_ieee_div_zero 0
		.amdhsa_exception_fp_ieee_overflow 0
		.amdhsa_exception_fp_ieee_underflow 0
		.amdhsa_exception_fp_ieee_inexact 0
		.amdhsa_exception_int_div_zero 0
	.end_amdhsa_kernel
	.section	.text._ZN7rocprim17ROCPRIM_400000_NS6detail17trampoline_kernelINS0_14default_configENS1_27scan_by_key_config_selectorIidEEZZNS1_16scan_by_key_implILNS1_25lookback_scan_determinismE0ELb0ES3_N6thrust23THRUST_200600_302600_NS6detail15normal_iteratorINS9_10device_ptrIiEEEENSB_INSC_IdEEEESG_dNS9_4plusIvEENS9_8equal_toIvEEdEE10hipError_tPvRmT2_T3_T4_T5_mT6_T7_P12ihipStream_tbENKUlT_T0_E_clISt17integral_constantIbLb1EES11_EEDaSW_SX_EUlSW_E_NS1_11comp_targetILNS1_3genE3ELNS1_11target_archE908ELNS1_3gpuE7ELNS1_3repE0EEENS1_30default_config_static_selectorELNS0_4arch9wavefront6targetE1EEEvT1_,"axG",@progbits,_ZN7rocprim17ROCPRIM_400000_NS6detail17trampoline_kernelINS0_14default_configENS1_27scan_by_key_config_selectorIidEEZZNS1_16scan_by_key_implILNS1_25lookback_scan_determinismE0ELb0ES3_N6thrust23THRUST_200600_302600_NS6detail15normal_iteratorINS9_10device_ptrIiEEEENSB_INSC_IdEEEESG_dNS9_4plusIvEENS9_8equal_toIvEEdEE10hipError_tPvRmT2_T3_T4_T5_mT6_T7_P12ihipStream_tbENKUlT_T0_E_clISt17integral_constantIbLb1EES11_EEDaSW_SX_EUlSW_E_NS1_11comp_targetILNS1_3genE3ELNS1_11target_archE908ELNS1_3gpuE7ELNS1_3repE0EEENS1_30default_config_static_selectorELNS0_4arch9wavefront6targetE1EEEvT1_,comdat
.Lfunc_end1100:
	.size	_ZN7rocprim17ROCPRIM_400000_NS6detail17trampoline_kernelINS0_14default_configENS1_27scan_by_key_config_selectorIidEEZZNS1_16scan_by_key_implILNS1_25lookback_scan_determinismE0ELb0ES3_N6thrust23THRUST_200600_302600_NS6detail15normal_iteratorINS9_10device_ptrIiEEEENSB_INSC_IdEEEESG_dNS9_4plusIvEENS9_8equal_toIvEEdEE10hipError_tPvRmT2_T3_T4_T5_mT6_T7_P12ihipStream_tbENKUlT_T0_E_clISt17integral_constantIbLb1EES11_EEDaSW_SX_EUlSW_E_NS1_11comp_targetILNS1_3genE3ELNS1_11target_archE908ELNS1_3gpuE7ELNS1_3repE0EEENS1_30default_config_static_selectorELNS0_4arch9wavefront6targetE1EEEvT1_, .Lfunc_end1100-_ZN7rocprim17ROCPRIM_400000_NS6detail17trampoline_kernelINS0_14default_configENS1_27scan_by_key_config_selectorIidEEZZNS1_16scan_by_key_implILNS1_25lookback_scan_determinismE0ELb0ES3_N6thrust23THRUST_200600_302600_NS6detail15normal_iteratorINS9_10device_ptrIiEEEENSB_INSC_IdEEEESG_dNS9_4plusIvEENS9_8equal_toIvEEdEE10hipError_tPvRmT2_T3_T4_T5_mT6_T7_P12ihipStream_tbENKUlT_T0_E_clISt17integral_constantIbLb1EES11_EEDaSW_SX_EUlSW_E_NS1_11comp_targetILNS1_3genE3ELNS1_11target_archE908ELNS1_3gpuE7ELNS1_3repE0EEENS1_30default_config_static_selectorELNS0_4arch9wavefront6targetE1EEEvT1_
                                        ; -- End function
	.section	.AMDGPU.csdata,"",@progbits
; Kernel info:
; codeLenInByte = 0
; NumSgprs: 6
; NumVgprs: 0
; NumAgprs: 0
; TotalNumVgprs: 0
; ScratchSize: 0
; MemoryBound: 0
; FloatMode: 240
; IeeeMode: 1
; LDSByteSize: 0 bytes/workgroup (compile time only)
; SGPRBlocks: 0
; VGPRBlocks: 0
; NumSGPRsForWavesPerEU: 6
; NumVGPRsForWavesPerEU: 1
; AccumOffset: 4
; Occupancy: 8
; WaveLimiterHint : 0
; COMPUTE_PGM_RSRC2:SCRATCH_EN: 0
; COMPUTE_PGM_RSRC2:USER_SGPR: 2
; COMPUTE_PGM_RSRC2:TRAP_HANDLER: 0
; COMPUTE_PGM_RSRC2:TGID_X_EN: 1
; COMPUTE_PGM_RSRC2:TGID_Y_EN: 0
; COMPUTE_PGM_RSRC2:TGID_Z_EN: 0
; COMPUTE_PGM_RSRC2:TIDIG_COMP_CNT: 0
; COMPUTE_PGM_RSRC3_GFX90A:ACCUM_OFFSET: 0
; COMPUTE_PGM_RSRC3_GFX90A:TG_SPLIT: 0
	.section	.text._ZN7rocprim17ROCPRIM_400000_NS6detail17trampoline_kernelINS0_14default_configENS1_27scan_by_key_config_selectorIidEEZZNS1_16scan_by_key_implILNS1_25lookback_scan_determinismE0ELb0ES3_N6thrust23THRUST_200600_302600_NS6detail15normal_iteratorINS9_10device_ptrIiEEEENSB_INSC_IdEEEESG_dNS9_4plusIvEENS9_8equal_toIvEEdEE10hipError_tPvRmT2_T3_T4_T5_mT6_T7_P12ihipStream_tbENKUlT_T0_E_clISt17integral_constantIbLb1EES11_EEDaSW_SX_EUlSW_E_NS1_11comp_targetILNS1_3genE2ELNS1_11target_archE906ELNS1_3gpuE6ELNS1_3repE0EEENS1_30default_config_static_selectorELNS0_4arch9wavefront6targetE1EEEvT1_,"axG",@progbits,_ZN7rocprim17ROCPRIM_400000_NS6detail17trampoline_kernelINS0_14default_configENS1_27scan_by_key_config_selectorIidEEZZNS1_16scan_by_key_implILNS1_25lookback_scan_determinismE0ELb0ES3_N6thrust23THRUST_200600_302600_NS6detail15normal_iteratorINS9_10device_ptrIiEEEENSB_INSC_IdEEEESG_dNS9_4plusIvEENS9_8equal_toIvEEdEE10hipError_tPvRmT2_T3_T4_T5_mT6_T7_P12ihipStream_tbENKUlT_T0_E_clISt17integral_constantIbLb1EES11_EEDaSW_SX_EUlSW_E_NS1_11comp_targetILNS1_3genE2ELNS1_11target_archE906ELNS1_3gpuE6ELNS1_3repE0EEENS1_30default_config_static_selectorELNS0_4arch9wavefront6targetE1EEEvT1_,comdat
	.protected	_ZN7rocprim17ROCPRIM_400000_NS6detail17trampoline_kernelINS0_14default_configENS1_27scan_by_key_config_selectorIidEEZZNS1_16scan_by_key_implILNS1_25lookback_scan_determinismE0ELb0ES3_N6thrust23THRUST_200600_302600_NS6detail15normal_iteratorINS9_10device_ptrIiEEEENSB_INSC_IdEEEESG_dNS9_4plusIvEENS9_8equal_toIvEEdEE10hipError_tPvRmT2_T3_T4_T5_mT6_T7_P12ihipStream_tbENKUlT_T0_E_clISt17integral_constantIbLb1EES11_EEDaSW_SX_EUlSW_E_NS1_11comp_targetILNS1_3genE2ELNS1_11target_archE906ELNS1_3gpuE6ELNS1_3repE0EEENS1_30default_config_static_selectorELNS0_4arch9wavefront6targetE1EEEvT1_ ; -- Begin function _ZN7rocprim17ROCPRIM_400000_NS6detail17trampoline_kernelINS0_14default_configENS1_27scan_by_key_config_selectorIidEEZZNS1_16scan_by_key_implILNS1_25lookback_scan_determinismE0ELb0ES3_N6thrust23THRUST_200600_302600_NS6detail15normal_iteratorINS9_10device_ptrIiEEEENSB_INSC_IdEEEESG_dNS9_4plusIvEENS9_8equal_toIvEEdEE10hipError_tPvRmT2_T3_T4_T5_mT6_T7_P12ihipStream_tbENKUlT_T0_E_clISt17integral_constantIbLb1EES11_EEDaSW_SX_EUlSW_E_NS1_11comp_targetILNS1_3genE2ELNS1_11target_archE906ELNS1_3gpuE6ELNS1_3repE0EEENS1_30default_config_static_selectorELNS0_4arch9wavefront6targetE1EEEvT1_
	.globl	_ZN7rocprim17ROCPRIM_400000_NS6detail17trampoline_kernelINS0_14default_configENS1_27scan_by_key_config_selectorIidEEZZNS1_16scan_by_key_implILNS1_25lookback_scan_determinismE0ELb0ES3_N6thrust23THRUST_200600_302600_NS6detail15normal_iteratorINS9_10device_ptrIiEEEENSB_INSC_IdEEEESG_dNS9_4plusIvEENS9_8equal_toIvEEdEE10hipError_tPvRmT2_T3_T4_T5_mT6_T7_P12ihipStream_tbENKUlT_T0_E_clISt17integral_constantIbLb1EES11_EEDaSW_SX_EUlSW_E_NS1_11comp_targetILNS1_3genE2ELNS1_11target_archE906ELNS1_3gpuE6ELNS1_3repE0EEENS1_30default_config_static_selectorELNS0_4arch9wavefront6targetE1EEEvT1_
	.p2align	8
	.type	_ZN7rocprim17ROCPRIM_400000_NS6detail17trampoline_kernelINS0_14default_configENS1_27scan_by_key_config_selectorIidEEZZNS1_16scan_by_key_implILNS1_25lookback_scan_determinismE0ELb0ES3_N6thrust23THRUST_200600_302600_NS6detail15normal_iteratorINS9_10device_ptrIiEEEENSB_INSC_IdEEEESG_dNS9_4plusIvEENS9_8equal_toIvEEdEE10hipError_tPvRmT2_T3_T4_T5_mT6_T7_P12ihipStream_tbENKUlT_T0_E_clISt17integral_constantIbLb1EES11_EEDaSW_SX_EUlSW_E_NS1_11comp_targetILNS1_3genE2ELNS1_11target_archE906ELNS1_3gpuE6ELNS1_3repE0EEENS1_30default_config_static_selectorELNS0_4arch9wavefront6targetE1EEEvT1_,@function
_ZN7rocprim17ROCPRIM_400000_NS6detail17trampoline_kernelINS0_14default_configENS1_27scan_by_key_config_selectorIidEEZZNS1_16scan_by_key_implILNS1_25lookback_scan_determinismE0ELb0ES3_N6thrust23THRUST_200600_302600_NS6detail15normal_iteratorINS9_10device_ptrIiEEEENSB_INSC_IdEEEESG_dNS9_4plusIvEENS9_8equal_toIvEEdEE10hipError_tPvRmT2_T3_T4_T5_mT6_T7_P12ihipStream_tbENKUlT_T0_E_clISt17integral_constantIbLb1EES11_EEDaSW_SX_EUlSW_E_NS1_11comp_targetILNS1_3genE2ELNS1_11target_archE906ELNS1_3gpuE6ELNS1_3repE0EEENS1_30default_config_static_selectorELNS0_4arch9wavefront6targetE1EEEvT1_: ; @_ZN7rocprim17ROCPRIM_400000_NS6detail17trampoline_kernelINS0_14default_configENS1_27scan_by_key_config_selectorIidEEZZNS1_16scan_by_key_implILNS1_25lookback_scan_determinismE0ELb0ES3_N6thrust23THRUST_200600_302600_NS6detail15normal_iteratorINS9_10device_ptrIiEEEENSB_INSC_IdEEEESG_dNS9_4plusIvEENS9_8equal_toIvEEdEE10hipError_tPvRmT2_T3_T4_T5_mT6_T7_P12ihipStream_tbENKUlT_T0_E_clISt17integral_constantIbLb1EES11_EEDaSW_SX_EUlSW_E_NS1_11comp_targetILNS1_3genE2ELNS1_11target_archE906ELNS1_3gpuE6ELNS1_3repE0EEENS1_30default_config_static_selectorELNS0_4arch9wavefront6targetE1EEEvT1_
; %bb.0:
	.section	.rodata,"a",@progbits
	.p2align	6, 0x0
	.amdhsa_kernel _ZN7rocprim17ROCPRIM_400000_NS6detail17trampoline_kernelINS0_14default_configENS1_27scan_by_key_config_selectorIidEEZZNS1_16scan_by_key_implILNS1_25lookback_scan_determinismE0ELb0ES3_N6thrust23THRUST_200600_302600_NS6detail15normal_iteratorINS9_10device_ptrIiEEEENSB_INSC_IdEEEESG_dNS9_4plusIvEENS9_8equal_toIvEEdEE10hipError_tPvRmT2_T3_T4_T5_mT6_T7_P12ihipStream_tbENKUlT_T0_E_clISt17integral_constantIbLb1EES11_EEDaSW_SX_EUlSW_E_NS1_11comp_targetILNS1_3genE2ELNS1_11target_archE906ELNS1_3gpuE6ELNS1_3repE0EEENS1_30default_config_static_selectorELNS0_4arch9wavefront6targetE1EEEvT1_
		.amdhsa_group_segment_fixed_size 0
		.amdhsa_private_segment_fixed_size 0
		.amdhsa_kernarg_size 136
		.amdhsa_user_sgpr_count 2
		.amdhsa_user_sgpr_dispatch_ptr 0
		.amdhsa_user_sgpr_queue_ptr 0
		.amdhsa_user_sgpr_kernarg_segment_ptr 1
		.amdhsa_user_sgpr_dispatch_id 0
		.amdhsa_user_sgpr_kernarg_preload_length 0
		.amdhsa_user_sgpr_kernarg_preload_offset 0
		.amdhsa_user_sgpr_private_segment_size 0
		.amdhsa_uses_dynamic_stack 0
		.amdhsa_enable_private_segment 0
		.amdhsa_system_sgpr_workgroup_id_x 1
		.amdhsa_system_sgpr_workgroup_id_y 0
		.amdhsa_system_sgpr_workgroup_id_z 0
		.amdhsa_system_sgpr_workgroup_info 0
		.amdhsa_system_vgpr_workitem_id 0
		.amdhsa_next_free_vgpr 1
		.amdhsa_next_free_sgpr 0
		.amdhsa_accum_offset 4
		.amdhsa_reserve_vcc 0
		.amdhsa_float_round_mode_32 0
		.amdhsa_float_round_mode_16_64 0
		.amdhsa_float_denorm_mode_32 3
		.amdhsa_float_denorm_mode_16_64 3
		.amdhsa_dx10_clamp 1
		.amdhsa_ieee_mode 1
		.amdhsa_fp16_overflow 0
		.amdhsa_tg_split 0
		.amdhsa_exception_fp_ieee_invalid_op 0
		.amdhsa_exception_fp_denorm_src 0
		.amdhsa_exception_fp_ieee_div_zero 0
		.amdhsa_exception_fp_ieee_overflow 0
		.amdhsa_exception_fp_ieee_underflow 0
		.amdhsa_exception_fp_ieee_inexact 0
		.amdhsa_exception_int_div_zero 0
	.end_amdhsa_kernel
	.section	.text._ZN7rocprim17ROCPRIM_400000_NS6detail17trampoline_kernelINS0_14default_configENS1_27scan_by_key_config_selectorIidEEZZNS1_16scan_by_key_implILNS1_25lookback_scan_determinismE0ELb0ES3_N6thrust23THRUST_200600_302600_NS6detail15normal_iteratorINS9_10device_ptrIiEEEENSB_INSC_IdEEEESG_dNS9_4plusIvEENS9_8equal_toIvEEdEE10hipError_tPvRmT2_T3_T4_T5_mT6_T7_P12ihipStream_tbENKUlT_T0_E_clISt17integral_constantIbLb1EES11_EEDaSW_SX_EUlSW_E_NS1_11comp_targetILNS1_3genE2ELNS1_11target_archE906ELNS1_3gpuE6ELNS1_3repE0EEENS1_30default_config_static_selectorELNS0_4arch9wavefront6targetE1EEEvT1_,"axG",@progbits,_ZN7rocprim17ROCPRIM_400000_NS6detail17trampoline_kernelINS0_14default_configENS1_27scan_by_key_config_selectorIidEEZZNS1_16scan_by_key_implILNS1_25lookback_scan_determinismE0ELb0ES3_N6thrust23THRUST_200600_302600_NS6detail15normal_iteratorINS9_10device_ptrIiEEEENSB_INSC_IdEEEESG_dNS9_4plusIvEENS9_8equal_toIvEEdEE10hipError_tPvRmT2_T3_T4_T5_mT6_T7_P12ihipStream_tbENKUlT_T0_E_clISt17integral_constantIbLb1EES11_EEDaSW_SX_EUlSW_E_NS1_11comp_targetILNS1_3genE2ELNS1_11target_archE906ELNS1_3gpuE6ELNS1_3repE0EEENS1_30default_config_static_selectorELNS0_4arch9wavefront6targetE1EEEvT1_,comdat
.Lfunc_end1101:
	.size	_ZN7rocprim17ROCPRIM_400000_NS6detail17trampoline_kernelINS0_14default_configENS1_27scan_by_key_config_selectorIidEEZZNS1_16scan_by_key_implILNS1_25lookback_scan_determinismE0ELb0ES3_N6thrust23THRUST_200600_302600_NS6detail15normal_iteratorINS9_10device_ptrIiEEEENSB_INSC_IdEEEESG_dNS9_4plusIvEENS9_8equal_toIvEEdEE10hipError_tPvRmT2_T3_T4_T5_mT6_T7_P12ihipStream_tbENKUlT_T0_E_clISt17integral_constantIbLb1EES11_EEDaSW_SX_EUlSW_E_NS1_11comp_targetILNS1_3genE2ELNS1_11target_archE906ELNS1_3gpuE6ELNS1_3repE0EEENS1_30default_config_static_selectorELNS0_4arch9wavefront6targetE1EEEvT1_, .Lfunc_end1101-_ZN7rocprim17ROCPRIM_400000_NS6detail17trampoline_kernelINS0_14default_configENS1_27scan_by_key_config_selectorIidEEZZNS1_16scan_by_key_implILNS1_25lookback_scan_determinismE0ELb0ES3_N6thrust23THRUST_200600_302600_NS6detail15normal_iteratorINS9_10device_ptrIiEEEENSB_INSC_IdEEEESG_dNS9_4plusIvEENS9_8equal_toIvEEdEE10hipError_tPvRmT2_T3_T4_T5_mT6_T7_P12ihipStream_tbENKUlT_T0_E_clISt17integral_constantIbLb1EES11_EEDaSW_SX_EUlSW_E_NS1_11comp_targetILNS1_3genE2ELNS1_11target_archE906ELNS1_3gpuE6ELNS1_3repE0EEENS1_30default_config_static_selectorELNS0_4arch9wavefront6targetE1EEEvT1_
                                        ; -- End function
	.section	.AMDGPU.csdata,"",@progbits
; Kernel info:
; codeLenInByte = 0
; NumSgprs: 6
; NumVgprs: 0
; NumAgprs: 0
; TotalNumVgprs: 0
; ScratchSize: 0
; MemoryBound: 0
; FloatMode: 240
; IeeeMode: 1
; LDSByteSize: 0 bytes/workgroup (compile time only)
; SGPRBlocks: 0
; VGPRBlocks: 0
; NumSGPRsForWavesPerEU: 6
; NumVGPRsForWavesPerEU: 1
; AccumOffset: 4
; Occupancy: 8
; WaveLimiterHint : 0
; COMPUTE_PGM_RSRC2:SCRATCH_EN: 0
; COMPUTE_PGM_RSRC2:USER_SGPR: 2
; COMPUTE_PGM_RSRC2:TRAP_HANDLER: 0
; COMPUTE_PGM_RSRC2:TGID_X_EN: 1
; COMPUTE_PGM_RSRC2:TGID_Y_EN: 0
; COMPUTE_PGM_RSRC2:TGID_Z_EN: 0
; COMPUTE_PGM_RSRC2:TIDIG_COMP_CNT: 0
; COMPUTE_PGM_RSRC3_GFX90A:ACCUM_OFFSET: 0
; COMPUTE_PGM_RSRC3_GFX90A:TG_SPLIT: 0
	.section	.text._ZN7rocprim17ROCPRIM_400000_NS6detail17trampoline_kernelINS0_14default_configENS1_27scan_by_key_config_selectorIidEEZZNS1_16scan_by_key_implILNS1_25lookback_scan_determinismE0ELb0ES3_N6thrust23THRUST_200600_302600_NS6detail15normal_iteratorINS9_10device_ptrIiEEEENSB_INSC_IdEEEESG_dNS9_4plusIvEENS9_8equal_toIvEEdEE10hipError_tPvRmT2_T3_T4_T5_mT6_T7_P12ihipStream_tbENKUlT_T0_E_clISt17integral_constantIbLb1EES11_EEDaSW_SX_EUlSW_E_NS1_11comp_targetILNS1_3genE10ELNS1_11target_archE1200ELNS1_3gpuE4ELNS1_3repE0EEENS1_30default_config_static_selectorELNS0_4arch9wavefront6targetE1EEEvT1_,"axG",@progbits,_ZN7rocprim17ROCPRIM_400000_NS6detail17trampoline_kernelINS0_14default_configENS1_27scan_by_key_config_selectorIidEEZZNS1_16scan_by_key_implILNS1_25lookback_scan_determinismE0ELb0ES3_N6thrust23THRUST_200600_302600_NS6detail15normal_iteratorINS9_10device_ptrIiEEEENSB_INSC_IdEEEESG_dNS9_4plusIvEENS9_8equal_toIvEEdEE10hipError_tPvRmT2_T3_T4_T5_mT6_T7_P12ihipStream_tbENKUlT_T0_E_clISt17integral_constantIbLb1EES11_EEDaSW_SX_EUlSW_E_NS1_11comp_targetILNS1_3genE10ELNS1_11target_archE1200ELNS1_3gpuE4ELNS1_3repE0EEENS1_30default_config_static_selectorELNS0_4arch9wavefront6targetE1EEEvT1_,comdat
	.protected	_ZN7rocprim17ROCPRIM_400000_NS6detail17trampoline_kernelINS0_14default_configENS1_27scan_by_key_config_selectorIidEEZZNS1_16scan_by_key_implILNS1_25lookback_scan_determinismE0ELb0ES3_N6thrust23THRUST_200600_302600_NS6detail15normal_iteratorINS9_10device_ptrIiEEEENSB_INSC_IdEEEESG_dNS9_4plusIvEENS9_8equal_toIvEEdEE10hipError_tPvRmT2_T3_T4_T5_mT6_T7_P12ihipStream_tbENKUlT_T0_E_clISt17integral_constantIbLb1EES11_EEDaSW_SX_EUlSW_E_NS1_11comp_targetILNS1_3genE10ELNS1_11target_archE1200ELNS1_3gpuE4ELNS1_3repE0EEENS1_30default_config_static_selectorELNS0_4arch9wavefront6targetE1EEEvT1_ ; -- Begin function _ZN7rocprim17ROCPRIM_400000_NS6detail17trampoline_kernelINS0_14default_configENS1_27scan_by_key_config_selectorIidEEZZNS1_16scan_by_key_implILNS1_25lookback_scan_determinismE0ELb0ES3_N6thrust23THRUST_200600_302600_NS6detail15normal_iteratorINS9_10device_ptrIiEEEENSB_INSC_IdEEEESG_dNS9_4plusIvEENS9_8equal_toIvEEdEE10hipError_tPvRmT2_T3_T4_T5_mT6_T7_P12ihipStream_tbENKUlT_T0_E_clISt17integral_constantIbLb1EES11_EEDaSW_SX_EUlSW_E_NS1_11comp_targetILNS1_3genE10ELNS1_11target_archE1200ELNS1_3gpuE4ELNS1_3repE0EEENS1_30default_config_static_selectorELNS0_4arch9wavefront6targetE1EEEvT1_
	.globl	_ZN7rocprim17ROCPRIM_400000_NS6detail17trampoline_kernelINS0_14default_configENS1_27scan_by_key_config_selectorIidEEZZNS1_16scan_by_key_implILNS1_25lookback_scan_determinismE0ELb0ES3_N6thrust23THRUST_200600_302600_NS6detail15normal_iteratorINS9_10device_ptrIiEEEENSB_INSC_IdEEEESG_dNS9_4plusIvEENS9_8equal_toIvEEdEE10hipError_tPvRmT2_T3_T4_T5_mT6_T7_P12ihipStream_tbENKUlT_T0_E_clISt17integral_constantIbLb1EES11_EEDaSW_SX_EUlSW_E_NS1_11comp_targetILNS1_3genE10ELNS1_11target_archE1200ELNS1_3gpuE4ELNS1_3repE0EEENS1_30default_config_static_selectorELNS0_4arch9wavefront6targetE1EEEvT1_
	.p2align	8
	.type	_ZN7rocprim17ROCPRIM_400000_NS6detail17trampoline_kernelINS0_14default_configENS1_27scan_by_key_config_selectorIidEEZZNS1_16scan_by_key_implILNS1_25lookback_scan_determinismE0ELb0ES3_N6thrust23THRUST_200600_302600_NS6detail15normal_iteratorINS9_10device_ptrIiEEEENSB_INSC_IdEEEESG_dNS9_4plusIvEENS9_8equal_toIvEEdEE10hipError_tPvRmT2_T3_T4_T5_mT6_T7_P12ihipStream_tbENKUlT_T0_E_clISt17integral_constantIbLb1EES11_EEDaSW_SX_EUlSW_E_NS1_11comp_targetILNS1_3genE10ELNS1_11target_archE1200ELNS1_3gpuE4ELNS1_3repE0EEENS1_30default_config_static_selectorELNS0_4arch9wavefront6targetE1EEEvT1_,@function
_ZN7rocprim17ROCPRIM_400000_NS6detail17trampoline_kernelINS0_14default_configENS1_27scan_by_key_config_selectorIidEEZZNS1_16scan_by_key_implILNS1_25lookback_scan_determinismE0ELb0ES3_N6thrust23THRUST_200600_302600_NS6detail15normal_iteratorINS9_10device_ptrIiEEEENSB_INSC_IdEEEESG_dNS9_4plusIvEENS9_8equal_toIvEEdEE10hipError_tPvRmT2_T3_T4_T5_mT6_T7_P12ihipStream_tbENKUlT_T0_E_clISt17integral_constantIbLb1EES11_EEDaSW_SX_EUlSW_E_NS1_11comp_targetILNS1_3genE10ELNS1_11target_archE1200ELNS1_3gpuE4ELNS1_3repE0EEENS1_30default_config_static_selectorELNS0_4arch9wavefront6targetE1EEEvT1_: ; @_ZN7rocprim17ROCPRIM_400000_NS6detail17trampoline_kernelINS0_14default_configENS1_27scan_by_key_config_selectorIidEEZZNS1_16scan_by_key_implILNS1_25lookback_scan_determinismE0ELb0ES3_N6thrust23THRUST_200600_302600_NS6detail15normal_iteratorINS9_10device_ptrIiEEEENSB_INSC_IdEEEESG_dNS9_4plusIvEENS9_8equal_toIvEEdEE10hipError_tPvRmT2_T3_T4_T5_mT6_T7_P12ihipStream_tbENKUlT_T0_E_clISt17integral_constantIbLb1EES11_EEDaSW_SX_EUlSW_E_NS1_11comp_targetILNS1_3genE10ELNS1_11target_archE1200ELNS1_3gpuE4ELNS1_3repE0EEENS1_30default_config_static_selectorELNS0_4arch9wavefront6targetE1EEEvT1_
; %bb.0:
	.section	.rodata,"a",@progbits
	.p2align	6, 0x0
	.amdhsa_kernel _ZN7rocprim17ROCPRIM_400000_NS6detail17trampoline_kernelINS0_14default_configENS1_27scan_by_key_config_selectorIidEEZZNS1_16scan_by_key_implILNS1_25lookback_scan_determinismE0ELb0ES3_N6thrust23THRUST_200600_302600_NS6detail15normal_iteratorINS9_10device_ptrIiEEEENSB_INSC_IdEEEESG_dNS9_4plusIvEENS9_8equal_toIvEEdEE10hipError_tPvRmT2_T3_T4_T5_mT6_T7_P12ihipStream_tbENKUlT_T0_E_clISt17integral_constantIbLb1EES11_EEDaSW_SX_EUlSW_E_NS1_11comp_targetILNS1_3genE10ELNS1_11target_archE1200ELNS1_3gpuE4ELNS1_3repE0EEENS1_30default_config_static_selectorELNS0_4arch9wavefront6targetE1EEEvT1_
		.amdhsa_group_segment_fixed_size 0
		.amdhsa_private_segment_fixed_size 0
		.amdhsa_kernarg_size 136
		.amdhsa_user_sgpr_count 2
		.amdhsa_user_sgpr_dispatch_ptr 0
		.amdhsa_user_sgpr_queue_ptr 0
		.amdhsa_user_sgpr_kernarg_segment_ptr 1
		.amdhsa_user_sgpr_dispatch_id 0
		.amdhsa_user_sgpr_kernarg_preload_length 0
		.amdhsa_user_sgpr_kernarg_preload_offset 0
		.amdhsa_user_sgpr_private_segment_size 0
		.amdhsa_uses_dynamic_stack 0
		.amdhsa_enable_private_segment 0
		.amdhsa_system_sgpr_workgroup_id_x 1
		.amdhsa_system_sgpr_workgroup_id_y 0
		.amdhsa_system_sgpr_workgroup_id_z 0
		.amdhsa_system_sgpr_workgroup_info 0
		.amdhsa_system_vgpr_workitem_id 0
		.amdhsa_next_free_vgpr 1
		.amdhsa_next_free_sgpr 0
		.amdhsa_accum_offset 4
		.amdhsa_reserve_vcc 0
		.amdhsa_float_round_mode_32 0
		.amdhsa_float_round_mode_16_64 0
		.amdhsa_float_denorm_mode_32 3
		.amdhsa_float_denorm_mode_16_64 3
		.amdhsa_dx10_clamp 1
		.amdhsa_ieee_mode 1
		.amdhsa_fp16_overflow 0
		.amdhsa_tg_split 0
		.amdhsa_exception_fp_ieee_invalid_op 0
		.amdhsa_exception_fp_denorm_src 0
		.amdhsa_exception_fp_ieee_div_zero 0
		.amdhsa_exception_fp_ieee_overflow 0
		.amdhsa_exception_fp_ieee_underflow 0
		.amdhsa_exception_fp_ieee_inexact 0
		.amdhsa_exception_int_div_zero 0
	.end_amdhsa_kernel
	.section	.text._ZN7rocprim17ROCPRIM_400000_NS6detail17trampoline_kernelINS0_14default_configENS1_27scan_by_key_config_selectorIidEEZZNS1_16scan_by_key_implILNS1_25lookback_scan_determinismE0ELb0ES3_N6thrust23THRUST_200600_302600_NS6detail15normal_iteratorINS9_10device_ptrIiEEEENSB_INSC_IdEEEESG_dNS9_4plusIvEENS9_8equal_toIvEEdEE10hipError_tPvRmT2_T3_T4_T5_mT6_T7_P12ihipStream_tbENKUlT_T0_E_clISt17integral_constantIbLb1EES11_EEDaSW_SX_EUlSW_E_NS1_11comp_targetILNS1_3genE10ELNS1_11target_archE1200ELNS1_3gpuE4ELNS1_3repE0EEENS1_30default_config_static_selectorELNS0_4arch9wavefront6targetE1EEEvT1_,"axG",@progbits,_ZN7rocprim17ROCPRIM_400000_NS6detail17trampoline_kernelINS0_14default_configENS1_27scan_by_key_config_selectorIidEEZZNS1_16scan_by_key_implILNS1_25lookback_scan_determinismE0ELb0ES3_N6thrust23THRUST_200600_302600_NS6detail15normal_iteratorINS9_10device_ptrIiEEEENSB_INSC_IdEEEESG_dNS9_4plusIvEENS9_8equal_toIvEEdEE10hipError_tPvRmT2_T3_T4_T5_mT6_T7_P12ihipStream_tbENKUlT_T0_E_clISt17integral_constantIbLb1EES11_EEDaSW_SX_EUlSW_E_NS1_11comp_targetILNS1_3genE10ELNS1_11target_archE1200ELNS1_3gpuE4ELNS1_3repE0EEENS1_30default_config_static_selectorELNS0_4arch9wavefront6targetE1EEEvT1_,comdat
.Lfunc_end1102:
	.size	_ZN7rocprim17ROCPRIM_400000_NS6detail17trampoline_kernelINS0_14default_configENS1_27scan_by_key_config_selectorIidEEZZNS1_16scan_by_key_implILNS1_25lookback_scan_determinismE0ELb0ES3_N6thrust23THRUST_200600_302600_NS6detail15normal_iteratorINS9_10device_ptrIiEEEENSB_INSC_IdEEEESG_dNS9_4plusIvEENS9_8equal_toIvEEdEE10hipError_tPvRmT2_T3_T4_T5_mT6_T7_P12ihipStream_tbENKUlT_T0_E_clISt17integral_constantIbLb1EES11_EEDaSW_SX_EUlSW_E_NS1_11comp_targetILNS1_3genE10ELNS1_11target_archE1200ELNS1_3gpuE4ELNS1_3repE0EEENS1_30default_config_static_selectorELNS0_4arch9wavefront6targetE1EEEvT1_, .Lfunc_end1102-_ZN7rocprim17ROCPRIM_400000_NS6detail17trampoline_kernelINS0_14default_configENS1_27scan_by_key_config_selectorIidEEZZNS1_16scan_by_key_implILNS1_25lookback_scan_determinismE0ELb0ES3_N6thrust23THRUST_200600_302600_NS6detail15normal_iteratorINS9_10device_ptrIiEEEENSB_INSC_IdEEEESG_dNS9_4plusIvEENS9_8equal_toIvEEdEE10hipError_tPvRmT2_T3_T4_T5_mT6_T7_P12ihipStream_tbENKUlT_T0_E_clISt17integral_constantIbLb1EES11_EEDaSW_SX_EUlSW_E_NS1_11comp_targetILNS1_3genE10ELNS1_11target_archE1200ELNS1_3gpuE4ELNS1_3repE0EEENS1_30default_config_static_selectorELNS0_4arch9wavefront6targetE1EEEvT1_
                                        ; -- End function
	.section	.AMDGPU.csdata,"",@progbits
; Kernel info:
; codeLenInByte = 0
; NumSgprs: 6
; NumVgprs: 0
; NumAgprs: 0
; TotalNumVgprs: 0
; ScratchSize: 0
; MemoryBound: 0
; FloatMode: 240
; IeeeMode: 1
; LDSByteSize: 0 bytes/workgroup (compile time only)
; SGPRBlocks: 0
; VGPRBlocks: 0
; NumSGPRsForWavesPerEU: 6
; NumVGPRsForWavesPerEU: 1
; AccumOffset: 4
; Occupancy: 8
; WaveLimiterHint : 0
; COMPUTE_PGM_RSRC2:SCRATCH_EN: 0
; COMPUTE_PGM_RSRC2:USER_SGPR: 2
; COMPUTE_PGM_RSRC2:TRAP_HANDLER: 0
; COMPUTE_PGM_RSRC2:TGID_X_EN: 1
; COMPUTE_PGM_RSRC2:TGID_Y_EN: 0
; COMPUTE_PGM_RSRC2:TGID_Z_EN: 0
; COMPUTE_PGM_RSRC2:TIDIG_COMP_CNT: 0
; COMPUTE_PGM_RSRC3_GFX90A:ACCUM_OFFSET: 0
; COMPUTE_PGM_RSRC3_GFX90A:TG_SPLIT: 0
	.section	.text._ZN7rocprim17ROCPRIM_400000_NS6detail17trampoline_kernelINS0_14default_configENS1_27scan_by_key_config_selectorIidEEZZNS1_16scan_by_key_implILNS1_25lookback_scan_determinismE0ELb0ES3_N6thrust23THRUST_200600_302600_NS6detail15normal_iteratorINS9_10device_ptrIiEEEENSB_INSC_IdEEEESG_dNS9_4plusIvEENS9_8equal_toIvEEdEE10hipError_tPvRmT2_T3_T4_T5_mT6_T7_P12ihipStream_tbENKUlT_T0_E_clISt17integral_constantIbLb1EES11_EEDaSW_SX_EUlSW_E_NS1_11comp_targetILNS1_3genE9ELNS1_11target_archE1100ELNS1_3gpuE3ELNS1_3repE0EEENS1_30default_config_static_selectorELNS0_4arch9wavefront6targetE1EEEvT1_,"axG",@progbits,_ZN7rocprim17ROCPRIM_400000_NS6detail17trampoline_kernelINS0_14default_configENS1_27scan_by_key_config_selectorIidEEZZNS1_16scan_by_key_implILNS1_25lookback_scan_determinismE0ELb0ES3_N6thrust23THRUST_200600_302600_NS6detail15normal_iteratorINS9_10device_ptrIiEEEENSB_INSC_IdEEEESG_dNS9_4plusIvEENS9_8equal_toIvEEdEE10hipError_tPvRmT2_T3_T4_T5_mT6_T7_P12ihipStream_tbENKUlT_T0_E_clISt17integral_constantIbLb1EES11_EEDaSW_SX_EUlSW_E_NS1_11comp_targetILNS1_3genE9ELNS1_11target_archE1100ELNS1_3gpuE3ELNS1_3repE0EEENS1_30default_config_static_selectorELNS0_4arch9wavefront6targetE1EEEvT1_,comdat
	.protected	_ZN7rocprim17ROCPRIM_400000_NS6detail17trampoline_kernelINS0_14default_configENS1_27scan_by_key_config_selectorIidEEZZNS1_16scan_by_key_implILNS1_25lookback_scan_determinismE0ELb0ES3_N6thrust23THRUST_200600_302600_NS6detail15normal_iteratorINS9_10device_ptrIiEEEENSB_INSC_IdEEEESG_dNS9_4plusIvEENS9_8equal_toIvEEdEE10hipError_tPvRmT2_T3_T4_T5_mT6_T7_P12ihipStream_tbENKUlT_T0_E_clISt17integral_constantIbLb1EES11_EEDaSW_SX_EUlSW_E_NS1_11comp_targetILNS1_3genE9ELNS1_11target_archE1100ELNS1_3gpuE3ELNS1_3repE0EEENS1_30default_config_static_selectorELNS0_4arch9wavefront6targetE1EEEvT1_ ; -- Begin function _ZN7rocprim17ROCPRIM_400000_NS6detail17trampoline_kernelINS0_14default_configENS1_27scan_by_key_config_selectorIidEEZZNS1_16scan_by_key_implILNS1_25lookback_scan_determinismE0ELb0ES3_N6thrust23THRUST_200600_302600_NS6detail15normal_iteratorINS9_10device_ptrIiEEEENSB_INSC_IdEEEESG_dNS9_4plusIvEENS9_8equal_toIvEEdEE10hipError_tPvRmT2_T3_T4_T5_mT6_T7_P12ihipStream_tbENKUlT_T0_E_clISt17integral_constantIbLb1EES11_EEDaSW_SX_EUlSW_E_NS1_11comp_targetILNS1_3genE9ELNS1_11target_archE1100ELNS1_3gpuE3ELNS1_3repE0EEENS1_30default_config_static_selectorELNS0_4arch9wavefront6targetE1EEEvT1_
	.globl	_ZN7rocprim17ROCPRIM_400000_NS6detail17trampoline_kernelINS0_14default_configENS1_27scan_by_key_config_selectorIidEEZZNS1_16scan_by_key_implILNS1_25lookback_scan_determinismE0ELb0ES3_N6thrust23THRUST_200600_302600_NS6detail15normal_iteratorINS9_10device_ptrIiEEEENSB_INSC_IdEEEESG_dNS9_4plusIvEENS9_8equal_toIvEEdEE10hipError_tPvRmT2_T3_T4_T5_mT6_T7_P12ihipStream_tbENKUlT_T0_E_clISt17integral_constantIbLb1EES11_EEDaSW_SX_EUlSW_E_NS1_11comp_targetILNS1_3genE9ELNS1_11target_archE1100ELNS1_3gpuE3ELNS1_3repE0EEENS1_30default_config_static_selectorELNS0_4arch9wavefront6targetE1EEEvT1_
	.p2align	8
	.type	_ZN7rocprim17ROCPRIM_400000_NS6detail17trampoline_kernelINS0_14default_configENS1_27scan_by_key_config_selectorIidEEZZNS1_16scan_by_key_implILNS1_25lookback_scan_determinismE0ELb0ES3_N6thrust23THRUST_200600_302600_NS6detail15normal_iteratorINS9_10device_ptrIiEEEENSB_INSC_IdEEEESG_dNS9_4plusIvEENS9_8equal_toIvEEdEE10hipError_tPvRmT2_T3_T4_T5_mT6_T7_P12ihipStream_tbENKUlT_T0_E_clISt17integral_constantIbLb1EES11_EEDaSW_SX_EUlSW_E_NS1_11comp_targetILNS1_3genE9ELNS1_11target_archE1100ELNS1_3gpuE3ELNS1_3repE0EEENS1_30default_config_static_selectorELNS0_4arch9wavefront6targetE1EEEvT1_,@function
_ZN7rocprim17ROCPRIM_400000_NS6detail17trampoline_kernelINS0_14default_configENS1_27scan_by_key_config_selectorIidEEZZNS1_16scan_by_key_implILNS1_25lookback_scan_determinismE0ELb0ES3_N6thrust23THRUST_200600_302600_NS6detail15normal_iteratorINS9_10device_ptrIiEEEENSB_INSC_IdEEEESG_dNS9_4plusIvEENS9_8equal_toIvEEdEE10hipError_tPvRmT2_T3_T4_T5_mT6_T7_P12ihipStream_tbENKUlT_T0_E_clISt17integral_constantIbLb1EES11_EEDaSW_SX_EUlSW_E_NS1_11comp_targetILNS1_3genE9ELNS1_11target_archE1100ELNS1_3gpuE3ELNS1_3repE0EEENS1_30default_config_static_selectorELNS0_4arch9wavefront6targetE1EEEvT1_: ; @_ZN7rocprim17ROCPRIM_400000_NS6detail17trampoline_kernelINS0_14default_configENS1_27scan_by_key_config_selectorIidEEZZNS1_16scan_by_key_implILNS1_25lookback_scan_determinismE0ELb0ES3_N6thrust23THRUST_200600_302600_NS6detail15normal_iteratorINS9_10device_ptrIiEEEENSB_INSC_IdEEEESG_dNS9_4plusIvEENS9_8equal_toIvEEdEE10hipError_tPvRmT2_T3_T4_T5_mT6_T7_P12ihipStream_tbENKUlT_T0_E_clISt17integral_constantIbLb1EES11_EEDaSW_SX_EUlSW_E_NS1_11comp_targetILNS1_3genE9ELNS1_11target_archE1100ELNS1_3gpuE3ELNS1_3repE0EEENS1_30default_config_static_selectorELNS0_4arch9wavefront6targetE1EEEvT1_
; %bb.0:
	.section	.rodata,"a",@progbits
	.p2align	6, 0x0
	.amdhsa_kernel _ZN7rocprim17ROCPRIM_400000_NS6detail17trampoline_kernelINS0_14default_configENS1_27scan_by_key_config_selectorIidEEZZNS1_16scan_by_key_implILNS1_25lookback_scan_determinismE0ELb0ES3_N6thrust23THRUST_200600_302600_NS6detail15normal_iteratorINS9_10device_ptrIiEEEENSB_INSC_IdEEEESG_dNS9_4plusIvEENS9_8equal_toIvEEdEE10hipError_tPvRmT2_T3_T4_T5_mT6_T7_P12ihipStream_tbENKUlT_T0_E_clISt17integral_constantIbLb1EES11_EEDaSW_SX_EUlSW_E_NS1_11comp_targetILNS1_3genE9ELNS1_11target_archE1100ELNS1_3gpuE3ELNS1_3repE0EEENS1_30default_config_static_selectorELNS0_4arch9wavefront6targetE1EEEvT1_
		.amdhsa_group_segment_fixed_size 0
		.amdhsa_private_segment_fixed_size 0
		.amdhsa_kernarg_size 136
		.amdhsa_user_sgpr_count 2
		.amdhsa_user_sgpr_dispatch_ptr 0
		.amdhsa_user_sgpr_queue_ptr 0
		.amdhsa_user_sgpr_kernarg_segment_ptr 1
		.amdhsa_user_sgpr_dispatch_id 0
		.amdhsa_user_sgpr_kernarg_preload_length 0
		.amdhsa_user_sgpr_kernarg_preload_offset 0
		.amdhsa_user_sgpr_private_segment_size 0
		.amdhsa_uses_dynamic_stack 0
		.amdhsa_enable_private_segment 0
		.amdhsa_system_sgpr_workgroup_id_x 1
		.amdhsa_system_sgpr_workgroup_id_y 0
		.amdhsa_system_sgpr_workgroup_id_z 0
		.amdhsa_system_sgpr_workgroup_info 0
		.amdhsa_system_vgpr_workitem_id 0
		.amdhsa_next_free_vgpr 1
		.amdhsa_next_free_sgpr 0
		.amdhsa_accum_offset 4
		.amdhsa_reserve_vcc 0
		.amdhsa_float_round_mode_32 0
		.amdhsa_float_round_mode_16_64 0
		.amdhsa_float_denorm_mode_32 3
		.amdhsa_float_denorm_mode_16_64 3
		.amdhsa_dx10_clamp 1
		.amdhsa_ieee_mode 1
		.amdhsa_fp16_overflow 0
		.amdhsa_tg_split 0
		.amdhsa_exception_fp_ieee_invalid_op 0
		.amdhsa_exception_fp_denorm_src 0
		.amdhsa_exception_fp_ieee_div_zero 0
		.amdhsa_exception_fp_ieee_overflow 0
		.amdhsa_exception_fp_ieee_underflow 0
		.amdhsa_exception_fp_ieee_inexact 0
		.amdhsa_exception_int_div_zero 0
	.end_amdhsa_kernel
	.section	.text._ZN7rocprim17ROCPRIM_400000_NS6detail17trampoline_kernelINS0_14default_configENS1_27scan_by_key_config_selectorIidEEZZNS1_16scan_by_key_implILNS1_25lookback_scan_determinismE0ELb0ES3_N6thrust23THRUST_200600_302600_NS6detail15normal_iteratorINS9_10device_ptrIiEEEENSB_INSC_IdEEEESG_dNS9_4plusIvEENS9_8equal_toIvEEdEE10hipError_tPvRmT2_T3_T4_T5_mT6_T7_P12ihipStream_tbENKUlT_T0_E_clISt17integral_constantIbLb1EES11_EEDaSW_SX_EUlSW_E_NS1_11comp_targetILNS1_3genE9ELNS1_11target_archE1100ELNS1_3gpuE3ELNS1_3repE0EEENS1_30default_config_static_selectorELNS0_4arch9wavefront6targetE1EEEvT1_,"axG",@progbits,_ZN7rocprim17ROCPRIM_400000_NS6detail17trampoline_kernelINS0_14default_configENS1_27scan_by_key_config_selectorIidEEZZNS1_16scan_by_key_implILNS1_25lookback_scan_determinismE0ELb0ES3_N6thrust23THRUST_200600_302600_NS6detail15normal_iteratorINS9_10device_ptrIiEEEENSB_INSC_IdEEEESG_dNS9_4plusIvEENS9_8equal_toIvEEdEE10hipError_tPvRmT2_T3_T4_T5_mT6_T7_P12ihipStream_tbENKUlT_T0_E_clISt17integral_constantIbLb1EES11_EEDaSW_SX_EUlSW_E_NS1_11comp_targetILNS1_3genE9ELNS1_11target_archE1100ELNS1_3gpuE3ELNS1_3repE0EEENS1_30default_config_static_selectorELNS0_4arch9wavefront6targetE1EEEvT1_,comdat
.Lfunc_end1103:
	.size	_ZN7rocprim17ROCPRIM_400000_NS6detail17trampoline_kernelINS0_14default_configENS1_27scan_by_key_config_selectorIidEEZZNS1_16scan_by_key_implILNS1_25lookback_scan_determinismE0ELb0ES3_N6thrust23THRUST_200600_302600_NS6detail15normal_iteratorINS9_10device_ptrIiEEEENSB_INSC_IdEEEESG_dNS9_4plusIvEENS9_8equal_toIvEEdEE10hipError_tPvRmT2_T3_T4_T5_mT6_T7_P12ihipStream_tbENKUlT_T0_E_clISt17integral_constantIbLb1EES11_EEDaSW_SX_EUlSW_E_NS1_11comp_targetILNS1_3genE9ELNS1_11target_archE1100ELNS1_3gpuE3ELNS1_3repE0EEENS1_30default_config_static_selectorELNS0_4arch9wavefront6targetE1EEEvT1_, .Lfunc_end1103-_ZN7rocprim17ROCPRIM_400000_NS6detail17trampoline_kernelINS0_14default_configENS1_27scan_by_key_config_selectorIidEEZZNS1_16scan_by_key_implILNS1_25lookback_scan_determinismE0ELb0ES3_N6thrust23THRUST_200600_302600_NS6detail15normal_iteratorINS9_10device_ptrIiEEEENSB_INSC_IdEEEESG_dNS9_4plusIvEENS9_8equal_toIvEEdEE10hipError_tPvRmT2_T3_T4_T5_mT6_T7_P12ihipStream_tbENKUlT_T0_E_clISt17integral_constantIbLb1EES11_EEDaSW_SX_EUlSW_E_NS1_11comp_targetILNS1_3genE9ELNS1_11target_archE1100ELNS1_3gpuE3ELNS1_3repE0EEENS1_30default_config_static_selectorELNS0_4arch9wavefront6targetE1EEEvT1_
                                        ; -- End function
	.section	.AMDGPU.csdata,"",@progbits
; Kernel info:
; codeLenInByte = 0
; NumSgprs: 6
; NumVgprs: 0
; NumAgprs: 0
; TotalNumVgprs: 0
; ScratchSize: 0
; MemoryBound: 0
; FloatMode: 240
; IeeeMode: 1
; LDSByteSize: 0 bytes/workgroup (compile time only)
; SGPRBlocks: 0
; VGPRBlocks: 0
; NumSGPRsForWavesPerEU: 6
; NumVGPRsForWavesPerEU: 1
; AccumOffset: 4
; Occupancy: 8
; WaveLimiterHint : 0
; COMPUTE_PGM_RSRC2:SCRATCH_EN: 0
; COMPUTE_PGM_RSRC2:USER_SGPR: 2
; COMPUTE_PGM_RSRC2:TRAP_HANDLER: 0
; COMPUTE_PGM_RSRC2:TGID_X_EN: 1
; COMPUTE_PGM_RSRC2:TGID_Y_EN: 0
; COMPUTE_PGM_RSRC2:TGID_Z_EN: 0
; COMPUTE_PGM_RSRC2:TIDIG_COMP_CNT: 0
; COMPUTE_PGM_RSRC3_GFX90A:ACCUM_OFFSET: 0
; COMPUTE_PGM_RSRC3_GFX90A:TG_SPLIT: 0
	.section	.text._ZN7rocprim17ROCPRIM_400000_NS6detail17trampoline_kernelINS0_14default_configENS1_27scan_by_key_config_selectorIidEEZZNS1_16scan_by_key_implILNS1_25lookback_scan_determinismE0ELb0ES3_N6thrust23THRUST_200600_302600_NS6detail15normal_iteratorINS9_10device_ptrIiEEEENSB_INSC_IdEEEESG_dNS9_4plusIvEENS9_8equal_toIvEEdEE10hipError_tPvRmT2_T3_T4_T5_mT6_T7_P12ihipStream_tbENKUlT_T0_E_clISt17integral_constantIbLb1EES11_EEDaSW_SX_EUlSW_E_NS1_11comp_targetILNS1_3genE8ELNS1_11target_archE1030ELNS1_3gpuE2ELNS1_3repE0EEENS1_30default_config_static_selectorELNS0_4arch9wavefront6targetE1EEEvT1_,"axG",@progbits,_ZN7rocprim17ROCPRIM_400000_NS6detail17trampoline_kernelINS0_14default_configENS1_27scan_by_key_config_selectorIidEEZZNS1_16scan_by_key_implILNS1_25lookback_scan_determinismE0ELb0ES3_N6thrust23THRUST_200600_302600_NS6detail15normal_iteratorINS9_10device_ptrIiEEEENSB_INSC_IdEEEESG_dNS9_4plusIvEENS9_8equal_toIvEEdEE10hipError_tPvRmT2_T3_T4_T5_mT6_T7_P12ihipStream_tbENKUlT_T0_E_clISt17integral_constantIbLb1EES11_EEDaSW_SX_EUlSW_E_NS1_11comp_targetILNS1_3genE8ELNS1_11target_archE1030ELNS1_3gpuE2ELNS1_3repE0EEENS1_30default_config_static_selectorELNS0_4arch9wavefront6targetE1EEEvT1_,comdat
	.protected	_ZN7rocprim17ROCPRIM_400000_NS6detail17trampoline_kernelINS0_14default_configENS1_27scan_by_key_config_selectorIidEEZZNS1_16scan_by_key_implILNS1_25lookback_scan_determinismE0ELb0ES3_N6thrust23THRUST_200600_302600_NS6detail15normal_iteratorINS9_10device_ptrIiEEEENSB_INSC_IdEEEESG_dNS9_4plusIvEENS9_8equal_toIvEEdEE10hipError_tPvRmT2_T3_T4_T5_mT6_T7_P12ihipStream_tbENKUlT_T0_E_clISt17integral_constantIbLb1EES11_EEDaSW_SX_EUlSW_E_NS1_11comp_targetILNS1_3genE8ELNS1_11target_archE1030ELNS1_3gpuE2ELNS1_3repE0EEENS1_30default_config_static_selectorELNS0_4arch9wavefront6targetE1EEEvT1_ ; -- Begin function _ZN7rocprim17ROCPRIM_400000_NS6detail17trampoline_kernelINS0_14default_configENS1_27scan_by_key_config_selectorIidEEZZNS1_16scan_by_key_implILNS1_25lookback_scan_determinismE0ELb0ES3_N6thrust23THRUST_200600_302600_NS6detail15normal_iteratorINS9_10device_ptrIiEEEENSB_INSC_IdEEEESG_dNS9_4plusIvEENS9_8equal_toIvEEdEE10hipError_tPvRmT2_T3_T4_T5_mT6_T7_P12ihipStream_tbENKUlT_T0_E_clISt17integral_constantIbLb1EES11_EEDaSW_SX_EUlSW_E_NS1_11comp_targetILNS1_3genE8ELNS1_11target_archE1030ELNS1_3gpuE2ELNS1_3repE0EEENS1_30default_config_static_selectorELNS0_4arch9wavefront6targetE1EEEvT1_
	.globl	_ZN7rocprim17ROCPRIM_400000_NS6detail17trampoline_kernelINS0_14default_configENS1_27scan_by_key_config_selectorIidEEZZNS1_16scan_by_key_implILNS1_25lookback_scan_determinismE0ELb0ES3_N6thrust23THRUST_200600_302600_NS6detail15normal_iteratorINS9_10device_ptrIiEEEENSB_INSC_IdEEEESG_dNS9_4plusIvEENS9_8equal_toIvEEdEE10hipError_tPvRmT2_T3_T4_T5_mT6_T7_P12ihipStream_tbENKUlT_T0_E_clISt17integral_constantIbLb1EES11_EEDaSW_SX_EUlSW_E_NS1_11comp_targetILNS1_3genE8ELNS1_11target_archE1030ELNS1_3gpuE2ELNS1_3repE0EEENS1_30default_config_static_selectorELNS0_4arch9wavefront6targetE1EEEvT1_
	.p2align	8
	.type	_ZN7rocprim17ROCPRIM_400000_NS6detail17trampoline_kernelINS0_14default_configENS1_27scan_by_key_config_selectorIidEEZZNS1_16scan_by_key_implILNS1_25lookback_scan_determinismE0ELb0ES3_N6thrust23THRUST_200600_302600_NS6detail15normal_iteratorINS9_10device_ptrIiEEEENSB_INSC_IdEEEESG_dNS9_4plusIvEENS9_8equal_toIvEEdEE10hipError_tPvRmT2_T3_T4_T5_mT6_T7_P12ihipStream_tbENKUlT_T0_E_clISt17integral_constantIbLb1EES11_EEDaSW_SX_EUlSW_E_NS1_11comp_targetILNS1_3genE8ELNS1_11target_archE1030ELNS1_3gpuE2ELNS1_3repE0EEENS1_30default_config_static_selectorELNS0_4arch9wavefront6targetE1EEEvT1_,@function
_ZN7rocprim17ROCPRIM_400000_NS6detail17trampoline_kernelINS0_14default_configENS1_27scan_by_key_config_selectorIidEEZZNS1_16scan_by_key_implILNS1_25lookback_scan_determinismE0ELb0ES3_N6thrust23THRUST_200600_302600_NS6detail15normal_iteratorINS9_10device_ptrIiEEEENSB_INSC_IdEEEESG_dNS9_4plusIvEENS9_8equal_toIvEEdEE10hipError_tPvRmT2_T3_T4_T5_mT6_T7_P12ihipStream_tbENKUlT_T0_E_clISt17integral_constantIbLb1EES11_EEDaSW_SX_EUlSW_E_NS1_11comp_targetILNS1_3genE8ELNS1_11target_archE1030ELNS1_3gpuE2ELNS1_3repE0EEENS1_30default_config_static_selectorELNS0_4arch9wavefront6targetE1EEEvT1_: ; @_ZN7rocprim17ROCPRIM_400000_NS6detail17trampoline_kernelINS0_14default_configENS1_27scan_by_key_config_selectorIidEEZZNS1_16scan_by_key_implILNS1_25lookback_scan_determinismE0ELb0ES3_N6thrust23THRUST_200600_302600_NS6detail15normal_iteratorINS9_10device_ptrIiEEEENSB_INSC_IdEEEESG_dNS9_4plusIvEENS9_8equal_toIvEEdEE10hipError_tPvRmT2_T3_T4_T5_mT6_T7_P12ihipStream_tbENKUlT_T0_E_clISt17integral_constantIbLb1EES11_EEDaSW_SX_EUlSW_E_NS1_11comp_targetILNS1_3genE8ELNS1_11target_archE1030ELNS1_3gpuE2ELNS1_3repE0EEENS1_30default_config_static_selectorELNS0_4arch9wavefront6targetE1EEEvT1_
; %bb.0:
	.section	.rodata,"a",@progbits
	.p2align	6, 0x0
	.amdhsa_kernel _ZN7rocprim17ROCPRIM_400000_NS6detail17trampoline_kernelINS0_14default_configENS1_27scan_by_key_config_selectorIidEEZZNS1_16scan_by_key_implILNS1_25lookback_scan_determinismE0ELb0ES3_N6thrust23THRUST_200600_302600_NS6detail15normal_iteratorINS9_10device_ptrIiEEEENSB_INSC_IdEEEESG_dNS9_4plusIvEENS9_8equal_toIvEEdEE10hipError_tPvRmT2_T3_T4_T5_mT6_T7_P12ihipStream_tbENKUlT_T0_E_clISt17integral_constantIbLb1EES11_EEDaSW_SX_EUlSW_E_NS1_11comp_targetILNS1_3genE8ELNS1_11target_archE1030ELNS1_3gpuE2ELNS1_3repE0EEENS1_30default_config_static_selectorELNS0_4arch9wavefront6targetE1EEEvT1_
		.amdhsa_group_segment_fixed_size 0
		.amdhsa_private_segment_fixed_size 0
		.amdhsa_kernarg_size 136
		.amdhsa_user_sgpr_count 2
		.amdhsa_user_sgpr_dispatch_ptr 0
		.amdhsa_user_sgpr_queue_ptr 0
		.amdhsa_user_sgpr_kernarg_segment_ptr 1
		.amdhsa_user_sgpr_dispatch_id 0
		.amdhsa_user_sgpr_kernarg_preload_length 0
		.amdhsa_user_sgpr_kernarg_preload_offset 0
		.amdhsa_user_sgpr_private_segment_size 0
		.amdhsa_uses_dynamic_stack 0
		.amdhsa_enable_private_segment 0
		.amdhsa_system_sgpr_workgroup_id_x 1
		.amdhsa_system_sgpr_workgroup_id_y 0
		.amdhsa_system_sgpr_workgroup_id_z 0
		.amdhsa_system_sgpr_workgroup_info 0
		.amdhsa_system_vgpr_workitem_id 0
		.amdhsa_next_free_vgpr 1
		.amdhsa_next_free_sgpr 0
		.amdhsa_accum_offset 4
		.amdhsa_reserve_vcc 0
		.amdhsa_float_round_mode_32 0
		.amdhsa_float_round_mode_16_64 0
		.amdhsa_float_denorm_mode_32 3
		.amdhsa_float_denorm_mode_16_64 3
		.amdhsa_dx10_clamp 1
		.amdhsa_ieee_mode 1
		.amdhsa_fp16_overflow 0
		.amdhsa_tg_split 0
		.amdhsa_exception_fp_ieee_invalid_op 0
		.amdhsa_exception_fp_denorm_src 0
		.amdhsa_exception_fp_ieee_div_zero 0
		.amdhsa_exception_fp_ieee_overflow 0
		.amdhsa_exception_fp_ieee_underflow 0
		.amdhsa_exception_fp_ieee_inexact 0
		.amdhsa_exception_int_div_zero 0
	.end_amdhsa_kernel
	.section	.text._ZN7rocprim17ROCPRIM_400000_NS6detail17trampoline_kernelINS0_14default_configENS1_27scan_by_key_config_selectorIidEEZZNS1_16scan_by_key_implILNS1_25lookback_scan_determinismE0ELb0ES3_N6thrust23THRUST_200600_302600_NS6detail15normal_iteratorINS9_10device_ptrIiEEEENSB_INSC_IdEEEESG_dNS9_4plusIvEENS9_8equal_toIvEEdEE10hipError_tPvRmT2_T3_T4_T5_mT6_T7_P12ihipStream_tbENKUlT_T0_E_clISt17integral_constantIbLb1EES11_EEDaSW_SX_EUlSW_E_NS1_11comp_targetILNS1_3genE8ELNS1_11target_archE1030ELNS1_3gpuE2ELNS1_3repE0EEENS1_30default_config_static_selectorELNS0_4arch9wavefront6targetE1EEEvT1_,"axG",@progbits,_ZN7rocprim17ROCPRIM_400000_NS6detail17trampoline_kernelINS0_14default_configENS1_27scan_by_key_config_selectorIidEEZZNS1_16scan_by_key_implILNS1_25lookback_scan_determinismE0ELb0ES3_N6thrust23THRUST_200600_302600_NS6detail15normal_iteratorINS9_10device_ptrIiEEEENSB_INSC_IdEEEESG_dNS9_4plusIvEENS9_8equal_toIvEEdEE10hipError_tPvRmT2_T3_T4_T5_mT6_T7_P12ihipStream_tbENKUlT_T0_E_clISt17integral_constantIbLb1EES11_EEDaSW_SX_EUlSW_E_NS1_11comp_targetILNS1_3genE8ELNS1_11target_archE1030ELNS1_3gpuE2ELNS1_3repE0EEENS1_30default_config_static_selectorELNS0_4arch9wavefront6targetE1EEEvT1_,comdat
.Lfunc_end1104:
	.size	_ZN7rocprim17ROCPRIM_400000_NS6detail17trampoline_kernelINS0_14default_configENS1_27scan_by_key_config_selectorIidEEZZNS1_16scan_by_key_implILNS1_25lookback_scan_determinismE0ELb0ES3_N6thrust23THRUST_200600_302600_NS6detail15normal_iteratorINS9_10device_ptrIiEEEENSB_INSC_IdEEEESG_dNS9_4plusIvEENS9_8equal_toIvEEdEE10hipError_tPvRmT2_T3_T4_T5_mT6_T7_P12ihipStream_tbENKUlT_T0_E_clISt17integral_constantIbLb1EES11_EEDaSW_SX_EUlSW_E_NS1_11comp_targetILNS1_3genE8ELNS1_11target_archE1030ELNS1_3gpuE2ELNS1_3repE0EEENS1_30default_config_static_selectorELNS0_4arch9wavefront6targetE1EEEvT1_, .Lfunc_end1104-_ZN7rocprim17ROCPRIM_400000_NS6detail17trampoline_kernelINS0_14default_configENS1_27scan_by_key_config_selectorIidEEZZNS1_16scan_by_key_implILNS1_25lookback_scan_determinismE0ELb0ES3_N6thrust23THRUST_200600_302600_NS6detail15normal_iteratorINS9_10device_ptrIiEEEENSB_INSC_IdEEEESG_dNS9_4plusIvEENS9_8equal_toIvEEdEE10hipError_tPvRmT2_T3_T4_T5_mT6_T7_P12ihipStream_tbENKUlT_T0_E_clISt17integral_constantIbLb1EES11_EEDaSW_SX_EUlSW_E_NS1_11comp_targetILNS1_3genE8ELNS1_11target_archE1030ELNS1_3gpuE2ELNS1_3repE0EEENS1_30default_config_static_selectorELNS0_4arch9wavefront6targetE1EEEvT1_
                                        ; -- End function
	.section	.AMDGPU.csdata,"",@progbits
; Kernel info:
; codeLenInByte = 0
; NumSgprs: 6
; NumVgprs: 0
; NumAgprs: 0
; TotalNumVgprs: 0
; ScratchSize: 0
; MemoryBound: 0
; FloatMode: 240
; IeeeMode: 1
; LDSByteSize: 0 bytes/workgroup (compile time only)
; SGPRBlocks: 0
; VGPRBlocks: 0
; NumSGPRsForWavesPerEU: 6
; NumVGPRsForWavesPerEU: 1
; AccumOffset: 4
; Occupancy: 8
; WaveLimiterHint : 0
; COMPUTE_PGM_RSRC2:SCRATCH_EN: 0
; COMPUTE_PGM_RSRC2:USER_SGPR: 2
; COMPUTE_PGM_RSRC2:TRAP_HANDLER: 0
; COMPUTE_PGM_RSRC2:TGID_X_EN: 1
; COMPUTE_PGM_RSRC2:TGID_Y_EN: 0
; COMPUTE_PGM_RSRC2:TGID_Z_EN: 0
; COMPUTE_PGM_RSRC2:TIDIG_COMP_CNT: 0
; COMPUTE_PGM_RSRC3_GFX90A:ACCUM_OFFSET: 0
; COMPUTE_PGM_RSRC3_GFX90A:TG_SPLIT: 0
	.section	.text._ZN7rocprim17ROCPRIM_400000_NS6detail30init_device_scan_by_key_kernelINS1_19lookback_scan_stateINS0_5tupleIJdbEEELb1ELb0EEEN6thrust23THRUST_200600_302600_NS6detail15normal_iteratorINS8_10device_ptrIiEEEEjNS1_16block_id_wrapperIjLb0EEEEEvT_jjPNSG_10value_typeET0_PNSt15iterator_traitsISJ_E10value_typeEmT1_T2_,"axG",@progbits,_ZN7rocprim17ROCPRIM_400000_NS6detail30init_device_scan_by_key_kernelINS1_19lookback_scan_stateINS0_5tupleIJdbEEELb1ELb0EEEN6thrust23THRUST_200600_302600_NS6detail15normal_iteratorINS8_10device_ptrIiEEEEjNS1_16block_id_wrapperIjLb0EEEEEvT_jjPNSG_10value_typeET0_PNSt15iterator_traitsISJ_E10value_typeEmT1_T2_,comdat
	.protected	_ZN7rocprim17ROCPRIM_400000_NS6detail30init_device_scan_by_key_kernelINS1_19lookback_scan_stateINS0_5tupleIJdbEEELb1ELb0EEEN6thrust23THRUST_200600_302600_NS6detail15normal_iteratorINS8_10device_ptrIiEEEEjNS1_16block_id_wrapperIjLb0EEEEEvT_jjPNSG_10value_typeET0_PNSt15iterator_traitsISJ_E10value_typeEmT1_T2_ ; -- Begin function _ZN7rocprim17ROCPRIM_400000_NS6detail30init_device_scan_by_key_kernelINS1_19lookback_scan_stateINS0_5tupleIJdbEEELb1ELb0EEEN6thrust23THRUST_200600_302600_NS6detail15normal_iteratorINS8_10device_ptrIiEEEEjNS1_16block_id_wrapperIjLb0EEEEEvT_jjPNSG_10value_typeET0_PNSt15iterator_traitsISJ_E10value_typeEmT1_T2_
	.globl	_ZN7rocprim17ROCPRIM_400000_NS6detail30init_device_scan_by_key_kernelINS1_19lookback_scan_stateINS0_5tupleIJdbEEELb1ELb0EEEN6thrust23THRUST_200600_302600_NS6detail15normal_iteratorINS8_10device_ptrIiEEEEjNS1_16block_id_wrapperIjLb0EEEEEvT_jjPNSG_10value_typeET0_PNSt15iterator_traitsISJ_E10value_typeEmT1_T2_
	.p2align	8
	.type	_ZN7rocprim17ROCPRIM_400000_NS6detail30init_device_scan_by_key_kernelINS1_19lookback_scan_stateINS0_5tupleIJdbEEELb1ELb0EEEN6thrust23THRUST_200600_302600_NS6detail15normal_iteratorINS8_10device_ptrIiEEEEjNS1_16block_id_wrapperIjLb0EEEEEvT_jjPNSG_10value_typeET0_PNSt15iterator_traitsISJ_E10value_typeEmT1_T2_,@function
_ZN7rocprim17ROCPRIM_400000_NS6detail30init_device_scan_by_key_kernelINS1_19lookback_scan_stateINS0_5tupleIJdbEEELb1ELb0EEEN6thrust23THRUST_200600_302600_NS6detail15normal_iteratorINS8_10device_ptrIiEEEEjNS1_16block_id_wrapperIjLb0EEEEEvT_jjPNSG_10value_typeET0_PNSt15iterator_traitsISJ_E10value_typeEmT1_T2_: ; @_ZN7rocprim17ROCPRIM_400000_NS6detail30init_device_scan_by_key_kernelINS1_19lookback_scan_stateINS0_5tupleIJdbEEELb1ELb0EEEN6thrust23THRUST_200600_302600_NS6detail15normal_iteratorINS8_10device_ptrIiEEEEjNS1_16block_id_wrapperIjLb0EEEEEvT_jjPNSG_10value_typeET0_PNSt15iterator_traitsISJ_E10value_typeEmT1_T2_
; %bb.0:
	s_load_dword s3, s[0:1], 0x54
	s_load_dwordx8 s[4:11], s[0:1], 0x10
	s_load_dword s20, s[0:1], 0x48
	s_waitcnt lgkmcnt(0)
	s_and_b32 s21, s3, 0xffff
	s_mul_i32 s2, s2, s21
	s_cmp_eq_u64 s[8:9], 0
	v_add_u32_e32 v0, s2, v0
	s_cbranch_scc1 .LBB1105_11
; %bb.1:
	s_cmp_lt_u32 s7, s6
	s_cselect_b32 s2, s7, 0
	s_mov_b32 s17, 0
	v_cmp_eq_u32_e32 vcc, s2, v0
	s_and_saveexec_b64 s[2:3], vcc
	s_cbranch_execz .LBB1105_10
; %bb.2:
	s_add_i32 s16, s7, 64
	v_mov_b32_e32 v1, s16
	global_load_ubyte v1, v1, s[4:5] sc1
	s_load_dwordx4 s[12:15], s[0:1], 0x0
	s_add_u32 s18, s4, s16
	s_addc_u32 s19, s5, 0
	s_waitcnt vmcnt(0)
	v_cmp_ne_u16_e32 vcc, 0, v1
	v_readfirstlane_b32 s7, v1
	s_cbranch_vccz .LBB1105_4
; %bb.3:
	s_and_b32 s7, 0xffff, s7
	s_branch .LBB1105_9
.LBB1105_4:
	s_mov_b32 s7, 1
	v_mov_b32_e32 v1, 0
.LBB1105_5:                             ; =>This Loop Header: Depth=1
                                        ;     Child Loop BB1105_6 Depth 2
	s_max_u32 s22, s7, 1
.LBB1105_6:                             ;   Parent Loop BB1105_5 Depth=1
                                        ; =>  This Inner Loop Header: Depth=2
	s_add_i32 s22, s22, -1
	s_cmp_eq_u32 s22, 0
	s_sleep 1
	s_cbranch_scc0 .LBB1105_6
; %bb.7:                                ;   in Loop: Header=BB1105_5 Depth=1
	global_load_ubyte v2, v1, s[18:19] sc1
	s_cmp_lt_u32 s7, 32
	s_cselect_b64 s[22:23], -1, 0
	s_cmp_lg_u64 s[22:23], 0
	s_addc_u32 s7, s7, 0
	s_waitcnt vmcnt(0)
	v_cmp_ne_u16_e32 vcc, 0, v2
	v_readfirstlane_b32 s22, v2
	s_cbranch_vccz .LBB1105_5
; %bb.8:
	s_and_b32 s7, 0xffff, s22
.LBB1105_9:
	s_cmp_eq_u32 s7, 1
	s_waitcnt lgkmcnt(0)
	s_cselect_b32 s7, s13, s15
	s_cselect_b32 s14, s12, s14
	s_lshl_b64 s[12:13], s[16:17], 4
	s_add_u32 s12, s14, s12
	s_addc_u32 s13, s7, s13
	v_mov_b32_e32 v1, 0
	s_waitcnt vmcnt(0)
	global_load_dword v2, v1, s[12:13] sc1
	global_load_dword v3, v1, s[12:13] offset:4 sc1
	global_load_dword v4, v1, s[12:13] offset:8 sc1
	;; [unrolled: 1-line block ×3, first 2 shown]
	s_waitcnt vmcnt(2)
	global_store_dwordx2 v1, v[2:3], s[8:9]
	s_waitcnt vmcnt(2)
	global_store_byte v1, v4, s[8:9] offset:8
.LBB1105_10:
	s_or_b64 exec, exec, s[2:3]
.LBB1105_11:
	v_cmp_gt_u32_e32 vcc, s6, v0
	s_and_saveexec_b64 s[2:3], vcc
	s_cbranch_execz .LBB1105_13
; %bb.12:
	v_add_u32_e32 v1, 64, v0
	v_mov_b32_e32 v2, 0
	global_store_byte v1, v2, s[4:5]
.LBB1105_13:
	s_or_b64 exec, exec, s[2:3]
	v_cmp_gt_u32_e32 vcc, 64, v0
	v_mov_b32_e32 v1, 0
	s_and_saveexec_b64 s[2:3], vcc
	s_cbranch_execz .LBB1105_15
; %bb.14:
	v_lshl_add_u64 v[2:3], s[4:5], 0, v[0:1]
	v_mov_b32_e32 v4, 0xff
	global_store_byte v[2:3], v4, off
.LBB1105_15:
	s_or_b64 exec, exec, s[2:3]
	s_load_dwordx2 s[2:3], s[0:1], 0x38
	s_waitcnt lgkmcnt(0)
	v_cmp_gt_u64_e32 vcc, s[2:3], v[0:1]
	s_and_saveexec_b64 s[4:5], vcc
	s_cbranch_execz .LBB1105_18
; %bb.16:
	s_load_dword s12, s[0:1], 0x40
	s_load_dwordx2 s[6:7], s[0:1], 0x30
	s_mov_b32 s5, 0
	s_mov_b32 s1, s5
	s_mul_i32 s0, s20, s21
	s_waitcnt lgkmcnt(0)
	s_add_i32 s4, s12, -1
	s_lshl_b64 s[4:5], s[4:5], 2
	s_add_u32 s4, s10, s4
	v_mad_u64_u32 v[2:3], s[8:9], s12, v0, 0
	s_addc_u32 s5, s11, s5
	v_lshl_add_u64 v[2:3], v[2:3], 2, s[4:5]
	s_mul_hi_u32 s5, s12, s0
	s_mul_i32 s4, s12, s0
	s_lshl_b64 s[4:5], s[4:5], 2
	s_waitcnt vmcnt(2)
	v_lshl_add_u64 v[4:5], v[0:1], 2, s[6:7]
	s_lshl_b64 s[6:7], s[0:1], 2
	s_mov_b64 s[8:9], 0
.LBB1105_17:                            ; =>This Inner Loop Header: Depth=1
	global_load_dword v6, v[2:3], off
	v_lshl_add_u64 v[0:1], v[0:1], 0, s[0:1]
	v_cmp_le_u64_e32 vcc, s[2:3], v[0:1]
	v_lshl_add_u64 v[2:3], v[2:3], 0, s[4:5]
	s_or_b64 s[8:9], vcc, s[8:9]
	s_waitcnt vmcnt(0)
	global_store_dword v[4:5], v6, off
	v_lshl_add_u64 v[4:5], v[4:5], 0, s[6:7]
	s_andn2_b64 exec, exec, s[8:9]
	s_cbranch_execnz .LBB1105_17
.LBB1105_18:
	s_endpgm
	.section	.rodata,"a",@progbits
	.p2align	6, 0x0
	.amdhsa_kernel _ZN7rocprim17ROCPRIM_400000_NS6detail30init_device_scan_by_key_kernelINS1_19lookback_scan_stateINS0_5tupleIJdbEEELb1ELb0EEEN6thrust23THRUST_200600_302600_NS6detail15normal_iteratorINS8_10device_ptrIiEEEEjNS1_16block_id_wrapperIjLb0EEEEEvT_jjPNSG_10value_typeET0_PNSt15iterator_traitsISJ_E10value_typeEmT1_T2_
		.amdhsa_group_segment_fixed_size 0
		.amdhsa_private_segment_fixed_size 0
		.amdhsa_kernarg_size 328
		.amdhsa_user_sgpr_count 2
		.amdhsa_user_sgpr_dispatch_ptr 0
		.amdhsa_user_sgpr_queue_ptr 0
		.amdhsa_user_sgpr_kernarg_segment_ptr 1
		.amdhsa_user_sgpr_dispatch_id 0
		.amdhsa_user_sgpr_kernarg_preload_length 0
		.amdhsa_user_sgpr_kernarg_preload_offset 0
		.amdhsa_user_sgpr_private_segment_size 0
		.amdhsa_uses_dynamic_stack 0
		.amdhsa_enable_private_segment 0
		.amdhsa_system_sgpr_workgroup_id_x 1
		.amdhsa_system_sgpr_workgroup_id_y 0
		.amdhsa_system_sgpr_workgroup_id_z 0
		.amdhsa_system_sgpr_workgroup_info 0
		.amdhsa_system_vgpr_workitem_id 0
		.amdhsa_next_free_vgpr 7
		.amdhsa_next_free_sgpr 24
		.amdhsa_accum_offset 8
		.amdhsa_reserve_vcc 1
		.amdhsa_float_round_mode_32 0
		.amdhsa_float_round_mode_16_64 0
		.amdhsa_float_denorm_mode_32 3
		.amdhsa_float_denorm_mode_16_64 3
		.amdhsa_dx10_clamp 1
		.amdhsa_ieee_mode 1
		.amdhsa_fp16_overflow 0
		.amdhsa_tg_split 0
		.amdhsa_exception_fp_ieee_invalid_op 0
		.amdhsa_exception_fp_denorm_src 0
		.amdhsa_exception_fp_ieee_div_zero 0
		.amdhsa_exception_fp_ieee_overflow 0
		.amdhsa_exception_fp_ieee_underflow 0
		.amdhsa_exception_fp_ieee_inexact 0
		.amdhsa_exception_int_div_zero 0
	.end_amdhsa_kernel
	.section	.text._ZN7rocprim17ROCPRIM_400000_NS6detail30init_device_scan_by_key_kernelINS1_19lookback_scan_stateINS0_5tupleIJdbEEELb1ELb0EEEN6thrust23THRUST_200600_302600_NS6detail15normal_iteratorINS8_10device_ptrIiEEEEjNS1_16block_id_wrapperIjLb0EEEEEvT_jjPNSG_10value_typeET0_PNSt15iterator_traitsISJ_E10value_typeEmT1_T2_,"axG",@progbits,_ZN7rocprim17ROCPRIM_400000_NS6detail30init_device_scan_by_key_kernelINS1_19lookback_scan_stateINS0_5tupleIJdbEEELb1ELb0EEEN6thrust23THRUST_200600_302600_NS6detail15normal_iteratorINS8_10device_ptrIiEEEEjNS1_16block_id_wrapperIjLb0EEEEEvT_jjPNSG_10value_typeET0_PNSt15iterator_traitsISJ_E10value_typeEmT1_T2_,comdat
.Lfunc_end1105:
	.size	_ZN7rocprim17ROCPRIM_400000_NS6detail30init_device_scan_by_key_kernelINS1_19lookback_scan_stateINS0_5tupleIJdbEEELb1ELb0EEEN6thrust23THRUST_200600_302600_NS6detail15normal_iteratorINS8_10device_ptrIiEEEEjNS1_16block_id_wrapperIjLb0EEEEEvT_jjPNSG_10value_typeET0_PNSt15iterator_traitsISJ_E10value_typeEmT1_T2_, .Lfunc_end1105-_ZN7rocprim17ROCPRIM_400000_NS6detail30init_device_scan_by_key_kernelINS1_19lookback_scan_stateINS0_5tupleIJdbEEELb1ELb0EEEN6thrust23THRUST_200600_302600_NS6detail15normal_iteratorINS8_10device_ptrIiEEEEjNS1_16block_id_wrapperIjLb0EEEEEvT_jjPNSG_10value_typeET0_PNSt15iterator_traitsISJ_E10value_typeEmT1_T2_
                                        ; -- End function
	.section	.AMDGPU.csdata,"",@progbits
; Kernel info:
; codeLenInByte = 568
; NumSgprs: 30
; NumVgprs: 7
; NumAgprs: 0
; TotalNumVgprs: 7
; ScratchSize: 0
; MemoryBound: 0
; FloatMode: 240
; IeeeMode: 1
; LDSByteSize: 0 bytes/workgroup (compile time only)
; SGPRBlocks: 3
; VGPRBlocks: 0
; NumSGPRsForWavesPerEU: 30
; NumVGPRsForWavesPerEU: 7
; AccumOffset: 8
; Occupancy: 8
; WaveLimiterHint : 0
; COMPUTE_PGM_RSRC2:SCRATCH_EN: 0
; COMPUTE_PGM_RSRC2:USER_SGPR: 2
; COMPUTE_PGM_RSRC2:TRAP_HANDLER: 0
; COMPUTE_PGM_RSRC2:TGID_X_EN: 1
; COMPUTE_PGM_RSRC2:TGID_Y_EN: 0
; COMPUTE_PGM_RSRC2:TGID_Z_EN: 0
; COMPUTE_PGM_RSRC2:TIDIG_COMP_CNT: 0
; COMPUTE_PGM_RSRC3_GFX90A:ACCUM_OFFSET: 1
; COMPUTE_PGM_RSRC3_GFX90A:TG_SPLIT: 0
	.section	.text._ZN7rocprim17ROCPRIM_400000_NS6detail30init_device_scan_by_key_kernelINS1_19lookback_scan_stateINS0_5tupleIJdbEEELb1ELb0EEENS1_16block_id_wrapperIjLb0EEEEEvT_jjPNS9_10value_typeET0_,"axG",@progbits,_ZN7rocprim17ROCPRIM_400000_NS6detail30init_device_scan_by_key_kernelINS1_19lookback_scan_stateINS0_5tupleIJdbEEELb1ELb0EEENS1_16block_id_wrapperIjLb0EEEEEvT_jjPNS9_10value_typeET0_,comdat
	.protected	_ZN7rocprim17ROCPRIM_400000_NS6detail30init_device_scan_by_key_kernelINS1_19lookback_scan_stateINS0_5tupleIJdbEEELb1ELb0EEENS1_16block_id_wrapperIjLb0EEEEEvT_jjPNS9_10value_typeET0_ ; -- Begin function _ZN7rocprim17ROCPRIM_400000_NS6detail30init_device_scan_by_key_kernelINS1_19lookback_scan_stateINS0_5tupleIJdbEEELb1ELb0EEENS1_16block_id_wrapperIjLb0EEEEEvT_jjPNS9_10value_typeET0_
	.globl	_ZN7rocprim17ROCPRIM_400000_NS6detail30init_device_scan_by_key_kernelINS1_19lookback_scan_stateINS0_5tupleIJdbEEELb1ELb0EEENS1_16block_id_wrapperIjLb0EEEEEvT_jjPNS9_10value_typeET0_
	.p2align	8
	.type	_ZN7rocprim17ROCPRIM_400000_NS6detail30init_device_scan_by_key_kernelINS1_19lookback_scan_stateINS0_5tupleIJdbEEELb1ELb0EEENS1_16block_id_wrapperIjLb0EEEEEvT_jjPNS9_10value_typeET0_,@function
_ZN7rocprim17ROCPRIM_400000_NS6detail30init_device_scan_by_key_kernelINS1_19lookback_scan_stateINS0_5tupleIJdbEEELb1ELb0EEENS1_16block_id_wrapperIjLb0EEEEEvT_jjPNS9_10value_typeET0_: ; @_ZN7rocprim17ROCPRIM_400000_NS6detail30init_device_scan_by_key_kernelINS1_19lookback_scan_stateINS0_5tupleIJdbEEELb1ELb0EEENS1_16block_id_wrapperIjLb0EEEEEvT_jjPNS9_10value_typeET0_
; %bb.0:
	s_load_dword s3, s[0:1], 0x3c
	s_load_dwordx2 s[8:9], s[0:1], 0x20
	s_load_dwordx4 s[4:7], s[0:1], 0x10
	s_waitcnt lgkmcnt(0)
	s_and_b32 s3, s3, 0xffff
	s_mul_i32 s2, s2, s3
	s_cmp_eq_u64 s[8:9], 0
	v_add_u32_e32 v0, s2, v0
	s_cbranch_scc1 .LBB1106_11
; %bb.1:
	s_cmp_lt_u32 s7, s6
	s_cselect_b32 s2, s7, 0
	s_mov_b32 s13, 0
	v_cmp_eq_u32_e32 vcc, s2, v0
	s_and_saveexec_b64 s[10:11], vcc
	s_cbranch_execz .LBB1106_10
; %bb.2:
	s_add_i32 s12, s7, 64
	v_mov_b32_e32 v1, s12
	global_load_ubyte v1, v1, s[4:5] sc1
	s_load_dwordx4 s[0:3], s[0:1], 0x0
	s_add_u32 s14, s4, s12
	s_addc_u32 s15, s5, 0
	s_waitcnt vmcnt(0)
	v_cmp_ne_u16_e32 vcc, 0, v1
	v_readfirstlane_b32 s7, v1
	s_cbranch_vccz .LBB1106_4
; %bb.3:
	s_and_b32 s7, 0xffff, s7
	s_branch .LBB1106_9
.LBB1106_4:
	s_mov_b32 s7, 1
	v_mov_b32_e32 v1, 0
.LBB1106_5:                             ; =>This Loop Header: Depth=1
                                        ;     Child Loop BB1106_6 Depth 2
	s_max_u32 s16, s7, 1
.LBB1106_6:                             ;   Parent Loop BB1106_5 Depth=1
                                        ; =>  This Inner Loop Header: Depth=2
	s_add_i32 s16, s16, -1
	s_cmp_eq_u32 s16, 0
	s_sleep 1
	s_cbranch_scc0 .LBB1106_6
; %bb.7:                                ;   in Loop: Header=BB1106_5 Depth=1
	global_load_ubyte v2, v1, s[14:15] sc1
	s_cmp_lt_u32 s7, 32
	s_cselect_b64 s[16:17], -1, 0
	s_cmp_lg_u64 s[16:17], 0
	s_addc_u32 s7, s7, 0
	s_waitcnt vmcnt(0)
	v_cmp_ne_u16_e32 vcc, 0, v2
	v_readfirstlane_b32 s16, v2
	s_cbranch_vccz .LBB1106_5
; %bb.8:
	s_and_b32 s7, 0xffff, s16
.LBB1106_9:
	s_cmp_eq_u32 s7, 1
	s_waitcnt lgkmcnt(0)
	s_cselect_b32 s3, s1, s3
	s_cselect_b32 s2, s0, s2
	s_lshl_b64 s[0:1], s[12:13], 4
	s_add_u32 s0, s2, s0
	s_addc_u32 s1, s3, s1
	v_mov_b32_e32 v1, 0
	s_waitcnt vmcnt(0)
	global_load_dword v2, v1, s[0:1] sc1
	global_load_dword v3, v1, s[0:1] offset:4 sc1
	global_load_dword v4, v1, s[0:1] offset:8 sc1
	;; [unrolled: 1-line block ×3, first 2 shown]
	s_waitcnt vmcnt(2)
	global_store_dwordx2 v1, v[2:3], s[8:9]
	s_waitcnt vmcnt(2)
	global_store_byte v1, v4, s[8:9] offset:8
.LBB1106_10:
	s_or_b64 exec, exec, s[10:11]
.LBB1106_11:
	v_cmp_gt_u32_e32 vcc, s6, v0
	s_and_saveexec_b64 s[0:1], vcc
	s_cbranch_execnz .LBB1106_14
; %bb.12:
	s_or_b64 exec, exec, s[0:1]
	v_cmp_gt_u32_e32 vcc, 64, v0
	s_and_saveexec_b64 s[0:1], vcc
	s_cbranch_execnz .LBB1106_15
.LBB1106_13:
	s_endpgm
.LBB1106_14:
	v_add_u32_e32 v1, 64, v0
	v_mov_b32_e32 v2, 0
	global_store_byte v1, v2, s[4:5]
	s_or_b64 exec, exec, s[0:1]
	v_cmp_gt_u32_e32 vcc, 64, v0
	s_and_saveexec_b64 s[0:1], vcc
	s_cbranch_execz .LBB1106_13
.LBB1106_15:
	v_mov_b32_e32 v1, 0xff
	global_store_byte v0, v1, s[4:5]
	s_endpgm
	.section	.rodata,"a",@progbits
	.p2align	6, 0x0
	.amdhsa_kernel _ZN7rocprim17ROCPRIM_400000_NS6detail30init_device_scan_by_key_kernelINS1_19lookback_scan_stateINS0_5tupleIJdbEEELb1ELb0EEENS1_16block_id_wrapperIjLb0EEEEEvT_jjPNS9_10value_typeET0_
		.amdhsa_group_segment_fixed_size 0
		.amdhsa_private_segment_fixed_size 0
		.amdhsa_kernarg_size 304
		.amdhsa_user_sgpr_count 2
		.amdhsa_user_sgpr_dispatch_ptr 0
		.amdhsa_user_sgpr_queue_ptr 0
		.amdhsa_user_sgpr_kernarg_segment_ptr 1
		.amdhsa_user_sgpr_dispatch_id 0
		.amdhsa_user_sgpr_kernarg_preload_length 0
		.amdhsa_user_sgpr_kernarg_preload_offset 0
		.amdhsa_user_sgpr_private_segment_size 0
		.amdhsa_uses_dynamic_stack 0
		.amdhsa_enable_private_segment 0
		.amdhsa_system_sgpr_workgroup_id_x 1
		.amdhsa_system_sgpr_workgroup_id_y 0
		.amdhsa_system_sgpr_workgroup_id_z 0
		.amdhsa_system_sgpr_workgroup_info 0
		.amdhsa_system_vgpr_workitem_id 0
		.amdhsa_next_free_vgpr 6
		.amdhsa_next_free_sgpr 18
		.amdhsa_accum_offset 8
		.amdhsa_reserve_vcc 1
		.amdhsa_float_round_mode_32 0
		.amdhsa_float_round_mode_16_64 0
		.amdhsa_float_denorm_mode_32 3
		.amdhsa_float_denorm_mode_16_64 3
		.amdhsa_dx10_clamp 1
		.amdhsa_ieee_mode 1
		.amdhsa_fp16_overflow 0
		.amdhsa_tg_split 0
		.amdhsa_exception_fp_ieee_invalid_op 0
		.amdhsa_exception_fp_denorm_src 0
		.amdhsa_exception_fp_ieee_div_zero 0
		.amdhsa_exception_fp_ieee_overflow 0
		.amdhsa_exception_fp_ieee_underflow 0
		.amdhsa_exception_fp_ieee_inexact 0
		.amdhsa_exception_int_div_zero 0
	.end_amdhsa_kernel
	.section	.text._ZN7rocprim17ROCPRIM_400000_NS6detail30init_device_scan_by_key_kernelINS1_19lookback_scan_stateINS0_5tupleIJdbEEELb1ELb0EEENS1_16block_id_wrapperIjLb0EEEEEvT_jjPNS9_10value_typeET0_,"axG",@progbits,_ZN7rocprim17ROCPRIM_400000_NS6detail30init_device_scan_by_key_kernelINS1_19lookback_scan_stateINS0_5tupleIJdbEEELb1ELb0EEENS1_16block_id_wrapperIjLb0EEEEEvT_jjPNS9_10value_typeET0_,comdat
.Lfunc_end1106:
	.size	_ZN7rocprim17ROCPRIM_400000_NS6detail30init_device_scan_by_key_kernelINS1_19lookback_scan_stateINS0_5tupleIJdbEEELb1ELb0EEENS1_16block_id_wrapperIjLb0EEEEEvT_jjPNS9_10value_typeET0_, .Lfunc_end1106-_ZN7rocprim17ROCPRIM_400000_NS6detail30init_device_scan_by_key_kernelINS1_19lookback_scan_stateINS0_5tupleIJdbEEELb1ELb0EEENS1_16block_id_wrapperIjLb0EEEEEvT_jjPNS9_10value_typeET0_
                                        ; -- End function
	.section	.AMDGPU.csdata,"",@progbits
; Kernel info:
; codeLenInByte = 392
; NumSgprs: 24
; NumVgprs: 6
; NumAgprs: 0
; TotalNumVgprs: 6
; ScratchSize: 0
; MemoryBound: 0
; FloatMode: 240
; IeeeMode: 1
; LDSByteSize: 0 bytes/workgroup (compile time only)
; SGPRBlocks: 2
; VGPRBlocks: 0
; NumSGPRsForWavesPerEU: 24
; NumVGPRsForWavesPerEU: 6
; AccumOffset: 8
; Occupancy: 8
; WaveLimiterHint : 0
; COMPUTE_PGM_RSRC2:SCRATCH_EN: 0
; COMPUTE_PGM_RSRC2:USER_SGPR: 2
; COMPUTE_PGM_RSRC2:TRAP_HANDLER: 0
; COMPUTE_PGM_RSRC2:TGID_X_EN: 1
; COMPUTE_PGM_RSRC2:TGID_Y_EN: 0
; COMPUTE_PGM_RSRC2:TGID_Z_EN: 0
; COMPUTE_PGM_RSRC2:TIDIG_COMP_CNT: 0
; COMPUTE_PGM_RSRC3_GFX90A:ACCUM_OFFSET: 1
; COMPUTE_PGM_RSRC3_GFX90A:TG_SPLIT: 0
	.section	.text._ZN7rocprim17ROCPRIM_400000_NS6detail17trampoline_kernelINS0_14default_configENS1_27scan_by_key_config_selectorIidEEZZNS1_16scan_by_key_implILNS1_25lookback_scan_determinismE0ELb0ES3_N6thrust23THRUST_200600_302600_NS6detail15normal_iteratorINS9_10device_ptrIiEEEENSB_INSC_IdEEEESG_dNS9_4plusIvEENS9_8equal_toIvEEdEE10hipError_tPvRmT2_T3_T4_T5_mT6_T7_P12ihipStream_tbENKUlT_T0_E_clISt17integral_constantIbLb1EES10_IbLb0EEEEDaSW_SX_EUlSW_E_NS1_11comp_targetILNS1_3genE0ELNS1_11target_archE4294967295ELNS1_3gpuE0ELNS1_3repE0EEENS1_30default_config_static_selectorELNS0_4arch9wavefront6targetE1EEEvT1_,"axG",@progbits,_ZN7rocprim17ROCPRIM_400000_NS6detail17trampoline_kernelINS0_14default_configENS1_27scan_by_key_config_selectorIidEEZZNS1_16scan_by_key_implILNS1_25lookback_scan_determinismE0ELb0ES3_N6thrust23THRUST_200600_302600_NS6detail15normal_iteratorINS9_10device_ptrIiEEEENSB_INSC_IdEEEESG_dNS9_4plusIvEENS9_8equal_toIvEEdEE10hipError_tPvRmT2_T3_T4_T5_mT6_T7_P12ihipStream_tbENKUlT_T0_E_clISt17integral_constantIbLb1EES10_IbLb0EEEEDaSW_SX_EUlSW_E_NS1_11comp_targetILNS1_3genE0ELNS1_11target_archE4294967295ELNS1_3gpuE0ELNS1_3repE0EEENS1_30default_config_static_selectorELNS0_4arch9wavefront6targetE1EEEvT1_,comdat
	.protected	_ZN7rocprim17ROCPRIM_400000_NS6detail17trampoline_kernelINS0_14default_configENS1_27scan_by_key_config_selectorIidEEZZNS1_16scan_by_key_implILNS1_25lookback_scan_determinismE0ELb0ES3_N6thrust23THRUST_200600_302600_NS6detail15normal_iteratorINS9_10device_ptrIiEEEENSB_INSC_IdEEEESG_dNS9_4plusIvEENS9_8equal_toIvEEdEE10hipError_tPvRmT2_T3_T4_T5_mT6_T7_P12ihipStream_tbENKUlT_T0_E_clISt17integral_constantIbLb1EES10_IbLb0EEEEDaSW_SX_EUlSW_E_NS1_11comp_targetILNS1_3genE0ELNS1_11target_archE4294967295ELNS1_3gpuE0ELNS1_3repE0EEENS1_30default_config_static_selectorELNS0_4arch9wavefront6targetE1EEEvT1_ ; -- Begin function _ZN7rocprim17ROCPRIM_400000_NS6detail17trampoline_kernelINS0_14default_configENS1_27scan_by_key_config_selectorIidEEZZNS1_16scan_by_key_implILNS1_25lookback_scan_determinismE0ELb0ES3_N6thrust23THRUST_200600_302600_NS6detail15normal_iteratorINS9_10device_ptrIiEEEENSB_INSC_IdEEEESG_dNS9_4plusIvEENS9_8equal_toIvEEdEE10hipError_tPvRmT2_T3_T4_T5_mT6_T7_P12ihipStream_tbENKUlT_T0_E_clISt17integral_constantIbLb1EES10_IbLb0EEEEDaSW_SX_EUlSW_E_NS1_11comp_targetILNS1_3genE0ELNS1_11target_archE4294967295ELNS1_3gpuE0ELNS1_3repE0EEENS1_30default_config_static_selectorELNS0_4arch9wavefront6targetE1EEEvT1_
	.globl	_ZN7rocprim17ROCPRIM_400000_NS6detail17trampoline_kernelINS0_14default_configENS1_27scan_by_key_config_selectorIidEEZZNS1_16scan_by_key_implILNS1_25lookback_scan_determinismE0ELb0ES3_N6thrust23THRUST_200600_302600_NS6detail15normal_iteratorINS9_10device_ptrIiEEEENSB_INSC_IdEEEESG_dNS9_4plusIvEENS9_8equal_toIvEEdEE10hipError_tPvRmT2_T3_T4_T5_mT6_T7_P12ihipStream_tbENKUlT_T0_E_clISt17integral_constantIbLb1EES10_IbLb0EEEEDaSW_SX_EUlSW_E_NS1_11comp_targetILNS1_3genE0ELNS1_11target_archE4294967295ELNS1_3gpuE0ELNS1_3repE0EEENS1_30default_config_static_selectorELNS0_4arch9wavefront6targetE1EEEvT1_
	.p2align	8
	.type	_ZN7rocprim17ROCPRIM_400000_NS6detail17trampoline_kernelINS0_14default_configENS1_27scan_by_key_config_selectorIidEEZZNS1_16scan_by_key_implILNS1_25lookback_scan_determinismE0ELb0ES3_N6thrust23THRUST_200600_302600_NS6detail15normal_iteratorINS9_10device_ptrIiEEEENSB_INSC_IdEEEESG_dNS9_4plusIvEENS9_8equal_toIvEEdEE10hipError_tPvRmT2_T3_T4_T5_mT6_T7_P12ihipStream_tbENKUlT_T0_E_clISt17integral_constantIbLb1EES10_IbLb0EEEEDaSW_SX_EUlSW_E_NS1_11comp_targetILNS1_3genE0ELNS1_11target_archE4294967295ELNS1_3gpuE0ELNS1_3repE0EEENS1_30default_config_static_selectorELNS0_4arch9wavefront6targetE1EEEvT1_,@function
_ZN7rocprim17ROCPRIM_400000_NS6detail17trampoline_kernelINS0_14default_configENS1_27scan_by_key_config_selectorIidEEZZNS1_16scan_by_key_implILNS1_25lookback_scan_determinismE0ELb0ES3_N6thrust23THRUST_200600_302600_NS6detail15normal_iteratorINS9_10device_ptrIiEEEENSB_INSC_IdEEEESG_dNS9_4plusIvEENS9_8equal_toIvEEdEE10hipError_tPvRmT2_T3_T4_T5_mT6_T7_P12ihipStream_tbENKUlT_T0_E_clISt17integral_constantIbLb1EES10_IbLb0EEEEDaSW_SX_EUlSW_E_NS1_11comp_targetILNS1_3genE0ELNS1_11target_archE4294967295ELNS1_3gpuE0ELNS1_3repE0EEENS1_30default_config_static_selectorELNS0_4arch9wavefront6targetE1EEEvT1_: ; @_ZN7rocprim17ROCPRIM_400000_NS6detail17trampoline_kernelINS0_14default_configENS1_27scan_by_key_config_selectorIidEEZZNS1_16scan_by_key_implILNS1_25lookback_scan_determinismE0ELb0ES3_N6thrust23THRUST_200600_302600_NS6detail15normal_iteratorINS9_10device_ptrIiEEEENSB_INSC_IdEEEESG_dNS9_4plusIvEENS9_8equal_toIvEEdEE10hipError_tPvRmT2_T3_T4_T5_mT6_T7_P12ihipStream_tbENKUlT_T0_E_clISt17integral_constantIbLb1EES10_IbLb0EEEEDaSW_SX_EUlSW_E_NS1_11comp_targetILNS1_3genE0ELNS1_11target_archE4294967295ELNS1_3gpuE0ELNS1_3repE0EEENS1_30default_config_static_selectorELNS0_4arch9wavefront6targetE1EEEvT1_
; %bb.0:
	.section	.rodata,"a",@progbits
	.p2align	6, 0x0
	.amdhsa_kernel _ZN7rocprim17ROCPRIM_400000_NS6detail17trampoline_kernelINS0_14default_configENS1_27scan_by_key_config_selectorIidEEZZNS1_16scan_by_key_implILNS1_25lookback_scan_determinismE0ELb0ES3_N6thrust23THRUST_200600_302600_NS6detail15normal_iteratorINS9_10device_ptrIiEEEENSB_INSC_IdEEEESG_dNS9_4plusIvEENS9_8equal_toIvEEdEE10hipError_tPvRmT2_T3_T4_T5_mT6_T7_P12ihipStream_tbENKUlT_T0_E_clISt17integral_constantIbLb1EES10_IbLb0EEEEDaSW_SX_EUlSW_E_NS1_11comp_targetILNS1_3genE0ELNS1_11target_archE4294967295ELNS1_3gpuE0ELNS1_3repE0EEENS1_30default_config_static_selectorELNS0_4arch9wavefront6targetE1EEEvT1_
		.amdhsa_group_segment_fixed_size 0
		.amdhsa_private_segment_fixed_size 0
		.amdhsa_kernarg_size 136
		.amdhsa_user_sgpr_count 2
		.amdhsa_user_sgpr_dispatch_ptr 0
		.amdhsa_user_sgpr_queue_ptr 0
		.amdhsa_user_sgpr_kernarg_segment_ptr 1
		.amdhsa_user_sgpr_dispatch_id 0
		.amdhsa_user_sgpr_kernarg_preload_length 0
		.amdhsa_user_sgpr_kernarg_preload_offset 0
		.amdhsa_user_sgpr_private_segment_size 0
		.amdhsa_uses_dynamic_stack 0
		.amdhsa_enable_private_segment 0
		.amdhsa_system_sgpr_workgroup_id_x 1
		.amdhsa_system_sgpr_workgroup_id_y 0
		.amdhsa_system_sgpr_workgroup_id_z 0
		.amdhsa_system_sgpr_workgroup_info 0
		.amdhsa_system_vgpr_workitem_id 0
		.amdhsa_next_free_vgpr 1
		.amdhsa_next_free_sgpr 0
		.amdhsa_accum_offset 4
		.amdhsa_reserve_vcc 0
		.amdhsa_float_round_mode_32 0
		.amdhsa_float_round_mode_16_64 0
		.amdhsa_float_denorm_mode_32 3
		.amdhsa_float_denorm_mode_16_64 3
		.amdhsa_dx10_clamp 1
		.amdhsa_ieee_mode 1
		.amdhsa_fp16_overflow 0
		.amdhsa_tg_split 0
		.amdhsa_exception_fp_ieee_invalid_op 0
		.amdhsa_exception_fp_denorm_src 0
		.amdhsa_exception_fp_ieee_div_zero 0
		.amdhsa_exception_fp_ieee_overflow 0
		.amdhsa_exception_fp_ieee_underflow 0
		.amdhsa_exception_fp_ieee_inexact 0
		.amdhsa_exception_int_div_zero 0
	.end_amdhsa_kernel
	.section	.text._ZN7rocprim17ROCPRIM_400000_NS6detail17trampoline_kernelINS0_14default_configENS1_27scan_by_key_config_selectorIidEEZZNS1_16scan_by_key_implILNS1_25lookback_scan_determinismE0ELb0ES3_N6thrust23THRUST_200600_302600_NS6detail15normal_iteratorINS9_10device_ptrIiEEEENSB_INSC_IdEEEESG_dNS9_4plusIvEENS9_8equal_toIvEEdEE10hipError_tPvRmT2_T3_T4_T5_mT6_T7_P12ihipStream_tbENKUlT_T0_E_clISt17integral_constantIbLb1EES10_IbLb0EEEEDaSW_SX_EUlSW_E_NS1_11comp_targetILNS1_3genE0ELNS1_11target_archE4294967295ELNS1_3gpuE0ELNS1_3repE0EEENS1_30default_config_static_selectorELNS0_4arch9wavefront6targetE1EEEvT1_,"axG",@progbits,_ZN7rocprim17ROCPRIM_400000_NS6detail17trampoline_kernelINS0_14default_configENS1_27scan_by_key_config_selectorIidEEZZNS1_16scan_by_key_implILNS1_25lookback_scan_determinismE0ELb0ES3_N6thrust23THRUST_200600_302600_NS6detail15normal_iteratorINS9_10device_ptrIiEEEENSB_INSC_IdEEEESG_dNS9_4plusIvEENS9_8equal_toIvEEdEE10hipError_tPvRmT2_T3_T4_T5_mT6_T7_P12ihipStream_tbENKUlT_T0_E_clISt17integral_constantIbLb1EES10_IbLb0EEEEDaSW_SX_EUlSW_E_NS1_11comp_targetILNS1_3genE0ELNS1_11target_archE4294967295ELNS1_3gpuE0ELNS1_3repE0EEENS1_30default_config_static_selectorELNS0_4arch9wavefront6targetE1EEEvT1_,comdat
.Lfunc_end1107:
	.size	_ZN7rocprim17ROCPRIM_400000_NS6detail17trampoline_kernelINS0_14default_configENS1_27scan_by_key_config_selectorIidEEZZNS1_16scan_by_key_implILNS1_25lookback_scan_determinismE0ELb0ES3_N6thrust23THRUST_200600_302600_NS6detail15normal_iteratorINS9_10device_ptrIiEEEENSB_INSC_IdEEEESG_dNS9_4plusIvEENS9_8equal_toIvEEdEE10hipError_tPvRmT2_T3_T4_T5_mT6_T7_P12ihipStream_tbENKUlT_T0_E_clISt17integral_constantIbLb1EES10_IbLb0EEEEDaSW_SX_EUlSW_E_NS1_11comp_targetILNS1_3genE0ELNS1_11target_archE4294967295ELNS1_3gpuE0ELNS1_3repE0EEENS1_30default_config_static_selectorELNS0_4arch9wavefront6targetE1EEEvT1_, .Lfunc_end1107-_ZN7rocprim17ROCPRIM_400000_NS6detail17trampoline_kernelINS0_14default_configENS1_27scan_by_key_config_selectorIidEEZZNS1_16scan_by_key_implILNS1_25lookback_scan_determinismE0ELb0ES3_N6thrust23THRUST_200600_302600_NS6detail15normal_iteratorINS9_10device_ptrIiEEEENSB_INSC_IdEEEESG_dNS9_4plusIvEENS9_8equal_toIvEEdEE10hipError_tPvRmT2_T3_T4_T5_mT6_T7_P12ihipStream_tbENKUlT_T0_E_clISt17integral_constantIbLb1EES10_IbLb0EEEEDaSW_SX_EUlSW_E_NS1_11comp_targetILNS1_3genE0ELNS1_11target_archE4294967295ELNS1_3gpuE0ELNS1_3repE0EEENS1_30default_config_static_selectorELNS0_4arch9wavefront6targetE1EEEvT1_
                                        ; -- End function
	.section	.AMDGPU.csdata,"",@progbits
; Kernel info:
; codeLenInByte = 0
; NumSgprs: 6
; NumVgprs: 0
; NumAgprs: 0
; TotalNumVgprs: 0
; ScratchSize: 0
; MemoryBound: 0
; FloatMode: 240
; IeeeMode: 1
; LDSByteSize: 0 bytes/workgroup (compile time only)
; SGPRBlocks: 0
; VGPRBlocks: 0
; NumSGPRsForWavesPerEU: 6
; NumVGPRsForWavesPerEU: 1
; AccumOffset: 4
; Occupancy: 8
; WaveLimiterHint : 0
; COMPUTE_PGM_RSRC2:SCRATCH_EN: 0
; COMPUTE_PGM_RSRC2:USER_SGPR: 2
; COMPUTE_PGM_RSRC2:TRAP_HANDLER: 0
; COMPUTE_PGM_RSRC2:TGID_X_EN: 1
; COMPUTE_PGM_RSRC2:TGID_Y_EN: 0
; COMPUTE_PGM_RSRC2:TGID_Z_EN: 0
; COMPUTE_PGM_RSRC2:TIDIG_COMP_CNT: 0
; COMPUTE_PGM_RSRC3_GFX90A:ACCUM_OFFSET: 0
; COMPUTE_PGM_RSRC3_GFX90A:TG_SPLIT: 0
	.section	.text._ZN7rocprim17ROCPRIM_400000_NS6detail17trampoline_kernelINS0_14default_configENS1_27scan_by_key_config_selectorIidEEZZNS1_16scan_by_key_implILNS1_25lookback_scan_determinismE0ELb0ES3_N6thrust23THRUST_200600_302600_NS6detail15normal_iteratorINS9_10device_ptrIiEEEENSB_INSC_IdEEEESG_dNS9_4plusIvEENS9_8equal_toIvEEdEE10hipError_tPvRmT2_T3_T4_T5_mT6_T7_P12ihipStream_tbENKUlT_T0_E_clISt17integral_constantIbLb1EES10_IbLb0EEEEDaSW_SX_EUlSW_E_NS1_11comp_targetILNS1_3genE10ELNS1_11target_archE1201ELNS1_3gpuE5ELNS1_3repE0EEENS1_30default_config_static_selectorELNS0_4arch9wavefront6targetE1EEEvT1_,"axG",@progbits,_ZN7rocprim17ROCPRIM_400000_NS6detail17trampoline_kernelINS0_14default_configENS1_27scan_by_key_config_selectorIidEEZZNS1_16scan_by_key_implILNS1_25lookback_scan_determinismE0ELb0ES3_N6thrust23THRUST_200600_302600_NS6detail15normal_iteratorINS9_10device_ptrIiEEEENSB_INSC_IdEEEESG_dNS9_4plusIvEENS9_8equal_toIvEEdEE10hipError_tPvRmT2_T3_T4_T5_mT6_T7_P12ihipStream_tbENKUlT_T0_E_clISt17integral_constantIbLb1EES10_IbLb0EEEEDaSW_SX_EUlSW_E_NS1_11comp_targetILNS1_3genE10ELNS1_11target_archE1201ELNS1_3gpuE5ELNS1_3repE0EEENS1_30default_config_static_selectorELNS0_4arch9wavefront6targetE1EEEvT1_,comdat
	.protected	_ZN7rocprim17ROCPRIM_400000_NS6detail17trampoline_kernelINS0_14default_configENS1_27scan_by_key_config_selectorIidEEZZNS1_16scan_by_key_implILNS1_25lookback_scan_determinismE0ELb0ES3_N6thrust23THRUST_200600_302600_NS6detail15normal_iteratorINS9_10device_ptrIiEEEENSB_INSC_IdEEEESG_dNS9_4plusIvEENS9_8equal_toIvEEdEE10hipError_tPvRmT2_T3_T4_T5_mT6_T7_P12ihipStream_tbENKUlT_T0_E_clISt17integral_constantIbLb1EES10_IbLb0EEEEDaSW_SX_EUlSW_E_NS1_11comp_targetILNS1_3genE10ELNS1_11target_archE1201ELNS1_3gpuE5ELNS1_3repE0EEENS1_30default_config_static_selectorELNS0_4arch9wavefront6targetE1EEEvT1_ ; -- Begin function _ZN7rocprim17ROCPRIM_400000_NS6detail17trampoline_kernelINS0_14default_configENS1_27scan_by_key_config_selectorIidEEZZNS1_16scan_by_key_implILNS1_25lookback_scan_determinismE0ELb0ES3_N6thrust23THRUST_200600_302600_NS6detail15normal_iteratorINS9_10device_ptrIiEEEENSB_INSC_IdEEEESG_dNS9_4plusIvEENS9_8equal_toIvEEdEE10hipError_tPvRmT2_T3_T4_T5_mT6_T7_P12ihipStream_tbENKUlT_T0_E_clISt17integral_constantIbLb1EES10_IbLb0EEEEDaSW_SX_EUlSW_E_NS1_11comp_targetILNS1_3genE10ELNS1_11target_archE1201ELNS1_3gpuE5ELNS1_3repE0EEENS1_30default_config_static_selectorELNS0_4arch9wavefront6targetE1EEEvT1_
	.globl	_ZN7rocprim17ROCPRIM_400000_NS6detail17trampoline_kernelINS0_14default_configENS1_27scan_by_key_config_selectorIidEEZZNS1_16scan_by_key_implILNS1_25lookback_scan_determinismE0ELb0ES3_N6thrust23THRUST_200600_302600_NS6detail15normal_iteratorINS9_10device_ptrIiEEEENSB_INSC_IdEEEESG_dNS9_4plusIvEENS9_8equal_toIvEEdEE10hipError_tPvRmT2_T3_T4_T5_mT6_T7_P12ihipStream_tbENKUlT_T0_E_clISt17integral_constantIbLb1EES10_IbLb0EEEEDaSW_SX_EUlSW_E_NS1_11comp_targetILNS1_3genE10ELNS1_11target_archE1201ELNS1_3gpuE5ELNS1_3repE0EEENS1_30default_config_static_selectorELNS0_4arch9wavefront6targetE1EEEvT1_
	.p2align	8
	.type	_ZN7rocprim17ROCPRIM_400000_NS6detail17trampoline_kernelINS0_14default_configENS1_27scan_by_key_config_selectorIidEEZZNS1_16scan_by_key_implILNS1_25lookback_scan_determinismE0ELb0ES3_N6thrust23THRUST_200600_302600_NS6detail15normal_iteratorINS9_10device_ptrIiEEEENSB_INSC_IdEEEESG_dNS9_4plusIvEENS9_8equal_toIvEEdEE10hipError_tPvRmT2_T3_T4_T5_mT6_T7_P12ihipStream_tbENKUlT_T0_E_clISt17integral_constantIbLb1EES10_IbLb0EEEEDaSW_SX_EUlSW_E_NS1_11comp_targetILNS1_3genE10ELNS1_11target_archE1201ELNS1_3gpuE5ELNS1_3repE0EEENS1_30default_config_static_selectorELNS0_4arch9wavefront6targetE1EEEvT1_,@function
_ZN7rocprim17ROCPRIM_400000_NS6detail17trampoline_kernelINS0_14default_configENS1_27scan_by_key_config_selectorIidEEZZNS1_16scan_by_key_implILNS1_25lookback_scan_determinismE0ELb0ES3_N6thrust23THRUST_200600_302600_NS6detail15normal_iteratorINS9_10device_ptrIiEEEENSB_INSC_IdEEEESG_dNS9_4plusIvEENS9_8equal_toIvEEdEE10hipError_tPvRmT2_T3_T4_T5_mT6_T7_P12ihipStream_tbENKUlT_T0_E_clISt17integral_constantIbLb1EES10_IbLb0EEEEDaSW_SX_EUlSW_E_NS1_11comp_targetILNS1_3genE10ELNS1_11target_archE1201ELNS1_3gpuE5ELNS1_3repE0EEENS1_30default_config_static_selectorELNS0_4arch9wavefront6targetE1EEEvT1_: ; @_ZN7rocprim17ROCPRIM_400000_NS6detail17trampoline_kernelINS0_14default_configENS1_27scan_by_key_config_selectorIidEEZZNS1_16scan_by_key_implILNS1_25lookback_scan_determinismE0ELb0ES3_N6thrust23THRUST_200600_302600_NS6detail15normal_iteratorINS9_10device_ptrIiEEEENSB_INSC_IdEEEESG_dNS9_4plusIvEENS9_8equal_toIvEEdEE10hipError_tPvRmT2_T3_T4_T5_mT6_T7_P12ihipStream_tbENKUlT_T0_E_clISt17integral_constantIbLb1EES10_IbLb0EEEEDaSW_SX_EUlSW_E_NS1_11comp_targetILNS1_3genE10ELNS1_11target_archE1201ELNS1_3gpuE5ELNS1_3repE0EEENS1_30default_config_static_selectorELNS0_4arch9wavefront6targetE1EEEvT1_
; %bb.0:
	.section	.rodata,"a",@progbits
	.p2align	6, 0x0
	.amdhsa_kernel _ZN7rocprim17ROCPRIM_400000_NS6detail17trampoline_kernelINS0_14default_configENS1_27scan_by_key_config_selectorIidEEZZNS1_16scan_by_key_implILNS1_25lookback_scan_determinismE0ELb0ES3_N6thrust23THRUST_200600_302600_NS6detail15normal_iteratorINS9_10device_ptrIiEEEENSB_INSC_IdEEEESG_dNS9_4plusIvEENS9_8equal_toIvEEdEE10hipError_tPvRmT2_T3_T4_T5_mT6_T7_P12ihipStream_tbENKUlT_T0_E_clISt17integral_constantIbLb1EES10_IbLb0EEEEDaSW_SX_EUlSW_E_NS1_11comp_targetILNS1_3genE10ELNS1_11target_archE1201ELNS1_3gpuE5ELNS1_3repE0EEENS1_30default_config_static_selectorELNS0_4arch9wavefront6targetE1EEEvT1_
		.amdhsa_group_segment_fixed_size 0
		.amdhsa_private_segment_fixed_size 0
		.amdhsa_kernarg_size 136
		.amdhsa_user_sgpr_count 2
		.amdhsa_user_sgpr_dispatch_ptr 0
		.amdhsa_user_sgpr_queue_ptr 0
		.amdhsa_user_sgpr_kernarg_segment_ptr 1
		.amdhsa_user_sgpr_dispatch_id 0
		.amdhsa_user_sgpr_kernarg_preload_length 0
		.amdhsa_user_sgpr_kernarg_preload_offset 0
		.amdhsa_user_sgpr_private_segment_size 0
		.amdhsa_uses_dynamic_stack 0
		.amdhsa_enable_private_segment 0
		.amdhsa_system_sgpr_workgroup_id_x 1
		.amdhsa_system_sgpr_workgroup_id_y 0
		.amdhsa_system_sgpr_workgroup_id_z 0
		.amdhsa_system_sgpr_workgroup_info 0
		.amdhsa_system_vgpr_workitem_id 0
		.amdhsa_next_free_vgpr 1
		.amdhsa_next_free_sgpr 0
		.amdhsa_accum_offset 4
		.amdhsa_reserve_vcc 0
		.amdhsa_float_round_mode_32 0
		.amdhsa_float_round_mode_16_64 0
		.amdhsa_float_denorm_mode_32 3
		.amdhsa_float_denorm_mode_16_64 3
		.amdhsa_dx10_clamp 1
		.amdhsa_ieee_mode 1
		.amdhsa_fp16_overflow 0
		.amdhsa_tg_split 0
		.amdhsa_exception_fp_ieee_invalid_op 0
		.amdhsa_exception_fp_denorm_src 0
		.amdhsa_exception_fp_ieee_div_zero 0
		.amdhsa_exception_fp_ieee_overflow 0
		.amdhsa_exception_fp_ieee_underflow 0
		.amdhsa_exception_fp_ieee_inexact 0
		.amdhsa_exception_int_div_zero 0
	.end_amdhsa_kernel
	.section	.text._ZN7rocprim17ROCPRIM_400000_NS6detail17trampoline_kernelINS0_14default_configENS1_27scan_by_key_config_selectorIidEEZZNS1_16scan_by_key_implILNS1_25lookback_scan_determinismE0ELb0ES3_N6thrust23THRUST_200600_302600_NS6detail15normal_iteratorINS9_10device_ptrIiEEEENSB_INSC_IdEEEESG_dNS9_4plusIvEENS9_8equal_toIvEEdEE10hipError_tPvRmT2_T3_T4_T5_mT6_T7_P12ihipStream_tbENKUlT_T0_E_clISt17integral_constantIbLb1EES10_IbLb0EEEEDaSW_SX_EUlSW_E_NS1_11comp_targetILNS1_3genE10ELNS1_11target_archE1201ELNS1_3gpuE5ELNS1_3repE0EEENS1_30default_config_static_selectorELNS0_4arch9wavefront6targetE1EEEvT1_,"axG",@progbits,_ZN7rocprim17ROCPRIM_400000_NS6detail17trampoline_kernelINS0_14default_configENS1_27scan_by_key_config_selectorIidEEZZNS1_16scan_by_key_implILNS1_25lookback_scan_determinismE0ELb0ES3_N6thrust23THRUST_200600_302600_NS6detail15normal_iteratorINS9_10device_ptrIiEEEENSB_INSC_IdEEEESG_dNS9_4plusIvEENS9_8equal_toIvEEdEE10hipError_tPvRmT2_T3_T4_T5_mT6_T7_P12ihipStream_tbENKUlT_T0_E_clISt17integral_constantIbLb1EES10_IbLb0EEEEDaSW_SX_EUlSW_E_NS1_11comp_targetILNS1_3genE10ELNS1_11target_archE1201ELNS1_3gpuE5ELNS1_3repE0EEENS1_30default_config_static_selectorELNS0_4arch9wavefront6targetE1EEEvT1_,comdat
.Lfunc_end1108:
	.size	_ZN7rocprim17ROCPRIM_400000_NS6detail17trampoline_kernelINS0_14default_configENS1_27scan_by_key_config_selectorIidEEZZNS1_16scan_by_key_implILNS1_25lookback_scan_determinismE0ELb0ES3_N6thrust23THRUST_200600_302600_NS6detail15normal_iteratorINS9_10device_ptrIiEEEENSB_INSC_IdEEEESG_dNS9_4plusIvEENS9_8equal_toIvEEdEE10hipError_tPvRmT2_T3_T4_T5_mT6_T7_P12ihipStream_tbENKUlT_T0_E_clISt17integral_constantIbLb1EES10_IbLb0EEEEDaSW_SX_EUlSW_E_NS1_11comp_targetILNS1_3genE10ELNS1_11target_archE1201ELNS1_3gpuE5ELNS1_3repE0EEENS1_30default_config_static_selectorELNS0_4arch9wavefront6targetE1EEEvT1_, .Lfunc_end1108-_ZN7rocprim17ROCPRIM_400000_NS6detail17trampoline_kernelINS0_14default_configENS1_27scan_by_key_config_selectorIidEEZZNS1_16scan_by_key_implILNS1_25lookback_scan_determinismE0ELb0ES3_N6thrust23THRUST_200600_302600_NS6detail15normal_iteratorINS9_10device_ptrIiEEEENSB_INSC_IdEEEESG_dNS9_4plusIvEENS9_8equal_toIvEEdEE10hipError_tPvRmT2_T3_T4_T5_mT6_T7_P12ihipStream_tbENKUlT_T0_E_clISt17integral_constantIbLb1EES10_IbLb0EEEEDaSW_SX_EUlSW_E_NS1_11comp_targetILNS1_3genE10ELNS1_11target_archE1201ELNS1_3gpuE5ELNS1_3repE0EEENS1_30default_config_static_selectorELNS0_4arch9wavefront6targetE1EEEvT1_
                                        ; -- End function
	.section	.AMDGPU.csdata,"",@progbits
; Kernel info:
; codeLenInByte = 0
; NumSgprs: 6
; NumVgprs: 0
; NumAgprs: 0
; TotalNumVgprs: 0
; ScratchSize: 0
; MemoryBound: 0
; FloatMode: 240
; IeeeMode: 1
; LDSByteSize: 0 bytes/workgroup (compile time only)
; SGPRBlocks: 0
; VGPRBlocks: 0
; NumSGPRsForWavesPerEU: 6
; NumVGPRsForWavesPerEU: 1
; AccumOffset: 4
; Occupancy: 8
; WaveLimiterHint : 0
; COMPUTE_PGM_RSRC2:SCRATCH_EN: 0
; COMPUTE_PGM_RSRC2:USER_SGPR: 2
; COMPUTE_PGM_RSRC2:TRAP_HANDLER: 0
; COMPUTE_PGM_RSRC2:TGID_X_EN: 1
; COMPUTE_PGM_RSRC2:TGID_Y_EN: 0
; COMPUTE_PGM_RSRC2:TGID_Z_EN: 0
; COMPUTE_PGM_RSRC2:TIDIG_COMP_CNT: 0
; COMPUTE_PGM_RSRC3_GFX90A:ACCUM_OFFSET: 0
; COMPUTE_PGM_RSRC3_GFX90A:TG_SPLIT: 0
	.section	.text._ZN7rocprim17ROCPRIM_400000_NS6detail17trampoline_kernelINS0_14default_configENS1_27scan_by_key_config_selectorIidEEZZNS1_16scan_by_key_implILNS1_25lookback_scan_determinismE0ELb0ES3_N6thrust23THRUST_200600_302600_NS6detail15normal_iteratorINS9_10device_ptrIiEEEENSB_INSC_IdEEEESG_dNS9_4plusIvEENS9_8equal_toIvEEdEE10hipError_tPvRmT2_T3_T4_T5_mT6_T7_P12ihipStream_tbENKUlT_T0_E_clISt17integral_constantIbLb1EES10_IbLb0EEEEDaSW_SX_EUlSW_E_NS1_11comp_targetILNS1_3genE5ELNS1_11target_archE942ELNS1_3gpuE9ELNS1_3repE0EEENS1_30default_config_static_selectorELNS0_4arch9wavefront6targetE1EEEvT1_,"axG",@progbits,_ZN7rocprim17ROCPRIM_400000_NS6detail17trampoline_kernelINS0_14default_configENS1_27scan_by_key_config_selectorIidEEZZNS1_16scan_by_key_implILNS1_25lookback_scan_determinismE0ELb0ES3_N6thrust23THRUST_200600_302600_NS6detail15normal_iteratorINS9_10device_ptrIiEEEENSB_INSC_IdEEEESG_dNS9_4plusIvEENS9_8equal_toIvEEdEE10hipError_tPvRmT2_T3_T4_T5_mT6_T7_P12ihipStream_tbENKUlT_T0_E_clISt17integral_constantIbLb1EES10_IbLb0EEEEDaSW_SX_EUlSW_E_NS1_11comp_targetILNS1_3genE5ELNS1_11target_archE942ELNS1_3gpuE9ELNS1_3repE0EEENS1_30default_config_static_selectorELNS0_4arch9wavefront6targetE1EEEvT1_,comdat
	.protected	_ZN7rocprim17ROCPRIM_400000_NS6detail17trampoline_kernelINS0_14default_configENS1_27scan_by_key_config_selectorIidEEZZNS1_16scan_by_key_implILNS1_25lookback_scan_determinismE0ELb0ES3_N6thrust23THRUST_200600_302600_NS6detail15normal_iteratorINS9_10device_ptrIiEEEENSB_INSC_IdEEEESG_dNS9_4plusIvEENS9_8equal_toIvEEdEE10hipError_tPvRmT2_T3_T4_T5_mT6_T7_P12ihipStream_tbENKUlT_T0_E_clISt17integral_constantIbLb1EES10_IbLb0EEEEDaSW_SX_EUlSW_E_NS1_11comp_targetILNS1_3genE5ELNS1_11target_archE942ELNS1_3gpuE9ELNS1_3repE0EEENS1_30default_config_static_selectorELNS0_4arch9wavefront6targetE1EEEvT1_ ; -- Begin function _ZN7rocprim17ROCPRIM_400000_NS6detail17trampoline_kernelINS0_14default_configENS1_27scan_by_key_config_selectorIidEEZZNS1_16scan_by_key_implILNS1_25lookback_scan_determinismE0ELb0ES3_N6thrust23THRUST_200600_302600_NS6detail15normal_iteratorINS9_10device_ptrIiEEEENSB_INSC_IdEEEESG_dNS9_4plusIvEENS9_8equal_toIvEEdEE10hipError_tPvRmT2_T3_T4_T5_mT6_T7_P12ihipStream_tbENKUlT_T0_E_clISt17integral_constantIbLb1EES10_IbLb0EEEEDaSW_SX_EUlSW_E_NS1_11comp_targetILNS1_3genE5ELNS1_11target_archE942ELNS1_3gpuE9ELNS1_3repE0EEENS1_30default_config_static_selectorELNS0_4arch9wavefront6targetE1EEEvT1_
	.globl	_ZN7rocprim17ROCPRIM_400000_NS6detail17trampoline_kernelINS0_14default_configENS1_27scan_by_key_config_selectorIidEEZZNS1_16scan_by_key_implILNS1_25lookback_scan_determinismE0ELb0ES3_N6thrust23THRUST_200600_302600_NS6detail15normal_iteratorINS9_10device_ptrIiEEEENSB_INSC_IdEEEESG_dNS9_4plusIvEENS9_8equal_toIvEEdEE10hipError_tPvRmT2_T3_T4_T5_mT6_T7_P12ihipStream_tbENKUlT_T0_E_clISt17integral_constantIbLb1EES10_IbLb0EEEEDaSW_SX_EUlSW_E_NS1_11comp_targetILNS1_3genE5ELNS1_11target_archE942ELNS1_3gpuE9ELNS1_3repE0EEENS1_30default_config_static_selectorELNS0_4arch9wavefront6targetE1EEEvT1_
	.p2align	8
	.type	_ZN7rocprim17ROCPRIM_400000_NS6detail17trampoline_kernelINS0_14default_configENS1_27scan_by_key_config_selectorIidEEZZNS1_16scan_by_key_implILNS1_25lookback_scan_determinismE0ELb0ES3_N6thrust23THRUST_200600_302600_NS6detail15normal_iteratorINS9_10device_ptrIiEEEENSB_INSC_IdEEEESG_dNS9_4plusIvEENS9_8equal_toIvEEdEE10hipError_tPvRmT2_T3_T4_T5_mT6_T7_P12ihipStream_tbENKUlT_T0_E_clISt17integral_constantIbLb1EES10_IbLb0EEEEDaSW_SX_EUlSW_E_NS1_11comp_targetILNS1_3genE5ELNS1_11target_archE942ELNS1_3gpuE9ELNS1_3repE0EEENS1_30default_config_static_selectorELNS0_4arch9wavefront6targetE1EEEvT1_,@function
_ZN7rocprim17ROCPRIM_400000_NS6detail17trampoline_kernelINS0_14default_configENS1_27scan_by_key_config_selectorIidEEZZNS1_16scan_by_key_implILNS1_25lookback_scan_determinismE0ELb0ES3_N6thrust23THRUST_200600_302600_NS6detail15normal_iteratorINS9_10device_ptrIiEEEENSB_INSC_IdEEEESG_dNS9_4plusIvEENS9_8equal_toIvEEdEE10hipError_tPvRmT2_T3_T4_T5_mT6_T7_P12ihipStream_tbENKUlT_T0_E_clISt17integral_constantIbLb1EES10_IbLb0EEEEDaSW_SX_EUlSW_E_NS1_11comp_targetILNS1_3genE5ELNS1_11target_archE942ELNS1_3gpuE9ELNS1_3repE0EEENS1_30default_config_static_selectorELNS0_4arch9wavefront6targetE1EEEvT1_: ; @_ZN7rocprim17ROCPRIM_400000_NS6detail17trampoline_kernelINS0_14default_configENS1_27scan_by_key_config_selectorIidEEZZNS1_16scan_by_key_implILNS1_25lookback_scan_determinismE0ELb0ES3_N6thrust23THRUST_200600_302600_NS6detail15normal_iteratorINS9_10device_ptrIiEEEENSB_INSC_IdEEEESG_dNS9_4plusIvEENS9_8equal_toIvEEdEE10hipError_tPvRmT2_T3_T4_T5_mT6_T7_P12ihipStream_tbENKUlT_T0_E_clISt17integral_constantIbLb1EES10_IbLb0EEEEDaSW_SX_EUlSW_E_NS1_11comp_targetILNS1_3genE5ELNS1_11target_archE942ELNS1_3gpuE9ELNS1_3repE0EEENS1_30default_config_static_selectorELNS0_4arch9wavefront6targetE1EEEvT1_
; %bb.0:
	s_load_dwordx8 s[92:99], s[0:1], 0x0
	s_load_dwordx8 s[84:91], s[0:1], 0x30
	s_load_dwordx2 s[4:5], s[0:1], 0x50
	s_load_dword s3, s[0:1], 0x58
	s_load_dwordx8 s[16:23], s[0:1], 0x60
	s_waitcnt lgkmcnt(0)
	s_lshl_b64 s[0:1], s[94:95], 2
	s_add_u32 s8, s92, s0
	s_addc_u32 s9, s93, s1
	s_lshl_b64 s[92:93], s[94:95], 3
	s_add_u32 s10, s96, s92
	s_addc_u32 s11, s97, s93
	s_mov_b64 s[96:97], s[4:5]
	s_mul_i32 s0, s97, s3
	s_mul_hi_u32 s1, s96, s3
	s_add_i32 s12, s1, s0
	s_cmp_lg_u64 s[20:21], 0
	s_mul_i32 s0, s2, 0x1500
	s_mov_b32 s1, 0
	s_cselect_b64 s[52:53], -1, 0
	s_lshl_b64 s[4:5], s[0:1], 2
	s_add_u32 s50, s8, s4
	s_addc_u32 s51, s9, s5
	s_lshl_b64 s[94:95], s[0:1], 3
	s_add_u32 s48, s10, s94
	s_mul_i32 s3, s96, s3
	s_addc_u32 s49, s11, s95
	s_add_u32 s54, s3, s2
	s_addc_u32 s55, s12, 0
	s_mov_b64 s[14:15], s[18:19]
	s_mov_b64 s[18:19], s[22:23]
                                        ; implicit-def: $vgpr133 : SGPR spill to VGPR lane
	s_add_u32 s4, s16, -1
	v_writelane_b32 v133, s12, 0
	s_addc_u32 s5, s17, -1
	v_mov_b64_e32 v[2:3], s[4:5]
	v_writelane_b32 v133, s13, 1
	v_writelane_b32 v133, s14, 2
	;; [unrolled: 1-line block ×5, first 2 shown]
	v_cmp_ge_u64_e64 s[0:1], s[54:55], v[2:3]
	s_mov_b64 s[6:7], 0
	s_mov_b64 s[10:11], -1
	v_writelane_b32 v133, s18, 6
	s_and_b64 vcc, exec, s[0:1]
	s_mul_i32 s33, s4, 0xffffeb00
	s_barrier
	v_writelane_b32 v133, s19, 7
	s_cbranch_vccz .LBB1109_112
; %bb.1:
	v_mov_b64_e32 v[2:3], s[50:51]
	flat_load_dword v2, v[2:3]
	s_add_i32 s64, s33, s90
	v_cmp_gt_u32_e64 s[46:47], s64, v0
	s_waitcnt vmcnt(0) lgkmcnt(0)
	v_mov_b32_e32 v4, v2
	s_and_saveexec_b64 s[4:5], s[46:47]
	s_cbranch_execz .LBB1109_3
; %bb.2:
	v_lshlrev_b32_e32 v4, 2, v0
	v_mov_b32_e32 v5, 0
	v_lshl_add_u64 v[4:5], s[50:51], 0, v[4:5]
	flat_load_dword v4, v[4:5]
.LBB1109_3:
	s_or_b64 exec, exec, s[4:5]
	v_or_b32_e32 v1, 0x100, v0
	v_cmp_gt_u32_e64 s[4:5], s64, v1
	v_mov_b32_e32 v5, v2
	s_and_saveexec_b64 s[6:7], s[4:5]
	s_cbranch_execz .LBB1109_5
; %bb.4:
	v_lshlrev_b32_e32 v6, 2, v0
	v_mov_b32_e32 v7, 0
	v_lshl_add_u64 v[6:7], s[50:51], 0, v[6:7]
	flat_load_dword v5, v[6:7] offset:1024
.LBB1109_5:
	s_or_b64 exec, exec, s[6:7]
	v_or_b32_e32 v1, 0x200, v0
	v_cmp_gt_u32_e64 s[6:7], s64, v1
	v_mov_b32_e32 v6, v2
	s_and_saveexec_b64 s[8:9], s[6:7]
	s_cbranch_execz .LBB1109_7
; %bb.6:
	v_lshlrev_b32_e32 v6, 2, v0
	v_mov_b32_e32 v7, 0
	v_lshl_add_u64 v[6:7], s[50:51], 0, v[6:7]
	flat_load_dword v6, v[6:7] offset:2048
.LBB1109_7:
	;; [unrolled: 12-line block ×3, first 2 shown]
	s_or_b64 exec, exec, s[10:11]
	v_or_b32_e32 v20, 0x400, v0
	v_cmp_gt_u32_e64 s[10:11], s64, v20
	v_mov_b32_e32 v8, v2
	s_and_saveexec_b64 s[12:13], s[10:11]
	s_cbranch_execz .LBB1109_11
; %bb.10:
	v_lshlrev_b32_e32 v8, 2, v20
	v_mov_b32_e32 v9, 0
	v_lshl_add_u64 v[8:9], s[50:51], 0, v[8:9]
	flat_load_dword v8, v[8:9]
.LBB1109_11:
	s_or_b64 exec, exec, s[12:13]
	v_or_b32_e32 v22, 0x500, v0
	v_cmp_gt_u32_e64 s[12:13], s64, v22
	v_mov_b32_e32 v9, v2
	s_and_saveexec_b64 s[14:15], s[12:13]
	s_cbranch_execz .LBB1109_13
; %bb.12:
	v_lshlrev_b32_e32 v10, 2, v22
	v_mov_b32_e32 v11, 0
	v_lshl_add_u64 v[10:11], s[50:51], 0, v[10:11]
	flat_load_dword v9, v[10:11]
.LBB1109_13:
	;; [unrolled: 12-line block ×16, first 2 shown]
	s_or_b64 exec, exec, s[44:45]
	v_or_b32_e32 v65, 0x1400, v0
	v_cmp_gt_u32_e64 s[44:45], s64, v65
	v_mov_b32_e32 v3, 0
	s_and_saveexec_b64 s[56:57], s[44:45]
	s_cbranch_execz .LBB1109_43
; %bb.42:
	v_lshlrev_b32_e32 v2, 2, v65
	v_lshl_add_u64 v[2:3], s[50:51], 0, v[2:3]
	flat_load_dword v2, v[2:3]
.LBB1109_43:
	s_or_b64 exec, exec, s[56:57]
	v_lshlrev_b32_e32 v3, 2, v0
	s_movk_i32 s3, 0x50
	s_waitcnt vmcnt(0) lgkmcnt(0)
	ds_write2st64_b32 v3, v4, v5 offset1:4
	ds_write2st64_b32 v3, v6, v7 offset0:8 offset1:12
	ds_write2st64_b32 v3, v8, v9 offset0:16 offset1:20
	;; [unrolled: 1-line block ×9, first 2 shown]
	ds_write_b32 v3, v2 offset:20480
	v_mad_u32_u24 v2, v0, s3, v3
	s_waitcnt lgkmcnt(0)
	s_barrier
	ds_read2_b32 v[40:41], v2 offset0:7 offset1:8
	ds_read2_b32 v[44:45], v2 offset0:5 offset1:6
	;; [unrolled: 1-line block ×3, first 2 shown]
	ds_read2_b32 v[36:37], v2 offset1:1
	ds_read2_b32 v[32:33], v2 offset0:4 offset1:9
	ds_read2_b32 v[8:9], v2 offset0:15 offset1:16
	ds_read_b32 v64, v2 offset:56
	ds_read2_b32 v[16:17], v2 offset0:12 offset1:13
	ds_read2_b32 v[24:25], v2 offset0:10 offset1:11
	;; [unrolled: 1-line block ×4, first 2 shown]
	s_cmp_eq_u64 s[54:55], 0
	s_mov_b64 s[56:57], s[50:51]
	s_cbranch_scc1 .LBB1109_47
; %bb.44:
	s_andn2_b64 vcc, exec, s[52:53]
	s_cbranch_vccnz .LBB1109_291
; %bb.45:
	v_readlane_b32 s68, v133, 0
	v_readlane_b32 s74, v133, 6
	;; [unrolled: 1-line block ×3, first 2 shown]
	s_lshl_b64 s[56:57], s[54:55], 2
	s_mov_b64 s[62:63], s[74:75]
	s_add_u32 s3, s62, s56
	s_addc_u32 s57, s63, s57
	s_add_u32 s56, s3, -4
	s_addc_u32 s57, s57, -1
	v_readlane_b32 s69, v133, 1
	v_readlane_b32 s70, v133, 2
	;; [unrolled: 1-line block ×5, first 2 shown]
	s_cbranch_execnz .LBB1109_47
.LBB1109_46:
	s_add_u32 s56, s50, -4
	s_addc_u32 s57, s51, -1
.LBB1109_47:
	v_mov_b64_e32 v[6:7], s[56:57]
	flat_load_dword v68, v[6:7]
	s_movk_i32 s3, 0xffb0
	v_mad_i32_i24 v66, v0, s3, v2
	v_cmp_ne_u32_e32 vcc, 0, v0
	s_waitcnt lgkmcnt(0)
	ds_write_b32 v66, v5 offset:21504
	s_waitcnt lgkmcnt(0)
	s_barrier
	s_and_saveexec_b64 s[56:57], vcc
	s_cbranch_execz .LBB1109_49
; %bb.48:
	s_waitcnt vmcnt(0)
	ds_read_b32 v68, v66 offset:21500
.LBB1109_49:
	s_or_b64 exec, exec, s[56:57]
	v_mov_b32_e32 v7, 0
	s_waitcnt lgkmcnt(0)
	s_barrier
	s_waitcnt lgkmcnt(0)
                                        ; implicit-def: $vgpr2_vgpr3
	s_and_saveexec_b64 s[56:57], s[46:47]
	s_cbranch_execnz .LBB1109_271
; %bb.50:
	s_or_b64 exec, exec, s[56:57]
                                        ; implicit-def: $vgpr6_vgpr7
	s_and_saveexec_b64 s[46:47], s[4:5]
	s_cbranch_execnz .LBB1109_272
.LBB1109_51:
	s_or_b64 exec, exec, s[46:47]
                                        ; implicit-def: $vgpr10_vgpr11
	s_and_saveexec_b64 s[4:5], s[6:7]
	s_cbranch_execnz .LBB1109_273
.LBB1109_52:
	s_or_b64 exec, exec, s[4:5]
                                        ; implicit-def: $vgpr14_vgpr15
	s_and_saveexec_b64 s[4:5], s[8:9]
	s_cbranch_execnz .LBB1109_274
.LBB1109_53:
	s_or_b64 exec, exec, s[4:5]
                                        ; implicit-def: $vgpr18_vgpr19
	s_and_saveexec_b64 s[4:5], s[10:11]
	s_cbranch_execnz .LBB1109_275
.LBB1109_54:
	s_or_b64 exec, exec, s[4:5]
                                        ; implicit-def: $vgpr20_vgpr21
	s_and_saveexec_b64 s[4:5], s[12:13]
	s_cbranch_execnz .LBB1109_276
.LBB1109_55:
	s_or_b64 exec, exec, s[4:5]
                                        ; implicit-def: $vgpr22_vgpr23
	s_and_saveexec_b64 s[4:5], s[14:15]
	s_cbranch_execnz .LBB1109_277
.LBB1109_56:
	s_or_b64 exec, exec, s[4:5]
                                        ; implicit-def: $vgpr26_vgpr27
	s_and_saveexec_b64 s[4:5], s[16:17]
	s_cbranch_execnz .LBB1109_278
.LBB1109_57:
	s_or_b64 exec, exec, s[4:5]
                                        ; implicit-def: $vgpr30_vgpr31
	s_and_saveexec_b64 s[4:5], s[18:19]
	s_cbranch_execnz .LBB1109_279
.LBB1109_58:
	s_or_b64 exec, exec, s[4:5]
                                        ; implicit-def: $vgpr34_vgpr35
	s_and_saveexec_b64 s[4:5], s[20:21]
	s_cbranch_execnz .LBB1109_280
.LBB1109_59:
	s_or_b64 exec, exec, s[4:5]
                                        ; implicit-def: $vgpr38_vgpr39
	s_and_saveexec_b64 s[4:5], s[22:23]
	s_cbranch_execnz .LBB1109_281
.LBB1109_60:
	s_or_b64 exec, exec, s[4:5]
                                        ; implicit-def: $vgpr42_vgpr43
	s_and_saveexec_b64 s[4:5], s[24:25]
	s_cbranch_execnz .LBB1109_282
.LBB1109_61:
	s_or_b64 exec, exec, s[4:5]
                                        ; implicit-def: $vgpr46_vgpr47
	s_and_saveexec_b64 s[4:5], s[26:27]
	s_cbranch_execnz .LBB1109_283
.LBB1109_62:
	s_or_b64 exec, exec, s[4:5]
                                        ; implicit-def: $vgpr48_vgpr49
	s_and_saveexec_b64 s[4:5], s[28:29]
	s_cbranch_execnz .LBB1109_284
.LBB1109_63:
	s_or_b64 exec, exec, s[4:5]
                                        ; implicit-def: $vgpr50_vgpr51
	s_and_saveexec_b64 s[4:5], s[30:31]
	s_cbranch_execnz .LBB1109_285
.LBB1109_64:
	s_or_b64 exec, exec, s[4:5]
                                        ; implicit-def: $vgpr52_vgpr53
	s_and_saveexec_b64 s[4:5], s[34:35]
	s_cbranch_execnz .LBB1109_286
.LBB1109_65:
	s_or_b64 exec, exec, s[4:5]
                                        ; implicit-def: $vgpr54_vgpr55
	s_and_saveexec_b64 s[4:5], s[36:37]
	s_cbranch_execnz .LBB1109_287
.LBB1109_66:
	s_or_b64 exec, exec, s[4:5]
                                        ; implicit-def: $vgpr56_vgpr57
	s_and_saveexec_b64 s[4:5], s[38:39]
	s_cbranch_execnz .LBB1109_288
.LBB1109_67:
	s_or_b64 exec, exec, s[4:5]
                                        ; implicit-def: $vgpr58_vgpr59
	s_and_saveexec_b64 s[4:5], s[40:41]
	s_cbranch_execnz .LBB1109_289
.LBB1109_68:
	s_or_b64 exec, exec, s[4:5]
                                        ; implicit-def: $vgpr60_vgpr61
	s_and_saveexec_b64 s[4:5], s[42:43]
	s_cbranch_execnz .LBB1109_290
.LBB1109_69:
	s_or_b64 exec, exec, s[4:5]
                                        ; implicit-def: $vgpr62_vgpr63
	s_and_saveexec_b64 s[4:5], s[44:45]
	s_cbranch_execz .LBB1109_71
.LBB1109_70:
	v_lshlrev_b32_e32 v62, 3, v65
	v_mov_b32_e32 v63, 0
	v_lshl_add_u64 v[62:63], s[48:49], 0, v[62:63]
	flat_load_dwordx2 v[62:63], v[62:63]
.LBB1109_71:
	s_or_b64 exec, exec, s[4:5]
	v_lshl_add_u32 v69, v0, 2, v66
	v_mul_u32_u24_e32 v65, 21, v0
	s_waitcnt vmcnt(0) lgkmcnt(0)
	ds_write2st64_b64 v69, v[2:3], v[6:7] offset1:4
	ds_write2st64_b64 v69, v[10:11], v[14:15] offset0:8 offset1:12
	ds_write2st64_b64 v69, v[18:19], v[20:21] offset0:16 offset1:20
	;; [unrolled: 1-line block ×9, first 2 shown]
	ds_write_b64 v69, v[62:63] offset:40960
	v_mov_b64_e32 v[10:11], 0
	v_cmp_gt_u32_e32 vcc, s64, v65
	s_mov_b64 s[6:7], 0
	s_mov_b64 s[10:11], 0
	s_mov_b32 s3, 0
	v_mov_b32_e32 v128, 0
	v_mov_b32_e32 v122, 0
	;; [unrolled: 1-line block ×5, first 2 shown]
	v_mov_b64_e32 v[70:71], v[10:11]
	v_mov_b64_e32 v[78:79], v[10:11]
	;; [unrolled: 1-line block ×8, first 2 shown]
	v_mov_b32_e32 v124, 0
	v_mov_b64_e32 v[38:39], v[10:11]
	v_mov_b64_e32 v[50:51], v[10:11]
	;; [unrolled: 1-line block ×5, first 2 shown]
	v_mov_b32_e32 v123, 0
	v_mov_b64_e32 v[34:35], v[10:11]
	v_mov_b64_e32 v[14:15], v[10:11]
	;; [unrolled: 1-line block ×5, first 2 shown]
	v_mov_b32_e32 v1, 0
	v_mov_b64_e32 v[2:3], v[10:11]
	s_waitcnt lgkmcnt(0)
	s_barrier
	s_waitcnt lgkmcnt(0)
                                        ; implicit-def: $sgpr4_sgpr5
                                        ; implicit-def: $vgpr83
                                        ; implicit-def: $vgpr82
                                        ; implicit-def: $vgpr84
                                        ; implicit-def: $vgpr85
	s_and_saveexec_b64 s[12:13], vcc
	s_cbranch_execz .LBB1109_111
; %bb.72:
	s_movk_i32 s4, 0xa0
	v_mad_u32_u24 v2, v0, s4, v69
	ds_read_b64 v[2:3], v2
	v_cmp_ne_u32_e32 vcc, v68, v36
	v_add_u32_e32 v6, 1, v65
	v_mov_b64_e32 v[10:11], 0
	v_cndmask_b32_e64 v1, 0, 1, vcc
	v_cmp_gt_u32_e32 vcc, s64, v6
	s_mov_b64 s[18:19], 0
	v_mov_b32_e32 v128, 0
	v_mov_b32_e32 v122, 0
	;; [unrolled: 1-line block ×5, first 2 shown]
	v_mov_b64_e32 v[70:71], v[10:11]
	v_mov_b64_e32 v[78:79], v[10:11]
	;; [unrolled: 1-line block ×8, first 2 shown]
	v_mov_b32_e32 v124, 0
	v_mov_b64_e32 v[38:39], v[10:11]
	v_mov_b64_e32 v[50:51], v[10:11]
	;; [unrolled: 1-line block ×5, first 2 shown]
	v_mov_b32_e32 v123, 0
	v_mov_b64_e32 v[34:35], v[10:11]
	v_mov_b64_e32 v[14:15], v[10:11]
	;; [unrolled: 1-line block ×5, first 2 shown]
                                        ; implicit-def: $sgpr4_sgpr5
                                        ; implicit-def: $vgpr83
                                        ; implicit-def: $vgpr82
                                        ; implicit-def: $vgpr84
                                        ; implicit-def: $vgpr85
	s_and_saveexec_b64 s[14:15], vcc
	s_cbranch_execz .LBB1109_110
; %bb.73:
	v_mul_u32_u24_e32 v6, 0xa0, v0
	v_add_u32_e32 v48, v69, v6
	ds_read2_b64 v[18:21], v48 offset0:1 offset1:2
	v_cmp_ne_u32_e64 s[8:9], v36, v37
	v_add_u32_e32 v6, 2, v65
	v_mov_b64_e32 v[10:11], 0
	v_cmp_ne_u32_e32 vcc, v28, v29
	v_cmp_ne_u32_e64 s[6:7], v29, v32
	v_cmp_ne_u32_e64 s[4:5], v37, v28
	v_cndmask_b32_e64 v128, 0, 1, s[8:9]
	v_cmp_gt_u32_e64 s[8:9], s64, v6
	s_mov_b64 s[20:21], 0
	v_mov_b32_e32 v127, 0
	v_mov_b32_e32 v122, 0
	;; [unrolled: 1-line block ×4, first 2 shown]
	v_mov_b64_e32 v[70:71], v[10:11]
	v_mov_b64_e32 v[78:79], v[10:11]
	;; [unrolled: 1-line block ×8, first 2 shown]
	v_mov_b32_e32 v124, 0
	v_mov_b64_e32 v[38:39], v[10:11]
	v_mov_b64_e32 v[50:51], v[10:11]
	;; [unrolled: 1-line block ×5, first 2 shown]
	v_mov_b32_e32 v123, 0
	v_mov_b64_e32 v[34:35], v[10:11]
	v_mov_b64_e32 v[14:15], v[10:11]
	;; [unrolled: 1-line block ×4, first 2 shown]
                                        ; implicit-def: $sgpr22_sgpr23
                                        ; implicit-def: $vgpr83
                                        ; implicit-def: $vgpr82
                                        ; implicit-def: $vgpr84
                                        ; implicit-def: $vgpr85
	s_and_saveexec_b64 s[16:17], s[8:9]
	s_cbranch_execz .LBB1109_109
; %bb.74:
	v_cndmask_b32_e64 v6, 0, 1, s[4:5]
	v_cndmask_b32_e64 v7, 0, 1, s[6:7]
	v_lshlrev_b16_e32 v6, 8, v6
	v_lshlrev_b16_e32 v7, 8, v7
	v_cndmask_b32_e64 v10, 0, 1, vcc
	v_or_b32_e32 v6, v128, v6
	v_or_b32_sdwa v7, v10, v7 dst_sel:WORD_1 dst_unused:UNUSED_PAD src0_sel:DWORD src1_sel:DWORD
	v_add_u32_e32 v10, 3, v65
	v_or_b32_sdwa v83, v6, v7 dst_sel:DWORD dst_unused:UNUSED_PAD src0_sel:WORD_0 src1_sel:DWORD
	v_cmp_gt_u32_e32 vcc, s64, v10
	v_mov_b64_e32 v[10:11], 0
	v_and_b32_e32 v128, 0xffff, v83
	s_waitcnt lgkmcnt(0)
	v_mov_b32_e32 v6, v20
	v_mov_b32_e32 v7, v21
	s_mov_b64 s[4:5], 0
	v_mov_b32_e32 v127, 0
	v_mov_b32_e32 v122, 0
	;; [unrolled: 1-line block ×4, first 2 shown]
	v_mov_b64_e32 v[70:71], v[10:11]
	v_mov_b64_e32 v[78:79], v[10:11]
	;; [unrolled: 1-line block ×8, first 2 shown]
	v_mov_b32_e32 v124, 0
	v_mov_b64_e32 v[38:39], v[10:11]
	v_mov_b64_e32 v[50:51], v[10:11]
	;; [unrolled: 1-line block ×5, first 2 shown]
	v_mov_b32_e32 v123, 0
	v_mov_b64_e32 v[34:35], v[10:11]
	v_mov_b64_e32 v[14:15], v[10:11]
	;; [unrolled: 1-line block ×3, first 2 shown]
                                        ; implicit-def: $sgpr6_sgpr7
                                        ; implicit-def: $vgpr82
                                        ; implicit-def: $vgpr84
                                        ; implicit-def: $vgpr85
	s_and_saveexec_b64 s[18:19], vcc
	s_cbranch_execz .LBB1109_108
; %bb.75:
	ds_read2_b64 v[26:29], v48 offset0:3 offset1:4
	v_add_u32_e32 v10, 4, v65
	v_cmp_gt_u32_e32 vcc, s64, v10
	v_mov_b64_e32 v[10:11], 0
	v_and_b32_e32 v128, 0xffffff, v83
	s_mov_b64 s[6:7], 0
	v_mov_b32_e32 v127, 0
	v_mov_b32_e32 v122, 0
	;; [unrolled: 1-line block ×4, first 2 shown]
	v_mov_b64_e32 v[70:71], v[10:11]
	v_mov_b64_e32 v[78:79], v[10:11]
	;; [unrolled: 1-line block ×8, first 2 shown]
	v_mov_b32_e32 v124, 0
	v_mov_b64_e32 v[38:39], v[10:11]
	v_mov_b64_e32 v[50:51], v[10:11]
	;; [unrolled: 1-line block ×5, first 2 shown]
	v_mov_b32_e32 v123, 0
	v_mov_b64_e32 v[34:35], v[10:11]
	v_mov_b64_e32 v[14:15], v[10:11]
                                        ; implicit-def: $sgpr8_sgpr9
                                        ; implicit-def: $vgpr82
                                        ; implicit-def: $vgpr84
                                        ; implicit-def: $vgpr85
	s_and_saveexec_b64 s[20:21], vcc
	s_cbranch_execz .LBB1109_107
; %bb.76:
	v_add_u32_e32 v10, 5, v65
	v_cmp_gt_u32_e32 vcc, s64, v10
	v_mov_b64_e32 v[10:11], 0
	s_waitcnt lgkmcnt(0)
	v_mov_b32_e32 v14, v28
	v_mov_b32_e32 v15, v29
	;; [unrolled: 1-line block ×6, first 2 shown]
	v_mov_b64_e32 v[70:71], v[10:11]
	v_mov_b64_e32 v[78:79], v[10:11]
	;; [unrolled: 1-line block ×8, first 2 shown]
	v_mov_b32_e32 v124, 0
	v_mov_b64_e32 v[38:39], v[10:11]
	v_mov_b64_e32 v[50:51], v[10:11]
	;; [unrolled: 1-line block ×5, first 2 shown]
	v_mov_b32_e32 v123, 0
	v_mov_b64_e32 v[34:35], v[10:11]
                                        ; implicit-def: $sgpr8_sgpr9
                                        ; implicit-def: $vgpr82
                                        ; implicit-def: $vgpr84
                                        ; implicit-def: $vgpr85
	s_and_saveexec_b64 s[22:23], vcc
	s_cbranch_execz .LBB1109_106
; %bb.77:
	ds_read2_b64 v[34:37], v48 offset0:5 offset1:6
	v_cmp_ne_u32_e32 vcc, v32, v44
	v_add_u32_e32 v10, 6, v65
	s_mov_b64 s[28:29], 0
	v_cndmask_b32_e64 v123, 0, 1, vcc
	v_cmp_gt_u32_e32 vcc, s64, v10
	v_mov_b64_e32 v[10:11], 0
	v_mov_b32_e32 v127, 0
	v_mov_b32_e32 v122, 0
	;; [unrolled: 1-line block ×4, first 2 shown]
	v_mov_b64_e32 v[70:71], v[10:11]
	v_mov_b64_e32 v[78:79], v[10:11]
	;; [unrolled: 1-line block ×8, first 2 shown]
	v_mov_b32_e32 v124, 0
	v_mov_b64_e32 v[38:39], v[10:11]
	v_mov_b64_e32 v[50:51], v[10:11]
	;; [unrolled: 1-line block ×5, first 2 shown]
                                        ; implicit-def: $sgpr6_sgpr7
                                        ; implicit-def: $vgpr82
                                        ; implicit-def: $vgpr84
                                        ; implicit-def: $vgpr85
	s_and_saveexec_b64 s[24:25], vcc
	s_cbranch_execz .LBB1109_105
; %bb.78:
	v_cmp_ne_u32_e64 s[8:9], v44, v45
	v_add_u32_e32 v10, 7, v65
	s_waitcnt lgkmcnt(0)
	v_mov_b32_e32 v22, v36
	v_cndmask_b32_e64 v127, 0, 1, s[8:9]
	v_cmp_gt_u32_e64 s[8:9], s64, v10
	v_mov_b64_e32 v[10:11], 0
	v_mov_b32_e32 v23, v37
	v_cmp_ne_u32_e32 vcc, v40, v41
	v_cmp_ne_u32_e64 s[6:7], v41, v33
	v_cmp_ne_u32_e64 s[4:5], v45, v40
	s_mov_b64 s[30:31], 0
	v_mov_b32_e32 v126, 0
	v_mov_b32_e32 v122, 0
	;; [unrolled: 1-line block ×3, first 2 shown]
	v_mov_b64_e32 v[70:71], v[10:11]
	v_mov_b64_e32 v[78:79], v[10:11]
	;; [unrolled: 1-line block ×8, first 2 shown]
	v_mov_b32_e32 v124, 0
	v_mov_b64_e32 v[38:39], v[10:11]
	v_mov_b64_e32 v[50:51], v[10:11]
	v_mov_b64_e32 v[30:31], v[10:11]
	v_mov_b64_e32 v[42:43], v[10:11]
                                        ; implicit-def: $sgpr34_sgpr35
                                        ; implicit-def: $vgpr82
                                        ; implicit-def: $vgpr84
                                        ; implicit-def: $vgpr85
	s_and_saveexec_b64 s[26:27], s[8:9]
	s_cbranch_execz .LBB1109_104
; %bb.79:
	v_cndmask_b32_e64 v10, 0, 1, s[4:5]
	v_cndmask_b32_e64 v11, 0, 1, s[6:7]
	v_lshlrev_b16_e32 v10, 8, v10
	v_lshlrev_b16_e32 v11, 8, v11
	v_cndmask_b32_e64 v20, 0, 1, vcc
	ds_read2_b64 v[42:45], v48 offset0:7 offset1:8
	v_or_b32_e32 v10, v127, v10
	v_or_b32_sdwa v11, v20, v11 dst_sel:WORD_1 dst_unused:UNUSED_PAD src0_sel:DWORD src1_sel:DWORD
	s_mov_b64 s[4:5], 0
	v_or_b32_sdwa v82, v10, v11 dst_sel:DWORD dst_unused:UNUSED_PAD src0_sel:WORD_0 src1_sel:DWORD
	v_add_u32_e32 v10, 8, v65
	v_cmp_gt_u32_e32 vcc, s64, v10
	v_mov_b64_e32 v[10:11], 0
	v_and_b32_e32 v127, 0xffff, v82
	v_mov_b32_e32 v126, 0
	v_mov_b32_e32 v122, 0
	;; [unrolled: 1-line block ×3, first 2 shown]
	v_mov_b64_e32 v[70:71], v[10:11]
	v_mov_b64_e32 v[78:79], v[10:11]
	v_mov_b64_e32 v[62:63], v[10:11]
	v_mov_b64_e32 v[74:75], v[10:11]
	v_mov_b64_e32 v[54:55], v[10:11]
	v_mov_b64_e32 v[66:67], v[10:11]
	v_mov_b64_e32 v[46:47], v[10:11]
	v_mov_b64_e32 v[58:59], v[10:11]
	v_mov_b32_e32 v124, 0
	v_mov_b64_e32 v[38:39], v[10:11]
	v_mov_b64_e32 v[50:51], v[10:11]
	;; [unrolled: 1-line block ×3, first 2 shown]
                                        ; implicit-def: $sgpr6_sgpr7
                                        ; implicit-def: $vgpr84
                                        ; implicit-def: $vgpr85
	s_and_saveexec_b64 s[28:29], vcc
	s_cbranch_execz .LBB1109_103
; %bb.80:
	v_add_u32_e32 v10, 9, v65
	v_cmp_gt_u32_e32 vcc, s64, v10
	v_mov_b64_e32 v[10:11], 0
	s_waitcnt lgkmcnt(0)
	v_mov_b32_e32 v30, v44
	v_mov_b32_e32 v31, v45
	v_and_b32_e32 v127, 0xffffff, v82
	s_mov_b64 s[6:7], 0
	v_mov_b32_e32 v126, 0
	v_mov_b32_e32 v122, 0
	;; [unrolled: 1-line block ×3, first 2 shown]
	v_mov_b64_e32 v[70:71], v[10:11]
	v_mov_b64_e32 v[78:79], v[10:11]
	;; [unrolled: 1-line block ×8, first 2 shown]
	v_mov_b32_e32 v124, 0
	v_mov_b64_e32 v[38:39], v[10:11]
	v_mov_b64_e32 v[50:51], v[10:11]
                                        ; implicit-def: $sgpr8_sgpr9
                                        ; implicit-def: $vgpr84
                                        ; implicit-def: $vgpr85
	s_and_saveexec_b64 s[30:31], vcc
	s_cbranch_execz .LBB1109_102
; %bb.81:
	ds_read2_b64 v[50:53], v48 offset0:9 offset1:10
	v_add_u32_e32 v10, 10, v65
	v_cmp_gt_u32_e32 vcc, s64, v10
	v_mov_b64_e32 v[10:11], 0
	v_mov_b32_e32 v126, 0
	v_mov_b32_e32 v122, 0
	;; [unrolled: 1-line block ×3, first 2 shown]
	v_mov_b64_e32 v[70:71], v[10:11]
	v_mov_b64_e32 v[78:79], v[10:11]
	;; [unrolled: 1-line block ×8, first 2 shown]
	v_mov_b32_e32 v124, 0
	v_mov_b64_e32 v[38:39], v[10:11]
                                        ; implicit-def: $sgpr8_sgpr9
                                        ; implicit-def: $vgpr84
                                        ; implicit-def: $vgpr85
	s_and_saveexec_b64 s[34:35], vcc
	s_cbranch_execz .LBB1109_101
; %bb.82:
	v_cmp_ne_u32_e32 vcc, v33, v24
	v_add_u32_e32 v10, 11, v65
	s_waitcnt lgkmcnt(0)
	v_mov_b32_e32 v38, v52
	v_cndmask_b32_e64 v124, 0, 1, vcc
	v_cmp_gt_u32_e32 vcc, s64, v10
	v_mov_b64_e32 v[10:11], 0
	v_mov_b32_e32 v39, v53
	s_mov_b64 s[40:41], 0
	v_mov_b32_e32 v126, 0
	v_mov_b32_e32 v122, 0
	;; [unrolled: 1-line block ×3, first 2 shown]
	v_mov_b64_e32 v[70:71], v[10:11]
	v_mov_b64_e32 v[78:79], v[10:11]
	v_mov_b64_e32 v[62:63], v[10:11]
	v_mov_b64_e32 v[74:75], v[10:11]
	v_mov_b64_e32 v[54:55], v[10:11]
	v_mov_b64_e32 v[66:67], v[10:11]
	v_mov_b64_e32 v[46:47], v[10:11]
	v_mov_b64_e32 v[58:59], v[10:11]
                                        ; implicit-def: $sgpr6_sgpr7
                                        ; implicit-def: $vgpr84
                                        ; implicit-def: $vgpr85
	s_and_saveexec_b64 s[36:37], vcc
	s_cbranch_execz .LBB1109_100
; %bb.83:
	ds_read2_b64 v[58:61], v48 offset0:11 offset1:12
	v_cmp_ne_u32_e64 s[8:9], v24, v25
	v_add_u32_e32 v10, 12, v65
	v_cmp_ne_u32_e32 vcc, v16, v17
	v_cndmask_b32_e64 v126, 0, 1, s[8:9]
	v_cmp_gt_u32_e64 s[8:9], s64, v10
	v_mov_b64_e32 v[10:11], 0
	v_cmp_ne_u32_e64 s[6:7], v17, v64
	v_cmp_ne_u32_e64 s[4:5], v25, v16
	s_mov_b64 s[42:43], 0
	v_mov_b32_e32 v125, 0
	v_mov_b32_e32 v122, 0
	v_mov_b64_e32 v[70:71], v[10:11]
	v_mov_b64_e32 v[78:79], v[10:11]
	;; [unrolled: 1-line block ×7, first 2 shown]
                                        ; implicit-def: $sgpr44_sgpr45
                                        ; implicit-def: $vgpr84
                                        ; implicit-def: $vgpr85
	s_and_saveexec_b64 s[38:39], s[8:9]
	s_cbranch_execz .LBB1109_99
; %bb.84:
	v_cndmask_b32_e64 v10, 0, 1, s[4:5]
	v_cndmask_b32_e64 v11, 0, 1, s[6:7]
	v_lshlrev_b16_e32 v10, 8, v10
	v_lshlrev_b16_e32 v11, 8, v11
	v_cndmask_b32_e64 v16, 0, 1, vcc
	v_or_b32_e32 v10, v126, v10
	v_or_b32_sdwa v11, v16, v11 dst_sel:WORD_1 dst_unused:UNUSED_PAD src0_sel:DWORD src1_sel:DWORD
	s_waitcnt lgkmcnt(0)
	v_mov_b32_e32 v46, v60
	v_or_b32_sdwa v84, v10, v11 dst_sel:DWORD dst_unused:UNUSED_PAD src0_sel:WORD_0 src1_sel:DWORD
	v_add_u32_e32 v10, 13, v65
	v_cmp_gt_u32_e32 vcc, s64, v10
	v_mov_b64_e32 v[10:11], 0
	v_and_b32_e32 v126, 0xffff, v84
	v_mov_b32_e32 v47, v61
	s_mov_b64 s[4:5], 0
	v_mov_b32_e32 v125, 0
	v_mov_b32_e32 v122, 0
	v_mov_b64_e32 v[70:71], v[10:11]
	v_mov_b64_e32 v[78:79], v[10:11]
	;; [unrolled: 1-line block ×6, first 2 shown]
                                        ; implicit-def: $sgpr6_sgpr7
                                        ; implicit-def: $vgpr85
	s_and_saveexec_b64 s[40:41], vcc
	s_cbranch_execz .LBB1109_98
; %bb.85:
	ds_read2_b64 v[66:69], v48 offset0:13 offset1:14
	v_add_u32_e32 v10, 14, v65
	v_cmp_gt_u32_e32 vcc, s64, v10
	v_mov_b64_e32 v[10:11], 0
	v_and_b32_e32 v126, 0xffffff, v84
	s_mov_b64 s[6:7], 0
	v_mov_b32_e32 v125, 0
	v_mov_b32_e32 v122, 0
	v_mov_b64_e32 v[70:71], v[10:11]
	v_mov_b64_e32 v[78:79], v[10:11]
	;; [unrolled: 1-line block ×5, first 2 shown]
                                        ; implicit-def: $sgpr8_sgpr9
                                        ; implicit-def: $vgpr85
	s_and_saveexec_b64 s[42:43], vcc
	s_cbranch_execz .LBB1109_97
; %bb.86:
	v_add_u32_e32 v10, 15, v65
	v_cmp_gt_u32_e32 vcc, s64, v10
	v_mov_b64_e32 v[10:11], 0
	s_waitcnt lgkmcnt(0)
	v_mov_b32_e32 v54, v68
	v_mov_b32_e32 v55, v69
	;; [unrolled: 1-line block ×4, first 2 shown]
	v_mov_b64_e32 v[70:71], v[10:11]
	v_mov_b64_e32 v[78:79], v[10:11]
	;; [unrolled: 1-line block ×4, first 2 shown]
                                        ; implicit-def: $sgpr8_sgpr9
                                        ; implicit-def: $vgpr85
	s_and_saveexec_b64 s[44:45], vcc
	s_cbranch_execz .LBB1109_96
; %bb.87:
	ds_read2_b64 v[74:77], v48 offset0:15 offset1:16
	v_cmp_ne_u32_e32 vcc, v64, v8
	v_add_u32_e32 v10, 16, v65
	s_mov_b64 s[58:59], 0
	v_cndmask_b32_e64 v122, 0, 1, vcc
	v_cmp_gt_u32_e32 vcc, s64, v10
	v_mov_b64_e32 v[10:11], 0
	v_mov_b32_e32 v125, 0
	v_mov_b64_e32 v[70:71], v[10:11]
	v_mov_b64_e32 v[78:79], v[10:11]
	;; [unrolled: 1-line block ×3, first 2 shown]
                                        ; implicit-def: $sgpr6_sgpr7
                                        ; implicit-def: $vgpr85
	s_and_saveexec_b64 s[46:47], vcc
	s_cbranch_execz .LBB1109_95
; %bb.88:
	v_cmp_ne_u32_e64 s[8:9], v8, v9
	v_add_u32_e32 v8, 17, v65
	v_mov_b64_e32 v[10:11], 0
	s_waitcnt lgkmcnt(0)
	v_mov_b32_e32 v62, v76
	v_mov_b32_e32 v63, v77
	v_cmp_ne_u32_e32 vcc, v12, v13
	v_cmp_ne_u32_e64 s[6:7], v13, v4
	v_cmp_ne_u32_e64 s[4:5], v9, v12
	v_cndmask_b32_e64 v125, 0, 1, s[8:9]
	v_cmp_gt_u32_e64 s[8:9], s64, v8
	s_mov_b64 s[60:61], 0
	v_mov_b64_e32 v[70:71], v[10:11]
	v_mov_b64_e32 v[78:79], v[10:11]
                                        ; implicit-def: $sgpr62_sgpr63
                                        ; implicit-def: $vgpr85
	s_and_saveexec_b64 s[56:57], s[8:9]
	s_cbranch_execz .LBB1109_94
; %bb.89:
	v_cndmask_b32_e64 v8, 0, 1, s[4:5]
	v_cndmask_b32_e64 v9, 0, 1, s[6:7]
	ds_read2_b64 v[78:81], v48 offset0:17 offset1:18
	v_lshlrev_b16_e32 v8, 8, v8
	v_lshlrev_b16_e32 v9, 8, v9
	v_cndmask_b32_e64 v10, 0, 1, vcc
	v_or_b32_e32 v8, v125, v8
	v_or_b32_sdwa v9, v10, v9 dst_sel:WORD_1 dst_unused:UNUSED_PAD src0_sel:DWORD src1_sel:DWORD
	v_mov_b64_e32 v[10:11], 0
	v_or_b32_sdwa v85, v8, v9 dst_sel:DWORD dst_unused:UNUSED_PAD src0_sel:WORD_0 src1_sel:DWORD
	v_add_u32_e32 v8, 18, v65
	v_and_b32_e32 v125, 0xffff, v85
	v_cmp_gt_u32_e32 vcc, s64, v8
	s_mov_b64 s[4:5], 0
	v_mov_b64_e32 v[70:71], v[10:11]
                                        ; implicit-def: $sgpr8_sgpr9
	s_and_saveexec_b64 s[6:7], vcc
	s_cbranch_execz .LBB1109_93
; %bb.90:
	v_add_u32_e32 v8, 19, v65
	s_waitcnt lgkmcnt(0)
	v_mov_b32_e32 v70, v80
	v_mov_b32_e32 v71, v81
	v_cmp_gt_u32_e32 vcc, s64, v8
	v_and_b32_e32 v125, 0xffffff, v85
	v_mov_b64_e32 v[10:11], 0
                                        ; implicit-def: $sgpr8_sgpr9
	s_and_saveexec_b64 s[58:59], vcc
	s_xor_b64 s[58:59], exec, s[58:59]
	s_cbranch_execz .LBB1109_92
; %bb.91:
	ds_read2_b64 v[10:13], v48 offset0:19 offset1:20
	v_cmp_ne_u32_e32 vcc, v4, v5
	v_add_u32_e32 v4, 20, v65
	v_cmp_gt_u32_e64 s[4:5], s64, v4
	s_and_b64 s[8:9], vcc, exec
	s_and_b64 s[4:5], s[4:5], exec
	s_waitcnt lgkmcnt(0)
	v_mov_b64_e32 v[72:73], v[10:11]
	v_mov_b32_e32 v125, v85
.LBB1109_92:
	s_or_b64 exec, exec, s[58:59]
	s_and_b64 s[8:9], s[8:9], exec
	s_and_b64 s[60:61], s[4:5], exec
.LBB1109_93:
	s_or_b64 exec, exec, s[6:7]
	s_and_b64 s[62:63], s[8:9], exec
	s_and_b64 s[58:59], s[60:61], exec
	s_waitcnt lgkmcnt(0)
	v_mov_b64_e32 v[64:65], v[78:79]
	v_mov_b64_e32 v[56:57], v[74:75]
	;; [unrolled: 1-line block ×9, first 2 shown]
.LBB1109_94:
	s_or_b64 exec, exec, s[56:57]
	s_and_b64 s[6:7], s[62:63], exec
	s_and_b64 s[4:5], s[58:59], exec
.LBB1109_95:
	s_or_b64 exec, exec, s[46:47]
	s_and_b64 s[8:9], s[6:7], exec
	s_and_b64 s[6:7], s[4:5], exec
.LBB1109_96:
	s_or_b64 exec, exec, s[44:45]
	s_and_b64 s[8:9], s[8:9], exec
	s_and_b64 s[4:5], s[6:7], exec
	v_mov_b32_e32 v126, v84
.LBB1109_97:
	s_or_b64 exec, exec, s[42:43]
	s_and_b64 s[6:7], s[8:9], exec
	s_and_b64 s[42:43], s[4:5], exec
.LBB1109_98:
	s_or_b64 exec, exec, s[40:41]
	s_and_b64 s[44:45], s[6:7], exec
	s_and_b64 s[40:41], s[42:43], exec
.LBB1109_99:
	s_or_b64 exec, exec, s[38:39]
	s_and_b64 s[6:7], s[44:45], exec
	s_and_b64 s[4:5], s[40:41], exec
.LBB1109_100:
	s_or_b64 exec, exec, s[36:37]
	s_and_b64 s[8:9], s[6:7], exec
	s_and_b64 s[6:7], s[4:5], exec
.LBB1109_101:
	s_or_b64 exec, exec, s[34:35]
	s_and_b64 s[8:9], s[8:9], exec
	s_and_b64 s[4:5], s[6:7], exec
	v_mov_b32_e32 v127, v82
.LBB1109_102:
	s_or_b64 exec, exec, s[30:31]
	s_and_b64 s[6:7], s[8:9], exec
	s_and_b64 s[30:31], s[4:5], exec
.LBB1109_103:
	s_or_b64 exec, exec, s[28:29]
	s_and_b64 s[34:35], s[6:7], exec
	s_and_b64 s[28:29], s[30:31], exec
.LBB1109_104:
	s_or_b64 exec, exec, s[26:27]
	s_and_b64 s[6:7], s[34:35], exec
	s_and_b64 s[4:5], s[28:29], exec
.LBB1109_105:
	s_or_b64 exec, exec, s[24:25]
	s_and_b64 s[8:9], s[6:7], exec
	s_and_b64 s[6:7], s[4:5], exec
.LBB1109_106:
	s_or_b64 exec, exec, s[22:23]
	s_and_b64 s[8:9], s[8:9], exec
	s_and_b64 s[4:5], s[6:7], exec
	v_mov_b32_e32 v128, v83
.LBB1109_107:
	s_or_b64 exec, exec, s[20:21]
	s_and_b64 s[6:7], s[8:9], exec
	s_and_b64 s[20:21], s[4:5], exec
.LBB1109_108:
	s_or_b64 exec, exec, s[18:19]
	s_and_b64 s[22:23], s[6:7], exec
	s_and_b64 s[18:19], s[20:21], exec
.LBB1109_109:
	s_or_b64 exec, exec, s[16:17]
	s_and_b64 s[4:5], s[22:23], exec
	s_and_b64 s[6:7], s[18:19], exec
.LBB1109_110:
	s_or_b64 exec, exec, s[14:15]
	s_and_b64 s[4:5], s[4:5], exec
	s_and_b64 s[6:7], s[6:7], exec
.LBB1109_111:
	s_or_b64 exec, exec, s[12:13]
	s_mov_b64 s[8:9], 0
	s_and_b64 vcc, exec, s[10:11]
	s_cbranch_vccnz .LBB1109_113
	s_branch .LBB1109_121
.LBB1109_112:
                                        ; implicit-def: $sgpr4_sgpr5
                                        ; implicit-def: $vgpr83
                                        ; implicit-def: $vgpr82
                                        ; implicit-def: $vgpr84
                                        ; implicit-def: $vgpr85
                                        ; implicit-def: $vgpr12_vgpr13
                                        ; implicit-def: $vgpr72_vgpr73
                                        ; implicit-def: $vgpr64_vgpr65
                                        ; implicit-def: $vgpr122
                                        ; implicit-def: $vgpr56_vgpr57
                                        ; implicit-def: $vgpr48_vgpr49
                                        ; implicit-def: $vgpr40_vgpr41
                                        ; implicit-def: $vgpr124
                                        ; implicit-def: $vgpr32_vgpr33
                                        ; implicit-def: $vgpr24_vgpr25
                                        ; implicit-def: $vgpr123
                                        ; implicit-def: $vgpr16_vgpr17
                                        ; implicit-def: $vgpr8_vgpr9
                                        ; implicit-def: $vgpr4_vgpr5
                                        ; implicit-def: $vgpr1
                                        ; implicit-def: $vgpr128
                                        ; implicit-def: $vgpr127
                                        ; implicit-def: $vgpr126
                                        ; implicit-def: $vgpr125
                                        ; implicit-def: $sgpr3
                                        ; implicit-def: $sgpr8_sgpr9
                                        ; implicit-def: $vgpr78_vgpr79
                                        ; implicit-def: $vgpr74_vgpr75
                                        ; implicit-def: $vgpr66_vgpr67
                                        ; implicit-def: $vgpr58_vgpr59
                                        ; implicit-def: $vgpr50_vgpr51
                                        ; implicit-def: $vgpr42_vgpr43
                                        ; implicit-def: $vgpr34_vgpr35
                                        ; implicit-def: $vgpr26_vgpr27
                                        ; implicit-def: $vgpr18_vgpr19
	s_and_b64 vcc, exec, s[10:11]
	s_cbranch_vccz .LBB1109_121
.LBB1109_113:
	s_waitcnt lgkmcnt(0)
	v_mov_b32_e32 v3, 0
	v_lshlrev_b32_e32 v2, 2, v0
	v_lshl_add_u64 v[4:5], s[50:51], 0, v[2:3]
	v_add_co_u32_e32 v6, vcc, 0x1000, v4
	s_movk_i32 s3, 0x50
	s_nop 0
	v_addc_co_u32_e32 v7, vcc, 0, v5, vcc
	flat_load_dword v1, v[4:5]
	flat_load_dword v3, v[4:5] offset:1024
	flat_load_dword v10, v[4:5] offset:2048
	;; [unrolled: 1-line block ×3, first 2 shown]
	flat_load_dword v12, v[6:7]
	flat_load_dword v13, v[6:7] offset:1024
	flat_load_dword v14, v[6:7] offset:2048
	flat_load_dword v15, v[6:7] offset:3072
	v_add_co_u32_e32 v6, vcc, 0x2000, v4
	v_mad_u32_u24 v23, v0, s3, v2
	s_nop 0
	v_addc_co_u32_e32 v7, vcc, 0, v5, vcc
	v_add_co_u32_e32 v8, vcc, 0x3000, v4
	s_cmp_eq_u64 s[54:55], 0
	s_nop 0
	v_addc_co_u32_e32 v9, vcc, 0, v5, vcc
	flat_load_dword v16, v[6:7]
	flat_load_dword v17, v[6:7] offset:1024
	flat_load_dword v18, v[6:7] offset:2048
	;; [unrolled: 1-line block ×3, first 2 shown]
	flat_load_dword v20, v[8:9]
	flat_load_dword v21, v[8:9] offset:1024
	flat_load_dword v22, v[8:9] offset:2048
	;; [unrolled: 1-line block ×3, first 2 shown]
	v_add_co_u32_e32 v6, vcc, 0x4000, v4
	s_nop 1
	v_addc_co_u32_e32 v7, vcc, 0, v5, vcc
	v_add_co_u32_e32 v4, vcc, 0x5000, v4
	s_nop 1
	v_addc_co_u32_e32 v5, vcc, 0, v5, vcc
	flat_load_dword v8, v[6:7]
	flat_load_dword v9, v[6:7] offset:1024
	flat_load_dword v25, v[6:7] offset:2048
	;; [unrolled: 1-line block ×3, first 2 shown]
	flat_load_dword v27, v[4:5]
	s_waitcnt vmcnt(0) lgkmcnt(0)
	ds_write2st64_b32 v2, v1, v3 offset1:4
	ds_write2st64_b32 v2, v10, v11 offset0:8 offset1:12
	ds_write2st64_b32 v2, v12, v13 offset0:16 offset1:20
	;; [unrolled: 1-line block ×9, first 2 shown]
	ds_write_b32 v2, v27 offset:20480
	s_waitcnt lgkmcnt(0)
	s_barrier
	ds_read2_b32 v[8:9], v23 offset0:7 offset1:8
	ds_read2_b32 v[6:7], v23 offset0:5 offset1:6
	;; [unrolled: 1-line block ×3, first 2 shown]
	ds_read2_b32 v[10:11], v23 offset1:1
	ds_read2_b32 v[4:5], v23 offset0:4 offset1:9
	ds_read2_b32 v[16:17], v23 offset0:15 offset1:16
	ds_read_b32 v22, v23 offset:56
	ds_read2_b32 v[14:15], v23 offset0:12 offset1:13
	ds_read2_b32 v[12:13], v23 offset0:10 offset1:11
	;; [unrolled: 1-line block ×4, first 2 shown]
	s_cbranch_scc1 .LBB1109_118
; %bb.114:
	s_andn2_b64 vcc, exec, s[52:53]
	s_cbranch_vccnz .LBB1109_292
; %bb.115:
	v_readlane_b32 s8, v133, 0
	v_readlane_b32 s10, v133, 2
	v_readlane_b32 s11, v133, 3
	v_readlane_b32 s14, v133, 6
	v_readlane_b32 s15, v133, 7
	s_lshl_b64 s[4:5], s[54:55], 2
	s_mov_b64 s[10:11], s[14:15]
	s_add_u32 s3, s10, s4
	s_addc_u32 s5, s11, s5
	s_add_u32 s4, s3, -4
	s_addc_u32 s5, s5, -1
	v_readlane_b32 s9, v133, 1
	v_readlane_b32 s12, v133, 4
	;; [unrolled: 1-line block ×3, first 2 shown]
	s_cbranch_execnz .LBB1109_117
.LBB1109_116:
	s_add_u32 s4, s50, -4
	s_addc_u32 s5, s51, -1
.LBB1109_117:
	s_mov_b64 s[50:51], s[4:5]
.LBB1109_118:
	v_mov_b64_e32 v[24:25], s[50:51]
	flat_load_dword v1, v[24:25]
	s_movk_i32 s3, 0xffb0
	v_mad_i32_i24 v23, v0, s3, v23
	v_cmp_ne_u32_e32 vcc, 0, v0
	s_waitcnt lgkmcnt(0)
	ds_write_b32 v23, v21 offset:21504
	s_waitcnt lgkmcnt(0)
	s_barrier
	s_and_saveexec_b64 s[4:5], vcc
	s_cbranch_execz .LBB1109_120
; %bb.119:
	s_waitcnt vmcnt(0)
	ds_read_b32 v1, v23 offset:21500
.LBB1109_120:
	s_or_b64 exec, exec, s[4:5]
	v_lshlrev_b32_e32 v24, 3, v0
	v_mov_b32_e32 v25, 0
	v_lshl_add_u64 v[24:25], s[48:49], 0, v[24:25]
	s_movk_i32 s3, 0x1000
	v_add_co_u32_e32 v26, vcc, s3, v24
	s_movk_i32 s3, 0x2000
	s_nop 0
	v_addc_co_u32_e32 v27, vcc, 0, v25, vcc
	s_waitcnt lgkmcnt(0)
	s_barrier
	flat_load_dwordx2 v[28:29], v[24:25]
	flat_load_dwordx2 v[30:31], v[24:25] offset:2048
	flat_load_dwordx2 v[32:33], v[26:27]
	flat_load_dwordx2 v[34:35], v[26:27] offset:2048
	v_add_co_u32_e32 v26, vcc, s3, v24
	s_movk_i32 s3, 0x3000
	s_nop 0
	v_addc_co_u32_e32 v27, vcc, 0, v25, vcc
	v_add_co_u32_e32 v36, vcc, s3, v24
	s_movk_i32 s3, 0x4000
	s_nop 0
	v_addc_co_u32_e32 v37, vcc, 0, v25, vcc
	flat_load_dwordx2 v[38:39], v[26:27]
	flat_load_dwordx2 v[40:41], v[26:27] offset:2048
	flat_load_dwordx2 v[42:43], v[36:37]
	flat_load_dwordx2 v[44:45], v[36:37] offset:2048
	v_add_co_u32_e32 v26, vcc, s3, v24
	s_movk_i32 s3, 0x5000
	s_nop 0
	v_addc_co_u32_e32 v27, vcc, 0, v25, vcc
	v_add_co_u32_e32 v36, vcc, s3, v24
	s_movk_i32 s3, 0x6000
	s_nop 0
	v_addc_co_u32_e32 v37, vcc, 0, v25, vcc
	flat_load_dwordx2 v[46:47], v[26:27]
	flat_load_dwordx2 v[48:49], v[26:27] offset:2048
	flat_load_dwordx2 v[50:51], v[36:37]
	flat_load_dwordx2 v[52:53], v[36:37] offset:2048
	v_add_co_u32_e32 v26, vcc, s3, v24
	s_movk_i32 s3, 0x7000
	s_nop 0
	v_addc_co_u32_e32 v27, vcc, 0, v25, vcc
	v_add_co_u32_e32 v36, vcc, s3, v24
	s_mov_b32 s3, 0x8000
	s_nop 0
	v_addc_co_u32_e32 v37, vcc, 0, v25, vcc
	flat_load_dwordx2 v[54:55], v[26:27]
	flat_load_dwordx2 v[56:57], v[26:27] offset:2048
	flat_load_dwordx2 v[58:59], v[36:37]
	flat_load_dwordx2 v[60:61], v[36:37] offset:2048
	v_add_co_u32_e32 v26, vcc, s3, v24
	s_mov_b32 s3, 0x9000
	s_nop 0
	v_addc_co_u32_e32 v27, vcc, 0, v25, vcc
	v_add_co_u32_e32 v36, vcc, s3, v24
	s_mov_b32 s3, 0xa000
	s_nop 0
	v_addc_co_u32_e32 v37, vcc, 0, v25, vcc
	flat_load_dwordx2 v[62:63], v[26:27]
	flat_load_dwordx2 v[64:65], v[26:27] offset:2048
	flat_load_dwordx2 v[66:67], v[36:37]
	flat_load_dwordx2 v[68:69], v[36:37] offset:2048
	v_add_co_u32_e32 v24, vcc, s3, v24
	v_cmp_ne_u32_e64 s[4:5], v20, v21
	s_nop 0
	v_addc_co_u32_e32 v25, vcc, 0, v25, vcc
	flat_load_dwordx2 v[24:25], v[24:25]
	v_cmp_ne_u32_e32 vcc, v17, v18
	s_movk_i32 s3, 0xa0
	s_mov_b64 s[6:7], -1
	v_cndmask_b32_e64 v21, 0, 1, vcc
	v_cmp_ne_u32_e32 vcc, v16, v17
	v_lshlrev_b16_e32 v21, 8, v21
                                        ; implicit-def: $vgpr128
                                        ; implicit-def: $vgpr127
                                        ; implicit-def: $vgpr126
                                        ; implicit-def: $vgpr125
                                        ; implicit-def: $sgpr8_sgpr9
                                        ; implicit-def: $vgpr78_vgpr79
                                        ; implicit-def: $vgpr74_vgpr75
                                        ; implicit-def: $vgpr26_vgpr27
	s_nop 0
	v_cndmask_b32_e64 v17, 0, 1, vcc
	v_cmp_ne_u32_e32 vcc, v19, v20
	v_or_b32_e32 v17, v17, v21
	s_nop 0
	v_cndmask_b32_e64 v20, 0, 1, vcc
	v_cmp_ne_u32_e32 vcc, v18, v19
	v_lshlrev_b16_e32 v20, 8, v20
	s_nop 0
	v_cndmask_b32_e64 v18, 0, 1, vcc
	v_cmp_ne_u32_e32 vcc, v22, v16
	v_or_b32_sdwa v18, v18, v20 dst_sel:WORD_1 dst_unused:UNUSED_PAD src0_sel:DWORD src1_sel:DWORD
	s_nop 0
	v_cndmask_b32_e64 v122, 0, 1, vcc
	v_cmp_ne_u32_e32 vcc, v13, v14
	v_or_b32_sdwa v85, v17, v18 dst_sel:DWORD dst_unused:UNUSED_PAD src0_sel:WORD_0 src1_sel:DWORD
	s_nop 0
	v_cndmask_b32_e64 v16, 0, 1, vcc
	v_cmp_ne_u32_e32 vcc, v12, v13
	v_lshlrev_b16_e32 v16, 8, v16
	s_nop 0
	v_cndmask_b32_e64 v13, 0, 1, vcc
	v_cmp_ne_u32_e32 vcc, v15, v22
	v_or_b32_e32 v13, v13, v16
	s_nop 0
	v_cndmask_b32_e64 v16, 0, 1, vcc
	v_cmp_ne_u32_e32 vcc, v14, v15
	v_lshlrev_b16_e32 v16, 8, v16
	s_nop 0
	v_cndmask_b32_e64 v14, 0, 1, vcc
	v_cmp_ne_u32_e32 vcc, v5, v12
	v_or_b32_sdwa v14, v14, v16 dst_sel:WORD_1 dst_unused:UNUSED_PAD src0_sel:DWORD src1_sel:DWORD
	s_nop 0
	v_cndmask_b32_e64 v124, 0, 1, vcc
	v_cmp_ne_u32_e32 vcc, v7, v8
	v_or_b32_sdwa v84, v13, v14 dst_sel:DWORD dst_unused:UNUSED_PAD src0_sel:WORD_0 src1_sel:DWORD
	s_nop 0
	v_cndmask_b32_e64 v12, 0, 1, vcc
	v_cmp_ne_u32_e32 vcc, v6, v7
	v_lshlrev_b16_e32 v12, 8, v12
	s_nop 0
	v_cndmask_b32_e64 v7, 0, 1, vcc
	v_cmp_ne_u32_e32 vcc, v9, v5
	v_or_b32_e32 v7, v7, v12
	s_nop 0
	v_cndmask_b32_e64 v5, 0, 1, vcc
	v_cmp_ne_u32_e32 vcc, v8, v9
	v_lshlrev_b16_e32 v5, 8, v5
	s_nop 0
	v_cndmask_b32_e64 v8, 0, 1, vcc
	v_cmp_ne_u32_e32 vcc, v4, v6
	v_or_b32_sdwa v5, v8, v5 dst_sel:WORD_1 dst_unused:UNUSED_PAD src0_sel:DWORD src1_sel:DWORD
	s_nop 0
	v_cndmask_b32_e64 v123, 0, 1, vcc
	v_cmp_ne_u32_e32 vcc, v11, v2
	v_or_b32_sdwa v82, v7, v5 dst_sel:DWORD dst_unused:UNUSED_PAD src0_sel:WORD_0 src1_sel:DWORD
	s_nop 0
	v_cndmask_b32_e64 v5, 0, 1, vcc
	v_cmp_ne_u32_e32 vcc, v10, v11
	v_lshlrev_b16_e32 v5, 8, v5
	s_nop 0
	v_cndmask_b32_e64 v6, 0, 1, vcc
	v_cmp_ne_u32_e32 vcc, v3, v4
	v_or_b32_e32 v11, v6, v5
	s_nop 0
	v_cndmask_b32_e64 v4, 0, 1, vcc
	v_cmp_ne_u32_e32 vcc, v2, v3
	v_lshlrev_b16_e32 v4, 8, v4
	s_nop 0
	v_cndmask_b32_e64 v2, 0, 1, vcc
	v_or_b32_sdwa v18, v2, v4 dst_sel:WORD_1 dst_unused:UNUSED_PAD src0_sel:DWORD src1_sel:DWORD
	v_lshl_add_u32 v2, v0, 2, v23
	v_mad_u32_u24 v12, v0, s3, v2
	s_waitcnt vmcnt(0) lgkmcnt(0)
	ds_write2st64_b64 v2, v[28:29], v[30:31] offset1:4
	ds_write2st64_b64 v2, v[32:33], v[34:35] offset0:8 offset1:12
	ds_write2st64_b64 v2, v[38:39], v[40:41] offset0:16 offset1:20
	;; [unrolled: 1-line block ×9, first 2 shown]
	ds_write_b64 v2, v[24:25] offset:40960
	s_waitcnt lgkmcnt(0)
	s_barrier
	ds_read2_b64 v[2:5], v12 offset1:1
	ds_read2_b64 v[6:9], v12 offset0:2 offset1:3
	ds_read2_b64 v[14:17], v12 offset0:4 offset1:5
	;; [unrolled: 1-line block ×9, first 2 shown]
	ds_read_b64 v[12:13], v12 offset:160
	v_cmp_ne_u32_e32 vcc, v1, v10
	v_or_b32_sdwa v83, v11, v18 dst_sel:DWORD dst_unused:UNUSED_PAD src0_sel:WORD_0 src1_sel:DWORD
                                        ; implicit-def: $sgpr3
                                        ; implicit-def: $vgpr66_vgpr67
                                        ; implicit-def: $vgpr58_vgpr59
                                        ; implicit-def: $vgpr50_vgpr51
                                        ; implicit-def: $vgpr42_vgpr43
                                        ; implicit-def: $vgpr34_vgpr35
                                        ; implicit-def: $vgpr18_vgpr19
	s_nop 0
	v_cndmask_b32_e64 v1, 0, 1, vcc
.LBB1109_121:
	s_waitcnt lgkmcnt(0)
	v_mov_b64_e32 v[20:21], s[8:9]
	v_mov_b32_e32 v36, s3
	s_and_saveexec_b64 s[8:9], s[6:7]
	s_cbranch_execz .LBB1109_123
; %bb.122:
	v_cndmask_b32_e64 v36, 0, 1, s[4:5]
	v_mov_b64_e32 v[18:19], v[4:5]
	v_mov_b64_e32 v[26:27], v[8:9]
	;; [unrolled: 1-line block ×11, first 2 shown]
	v_mov_b32_e32 v125, v85
	v_mov_b32_e32 v126, v84
	;; [unrolled: 1-line block ×4, first 2 shown]
.LBB1109_123:
	s_or_b64 exec, exec, s[8:9]
	v_and_b32_e32 v131, 1, v123
	v_and_b32_e32 v129, 1, v124
	;; [unrolled: 1-line block ×4, first 2 shown]
	s_cmp_lg_u32 s2, 0
	v_lshrrev_b32_e32 v132, 8, v128
	v_cmp_eq_u32_e32 vcc, 1, v131
	v_lshrrev_b32_e32 v130, 8, v127
	v_cmp_eq_u32_e64 s[44:45], 1, v129
	v_lshrrev_b32_e32 v41, 8, v126
	v_cmp_eq_u32_e64 s[46:47], 1, v40
	;; [unrolled: 2-line block ×3, first 2 shown]
	v_mbcnt_lo_u32_b32 v32, -1, 0
	s_barrier
	s_cbranch_scc0 .LBB1109_194
; %bb.124:
	v_mov_b32_e32 v8, 0
	v_and_b32_e32 v9, 1, v128
	s_movk_i32 s3, 0xff
	v_add_f64 v[4:5], v[2:3], v[18:19]
	v_cmp_eq_u16_sdwa s[66:67], v128, v8 src0_sel:BYTE_0 src1_sel:DWORD
	v_cmp_eq_u32_e64 s[48:49], 1, v9
	v_and_b32_e32 v9, 0x100, v128
	v_cndmask_b32_e64 v5, v19, v5, s[66:67]
	v_cndmask_b32_e64 v4, v18, v4, s[66:67]
	v_cmp_ne_u32_e64 s[52:53], 0, v9
	v_and_b32_sdwa v9, v128, s3 dst_sel:DWORD dst_unused:UNUSED_PAD src0_sel:WORD_1 src1_sel:DWORD
	v_add_f64 v[4:5], v[6:7], v[4:5]
	v_cmp_eq_u16_sdwa s[4:5], v132, v8 src0_sel:BYTE_0 src1_sel:DWORD
	v_cmp_eq_u16_e64 s[6:7], 0, v9
	v_and_b32_e32 v9, 0x10000, v128
	v_cndmask_b32_e64 v5, v7, v5, s[4:5]
	v_cndmask_b32_e64 v4, v6, v4, s[4:5]
	v_cmp_ne_u32_e64 s[54:55], 0, v9
	v_and_b32_e32 v9, 0x1000000, v128
	v_add_f64 v[4:5], v[26:27], v[4:5]
	v_cmp_ne_u32_e64 s[56:57], 0, v9
	v_and_b32_e32 v9, 1, v127
	v_cndmask_b32_e64 v5, v27, v5, s[6:7]
	v_cndmask_b32_e64 v4, v26, v4, s[6:7]
	v_cmp_eq_u32_e64 s[58:59], 1, v9
	v_and_b32_e32 v9, 0x100, v127
	v_add_f64 v[4:5], v[14:15], v[4:5]
	v_cmp_eq_u16_sdwa s[8:9], v128, v8 src0_sel:BYTE_3 src1_sel:DWORD
	v_cmp_ne_u32_e64 s[60:61], 0, v9
	v_and_b32_sdwa v9, v127, s3 dst_sel:DWORD dst_unused:UNUSED_PAD src0_sel:WORD_1 src1_sel:DWORD
	v_cndmask_b32_e64 v5, v15, v5, s[8:9]
	v_cndmask_b32_e64 v4, v14, v4, s[8:9]
	v_cmp_eq_u16_e64 s[16:17], 0, v9
	v_and_b32_e32 v9, 0x10000, v127
	v_add_f64 v[4:5], v[34:35], v[4:5]
	v_cmp_eq_u16_sdwa s[10:11], v123, v8 src0_sel:BYTE_0 src1_sel:DWORD
	v_cmp_ne_u32_e64 s[62:63], 0, v9
	v_and_b32_e32 v9, 0x1000000, v127
	v_cndmask_b32_e64 v5, v35, v5, s[10:11]
	v_cndmask_b32_e64 v4, v34, v4, s[10:11]
	v_cmp_ne_u32_e64 s[64:65], 0, v9
	v_and_b32_e32 v9, 1, v126
	v_add_f64 v[4:5], v[22:23], v[4:5]
	v_cmp_eq_u16_sdwa s[12:13], v127, v8 src0_sel:BYTE_0 src1_sel:DWORD
	v_cmp_eq_u32_e64 s[68:69], 1, v9
	v_and_b32_e32 v9, 0x100, v126
	v_cndmask_b32_e64 v5, v23, v5, s[12:13]
	v_cndmask_b32_e64 v4, v22, v4, s[12:13]
	v_cmp_ne_u32_e64 s[70:71], 0, v9
	v_and_b32_sdwa v9, v126, s3 dst_sel:DWORD dst_unused:UNUSED_PAD src0_sel:WORD_1 src1_sel:DWORD
	v_add_f64 v[4:5], v[42:43], v[4:5]
	v_cmp_eq_u16_sdwa s[14:15], v130, v8 src0_sel:BYTE_0 src1_sel:DWORD
	v_cmp_eq_u16_e64 s[26:27], 0, v9
	v_and_b32_e32 v9, 0x10000, v126
	v_cndmask_b32_e64 v5, v43, v5, s[14:15]
	v_cndmask_b32_e64 v4, v42, v4, s[14:15]
	v_cmp_ne_u32_e64 s[72:73], 0, v9
	v_and_b32_e32 v9, 0x1000000, v126
	v_add_f64 v[4:5], v[30:31], v[4:5]
	v_cmp_ne_u32_e64 s[74:75], 0, v9
	v_and_b32_e32 v9, 1, v125
	v_cndmask_b32_e64 v5, v31, v5, s[16:17]
	v_cndmask_b32_e64 v4, v30, v4, s[16:17]
	v_cmp_eq_u32_e64 s[76:77], 1, v9
	v_and_b32_e32 v9, 0x100, v125
	v_add_f64 v[4:5], v[50:51], v[4:5]
	v_cmp_eq_u16_sdwa s[18:19], v127, v8 src0_sel:BYTE_3 src1_sel:DWORD
	v_cmp_ne_u32_e64 s[78:79], 0, v9
	v_and_b32_sdwa v9, v125, s3 dst_sel:DWORD dst_unused:UNUSED_PAD src0_sel:WORD_1 src1_sel:DWORD
	v_cndmask_b32_e64 v5, v51, v5, s[18:19]
	v_cndmask_b32_e64 v4, v50, v4, s[18:19]
	v_cmp_eq_u16_e64 s[38:39], 0, v9
	v_and_b32_e32 v9, 0x10000, v125
	v_add_f64 v[4:5], v[38:39], v[4:5]
	v_cmp_eq_u16_sdwa s[20:21], v124, v8 src0_sel:BYTE_0 src1_sel:DWORD
	v_cmp_ne_u32_e64 s[80:81], 0, v9
	v_and_b32_e32 v9, 0x1000000, v125
	v_cndmask_b32_e64 v5, v39, v5, s[20:21]
	v_cndmask_b32_e64 v4, v38, v4, s[20:21]
	v_cmp_ne_u32_e64 s[82:83], 0, v9
	v_add_f64 v[4:5], v[58:59], v[4:5]
	v_cmp_eq_u16_sdwa s[22:23], v126, v8 src0_sel:BYTE_0 src1_sel:DWORD
	s_or_b64 s[50:51], s[50:51], s[82:83]
	s_or_b64 s[50:51], s[50:51], s[80:81]
	v_cndmask_b32_e64 v5, v59, v5, s[22:23]
	v_cndmask_b32_e64 v4, v58, v4, s[22:23]
	v_add_f64 v[4:5], v[46:47], v[4:5]
	v_cmp_eq_u16_sdwa s[24:25], v41, v8 src0_sel:BYTE_0 src1_sel:DWORD
	s_or_b64 s[50:51], s[50:51], s[78:79]
	s_or_b64 s[50:51], s[50:51], s[76:77]
	v_cndmask_b32_e64 v5, v47, v5, s[24:25]
	v_cndmask_b32_e64 v4, v46, v4, s[24:25]
	v_add_f64 v[4:5], v[66:67], v[4:5]
	s_or_b64 s[46:47], s[50:51], s[46:47]
	v_cndmask_b32_e64 v5, v67, v5, s[26:27]
	v_cndmask_b32_e64 v4, v66, v4, s[26:27]
	s_or_b64 s[46:47], s[46:47], s[74:75]
	v_add_f64 v[4:5], v[54:55], v[4:5]
	v_cmp_eq_u16_sdwa s[28:29], v126, v8 src0_sel:BYTE_3 src1_sel:DWORD
	s_or_b64 s[46:47], s[46:47], s[72:73]
	s_or_b64 s[46:47], s[46:47], s[70:71]
	v_cndmask_b32_e64 v5, v55, v5, s[28:29]
	v_cndmask_b32_e64 v4, v54, v4, s[28:29]
	v_add_f64 v[4:5], v[74:75], v[4:5]
	v_cmp_eq_u16_sdwa s[30:31], v122, v8 src0_sel:BYTE_0 src1_sel:DWORD
	s_or_b64 s[46:47], s[46:47], s[68:69]
	s_or_b64 s[44:45], s[46:47], s[44:45]
	v_cndmask_b32_e64 v5, v75, v5, s[30:31]
	v_cndmask_b32_e64 v4, v74, v4, s[30:31]
	v_add_f64 v[4:5], v[62:63], v[4:5]
	v_cmp_eq_u16_sdwa s[34:35], v125, v8 src0_sel:BYTE_0 src1_sel:DWORD
	s_or_b64 s[44:45], s[44:45], s[64:65]
	s_or_b64 s[44:45], s[44:45], s[62:63]
	v_cndmask_b32_e64 v5, v63, v5, s[34:35]
	v_cndmask_b32_e64 v4, v62, v4, s[34:35]
	v_add_f64 v[4:5], v[78:79], v[4:5]
	v_cmp_eq_u16_sdwa s[36:37], v37, v8 src0_sel:BYTE_0 src1_sel:DWORD
	s_or_b64 s[44:45], s[44:45], s[60:61]
	s_or_b64 s[44:45], s[44:45], s[58:59]
	v_cndmask_b32_e64 v5, v79, v5, s[36:37]
	v_cndmask_b32_e64 v4, v78, v4, s[36:37]
	v_add_f64 v[4:5], v[70:71], v[4:5]
	s_or_b64 s[44:45], s[44:45], vcc
	v_cndmask_b32_e64 v5, v71, v5, s[38:39]
	v_cndmask_b32_e64 v4, v70, v4, s[38:39]
	s_or_b64 s[44:45], s[44:45], s[56:57]
	v_add_f64 v[4:5], v[10:11], v[4:5]
	v_cmp_eq_u16_sdwa s[40:41], v125, v8 src0_sel:BYTE_3 src1_sel:DWORD
	s_or_b64 s[44:45], s[44:45], s[54:55]
	s_or_b64 s[44:45], s[44:45], s[52:53]
	v_cndmask_b32_e64 v5, v11, v5, s[40:41]
	v_cndmask_b32_e64 v4, v10, v4, s[40:41]
	v_and_b32_e32 v12, 0xff, v1
	v_add_f64 v[4:5], v[20:21], v[4:5]
	v_cmp_eq_u16_sdwa s[42:43], v36, v8 src0_sel:BYTE_0 src1_sel:DWORD
	s_or_b64 s[44:45], s[44:45], s[48:49]
	v_mbcnt_hi_u32_b32 v28, -1, v32
	v_cndmask_b32_e64 v9, v21, v5, s[42:43]
	v_cndmask_b32_e64 v8, v20, v4, s[42:43]
	;; [unrolled: 1-line block ×3, first 2 shown]
	v_and_b32_e32 v12, 15, v28
	v_mov_b32_dpp v4, v8 row_shr:1 row_mask:0xf bank_mask:0xf
	v_mov_b32_dpp v5, v9 row_shr:1 row_mask:0xf bank_mask:0xf
	;; [unrolled: 1-line block ×3, first 2 shown]
	v_cmp_ne_u32_e32 vcc, 0, v12
	s_and_saveexec_b64 s[44:45], vcc
; %bb.125:
	v_add_f64 v[4:5], v[8:9], v[4:5]
	v_cmp_eq_u32_e32 vcc, 0, v16
	v_and_or_b32 v16, v13, 1, v16
	s_nop 0
	v_cndmask_b32_e32 v9, v9, v5, vcc
	v_cndmask_b32_e32 v8, v8, v4, vcc
; %bb.126:
	s_or_b64 exec, exec, s[44:45]
	s_nop 0
	v_mov_b32_dpp v4, v8 row_shr:2 row_mask:0xf bank_mask:0xf
	v_mov_b32_dpp v5, v9 row_shr:2 row_mask:0xf bank_mask:0xf
	v_mov_b32_dpp v13, v16 row_shr:2 row_mask:0xf bank_mask:0xf
	v_cmp_lt_u32_e32 vcc, 1, v12
	s_and_saveexec_b64 s[44:45], vcc
; %bb.127:
	v_add_f64 v[4:5], v[8:9], v[4:5]
	v_cmp_eq_u32_e32 vcc, 0, v16
	s_nop 1
	v_cndmask_b32_e32 v8, v8, v4, vcc
	v_or_b32_e32 v4, v13, v16
	v_cndmask_b32_e32 v9, v9, v5, vcc
	v_and_b32_e32 v16, 1, v4
; %bb.128:
	s_or_b64 exec, exec, s[44:45]
	v_mov_b32_dpp v4, v8 row_shr:4 row_mask:0xf bank_mask:0xf
	v_mov_b32_dpp v5, v9 row_shr:4 row_mask:0xf bank_mask:0xf
	v_mov_b32_dpp v13, v16 row_shr:4 row_mask:0xf bank_mask:0xf
	v_cmp_lt_u32_e32 vcc, 3, v12
	s_and_saveexec_b64 s[44:45], vcc
; %bb.129:
	v_add_f64 v[4:5], v[8:9], v[4:5]
	v_cmp_eq_u32_e32 vcc, 0, v16
	s_nop 1
	v_cndmask_b32_e32 v8, v8, v4, vcc
	v_or_b32_e32 v4, v13, v16
	v_cndmask_b32_e32 v9, v9, v5, vcc
	v_and_b32_e32 v16, 1, v4
; %bb.130:
	s_or_b64 exec, exec, s[44:45]
	;; [unrolled: 15-line block ×3, first 2 shown]
	v_and_b32_e32 v13, 16, v28
	v_mov_b32_dpp v4, v8 row_bcast:15 row_mask:0xf bank_mask:0xf
	v_mov_b32_dpp v5, v9 row_bcast:15 row_mask:0xf bank_mask:0xf
	v_mov_b32_dpp v12, v16 row_bcast:15 row_mask:0xf bank_mask:0xf
	v_cmp_ne_u32_e32 vcc, 0, v13
	s_and_saveexec_b64 s[44:45], vcc
; %bb.133:
	v_add_f64 v[4:5], v[8:9], v[4:5]
	v_cmp_eq_u32_e32 vcc, 0, v16
	s_nop 1
	v_cndmask_b32_e32 v8, v8, v4, vcc
	v_or_b32_e32 v4, v12, v16
	v_cndmask_b32_e32 v9, v9, v5, vcc
	v_and_b32_e32 v16, 1, v4
; %bb.134:
	s_or_b64 exec, exec, s[44:45]
	v_mov_b32_dpp v4, v8 row_bcast:31 row_mask:0xf bank_mask:0xf
	v_mov_b32_dpp v5, v9 row_bcast:31 row_mask:0xf bank_mask:0xf
	v_mov_b32_dpp v13, v16 row_bcast:31 row_mask:0xf bank_mask:0xf
	v_cmp_lt_u32_e32 vcc, 31, v28
	v_mov_b32_e32 v12, v16
	s_and_saveexec_b64 s[44:45], vcc
; %bb.135:
	v_add_f64 v[4:5], v[8:9], v[4:5]
	v_cmp_eq_u32_e32 vcc, 0, v16
	s_nop 1
	v_cndmask_b32_e32 v8, v8, v4, vcc
	v_or_b32_e32 v4, v13, v16
	v_cndmask_b32_e32 v9, v9, v5, vcc
	v_and_b32_e32 v12, 1, v4
	v_and_b32_e32 v16, 1, v4
; %bb.136:
	s_or_b64 exec, exec, s[44:45]
	v_or_b32_e32 v4, 63, v0
	v_lshrrev_b32_e32 v17, 6, v0
	v_cmp_eq_u32_e32 vcc, v4, v0
	s_and_saveexec_b64 s[44:45], vcc
	s_cbranch_execz .LBB1109_138
; %bb.137:
	v_lshlrev_b32_e32 v4, 4, v17
	ds_write_b64 v4, v[8:9]
	ds_write_b8 v4, v12 offset:8
.LBB1109_138:
	s_or_b64 exec, exec, s[44:45]
	v_cmp_gt_u32_e32 vcc, 4, v0
	s_waitcnt lgkmcnt(0)
	s_barrier
	s_and_saveexec_b64 s[46:47], vcc
	s_cbranch_execz .LBB1109_144
; %bb.139:
	v_lshlrev_b32_e32 v24, 4, v0
	ds_read_b64 v[4:5], v24
	ds_read_b32 v25, v24 offset:8
	v_and_b32_e32 v29, 3, v28
	v_cmp_ne_u32_e32 vcc, 0, v29
	s_waitcnt lgkmcnt(1)
	v_mov_b32_dpp v12, v4 row_shr:1 row_mask:0xf bank_mask:0xf
	v_mov_b32_dpp v13, v5 row_shr:1 row_mask:0xf bank_mask:0xf
	s_waitcnt lgkmcnt(0)
	v_mov_b32_dpp v48, v25 row_shr:1 row_mask:0xf bank_mask:0xf
	v_mov_b32_e32 v45, v25
	v_mov_b32_e32 v44, v25
	s_and_saveexec_b64 s[44:45], vcc
; %bb.140:
	v_mov_b32_e32 v44, 0
	v_add_f64 v[12:13], v[4:5], v[12:13]
	v_cmp_eq_u16_sdwa vcc, v25, v44 src0_sel:BYTE_0 src1_sel:DWORD
	s_movk_i32 s3, 0xff00
	s_nop 0
	v_cndmask_b32_e32 v4, v4, v12, vcc
	v_or_b32_e32 v12, v48, v25
	v_and_b32_e32 v44, 1, v12
	v_cndmask_b32_e32 v5, v5, v13, vcc
	v_and_b32_e32 v45, 1, v12
	v_and_or_b32 v25, v25, s3, v44
; %bb.141:
	s_or_b64 exec, exec, s[44:45]
	v_mov_b32_dpp v12, v4 row_shr:2 row_mask:0xf bank_mask:0xf
	v_mov_b32_dpp v13, v5 row_shr:2 row_mask:0xf bank_mask:0xf
	;; [unrolled: 1-line block ×3, first 2 shown]
	v_cmp_lt_u32_e32 vcc, 1, v29
	s_and_saveexec_b64 s[48:49], vcc
; %bb.142:
	v_mov_b32_e32 v29, 0
	v_add_f64 v[12:13], v[4:5], v[12:13]
	v_cmp_eq_u16_sdwa vcc, v44, v29 src0_sel:BYTE_0 src1_sel:DWORD
	s_nop 1
	v_cndmask_b32_e32 v4, v4, v12, vcc
	v_and_b32_e32 v12, 1, v44
	v_cndmask_b32_e32 v5, v5, v13, vcc
	v_cmp_eq_u32_e32 vcc, 1, v12
	v_and_b32_e32 v12, 1, v25
	v_cmp_eq_u32_e64 s[44:45], 1, v12
	s_or_b64 s[44:45], vcc, s[44:45]
	s_nop 0
	v_cndmask_b32_e64 v45, 0, 1, s[44:45]
; %bb.143:
	s_or_b64 exec, exec, s[48:49]
	ds_write_b64 v24, v[4:5]
	ds_write_b8 v24, v45 offset:8
.LBB1109_144:
	s_or_b64 exec, exec, s[46:47]
	v_cmp_gt_u32_e32 vcc, 64, v0
	v_cmp_lt_u32_e64 s[44:45], 63, v0
	v_mov_b32_e32 v44, 0
	v_mov_b64_e32 v[4:5], 0
	s_waitcnt lgkmcnt(0)
	s_barrier
	s_and_saveexec_b64 s[46:47], s[44:45]
	s_cbranch_execz .LBB1109_146
; %bb.145:
	v_lshl_add_u32 v12, v17, 4, -16
	ds_read_b64 v[4:5], v12
	ds_read_u8 v44, v12 offset:8
	v_and_b32_e32 v17, 1, v16
	v_cmp_eq_u32_e64 s[44:45], 0, v16
	s_waitcnt lgkmcnt(1)
	v_add_f64 v[12:13], v[8:9], v[4:5]
	v_cndmask_b32_e64 v9, v9, v13, s[44:45]
	v_cndmask_b32_e64 v8, v8, v12, s[44:45]
	v_cmp_eq_u32_e64 s[44:45], 1, v17
	s_waitcnt lgkmcnt(0)
	s_nop 0
	v_cndmask_b32_e64 v16, v44, 1, s[44:45]
.LBB1109_146:
	s_or_b64 exec, exec, s[46:47]
	v_add_u32_e32 v12, -1, v28
	v_and_b32_e32 v13, 64, v28
	v_cmp_lt_i32_e64 s[44:45], v12, v13
	s_nop 1
	v_cndmask_b32_e64 v12, v12, v28, s[44:45]
	v_lshlrev_b32_e32 v12, 2, v12
	ds_bpermute_b32 v45, v12, v8
	ds_bpermute_b32 v48, v12, v9
	;; [unrolled: 1-line block ×3, first 2 shown]
	v_cmp_eq_u32_e64 s[44:45], 0, v28
	s_and_saveexec_b64 s[48:49], vcc
	s_cbranch_execz .LBB1109_193
; %bb.147:
	v_mov_b32_e32 v13, 0
	ds_read2_b64 v[80:83], v13 offset0:6 offset1:7
	s_and_saveexec_b64 s[46:47], s[44:45]
	s_cbranch_execz .LBB1109_149
; %bb.148:
	s_add_i32 s50, s2, 64
	s_mov_b32 s51, 0
	s_lshl_b64 s[52:53], s[50:51], 4
	s_add_u32 s52, s84, s52
	s_addc_u32 s53, s85, s53
	v_mov_b32_e32 v8, s50
	v_mov_b32_e32 v9, 1
	s_waitcnt lgkmcnt(0)
	global_store_dword v13, v80, s[52:53] sc1
	global_store_dword v13, v81, s[52:53] offset:4 sc1
	global_store_dword v13, v82, s[52:53] offset:8 sc1
	;; [unrolled: 1-line block ×3, first 2 shown]
	s_waitcnt vmcnt(0)
	global_store_byte v8, v9, s[88:89] sc1
.LBB1109_149:
	s_or_b64 exec, exec, s[46:47]
	v_xad_u32 v8, v28, -1, s2
	v_add_u32_e32 v12, 64, v8
	global_load_ubyte v52, v12, s[88:89] sc1
	s_waitcnt vmcnt(0)
	v_cmp_eq_u16_e32 vcc, 0, v52
	s_and_saveexec_b64 s[46:47], vcc
	s_cbranch_execz .LBB1109_155
; %bb.150:
	v_lshl_add_u64 v[16:17], s[88:89], 0, v[12:13]
	s_mov_b32 s3, 1
	s_mov_b64 s[50:51], 0
.LBB1109_151:                           ; =>This Loop Header: Depth=1
                                        ;     Child Loop BB1109_152 Depth 2
	s_max_u32 s52, s3, 1
.LBB1109_152:                           ;   Parent Loop BB1109_151 Depth=1
                                        ; =>  This Inner Loop Header: Depth=2
	s_add_i32 s52, s52, -1
	s_cmp_eq_u32 s52, 0
	s_sleep 1
	s_cbranch_scc0 .LBB1109_152
; %bb.153:                              ;   in Loop: Header=BB1109_151 Depth=1
	global_load_ubyte v52, v[16:17], off sc1
	s_cmp_lt_u32 s3, 32
	s_cselect_b64 s[52:53], -1, 0
	s_cmp_lg_u64 s[52:53], 0
	s_addc_u32 s3, s3, 0
	s_waitcnt vmcnt(0)
	v_cmp_ne_u16_e32 vcc, 0, v52
	s_or_b64 s[50:51], vcc, s[50:51]
	s_andn2_b64 exec, exec, s[50:51]
	s_cbranch_execnz .LBB1109_151
; %bb.154:
	s_or_b64 exec, exec, s[50:51]
.LBB1109_155:
	s_or_b64 exec, exec, s[46:47]
	v_mov_b32_e32 v9, s87
	v_mov_b32_e32 v16, s85
	v_cmp_eq_u16_e32 vcc, 1, v52
	s_waitcnt vmcnt(0) lgkmcnt(0)
	s_nop 0
	v_cndmask_b32_e32 v17, v9, v16, vcc
	v_mov_b32_e32 v9, s86
	v_mov_b32_e32 v16, s84
	v_cndmask_b32_e32 v16, v9, v16, vcc
	v_lshl_add_u64 v[12:13], v[12:13], 4, v[16:17]
	global_load_dword v24, v[12:13], off sc1
	global_load_dword v25, v[12:13], off offset:4 sc1
	global_load_dword v29, v[12:13], off offset:8 sc1
	;; [unrolled: 1-line block ×3, first 2 shown]
	v_cmp_eq_u16_e32 vcc, 2, v52
	v_lshlrev_b64 v[12:13], v28, -1
	v_and_b32_e32 v53, 63, v28
	s_waitcnt vmcnt(0)
	v_and_b32_e32 v9, vcc_hi, v13
	v_and_b32_e32 v60, vcc_lo, v12
	v_cmp_ne_u32_e32 vcc, 63, v53
	v_or_b32_e32 v9, 0x80000000, v9
	v_ffbl_b32_e32 v9, v9
	v_addc_co_u32_e32 v16, vcc, 0, v28, vcc
	v_lshlrev_b32_e32 v56, 2, v16
	v_add_u32_e32 v9, 32, v9
	v_ffbl_b32_e32 v60, v60
	v_min_u32_e32 v9, v60, v9
	v_cmp_lt_u32_e32 vcc, v53, v9
	ds_bpermute_b32 v16, v56, v24
	ds_bpermute_b32 v17, v56, v25
	v_and_b32_e32 v73, 0xff, v29
	ds_bpermute_b32 v57, v56, v73
	s_and_saveexec_b64 s[46:47], vcc
	s_cbranch_execz .LBB1109_157
; %bb.156:
	v_mov_b32_e32 v60, 0
	s_waitcnt lgkmcnt(1)
	v_add_f64 v[16:17], v[24:25], v[16:17]
	v_cmp_eq_u16_sdwa vcc, v29, v60 src0_sel:BYTE_0 src1_sel:DWORD
	s_nop 1
	v_cndmask_b32_e32 v24, v24, v16, vcc
	s_waitcnt lgkmcnt(0)
	v_or_b32_e32 v16, v57, v29
	v_cndmask_b32_e32 v25, v25, v17, vcc
	v_and_b32_e32 v29, 1, v16
	v_and_b32_e32 v73, 1, v16
.LBB1109_157:
	s_or_b64 exec, exec, s[46:47]
	v_cmp_gt_u32_e32 vcc, 62, v53
	v_add_u32_e32 v60, 2, v53
	s_waitcnt lgkmcnt(2)
	v_cndmask_b32_e64 v16, 0, 1, vcc
	v_lshlrev_b32_e32 v16, 1, v16
	s_waitcnt lgkmcnt(0)
	v_add_lshl_u32 v57, v16, v28, 2
	ds_bpermute_b32 v16, v57, v24
	ds_bpermute_b32 v17, v57, v25
	ds_bpermute_b32 v61, v57, v73
	v_cmp_le_u32_e32 vcc, v60, v9
	s_and_saveexec_b64 s[50:51], vcc
	s_cbranch_execz .LBB1109_159
; %bb.158:
	v_mov_b32_e32 v64, 0
	s_waitcnt lgkmcnt(1)
	v_add_f64 v[16:17], v[24:25], v[16:17]
	v_cmp_eq_u16_sdwa vcc, v29, v64 src0_sel:BYTE_0 src1_sel:DWORD
	s_nop 1
	v_cndmask_b32_e32 v24, v24, v16, vcc
	v_and_b32_e32 v16, 1, v29
	v_cndmask_b32_e32 v25, v25, v17, vcc
	v_cmp_eq_u32_e32 vcc, 1, v16
	s_waitcnt lgkmcnt(0)
	v_and_b32_e32 v16, 1, v61
	v_cmp_eq_u32_e64 s[46:47], 1, v16
	s_or_b64 s[46:47], vcc, s[46:47]
	s_nop 0
	v_cndmask_b32_e64 v29, 0, 1, s[46:47]
	v_cndmask_b32_e64 v73, 0, 1, s[46:47]
.LBB1109_159:
	s_or_b64 exec, exec, s[50:51]
	v_cmp_gt_u32_e32 vcc, 60, v53
	v_add_u32_e32 v64, 4, v53
	s_waitcnt lgkmcnt(2)
	v_cndmask_b32_e64 v16, 0, 1, vcc
	v_lshlrev_b32_e32 v16, 2, v16
	s_waitcnt lgkmcnt(0)
	v_add_lshl_u32 v61, v16, v28, 2
	ds_bpermute_b32 v16, v61, v24
	ds_bpermute_b32 v17, v61, v25
	ds_bpermute_b32 v65, v61, v73
	v_cmp_le_u32_e32 vcc, v64, v9
	s_and_saveexec_b64 s[50:51], vcc
	s_cbranch_execz .LBB1109_161
; %bb.160:
	v_mov_b32_e32 v68, 0
	s_waitcnt lgkmcnt(1)
	v_add_f64 v[16:17], v[24:25], v[16:17]
	v_cmp_eq_u16_sdwa vcc, v29, v68 src0_sel:BYTE_0 src1_sel:DWORD
	s_nop 1
	v_cndmask_b32_e32 v24, v24, v16, vcc
	v_and_b32_e32 v16, 1, v29
	v_cndmask_b32_e32 v25, v25, v17, vcc
	v_cmp_eq_u32_e32 vcc, 1, v16
	s_waitcnt lgkmcnt(0)
	v_and_b32_e32 v16, 1, v65
	v_cmp_eq_u32_e64 s[46:47], 1, v16
	s_or_b64 s[46:47], vcc, s[46:47]
	s_nop 0
	v_cndmask_b32_e64 v29, 0, 1, s[46:47]
	v_cndmask_b32_e64 v73, 0, 1, s[46:47]
.LBB1109_161:
	;; [unrolled: 32-line block ×4, first 2 shown]
	s_or_b64 exec, exec, s[50:51]
	v_cmp_gt_u32_e32 vcc, 32, v53
	v_add_u32_e32 v77, 32, v53
	s_waitcnt lgkmcnt(2)
	v_cndmask_b32_e64 v16, 0, 1, vcc
	v_lshlrev_b32_e32 v16, 5, v16
	s_waitcnt lgkmcnt(0)
	v_add_lshl_u32 v76, v16, v28, 2
	ds_bpermute_b32 v16, v76, v24
	ds_bpermute_b32 v17, v76, v25
	;; [unrolled: 1-line block ×3, first 2 shown]
	v_cmp_le_u32_e32 vcc, v77, v9
	s_and_saveexec_b64 s[50:51], vcc
	s_cbranch_execz .LBB1109_167
; %bb.166:
	v_mov_b32_e32 v9, 0
	s_waitcnt lgkmcnt(1)
	v_add_f64 v[16:17], v[24:25], v[16:17]
	v_cmp_eq_u16_sdwa vcc, v29, v9 src0_sel:BYTE_0 src1_sel:DWORD
	v_and_b32_e32 v9, 1, v29
	s_nop 0
	v_cndmask_b32_e32 v25, v25, v17, vcc
	v_cndmask_b32_e32 v24, v24, v16, vcc
	v_cmp_eq_u32_e32 vcc, 1, v9
	s_waitcnt lgkmcnt(0)
	v_and_b32_e32 v9, 1, v28
	v_cmp_eq_u32_e64 s[46:47], 1, v9
	s_or_b64 s[46:47], vcc, s[46:47]
	s_nop 0
	v_cndmask_b32_e64 v29, 0, 1, s[46:47]
.LBB1109_167:
	s_or_b64 exec, exec, s[50:51]
	v_mov_b32_e32 v9, 0
	v_mov_b32_e32 v83, 2
	s_branch .LBB1109_169
.LBB1109_168:                           ;   in Loop: Header=BB1109_169 Depth=1
	s_or_b64 exec, exec, s[52:53]
	v_add_f64 v[24:25], v[16:17], v[24:25]
	v_cmp_eq_u16_sdwa vcc, v73, v9 src0_sel:BYTE_0 src1_sel:DWORD
	s_waitcnt lgkmcnt(2)
	v_and_b32_e32 v28, 1, v73
	v_subrev_u32_e32 v8, 64, v8
	v_cndmask_b32_e32 v25, v17, v25, vcc
	v_cndmask_b32_e32 v24, v16, v24, vcc
	v_cmp_eq_u32_e32 vcc, 1, v28
	s_or_b64 s[46:47], vcc, s[50:51]
	s_waitcnt lgkmcnt(1)
	v_cndmask_b32_e64 v29, 0, 1, s[46:47]
.LBB1109_169:                           ; =>This Loop Header: Depth=1
                                        ;     Child Loop BB1109_172 Depth 2
                                        ;       Child Loop BB1109_173 Depth 3
	v_cmp_ne_u16_sdwa s[46:47], v52, v83 src0_sel:BYTE_0 src1_sel:DWORD
	v_mov_b32_e32 v73, v29
	s_waitcnt lgkmcnt(2)
	v_cndmask_b32_e64 v16, 0, 1, s[46:47]
	;;#ASMSTART
	;;#ASMEND
	s_nop 0
	v_cmp_ne_u32_e32 vcc, 0, v16
	s_cmp_lg_u64 vcc, exec
	s_waitcnt lgkmcnt(1)
	v_mov_b64_e32 v[16:17], v[24:25]
	s_cbranch_scc1 .LBB1109_188
; %bb.170:                              ;   in Loop: Header=BB1109_169 Depth=1
	global_load_ubyte v52, v8, s[88:89] sc1
	s_waitcnt vmcnt(0)
	v_cmp_eq_u16_e32 vcc, 0, v52
	s_and_saveexec_b64 s[46:47], vcc
	s_cbranch_execz .LBB1109_176
; %bb.171:                              ;   in Loop: Header=BB1109_169 Depth=1
	v_lshl_add_u64 v[24:25], s[88:89], 0, v[8:9]
	s_mov_b32 s3, 1
	s_mov_b64 s[50:51], 0
.LBB1109_172:                           ;   Parent Loop BB1109_169 Depth=1
                                        ; =>  This Loop Header: Depth=2
                                        ;       Child Loop BB1109_173 Depth 3
	s_max_u32 s52, s3, 1
.LBB1109_173:                           ;   Parent Loop BB1109_169 Depth=1
                                        ;     Parent Loop BB1109_172 Depth=2
                                        ; =>    This Inner Loop Header: Depth=3
	s_add_i32 s52, s52, -1
	s_cmp_eq_u32 s52, 0
	s_sleep 1
	s_cbranch_scc0 .LBB1109_173
; %bb.174:                              ;   in Loop: Header=BB1109_172 Depth=2
	global_load_ubyte v52, v[24:25], off sc1
	s_cmp_lt_u32 s3, 32
	s_cselect_b64 s[52:53], -1, 0
	s_cmp_lg_u64 s[52:53], 0
	s_addc_u32 s3, s3, 0
	s_waitcnt vmcnt(0)
	v_cmp_ne_u16_e32 vcc, 0, v52
	s_or_b64 s[50:51], vcc, s[50:51]
	s_andn2_b64 exec, exec, s[50:51]
	s_cbranch_execnz .LBB1109_172
; %bb.175:                              ;   in Loop: Header=BB1109_169 Depth=1
	s_or_b64 exec, exec, s[50:51]
.LBB1109_176:                           ;   in Loop: Header=BB1109_169 Depth=1
	s_or_b64 exec, exec, s[46:47]
	v_mov_b32_e32 v24, s87
	v_mov_b32_e32 v25, s85
	v_cmp_eq_u16_e32 vcc, 1, v52
	s_waitcnt lgkmcnt(0)
	v_mov_b32_e32 v28, s84
	s_waitcnt vmcnt(0)
	v_cndmask_b32_e32 v25, v24, v25, vcc
	v_mov_b32_e32 v24, s86
	v_cndmask_b32_e32 v24, v24, v28, vcc
	v_lshl_add_u64 v[28:29], v[8:9], 4, v[24:25]
	global_load_dword v24, v[28:29], off sc1
	global_load_dword v25, v[28:29], off offset:4 sc1
	global_load_dword v84, v[28:29], off offset:8 sc1
	s_nop 0
	global_load_dword v28, v[28:29], off offset:12 sc1
	v_cmp_eq_u16_e32 vcc, 2, v52
	s_waitcnt vmcnt(2)
	ds_bpermute_b32 v29, v56, v25
	s_waitcnt vmcnt(0)
	v_and_b32_e32 v28, vcc_hi, v13
	v_or_b32_e32 v28, 0x80000000, v28
	v_and_b32_e32 v86, 0xff, v84
	v_ffbl_b32_e32 v88, v28
	ds_bpermute_b32 v28, v56, v24
	ds_bpermute_b32 v87, v56, v86
	v_and_b32_e32 v85, vcc_lo, v12
	v_add_u32_e32 v88, 32, v88
	v_ffbl_b32_e32 v85, v85
	v_min_u32_e32 v85, v85, v88
	v_cmp_lt_u32_e32 vcc, v53, v85
	s_and_saveexec_b64 s[46:47], vcc
	s_cbranch_execz .LBB1109_178
; %bb.177:                              ;   in Loop: Header=BB1109_169 Depth=1
	s_waitcnt lgkmcnt(1)
	v_add_f64 v[28:29], v[24:25], v[28:29]
	v_cmp_eq_u16_sdwa vcc, v84, v9 src0_sel:BYTE_0 src1_sel:DWORD
	s_nop 1
	v_cndmask_b32_e32 v24, v24, v28, vcc
	s_waitcnt lgkmcnt(0)
	v_or_b32_e32 v28, v87, v84
	v_cndmask_b32_e32 v25, v25, v29, vcc
	v_and_b32_e32 v84, 1, v28
	v_and_b32_e32 v86, 1, v28
.LBB1109_178:                           ;   in Loop: Header=BB1109_169 Depth=1
	s_or_b64 exec, exec, s[46:47]
	s_waitcnt lgkmcnt(1)
	ds_bpermute_b32 v28, v57, v24
	ds_bpermute_b32 v29, v57, v25
	s_waitcnt lgkmcnt(2)
	ds_bpermute_b32 v87, v57, v86
	v_and_b32_e32 v88, 1, v84
	v_cmp_le_u32_e32 vcc, v60, v85
	v_cmp_eq_u32_e64 s[50:51], 1, v88
	s_and_saveexec_b64 s[46:47], vcc
	s_cbranch_execz .LBB1109_180
; %bb.179:                              ;   in Loop: Header=BB1109_169 Depth=1
	s_waitcnt lgkmcnt(1)
	v_add_f64 v[28:29], v[24:25], v[28:29]
	v_cmp_eq_u16_sdwa vcc, v84, v9 src0_sel:BYTE_0 src1_sel:DWORD
	s_nop 1
	v_cndmask_b32_e32 v24, v24, v28, vcc
	s_waitcnt lgkmcnt(0)
	v_and_b32_e32 v28, 1, v87
	v_cndmask_b32_e32 v25, v25, v29, vcc
	v_cmp_eq_u32_e32 vcc, 1, v28
	s_or_b64 s[52:53], s[50:51], vcc
	v_cndmask_b32_e64 v84, 0, 1, s[52:53]
	v_cndmask_b32_e64 v86, 0, 1, s[52:53]
	s_andn2_b64 s[50:51], s[50:51], exec
	s_and_b64 s[52:53], s[52:53], exec
	s_or_b64 s[50:51], s[50:51], s[52:53]
.LBB1109_180:                           ;   in Loop: Header=BB1109_169 Depth=1
	s_or_b64 exec, exec, s[46:47]
	s_waitcnt lgkmcnt(2)
	ds_bpermute_b32 v28, v61, v24
	s_waitcnt lgkmcnt(2)
	ds_bpermute_b32 v29, v61, v25
	s_waitcnt lgkmcnt(2)
	ds_bpermute_b32 v87, v61, v86
	v_cmp_le_u32_e32 vcc, v64, v85
	s_and_saveexec_b64 s[52:53], vcc
	s_cbranch_execz .LBB1109_182
; %bb.181:                              ;   in Loop: Header=BB1109_169 Depth=1
	s_waitcnt lgkmcnt(1)
	v_add_f64 v[28:29], v[24:25], v[28:29]
	v_cmp_eq_u16_sdwa vcc, v84, v9 src0_sel:BYTE_0 src1_sel:DWORD
	s_andn2_b64 s[50:51], s[50:51], exec
	s_nop 0
	v_cndmask_b32_e32 v24, v24, v28, vcc
	v_and_b32_e32 v28, 1, v84
	v_cndmask_b32_e32 v25, v25, v29, vcc
	v_cmp_eq_u32_e32 vcc, 1, v28
	s_waitcnt lgkmcnt(0)
	v_and_b32_e32 v28, 1, v87
	v_cmp_eq_u32_e64 s[46:47], 1, v28
	s_or_b64 s[46:47], vcc, s[46:47]
	s_nop 0
	v_cndmask_b32_e64 v84, 0, 1, s[46:47]
	v_cndmask_b32_e64 v86, 0, 1, s[46:47]
	s_and_b64 s[46:47], s[46:47], exec
	s_or_b64 s[50:51], s[50:51], s[46:47]
.LBB1109_182:                           ;   in Loop: Header=BB1109_169 Depth=1
	s_or_b64 exec, exec, s[52:53]
	s_waitcnt lgkmcnt(2)
	ds_bpermute_b32 v28, v65, v24
	s_waitcnt lgkmcnt(2)
	ds_bpermute_b32 v29, v65, v25
	s_waitcnt lgkmcnt(2)
	ds_bpermute_b32 v87, v65, v86
	v_cmp_le_u32_e32 vcc, v68, v85
	s_and_saveexec_b64 s[52:53], vcc
	s_cbranch_execz .LBB1109_184
; %bb.183:                              ;   in Loop: Header=BB1109_169 Depth=1
	s_waitcnt lgkmcnt(1)
	v_add_f64 v[28:29], v[24:25], v[28:29]
	v_cmp_eq_u16_sdwa vcc, v84, v9 src0_sel:BYTE_0 src1_sel:DWORD
	s_andn2_b64 s[50:51], s[50:51], exec
	s_nop 0
	v_cndmask_b32_e32 v24, v24, v28, vcc
	v_and_b32_e32 v28, 1, v84
	v_cndmask_b32_e32 v25, v25, v29, vcc
	v_cmp_eq_u32_e32 vcc, 1, v28
	s_waitcnt lgkmcnt(0)
	v_and_b32_e32 v28, 1, v87
	v_cmp_eq_u32_e64 s[46:47], 1, v28
	s_or_b64 s[46:47], vcc, s[46:47]
	s_nop 0
	v_cndmask_b32_e64 v84, 0, 1, s[46:47]
	v_cndmask_b32_e64 v86, 0, 1, s[46:47]
	s_and_b64 s[46:47], s[46:47], exec
	s_or_b64 s[50:51], s[50:51], s[46:47]
.LBB1109_184:                           ;   in Loop: Header=BB1109_169 Depth=1
	;; [unrolled: 30-line block ×3, first 2 shown]
	s_or_b64 exec, exec, s[52:53]
	s_waitcnt lgkmcnt(2)
	ds_bpermute_b32 v28, v76, v24
	s_waitcnt lgkmcnt(2)
	ds_bpermute_b32 v29, v76, v25
	ds_bpermute_b32 v86, v76, v86
	v_cmp_le_u32_e32 vcc, v77, v85
	s_and_saveexec_b64 s[52:53], vcc
	s_cbranch_execz .LBB1109_168
; %bb.187:                              ;   in Loop: Header=BB1109_169 Depth=1
	s_waitcnt lgkmcnt(1)
	v_add_f64 v[28:29], v[24:25], v[28:29]
	v_cmp_eq_u16_sdwa vcc, v84, v9 src0_sel:BYTE_0 src1_sel:DWORD
	s_andn2_b64 s[50:51], s[50:51], exec
	s_nop 0
	v_cndmask_b32_e32 v24, v24, v28, vcc
	v_and_b32_e32 v28, 1, v84
	v_cndmask_b32_e32 v25, v25, v29, vcc
	v_cmp_eq_u32_e32 vcc, 1, v28
	s_waitcnt lgkmcnt(0)
	v_and_b32_e32 v28, 1, v86
	v_cmp_eq_u32_e64 s[46:47], 1, v28
	s_or_b64 s[46:47], vcc, s[46:47]
	s_and_b64 s[46:47], s[46:47], exec
	s_or_b64 s[50:51], s[50:51], s[46:47]
	s_branch .LBB1109_168
.LBB1109_188:                           ;   in Loop: Header=BB1109_169 Depth=1
                                        ; implicit-def: $vgpr29
                                        ; implicit-def: $vgpr24_vgpr25
                                        ; implicit-def: $vgpr52
	s_cbranch_execz .LBB1109_169
; %bb.189:
	s_and_saveexec_b64 s[46:47], s[44:45]
	s_cbranch_execz .LBB1109_191
; %bb.190:
	s_mov_b32 s3, 0
	s_add_i32 s2, s2, 64
	v_mov_b32_e32 v12, 0
	s_lshl_b64 s[50:51], s[2:3], 4
	v_add_f64 v[8:9], v[80:81], v[16:17]
	v_cmp_eq_u32_sdwa vcc, v82, v12 src0_sel:BYTE_0 src1_sel:DWORD
	v_and_b32_e32 v13, 1, v82
	s_add_u32 s50, s86, s50
	v_cndmask_b32_e32 v9, v81, v9, vcc
	v_cndmask_b32_e32 v8, v80, v8, vcc
	v_and_b32_e32 v24, 1, v73
	v_cmp_eq_u32_e32 vcc, 1, v13
	s_addc_u32 s51, s87, s51
	s_nop 0
	v_cndmask_b32_e64 v13, v24, 1, vcc
	global_store_dword v12, v8, s[50:51] sc1
	global_store_dword v12, v9, s[50:51] offset:4 sc1
	global_store_dword v12, v13, s[50:51] offset:8 sc1
	;; [unrolled: 1-line block ×3, first 2 shown]
	v_mov_b32_e32 v8, s2
	v_mov_b32_e32 v9, 2
	s_waitcnt vmcnt(0) lgkmcnt(0)
	global_store_byte v8, v9, s[88:89] sc1
.LBB1109_191:
	s_or_b64 exec, exec, s[46:47]
	v_cmp_eq_u32_e32 vcc, 0, v0
	s_and_b64 exec, exec, vcc
	s_cbranch_execz .LBB1109_193
; %bb.192:
	v_mov_b32_e32 v8, 0
	ds_write_b64 v8, v[16:17] offset:48
	ds_write_b8 v8, v73 offset:56
.LBB1109_193:
	s_or_b64 exec, exec, s[48:49]
	s_waitcnt lgkmcnt(0)
	v_cndmask_b32_e64 v12, v49, v44, s[44:45]
	v_mov_b32_e32 v13, 0
	s_barrier
	ds_read_b64 v[8:9], v13 offset:48
	v_and_b32_e32 v16, 1, v1
	v_and_b32_e32 v12, 1, v12
	v_cndmask_b32_e64 v5, v48, v5, s[44:45]
	v_cndmask_b32_e64 v4, v45, v4, s[44:45]
	v_cmp_eq_u32_e32 vcc, 1, v16
	v_cmp_eq_u32_e64 s[2:3], 1, v12
	s_or_b64 s[2:3], vcc, s[2:3]
	v_add_f64 v[4:5], v[2:3], v[4:5]
	v_cmp_eq_u16_sdwa vcc, v1, v13 src0_sel:BYTE_0 src1_sel:DWORD
	v_cndmask_b32_e64 v12, 0, 1, s[2:3]
	s_nop 0
	v_cndmask_b32_e32 v4, v2, v4, vcc
	v_cndmask_b32_e32 v5, v3, v5, vcc
	v_cmp_eq_u32_e32 vcc, 0, v0
	s_nop 1
	v_cndmask_b32_e32 v12, v12, v1, vcc
	v_cndmask_b32_e32 v5, v5, v3, vcc
	;; [unrolled: 1-line block ×3, first 2 shown]
	s_waitcnt lgkmcnt(0)
	v_add_f64 v[8:9], v[4:5], v[8:9]
	v_cmp_eq_u16_sdwa vcc, v12, v13 src0_sel:BYTE_0 src1_sel:DWORD
	s_nop 1
	v_cndmask_b32_e32 v115, v5, v9, vcc
	v_cndmask_b32_e32 v114, v4, v8, vcc
	v_add_f64 v[4:5], v[18:19], v[114:115]
	v_cndmask_b32_e64 v45, v19, v5, s[66:67]
	v_cndmask_b32_e64 v44, v18, v4, s[66:67]
	v_add_f64 v[4:5], v[6:7], v[44:45]
	v_cndmask_b32_e64 v81, v7, v5, s[4:5]
	v_cndmask_b32_e64 v80, v6, v4, s[4:5]
	;; [unrolled: 3-line block ×20, first 2 shown]
	s_branch .LBB1109_224
.LBB1109_194:
                                        ; implicit-def: $vgpr112_vgpr113_vgpr114_vgpr115
                                        ; implicit-def: $vgpr120_vgpr121
                                        ; implicit-def: $vgpr118_vgpr119
                                        ; implicit-def: $vgpr76_vgpr77
                                        ; implicit-def: $vgpr72_vgpr73
                                        ; implicit-def: $vgpr68_vgpr69
                                        ; implicit-def: $vgpr64_vgpr65
                                        ; implicit-def: $vgpr60_vgpr61
                                        ; implicit-def: $vgpr56_vgpr57
                                        ; implicit-def: $vgpr52_vgpr53
                                        ; implicit-def: $vgpr48_vgpr49
                                        ; implicit-def: $vgpr44_vgpr45
                                        ; implicit-def: $vgpr108_vgpr109_vgpr110_vgpr111
                                        ; implicit-def: $vgpr104_vgpr105_vgpr106_vgpr107
                                        ; implicit-def: $vgpr100_vgpr101_vgpr102_vgpr103
                                        ; implicit-def: $vgpr96_vgpr97_vgpr98_vgpr99
                                        ; implicit-def: $vgpr92_vgpr93_vgpr94_vgpr95
                                        ; implicit-def: $vgpr88_vgpr89_vgpr90_vgpr91
                                        ; implicit-def: $vgpr84_vgpr85_vgpr86_vgpr87
                                        ; implicit-def: $vgpr80_vgpr81_vgpr82_vgpr83
                                        ; implicit-def: $vgpr114_vgpr115_vgpr116_vgpr117
	s_cbranch_execz .LBB1109_224
; %bb.195:
	v_readlane_b32 s4, v133, 0
	v_readlane_b32 s6, v133, 2
	;; [unrolled: 1-line block ×3, first 2 shown]
	s_cmp_lg_u64 s[96:97], 0
	v_readlane_b32 s5, v133, 1
	s_mov_b64 s[2:3], s[6:7]
	s_cselect_b32 s5, s3, 0
	s_cselect_b32 s4, s2, 0
	s_cmp_lg_u64 s[4:5], 0
	v_readlane_b32 s8, v133, 4
	v_readlane_b32 s9, v133, 5
	s_cselect_b64 s[6:7], -1, 0
	v_cmp_eq_u32_e32 vcc, 0, v0
	v_cmp_ne_u32_e64 s[2:3], 0, v0
	s_and_b64 s[8:9], vcc, s[6:7]
	v_readlane_b32 s10, v133, 6
	v_readlane_b32 s11, v133, 7
	s_and_saveexec_b64 s[6:7], s[8:9]
	s_cbranch_execz .LBB1109_197
; %bb.196:
	v_mov_b32_e32 v8, 0
	global_load_dwordx2 v[4:5], v8, s[4:5]
	global_load_ubyte v9, v8, s[4:5] offset:8
	v_cmp_eq_u16_sdwa s[4:5], v1, v8 src0_sel:BYTE_0 src1_sel:DWORD
	s_waitcnt vmcnt(1)
	v_add_f64 v[4:5], v[2:3], v[4:5]
	s_waitcnt vmcnt(0)
	v_or_b32_e32 v9, v1, v9
	v_cndmask_b32_e64 v3, v3, v5, s[4:5]
	v_cndmask_b32_e64 v2, v2, v4, s[4:5]
	v_and_b32_e32 v1, 1, v9
.LBB1109_197:
	s_or_b64 exec, exec, s[6:7]
	v_mov_b32_e32 v9, 0
	v_add_f64 v[4:5], v[18:19], v[2:3]
	v_cmp_eq_u16_sdwa s[4:5], v128, v9 src0_sel:BYTE_0 src1_sel:DWORD
	s_movk_i32 s40, 0xff
	v_cmp_eq_u16_sdwa s[6:7], v132, v9 src0_sel:BYTE_0 src1_sel:DWORD
	v_cndmask_b32_e64 v45, v19, v5, s[4:5]
	v_cndmask_b32_e64 v44, v18, v4, s[4:5]
	v_add_f64 v[4:5], v[6:7], v[44:45]
	v_cndmask_b32_e64 v81, v7, v5, s[6:7]
	v_cndmask_b32_e64 v80, v6, v4, s[6:7]
	v_and_b32_sdwa v12, v128, s40 dst_sel:DWORD dst_unused:UNUSED_PAD src0_sel:WORD_1 src1_sel:DWORD
	v_add_f64 v[4:5], v[26:27], v[80:81]
	v_cmp_eq_u16_e64 s[8:9], 0, v12
	v_cmp_eq_u16_sdwa s[10:11], v128, v9 src0_sel:BYTE_3 src1_sel:DWORD
	v_cmp_eq_u16_sdwa s[12:13], v123, v9 src0_sel:BYTE_0 src1_sel:DWORD
	v_cndmask_b32_e64 v49, v27, v5, s[8:9]
	v_cndmask_b32_e64 v48, v26, v4, s[8:9]
	v_add_f64 v[4:5], v[14:15], v[48:49]
	v_cndmask_b32_e64 v85, v15, v5, s[10:11]
	v_cndmask_b32_e64 v84, v14, v4, s[10:11]
	v_add_f64 v[4:5], v[34:35], v[84:85]
	v_cndmask_b32_e64 v53, v35, v5, s[12:13]
	v_cndmask_b32_e64 v52, v34, v4, s[12:13]
	v_add_f64 v[4:5], v[22:23], v[52:53]
	v_cmp_eq_u16_sdwa s[14:15], v127, v9 src0_sel:BYTE_0 src1_sel:DWORD
	v_cmp_eq_u16_sdwa s[16:17], v130, v9 src0_sel:BYTE_0 src1_sel:DWORD
	v_and_b32_sdwa v12, v127, s40 dst_sel:DWORD dst_unused:UNUSED_PAD src0_sel:WORD_1 src1_sel:DWORD
	v_cndmask_b32_e64 v89, v23, v5, s[14:15]
	v_cndmask_b32_e64 v88, v22, v4, s[14:15]
	v_add_f64 v[4:5], v[42:43], v[88:89]
	v_cndmask_b32_e64 v57, v43, v5, s[16:17]
	v_cndmask_b32_e64 v56, v42, v4, s[16:17]
	v_add_f64 v[4:5], v[30:31], v[56:57]
	v_cmp_eq_u16_e64 s[18:19], 0, v12
	v_cmp_eq_u16_sdwa s[20:21], v127, v9 src0_sel:BYTE_3 src1_sel:DWORD
	v_cmp_eq_u16_sdwa s[22:23], v124, v9 src0_sel:BYTE_0 src1_sel:DWORD
	v_cndmask_b32_e64 v93, v31, v5, s[18:19]
	v_cndmask_b32_e64 v92, v30, v4, s[18:19]
	v_add_f64 v[4:5], v[50:51], v[92:93]
	v_cndmask_b32_e64 v61, v51, v5, s[20:21]
	v_cndmask_b32_e64 v60, v50, v4, s[20:21]
	v_add_f64 v[4:5], v[38:39], v[60:61]
	v_cndmask_b32_e64 v97, v39, v5, s[22:23]
	v_cndmask_b32_e64 v96, v38, v4, s[22:23]
	v_add_f64 v[4:5], v[58:59], v[96:97]
	v_cmp_eq_u16_sdwa s[24:25], v126, v9 src0_sel:BYTE_0 src1_sel:DWORD
	v_cmp_eq_u16_sdwa s[26:27], v41, v9 src0_sel:BYTE_0 src1_sel:DWORD
	v_and_b32_sdwa v12, v126, s40 dst_sel:DWORD dst_unused:UNUSED_PAD src0_sel:WORD_1 src1_sel:DWORD
	v_cndmask_b32_e64 v65, v59, v5, s[24:25]
	v_cndmask_b32_e64 v64, v58, v4, s[24:25]
	v_add_f64 v[4:5], v[46:47], v[64:65]
	v_cndmask_b32_e64 v101, v47, v5, s[26:27]
	v_cndmask_b32_e64 v100, v46, v4, s[26:27]
	;; [unrolled: 21-line block ×3, first 2 shown]
	v_add_f64 v[4:5], v[70:71], v[76:77]
	v_cmp_eq_u16_e64 s[40:41], 0, v12
	v_cmp_eq_u16_sdwa s[42:43], v125, v9 src0_sel:BYTE_3 src1_sel:DWORD
	v_cmp_eq_u16_sdwa s[44:45], v36, v9 src0_sel:BYTE_0 src1_sel:DWORD
	v_cndmask_b32_e64 v113, v71, v5, s[40:41]
	v_cndmask_b32_e64 v112, v70, v4, s[40:41]
	v_add_f64 v[4:5], v[10:11], v[112:113]
	v_cndmask_b32_e64 v119, v11, v5, s[42:43]
	v_cndmask_b32_e64 v118, v10, v4, s[42:43]
	v_add_f64 v[4:5], v[20:21], v[118:119]
	v_cndmask_b32_e64 v120, v20, v4, s[44:45]
	v_or_b32_e32 v4, v125, v126
	v_or3_b32 v4, v4, v127, v128
	v_lshrrev_b16_e32 v9, 7, v4
	v_cndmask_b32_e64 v121, v21, v5, s[44:45]
	v_and_b32_e32 v5, 1, v4
	v_and_b32_e32 v9, 2, v9
	v_or_b32_e32 v5, v5, v9
	v_lshrrev_b32_e32 v9, 23, v4
	v_mov_b32_e32 v12, 1
	v_and_b32_e32 v9, 2, v9
	v_and_b32_sdwa v4, v4, v12 dst_sel:DWORD dst_unused:UNUSED_PAD src0_sel:WORD_1 src1_sel:DWORD
	v_or_b32_e32 v4, v4, v9
	v_lshlrev_b16_e32 v4, 2, v4
	v_or_b32_e32 v4, v5, v4
	v_cmp_eq_u32_e64 s[52:53], 1, v33
	v_cmp_ne_u16_e64 s[54:55], 0, v4
	v_cmp_eq_u32_e64 s[50:51], 1, v40
	s_or_b64 s[52:53], s[54:55], s[52:53]
	v_cmp_eq_u32_e64 s[48:49], 1, v129
	s_or_b64 s[50:51], s[52:53], s[50:51]
	;; [unrolled: 2-line block ×3, first 2 shown]
	v_and_b32_e32 v8, 0xff, v1
	s_or_b64 s[46:47], s[48:49], s[46:47]
	v_mbcnt_hi_u32_b32 v16, -1, v32
	v_cndmask_b32_e64 v17, v8, 1, s[46:47]
	v_and_b32_e32 v24, 15, v16
	v_mov_b32_dpp v12, v120 row_shr:1 row_mask:0xf bank_mask:0xf
	v_mov_b32_dpp v13, v121 row_shr:1 row_mask:0xf bank_mask:0xf
	;; [unrolled: 1-line block ×3, first 2 shown]
	v_cmp_ne_u32_e64 s[46:47], 0, v24
	v_mov_b64_e32 v[4:5], v[120:121]
	v_mov_b32_e32 v9, v121
	v_mov_b32_e32 v8, v120
	s_and_saveexec_b64 s[48:49], s[46:47]
; %bb.198:
	v_add_f64 v[4:5], v[120:121], v[12:13]
	v_cmp_eq_u32_e64 s[46:47], 0, v17
	v_and_or_b32 v17, v25, 1, v17
	s_nop 0
	v_cndmask_b32_e64 v5, v121, v5, s[46:47]
	v_cndmask_b32_e64 v4, v120, v4, s[46:47]
	v_mov_b32_e32 v9, v5
	v_mov_b32_e32 v8, v4
; %bb.199:
	s_or_b64 exec, exec, s[48:49]
	s_nop 0
	v_mov_b32_dpp v12, v8 row_shr:2 row_mask:0xf bank_mask:0xf
	v_mov_b32_dpp v13, v9 row_shr:2 row_mask:0xf bank_mask:0xf
	v_mov_b32_dpp v25, v17 row_shr:2 row_mask:0xf bank_mask:0xf
	v_cmp_lt_u32_e64 s[46:47], 1, v24
	s_and_saveexec_b64 s[48:49], s[46:47]
; %bb.200:
	v_add_f64 v[8:9], v[4:5], v[12:13]
	v_cmp_eq_u32_e64 s[46:47], 0, v17
	s_nop 1
	v_cndmask_b32_e64 v9, v5, v9, s[46:47]
	v_cndmask_b32_e64 v8, v4, v8, s[46:47]
	v_or_b32_e32 v4, v25, v17
	v_and_b32_e32 v17, 1, v4
	v_mov_b64_e32 v[4:5], v[8:9]
; %bb.201:
	s_or_b64 exec, exec, s[48:49]
	v_mov_b32_dpp v12, v8 row_shr:4 row_mask:0xf bank_mask:0xf
	v_mov_b32_dpp v13, v9 row_shr:4 row_mask:0xf bank_mask:0xf
	v_mov_b32_dpp v25, v17 row_shr:4 row_mask:0xf bank_mask:0xf
	v_cmp_lt_u32_e64 s[46:47], 3, v24
	s_and_saveexec_b64 s[48:49], s[46:47]
; %bb.202:
	v_add_f64 v[8:9], v[4:5], v[12:13]
	v_cmp_eq_u32_e64 s[46:47], 0, v17
	s_nop 1
	v_cndmask_b32_e64 v9, v5, v9, s[46:47]
	v_cndmask_b32_e64 v8, v4, v8, s[46:47]
	v_or_b32_e32 v4, v25, v17
	v_and_b32_e32 v17, 1, v4
	v_mov_b64_e32 v[4:5], v[8:9]
; %bb.203:
	s_or_b64 exec, exec, s[48:49]
	;; [unrolled: 16-line block ×3, first 2 shown]
	v_and_b32_e32 v25, 16, v16
	v_mov_b32_dpp v12, v8 row_bcast:15 row_mask:0xf bank_mask:0xf
	v_mov_b32_dpp v13, v9 row_bcast:15 row_mask:0xf bank_mask:0xf
	;; [unrolled: 1-line block ×3, first 2 shown]
	v_cmp_ne_u32_e64 s[46:47], 0, v25
	s_and_saveexec_b64 s[48:49], s[46:47]
; %bb.206:
	v_add_f64 v[8:9], v[4:5], v[12:13]
	v_cmp_eq_u32_e64 s[46:47], 0, v17
	s_nop 1
	v_cndmask_b32_e64 v5, v5, v9, s[46:47]
	v_cndmask_b32_e64 v4, v4, v8, s[46:47]
	v_or_b32_e32 v8, v24, v17
	v_and_b32_e32 v17, 1, v8
	v_mov_b32_e32 v9, v5
	v_mov_b32_e32 v8, v4
; %bb.207:
	s_or_b64 exec, exec, s[48:49]
	s_nop 0
	v_mov_b32_dpp v8, v8 row_bcast:31 row_mask:0xf bank_mask:0xf
	v_mov_b32_dpp v9, v9 row_bcast:31 row_mask:0xf bank_mask:0xf
	;; [unrolled: 1-line block ×3, first 2 shown]
	v_cmp_lt_u32_e64 s[46:47], 31, v16
	v_mov_b32_e32 v12, v17
	s_and_saveexec_b64 s[48:49], s[46:47]
; %bb.208:
	v_add_f64 v[8:9], v[4:5], v[8:9]
	v_cmp_eq_u32_e64 s[46:47], 0, v17
	s_nop 1
	v_cndmask_b32_e64 v4, v4, v8, s[46:47]
	v_or_b32_e32 v8, v13, v17
	v_cndmask_b32_e64 v5, v5, v9, s[46:47]
	v_and_b32_e32 v12, 1, v8
	v_and_b32_e32 v17, 1, v8
; %bb.209:
	s_or_b64 exec, exec, s[48:49]
	v_or_b32_e32 v8, 63, v0
	v_lshrrev_b32_e32 v24, 6, v0
	v_cmp_eq_u32_e64 s[46:47], v8, v0
	s_and_saveexec_b64 s[48:49], s[46:47]
	s_cbranch_execz .LBB1109_211
; %bb.210:
	v_lshlrev_b32_e32 v8, 4, v24
	ds_write_b64 v8, v[4:5]
	ds_write_b8 v8, v12 offset:8
.LBB1109_211:
	s_or_b64 exec, exec, s[48:49]
	v_cmp_gt_u32_e64 s[46:47], 4, v0
	s_waitcnt lgkmcnt(0)
	s_barrier
	s_and_saveexec_b64 s[50:51], s[46:47]
	s_cbranch_execz .LBB1109_217
; %bb.212:
	v_lshlrev_b32_e32 v25, 4, v0
	ds_read_b64 v[8:9], v25
	ds_read_b32 v28, v25 offset:8
	v_and_b32_e32 v29, 3, v16
	v_cmp_ne_u32_e64 s[46:47], 0, v29
	s_waitcnt lgkmcnt(1)
	v_mov_b32_dpp v12, v8 row_shr:1 row_mask:0xf bank_mask:0xf
	v_mov_b32_dpp v13, v9 row_shr:1 row_mask:0xf bank_mask:0xf
	s_waitcnt lgkmcnt(0)
	v_mov_b32_dpp v36, v28 row_shr:1 row_mask:0xf bank_mask:0xf
	v_mov_b32_e32 v33, v28
	v_mov_b32_e32 v32, v28
	s_and_saveexec_b64 s[48:49], s[46:47]
; %bb.213:
	v_mov_b32_e32 v32, 0
	v_add_f64 v[12:13], v[8:9], v[12:13]
	v_cmp_eq_u16_sdwa s[46:47], v28, v32 src0_sel:BYTE_0 src1_sel:DWORD
	s_nop 1
	v_cndmask_b32_e64 v8, v8, v12, s[46:47]
	v_or_b32_e32 v12, v36, v28
	v_cndmask_b32_e64 v9, v9, v13, s[46:47]
	v_and_b32_e32 v32, 1, v12
	s_movk_i32 s46, 0xff00
	v_and_b32_e32 v33, 1, v12
	v_and_or_b32 v28, v28, s46, v32
; %bb.214:
	s_or_b64 exec, exec, s[48:49]
	v_mov_b32_dpp v12, v8 row_shr:2 row_mask:0xf bank_mask:0xf
	v_mov_b32_dpp v13, v9 row_shr:2 row_mask:0xf bank_mask:0xf
	;; [unrolled: 1-line block ×3, first 2 shown]
	v_cmp_lt_u32_e64 s[46:47], 1, v29
	s_and_saveexec_b64 s[52:53], s[46:47]
; %bb.215:
	v_mov_b32_e32 v29, 0
	v_add_f64 v[12:13], v[8:9], v[12:13]
	v_cmp_eq_u16_sdwa s[46:47], v32, v29 src0_sel:BYTE_0 src1_sel:DWORD
	s_nop 1
	v_cndmask_b32_e64 v8, v8, v12, s[46:47]
	v_and_b32_e32 v12, 1, v32
	v_cndmask_b32_e64 v9, v9, v13, s[46:47]
	v_cmp_eq_u32_e64 s[46:47], 1, v12
	v_and_b32_e32 v12, 1, v28
	v_cmp_eq_u32_e64 s[48:49], 1, v12
	s_or_b64 s[46:47], s[46:47], s[48:49]
	v_cndmask_b32_e64 v33, 0, 1, s[46:47]
; %bb.216:
	s_or_b64 exec, exec, s[52:53]
	ds_write_b64 v25, v[8:9]
	ds_write_b8 v25, v33 offset:8
.LBB1109_217:
	s_or_b64 exec, exec, s[50:51]
	v_cmp_lt_u32_e64 s[46:47], 63, v0
	v_mov_b64_e32 v[8:9], 0
	s_waitcnt lgkmcnt(0)
	s_barrier
	s_and_saveexec_b64 s[48:49], s[46:47]
	s_cbranch_execz .LBB1109_219
; %bb.218:
	v_lshl_add_u32 v8, v24, 4, -16
	ds_read_b64 v[8:9], v8
	v_cmp_eq_u32_e64 s[46:47], 0, v17
	s_waitcnt lgkmcnt(0)
	v_add_f64 v[12:13], v[4:5], v[8:9]
	v_cndmask_b32_e64 v5, v5, v13, s[46:47]
	v_cndmask_b32_e64 v4, v4, v12, s[46:47]
.LBB1109_219:
	s_or_b64 exec, exec, s[48:49]
	v_add_u32_e32 v12, -1, v16
	v_and_b32_e32 v13, 64, v16
	v_cmp_lt_i32_e64 s[46:47], v12, v13
	s_nop 1
	v_cndmask_b32_e64 v12, v12, v16, s[46:47]
	v_lshlrev_b32_e32 v12, 2, v12
	ds_bpermute_b32 v4, v12, v4
	ds_bpermute_b32 v5, v12, v5
	s_and_saveexec_b64 s[46:47], s[2:3]
	s_cbranch_execz .LBB1109_221
; %bb.220:
	v_cmp_eq_u32_e64 s[2:3], 0, v16
	v_mov_b32_e32 v12, 0
	;;#ASMSTART
	;;#ASMEND
	s_waitcnt lgkmcnt(0)
	v_cndmask_b32_e64 v5, v5, v9, s[2:3]
	v_cndmask_b32_e64 v4, v4, v8, s[2:3]
	v_add_f64 v[4:5], v[2:3], v[4:5]
	v_cmp_eq_u16_sdwa s[2:3], v1, v12 src0_sel:BYTE_0 src1_sel:DWORD
	s_nop 1
	v_cndmask_b32_e64 v3, v3, v5, s[2:3]
	v_cndmask_b32_e64 v2, v2, v4, s[2:3]
	v_add_f64 v[4:5], v[18:19], v[2:3]
	v_cndmask_b32_e64 v45, v19, v5, s[4:5]
	v_cndmask_b32_e64 v44, v18, v4, s[4:5]
	v_add_f64 v[4:5], v[6:7], v[44:45]
	;; [unrolled: 3-line block ×20, first 2 shown]
	v_cndmask_b32_e64 v121, v21, v5, s[44:45]
	v_cndmask_b32_e64 v120, v20, v4, s[44:45]
.LBB1109_221:
	s_or_b64 exec, exec, s[46:47]
	s_and_saveexec_b64 s[2:3], vcc
	s_cbranch_execz .LBB1109_223
; %bb.222:
	v_mov_b32_e32 v1, 0
	s_waitcnt lgkmcnt(0)
	ds_read_b64 v[4:5], v1 offset:48
	ds_read_u8 v6, v1 offset:56
	s_waitcnt lgkmcnt(1)
	global_store_dword v1, v4, s[86:87] offset:1024 sc1
	global_store_dword v1, v5, s[86:87] offset:1028 sc1
	s_waitcnt lgkmcnt(0)
	global_store_dword v1, v6, s[86:87] offset:1032 sc1
	global_store_dword v1, v1, s[86:87] offset:1036 sc1
	v_mov_b32_e32 v4, 2
	s_waitcnt vmcnt(0)
	global_store_byte v1, v4, s[88:89] offset:64 sc1
.LBB1109_223:
	s_or_b64 exec, exec, s[2:3]
	v_mov_b64_e32 v[114:115], v[2:3]
.LBB1109_224:
	s_add_u32 s2, s98, s92
	s_addc_u32 s3, s99, s93
	s_add_u32 s2, s2, s94
	s_addc_u32 s3, s3, s95
	s_and_b64 vcc, exec, s[0:1]
	v_lshlrev_b32_e32 v42, 3, v0
	s_cbranch_vccz .LBB1109_266
; %bb.225:
	s_movk_i32 s0, 0xa8
	v_mul_i32_i24_e32 v50, 0xffffff60, v0
	v_mul_u32_u24_e32 v1, 0xa8, v0
	v_mad_u32_u24 v2, v0, s0, v50
	s_waitcnt lgkmcnt(0)
	s_barrier
	ds_write2_b64 v1, v[114:115], v[44:45] offset1:1
	ds_write2_b64 v1, v[80:81], v[48:49] offset0:2 offset1:3
	ds_write2_b64 v1, v[84:85], v[52:53] offset0:4 offset1:5
	;; [unrolled: 1-line block ×9, first 2 shown]
	ds_write_b64 v1, v[120:121] offset:160
	s_waitcnt lgkmcnt(0)
	s_barrier
	ds_read2st64_b64 v[38:41], v2 offset0:4 offset1:8
	ds_read2st64_b64 v[34:37], v2 offset0:12 offset1:16
	;; [unrolled: 1-line block ×10, first 2 shown]
	s_add_i32 s33, s33, s90
	v_mov_b32_e32 v43, 0
	v_lshl_add_u64 v[46:47], s[2:3], 0, v[42:43]
	v_cmp_gt_u32_e32 vcc, s33, v0
	s_and_saveexec_b64 s[0:1], vcc
	s_cbranch_execz .LBB1109_227
; %bb.226:
	v_add_u32_e32 v1, v1, v50
	ds_read_b64 v[50:51], v1
	s_waitcnt lgkmcnt(0)
	flat_store_dwordx2 v[46:47], v[50:51]
.LBB1109_227:
	s_or_b64 exec, exec, s[0:1]
	v_or_b32_e32 v1, 0x100, v0
	v_cmp_gt_u32_e32 vcc, s33, v1
	s_and_saveexec_b64 s[0:1], vcc
	s_cbranch_execz .LBB1109_229
; %bb.228:
	s_waitcnt lgkmcnt(0)
	flat_store_dwordx2 v[46:47], v[38:39] offset:2048
.LBB1109_229:
	s_or_b64 exec, exec, s[0:1]
	v_or_b32_e32 v1, 0x200, v0
	v_cmp_gt_u32_e32 vcc, s33, v1
	s_and_saveexec_b64 s[0:1], vcc
	s_cbranch_execz .LBB1109_231
; %bb.230:
	s_waitcnt lgkmcnt(0)
	v_add_co_u32_e32 v38, vcc, 0x1000, v46
	s_nop 1
	v_addc_co_u32_e32 v39, vcc, 0, v47, vcc
	flat_store_dwordx2 v[38:39], v[40:41]
.LBB1109_231:
	s_or_b64 exec, exec, s[0:1]
	v_or_b32_e32 v1, 0x300, v0
	v_cmp_gt_u32_e32 vcc, s33, v1
	s_and_saveexec_b64 s[0:1], vcc
	s_cbranch_execz .LBB1109_233
; %bb.232:
	s_waitcnt lgkmcnt(0)
	v_add_co_u32_e32 v38, vcc, 0x1000, v46
	s_nop 1
	v_addc_co_u32_e32 v39, vcc, 0, v47, vcc
	flat_store_dwordx2 v[38:39], v[34:35] offset:2048
.LBB1109_233:
	s_or_b64 exec, exec, s[0:1]
	v_or_b32_e32 v1, 0x400, v0
	v_cmp_gt_u32_e32 vcc, s33, v1
	s_and_saveexec_b64 s[0:1], vcc
	s_cbranch_execz .LBB1109_235
; %bb.234:
	s_waitcnt lgkmcnt(0)
	v_add_co_u32_e32 v34, vcc, 0x2000, v46
	s_nop 1
	v_addc_co_u32_e32 v35, vcc, 0, v47, vcc
	flat_store_dwordx2 v[34:35], v[36:37]
.LBB1109_235:
	s_or_b64 exec, exec, s[0:1]
	v_or_b32_e32 v1, 0x500, v0
	v_cmp_gt_u32_e32 vcc, s33, v1
	s_and_saveexec_b64 s[0:1], vcc
	s_cbranch_execz .LBB1109_237
; %bb.236:
	s_waitcnt lgkmcnt(0)
	v_add_co_u32_e32 v34, vcc, 0x2000, v46
	s_nop 1
	v_addc_co_u32_e32 v35, vcc, 0, v47, vcc
	flat_store_dwordx2 v[34:35], v[30:31] offset:2048
.LBB1109_237:
	;; [unrolled: 24-line block ×9, first 2 shown]
	s_or_b64 exec, exec, s[0:1]
	s_waitcnt lgkmcnt(0)
	v_or_b32_e32 v2, 0x1400, v0
	v_mov_b32_e32 v1, v43
	v_cmp_gt_u32_e64 s[0:1], s33, v2
	s_branch .LBB1109_268
.LBB1109_266:
	s_mov_b64 s[0:1], 0
                                        ; implicit-def: $vgpr4_vgpr5
	s_cbranch_execz .LBB1109_268
; %bb.267:
	v_mul_u32_u24_e32 v1, 0xa8, v0
	s_waitcnt lgkmcnt(0)
	s_barrier
	s_movk_i32 s4, 0xa8
	ds_write2_b64 v1, v[114:115], v[44:45] offset1:1
	ds_write2_b64 v1, v[80:81], v[48:49] offset0:2 offset1:3
	ds_write2_b64 v1, v[84:85], v[52:53] offset0:4 offset1:5
	;; [unrolled: 1-line block ×9, first 2 shown]
	ds_write_b64 v1, v[120:121] offset:160
	v_mov_b32_e32 v1, 0
	v_mul_i32_i24_e32 v2, 0xffffff60, v0
	v_mad_u32_u24 v2, v0, s4, v2
	v_mov_b32_e32 v43, v1
	s_waitcnt lgkmcnt(0)
	s_barrier
	ds_read2st64_b64 v[6:9], v2 offset1:4
	ds_read2st64_b64 v[10:13], v2 offset0:8 offset1:12
	ds_read2st64_b64 v[14:17], v2 offset0:16 offset1:20
	;; [unrolled: 1-line block ×9, first 2 shown]
	ds_read_b64 v[4:5], v2 offset:40960
	v_lshl_add_u64 v[2:3], s[2:3], 0, v[42:43]
	s_movk_i32 s4, 0x1000
	s_waitcnt lgkmcnt(0)
	flat_store_dwordx2 v[2:3], v[6:7]
	flat_store_dwordx2 v[2:3], v[8:9] offset:2048
	v_add_co_u32_e32 v6, vcc, s4, v2
	s_movk_i32 s4, 0x2000
	s_nop 0
	v_addc_co_u32_e32 v7, vcc, 0, v3, vcc
	flat_store_dwordx2 v[6:7], v[10:11]
	flat_store_dwordx2 v[6:7], v[12:13] offset:2048
	v_add_co_u32_e32 v6, vcc, s4, v2
	s_movk_i32 s4, 0x3000
	s_nop 0
	v_addc_co_u32_e32 v7, vcc, 0, v3, vcc
	;; [unrolled: 6-line block ×6, first 2 shown]
	flat_store_dwordx2 v[6:7], v[30:31]
	flat_store_dwordx2 v[6:7], v[32:33] offset:2048
	v_add_co_u32_e32 v6, vcc, s4, v2
	s_or_b64 s[0:1], s[0:1], exec
	s_nop 0
	v_addc_co_u32_e32 v7, vcc, 0, v3, vcc
	flat_store_dwordx2 v[6:7], v[34:35]
	flat_store_dwordx2 v[6:7], v[36:37] offset:2048
	v_add_co_u32_e32 v6, vcc, 0x8000, v2
	s_nop 1
	v_addc_co_u32_e32 v7, vcc, 0, v3, vcc
	v_add_co_u32_e32 v2, vcc, 0x9000, v2
	flat_store_dwordx2 v[6:7], v[38:39]
	flat_store_dwordx2 v[6:7], v[40:41] offset:2048
	v_addc_co_u32_e32 v3, vcc, 0, v3, vcc
	flat_store_dwordx2 v[2:3], v[44:45]
	flat_store_dwordx2 v[2:3], v[46:47] offset:2048
.LBB1109_268:
	s_and_saveexec_b64 s[4:5], s[0:1]
	s_cbranch_execnz .LBB1109_270
; %bb.269:
	s_endpgm
.LBB1109_270:
	v_lshl_add_u64 v[0:1], v[0:1], 3, s[2:3]
	v_add_co_u32_e32 v0, vcc, 0xa000, v0
	s_nop 1
	v_addc_co_u32_e32 v1, vcc, 0, v1, vcc
	s_waitcnt lgkmcnt(0)
	flat_store_dwordx2 v[0:1], v[4:5]
	s_endpgm
.LBB1109_271:
	v_lshlrev_b32_e32 v6, 3, v0
	v_lshl_add_u64 v[2:3], s[48:49], 0, v[6:7]
	flat_load_dwordx2 v[2:3], v[2:3]
	s_or_b64 exec, exec, s[56:57]
                                        ; implicit-def: $vgpr6_vgpr7
	s_and_saveexec_b64 s[46:47], s[4:5]
	s_cbranch_execz .LBB1109_51
.LBB1109_272:
	v_lshlrev_b32_e32 v6, 3, v0
	v_mov_b32_e32 v7, 0
	v_lshl_add_u64 v[6:7], s[48:49], 0, v[6:7]
	flat_load_dwordx2 v[6:7], v[6:7] offset:2048
	s_or_b64 exec, exec, s[46:47]
                                        ; implicit-def: $vgpr10_vgpr11
	s_and_saveexec_b64 s[4:5], s[6:7]
	s_cbranch_execz .LBB1109_52
.LBB1109_273:
	v_lshlrev_b32_e32 v10, 3, v1
	v_mov_b32_e32 v11, 0
	v_lshl_add_u64 v[10:11], s[48:49], 0, v[10:11]
	flat_load_dwordx2 v[10:11], v[10:11]
	s_or_b64 exec, exec, s[4:5]
                                        ; implicit-def: $vgpr14_vgpr15
	s_and_saveexec_b64 s[4:5], s[8:9]
	s_cbranch_execz .LBB1109_53
.LBB1109_274:
	v_lshlrev_b32_e32 v14, 3, v18
	v_mov_b32_e32 v15, 0
	v_lshl_add_u64 v[14:15], s[48:49], 0, v[14:15]
	flat_load_dwordx2 v[14:15], v[14:15]
	s_or_b64 exec, exec, s[4:5]
                                        ; implicit-def: $vgpr18_vgpr19
	s_and_saveexec_b64 s[4:5], s[10:11]
	s_cbranch_execz .LBB1109_54
.LBB1109_275:
	v_lshlrev_b32_e32 v18, 3, v20
	v_mov_b32_e32 v19, 0
	v_lshl_add_u64 v[18:19], s[48:49], 0, v[18:19]
	flat_load_dwordx2 v[18:19], v[18:19]
	s_or_b64 exec, exec, s[4:5]
                                        ; implicit-def: $vgpr20_vgpr21
	s_and_saveexec_b64 s[4:5], s[12:13]
	s_cbranch_execz .LBB1109_55
.LBB1109_276:
	v_lshlrev_b32_e32 v20, 3, v22
	v_mov_b32_e32 v21, 0
	v_lshl_add_u64 v[20:21], s[48:49], 0, v[20:21]
	flat_load_dwordx2 v[20:21], v[20:21]
	s_or_b64 exec, exec, s[4:5]
                                        ; implicit-def: $vgpr22_vgpr23
	s_and_saveexec_b64 s[4:5], s[14:15]
	s_cbranch_execz .LBB1109_56
.LBB1109_277:
	v_lshlrev_b32_e32 v22, 3, v26
	v_mov_b32_e32 v23, 0
	v_lshl_add_u64 v[22:23], s[48:49], 0, v[22:23]
	flat_load_dwordx2 v[22:23], v[22:23]
	s_or_b64 exec, exec, s[4:5]
                                        ; implicit-def: $vgpr26_vgpr27
	s_and_saveexec_b64 s[4:5], s[16:17]
	s_cbranch_execz .LBB1109_57
.LBB1109_278:
	v_lshlrev_b32_e32 v26, 3, v30
	v_mov_b32_e32 v27, 0
	v_lshl_add_u64 v[26:27], s[48:49], 0, v[26:27]
	flat_load_dwordx2 v[26:27], v[26:27]
	s_or_b64 exec, exec, s[4:5]
                                        ; implicit-def: $vgpr30_vgpr31
	s_and_saveexec_b64 s[4:5], s[18:19]
	s_cbranch_execz .LBB1109_58
.LBB1109_279:
	v_lshlrev_b32_e32 v30, 3, v34
	v_mov_b32_e32 v31, 0
	v_lshl_add_u64 v[30:31], s[48:49], 0, v[30:31]
	flat_load_dwordx2 v[30:31], v[30:31]
	s_or_b64 exec, exec, s[4:5]
                                        ; implicit-def: $vgpr34_vgpr35
	s_and_saveexec_b64 s[4:5], s[20:21]
	s_cbranch_execz .LBB1109_59
.LBB1109_280:
	v_lshlrev_b32_e32 v34, 3, v38
	v_mov_b32_e32 v35, 0
	v_lshl_add_u64 v[34:35], s[48:49], 0, v[34:35]
	flat_load_dwordx2 v[34:35], v[34:35]
	s_or_b64 exec, exec, s[4:5]
                                        ; implicit-def: $vgpr38_vgpr39
	s_and_saveexec_b64 s[4:5], s[22:23]
	s_cbranch_execz .LBB1109_60
.LBB1109_281:
	v_lshlrev_b32_e32 v38, 3, v42
	v_mov_b32_e32 v39, 0
	v_lshl_add_u64 v[38:39], s[48:49], 0, v[38:39]
	flat_load_dwordx2 v[38:39], v[38:39]
	s_or_b64 exec, exec, s[4:5]
                                        ; implicit-def: $vgpr42_vgpr43
	s_and_saveexec_b64 s[4:5], s[24:25]
	s_cbranch_execz .LBB1109_61
.LBB1109_282:
	v_lshlrev_b32_e32 v42, 3, v46
	v_mov_b32_e32 v43, 0
	v_lshl_add_u64 v[42:43], s[48:49], 0, v[42:43]
	flat_load_dwordx2 v[42:43], v[42:43]
	s_or_b64 exec, exec, s[4:5]
                                        ; implicit-def: $vgpr46_vgpr47
	s_and_saveexec_b64 s[4:5], s[26:27]
	s_cbranch_execz .LBB1109_62
.LBB1109_283:
	v_lshlrev_b32_e32 v46, 3, v48
	v_mov_b32_e32 v47, 0
	v_lshl_add_u64 v[46:47], s[48:49], 0, v[46:47]
	flat_load_dwordx2 v[46:47], v[46:47]
	s_or_b64 exec, exec, s[4:5]
                                        ; implicit-def: $vgpr48_vgpr49
	s_and_saveexec_b64 s[4:5], s[28:29]
	s_cbranch_execz .LBB1109_63
.LBB1109_284:
	v_lshlrev_b32_e32 v48, 3, v50
	v_mov_b32_e32 v49, 0
	v_lshl_add_u64 v[48:49], s[48:49], 0, v[48:49]
	flat_load_dwordx2 v[48:49], v[48:49]
	s_or_b64 exec, exec, s[4:5]
                                        ; implicit-def: $vgpr50_vgpr51
	s_and_saveexec_b64 s[4:5], s[30:31]
	s_cbranch_execz .LBB1109_64
.LBB1109_285:
	v_lshlrev_b32_e32 v50, 3, v52
	v_mov_b32_e32 v51, 0
	v_lshl_add_u64 v[50:51], s[48:49], 0, v[50:51]
	flat_load_dwordx2 v[50:51], v[50:51]
	s_or_b64 exec, exec, s[4:5]
                                        ; implicit-def: $vgpr52_vgpr53
	s_and_saveexec_b64 s[4:5], s[34:35]
	s_cbranch_execz .LBB1109_65
.LBB1109_286:
	v_lshlrev_b32_e32 v52, 3, v54
	v_mov_b32_e32 v53, 0
	v_lshl_add_u64 v[52:53], s[48:49], 0, v[52:53]
	flat_load_dwordx2 v[52:53], v[52:53]
	s_or_b64 exec, exec, s[4:5]
                                        ; implicit-def: $vgpr54_vgpr55
	s_and_saveexec_b64 s[4:5], s[36:37]
	s_cbranch_execz .LBB1109_66
.LBB1109_287:
	v_lshlrev_b32_e32 v54, 3, v56
	v_mov_b32_e32 v55, 0
	v_lshl_add_u64 v[54:55], s[48:49], 0, v[54:55]
	flat_load_dwordx2 v[54:55], v[54:55]
	s_or_b64 exec, exec, s[4:5]
                                        ; implicit-def: $vgpr56_vgpr57
	s_and_saveexec_b64 s[4:5], s[38:39]
	s_cbranch_execz .LBB1109_67
.LBB1109_288:
	v_lshlrev_b32_e32 v56, 3, v58
	v_mov_b32_e32 v57, 0
	v_lshl_add_u64 v[56:57], s[48:49], 0, v[56:57]
	flat_load_dwordx2 v[56:57], v[56:57]
	s_or_b64 exec, exec, s[4:5]
                                        ; implicit-def: $vgpr58_vgpr59
	s_and_saveexec_b64 s[4:5], s[40:41]
	s_cbranch_execz .LBB1109_68
.LBB1109_289:
	v_lshlrev_b32_e32 v58, 3, v60
	v_mov_b32_e32 v59, 0
	v_lshl_add_u64 v[58:59], s[48:49], 0, v[58:59]
	flat_load_dwordx2 v[58:59], v[58:59]
	s_or_b64 exec, exec, s[4:5]
                                        ; implicit-def: $vgpr60_vgpr61
	s_and_saveexec_b64 s[4:5], s[42:43]
	s_cbranch_execz .LBB1109_69
.LBB1109_290:
	v_lshlrev_b32_e32 v60, 3, v62
	v_mov_b32_e32 v61, 0
	v_lshl_add_u64 v[60:61], s[48:49], 0, v[60:61]
	flat_load_dwordx2 v[60:61], v[60:61]
	s_or_b64 exec, exec, s[4:5]
                                        ; implicit-def: $vgpr62_vgpr63
	s_and_saveexec_b64 s[4:5], s[44:45]
	s_cbranch_execnz .LBB1109_70
	s_branch .LBB1109_71
.LBB1109_291:
                                        ; implicit-def: $sgpr56_sgpr57
	s_branch .LBB1109_46
.LBB1109_292:
                                        ; implicit-def: $sgpr4_sgpr5
	s_branch .LBB1109_116
	.section	.rodata,"a",@progbits
	.p2align	6, 0x0
	.amdhsa_kernel _ZN7rocprim17ROCPRIM_400000_NS6detail17trampoline_kernelINS0_14default_configENS1_27scan_by_key_config_selectorIidEEZZNS1_16scan_by_key_implILNS1_25lookback_scan_determinismE0ELb0ES3_N6thrust23THRUST_200600_302600_NS6detail15normal_iteratorINS9_10device_ptrIiEEEENSB_INSC_IdEEEESG_dNS9_4plusIvEENS9_8equal_toIvEEdEE10hipError_tPvRmT2_T3_T4_T5_mT6_T7_P12ihipStream_tbENKUlT_T0_E_clISt17integral_constantIbLb1EES10_IbLb0EEEEDaSW_SX_EUlSW_E_NS1_11comp_targetILNS1_3genE5ELNS1_11target_archE942ELNS1_3gpuE9ELNS1_3repE0EEENS1_30default_config_static_selectorELNS0_4arch9wavefront6targetE1EEEvT1_
		.amdhsa_group_segment_fixed_size 43008
		.amdhsa_private_segment_fixed_size 0
		.amdhsa_kernarg_size 136
		.amdhsa_user_sgpr_count 2
		.amdhsa_user_sgpr_dispatch_ptr 0
		.amdhsa_user_sgpr_queue_ptr 0
		.amdhsa_user_sgpr_kernarg_segment_ptr 1
		.amdhsa_user_sgpr_dispatch_id 0
		.amdhsa_user_sgpr_kernarg_preload_length 0
		.amdhsa_user_sgpr_kernarg_preload_offset 0
		.amdhsa_user_sgpr_private_segment_size 0
		.amdhsa_uses_dynamic_stack 0
		.amdhsa_enable_private_segment 0
		.amdhsa_system_sgpr_workgroup_id_x 1
		.amdhsa_system_sgpr_workgroup_id_y 0
		.amdhsa_system_sgpr_workgroup_id_z 0
		.amdhsa_system_sgpr_workgroup_info 0
		.amdhsa_system_vgpr_workitem_id 0
		.amdhsa_next_free_vgpr 134
		.amdhsa_next_free_sgpr 100
		.amdhsa_accum_offset 136
		.amdhsa_reserve_vcc 1
		.amdhsa_float_round_mode_32 0
		.amdhsa_float_round_mode_16_64 0
		.amdhsa_float_denorm_mode_32 3
		.amdhsa_float_denorm_mode_16_64 3
		.amdhsa_dx10_clamp 1
		.amdhsa_ieee_mode 1
		.amdhsa_fp16_overflow 0
		.amdhsa_tg_split 0
		.amdhsa_exception_fp_ieee_invalid_op 0
		.amdhsa_exception_fp_denorm_src 0
		.amdhsa_exception_fp_ieee_div_zero 0
		.amdhsa_exception_fp_ieee_overflow 0
		.amdhsa_exception_fp_ieee_underflow 0
		.amdhsa_exception_fp_ieee_inexact 0
		.amdhsa_exception_int_div_zero 0
	.end_amdhsa_kernel
	.section	.text._ZN7rocprim17ROCPRIM_400000_NS6detail17trampoline_kernelINS0_14default_configENS1_27scan_by_key_config_selectorIidEEZZNS1_16scan_by_key_implILNS1_25lookback_scan_determinismE0ELb0ES3_N6thrust23THRUST_200600_302600_NS6detail15normal_iteratorINS9_10device_ptrIiEEEENSB_INSC_IdEEEESG_dNS9_4plusIvEENS9_8equal_toIvEEdEE10hipError_tPvRmT2_T3_T4_T5_mT6_T7_P12ihipStream_tbENKUlT_T0_E_clISt17integral_constantIbLb1EES10_IbLb0EEEEDaSW_SX_EUlSW_E_NS1_11comp_targetILNS1_3genE5ELNS1_11target_archE942ELNS1_3gpuE9ELNS1_3repE0EEENS1_30default_config_static_selectorELNS0_4arch9wavefront6targetE1EEEvT1_,"axG",@progbits,_ZN7rocprim17ROCPRIM_400000_NS6detail17trampoline_kernelINS0_14default_configENS1_27scan_by_key_config_selectorIidEEZZNS1_16scan_by_key_implILNS1_25lookback_scan_determinismE0ELb0ES3_N6thrust23THRUST_200600_302600_NS6detail15normal_iteratorINS9_10device_ptrIiEEEENSB_INSC_IdEEEESG_dNS9_4plusIvEENS9_8equal_toIvEEdEE10hipError_tPvRmT2_T3_T4_T5_mT6_T7_P12ihipStream_tbENKUlT_T0_E_clISt17integral_constantIbLb1EES10_IbLb0EEEEDaSW_SX_EUlSW_E_NS1_11comp_targetILNS1_3genE5ELNS1_11target_archE942ELNS1_3gpuE9ELNS1_3repE0EEENS1_30default_config_static_selectorELNS0_4arch9wavefront6targetE1EEEvT1_,comdat
.Lfunc_end1109:
	.size	_ZN7rocprim17ROCPRIM_400000_NS6detail17trampoline_kernelINS0_14default_configENS1_27scan_by_key_config_selectorIidEEZZNS1_16scan_by_key_implILNS1_25lookback_scan_determinismE0ELb0ES3_N6thrust23THRUST_200600_302600_NS6detail15normal_iteratorINS9_10device_ptrIiEEEENSB_INSC_IdEEEESG_dNS9_4plusIvEENS9_8equal_toIvEEdEE10hipError_tPvRmT2_T3_T4_T5_mT6_T7_P12ihipStream_tbENKUlT_T0_E_clISt17integral_constantIbLb1EES10_IbLb0EEEEDaSW_SX_EUlSW_E_NS1_11comp_targetILNS1_3genE5ELNS1_11target_archE942ELNS1_3gpuE9ELNS1_3repE0EEENS1_30default_config_static_selectorELNS0_4arch9wavefront6targetE1EEEvT1_, .Lfunc_end1109-_ZN7rocprim17ROCPRIM_400000_NS6detail17trampoline_kernelINS0_14default_configENS1_27scan_by_key_config_selectorIidEEZZNS1_16scan_by_key_implILNS1_25lookback_scan_determinismE0ELb0ES3_N6thrust23THRUST_200600_302600_NS6detail15normal_iteratorINS9_10device_ptrIiEEEENSB_INSC_IdEEEESG_dNS9_4plusIvEENS9_8equal_toIvEEdEE10hipError_tPvRmT2_T3_T4_T5_mT6_T7_P12ihipStream_tbENKUlT_T0_E_clISt17integral_constantIbLb1EES10_IbLb0EEEEDaSW_SX_EUlSW_E_NS1_11comp_targetILNS1_3genE5ELNS1_11target_archE942ELNS1_3gpuE9ELNS1_3repE0EEENS1_30default_config_static_selectorELNS0_4arch9wavefront6targetE1EEEvT1_
                                        ; -- End function
	.section	.AMDGPU.csdata,"",@progbits
; Kernel info:
; codeLenInByte = 17180
; NumSgprs: 106
; NumVgprs: 134
; NumAgprs: 0
; TotalNumVgprs: 134
; ScratchSize: 0
; MemoryBound: 0
; FloatMode: 240
; IeeeMode: 1
; LDSByteSize: 43008 bytes/workgroup (compile time only)
; SGPRBlocks: 13
; VGPRBlocks: 16
; NumSGPRsForWavesPerEU: 106
; NumVGPRsForWavesPerEU: 134
; AccumOffset: 136
; Occupancy: 1
; WaveLimiterHint : 1
; COMPUTE_PGM_RSRC2:SCRATCH_EN: 0
; COMPUTE_PGM_RSRC2:USER_SGPR: 2
; COMPUTE_PGM_RSRC2:TRAP_HANDLER: 0
; COMPUTE_PGM_RSRC2:TGID_X_EN: 1
; COMPUTE_PGM_RSRC2:TGID_Y_EN: 0
; COMPUTE_PGM_RSRC2:TGID_Z_EN: 0
; COMPUTE_PGM_RSRC2:TIDIG_COMP_CNT: 0
; COMPUTE_PGM_RSRC3_GFX90A:ACCUM_OFFSET: 33
; COMPUTE_PGM_RSRC3_GFX90A:TG_SPLIT: 0
	.section	.text._ZN7rocprim17ROCPRIM_400000_NS6detail17trampoline_kernelINS0_14default_configENS1_27scan_by_key_config_selectorIidEEZZNS1_16scan_by_key_implILNS1_25lookback_scan_determinismE0ELb0ES3_N6thrust23THRUST_200600_302600_NS6detail15normal_iteratorINS9_10device_ptrIiEEEENSB_INSC_IdEEEESG_dNS9_4plusIvEENS9_8equal_toIvEEdEE10hipError_tPvRmT2_T3_T4_T5_mT6_T7_P12ihipStream_tbENKUlT_T0_E_clISt17integral_constantIbLb1EES10_IbLb0EEEEDaSW_SX_EUlSW_E_NS1_11comp_targetILNS1_3genE4ELNS1_11target_archE910ELNS1_3gpuE8ELNS1_3repE0EEENS1_30default_config_static_selectorELNS0_4arch9wavefront6targetE1EEEvT1_,"axG",@progbits,_ZN7rocprim17ROCPRIM_400000_NS6detail17trampoline_kernelINS0_14default_configENS1_27scan_by_key_config_selectorIidEEZZNS1_16scan_by_key_implILNS1_25lookback_scan_determinismE0ELb0ES3_N6thrust23THRUST_200600_302600_NS6detail15normal_iteratorINS9_10device_ptrIiEEEENSB_INSC_IdEEEESG_dNS9_4plusIvEENS9_8equal_toIvEEdEE10hipError_tPvRmT2_T3_T4_T5_mT6_T7_P12ihipStream_tbENKUlT_T0_E_clISt17integral_constantIbLb1EES10_IbLb0EEEEDaSW_SX_EUlSW_E_NS1_11comp_targetILNS1_3genE4ELNS1_11target_archE910ELNS1_3gpuE8ELNS1_3repE0EEENS1_30default_config_static_selectorELNS0_4arch9wavefront6targetE1EEEvT1_,comdat
	.protected	_ZN7rocprim17ROCPRIM_400000_NS6detail17trampoline_kernelINS0_14default_configENS1_27scan_by_key_config_selectorIidEEZZNS1_16scan_by_key_implILNS1_25lookback_scan_determinismE0ELb0ES3_N6thrust23THRUST_200600_302600_NS6detail15normal_iteratorINS9_10device_ptrIiEEEENSB_INSC_IdEEEESG_dNS9_4plusIvEENS9_8equal_toIvEEdEE10hipError_tPvRmT2_T3_T4_T5_mT6_T7_P12ihipStream_tbENKUlT_T0_E_clISt17integral_constantIbLb1EES10_IbLb0EEEEDaSW_SX_EUlSW_E_NS1_11comp_targetILNS1_3genE4ELNS1_11target_archE910ELNS1_3gpuE8ELNS1_3repE0EEENS1_30default_config_static_selectorELNS0_4arch9wavefront6targetE1EEEvT1_ ; -- Begin function _ZN7rocprim17ROCPRIM_400000_NS6detail17trampoline_kernelINS0_14default_configENS1_27scan_by_key_config_selectorIidEEZZNS1_16scan_by_key_implILNS1_25lookback_scan_determinismE0ELb0ES3_N6thrust23THRUST_200600_302600_NS6detail15normal_iteratorINS9_10device_ptrIiEEEENSB_INSC_IdEEEESG_dNS9_4plusIvEENS9_8equal_toIvEEdEE10hipError_tPvRmT2_T3_T4_T5_mT6_T7_P12ihipStream_tbENKUlT_T0_E_clISt17integral_constantIbLb1EES10_IbLb0EEEEDaSW_SX_EUlSW_E_NS1_11comp_targetILNS1_3genE4ELNS1_11target_archE910ELNS1_3gpuE8ELNS1_3repE0EEENS1_30default_config_static_selectorELNS0_4arch9wavefront6targetE1EEEvT1_
	.globl	_ZN7rocprim17ROCPRIM_400000_NS6detail17trampoline_kernelINS0_14default_configENS1_27scan_by_key_config_selectorIidEEZZNS1_16scan_by_key_implILNS1_25lookback_scan_determinismE0ELb0ES3_N6thrust23THRUST_200600_302600_NS6detail15normal_iteratorINS9_10device_ptrIiEEEENSB_INSC_IdEEEESG_dNS9_4plusIvEENS9_8equal_toIvEEdEE10hipError_tPvRmT2_T3_T4_T5_mT6_T7_P12ihipStream_tbENKUlT_T0_E_clISt17integral_constantIbLb1EES10_IbLb0EEEEDaSW_SX_EUlSW_E_NS1_11comp_targetILNS1_3genE4ELNS1_11target_archE910ELNS1_3gpuE8ELNS1_3repE0EEENS1_30default_config_static_selectorELNS0_4arch9wavefront6targetE1EEEvT1_
	.p2align	8
	.type	_ZN7rocprim17ROCPRIM_400000_NS6detail17trampoline_kernelINS0_14default_configENS1_27scan_by_key_config_selectorIidEEZZNS1_16scan_by_key_implILNS1_25lookback_scan_determinismE0ELb0ES3_N6thrust23THRUST_200600_302600_NS6detail15normal_iteratorINS9_10device_ptrIiEEEENSB_INSC_IdEEEESG_dNS9_4plusIvEENS9_8equal_toIvEEdEE10hipError_tPvRmT2_T3_T4_T5_mT6_T7_P12ihipStream_tbENKUlT_T0_E_clISt17integral_constantIbLb1EES10_IbLb0EEEEDaSW_SX_EUlSW_E_NS1_11comp_targetILNS1_3genE4ELNS1_11target_archE910ELNS1_3gpuE8ELNS1_3repE0EEENS1_30default_config_static_selectorELNS0_4arch9wavefront6targetE1EEEvT1_,@function
_ZN7rocprim17ROCPRIM_400000_NS6detail17trampoline_kernelINS0_14default_configENS1_27scan_by_key_config_selectorIidEEZZNS1_16scan_by_key_implILNS1_25lookback_scan_determinismE0ELb0ES3_N6thrust23THRUST_200600_302600_NS6detail15normal_iteratorINS9_10device_ptrIiEEEENSB_INSC_IdEEEESG_dNS9_4plusIvEENS9_8equal_toIvEEdEE10hipError_tPvRmT2_T3_T4_T5_mT6_T7_P12ihipStream_tbENKUlT_T0_E_clISt17integral_constantIbLb1EES10_IbLb0EEEEDaSW_SX_EUlSW_E_NS1_11comp_targetILNS1_3genE4ELNS1_11target_archE910ELNS1_3gpuE8ELNS1_3repE0EEENS1_30default_config_static_selectorELNS0_4arch9wavefront6targetE1EEEvT1_: ; @_ZN7rocprim17ROCPRIM_400000_NS6detail17trampoline_kernelINS0_14default_configENS1_27scan_by_key_config_selectorIidEEZZNS1_16scan_by_key_implILNS1_25lookback_scan_determinismE0ELb0ES3_N6thrust23THRUST_200600_302600_NS6detail15normal_iteratorINS9_10device_ptrIiEEEENSB_INSC_IdEEEESG_dNS9_4plusIvEENS9_8equal_toIvEEdEE10hipError_tPvRmT2_T3_T4_T5_mT6_T7_P12ihipStream_tbENKUlT_T0_E_clISt17integral_constantIbLb1EES10_IbLb0EEEEDaSW_SX_EUlSW_E_NS1_11comp_targetILNS1_3genE4ELNS1_11target_archE910ELNS1_3gpuE8ELNS1_3repE0EEENS1_30default_config_static_selectorELNS0_4arch9wavefront6targetE1EEEvT1_
; %bb.0:
	.section	.rodata,"a",@progbits
	.p2align	6, 0x0
	.amdhsa_kernel _ZN7rocprim17ROCPRIM_400000_NS6detail17trampoline_kernelINS0_14default_configENS1_27scan_by_key_config_selectorIidEEZZNS1_16scan_by_key_implILNS1_25lookback_scan_determinismE0ELb0ES3_N6thrust23THRUST_200600_302600_NS6detail15normal_iteratorINS9_10device_ptrIiEEEENSB_INSC_IdEEEESG_dNS9_4plusIvEENS9_8equal_toIvEEdEE10hipError_tPvRmT2_T3_T4_T5_mT6_T7_P12ihipStream_tbENKUlT_T0_E_clISt17integral_constantIbLb1EES10_IbLb0EEEEDaSW_SX_EUlSW_E_NS1_11comp_targetILNS1_3genE4ELNS1_11target_archE910ELNS1_3gpuE8ELNS1_3repE0EEENS1_30default_config_static_selectorELNS0_4arch9wavefront6targetE1EEEvT1_
		.amdhsa_group_segment_fixed_size 0
		.amdhsa_private_segment_fixed_size 0
		.amdhsa_kernarg_size 136
		.amdhsa_user_sgpr_count 2
		.amdhsa_user_sgpr_dispatch_ptr 0
		.amdhsa_user_sgpr_queue_ptr 0
		.amdhsa_user_sgpr_kernarg_segment_ptr 1
		.amdhsa_user_sgpr_dispatch_id 0
		.amdhsa_user_sgpr_kernarg_preload_length 0
		.amdhsa_user_sgpr_kernarg_preload_offset 0
		.amdhsa_user_sgpr_private_segment_size 0
		.amdhsa_uses_dynamic_stack 0
		.amdhsa_enable_private_segment 0
		.amdhsa_system_sgpr_workgroup_id_x 1
		.amdhsa_system_sgpr_workgroup_id_y 0
		.amdhsa_system_sgpr_workgroup_id_z 0
		.amdhsa_system_sgpr_workgroup_info 0
		.amdhsa_system_vgpr_workitem_id 0
		.amdhsa_next_free_vgpr 1
		.amdhsa_next_free_sgpr 0
		.amdhsa_accum_offset 4
		.amdhsa_reserve_vcc 0
		.amdhsa_float_round_mode_32 0
		.amdhsa_float_round_mode_16_64 0
		.amdhsa_float_denorm_mode_32 3
		.amdhsa_float_denorm_mode_16_64 3
		.amdhsa_dx10_clamp 1
		.amdhsa_ieee_mode 1
		.amdhsa_fp16_overflow 0
		.amdhsa_tg_split 0
		.amdhsa_exception_fp_ieee_invalid_op 0
		.amdhsa_exception_fp_denorm_src 0
		.amdhsa_exception_fp_ieee_div_zero 0
		.amdhsa_exception_fp_ieee_overflow 0
		.amdhsa_exception_fp_ieee_underflow 0
		.amdhsa_exception_fp_ieee_inexact 0
		.amdhsa_exception_int_div_zero 0
	.end_amdhsa_kernel
	.section	.text._ZN7rocprim17ROCPRIM_400000_NS6detail17trampoline_kernelINS0_14default_configENS1_27scan_by_key_config_selectorIidEEZZNS1_16scan_by_key_implILNS1_25lookback_scan_determinismE0ELb0ES3_N6thrust23THRUST_200600_302600_NS6detail15normal_iteratorINS9_10device_ptrIiEEEENSB_INSC_IdEEEESG_dNS9_4plusIvEENS9_8equal_toIvEEdEE10hipError_tPvRmT2_T3_T4_T5_mT6_T7_P12ihipStream_tbENKUlT_T0_E_clISt17integral_constantIbLb1EES10_IbLb0EEEEDaSW_SX_EUlSW_E_NS1_11comp_targetILNS1_3genE4ELNS1_11target_archE910ELNS1_3gpuE8ELNS1_3repE0EEENS1_30default_config_static_selectorELNS0_4arch9wavefront6targetE1EEEvT1_,"axG",@progbits,_ZN7rocprim17ROCPRIM_400000_NS6detail17trampoline_kernelINS0_14default_configENS1_27scan_by_key_config_selectorIidEEZZNS1_16scan_by_key_implILNS1_25lookback_scan_determinismE0ELb0ES3_N6thrust23THRUST_200600_302600_NS6detail15normal_iteratorINS9_10device_ptrIiEEEENSB_INSC_IdEEEESG_dNS9_4plusIvEENS9_8equal_toIvEEdEE10hipError_tPvRmT2_T3_T4_T5_mT6_T7_P12ihipStream_tbENKUlT_T0_E_clISt17integral_constantIbLb1EES10_IbLb0EEEEDaSW_SX_EUlSW_E_NS1_11comp_targetILNS1_3genE4ELNS1_11target_archE910ELNS1_3gpuE8ELNS1_3repE0EEENS1_30default_config_static_selectorELNS0_4arch9wavefront6targetE1EEEvT1_,comdat
.Lfunc_end1110:
	.size	_ZN7rocprim17ROCPRIM_400000_NS6detail17trampoline_kernelINS0_14default_configENS1_27scan_by_key_config_selectorIidEEZZNS1_16scan_by_key_implILNS1_25lookback_scan_determinismE0ELb0ES3_N6thrust23THRUST_200600_302600_NS6detail15normal_iteratorINS9_10device_ptrIiEEEENSB_INSC_IdEEEESG_dNS9_4plusIvEENS9_8equal_toIvEEdEE10hipError_tPvRmT2_T3_T4_T5_mT6_T7_P12ihipStream_tbENKUlT_T0_E_clISt17integral_constantIbLb1EES10_IbLb0EEEEDaSW_SX_EUlSW_E_NS1_11comp_targetILNS1_3genE4ELNS1_11target_archE910ELNS1_3gpuE8ELNS1_3repE0EEENS1_30default_config_static_selectorELNS0_4arch9wavefront6targetE1EEEvT1_, .Lfunc_end1110-_ZN7rocprim17ROCPRIM_400000_NS6detail17trampoline_kernelINS0_14default_configENS1_27scan_by_key_config_selectorIidEEZZNS1_16scan_by_key_implILNS1_25lookback_scan_determinismE0ELb0ES3_N6thrust23THRUST_200600_302600_NS6detail15normal_iteratorINS9_10device_ptrIiEEEENSB_INSC_IdEEEESG_dNS9_4plusIvEENS9_8equal_toIvEEdEE10hipError_tPvRmT2_T3_T4_T5_mT6_T7_P12ihipStream_tbENKUlT_T0_E_clISt17integral_constantIbLb1EES10_IbLb0EEEEDaSW_SX_EUlSW_E_NS1_11comp_targetILNS1_3genE4ELNS1_11target_archE910ELNS1_3gpuE8ELNS1_3repE0EEENS1_30default_config_static_selectorELNS0_4arch9wavefront6targetE1EEEvT1_
                                        ; -- End function
	.section	.AMDGPU.csdata,"",@progbits
; Kernel info:
; codeLenInByte = 0
; NumSgprs: 6
; NumVgprs: 0
; NumAgprs: 0
; TotalNumVgprs: 0
; ScratchSize: 0
; MemoryBound: 0
; FloatMode: 240
; IeeeMode: 1
; LDSByteSize: 0 bytes/workgroup (compile time only)
; SGPRBlocks: 0
; VGPRBlocks: 0
; NumSGPRsForWavesPerEU: 6
; NumVGPRsForWavesPerEU: 1
; AccumOffset: 4
; Occupancy: 8
; WaveLimiterHint : 0
; COMPUTE_PGM_RSRC2:SCRATCH_EN: 0
; COMPUTE_PGM_RSRC2:USER_SGPR: 2
; COMPUTE_PGM_RSRC2:TRAP_HANDLER: 0
; COMPUTE_PGM_RSRC2:TGID_X_EN: 1
; COMPUTE_PGM_RSRC2:TGID_Y_EN: 0
; COMPUTE_PGM_RSRC2:TGID_Z_EN: 0
; COMPUTE_PGM_RSRC2:TIDIG_COMP_CNT: 0
; COMPUTE_PGM_RSRC3_GFX90A:ACCUM_OFFSET: 0
; COMPUTE_PGM_RSRC3_GFX90A:TG_SPLIT: 0
	.section	.text._ZN7rocprim17ROCPRIM_400000_NS6detail17trampoline_kernelINS0_14default_configENS1_27scan_by_key_config_selectorIidEEZZNS1_16scan_by_key_implILNS1_25lookback_scan_determinismE0ELb0ES3_N6thrust23THRUST_200600_302600_NS6detail15normal_iteratorINS9_10device_ptrIiEEEENSB_INSC_IdEEEESG_dNS9_4plusIvEENS9_8equal_toIvEEdEE10hipError_tPvRmT2_T3_T4_T5_mT6_T7_P12ihipStream_tbENKUlT_T0_E_clISt17integral_constantIbLb1EES10_IbLb0EEEEDaSW_SX_EUlSW_E_NS1_11comp_targetILNS1_3genE3ELNS1_11target_archE908ELNS1_3gpuE7ELNS1_3repE0EEENS1_30default_config_static_selectorELNS0_4arch9wavefront6targetE1EEEvT1_,"axG",@progbits,_ZN7rocprim17ROCPRIM_400000_NS6detail17trampoline_kernelINS0_14default_configENS1_27scan_by_key_config_selectorIidEEZZNS1_16scan_by_key_implILNS1_25lookback_scan_determinismE0ELb0ES3_N6thrust23THRUST_200600_302600_NS6detail15normal_iteratorINS9_10device_ptrIiEEEENSB_INSC_IdEEEESG_dNS9_4plusIvEENS9_8equal_toIvEEdEE10hipError_tPvRmT2_T3_T4_T5_mT6_T7_P12ihipStream_tbENKUlT_T0_E_clISt17integral_constantIbLb1EES10_IbLb0EEEEDaSW_SX_EUlSW_E_NS1_11comp_targetILNS1_3genE3ELNS1_11target_archE908ELNS1_3gpuE7ELNS1_3repE0EEENS1_30default_config_static_selectorELNS0_4arch9wavefront6targetE1EEEvT1_,comdat
	.protected	_ZN7rocprim17ROCPRIM_400000_NS6detail17trampoline_kernelINS0_14default_configENS1_27scan_by_key_config_selectorIidEEZZNS1_16scan_by_key_implILNS1_25lookback_scan_determinismE0ELb0ES3_N6thrust23THRUST_200600_302600_NS6detail15normal_iteratorINS9_10device_ptrIiEEEENSB_INSC_IdEEEESG_dNS9_4plusIvEENS9_8equal_toIvEEdEE10hipError_tPvRmT2_T3_T4_T5_mT6_T7_P12ihipStream_tbENKUlT_T0_E_clISt17integral_constantIbLb1EES10_IbLb0EEEEDaSW_SX_EUlSW_E_NS1_11comp_targetILNS1_3genE3ELNS1_11target_archE908ELNS1_3gpuE7ELNS1_3repE0EEENS1_30default_config_static_selectorELNS0_4arch9wavefront6targetE1EEEvT1_ ; -- Begin function _ZN7rocprim17ROCPRIM_400000_NS6detail17trampoline_kernelINS0_14default_configENS1_27scan_by_key_config_selectorIidEEZZNS1_16scan_by_key_implILNS1_25lookback_scan_determinismE0ELb0ES3_N6thrust23THRUST_200600_302600_NS6detail15normal_iteratorINS9_10device_ptrIiEEEENSB_INSC_IdEEEESG_dNS9_4plusIvEENS9_8equal_toIvEEdEE10hipError_tPvRmT2_T3_T4_T5_mT6_T7_P12ihipStream_tbENKUlT_T0_E_clISt17integral_constantIbLb1EES10_IbLb0EEEEDaSW_SX_EUlSW_E_NS1_11comp_targetILNS1_3genE3ELNS1_11target_archE908ELNS1_3gpuE7ELNS1_3repE0EEENS1_30default_config_static_selectorELNS0_4arch9wavefront6targetE1EEEvT1_
	.globl	_ZN7rocprim17ROCPRIM_400000_NS6detail17trampoline_kernelINS0_14default_configENS1_27scan_by_key_config_selectorIidEEZZNS1_16scan_by_key_implILNS1_25lookback_scan_determinismE0ELb0ES3_N6thrust23THRUST_200600_302600_NS6detail15normal_iteratorINS9_10device_ptrIiEEEENSB_INSC_IdEEEESG_dNS9_4plusIvEENS9_8equal_toIvEEdEE10hipError_tPvRmT2_T3_T4_T5_mT6_T7_P12ihipStream_tbENKUlT_T0_E_clISt17integral_constantIbLb1EES10_IbLb0EEEEDaSW_SX_EUlSW_E_NS1_11comp_targetILNS1_3genE3ELNS1_11target_archE908ELNS1_3gpuE7ELNS1_3repE0EEENS1_30default_config_static_selectorELNS0_4arch9wavefront6targetE1EEEvT1_
	.p2align	8
	.type	_ZN7rocprim17ROCPRIM_400000_NS6detail17trampoline_kernelINS0_14default_configENS1_27scan_by_key_config_selectorIidEEZZNS1_16scan_by_key_implILNS1_25lookback_scan_determinismE0ELb0ES3_N6thrust23THRUST_200600_302600_NS6detail15normal_iteratorINS9_10device_ptrIiEEEENSB_INSC_IdEEEESG_dNS9_4plusIvEENS9_8equal_toIvEEdEE10hipError_tPvRmT2_T3_T4_T5_mT6_T7_P12ihipStream_tbENKUlT_T0_E_clISt17integral_constantIbLb1EES10_IbLb0EEEEDaSW_SX_EUlSW_E_NS1_11comp_targetILNS1_3genE3ELNS1_11target_archE908ELNS1_3gpuE7ELNS1_3repE0EEENS1_30default_config_static_selectorELNS0_4arch9wavefront6targetE1EEEvT1_,@function
_ZN7rocprim17ROCPRIM_400000_NS6detail17trampoline_kernelINS0_14default_configENS1_27scan_by_key_config_selectorIidEEZZNS1_16scan_by_key_implILNS1_25lookback_scan_determinismE0ELb0ES3_N6thrust23THRUST_200600_302600_NS6detail15normal_iteratorINS9_10device_ptrIiEEEENSB_INSC_IdEEEESG_dNS9_4plusIvEENS9_8equal_toIvEEdEE10hipError_tPvRmT2_T3_T4_T5_mT6_T7_P12ihipStream_tbENKUlT_T0_E_clISt17integral_constantIbLb1EES10_IbLb0EEEEDaSW_SX_EUlSW_E_NS1_11comp_targetILNS1_3genE3ELNS1_11target_archE908ELNS1_3gpuE7ELNS1_3repE0EEENS1_30default_config_static_selectorELNS0_4arch9wavefront6targetE1EEEvT1_: ; @_ZN7rocprim17ROCPRIM_400000_NS6detail17trampoline_kernelINS0_14default_configENS1_27scan_by_key_config_selectorIidEEZZNS1_16scan_by_key_implILNS1_25lookback_scan_determinismE0ELb0ES3_N6thrust23THRUST_200600_302600_NS6detail15normal_iteratorINS9_10device_ptrIiEEEENSB_INSC_IdEEEESG_dNS9_4plusIvEENS9_8equal_toIvEEdEE10hipError_tPvRmT2_T3_T4_T5_mT6_T7_P12ihipStream_tbENKUlT_T0_E_clISt17integral_constantIbLb1EES10_IbLb0EEEEDaSW_SX_EUlSW_E_NS1_11comp_targetILNS1_3genE3ELNS1_11target_archE908ELNS1_3gpuE7ELNS1_3repE0EEENS1_30default_config_static_selectorELNS0_4arch9wavefront6targetE1EEEvT1_
; %bb.0:
	.section	.rodata,"a",@progbits
	.p2align	6, 0x0
	.amdhsa_kernel _ZN7rocprim17ROCPRIM_400000_NS6detail17trampoline_kernelINS0_14default_configENS1_27scan_by_key_config_selectorIidEEZZNS1_16scan_by_key_implILNS1_25lookback_scan_determinismE0ELb0ES3_N6thrust23THRUST_200600_302600_NS6detail15normal_iteratorINS9_10device_ptrIiEEEENSB_INSC_IdEEEESG_dNS9_4plusIvEENS9_8equal_toIvEEdEE10hipError_tPvRmT2_T3_T4_T5_mT6_T7_P12ihipStream_tbENKUlT_T0_E_clISt17integral_constantIbLb1EES10_IbLb0EEEEDaSW_SX_EUlSW_E_NS1_11comp_targetILNS1_3genE3ELNS1_11target_archE908ELNS1_3gpuE7ELNS1_3repE0EEENS1_30default_config_static_selectorELNS0_4arch9wavefront6targetE1EEEvT1_
		.amdhsa_group_segment_fixed_size 0
		.amdhsa_private_segment_fixed_size 0
		.amdhsa_kernarg_size 136
		.amdhsa_user_sgpr_count 2
		.amdhsa_user_sgpr_dispatch_ptr 0
		.amdhsa_user_sgpr_queue_ptr 0
		.amdhsa_user_sgpr_kernarg_segment_ptr 1
		.amdhsa_user_sgpr_dispatch_id 0
		.amdhsa_user_sgpr_kernarg_preload_length 0
		.amdhsa_user_sgpr_kernarg_preload_offset 0
		.amdhsa_user_sgpr_private_segment_size 0
		.amdhsa_uses_dynamic_stack 0
		.amdhsa_enable_private_segment 0
		.amdhsa_system_sgpr_workgroup_id_x 1
		.amdhsa_system_sgpr_workgroup_id_y 0
		.amdhsa_system_sgpr_workgroup_id_z 0
		.amdhsa_system_sgpr_workgroup_info 0
		.amdhsa_system_vgpr_workitem_id 0
		.amdhsa_next_free_vgpr 1
		.amdhsa_next_free_sgpr 0
		.amdhsa_accum_offset 4
		.amdhsa_reserve_vcc 0
		.amdhsa_float_round_mode_32 0
		.amdhsa_float_round_mode_16_64 0
		.amdhsa_float_denorm_mode_32 3
		.amdhsa_float_denorm_mode_16_64 3
		.amdhsa_dx10_clamp 1
		.amdhsa_ieee_mode 1
		.amdhsa_fp16_overflow 0
		.amdhsa_tg_split 0
		.amdhsa_exception_fp_ieee_invalid_op 0
		.amdhsa_exception_fp_denorm_src 0
		.amdhsa_exception_fp_ieee_div_zero 0
		.amdhsa_exception_fp_ieee_overflow 0
		.amdhsa_exception_fp_ieee_underflow 0
		.amdhsa_exception_fp_ieee_inexact 0
		.amdhsa_exception_int_div_zero 0
	.end_amdhsa_kernel
	.section	.text._ZN7rocprim17ROCPRIM_400000_NS6detail17trampoline_kernelINS0_14default_configENS1_27scan_by_key_config_selectorIidEEZZNS1_16scan_by_key_implILNS1_25lookback_scan_determinismE0ELb0ES3_N6thrust23THRUST_200600_302600_NS6detail15normal_iteratorINS9_10device_ptrIiEEEENSB_INSC_IdEEEESG_dNS9_4plusIvEENS9_8equal_toIvEEdEE10hipError_tPvRmT2_T3_T4_T5_mT6_T7_P12ihipStream_tbENKUlT_T0_E_clISt17integral_constantIbLb1EES10_IbLb0EEEEDaSW_SX_EUlSW_E_NS1_11comp_targetILNS1_3genE3ELNS1_11target_archE908ELNS1_3gpuE7ELNS1_3repE0EEENS1_30default_config_static_selectorELNS0_4arch9wavefront6targetE1EEEvT1_,"axG",@progbits,_ZN7rocprim17ROCPRIM_400000_NS6detail17trampoline_kernelINS0_14default_configENS1_27scan_by_key_config_selectorIidEEZZNS1_16scan_by_key_implILNS1_25lookback_scan_determinismE0ELb0ES3_N6thrust23THRUST_200600_302600_NS6detail15normal_iteratorINS9_10device_ptrIiEEEENSB_INSC_IdEEEESG_dNS9_4plusIvEENS9_8equal_toIvEEdEE10hipError_tPvRmT2_T3_T4_T5_mT6_T7_P12ihipStream_tbENKUlT_T0_E_clISt17integral_constantIbLb1EES10_IbLb0EEEEDaSW_SX_EUlSW_E_NS1_11comp_targetILNS1_3genE3ELNS1_11target_archE908ELNS1_3gpuE7ELNS1_3repE0EEENS1_30default_config_static_selectorELNS0_4arch9wavefront6targetE1EEEvT1_,comdat
.Lfunc_end1111:
	.size	_ZN7rocprim17ROCPRIM_400000_NS6detail17trampoline_kernelINS0_14default_configENS1_27scan_by_key_config_selectorIidEEZZNS1_16scan_by_key_implILNS1_25lookback_scan_determinismE0ELb0ES3_N6thrust23THRUST_200600_302600_NS6detail15normal_iteratorINS9_10device_ptrIiEEEENSB_INSC_IdEEEESG_dNS9_4plusIvEENS9_8equal_toIvEEdEE10hipError_tPvRmT2_T3_T4_T5_mT6_T7_P12ihipStream_tbENKUlT_T0_E_clISt17integral_constantIbLb1EES10_IbLb0EEEEDaSW_SX_EUlSW_E_NS1_11comp_targetILNS1_3genE3ELNS1_11target_archE908ELNS1_3gpuE7ELNS1_3repE0EEENS1_30default_config_static_selectorELNS0_4arch9wavefront6targetE1EEEvT1_, .Lfunc_end1111-_ZN7rocprim17ROCPRIM_400000_NS6detail17trampoline_kernelINS0_14default_configENS1_27scan_by_key_config_selectorIidEEZZNS1_16scan_by_key_implILNS1_25lookback_scan_determinismE0ELb0ES3_N6thrust23THRUST_200600_302600_NS6detail15normal_iteratorINS9_10device_ptrIiEEEENSB_INSC_IdEEEESG_dNS9_4plusIvEENS9_8equal_toIvEEdEE10hipError_tPvRmT2_T3_T4_T5_mT6_T7_P12ihipStream_tbENKUlT_T0_E_clISt17integral_constantIbLb1EES10_IbLb0EEEEDaSW_SX_EUlSW_E_NS1_11comp_targetILNS1_3genE3ELNS1_11target_archE908ELNS1_3gpuE7ELNS1_3repE0EEENS1_30default_config_static_selectorELNS0_4arch9wavefront6targetE1EEEvT1_
                                        ; -- End function
	.section	.AMDGPU.csdata,"",@progbits
; Kernel info:
; codeLenInByte = 0
; NumSgprs: 6
; NumVgprs: 0
; NumAgprs: 0
; TotalNumVgprs: 0
; ScratchSize: 0
; MemoryBound: 0
; FloatMode: 240
; IeeeMode: 1
; LDSByteSize: 0 bytes/workgroup (compile time only)
; SGPRBlocks: 0
; VGPRBlocks: 0
; NumSGPRsForWavesPerEU: 6
; NumVGPRsForWavesPerEU: 1
; AccumOffset: 4
; Occupancy: 8
; WaveLimiterHint : 0
; COMPUTE_PGM_RSRC2:SCRATCH_EN: 0
; COMPUTE_PGM_RSRC2:USER_SGPR: 2
; COMPUTE_PGM_RSRC2:TRAP_HANDLER: 0
; COMPUTE_PGM_RSRC2:TGID_X_EN: 1
; COMPUTE_PGM_RSRC2:TGID_Y_EN: 0
; COMPUTE_PGM_RSRC2:TGID_Z_EN: 0
; COMPUTE_PGM_RSRC2:TIDIG_COMP_CNT: 0
; COMPUTE_PGM_RSRC3_GFX90A:ACCUM_OFFSET: 0
; COMPUTE_PGM_RSRC3_GFX90A:TG_SPLIT: 0
	.section	.text._ZN7rocprim17ROCPRIM_400000_NS6detail17trampoline_kernelINS0_14default_configENS1_27scan_by_key_config_selectorIidEEZZNS1_16scan_by_key_implILNS1_25lookback_scan_determinismE0ELb0ES3_N6thrust23THRUST_200600_302600_NS6detail15normal_iteratorINS9_10device_ptrIiEEEENSB_INSC_IdEEEESG_dNS9_4plusIvEENS9_8equal_toIvEEdEE10hipError_tPvRmT2_T3_T4_T5_mT6_T7_P12ihipStream_tbENKUlT_T0_E_clISt17integral_constantIbLb1EES10_IbLb0EEEEDaSW_SX_EUlSW_E_NS1_11comp_targetILNS1_3genE2ELNS1_11target_archE906ELNS1_3gpuE6ELNS1_3repE0EEENS1_30default_config_static_selectorELNS0_4arch9wavefront6targetE1EEEvT1_,"axG",@progbits,_ZN7rocprim17ROCPRIM_400000_NS6detail17trampoline_kernelINS0_14default_configENS1_27scan_by_key_config_selectorIidEEZZNS1_16scan_by_key_implILNS1_25lookback_scan_determinismE0ELb0ES3_N6thrust23THRUST_200600_302600_NS6detail15normal_iteratorINS9_10device_ptrIiEEEENSB_INSC_IdEEEESG_dNS9_4plusIvEENS9_8equal_toIvEEdEE10hipError_tPvRmT2_T3_T4_T5_mT6_T7_P12ihipStream_tbENKUlT_T0_E_clISt17integral_constantIbLb1EES10_IbLb0EEEEDaSW_SX_EUlSW_E_NS1_11comp_targetILNS1_3genE2ELNS1_11target_archE906ELNS1_3gpuE6ELNS1_3repE0EEENS1_30default_config_static_selectorELNS0_4arch9wavefront6targetE1EEEvT1_,comdat
	.protected	_ZN7rocprim17ROCPRIM_400000_NS6detail17trampoline_kernelINS0_14default_configENS1_27scan_by_key_config_selectorIidEEZZNS1_16scan_by_key_implILNS1_25lookback_scan_determinismE0ELb0ES3_N6thrust23THRUST_200600_302600_NS6detail15normal_iteratorINS9_10device_ptrIiEEEENSB_INSC_IdEEEESG_dNS9_4plusIvEENS9_8equal_toIvEEdEE10hipError_tPvRmT2_T3_T4_T5_mT6_T7_P12ihipStream_tbENKUlT_T0_E_clISt17integral_constantIbLb1EES10_IbLb0EEEEDaSW_SX_EUlSW_E_NS1_11comp_targetILNS1_3genE2ELNS1_11target_archE906ELNS1_3gpuE6ELNS1_3repE0EEENS1_30default_config_static_selectorELNS0_4arch9wavefront6targetE1EEEvT1_ ; -- Begin function _ZN7rocprim17ROCPRIM_400000_NS6detail17trampoline_kernelINS0_14default_configENS1_27scan_by_key_config_selectorIidEEZZNS1_16scan_by_key_implILNS1_25lookback_scan_determinismE0ELb0ES3_N6thrust23THRUST_200600_302600_NS6detail15normal_iteratorINS9_10device_ptrIiEEEENSB_INSC_IdEEEESG_dNS9_4plusIvEENS9_8equal_toIvEEdEE10hipError_tPvRmT2_T3_T4_T5_mT6_T7_P12ihipStream_tbENKUlT_T0_E_clISt17integral_constantIbLb1EES10_IbLb0EEEEDaSW_SX_EUlSW_E_NS1_11comp_targetILNS1_3genE2ELNS1_11target_archE906ELNS1_3gpuE6ELNS1_3repE0EEENS1_30default_config_static_selectorELNS0_4arch9wavefront6targetE1EEEvT1_
	.globl	_ZN7rocprim17ROCPRIM_400000_NS6detail17trampoline_kernelINS0_14default_configENS1_27scan_by_key_config_selectorIidEEZZNS1_16scan_by_key_implILNS1_25lookback_scan_determinismE0ELb0ES3_N6thrust23THRUST_200600_302600_NS6detail15normal_iteratorINS9_10device_ptrIiEEEENSB_INSC_IdEEEESG_dNS9_4plusIvEENS9_8equal_toIvEEdEE10hipError_tPvRmT2_T3_T4_T5_mT6_T7_P12ihipStream_tbENKUlT_T0_E_clISt17integral_constantIbLb1EES10_IbLb0EEEEDaSW_SX_EUlSW_E_NS1_11comp_targetILNS1_3genE2ELNS1_11target_archE906ELNS1_3gpuE6ELNS1_3repE0EEENS1_30default_config_static_selectorELNS0_4arch9wavefront6targetE1EEEvT1_
	.p2align	8
	.type	_ZN7rocprim17ROCPRIM_400000_NS6detail17trampoline_kernelINS0_14default_configENS1_27scan_by_key_config_selectorIidEEZZNS1_16scan_by_key_implILNS1_25lookback_scan_determinismE0ELb0ES3_N6thrust23THRUST_200600_302600_NS6detail15normal_iteratorINS9_10device_ptrIiEEEENSB_INSC_IdEEEESG_dNS9_4plusIvEENS9_8equal_toIvEEdEE10hipError_tPvRmT2_T3_T4_T5_mT6_T7_P12ihipStream_tbENKUlT_T0_E_clISt17integral_constantIbLb1EES10_IbLb0EEEEDaSW_SX_EUlSW_E_NS1_11comp_targetILNS1_3genE2ELNS1_11target_archE906ELNS1_3gpuE6ELNS1_3repE0EEENS1_30default_config_static_selectorELNS0_4arch9wavefront6targetE1EEEvT1_,@function
_ZN7rocprim17ROCPRIM_400000_NS6detail17trampoline_kernelINS0_14default_configENS1_27scan_by_key_config_selectorIidEEZZNS1_16scan_by_key_implILNS1_25lookback_scan_determinismE0ELb0ES3_N6thrust23THRUST_200600_302600_NS6detail15normal_iteratorINS9_10device_ptrIiEEEENSB_INSC_IdEEEESG_dNS9_4plusIvEENS9_8equal_toIvEEdEE10hipError_tPvRmT2_T3_T4_T5_mT6_T7_P12ihipStream_tbENKUlT_T0_E_clISt17integral_constantIbLb1EES10_IbLb0EEEEDaSW_SX_EUlSW_E_NS1_11comp_targetILNS1_3genE2ELNS1_11target_archE906ELNS1_3gpuE6ELNS1_3repE0EEENS1_30default_config_static_selectorELNS0_4arch9wavefront6targetE1EEEvT1_: ; @_ZN7rocprim17ROCPRIM_400000_NS6detail17trampoline_kernelINS0_14default_configENS1_27scan_by_key_config_selectorIidEEZZNS1_16scan_by_key_implILNS1_25lookback_scan_determinismE0ELb0ES3_N6thrust23THRUST_200600_302600_NS6detail15normal_iteratorINS9_10device_ptrIiEEEENSB_INSC_IdEEEESG_dNS9_4plusIvEENS9_8equal_toIvEEdEE10hipError_tPvRmT2_T3_T4_T5_mT6_T7_P12ihipStream_tbENKUlT_T0_E_clISt17integral_constantIbLb1EES10_IbLb0EEEEDaSW_SX_EUlSW_E_NS1_11comp_targetILNS1_3genE2ELNS1_11target_archE906ELNS1_3gpuE6ELNS1_3repE0EEENS1_30default_config_static_selectorELNS0_4arch9wavefront6targetE1EEEvT1_
; %bb.0:
	.section	.rodata,"a",@progbits
	.p2align	6, 0x0
	.amdhsa_kernel _ZN7rocprim17ROCPRIM_400000_NS6detail17trampoline_kernelINS0_14default_configENS1_27scan_by_key_config_selectorIidEEZZNS1_16scan_by_key_implILNS1_25lookback_scan_determinismE0ELb0ES3_N6thrust23THRUST_200600_302600_NS6detail15normal_iteratorINS9_10device_ptrIiEEEENSB_INSC_IdEEEESG_dNS9_4plusIvEENS9_8equal_toIvEEdEE10hipError_tPvRmT2_T3_T4_T5_mT6_T7_P12ihipStream_tbENKUlT_T0_E_clISt17integral_constantIbLb1EES10_IbLb0EEEEDaSW_SX_EUlSW_E_NS1_11comp_targetILNS1_3genE2ELNS1_11target_archE906ELNS1_3gpuE6ELNS1_3repE0EEENS1_30default_config_static_selectorELNS0_4arch9wavefront6targetE1EEEvT1_
		.amdhsa_group_segment_fixed_size 0
		.amdhsa_private_segment_fixed_size 0
		.amdhsa_kernarg_size 136
		.amdhsa_user_sgpr_count 2
		.amdhsa_user_sgpr_dispatch_ptr 0
		.amdhsa_user_sgpr_queue_ptr 0
		.amdhsa_user_sgpr_kernarg_segment_ptr 1
		.amdhsa_user_sgpr_dispatch_id 0
		.amdhsa_user_sgpr_kernarg_preload_length 0
		.amdhsa_user_sgpr_kernarg_preload_offset 0
		.amdhsa_user_sgpr_private_segment_size 0
		.amdhsa_uses_dynamic_stack 0
		.amdhsa_enable_private_segment 0
		.amdhsa_system_sgpr_workgroup_id_x 1
		.amdhsa_system_sgpr_workgroup_id_y 0
		.amdhsa_system_sgpr_workgroup_id_z 0
		.amdhsa_system_sgpr_workgroup_info 0
		.amdhsa_system_vgpr_workitem_id 0
		.amdhsa_next_free_vgpr 1
		.amdhsa_next_free_sgpr 0
		.amdhsa_accum_offset 4
		.amdhsa_reserve_vcc 0
		.amdhsa_float_round_mode_32 0
		.amdhsa_float_round_mode_16_64 0
		.amdhsa_float_denorm_mode_32 3
		.amdhsa_float_denorm_mode_16_64 3
		.amdhsa_dx10_clamp 1
		.amdhsa_ieee_mode 1
		.amdhsa_fp16_overflow 0
		.amdhsa_tg_split 0
		.amdhsa_exception_fp_ieee_invalid_op 0
		.amdhsa_exception_fp_denorm_src 0
		.amdhsa_exception_fp_ieee_div_zero 0
		.amdhsa_exception_fp_ieee_overflow 0
		.amdhsa_exception_fp_ieee_underflow 0
		.amdhsa_exception_fp_ieee_inexact 0
		.amdhsa_exception_int_div_zero 0
	.end_amdhsa_kernel
	.section	.text._ZN7rocprim17ROCPRIM_400000_NS6detail17trampoline_kernelINS0_14default_configENS1_27scan_by_key_config_selectorIidEEZZNS1_16scan_by_key_implILNS1_25lookback_scan_determinismE0ELb0ES3_N6thrust23THRUST_200600_302600_NS6detail15normal_iteratorINS9_10device_ptrIiEEEENSB_INSC_IdEEEESG_dNS9_4plusIvEENS9_8equal_toIvEEdEE10hipError_tPvRmT2_T3_T4_T5_mT6_T7_P12ihipStream_tbENKUlT_T0_E_clISt17integral_constantIbLb1EES10_IbLb0EEEEDaSW_SX_EUlSW_E_NS1_11comp_targetILNS1_3genE2ELNS1_11target_archE906ELNS1_3gpuE6ELNS1_3repE0EEENS1_30default_config_static_selectorELNS0_4arch9wavefront6targetE1EEEvT1_,"axG",@progbits,_ZN7rocprim17ROCPRIM_400000_NS6detail17trampoline_kernelINS0_14default_configENS1_27scan_by_key_config_selectorIidEEZZNS1_16scan_by_key_implILNS1_25lookback_scan_determinismE0ELb0ES3_N6thrust23THRUST_200600_302600_NS6detail15normal_iteratorINS9_10device_ptrIiEEEENSB_INSC_IdEEEESG_dNS9_4plusIvEENS9_8equal_toIvEEdEE10hipError_tPvRmT2_T3_T4_T5_mT6_T7_P12ihipStream_tbENKUlT_T0_E_clISt17integral_constantIbLb1EES10_IbLb0EEEEDaSW_SX_EUlSW_E_NS1_11comp_targetILNS1_3genE2ELNS1_11target_archE906ELNS1_3gpuE6ELNS1_3repE0EEENS1_30default_config_static_selectorELNS0_4arch9wavefront6targetE1EEEvT1_,comdat
.Lfunc_end1112:
	.size	_ZN7rocprim17ROCPRIM_400000_NS6detail17trampoline_kernelINS0_14default_configENS1_27scan_by_key_config_selectorIidEEZZNS1_16scan_by_key_implILNS1_25lookback_scan_determinismE0ELb0ES3_N6thrust23THRUST_200600_302600_NS6detail15normal_iteratorINS9_10device_ptrIiEEEENSB_INSC_IdEEEESG_dNS9_4plusIvEENS9_8equal_toIvEEdEE10hipError_tPvRmT2_T3_T4_T5_mT6_T7_P12ihipStream_tbENKUlT_T0_E_clISt17integral_constantIbLb1EES10_IbLb0EEEEDaSW_SX_EUlSW_E_NS1_11comp_targetILNS1_3genE2ELNS1_11target_archE906ELNS1_3gpuE6ELNS1_3repE0EEENS1_30default_config_static_selectorELNS0_4arch9wavefront6targetE1EEEvT1_, .Lfunc_end1112-_ZN7rocprim17ROCPRIM_400000_NS6detail17trampoline_kernelINS0_14default_configENS1_27scan_by_key_config_selectorIidEEZZNS1_16scan_by_key_implILNS1_25lookback_scan_determinismE0ELb0ES3_N6thrust23THRUST_200600_302600_NS6detail15normal_iteratorINS9_10device_ptrIiEEEENSB_INSC_IdEEEESG_dNS9_4plusIvEENS9_8equal_toIvEEdEE10hipError_tPvRmT2_T3_T4_T5_mT6_T7_P12ihipStream_tbENKUlT_T0_E_clISt17integral_constantIbLb1EES10_IbLb0EEEEDaSW_SX_EUlSW_E_NS1_11comp_targetILNS1_3genE2ELNS1_11target_archE906ELNS1_3gpuE6ELNS1_3repE0EEENS1_30default_config_static_selectorELNS0_4arch9wavefront6targetE1EEEvT1_
                                        ; -- End function
	.section	.AMDGPU.csdata,"",@progbits
; Kernel info:
; codeLenInByte = 0
; NumSgprs: 6
; NumVgprs: 0
; NumAgprs: 0
; TotalNumVgprs: 0
; ScratchSize: 0
; MemoryBound: 0
; FloatMode: 240
; IeeeMode: 1
; LDSByteSize: 0 bytes/workgroup (compile time only)
; SGPRBlocks: 0
; VGPRBlocks: 0
; NumSGPRsForWavesPerEU: 6
; NumVGPRsForWavesPerEU: 1
; AccumOffset: 4
; Occupancy: 8
; WaveLimiterHint : 0
; COMPUTE_PGM_RSRC2:SCRATCH_EN: 0
; COMPUTE_PGM_RSRC2:USER_SGPR: 2
; COMPUTE_PGM_RSRC2:TRAP_HANDLER: 0
; COMPUTE_PGM_RSRC2:TGID_X_EN: 1
; COMPUTE_PGM_RSRC2:TGID_Y_EN: 0
; COMPUTE_PGM_RSRC2:TGID_Z_EN: 0
; COMPUTE_PGM_RSRC2:TIDIG_COMP_CNT: 0
; COMPUTE_PGM_RSRC3_GFX90A:ACCUM_OFFSET: 0
; COMPUTE_PGM_RSRC3_GFX90A:TG_SPLIT: 0
	.section	.text._ZN7rocprim17ROCPRIM_400000_NS6detail17trampoline_kernelINS0_14default_configENS1_27scan_by_key_config_selectorIidEEZZNS1_16scan_by_key_implILNS1_25lookback_scan_determinismE0ELb0ES3_N6thrust23THRUST_200600_302600_NS6detail15normal_iteratorINS9_10device_ptrIiEEEENSB_INSC_IdEEEESG_dNS9_4plusIvEENS9_8equal_toIvEEdEE10hipError_tPvRmT2_T3_T4_T5_mT6_T7_P12ihipStream_tbENKUlT_T0_E_clISt17integral_constantIbLb1EES10_IbLb0EEEEDaSW_SX_EUlSW_E_NS1_11comp_targetILNS1_3genE10ELNS1_11target_archE1200ELNS1_3gpuE4ELNS1_3repE0EEENS1_30default_config_static_selectorELNS0_4arch9wavefront6targetE1EEEvT1_,"axG",@progbits,_ZN7rocprim17ROCPRIM_400000_NS6detail17trampoline_kernelINS0_14default_configENS1_27scan_by_key_config_selectorIidEEZZNS1_16scan_by_key_implILNS1_25lookback_scan_determinismE0ELb0ES3_N6thrust23THRUST_200600_302600_NS6detail15normal_iteratorINS9_10device_ptrIiEEEENSB_INSC_IdEEEESG_dNS9_4plusIvEENS9_8equal_toIvEEdEE10hipError_tPvRmT2_T3_T4_T5_mT6_T7_P12ihipStream_tbENKUlT_T0_E_clISt17integral_constantIbLb1EES10_IbLb0EEEEDaSW_SX_EUlSW_E_NS1_11comp_targetILNS1_3genE10ELNS1_11target_archE1200ELNS1_3gpuE4ELNS1_3repE0EEENS1_30default_config_static_selectorELNS0_4arch9wavefront6targetE1EEEvT1_,comdat
	.protected	_ZN7rocprim17ROCPRIM_400000_NS6detail17trampoline_kernelINS0_14default_configENS1_27scan_by_key_config_selectorIidEEZZNS1_16scan_by_key_implILNS1_25lookback_scan_determinismE0ELb0ES3_N6thrust23THRUST_200600_302600_NS6detail15normal_iteratorINS9_10device_ptrIiEEEENSB_INSC_IdEEEESG_dNS9_4plusIvEENS9_8equal_toIvEEdEE10hipError_tPvRmT2_T3_T4_T5_mT6_T7_P12ihipStream_tbENKUlT_T0_E_clISt17integral_constantIbLb1EES10_IbLb0EEEEDaSW_SX_EUlSW_E_NS1_11comp_targetILNS1_3genE10ELNS1_11target_archE1200ELNS1_3gpuE4ELNS1_3repE0EEENS1_30default_config_static_selectorELNS0_4arch9wavefront6targetE1EEEvT1_ ; -- Begin function _ZN7rocprim17ROCPRIM_400000_NS6detail17trampoline_kernelINS0_14default_configENS1_27scan_by_key_config_selectorIidEEZZNS1_16scan_by_key_implILNS1_25lookback_scan_determinismE0ELb0ES3_N6thrust23THRUST_200600_302600_NS6detail15normal_iteratorINS9_10device_ptrIiEEEENSB_INSC_IdEEEESG_dNS9_4plusIvEENS9_8equal_toIvEEdEE10hipError_tPvRmT2_T3_T4_T5_mT6_T7_P12ihipStream_tbENKUlT_T0_E_clISt17integral_constantIbLb1EES10_IbLb0EEEEDaSW_SX_EUlSW_E_NS1_11comp_targetILNS1_3genE10ELNS1_11target_archE1200ELNS1_3gpuE4ELNS1_3repE0EEENS1_30default_config_static_selectorELNS0_4arch9wavefront6targetE1EEEvT1_
	.globl	_ZN7rocprim17ROCPRIM_400000_NS6detail17trampoline_kernelINS0_14default_configENS1_27scan_by_key_config_selectorIidEEZZNS1_16scan_by_key_implILNS1_25lookback_scan_determinismE0ELb0ES3_N6thrust23THRUST_200600_302600_NS6detail15normal_iteratorINS9_10device_ptrIiEEEENSB_INSC_IdEEEESG_dNS9_4plusIvEENS9_8equal_toIvEEdEE10hipError_tPvRmT2_T3_T4_T5_mT6_T7_P12ihipStream_tbENKUlT_T0_E_clISt17integral_constantIbLb1EES10_IbLb0EEEEDaSW_SX_EUlSW_E_NS1_11comp_targetILNS1_3genE10ELNS1_11target_archE1200ELNS1_3gpuE4ELNS1_3repE0EEENS1_30default_config_static_selectorELNS0_4arch9wavefront6targetE1EEEvT1_
	.p2align	8
	.type	_ZN7rocprim17ROCPRIM_400000_NS6detail17trampoline_kernelINS0_14default_configENS1_27scan_by_key_config_selectorIidEEZZNS1_16scan_by_key_implILNS1_25lookback_scan_determinismE0ELb0ES3_N6thrust23THRUST_200600_302600_NS6detail15normal_iteratorINS9_10device_ptrIiEEEENSB_INSC_IdEEEESG_dNS9_4plusIvEENS9_8equal_toIvEEdEE10hipError_tPvRmT2_T3_T4_T5_mT6_T7_P12ihipStream_tbENKUlT_T0_E_clISt17integral_constantIbLb1EES10_IbLb0EEEEDaSW_SX_EUlSW_E_NS1_11comp_targetILNS1_3genE10ELNS1_11target_archE1200ELNS1_3gpuE4ELNS1_3repE0EEENS1_30default_config_static_selectorELNS0_4arch9wavefront6targetE1EEEvT1_,@function
_ZN7rocprim17ROCPRIM_400000_NS6detail17trampoline_kernelINS0_14default_configENS1_27scan_by_key_config_selectorIidEEZZNS1_16scan_by_key_implILNS1_25lookback_scan_determinismE0ELb0ES3_N6thrust23THRUST_200600_302600_NS6detail15normal_iteratorINS9_10device_ptrIiEEEENSB_INSC_IdEEEESG_dNS9_4plusIvEENS9_8equal_toIvEEdEE10hipError_tPvRmT2_T3_T4_T5_mT6_T7_P12ihipStream_tbENKUlT_T0_E_clISt17integral_constantIbLb1EES10_IbLb0EEEEDaSW_SX_EUlSW_E_NS1_11comp_targetILNS1_3genE10ELNS1_11target_archE1200ELNS1_3gpuE4ELNS1_3repE0EEENS1_30default_config_static_selectorELNS0_4arch9wavefront6targetE1EEEvT1_: ; @_ZN7rocprim17ROCPRIM_400000_NS6detail17trampoline_kernelINS0_14default_configENS1_27scan_by_key_config_selectorIidEEZZNS1_16scan_by_key_implILNS1_25lookback_scan_determinismE0ELb0ES3_N6thrust23THRUST_200600_302600_NS6detail15normal_iteratorINS9_10device_ptrIiEEEENSB_INSC_IdEEEESG_dNS9_4plusIvEENS9_8equal_toIvEEdEE10hipError_tPvRmT2_T3_T4_T5_mT6_T7_P12ihipStream_tbENKUlT_T0_E_clISt17integral_constantIbLb1EES10_IbLb0EEEEDaSW_SX_EUlSW_E_NS1_11comp_targetILNS1_3genE10ELNS1_11target_archE1200ELNS1_3gpuE4ELNS1_3repE0EEENS1_30default_config_static_selectorELNS0_4arch9wavefront6targetE1EEEvT1_
; %bb.0:
	.section	.rodata,"a",@progbits
	.p2align	6, 0x0
	.amdhsa_kernel _ZN7rocprim17ROCPRIM_400000_NS6detail17trampoline_kernelINS0_14default_configENS1_27scan_by_key_config_selectorIidEEZZNS1_16scan_by_key_implILNS1_25lookback_scan_determinismE0ELb0ES3_N6thrust23THRUST_200600_302600_NS6detail15normal_iteratorINS9_10device_ptrIiEEEENSB_INSC_IdEEEESG_dNS9_4plusIvEENS9_8equal_toIvEEdEE10hipError_tPvRmT2_T3_T4_T5_mT6_T7_P12ihipStream_tbENKUlT_T0_E_clISt17integral_constantIbLb1EES10_IbLb0EEEEDaSW_SX_EUlSW_E_NS1_11comp_targetILNS1_3genE10ELNS1_11target_archE1200ELNS1_3gpuE4ELNS1_3repE0EEENS1_30default_config_static_selectorELNS0_4arch9wavefront6targetE1EEEvT1_
		.amdhsa_group_segment_fixed_size 0
		.amdhsa_private_segment_fixed_size 0
		.amdhsa_kernarg_size 136
		.amdhsa_user_sgpr_count 2
		.amdhsa_user_sgpr_dispatch_ptr 0
		.amdhsa_user_sgpr_queue_ptr 0
		.amdhsa_user_sgpr_kernarg_segment_ptr 1
		.amdhsa_user_sgpr_dispatch_id 0
		.amdhsa_user_sgpr_kernarg_preload_length 0
		.amdhsa_user_sgpr_kernarg_preload_offset 0
		.amdhsa_user_sgpr_private_segment_size 0
		.amdhsa_uses_dynamic_stack 0
		.amdhsa_enable_private_segment 0
		.amdhsa_system_sgpr_workgroup_id_x 1
		.amdhsa_system_sgpr_workgroup_id_y 0
		.amdhsa_system_sgpr_workgroup_id_z 0
		.amdhsa_system_sgpr_workgroup_info 0
		.amdhsa_system_vgpr_workitem_id 0
		.amdhsa_next_free_vgpr 1
		.amdhsa_next_free_sgpr 0
		.amdhsa_accum_offset 4
		.amdhsa_reserve_vcc 0
		.amdhsa_float_round_mode_32 0
		.amdhsa_float_round_mode_16_64 0
		.amdhsa_float_denorm_mode_32 3
		.amdhsa_float_denorm_mode_16_64 3
		.amdhsa_dx10_clamp 1
		.amdhsa_ieee_mode 1
		.amdhsa_fp16_overflow 0
		.amdhsa_tg_split 0
		.amdhsa_exception_fp_ieee_invalid_op 0
		.amdhsa_exception_fp_denorm_src 0
		.amdhsa_exception_fp_ieee_div_zero 0
		.amdhsa_exception_fp_ieee_overflow 0
		.amdhsa_exception_fp_ieee_underflow 0
		.amdhsa_exception_fp_ieee_inexact 0
		.amdhsa_exception_int_div_zero 0
	.end_amdhsa_kernel
	.section	.text._ZN7rocprim17ROCPRIM_400000_NS6detail17trampoline_kernelINS0_14default_configENS1_27scan_by_key_config_selectorIidEEZZNS1_16scan_by_key_implILNS1_25lookback_scan_determinismE0ELb0ES3_N6thrust23THRUST_200600_302600_NS6detail15normal_iteratorINS9_10device_ptrIiEEEENSB_INSC_IdEEEESG_dNS9_4plusIvEENS9_8equal_toIvEEdEE10hipError_tPvRmT2_T3_T4_T5_mT6_T7_P12ihipStream_tbENKUlT_T0_E_clISt17integral_constantIbLb1EES10_IbLb0EEEEDaSW_SX_EUlSW_E_NS1_11comp_targetILNS1_3genE10ELNS1_11target_archE1200ELNS1_3gpuE4ELNS1_3repE0EEENS1_30default_config_static_selectorELNS0_4arch9wavefront6targetE1EEEvT1_,"axG",@progbits,_ZN7rocprim17ROCPRIM_400000_NS6detail17trampoline_kernelINS0_14default_configENS1_27scan_by_key_config_selectorIidEEZZNS1_16scan_by_key_implILNS1_25lookback_scan_determinismE0ELb0ES3_N6thrust23THRUST_200600_302600_NS6detail15normal_iteratorINS9_10device_ptrIiEEEENSB_INSC_IdEEEESG_dNS9_4plusIvEENS9_8equal_toIvEEdEE10hipError_tPvRmT2_T3_T4_T5_mT6_T7_P12ihipStream_tbENKUlT_T0_E_clISt17integral_constantIbLb1EES10_IbLb0EEEEDaSW_SX_EUlSW_E_NS1_11comp_targetILNS1_3genE10ELNS1_11target_archE1200ELNS1_3gpuE4ELNS1_3repE0EEENS1_30default_config_static_selectorELNS0_4arch9wavefront6targetE1EEEvT1_,comdat
.Lfunc_end1113:
	.size	_ZN7rocprim17ROCPRIM_400000_NS6detail17trampoline_kernelINS0_14default_configENS1_27scan_by_key_config_selectorIidEEZZNS1_16scan_by_key_implILNS1_25lookback_scan_determinismE0ELb0ES3_N6thrust23THRUST_200600_302600_NS6detail15normal_iteratorINS9_10device_ptrIiEEEENSB_INSC_IdEEEESG_dNS9_4plusIvEENS9_8equal_toIvEEdEE10hipError_tPvRmT2_T3_T4_T5_mT6_T7_P12ihipStream_tbENKUlT_T0_E_clISt17integral_constantIbLb1EES10_IbLb0EEEEDaSW_SX_EUlSW_E_NS1_11comp_targetILNS1_3genE10ELNS1_11target_archE1200ELNS1_3gpuE4ELNS1_3repE0EEENS1_30default_config_static_selectorELNS0_4arch9wavefront6targetE1EEEvT1_, .Lfunc_end1113-_ZN7rocprim17ROCPRIM_400000_NS6detail17trampoline_kernelINS0_14default_configENS1_27scan_by_key_config_selectorIidEEZZNS1_16scan_by_key_implILNS1_25lookback_scan_determinismE0ELb0ES3_N6thrust23THRUST_200600_302600_NS6detail15normal_iteratorINS9_10device_ptrIiEEEENSB_INSC_IdEEEESG_dNS9_4plusIvEENS9_8equal_toIvEEdEE10hipError_tPvRmT2_T3_T4_T5_mT6_T7_P12ihipStream_tbENKUlT_T0_E_clISt17integral_constantIbLb1EES10_IbLb0EEEEDaSW_SX_EUlSW_E_NS1_11comp_targetILNS1_3genE10ELNS1_11target_archE1200ELNS1_3gpuE4ELNS1_3repE0EEENS1_30default_config_static_selectorELNS0_4arch9wavefront6targetE1EEEvT1_
                                        ; -- End function
	.section	.AMDGPU.csdata,"",@progbits
; Kernel info:
; codeLenInByte = 0
; NumSgprs: 6
; NumVgprs: 0
; NumAgprs: 0
; TotalNumVgprs: 0
; ScratchSize: 0
; MemoryBound: 0
; FloatMode: 240
; IeeeMode: 1
; LDSByteSize: 0 bytes/workgroup (compile time only)
; SGPRBlocks: 0
; VGPRBlocks: 0
; NumSGPRsForWavesPerEU: 6
; NumVGPRsForWavesPerEU: 1
; AccumOffset: 4
; Occupancy: 8
; WaveLimiterHint : 0
; COMPUTE_PGM_RSRC2:SCRATCH_EN: 0
; COMPUTE_PGM_RSRC2:USER_SGPR: 2
; COMPUTE_PGM_RSRC2:TRAP_HANDLER: 0
; COMPUTE_PGM_RSRC2:TGID_X_EN: 1
; COMPUTE_PGM_RSRC2:TGID_Y_EN: 0
; COMPUTE_PGM_RSRC2:TGID_Z_EN: 0
; COMPUTE_PGM_RSRC2:TIDIG_COMP_CNT: 0
; COMPUTE_PGM_RSRC3_GFX90A:ACCUM_OFFSET: 0
; COMPUTE_PGM_RSRC3_GFX90A:TG_SPLIT: 0
	.section	.text._ZN7rocprim17ROCPRIM_400000_NS6detail17trampoline_kernelINS0_14default_configENS1_27scan_by_key_config_selectorIidEEZZNS1_16scan_by_key_implILNS1_25lookback_scan_determinismE0ELb0ES3_N6thrust23THRUST_200600_302600_NS6detail15normal_iteratorINS9_10device_ptrIiEEEENSB_INSC_IdEEEESG_dNS9_4plusIvEENS9_8equal_toIvEEdEE10hipError_tPvRmT2_T3_T4_T5_mT6_T7_P12ihipStream_tbENKUlT_T0_E_clISt17integral_constantIbLb1EES10_IbLb0EEEEDaSW_SX_EUlSW_E_NS1_11comp_targetILNS1_3genE9ELNS1_11target_archE1100ELNS1_3gpuE3ELNS1_3repE0EEENS1_30default_config_static_selectorELNS0_4arch9wavefront6targetE1EEEvT1_,"axG",@progbits,_ZN7rocprim17ROCPRIM_400000_NS6detail17trampoline_kernelINS0_14default_configENS1_27scan_by_key_config_selectorIidEEZZNS1_16scan_by_key_implILNS1_25lookback_scan_determinismE0ELb0ES3_N6thrust23THRUST_200600_302600_NS6detail15normal_iteratorINS9_10device_ptrIiEEEENSB_INSC_IdEEEESG_dNS9_4plusIvEENS9_8equal_toIvEEdEE10hipError_tPvRmT2_T3_T4_T5_mT6_T7_P12ihipStream_tbENKUlT_T0_E_clISt17integral_constantIbLb1EES10_IbLb0EEEEDaSW_SX_EUlSW_E_NS1_11comp_targetILNS1_3genE9ELNS1_11target_archE1100ELNS1_3gpuE3ELNS1_3repE0EEENS1_30default_config_static_selectorELNS0_4arch9wavefront6targetE1EEEvT1_,comdat
	.protected	_ZN7rocprim17ROCPRIM_400000_NS6detail17trampoline_kernelINS0_14default_configENS1_27scan_by_key_config_selectorIidEEZZNS1_16scan_by_key_implILNS1_25lookback_scan_determinismE0ELb0ES3_N6thrust23THRUST_200600_302600_NS6detail15normal_iteratorINS9_10device_ptrIiEEEENSB_INSC_IdEEEESG_dNS9_4plusIvEENS9_8equal_toIvEEdEE10hipError_tPvRmT2_T3_T4_T5_mT6_T7_P12ihipStream_tbENKUlT_T0_E_clISt17integral_constantIbLb1EES10_IbLb0EEEEDaSW_SX_EUlSW_E_NS1_11comp_targetILNS1_3genE9ELNS1_11target_archE1100ELNS1_3gpuE3ELNS1_3repE0EEENS1_30default_config_static_selectorELNS0_4arch9wavefront6targetE1EEEvT1_ ; -- Begin function _ZN7rocprim17ROCPRIM_400000_NS6detail17trampoline_kernelINS0_14default_configENS1_27scan_by_key_config_selectorIidEEZZNS1_16scan_by_key_implILNS1_25lookback_scan_determinismE0ELb0ES3_N6thrust23THRUST_200600_302600_NS6detail15normal_iteratorINS9_10device_ptrIiEEEENSB_INSC_IdEEEESG_dNS9_4plusIvEENS9_8equal_toIvEEdEE10hipError_tPvRmT2_T3_T4_T5_mT6_T7_P12ihipStream_tbENKUlT_T0_E_clISt17integral_constantIbLb1EES10_IbLb0EEEEDaSW_SX_EUlSW_E_NS1_11comp_targetILNS1_3genE9ELNS1_11target_archE1100ELNS1_3gpuE3ELNS1_3repE0EEENS1_30default_config_static_selectorELNS0_4arch9wavefront6targetE1EEEvT1_
	.globl	_ZN7rocprim17ROCPRIM_400000_NS6detail17trampoline_kernelINS0_14default_configENS1_27scan_by_key_config_selectorIidEEZZNS1_16scan_by_key_implILNS1_25lookback_scan_determinismE0ELb0ES3_N6thrust23THRUST_200600_302600_NS6detail15normal_iteratorINS9_10device_ptrIiEEEENSB_INSC_IdEEEESG_dNS9_4plusIvEENS9_8equal_toIvEEdEE10hipError_tPvRmT2_T3_T4_T5_mT6_T7_P12ihipStream_tbENKUlT_T0_E_clISt17integral_constantIbLb1EES10_IbLb0EEEEDaSW_SX_EUlSW_E_NS1_11comp_targetILNS1_3genE9ELNS1_11target_archE1100ELNS1_3gpuE3ELNS1_3repE0EEENS1_30default_config_static_selectorELNS0_4arch9wavefront6targetE1EEEvT1_
	.p2align	8
	.type	_ZN7rocprim17ROCPRIM_400000_NS6detail17trampoline_kernelINS0_14default_configENS1_27scan_by_key_config_selectorIidEEZZNS1_16scan_by_key_implILNS1_25lookback_scan_determinismE0ELb0ES3_N6thrust23THRUST_200600_302600_NS6detail15normal_iteratorINS9_10device_ptrIiEEEENSB_INSC_IdEEEESG_dNS9_4plusIvEENS9_8equal_toIvEEdEE10hipError_tPvRmT2_T3_T4_T5_mT6_T7_P12ihipStream_tbENKUlT_T0_E_clISt17integral_constantIbLb1EES10_IbLb0EEEEDaSW_SX_EUlSW_E_NS1_11comp_targetILNS1_3genE9ELNS1_11target_archE1100ELNS1_3gpuE3ELNS1_3repE0EEENS1_30default_config_static_selectorELNS0_4arch9wavefront6targetE1EEEvT1_,@function
_ZN7rocprim17ROCPRIM_400000_NS6detail17trampoline_kernelINS0_14default_configENS1_27scan_by_key_config_selectorIidEEZZNS1_16scan_by_key_implILNS1_25lookback_scan_determinismE0ELb0ES3_N6thrust23THRUST_200600_302600_NS6detail15normal_iteratorINS9_10device_ptrIiEEEENSB_INSC_IdEEEESG_dNS9_4plusIvEENS9_8equal_toIvEEdEE10hipError_tPvRmT2_T3_T4_T5_mT6_T7_P12ihipStream_tbENKUlT_T0_E_clISt17integral_constantIbLb1EES10_IbLb0EEEEDaSW_SX_EUlSW_E_NS1_11comp_targetILNS1_3genE9ELNS1_11target_archE1100ELNS1_3gpuE3ELNS1_3repE0EEENS1_30default_config_static_selectorELNS0_4arch9wavefront6targetE1EEEvT1_: ; @_ZN7rocprim17ROCPRIM_400000_NS6detail17trampoline_kernelINS0_14default_configENS1_27scan_by_key_config_selectorIidEEZZNS1_16scan_by_key_implILNS1_25lookback_scan_determinismE0ELb0ES3_N6thrust23THRUST_200600_302600_NS6detail15normal_iteratorINS9_10device_ptrIiEEEENSB_INSC_IdEEEESG_dNS9_4plusIvEENS9_8equal_toIvEEdEE10hipError_tPvRmT2_T3_T4_T5_mT6_T7_P12ihipStream_tbENKUlT_T0_E_clISt17integral_constantIbLb1EES10_IbLb0EEEEDaSW_SX_EUlSW_E_NS1_11comp_targetILNS1_3genE9ELNS1_11target_archE1100ELNS1_3gpuE3ELNS1_3repE0EEENS1_30default_config_static_selectorELNS0_4arch9wavefront6targetE1EEEvT1_
; %bb.0:
	.section	.rodata,"a",@progbits
	.p2align	6, 0x0
	.amdhsa_kernel _ZN7rocprim17ROCPRIM_400000_NS6detail17trampoline_kernelINS0_14default_configENS1_27scan_by_key_config_selectorIidEEZZNS1_16scan_by_key_implILNS1_25lookback_scan_determinismE0ELb0ES3_N6thrust23THRUST_200600_302600_NS6detail15normal_iteratorINS9_10device_ptrIiEEEENSB_INSC_IdEEEESG_dNS9_4plusIvEENS9_8equal_toIvEEdEE10hipError_tPvRmT2_T3_T4_T5_mT6_T7_P12ihipStream_tbENKUlT_T0_E_clISt17integral_constantIbLb1EES10_IbLb0EEEEDaSW_SX_EUlSW_E_NS1_11comp_targetILNS1_3genE9ELNS1_11target_archE1100ELNS1_3gpuE3ELNS1_3repE0EEENS1_30default_config_static_selectorELNS0_4arch9wavefront6targetE1EEEvT1_
		.amdhsa_group_segment_fixed_size 0
		.amdhsa_private_segment_fixed_size 0
		.amdhsa_kernarg_size 136
		.amdhsa_user_sgpr_count 2
		.amdhsa_user_sgpr_dispatch_ptr 0
		.amdhsa_user_sgpr_queue_ptr 0
		.amdhsa_user_sgpr_kernarg_segment_ptr 1
		.amdhsa_user_sgpr_dispatch_id 0
		.amdhsa_user_sgpr_kernarg_preload_length 0
		.amdhsa_user_sgpr_kernarg_preload_offset 0
		.amdhsa_user_sgpr_private_segment_size 0
		.amdhsa_uses_dynamic_stack 0
		.amdhsa_enable_private_segment 0
		.amdhsa_system_sgpr_workgroup_id_x 1
		.amdhsa_system_sgpr_workgroup_id_y 0
		.amdhsa_system_sgpr_workgroup_id_z 0
		.amdhsa_system_sgpr_workgroup_info 0
		.amdhsa_system_vgpr_workitem_id 0
		.amdhsa_next_free_vgpr 1
		.amdhsa_next_free_sgpr 0
		.amdhsa_accum_offset 4
		.amdhsa_reserve_vcc 0
		.amdhsa_float_round_mode_32 0
		.amdhsa_float_round_mode_16_64 0
		.amdhsa_float_denorm_mode_32 3
		.amdhsa_float_denorm_mode_16_64 3
		.amdhsa_dx10_clamp 1
		.amdhsa_ieee_mode 1
		.amdhsa_fp16_overflow 0
		.amdhsa_tg_split 0
		.amdhsa_exception_fp_ieee_invalid_op 0
		.amdhsa_exception_fp_denorm_src 0
		.amdhsa_exception_fp_ieee_div_zero 0
		.amdhsa_exception_fp_ieee_overflow 0
		.amdhsa_exception_fp_ieee_underflow 0
		.amdhsa_exception_fp_ieee_inexact 0
		.amdhsa_exception_int_div_zero 0
	.end_amdhsa_kernel
	.section	.text._ZN7rocprim17ROCPRIM_400000_NS6detail17trampoline_kernelINS0_14default_configENS1_27scan_by_key_config_selectorIidEEZZNS1_16scan_by_key_implILNS1_25lookback_scan_determinismE0ELb0ES3_N6thrust23THRUST_200600_302600_NS6detail15normal_iteratorINS9_10device_ptrIiEEEENSB_INSC_IdEEEESG_dNS9_4plusIvEENS9_8equal_toIvEEdEE10hipError_tPvRmT2_T3_T4_T5_mT6_T7_P12ihipStream_tbENKUlT_T0_E_clISt17integral_constantIbLb1EES10_IbLb0EEEEDaSW_SX_EUlSW_E_NS1_11comp_targetILNS1_3genE9ELNS1_11target_archE1100ELNS1_3gpuE3ELNS1_3repE0EEENS1_30default_config_static_selectorELNS0_4arch9wavefront6targetE1EEEvT1_,"axG",@progbits,_ZN7rocprim17ROCPRIM_400000_NS6detail17trampoline_kernelINS0_14default_configENS1_27scan_by_key_config_selectorIidEEZZNS1_16scan_by_key_implILNS1_25lookback_scan_determinismE0ELb0ES3_N6thrust23THRUST_200600_302600_NS6detail15normal_iteratorINS9_10device_ptrIiEEEENSB_INSC_IdEEEESG_dNS9_4plusIvEENS9_8equal_toIvEEdEE10hipError_tPvRmT2_T3_T4_T5_mT6_T7_P12ihipStream_tbENKUlT_T0_E_clISt17integral_constantIbLb1EES10_IbLb0EEEEDaSW_SX_EUlSW_E_NS1_11comp_targetILNS1_3genE9ELNS1_11target_archE1100ELNS1_3gpuE3ELNS1_3repE0EEENS1_30default_config_static_selectorELNS0_4arch9wavefront6targetE1EEEvT1_,comdat
.Lfunc_end1114:
	.size	_ZN7rocprim17ROCPRIM_400000_NS6detail17trampoline_kernelINS0_14default_configENS1_27scan_by_key_config_selectorIidEEZZNS1_16scan_by_key_implILNS1_25lookback_scan_determinismE0ELb0ES3_N6thrust23THRUST_200600_302600_NS6detail15normal_iteratorINS9_10device_ptrIiEEEENSB_INSC_IdEEEESG_dNS9_4plusIvEENS9_8equal_toIvEEdEE10hipError_tPvRmT2_T3_T4_T5_mT6_T7_P12ihipStream_tbENKUlT_T0_E_clISt17integral_constantIbLb1EES10_IbLb0EEEEDaSW_SX_EUlSW_E_NS1_11comp_targetILNS1_3genE9ELNS1_11target_archE1100ELNS1_3gpuE3ELNS1_3repE0EEENS1_30default_config_static_selectorELNS0_4arch9wavefront6targetE1EEEvT1_, .Lfunc_end1114-_ZN7rocprim17ROCPRIM_400000_NS6detail17trampoline_kernelINS0_14default_configENS1_27scan_by_key_config_selectorIidEEZZNS1_16scan_by_key_implILNS1_25lookback_scan_determinismE0ELb0ES3_N6thrust23THRUST_200600_302600_NS6detail15normal_iteratorINS9_10device_ptrIiEEEENSB_INSC_IdEEEESG_dNS9_4plusIvEENS9_8equal_toIvEEdEE10hipError_tPvRmT2_T3_T4_T5_mT6_T7_P12ihipStream_tbENKUlT_T0_E_clISt17integral_constantIbLb1EES10_IbLb0EEEEDaSW_SX_EUlSW_E_NS1_11comp_targetILNS1_3genE9ELNS1_11target_archE1100ELNS1_3gpuE3ELNS1_3repE0EEENS1_30default_config_static_selectorELNS0_4arch9wavefront6targetE1EEEvT1_
                                        ; -- End function
	.section	.AMDGPU.csdata,"",@progbits
; Kernel info:
; codeLenInByte = 0
; NumSgprs: 6
; NumVgprs: 0
; NumAgprs: 0
; TotalNumVgprs: 0
; ScratchSize: 0
; MemoryBound: 0
; FloatMode: 240
; IeeeMode: 1
; LDSByteSize: 0 bytes/workgroup (compile time only)
; SGPRBlocks: 0
; VGPRBlocks: 0
; NumSGPRsForWavesPerEU: 6
; NumVGPRsForWavesPerEU: 1
; AccumOffset: 4
; Occupancy: 8
; WaveLimiterHint : 0
; COMPUTE_PGM_RSRC2:SCRATCH_EN: 0
; COMPUTE_PGM_RSRC2:USER_SGPR: 2
; COMPUTE_PGM_RSRC2:TRAP_HANDLER: 0
; COMPUTE_PGM_RSRC2:TGID_X_EN: 1
; COMPUTE_PGM_RSRC2:TGID_Y_EN: 0
; COMPUTE_PGM_RSRC2:TGID_Z_EN: 0
; COMPUTE_PGM_RSRC2:TIDIG_COMP_CNT: 0
; COMPUTE_PGM_RSRC3_GFX90A:ACCUM_OFFSET: 0
; COMPUTE_PGM_RSRC3_GFX90A:TG_SPLIT: 0
	.section	.text._ZN7rocprim17ROCPRIM_400000_NS6detail17trampoline_kernelINS0_14default_configENS1_27scan_by_key_config_selectorIidEEZZNS1_16scan_by_key_implILNS1_25lookback_scan_determinismE0ELb0ES3_N6thrust23THRUST_200600_302600_NS6detail15normal_iteratorINS9_10device_ptrIiEEEENSB_INSC_IdEEEESG_dNS9_4plusIvEENS9_8equal_toIvEEdEE10hipError_tPvRmT2_T3_T4_T5_mT6_T7_P12ihipStream_tbENKUlT_T0_E_clISt17integral_constantIbLb1EES10_IbLb0EEEEDaSW_SX_EUlSW_E_NS1_11comp_targetILNS1_3genE8ELNS1_11target_archE1030ELNS1_3gpuE2ELNS1_3repE0EEENS1_30default_config_static_selectorELNS0_4arch9wavefront6targetE1EEEvT1_,"axG",@progbits,_ZN7rocprim17ROCPRIM_400000_NS6detail17trampoline_kernelINS0_14default_configENS1_27scan_by_key_config_selectorIidEEZZNS1_16scan_by_key_implILNS1_25lookback_scan_determinismE0ELb0ES3_N6thrust23THRUST_200600_302600_NS6detail15normal_iteratorINS9_10device_ptrIiEEEENSB_INSC_IdEEEESG_dNS9_4plusIvEENS9_8equal_toIvEEdEE10hipError_tPvRmT2_T3_T4_T5_mT6_T7_P12ihipStream_tbENKUlT_T0_E_clISt17integral_constantIbLb1EES10_IbLb0EEEEDaSW_SX_EUlSW_E_NS1_11comp_targetILNS1_3genE8ELNS1_11target_archE1030ELNS1_3gpuE2ELNS1_3repE0EEENS1_30default_config_static_selectorELNS0_4arch9wavefront6targetE1EEEvT1_,comdat
	.protected	_ZN7rocprim17ROCPRIM_400000_NS6detail17trampoline_kernelINS0_14default_configENS1_27scan_by_key_config_selectorIidEEZZNS1_16scan_by_key_implILNS1_25lookback_scan_determinismE0ELb0ES3_N6thrust23THRUST_200600_302600_NS6detail15normal_iteratorINS9_10device_ptrIiEEEENSB_INSC_IdEEEESG_dNS9_4plusIvEENS9_8equal_toIvEEdEE10hipError_tPvRmT2_T3_T4_T5_mT6_T7_P12ihipStream_tbENKUlT_T0_E_clISt17integral_constantIbLb1EES10_IbLb0EEEEDaSW_SX_EUlSW_E_NS1_11comp_targetILNS1_3genE8ELNS1_11target_archE1030ELNS1_3gpuE2ELNS1_3repE0EEENS1_30default_config_static_selectorELNS0_4arch9wavefront6targetE1EEEvT1_ ; -- Begin function _ZN7rocprim17ROCPRIM_400000_NS6detail17trampoline_kernelINS0_14default_configENS1_27scan_by_key_config_selectorIidEEZZNS1_16scan_by_key_implILNS1_25lookback_scan_determinismE0ELb0ES3_N6thrust23THRUST_200600_302600_NS6detail15normal_iteratorINS9_10device_ptrIiEEEENSB_INSC_IdEEEESG_dNS9_4plusIvEENS9_8equal_toIvEEdEE10hipError_tPvRmT2_T3_T4_T5_mT6_T7_P12ihipStream_tbENKUlT_T0_E_clISt17integral_constantIbLb1EES10_IbLb0EEEEDaSW_SX_EUlSW_E_NS1_11comp_targetILNS1_3genE8ELNS1_11target_archE1030ELNS1_3gpuE2ELNS1_3repE0EEENS1_30default_config_static_selectorELNS0_4arch9wavefront6targetE1EEEvT1_
	.globl	_ZN7rocprim17ROCPRIM_400000_NS6detail17trampoline_kernelINS0_14default_configENS1_27scan_by_key_config_selectorIidEEZZNS1_16scan_by_key_implILNS1_25lookback_scan_determinismE0ELb0ES3_N6thrust23THRUST_200600_302600_NS6detail15normal_iteratorINS9_10device_ptrIiEEEENSB_INSC_IdEEEESG_dNS9_4plusIvEENS9_8equal_toIvEEdEE10hipError_tPvRmT2_T3_T4_T5_mT6_T7_P12ihipStream_tbENKUlT_T0_E_clISt17integral_constantIbLb1EES10_IbLb0EEEEDaSW_SX_EUlSW_E_NS1_11comp_targetILNS1_3genE8ELNS1_11target_archE1030ELNS1_3gpuE2ELNS1_3repE0EEENS1_30default_config_static_selectorELNS0_4arch9wavefront6targetE1EEEvT1_
	.p2align	8
	.type	_ZN7rocprim17ROCPRIM_400000_NS6detail17trampoline_kernelINS0_14default_configENS1_27scan_by_key_config_selectorIidEEZZNS1_16scan_by_key_implILNS1_25lookback_scan_determinismE0ELb0ES3_N6thrust23THRUST_200600_302600_NS6detail15normal_iteratorINS9_10device_ptrIiEEEENSB_INSC_IdEEEESG_dNS9_4plusIvEENS9_8equal_toIvEEdEE10hipError_tPvRmT2_T3_T4_T5_mT6_T7_P12ihipStream_tbENKUlT_T0_E_clISt17integral_constantIbLb1EES10_IbLb0EEEEDaSW_SX_EUlSW_E_NS1_11comp_targetILNS1_3genE8ELNS1_11target_archE1030ELNS1_3gpuE2ELNS1_3repE0EEENS1_30default_config_static_selectorELNS0_4arch9wavefront6targetE1EEEvT1_,@function
_ZN7rocprim17ROCPRIM_400000_NS6detail17trampoline_kernelINS0_14default_configENS1_27scan_by_key_config_selectorIidEEZZNS1_16scan_by_key_implILNS1_25lookback_scan_determinismE0ELb0ES3_N6thrust23THRUST_200600_302600_NS6detail15normal_iteratorINS9_10device_ptrIiEEEENSB_INSC_IdEEEESG_dNS9_4plusIvEENS9_8equal_toIvEEdEE10hipError_tPvRmT2_T3_T4_T5_mT6_T7_P12ihipStream_tbENKUlT_T0_E_clISt17integral_constantIbLb1EES10_IbLb0EEEEDaSW_SX_EUlSW_E_NS1_11comp_targetILNS1_3genE8ELNS1_11target_archE1030ELNS1_3gpuE2ELNS1_3repE0EEENS1_30default_config_static_selectorELNS0_4arch9wavefront6targetE1EEEvT1_: ; @_ZN7rocprim17ROCPRIM_400000_NS6detail17trampoline_kernelINS0_14default_configENS1_27scan_by_key_config_selectorIidEEZZNS1_16scan_by_key_implILNS1_25lookback_scan_determinismE0ELb0ES3_N6thrust23THRUST_200600_302600_NS6detail15normal_iteratorINS9_10device_ptrIiEEEENSB_INSC_IdEEEESG_dNS9_4plusIvEENS9_8equal_toIvEEdEE10hipError_tPvRmT2_T3_T4_T5_mT6_T7_P12ihipStream_tbENKUlT_T0_E_clISt17integral_constantIbLb1EES10_IbLb0EEEEDaSW_SX_EUlSW_E_NS1_11comp_targetILNS1_3genE8ELNS1_11target_archE1030ELNS1_3gpuE2ELNS1_3repE0EEENS1_30default_config_static_selectorELNS0_4arch9wavefront6targetE1EEEvT1_
; %bb.0:
	.section	.rodata,"a",@progbits
	.p2align	6, 0x0
	.amdhsa_kernel _ZN7rocprim17ROCPRIM_400000_NS6detail17trampoline_kernelINS0_14default_configENS1_27scan_by_key_config_selectorIidEEZZNS1_16scan_by_key_implILNS1_25lookback_scan_determinismE0ELb0ES3_N6thrust23THRUST_200600_302600_NS6detail15normal_iteratorINS9_10device_ptrIiEEEENSB_INSC_IdEEEESG_dNS9_4plusIvEENS9_8equal_toIvEEdEE10hipError_tPvRmT2_T3_T4_T5_mT6_T7_P12ihipStream_tbENKUlT_T0_E_clISt17integral_constantIbLb1EES10_IbLb0EEEEDaSW_SX_EUlSW_E_NS1_11comp_targetILNS1_3genE8ELNS1_11target_archE1030ELNS1_3gpuE2ELNS1_3repE0EEENS1_30default_config_static_selectorELNS0_4arch9wavefront6targetE1EEEvT1_
		.amdhsa_group_segment_fixed_size 0
		.amdhsa_private_segment_fixed_size 0
		.amdhsa_kernarg_size 136
		.amdhsa_user_sgpr_count 2
		.amdhsa_user_sgpr_dispatch_ptr 0
		.amdhsa_user_sgpr_queue_ptr 0
		.amdhsa_user_sgpr_kernarg_segment_ptr 1
		.amdhsa_user_sgpr_dispatch_id 0
		.amdhsa_user_sgpr_kernarg_preload_length 0
		.amdhsa_user_sgpr_kernarg_preload_offset 0
		.amdhsa_user_sgpr_private_segment_size 0
		.amdhsa_uses_dynamic_stack 0
		.amdhsa_enable_private_segment 0
		.amdhsa_system_sgpr_workgroup_id_x 1
		.amdhsa_system_sgpr_workgroup_id_y 0
		.amdhsa_system_sgpr_workgroup_id_z 0
		.amdhsa_system_sgpr_workgroup_info 0
		.amdhsa_system_vgpr_workitem_id 0
		.amdhsa_next_free_vgpr 1
		.amdhsa_next_free_sgpr 0
		.amdhsa_accum_offset 4
		.amdhsa_reserve_vcc 0
		.amdhsa_float_round_mode_32 0
		.amdhsa_float_round_mode_16_64 0
		.amdhsa_float_denorm_mode_32 3
		.amdhsa_float_denorm_mode_16_64 3
		.amdhsa_dx10_clamp 1
		.amdhsa_ieee_mode 1
		.amdhsa_fp16_overflow 0
		.amdhsa_tg_split 0
		.amdhsa_exception_fp_ieee_invalid_op 0
		.amdhsa_exception_fp_denorm_src 0
		.amdhsa_exception_fp_ieee_div_zero 0
		.amdhsa_exception_fp_ieee_overflow 0
		.amdhsa_exception_fp_ieee_underflow 0
		.amdhsa_exception_fp_ieee_inexact 0
		.amdhsa_exception_int_div_zero 0
	.end_amdhsa_kernel
	.section	.text._ZN7rocprim17ROCPRIM_400000_NS6detail17trampoline_kernelINS0_14default_configENS1_27scan_by_key_config_selectorIidEEZZNS1_16scan_by_key_implILNS1_25lookback_scan_determinismE0ELb0ES3_N6thrust23THRUST_200600_302600_NS6detail15normal_iteratorINS9_10device_ptrIiEEEENSB_INSC_IdEEEESG_dNS9_4plusIvEENS9_8equal_toIvEEdEE10hipError_tPvRmT2_T3_T4_T5_mT6_T7_P12ihipStream_tbENKUlT_T0_E_clISt17integral_constantIbLb1EES10_IbLb0EEEEDaSW_SX_EUlSW_E_NS1_11comp_targetILNS1_3genE8ELNS1_11target_archE1030ELNS1_3gpuE2ELNS1_3repE0EEENS1_30default_config_static_selectorELNS0_4arch9wavefront6targetE1EEEvT1_,"axG",@progbits,_ZN7rocprim17ROCPRIM_400000_NS6detail17trampoline_kernelINS0_14default_configENS1_27scan_by_key_config_selectorIidEEZZNS1_16scan_by_key_implILNS1_25lookback_scan_determinismE0ELb0ES3_N6thrust23THRUST_200600_302600_NS6detail15normal_iteratorINS9_10device_ptrIiEEEENSB_INSC_IdEEEESG_dNS9_4plusIvEENS9_8equal_toIvEEdEE10hipError_tPvRmT2_T3_T4_T5_mT6_T7_P12ihipStream_tbENKUlT_T0_E_clISt17integral_constantIbLb1EES10_IbLb0EEEEDaSW_SX_EUlSW_E_NS1_11comp_targetILNS1_3genE8ELNS1_11target_archE1030ELNS1_3gpuE2ELNS1_3repE0EEENS1_30default_config_static_selectorELNS0_4arch9wavefront6targetE1EEEvT1_,comdat
.Lfunc_end1115:
	.size	_ZN7rocprim17ROCPRIM_400000_NS6detail17trampoline_kernelINS0_14default_configENS1_27scan_by_key_config_selectorIidEEZZNS1_16scan_by_key_implILNS1_25lookback_scan_determinismE0ELb0ES3_N6thrust23THRUST_200600_302600_NS6detail15normal_iteratorINS9_10device_ptrIiEEEENSB_INSC_IdEEEESG_dNS9_4plusIvEENS9_8equal_toIvEEdEE10hipError_tPvRmT2_T3_T4_T5_mT6_T7_P12ihipStream_tbENKUlT_T0_E_clISt17integral_constantIbLb1EES10_IbLb0EEEEDaSW_SX_EUlSW_E_NS1_11comp_targetILNS1_3genE8ELNS1_11target_archE1030ELNS1_3gpuE2ELNS1_3repE0EEENS1_30default_config_static_selectorELNS0_4arch9wavefront6targetE1EEEvT1_, .Lfunc_end1115-_ZN7rocprim17ROCPRIM_400000_NS6detail17trampoline_kernelINS0_14default_configENS1_27scan_by_key_config_selectorIidEEZZNS1_16scan_by_key_implILNS1_25lookback_scan_determinismE0ELb0ES3_N6thrust23THRUST_200600_302600_NS6detail15normal_iteratorINS9_10device_ptrIiEEEENSB_INSC_IdEEEESG_dNS9_4plusIvEENS9_8equal_toIvEEdEE10hipError_tPvRmT2_T3_T4_T5_mT6_T7_P12ihipStream_tbENKUlT_T0_E_clISt17integral_constantIbLb1EES10_IbLb0EEEEDaSW_SX_EUlSW_E_NS1_11comp_targetILNS1_3genE8ELNS1_11target_archE1030ELNS1_3gpuE2ELNS1_3repE0EEENS1_30default_config_static_selectorELNS0_4arch9wavefront6targetE1EEEvT1_
                                        ; -- End function
	.section	.AMDGPU.csdata,"",@progbits
; Kernel info:
; codeLenInByte = 0
; NumSgprs: 6
; NumVgprs: 0
; NumAgprs: 0
; TotalNumVgprs: 0
; ScratchSize: 0
; MemoryBound: 0
; FloatMode: 240
; IeeeMode: 1
; LDSByteSize: 0 bytes/workgroup (compile time only)
; SGPRBlocks: 0
; VGPRBlocks: 0
; NumSGPRsForWavesPerEU: 6
; NumVGPRsForWavesPerEU: 1
; AccumOffset: 4
; Occupancy: 8
; WaveLimiterHint : 0
; COMPUTE_PGM_RSRC2:SCRATCH_EN: 0
; COMPUTE_PGM_RSRC2:USER_SGPR: 2
; COMPUTE_PGM_RSRC2:TRAP_HANDLER: 0
; COMPUTE_PGM_RSRC2:TGID_X_EN: 1
; COMPUTE_PGM_RSRC2:TGID_Y_EN: 0
; COMPUTE_PGM_RSRC2:TGID_Z_EN: 0
; COMPUTE_PGM_RSRC2:TIDIG_COMP_CNT: 0
; COMPUTE_PGM_RSRC3_GFX90A:ACCUM_OFFSET: 0
; COMPUTE_PGM_RSRC3_GFX90A:TG_SPLIT: 0
	.section	.text._ZN7rocprim17ROCPRIM_400000_NS6detail30init_device_scan_by_key_kernelINS1_19lookback_scan_stateINS0_5tupleIJdbEEELb0ELb0EEEN6thrust23THRUST_200600_302600_NS6detail15normal_iteratorINS8_10device_ptrIiEEEEjNS1_16block_id_wrapperIjLb1EEEEEvT_jjPNSG_10value_typeET0_PNSt15iterator_traitsISJ_E10value_typeEmT1_T2_,"axG",@progbits,_ZN7rocprim17ROCPRIM_400000_NS6detail30init_device_scan_by_key_kernelINS1_19lookback_scan_stateINS0_5tupleIJdbEEELb0ELb0EEEN6thrust23THRUST_200600_302600_NS6detail15normal_iteratorINS8_10device_ptrIiEEEEjNS1_16block_id_wrapperIjLb1EEEEEvT_jjPNSG_10value_typeET0_PNSt15iterator_traitsISJ_E10value_typeEmT1_T2_,comdat
	.protected	_ZN7rocprim17ROCPRIM_400000_NS6detail30init_device_scan_by_key_kernelINS1_19lookback_scan_stateINS0_5tupleIJdbEEELb0ELb0EEEN6thrust23THRUST_200600_302600_NS6detail15normal_iteratorINS8_10device_ptrIiEEEEjNS1_16block_id_wrapperIjLb1EEEEEvT_jjPNSG_10value_typeET0_PNSt15iterator_traitsISJ_E10value_typeEmT1_T2_ ; -- Begin function _ZN7rocprim17ROCPRIM_400000_NS6detail30init_device_scan_by_key_kernelINS1_19lookback_scan_stateINS0_5tupleIJdbEEELb0ELb0EEEN6thrust23THRUST_200600_302600_NS6detail15normal_iteratorINS8_10device_ptrIiEEEEjNS1_16block_id_wrapperIjLb1EEEEEvT_jjPNSG_10value_typeET0_PNSt15iterator_traitsISJ_E10value_typeEmT1_T2_
	.globl	_ZN7rocprim17ROCPRIM_400000_NS6detail30init_device_scan_by_key_kernelINS1_19lookback_scan_stateINS0_5tupleIJdbEEELb0ELb0EEEN6thrust23THRUST_200600_302600_NS6detail15normal_iteratorINS8_10device_ptrIiEEEEjNS1_16block_id_wrapperIjLb1EEEEEvT_jjPNSG_10value_typeET0_PNSt15iterator_traitsISJ_E10value_typeEmT1_T2_
	.p2align	8
	.type	_ZN7rocprim17ROCPRIM_400000_NS6detail30init_device_scan_by_key_kernelINS1_19lookback_scan_stateINS0_5tupleIJdbEEELb0ELb0EEEN6thrust23THRUST_200600_302600_NS6detail15normal_iteratorINS8_10device_ptrIiEEEEjNS1_16block_id_wrapperIjLb1EEEEEvT_jjPNSG_10value_typeET0_PNSt15iterator_traitsISJ_E10value_typeEmT1_T2_,@function
_ZN7rocprim17ROCPRIM_400000_NS6detail30init_device_scan_by_key_kernelINS1_19lookback_scan_stateINS0_5tupleIJdbEEELb0ELb0EEEN6thrust23THRUST_200600_302600_NS6detail15normal_iteratorINS8_10device_ptrIiEEEEjNS1_16block_id_wrapperIjLb1EEEEEvT_jjPNSG_10value_typeET0_PNSt15iterator_traitsISJ_E10value_typeEmT1_T2_: ; @_ZN7rocprim17ROCPRIM_400000_NS6detail30init_device_scan_by_key_kernelINS1_19lookback_scan_stateINS0_5tupleIJdbEEELb0ELb0EEEN6thrust23THRUST_200600_302600_NS6detail15normal_iteratorINS8_10device_ptrIiEEEEjNS1_16block_id_wrapperIjLb1EEEEEvT_jjPNSG_10value_typeET0_PNSt15iterator_traitsISJ_E10value_typeEmT1_T2_
; %bb.0:
	s_load_dword s3, s[0:1], 0x5c
	s_load_dwordx8 s[4:11], s[0:1], 0x10
	s_load_dword s20, s[0:1], 0x50
	s_waitcnt lgkmcnt(0)
	s_and_b32 s21, s3, 0xffff
	s_mul_i32 s2, s2, s21
	s_cmp_eq_u64 s[8:9], 0
	v_add_u32_e32 v0, s2, v0
	s_cbranch_scc1 .LBB1116_7
; %bb.1:
	s_cmp_lt_u32 s7, s6
	s_cselect_b32 s2, s7, 0
	s_mov_b32 s17, 0
	v_cmp_eq_u32_e32 vcc, s2, v0
	s_and_saveexec_b64 s[2:3], vcc
	s_cbranch_execz .LBB1116_6
; %bb.2:
	s_add_i32 s16, s7, 64
	v_mov_b32_e32 v1, s16
	global_load_ubyte v1, v1, s[4:5] sc1
	s_load_dwordx4 s[12:15], s[0:1], 0x0
	s_add_u32 s18, s4, s16
	s_addc_u32 s19, s5, 0
	s_waitcnt vmcnt(0)
	v_cmp_ne_u16_e32 vcc, 0, v1
	v_readfirstlane_b32 s7, v1
	s_cbranch_vccnz .LBB1116_5
; %bb.3:
	v_mov_b32_e32 v1, 0
.LBB1116_4:                             ; =>This Inner Loop Header: Depth=1
	global_load_ubyte v2, v1, s[18:19] sc1
	s_waitcnt vmcnt(0)
	v_cmp_eq_u16_e32 vcc, 0, v2
	v_readfirstlane_b32 s7, v2
	s_cbranch_vccnz .LBB1116_4
.LBB1116_5:
	s_and_b32 s7, 0xffff, s7
	s_cmp_eq_u32 s7, 1
	s_waitcnt lgkmcnt(0)
	s_cselect_b32 s7, s13, s15
	s_cselect_b32 s14, s12, s14
	s_lshl_b64 s[12:13], s[16:17], 4
	s_add_u32 s12, s14, s12
	s_addc_u32 s13, s7, s13
	v_mov_b32_e32 v1, 0
	s_waitcnt vmcnt(0)
	global_load_dword v2, v1, s[12:13] sc1
	global_load_dword v3, v1, s[12:13] offset:4 sc1
	global_load_dword v4, v1, s[12:13] offset:8 sc1
	;; [unrolled: 1-line block ×3, first 2 shown]
	s_waitcnt vmcnt(2)
	global_store_dwordx2 v1, v[2:3], s[8:9]
	s_waitcnt vmcnt(2)
	global_store_byte v1, v4, s[8:9] offset:8
.LBB1116_6:
	s_or_b64 exec, exec, s[2:3]
.LBB1116_7:
	v_cmp_eq_u32_e32 vcc, 0, v0
	s_and_saveexec_b64 s[2:3], vcc
	s_cbranch_execz .LBB1116_9
; %bb.8:
	s_load_dwordx2 s[8:9], s[0:1], 0x48
	v_mov_b32_e32 v1, 0
	s_waitcnt lgkmcnt(0)
	global_store_dword v1, v1, s[8:9]
.LBB1116_9:
	s_or_b64 exec, exec, s[2:3]
	v_cmp_gt_u32_e32 vcc, s6, v0
	s_and_saveexec_b64 s[2:3], vcc
	s_cbranch_execz .LBB1116_11
; %bb.10:
	v_add_u32_e32 v1, 64, v0
	v_mov_b32_e32 v2, 0
	global_store_byte v1, v2, s[4:5]
.LBB1116_11:
	s_or_b64 exec, exec, s[2:3]
	v_cmp_gt_u32_e32 vcc, 64, v0
	v_mov_b32_e32 v1, 0
	s_and_saveexec_b64 s[2:3], vcc
	s_cbranch_execz .LBB1116_13
; %bb.12:
	v_lshl_add_u64 v[2:3], s[4:5], 0, v[0:1]
	v_mov_b32_e32 v4, 0xff
	global_store_byte v[2:3], v4, off
.LBB1116_13:
	s_or_b64 exec, exec, s[2:3]
	s_load_dwordx2 s[2:3], s[0:1], 0x38
	s_waitcnt lgkmcnt(0)
	v_cmp_gt_u64_e32 vcc, s[2:3], v[0:1]
	s_and_saveexec_b64 s[4:5], vcc
	s_cbranch_execz .LBB1116_16
; %bb.14:
	s_load_dword s12, s[0:1], 0x40
	s_load_dwordx2 s[6:7], s[0:1], 0x30
	s_mov_b32 s5, 0
	s_mov_b32 s1, s5
	s_mul_i32 s0, s20, s21
	s_waitcnt lgkmcnt(0)
	s_add_i32 s4, s12, -1
	s_lshl_b64 s[4:5], s[4:5], 2
	s_add_u32 s4, s10, s4
	v_mad_u64_u32 v[2:3], s[8:9], s12, v0, 0
	s_addc_u32 s5, s11, s5
	v_lshl_add_u64 v[2:3], v[2:3], 2, s[4:5]
	s_mul_hi_u32 s5, s12, s0
	s_mul_i32 s4, s12, s0
	s_lshl_b64 s[4:5], s[4:5], 2
	s_waitcnt vmcnt(2)
	v_lshl_add_u64 v[4:5], v[0:1], 2, s[6:7]
	s_lshl_b64 s[6:7], s[0:1], 2
	s_mov_b64 s[8:9], 0
.LBB1116_15:                            ; =>This Inner Loop Header: Depth=1
	global_load_dword v6, v[2:3], off
	v_lshl_add_u64 v[0:1], v[0:1], 0, s[0:1]
	v_cmp_le_u64_e32 vcc, s[2:3], v[0:1]
	v_lshl_add_u64 v[2:3], v[2:3], 0, s[4:5]
	s_or_b64 s[8:9], vcc, s[8:9]
	s_waitcnt vmcnt(0)
	global_store_dword v[4:5], v6, off
	v_lshl_add_u64 v[4:5], v[4:5], 0, s[6:7]
	s_andn2_b64 exec, exec, s[8:9]
	s_cbranch_execnz .LBB1116_15
.LBB1116_16:
	s_endpgm
	.section	.rodata,"a",@progbits
	.p2align	6, 0x0
	.amdhsa_kernel _ZN7rocprim17ROCPRIM_400000_NS6detail30init_device_scan_by_key_kernelINS1_19lookback_scan_stateINS0_5tupleIJdbEEELb0ELb0EEEN6thrust23THRUST_200600_302600_NS6detail15normal_iteratorINS8_10device_ptrIiEEEEjNS1_16block_id_wrapperIjLb1EEEEEvT_jjPNSG_10value_typeET0_PNSt15iterator_traitsISJ_E10value_typeEmT1_T2_
		.amdhsa_group_segment_fixed_size 0
		.amdhsa_private_segment_fixed_size 0
		.amdhsa_kernarg_size 336
		.amdhsa_user_sgpr_count 2
		.amdhsa_user_sgpr_dispatch_ptr 0
		.amdhsa_user_sgpr_queue_ptr 0
		.amdhsa_user_sgpr_kernarg_segment_ptr 1
		.amdhsa_user_sgpr_dispatch_id 0
		.amdhsa_user_sgpr_kernarg_preload_length 0
		.amdhsa_user_sgpr_kernarg_preload_offset 0
		.amdhsa_user_sgpr_private_segment_size 0
		.amdhsa_uses_dynamic_stack 0
		.amdhsa_enable_private_segment 0
		.amdhsa_system_sgpr_workgroup_id_x 1
		.amdhsa_system_sgpr_workgroup_id_y 0
		.amdhsa_system_sgpr_workgroup_id_z 0
		.amdhsa_system_sgpr_workgroup_info 0
		.amdhsa_system_vgpr_workitem_id 0
		.amdhsa_next_free_vgpr 7
		.amdhsa_next_free_sgpr 22
		.amdhsa_accum_offset 8
		.amdhsa_reserve_vcc 1
		.amdhsa_float_round_mode_32 0
		.amdhsa_float_round_mode_16_64 0
		.amdhsa_float_denorm_mode_32 3
		.amdhsa_float_denorm_mode_16_64 3
		.amdhsa_dx10_clamp 1
		.amdhsa_ieee_mode 1
		.amdhsa_fp16_overflow 0
		.amdhsa_tg_split 0
		.amdhsa_exception_fp_ieee_invalid_op 0
		.amdhsa_exception_fp_denorm_src 0
		.amdhsa_exception_fp_ieee_div_zero 0
		.amdhsa_exception_fp_ieee_overflow 0
		.amdhsa_exception_fp_ieee_underflow 0
		.amdhsa_exception_fp_ieee_inexact 0
		.amdhsa_exception_int_div_zero 0
	.end_amdhsa_kernel
	.section	.text._ZN7rocprim17ROCPRIM_400000_NS6detail30init_device_scan_by_key_kernelINS1_19lookback_scan_stateINS0_5tupleIJdbEEELb0ELb0EEEN6thrust23THRUST_200600_302600_NS6detail15normal_iteratorINS8_10device_ptrIiEEEEjNS1_16block_id_wrapperIjLb1EEEEEvT_jjPNSG_10value_typeET0_PNSt15iterator_traitsISJ_E10value_typeEmT1_T2_,"axG",@progbits,_ZN7rocprim17ROCPRIM_400000_NS6detail30init_device_scan_by_key_kernelINS1_19lookback_scan_stateINS0_5tupleIJdbEEELb0ELb0EEEN6thrust23THRUST_200600_302600_NS6detail15normal_iteratorINS8_10device_ptrIiEEEEjNS1_16block_id_wrapperIjLb1EEEEEvT_jjPNSG_10value_typeET0_PNSt15iterator_traitsISJ_E10value_typeEmT1_T2_,comdat
.Lfunc_end1116:
	.size	_ZN7rocprim17ROCPRIM_400000_NS6detail30init_device_scan_by_key_kernelINS1_19lookback_scan_stateINS0_5tupleIJdbEEELb0ELb0EEEN6thrust23THRUST_200600_302600_NS6detail15normal_iteratorINS8_10device_ptrIiEEEEjNS1_16block_id_wrapperIjLb1EEEEEvT_jjPNSG_10value_typeET0_PNSt15iterator_traitsISJ_E10value_typeEmT1_T2_, .Lfunc_end1116-_ZN7rocprim17ROCPRIM_400000_NS6detail30init_device_scan_by_key_kernelINS1_19lookback_scan_stateINS0_5tupleIJdbEEELb0ELb0EEEN6thrust23THRUST_200600_302600_NS6detail15normal_iteratorINS8_10device_ptrIiEEEEjNS1_16block_id_wrapperIjLb1EEEEEvT_jjPNSG_10value_typeET0_PNSt15iterator_traitsISJ_E10value_typeEmT1_T2_
                                        ; -- End function
	.section	.AMDGPU.csdata,"",@progbits
; Kernel info:
; codeLenInByte = 556
; NumSgprs: 28
; NumVgprs: 7
; NumAgprs: 0
; TotalNumVgprs: 7
; ScratchSize: 0
; MemoryBound: 0
; FloatMode: 240
; IeeeMode: 1
; LDSByteSize: 0 bytes/workgroup (compile time only)
; SGPRBlocks: 3
; VGPRBlocks: 0
; NumSGPRsForWavesPerEU: 28
; NumVGPRsForWavesPerEU: 7
; AccumOffset: 8
; Occupancy: 8
; WaveLimiterHint : 0
; COMPUTE_PGM_RSRC2:SCRATCH_EN: 0
; COMPUTE_PGM_RSRC2:USER_SGPR: 2
; COMPUTE_PGM_RSRC2:TRAP_HANDLER: 0
; COMPUTE_PGM_RSRC2:TGID_X_EN: 1
; COMPUTE_PGM_RSRC2:TGID_Y_EN: 0
; COMPUTE_PGM_RSRC2:TGID_Z_EN: 0
; COMPUTE_PGM_RSRC2:TIDIG_COMP_CNT: 0
; COMPUTE_PGM_RSRC3_GFX90A:ACCUM_OFFSET: 1
; COMPUTE_PGM_RSRC3_GFX90A:TG_SPLIT: 0
	.section	.text._ZN7rocprim17ROCPRIM_400000_NS6detail30init_device_scan_by_key_kernelINS1_19lookback_scan_stateINS0_5tupleIJdbEEELb0ELb0EEENS1_16block_id_wrapperIjLb1EEEEEvT_jjPNS9_10value_typeET0_,"axG",@progbits,_ZN7rocprim17ROCPRIM_400000_NS6detail30init_device_scan_by_key_kernelINS1_19lookback_scan_stateINS0_5tupleIJdbEEELb0ELb0EEENS1_16block_id_wrapperIjLb1EEEEEvT_jjPNS9_10value_typeET0_,comdat
	.protected	_ZN7rocprim17ROCPRIM_400000_NS6detail30init_device_scan_by_key_kernelINS1_19lookback_scan_stateINS0_5tupleIJdbEEELb0ELb0EEENS1_16block_id_wrapperIjLb1EEEEEvT_jjPNS9_10value_typeET0_ ; -- Begin function _ZN7rocprim17ROCPRIM_400000_NS6detail30init_device_scan_by_key_kernelINS1_19lookback_scan_stateINS0_5tupleIJdbEEELb0ELb0EEENS1_16block_id_wrapperIjLb1EEEEEvT_jjPNS9_10value_typeET0_
	.globl	_ZN7rocprim17ROCPRIM_400000_NS6detail30init_device_scan_by_key_kernelINS1_19lookback_scan_stateINS0_5tupleIJdbEEELb0ELb0EEENS1_16block_id_wrapperIjLb1EEEEEvT_jjPNS9_10value_typeET0_
	.p2align	8
	.type	_ZN7rocprim17ROCPRIM_400000_NS6detail30init_device_scan_by_key_kernelINS1_19lookback_scan_stateINS0_5tupleIJdbEEELb0ELb0EEENS1_16block_id_wrapperIjLb1EEEEEvT_jjPNS9_10value_typeET0_,@function
_ZN7rocprim17ROCPRIM_400000_NS6detail30init_device_scan_by_key_kernelINS1_19lookback_scan_stateINS0_5tupleIJdbEEELb0ELb0EEENS1_16block_id_wrapperIjLb1EEEEEvT_jjPNS9_10value_typeET0_: ; @_ZN7rocprim17ROCPRIM_400000_NS6detail30init_device_scan_by_key_kernelINS1_19lookback_scan_stateINS0_5tupleIJdbEEELb0ELb0EEENS1_16block_id_wrapperIjLb1EEEEEvT_jjPNS9_10value_typeET0_
; %bb.0:
	s_load_dword s3, s[0:1], 0x3c
	s_load_dwordx8 s[4:11], s[0:1], 0x10
	s_waitcnt lgkmcnt(0)
	s_and_b32 s3, s3, 0xffff
	s_mul_i32 s2, s2, s3
	s_cmp_eq_u64 s[8:9], 0
	v_add_u32_e32 v0, s2, v0
	s_cbranch_scc1 .LBB1117_7
; %bb.1:
	s_cmp_lt_u32 s7, s6
	s_cselect_b32 s2, s7, 0
	s_mov_b32 s15, 0
	v_cmp_eq_u32_e32 vcc, s2, v0
	s_and_saveexec_b64 s[12:13], vcc
	s_cbranch_execz .LBB1117_6
; %bb.2:
	s_add_i32 s14, s7, 64
	v_mov_b32_e32 v1, s14
	global_load_ubyte v1, v1, s[4:5] sc1
	s_load_dwordx4 s[0:3], s[0:1], 0x0
	s_add_u32 s16, s4, s14
	s_addc_u32 s17, s5, 0
	s_waitcnt vmcnt(0)
	v_cmp_ne_u16_e32 vcc, 0, v1
	v_readfirstlane_b32 s7, v1
	s_cbranch_vccnz .LBB1117_5
; %bb.3:
	v_mov_b32_e32 v1, 0
.LBB1117_4:                             ; =>This Inner Loop Header: Depth=1
	global_load_ubyte v2, v1, s[16:17] sc1
	s_waitcnt vmcnt(0)
	v_cmp_eq_u16_e32 vcc, 0, v2
	v_readfirstlane_b32 s7, v2
	s_cbranch_vccnz .LBB1117_4
.LBB1117_5:
	s_and_b32 s7, 0xffff, s7
	s_cmp_eq_u32 s7, 1
	s_waitcnt lgkmcnt(0)
	s_cselect_b32 s3, s1, s3
	s_cselect_b32 s2, s0, s2
	s_lshl_b64 s[0:1], s[14:15], 4
	s_add_u32 s0, s2, s0
	s_addc_u32 s1, s3, s1
	v_mov_b32_e32 v1, 0
	s_waitcnt vmcnt(0)
	global_load_dword v2, v1, s[0:1] sc1
	global_load_dword v3, v1, s[0:1] offset:4 sc1
	global_load_dword v4, v1, s[0:1] offset:8 sc1
	global_load_dword v5, v1, s[0:1] offset:12 sc1
	s_waitcnt vmcnt(2)
	global_store_dwordx2 v1, v[2:3], s[8:9]
	s_waitcnt vmcnt(2)
	global_store_byte v1, v4, s[8:9] offset:8
.LBB1117_6:
	s_or_b64 exec, exec, s[12:13]
.LBB1117_7:
	v_cmp_eq_u32_e32 vcc, 0, v0
	s_and_saveexec_b64 s[0:1], vcc
	s_cbranch_execnz .LBB1117_11
; %bb.8:
	s_or_b64 exec, exec, s[0:1]
	v_cmp_gt_u32_e32 vcc, s6, v0
	s_and_saveexec_b64 s[0:1], vcc
	s_cbranch_execnz .LBB1117_12
.LBB1117_9:
	s_or_b64 exec, exec, s[0:1]
	v_cmp_gt_u32_e32 vcc, 64, v0
	s_and_saveexec_b64 s[0:1], vcc
	s_cbranch_execnz .LBB1117_13
.LBB1117_10:
	s_endpgm
.LBB1117_11:
	v_mov_b32_e32 v1, 0
	global_store_dword v1, v1, s[10:11]
	s_or_b64 exec, exec, s[0:1]
	v_cmp_gt_u32_e32 vcc, s6, v0
	s_and_saveexec_b64 s[0:1], vcc
	s_cbranch_execz .LBB1117_9
.LBB1117_12:
	v_add_u32_e32 v1, 64, v0
	v_mov_b32_e32 v2, 0
	global_store_byte v1, v2, s[4:5]
	s_or_b64 exec, exec, s[0:1]
	v_cmp_gt_u32_e32 vcc, 64, v0
	s_and_saveexec_b64 s[0:1], vcc
	s_cbranch_execz .LBB1117_10
.LBB1117_13:
	v_mov_b32_e32 v1, 0xff
	global_store_byte v0, v1, s[4:5]
	s_endpgm
	.section	.rodata,"a",@progbits
	.p2align	6, 0x0
	.amdhsa_kernel _ZN7rocprim17ROCPRIM_400000_NS6detail30init_device_scan_by_key_kernelINS1_19lookback_scan_stateINS0_5tupleIJdbEEELb0ELb0EEENS1_16block_id_wrapperIjLb1EEEEEvT_jjPNS9_10value_typeET0_
		.amdhsa_group_segment_fixed_size 0
		.amdhsa_private_segment_fixed_size 0
		.amdhsa_kernarg_size 304
		.amdhsa_user_sgpr_count 2
		.amdhsa_user_sgpr_dispatch_ptr 0
		.amdhsa_user_sgpr_queue_ptr 0
		.amdhsa_user_sgpr_kernarg_segment_ptr 1
		.amdhsa_user_sgpr_dispatch_id 0
		.amdhsa_user_sgpr_kernarg_preload_length 0
		.amdhsa_user_sgpr_kernarg_preload_offset 0
		.amdhsa_user_sgpr_private_segment_size 0
		.amdhsa_uses_dynamic_stack 0
		.amdhsa_enable_private_segment 0
		.amdhsa_system_sgpr_workgroup_id_x 1
		.amdhsa_system_sgpr_workgroup_id_y 0
		.amdhsa_system_sgpr_workgroup_id_z 0
		.amdhsa_system_sgpr_workgroup_info 0
		.amdhsa_system_vgpr_workitem_id 0
		.amdhsa_next_free_vgpr 6
		.amdhsa_next_free_sgpr 18
		.amdhsa_accum_offset 8
		.amdhsa_reserve_vcc 1
		.amdhsa_float_round_mode_32 0
		.amdhsa_float_round_mode_16_64 0
		.amdhsa_float_denorm_mode_32 3
		.amdhsa_float_denorm_mode_16_64 3
		.amdhsa_dx10_clamp 1
		.amdhsa_ieee_mode 1
		.amdhsa_fp16_overflow 0
		.amdhsa_tg_split 0
		.amdhsa_exception_fp_ieee_invalid_op 0
		.amdhsa_exception_fp_denorm_src 0
		.amdhsa_exception_fp_ieee_div_zero 0
		.amdhsa_exception_fp_ieee_overflow 0
		.amdhsa_exception_fp_ieee_underflow 0
		.amdhsa_exception_fp_ieee_inexact 0
		.amdhsa_exception_int_div_zero 0
	.end_amdhsa_kernel
	.section	.text._ZN7rocprim17ROCPRIM_400000_NS6detail30init_device_scan_by_key_kernelINS1_19lookback_scan_stateINS0_5tupleIJdbEEELb0ELb0EEENS1_16block_id_wrapperIjLb1EEEEEvT_jjPNS9_10value_typeET0_,"axG",@progbits,_ZN7rocprim17ROCPRIM_400000_NS6detail30init_device_scan_by_key_kernelINS1_19lookback_scan_stateINS0_5tupleIJdbEEELb0ELb0EEENS1_16block_id_wrapperIjLb1EEEEEvT_jjPNS9_10value_typeET0_,comdat
.Lfunc_end1117:
	.size	_ZN7rocprim17ROCPRIM_400000_NS6detail30init_device_scan_by_key_kernelINS1_19lookback_scan_stateINS0_5tupleIJdbEEELb0ELb0EEENS1_16block_id_wrapperIjLb1EEEEEvT_jjPNS9_10value_typeET0_, .Lfunc_end1117-_ZN7rocprim17ROCPRIM_400000_NS6detail30init_device_scan_by_key_kernelINS1_19lookback_scan_stateINS0_5tupleIJdbEEELb0ELb0EEENS1_16block_id_wrapperIjLb1EEEEEvT_jjPNS9_10value_typeET0_
                                        ; -- End function
	.section	.AMDGPU.csdata,"",@progbits
; Kernel info:
; codeLenInByte = 376
; NumSgprs: 24
; NumVgprs: 6
; NumAgprs: 0
; TotalNumVgprs: 6
; ScratchSize: 0
; MemoryBound: 0
; FloatMode: 240
; IeeeMode: 1
; LDSByteSize: 0 bytes/workgroup (compile time only)
; SGPRBlocks: 2
; VGPRBlocks: 0
; NumSGPRsForWavesPerEU: 24
; NumVGPRsForWavesPerEU: 6
; AccumOffset: 8
; Occupancy: 8
; WaveLimiterHint : 0
; COMPUTE_PGM_RSRC2:SCRATCH_EN: 0
; COMPUTE_PGM_RSRC2:USER_SGPR: 2
; COMPUTE_PGM_RSRC2:TRAP_HANDLER: 0
; COMPUTE_PGM_RSRC2:TGID_X_EN: 1
; COMPUTE_PGM_RSRC2:TGID_Y_EN: 0
; COMPUTE_PGM_RSRC2:TGID_Z_EN: 0
; COMPUTE_PGM_RSRC2:TIDIG_COMP_CNT: 0
; COMPUTE_PGM_RSRC3_GFX90A:ACCUM_OFFSET: 1
; COMPUTE_PGM_RSRC3_GFX90A:TG_SPLIT: 0
	.section	.text._ZN7rocprim17ROCPRIM_400000_NS6detail17trampoline_kernelINS0_14default_configENS1_27scan_by_key_config_selectorIidEEZZNS1_16scan_by_key_implILNS1_25lookback_scan_determinismE0ELb0ES3_N6thrust23THRUST_200600_302600_NS6detail15normal_iteratorINS9_10device_ptrIiEEEENSB_INSC_IdEEEESG_dNS9_4plusIvEENS9_8equal_toIvEEdEE10hipError_tPvRmT2_T3_T4_T5_mT6_T7_P12ihipStream_tbENKUlT_T0_E_clISt17integral_constantIbLb0EES10_IbLb1EEEEDaSW_SX_EUlSW_E_NS1_11comp_targetILNS1_3genE0ELNS1_11target_archE4294967295ELNS1_3gpuE0ELNS1_3repE0EEENS1_30default_config_static_selectorELNS0_4arch9wavefront6targetE1EEEvT1_,"axG",@progbits,_ZN7rocprim17ROCPRIM_400000_NS6detail17trampoline_kernelINS0_14default_configENS1_27scan_by_key_config_selectorIidEEZZNS1_16scan_by_key_implILNS1_25lookback_scan_determinismE0ELb0ES3_N6thrust23THRUST_200600_302600_NS6detail15normal_iteratorINS9_10device_ptrIiEEEENSB_INSC_IdEEEESG_dNS9_4plusIvEENS9_8equal_toIvEEdEE10hipError_tPvRmT2_T3_T4_T5_mT6_T7_P12ihipStream_tbENKUlT_T0_E_clISt17integral_constantIbLb0EES10_IbLb1EEEEDaSW_SX_EUlSW_E_NS1_11comp_targetILNS1_3genE0ELNS1_11target_archE4294967295ELNS1_3gpuE0ELNS1_3repE0EEENS1_30default_config_static_selectorELNS0_4arch9wavefront6targetE1EEEvT1_,comdat
	.protected	_ZN7rocprim17ROCPRIM_400000_NS6detail17trampoline_kernelINS0_14default_configENS1_27scan_by_key_config_selectorIidEEZZNS1_16scan_by_key_implILNS1_25lookback_scan_determinismE0ELb0ES3_N6thrust23THRUST_200600_302600_NS6detail15normal_iteratorINS9_10device_ptrIiEEEENSB_INSC_IdEEEESG_dNS9_4plusIvEENS9_8equal_toIvEEdEE10hipError_tPvRmT2_T3_T4_T5_mT6_T7_P12ihipStream_tbENKUlT_T0_E_clISt17integral_constantIbLb0EES10_IbLb1EEEEDaSW_SX_EUlSW_E_NS1_11comp_targetILNS1_3genE0ELNS1_11target_archE4294967295ELNS1_3gpuE0ELNS1_3repE0EEENS1_30default_config_static_selectorELNS0_4arch9wavefront6targetE1EEEvT1_ ; -- Begin function _ZN7rocprim17ROCPRIM_400000_NS6detail17trampoline_kernelINS0_14default_configENS1_27scan_by_key_config_selectorIidEEZZNS1_16scan_by_key_implILNS1_25lookback_scan_determinismE0ELb0ES3_N6thrust23THRUST_200600_302600_NS6detail15normal_iteratorINS9_10device_ptrIiEEEENSB_INSC_IdEEEESG_dNS9_4plusIvEENS9_8equal_toIvEEdEE10hipError_tPvRmT2_T3_T4_T5_mT6_T7_P12ihipStream_tbENKUlT_T0_E_clISt17integral_constantIbLb0EES10_IbLb1EEEEDaSW_SX_EUlSW_E_NS1_11comp_targetILNS1_3genE0ELNS1_11target_archE4294967295ELNS1_3gpuE0ELNS1_3repE0EEENS1_30default_config_static_selectorELNS0_4arch9wavefront6targetE1EEEvT1_
	.globl	_ZN7rocprim17ROCPRIM_400000_NS6detail17trampoline_kernelINS0_14default_configENS1_27scan_by_key_config_selectorIidEEZZNS1_16scan_by_key_implILNS1_25lookback_scan_determinismE0ELb0ES3_N6thrust23THRUST_200600_302600_NS6detail15normal_iteratorINS9_10device_ptrIiEEEENSB_INSC_IdEEEESG_dNS9_4plusIvEENS9_8equal_toIvEEdEE10hipError_tPvRmT2_T3_T4_T5_mT6_T7_P12ihipStream_tbENKUlT_T0_E_clISt17integral_constantIbLb0EES10_IbLb1EEEEDaSW_SX_EUlSW_E_NS1_11comp_targetILNS1_3genE0ELNS1_11target_archE4294967295ELNS1_3gpuE0ELNS1_3repE0EEENS1_30default_config_static_selectorELNS0_4arch9wavefront6targetE1EEEvT1_
	.p2align	8
	.type	_ZN7rocprim17ROCPRIM_400000_NS6detail17trampoline_kernelINS0_14default_configENS1_27scan_by_key_config_selectorIidEEZZNS1_16scan_by_key_implILNS1_25lookback_scan_determinismE0ELb0ES3_N6thrust23THRUST_200600_302600_NS6detail15normal_iteratorINS9_10device_ptrIiEEEENSB_INSC_IdEEEESG_dNS9_4plusIvEENS9_8equal_toIvEEdEE10hipError_tPvRmT2_T3_T4_T5_mT6_T7_P12ihipStream_tbENKUlT_T0_E_clISt17integral_constantIbLb0EES10_IbLb1EEEEDaSW_SX_EUlSW_E_NS1_11comp_targetILNS1_3genE0ELNS1_11target_archE4294967295ELNS1_3gpuE0ELNS1_3repE0EEENS1_30default_config_static_selectorELNS0_4arch9wavefront6targetE1EEEvT1_,@function
_ZN7rocprim17ROCPRIM_400000_NS6detail17trampoline_kernelINS0_14default_configENS1_27scan_by_key_config_selectorIidEEZZNS1_16scan_by_key_implILNS1_25lookback_scan_determinismE0ELb0ES3_N6thrust23THRUST_200600_302600_NS6detail15normal_iteratorINS9_10device_ptrIiEEEENSB_INSC_IdEEEESG_dNS9_4plusIvEENS9_8equal_toIvEEdEE10hipError_tPvRmT2_T3_T4_T5_mT6_T7_P12ihipStream_tbENKUlT_T0_E_clISt17integral_constantIbLb0EES10_IbLb1EEEEDaSW_SX_EUlSW_E_NS1_11comp_targetILNS1_3genE0ELNS1_11target_archE4294967295ELNS1_3gpuE0ELNS1_3repE0EEENS1_30default_config_static_selectorELNS0_4arch9wavefront6targetE1EEEvT1_: ; @_ZN7rocprim17ROCPRIM_400000_NS6detail17trampoline_kernelINS0_14default_configENS1_27scan_by_key_config_selectorIidEEZZNS1_16scan_by_key_implILNS1_25lookback_scan_determinismE0ELb0ES3_N6thrust23THRUST_200600_302600_NS6detail15normal_iteratorINS9_10device_ptrIiEEEENSB_INSC_IdEEEESG_dNS9_4plusIvEENS9_8equal_toIvEEdEE10hipError_tPvRmT2_T3_T4_T5_mT6_T7_P12ihipStream_tbENKUlT_T0_E_clISt17integral_constantIbLb0EES10_IbLb1EEEEDaSW_SX_EUlSW_E_NS1_11comp_targetILNS1_3genE0ELNS1_11target_archE4294967295ELNS1_3gpuE0ELNS1_3repE0EEENS1_30default_config_static_selectorELNS0_4arch9wavefront6targetE1EEEvT1_
; %bb.0:
	.section	.rodata,"a",@progbits
	.p2align	6, 0x0
	.amdhsa_kernel _ZN7rocprim17ROCPRIM_400000_NS6detail17trampoline_kernelINS0_14default_configENS1_27scan_by_key_config_selectorIidEEZZNS1_16scan_by_key_implILNS1_25lookback_scan_determinismE0ELb0ES3_N6thrust23THRUST_200600_302600_NS6detail15normal_iteratorINS9_10device_ptrIiEEEENSB_INSC_IdEEEESG_dNS9_4plusIvEENS9_8equal_toIvEEdEE10hipError_tPvRmT2_T3_T4_T5_mT6_T7_P12ihipStream_tbENKUlT_T0_E_clISt17integral_constantIbLb0EES10_IbLb1EEEEDaSW_SX_EUlSW_E_NS1_11comp_targetILNS1_3genE0ELNS1_11target_archE4294967295ELNS1_3gpuE0ELNS1_3repE0EEENS1_30default_config_static_selectorELNS0_4arch9wavefront6targetE1EEEvT1_
		.amdhsa_group_segment_fixed_size 0
		.amdhsa_private_segment_fixed_size 0
		.amdhsa_kernarg_size 136
		.amdhsa_user_sgpr_count 2
		.amdhsa_user_sgpr_dispatch_ptr 0
		.amdhsa_user_sgpr_queue_ptr 0
		.amdhsa_user_sgpr_kernarg_segment_ptr 1
		.amdhsa_user_sgpr_dispatch_id 0
		.amdhsa_user_sgpr_kernarg_preload_length 0
		.amdhsa_user_sgpr_kernarg_preload_offset 0
		.amdhsa_user_sgpr_private_segment_size 0
		.amdhsa_uses_dynamic_stack 0
		.amdhsa_enable_private_segment 0
		.amdhsa_system_sgpr_workgroup_id_x 1
		.amdhsa_system_sgpr_workgroup_id_y 0
		.amdhsa_system_sgpr_workgroup_id_z 0
		.amdhsa_system_sgpr_workgroup_info 0
		.amdhsa_system_vgpr_workitem_id 0
		.amdhsa_next_free_vgpr 1
		.amdhsa_next_free_sgpr 0
		.amdhsa_accum_offset 4
		.amdhsa_reserve_vcc 0
		.amdhsa_float_round_mode_32 0
		.amdhsa_float_round_mode_16_64 0
		.amdhsa_float_denorm_mode_32 3
		.amdhsa_float_denorm_mode_16_64 3
		.amdhsa_dx10_clamp 1
		.amdhsa_ieee_mode 1
		.amdhsa_fp16_overflow 0
		.amdhsa_tg_split 0
		.amdhsa_exception_fp_ieee_invalid_op 0
		.amdhsa_exception_fp_denorm_src 0
		.amdhsa_exception_fp_ieee_div_zero 0
		.amdhsa_exception_fp_ieee_overflow 0
		.amdhsa_exception_fp_ieee_underflow 0
		.amdhsa_exception_fp_ieee_inexact 0
		.amdhsa_exception_int_div_zero 0
	.end_amdhsa_kernel
	.section	.text._ZN7rocprim17ROCPRIM_400000_NS6detail17trampoline_kernelINS0_14default_configENS1_27scan_by_key_config_selectorIidEEZZNS1_16scan_by_key_implILNS1_25lookback_scan_determinismE0ELb0ES3_N6thrust23THRUST_200600_302600_NS6detail15normal_iteratorINS9_10device_ptrIiEEEENSB_INSC_IdEEEESG_dNS9_4plusIvEENS9_8equal_toIvEEdEE10hipError_tPvRmT2_T3_T4_T5_mT6_T7_P12ihipStream_tbENKUlT_T0_E_clISt17integral_constantIbLb0EES10_IbLb1EEEEDaSW_SX_EUlSW_E_NS1_11comp_targetILNS1_3genE0ELNS1_11target_archE4294967295ELNS1_3gpuE0ELNS1_3repE0EEENS1_30default_config_static_selectorELNS0_4arch9wavefront6targetE1EEEvT1_,"axG",@progbits,_ZN7rocprim17ROCPRIM_400000_NS6detail17trampoline_kernelINS0_14default_configENS1_27scan_by_key_config_selectorIidEEZZNS1_16scan_by_key_implILNS1_25lookback_scan_determinismE0ELb0ES3_N6thrust23THRUST_200600_302600_NS6detail15normal_iteratorINS9_10device_ptrIiEEEENSB_INSC_IdEEEESG_dNS9_4plusIvEENS9_8equal_toIvEEdEE10hipError_tPvRmT2_T3_T4_T5_mT6_T7_P12ihipStream_tbENKUlT_T0_E_clISt17integral_constantIbLb0EES10_IbLb1EEEEDaSW_SX_EUlSW_E_NS1_11comp_targetILNS1_3genE0ELNS1_11target_archE4294967295ELNS1_3gpuE0ELNS1_3repE0EEENS1_30default_config_static_selectorELNS0_4arch9wavefront6targetE1EEEvT1_,comdat
.Lfunc_end1118:
	.size	_ZN7rocprim17ROCPRIM_400000_NS6detail17trampoline_kernelINS0_14default_configENS1_27scan_by_key_config_selectorIidEEZZNS1_16scan_by_key_implILNS1_25lookback_scan_determinismE0ELb0ES3_N6thrust23THRUST_200600_302600_NS6detail15normal_iteratorINS9_10device_ptrIiEEEENSB_INSC_IdEEEESG_dNS9_4plusIvEENS9_8equal_toIvEEdEE10hipError_tPvRmT2_T3_T4_T5_mT6_T7_P12ihipStream_tbENKUlT_T0_E_clISt17integral_constantIbLb0EES10_IbLb1EEEEDaSW_SX_EUlSW_E_NS1_11comp_targetILNS1_3genE0ELNS1_11target_archE4294967295ELNS1_3gpuE0ELNS1_3repE0EEENS1_30default_config_static_selectorELNS0_4arch9wavefront6targetE1EEEvT1_, .Lfunc_end1118-_ZN7rocprim17ROCPRIM_400000_NS6detail17trampoline_kernelINS0_14default_configENS1_27scan_by_key_config_selectorIidEEZZNS1_16scan_by_key_implILNS1_25lookback_scan_determinismE0ELb0ES3_N6thrust23THRUST_200600_302600_NS6detail15normal_iteratorINS9_10device_ptrIiEEEENSB_INSC_IdEEEESG_dNS9_4plusIvEENS9_8equal_toIvEEdEE10hipError_tPvRmT2_T3_T4_T5_mT6_T7_P12ihipStream_tbENKUlT_T0_E_clISt17integral_constantIbLb0EES10_IbLb1EEEEDaSW_SX_EUlSW_E_NS1_11comp_targetILNS1_3genE0ELNS1_11target_archE4294967295ELNS1_3gpuE0ELNS1_3repE0EEENS1_30default_config_static_selectorELNS0_4arch9wavefront6targetE1EEEvT1_
                                        ; -- End function
	.section	.AMDGPU.csdata,"",@progbits
; Kernel info:
; codeLenInByte = 0
; NumSgprs: 6
; NumVgprs: 0
; NumAgprs: 0
; TotalNumVgprs: 0
; ScratchSize: 0
; MemoryBound: 0
; FloatMode: 240
; IeeeMode: 1
; LDSByteSize: 0 bytes/workgroup (compile time only)
; SGPRBlocks: 0
; VGPRBlocks: 0
; NumSGPRsForWavesPerEU: 6
; NumVGPRsForWavesPerEU: 1
; AccumOffset: 4
; Occupancy: 8
; WaveLimiterHint : 0
; COMPUTE_PGM_RSRC2:SCRATCH_EN: 0
; COMPUTE_PGM_RSRC2:USER_SGPR: 2
; COMPUTE_PGM_RSRC2:TRAP_HANDLER: 0
; COMPUTE_PGM_RSRC2:TGID_X_EN: 1
; COMPUTE_PGM_RSRC2:TGID_Y_EN: 0
; COMPUTE_PGM_RSRC2:TGID_Z_EN: 0
; COMPUTE_PGM_RSRC2:TIDIG_COMP_CNT: 0
; COMPUTE_PGM_RSRC3_GFX90A:ACCUM_OFFSET: 0
; COMPUTE_PGM_RSRC3_GFX90A:TG_SPLIT: 0
	.section	.text._ZN7rocprim17ROCPRIM_400000_NS6detail17trampoline_kernelINS0_14default_configENS1_27scan_by_key_config_selectorIidEEZZNS1_16scan_by_key_implILNS1_25lookback_scan_determinismE0ELb0ES3_N6thrust23THRUST_200600_302600_NS6detail15normal_iteratorINS9_10device_ptrIiEEEENSB_INSC_IdEEEESG_dNS9_4plusIvEENS9_8equal_toIvEEdEE10hipError_tPvRmT2_T3_T4_T5_mT6_T7_P12ihipStream_tbENKUlT_T0_E_clISt17integral_constantIbLb0EES10_IbLb1EEEEDaSW_SX_EUlSW_E_NS1_11comp_targetILNS1_3genE10ELNS1_11target_archE1201ELNS1_3gpuE5ELNS1_3repE0EEENS1_30default_config_static_selectorELNS0_4arch9wavefront6targetE1EEEvT1_,"axG",@progbits,_ZN7rocprim17ROCPRIM_400000_NS6detail17trampoline_kernelINS0_14default_configENS1_27scan_by_key_config_selectorIidEEZZNS1_16scan_by_key_implILNS1_25lookback_scan_determinismE0ELb0ES3_N6thrust23THRUST_200600_302600_NS6detail15normal_iteratorINS9_10device_ptrIiEEEENSB_INSC_IdEEEESG_dNS9_4plusIvEENS9_8equal_toIvEEdEE10hipError_tPvRmT2_T3_T4_T5_mT6_T7_P12ihipStream_tbENKUlT_T0_E_clISt17integral_constantIbLb0EES10_IbLb1EEEEDaSW_SX_EUlSW_E_NS1_11comp_targetILNS1_3genE10ELNS1_11target_archE1201ELNS1_3gpuE5ELNS1_3repE0EEENS1_30default_config_static_selectorELNS0_4arch9wavefront6targetE1EEEvT1_,comdat
	.protected	_ZN7rocprim17ROCPRIM_400000_NS6detail17trampoline_kernelINS0_14default_configENS1_27scan_by_key_config_selectorIidEEZZNS1_16scan_by_key_implILNS1_25lookback_scan_determinismE0ELb0ES3_N6thrust23THRUST_200600_302600_NS6detail15normal_iteratorINS9_10device_ptrIiEEEENSB_INSC_IdEEEESG_dNS9_4plusIvEENS9_8equal_toIvEEdEE10hipError_tPvRmT2_T3_T4_T5_mT6_T7_P12ihipStream_tbENKUlT_T0_E_clISt17integral_constantIbLb0EES10_IbLb1EEEEDaSW_SX_EUlSW_E_NS1_11comp_targetILNS1_3genE10ELNS1_11target_archE1201ELNS1_3gpuE5ELNS1_3repE0EEENS1_30default_config_static_selectorELNS0_4arch9wavefront6targetE1EEEvT1_ ; -- Begin function _ZN7rocprim17ROCPRIM_400000_NS6detail17trampoline_kernelINS0_14default_configENS1_27scan_by_key_config_selectorIidEEZZNS1_16scan_by_key_implILNS1_25lookback_scan_determinismE0ELb0ES3_N6thrust23THRUST_200600_302600_NS6detail15normal_iteratorINS9_10device_ptrIiEEEENSB_INSC_IdEEEESG_dNS9_4plusIvEENS9_8equal_toIvEEdEE10hipError_tPvRmT2_T3_T4_T5_mT6_T7_P12ihipStream_tbENKUlT_T0_E_clISt17integral_constantIbLb0EES10_IbLb1EEEEDaSW_SX_EUlSW_E_NS1_11comp_targetILNS1_3genE10ELNS1_11target_archE1201ELNS1_3gpuE5ELNS1_3repE0EEENS1_30default_config_static_selectorELNS0_4arch9wavefront6targetE1EEEvT1_
	.globl	_ZN7rocprim17ROCPRIM_400000_NS6detail17trampoline_kernelINS0_14default_configENS1_27scan_by_key_config_selectorIidEEZZNS1_16scan_by_key_implILNS1_25lookback_scan_determinismE0ELb0ES3_N6thrust23THRUST_200600_302600_NS6detail15normal_iteratorINS9_10device_ptrIiEEEENSB_INSC_IdEEEESG_dNS9_4plusIvEENS9_8equal_toIvEEdEE10hipError_tPvRmT2_T3_T4_T5_mT6_T7_P12ihipStream_tbENKUlT_T0_E_clISt17integral_constantIbLb0EES10_IbLb1EEEEDaSW_SX_EUlSW_E_NS1_11comp_targetILNS1_3genE10ELNS1_11target_archE1201ELNS1_3gpuE5ELNS1_3repE0EEENS1_30default_config_static_selectorELNS0_4arch9wavefront6targetE1EEEvT1_
	.p2align	8
	.type	_ZN7rocprim17ROCPRIM_400000_NS6detail17trampoline_kernelINS0_14default_configENS1_27scan_by_key_config_selectorIidEEZZNS1_16scan_by_key_implILNS1_25lookback_scan_determinismE0ELb0ES3_N6thrust23THRUST_200600_302600_NS6detail15normal_iteratorINS9_10device_ptrIiEEEENSB_INSC_IdEEEESG_dNS9_4plusIvEENS9_8equal_toIvEEdEE10hipError_tPvRmT2_T3_T4_T5_mT6_T7_P12ihipStream_tbENKUlT_T0_E_clISt17integral_constantIbLb0EES10_IbLb1EEEEDaSW_SX_EUlSW_E_NS1_11comp_targetILNS1_3genE10ELNS1_11target_archE1201ELNS1_3gpuE5ELNS1_3repE0EEENS1_30default_config_static_selectorELNS0_4arch9wavefront6targetE1EEEvT1_,@function
_ZN7rocprim17ROCPRIM_400000_NS6detail17trampoline_kernelINS0_14default_configENS1_27scan_by_key_config_selectorIidEEZZNS1_16scan_by_key_implILNS1_25lookback_scan_determinismE0ELb0ES3_N6thrust23THRUST_200600_302600_NS6detail15normal_iteratorINS9_10device_ptrIiEEEENSB_INSC_IdEEEESG_dNS9_4plusIvEENS9_8equal_toIvEEdEE10hipError_tPvRmT2_T3_T4_T5_mT6_T7_P12ihipStream_tbENKUlT_T0_E_clISt17integral_constantIbLb0EES10_IbLb1EEEEDaSW_SX_EUlSW_E_NS1_11comp_targetILNS1_3genE10ELNS1_11target_archE1201ELNS1_3gpuE5ELNS1_3repE0EEENS1_30default_config_static_selectorELNS0_4arch9wavefront6targetE1EEEvT1_: ; @_ZN7rocprim17ROCPRIM_400000_NS6detail17trampoline_kernelINS0_14default_configENS1_27scan_by_key_config_selectorIidEEZZNS1_16scan_by_key_implILNS1_25lookback_scan_determinismE0ELb0ES3_N6thrust23THRUST_200600_302600_NS6detail15normal_iteratorINS9_10device_ptrIiEEEENSB_INSC_IdEEEESG_dNS9_4plusIvEENS9_8equal_toIvEEdEE10hipError_tPvRmT2_T3_T4_T5_mT6_T7_P12ihipStream_tbENKUlT_T0_E_clISt17integral_constantIbLb0EES10_IbLb1EEEEDaSW_SX_EUlSW_E_NS1_11comp_targetILNS1_3genE10ELNS1_11target_archE1201ELNS1_3gpuE5ELNS1_3repE0EEENS1_30default_config_static_selectorELNS0_4arch9wavefront6targetE1EEEvT1_
; %bb.0:
	.section	.rodata,"a",@progbits
	.p2align	6, 0x0
	.amdhsa_kernel _ZN7rocprim17ROCPRIM_400000_NS6detail17trampoline_kernelINS0_14default_configENS1_27scan_by_key_config_selectorIidEEZZNS1_16scan_by_key_implILNS1_25lookback_scan_determinismE0ELb0ES3_N6thrust23THRUST_200600_302600_NS6detail15normal_iteratorINS9_10device_ptrIiEEEENSB_INSC_IdEEEESG_dNS9_4plusIvEENS9_8equal_toIvEEdEE10hipError_tPvRmT2_T3_T4_T5_mT6_T7_P12ihipStream_tbENKUlT_T0_E_clISt17integral_constantIbLb0EES10_IbLb1EEEEDaSW_SX_EUlSW_E_NS1_11comp_targetILNS1_3genE10ELNS1_11target_archE1201ELNS1_3gpuE5ELNS1_3repE0EEENS1_30default_config_static_selectorELNS0_4arch9wavefront6targetE1EEEvT1_
		.amdhsa_group_segment_fixed_size 0
		.amdhsa_private_segment_fixed_size 0
		.amdhsa_kernarg_size 136
		.amdhsa_user_sgpr_count 2
		.amdhsa_user_sgpr_dispatch_ptr 0
		.amdhsa_user_sgpr_queue_ptr 0
		.amdhsa_user_sgpr_kernarg_segment_ptr 1
		.amdhsa_user_sgpr_dispatch_id 0
		.amdhsa_user_sgpr_kernarg_preload_length 0
		.amdhsa_user_sgpr_kernarg_preload_offset 0
		.amdhsa_user_sgpr_private_segment_size 0
		.amdhsa_uses_dynamic_stack 0
		.amdhsa_enable_private_segment 0
		.amdhsa_system_sgpr_workgroup_id_x 1
		.amdhsa_system_sgpr_workgroup_id_y 0
		.amdhsa_system_sgpr_workgroup_id_z 0
		.amdhsa_system_sgpr_workgroup_info 0
		.amdhsa_system_vgpr_workitem_id 0
		.amdhsa_next_free_vgpr 1
		.amdhsa_next_free_sgpr 0
		.amdhsa_accum_offset 4
		.amdhsa_reserve_vcc 0
		.amdhsa_float_round_mode_32 0
		.amdhsa_float_round_mode_16_64 0
		.amdhsa_float_denorm_mode_32 3
		.amdhsa_float_denorm_mode_16_64 3
		.amdhsa_dx10_clamp 1
		.amdhsa_ieee_mode 1
		.amdhsa_fp16_overflow 0
		.amdhsa_tg_split 0
		.amdhsa_exception_fp_ieee_invalid_op 0
		.amdhsa_exception_fp_denorm_src 0
		.amdhsa_exception_fp_ieee_div_zero 0
		.amdhsa_exception_fp_ieee_overflow 0
		.amdhsa_exception_fp_ieee_underflow 0
		.amdhsa_exception_fp_ieee_inexact 0
		.amdhsa_exception_int_div_zero 0
	.end_amdhsa_kernel
	.section	.text._ZN7rocprim17ROCPRIM_400000_NS6detail17trampoline_kernelINS0_14default_configENS1_27scan_by_key_config_selectorIidEEZZNS1_16scan_by_key_implILNS1_25lookback_scan_determinismE0ELb0ES3_N6thrust23THRUST_200600_302600_NS6detail15normal_iteratorINS9_10device_ptrIiEEEENSB_INSC_IdEEEESG_dNS9_4plusIvEENS9_8equal_toIvEEdEE10hipError_tPvRmT2_T3_T4_T5_mT6_T7_P12ihipStream_tbENKUlT_T0_E_clISt17integral_constantIbLb0EES10_IbLb1EEEEDaSW_SX_EUlSW_E_NS1_11comp_targetILNS1_3genE10ELNS1_11target_archE1201ELNS1_3gpuE5ELNS1_3repE0EEENS1_30default_config_static_selectorELNS0_4arch9wavefront6targetE1EEEvT1_,"axG",@progbits,_ZN7rocprim17ROCPRIM_400000_NS6detail17trampoline_kernelINS0_14default_configENS1_27scan_by_key_config_selectorIidEEZZNS1_16scan_by_key_implILNS1_25lookback_scan_determinismE0ELb0ES3_N6thrust23THRUST_200600_302600_NS6detail15normal_iteratorINS9_10device_ptrIiEEEENSB_INSC_IdEEEESG_dNS9_4plusIvEENS9_8equal_toIvEEdEE10hipError_tPvRmT2_T3_T4_T5_mT6_T7_P12ihipStream_tbENKUlT_T0_E_clISt17integral_constantIbLb0EES10_IbLb1EEEEDaSW_SX_EUlSW_E_NS1_11comp_targetILNS1_3genE10ELNS1_11target_archE1201ELNS1_3gpuE5ELNS1_3repE0EEENS1_30default_config_static_selectorELNS0_4arch9wavefront6targetE1EEEvT1_,comdat
.Lfunc_end1119:
	.size	_ZN7rocprim17ROCPRIM_400000_NS6detail17trampoline_kernelINS0_14default_configENS1_27scan_by_key_config_selectorIidEEZZNS1_16scan_by_key_implILNS1_25lookback_scan_determinismE0ELb0ES3_N6thrust23THRUST_200600_302600_NS6detail15normal_iteratorINS9_10device_ptrIiEEEENSB_INSC_IdEEEESG_dNS9_4plusIvEENS9_8equal_toIvEEdEE10hipError_tPvRmT2_T3_T4_T5_mT6_T7_P12ihipStream_tbENKUlT_T0_E_clISt17integral_constantIbLb0EES10_IbLb1EEEEDaSW_SX_EUlSW_E_NS1_11comp_targetILNS1_3genE10ELNS1_11target_archE1201ELNS1_3gpuE5ELNS1_3repE0EEENS1_30default_config_static_selectorELNS0_4arch9wavefront6targetE1EEEvT1_, .Lfunc_end1119-_ZN7rocprim17ROCPRIM_400000_NS6detail17trampoline_kernelINS0_14default_configENS1_27scan_by_key_config_selectorIidEEZZNS1_16scan_by_key_implILNS1_25lookback_scan_determinismE0ELb0ES3_N6thrust23THRUST_200600_302600_NS6detail15normal_iteratorINS9_10device_ptrIiEEEENSB_INSC_IdEEEESG_dNS9_4plusIvEENS9_8equal_toIvEEdEE10hipError_tPvRmT2_T3_T4_T5_mT6_T7_P12ihipStream_tbENKUlT_T0_E_clISt17integral_constantIbLb0EES10_IbLb1EEEEDaSW_SX_EUlSW_E_NS1_11comp_targetILNS1_3genE10ELNS1_11target_archE1201ELNS1_3gpuE5ELNS1_3repE0EEENS1_30default_config_static_selectorELNS0_4arch9wavefront6targetE1EEEvT1_
                                        ; -- End function
	.section	.AMDGPU.csdata,"",@progbits
; Kernel info:
; codeLenInByte = 0
; NumSgprs: 6
; NumVgprs: 0
; NumAgprs: 0
; TotalNumVgprs: 0
; ScratchSize: 0
; MemoryBound: 0
; FloatMode: 240
; IeeeMode: 1
; LDSByteSize: 0 bytes/workgroup (compile time only)
; SGPRBlocks: 0
; VGPRBlocks: 0
; NumSGPRsForWavesPerEU: 6
; NumVGPRsForWavesPerEU: 1
; AccumOffset: 4
; Occupancy: 8
; WaveLimiterHint : 0
; COMPUTE_PGM_RSRC2:SCRATCH_EN: 0
; COMPUTE_PGM_RSRC2:USER_SGPR: 2
; COMPUTE_PGM_RSRC2:TRAP_HANDLER: 0
; COMPUTE_PGM_RSRC2:TGID_X_EN: 1
; COMPUTE_PGM_RSRC2:TGID_Y_EN: 0
; COMPUTE_PGM_RSRC2:TGID_Z_EN: 0
; COMPUTE_PGM_RSRC2:TIDIG_COMP_CNT: 0
; COMPUTE_PGM_RSRC3_GFX90A:ACCUM_OFFSET: 0
; COMPUTE_PGM_RSRC3_GFX90A:TG_SPLIT: 0
	.section	.text._ZN7rocprim17ROCPRIM_400000_NS6detail17trampoline_kernelINS0_14default_configENS1_27scan_by_key_config_selectorIidEEZZNS1_16scan_by_key_implILNS1_25lookback_scan_determinismE0ELb0ES3_N6thrust23THRUST_200600_302600_NS6detail15normal_iteratorINS9_10device_ptrIiEEEENSB_INSC_IdEEEESG_dNS9_4plusIvEENS9_8equal_toIvEEdEE10hipError_tPvRmT2_T3_T4_T5_mT6_T7_P12ihipStream_tbENKUlT_T0_E_clISt17integral_constantIbLb0EES10_IbLb1EEEEDaSW_SX_EUlSW_E_NS1_11comp_targetILNS1_3genE5ELNS1_11target_archE942ELNS1_3gpuE9ELNS1_3repE0EEENS1_30default_config_static_selectorELNS0_4arch9wavefront6targetE1EEEvT1_,"axG",@progbits,_ZN7rocprim17ROCPRIM_400000_NS6detail17trampoline_kernelINS0_14default_configENS1_27scan_by_key_config_selectorIidEEZZNS1_16scan_by_key_implILNS1_25lookback_scan_determinismE0ELb0ES3_N6thrust23THRUST_200600_302600_NS6detail15normal_iteratorINS9_10device_ptrIiEEEENSB_INSC_IdEEEESG_dNS9_4plusIvEENS9_8equal_toIvEEdEE10hipError_tPvRmT2_T3_T4_T5_mT6_T7_P12ihipStream_tbENKUlT_T0_E_clISt17integral_constantIbLb0EES10_IbLb1EEEEDaSW_SX_EUlSW_E_NS1_11comp_targetILNS1_3genE5ELNS1_11target_archE942ELNS1_3gpuE9ELNS1_3repE0EEENS1_30default_config_static_selectorELNS0_4arch9wavefront6targetE1EEEvT1_,comdat
	.protected	_ZN7rocprim17ROCPRIM_400000_NS6detail17trampoline_kernelINS0_14default_configENS1_27scan_by_key_config_selectorIidEEZZNS1_16scan_by_key_implILNS1_25lookback_scan_determinismE0ELb0ES3_N6thrust23THRUST_200600_302600_NS6detail15normal_iteratorINS9_10device_ptrIiEEEENSB_INSC_IdEEEESG_dNS9_4plusIvEENS9_8equal_toIvEEdEE10hipError_tPvRmT2_T3_T4_T5_mT6_T7_P12ihipStream_tbENKUlT_T0_E_clISt17integral_constantIbLb0EES10_IbLb1EEEEDaSW_SX_EUlSW_E_NS1_11comp_targetILNS1_3genE5ELNS1_11target_archE942ELNS1_3gpuE9ELNS1_3repE0EEENS1_30default_config_static_selectorELNS0_4arch9wavefront6targetE1EEEvT1_ ; -- Begin function _ZN7rocprim17ROCPRIM_400000_NS6detail17trampoline_kernelINS0_14default_configENS1_27scan_by_key_config_selectorIidEEZZNS1_16scan_by_key_implILNS1_25lookback_scan_determinismE0ELb0ES3_N6thrust23THRUST_200600_302600_NS6detail15normal_iteratorINS9_10device_ptrIiEEEENSB_INSC_IdEEEESG_dNS9_4plusIvEENS9_8equal_toIvEEdEE10hipError_tPvRmT2_T3_T4_T5_mT6_T7_P12ihipStream_tbENKUlT_T0_E_clISt17integral_constantIbLb0EES10_IbLb1EEEEDaSW_SX_EUlSW_E_NS1_11comp_targetILNS1_3genE5ELNS1_11target_archE942ELNS1_3gpuE9ELNS1_3repE0EEENS1_30default_config_static_selectorELNS0_4arch9wavefront6targetE1EEEvT1_
	.globl	_ZN7rocprim17ROCPRIM_400000_NS6detail17trampoline_kernelINS0_14default_configENS1_27scan_by_key_config_selectorIidEEZZNS1_16scan_by_key_implILNS1_25lookback_scan_determinismE0ELb0ES3_N6thrust23THRUST_200600_302600_NS6detail15normal_iteratorINS9_10device_ptrIiEEEENSB_INSC_IdEEEESG_dNS9_4plusIvEENS9_8equal_toIvEEdEE10hipError_tPvRmT2_T3_T4_T5_mT6_T7_P12ihipStream_tbENKUlT_T0_E_clISt17integral_constantIbLb0EES10_IbLb1EEEEDaSW_SX_EUlSW_E_NS1_11comp_targetILNS1_3genE5ELNS1_11target_archE942ELNS1_3gpuE9ELNS1_3repE0EEENS1_30default_config_static_selectorELNS0_4arch9wavefront6targetE1EEEvT1_
	.p2align	8
	.type	_ZN7rocprim17ROCPRIM_400000_NS6detail17trampoline_kernelINS0_14default_configENS1_27scan_by_key_config_selectorIidEEZZNS1_16scan_by_key_implILNS1_25lookback_scan_determinismE0ELb0ES3_N6thrust23THRUST_200600_302600_NS6detail15normal_iteratorINS9_10device_ptrIiEEEENSB_INSC_IdEEEESG_dNS9_4plusIvEENS9_8equal_toIvEEdEE10hipError_tPvRmT2_T3_T4_T5_mT6_T7_P12ihipStream_tbENKUlT_T0_E_clISt17integral_constantIbLb0EES10_IbLb1EEEEDaSW_SX_EUlSW_E_NS1_11comp_targetILNS1_3genE5ELNS1_11target_archE942ELNS1_3gpuE9ELNS1_3repE0EEENS1_30default_config_static_selectorELNS0_4arch9wavefront6targetE1EEEvT1_,@function
_ZN7rocprim17ROCPRIM_400000_NS6detail17trampoline_kernelINS0_14default_configENS1_27scan_by_key_config_selectorIidEEZZNS1_16scan_by_key_implILNS1_25lookback_scan_determinismE0ELb0ES3_N6thrust23THRUST_200600_302600_NS6detail15normal_iteratorINS9_10device_ptrIiEEEENSB_INSC_IdEEEESG_dNS9_4plusIvEENS9_8equal_toIvEEdEE10hipError_tPvRmT2_T3_T4_T5_mT6_T7_P12ihipStream_tbENKUlT_T0_E_clISt17integral_constantIbLb0EES10_IbLb1EEEEDaSW_SX_EUlSW_E_NS1_11comp_targetILNS1_3genE5ELNS1_11target_archE942ELNS1_3gpuE9ELNS1_3repE0EEENS1_30default_config_static_selectorELNS0_4arch9wavefront6targetE1EEEvT1_: ; @_ZN7rocprim17ROCPRIM_400000_NS6detail17trampoline_kernelINS0_14default_configENS1_27scan_by_key_config_selectorIidEEZZNS1_16scan_by_key_implILNS1_25lookback_scan_determinismE0ELb0ES3_N6thrust23THRUST_200600_302600_NS6detail15normal_iteratorINS9_10device_ptrIiEEEENSB_INSC_IdEEEESG_dNS9_4plusIvEENS9_8equal_toIvEEdEE10hipError_tPvRmT2_T3_T4_T5_mT6_T7_P12ihipStream_tbENKUlT_T0_E_clISt17integral_constantIbLb0EES10_IbLb1EEEEDaSW_SX_EUlSW_E_NS1_11comp_targetILNS1_3genE5ELNS1_11target_archE942ELNS1_3gpuE9ELNS1_3repE0EEENS1_30default_config_static_selectorELNS0_4arch9wavefront6targetE1EEEvT1_
; %bb.0:
	s_load_dwordx8 s[92:99], s[0:1], 0x30
	s_load_dwordx2 s[14:15], s[0:1], 0x50
	v_cmp_ne_u32_e64 s[86:87], 0, v0
	v_cmp_eq_u32_e64 s[70:71], 0, v0
	s_and_saveexec_b64 s[2:3], s[70:71]
	s_cbranch_execz .LBB1120_4
; %bb.1:
	s_mov_b64 s[8:9], exec
	v_mbcnt_lo_u32_b32 v1, s8, 0
	v_mbcnt_hi_u32_b32 v1, s9, v1
	v_cmp_eq_u32_e32 vcc, 0, v1
                                        ; implicit-def: $vgpr2
	s_and_saveexec_b64 s[6:7], vcc
	s_cbranch_execz .LBB1120_3
; %bb.2:
	s_load_dwordx2 s[10:11], s[0:1], 0x80
	s_bcnt1_i32_b64 s8, s[8:9]
	v_mov_b32_e32 v2, 0
	v_mov_b32_e32 v3, s8
	s_waitcnt lgkmcnt(0)
	global_atomic_add v2, v2, v3, s[10:11] sc0
.LBB1120_3:
	s_or_b64 exec, exec, s[6:7]
	s_waitcnt vmcnt(0)
	v_readfirstlane_b32 s6, v2
	v_mov_b32_e32 v2, 0
	s_nop 0
	v_add_u32_e32 v1, s6, v1
	ds_write_b32 v2, v1
.LBB1120_4:
	s_or_b64 exec, exec, s[2:3]
	s_load_dwordx8 s[16:23], s[0:1], 0x0
	s_load_dword s2, s[0:1], 0x58
	s_load_dwordx8 s[60:67], s[0:1], 0x60
                                        ; implicit-def: $vgpr133 : SGPR spill to VGPR lane
	v_mov_b32_e32 v1, 0
	s_waitcnt lgkmcnt(0)
	s_lshl_b64 s[0:1], s[18:19], 2
	s_add_u32 s8, s16, s0
	s_mov_b64 s[6:7], s[22:23]
	s_addc_u32 s9, s17, s1
	v_writelane_b32 v133, s0, 0
	s_barrier
	s_nop 0
	v_writelane_b32 v133, s1, 1
	v_writelane_b32 v133, s2, 2
	;; [unrolled: 1-line block ×3, first 2 shown]
	ds_read_b32 v1, v1
	v_writelane_b32 v133, s4, 4
	v_writelane_b32 v133, s5, 5
	s_lshl_b64 s[88:89], s[18:19], 3
	v_writelane_b32 v133, s6, 6
	s_add_u32 s10, s20, s88
	v_writelane_b32 v133, s7, 7
	s_mul_i32 s0, s15, s2
	s_mul_hi_u32 s1, s14, s2
	s_addc_u32 s11, s21, s89
	s_add_i32 s12, s1, s0
	s_waitcnt lgkmcnt(0)
	v_readfirstlane_b32 s99, v1
	s_cmp_lg_u64 s[64:65], 0
	s_mov_b32 s1, 0
	s_mul_i32 s0, s99, 0x1500
	v_writelane_b32 v133, s14, 8
	s_mul_i32 s13, s14, s2
	s_cselect_b64 s[54:55], -1, 0
	s_lshl_b64 s[2:3], s[0:1], 2
	s_add_u32 s52, s8, s2
	s_addc_u32 s53, s9, s3
	s_lshl_b64 s[2:3], s[0:1], 3
	s_add_u32 s50, s10, s2
	s_addc_u32 s51, s11, s3
	s_add_u32 s56, s13, s99
	s_addc_u32 s57, s12, 0
	s_add_u32 s0, s60, -1
	s_addc_u32 s1, s61, -1
	v_mov_b64_e32 v[2:3], s[0:1]
	v_cmp_ge_u64_e64 s[60:61], s[56:57], v[2:3]
	s_mov_b64 s[6:7], 0
	s_mov_b64 s[10:11], -1
	s_and_b64 vcc, exec, s[60:61]
	s_mul_i32 s33, s0, 0xffffeb00
	v_writelane_b32 v133, s15, 9
	s_barrier
	s_barrier
	s_cbranch_vccz .LBB1120_116
; %bb.5:
	v_mov_b64_e32 v[2:3], s[52:53]
	flat_load_dword v2, v[2:3]
	s_add_i32 s65, s33, s98
	v_cmp_gt_u32_e64 s[6:7], s65, v0
	s_waitcnt vmcnt(0) lgkmcnt(0)
	v_mov_b32_e32 v4, v2
	s_and_saveexec_b64 s[0:1], s[6:7]
	s_cbranch_execz .LBB1120_7
; %bb.6:
	v_lshlrev_b32_e32 v4, 2, v0
	v_mov_b32_e32 v5, 0
	v_lshl_add_u64 v[4:5], s[52:53], 0, v[4:5]
	flat_load_dword v4, v[4:5]
.LBB1120_7:
	s_or_b64 exec, exec, s[0:1]
	v_or_b32_e32 v1, 0x100, v0
	v_cmp_gt_u32_e64 s[8:9], s65, v1
	v_mov_b32_e32 v5, v2
	s_and_saveexec_b64 s[0:1], s[8:9]
	s_cbranch_execz .LBB1120_9
; %bb.8:
	v_lshlrev_b32_e32 v6, 2, v0
	v_mov_b32_e32 v7, 0
	v_lshl_add_u64 v[6:7], s[52:53], 0, v[6:7]
	flat_load_dword v5, v[6:7] offset:1024
.LBB1120_9:
	s_or_b64 exec, exec, s[0:1]
	v_or_b32_e32 v1, 0x200, v0
	v_cmp_gt_u32_e64 s[10:11], s65, v1
	v_mov_b32_e32 v6, v2
	s_and_saveexec_b64 s[0:1], s[10:11]
	s_cbranch_execz .LBB1120_11
; %bb.10:
	v_lshlrev_b32_e32 v6, 2, v0
	v_mov_b32_e32 v7, 0
	v_lshl_add_u64 v[6:7], s[52:53], 0, v[6:7]
	flat_load_dword v6, v[6:7] offset:2048
.LBB1120_11:
	;; [unrolled: 12-line block ×3, first 2 shown]
	s_or_b64 exec, exec, s[0:1]
	v_or_b32_e32 v20, 0x400, v0
	v_cmp_gt_u32_e64 s[14:15], s65, v20
	v_mov_b32_e32 v8, v2
	s_and_saveexec_b64 s[0:1], s[14:15]
	s_cbranch_execz .LBB1120_15
; %bb.14:
	v_lshlrev_b32_e32 v8, 2, v20
	v_mov_b32_e32 v9, 0
	v_lshl_add_u64 v[8:9], s[52:53], 0, v[8:9]
	flat_load_dword v8, v[8:9]
.LBB1120_15:
	s_or_b64 exec, exec, s[0:1]
	v_or_b32_e32 v22, 0x500, v0
	v_cmp_gt_u32_e64 s[16:17], s65, v22
	v_mov_b32_e32 v9, v2
	s_and_saveexec_b64 s[0:1], s[16:17]
	s_cbranch_execz .LBB1120_17
; %bb.16:
	v_lshlrev_b32_e32 v10, 2, v22
	v_mov_b32_e32 v11, 0
	v_lshl_add_u64 v[10:11], s[52:53], 0, v[10:11]
	flat_load_dword v9, v[10:11]
.LBB1120_17:
	;; [unrolled: 12-line block ×16, first 2 shown]
	s_or_b64 exec, exec, s[0:1]
	v_or_b32_e32 v65, 0x1400, v0
	v_cmp_gt_u32_e64 s[48:49], s65, v65
	v_mov_b32_e32 v3, 0
	s_and_saveexec_b64 s[0:1], s[48:49]
	s_cbranch_execz .LBB1120_47
; %bb.46:
	v_lshlrev_b32_e32 v2, 2, v65
	v_lshl_add_u64 v[2:3], s[52:53], 0, v[2:3]
	flat_load_dword v2, v[2:3]
.LBB1120_47:
	s_or_b64 exec, exec, s[0:1]
	v_lshlrev_b32_e32 v3, 2, v0
	s_movk_i32 s0, 0x50
	s_waitcnt vmcnt(0) lgkmcnt(0)
	ds_write2st64_b32 v3, v4, v5 offset1:4
	ds_write2st64_b32 v3, v6, v7 offset0:8 offset1:12
	ds_write2st64_b32 v3, v8, v9 offset0:16 offset1:20
	;; [unrolled: 1-line block ×9, first 2 shown]
	ds_write_b32 v3, v2 offset:20480
	v_mad_u32_u24 v2, v0, s0, v3
	s_waitcnt lgkmcnt(0)
	s_barrier
	ds_read2_b32 v[40:41], v2 offset0:7 offset1:8
	ds_read2_b32 v[44:45], v2 offset0:5 offset1:6
	;; [unrolled: 1-line block ×3, first 2 shown]
	ds_read2_b32 v[36:37], v2 offset1:1
	ds_read2_b32 v[32:33], v2 offset0:4 offset1:9
	ds_read2_b32 v[8:9], v2 offset0:15 offset1:16
	ds_read_b32 v64, v2 offset:56
	ds_read2_b32 v[16:17], v2 offset0:12 offset1:13
	ds_read2_b32 v[24:25], v2 offset0:10 offset1:11
	;; [unrolled: 1-line block ×4, first 2 shown]
	s_cmp_eq_u64 s[56:57], 0
	s_mov_b64 s[0:1], s[52:53]
	s_cbranch_scc1 .LBB1120_51
; %bb.48:
	s_andn2_b64 vcc, exec, s[54:55]
	s_cbranch_vccnz .LBB1120_291
; %bb.49:
	s_lshl_b64 s[0:1], s[56:57], 2
	s_add_u32 s0, s66, s0
	s_addc_u32 s1, s67, s1
	s_add_u32 s0, s0, -4
	s_addc_u32 s1, s1, -1
	s_cbranch_execnz .LBB1120_51
.LBB1120_50:
	s_add_u32 s0, s52, -4
	s_addc_u32 s1, s53, -1
.LBB1120_51:
	v_mov_b64_e32 v[6:7], s[0:1]
	flat_load_dword v68, v[6:7]
	s_movk_i32 s0, 0xffb0
	v_mad_i32_i24 v66, v0, s0, v2
	s_waitcnt lgkmcnt(0)
	ds_write_b32 v66, v5 offset:21504
	s_waitcnt lgkmcnt(0)
	s_barrier
	s_and_saveexec_b64 s[0:1], s[86:87]
	s_cbranch_execz .LBB1120_53
; %bb.52:
	s_waitcnt vmcnt(0)
	ds_read_b32 v68, v66 offset:21500
.LBB1120_53:
	s_or_b64 exec, exec, s[0:1]
	v_mov_b32_e32 v7, 0
	s_waitcnt lgkmcnt(0)
	s_barrier
	s_waitcnt lgkmcnt(0)
                                        ; implicit-def: $vgpr2_vgpr3
	s_and_saveexec_b64 s[0:1], s[6:7]
	s_cbranch_execnz .LBB1120_271
; %bb.54:
	s_or_b64 exec, exec, s[0:1]
                                        ; implicit-def: $vgpr6_vgpr7
	s_and_saveexec_b64 s[0:1], s[8:9]
	s_cbranch_execnz .LBB1120_272
.LBB1120_55:
	s_or_b64 exec, exec, s[0:1]
                                        ; implicit-def: $vgpr10_vgpr11
	s_and_saveexec_b64 s[0:1], s[10:11]
	s_cbranch_execnz .LBB1120_273
.LBB1120_56:
	s_or_b64 exec, exec, s[0:1]
                                        ; implicit-def: $vgpr14_vgpr15
	s_and_saveexec_b64 s[0:1], s[12:13]
	s_cbranch_execnz .LBB1120_274
.LBB1120_57:
	s_or_b64 exec, exec, s[0:1]
                                        ; implicit-def: $vgpr18_vgpr19
	s_and_saveexec_b64 s[0:1], s[14:15]
	s_cbranch_execnz .LBB1120_275
.LBB1120_58:
	s_or_b64 exec, exec, s[0:1]
                                        ; implicit-def: $vgpr20_vgpr21
	s_and_saveexec_b64 s[0:1], s[16:17]
	s_cbranch_execnz .LBB1120_276
.LBB1120_59:
	s_or_b64 exec, exec, s[0:1]
                                        ; implicit-def: $vgpr22_vgpr23
	s_and_saveexec_b64 s[0:1], s[18:19]
	s_cbranch_execnz .LBB1120_277
.LBB1120_60:
	s_or_b64 exec, exec, s[0:1]
                                        ; implicit-def: $vgpr26_vgpr27
	s_and_saveexec_b64 s[0:1], s[20:21]
	s_cbranch_execnz .LBB1120_278
.LBB1120_61:
	s_or_b64 exec, exec, s[0:1]
                                        ; implicit-def: $vgpr30_vgpr31
	s_and_saveexec_b64 s[0:1], s[22:23]
	s_cbranch_execnz .LBB1120_279
.LBB1120_62:
	s_or_b64 exec, exec, s[0:1]
                                        ; implicit-def: $vgpr34_vgpr35
	s_and_saveexec_b64 s[0:1], s[24:25]
	s_cbranch_execnz .LBB1120_280
.LBB1120_63:
	s_or_b64 exec, exec, s[0:1]
                                        ; implicit-def: $vgpr38_vgpr39
	s_and_saveexec_b64 s[0:1], s[26:27]
	s_cbranch_execnz .LBB1120_281
.LBB1120_64:
	s_or_b64 exec, exec, s[0:1]
                                        ; implicit-def: $vgpr42_vgpr43
	s_and_saveexec_b64 s[0:1], s[28:29]
	s_cbranch_execnz .LBB1120_282
.LBB1120_65:
	s_or_b64 exec, exec, s[0:1]
                                        ; implicit-def: $vgpr46_vgpr47
	s_and_saveexec_b64 s[0:1], s[30:31]
	s_cbranch_execnz .LBB1120_283
.LBB1120_66:
	s_or_b64 exec, exec, s[0:1]
                                        ; implicit-def: $vgpr48_vgpr49
	s_and_saveexec_b64 s[0:1], s[34:35]
	s_cbranch_execnz .LBB1120_284
.LBB1120_67:
	s_or_b64 exec, exec, s[0:1]
                                        ; implicit-def: $vgpr50_vgpr51
	s_and_saveexec_b64 s[0:1], s[36:37]
	s_cbranch_execnz .LBB1120_285
.LBB1120_68:
	s_or_b64 exec, exec, s[0:1]
                                        ; implicit-def: $vgpr52_vgpr53
	s_and_saveexec_b64 s[0:1], s[38:39]
	s_cbranch_execnz .LBB1120_286
.LBB1120_69:
	s_or_b64 exec, exec, s[0:1]
                                        ; implicit-def: $vgpr54_vgpr55
	s_and_saveexec_b64 s[0:1], s[40:41]
	s_cbranch_execnz .LBB1120_287
.LBB1120_70:
	s_or_b64 exec, exec, s[0:1]
                                        ; implicit-def: $vgpr56_vgpr57
	s_and_saveexec_b64 s[0:1], s[42:43]
	s_cbranch_execnz .LBB1120_288
.LBB1120_71:
	s_or_b64 exec, exec, s[0:1]
                                        ; implicit-def: $vgpr58_vgpr59
	s_and_saveexec_b64 s[0:1], s[44:45]
	s_cbranch_execnz .LBB1120_289
.LBB1120_72:
	s_or_b64 exec, exec, s[0:1]
                                        ; implicit-def: $vgpr60_vgpr61
	s_and_saveexec_b64 s[0:1], s[46:47]
	s_cbranch_execnz .LBB1120_290
.LBB1120_73:
	s_or_b64 exec, exec, s[0:1]
                                        ; implicit-def: $vgpr62_vgpr63
	s_and_saveexec_b64 s[0:1], s[48:49]
	s_cbranch_execz .LBB1120_75
.LBB1120_74:
	v_lshlrev_b32_e32 v62, 3, v65
	v_mov_b32_e32 v63, 0
	v_lshl_add_u64 v[62:63], s[50:51], 0, v[62:63]
	flat_load_dwordx2 v[62:63], v[62:63]
.LBB1120_75:
	s_or_b64 exec, exec, s[0:1]
	v_lshl_add_u32 v69, v0, 2, v66
	v_mul_u32_u24_e32 v65, 21, v0
	s_waitcnt vmcnt(0) lgkmcnt(0)
	ds_write2st64_b64 v69, v[2:3], v[6:7] offset1:4
	ds_write2st64_b64 v69, v[10:11], v[14:15] offset0:8 offset1:12
	ds_write2st64_b64 v69, v[18:19], v[20:21] offset0:16 offset1:20
	;; [unrolled: 1-line block ×9, first 2 shown]
	ds_write_b64 v69, v[62:63] offset:40960
	v_mov_b64_e32 v[10:11], 0
	v_cmp_gt_u32_e32 vcc, s65, v65
	s_mov_b64 s[6:7], 0
	s_mov_b64 s[10:11], 0
	s_mov_b32 s64, 0
	v_mov_b32_e32 v128, 0
	v_mov_b32_e32 v122, 0
	;; [unrolled: 1-line block ×5, first 2 shown]
	v_mov_b64_e32 v[70:71], v[10:11]
	v_mov_b64_e32 v[78:79], v[10:11]
	;; [unrolled: 1-line block ×8, first 2 shown]
	v_mov_b32_e32 v124, 0
	v_mov_b64_e32 v[38:39], v[10:11]
	v_mov_b64_e32 v[50:51], v[10:11]
	;; [unrolled: 1-line block ×5, first 2 shown]
	v_mov_b32_e32 v123, 0
	v_mov_b64_e32 v[34:35], v[10:11]
	v_mov_b64_e32 v[14:15], v[10:11]
	;; [unrolled: 1-line block ×5, first 2 shown]
	v_mov_b32_e32 v1, 0
	v_mov_b64_e32 v[2:3], v[10:11]
	s_waitcnt lgkmcnt(0)
	s_barrier
	s_waitcnt lgkmcnt(0)
                                        ; implicit-def: $sgpr0_sgpr1
                                        ; implicit-def: $vgpr83
                                        ; implicit-def: $vgpr82
                                        ; implicit-def: $vgpr84
                                        ; implicit-def: $vgpr85
	s_and_saveexec_b64 s[12:13], vcc
	s_cbranch_execz .LBB1120_115
; %bb.76:
	s_movk_i32 s0, 0xa0
	v_mad_u32_u24 v2, v0, s0, v69
	ds_read_b64 v[2:3], v2
	v_cmp_ne_u32_e32 vcc, v68, v36
	v_add_u32_e32 v6, 1, v65
	v_mov_b64_e32 v[10:11], 0
	v_cndmask_b32_e64 v1, 0, 1, vcc
	v_cmp_gt_u32_e32 vcc, s65, v6
	s_mov_b64 s[18:19], 0
	v_mov_b32_e32 v128, 0
	v_mov_b32_e32 v122, 0
	v_mov_b32_e32 v127, 0
	v_mov_b32_e32 v126, 0
	v_mov_b32_e32 v125, 0
	v_mov_b64_e32 v[70:71], v[10:11]
	v_mov_b64_e32 v[78:79], v[10:11]
	;; [unrolled: 1-line block ×8, first 2 shown]
	v_mov_b32_e32 v124, 0
	v_mov_b64_e32 v[38:39], v[10:11]
	v_mov_b64_e32 v[50:51], v[10:11]
	;; [unrolled: 1-line block ×5, first 2 shown]
	v_mov_b32_e32 v123, 0
	v_mov_b64_e32 v[34:35], v[10:11]
	v_mov_b64_e32 v[14:15], v[10:11]
	;; [unrolled: 1-line block ×5, first 2 shown]
                                        ; implicit-def: $sgpr0_sgpr1
                                        ; implicit-def: $vgpr83
                                        ; implicit-def: $vgpr82
                                        ; implicit-def: $vgpr84
                                        ; implicit-def: $vgpr85
	s_and_saveexec_b64 s[14:15], vcc
	s_cbranch_execz .LBB1120_114
; %bb.77:
	v_mul_u32_u24_e32 v6, 0xa0, v0
	v_add_u32_e32 v48, v69, v6
	ds_read2_b64 v[18:21], v48 offset0:1 offset1:2
	v_cmp_ne_u32_e64 s[0:1], v36, v37
	v_add_u32_e32 v6, 2, v65
	v_mov_b64_e32 v[10:11], 0
	v_cmp_ne_u32_e32 vcc, v28, v29
	v_cmp_ne_u32_e64 s[6:7], v29, v32
	v_cmp_ne_u32_e64 s[8:9], v37, v28
	v_cndmask_b32_e64 v128, 0, 1, s[0:1]
	v_cmp_gt_u32_e64 s[0:1], s65, v6
	s_mov_b64 s[20:21], 0
	v_mov_b32_e32 v127, 0
	v_mov_b32_e32 v122, 0
	;; [unrolled: 1-line block ×4, first 2 shown]
	v_mov_b64_e32 v[70:71], v[10:11]
	v_mov_b64_e32 v[78:79], v[10:11]
	;; [unrolled: 1-line block ×8, first 2 shown]
	v_mov_b32_e32 v124, 0
	v_mov_b64_e32 v[38:39], v[10:11]
	v_mov_b64_e32 v[50:51], v[10:11]
	;; [unrolled: 1-line block ×5, first 2 shown]
	v_mov_b32_e32 v123, 0
	v_mov_b64_e32 v[34:35], v[10:11]
	v_mov_b64_e32 v[14:15], v[10:11]
	;; [unrolled: 1-line block ×4, first 2 shown]
                                        ; implicit-def: $sgpr22_sgpr23
                                        ; implicit-def: $vgpr83
                                        ; implicit-def: $vgpr82
                                        ; implicit-def: $vgpr84
                                        ; implicit-def: $vgpr85
	s_and_saveexec_b64 s[16:17], s[0:1]
	s_cbranch_execz .LBB1120_113
; %bb.78:
	v_cndmask_b32_e64 v6, 0, 1, s[8:9]
	v_cndmask_b32_e64 v7, 0, 1, s[6:7]
	v_lshlrev_b16_e32 v6, 8, v6
	v_lshlrev_b16_e32 v7, 8, v7
	v_cndmask_b32_e64 v10, 0, 1, vcc
	v_or_b32_e32 v6, v128, v6
	v_or_b32_sdwa v7, v10, v7 dst_sel:WORD_1 dst_unused:UNUSED_PAD src0_sel:DWORD src1_sel:DWORD
	v_add_u32_e32 v10, 3, v65
	v_or_b32_sdwa v83, v6, v7 dst_sel:DWORD dst_unused:UNUSED_PAD src0_sel:WORD_0 src1_sel:DWORD
	v_cmp_gt_u32_e32 vcc, s65, v10
	v_mov_b64_e32 v[10:11], 0
	v_and_b32_e32 v128, 0xffff, v83
	s_waitcnt lgkmcnt(0)
	v_mov_b32_e32 v6, v20
	v_mov_b32_e32 v7, v21
	s_mov_b64 s[0:1], 0
	v_mov_b32_e32 v127, 0
	v_mov_b32_e32 v122, 0
	;; [unrolled: 1-line block ×4, first 2 shown]
	v_mov_b64_e32 v[70:71], v[10:11]
	v_mov_b64_e32 v[78:79], v[10:11]
	;; [unrolled: 1-line block ×8, first 2 shown]
	v_mov_b32_e32 v124, 0
	v_mov_b64_e32 v[38:39], v[10:11]
	v_mov_b64_e32 v[50:51], v[10:11]
	;; [unrolled: 1-line block ×5, first 2 shown]
	v_mov_b32_e32 v123, 0
	v_mov_b64_e32 v[34:35], v[10:11]
	v_mov_b64_e32 v[14:15], v[10:11]
	;; [unrolled: 1-line block ×3, first 2 shown]
                                        ; implicit-def: $sgpr6_sgpr7
                                        ; implicit-def: $vgpr82
                                        ; implicit-def: $vgpr84
                                        ; implicit-def: $vgpr85
	s_and_saveexec_b64 s[18:19], vcc
	s_cbranch_execz .LBB1120_112
; %bb.79:
	ds_read2_b64 v[26:29], v48 offset0:3 offset1:4
	v_add_u32_e32 v10, 4, v65
	v_cmp_gt_u32_e32 vcc, s65, v10
	v_mov_b64_e32 v[10:11], 0
	v_and_b32_e32 v128, 0xffffff, v83
	s_mov_b64 s[6:7], 0
	v_mov_b32_e32 v127, 0
	v_mov_b32_e32 v122, 0
	;; [unrolled: 1-line block ×4, first 2 shown]
	v_mov_b64_e32 v[70:71], v[10:11]
	v_mov_b64_e32 v[78:79], v[10:11]
	;; [unrolled: 1-line block ×8, first 2 shown]
	v_mov_b32_e32 v124, 0
	v_mov_b64_e32 v[38:39], v[10:11]
	v_mov_b64_e32 v[50:51], v[10:11]
	;; [unrolled: 1-line block ×5, first 2 shown]
	v_mov_b32_e32 v123, 0
	v_mov_b64_e32 v[34:35], v[10:11]
	v_mov_b64_e32 v[14:15], v[10:11]
                                        ; implicit-def: $sgpr8_sgpr9
                                        ; implicit-def: $vgpr82
                                        ; implicit-def: $vgpr84
                                        ; implicit-def: $vgpr85
	s_and_saveexec_b64 s[20:21], vcc
	s_cbranch_execz .LBB1120_111
; %bb.80:
	v_add_u32_e32 v10, 5, v65
	v_cmp_gt_u32_e32 vcc, s65, v10
	v_mov_b64_e32 v[10:11], 0
	s_waitcnt lgkmcnt(0)
	v_mov_b32_e32 v14, v28
	v_mov_b32_e32 v15, v29
	;; [unrolled: 1-line block ×6, first 2 shown]
	v_mov_b64_e32 v[70:71], v[10:11]
	v_mov_b64_e32 v[78:79], v[10:11]
	;; [unrolled: 1-line block ×8, first 2 shown]
	v_mov_b32_e32 v124, 0
	v_mov_b64_e32 v[38:39], v[10:11]
	v_mov_b64_e32 v[50:51], v[10:11]
	;; [unrolled: 1-line block ×5, first 2 shown]
	v_mov_b32_e32 v123, 0
	v_mov_b64_e32 v[34:35], v[10:11]
                                        ; implicit-def: $sgpr8_sgpr9
                                        ; implicit-def: $vgpr82
                                        ; implicit-def: $vgpr84
                                        ; implicit-def: $vgpr85
	s_and_saveexec_b64 s[22:23], vcc
	s_cbranch_execz .LBB1120_110
; %bb.81:
	ds_read2_b64 v[34:37], v48 offset0:5 offset1:6
	v_cmp_ne_u32_e32 vcc, v32, v44
	v_add_u32_e32 v10, 6, v65
	s_mov_b64 s[28:29], 0
	v_cndmask_b32_e64 v123, 0, 1, vcc
	v_cmp_gt_u32_e32 vcc, s65, v10
	v_mov_b64_e32 v[10:11], 0
	v_mov_b32_e32 v127, 0
	v_mov_b32_e32 v122, 0
	;; [unrolled: 1-line block ×4, first 2 shown]
	v_mov_b64_e32 v[70:71], v[10:11]
	v_mov_b64_e32 v[78:79], v[10:11]
	v_mov_b64_e32 v[62:63], v[10:11]
	v_mov_b64_e32 v[74:75], v[10:11]
	v_mov_b64_e32 v[54:55], v[10:11]
	v_mov_b64_e32 v[66:67], v[10:11]
	v_mov_b64_e32 v[46:47], v[10:11]
	v_mov_b64_e32 v[58:59], v[10:11]
	v_mov_b32_e32 v124, 0
	v_mov_b64_e32 v[38:39], v[10:11]
	v_mov_b64_e32 v[50:51], v[10:11]
	v_mov_b64_e32 v[30:31], v[10:11]
	v_mov_b64_e32 v[42:43], v[10:11]
	v_mov_b64_e32 v[22:23], v[10:11]
                                        ; implicit-def: $sgpr6_sgpr7
                                        ; implicit-def: $vgpr82
                                        ; implicit-def: $vgpr84
                                        ; implicit-def: $vgpr85
	s_and_saveexec_b64 s[24:25], vcc
	s_cbranch_execz .LBB1120_109
; %bb.82:
	v_cmp_ne_u32_e64 s[0:1], v44, v45
	v_add_u32_e32 v10, 7, v65
	s_waitcnt lgkmcnt(0)
	v_mov_b32_e32 v22, v36
	v_cndmask_b32_e64 v127, 0, 1, s[0:1]
	v_cmp_gt_u32_e64 s[0:1], s65, v10
	v_mov_b64_e32 v[10:11], 0
	v_mov_b32_e32 v23, v37
	v_cmp_ne_u32_e32 vcc, v40, v41
	v_cmp_ne_u32_e64 s[6:7], v41, v33
	v_cmp_ne_u32_e64 s[8:9], v45, v40
	s_mov_b64 s[30:31], 0
	v_mov_b32_e32 v126, 0
	v_mov_b32_e32 v122, 0
	;; [unrolled: 1-line block ×3, first 2 shown]
	v_mov_b64_e32 v[70:71], v[10:11]
	v_mov_b64_e32 v[78:79], v[10:11]
	;; [unrolled: 1-line block ×8, first 2 shown]
	v_mov_b32_e32 v124, 0
	v_mov_b64_e32 v[38:39], v[10:11]
	v_mov_b64_e32 v[50:51], v[10:11]
	;; [unrolled: 1-line block ×4, first 2 shown]
                                        ; implicit-def: $sgpr34_sgpr35
                                        ; implicit-def: $vgpr82
                                        ; implicit-def: $vgpr84
                                        ; implicit-def: $vgpr85
	s_and_saveexec_b64 s[26:27], s[0:1]
	s_cbranch_execz .LBB1120_108
; %bb.83:
	v_cndmask_b32_e64 v10, 0, 1, s[8:9]
	v_cndmask_b32_e64 v11, 0, 1, s[6:7]
	v_lshlrev_b16_e32 v10, 8, v10
	v_lshlrev_b16_e32 v11, 8, v11
	v_cndmask_b32_e64 v20, 0, 1, vcc
	ds_read2_b64 v[42:45], v48 offset0:7 offset1:8
	v_or_b32_e32 v10, v127, v10
	v_or_b32_sdwa v11, v20, v11 dst_sel:WORD_1 dst_unused:UNUSED_PAD src0_sel:DWORD src1_sel:DWORD
	s_mov_b64 s[0:1], 0
	v_or_b32_sdwa v82, v10, v11 dst_sel:DWORD dst_unused:UNUSED_PAD src0_sel:WORD_0 src1_sel:DWORD
	v_add_u32_e32 v10, 8, v65
	v_cmp_gt_u32_e32 vcc, s65, v10
	v_mov_b64_e32 v[10:11], 0
	v_and_b32_e32 v127, 0xffff, v82
	v_mov_b32_e32 v126, 0
	v_mov_b32_e32 v122, 0
	;; [unrolled: 1-line block ×3, first 2 shown]
	v_mov_b64_e32 v[70:71], v[10:11]
	v_mov_b64_e32 v[78:79], v[10:11]
	v_mov_b64_e32 v[62:63], v[10:11]
	v_mov_b64_e32 v[74:75], v[10:11]
	v_mov_b64_e32 v[54:55], v[10:11]
	v_mov_b64_e32 v[66:67], v[10:11]
	v_mov_b64_e32 v[46:47], v[10:11]
	v_mov_b64_e32 v[58:59], v[10:11]
	v_mov_b32_e32 v124, 0
	v_mov_b64_e32 v[38:39], v[10:11]
	v_mov_b64_e32 v[50:51], v[10:11]
	;; [unrolled: 1-line block ×3, first 2 shown]
                                        ; implicit-def: $sgpr6_sgpr7
                                        ; implicit-def: $vgpr84
                                        ; implicit-def: $vgpr85
	s_and_saveexec_b64 s[28:29], vcc
	s_cbranch_execz .LBB1120_107
; %bb.84:
	v_add_u32_e32 v10, 9, v65
	v_cmp_gt_u32_e32 vcc, s65, v10
	v_mov_b64_e32 v[10:11], 0
	s_waitcnt lgkmcnt(0)
	v_mov_b32_e32 v30, v44
	v_mov_b32_e32 v31, v45
	v_and_b32_e32 v127, 0xffffff, v82
	s_mov_b64 s[6:7], 0
	v_mov_b32_e32 v126, 0
	v_mov_b32_e32 v122, 0
	;; [unrolled: 1-line block ×3, first 2 shown]
	v_mov_b64_e32 v[70:71], v[10:11]
	v_mov_b64_e32 v[78:79], v[10:11]
	;; [unrolled: 1-line block ×8, first 2 shown]
	v_mov_b32_e32 v124, 0
	v_mov_b64_e32 v[38:39], v[10:11]
	v_mov_b64_e32 v[50:51], v[10:11]
                                        ; implicit-def: $sgpr8_sgpr9
                                        ; implicit-def: $vgpr84
                                        ; implicit-def: $vgpr85
	s_and_saveexec_b64 s[30:31], vcc
	s_cbranch_execz .LBB1120_106
; %bb.85:
	ds_read2_b64 v[50:53], v48 offset0:9 offset1:10
	v_add_u32_e32 v10, 10, v65
	v_cmp_gt_u32_e32 vcc, s65, v10
	v_mov_b64_e32 v[10:11], 0
	v_mov_b32_e32 v126, 0
	v_mov_b32_e32 v122, 0
	;; [unrolled: 1-line block ×3, first 2 shown]
	v_mov_b64_e32 v[70:71], v[10:11]
	v_mov_b64_e32 v[78:79], v[10:11]
	;; [unrolled: 1-line block ×8, first 2 shown]
	v_mov_b32_e32 v124, 0
	v_mov_b64_e32 v[38:39], v[10:11]
                                        ; implicit-def: $sgpr8_sgpr9
                                        ; implicit-def: $vgpr84
                                        ; implicit-def: $vgpr85
	s_and_saveexec_b64 s[34:35], vcc
	s_cbranch_execz .LBB1120_105
; %bb.86:
	v_cmp_ne_u32_e32 vcc, v33, v24
	v_add_u32_e32 v10, 11, v65
	s_waitcnt lgkmcnt(0)
	v_mov_b32_e32 v38, v52
	v_cndmask_b32_e64 v124, 0, 1, vcc
	v_cmp_gt_u32_e32 vcc, s65, v10
	v_mov_b64_e32 v[10:11], 0
	v_mov_b32_e32 v39, v53
	s_mov_b64 s[40:41], 0
	v_mov_b32_e32 v126, 0
	v_mov_b32_e32 v122, 0
	;; [unrolled: 1-line block ×3, first 2 shown]
	v_mov_b64_e32 v[70:71], v[10:11]
	v_mov_b64_e32 v[78:79], v[10:11]
	;; [unrolled: 1-line block ×8, first 2 shown]
                                        ; implicit-def: $sgpr6_sgpr7
                                        ; implicit-def: $vgpr84
                                        ; implicit-def: $vgpr85
	s_and_saveexec_b64 s[36:37], vcc
	s_cbranch_execz .LBB1120_104
; %bb.87:
	ds_read2_b64 v[58:61], v48 offset0:11 offset1:12
	v_cmp_ne_u32_e64 s[0:1], v24, v25
	v_add_u32_e32 v10, 12, v65
	v_cmp_ne_u32_e32 vcc, v16, v17
	v_cndmask_b32_e64 v126, 0, 1, s[0:1]
	v_cmp_gt_u32_e64 s[0:1], s65, v10
	v_mov_b64_e32 v[10:11], 0
	v_cmp_ne_u32_e64 s[6:7], v17, v64
	v_cmp_ne_u32_e64 s[8:9], v25, v16
	s_mov_b64 s[42:43], 0
	v_mov_b32_e32 v125, 0
	v_mov_b32_e32 v122, 0
	v_mov_b64_e32 v[70:71], v[10:11]
	v_mov_b64_e32 v[78:79], v[10:11]
	;; [unrolled: 1-line block ×7, first 2 shown]
                                        ; implicit-def: $sgpr44_sgpr45
                                        ; implicit-def: $vgpr84
                                        ; implicit-def: $vgpr85
	s_and_saveexec_b64 s[38:39], s[0:1]
	s_cbranch_execz .LBB1120_103
; %bb.88:
	v_cndmask_b32_e64 v10, 0, 1, s[8:9]
	v_cndmask_b32_e64 v11, 0, 1, s[6:7]
	v_lshlrev_b16_e32 v10, 8, v10
	v_lshlrev_b16_e32 v11, 8, v11
	v_cndmask_b32_e64 v16, 0, 1, vcc
	v_or_b32_e32 v10, v126, v10
	v_or_b32_sdwa v11, v16, v11 dst_sel:WORD_1 dst_unused:UNUSED_PAD src0_sel:DWORD src1_sel:DWORD
	s_waitcnt lgkmcnt(0)
	v_mov_b32_e32 v46, v60
	v_or_b32_sdwa v84, v10, v11 dst_sel:DWORD dst_unused:UNUSED_PAD src0_sel:WORD_0 src1_sel:DWORD
	v_add_u32_e32 v10, 13, v65
	v_cmp_gt_u32_e32 vcc, s65, v10
	v_mov_b64_e32 v[10:11], 0
	v_and_b32_e32 v126, 0xffff, v84
	v_mov_b32_e32 v47, v61
	s_mov_b64 s[0:1], 0
	v_mov_b32_e32 v125, 0
	v_mov_b32_e32 v122, 0
	v_mov_b64_e32 v[70:71], v[10:11]
	v_mov_b64_e32 v[78:79], v[10:11]
	;; [unrolled: 1-line block ×6, first 2 shown]
                                        ; implicit-def: $sgpr6_sgpr7
                                        ; implicit-def: $vgpr85
	s_and_saveexec_b64 s[40:41], vcc
	s_cbranch_execz .LBB1120_102
; %bb.89:
	ds_read2_b64 v[66:69], v48 offset0:13 offset1:14
	v_add_u32_e32 v10, 14, v65
	v_cmp_gt_u32_e32 vcc, s65, v10
	v_mov_b64_e32 v[10:11], 0
	s_mov_b64 s[68:69], s[60:61]
	s_mov_b64 s[74:75], s[62:63]
	;; [unrolled: 1-line block ×3, first 2 shown]
	v_and_b32_e32 v126, 0xffffff, v84
	s_mov_b64 s[6:7], 0
	v_mov_b32_e32 v125, 0
	v_mov_b32_e32 v122, 0
	v_mov_b64_e32 v[70:71], v[10:11]
	v_mov_b64_e32 v[78:79], v[10:11]
	;; [unrolled: 1-line block ×5, first 2 shown]
                                        ; implicit-def: $sgpr8_sgpr9
                                        ; implicit-def: $vgpr85
	s_and_saveexec_b64 s[42:43], vcc
	s_cbranch_execz .LBB1120_101
; %bb.90:
	v_add_u32_e32 v10, 15, v65
	v_cmp_gt_u32_e32 vcc, s65, v10
	v_mov_b64_e32 v[10:11], 0
	s_waitcnt lgkmcnt(0)
	v_mov_b32_e32 v54, v68
	v_mov_b32_e32 v55, v69
	;; [unrolled: 1-line block ×4, first 2 shown]
	v_mov_b64_e32 v[70:71], v[10:11]
	v_mov_b64_e32 v[78:79], v[10:11]
	;; [unrolled: 1-line block ×4, first 2 shown]
                                        ; implicit-def: $sgpr8_sgpr9
                                        ; implicit-def: $vgpr85
	s_and_saveexec_b64 s[44:45], vcc
	s_cbranch_execz .LBB1120_100
; %bb.91:
	ds_read2_b64 v[74:77], v48 offset0:15 offset1:16
	v_cmp_ne_u32_e32 vcc, v64, v8
	v_add_u32_e32 v10, 16, v65
	s_mov_b64 s[58:59], 0
	v_cndmask_b32_e64 v122, 0, 1, vcc
	v_cmp_gt_u32_e32 vcc, s65, v10
	v_mov_b64_e32 v[10:11], 0
	v_mov_b32_e32 v125, 0
	v_mov_b64_e32 v[70:71], v[10:11]
	v_mov_b64_e32 v[78:79], v[10:11]
	;; [unrolled: 1-line block ×3, first 2 shown]
                                        ; implicit-def: $sgpr6_sgpr7
                                        ; implicit-def: $vgpr85
	s_and_saveexec_b64 s[46:47], vcc
	s_cbranch_execz .LBB1120_99
; %bb.92:
	v_cmp_ne_u32_e64 s[0:1], v8, v9
	v_add_u32_e32 v8, 17, v65
	v_mov_b64_e32 v[10:11], 0
	s_waitcnt lgkmcnt(0)
	v_mov_b32_e32 v62, v76
	v_mov_b32_e32 v63, v77
	v_cmp_ne_u32_e32 vcc, v12, v13
	v_cmp_ne_u32_e64 s[6:7], v13, v4
	v_cmp_ne_u32_e64 s[8:9], v9, v12
	v_cndmask_b32_e64 v125, 0, 1, s[0:1]
	v_cmp_gt_u32_e64 s[0:1], s65, v8
	s_mov_b64 s[60:61], 0
	v_mov_b64_e32 v[70:71], v[10:11]
	v_mov_b64_e32 v[78:79], v[10:11]
                                        ; implicit-def: $sgpr62_sgpr63
                                        ; implicit-def: $vgpr85
	s_and_saveexec_b64 s[48:49], s[0:1]
	s_cbranch_execz .LBB1120_98
; %bb.93:
	v_cndmask_b32_e64 v8, 0, 1, s[8:9]
	v_cndmask_b32_e64 v9, 0, 1, s[6:7]
	ds_read2_b64 v[78:81], v48 offset0:17 offset1:18
	v_lshlrev_b16_e32 v8, 8, v8
	v_lshlrev_b16_e32 v9, 8, v9
	v_cndmask_b32_e64 v10, 0, 1, vcc
	v_or_b32_e32 v8, v125, v8
	v_or_b32_sdwa v9, v10, v9 dst_sel:WORD_1 dst_unused:UNUSED_PAD src0_sel:DWORD src1_sel:DWORD
	v_mov_b64_e32 v[10:11], 0
	v_or_b32_sdwa v85, v8, v9 dst_sel:DWORD dst_unused:UNUSED_PAD src0_sel:WORD_0 src1_sel:DWORD
	v_add_u32_e32 v8, 18, v65
	v_and_b32_e32 v125, 0xffff, v85
	v_cmp_gt_u32_e32 vcc, s65, v8
	s_mov_b64 s[0:1], 0
	v_mov_b64_e32 v[70:71], v[10:11]
                                        ; implicit-def: $sgpr8_sgpr9
	s_and_saveexec_b64 s[6:7], vcc
	s_cbranch_execz .LBB1120_97
; %bb.94:
	v_add_u32_e32 v8, 19, v65
	s_waitcnt lgkmcnt(0)
	v_mov_b32_e32 v70, v80
	v_mov_b32_e32 v71, v81
	v_cmp_gt_u32_e32 vcc, s65, v8
	v_and_b32_e32 v125, 0xffffff, v85
	v_mov_b64_e32 v[10:11], 0
                                        ; implicit-def: $sgpr8_sgpr9
	s_and_saveexec_b64 s[58:59], vcc
	s_xor_b64 s[58:59], exec, s[58:59]
	s_cbranch_execz .LBB1120_96
; %bb.95:
	ds_read2_b64 v[10:13], v48 offset0:19 offset1:20
	v_cmp_ne_u32_e32 vcc, v4, v5
	v_add_u32_e32 v4, 20, v65
	v_cmp_gt_u32_e64 s[0:1], s65, v4
	s_and_b64 s[8:9], vcc, exec
	s_and_b64 s[0:1], s[0:1], exec
	s_waitcnt lgkmcnt(0)
	v_mov_b64_e32 v[72:73], v[10:11]
	v_mov_b32_e32 v125, v85
.LBB1120_96:
	s_or_b64 exec, exec, s[58:59]
	s_and_b64 s[8:9], s[8:9], exec
	s_and_b64 s[60:61], s[0:1], exec
.LBB1120_97:
	s_or_b64 exec, exec, s[6:7]
	s_and_b64 s[62:63], s[8:9], exec
	s_and_b64 s[58:59], s[60:61], exec
	s_waitcnt lgkmcnt(0)
	v_mov_b64_e32 v[64:65], v[78:79]
	v_mov_b64_e32 v[56:57], v[74:75]
	v_mov_b64_e32 v[48:49], v[66:67]
	v_mov_b64_e32 v[40:41], v[58:59]
	v_mov_b64_e32 v[32:33], v[50:51]
	v_mov_b64_e32 v[24:25], v[42:43]
	v_mov_b64_e32 v[16:17], v[34:35]
	v_mov_b64_e32 v[8:9], v[26:27]
	v_mov_b64_e32 v[4:5], v[18:19]
.LBB1120_98:
	s_or_b64 exec, exec, s[48:49]
	s_and_b64 s[6:7], s[62:63], exec
	s_and_b64 s[0:1], s[58:59], exec
.LBB1120_99:
	s_or_b64 exec, exec, s[46:47]
	s_and_b64 s[8:9], s[6:7], exec
	s_and_b64 s[6:7], s[0:1], exec
.LBB1120_100:
	s_or_b64 exec, exec, s[44:45]
	s_and_b64 s[8:9], s[8:9], exec
	s_and_b64 s[0:1], s[6:7], exec
	v_mov_b32_e32 v126, v84
.LBB1120_101:
	s_or_b64 exec, exec, s[42:43]
	s_and_b64 s[6:7], s[8:9], exec
	s_and_b64 s[42:43], s[0:1], exec
	s_mov_b64 s[62:63], s[74:75]
	s_mov_b64 s[66:67], s[78:79]
	;; [unrolled: 1-line block ×3, first 2 shown]
.LBB1120_102:
	s_or_b64 exec, exec, s[40:41]
	s_and_b64 s[44:45], s[6:7], exec
	s_and_b64 s[40:41], s[42:43], exec
.LBB1120_103:
	s_or_b64 exec, exec, s[38:39]
	s_and_b64 s[6:7], s[44:45], exec
	s_and_b64 s[0:1], s[40:41], exec
.LBB1120_104:
	s_or_b64 exec, exec, s[36:37]
	s_and_b64 s[8:9], s[6:7], exec
	s_and_b64 s[6:7], s[0:1], exec
.LBB1120_105:
	s_or_b64 exec, exec, s[34:35]
	s_and_b64 s[8:9], s[8:9], exec
	s_and_b64 s[0:1], s[6:7], exec
	v_mov_b32_e32 v127, v82
.LBB1120_106:
	s_or_b64 exec, exec, s[30:31]
	s_and_b64 s[6:7], s[8:9], exec
	s_and_b64 s[30:31], s[0:1], exec
.LBB1120_107:
	s_or_b64 exec, exec, s[28:29]
	s_and_b64 s[34:35], s[6:7], exec
	s_and_b64 s[28:29], s[30:31], exec
.LBB1120_108:
	s_or_b64 exec, exec, s[26:27]
	s_and_b64 s[6:7], s[34:35], exec
	s_and_b64 s[0:1], s[28:29], exec
.LBB1120_109:
	s_or_b64 exec, exec, s[24:25]
	s_and_b64 s[8:9], s[6:7], exec
	s_and_b64 s[6:7], s[0:1], exec
.LBB1120_110:
	s_or_b64 exec, exec, s[22:23]
	s_and_b64 s[8:9], s[8:9], exec
	s_and_b64 s[0:1], s[6:7], exec
	v_mov_b32_e32 v128, v83
.LBB1120_111:
	s_or_b64 exec, exec, s[20:21]
	s_and_b64 s[6:7], s[8:9], exec
	s_and_b64 s[20:21], s[0:1], exec
.LBB1120_112:
	s_or_b64 exec, exec, s[18:19]
	s_and_b64 s[22:23], s[6:7], exec
	s_and_b64 s[18:19], s[20:21], exec
.LBB1120_113:
	s_or_b64 exec, exec, s[16:17]
	s_and_b64 s[0:1], s[22:23], exec
	s_and_b64 s[6:7], s[18:19], exec
.LBB1120_114:
	s_or_b64 exec, exec, s[14:15]
	s_and_b64 s[0:1], s[0:1], exec
	s_and_b64 s[6:7], s[6:7], exec
.LBB1120_115:
	s_or_b64 exec, exec, s[12:13]
	s_mov_b64 s[8:9], 0
	s_and_b64 vcc, exec, s[10:11]
	s_cbranch_vccnz .LBB1120_117
	s_branch .LBB1120_125
.LBB1120_116:
                                        ; implicit-def: $sgpr0_sgpr1
                                        ; implicit-def: $vgpr83
                                        ; implicit-def: $vgpr82
                                        ; implicit-def: $vgpr84
                                        ; implicit-def: $vgpr85
                                        ; implicit-def: $vgpr12_vgpr13
                                        ; implicit-def: $vgpr72_vgpr73
                                        ; implicit-def: $vgpr64_vgpr65
                                        ; implicit-def: $vgpr122
                                        ; implicit-def: $vgpr56_vgpr57
                                        ; implicit-def: $vgpr48_vgpr49
                                        ; implicit-def: $vgpr40_vgpr41
                                        ; implicit-def: $vgpr124
                                        ; implicit-def: $vgpr32_vgpr33
                                        ; implicit-def: $vgpr24_vgpr25
                                        ; implicit-def: $vgpr123
                                        ; implicit-def: $vgpr16_vgpr17
                                        ; implicit-def: $vgpr8_vgpr9
                                        ; implicit-def: $vgpr4_vgpr5
                                        ; implicit-def: $vgpr1
                                        ; implicit-def: $vgpr128
                                        ; implicit-def: $vgpr127
                                        ; implicit-def: $vgpr126
                                        ; implicit-def: $vgpr125
                                        ; implicit-def: $sgpr64
                                        ; implicit-def: $sgpr8_sgpr9
                                        ; implicit-def: $vgpr78_vgpr79
                                        ; implicit-def: $vgpr74_vgpr75
                                        ; implicit-def: $vgpr66_vgpr67
                                        ; implicit-def: $vgpr58_vgpr59
                                        ; implicit-def: $vgpr50_vgpr51
                                        ; implicit-def: $vgpr42_vgpr43
                                        ; implicit-def: $vgpr34_vgpr35
                                        ; implicit-def: $vgpr26_vgpr27
                                        ; implicit-def: $vgpr18_vgpr19
	s_and_b64 vcc, exec, s[10:11]
	s_cbranch_vccz .LBB1120_125
.LBB1120_117:
	s_waitcnt lgkmcnt(0)
	v_mov_b32_e32 v3, 0
	v_lshlrev_b32_e32 v2, 2, v0
	v_lshl_add_u64 v[4:5], s[52:53], 0, v[2:3]
	v_add_co_u32_e32 v6, vcc, 0x1000, v4
	s_movk_i32 s0, 0x50
	s_nop 0
	v_addc_co_u32_e32 v7, vcc, 0, v5, vcc
	flat_load_dword v1, v[4:5]
	flat_load_dword v3, v[4:5] offset:1024
	flat_load_dword v10, v[4:5] offset:2048
	;; [unrolled: 1-line block ×3, first 2 shown]
	flat_load_dword v12, v[6:7]
	flat_load_dword v13, v[6:7] offset:1024
	flat_load_dword v14, v[6:7] offset:2048
	;; [unrolled: 1-line block ×3, first 2 shown]
	v_add_co_u32_e32 v6, vcc, 0x2000, v4
	v_mad_u32_u24 v23, v0, s0, v2
	s_nop 0
	v_addc_co_u32_e32 v7, vcc, 0, v5, vcc
	v_add_co_u32_e32 v8, vcc, 0x3000, v4
	s_cmp_eq_u64 s[56:57], 0
	s_nop 0
	v_addc_co_u32_e32 v9, vcc, 0, v5, vcc
	flat_load_dword v16, v[6:7]
	flat_load_dword v17, v[6:7] offset:1024
	flat_load_dword v18, v[6:7] offset:2048
	flat_load_dword v19, v[6:7] offset:3072
	flat_load_dword v20, v[8:9]
	flat_load_dword v21, v[8:9] offset:1024
	flat_load_dword v22, v[8:9] offset:2048
	;; [unrolled: 1-line block ×3, first 2 shown]
	v_add_co_u32_e32 v6, vcc, 0x4000, v4
	s_nop 1
	v_addc_co_u32_e32 v7, vcc, 0, v5, vcc
	v_add_co_u32_e32 v4, vcc, 0x5000, v4
	s_nop 1
	v_addc_co_u32_e32 v5, vcc, 0, v5, vcc
	flat_load_dword v8, v[6:7]
	flat_load_dword v9, v[6:7] offset:1024
	flat_load_dword v25, v[6:7] offset:2048
	;; [unrolled: 1-line block ×3, first 2 shown]
	flat_load_dword v27, v[4:5]
	s_waitcnt vmcnt(0) lgkmcnt(0)
	ds_write2st64_b32 v2, v1, v3 offset1:4
	ds_write2st64_b32 v2, v10, v11 offset0:8 offset1:12
	ds_write2st64_b32 v2, v12, v13 offset0:16 offset1:20
	;; [unrolled: 1-line block ×9, first 2 shown]
	ds_write_b32 v2, v27 offset:20480
	s_waitcnt lgkmcnt(0)
	s_barrier
	ds_read2_b32 v[8:9], v23 offset0:7 offset1:8
	ds_read2_b32 v[6:7], v23 offset0:5 offset1:6
	;; [unrolled: 1-line block ×3, first 2 shown]
	ds_read2_b32 v[10:11], v23 offset1:1
	ds_read2_b32 v[4:5], v23 offset0:4 offset1:9
	ds_read2_b32 v[16:17], v23 offset0:15 offset1:16
	ds_read_b32 v22, v23 offset:56
	ds_read2_b32 v[14:15], v23 offset0:12 offset1:13
	ds_read2_b32 v[12:13], v23 offset0:10 offset1:11
	;; [unrolled: 1-line block ×4, first 2 shown]
	s_cbranch_scc1 .LBB1120_122
; %bb.118:
	s_andn2_b64 vcc, exec, s[54:55]
	s_cbranch_vccnz .LBB1120_292
; %bb.119:
	s_lshl_b64 s[0:1], s[56:57], 2
	s_add_u32 s0, s66, s0
	s_addc_u32 s1, s67, s1
	s_add_u32 s0, s0, -4
	s_addc_u32 s1, s1, -1
	s_cbranch_execnz .LBB1120_121
.LBB1120_120:
	s_add_u32 s0, s52, -4
	s_addc_u32 s1, s53, -1
.LBB1120_121:
	s_mov_b64 s[52:53], s[0:1]
.LBB1120_122:
	v_mov_b64_e32 v[24:25], s[52:53]
	flat_load_dword v1, v[24:25]
	s_movk_i32 s0, 0xffb0
	v_mad_i32_i24 v23, v0, s0, v23
	s_waitcnt lgkmcnt(0)
	ds_write_b32 v23, v21 offset:21504
	s_waitcnt lgkmcnt(0)
	s_barrier
	s_and_saveexec_b64 s[0:1], s[86:87]
	s_cbranch_execz .LBB1120_124
; %bb.123:
	s_waitcnt vmcnt(0)
	ds_read_b32 v1, v23 offset:21500
.LBB1120_124:
	s_or_b64 exec, exec, s[0:1]
	v_lshlrev_b32_e32 v24, 3, v0
	v_mov_b32_e32 v25, 0
	v_lshl_add_u64 v[24:25], s[50:51], 0, v[24:25]
	s_movk_i32 s0, 0x1000
	v_add_co_u32_e32 v26, vcc, s0, v24
	s_movk_i32 s0, 0x2000
	s_nop 0
	v_addc_co_u32_e32 v27, vcc, 0, v25, vcc
	s_waitcnt lgkmcnt(0)
	s_barrier
	flat_load_dwordx2 v[28:29], v[24:25]
	flat_load_dwordx2 v[30:31], v[24:25] offset:2048
	flat_load_dwordx2 v[32:33], v[26:27]
	flat_load_dwordx2 v[34:35], v[26:27] offset:2048
	v_add_co_u32_e32 v26, vcc, s0, v24
	s_movk_i32 s0, 0x3000
	s_nop 0
	v_addc_co_u32_e32 v27, vcc, 0, v25, vcc
	v_add_co_u32_e32 v36, vcc, s0, v24
	s_movk_i32 s0, 0x4000
	s_nop 0
	v_addc_co_u32_e32 v37, vcc, 0, v25, vcc
	flat_load_dwordx2 v[38:39], v[26:27]
	flat_load_dwordx2 v[40:41], v[26:27] offset:2048
	flat_load_dwordx2 v[42:43], v[36:37]
	flat_load_dwordx2 v[44:45], v[36:37] offset:2048
	v_add_co_u32_e32 v26, vcc, s0, v24
	s_movk_i32 s0, 0x5000
	s_nop 0
	v_addc_co_u32_e32 v27, vcc, 0, v25, vcc
	v_add_co_u32_e32 v36, vcc, s0, v24
	s_movk_i32 s0, 0x6000
	s_nop 0
	v_addc_co_u32_e32 v37, vcc, 0, v25, vcc
	flat_load_dwordx2 v[46:47], v[26:27]
	flat_load_dwordx2 v[48:49], v[26:27] offset:2048
	flat_load_dwordx2 v[50:51], v[36:37]
	flat_load_dwordx2 v[52:53], v[36:37] offset:2048
	v_add_co_u32_e32 v26, vcc, s0, v24
	s_movk_i32 s0, 0x7000
	s_nop 0
	v_addc_co_u32_e32 v27, vcc, 0, v25, vcc
	v_add_co_u32_e32 v36, vcc, s0, v24
	s_mov_b32 s0, 0x8000
	s_nop 0
	v_addc_co_u32_e32 v37, vcc, 0, v25, vcc
	flat_load_dwordx2 v[54:55], v[26:27]
	flat_load_dwordx2 v[56:57], v[26:27] offset:2048
	flat_load_dwordx2 v[58:59], v[36:37]
	flat_load_dwordx2 v[60:61], v[36:37] offset:2048
	v_add_co_u32_e32 v26, vcc, s0, v24
	s_mov_b32 s0, 0x9000
	s_nop 0
	v_addc_co_u32_e32 v27, vcc, 0, v25, vcc
	v_add_co_u32_e32 v36, vcc, s0, v24
	s_mov_b32 s0, 0xa000
	s_nop 0
	v_addc_co_u32_e32 v37, vcc, 0, v25, vcc
	flat_load_dwordx2 v[62:63], v[26:27]
	flat_load_dwordx2 v[64:65], v[26:27] offset:2048
	flat_load_dwordx2 v[66:67], v[36:37]
	flat_load_dwordx2 v[68:69], v[36:37] offset:2048
	v_add_co_u32_e32 v24, vcc, s0, v24
	v_cmp_ne_u32_e64 s[0:1], v20, v21
	s_nop 0
	v_addc_co_u32_e32 v25, vcc, 0, v25, vcc
	flat_load_dwordx2 v[24:25], v[24:25]
	v_cmp_ne_u32_e32 vcc, v17, v18
	s_movk_i32 s6, 0xa0
                                        ; implicit-def: $vgpr128
                                        ; implicit-def: $vgpr127
                                        ; implicit-def: $vgpr126
                                        ; implicit-def: $vgpr125
                                        ; implicit-def: $sgpr64
                                        ; implicit-def: $sgpr8_sgpr9
                                        ; implicit-def: $vgpr78_vgpr79
                                        ; implicit-def: $vgpr74_vgpr75
                                        ; implicit-def: $vgpr26_vgpr27
	s_nop 0
	v_cndmask_b32_e64 v21, 0, 1, vcc
	v_cmp_ne_u32_e32 vcc, v16, v17
	v_lshlrev_b16_e32 v21, 8, v21
	s_nop 0
	v_cndmask_b32_e64 v17, 0, 1, vcc
	v_cmp_ne_u32_e32 vcc, v19, v20
	v_or_b32_e32 v17, v17, v21
	s_nop 0
	v_cndmask_b32_e64 v20, 0, 1, vcc
	v_cmp_ne_u32_e32 vcc, v18, v19
	v_lshlrev_b16_e32 v20, 8, v20
	s_nop 0
	v_cndmask_b32_e64 v18, 0, 1, vcc
	v_cmp_ne_u32_e32 vcc, v22, v16
	v_or_b32_sdwa v18, v18, v20 dst_sel:WORD_1 dst_unused:UNUSED_PAD src0_sel:DWORD src1_sel:DWORD
	s_nop 0
	v_cndmask_b32_e64 v122, 0, 1, vcc
	v_cmp_ne_u32_e32 vcc, v13, v14
	v_or_b32_sdwa v85, v17, v18 dst_sel:DWORD dst_unused:UNUSED_PAD src0_sel:WORD_0 src1_sel:DWORD
	s_nop 0
	v_cndmask_b32_e64 v16, 0, 1, vcc
	v_cmp_ne_u32_e32 vcc, v12, v13
	v_lshlrev_b16_e32 v16, 8, v16
	s_nop 0
	v_cndmask_b32_e64 v13, 0, 1, vcc
	v_cmp_ne_u32_e32 vcc, v15, v22
	v_or_b32_e32 v13, v13, v16
	s_nop 0
	v_cndmask_b32_e64 v16, 0, 1, vcc
	v_cmp_ne_u32_e32 vcc, v14, v15
	v_lshlrev_b16_e32 v16, 8, v16
	s_nop 0
	v_cndmask_b32_e64 v14, 0, 1, vcc
	v_cmp_ne_u32_e32 vcc, v5, v12
	v_or_b32_sdwa v14, v14, v16 dst_sel:WORD_1 dst_unused:UNUSED_PAD src0_sel:DWORD src1_sel:DWORD
	s_nop 0
	v_cndmask_b32_e64 v124, 0, 1, vcc
	v_cmp_ne_u32_e32 vcc, v7, v8
	v_or_b32_sdwa v84, v13, v14 dst_sel:DWORD dst_unused:UNUSED_PAD src0_sel:WORD_0 src1_sel:DWORD
	;; [unrolled: 20-line block ×3, first 2 shown]
	s_nop 0
	v_cndmask_b32_e64 v5, 0, 1, vcc
	v_cmp_ne_u32_e32 vcc, v10, v11
	v_lshlrev_b16_e32 v5, 8, v5
	s_nop 0
	v_cndmask_b32_e64 v6, 0, 1, vcc
	v_cmp_ne_u32_e32 vcc, v3, v4
	v_or_b32_e32 v11, v6, v5
	s_nop 0
	v_cndmask_b32_e64 v4, 0, 1, vcc
	v_cmp_ne_u32_e32 vcc, v2, v3
	v_lshlrev_b16_e32 v4, 8, v4
	s_nop 0
	v_cndmask_b32_e64 v2, 0, 1, vcc
	v_or_b32_sdwa v18, v2, v4 dst_sel:WORD_1 dst_unused:UNUSED_PAD src0_sel:DWORD src1_sel:DWORD
	v_lshl_add_u32 v2, v0, 2, v23
	v_mad_u32_u24 v12, v0, s6, v2
	s_waitcnt vmcnt(0) lgkmcnt(0)
	ds_write2st64_b64 v2, v[28:29], v[30:31] offset1:4
	ds_write2st64_b64 v2, v[32:33], v[34:35] offset0:8 offset1:12
	ds_write2st64_b64 v2, v[38:39], v[40:41] offset0:16 offset1:20
	;; [unrolled: 1-line block ×9, first 2 shown]
	ds_write_b64 v2, v[24:25] offset:40960
	s_waitcnt lgkmcnt(0)
	s_barrier
	ds_read2_b64 v[2:5], v12 offset1:1
	ds_read2_b64 v[6:9], v12 offset0:2 offset1:3
	ds_read2_b64 v[14:17], v12 offset0:4 offset1:5
	;; [unrolled: 1-line block ×9, first 2 shown]
	ds_read_b64 v[12:13], v12 offset:160
	v_cmp_ne_u32_e32 vcc, v1, v10
	v_or_b32_sdwa v83, v11, v18 dst_sel:DWORD dst_unused:UNUSED_PAD src0_sel:WORD_0 src1_sel:DWORD
	s_mov_b64 s[6:7], -1
	v_cndmask_b32_e64 v1, 0, 1, vcc
                                        ; implicit-def: $vgpr66_vgpr67
                                        ; implicit-def: $vgpr58_vgpr59
                                        ; implicit-def: $vgpr50_vgpr51
                                        ; implicit-def: $vgpr42_vgpr43
                                        ; implicit-def: $vgpr34_vgpr35
                                        ; implicit-def: $vgpr18_vgpr19
.LBB1120_125:
	s_mov_b64 s[90:91], s[62:63]
	s_waitcnt lgkmcnt(0)
	v_mov_b64_e32 v[20:21], s[8:9]
	v_mov_b32_e32 v36, s64
	s_and_saveexec_b64 s[8:9], s[6:7]
	s_cbranch_execz .LBB1120_127
; %bb.126:
	v_cndmask_b32_e64 v36, 0, 1, s[0:1]
	v_mov_b64_e32 v[18:19], v[4:5]
	v_mov_b64_e32 v[26:27], v[8:9]
	;; [unrolled: 1-line block ×11, first 2 shown]
	v_mov_b32_e32 v125, v85
	v_mov_b32_e32 v126, v84
	;; [unrolled: 1-line block ×4, first 2 shown]
.LBB1120_127:
	s_or_b64 exec, exec, s[8:9]
	v_and_b32_e32 v131, 1, v123
	v_and_b32_e32 v129, 1, v124
	;; [unrolled: 1-line block ×4, first 2 shown]
	s_cmp_lg_u32 s99, 0
	v_lshrrev_b32_e32 v132, 8, v128
	v_cmp_eq_u32_e32 vcc, 1, v131
	v_lshrrev_b32_e32 v130, 8, v127
	v_cmp_eq_u32_e64 s[48:49], 1, v129
	v_lshrrev_b32_e32 v41, 8, v126
	v_cmp_eq_u32_e64 s[50:51], 1, v40
	v_lshrrev_b32_e32 v37, 8, v125
	v_cmp_eq_u32_e64 s[54:55], 1, v33
	v_mbcnt_lo_u32_b32 v32, -1, 0
	s_barrier
	s_cbranch_scc0 .LBB1120_194
; %bb.128:
	v_mov_b32_e32 v8, 0
	v_and_b32_e32 v9, 1, v128
	s_movk_i32 s42, 0xff
	v_add_f64 v[4:5], v[2:3], v[18:19]
	v_cmp_eq_u16_sdwa s[6:7], v128, v8 src0_sel:BYTE_0 src1_sel:DWORD
	v_cmp_eq_u32_e64 s[52:53], 1, v9
	v_and_b32_e32 v9, 0x100, v128
	v_cndmask_b32_e64 v5, v19, v5, s[6:7]
	v_cndmask_b32_e64 v4, v18, v4, s[6:7]
	v_cmp_ne_u32_e64 s[56:57], 0, v9
	v_and_b32_sdwa v9, v128, s42 dst_sel:DWORD dst_unused:UNUSED_PAD src0_sel:WORD_1 src1_sel:DWORD
	v_add_f64 v[4:5], v[6:7], v[4:5]
	v_cmp_eq_u16_sdwa s[8:9], v132, v8 src0_sel:BYTE_0 src1_sel:DWORD
	v_cmp_eq_u16_e64 s[10:11], 0, v9
	v_and_b32_e32 v9, 0x10000, v128
	v_cndmask_b32_e64 v5, v7, v5, s[8:9]
	v_cndmask_b32_e64 v4, v6, v4, s[8:9]
	v_cmp_ne_u32_e64 s[58:59], 0, v9
	v_and_b32_e32 v9, 0x1000000, v128
	s_mov_b64 s[4:5], s[60:61]
	v_add_f64 v[4:5], v[26:27], v[4:5]
	v_cmp_ne_u32_e64 s[60:61], 0, v9
	v_and_b32_e32 v9, 1, v127
	v_cndmask_b32_e64 v5, v27, v5, s[10:11]
	v_cndmask_b32_e64 v4, v26, v4, s[10:11]
	v_cmp_eq_u32_e64 s[62:63], 1, v9
	v_and_b32_e32 v9, 0x100, v127
	v_add_f64 v[4:5], v[14:15], v[4:5]
	v_cmp_eq_u16_sdwa s[12:13], v128, v8 src0_sel:BYTE_3 src1_sel:DWORD
	v_cmp_ne_u32_e64 s[64:65], 0, v9
	v_and_b32_sdwa v9, v127, s42 dst_sel:DWORD dst_unused:UNUSED_PAD src0_sel:WORD_1 src1_sel:DWORD
	v_cndmask_b32_e64 v5, v15, v5, s[12:13]
	v_cndmask_b32_e64 v4, v14, v4, s[12:13]
	v_cmp_eq_u16_e64 s[20:21], 0, v9
	v_and_b32_e32 v9, 0x10000, v127
	v_add_f64 v[4:5], v[34:35], v[4:5]
	v_cmp_eq_u16_sdwa s[14:15], v123, v8 src0_sel:BYTE_0 src1_sel:DWORD
	v_cmp_ne_u32_e64 s[66:67], 0, v9
	v_and_b32_e32 v9, 0x1000000, v127
	v_cndmask_b32_e64 v5, v35, v5, s[14:15]
	v_cndmask_b32_e64 v4, v34, v4, s[14:15]
	v_cmp_ne_u32_e64 s[68:69], 0, v9
	v_and_b32_e32 v9, 1, v126
	v_add_f64 v[4:5], v[22:23], v[4:5]
	v_cmp_eq_u16_sdwa s[16:17], v127, v8 src0_sel:BYTE_0 src1_sel:DWORD
	v_cmp_eq_u32_e64 s[0:1], 1, v9
	v_and_b32_e32 v9, 0x100, v126
	v_cndmask_b32_e64 v5, v23, v5, s[16:17]
	v_cndmask_b32_e64 v4, v22, v4, s[16:17]
	v_cmp_ne_u32_e64 s[72:73], 0, v9
	v_and_b32_sdwa v9, v126, s42 dst_sel:DWORD dst_unused:UNUSED_PAD src0_sel:WORD_1 src1_sel:DWORD
	v_add_f64 v[4:5], v[42:43], v[4:5]
	v_cmp_eq_u16_sdwa s[18:19], v130, v8 src0_sel:BYTE_0 src1_sel:DWORD
	v_cmp_eq_u16_e64 s[30:31], 0, v9
	v_and_b32_e32 v9, 0x10000, v126
	v_cndmask_b32_e64 v5, v43, v5, s[18:19]
	v_cndmask_b32_e64 v4, v42, v4, s[18:19]
	v_cmp_ne_u32_e64 s[74:75], 0, v9
	v_and_b32_e32 v9, 0x1000000, v126
	v_add_f64 v[4:5], v[30:31], v[4:5]
	v_cmp_ne_u32_e64 s[76:77], 0, v9
	v_and_b32_e32 v9, 1, v125
	v_cndmask_b32_e64 v5, v31, v5, s[20:21]
	v_cndmask_b32_e64 v4, v30, v4, s[20:21]
	v_cmp_eq_u32_e64 s[78:79], 1, v9
	v_and_b32_e32 v9, 0x100, v125
	v_add_f64 v[4:5], v[50:51], v[4:5]
	v_cmp_eq_u16_sdwa s[22:23], v127, v8 src0_sel:BYTE_3 src1_sel:DWORD
	v_cmp_ne_u32_e64 s[80:81], 0, v9
	v_and_b32_sdwa v9, v125, s42 dst_sel:DWORD dst_unused:UNUSED_PAD src0_sel:WORD_1 src1_sel:DWORD
	v_cndmask_b32_e64 v5, v51, v5, s[22:23]
	v_cndmask_b32_e64 v4, v50, v4, s[22:23]
	v_cmp_eq_u16_e64 s[42:43], 0, v9
	v_and_b32_e32 v9, 0x10000, v125
	v_add_f64 v[4:5], v[38:39], v[4:5]
	v_cmp_eq_u16_sdwa s[24:25], v124, v8 src0_sel:BYTE_0 src1_sel:DWORD
	v_cmp_ne_u32_e64 s[82:83], 0, v9
	v_and_b32_e32 v9, 0x1000000, v125
	v_cndmask_b32_e64 v5, v39, v5, s[24:25]
	v_cndmask_b32_e64 v4, v38, v4, s[24:25]
	v_cmp_ne_u32_e64 s[84:85], 0, v9
	v_add_f64 v[4:5], v[58:59], v[4:5]
	v_cmp_eq_u16_sdwa s[26:27], v126, v8 src0_sel:BYTE_0 src1_sel:DWORD
	s_or_b64 s[54:55], s[54:55], s[84:85]
	s_or_b64 s[54:55], s[54:55], s[82:83]
	v_cndmask_b32_e64 v5, v59, v5, s[26:27]
	v_cndmask_b32_e64 v4, v58, v4, s[26:27]
	v_add_f64 v[4:5], v[46:47], v[4:5]
	v_cmp_eq_u16_sdwa s[28:29], v41, v8 src0_sel:BYTE_0 src1_sel:DWORD
	s_or_b64 s[54:55], s[54:55], s[80:81]
	s_or_b64 s[54:55], s[54:55], s[78:79]
	v_cndmask_b32_e64 v5, v47, v5, s[28:29]
	v_cndmask_b32_e64 v4, v46, v4, s[28:29]
	v_add_f64 v[4:5], v[66:67], v[4:5]
	s_or_b64 s[50:51], s[54:55], s[50:51]
	v_cndmask_b32_e64 v5, v67, v5, s[30:31]
	v_cndmask_b32_e64 v4, v66, v4, s[30:31]
	s_or_b64 s[50:51], s[50:51], s[76:77]
	v_add_f64 v[4:5], v[54:55], v[4:5]
	v_cmp_eq_u16_sdwa s[34:35], v126, v8 src0_sel:BYTE_3 src1_sel:DWORD
	s_or_b64 s[50:51], s[50:51], s[74:75]
	s_or_b64 s[50:51], s[50:51], s[72:73]
	v_cndmask_b32_e64 v5, v55, v5, s[34:35]
	v_cndmask_b32_e64 v4, v54, v4, s[34:35]
	v_add_f64 v[4:5], v[74:75], v[4:5]
	v_cmp_eq_u16_sdwa s[36:37], v122, v8 src0_sel:BYTE_0 src1_sel:DWORD
	s_or_b64 s[0:1], s[50:51], s[0:1]
	s_or_b64 s[0:1], s[0:1], s[48:49]
	v_cndmask_b32_e64 v5, v75, v5, s[36:37]
	v_cndmask_b32_e64 v4, v74, v4, s[36:37]
	v_add_f64 v[4:5], v[62:63], v[4:5]
	v_cmp_eq_u16_sdwa s[38:39], v125, v8 src0_sel:BYTE_0 src1_sel:DWORD
	;; [unrolled: 6-line block ×3, first 2 shown]
	s_or_b64 s[0:1], s[0:1], s[64:65]
	s_or_b64 s[0:1], s[0:1], s[62:63]
	v_cndmask_b32_e64 v5, v79, v5, s[40:41]
	v_cndmask_b32_e64 v4, v78, v4, s[40:41]
	v_add_f64 v[4:5], v[70:71], v[4:5]
	s_or_b64 s[0:1], s[0:1], vcc
	v_cndmask_b32_e64 v5, v71, v5, s[42:43]
	v_cndmask_b32_e64 v4, v70, v4, s[42:43]
	s_or_b64 s[0:1], s[0:1], s[60:61]
	v_add_f64 v[4:5], v[10:11], v[4:5]
	v_cmp_eq_u16_sdwa s[44:45], v125, v8 src0_sel:BYTE_3 src1_sel:DWORD
	s_or_b64 s[0:1], s[0:1], s[58:59]
	s_or_b64 s[0:1], s[0:1], s[56:57]
	v_cndmask_b32_e64 v5, v11, v5, s[44:45]
	v_cndmask_b32_e64 v4, v10, v4, s[44:45]
	v_and_b32_e32 v12, 0xff, v1
	v_add_f64 v[4:5], v[20:21], v[4:5]
	v_cmp_eq_u16_sdwa s[46:47], v36, v8 src0_sel:BYTE_0 src1_sel:DWORD
	s_or_b64 s[0:1], s[0:1], s[52:53]
	v_mbcnt_hi_u32_b32 v28, -1, v32
	v_cndmask_b32_e64 v9, v21, v5, s[46:47]
	v_cndmask_b32_e64 v8, v20, v4, s[46:47]
	;; [unrolled: 1-line block ×3, first 2 shown]
	v_and_b32_e32 v12, 15, v28
	v_mov_b32_dpp v4, v8 row_shr:1 row_mask:0xf bank_mask:0xf
	v_mov_b32_dpp v5, v9 row_shr:1 row_mask:0xf bank_mask:0xf
	;; [unrolled: 1-line block ×3, first 2 shown]
	v_cmp_ne_u32_e32 vcc, 0, v12
	s_and_saveexec_b64 s[0:1], vcc
; %bb.129:
	v_add_f64 v[4:5], v[8:9], v[4:5]
	v_cmp_eq_u32_e32 vcc, 0, v16
	v_and_or_b32 v16, v13, 1, v16
	s_nop 0
	v_cndmask_b32_e32 v9, v9, v5, vcc
	v_cndmask_b32_e32 v8, v8, v4, vcc
; %bb.130:
	s_or_b64 exec, exec, s[0:1]
	s_nop 0
	v_mov_b32_dpp v4, v8 row_shr:2 row_mask:0xf bank_mask:0xf
	v_mov_b32_dpp v5, v9 row_shr:2 row_mask:0xf bank_mask:0xf
	;; [unrolled: 1-line block ×3, first 2 shown]
	v_cmp_lt_u32_e32 vcc, 1, v12
	s_and_saveexec_b64 s[0:1], vcc
; %bb.131:
	v_add_f64 v[4:5], v[8:9], v[4:5]
	v_cmp_eq_u32_e32 vcc, 0, v16
	s_nop 1
	v_cndmask_b32_e32 v8, v8, v4, vcc
	v_or_b32_e32 v4, v13, v16
	v_cndmask_b32_e32 v9, v9, v5, vcc
	v_and_b32_e32 v16, 1, v4
; %bb.132:
	s_or_b64 exec, exec, s[0:1]
	v_mov_b32_dpp v4, v8 row_shr:4 row_mask:0xf bank_mask:0xf
	v_mov_b32_dpp v5, v9 row_shr:4 row_mask:0xf bank_mask:0xf
	;; [unrolled: 1-line block ×3, first 2 shown]
	v_cmp_lt_u32_e32 vcc, 3, v12
	s_and_saveexec_b64 s[0:1], vcc
	s_mov_b64 s[58:59], s[90:91]
	s_mov_b64 s[60:61], s[4:5]
; %bb.133:
	v_add_f64 v[4:5], v[8:9], v[4:5]
	v_cmp_eq_u32_e32 vcc, 0, v16
	s_nop 1
	v_cndmask_b32_e32 v8, v8, v4, vcc
	v_or_b32_e32 v4, v13, v16
	v_cndmask_b32_e32 v9, v9, v5, vcc
	v_and_b32_e32 v16, 1, v4
; %bb.134:
	s_or_b64 exec, exec, s[0:1]
	v_mov_b32_dpp v4, v8 row_shr:8 row_mask:0xf bank_mask:0xf
	v_mov_b32_dpp v5, v9 row_shr:8 row_mask:0xf bank_mask:0xf
	;; [unrolled: 1-line block ×3, first 2 shown]
	v_cmp_lt_u32_e32 vcc, 7, v12
	s_and_saveexec_b64 s[0:1], vcc
; %bb.135:
	v_add_f64 v[4:5], v[8:9], v[4:5]
	v_cmp_eq_u32_e32 vcc, 0, v16
	s_nop 1
	v_cndmask_b32_e32 v8, v8, v4, vcc
	v_or_b32_e32 v4, v13, v16
	v_cndmask_b32_e32 v9, v9, v5, vcc
	v_and_b32_e32 v16, 1, v4
; %bb.136:
	s_or_b64 exec, exec, s[0:1]
	v_and_b32_e32 v13, 16, v28
	v_mov_b32_dpp v4, v8 row_bcast:15 row_mask:0xf bank_mask:0xf
	v_mov_b32_dpp v5, v9 row_bcast:15 row_mask:0xf bank_mask:0xf
	;; [unrolled: 1-line block ×3, first 2 shown]
	v_cmp_ne_u32_e32 vcc, 0, v13
	s_and_saveexec_b64 s[0:1], vcc
; %bb.137:
	v_add_f64 v[4:5], v[8:9], v[4:5]
	v_cmp_eq_u32_e32 vcc, 0, v16
	s_nop 1
	v_cndmask_b32_e32 v8, v8, v4, vcc
	v_or_b32_e32 v4, v12, v16
	v_cndmask_b32_e32 v9, v9, v5, vcc
	v_and_b32_e32 v16, 1, v4
; %bb.138:
	s_or_b64 exec, exec, s[0:1]
	v_mov_b32_dpp v4, v8 row_bcast:31 row_mask:0xf bank_mask:0xf
	v_mov_b32_dpp v5, v9 row_bcast:31 row_mask:0xf bank_mask:0xf
	;; [unrolled: 1-line block ×3, first 2 shown]
	v_cmp_lt_u32_e32 vcc, 31, v28
	v_mov_b32_e32 v12, v16
	s_and_saveexec_b64 s[0:1], vcc
; %bb.139:
	v_add_f64 v[4:5], v[8:9], v[4:5]
	v_cmp_eq_u32_e32 vcc, 0, v16
	s_nop 1
	v_cndmask_b32_e32 v8, v8, v4, vcc
	v_or_b32_e32 v4, v13, v16
	v_cndmask_b32_e32 v9, v9, v5, vcc
	v_and_b32_e32 v12, 1, v4
	v_and_b32_e32 v16, 1, v4
; %bb.140:
	s_or_b64 exec, exec, s[0:1]
	v_or_b32_e32 v4, 63, v0
	v_lshrrev_b32_e32 v17, 6, v0
	v_cmp_eq_u32_e32 vcc, v4, v0
	s_and_saveexec_b64 s[0:1], vcc
	s_cbranch_execz .LBB1120_142
; %bb.141:
	v_lshlrev_b32_e32 v4, 4, v17
	ds_write_b64 v4, v[8:9]
	ds_write_b8 v4, v12 offset:8
.LBB1120_142:
	s_or_b64 exec, exec, s[0:1]
	v_cmp_gt_u32_e32 vcc, 4, v0
	s_waitcnt lgkmcnt(0)
	s_barrier
	s_and_saveexec_b64 s[48:49], vcc
	s_cbranch_execz .LBB1120_148
; %bb.143:
	v_lshlrev_b32_e32 v24, 4, v0
	ds_read_b64 v[4:5], v24
	ds_read_b32 v25, v24 offset:8
	v_and_b32_e32 v29, 3, v28
	v_cmp_ne_u32_e32 vcc, 0, v29
	s_waitcnt lgkmcnt(1)
	v_mov_b32_dpp v12, v4 row_shr:1 row_mask:0xf bank_mask:0xf
	v_mov_b32_dpp v13, v5 row_shr:1 row_mask:0xf bank_mask:0xf
	s_waitcnt lgkmcnt(0)
	v_mov_b32_dpp v48, v25 row_shr:1 row_mask:0xf bank_mask:0xf
	v_mov_b32_e32 v45, v25
	v_mov_b32_e32 v44, v25
	s_and_saveexec_b64 s[0:1], vcc
; %bb.144:
	v_mov_b32_e32 v44, 0
	v_add_f64 v[12:13], v[4:5], v[12:13]
	v_cmp_eq_u16_sdwa vcc, v25, v44 src0_sel:BYTE_0 src1_sel:DWORD
	s_movk_i32 s50, 0xff00
	s_nop 0
	v_cndmask_b32_e32 v4, v4, v12, vcc
	v_or_b32_e32 v12, v48, v25
	v_and_b32_e32 v44, 1, v12
	v_cndmask_b32_e32 v5, v5, v13, vcc
	v_and_b32_e32 v45, 1, v12
	v_and_or_b32 v25, v25, s50, v44
; %bb.145:
	s_or_b64 exec, exec, s[0:1]
	v_mov_b32_dpp v12, v4 row_shr:2 row_mask:0xf bank_mask:0xf
	v_mov_b32_dpp v13, v5 row_shr:2 row_mask:0xf bank_mask:0xf
	;; [unrolled: 1-line block ×3, first 2 shown]
	v_cmp_lt_u32_e32 vcc, 1, v29
	s_and_saveexec_b64 s[50:51], vcc
; %bb.146:
	v_mov_b32_e32 v29, 0
	v_add_f64 v[12:13], v[4:5], v[12:13]
	v_cmp_eq_u16_sdwa vcc, v44, v29 src0_sel:BYTE_0 src1_sel:DWORD
	s_nop 1
	v_cndmask_b32_e32 v4, v4, v12, vcc
	v_and_b32_e32 v12, 1, v44
	v_cndmask_b32_e32 v5, v5, v13, vcc
	v_cmp_eq_u32_e32 vcc, 1, v12
	v_and_b32_e32 v12, 1, v25
	v_cmp_eq_u32_e64 s[0:1], 1, v12
	s_or_b64 s[0:1], vcc, s[0:1]
	s_nop 0
	v_cndmask_b32_e64 v45, 0, 1, s[0:1]
; %bb.147:
	s_or_b64 exec, exec, s[50:51]
	ds_write_b64 v24, v[4:5]
	ds_write_b8 v24, v45 offset:8
.LBB1120_148:
	s_or_b64 exec, exec, s[48:49]
	v_cmp_gt_u32_e32 vcc, 64, v0
	v_cmp_lt_u32_e64 s[0:1], 63, v0
	v_mov_b32_e32 v44, 0
	v_mov_b64_e32 v[4:5], 0
	s_waitcnt lgkmcnt(0)
	s_barrier
	s_and_saveexec_b64 s[48:49], s[0:1]
	s_cbranch_execz .LBB1120_150
; %bb.149:
	v_lshl_add_u32 v12, v17, 4, -16
	ds_read_b64 v[4:5], v12
	ds_read_u8 v44, v12 offset:8
	v_and_b32_e32 v17, 1, v16
	v_cmp_eq_u32_e64 s[0:1], 0, v16
	s_waitcnt lgkmcnt(1)
	v_add_f64 v[12:13], v[8:9], v[4:5]
	v_cndmask_b32_e64 v9, v9, v13, s[0:1]
	v_cndmask_b32_e64 v8, v8, v12, s[0:1]
	v_cmp_eq_u32_e64 s[0:1], 1, v17
	s_waitcnt lgkmcnt(0)
	s_nop 0
	v_cndmask_b32_e64 v16, v44, 1, s[0:1]
.LBB1120_150:
	s_or_b64 exec, exec, s[48:49]
	v_add_u32_e32 v12, -1, v28
	v_and_b32_e32 v13, 64, v28
	v_cmp_lt_i32_e64 s[0:1], v12, v13
	v_cmp_eq_u32_e64 s[48:49], 0, v28
	s_nop 0
	v_cndmask_b32_e64 v12, v12, v28, s[0:1]
	v_lshlrev_b32_e32 v12, 2, v12
	ds_bpermute_b32 v45, v12, v8
	ds_bpermute_b32 v48, v12, v9
	;; [unrolled: 1-line block ×3, first 2 shown]
	s_and_saveexec_b64 s[50:51], vcc
	s_cbranch_execz .LBB1120_193
; %bb.151:
	v_mov_b32_e32 v13, 0
	ds_read2_b64 v[80:83], v13 offset0:6 offset1:7
	s_and_saveexec_b64 s[0:1], s[48:49]
	s_cbranch_execz .LBB1120_153
; %bb.152:
	s_add_i32 s52, s99, 64
	s_mov_b32 s53, 0
	s_lshl_b64 s[54:55], s[52:53], 4
	s_add_u32 s54, s92, s54
	s_addc_u32 s55, s93, s55
	v_mov_b32_e32 v8, s52
	v_mov_b32_e32 v9, 1
	s_waitcnt lgkmcnt(0)
	global_store_dword v13, v80, s[54:55] sc1
	global_store_dword v13, v81, s[54:55] offset:4 sc1
	global_store_dword v13, v82, s[54:55] offset:8 sc1
	;; [unrolled: 1-line block ×3, first 2 shown]
	s_waitcnt vmcnt(0)
	global_store_byte v8, v9, s[96:97] sc1
.LBB1120_153:
	s_or_b64 exec, exec, s[0:1]
	v_xad_u32 v8, v28, -1, s99
	v_add_u32_e32 v12, 64, v8
	global_load_ubyte v52, v12, s[96:97] sc1
	s_waitcnt vmcnt(0)
	v_cmp_eq_u16_e32 vcc, 0, v52
	s_and_saveexec_b64 s[0:1], vcc
	s_cbranch_execz .LBB1120_157
; %bb.154:
	v_lshl_add_u64 v[16:17], s[96:97], 0, v[12:13]
	s_mov_b64 s[52:53], 0
.LBB1120_155:                           ; =>This Inner Loop Header: Depth=1
	global_load_ubyte v52, v[16:17], off sc1
	s_waitcnt vmcnt(0)
	v_cmp_ne_u16_e32 vcc, 0, v52
	s_or_b64 s[52:53], vcc, s[52:53]
	s_andn2_b64 exec, exec, s[52:53]
	s_cbranch_execnz .LBB1120_155
; %bb.156:
	s_or_b64 exec, exec, s[52:53]
.LBB1120_157:
	s_or_b64 exec, exec, s[0:1]
	v_mov_b32_e32 v9, s95
	v_mov_b32_e32 v16, s93
	v_cmp_eq_u16_e32 vcc, 1, v52
	s_waitcnt vmcnt(0) lgkmcnt(0)
	s_nop 0
	v_cndmask_b32_e32 v17, v9, v16, vcc
	v_mov_b32_e32 v9, s94
	v_mov_b32_e32 v16, s92
	v_cndmask_b32_e32 v16, v9, v16, vcc
	v_lshl_add_u64 v[12:13], v[12:13], 4, v[16:17]
	global_load_dword v24, v[12:13], off sc1
	global_load_dword v25, v[12:13], off offset:4 sc1
	global_load_dword v29, v[12:13], off offset:8 sc1
	;; [unrolled: 1-line block ×3, first 2 shown]
	v_cmp_eq_u16_e32 vcc, 2, v52
	v_lshlrev_b64 v[12:13], v28, -1
	v_and_b32_e32 v53, 63, v28
	s_waitcnt vmcnt(0)
	v_and_b32_e32 v9, vcc_hi, v13
	v_and_b32_e32 v60, vcc_lo, v12
	v_cmp_ne_u32_e32 vcc, 63, v53
	v_or_b32_e32 v9, 0x80000000, v9
	v_ffbl_b32_e32 v9, v9
	v_addc_co_u32_e32 v16, vcc, 0, v28, vcc
	v_lshlrev_b32_e32 v56, 2, v16
	v_add_u32_e32 v9, 32, v9
	v_ffbl_b32_e32 v60, v60
	v_min_u32_e32 v9, v60, v9
	v_cmp_lt_u32_e32 vcc, v53, v9
	ds_bpermute_b32 v16, v56, v24
	ds_bpermute_b32 v17, v56, v25
	v_and_b32_e32 v73, 0xff, v29
	ds_bpermute_b32 v57, v56, v73
	s_and_saveexec_b64 s[0:1], vcc
	s_cbranch_execz .LBB1120_159
; %bb.158:
	v_mov_b32_e32 v60, 0
	s_waitcnt lgkmcnt(1)
	v_add_f64 v[16:17], v[24:25], v[16:17]
	v_cmp_eq_u16_sdwa vcc, v29, v60 src0_sel:BYTE_0 src1_sel:DWORD
	s_nop 1
	v_cndmask_b32_e32 v24, v24, v16, vcc
	s_waitcnt lgkmcnt(0)
	v_or_b32_e32 v16, v57, v29
	v_cndmask_b32_e32 v25, v25, v17, vcc
	v_and_b32_e32 v29, 1, v16
	v_and_b32_e32 v73, 1, v16
.LBB1120_159:
	s_or_b64 exec, exec, s[0:1]
	v_cmp_gt_u32_e32 vcc, 62, v53
	v_add_u32_e32 v60, 2, v53
	s_waitcnt lgkmcnt(2)
	v_cndmask_b32_e64 v16, 0, 1, vcc
	v_lshlrev_b32_e32 v16, 1, v16
	s_waitcnt lgkmcnt(0)
	v_add_lshl_u32 v57, v16, v28, 2
	ds_bpermute_b32 v16, v57, v24
	ds_bpermute_b32 v17, v57, v25
	ds_bpermute_b32 v61, v57, v73
	v_cmp_le_u32_e32 vcc, v60, v9
	s_and_saveexec_b64 s[52:53], vcc
	s_cbranch_execz .LBB1120_161
; %bb.160:
	v_mov_b32_e32 v64, 0
	s_waitcnt lgkmcnt(1)
	v_add_f64 v[16:17], v[24:25], v[16:17]
	v_cmp_eq_u16_sdwa vcc, v29, v64 src0_sel:BYTE_0 src1_sel:DWORD
	s_nop 1
	v_cndmask_b32_e32 v24, v24, v16, vcc
	v_and_b32_e32 v16, 1, v29
	v_cndmask_b32_e32 v25, v25, v17, vcc
	v_cmp_eq_u32_e32 vcc, 1, v16
	s_waitcnt lgkmcnt(0)
	v_and_b32_e32 v16, 1, v61
	v_cmp_eq_u32_e64 s[0:1], 1, v16
	s_or_b64 s[0:1], vcc, s[0:1]
	s_nop 0
	v_cndmask_b32_e64 v29, 0, 1, s[0:1]
	v_cndmask_b32_e64 v73, 0, 1, s[0:1]
.LBB1120_161:
	s_or_b64 exec, exec, s[52:53]
	v_cmp_gt_u32_e32 vcc, 60, v53
	v_add_u32_e32 v64, 4, v53
	s_waitcnt lgkmcnt(2)
	v_cndmask_b32_e64 v16, 0, 1, vcc
	v_lshlrev_b32_e32 v16, 2, v16
	s_waitcnt lgkmcnt(0)
	v_add_lshl_u32 v61, v16, v28, 2
	ds_bpermute_b32 v16, v61, v24
	ds_bpermute_b32 v17, v61, v25
	ds_bpermute_b32 v65, v61, v73
	v_cmp_le_u32_e32 vcc, v64, v9
	s_and_saveexec_b64 s[52:53], vcc
	s_cbranch_execz .LBB1120_163
; %bb.162:
	v_mov_b32_e32 v68, 0
	s_waitcnt lgkmcnt(1)
	v_add_f64 v[16:17], v[24:25], v[16:17]
	v_cmp_eq_u16_sdwa vcc, v29, v68 src0_sel:BYTE_0 src1_sel:DWORD
	s_nop 1
	v_cndmask_b32_e32 v24, v24, v16, vcc
	v_and_b32_e32 v16, 1, v29
	v_cndmask_b32_e32 v25, v25, v17, vcc
	v_cmp_eq_u32_e32 vcc, 1, v16
	s_waitcnt lgkmcnt(0)
	v_and_b32_e32 v16, 1, v65
	v_cmp_eq_u32_e64 s[0:1], 1, v16
	s_or_b64 s[0:1], vcc, s[0:1]
	s_nop 0
	v_cndmask_b32_e64 v29, 0, 1, s[0:1]
	v_cndmask_b32_e64 v73, 0, 1, s[0:1]
.LBB1120_163:
	;; [unrolled: 32-line block ×4, first 2 shown]
	s_or_b64 exec, exec, s[52:53]
	v_cmp_gt_u32_e32 vcc, 32, v53
	v_add_u32_e32 v77, 32, v53
	s_waitcnt lgkmcnt(2)
	v_cndmask_b32_e64 v16, 0, 1, vcc
	v_lshlrev_b32_e32 v16, 5, v16
	s_waitcnt lgkmcnt(0)
	v_add_lshl_u32 v76, v16, v28, 2
	ds_bpermute_b32 v16, v76, v24
	ds_bpermute_b32 v17, v76, v25
	ds_bpermute_b32 v28, v76, v73
	v_cmp_le_u32_e32 vcc, v77, v9
	s_and_saveexec_b64 s[52:53], vcc
	s_cbranch_execz .LBB1120_169
; %bb.168:
	v_mov_b32_e32 v9, 0
	s_waitcnt lgkmcnt(1)
	v_add_f64 v[16:17], v[24:25], v[16:17]
	v_cmp_eq_u16_sdwa vcc, v29, v9 src0_sel:BYTE_0 src1_sel:DWORD
	v_and_b32_e32 v9, 1, v29
	s_nop 0
	v_cndmask_b32_e32 v25, v25, v17, vcc
	v_cndmask_b32_e32 v24, v24, v16, vcc
	v_cmp_eq_u32_e32 vcc, 1, v9
	s_waitcnt lgkmcnt(0)
	v_and_b32_e32 v9, 1, v28
	v_cmp_eq_u32_e64 s[0:1], 1, v9
	s_or_b64 s[0:1], vcc, s[0:1]
	s_nop 0
	v_cndmask_b32_e64 v29, 0, 1, s[0:1]
.LBB1120_169:
	s_or_b64 exec, exec, s[52:53]
	v_mov_b32_e32 v9, 0
	v_mov_b32_e32 v83, 2
	s_branch .LBB1120_171
.LBB1120_170:                           ;   in Loop: Header=BB1120_171 Depth=1
	s_or_b64 exec, exec, s[54:55]
	v_add_f64 v[24:25], v[16:17], v[24:25]
	v_cmp_eq_u16_sdwa vcc, v73, v9 src0_sel:BYTE_0 src1_sel:DWORD
	s_waitcnt lgkmcnt(2)
	v_and_b32_e32 v28, 1, v73
	v_subrev_u32_e32 v8, 64, v8
	v_cndmask_b32_e32 v25, v17, v25, vcc
	v_cndmask_b32_e32 v24, v16, v24, vcc
	v_cmp_eq_u32_e32 vcc, 1, v28
	s_or_b64 s[0:1], vcc, s[52:53]
	s_waitcnt lgkmcnt(1)
	v_cndmask_b32_e64 v29, 0, 1, s[0:1]
.LBB1120_171:                           ; =>This Loop Header: Depth=1
                                        ;     Child Loop BB1120_174 Depth 2
	v_cmp_ne_u16_sdwa s[0:1], v52, v83 src0_sel:BYTE_0 src1_sel:DWORD
	v_mov_b32_e32 v73, v29
	s_waitcnt lgkmcnt(2)
	v_cndmask_b32_e64 v16, 0, 1, s[0:1]
	;;#ASMSTART
	;;#ASMEND
	s_nop 0
	v_cmp_ne_u32_e32 vcc, 0, v16
	s_cmp_lg_u64 vcc, exec
	s_waitcnt lgkmcnt(1)
	v_mov_b64_e32 v[16:17], v[24:25]
	s_cbranch_scc1 .LBB1120_188
; %bb.172:                              ;   in Loop: Header=BB1120_171 Depth=1
	global_load_ubyte v52, v8, s[96:97] sc1
	s_waitcnt vmcnt(0)
	v_cmp_eq_u16_e32 vcc, 0, v52
	s_and_saveexec_b64 s[0:1], vcc
	s_cbranch_execz .LBB1120_176
; %bb.173:                              ;   in Loop: Header=BB1120_171 Depth=1
	v_lshl_add_u64 v[24:25], s[96:97], 0, v[8:9]
	s_mov_b64 s[52:53], 0
.LBB1120_174:                           ;   Parent Loop BB1120_171 Depth=1
                                        ; =>  This Inner Loop Header: Depth=2
	global_load_ubyte v52, v[24:25], off sc1
	s_waitcnt vmcnt(0)
	v_cmp_ne_u16_e32 vcc, 0, v52
	s_or_b64 s[52:53], vcc, s[52:53]
	s_andn2_b64 exec, exec, s[52:53]
	s_cbranch_execnz .LBB1120_174
; %bb.175:                              ;   in Loop: Header=BB1120_171 Depth=1
	s_or_b64 exec, exec, s[52:53]
.LBB1120_176:                           ;   in Loop: Header=BB1120_171 Depth=1
	s_or_b64 exec, exec, s[0:1]
	v_mov_b32_e32 v24, s95
	v_mov_b32_e32 v25, s93
	v_cmp_eq_u16_e32 vcc, 1, v52
	s_waitcnt lgkmcnt(0)
	v_mov_b32_e32 v28, s92
	s_waitcnt vmcnt(0)
	v_cndmask_b32_e32 v25, v24, v25, vcc
	v_mov_b32_e32 v24, s94
	v_cndmask_b32_e32 v24, v24, v28, vcc
	v_lshl_add_u64 v[28:29], v[8:9], 4, v[24:25]
	global_load_dword v24, v[28:29], off sc1
	global_load_dword v25, v[28:29], off offset:4 sc1
	global_load_dword v84, v[28:29], off offset:8 sc1
	s_nop 0
	global_load_dword v28, v[28:29], off offset:12 sc1
	v_cmp_eq_u16_e32 vcc, 2, v52
	s_waitcnt vmcnt(2)
	ds_bpermute_b32 v29, v56, v25
	s_waitcnt vmcnt(0)
	v_and_b32_e32 v28, vcc_hi, v13
	v_or_b32_e32 v28, 0x80000000, v28
	v_and_b32_e32 v86, 0xff, v84
	v_ffbl_b32_e32 v88, v28
	ds_bpermute_b32 v28, v56, v24
	ds_bpermute_b32 v87, v56, v86
	v_and_b32_e32 v85, vcc_lo, v12
	v_add_u32_e32 v88, 32, v88
	v_ffbl_b32_e32 v85, v85
	v_min_u32_e32 v85, v85, v88
	v_cmp_lt_u32_e32 vcc, v53, v85
	s_and_saveexec_b64 s[0:1], vcc
	s_cbranch_execz .LBB1120_178
; %bb.177:                              ;   in Loop: Header=BB1120_171 Depth=1
	s_waitcnt lgkmcnt(1)
	v_add_f64 v[28:29], v[24:25], v[28:29]
	v_cmp_eq_u16_sdwa vcc, v84, v9 src0_sel:BYTE_0 src1_sel:DWORD
	s_nop 1
	v_cndmask_b32_e32 v24, v24, v28, vcc
	s_waitcnt lgkmcnt(0)
	v_or_b32_e32 v28, v87, v84
	v_cndmask_b32_e32 v25, v25, v29, vcc
	v_and_b32_e32 v84, 1, v28
	v_and_b32_e32 v86, 1, v28
.LBB1120_178:                           ;   in Loop: Header=BB1120_171 Depth=1
	s_or_b64 exec, exec, s[0:1]
	s_waitcnt lgkmcnt(1)
	ds_bpermute_b32 v28, v57, v24
	ds_bpermute_b32 v29, v57, v25
	s_waitcnt lgkmcnt(2)
	ds_bpermute_b32 v87, v57, v86
	v_and_b32_e32 v88, 1, v84
	v_cmp_le_u32_e32 vcc, v60, v85
	v_cmp_eq_u32_e64 s[52:53], 1, v88
	s_and_saveexec_b64 s[0:1], vcc
	s_cbranch_execz .LBB1120_180
; %bb.179:                              ;   in Loop: Header=BB1120_171 Depth=1
	s_waitcnt lgkmcnt(1)
	v_add_f64 v[28:29], v[24:25], v[28:29]
	v_cmp_eq_u16_sdwa vcc, v84, v9 src0_sel:BYTE_0 src1_sel:DWORD
	s_nop 1
	v_cndmask_b32_e32 v24, v24, v28, vcc
	s_waitcnt lgkmcnt(0)
	v_and_b32_e32 v28, 1, v87
	v_cndmask_b32_e32 v25, v25, v29, vcc
	v_cmp_eq_u32_e32 vcc, 1, v28
	s_or_b64 s[54:55], s[52:53], vcc
	v_cndmask_b32_e64 v84, 0, 1, s[54:55]
	v_cndmask_b32_e64 v86, 0, 1, s[54:55]
	s_andn2_b64 s[52:53], s[52:53], exec
	s_and_b64 s[54:55], s[54:55], exec
	s_or_b64 s[52:53], s[52:53], s[54:55]
.LBB1120_180:                           ;   in Loop: Header=BB1120_171 Depth=1
	s_or_b64 exec, exec, s[0:1]
	s_waitcnt lgkmcnt(2)
	ds_bpermute_b32 v28, v61, v24
	s_waitcnt lgkmcnt(2)
	ds_bpermute_b32 v29, v61, v25
	s_waitcnt lgkmcnt(2)
	ds_bpermute_b32 v87, v61, v86
	v_cmp_le_u32_e32 vcc, v64, v85
	s_and_saveexec_b64 s[54:55], vcc
	s_cbranch_execz .LBB1120_182
; %bb.181:                              ;   in Loop: Header=BB1120_171 Depth=1
	s_waitcnt lgkmcnt(1)
	v_add_f64 v[28:29], v[24:25], v[28:29]
	v_cmp_eq_u16_sdwa vcc, v84, v9 src0_sel:BYTE_0 src1_sel:DWORD
	s_andn2_b64 s[52:53], s[52:53], exec
	s_nop 0
	v_cndmask_b32_e32 v24, v24, v28, vcc
	v_and_b32_e32 v28, 1, v84
	v_cndmask_b32_e32 v25, v25, v29, vcc
	v_cmp_eq_u32_e32 vcc, 1, v28
	s_waitcnt lgkmcnt(0)
	v_and_b32_e32 v28, 1, v87
	v_cmp_eq_u32_e64 s[0:1], 1, v28
	s_or_b64 s[0:1], vcc, s[0:1]
	s_nop 0
	v_cndmask_b32_e64 v84, 0, 1, s[0:1]
	v_cndmask_b32_e64 v86, 0, 1, s[0:1]
	s_and_b64 s[0:1], s[0:1], exec
	s_or_b64 s[52:53], s[52:53], s[0:1]
.LBB1120_182:                           ;   in Loop: Header=BB1120_171 Depth=1
	s_or_b64 exec, exec, s[54:55]
	s_waitcnt lgkmcnt(2)
	ds_bpermute_b32 v28, v65, v24
	s_waitcnt lgkmcnt(2)
	ds_bpermute_b32 v29, v65, v25
	s_waitcnt lgkmcnt(2)
	ds_bpermute_b32 v87, v65, v86
	v_cmp_le_u32_e32 vcc, v68, v85
	s_and_saveexec_b64 s[54:55], vcc
	s_cbranch_execz .LBB1120_184
; %bb.183:                              ;   in Loop: Header=BB1120_171 Depth=1
	s_waitcnt lgkmcnt(1)
	v_add_f64 v[28:29], v[24:25], v[28:29]
	v_cmp_eq_u16_sdwa vcc, v84, v9 src0_sel:BYTE_0 src1_sel:DWORD
	s_andn2_b64 s[52:53], s[52:53], exec
	s_nop 0
	v_cndmask_b32_e32 v24, v24, v28, vcc
	v_and_b32_e32 v28, 1, v84
	v_cndmask_b32_e32 v25, v25, v29, vcc
	v_cmp_eq_u32_e32 vcc, 1, v28
	s_waitcnt lgkmcnt(0)
	v_and_b32_e32 v28, 1, v87
	v_cmp_eq_u32_e64 s[0:1], 1, v28
	s_or_b64 s[0:1], vcc, s[0:1]
	s_nop 0
	v_cndmask_b32_e64 v84, 0, 1, s[0:1]
	v_cndmask_b32_e64 v86, 0, 1, s[0:1]
	s_and_b64 s[0:1], s[0:1], exec
	s_or_b64 s[52:53], s[52:53], s[0:1]
.LBB1120_184:                           ;   in Loop: Header=BB1120_171 Depth=1
	;; [unrolled: 30-line block ×3, first 2 shown]
	s_or_b64 exec, exec, s[54:55]
	s_waitcnt lgkmcnt(2)
	ds_bpermute_b32 v28, v76, v24
	s_waitcnt lgkmcnt(2)
	ds_bpermute_b32 v29, v76, v25
	ds_bpermute_b32 v86, v76, v86
	v_cmp_le_u32_e32 vcc, v77, v85
	s_and_saveexec_b64 s[54:55], vcc
	s_cbranch_execz .LBB1120_170
; %bb.187:                              ;   in Loop: Header=BB1120_171 Depth=1
	s_waitcnt lgkmcnt(1)
	v_add_f64 v[28:29], v[24:25], v[28:29]
	v_cmp_eq_u16_sdwa vcc, v84, v9 src0_sel:BYTE_0 src1_sel:DWORD
	s_andn2_b64 s[52:53], s[52:53], exec
	s_nop 0
	v_cndmask_b32_e32 v24, v24, v28, vcc
	v_and_b32_e32 v28, 1, v84
	v_cndmask_b32_e32 v25, v25, v29, vcc
	v_cmp_eq_u32_e32 vcc, 1, v28
	s_waitcnt lgkmcnt(0)
	v_and_b32_e32 v28, 1, v86
	v_cmp_eq_u32_e64 s[0:1], 1, v28
	s_or_b64 s[0:1], vcc, s[0:1]
	s_and_b64 s[0:1], s[0:1], exec
	s_or_b64 s[52:53], s[52:53], s[0:1]
	s_branch .LBB1120_170
.LBB1120_188:                           ;   in Loop: Header=BB1120_171 Depth=1
                                        ; implicit-def: $vgpr29
                                        ; implicit-def: $vgpr24_vgpr25
                                        ; implicit-def: $vgpr52
	s_cbranch_execz .LBB1120_171
; %bb.189:
	s_and_saveexec_b64 s[0:1], s[48:49]
	s_cbranch_execz .LBB1120_191
; %bb.190:
	s_mov_b32 s53, 0
	s_add_i32 s52, s99, 64
	v_mov_b32_e32 v12, 0
	s_lshl_b64 s[54:55], s[52:53], 4
	v_add_f64 v[8:9], v[80:81], v[16:17]
	v_cmp_eq_u32_sdwa vcc, v82, v12 src0_sel:BYTE_0 src1_sel:DWORD
	v_and_b32_e32 v13, 1, v82
	s_add_u32 s54, s94, s54
	v_cndmask_b32_e32 v9, v81, v9, vcc
	v_cndmask_b32_e32 v8, v80, v8, vcc
	v_and_b32_e32 v24, 1, v73
	v_cmp_eq_u32_e32 vcc, 1, v13
	s_addc_u32 s55, s95, s55
	s_nop 0
	v_cndmask_b32_e64 v13, v24, 1, vcc
	global_store_dword v12, v8, s[54:55] sc1
	global_store_dword v12, v9, s[54:55] offset:4 sc1
	global_store_dword v12, v13, s[54:55] offset:8 sc1
	;; [unrolled: 1-line block ×3, first 2 shown]
	v_mov_b32_e32 v8, s52
	v_mov_b32_e32 v9, 2
	s_waitcnt vmcnt(0) lgkmcnt(0)
	global_store_byte v8, v9, s[96:97] sc1
.LBB1120_191:
	s_or_b64 exec, exec, s[0:1]
	s_and_b64 exec, exec, s[70:71]
	s_cbranch_execz .LBB1120_193
; %bb.192:
	v_mov_b32_e32 v8, 0
	ds_write_b64 v8, v[16:17] offset:48
	ds_write_b8 v8, v73 offset:56
.LBB1120_193:
	s_or_b64 exec, exec, s[50:51]
	s_waitcnt lgkmcnt(0)
	v_cndmask_b32_e64 v12, v49, v44, s[48:49]
	v_mov_b32_e32 v13, 0
	s_barrier
	ds_read_b64 v[8:9], v13 offset:48
	v_and_b32_e32 v16, 1, v1
	v_and_b32_e32 v12, 1, v12
	v_cndmask_b32_e64 v5, v48, v5, s[48:49]
	v_cndmask_b32_e64 v4, v45, v4, s[48:49]
	v_cmp_eq_u32_e32 vcc, 1, v16
	v_cmp_eq_u32_e64 s[0:1], 1, v12
	s_or_b64 s[0:1], vcc, s[0:1]
	v_add_f64 v[4:5], v[2:3], v[4:5]
	v_cmp_eq_u16_sdwa vcc, v1, v13 src0_sel:BYTE_0 src1_sel:DWORD
	v_cndmask_b32_e64 v12, 0, 1, s[0:1]
	v_cndmask_b32_e64 v12, v12, v1, s[70:71]
	v_cndmask_b32_e32 v4, v2, v4, vcc
	v_cndmask_b32_e32 v5, v3, v5, vcc
	v_cndmask_b32_e64 v5, v5, v3, s[70:71]
	v_cndmask_b32_e64 v4, v4, v2, s[70:71]
	s_waitcnt lgkmcnt(0)
	v_add_f64 v[8:9], v[4:5], v[8:9]
	v_cmp_eq_u16_sdwa vcc, v12, v13 src0_sel:BYTE_0 src1_sel:DWORD
	s_nop 1
	v_cndmask_b32_e32 v115, v5, v9, vcc
	v_cndmask_b32_e32 v114, v4, v8, vcc
	v_add_f64 v[4:5], v[18:19], v[114:115]
	v_cndmask_b32_e64 v45, v19, v5, s[6:7]
	v_cndmask_b32_e64 v44, v18, v4, s[6:7]
	v_add_f64 v[4:5], v[6:7], v[44:45]
	v_cndmask_b32_e64 v81, v7, v5, s[8:9]
	v_cndmask_b32_e64 v80, v6, v4, s[8:9]
	;; [unrolled: 3-line block ×20, first 2 shown]
	s_branch .LBB1120_224
.LBB1120_194:
                                        ; implicit-def: $vgpr112_vgpr113_vgpr114_vgpr115
                                        ; implicit-def: $vgpr120_vgpr121
                                        ; implicit-def: $vgpr118_vgpr119
                                        ; implicit-def: $vgpr76_vgpr77
                                        ; implicit-def: $vgpr72_vgpr73
                                        ; implicit-def: $vgpr68_vgpr69
                                        ; implicit-def: $vgpr64_vgpr65
                                        ; implicit-def: $vgpr60_vgpr61
                                        ; implicit-def: $vgpr56_vgpr57
                                        ; implicit-def: $vgpr52_vgpr53
                                        ; implicit-def: $vgpr48_vgpr49
                                        ; implicit-def: $vgpr44_vgpr45
                                        ; implicit-def: $vgpr108_vgpr109_vgpr110_vgpr111
                                        ; implicit-def: $vgpr104_vgpr105_vgpr106_vgpr107
                                        ; implicit-def: $vgpr100_vgpr101_vgpr102_vgpr103
                                        ; implicit-def: $vgpr96_vgpr97_vgpr98_vgpr99
                                        ; implicit-def: $vgpr92_vgpr93_vgpr94_vgpr95
                                        ; implicit-def: $vgpr88_vgpr89_vgpr90_vgpr91
                                        ; implicit-def: $vgpr84_vgpr85_vgpr86_vgpr87
                                        ; implicit-def: $vgpr80_vgpr81_vgpr82_vgpr83
                                        ; implicit-def: $vgpr114_vgpr115_vgpr116_vgpr117
	s_mov_b64 s[58:59], s[90:91]
	s_cbranch_execz .LBB1120_224
; %bb.195:
	v_readlane_b32 s0, v133, 8
	v_readlane_b32 s1, v133, 9
	s_cmp_lg_u64 s[0:1], 0
	s_cselect_b32 s7, s59, 0
	s_cselect_b32 s6, s58, 0
	s_cmp_lg_u64 s[6:7], 0
	s_cselect_b64 s[0:1], -1, 0
	s_and_b64 s[8:9], s[70:71], s[0:1]
	s_and_saveexec_b64 s[0:1], s[8:9]
	s_cbranch_execz .LBB1120_197
; %bb.196:
	v_mov_b32_e32 v8, 0
	global_load_dwordx2 v[4:5], v8, s[6:7]
	global_load_ubyte v9, v8, s[6:7] offset:8
	v_cmp_eq_u16_sdwa vcc, v1, v8 src0_sel:BYTE_0 src1_sel:DWORD
	s_waitcnt vmcnt(1)
	v_add_f64 v[4:5], v[2:3], v[4:5]
	s_waitcnt vmcnt(0)
	v_or_b32_e32 v9, v1, v9
	v_cndmask_b32_e32 v3, v3, v5, vcc
	v_cndmask_b32_e32 v2, v2, v4, vcc
	v_and_b32_e32 v1, 1, v9
.LBB1120_197:
	s_or_b64 exec, exec, s[0:1]
	v_mov_b32_e32 v9, 0
	v_add_f64 v[4:5], v[18:19], v[2:3]
	v_cmp_eq_u16_sdwa vcc, v128, v9 src0_sel:BYTE_0 src1_sel:DWORD
	s_movk_i32 s40, 0xff
	v_cmp_eq_u16_sdwa s[6:7], v132, v9 src0_sel:BYTE_0 src1_sel:DWORD
	v_cndmask_b32_e32 v45, v19, v5, vcc
	v_cndmask_b32_e32 v44, v18, v4, vcc
	v_add_f64 v[4:5], v[6:7], v[44:45]
	v_cndmask_b32_e64 v81, v7, v5, s[6:7]
	v_cndmask_b32_e64 v80, v6, v4, s[6:7]
	v_and_b32_sdwa v12, v128, s40 dst_sel:DWORD dst_unused:UNUSED_PAD src0_sel:WORD_1 src1_sel:DWORD
	v_add_f64 v[4:5], v[26:27], v[80:81]
	v_cmp_eq_u16_e64 s[8:9], 0, v12
	v_cmp_eq_u16_sdwa s[10:11], v128, v9 src0_sel:BYTE_3 src1_sel:DWORD
	v_cmp_eq_u16_sdwa s[12:13], v123, v9 src0_sel:BYTE_0 src1_sel:DWORD
	v_cndmask_b32_e64 v49, v27, v5, s[8:9]
	v_cndmask_b32_e64 v48, v26, v4, s[8:9]
	v_add_f64 v[4:5], v[14:15], v[48:49]
	v_cndmask_b32_e64 v85, v15, v5, s[10:11]
	v_cndmask_b32_e64 v84, v14, v4, s[10:11]
	v_add_f64 v[4:5], v[34:35], v[84:85]
	v_cndmask_b32_e64 v53, v35, v5, s[12:13]
	v_cndmask_b32_e64 v52, v34, v4, s[12:13]
	v_add_f64 v[4:5], v[22:23], v[52:53]
	v_cmp_eq_u16_sdwa s[14:15], v127, v9 src0_sel:BYTE_0 src1_sel:DWORD
	v_cmp_eq_u16_sdwa s[16:17], v130, v9 src0_sel:BYTE_0 src1_sel:DWORD
	v_and_b32_sdwa v12, v127, s40 dst_sel:DWORD dst_unused:UNUSED_PAD src0_sel:WORD_1 src1_sel:DWORD
	v_cndmask_b32_e64 v89, v23, v5, s[14:15]
	v_cndmask_b32_e64 v88, v22, v4, s[14:15]
	v_add_f64 v[4:5], v[42:43], v[88:89]
	v_cndmask_b32_e64 v57, v43, v5, s[16:17]
	v_cndmask_b32_e64 v56, v42, v4, s[16:17]
	v_add_f64 v[4:5], v[30:31], v[56:57]
	v_cmp_eq_u16_e64 s[18:19], 0, v12
	v_cmp_eq_u16_sdwa s[20:21], v127, v9 src0_sel:BYTE_3 src1_sel:DWORD
	v_cmp_eq_u16_sdwa s[22:23], v124, v9 src0_sel:BYTE_0 src1_sel:DWORD
	v_cndmask_b32_e64 v93, v31, v5, s[18:19]
	v_cndmask_b32_e64 v92, v30, v4, s[18:19]
	v_add_f64 v[4:5], v[50:51], v[92:93]
	v_cndmask_b32_e64 v61, v51, v5, s[20:21]
	v_cndmask_b32_e64 v60, v50, v4, s[20:21]
	v_add_f64 v[4:5], v[38:39], v[60:61]
	v_cndmask_b32_e64 v97, v39, v5, s[22:23]
	v_cndmask_b32_e64 v96, v38, v4, s[22:23]
	v_add_f64 v[4:5], v[58:59], v[96:97]
	v_cmp_eq_u16_sdwa s[24:25], v126, v9 src0_sel:BYTE_0 src1_sel:DWORD
	v_cmp_eq_u16_sdwa s[26:27], v41, v9 src0_sel:BYTE_0 src1_sel:DWORD
	v_and_b32_sdwa v12, v126, s40 dst_sel:DWORD dst_unused:UNUSED_PAD src0_sel:WORD_1 src1_sel:DWORD
	v_cndmask_b32_e64 v65, v59, v5, s[24:25]
	v_cndmask_b32_e64 v64, v58, v4, s[24:25]
	v_add_f64 v[4:5], v[46:47], v[64:65]
	v_cndmask_b32_e64 v101, v47, v5, s[26:27]
	v_cndmask_b32_e64 v100, v46, v4, s[26:27]
	;; [unrolled: 21-line block ×3, first 2 shown]
	v_add_f64 v[4:5], v[70:71], v[76:77]
	v_cmp_eq_u16_e64 s[40:41], 0, v12
	v_cmp_eq_u16_sdwa s[42:43], v125, v9 src0_sel:BYTE_3 src1_sel:DWORD
	v_cmp_eq_u16_sdwa s[44:45], v36, v9 src0_sel:BYTE_0 src1_sel:DWORD
	v_cndmask_b32_e64 v113, v71, v5, s[40:41]
	v_cndmask_b32_e64 v112, v70, v4, s[40:41]
	v_add_f64 v[4:5], v[10:11], v[112:113]
	v_cndmask_b32_e64 v119, v11, v5, s[42:43]
	v_cndmask_b32_e64 v118, v10, v4, s[42:43]
	v_add_f64 v[4:5], v[20:21], v[118:119]
	v_cndmask_b32_e64 v120, v20, v4, s[44:45]
	v_or_b32_e32 v4, v125, v126
	v_or3_b32 v4, v4, v127, v128
	v_lshrrev_b16_e32 v9, 7, v4
	v_cndmask_b32_e64 v121, v21, v5, s[44:45]
	v_and_b32_e32 v5, 1, v4
	v_and_b32_e32 v9, 2, v9
	v_or_b32_e32 v5, v5, v9
	v_lshrrev_b32_e32 v9, 23, v4
	v_mov_b32_e32 v12, 1
	v_and_b32_e32 v9, 2, v9
	v_and_b32_sdwa v4, v4, v12 dst_sel:DWORD dst_unused:UNUSED_PAD src0_sel:WORD_1 src1_sel:DWORD
	v_or_b32_e32 v4, v4, v9
	v_lshlrev_b16_e32 v4, 2, v4
	v_or_b32_e32 v4, v5, v4
	v_cmp_eq_u32_e64 s[50:51], 1, v33
	v_cmp_ne_u16_e64 s[52:53], 0, v4
	v_cmp_eq_u32_e64 s[48:49], 1, v40
	s_or_b64 s[50:51], s[52:53], s[50:51]
	v_cmp_eq_u32_e64 s[0:1], 1, v129
	s_or_b64 s[48:49], s[50:51], s[48:49]
	;; [unrolled: 2-line block ×3, first 2 shown]
	v_and_b32_e32 v8, 0xff, v1
	s_or_b64 s[0:1], s[0:1], s[46:47]
	v_mbcnt_hi_u32_b32 v16, -1, v32
	v_cndmask_b32_e64 v17, v8, 1, s[0:1]
	v_and_b32_e32 v24, 15, v16
	v_mov_b32_dpp v12, v120 row_shr:1 row_mask:0xf bank_mask:0xf
	v_mov_b32_dpp v13, v121 row_shr:1 row_mask:0xf bank_mask:0xf
	;; [unrolled: 1-line block ×3, first 2 shown]
	v_cmp_ne_u32_e64 s[0:1], 0, v24
	v_mov_b64_e32 v[4:5], v[120:121]
	v_mov_b32_e32 v9, v121
	v_mov_b32_e32 v8, v120
	s_and_saveexec_b64 s[46:47], s[0:1]
; %bb.198:
	v_add_f64 v[4:5], v[120:121], v[12:13]
	v_cmp_eq_u32_e64 s[0:1], 0, v17
	v_and_or_b32 v17, v25, 1, v17
	s_nop 0
	v_cndmask_b32_e64 v5, v121, v5, s[0:1]
	v_cndmask_b32_e64 v4, v120, v4, s[0:1]
	v_mov_b32_e32 v9, v5
	v_mov_b32_e32 v8, v4
; %bb.199:
	s_or_b64 exec, exec, s[46:47]
	s_nop 0
	v_mov_b32_dpp v12, v8 row_shr:2 row_mask:0xf bank_mask:0xf
	v_mov_b32_dpp v13, v9 row_shr:2 row_mask:0xf bank_mask:0xf
	v_mov_b32_dpp v25, v17 row_shr:2 row_mask:0xf bank_mask:0xf
	v_cmp_lt_u32_e64 s[0:1], 1, v24
	s_and_saveexec_b64 s[46:47], s[0:1]
; %bb.200:
	v_add_f64 v[8:9], v[4:5], v[12:13]
	v_cmp_eq_u32_e64 s[0:1], 0, v17
	s_nop 1
	v_cndmask_b32_e64 v9, v5, v9, s[0:1]
	v_cndmask_b32_e64 v8, v4, v8, s[0:1]
	v_or_b32_e32 v4, v25, v17
	v_and_b32_e32 v17, 1, v4
	v_mov_b64_e32 v[4:5], v[8:9]
; %bb.201:
	s_or_b64 exec, exec, s[46:47]
	v_mov_b32_dpp v12, v8 row_shr:4 row_mask:0xf bank_mask:0xf
	v_mov_b32_dpp v13, v9 row_shr:4 row_mask:0xf bank_mask:0xf
	v_mov_b32_dpp v25, v17 row_shr:4 row_mask:0xf bank_mask:0xf
	v_cmp_lt_u32_e64 s[0:1], 3, v24
	s_and_saveexec_b64 s[46:47], s[0:1]
; %bb.202:
	v_add_f64 v[8:9], v[4:5], v[12:13]
	v_cmp_eq_u32_e64 s[0:1], 0, v17
	s_nop 1
	v_cndmask_b32_e64 v9, v5, v9, s[0:1]
	v_cndmask_b32_e64 v8, v4, v8, s[0:1]
	v_or_b32_e32 v4, v25, v17
	v_and_b32_e32 v17, 1, v4
	v_mov_b64_e32 v[4:5], v[8:9]
; %bb.203:
	s_or_b64 exec, exec, s[46:47]
	;; [unrolled: 16-line block ×3, first 2 shown]
	v_and_b32_e32 v25, 16, v16
	v_mov_b32_dpp v12, v8 row_bcast:15 row_mask:0xf bank_mask:0xf
	v_mov_b32_dpp v13, v9 row_bcast:15 row_mask:0xf bank_mask:0xf
	;; [unrolled: 1-line block ×3, first 2 shown]
	v_cmp_ne_u32_e64 s[0:1], 0, v25
	s_and_saveexec_b64 s[46:47], s[0:1]
; %bb.206:
	v_add_f64 v[8:9], v[4:5], v[12:13]
	v_cmp_eq_u32_e64 s[0:1], 0, v17
	s_nop 1
	v_cndmask_b32_e64 v5, v5, v9, s[0:1]
	v_cndmask_b32_e64 v4, v4, v8, s[0:1]
	v_or_b32_e32 v8, v24, v17
	v_and_b32_e32 v17, 1, v8
	v_mov_b32_e32 v9, v5
	v_mov_b32_e32 v8, v4
; %bb.207:
	s_or_b64 exec, exec, s[46:47]
	s_nop 0
	v_mov_b32_dpp v8, v8 row_bcast:31 row_mask:0xf bank_mask:0xf
	v_mov_b32_dpp v9, v9 row_bcast:31 row_mask:0xf bank_mask:0xf
	;; [unrolled: 1-line block ×3, first 2 shown]
	v_cmp_lt_u32_e64 s[0:1], 31, v16
	v_mov_b32_e32 v12, v17
	s_and_saveexec_b64 s[46:47], s[0:1]
; %bb.208:
	v_add_f64 v[8:9], v[4:5], v[8:9]
	v_cmp_eq_u32_e64 s[0:1], 0, v17
	s_nop 1
	v_cndmask_b32_e64 v4, v4, v8, s[0:1]
	v_or_b32_e32 v8, v13, v17
	v_cndmask_b32_e64 v5, v5, v9, s[0:1]
	v_and_b32_e32 v12, 1, v8
	v_and_b32_e32 v17, 1, v8
; %bb.209:
	s_or_b64 exec, exec, s[46:47]
	v_or_b32_e32 v8, 63, v0
	v_lshrrev_b32_e32 v24, 6, v0
	v_cmp_eq_u32_e64 s[0:1], v8, v0
	s_and_saveexec_b64 s[46:47], s[0:1]
	s_cbranch_execz .LBB1120_211
; %bb.210:
	v_lshlrev_b32_e32 v8, 4, v24
	ds_write_b64 v8, v[4:5]
	ds_write_b8 v8, v12 offset:8
.LBB1120_211:
	s_or_b64 exec, exec, s[46:47]
	v_cmp_gt_u32_e64 s[0:1], 4, v0
	s_waitcnt lgkmcnt(0)
	s_barrier
	s_and_saveexec_b64 s[48:49], s[0:1]
	s_cbranch_execz .LBB1120_217
; %bb.212:
	v_lshlrev_b32_e32 v25, 4, v0
	ds_read_b64 v[8:9], v25
	ds_read_b32 v28, v25 offset:8
	v_and_b32_e32 v29, 3, v16
	v_cmp_ne_u32_e64 s[0:1], 0, v29
	s_waitcnt lgkmcnt(1)
	v_mov_b32_dpp v12, v8 row_shr:1 row_mask:0xf bank_mask:0xf
	v_mov_b32_dpp v13, v9 row_shr:1 row_mask:0xf bank_mask:0xf
	s_waitcnt lgkmcnt(0)
	v_mov_b32_dpp v36, v28 row_shr:1 row_mask:0xf bank_mask:0xf
	v_mov_b32_e32 v33, v28
	v_mov_b32_e32 v32, v28
	s_and_saveexec_b64 s[46:47], s[0:1]
; %bb.213:
	v_mov_b32_e32 v32, 0
	v_add_f64 v[12:13], v[8:9], v[12:13]
	v_cmp_eq_u16_sdwa s[0:1], v28, v32 src0_sel:BYTE_0 src1_sel:DWORD
	s_nop 1
	v_cndmask_b32_e64 v8, v8, v12, s[0:1]
	v_or_b32_e32 v12, v36, v28
	v_cndmask_b32_e64 v9, v9, v13, s[0:1]
	v_and_b32_e32 v32, 1, v12
	s_movk_i32 s0, 0xff00
	v_and_b32_e32 v33, 1, v12
	v_and_or_b32 v28, v28, s0, v32
; %bb.214:
	s_or_b64 exec, exec, s[46:47]
	v_mov_b32_dpp v12, v8 row_shr:2 row_mask:0xf bank_mask:0xf
	v_mov_b32_dpp v13, v9 row_shr:2 row_mask:0xf bank_mask:0xf
	;; [unrolled: 1-line block ×3, first 2 shown]
	v_cmp_lt_u32_e64 s[0:1], 1, v29
	s_and_saveexec_b64 s[50:51], s[0:1]
; %bb.215:
	v_mov_b32_e32 v29, 0
	v_add_f64 v[12:13], v[8:9], v[12:13]
	v_cmp_eq_u16_sdwa s[0:1], v32, v29 src0_sel:BYTE_0 src1_sel:DWORD
	s_nop 1
	v_cndmask_b32_e64 v8, v8, v12, s[0:1]
	v_and_b32_e32 v12, 1, v32
	v_cndmask_b32_e64 v9, v9, v13, s[0:1]
	v_cmp_eq_u32_e64 s[0:1], 1, v12
	v_and_b32_e32 v12, 1, v28
	v_cmp_eq_u32_e64 s[46:47], 1, v12
	s_or_b64 s[0:1], s[0:1], s[46:47]
	v_cndmask_b32_e64 v33, 0, 1, s[0:1]
; %bb.216:
	s_or_b64 exec, exec, s[50:51]
	ds_write_b64 v25, v[8:9]
	ds_write_b8 v25, v33 offset:8
.LBB1120_217:
	s_or_b64 exec, exec, s[48:49]
	v_cmp_lt_u32_e64 s[0:1], 63, v0
	v_mov_b64_e32 v[8:9], 0
	s_waitcnt lgkmcnt(0)
	s_barrier
	s_and_saveexec_b64 s[46:47], s[0:1]
	s_cbranch_execz .LBB1120_219
; %bb.218:
	v_lshl_add_u32 v8, v24, 4, -16
	ds_read_b64 v[8:9], v8
	v_cmp_eq_u32_e64 s[0:1], 0, v17
	s_waitcnt lgkmcnt(0)
	v_add_f64 v[12:13], v[4:5], v[8:9]
	v_cndmask_b32_e64 v5, v5, v13, s[0:1]
	v_cndmask_b32_e64 v4, v4, v12, s[0:1]
.LBB1120_219:
	s_or_b64 exec, exec, s[46:47]
	v_add_u32_e32 v12, -1, v16
	v_and_b32_e32 v13, 64, v16
	v_cmp_lt_i32_e64 s[0:1], v12, v13
	s_nop 1
	v_cndmask_b32_e64 v12, v12, v16, s[0:1]
	v_lshlrev_b32_e32 v12, 2, v12
	ds_bpermute_b32 v4, v12, v4
	ds_bpermute_b32 v5, v12, v5
	s_and_saveexec_b64 s[46:47], s[86:87]
	s_cbranch_execz .LBB1120_221
; %bb.220:
	v_cmp_eq_u32_e64 s[0:1], 0, v16
	v_mov_b32_e32 v12, 0
	;;#ASMSTART
	;;#ASMEND
	s_waitcnt lgkmcnt(0)
	v_cndmask_b32_e64 v5, v5, v9, s[0:1]
	v_cndmask_b32_e64 v4, v4, v8, s[0:1]
	v_add_f64 v[4:5], v[2:3], v[4:5]
	v_cmp_eq_u16_sdwa s[0:1], v1, v12 src0_sel:BYTE_0 src1_sel:DWORD
	s_nop 1
	v_cndmask_b32_e64 v3, v3, v5, s[0:1]
	v_cndmask_b32_e64 v2, v2, v4, s[0:1]
	v_add_f64 v[4:5], v[18:19], v[2:3]
	v_cndmask_b32_e32 v45, v19, v5, vcc
	v_cndmask_b32_e32 v44, v18, v4, vcc
	v_add_f64 v[4:5], v[6:7], v[44:45]
	v_cndmask_b32_e64 v81, v7, v5, s[6:7]
	v_cndmask_b32_e64 v80, v6, v4, s[6:7]
	v_add_f64 v[4:5], v[26:27], v[80:81]
	v_cndmask_b32_e64 v49, v27, v5, s[8:9]
	v_cndmask_b32_e64 v48, v26, v4, s[8:9]
	;; [unrolled: 3-line block ×19, first 2 shown]
.LBB1120_221:
	s_or_b64 exec, exec, s[46:47]
	s_and_saveexec_b64 s[0:1], s[70:71]
	s_cbranch_execz .LBB1120_223
; %bb.222:
	v_mov_b32_e32 v1, 0
	s_waitcnt lgkmcnt(0)
	ds_read_b64 v[4:5], v1 offset:48
	ds_read_u8 v6, v1 offset:56
	s_waitcnt lgkmcnt(1)
	global_store_dword v1, v4, s[94:95] offset:1024 sc1
	global_store_dword v1, v5, s[94:95] offset:1028 sc1
	s_waitcnt lgkmcnt(0)
	global_store_dword v1, v6, s[94:95] offset:1032 sc1
	global_store_dword v1, v1, s[94:95] offset:1036 sc1
	v_mov_b32_e32 v4, 2
	s_waitcnt vmcnt(0)
	global_store_byte v1, v4, s[96:97] offset:64 sc1
.LBB1120_223:
	s_or_b64 exec, exec, s[0:1]
	v_mov_b64_e32 v[114:115], v[2:3]
.LBB1120_224:
	v_readlane_b32 s4, v133, 0
	v_readlane_b32 s6, v133, 2
	;; [unrolled: 1-line block ×5, first 2 shown]
	s_mov_b64 s[6:7], s[10:11]
	s_add_u32 s0, s6, s88
	s_addc_u32 s1, s7, s89
	s_add_u32 s0, s0, s2
	s_addc_u32 s1, s1, s3
	s_and_b64 vcc, exec, s[60:61]
	v_lshlrev_b32_e32 v42, 3, v0
	v_readlane_b32 s5, v133, 1
	v_readlane_b32 s8, v133, 4
	;; [unrolled: 1-line block ×3, first 2 shown]
	s_cbranch_vccz .LBB1120_266
; %bb.225:
	s_movk_i32 s2, 0xa8
	v_mul_i32_i24_e32 v50, 0xffffff60, v0
	v_mul_u32_u24_e32 v1, 0xa8, v0
	v_mad_u32_u24 v2, v0, s2, v50
	s_waitcnt lgkmcnt(0)
	s_barrier
	ds_write2_b64 v1, v[114:115], v[44:45] offset1:1
	ds_write2_b64 v1, v[80:81], v[48:49] offset0:2 offset1:3
	ds_write2_b64 v1, v[84:85], v[52:53] offset0:4 offset1:5
	;; [unrolled: 1-line block ×9, first 2 shown]
	ds_write_b64 v1, v[120:121] offset:160
	s_waitcnt lgkmcnt(0)
	s_barrier
	ds_read2st64_b64 v[38:41], v2 offset0:4 offset1:8
	ds_read2st64_b64 v[34:37], v2 offset0:12 offset1:16
	;; [unrolled: 1-line block ×10, first 2 shown]
	s_add_i32 s33, s33, s98
	v_mov_b32_e32 v43, 0
	v_lshl_add_u64 v[46:47], s[0:1], 0, v[42:43]
	v_cmp_gt_u32_e32 vcc, s33, v0
	s_and_saveexec_b64 s[2:3], vcc
	s_cbranch_execz .LBB1120_227
; %bb.226:
	v_add_u32_e32 v1, v1, v50
	ds_read_b64 v[50:51], v1
	s_waitcnt lgkmcnt(0)
	flat_store_dwordx2 v[46:47], v[50:51]
.LBB1120_227:
	s_or_b64 exec, exec, s[2:3]
	v_or_b32_e32 v1, 0x100, v0
	v_cmp_gt_u32_e32 vcc, s33, v1
	s_and_saveexec_b64 s[2:3], vcc
	s_cbranch_execz .LBB1120_229
; %bb.228:
	s_waitcnt lgkmcnt(0)
	flat_store_dwordx2 v[46:47], v[38:39] offset:2048
.LBB1120_229:
	s_or_b64 exec, exec, s[2:3]
	v_or_b32_e32 v1, 0x200, v0
	v_cmp_gt_u32_e32 vcc, s33, v1
	s_and_saveexec_b64 s[2:3], vcc
	s_cbranch_execz .LBB1120_231
; %bb.230:
	s_waitcnt lgkmcnt(0)
	v_add_co_u32_e32 v38, vcc, 0x1000, v46
	s_nop 1
	v_addc_co_u32_e32 v39, vcc, 0, v47, vcc
	flat_store_dwordx2 v[38:39], v[40:41]
.LBB1120_231:
	s_or_b64 exec, exec, s[2:3]
	v_or_b32_e32 v1, 0x300, v0
	v_cmp_gt_u32_e32 vcc, s33, v1
	s_and_saveexec_b64 s[2:3], vcc
	s_cbranch_execz .LBB1120_233
; %bb.232:
	s_waitcnt lgkmcnt(0)
	v_add_co_u32_e32 v38, vcc, 0x1000, v46
	s_nop 1
	v_addc_co_u32_e32 v39, vcc, 0, v47, vcc
	flat_store_dwordx2 v[38:39], v[34:35] offset:2048
.LBB1120_233:
	s_or_b64 exec, exec, s[2:3]
	v_or_b32_e32 v1, 0x400, v0
	v_cmp_gt_u32_e32 vcc, s33, v1
	s_and_saveexec_b64 s[2:3], vcc
	s_cbranch_execz .LBB1120_235
; %bb.234:
	s_waitcnt lgkmcnt(0)
	v_add_co_u32_e32 v34, vcc, 0x2000, v46
	s_nop 1
	v_addc_co_u32_e32 v35, vcc, 0, v47, vcc
	flat_store_dwordx2 v[34:35], v[36:37]
.LBB1120_235:
	s_or_b64 exec, exec, s[2:3]
	v_or_b32_e32 v1, 0x500, v0
	v_cmp_gt_u32_e32 vcc, s33, v1
	s_and_saveexec_b64 s[2:3], vcc
	s_cbranch_execz .LBB1120_237
; %bb.236:
	s_waitcnt lgkmcnt(0)
	v_add_co_u32_e32 v34, vcc, 0x2000, v46
	s_nop 1
	v_addc_co_u32_e32 v35, vcc, 0, v47, vcc
	flat_store_dwordx2 v[34:35], v[30:31] offset:2048
.LBB1120_237:
	;; [unrolled: 24-line block ×9, first 2 shown]
	s_or_b64 exec, exec, s[2:3]
	s_waitcnt lgkmcnt(0)
	v_or_b32_e32 v2, 0x1400, v0
	v_mov_b32_e32 v1, v43
	v_cmp_gt_u32_e64 s[2:3], s33, v2
	s_branch .LBB1120_268
.LBB1120_266:
	s_mov_b64 s[2:3], 0
                                        ; implicit-def: $vgpr4_vgpr5
	s_cbranch_execz .LBB1120_268
; %bb.267:
	v_mul_u32_u24_e32 v1, 0xa8, v0
	s_waitcnt lgkmcnt(0)
	s_barrier
	s_movk_i32 s4, 0xa8
	ds_write2_b64 v1, v[114:115], v[44:45] offset1:1
	ds_write2_b64 v1, v[80:81], v[48:49] offset0:2 offset1:3
	ds_write2_b64 v1, v[84:85], v[52:53] offset0:4 offset1:5
	;; [unrolled: 1-line block ×9, first 2 shown]
	ds_write_b64 v1, v[120:121] offset:160
	v_mov_b32_e32 v1, 0
	v_mul_i32_i24_e32 v2, 0xffffff60, v0
	v_mad_u32_u24 v2, v0, s4, v2
	v_mov_b32_e32 v43, v1
	s_waitcnt lgkmcnt(0)
	s_barrier
	ds_read2st64_b64 v[6:9], v2 offset1:4
	ds_read2st64_b64 v[10:13], v2 offset0:8 offset1:12
	ds_read2st64_b64 v[14:17], v2 offset0:16 offset1:20
	;; [unrolled: 1-line block ×9, first 2 shown]
	ds_read_b64 v[4:5], v2 offset:40960
	v_lshl_add_u64 v[2:3], s[0:1], 0, v[42:43]
	s_movk_i32 s4, 0x1000
	s_waitcnt lgkmcnt(0)
	flat_store_dwordx2 v[2:3], v[6:7]
	flat_store_dwordx2 v[2:3], v[8:9] offset:2048
	v_add_co_u32_e32 v6, vcc, s4, v2
	s_movk_i32 s4, 0x2000
	s_nop 0
	v_addc_co_u32_e32 v7, vcc, 0, v3, vcc
	flat_store_dwordx2 v[6:7], v[10:11]
	flat_store_dwordx2 v[6:7], v[12:13] offset:2048
	v_add_co_u32_e32 v6, vcc, s4, v2
	s_movk_i32 s4, 0x3000
	s_nop 0
	v_addc_co_u32_e32 v7, vcc, 0, v3, vcc
	;; [unrolled: 6-line block ×6, first 2 shown]
	flat_store_dwordx2 v[6:7], v[30:31]
	flat_store_dwordx2 v[6:7], v[32:33] offset:2048
	v_add_co_u32_e32 v6, vcc, s4, v2
	s_or_b64 s[2:3], s[2:3], exec
	s_nop 0
	v_addc_co_u32_e32 v7, vcc, 0, v3, vcc
	flat_store_dwordx2 v[6:7], v[34:35]
	flat_store_dwordx2 v[6:7], v[36:37] offset:2048
	v_add_co_u32_e32 v6, vcc, 0x8000, v2
	s_nop 1
	v_addc_co_u32_e32 v7, vcc, 0, v3, vcc
	v_add_co_u32_e32 v2, vcc, 0x9000, v2
	flat_store_dwordx2 v[6:7], v[38:39]
	flat_store_dwordx2 v[6:7], v[40:41] offset:2048
	v_addc_co_u32_e32 v3, vcc, 0, v3, vcc
	flat_store_dwordx2 v[2:3], v[44:45]
	flat_store_dwordx2 v[2:3], v[46:47] offset:2048
.LBB1120_268:
	s_and_saveexec_b64 s[4:5], s[2:3]
	s_cbranch_execnz .LBB1120_270
; %bb.269:
	s_endpgm
.LBB1120_270:
	v_lshl_add_u64 v[0:1], v[0:1], 3, s[0:1]
	v_add_co_u32_e32 v0, vcc, 0xa000, v0
	s_nop 1
	v_addc_co_u32_e32 v1, vcc, 0, v1, vcc
	s_waitcnt lgkmcnt(0)
	flat_store_dwordx2 v[0:1], v[4:5]
	s_endpgm
.LBB1120_271:
	v_lshlrev_b32_e32 v6, 3, v0
	v_lshl_add_u64 v[2:3], s[50:51], 0, v[6:7]
	flat_load_dwordx2 v[2:3], v[2:3]
	s_or_b64 exec, exec, s[0:1]
                                        ; implicit-def: $vgpr6_vgpr7
	s_and_saveexec_b64 s[0:1], s[8:9]
	s_cbranch_execz .LBB1120_55
.LBB1120_272:
	v_lshlrev_b32_e32 v6, 3, v0
	v_mov_b32_e32 v7, 0
	v_lshl_add_u64 v[6:7], s[50:51], 0, v[6:7]
	flat_load_dwordx2 v[6:7], v[6:7] offset:2048
	s_or_b64 exec, exec, s[0:1]
                                        ; implicit-def: $vgpr10_vgpr11
	s_and_saveexec_b64 s[0:1], s[10:11]
	s_cbranch_execz .LBB1120_56
.LBB1120_273:
	v_lshlrev_b32_e32 v10, 3, v1
	v_mov_b32_e32 v11, 0
	v_lshl_add_u64 v[10:11], s[50:51], 0, v[10:11]
	flat_load_dwordx2 v[10:11], v[10:11]
	s_or_b64 exec, exec, s[0:1]
                                        ; implicit-def: $vgpr14_vgpr15
	s_and_saveexec_b64 s[0:1], s[12:13]
	s_cbranch_execz .LBB1120_57
.LBB1120_274:
	v_lshlrev_b32_e32 v14, 3, v18
	v_mov_b32_e32 v15, 0
	v_lshl_add_u64 v[14:15], s[50:51], 0, v[14:15]
	flat_load_dwordx2 v[14:15], v[14:15]
	s_or_b64 exec, exec, s[0:1]
                                        ; implicit-def: $vgpr18_vgpr19
	s_and_saveexec_b64 s[0:1], s[14:15]
	s_cbranch_execz .LBB1120_58
.LBB1120_275:
	v_lshlrev_b32_e32 v18, 3, v20
	v_mov_b32_e32 v19, 0
	v_lshl_add_u64 v[18:19], s[50:51], 0, v[18:19]
	flat_load_dwordx2 v[18:19], v[18:19]
	s_or_b64 exec, exec, s[0:1]
                                        ; implicit-def: $vgpr20_vgpr21
	s_and_saveexec_b64 s[0:1], s[16:17]
	s_cbranch_execz .LBB1120_59
.LBB1120_276:
	v_lshlrev_b32_e32 v20, 3, v22
	v_mov_b32_e32 v21, 0
	v_lshl_add_u64 v[20:21], s[50:51], 0, v[20:21]
	flat_load_dwordx2 v[20:21], v[20:21]
	s_or_b64 exec, exec, s[0:1]
                                        ; implicit-def: $vgpr22_vgpr23
	s_and_saveexec_b64 s[0:1], s[18:19]
	s_cbranch_execz .LBB1120_60
.LBB1120_277:
	v_lshlrev_b32_e32 v22, 3, v26
	v_mov_b32_e32 v23, 0
	v_lshl_add_u64 v[22:23], s[50:51], 0, v[22:23]
	flat_load_dwordx2 v[22:23], v[22:23]
	s_or_b64 exec, exec, s[0:1]
                                        ; implicit-def: $vgpr26_vgpr27
	s_and_saveexec_b64 s[0:1], s[20:21]
	s_cbranch_execz .LBB1120_61
.LBB1120_278:
	v_lshlrev_b32_e32 v26, 3, v30
	v_mov_b32_e32 v27, 0
	v_lshl_add_u64 v[26:27], s[50:51], 0, v[26:27]
	flat_load_dwordx2 v[26:27], v[26:27]
	s_or_b64 exec, exec, s[0:1]
                                        ; implicit-def: $vgpr30_vgpr31
	s_and_saveexec_b64 s[0:1], s[22:23]
	s_cbranch_execz .LBB1120_62
.LBB1120_279:
	v_lshlrev_b32_e32 v30, 3, v34
	v_mov_b32_e32 v31, 0
	v_lshl_add_u64 v[30:31], s[50:51], 0, v[30:31]
	flat_load_dwordx2 v[30:31], v[30:31]
	s_or_b64 exec, exec, s[0:1]
                                        ; implicit-def: $vgpr34_vgpr35
	s_and_saveexec_b64 s[0:1], s[24:25]
	s_cbranch_execz .LBB1120_63
.LBB1120_280:
	v_lshlrev_b32_e32 v34, 3, v38
	v_mov_b32_e32 v35, 0
	v_lshl_add_u64 v[34:35], s[50:51], 0, v[34:35]
	flat_load_dwordx2 v[34:35], v[34:35]
	s_or_b64 exec, exec, s[0:1]
                                        ; implicit-def: $vgpr38_vgpr39
	s_and_saveexec_b64 s[0:1], s[26:27]
	s_cbranch_execz .LBB1120_64
.LBB1120_281:
	v_lshlrev_b32_e32 v38, 3, v42
	v_mov_b32_e32 v39, 0
	v_lshl_add_u64 v[38:39], s[50:51], 0, v[38:39]
	flat_load_dwordx2 v[38:39], v[38:39]
	s_or_b64 exec, exec, s[0:1]
                                        ; implicit-def: $vgpr42_vgpr43
	s_and_saveexec_b64 s[0:1], s[28:29]
	s_cbranch_execz .LBB1120_65
.LBB1120_282:
	v_lshlrev_b32_e32 v42, 3, v46
	v_mov_b32_e32 v43, 0
	v_lshl_add_u64 v[42:43], s[50:51], 0, v[42:43]
	flat_load_dwordx2 v[42:43], v[42:43]
	s_or_b64 exec, exec, s[0:1]
                                        ; implicit-def: $vgpr46_vgpr47
	s_and_saveexec_b64 s[0:1], s[30:31]
	s_cbranch_execz .LBB1120_66
.LBB1120_283:
	v_lshlrev_b32_e32 v46, 3, v48
	v_mov_b32_e32 v47, 0
	v_lshl_add_u64 v[46:47], s[50:51], 0, v[46:47]
	flat_load_dwordx2 v[46:47], v[46:47]
	s_or_b64 exec, exec, s[0:1]
                                        ; implicit-def: $vgpr48_vgpr49
	s_and_saveexec_b64 s[0:1], s[34:35]
	s_cbranch_execz .LBB1120_67
.LBB1120_284:
	v_lshlrev_b32_e32 v48, 3, v50
	v_mov_b32_e32 v49, 0
	v_lshl_add_u64 v[48:49], s[50:51], 0, v[48:49]
	flat_load_dwordx2 v[48:49], v[48:49]
	s_or_b64 exec, exec, s[0:1]
                                        ; implicit-def: $vgpr50_vgpr51
	s_and_saveexec_b64 s[0:1], s[36:37]
	s_cbranch_execz .LBB1120_68
.LBB1120_285:
	v_lshlrev_b32_e32 v50, 3, v52
	v_mov_b32_e32 v51, 0
	v_lshl_add_u64 v[50:51], s[50:51], 0, v[50:51]
	flat_load_dwordx2 v[50:51], v[50:51]
	s_or_b64 exec, exec, s[0:1]
                                        ; implicit-def: $vgpr52_vgpr53
	s_and_saveexec_b64 s[0:1], s[38:39]
	s_cbranch_execz .LBB1120_69
.LBB1120_286:
	v_lshlrev_b32_e32 v52, 3, v54
	v_mov_b32_e32 v53, 0
	v_lshl_add_u64 v[52:53], s[50:51], 0, v[52:53]
	flat_load_dwordx2 v[52:53], v[52:53]
	s_or_b64 exec, exec, s[0:1]
                                        ; implicit-def: $vgpr54_vgpr55
	s_and_saveexec_b64 s[0:1], s[40:41]
	s_cbranch_execz .LBB1120_70
.LBB1120_287:
	v_lshlrev_b32_e32 v54, 3, v56
	v_mov_b32_e32 v55, 0
	v_lshl_add_u64 v[54:55], s[50:51], 0, v[54:55]
	flat_load_dwordx2 v[54:55], v[54:55]
	s_or_b64 exec, exec, s[0:1]
                                        ; implicit-def: $vgpr56_vgpr57
	s_and_saveexec_b64 s[0:1], s[42:43]
	s_cbranch_execz .LBB1120_71
.LBB1120_288:
	v_lshlrev_b32_e32 v56, 3, v58
	v_mov_b32_e32 v57, 0
	v_lshl_add_u64 v[56:57], s[50:51], 0, v[56:57]
	flat_load_dwordx2 v[56:57], v[56:57]
	s_or_b64 exec, exec, s[0:1]
                                        ; implicit-def: $vgpr58_vgpr59
	s_and_saveexec_b64 s[0:1], s[44:45]
	s_cbranch_execz .LBB1120_72
.LBB1120_289:
	v_lshlrev_b32_e32 v58, 3, v60
	v_mov_b32_e32 v59, 0
	v_lshl_add_u64 v[58:59], s[50:51], 0, v[58:59]
	flat_load_dwordx2 v[58:59], v[58:59]
	s_or_b64 exec, exec, s[0:1]
                                        ; implicit-def: $vgpr60_vgpr61
	s_and_saveexec_b64 s[0:1], s[46:47]
	s_cbranch_execz .LBB1120_73
.LBB1120_290:
	v_lshlrev_b32_e32 v60, 3, v62
	v_mov_b32_e32 v61, 0
	v_lshl_add_u64 v[60:61], s[50:51], 0, v[60:61]
	flat_load_dwordx2 v[60:61], v[60:61]
	s_or_b64 exec, exec, s[0:1]
                                        ; implicit-def: $vgpr62_vgpr63
	s_and_saveexec_b64 s[0:1], s[48:49]
	s_cbranch_execnz .LBB1120_74
	s_branch .LBB1120_75
.LBB1120_291:
                                        ; implicit-def: $sgpr0_sgpr1
	s_branch .LBB1120_50
.LBB1120_292:
                                        ; implicit-def: $sgpr0_sgpr1
	s_branch .LBB1120_120
	.section	.rodata,"a",@progbits
	.p2align	6, 0x0
	.amdhsa_kernel _ZN7rocprim17ROCPRIM_400000_NS6detail17trampoline_kernelINS0_14default_configENS1_27scan_by_key_config_selectorIidEEZZNS1_16scan_by_key_implILNS1_25lookback_scan_determinismE0ELb0ES3_N6thrust23THRUST_200600_302600_NS6detail15normal_iteratorINS9_10device_ptrIiEEEENSB_INSC_IdEEEESG_dNS9_4plusIvEENS9_8equal_toIvEEdEE10hipError_tPvRmT2_T3_T4_T5_mT6_T7_P12ihipStream_tbENKUlT_T0_E_clISt17integral_constantIbLb0EES10_IbLb1EEEEDaSW_SX_EUlSW_E_NS1_11comp_targetILNS1_3genE5ELNS1_11target_archE942ELNS1_3gpuE9ELNS1_3repE0EEENS1_30default_config_static_selectorELNS0_4arch9wavefront6targetE1EEEvT1_
		.amdhsa_group_segment_fixed_size 43008
		.amdhsa_private_segment_fixed_size 0
		.amdhsa_kernarg_size 136
		.amdhsa_user_sgpr_count 2
		.amdhsa_user_sgpr_dispatch_ptr 0
		.amdhsa_user_sgpr_queue_ptr 0
		.amdhsa_user_sgpr_kernarg_segment_ptr 1
		.amdhsa_user_sgpr_dispatch_id 0
		.amdhsa_user_sgpr_kernarg_preload_length 0
		.amdhsa_user_sgpr_kernarg_preload_offset 0
		.amdhsa_user_sgpr_private_segment_size 0
		.amdhsa_uses_dynamic_stack 0
		.amdhsa_enable_private_segment 0
		.amdhsa_system_sgpr_workgroup_id_x 1
		.amdhsa_system_sgpr_workgroup_id_y 0
		.amdhsa_system_sgpr_workgroup_id_z 0
		.amdhsa_system_sgpr_workgroup_info 0
		.amdhsa_system_vgpr_workitem_id 0
		.amdhsa_next_free_vgpr 134
		.amdhsa_next_free_sgpr 100
		.amdhsa_accum_offset 136
		.amdhsa_reserve_vcc 1
		.amdhsa_float_round_mode_32 0
		.amdhsa_float_round_mode_16_64 0
		.amdhsa_float_denorm_mode_32 3
		.amdhsa_float_denorm_mode_16_64 3
		.amdhsa_dx10_clamp 1
		.amdhsa_ieee_mode 1
		.amdhsa_fp16_overflow 0
		.amdhsa_tg_split 0
		.amdhsa_exception_fp_ieee_invalid_op 0
		.amdhsa_exception_fp_denorm_src 0
		.amdhsa_exception_fp_ieee_div_zero 0
		.amdhsa_exception_fp_ieee_overflow 0
		.amdhsa_exception_fp_ieee_underflow 0
		.amdhsa_exception_fp_ieee_inexact 0
		.amdhsa_exception_int_div_zero 0
	.end_amdhsa_kernel
	.section	.text._ZN7rocprim17ROCPRIM_400000_NS6detail17trampoline_kernelINS0_14default_configENS1_27scan_by_key_config_selectorIidEEZZNS1_16scan_by_key_implILNS1_25lookback_scan_determinismE0ELb0ES3_N6thrust23THRUST_200600_302600_NS6detail15normal_iteratorINS9_10device_ptrIiEEEENSB_INSC_IdEEEESG_dNS9_4plusIvEENS9_8equal_toIvEEdEE10hipError_tPvRmT2_T3_T4_T5_mT6_T7_P12ihipStream_tbENKUlT_T0_E_clISt17integral_constantIbLb0EES10_IbLb1EEEEDaSW_SX_EUlSW_E_NS1_11comp_targetILNS1_3genE5ELNS1_11target_archE942ELNS1_3gpuE9ELNS1_3repE0EEENS1_30default_config_static_selectorELNS0_4arch9wavefront6targetE1EEEvT1_,"axG",@progbits,_ZN7rocprim17ROCPRIM_400000_NS6detail17trampoline_kernelINS0_14default_configENS1_27scan_by_key_config_selectorIidEEZZNS1_16scan_by_key_implILNS1_25lookback_scan_determinismE0ELb0ES3_N6thrust23THRUST_200600_302600_NS6detail15normal_iteratorINS9_10device_ptrIiEEEENSB_INSC_IdEEEESG_dNS9_4plusIvEENS9_8equal_toIvEEdEE10hipError_tPvRmT2_T3_T4_T5_mT6_T7_P12ihipStream_tbENKUlT_T0_E_clISt17integral_constantIbLb0EES10_IbLb1EEEEDaSW_SX_EUlSW_E_NS1_11comp_targetILNS1_3genE5ELNS1_11target_archE942ELNS1_3gpuE9ELNS1_3repE0EEENS1_30default_config_static_selectorELNS0_4arch9wavefront6targetE1EEEvT1_,comdat
.Lfunc_end1120:
	.size	_ZN7rocprim17ROCPRIM_400000_NS6detail17trampoline_kernelINS0_14default_configENS1_27scan_by_key_config_selectorIidEEZZNS1_16scan_by_key_implILNS1_25lookback_scan_determinismE0ELb0ES3_N6thrust23THRUST_200600_302600_NS6detail15normal_iteratorINS9_10device_ptrIiEEEENSB_INSC_IdEEEESG_dNS9_4plusIvEENS9_8equal_toIvEEdEE10hipError_tPvRmT2_T3_T4_T5_mT6_T7_P12ihipStream_tbENKUlT_T0_E_clISt17integral_constantIbLb0EES10_IbLb1EEEEDaSW_SX_EUlSW_E_NS1_11comp_targetILNS1_3genE5ELNS1_11target_archE942ELNS1_3gpuE9ELNS1_3repE0EEENS1_30default_config_static_selectorELNS0_4arch9wavefront6targetE1EEEvT1_, .Lfunc_end1120-_ZN7rocprim17ROCPRIM_400000_NS6detail17trampoline_kernelINS0_14default_configENS1_27scan_by_key_config_selectorIidEEZZNS1_16scan_by_key_implILNS1_25lookback_scan_determinismE0ELb0ES3_N6thrust23THRUST_200600_302600_NS6detail15normal_iteratorINS9_10device_ptrIiEEEENSB_INSC_IdEEEESG_dNS9_4plusIvEENS9_8equal_toIvEEdEE10hipError_tPvRmT2_T3_T4_T5_mT6_T7_P12ihipStream_tbENKUlT_T0_E_clISt17integral_constantIbLb0EES10_IbLb1EEEEDaSW_SX_EUlSW_E_NS1_11comp_targetILNS1_3genE5ELNS1_11target_archE942ELNS1_3gpuE9ELNS1_3repE0EEENS1_30default_config_static_selectorELNS0_4arch9wavefront6targetE1EEEvT1_
                                        ; -- End function
	.section	.AMDGPU.csdata,"",@progbits
; Kernel info:
; codeLenInByte = 17140
; NumSgprs: 106
; NumVgprs: 134
; NumAgprs: 0
; TotalNumVgprs: 134
; ScratchSize: 0
; MemoryBound: 0
; FloatMode: 240
; IeeeMode: 1
; LDSByteSize: 43008 bytes/workgroup (compile time only)
; SGPRBlocks: 13
; VGPRBlocks: 16
; NumSGPRsForWavesPerEU: 106
; NumVGPRsForWavesPerEU: 134
; AccumOffset: 136
; Occupancy: 1
; WaveLimiterHint : 1
; COMPUTE_PGM_RSRC2:SCRATCH_EN: 0
; COMPUTE_PGM_RSRC2:USER_SGPR: 2
; COMPUTE_PGM_RSRC2:TRAP_HANDLER: 0
; COMPUTE_PGM_RSRC2:TGID_X_EN: 1
; COMPUTE_PGM_RSRC2:TGID_Y_EN: 0
; COMPUTE_PGM_RSRC2:TGID_Z_EN: 0
; COMPUTE_PGM_RSRC2:TIDIG_COMP_CNT: 0
; COMPUTE_PGM_RSRC3_GFX90A:ACCUM_OFFSET: 33
; COMPUTE_PGM_RSRC3_GFX90A:TG_SPLIT: 0
	.section	.text._ZN7rocprim17ROCPRIM_400000_NS6detail17trampoline_kernelINS0_14default_configENS1_27scan_by_key_config_selectorIidEEZZNS1_16scan_by_key_implILNS1_25lookback_scan_determinismE0ELb0ES3_N6thrust23THRUST_200600_302600_NS6detail15normal_iteratorINS9_10device_ptrIiEEEENSB_INSC_IdEEEESG_dNS9_4plusIvEENS9_8equal_toIvEEdEE10hipError_tPvRmT2_T3_T4_T5_mT6_T7_P12ihipStream_tbENKUlT_T0_E_clISt17integral_constantIbLb0EES10_IbLb1EEEEDaSW_SX_EUlSW_E_NS1_11comp_targetILNS1_3genE4ELNS1_11target_archE910ELNS1_3gpuE8ELNS1_3repE0EEENS1_30default_config_static_selectorELNS0_4arch9wavefront6targetE1EEEvT1_,"axG",@progbits,_ZN7rocprim17ROCPRIM_400000_NS6detail17trampoline_kernelINS0_14default_configENS1_27scan_by_key_config_selectorIidEEZZNS1_16scan_by_key_implILNS1_25lookback_scan_determinismE0ELb0ES3_N6thrust23THRUST_200600_302600_NS6detail15normal_iteratorINS9_10device_ptrIiEEEENSB_INSC_IdEEEESG_dNS9_4plusIvEENS9_8equal_toIvEEdEE10hipError_tPvRmT2_T3_T4_T5_mT6_T7_P12ihipStream_tbENKUlT_T0_E_clISt17integral_constantIbLb0EES10_IbLb1EEEEDaSW_SX_EUlSW_E_NS1_11comp_targetILNS1_3genE4ELNS1_11target_archE910ELNS1_3gpuE8ELNS1_3repE0EEENS1_30default_config_static_selectorELNS0_4arch9wavefront6targetE1EEEvT1_,comdat
	.protected	_ZN7rocprim17ROCPRIM_400000_NS6detail17trampoline_kernelINS0_14default_configENS1_27scan_by_key_config_selectorIidEEZZNS1_16scan_by_key_implILNS1_25lookback_scan_determinismE0ELb0ES3_N6thrust23THRUST_200600_302600_NS6detail15normal_iteratorINS9_10device_ptrIiEEEENSB_INSC_IdEEEESG_dNS9_4plusIvEENS9_8equal_toIvEEdEE10hipError_tPvRmT2_T3_T4_T5_mT6_T7_P12ihipStream_tbENKUlT_T0_E_clISt17integral_constantIbLb0EES10_IbLb1EEEEDaSW_SX_EUlSW_E_NS1_11comp_targetILNS1_3genE4ELNS1_11target_archE910ELNS1_3gpuE8ELNS1_3repE0EEENS1_30default_config_static_selectorELNS0_4arch9wavefront6targetE1EEEvT1_ ; -- Begin function _ZN7rocprim17ROCPRIM_400000_NS6detail17trampoline_kernelINS0_14default_configENS1_27scan_by_key_config_selectorIidEEZZNS1_16scan_by_key_implILNS1_25lookback_scan_determinismE0ELb0ES3_N6thrust23THRUST_200600_302600_NS6detail15normal_iteratorINS9_10device_ptrIiEEEENSB_INSC_IdEEEESG_dNS9_4plusIvEENS9_8equal_toIvEEdEE10hipError_tPvRmT2_T3_T4_T5_mT6_T7_P12ihipStream_tbENKUlT_T0_E_clISt17integral_constantIbLb0EES10_IbLb1EEEEDaSW_SX_EUlSW_E_NS1_11comp_targetILNS1_3genE4ELNS1_11target_archE910ELNS1_3gpuE8ELNS1_3repE0EEENS1_30default_config_static_selectorELNS0_4arch9wavefront6targetE1EEEvT1_
	.globl	_ZN7rocprim17ROCPRIM_400000_NS6detail17trampoline_kernelINS0_14default_configENS1_27scan_by_key_config_selectorIidEEZZNS1_16scan_by_key_implILNS1_25lookback_scan_determinismE0ELb0ES3_N6thrust23THRUST_200600_302600_NS6detail15normal_iteratorINS9_10device_ptrIiEEEENSB_INSC_IdEEEESG_dNS9_4plusIvEENS9_8equal_toIvEEdEE10hipError_tPvRmT2_T3_T4_T5_mT6_T7_P12ihipStream_tbENKUlT_T0_E_clISt17integral_constantIbLb0EES10_IbLb1EEEEDaSW_SX_EUlSW_E_NS1_11comp_targetILNS1_3genE4ELNS1_11target_archE910ELNS1_3gpuE8ELNS1_3repE0EEENS1_30default_config_static_selectorELNS0_4arch9wavefront6targetE1EEEvT1_
	.p2align	8
	.type	_ZN7rocprim17ROCPRIM_400000_NS6detail17trampoline_kernelINS0_14default_configENS1_27scan_by_key_config_selectorIidEEZZNS1_16scan_by_key_implILNS1_25lookback_scan_determinismE0ELb0ES3_N6thrust23THRUST_200600_302600_NS6detail15normal_iteratorINS9_10device_ptrIiEEEENSB_INSC_IdEEEESG_dNS9_4plusIvEENS9_8equal_toIvEEdEE10hipError_tPvRmT2_T3_T4_T5_mT6_T7_P12ihipStream_tbENKUlT_T0_E_clISt17integral_constantIbLb0EES10_IbLb1EEEEDaSW_SX_EUlSW_E_NS1_11comp_targetILNS1_3genE4ELNS1_11target_archE910ELNS1_3gpuE8ELNS1_3repE0EEENS1_30default_config_static_selectorELNS0_4arch9wavefront6targetE1EEEvT1_,@function
_ZN7rocprim17ROCPRIM_400000_NS6detail17trampoline_kernelINS0_14default_configENS1_27scan_by_key_config_selectorIidEEZZNS1_16scan_by_key_implILNS1_25lookback_scan_determinismE0ELb0ES3_N6thrust23THRUST_200600_302600_NS6detail15normal_iteratorINS9_10device_ptrIiEEEENSB_INSC_IdEEEESG_dNS9_4plusIvEENS9_8equal_toIvEEdEE10hipError_tPvRmT2_T3_T4_T5_mT6_T7_P12ihipStream_tbENKUlT_T0_E_clISt17integral_constantIbLb0EES10_IbLb1EEEEDaSW_SX_EUlSW_E_NS1_11comp_targetILNS1_3genE4ELNS1_11target_archE910ELNS1_3gpuE8ELNS1_3repE0EEENS1_30default_config_static_selectorELNS0_4arch9wavefront6targetE1EEEvT1_: ; @_ZN7rocprim17ROCPRIM_400000_NS6detail17trampoline_kernelINS0_14default_configENS1_27scan_by_key_config_selectorIidEEZZNS1_16scan_by_key_implILNS1_25lookback_scan_determinismE0ELb0ES3_N6thrust23THRUST_200600_302600_NS6detail15normal_iteratorINS9_10device_ptrIiEEEENSB_INSC_IdEEEESG_dNS9_4plusIvEENS9_8equal_toIvEEdEE10hipError_tPvRmT2_T3_T4_T5_mT6_T7_P12ihipStream_tbENKUlT_T0_E_clISt17integral_constantIbLb0EES10_IbLb1EEEEDaSW_SX_EUlSW_E_NS1_11comp_targetILNS1_3genE4ELNS1_11target_archE910ELNS1_3gpuE8ELNS1_3repE0EEENS1_30default_config_static_selectorELNS0_4arch9wavefront6targetE1EEEvT1_
; %bb.0:
	.section	.rodata,"a",@progbits
	.p2align	6, 0x0
	.amdhsa_kernel _ZN7rocprim17ROCPRIM_400000_NS6detail17trampoline_kernelINS0_14default_configENS1_27scan_by_key_config_selectorIidEEZZNS1_16scan_by_key_implILNS1_25lookback_scan_determinismE0ELb0ES3_N6thrust23THRUST_200600_302600_NS6detail15normal_iteratorINS9_10device_ptrIiEEEENSB_INSC_IdEEEESG_dNS9_4plusIvEENS9_8equal_toIvEEdEE10hipError_tPvRmT2_T3_T4_T5_mT6_T7_P12ihipStream_tbENKUlT_T0_E_clISt17integral_constantIbLb0EES10_IbLb1EEEEDaSW_SX_EUlSW_E_NS1_11comp_targetILNS1_3genE4ELNS1_11target_archE910ELNS1_3gpuE8ELNS1_3repE0EEENS1_30default_config_static_selectorELNS0_4arch9wavefront6targetE1EEEvT1_
		.amdhsa_group_segment_fixed_size 0
		.amdhsa_private_segment_fixed_size 0
		.amdhsa_kernarg_size 136
		.amdhsa_user_sgpr_count 2
		.amdhsa_user_sgpr_dispatch_ptr 0
		.amdhsa_user_sgpr_queue_ptr 0
		.amdhsa_user_sgpr_kernarg_segment_ptr 1
		.amdhsa_user_sgpr_dispatch_id 0
		.amdhsa_user_sgpr_kernarg_preload_length 0
		.amdhsa_user_sgpr_kernarg_preload_offset 0
		.amdhsa_user_sgpr_private_segment_size 0
		.amdhsa_uses_dynamic_stack 0
		.amdhsa_enable_private_segment 0
		.amdhsa_system_sgpr_workgroup_id_x 1
		.amdhsa_system_sgpr_workgroup_id_y 0
		.amdhsa_system_sgpr_workgroup_id_z 0
		.amdhsa_system_sgpr_workgroup_info 0
		.amdhsa_system_vgpr_workitem_id 0
		.amdhsa_next_free_vgpr 1
		.amdhsa_next_free_sgpr 0
		.amdhsa_accum_offset 4
		.amdhsa_reserve_vcc 0
		.amdhsa_float_round_mode_32 0
		.amdhsa_float_round_mode_16_64 0
		.amdhsa_float_denorm_mode_32 3
		.amdhsa_float_denorm_mode_16_64 3
		.amdhsa_dx10_clamp 1
		.amdhsa_ieee_mode 1
		.amdhsa_fp16_overflow 0
		.amdhsa_tg_split 0
		.amdhsa_exception_fp_ieee_invalid_op 0
		.amdhsa_exception_fp_denorm_src 0
		.amdhsa_exception_fp_ieee_div_zero 0
		.amdhsa_exception_fp_ieee_overflow 0
		.amdhsa_exception_fp_ieee_underflow 0
		.amdhsa_exception_fp_ieee_inexact 0
		.amdhsa_exception_int_div_zero 0
	.end_amdhsa_kernel
	.section	.text._ZN7rocprim17ROCPRIM_400000_NS6detail17trampoline_kernelINS0_14default_configENS1_27scan_by_key_config_selectorIidEEZZNS1_16scan_by_key_implILNS1_25lookback_scan_determinismE0ELb0ES3_N6thrust23THRUST_200600_302600_NS6detail15normal_iteratorINS9_10device_ptrIiEEEENSB_INSC_IdEEEESG_dNS9_4plusIvEENS9_8equal_toIvEEdEE10hipError_tPvRmT2_T3_T4_T5_mT6_T7_P12ihipStream_tbENKUlT_T0_E_clISt17integral_constantIbLb0EES10_IbLb1EEEEDaSW_SX_EUlSW_E_NS1_11comp_targetILNS1_3genE4ELNS1_11target_archE910ELNS1_3gpuE8ELNS1_3repE0EEENS1_30default_config_static_selectorELNS0_4arch9wavefront6targetE1EEEvT1_,"axG",@progbits,_ZN7rocprim17ROCPRIM_400000_NS6detail17trampoline_kernelINS0_14default_configENS1_27scan_by_key_config_selectorIidEEZZNS1_16scan_by_key_implILNS1_25lookback_scan_determinismE0ELb0ES3_N6thrust23THRUST_200600_302600_NS6detail15normal_iteratorINS9_10device_ptrIiEEEENSB_INSC_IdEEEESG_dNS9_4plusIvEENS9_8equal_toIvEEdEE10hipError_tPvRmT2_T3_T4_T5_mT6_T7_P12ihipStream_tbENKUlT_T0_E_clISt17integral_constantIbLb0EES10_IbLb1EEEEDaSW_SX_EUlSW_E_NS1_11comp_targetILNS1_3genE4ELNS1_11target_archE910ELNS1_3gpuE8ELNS1_3repE0EEENS1_30default_config_static_selectorELNS0_4arch9wavefront6targetE1EEEvT1_,comdat
.Lfunc_end1121:
	.size	_ZN7rocprim17ROCPRIM_400000_NS6detail17trampoline_kernelINS0_14default_configENS1_27scan_by_key_config_selectorIidEEZZNS1_16scan_by_key_implILNS1_25lookback_scan_determinismE0ELb0ES3_N6thrust23THRUST_200600_302600_NS6detail15normal_iteratorINS9_10device_ptrIiEEEENSB_INSC_IdEEEESG_dNS9_4plusIvEENS9_8equal_toIvEEdEE10hipError_tPvRmT2_T3_T4_T5_mT6_T7_P12ihipStream_tbENKUlT_T0_E_clISt17integral_constantIbLb0EES10_IbLb1EEEEDaSW_SX_EUlSW_E_NS1_11comp_targetILNS1_3genE4ELNS1_11target_archE910ELNS1_3gpuE8ELNS1_3repE0EEENS1_30default_config_static_selectorELNS0_4arch9wavefront6targetE1EEEvT1_, .Lfunc_end1121-_ZN7rocprim17ROCPRIM_400000_NS6detail17trampoline_kernelINS0_14default_configENS1_27scan_by_key_config_selectorIidEEZZNS1_16scan_by_key_implILNS1_25lookback_scan_determinismE0ELb0ES3_N6thrust23THRUST_200600_302600_NS6detail15normal_iteratorINS9_10device_ptrIiEEEENSB_INSC_IdEEEESG_dNS9_4plusIvEENS9_8equal_toIvEEdEE10hipError_tPvRmT2_T3_T4_T5_mT6_T7_P12ihipStream_tbENKUlT_T0_E_clISt17integral_constantIbLb0EES10_IbLb1EEEEDaSW_SX_EUlSW_E_NS1_11comp_targetILNS1_3genE4ELNS1_11target_archE910ELNS1_3gpuE8ELNS1_3repE0EEENS1_30default_config_static_selectorELNS0_4arch9wavefront6targetE1EEEvT1_
                                        ; -- End function
	.section	.AMDGPU.csdata,"",@progbits
; Kernel info:
; codeLenInByte = 0
; NumSgprs: 6
; NumVgprs: 0
; NumAgprs: 0
; TotalNumVgprs: 0
; ScratchSize: 0
; MemoryBound: 0
; FloatMode: 240
; IeeeMode: 1
; LDSByteSize: 0 bytes/workgroup (compile time only)
; SGPRBlocks: 0
; VGPRBlocks: 0
; NumSGPRsForWavesPerEU: 6
; NumVGPRsForWavesPerEU: 1
; AccumOffset: 4
; Occupancy: 8
; WaveLimiterHint : 0
; COMPUTE_PGM_RSRC2:SCRATCH_EN: 0
; COMPUTE_PGM_RSRC2:USER_SGPR: 2
; COMPUTE_PGM_RSRC2:TRAP_HANDLER: 0
; COMPUTE_PGM_RSRC2:TGID_X_EN: 1
; COMPUTE_PGM_RSRC2:TGID_Y_EN: 0
; COMPUTE_PGM_RSRC2:TGID_Z_EN: 0
; COMPUTE_PGM_RSRC2:TIDIG_COMP_CNT: 0
; COMPUTE_PGM_RSRC3_GFX90A:ACCUM_OFFSET: 0
; COMPUTE_PGM_RSRC3_GFX90A:TG_SPLIT: 0
	.section	.text._ZN7rocprim17ROCPRIM_400000_NS6detail17trampoline_kernelINS0_14default_configENS1_27scan_by_key_config_selectorIidEEZZNS1_16scan_by_key_implILNS1_25lookback_scan_determinismE0ELb0ES3_N6thrust23THRUST_200600_302600_NS6detail15normal_iteratorINS9_10device_ptrIiEEEENSB_INSC_IdEEEESG_dNS9_4plusIvEENS9_8equal_toIvEEdEE10hipError_tPvRmT2_T3_T4_T5_mT6_T7_P12ihipStream_tbENKUlT_T0_E_clISt17integral_constantIbLb0EES10_IbLb1EEEEDaSW_SX_EUlSW_E_NS1_11comp_targetILNS1_3genE3ELNS1_11target_archE908ELNS1_3gpuE7ELNS1_3repE0EEENS1_30default_config_static_selectorELNS0_4arch9wavefront6targetE1EEEvT1_,"axG",@progbits,_ZN7rocprim17ROCPRIM_400000_NS6detail17trampoline_kernelINS0_14default_configENS1_27scan_by_key_config_selectorIidEEZZNS1_16scan_by_key_implILNS1_25lookback_scan_determinismE0ELb0ES3_N6thrust23THRUST_200600_302600_NS6detail15normal_iteratorINS9_10device_ptrIiEEEENSB_INSC_IdEEEESG_dNS9_4plusIvEENS9_8equal_toIvEEdEE10hipError_tPvRmT2_T3_T4_T5_mT6_T7_P12ihipStream_tbENKUlT_T0_E_clISt17integral_constantIbLb0EES10_IbLb1EEEEDaSW_SX_EUlSW_E_NS1_11comp_targetILNS1_3genE3ELNS1_11target_archE908ELNS1_3gpuE7ELNS1_3repE0EEENS1_30default_config_static_selectorELNS0_4arch9wavefront6targetE1EEEvT1_,comdat
	.protected	_ZN7rocprim17ROCPRIM_400000_NS6detail17trampoline_kernelINS0_14default_configENS1_27scan_by_key_config_selectorIidEEZZNS1_16scan_by_key_implILNS1_25lookback_scan_determinismE0ELb0ES3_N6thrust23THRUST_200600_302600_NS6detail15normal_iteratorINS9_10device_ptrIiEEEENSB_INSC_IdEEEESG_dNS9_4plusIvEENS9_8equal_toIvEEdEE10hipError_tPvRmT2_T3_T4_T5_mT6_T7_P12ihipStream_tbENKUlT_T0_E_clISt17integral_constantIbLb0EES10_IbLb1EEEEDaSW_SX_EUlSW_E_NS1_11comp_targetILNS1_3genE3ELNS1_11target_archE908ELNS1_3gpuE7ELNS1_3repE0EEENS1_30default_config_static_selectorELNS0_4arch9wavefront6targetE1EEEvT1_ ; -- Begin function _ZN7rocprim17ROCPRIM_400000_NS6detail17trampoline_kernelINS0_14default_configENS1_27scan_by_key_config_selectorIidEEZZNS1_16scan_by_key_implILNS1_25lookback_scan_determinismE0ELb0ES3_N6thrust23THRUST_200600_302600_NS6detail15normal_iteratorINS9_10device_ptrIiEEEENSB_INSC_IdEEEESG_dNS9_4plusIvEENS9_8equal_toIvEEdEE10hipError_tPvRmT2_T3_T4_T5_mT6_T7_P12ihipStream_tbENKUlT_T0_E_clISt17integral_constantIbLb0EES10_IbLb1EEEEDaSW_SX_EUlSW_E_NS1_11comp_targetILNS1_3genE3ELNS1_11target_archE908ELNS1_3gpuE7ELNS1_3repE0EEENS1_30default_config_static_selectorELNS0_4arch9wavefront6targetE1EEEvT1_
	.globl	_ZN7rocprim17ROCPRIM_400000_NS6detail17trampoline_kernelINS0_14default_configENS1_27scan_by_key_config_selectorIidEEZZNS1_16scan_by_key_implILNS1_25lookback_scan_determinismE0ELb0ES3_N6thrust23THRUST_200600_302600_NS6detail15normal_iteratorINS9_10device_ptrIiEEEENSB_INSC_IdEEEESG_dNS9_4plusIvEENS9_8equal_toIvEEdEE10hipError_tPvRmT2_T3_T4_T5_mT6_T7_P12ihipStream_tbENKUlT_T0_E_clISt17integral_constantIbLb0EES10_IbLb1EEEEDaSW_SX_EUlSW_E_NS1_11comp_targetILNS1_3genE3ELNS1_11target_archE908ELNS1_3gpuE7ELNS1_3repE0EEENS1_30default_config_static_selectorELNS0_4arch9wavefront6targetE1EEEvT1_
	.p2align	8
	.type	_ZN7rocprim17ROCPRIM_400000_NS6detail17trampoline_kernelINS0_14default_configENS1_27scan_by_key_config_selectorIidEEZZNS1_16scan_by_key_implILNS1_25lookback_scan_determinismE0ELb0ES3_N6thrust23THRUST_200600_302600_NS6detail15normal_iteratorINS9_10device_ptrIiEEEENSB_INSC_IdEEEESG_dNS9_4plusIvEENS9_8equal_toIvEEdEE10hipError_tPvRmT2_T3_T4_T5_mT6_T7_P12ihipStream_tbENKUlT_T0_E_clISt17integral_constantIbLb0EES10_IbLb1EEEEDaSW_SX_EUlSW_E_NS1_11comp_targetILNS1_3genE3ELNS1_11target_archE908ELNS1_3gpuE7ELNS1_3repE0EEENS1_30default_config_static_selectorELNS0_4arch9wavefront6targetE1EEEvT1_,@function
_ZN7rocprim17ROCPRIM_400000_NS6detail17trampoline_kernelINS0_14default_configENS1_27scan_by_key_config_selectorIidEEZZNS1_16scan_by_key_implILNS1_25lookback_scan_determinismE0ELb0ES3_N6thrust23THRUST_200600_302600_NS6detail15normal_iteratorINS9_10device_ptrIiEEEENSB_INSC_IdEEEESG_dNS9_4plusIvEENS9_8equal_toIvEEdEE10hipError_tPvRmT2_T3_T4_T5_mT6_T7_P12ihipStream_tbENKUlT_T0_E_clISt17integral_constantIbLb0EES10_IbLb1EEEEDaSW_SX_EUlSW_E_NS1_11comp_targetILNS1_3genE3ELNS1_11target_archE908ELNS1_3gpuE7ELNS1_3repE0EEENS1_30default_config_static_selectorELNS0_4arch9wavefront6targetE1EEEvT1_: ; @_ZN7rocprim17ROCPRIM_400000_NS6detail17trampoline_kernelINS0_14default_configENS1_27scan_by_key_config_selectorIidEEZZNS1_16scan_by_key_implILNS1_25lookback_scan_determinismE0ELb0ES3_N6thrust23THRUST_200600_302600_NS6detail15normal_iteratorINS9_10device_ptrIiEEEENSB_INSC_IdEEEESG_dNS9_4plusIvEENS9_8equal_toIvEEdEE10hipError_tPvRmT2_T3_T4_T5_mT6_T7_P12ihipStream_tbENKUlT_T0_E_clISt17integral_constantIbLb0EES10_IbLb1EEEEDaSW_SX_EUlSW_E_NS1_11comp_targetILNS1_3genE3ELNS1_11target_archE908ELNS1_3gpuE7ELNS1_3repE0EEENS1_30default_config_static_selectorELNS0_4arch9wavefront6targetE1EEEvT1_
; %bb.0:
	.section	.rodata,"a",@progbits
	.p2align	6, 0x0
	.amdhsa_kernel _ZN7rocprim17ROCPRIM_400000_NS6detail17trampoline_kernelINS0_14default_configENS1_27scan_by_key_config_selectorIidEEZZNS1_16scan_by_key_implILNS1_25lookback_scan_determinismE0ELb0ES3_N6thrust23THRUST_200600_302600_NS6detail15normal_iteratorINS9_10device_ptrIiEEEENSB_INSC_IdEEEESG_dNS9_4plusIvEENS9_8equal_toIvEEdEE10hipError_tPvRmT2_T3_T4_T5_mT6_T7_P12ihipStream_tbENKUlT_T0_E_clISt17integral_constantIbLb0EES10_IbLb1EEEEDaSW_SX_EUlSW_E_NS1_11comp_targetILNS1_3genE3ELNS1_11target_archE908ELNS1_3gpuE7ELNS1_3repE0EEENS1_30default_config_static_selectorELNS0_4arch9wavefront6targetE1EEEvT1_
		.amdhsa_group_segment_fixed_size 0
		.amdhsa_private_segment_fixed_size 0
		.amdhsa_kernarg_size 136
		.amdhsa_user_sgpr_count 2
		.amdhsa_user_sgpr_dispatch_ptr 0
		.amdhsa_user_sgpr_queue_ptr 0
		.amdhsa_user_sgpr_kernarg_segment_ptr 1
		.amdhsa_user_sgpr_dispatch_id 0
		.amdhsa_user_sgpr_kernarg_preload_length 0
		.amdhsa_user_sgpr_kernarg_preload_offset 0
		.amdhsa_user_sgpr_private_segment_size 0
		.amdhsa_uses_dynamic_stack 0
		.amdhsa_enable_private_segment 0
		.amdhsa_system_sgpr_workgroup_id_x 1
		.amdhsa_system_sgpr_workgroup_id_y 0
		.amdhsa_system_sgpr_workgroup_id_z 0
		.amdhsa_system_sgpr_workgroup_info 0
		.amdhsa_system_vgpr_workitem_id 0
		.amdhsa_next_free_vgpr 1
		.amdhsa_next_free_sgpr 0
		.amdhsa_accum_offset 4
		.amdhsa_reserve_vcc 0
		.amdhsa_float_round_mode_32 0
		.amdhsa_float_round_mode_16_64 0
		.amdhsa_float_denorm_mode_32 3
		.amdhsa_float_denorm_mode_16_64 3
		.amdhsa_dx10_clamp 1
		.amdhsa_ieee_mode 1
		.amdhsa_fp16_overflow 0
		.amdhsa_tg_split 0
		.amdhsa_exception_fp_ieee_invalid_op 0
		.amdhsa_exception_fp_denorm_src 0
		.amdhsa_exception_fp_ieee_div_zero 0
		.amdhsa_exception_fp_ieee_overflow 0
		.amdhsa_exception_fp_ieee_underflow 0
		.amdhsa_exception_fp_ieee_inexact 0
		.amdhsa_exception_int_div_zero 0
	.end_amdhsa_kernel
	.section	.text._ZN7rocprim17ROCPRIM_400000_NS6detail17trampoline_kernelINS0_14default_configENS1_27scan_by_key_config_selectorIidEEZZNS1_16scan_by_key_implILNS1_25lookback_scan_determinismE0ELb0ES3_N6thrust23THRUST_200600_302600_NS6detail15normal_iteratorINS9_10device_ptrIiEEEENSB_INSC_IdEEEESG_dNS9_4plusIvEENS9_8equal_toIvEEdEE10hipError_tPvRmT2_T3_T4_T5_mT6_T7_P12ihipStream_tbENKUlT_T0_E_clISt17integral_constantIbLb0EES10_IbLb1EEEEDaSW_SX_EUlSW_E_NS1_11comp_targetILNS1_3genE3ELNS1_11target_archE908ELNS1_3gpuE7ELNS1_3repE0EEENS1_30default_config_static_selectorELNS0_4arch9wavefront6targetE1EEEvT1_,"axG",@progbits,_ZN7rocprim17ROCPRIM_400000_NS6detail17trampoline_kernelINS0_14default_configENS1_27scan_by_key_config_selectorIidEEZZNS1_16scan_by_key_implILNS1_25lookback_scan_determinismE0ELb0ES3_N6thrust23THRUST_200600_302600_NS6detail15normal_iteratorINS9_10device_ptrIiEEEENSB_INSC_IdEEEESG_dNS9_4plusIvEENS9_8equal_toIvEEdEE10hipError_tPvRmT2_T3_T4_T5_mT6_T7_P12ihipStream_tbENKUlT_T0_E_clISt17integral_constantIbLb0EES10_IbLb1EEEEDaSW_SX_EUlSW_E_NS1_11comp_targetILNS1_3genE3ELNS1_11target_archE908ELNS1_3gpuE7ELNS1_3repE0EEENS1_30default_config_static_selectorELNS0_4arch9wavefront6targetE1EEEvT1_,comdat
.Lfunc_end1122:
	.size	_ZN7rocprim17ROCPRIM_400000_NS6detail17trampoline_kernelINS0_14default_configENS1_27scan_by_key_config_selectorIidEEZZNS1_16scan_by_key_implILNS1_25lookback_scan_determinismE0ELb0ES3_N6thrust23THRUST_200600_302600_NS6detail15normal_iteratorINS9_10device_ptrIiEEEENSB_INSC_IdEEEESG_dNS9_4plusIvEENS9_8equal_toIvEEdEE10hipError_tPvRmT2_T3_T4_T5_mT6_T7_P12ihipStream_tbENKUlT_T0_E_clISt17integral_constantIbLb0EES10_IbLb1EEEEDaSW_SX_EUlSW_E_NS1_11comp_targetILNS1_3genE3ELNS1_11target_archE908ELNS1_3gpuE7ELNS1_3repE0EEENS1_30default_config_static_selectorELNS0_4arch9wavefront6targetE1EEEvT1_, .Lfunc_end1122-_ZN7rocprim17ROCPRIM_400000_NS6detail17trampoline_kernelINS0_14default_configENS1_27scan_by_key_config_selectorIidEEZZNS1_16scan_by_key_implILNS1_25lookback_scan_determinismE0ELb0ES3_N6thrust23THRUST_200600_302600_NS6detail15normal_iteratorINS9_10device_ptrIiEEEENSB_INSC_IdEEEESG_dNS9_4plusIvEENS9_8equal_toIvEEdEE10hipError_tPvRmT2_T3_T4_T5_mT6_T7_P12ihipStream_tbENKUlT_T0_E_clISt17integral_constantIbLb0EES10_IbLb1EEEEDaSW_SX_EUlSW_E_NS1_11comp_targetILNS1_3genE3ELNS1_11target_archE908ELNS1_3gpuE7ELNS1_3repE0EEENS1_30default_config_static_selectorELNS0_4arch9wavefront6targetE1EEEvT1_
                                        ; -- End function
	.section	.AMDGPU.csdata,"",@progbits
; Kernel info:
; codeLenInByte = 0
; NumSgprs: 6
; NumVgprs: 0
; NumAgprs: 0
; TotalNumVgprs: 0
; ScratchSize: 0
; MemoryBound: 0
; FloatMode: 240
; IeeeMode: 1
; LDSByteSize: 0 bytes/workgroup (compile time only)
; SGPRBlocks: 0
; VGPRBlocks: 0
; NumSGPRsForWavesPerEU: 6
; NumVGPRsForWavesPerEU: 1
; AccumOffset: 4
; Occupancy: 8
; WaveLimiterHint : 0
; COMPUTE_PGM_RSRC2:SCRATCH_EN: 0
; COMPUTE_PGM_RSRC2:USER_SGPR: 2
; COMPUTE_PGM_RSRC2:TRAP_HANDLER: 0
; COMPUTE_PGM_RSRC2:TGID_X_EN: 1
; COMPUTE_PGM_RSRC2:TGID_Y_EN: 0
; COMPUTE_PGM_RSRC2:TGID_Z_EN: 0
; COMPUTE_PGM_RSRC2:TIDIG_COMP_CNT: 0
; COMPUTE_PGM_RSRC3_GFX90A:ACCUM_OFFSET: 0
; COMPUTE_PGM_RSRC3_GFX90A:TG_SPLIT: 0
	.section	.text._ZN7rocprim17ROCPRIM_400000_NS6detail17trampoline_kernelINS0_14default_configENS1_27scan_by_key_config_selectorIidEEZZNS1_16scan_by_key_implILNS1_25lookback_scan_determinismE0ELb0ES3_N6thrust23THRUST_200600_302600_NS6detail15normal_iteratorINS9_10device_ptrIiEEEENSB_INSC_IdEEEESG_dNS9_4plusIvEENS9_8equal_toIvEEdEE10hipError_tPvRmT2_T3_T4_T5_mT6_T7_P12ihipStream_tbENKUlT_T0_E_clISt17integral_constantIbLb0EES10_IbLb1EEEEDaSW_SX_EUlSW_E_NS1_11comp_targetILNS1_3genE2ELNS1_11target_archE906ELNS1_3gpuE6ELNS1_3repE0EEENS1_30default_config_static_selectorELNS0_4arch9wavefront6targetE1EEEvT1_,"axG",@progbits,_ZN7rocprim17ROCPRIM_400000_NS6detail17trampoline_kernelINS0_14default_configENS1_27scan_by_key_config_selectorIidEEZZNS1_16scan_by_key_implILNS1_25lookback_scan_determinismE0ELb0ES3_N6thrust23THRUST_200600_302600_NS6detail15normal_iteratorINS9_10device_ptrIiEEEENSB_INSC_IdEEEESG_dNS9_4plusIvEENS9_8equal_toIvEEdEE10hipError_tPvRmT2_T3_T4_T5_mT6_T7_P12ihipStream_tbENKUlT_T0_E_clISt17integral_constantIbLb0EES10_IbLb1EEEEDaSW_SX_EUlSW_E_NS1_11comp_targetILNS1_3genE2ELNS1_11target_archE906ELNS1_3gpuE6ELNS1_3repE0EEENS1_30default_config_static_selectorELNS0_4arch9wavefront6targetE1EEEvT1_,comdat
	.protected	_ZN7rocprim17ROCPRIM_400000_NS6detail17trampoline_kernelINS0_14default_configENS1_27scan_by_key_config_selectorIidEEZZNS1_16scan_by_key_implILNS1_25lookback_scan_determinismE0ELb0ES3_N6thrust23THRUST_200600_302600_NS6detail15normal_iteratorINS9_10device_ptrIiEEEENSB_INSC_IdEEEESG_dNS9_4plusIvEENS9_8equal_toIvEEdEE10hipError_tPvRmT2_T3_T4_T5_mT6_T7_P12ihipStream_tbENKUlT_T0_E_clISt17integral_constantIbLb0EES10_IbLb1EEEEDaSW_SX_EUlSW_E_NS1_11comp_targetILNS1_3genE2ELNS1_11target_archE906ELNS1_3gpuE6ELNS1_3repE0EEENS1_30default_config_static_selectorELNS0_4arch9wavefront6targetE1EEEvT1_ ; -- Begin function _ZN7rocprim17ROCPRIM_400000_NS6detail17trampoline_kernelINS0_14default_configENS1_27scan_by_key_config_selectorIidEEZZNS1_16scan_by_key_implILNS1_25lookback_scan_determinismE0ELb0ES3_N6thrust23THRUST_200600_302600_NS6detail15normal_iteratorINS9_10device_ptrIiEEEENSB_INSC_IdEEEESG_dNS9_4plusIvEENS9_8equal_toIvEEdEE10hipError_tPvRmT2_T3_T4_T5_mT6_T7_P12ihipStream_tbENKUlT_T0_E_clISt17integral_constantIbLb0EES10_IbLb1EEEEDaSW_SX_EUlSW_E_NS1_11comp_targetILNS1_3genE2ELNS1_11target_archE906ELNS1_3gpuE6ELNS1_3repE0EEENS1_30default_config_static_selectorELNS0_4arch9wavefront6targetE1EEEvT1_
	.globl	_ZN7rocprim17ROCPRIM_400000_NS6detail17trampoline_kernelINS0_14default_configENS1_27scan_by_key_config_selectorIidEEZZNS1_16scan_by_key_implILNS1_25lookback_scan_determinismE0ELb0ES3_N6thrust23THRUST_200600_302600_NS6detail15normal_iteratorINS9_10device_ptrIiEEEENSB_INSC_IdEEEESG_dNS9_4plusIvEENS9_8equal_toIvEEdEE10hipError_tPvRmT2_T3_T4_T5_mT6_T7_P12ihipStream_tbENKUlT_T0_E_clISt17integral_constantIbLb0EES10_IbLb1EEEEDaSW_SX_EUlSW_E_NS1_11comp_targetILNS1_3genE2ELNS1_11target_archE906ELNS1_3gpuE6ELNS1_3repE0EEENS1_30default_config_static_selectorELNS0_4arch9wavefront6targetE1EEEvT1_
	.p2align	8
	.type	_ZN7rocprim17ROCPRIM_400000_NS6detail17trampoline_kernelINS0_14default_configENS1_27scan_by_key_config_selectorIidEEZZNS1_16scan_by_key_implILNS1_25lookback_scan_determinismE0ELb0ES3_N6thrust23THRUST_200600_302600_NS6detail15normal_iteratorINS9_10device_ptrIiEEEENSB_INSC_IdEEEESG_dNS9_4plusIvEENS9_8equal_toIvEEdEE10hipError_tPvRmT2_T3_T4_T5_mT6_T7_P12ihipStream_tbENKUlT_T0_E_clISt17integral_constantIbLb0EES10_IbLb1EEEEDaSW_SX_EUlSW_E_NS1_11comp_targetILNS1_3genE2ELNS1_11target_archE906ELNS1_3gpuE6ELNS1_3repE0EEENS1_30default_config_static_selectorELNS0_4arch9wavefront6targetE1EEEvT1_,@function
_ZN7rocprim17ROCPRIM_400000_NS6detail17trampoline_kernelINS0_14default_configENS1_27scan_by_key_config_selectorIidEEZZNS1_16scan_by_key_implILNS1_25lookback_scan_determinismE0ELb0ES3_N6thrust23THRUST_200600_302600_NS6detail15normal_iteratorINS9_10device_ptrIiEEEENSB_INSC_IdEEEESG_dNS9_4plusIvEENS9_8equal_toIvEEdEE10hipError_tPvRmT2_T3_T4_T5_mT6_T7_P12ihipStream_tbENKUlT_T0_E_clISt17integral_constantIbLb0EES10_IbLb1EEEEDaSW_SX_EUlSW_E_NS1_11comp_targetILNS1_3genE2ELNS1_11target_archE906ELNS1_3gpuE6ELNS1_3repE0EEENS1_30default_config_static_selectorELNS0_4arch9wavefront6targetE1EEEvT1_: ; @_ZN7rocprim17ROCPRIM_400000_NS6detail17trampoline_kernelINS0_14default_configENS1_27scan_by_key_config_selectorIidEEZZNS1_16scan_by_key_implILNS1_25lookback_scan_determinismE0ELb0ES3_N6thrust23THRUST_200600_302600_NS6detail15normal_iteratorINS9_10device_ptrIiEEEENSB_INSC_IdEEEESG_dNS9_4plusIvEENS9_8equal_toIvEEdEE10hipError_tPvRmT2_T3_T4_T5_mT6_T7_P12ihipStream_tbENKUlT_T0_E_clISt17integral_constantIbLb0EES10_IbLb1EEEEDaSW_SX_EUlSW_E_NS1_11comp_targetILNS1_3genE2ELNS1_11target_archE906ELNS1_3gpuE6ELNS1_3repE0EEENS1_30default_config_static_selectorELNS0_4arch9wavefront6targetE1EEEvT1_
; %bb.0:
	.section	.rodata,"a",@progbits
	.p2align	6, 0x0
	.amdhsa_kernel _ZN7rocprim17ROCPRIM_400000_NS6detail17trampoline_kernelINS0_14default_configENS1_27scan_by_key_config_selectorIidEEZZNS1_16scan_by_key_implILNS1_25lookback_scan_determinismE0ELb0ES3_N6thrust23THRUST_200600_302600_NS6detail15normal_iteratorINS9_10device_ptrIiEEEENSB_INSC_IdEEEESG_dNS9_4plusIvEENS9_8equal_toIvEEdEE10hipError_tPvRmT2_T3_T4_T5_mT6_T7_P12ihipStream_tbENKUlT_T0_E_clISt17integral_constantIbLb0EES10_IbLb1EEEEDaSW_SX_EUlSW_E_NS1_11comp_targetILNS1_3genE2ELNS1_11target_archE906ELNS1_3gpuE6ELNS1_3repE0EEENS1_30default_config_static_selectorELNS0_4arch9wavefront6targetE1EEEvT1_
		.amdhsa_group_segment_fixed_size 0
		.amdhsa_private_segment_fixed_size 0
		.amdhsa_kernarg_size 136
		.amdhsa_user_sgpr_count 2
		.amdhsa_user_sgpr_dispatch_ptr 0
		.amdhsa_user_sgpr_queue_ptr 0
		.amdhsa_user_sgpr_kernarg_segment_ptr 1
		.amdhsa_user_sgpr_dispatch_id 0
		.amdhsa_user_sgpr_kernarg_preload_length 0
		.amdhsa_user_sgpr_kernarg_preload_offset 0
		.amdhsa_user_sgpr_private_segment_size 0
		.amdhsa_uses_dynamic_stack 0
		.amdhsa_enable_private_segment 0
		.amdhsa_system_sgpr_workgroup_id_x 1
		.amdhsa_system_sgpr_workgroup_id_y 0
		.amdhsa_system_sgpr_workgroup_id_z 0
		.amdhsa_system_sgpr_workgroup_info 0
		.amdhsa_system_vgpr_workitem_id 0
		.amdhsa_next_free_vgpr 1
		.amdhsa_next_free_sgpr 0
		.amdhsa_accum_offset 4
		.amdhsa_reserve_vcc 0
		.amdhsa_float_round_mode_32 0
		.amdhsa_float_round_mode_16_64 0
		.amdhsa_float_denorm_mode_32 3
		.amdhsa_float_denorm_mode_16_64 3
		.amdhsa_dx10_clamp 1
		.amdhsa_ieee_mode 1
		.amdhsa_fp16_overflow 0
		.amdhsa_tg_split 0
		.amdhsa_exception_fp_ieee_invalid_op 0
		.amdhsa_exception_fp_denorm_src 0
		.amdhsa_exception_fp_ieee_div_zero 0
		.amdhsa_exception_fp_ieee_overflow 0
		.amdhsa_exception_fp_ieee_underflow 0
		.amdhsa_exception_fp_ieee_inexact 0
		.amdhsa_exception_int_div_zero 0
	.end_amdhsa_kernel
	.section	.text._ZN7rocprim17ROCPRIM_400000_NS6detail17trampoline_kernelINS0_14default_configENS1_27scan_by_key_config_selectorIidEEZZNS1_16scan_by_key_implILNS1_25lookback_scan_determinismE0ELb0ES3_N6thrust23THRUST_200600_302600_NS6detail15normal_iteratorINS9_10device_ptrIiEEEENSB_INSC_IdEEEESG_dNS9_4plusIvEENS9_8equal_toIvEEdEE10hipError_tPvRmT2_T3_T4_T5_mT6_T7_P12ihipStream_tbENKUlT_T0_E_clISt17integral_constantIbLb0EES10_IbLb1EEEEDaSW_SX_EUlSW_E_NS1_11comp_targetILNS1_3genE2ELNS1_11target_archE906ELNS1_3gpuE6ELNS1_3repE0EEENS1_30default_config_static_selectorELNS0_4arch9wavefront6targetE1EEEvT1_,"axG",@progbits,_ZN7rocprim17ROCPRIM_400000_NS6detail17trampoline_kernelINS0_14default_configENS1_27scan_by_key_config_selectorIidEEZZNS1_16scan_by_key_implILNS1_25lookback_scan_determinismE0ELb0ES3_N6thrust23THRUST_200600_302600_NS6detail15normal_iteratorINS9_10device_ptrIiEEEENSB_INSC_IdEEEESG_dNS9_4plusIvEENS9_8equal_toIvEEdEE10hipError_tPvRmT2_T3_T4_T5_mT6_T7_P12ihipStream_tbENKUlT_T0_E_clISt17integral_constantIbLb0EES10_IbLb1EEEEDaSW_SX_EUlSW_E_NS1_11comp_targetILNS1_3genE2ELNS1_11target_archE906ELNS1_3gpuE6ELNS1_3repE0EEENS1_30default_config_static_selectorELNS0_4arch9wavefront6targetE1EEEvT1_,comdat
.Lfunc_end1123:
	.size	_ZN7rocprim17ROCPRIM_400000_NS6detail17trampoline_kernelINS0_14default_configENS1_27scan_by_key_config_selectorIidEEZZNS1_16scan_by_key_implILNS1_25lookback_scan_determinismE0ELb0ES3_N6thrust23THRUST_200600_302600_NS6detail15normal_iteratorINS9_10device_ptrIiEEEENSB_INSC_IdEEEESG_dNS9_4plusIvEENS9_8equal_toIvEEdEE10hipError_tPvRmT2_T3_T4_T5_mT6_T7_P12ihipStream_tbENKUlT_T0_E_clISt17integral_constantIbLb0EES10_IbLb1EEEEDaSW_SX_EUlSW_E_NS1_11comp_targetILNS1_3genE2ELNS1_11target_archE906ELNS1_3gpuE6ELNS1_3repE0EEENS1_30default_config_static_selectorELNS0_4arch9wavefront6targetE1EEEvT1_, .Lfunc_end1123-_ZN7rocprim17ROCPRIM_400000_NS6detail17trampoline_kernelINS0_14default_configENS1_27scan_by_key_config_selectorIidEEZZNS1_16scan_by_key_implILNS1_25lookback_scan_determinismE0ELb0ES3_N6thrust23THRUST_200600_302600_NS6detail15normal_iteratorINS9_10device_ptrIiEEEENSB_INSC_IdEEEESG_dNS9_4plusIvEENS9_8equal_toIvEEdEE10hipError_tPvRmT2_T3_T4_T5_mT6_T7_P12ihipStream_tbENKUlT_T0_E_clISt17integral_constantIbLb0EES10_IbLb1EEEEDaSW_SX_EUlSW_E_NS1_11comp_targetILNS1_3genE2ELNS1_11target_archE906ELNS1_3gpuE6ELNS1_3repE0EEENS1_30default_config_static_selectorELNS0_4arch9wavefront6targetE1EEEvT1_
                                        ; -- End function
	.section	.AMDGPU.csdata,"",@progbits
; Kernel info:
; codeLenInByte = 0
; NumSgprs: 6
; NumVgprs: 0
; NumAgprs: 0
; TotalNumVgprs: 0
; ScratchSize: 0
; MemoryBound: 0
; FloatMode: 240
; IeeeMode: 1
; LDSByteSize: 0 bytes/workgroup (compile time only)
; SGPRBlocks: 0
; VGPRBlocks: 0
; NumSGPRsForWavesPerEU: 6
; NumVGPRsForWavesPerEU: 1
; AccumOffset: 4
; Occupancy: 8
; WaveLimiterHint : 0
; COMPUTE_PGM_RSRC2:SCRATCH_EN: 0
; COMPUTE_PGM_RSRC2:USER_SGPR: 2
; COMPUTE_PGM_RSRC2:TRAP_HANDLER: 0
; COMPUTE_PGM_RSRC2:TGID_X_EN: 1
; COMPUTE_PGM_RSRC2:TGID_Y_EN: 0
; COMPUTE_PGM_RSRC2:TGID_Z_EN: 0
; COMPUTE_PGM_RSRC2:TIDIG_COMP_CNT: 0
; COMPUTE_PGM_RSRC3_GFX90A:ACCUM_OFFSET: 0
; COMPUTE_PGM_RSRC3_GFX90A:TG_SPLIT: 0
	.section	.text._ZN7rocprim17ROCPRIM_400000_NS6detail17trampoline_kernelINS0_14default_configENS1_27scan_by_key_config_selectorIidEEZZNS1_16scan_by_key_implILNS1_25lookback_scan_determinismE0ELb0ES3_N6thrust23THRUST_200600_302600_NS6detail15normal_iteratorINS9_10device_ptrIiEEEENSB_INSC_IdEEEESG_dNS9_4plusIvEENS9_8equal_toIvEEdEE10hipError_tPvRmT2_T3_T4_T5_mT6_T7_P12ihipStream_tbENKUlT_T0_E_clISt17integral_constantIbLb0EES10_IbLb1EEEEDaSW_SX_EUlSW_E_NS1_11comp_targetILNS1_3genE10ELNS1_11target_archE1200ELNS1_3gpuE4ELNS1_3repE0EEENS1_30default_config_static_selectorELNS0_4arch9wavefront6targetE1EEEvT1_,"axG",@progbits,_ZN7rocprim17ROCPRIM_400000_NS6detail17trampoline_kernelINS0_14default_configENS1_27scan_by_key_config_selectorIidEEZZNS1_16scan_by_key_implILNS1_25lookback_scan_determinismE0ELb0ES3_N6thrust23THRUST_200600_302600_NS6detail15normal_iteratorINS9_10device_ptrIiEEEENSB_INSC_IdEEEESG_dNS9_4plusIvEENS9_8equal_toIvEEdEE10hipError_tPvRmT2_T3_T4_T5_mT6_T7_P12ihipStream_tbENKUlT_T0_E_clISt17integral_constantIbLb0EES10_IbLb1EEEEDaSW_SX_EUlSW_E_NS1_11comp_targetILNS1_3genE10ELNS1_11target_archE1200ELNS1_3gpuE4ELNS1_3repE0EEENS1_30default_config_static_selectorELNS0_4arch9wavefront6targetE1EEEvT1_,comdat
	.protected	_ZN7rocprim17ROCPRIM_400000_NS6detail17trampoline_kernelINS0_14default_configENS1_27scan_by_key_config_selectorIidEEZZNS1_16scan_by_key_implILNS1_25lookback_scan_determinismE0ELb0ES3_N6thrust23THRUST_200600_302600_NS6detail15normal_iteratorINS9_10device_ptrIiEEEENSB_INSC_IdEEEESG_dNS9_4plusIvEENS9_8equal_toIvEEdEE10hipError_tPvRmT2_T3_T4_T5_mT6_T7_P12ihipStream_tbENKUlT_T0_E_clISt17integral_constantIbLb0EES10_IbLb1EEEEDaSW_SX_EUlSW_E_NS1_11comp_targetILNS1_3genE10ELNS1_11target_archE1200ELNS1_3gpuE4ELNS1_3repE0EEENS1_30default_config_static_selectorELNS0_4arch9wavefront6targetE1EEEvT1_ ; -- Begin function _ZN7rocprim17ROCPRIM_400000_NS6detail17trampoline_kernelINS0_14default_configENS1_27scan_by_key_config_selectorIidEEZZNS1_16scan_by_key_implILNS1_25lookback_scan_determinismE0ELb0ES3_N6thrust23THRUST_200600_302600_NS6detail15normal_iteratorINS9_10device_ptrIiEEEENSB_INSC_IdEEEESG_dNS9_4plusIvEENS9_8equal_toIvEEdEE10hipError_tPvRmT2_T3_T4_T5_mT6_T7_P12ihipStream_tbENKUlT_T0_E_clISt17integral_constantIbLb0EES10_IbLb1EEEEDaSW_SX_EUlSW_E_NS1_11comp_targetILNS1_3genE10ELNS1_11target_archE1200ELNS1_3gpuE4ELNS1_3repE0EEENS1_30default_config_static_selectorELNS0_4arch9wavefront6targetE1EEEvT1_
	.globl	_ZN7rocprim17ROCPRIM_400000_NS6detail17trampoline_kernelINS0_14default_configENS1_27scan_by_key_config_selectorIidEEZZNS1_16scan_by_key_implILNS1_25lookback_scan_determinismE0ELb0ES3_N6thrust23THRUST_200600_302600_NS6detail15normal_iteratorINS9_10device_ptrIiEEEENSB_INSC_IdEEEESG_dNS9_4plusIvEENS9_8equal_toIvEEdEE10hipError_tPvRmT2_T3_T4_T5_mT6_T7_P12ihipStream_tbENKUlT_T0_E_clISt17integral_constantIbLb0EES10_IbLb1EEEEDaSW_SX_EUlSW_E_NS1_11comp_targetILNS1_3genE10ELNS1_11target_archE1200ELNS1_3gpuE4ELNS1_3repE0EEENS1_30default_config_static_selectorELNS0_4arch9wavefront6targetE1EEEvT1_
	.p2align	8
	.type	_ZN7rocprim17ROCPRIM_400000_NS6detail17trampoline_kernelINS0_14default_configENS1_27scan_by_key_config_selectorIidEEZZNS1_16scan_by_key_implILNS1_25lookback_scan_determinismE0ELb0ES3_N6thrust23THRUST_200600_302600_NS6detail15normal_iteratorINS9_10device_ptrIiEEEENSB_INSC_IdEEEESG_dNS9_4plusIvEENS9_8equal_toIvEEdEE10hipError_tPvRmT2_T3_T4_T5_mT6_T7_P12ihipStream_tbENKUlT_T0_E_clISt17integral_constantIbLb0EES10_IbLb1EEEEDaSW_SX_EUlSW_E_NS1_11comp_targetILNS1_3genE10ELNS1_11target_archE1200ELNS1_3gpuE4ELNS1_3repE0EEENS1_30default_config_static_selectorELNS0_4arch9wavefront6targetE1EEEvT1_,@function
_ZN7rocprim17ROCPRIM_400000_NS6detail17trampoline_kernelINS0_14default_configENS1_27scan_by_key_config_selectorIidEEZZNS1_16scan_by_key_implILNS1_25lookback_scan_determinismE0ELb0ES3_N6thrust23THRUST_200600_302600_NS6detail15normal_iteratorINS9_10device_ptrIiEEEENSB_INSC_IdEEEESG_dNS9_4plusIvEENS9_8equal_toIvEEdEE10hipError_tPvRmT2_T3_T4_T5_mT6_T7_P12ihipStream_tbENKUlT_T0_E_clISt17integral_constantIbLb0EES10_IbLb1EEEEDaSW_SX_EUlSW_E_NS1_11comp_targetILNS1_3genE10ELNS1_11target_archE1200ELNS1_3gpuE4ELNS1_3repE0EEENS1_30default_config_static_selectorELNS0_4arch9wavefront6targetE1EEEvT1_: ; @_ZN7rocprim17ROCPRIM_400000_NS6detail17trampoline_kernelINS0_14default_configENS1_27scan_by_key_config_selectorIidEEZZNS1_16scan_by_key_implILNS1_25lookback_scan_determinismE0ELb0ES3_N6thrust23THRUST_200600_302600_NS6detail15normal_iteratorINS9_10device_ptrIiEEEENSB_INSC_IdEEEESG_dNS9_4plusIvEENS9_8equal_toIvEEdEE10hipError_tPvRmT2_T3_T4_T5_mT6_T7_P12ihipStream_tbENKUlT_T0_E_clISt17integral_constantIbLb0EES10_IbLb1EEEEDaSW_SX_EUlSW_E_NS1_11comp_targetILNS1_3genE10ELNS1_11target_archE1200ELNS1_3gpuE4ELNS1_3repE0EEENS1_30default_config_static_selectorELNS0_4arch9wavefront6targetE1EEEvT1_
; %bb.0:
	.section	.rodata,"a",@progbits
	.p2align	6, 0x0
	.amdhsa_kernel _ZN7rocprim17ROCPRIM_400000_NS6detail17trampoline_kernelINS0_14default_configENS1_27scan_by_key_config_selectorIidEEZZNS1_16scan_by_key_implILNS1_25lookback_scan_determinismE0ELb0ES3_N6thrust23THRUST_200600_302600_NS6detail15normal_iteratorINS9_10device_ptrIiEEEENSB_INSC_IdEEEESG_dNS9_4plusIvEENS9_8equal_toIvEEdEE10hipError_tPvRmT2_T3_T4_T5_mT6_T7_P12ihipStream_tbENKUlT_T0_E_clISt17integral_constantIbLb0EES10_IbLb1EEEEDaSW_SX_EUlSW_E_NS1_11comp_targetILNS1_3genE10ELNS1_11target_archE1200ELNS1_3gpuE4ELNS1_3repE0EEENS1_30default_config_static_selectorELNS0_4arch9wavefront6targetE1EEEvT1_
		.amdhsa_group_segment_fixed_size 0
		.amdhsa_private_segment_fixed_size 0
		.amdhsa_kernarg_size 136
		.amdhsa_user_sgpr_count 2
		.amdhsa_user_sgpr_dispatch_ptr 0
		.amdhsa_user_sgpr_queue_ptr 0
		.amdhsa_user_sgpr_kernarg_segment_ptr 1
		.amdhsa_user_sgpr_dispatch_id 0
		.amdhsa_user_sgpr_kernarg_preload_length 0
		.amdhsa_user_sgpr_kernarg_preload_offset 0
		.amdhsa_user_sgpr_private_segment_size 0
		.amdhsa_uses_dynamic_stack 0
		.amdhsa_enable_private_segment 0
		.amdhsa_system_sgpr_workgroup_id_x 1
		.amdhsa_system_sgpr_workgroup_id_y 0
		.amdhsa_system_sgpr_workgroup_id_z 0
		.amdhsa_system_sgpr_workgroup_info 0
		.amdhsa_system_vgpr_workitem_id 0
		.amdhsa_next_free_vgpr 1
		.amdhsa_next_free_sgpr 0
		.amdhsa_accum_offset 4
		.amdhsa_reserve_vcc 0
		.amdhsa_float_round_mode_32 0
		.amdhsa_float_round_mode_16_64 0
		.amdhsa_float_denorm_mode_32 3
		.amdhsa_float_denorm_mode_16_64 3
		.amdhsa_dx10_clamp 1
		.amdhsa_ieee_mode 1
		.amdhsa_fp16_overflow 0
		.amdhsa_tg_split 0
		.amdhsa_exception_fp_ieee_invalid_op 0
		.amdhsa_exception_fp_denorm_src 0
		.amdhsa_exception_fp_ieee_div_zero 0
		.amdhsa_exception_fp_ieee_overflow 0
		.amdhsa_exception_fp_ieee_underflow 0
		.amdhsa_exception_fp_ieee_inexact 0
		.amdhsa_exception_int_div_zero 0
	.end_amdhsa_kernel
	.section	.text._ZN7rocprim17ROCPRIM_400000_NS6detail17trampoline_kernelINS0_14default_configENS1_27scan_by_key_config_selectorIidEEZZNS1_16scan_by_key_implILNS1_25lookback_scan_determinismE0ELb0ES3_N6thrust23THRUST_200600_302600_NS6detail15normal_iteratorINS9_10device_ptrIiEEEENSB_INSC_IdEEEESG_dNS9_4plusIvEENS9_8equal_toIvEEdEE10hipError_tPvRmT2_T3_T4_T5_mT6_T7_P12ihipStream_tbENKUlT_T0_E_clISt17integral_constantIbLb0EES10_IbLb1EEEEDaSW_SX_EUlSW_E_NS1_11comp_targetILNS1_3genE10ELNS1_11target_archE1200ELNS1_3gpuE4ELNS1_3repE0EEENS1_30default_config_static_selectorELNS0_4arch9wavefront6targetE1EEEvT1_,"axG",@progbits,_ZN7rocprim17ROCPRIM_400000_NS6detail17trampoline_kernelINS0_14default_configENS1_27scan_by_key_config_selectorIidEEZZNS1_16scan_by_key_implILNS1_25lookback_scan_determinismE0ELb0ES3_N6thrust23THRUST_200600_302600_NS6detail15normal_iteratorINS9_10device_ptrIiEEEENSB_INSC_IdEEEESG_dNS9_4plusIvEENS9_8equal_toIvEEdEE10hipError_tPvRmT2_T3_T4_T5_mT6_T7_P12ihipStream_tbENKUlT_T0_E_clISt17integral_constantIbLb0EES10_IbLb1EEEEDaSW_SX_EUlSW_E_NS1_11comp_targetILNS1_3genE10ELNS1_11target_archE1200ELNS1_3gpuE4ELNS1_3repE0EEENS1_30default_config_static_selectorELNS0_4arch9wavefront6targetE1EEEvT1_,comdat
.Lfunc_end1124:
	.size	_ZN7rocprim17ROCPRIM_400000_NS6detail17trampoline_kernelINS0_14default_configENS1_27scan_by_key_config_selectorIidEEZZNS1_16scan_by_key_implILNS1_25lookback_scan_determinismE0ELb0ES3_N6thrust23THRUST_200600_302600_NS6detail15normal_iteratorINS9_10device_ptrIiEEEENSB_INSC_IdEEEESG_dNS9_4plusIvEENS9_8equal_toIvEEdEE10hipError_tPvRmT2_T3_T4_T5_mT6_T7_P12ihipStream_tbENKUlT_T0_E_clISt17integral_constantIbLb0EES10_IbLb1EEEEDaSW_SX_EUlSW_E_NS1_11comp_targetILNS1_3genE10ELNS1_11target_archE1200ELNS1_3gpuE4ELNS1_3repE0EEENS1_30default_config_static_selectorELNS0_4arch9wavefront6targetE1EEEvT1_, .Lfunc_end1124-_ZN7rocprim17ROCPRIM_400000_NS6detail17trampoline_kernelINS0_14default_configENS1_27scan_by_key_config_selectorIidEEZZNS1_16scan_by_key_implILNS1_25lookback_scan_determinismE0ELb0ES3_N6thrust23THRUST_200600_302600_NS6detail15normal_iteratorINS9_10device_ptrIiEEEENSB_INSC_IdEEEESG_dNS9_4plusIvEENS9_8equal_toIvEEdEE10hipError_tPvRmT2_T3_T4_T5_mT6_T7_P12ihipStream_tbENKUlT_T0_E_clISt17integral_constantIbLb0EES10_IbLb1EEEEDaSW_SX_EUlSW_E_NS1_11comp_targetILNS1_3genE10ELNS1_11target_archE1200ELNS1_3gpuE4ELNS1_3repE0EEENS1_30default_config_static_selectorELNS0_4arch9wavefront6targetE1EEEvT1_
                                        ; -- End function
	.section	.AMDGPU.csdata,"",@progbits
; Kernel info:
; codeLenInByte = 0
; NumSgprs: 6
; NumVgprs: 0
; NumAgprs: 0
; TotalNumVgprs: 0
; ScratchSize: 0
; MemoryBound: 0
; FloatMode: 240
; IeeeMode: 1
; LDSByteSize: 0 bytes/workgroup (compile time only)
; SGPRBlocks: 0
; VGPRBlocks: 0
; NumSGPRsForWavesPerEU: 6
; NumVGPRsForWavesPerEU: 1
; AccumOffset: 4
; Occupancy: 8
; WaveLimiterHint : 0
; COMPUTE_PGM_RSRC2:SCRATCH_EN: 0
; COMPUTE_PGM_RSRC2:USER_SGPR: 2
; COMPUTE_PGM_RSRC2:TRAP_HANDLER: 0
; COMPUTE_PGM_RSRC2:TGID_X_EN: 1
; COMPUTE_PGM_RSRC2:TGID_Y_EN: 0
; COMPUTE_PGM_RSRC2:TGID_Z_EN: 0
; COMPUTE_PGM_RSRC2:TIDIG_COMP_CNT: 0
; COMPUTE_PGM_RSRC3_GFX90A:ACCUM_OFFSET: 0
; COMPUTE_PGM_RSRC3_GFX90A:TG_SPLIT: 0
	.section	.text._ZN7rocprim17ROCPRIM_400000_NS6detail17trampoline_kernelINS0_14default_configENS1_27scan_by_key_config_selectorIidEEZZNS1_16scan_by_key_implILNS1_25lookback_scan_determinismE0ELb0ES3_N6thrust23THRUST_200600_302600_NS6detail15normal_iteratorINS9_10device_ptrIiEEEENSB_INSC_IdEEEESG_dNS9_4plusIvEENS9_8equal_toIvEEdEE10hipError_tPvRmT2_T3_T4_T5_mT6_T7_P12ihipStream_tbENKUlT_T0_E_clISt17integral_constantIbLb0EES10_IbLb1EEEEDaSW_SX_EUlSW_E_NS1_11comp_targetILNS1_3genE9ELNS1_11target_archE1100ELNS1_3gpuE3ELNS1_3repE0EEENS1_30default_config_static_selectorELNS0_4arch9wavefront6targetE1EEEvT1_,"axG",@progbits,_ZN7rocprim17ROCPRIM_400000_NS6detail17trampoline_kernelINS0_14default_configENS1_27scan_by_key_config_selectorIidEEZZNS1_16scan_by_key_implILNS1_25lookback_scan_determinismE0ELb0ES3_N6thrust23THRUST_200600_302600_NS6detail15normal_iteratorINS9_10device_ptrIiEEEENSB_INSC_IdEEEESG_dNS9_4plusIvEENS9_8equal_toIvEEdEE10hipError_tPvRmT2_T3_T4_T5_mT6_T7_P12ihipStream_tbENKUlT_T0_E_clISt17integral_constantIbLb0EES10_IbLb1EEEEDaSW_SX_EUlSW_E_NS1_11comp_targetILNS1_3genE9ELNS1_11target_archE1100ELNS1_3gpuE3ELNS1_3repE0EEENS1_30default_config_static_selectorELNS0_4arch9wavefront6targetE1EEEvT1_,comdat
	.protected	_ZN7rocprim17ROCPRIM_400000_NS6detail17trampoline_kernelINS0_14default_configENS1_27scan_by_key_config_selectorIidEEZZNS1_16scan_by_key_implILNS1_25lookback_scan_determinismE0ELb0ES3_N6thrust23THRUST_200600_302600_NS6detail15normal_iteratorINS9_10device_ptrIiEEEENSB_INSC_IdEEEESG_dNS9_4plusIvEENS9_8equal_toIvEEdEE10hipError_tPvRmT2_T3_T4_T5_mT6_T7_P12ihipStream_tbENKUlT_T0_E_clISt17integral_constantIbLb0EES10_IbLb1EEEEDaSW_SX_EUlSW_E_NS1_11comp_targetILNS1_3genE9ELNS1_11target_archE1100ELNS1_3gpuE3ELNS1_3repE0EEENS1_30default_config_static_selectorELNS0_4arch9wavefront6targetE1EEEvT1_ ; -- Begin function _ZN7rocprim17ROCPRIM_400000_NS6detail17trampoline_kernelINS0_14default_configENS1_27scan_by_key_config_selectorIidEEZZNS1_16scan_by_key_implILNS1_25lookback_scan_determinismE0ELb0ES3_N6thrust23THRUST_200600_302600_NS6detail15normal_iteratorINS9_10device_ptrIiEEEENSB_INSC_IdEEEESG_dNS9_4plusIvEENS9_8equal_toIvEEdEE10hipError_tPvRmT2_T3_T4_T5_mT6_T7_P12ihipStream_tbENKUlT_T0_E_clISt17integral_constantIbLb0EES10_IbLb1EEEEDaSW_SX_EUlSW_E_NS1_11comp_targetILNS1_3genE9ELNS1_11target_archE1100ELNS1_3gpuE3ELNS1_3repE0EEENS1_30default_config_static_selectorELNS0_4arch9wavefront6targetE1EEEvT1_
	.globl	_ZN7rocprim17ROCPRIM_400000_NS6detail17trampoline_kernelINS0_14default_configENS1_27scan_by_key_config_selectorIidEEZZNS1_16scan_by_key_implILNS1_25lookback_scan_determinismE0ELb0ES3_N6thrust23THRUST_200600_302600_NS6detail15normal_iteratorINS9_10device_ptrIiEEEENSB_INSC_IdEEEESG_dNS9_4plusIvEENS9_8equal_toIvEEdEE10hipError_tPvRmT2_T3_T4_T5_mT6_T7_P12ihipStream_tbENKUlT_T0_E_clISt17integral_constantIbLb0EES10_IbLb1EEEEDaSW_SX_EUlSW_E_NS1_11comp_targetILNS1_3genE9ELNS1_11target_archE1100ELNS1_3gpuE3ELNS1_3repE0EEENS1_30default_config_static_selectorELNS0_4arch9wavefront6targetE1EEEvT1_
	.p2align	8
	.type	_ZN7rocprim17ROCPRIM_400000_NS6detail17trampoline_kernelINS0_14default_configENS1_27scan_by_key_config_selectorIidEEZZNS1_16scan_by_key_implILNS1_25lookback_scan_determinismE0ELb0ES3_N6thrust23THRUST_200600_302600_NS6detail15normal_iteratorINS9_10device_ptrIiEEEENSB_INSC_IdEEEESG_dNS9_4plusIvEENS9_8equal_toIvEEdEE10hipError_tPvRmT2_T3_T4_T5_mT6_T7_P12ihipStream_tbENKUlT_T0_E_clISt17integral_constantIbLb0EES10_IbLb1EEEEDaSW_SX_EUlSW_E_NS1_11comp_targetILNS1_3genE9ELNS1_11target_archE1100ELNS1_3gpuE3ELNS1_3repE0EEENS1_30default_config_static_selectorELNS0_4arch9wavefront6targetE1EEEvT1_,@function
_ZN7rocprim17ROCPRIM_400000_NS6detail17trampoline_kernelINS0_14default_configENS1_27scan_by_key_config_selectorIidEEZZNS1_16scan_by_key_implILNS1_25lookback_scan_determinismE0ELb0ES3_N6thrust23THRUST_200600_302600_NS6detail15normal_iteratorINS9_10device_ptrIiEEEENSB_INSC_IdEEEESG_dNS9_4plusIvEENS9_8equal_toIvEEdEE10hipError_tPvRmT2_T3_T4_T5_mT6_T7_P12ihipStream_tbENKUlT_T0_E_clISt17integral_constantIbLb0EES10_IbLb1EEEEDaSW_SX_EUlSW_E_NS1_11comp_targetILNS1_3genE9ELNS1_11target_archE1100ELNS1_3gpuE3ELNS1_3repE0EEENS1_30default_config_static_selectorELNS0_4arch9wavefront6targetE1EEEvT1_: ; @_ZN7rocprim17ROCPRIM_400000_NS6detail17trampoline_kernelINS0_14default_configENS1_27scan_by_key_config_selectorIidEEZZNS1_16scan_by_key_implILNS1_25lookback_scan_determinismE0ELb0ES3_N6thrust23THRUST_200600_302600_NS6detail15normal_iteratorINS9_10device_ptrIiEEEENSB_INSC_IdEEEESG_dNS9_4plusIvEENS9_8equal_toIvEEdEE10hipError_tPvRmT2_T3_T4_T5_mT6_T7_P12ihipStream_tbENKUlT_T0_E_clISt17integral_constantIbLb0EES10_IbLb1EEEEDaSW_SX_EUlSW_E_NS1_11comp_targetILNS1_3genE9ELNS1_11target_archE1100ELNS1_3gpuE3ELNS1_3repE0EEENS1_30default_config_static_selectorELNS0_4arch9wavefront6targetE1EEEvT1_
; %bb.0:
	.section	.rodata,"a",@progbits
	.p2align	6, 0x0
	.amdhsa_kernel _ZN7rocprim17ROCPRIM_400000_NS6detail17trampoline_kernelINS0_14default_configENS1_27scan_by_key_config_selectorIidEEZZNS1_16scan_by_key_implILNS1_25lookback_scan_determinismE0ELb0ES3_N6thrust23THRUST_200600_302600_NS6detail15normal_iteratorINS9_10device_ptrIiEEEENSB_INSC_IdEEEESG_dNS9_4plusIvEENS9_8equal_toIvEEdEE10hipError_tPvRmT2_T3_T4_T5_mT6_T7_P12ihipStream_tbENKUlT_T0_E_clISt17integral_constantIbLb0EES10_IbLb1EEEEDaSW_SX_EUlSW_E_NS1_11comp_targetILNS1_3genE9ELNS1_11target_archE1100ELNS1_3gpuE3ELNS1_3repE0EEENS1_30default_config_static_selectorELNS0_4arch9wavefront6targetE1EEEvT1_
		.amdhsa_group_segment_fixed_size 0
		.amdhsa_private_segment_fixed_size 0
		.amdhsa_kernarg_size 136
		.amdhsa_user_sgpr_count 2
		.amdhsa_user_sgpr_dispatch_ptr 0
		.amdhsa_user_sgpr_queue_ptr 0
		.amdhsa_user_sgpr_kernarg_segment_ptr 1
		.amdhsa_user_sgpr_dispatch_id 0
		.amdhsa_user_sgpr_kernarg_preload_length 0
		.amdhsa_user_sgpr_kernarg_preload_offset 0
		.amdhsa_user_sgpr_private_segment_size 0
		.amdhsa_uses_dynamic_stack 0
		.amdhsa_enable_private_segment 0
		.amdhsa_system_sgpr_workgroup_id_x 1
		.amdhsa_system_sgpr_workgroup_id_y 0
		.amdhsa_system_sgpr_workgroup_id_z 0
		.amdhsa_system_sgpr_workgroup_info 0
		.amdhsa_system_vgpr_workitem_id 0
		.amdhsa_next_free_vgpr 1
		.amdhsa_next_free_sgpr 0
		.amdhsa_accum_offset 4
		.amdhsa_reserve_vcc 0
		.amdhsa_float_round_mode_32 0
		.amdhsa_float_round_mode_16_64 0
		.amdhsa_float_denorm_mode_32 3
		.amdhsa_float_denorm_mode_16_64 3
		.amdhsa_dx10_clamp 1
		.amdhsa_ieee_mode 1
		.amdhsa_fp16_overflow 0
		.amdhsa_tg_split 0
		.amdhsa_exception_fp_ieee_invalid_op 0
		.amdhsa_exception_fp_denorm_src 0
		.amdhsa_exception_fp_ieee_div_zero 0
		.amdhsa_exception_fp_ieee_overflow 0
		.amdhsa_exception_fp_ieee_underflow 0
		.amdhsa_exception_fp_ieee_inexact 0
		.amdhsa_exception_int_div_zero 0
	.end_amdhsa_kernel
	.section	.text._ZN7rocprim17ROCPRIM_400000_NS6detail17trampoline_kernelINS0_14default_configENS1_27scan_by_key_config_selectorIidEEZZNS1_16scan_by_key_implILNS1_25lookback_scan_determinismE0ELb0ES3_N6thrust23THRUST_200600_302600_NS6detail15normal_iteratorINS9_10device_ptrIiEEEENSB_INSC_IdEEEESG_dNS9_4plusIvEENS9_8equal_toIvEEdEE10hipError_tPvRmT2_T3_T4_T5_mT6_T7_P12ihipStream_tbENKUlT_T0_E_clISt17integral_constantIbLb0EES10_IbLb1EEEEDaSW_SX_EUlSW_E_NS1_11comp_targetILNS1_3genE9ELNS1_11target_archE1100ELNS1_3gpuE3ELNS1_3repE0EEENS1_30default_config_static_selectorELNS0_4arch9wavefront6targetE1EEEvT1_,"axG",@progbits,_ZN7rocprim17ROCPRIM_400000_NS6detail17trampoline_kernelINS0_14default_configENS1_27scan_by_key_config_selectorIidEEZZNS1_16scan_by_key_implILNS1_25lookback_scan_determinismE0ELb0ES3_N6thrust23THRUST_200600_302600_NS6detail15normal_iteratorINS9_10device_ptrIiEEEENSB_INSC_IdEEEESG_dNS9_4plusIvEENS9_8equal_toIvEEdEE10hipError_tPvRmT2_T3_T4_T5_mT6_T7_P12ihipStream_tbENKUlT_T0_E_clISt17integral_constantIbLb0EES10_IbLb1EEEEDaSW_SX_EUlSW_E_NS1_11comp_targetILNS1_3genE9ELNS1_11target_archE1100ELNS1_3gpuE3ELNS1_3repE0EEENS1_30default_config_static_selectorELNS0_4arch9wavefront6targetE1EEEvT1_,comdat
.Lfunc_end1125:
	.size	_ZN7rocprim17ROCPRIM_400000_NS6detail17trampoline_kernelINS0_14default_configENS1_27scan_by_key_config_selectorIidEEZZNS1_16scan_by_key_implILNS1_25lookback_scan_determinismE0ELb0ES3_N6thrust23THRUST_200600_302600_NS6detail15normal_iteratorINS9_10device_ptrIiEEEENSB_INSC_IdEEEESG_dNS9_4plusIvEENS9_8equal_toIvEEdEE10hipError_tPvRmT2_T3_T4_T5_mT6_T7_P12ihipStream_tbENKUlT_T0_E_clISt17integral_constantIbLb0EES10_IbLb1EEEEDaSW_SX_EUlSW_E_NS1_11comp_targetILNS1_3genE9ELNS1_11target_archE1100ELNS1_3gpuE3ELNS1_3repE0EEENS1_30default_config_static_selectorELNS0_4arch9wavefront6targetE1EEEvT1_, .Lfunc_end1125-_ZN7rocprim17ROCPRIM_400000_NS6detail17trampoline_kernelINS0_14default_configENS1_27scan_by_key_config_selectorIidEEZZNS1_16scan_by_key_implILNS1_25lookback_scan_determinismE0ELb0ES3_N6thrust23THRUST_200600_302600_NS6detail15normal_iteratorINS9_10device_ptrIiEEEENSB_INSC_IdEEEESG_dNS9_4plusIvEENS9_8equal_toIvEEdEE10hipError_tPvRmT2_T3_T4_T5_mT6_T7_P12ihipStream_tbENKUlT_T0_E_clISt17integral_constantIbLb0EES10_IbLb1EEEEDaSW_SX_EUlSW_E_NS1_11comp_targetILNS1_3genE9ELNS1_11target_archE1100ELNS1_3gpuE3ELNS1_3repE0EEENS1_30default_config_static_selectorELNS0_4arch9wavefront6targetE1EEEvT1_
                                        ; -- End function
	.section	.AMDGPU.csdata,"",@progbits
; Kernel info:
; codeLenInByte = 0
; NumSgprs: 6
; NumVgprs: 0
; NumAgprs: 0
; TotalNumVgprs: 0
; ScratchSize: 0
; MemoryBound: 0
; FloatMode: 240
; IeeeMode: 1
; LDSByteSize: 0 bytes/workgroup (compile time only)
; SGPRBlocks: 0
; VGPRBlocks: 0
; NumSGPRsForWavesPerEU: 6
; NumVGPRsForWavesPerEU: 1
; AccumOffset: 4
; Occupancy: 8
; WaveLimiterHint : 0
; COMPUTE_PGM_RSRC2:SCRATCH_EN: 0
; COMPUTE_PGM_RSRC2:USER_SGPR: 2
; COMPUTE_PGM_RSRC2:TRAP_HANDLER: 0
; COMPUTE_PGM_RSRC2:TGID_X_EN: 1
; COMPUTE_PGM_RSRC2:TGID_Y_EN: 0
; COMPUTE_PGM_RSRC2:TGID_Z_EN: 0
; COMPUTE_PGM_RSRC2:TIDIG_COMP_CNT: 0
; COMPUTE_PGM_RSRC3_GFX90A:ACCUM_OFFSET: 0
; COMPUTE_PGM_RSRC3_GFX90A:TG_SPLIT: 0
	.section	.text._ZN7rocprim17ROCPRIM_400000_NS6detail17trampoline_kernelINS0_14default_configENS1_27scan_by_key_config_selectorIidEEZZNS1_16scan_by_key_implILNS1_25lookback_scan_determinismE0ELb0ES3_N6thrust23THRUST_200600_302600_NS6detail15normal_iteratorINS9_10device_ptrIiEEEENSB_INSC_IdEEEESG_dNS9_4plusIvEENS9_8equal_toIvEEdEE10hipError_tPvRmT2_T3_T4_T5_mT6_T7_P12ihipStream_tbENKUlT_T0_E_clISt17integral_constantIbLb0EES10_IbLb1EEEEDaSW_SX_EUlSW_E_NS1_11comp_targetILNS1_3genE8ELNS1_11target_archE1030ELNS1_3gpuE2ELNS1_3repE0EEENS1_30default_config_static_selectorELNS0_4arch9wavefront6targetE1EEEvT1_,"axG",@progbits,_ZN7rocprim17ROCPRIM_400000_NS6detail17trampoline_kernelINS0_14default_configENS1_27scan_by_key_config_selectorIidEEZZNS1_16scan_by_key_implILNS1_25lookback_scan_determinismE0ELb0ES3_N6thrust23THRUST_200600_302600_NS6detail15normal_iteratorINS9_10device_ptrIiEEEENSB_INSC_IdEEEESG_dNS9_4plusIvEENS9_8equal_toIvEEdEE10hipError_tPvRmT2_T3_T4_T5_mT6_T7_P12ihipStream_tbENKUlT_T0_E_clISt17integral_constantIbLb0EES10_IbLb1EEEEDaSW_SX_EUlSW_E_NS1_11comp_targetILNS1_3genE8ELNS1_11target_archE1030ELNS1_3gpuE2ELNS1_3repE0EEENS1_30default_config_static_selectorELNS0_4arch9wavefront6targetE1EEEvT1_,comdat
	.protected	_ZN7rocprim17ROCPRIM_400000_NS6detail17trampoline_kernelINS0_14default_configENS1_27scan_by_key_config_selectorIidEEZZNS1_16scan_by_key_implILNS1_25lookback_scan_determinismE0ELb0ES3_N6thrust23THRUST_200600_302600_NS6detail15normal_iteratorINS9_10device_ptrIiEEEENSB_INSC_IdEEEESG_dNS9_4plusIvEENS9_8equal_toIvEEdEE10hipError_tPvRmT2_T3_T4_T5_mT6_T7_P12ihipStream_tbENKUlT_T0_E_clISt17integral_constantIbLb0EES10_IbLb1EEEEDaSW_SX_EUlSW_E_NS1_11comp_targetILNS1_3genE8ELNS1_11target_archE1030ELNS1_3gpuE2ELNS1_3repE0EEENS1_30default_config_static_selectorELNS0_4arch9wavefront6targetE1EEEvT1_ ; -- Begin function _ZN7rocprim17ROCPRIM_400000_NS6detail17trampoline_kernelINS0_14default_configENS1_27scan_by_key_config_selectorIidEEZZNS1_16scan_by_key_implILNS1_25lookback_scan_determinismE0ELb0ES3_N6thrust23THRUST_200600_302600_NS6detail15normal_iteratorINS9_10device_ptrIiEEEENSB_INSC_IdEEEESG_dNS9_4plusIvEENS9_8equal_toIvEEdEE10hipError_tPvRmT2_T3_T4_T5_mT6_T7_P12ihipStream_tbENKUlT_T0_E_clISt17integral_constantIbLb0EES10_IbLb1EEEEDaSW_SX_EUlSW_E_NS1_11comp_targetILNS1_3genE8ELNS1_11target_archE1030ELNS1_3gpuE2ELNS1_3repE0EEENS1_30default_config_static_selectorELNS0_4arch9wavefront6targetE1EEEvT1_
	.globl	_ZN7rocprim17ROCPRIM_400000_NS6detail17trampoline_kernelINS0_14default_configENS1_27scan_by_key_config_selectorIidEEZZNS1_16scan_by_key_implILNS1_25lookback_scan_determinismE0ELb0ES3_N6thrust23THRUST_200600_302600_NS6detail15normal_iteratorINS9_10device_ptrIiEEEENSB_INSC_IdEEEESG_dNS9_4plusIvEENS9_8equal_toIvEEdEE10hipError_tPvRmT2_T3_T4_T5_mT6_T7_P12ihipStream_tbENKUlT_T0_E_clISt17integral_constantIbLb0EES10_IbLb1EEEEDaSW_SX_EUlSW_E_NS1_11comp_targetILNS1_3genE8ELNS1_11target_archE1030ELNS1_3gpuE2ELNS1_3repE0EEENS1_30default_config_static_selectorELNS0_4arch9wavefront6targetE1EEEvT1_
	.p2align	8
	.type	_ZN7rocprim17ROCPRIM_400000_NS6detail17trampoline_kernelINS0_14default_configENS1_27scan_by_key_config_selectorIidEEZZNS1_16scan_by_key_implILNS1_25lookback_scan_determinismE0ELb0ES3_N6thrust23THRUST_200600_302600_NS6detail15normal_iteratorINS9_10device_ptrIiEEEENSB_INSC_IdEEEESG_dNS9_4plusIvEENS9_8equal_toIvEEdEE10hipError_tPvRmT2_T3_T4_T5_mT6_T7_P12ihipStream_tbENKUlT_T0_E_clISt17integral_constantIbLb0EES10_IbLb1EEEEDaSW_SX_EUlSW_E_NS1_11comp_targetILNS1_3genE8ELNS1_11target_archE1030ELNS1_3gpuE2ELNS1_3repE0EEENS1_30default_config_static_selectorELNS0_4arch9wavefront6targetE1EEEvT1_,@function
_ZN7rocprim17ROCPRIM_400000_NS6detail17trampoline_kernelINS0_14default_configENS1_27scan_by_key_config_selectorIidEEZZNS1_16scan_by_key_implILNS1_25lookback_scan_determinismE0ELb0ES3_N6thrust23THRUST_200600_302600_NS6detail15normal_iteratorINS9_10device_ptrIiEEEENSB_INSC_IdEEEESG_dNS9_4plusIvEENS9_8equal_toIvEEdEE10hipError_tPvRmT2_T3_T4_T5_mT6_T7_P12ihipStream_tbENKUlT_T0_E_clISt17integral_constantIbLb0EES10_IbLb1EEEEDaSW_SX_EUlSW_E_NS1_11comp_targetILNS1_3genE8ELNS1_11target_archE1030ELNS1_3gpuE2ELNS1_3repE0EEENS1_30default_config_static_selectorELNS0_4arch9wavefront6targetE1EEEvT1_: ; @_ZN7rocprim17ROCPRIM_400000_NS6detail17trampoline_kernelINS0_14default_configENS1_27scan_by_key_config_selectorIidEEZZNS1_16scan_by_key_implILNS1_25lookback_scan_determinismE0ELb0ES3_N6thrust23THRUST_200600_302600_NS6detail15normal_iteratorINS9_10device_ptrIiEEEENSB_INSC_IdEEEESG_dNS9_4plusIvEENS9_8equal_toIvEEdEE10hipError_tPvRmT2_T3_T4_T5_mT6_T7_P12ihipStream_tbENKUlT_T0_E_clISt17integral_constantIbLb0EES10_IbLb1EEEEDaSW_SX_EUlSW_E_NS1_11comp_targetILNS1_3genE8ELNS1_11target_archE1030ELNS1_3gpuE2ELNS1_3repE0EEENS1_30default_config_static_selectorELNS0_4arch9wavefront6targetE1EEEvT1_
; %bb.0:
	.section	.rodata,"a",@progbits
	.p2align	6, 0x0
	.amdhsa_kernel _ZN7rocprim17ROCPRIM_400000_NS6detail17trampoline_kernelINS0_14default_configENS1_27scan_by_key_config_selectorIidEEZZNS1_16scan_by_key_implILNS1_25lookback_scan_determinismE0ELb0ES3_N6thrust23THRUST_200600_302600_NS6detail15normal_iteratorINS9_10device_ptrIiEEEENSB_INSC_IdEEEESG_dNS9_4plusIvEENS9_8equal_toIvEEdEE10hipError_tPvRmT2_T3_T4_T5_mT6_T7_P12ihipStream_tbENKUlT_T0_E_clISt17integral_constantIbLb0EES10_IbLb1EEEEDaSW_SX_EUlSW_E_NS1_11comp_targetILNS1_3genE8ELNS1_11target_archE1030ELNS1_3gpuE2ELNS1_3repE0EEENS1_30default_config_static_selectorELNS0_4arch9wavefront6targetE1EEEvT1_
		.amdhsa_group_segment_fixed_size 0
		.amdhsa_private_segment_fixed_size 0
		.amdhsa_kernarg_size 136
		.amdhsa_user_sgpr_count 2
		.amdhsa_user_sgpr_dispatch_ptr 0
		.amdhsa_user_sgpr_queue_ptr 0
		.amdhsa_user_sgpr_kernarg_segment_ptr 1
		.amdhsa_user_sgpr_dispatch_id 0
		.amdhsa_user_sgpr_kernarg_preload_length 0
		.amdhsa_user_sgpr_kernarg_preload_offset 0
		.amdhsa_user_sgpr_private_segment_size 0
		.amdhsa_uses_dynamic_stack 0
		.amdhsa_enable_private_segment 0
		.amdhsa_system_sgpr_workgroup_id_x 1
		.amdhsa_system_sgpr_workgroup_id_y 0
		.amdhsa_system_sgpr_workgroup_id_z 0
		.amdhsa_system_sgpr_workgroup_info 0
		.amdhsa_system_vgpr_workitem_id 0
		.amdhsa_next_free_vgpr 1
		.amdhsa_next_free_sgpr 0
		.amdhsa_accum_offset 4
		.amdhsa_reserve_vcc 0
		.amdhsa_float_round_mode_32 0
		.amdhsa_float_round_mode_16_64 0
		.amdhsa_float_denorm_mode_32 3
		.amdhsa_float_denorm_mode_16_64 3
		.amdhsa_dx10_clamp 1
		.amdhsa_ieee_mode 1
		.amdhsa_fp16_overflow 0
		.amdhsa_tg_split 0
		.amdhsa_exception_fp_ieee_invalid_op 0
		.amdhsa_exception_fp_denorm_src 0
		.amdhsa_exception_fp_ieee_div_zero 0
		.amdhsa_exception_fp_ieee_overflow 0
		.amdhsa_exception_fp_ieee_underflow 0
		.amdhsa_exception_fp_ieee_inexact 0
		.amdhsa_exception_int_div_zero 0
	.end_amdhsa_kernel
	.section	.text._ZN7rocprim17ROCPRIM_400000_NS6detail17trampoline_kernelINS0_14default_configENS1_27scan_by_key_config_selectorIidEEZZNS1_16scan_by_key_implILNS1_25lookback_scan_determinismE0ELb0ES3_N6thrust23THRUST_200600_302600_NS6detail15normal_iteratorINS9_10device_ptrIiEEEENSB_INSC_IdEEEESG_dNS9_4plusIvEENS9_8equal_toIvEEdEE10hipError_tPvRmT2_T3_T4_T5_mT6_T7_P12ihipStream_tbENKUlT_T0_E_clISt17integral_constantIbLb0EES10_IbLb1EEEEDaSW_SX_EUlSW_E_NS1_11comp_targetILNS1_3genE8ELNS1_11target_archE1030ELNS1_3gpuE2ELNS1_3repE0EEENS1_30default_config_static_selectorELNS0_4arch9wavefront6targetE1EEEvT1_,"axG",@progbits,_ZN7rocprim17ROCPRIM_400000_NS6detail17trampoline_kernelINS0_14default_configENS1_27scan_by_key_config_selectorIidEEZZNS1_16scan_by_key_implILNS1_25lookback_scan_determinismE0ELb0ES3_N6thrust23THRUST_200600_302600_NS6detail15normal_iteratorINS9_10device_ptrIiEEEENSB_INSC_IdEEEESG_dNS9_4plusIvEENS9_8equal_toIvEEdEE10hipError_tPvRmT2_T3_T4_T5_mT6_T7_P12ihipStream_tbENKUlT_T0_E_clISt17integral_constantIbLb0EES10_IbLb1EEEEDaSW_SX_EUlSW_E_NS1_11comp_targetILNS1_3genE8ELNS1_11target_archE1030ELNS1_3gpuE2ELNS1_3repE0EEENS1_30default_config_static_selectorELNS0_4arch9wavefront6targetE1EEEvT1_,comdat
.Lfunc_end1126:
	.size	_ZN7rocprim17ROCPRIM_400000_NS6detail17trampoline_kernelINS0_14default_configENS1_27scan_by_key_config_selectorIidEEZZNS1_16scan_by_key_implILNS1_25lookback_scan_determinismE0ELb0ES3_N6thrust23THRUST_200600_302600_NS6detail15normal_iteratorINS9_10device_ptrIiEEEENSB_INSC_IdEEEESG_dNS9_4plusIvEENS9_8equal_toIvEEdEE10hipError_tPvRmT2_T3_T4_T5_mT6_T7_P12ihipStream_tbENKUlT_T0_E_clISt17integral_constantIbLb0EES10_IbLb1EEEEDaSW_SX_EUlSW_E_NS1_11comp_targetILNS1_3genE8ELNS1_11target_archE1030ELNS1_3gpuE2ELNS1_3repE0EEENS1_30default_config_static_selectorELNS0_4arch9wavefront6targetE1EEEvT1_, .Lfunc_end1126-_ZN7rocprim17ROCPRIM_400000_NS6detail17trampoline_kernelINS0_14default_configENS1_27scan_by_key_config_selectorIidEEZZNS1_16scan_by_key_implILNS1_25lookback_scan_determinismE0ELb0ES3_N6thrust23THRUST_200600_302600_NS6detail15normal_iteratorINS9_10device_ptrIiEEEENSB_INSC_IdEEEESG_dNS9_4plusIvEENS9_8equal_toIvEEdEE10hipError_tPvRmT2_T3_T4_T5_mT6_T7_P12ihipStream_tbENKUlT_T0_E_clISt17integral_constantIbLb0EES10_IbLb1EEEEDaSW_SX_EUlSW_E_NS1_11comp_targetILNS1_3genE8ELNS1_11target_archE1030ELNS1_3gpuE2ELNS1_3repE0EEENS1_30default_config_static_selectorELNS0_4arch9wavefront6targetE1EEEvT1_
                                        ; -- End function
	.section	.AMDGPU.csdata,"",@progbits
; Kernel info:
; codeLenInByte = 0
; NumSgprs: 6
; NumVgprs: 0
; NumAgprs: 0
; TotalNumVgprs: 0
; ScratchSize: 0
; MemoryBound: 0
; FloatMode: 240
; IeeeMode: 1
; LDSByteSize: 0 bytes/workgroup (compile time only)
; SGPRBlocks: 0
; VGPRBlocks: 0
; NumSGPRsForWavesPerEU: 6
; NumVGPRsForWavesPerEU: 1
; AccumOffset: 4
; Occupancy: 8
; WaveLimiterHint : 0
; COMPUTE_PGM_RSRC2:SCRATCH_EN: 0
; COMPUTE_PGM_RSRC2:USER_SGPR: 2
; COMPUTE_PGM_RSRC2:TRAP_HANDLER: 0
; COMPUTE_PGM_RSRC2:TGID_X_EN: 1
; COMPUTE_PGM_RSRC2:TGID_Y_EN: 0
; COMPUTE_PGM_RSRC2:TGID_Z_EN: 0
; COMPUTE_PGM_RSRC2:TIDIG_COMP_CNT: 0
; COMPUTE_PGM_RSRC3_GFX90A:ACCUM_OFFSET: 0
; COMPUTE_PGM_RSRC3_GFX90A:TG_SPLIT: 0
	.section	.text._ZN6thrust23THRUST_200600_302600_NS11hip_rocprim14__parallel_for6kernelILj256ENS1_11__transform17unary_transform_fINS0_7pointerIiNS1_3tagENS0_11use_defaultES8_EENS0_10device_ptrIfEENS4_14no_stencil_tagENS0_8identityIiEENS4_21always_true_predicateEEElLj1EEEvT0_T1_SI_,"axG",@progbits,_ZN6thrust23THRUST_200600_302600_NS11hip_rocprim14__parallel_for6kernelILj256ENS1_11__transform17unary_transform_fINS0_7pointerIiNS1_3tagENS0_11use_defaultES8_EENS0_10device_ptrIfEENS4_14no_stencil_tagENS0_8identityIiEENS4_21always_true_predicateEEElLj1EEEvT0_T1_SI_,comdat
	.protected	_ZN6thrust23THRUST_200600_302600_NS11hip_rocprim14__parallel_for6kernelILj256ENS1_11__transform17unary_transform_fINS0_7pointerIiNS1_3tagENS0_11use_defaultES8_EENS0_10device_ptrIfEENS4_14no_stencil_tagENS0_8identityIiEENS4_21always_true_predicateEEElLj1EEEvT0_T1_SI_ ; -- Begin function _ZN6thrust23THRUST_200600_302600_NS11hip_rocprim14__parallel_for6kernelILj256ENS1_11__transform17unary_transform_fINS0_7pointerIiNS1_3tagENS0_11use_defaultES8_EENS0_10device_ptrIfEENS4_14no_stencil_tagENS0_8identityIiEENS4_21always_true_predicateEEElLj1EEEvT0_T1_SI_
	.globl	_ZN6thrust23THRUST_200600_302600_NS11hip_rocprim14__parallel_for6kernelILj256ENS1_11__transform17unary_transform_fINS0_7pointerIiNS1_3tagENS0_11use_defaultES8_EENS0_10device_ptrIfEENS4_14no_stencil_tagENS0_8identityIiEENS4_21always_true_predicateEEElLj1EEEvT0_T1_SI_
	.p2align	8
	.type	_ZN6thrust23THRUST_200600_302600_NS11hip_rocprim14__parallel_for6kernelILj256ENS1_11__transform17unary_transform_fINS0_7pointerIiNS1_3tagENS0_11use_defaultES8_EENS0_10device_ptrIfEENS4_14no_stencil_tagENS0_8identityIiEENS4_21always_true_predicateEEElLj1EEEvT0_T1_SI_,@function
_ZN6thrust23THRUST_200600_302600_NS11hip_rocprim14__parallel_for6kernelILj256ENS1_11__transform17unary_transform_fINS0_7pointerIiNS1_3tagENS0_11use_defaultES8_EENS0_10device_ptrIfEENS4_14no_stencil_tagENS0_8identityIiEENS4_21always_true_predicateEEElLj1EEEvT0_T1_SI_: ; @_ZN6thrust23THRUST_200600_302600_NS11hip_rocprim14__parallel_for6kernelILj256ENS1_11__transform17unary_transform_fINS0_7pointerIiNS1_3tagENS0_11use_defaultES8_EENS0_10device_ptrIfEENS4_14no_stencil_tagENS0_8identityIiEENS4_21always_true_predicateEEElLj1EEEvT0_T1_SI_
; %bb.0:
	s_load_dwordx4 s[8:11], s[0:1], 0x18
	s_load_dwordx4 s[4:7], s[0:1], 0x0
	s_lshl_b32 s0, s2, 8
	v_mov_b64_e32 v[2:3], 0x100
	s_waitcnt lgkmcnt(0)
	s_add_u32 s0, s0, s10
	s_addc_u32 s1, 0, s11
	s_sub_u32 s2, s8, s0
	s_subb_u32 s3, s9, s1
	v_cmp_lt_i64_e32 vcc, s[2:3], v[2:3]
	s_and_b64 s[8:9], vcc, exec
	s_cselect_b32 s8, s2, 0x100
	s_cmpk_lg_i32 s8, 0x100
	s_mov_b64 s[2:3], -1
	s_cbranch_scc1 .LBB1127_3
; %bb.1:
	s_andn2_b64 vcc, exec, s[2:3]
	s_cbranch_vccz .LBB1127_6
.LBB1127_2:
	s_endpgm
.LBB1127_3:
	v_cmp_gt_u32_e32 vcc, s8, v0
	s_and_saveexec_b64 s[2:3], vcc
	s_cbranch_execz .LBB1127_5
; %bb.4:
	v_mov_b32_e32 v1, 0
	v_lshl_add_u64 v[2:3], s[0:1], 0, v[0:1]
	v_lshlrev_b64 v[2:3], 2, v[2:3]
	v_lshl_add_u64 v[4:5], s[4:5], 0, v[2:3]
	flat_load_dword v1, v[4:5]
	v_lshl_add_u64 v[2:3], s[6:7], 0, v[2:3]
	s_waitcnt vmcnt(0) lgkmcnt(0)
	v_cvt_f32_i32_e32 v1, v1
	flat_store_dword v[2:3], v1
.LBB1127_5:
	s_or_b64 exec, exec, s[2:3]
	s_cbranch_execnz .LBB1127_2
.LBB1127_6:
	v_mov_b32_e32 v1, 0
	v_lshl_add_u64 v[0:1], s[0:1], 0, v[0:1]
	v_lshlrev_b64 v[0:1], 2, v[0:1]
	v_lshl_add_u64 v[2:3], s[4:5], 0, v[0:1]
	flat_load_dword v2, v[2:3]
	v_lshl_add_u64 v[0:1], s[6:7], 0, v[0:1]
	s_waitcnt vmcnt(0) lgkmcnt(0)
	v_cvt_f32_i32_e32 v2, v2
	flat_store_dword v[0:1], v2
	s_endpgm
	.section	.rodata,"a",@progbits
	.p2align	6, 0x0
	.amdhsa_kernel _ZN6thrust23THRUST_200600_302600_NS11hip_rocprim14__parallel_for6kernelILj256ENS1_11__transform17unary_transform_fINS0_7pointerIiNS1_3tagENS0_11use_defaultES8_EENS0_10device_ptrIfEENS4_14no_stencil_tagENS0_8identityIiEENS4_21always_true_predicateEEElLj1EEEvT0_T1_SI_
		.amdhsa_group_segment_fixed_size 0
		.amdhsa_private_segment_fixed_size 0
		.amdhsa_kernarg_size 40
		.amdhsa_user_sgpr_count 2
		.amdhsa_user_sgpr_dispatch_ptr 0
		.amdhsa_user_sgpr_queue_ptr 0
		.amdhsa_user_sgpr_kernarg_segment_ptr 1
		.amdhsa_user_sgpr_dispatch_id 0
		.amdhsa_user_sgpr_kernarg_preload_length 0
		.amdhsa_user_sgpr_kernarg_preload_offset 0
		.amdhsa_user_sgpr_private_segment_size 0
		.amdhsa_uses_dynamic_stack 0
		.amdhsa_enable_private_segment 0
		.amdhsa_system_sgpr_workgroup_id_x 1
		.amdhsa_system_sgpr_workgroup_id_y 0
		.amdhsa_system_sgpr_workgroup_id_z 0
		.amdhsa_system_sgpr_workgroup_info 0
		.amdhsa_system_vgpr_workitem_id 0
		.amdhsa_next_free_vgpr 6
		.amdhsa_next_free_sgpr 12
		.amdhsa_accum_offset 8
		.amdhsa_reserve_vcc 1
		.amdhsa_float_round_mode_32 0
		.amdhsa_float_round_mode_16_64 0
		.amdhsa_float_denorm_mode_32 3
		.amdhsa_float_denorm_mode_16_64 3
		.amdhsa_dx10_clamp 1
		.amdhsa_ieee_mode 1
		.amdhsa_fp16_overflow 0
		.amdhsa_tg_split 0
		.amdhsa_exception_fp_ieee_invalid_op 0
		.amdhsa_exception_fp_denorm_src 0
		.amdhsa_exception_fp_ieee_div_zero 0
		.amdhsa_exception_fp_ieee_overflow 0
		.amdhsa_exception_fp_ieee_underflow 0
		.amdhsa_exception_fp_ieee_inexact 0
		.amdhsa_exception_int_div_zero 0
	.end_amdhsa_kernel
	.section	.text._ZN6thrust23THRUST_200600_302600_NS11hip_rocprim14__parallel_for6kernelILj256ENS1_11__transform17unary_transform_fINS0_7pointerIiNS1_3tagENS0_11use_defaultES8_EENS0_10device_ptrIfEENS4_14no_stencil_tagENS0_8identityIiEENS4_21always_true_predicateEEElLj1EEEvT0_T1_SI_,"axG",@progbits,_ZN6thrust23THRUST_200600_302600_NS11hip_rocprim14__parallel_for6kernelILj256ENS1_11__transform17unary_transform_fINS0_7pointerIiNS1_3tagENS0_11use_defaultES8_EENS0_10device_ptrIfEENS4_14no_stencil_tagENS0_8identityIiEENS4_21always_true_predicateEEElLj1EEEvT0_T1_SI_,comdat
.Lfunc_end1127:
	.size	_ZN6thrust23THRUST_200600_302600_NS11hip_rocprim14__parallel_for6kernelILj256ENS1_11__transform17unary_transform_fINS0_7pointerIiNS1_3tagENS0_11use_defaultES8_EENS0_10device_ptrIfEENS4_14no_stencil_tagENS0_8identityIiEENS4_21always_true_predicateEEElLj1EEEvT0_T1_SI_, .Lfunc_end1127-_ZN6thrust23THRUST_200600_302600_NS11hip_rocprim14__parallel_for6kernelILj256ENS1_11__transform17unary_transform_fINS0_7pointerIiNS1_3tagENS0_11use_defaultES8_EENS0_10device_ptrIfEENS4_14no_stencil_tagENS0_8identityIiEENS4_21always_true_predicateEEElLj1EEEvT0_T1_SI_
                                        ; -- End function
	.section	.AMDGPU.csdata,"",@progbits
; Kernel info:
; codeLenInByte = 232
; NumSgprs: 18
; NumVgprs: 6
; NumAgprs: 0
; TotalNumVgprs: 6
; ScratchSize: 0
; MemoryBound: 0
; FloatMode: 240
; IeeeMode: 1
; LDSByteSize: 0 bytes/workgroup (compile time only)
; SGPRBlocks: 2
; VGPRBlocks: 0
; NumSGPRsForWavesPerEU: 18
; NumVGPRsForWavesPerEU: 6
; AccumOffset: 8
; Occupancy: 8
; WaveLimiterHint : 0
; COMPUTE_PGM_RSRC2:SCRATCH_EN: 0
; COMPUTE_PGM_RSRC2:USER_SGPR: 2
; COMPUTE_PGM_RSRC2:TRAP_HANDLER: 0
; COMPUTE_PGM_RSRC2:TGID_X_EN: 1
; COMPUTE_PGM_RSRC2:TGID_Y_EN: 0
; COMPUTE_PGM_RSRC2:TGID_Z_EN: 0
; COMPUTE_PGM_RSRC2:TIDIG_COMP_CNT: 0
; COMPUTE_PGM_RSRC3_GFX90A:ACCUM_OFFSET: 1
; COMPUTE_PGM_RSRC3_GFX90A:TG_SPLIT: 0
	.section	.text._ZN7rocprim17ROCPRIM_400000_NS6detail30init_device_scan_by_key_kernelINS1_19lookback_scan_stateINS0_5tupleIJfbEEELb0ELb1EEEN6thrust23THRUST_200600_302600_NS6detail15normal_iteratorINS8_10device_ptrIiEEEEjNS1_16block_id_wrapperIjLb0EEEEEvT_jjPNSG_10value_typeET0_PNSt15iterator_traitsISJ_E10value_typeEmT1_T2_,"axG",@progbits,_ZN7rocprim17ROCPRIM_400000_NS6detail30init_device_scan_by_key_kernelINS1_19lookback_scan_stateINS0_5tupleIJfbEEELb0ELb1EEEN6thrust23THRUST_200600_302600_NS6detail15normal_iteratorINS8_10device_ptrIiEEEEjNS1_16block_id_wrapperIjLb0EEEEEvT_jjPNSG_10value_typeET0_PNSt15iterator_traitsISJ_E10value_typeEmT1_T2_,comdat
	.protected	_ZN7rocprim17ROCPRIM_400000_NS6detail30init_device_scan_by_key_kernelINS1_19lookback_scan_stateINS0_5tupleIJfbEEELb0ELb1EEEN6thrust23THRUST_200600_302600_NS6detail15normal_iteratorINS8_10device_ptrIiEEEEjNS1_16block_id_wrapperIjLb0EEEEEvT_jjPNSG_10value_typeET0_PNSt15iterator_traitsISJ_E10value_typeEmT1_T2_ ; -- Begin function _ZN7rocprim17ROCPRIM_400000_NS6detail30init_device_scan_by_key_kernelINS1_19lookback_scan_stateINS0_5tupleIJfbEEELb0ELb1EEEN6thrust23THRUST_200600_302600_NS6detail15normal_iteratorINS8_10device_ptrIiEEEEjNS1_16block_id_wrapperIjLb0EEEEEvT_jjPNSG_10value_typeET0_PNSt15iterator_traitsISJ_E10value_typeEmT1_T2_
	.globl	_ZN7rocprim17ROCPRIM_400000_NS6detail30init_device_scan_by_key_kernelINS1_19lookback_scan_stateINS0_5tupleIJfbEEELb0ELb1EEEN6thrust23THRUST_200600_302600_NS6detail15normal_iteratorINS8_10device_ptrIiEEEEjNS1_16block_id_wrapperIjLb0EEEEEvT_jjPNSG_10value_typeET0_PNSt15iterator_traitsISJ_E10value_typeEmT1_T2_
	.p2align	8
	.type	_ZN7rocprim17ROCPRIM_400000_NS6detail30init_device_scan_by_key_kernelINS1_19lookback_scan_stateINS0_5tupleIJfbEEELb0ELb1EEEN6thrust23THRUST_200600_302600_NS6detail15normal_iteratorINS8_10device_ptrIiEEEEjNS1_16block_id_wrapperIjLb0EEEEEvT_jjPNSG_10value_typeET0_PNSt15iterator_traitsISJ_E10value_typeEmT1_T2_,@function
_ZN7rocprim17ROCPRIM_400000_NS6detail30init_device_scan_by_key_kernelINS1_19lookback_scan_stateINS0_5tupleIJfbEEELb0ELb1EEEN6thrust23THRUST_200600_302600_NS6detail15normal_iteratorINS8_10device_ptrIiEEEEjNS1_16block_id_wrapperIjLb0EEEEEvT_jjPNSG_10value_typeET0_PNSt15iterator_traitsISJ_E10value_typeEmT1_T2_: ; @_ZN7rocprim17ROCPRIM_400000_NS6detail30init_device_scan_by_key_kernelINS1_19lookback_scan_stateINS0_5tupleIJfbEEELb0ELb1EEEN6thrust23THRUST_200600_302600_NS6detail15normal_iteratorINS8_10device_ptrIiEEEEjNS1_16block_id_wrapperIjLb0EEEEEvT_jjPNSG_10value_typeET0_PNSt15iterator_traitsISJ_E10value_typeEmT1_T2_
; %bb.0:
	s_load_dword s3, s[0:1], 0x44
	s_load_dwordx8 s[4:11], s[0:1], 0x0
	s_load_dword s18, s[0:1], 0x38
	s_waitcnt lgkmcnt(0)
	s_and_b32 s19, s3, 0xffff
	s_mul_i32 s2, s2, s19
	s_cmp_eq_u64 s[8:9], 0
	v_add_u32_e32 v4, s2, v0
	s_cbranch_scc1 .LBB1128_8
; %bb.1:
	s_cmp_lt_u32 s7, s6
	s_cselect_b32 s2, s7, 0
	s_mov_b32 s13, 0
	v_cmp_eq_u32_e32 vcc, s2, v4
	s_and_saveexec_b64 s[2:3], vcc
	s_cbranch_execz .LBB1128_7
; %bb.2:
	s_add_i32 s12, s7, 64
	s_lshl_b64 s[12:13], s[12:13], 4
	s_add_u32 s16, s4, s12
	s_addc_u32 s17, s5, s13
	v_mov_b64_e32 v[0:1], s[16:17]
	;;#ASMSTART
	global_load_dwordx4 v[0:3], v[0:1] off sc1	
s_waitcnt vmcnt(0)
	;;#ASMEND
	v_mov_b32_e32 v7, 0
	v_and_b32_e32 v6, 0xff, v2
	s_mov_b64 s[14:15], 0
	v_cmp_eq_u64_e32 vcc, 0, v[6:7]
	s_and_saveexec_b64 s[12:13], vcc
	s_cbranch_execz .LBB1128_6
; %bb.3:
	v_mov_b64_e32 v[8:9], s[16:17]
.LBB1128_4:                             ; =>This Inner Loop Header: Depth=1
	;;#ASMSTART
	global_load_dwordx4 v[0:3], v[8:9] off sc1	
s_waitcnt vmcnt(0)
	;;#ASMEND
	s_nop 0
	v_and_b32_e32 v6, 0xff, v2
	v_cmp_ne_u64_e32 vcc, 0, v[6:7]
	s_or_b64 s[14:15], vcc, s[14:15]
	s_andn2_b64 exec, exec, s[14:15]
	s_cbranch_execnz .LBB1128_4
; %bb.5:
	s_or_b64 exec, exec, s[14:15]
.LBB1128_6:
	s_or_b64 exec, exec, s[12:13]
	v_mov_b32_e32 v2, 0
	global_store_dword v2, v0, s[8:9]
	global_store_byte v2, v1, s[8:9] offset:4
.LBB1128_7:
	s_or_b64 exec, exec, s[2:3]
.LBB1128_8:
	v_cmp_gt_u32_e32 vcc, s6, v4
	s_and_saveexec_b64 s[2:3], vcc
	s_cbranch_execz .LBB1128_10
; %bb.9:
	v_add_u32_e32 v0, 64, v4
	v_mov_b32_e32 v1, 0
	v_lshl_add_u64 v[6:7], v[0:1], 4, s[4:5]
	v_mov_b32_e32 v0, v1
	v_mov_b32_e32 v2, v1
	;; [unrolled: 1-line block ×3, first 2 shown]
	global_store_dwordx4 v[6:7], v[0:3], off
.LBB1128_10:
	s_or_b64 exec, exec, s[2:3]
	v_cmp_gt_u32_e32 vcc, 64, v4
	v_mov_b32_e32 v5, 0
	s_and_saveexec_b64 s[2:3], vcc
	s_cbranch_execz .LBB1128_12
; %bb.11:
	v_lshl_add_u64 v[6:7], v[4:5], 4, s[4:5]
	v_mov_b32_e32 v2, 0xff
	v_mov_b32_e32 v0, v5
	;; [unrolled: 1-line block ×4, first 2 shown]
	global_store_dwordx4 v[6:7], v[0:3], off
.LBB1128_12:
	s_or_b64 exec, exec, s[2:3]
	s_load_dwordx2 s[2:3], s[0:1], 0x28
	s_waitcnt lgkmcnt(0)
	v_cmp_gt_u64_e32 vcc, s[2:3], v[4:5]
	s_and_saveexec_b64 s[4:5], vcc
	s_cbranch_execz .LBB1128_15
; %bb.13:
	s_load_dword s12, s[0:1], 0x30
	s_load_dwordx2 s[6:7], s[0:1], 0x20
	s_mov_b32 s5, 0
	s_mov_b32 s1, s5
	s_mul_i32 s0, s18, s19
	s_waitcnt lgkmcnt(0)
	s_add_i32 s4, s12, -1
	s_lshl_b64 s[4:5], s[4:5], 2
	s_add_u32 s4, s10, s4
	v_mad_u64_u32 v[0:1], s[8:9], s12, v4, 0
	s_addc_u32 s5, s11, s5
	v_lshl_add_u64 v[0:1], v[0:1], 2, s[4:5]
	s_mul_hi_u32 s5, s12, s0
	s_mul_i32 s4, s12, s0
	s_lshl_b64 s[4:5], s[4:5], 2
	v_lshl_add_u64 v[2:3], v[4:5], 2, s[6:7]
	s_lshl_b64 s[6:7], s[0:1], 2
	s_mov_b64 s[8:9], 0
.LBB1128_14:                            ; =>This Inner Loop Header: Depth=1
	global_load_dword v6, v[0:1], off
	v_lshl_add_u64 v[4:5], v[4:5], 0, s[0:1]
	v_cmp_le_u64_e32 vcc, s[2:3], v[4:5]
	v_lshl_add_u64 v[0:1], v[0:1], 0, s[4:5]
	s_or_b64 s[8:9], vcc, s[8:9]
	s_waitcnt vmcnt(0)
	global_store_dword v[2:3], v6, off
	v_lshl_add_u64 v[2:3], v[2:3], 0, s[6:7]
	s_andn2_b64 exec, exec, s[8:9]
	s_cbranch_execnz .LBB1128_14
.LBB1128_15:
	s_endpgm
	.section	.rodata,"a",@progbits
	.p2align	6, 0x0
	.amdhsa_kernel _ZN7rocprim17ROCPRIM_400000_NS6detail30init_device_scan_by_key_kernelINS1_19lookback_scan_stateINS0_5tupleIJfbEEELb0ELb1EEEN6thrust23THRUST_200600_302600_NS6detail15normal_iteratorINS8_10device_ptrIiEEEEjNS1_16block_id_wrapperIjLb0EEEEEvT_jjPNSG_10value_typeET0_PNSt15iterator_traitsISJ_E10value_typeEmT1_T2_
		.amdhsa_group_segment_fixed_size 0
		.amdhsa_private_segment_fixed_size 0
		.amdhsa_kernarg_size 312
		.amdhsa_user_sgpr_count 2
		.amdhsa_user_sgpr_dispatch_ptr 0
		.amdhsa_user_sgpr_queue_ptr 0
		.amdhsa_user_sgpr_kernarg_segment_ptr 1
		.amdhsa_user_sgpr_dispatch_id 0
		.amdhsa_user_sgpr_kernarg_preload_length 0
		.amdhsa_user_sgpr_kernarg_preload_offset 0
		.amdhsa_user_sgpr_private_segment_size 0
		.amdhsa_uses_dynamic_stack 0
		.amdhsa_enable_private_segment 0
		.amdhsa_system_sgpr_workgroup_id_x 1
		.amdhsa_system_sgpr_workgroup_id_y 0
		.amdhsa_system_sgpr_workgroup_id_z 0
		.amdhsa_system_sgpr_workgroup_info 0
		.amdhsa_system_vgpr_workitem_id 0
		.amdhsa_next_free_vgpr 10
		.amdhsa_next_free_sgpr 20
		.amdhsa_accum_offset 12
		.amdhsa_reserve_vcc 1
		.amdhsa_float_round_mode_32 0
		.amdhsa_float_round_mode_16_64 0
		.amdhsa_float_denorm_mode_32 3
		.amdhsa_float_denorm_mode_16_64 3
		.amdhsa_dx10_clamp 1
		.amdhsa_ieee_mode 1
		.amdhsa_fp16_overflow 0
		.amdhsa_tg_split 0
		.amdhsa_exception_fp_ieee_invalid_op 0
		.amdhsa_exception_fp_denorm_src 0
		.amdhsa_exception_fp_ieee_div_zero 0
		.amdhsa_exception_fp_ieee_overflow 0
		.amdhsa_exception_fp_ieee_underflow 0
		.amdhsa_exception_fp_ieee_inexact 0
		.amdhsa_exception_int_div_zero 0
	.end_amdhsa_kernel
	.section	.text._ZN7rocprim17ROCPRIM_400000_NS6detail30init_device_scan_by_key_kernelINS1_19lookback_scan_stateINS0_5tupleIJfbEEELb0ELb1EEEN6thrust23THRUST_200600_302600_NS6detail15normal_iteratorINS8_10device_ptrIiEEEEjNS1_16block_id_wrapperIjLb0EEEEEvT_jjPNSG_10value_typeET0_PNSt15iterator_traitsISJ_E10value_typeEmT1_T2_,"axG",@progbits,_ZN7rocprim17ROCPRIM_400000_NS6detail30init_device_scan_by_key_kernelINS1_19lookback_scan_stateINS0_5tupleIJfbEEELb0ELb1EEEN6thrust23THRUST_200600_302600_NS6detail15normal_iteratorINS8_10device_ptrIiEEEEjNS1_16block_id_wrapperIjLb0EEEEEvT_jjPNSG_10value_typeET0_PNSt15iterator_traitsISJ_E10value_typeEmT1_T2_,comdat
.Lfunc_end1128:
	.size	_ZN7rocprim17ROCPRIM_400000_NS6detail30init_device_scan_by_key_kernelINS1_19lookback_scan_stateINS0_5tupleIJfbEEELb0ELb1EEEN6thrust23THRUST_200600_302600_NS6detail15normal_iteratorINS8_10device_ptrIiEEEEjNS1_16block_id_wrapperIjLb0EEEEEvT_jjPNSG_10value_typeET0_PNSt15iterator_traitsISJ_E10value_typeEmT1_T2_, .Lfunc_end1128-_ZN7rocprim17ROCPRIM_400000_NS6detail30init_device_scan_by_key_kernelINS1_19lookback_scan_stateINS0_5tupleIJfbEEELb0ELb1EEEN6thrust23THRUST_200600_302600_NS6detail15normal_iteratorINS8_10device_ptrIiEEEEjNS1_16block_id_wrapperIjLb0EEEEEvT_jjPNSG_10value_typeET0_PNSt15iterator_traitsISJ_E10value_typeEmT1_T2_
                                        ; -- End function
	.section	.AMDGPU.csdata,"",@progbits
; Kernel info:
; codeLenInByte = 508
; NumSgprs: 26
; NumVgprs: 10
; NumAgprs: 0
; TotalNumVgprs: 10
; ScratchSize: 0
; MemoryBound: 0
; FloatMode: 240
; IeeeMode: 1
; LDSByteSize: 0 bytes/workgroup (compile time only)
; SGPRBlocks: 3
; VGPRBlocks: 1
; NumSGPRsForWavesPerEU: 26
; NumVGPRsForWavesPerEU: 10
; AccumOffset: 12
; Occupancy: 8
; WaveLimiterHint : 0
; COMPUTE_PGM_RSRC2:SCRATCH_EN: 0
; COMPUTE_PGM_RSRC2:USER_SGPR: 2
; COMPUTE_PGM_RSRC2:TRAP_HANDLER: 0
; COMPUTE_PGM_RSRC2:TGID_X_EN: 1
; COMPUTE_PGM_RSRC2:TGID_Y_EN: 0
; COMPUTE_PGM_RSRC2:TGID_Z_EN: 0
; COMPUTE_PGM_RSRC2:TIDIG_COMP_CNT: 0
; COMPUTE_PGM_RSRC3_GFX90A:ACCUM_OFFSET: 2
; COMPUTE_PGM_RSRC3_GFX90A:TG_SPLIT: 0
	.section	.text._ZN7rocprim17ROCPRIM_400000_NS6detail30init_device_scan_by_key_kernelINS1_19lookback_scan_stateINS0_5tupleIJfbEEELb0ELb1EEENS1_16block_id_wrapperIjLb0EEEEEvT_jjPNS9_10value_typeET0_,"axG",@progbits,_ZN7rocprim17ROCPRIM_400000_NS6detail30init_device_scan_by_key_kernelINS1_19lookback_scan_stateINS0_5tupleIJfbEEELb0ELb1EEENS1_16block_id_wrapperIjLb0EEEEEvT_jjPNS9_10value_typeET0_,comdat
	.protected	_ZN7rocprim17ROCPRIM_400000_NS6detail30init_device_scan_by_key_kernelINS1_19lookback_scan_stateINS0_5tupleIJfbEEELb0ELb1EEENS1_16block_id_wrapperIjLb0EEEEEvT_jjPNS9_10value_typeET0_ ; -- Begin function _ZN7rocprim17ROCPRIM_400000_NS6detail30init_device_scan_by_key_kernelINS1_19lookback_scan_stateINS0_5tupleIJfbEEELb0ELb1EEENS1_16block_id_wrapperIjLb0EEEEEvT_jjPNS9_10value_typeET0_
	.globl	_ZN7rocprim17ROCPRIM_400000_NS6detail30init_device_scan_by_key_kernelINS1_19lookback_scan_stateINS0_5tupleIJfbEEELb0ELb1EEENS1_16block_id_wrapperIjLb0EEEEEvT_jjPNS9_10value_typeET0_
	.p2align	8
	.type	_ZN7rocprim17ROCPRIM_400000_NS6detail30init_device_scan_by_key_kernelINS1_19lookback_scan_stateINS0_5tupleIJfbEEELb0ELb1EEENS1_16block_id_wrapperIjLb0EEEEEvT_jjPNS9_10value_typeET0_,@function
_ZN7rocprim17ROCPRIM_400000_NS6detail30init_device_scan_by_key_kernelINS1_19lookback_scan_stateINS0_5tupleIJfbEEELb0ELb1EEENS1_16block_id_wrapperIjLb0EEEEEvT_jjPNS9_10value_typeET0_: ; @_ZN7rocprim17ROCPRIM_400000_NS6detail30init_device_scan_by_key_kernelINS1_19lookback_scan_stateINS0_5tupleIJfbEEELb0ELb1EEENS1_16block_id_wrapperIjLb0EEEEEvT_jjPNS9_10value_typeET0_
; %bb.0:
	s_load_dword s3, s[0:1], 0x2c
	s_load_dwordx2 s[8:9], s[0:1], 0x10
	s_load_dwordx4 s[4:7], s[0:1], 0x0
	s_waitcnt lgkmcnt(0)
	s_and_b32 s0, s3, 0xffff
	s_mul_i32 s2, s2, s0
	s_cmp_eq_u64 s[8:9], 0
	v_add_u32_e32 v0, s2, v0
	s_cbranch_scc1 .LBB1129_8
; %bb.1:
	s_cmp_lt_u32 s7, s6
	s_cselect_b32 s0, s7, 0
	s_mov_b32 s3, 0
	v_cmp_eq_u32_e32 vcc, s0, v0
	s_and_saveexec_b64 s[0:1], vcc
	s_cbranch_execz .LBB1129_7
; %bb.2:
	s_add_i32 s2, s7, 64
	s_lshl_b64 s[2:3], s[2:3], 4
	s_add_u32 s12, s4, s2
	s_addc_u32 s13, s5, s3
	v_mov_b64_e32 v[2:3], s[12:13]
	;;#ASMSTART
	global_load_dwordx4 v[2:5], v[2:3] off sc1	
s_waitcnt vmcnt(0)
	;;#ASMEND
	v_mov_b32_e32 v7, 0
	v_and_b32_e32 v6, 0xff, v4
	s_mov_b64 s[10:11], 0
	v_cmp_eq_u64_e32 vcc, 0, v[6:7]
	s_and_saveexec_b64 s[2:3], vcc
	s_cbranch_execz .LBB1129_6
; %bb.3:
	v_mov_b64_e32 v[8:9], s[12:13]
.LBB1129_4:                             ; =>This Inner Loop Header: Depth=1
	;;#ASMSTART
	global_load_dwordx4 v[2:5], v[8:9] off sc1	
s_waitcnt vmcnt(0)
	;;#ASMEND
	s_nop 0
	v_and_b32_e32 v6, 0xff, v4
	v_cmp_ne_u64_e32 vcc, 0, v[6:7]
	s_or_b64 s[10:11], vcc, s[10:11]
	s_andn2_b64 exec, exec, s[10:11]
	s_cbranch_execnz .LBB1129_4
; %bb.5:
	s_or_b64 exec, exec, s[10:11]
.LBB1129_6:
	s_or_b64 exec, exec, s[2:3]
	v_mov_b32_e32 v1, 0
	global_store_dword v1, v2, s[8:9]
	global_store_byte v1, v3, s[8:9] offset:4
.LBB1129_7:
	s_or_b64 exec, exec, s[0:1]
.LBB1129_8:
	v_cmp_gt_u32_e32 vcc, s6, v0
	s_and_saveexec_b64 s[0:1], vcc
	s_cbranch_execnz .LBB1129_11
; %bb.9:
	s_or_b64 exec, exec, s[0:1]
	v_cmp_gt_u32_e32 vcc, 64, v0
	s_and_saveexec_b64 s[0:1], vcc
	s_cbranch_execnz .LBB1129_12
.LBB1129_10:
	s_endpgm
.LBB1129_11:
	v_add_u32_e32 v2, 64, v0
	v_mov_b32_e32 v3, 0
	v_lshl_add_u64 v[6:7], v[2:3], 4, s[4:5]
	v_mov_b32_e32 v2, v3
	v_mov_b32_e32 v4, v3
	;; [unrolled: 1-line block ×3, first 2 shown]
	global_store_dwordx4 v[6:7], v[2:5], off
	s_or_b64 exec, exec, s[0:1]
	v_cmp_gt_u32_e32 vcc, 64, v0
	s_and_saveexec_b64 s[0:1], vcc
	s_cbranch_execz .LBB1129_10
.LBB1129_12:
	v_mov_b32_e32 v1, 0
	v_lshl_add_u64 v[4:5], v[0:1], 4, s[4:5]
	v_mov_b32_e32 v2, 0xff
	v_mov_b32_e32 v0, v1
	;; [unrolled: 1-line block ×3, first 2 shown]
	global_store_dwordx4 v[4:5], v[0:3], off
	s_endpgm
	.section	.rodata,"a",@progbits
	.p2align	6, 0x0
	.amdhsa_kernel _ZN7rocprim17ROCPRIM_400000_NS6detail30init_device_scan_by_key_kernelINS1_19lookback_scan_stateINS0_5tupleIJfbEEELb0ELb1EEENS1_16block_id_wrapperIjLb0EEEEEvT_jjPNS9_10value_typeET0_
		.amdhsa_group_segment_fixed_size 0
		.amdhsa_private_segment_fixed_size 0
		.amdhsa_kernarg_size 288
		.amdhsa_user_sgpr_count 2
		.amdhsa_user_sgpr_dispatch_ptr 0
		.amdhsa_user_sgpr_queue_ptr 0
		.amdhsa_user_sgpr_kernarg_segment_ptr 1
		.amdhsa_user_sgpr_dispatch_id 0
		.amdhsa_user_sgpr_kernarg_preload_length 0
		.amdhsa_user_sgpr_kernarg_preload_offset 0
		.amdhsa_user_sgpr_private_segment_size 0
		.amdhsa_uses_dynamic_stack 0
		.amdhsa_enable_private_segment 0
		.amdhsa_system_sgpr_workgroup_id_x 1
		.amdhsa_system_sgpr_workgroup_id_y 0
		.amdhsa_system_sgpr_workgroup_id_z 0
		.amdhsa_system_sgpr_workgroup_info 0
		.amdhsa_system_vgpr_workitem_id 0
		.amdhsa_next_free_vgpr 10
		.amdhsa_next_free_sgpr 14
		.amdhsa_accum_offset 12
		.amdhsa_reserve_vcc 1
		.amdhsa_float_round_mode_32 0
		.amdhsa_float_round_mode_16_64 0
		.amdhsa_float_denorm_mode_32 3
		.amdhsa_float_denorm_mode_16_64 3
		.amdhsa_dx10_clamp 1
		.amdhsa_ieee_mode 1
		.amdhsa_fp16_overflow 0
		.amdhsa_tg_split 0
		.amdhsa_exception_fp_ieee_invalid_op 0
		.amdhsa_exception_fp_denorm_src 0
		.amdhsa_exception_fp_ieee_div_zero 0
		.amdhsa_exception_fp_ieee_overflow 0
		.amdhsa_exception_fp_ieee_underflow 0
		.amdhsa_exception_fp_ieee_inexact 0
		.amdhsa_exception_int_div_zero 0
	.end_amdhsa_kernel
	.section	.text._ZN7rocprim17ROCPRIM_400000_NS6detail30init_device_scan_by_key_kernelINS1_19lookback_scan_stateINS0_5tupleIJfbEEELb0ELb1EEENS1_16block_id_wrapperIjLb0EEEEEvT_jjPNS9_10value_typeET0_,"axG",@progbits,_ZN7rocprim17ROCPRIM_400000_NS6detail30init_device_scan_by_key_kernelINS1_19lookback_scan_stateINS0_5tupleIJfbEEELb0ELb1EEENS1_16block_id_wrapperIjLb0EEEEEvT_jjPNS9_10value_typeET0_,comdat
.Lfunc_end1129:
	.size	_ZN7rocprim17ROCPRIM_400000_NS6detail30init_device_scan_by_key_kernelINS1_19lookback_scan_stateINS0_5tupleIJfbEEELb0ELb1EEENS1_16block_id_wrapperIjLb0EEEEEvT_jjPNS9_10value_typeET0_, .Lfunc_end1129-_ZN7rocprim17ROCPRIM_400000_NS6detail30init_device_scan_by_key_kernelINS1_19lookback_scan_stateINS0_5tupleIJfbEEELb0ELb1EEENS1_16block_id_wrapperIjLb0EEEEEvT_jjPNS9_10value_typeET0_
                                        ; -- End function
	.section	.AMDGPU.csdata,"",@progbits
; Kernel info:
; codeLenInByte = 344
; NumSgprs: 20
; NumVgprs: 10
; NumAgprs: 0
; TotalNumVgprs: 10
; ScratchSize: 0
; MemoryBound: 0
; FloatMode: 240
; IeeeMode: 1
; LDSByteSize: 0 bytes/workgroup (compile time only)
; SGPRBlocks: 2
; VGPRBlocks: 1
; NumSGPRsForWavesPerEU: 20
; NumVGPRsForWavesPerEU: 10
; AccumOffset: 12
; Occupancy: 8
; WaveLimiterHint : 0
; COMPUTE_PGM_RSRC2:SCRATCH_EN: 0
; COMPUTE_PGM_RSRC2:USER_SGPR: 2
; COMPUTE_PGM_RSRC2:TRAP_HANDLER: 0
; COMPUTE_PGM_RSRC2:TGID_X_EN: 1
; COMPUTE_PGM_RSRC2:TGID_Y_EN: 0
; COMPUTE_PGM_RSRC2:TGID_Z_EN: 0
; COMPUTE_PGM_RSRC2:TIDIG_COMP_CNT: 0
; COMPUTE_PGM_RSRC3_GFX90A:ACCUM_OFFSET: 2
; COMPUTE_PGM_RSRC3_GFX90A:TG_SPLIT: 0
	.section	.text._ZN7rocprim17ROCPRIM_400000_NS6detail17trampoline_kernelINS0_14default_configENS1_27scan_by_key_config_selectorIifEEZZNS1_16scan_by_key_implILNS1_25lookback_scan_determinismE0ELb0ES3_N6thrust23THRUST_200600_302600_NS6detail15normal_iteratorINS9_10device_ptrIiEEEENSB_INSC_IfEEEESG_fNS9_4plusIvEENS9_8equal_toIvEEfEE10hipError_tPvRmT2_T3_T4_T5_mT6_T7_P12ihipStream_tbENKUlT_T0_E_clISt17integral_constantIbLb0EES11_EEDaSW_SX_EUlSW_E_NS1_11comp_targetILNS1_3genE0ELNS1_11target_archE4294967295ELNS1_3gpuE0ELNS1_3repE0EEENS1_30default_config_static_selectorELNS0_4arch9wavefront6targetE1EEEvT1_,"axG",@progbits,_ZN7rocprim17ROCPRIM_400000_NS6detail17trampoline_kernelINS0_14default_configENS1_27scan_by_key_config_selectorIifEEZZNS1_16scan_by_key_implILNS1_25lookback_scan_determinismE0ELb0ES3_N6thrust23THRUST_200600_302600_NS6detail15normal_iteratorINS9_10device_ptrIiEEEENSB_INSC_IfEEEESG_fNS9_4plusIvEENS9_8equal_toIvEEfEE10hipError_tPvRmT2_T3_T4_T5_mT6_T7_P12ihipStream_tbENKUlT_T0_E_clISt17integral_constantIbLb0EES11_EEDaSW_SX_EUlSW_E_NS1_11comp_targetILNS1_3genE0ELNS1_11target_archE4294967295ELNS1_3gpuE0ELNS1_3repE0EEENS1_30default_config_static_selectorELNS0_4arch9wavefront6targetE1EEEvT1_,comdat
	.protected	_ZN7rocprim17ROCPRIM_400000_NS6detail17trampoline_kernelINS0_14default_configENS1_27scan_by_key_config_selectorIifEEZZNS1_16scan_by_key_implILNS1_25lookback_scan_determinismE0ELb0ES3_N6thrust23THRUST_200600_302600_NS6detail15normal_iteratorINS9_10device_ptrIiEEEENSB_INSC_IfEEEESG_fNS9_4plusIvEENS9_8equal_toIvEEfEE10hipError_tPvRmT2_T3_T4_T5_mT6_T7_P12ihipStream_tbENKUlT_T0_E_clISt17integral_constantIbLb0EES11_EEDaSW_SX_EUlSW_E_NS1_11comp_targetILNS1_3genE0ELNS1_11target_archE4294967295ELNS1_3gpuE0ELNS1_3repE0EEENS1_30default_config_static_selectorELNS0_4arch9wavefront6targetE1EEEvT1_ ; -- Begin function _ZN7rocprim17ROCPRIM_400000_NS6detail17trampoline_kernelINS0_14default_configENS1_27scan_by_key_config_selectorIifEEZZNS1_16scan_by_key_implILNS1_25lookback_scan_determinismE0ELb0ES3_N6thrust23THRUST_200600_302600_NS6detail15normal_iteratorINS9_10device_ptrIiEEEENSB_INSC_IfEEEESG_fNS9_4plusIvEENS9_8equal_toIvEEfEE10hipError_tPvRmT2_T3_T4_T5_mT6_T7_P12ihipStream_tbENKUlT_T0_E_clISt17integral_constantIbLb0EES11_EEDaSW_SX_EUlSW_E_NS1_11comp_targetILNS1_3genE0ELNS1_11target_archE4294967295ELNS1_3gpuE0ELNS1_3repE0EEENS1_30default_config_static_selectorELNS0_4arch9wavefront6targetE1EEEvT1_
	.globl	_ZN7rocprim17ROCPRIM_400000_NS6detail17trampoline_kernelINS0_14default_configENS1_27scan_by_key_config_selectorIifEEZZNS1_16scan_by_key_implILNS1_25lookback_scan_determinismE0ELb0ES3_N6thrust23THRUST_200600_302600_NS6detail15normal_iteratorINS9_10device_ptrIiEEEENSB_INSC_IfEEEESG_fNS9_4plusIvEENS9_8equal_toIvEEfEE10hipError_tPvRmT2_T3_T4_T5_mT6_T7_P12ihipStream_tbENKUlT_T0_E_clISt17integral_constantIbLb0EES11_EEDaSW_SX_EUlSW_E_NS1_11comp_targetILNS1_3genE0ELNS1_11target_archE4294967295ELNS1_3gpuE0ELNS1_3repE0EEENS1_30default_config_static_selectorELNS0_4arch9wavefront6targetE1EEEvT1_
	.p2align	8
	.type	_ZN7rocprim17ROCPRIM_400000_NS6detail17trampoline_kernelINS0_14default_configENS1_27scan_by_key_config_selectorIifEEZZNS1_16scan_by_key_implILNS1_25lookback_scan_determinismE0ELb0ES3_N6thrust23THRUST_200600_302600_NS6detail15normal_iteratorINS9_10device_ptrIiEEEENSB_INSC_IfEEEESG_fNS9_4plusIvEENS9_8equal_toIvEEfEE10hipError_tPvRmT2_T3_T4_T5_mT6_T7_P12ihipStream_tbENKUlT_T0_E_clISt17integral_constantIbLb0EES11_EEDaSW_SX_EUlSW_E_NS1_11comp_targetILNS1_3genE0ELNS1_11target_archE4294967295ELNS1_3gpuE0ELNS1_3repE0EEENS1_30default_config_static_selectorELNS0_4arch9wavefront6targetE1EEEvT1_,@function
_ZN7rocprim17ROCPRIM_400000_NS6detail17trampoline_kernelINS0_14default_configENS1_27scan_by_key_config_selectorIifEEZZNS1_16scan_by_key_implILNS1_25lookback_scan_determinismE0ELb0ES3_N6thrust23THRUST_200600_302600_NS6detail15normal_iteratorINS9_10device_ptrIiEEEENSB_INSC_IfEEEESG_fNS9_4plusIvEENS9_8equal_toIvEEfEE10hipError_tPvRmT2_T3_T4_T5_mT6_T7_P12ihipStream_tbENKUlT_T0_E_clISt17integral_constantIbLb0EES11_EEDaSW_SX_EUlSW_E_NS1_11comp_targetILNS1_3genE0ELNS1_11target_archE4294967295ELNS1_3gpuE0ELNS1_3repE0EEENS1_30default_config_static_selectorELNS0_4arch9wavefront6targetE1EEEvT1_: ; @_ZN7rocprim17ROCPRIM_400000_NS6detail17trampoline_kernelINS0_14default_configENS1_27scan_by_key_config_selectorIifEEZZNS1_16scan_by_key_implILNS1_25lookback_scan_determinismE0ELb0ES3_N6thrust23THRUST_200600_302600_NS6detail15normal_iteratorINS9_10device_ptrIiEEEENSB_INSC_IfEEEESG_fNS9_4plusIvEENS9_8equal_toIvEEfEE10hipError_tPvRmT2_T3_T4_T5_mT6_T7_P12ihipStream_tbENKUlT_T0_E_clISt17integral_constantIbLb0EES11_EEDaSW_SX_EUlSW_E_NS1_11comp_targetILNS1_3genE0ELNS1_11target_archE4294967295ELNS1_3gpuE0ELNS1_3repE0EEENS1_30default_config_static_selectorELNS0_4arch9wavefront6targetE1EEEvT1_
; %bb.0:
	.section	.rodata,"a",@progbits
	.p2align	6, 0x0
	.amdhsa_kernel _ZN7rocprim17ROCPRIM_400000_NS6detail17trampoline_kernelINS0_14default_configENS1_27scan_by_key_config_selectorIifEEZZNS1_16scan_by_key_implILNS1_25lookback_scan_determinismE0ELb0ES3_N6thrust23THRUST_200600_302600_NS6detail15normal_iteratorINS9_10device_ptrIiEEEENSB_INSC_IfEEEESG_fNS9_4plusIvEENS9_8equal_toIvEEfEE10hipError_tPvRmT2_T3_T4_T5_mT6_T7_P12ihipStream_tbENKUlT_T0_E_clISt17integral_constantIbLb0EES11_EEDaSW_SX_EUlSW_E_NS1_11comp_targetILNS1_3genE0ELNS1_11target_archE4294967295ELNS1_3gpuE0ELNS1_3repE0EEENS1_30default_config_static_selectorELNS0_4arch9wavefront6targetE1EEEvT1_
		.amdhsa_group_segment_fixed_size 0
		.amdhsa_private_segment_fixed_size 0
		.amdhsa_kernarg_size 112
		.amdhsa_user_sgpr_count 2
		.amdhsa_user_sgpr_dispatch_ptr 0
		.amdhsa_user_sgpr_queue_ptr 0
		.amdhsa_user_sgpr_kernarg_segment_ptr 1
		.amdhsa_user_sgpr_dispatch_id 0
		.amdhsa_user_sgpr_kernarg_preload_length 0
		.amdhsa_user_sgpr_kernarg_preload_offset 0
		.amdhsa_user_sgpr_private_segment_size 0
		.amdhsa_uses_dynamic_stack 0
		.amdhsa_enable_private_segment 0
		.amdhsa_system_sgpr_workgroup_id_x 1
		.amdhsa_system_sgpr_workgroup_id_y 0
		.amdhsa_system_sgpr_workgroup_id_z 0
		.amdhsa_system_sgpr_workgroup_info 0
		.amdhsa_system_vgpr_workitem_id 0
		.amdhsa_next_free_vgpr 1
		.amdhsa_next_free_sgpr 0
		.amdhsa_accum_offset 4
		.amdhsa_reserve_vcc 0
		.amdhsa_float_round_mode_32 0
		.amdhsa_float_round_mode_16_64 0
		.amdhsa_float_denorm_mode_32 3
		.amdhsa_float_denorm_mode_16_64 3
		.amdhsa_dx10_clamp 1
		.amdhsa_ieee_mode 1
		.amdhsa_fp16_overflow 0
		.amdhsa_tg_split 0
		.amdhsa_exception_fp_ieee_invalid_op 0
		.amdhsa_exception_fp_denorm_src 0
		.amdhsa_exception_fp_ieee_div_zero 0
		.amdhsa_exception_fp_ieee_overflow 0
		.amdhsa_exception_fp_ieee_underflow 0
		.amdhsa_exception_fp_ieee_inexact 0
		.amdhsa_exception_int_div_zero 0
	.end_amdhsa_kernel
	.section	.text._ZN7rocprim17ROCPRIM_400000_NS6detail17trampoline_kernelINS0_14default_configENS1_27scan_by_key_config_selectorIifEEZZNS1_16scan_by_key_implILNS1_25lookback_scan_determinismE0ELb0ES3_N6thrust23THRUST_200600_302600_NS6detail15normal_iteratorINS9_10device_ptrIiEEEENSB_INSC_IfEEEESG_fNS9_4plusIvEENS9_8equal_toIvEEfEE10hipError_tPvRmT2_T3_T4_T5_mT6_T7_P12ihipStream_tbENKUlT_T0_E_clISt17integral_constantIbLb0EES11_EEDaSW_SX_EUlSW_E_NS1_11comp_targetILNS1_3genE0ELNS1_11target_archE4294967295ELNS1_3gpuE0ELNS1_3repE0EEENS1_30default_config_static_selectorELNS0_4arch9wavefront6targetE1EEEvT1_,"axG",@progbits,_ZN7rocprim17ROCPRIM_400000_NS6detail17trampoline_kernelINS0_14default_configENS1_27scan_by_key_config_selectorIifEEZZNS1_16scan_by_key_implILNS1_25lookback_scan_determinismE0ELb0ES3_N6thrust23THRUST_200600_302600_NS6detail15normal_iteratorINS9_10device_ptrIiEEEENSB_INSC_IfEEEESG_fNS9_4plusIvEENS9_8equal_toIvEEfEE10hipError_tPvRmT2_T3_T4_T5_mT6_T7_P12ihipStream_tbENKUlT_T0_E_clISt17integral_constantIbLb0EES11_EEDaSW_SX_EUlSW_E_NS1_11comp_targetILNS1_3genE0ELNS1_11target_archE4294967295ELNS1_3gpuE0ELNS1_3repE0EEENS1_30default_config_static_selectorELNS0_4arch9wavefront6targetE1EEEvT1_,comdat
.Lfunc_end1130:
	.size	_ZN7rocprim17ROCPRIM_400000_NS6detail17trampoline_kernelINS0_14default_configENS1_27scan_by_key_config_selectorIifEEZZNS1_16scan_by_key_implILNS1_25lookback_scan_determinismE0ELb0ES3_N6thrust23THRUST_200600_302600_NS6detail15normal_iteratorINS9_10device_ptrIiEEEENSB_INSC_IfEEEESG_fNS9_4plusIvEENS9_8equal_toIvEEfEE10hipError_tPvRmT2_T3_T4_T5_mT6_T7_P12ihipStream_tbENKUlT_T0_E_clISt17integral_constantIbLb0EES11_EEDaSW_SX_EUlSW_E_NS1_11comp_targetILNS1_3genE0ELNS1_11target_archE4294967295ELNS1_3gpuE0ELNS1_3repE0EEENS1_30default_config_static_selectorELNS0_4arch9wavefront6targetE1EEEvT1_, .Lfunc_end1130-_ZN7rocprim17ROCPRIM_400000_NS6detail17trampoline_kernelINS0_14default_configENS1_27scan_by_key_config_selectorIifEEZZNS1_16scan_by_key_implILNS1_25lookback_scan_determinismE0ELb0ES3_N6thrust23THRUST_200600_302600_NS6detail15normal_iteratorINS9_10device_ptrIiEEEENSB_INSC_IfEEEESG_fNS9_4plusIvEENS9_8equal_toIvEEfEE10hipError_tPvRmT2_T3_T4_T5_mT6_T7_P12ihipStream_tbENKUlT_T0_E_clISt17integral_constantIbLb0EES11_EEDaSW_SX_EUlSW_E_NS1_11comp_targetILNS1_3genE0ELNS1_11target_archE4294967295ELNS1_3gpuE0ELNS1_3repE0EEENS1_30default_config_static_selectorELNS0_4arch9wavefront6targetE1EEEvT1_
                                        ; -- End function
	.section	.AMDGPU.csdata,"",@progbits
; Kernel info:
; codeLenInByte = 0
; NumSgprs: 6
; NumVgprs: 0
; NumAgprs: 0
; TotalNumVgprs: 0
; ScratchSize: 0
; MemoryBound: 0
; FloatMode: 240
; IeeeMode: 1
; LDSByteSize: 0 bytes/workgroup (compile time only)
; SGPRBlocks: 0
; VGPRBlocks: 0
; NumSGPRsForWavesPerEU: 6
; NumVGPRsForWavesPerEU: 1
; AccumOffset: 4
; Occupancy: 8
; WaveLimiterHint : 0
; COMPUTE_PGM_RSRC2:SCRATCH_EN: 0
; COMPUTE_PGM_RSRC2:USER_SGPR: 2
; COMPUTE_PGM_RSRC2:TRAP_HANDLER: 0
; COMPUTE_PGM_RSRC2:TGID_X_EN: 1
; COMPUTE_PGM_RSRC2:TGID_Y_EN: 0
; COMPUTE_PGM_RSRC2:TGID_Z_EN: 0
; COMPUTE_PGM_RSRC2:TIDIG_COMP_CNT: 0
; COMPUTE_PGM_RSRC3_GFX90A:ACCUM_OFFSET: 0
; COMPUTE_PGM_RSRC3_GFX90A:TG_SPLIT: 0
	.section	.text._ZN7rocprim17ROCPRIM_400000_NS6detail17trampoline_kernelINS0_14default_configENS1_27scan_by_key_config_selectorIifEEZZNS1_16scan_by_key_implILNS1_25lookback_scan_determinismE0ELb0ES3_N6thrust23THRUST_200600_302600_NS6detail15normal_iteratorINS9_10device_ptrIiEEEENSB_INSC_IfEEEESG_fNS9_4plusIvEENS9_8equal_toIvEEfEE10hipError_tPvRmT2_T3_T4_T5_mT6_T7_P12ihipStream_tbENKUlT_T0_E_clISt17integral_constantIbLb0EES11_EEDaSW_SX_EUlSW_E_NS1_11comp_targetILNS1_3genE10ELNS1_11target_archE1201ELNS1_3gpuE5ELNS1_3repE0EEENS1_30default_config_static_selectorELNS0_4arch9wavefront6targetE1EEEvT1_,"axG",@progbits,_ZN7rocprim17ROCPRIM_400000_NS6detail17trampoline_kernelINS0_14default_configENS1_27scan_by_key_config_selectorIifEEZZNS1_16scan_by_key_implILNS1_25lookback_scan_determinismE0ELb0ES3_N6thrust23THRUST_200600_302600_NS6detail15normal_iteratorINS9_10device_ptrIiEEEENSB_INSC_IfEEEESG_fNS9_4plusIvEENS9_8equal_toIvEEfEE10hipError_tPvRmT2_T3_T4_T5_mT6_T7_P12ihipStream_tbENKUlT_T0_E_clISt17integral_constantIbLb0EES11_EEDaSW_SX_EUlSW_E_NS1_11comp_targetILNS1_3genE10ELNS1_11target_archE1201ELNS1_3gpuE5ELNS1_3repE0EEENS1_30default_config_static_selectorELNS0_4arch9wavefront6targetE1EEEvT1_,comdat
	.protected	_ZN7rocprim17ROCPRIM_400000_NS6detail17trampoline_kernelINS0_14default_configENS1_27scan_by_key_config_selectorIifEEZZNS1_16scan_by_key_implILNS1_25lookback_scan_determinismE0ELb0ES3_N6thrust23THRUST_200600_302600_NS6detail15normal_iteratorINS9_10device_ptrIiEEEENSB_INSC_IfEEEESG_fNS9_4plusIvEENS9_8equal_toIvEEfEE10hipError_tPvRmT2_T3_T4_T5_mT6_T7_P12ihipStream_tbENKUlT_T0_E_clISt17integral_constantIbLb0EES11_EEDaSW_SX_EUlSW_E_NS1_11comp_targetILNS1_3genE10ELNS1_11target_archE1201ELNS1_3gpuE5ELNS1_3repE0EEENS1_30default_config_static_selectorELNS0_4arch9wavefront6targetE1EEEvT1_ ; -- Begin function _ZN7rocprim17ROCPRIM_400000_NS6detail17trampoline_kernelINS0_14default_configENS1_27scan_by_key_config_selectorIifEEZZNS1_16scan_by_key_implILNS1_25lookback_scan_determinismE0ELb0ES3_N6thrust23THRUST_200600_302600_NS6detail15normal_iteratorINS9_10device_ptrIiEEEENSB_INSC_IfEEEESG_fNS9_4plusIvEENS9_8equal_toIvEEfEE10hipError_tPvRmT2_T3_T4_T5_mT6_T7_P12ihipStream_tbENKUlT_T0_E_clISt17integral_constantIbLb0EES11_EEDaSW_SX_EUlSW_E_NS1_11comp_targetILNS1_3genE10ELNS1_11target_archE1201ELNS1_3gpuE5ELNS1_3repE0EEENS1_30default_config_static_selectorELNS0_4arch9wavefront6targetE1EEEvT1_
	.globl	_ZN7rocprim17ROCPRIM_400000_NS6detail17trampoline_kernelINS0_14default_configENS1_27scan_by_key_config_selectorIifEEZZNS1_16scan_by_key_implILNS1_25lookback_scan_determinismE0ELb0ES3_N6thrust23THRUST_200600_302600_NS6detail15normal_iteratorINS9_10device_ptrIiEEEENSB_INSC_IfEEEESG_fNS9_4plusIvEENS9_8equal_toIvEEfEE10hipError_tPvRmT2_T3_T4_T5_mT6_T7_P12ihipStream_tbENKUlT_T0_E_clISt17integral_constantIbLb0EES11_EEDaSW_SX_EUlSW_E_NS1_11comp_targetILNS1_3genE10ELNS1_11target_archE1201ELNS1_3gpuE5ELNS1_3repE0EEENS1_30default_config_static_selectorELNS0_4arch9wavefront6targetE1EEEvT1_
	.p2align	8
	.type	_ZN7rocprim17ROCPRIM_400000_NS6detail17trampoline_kernelINS0_14default_configENS1_27scan_by_key_config_selectorIifEEZZNS1_16scan_by_key_implILNS1_25lookback_scan_determinismE0ELb0ES3_N6thrust23THRUST_200600_302600_NS6detail15normal_iteratorINS9_10device_ptrIiEEEENSB_INSC_IfEEEESG_fNS9_4plusIvEENS9_8equal_toIvEEfEE10hipError_tPvRmT2_T3_T4_T5_mT6_T7_P12ihipStream_tbENKUlT_T0_E_clISt17integral_constantIbLb0EES11_EEDaSW_SX_EUlSW_E_NS1_11comp_targetILNS1_3genE10ELNS1_11target_archE1201ELNS1_3gpuE5ELNS1_3repE0EEENS1_30default_config_static_selectorELNS0_4arch9wavefront6targetE1EEEvT1_,@function
_ZN7rocprim17ROCPRIM_400000_NS6detail17trampoline_kernelINS0_14default_configENS1_27scan_by_key_config_selectorIifEEZZNS1_16scan_by_key_implILNS1_25lookback_scan_determinismE0ELb0ES3_N6thrust23THRUST_200600_302600_NS6detail15normal_iteratorINS9_10device_ptrIiEEEENSB_INSC_IfEEEESG_fNS9_4plusIvEENS9_8equal_toIvEEfEE10hipError_tPvRmT2_T3_T4_T5_mT6_T7_P12ihipStream_tbENKUlT_T0_E_clISt17integral_constantIbLb0EES11_EEDaSW_SX_EUlSW_E_NS1_11comp_targetILNS1_3genE10ELNS1_11target_archE1201ELNS1_3gpuE5ELNS1_3repE0EEENS1_30default_config_static_selectorELNS0_4arch9wavefront6targetE1EEEvT1_: ; @_ZN7rocprim17ROCPRIM_400000_NS6detail17trampoline_kernelINS0_14default_configENS1_27scan_by_key_config_selectorIifEEZZNS1_16scan_by_key_implILNS1_25lookback_scan_determinismE0ELb0ES3_N6thrust23THRUST_200600_302600_NS6detail15normal_iteratorINS9_10device_ptrIiEEEENSB_INSC_IfEEEESG_fNS9_4plusIvEENS9_8equal_toIvEEfEE10hipError_tPvRmT2_T3_T4_T5_mT6_T7_P12ihipStream_tbENKUlT_T0_E_clISt17integral_constantIbLb0EES11_EEDaSW_SX_EUlSW_E_NS1_11comp_targetILNS1_3genE10ELNS1_11target_archE1201ELNS1_3gpuE5ELNS1_3repE0EEENS1_30default_config_static_selectorELNS0_4arch9wavefront6targetE1EEEvT1_
; %bb.0:
	.section	.rodata,"a",@progbits
	.p2align	6, 0x0
	.amdhsa_kernel _ZN7rocprim17ROCPRIM_400000_NS6detail17trampoline_kernelINS0_14default_configENS1_27scan_by_key_config_selectorIifEEZZNS1_16scan_by_key_implILNS1_25lookback_scan_determinismE0ELb0ES3_N6thrust23THRUST_200600_302600_NS6detail15normal_iteratorINS9_10device_ptrIiEEEENSB_INSC_IfEEEESG_fNS9_4plusIvEENS9_8equal_toIvEEfEE10hipError_tPvRmT2_T3_T4_T5_mT6_T7_P12ihipStream_tbENKUlT_T0_E_clISt17integral_constantIbLb0EES11_EEDaSW_SX_EUlSW_E_NS1_11comp_targetILNS1_3genE10ELNS1_11target_archE1201ELNS1_3gpuE5ELNS1_3repE0EEENS1_30default_config_static_selectorELNS0_4arch9wavefront6targetE1EEEvT1_
		.amdhsa_group_segment_fixed_size 0
		.amdhsa_private_segment_fixed_size 0
		.amdhsa_kernarg_size 112
		.amdhsa_user_sgpr_count 2
		.amdhsa_user_sgpr_dispatch_ptr 0
		.amdhsa_user_sgpr_queue_ptr 0
		.amdhsa_user_sgpr_kernarg_segment_ptr 1
		.amdhsa_user_sgpr_dispatch_id 0
		.amdhsa_user_sgpr_kernarg_preload_length 0
		.amdhsa_user_sgpr_kernarg_preload_offset 0
		.amdhsa_user_sgpr_private_segment_size 0
		.amdhsa_uses_dynamic_stack 0
		.amdhsa_enable_private_segment 0
		.amdhsa_system_sgpr_workgroup_id_x 1
		.amdhsa_system_sgpr_workgroup_id_y 0
		.amdhsa_system_sgpr_workgroup_id_z 0
		.amdhsa_system_sgpr_workgroup_info 0
		.amdhsa_system_vgpr_workitem_id 0
		.amdhsa_next_free_vgpr 1
		.amdhsa_next_free_sgpr 0
		.amdhsa_accum_offset 4
		.amdhsa_reserve_vcc 0
		.amdhsa_float_round_mode_32 0
		.amdhsa_float_round_mode_16_64 0
		.amdhsa_float_denorm_mode_32 3
		.amdhsa_float_denorm_mode_16_64 3
		.amdhsa_dx10_clamp 1
		.amdhsa_ieee_mode 1
		.amdhsa_fp16_overflow 0
		.amdhsa_tg_split 0
		.amdhsa_exception_fp_ieee_invalid_op 0
		.amdhsa_exception_fp_denorm_src 0
		.amdhsa_exception_fp_ieee_div_zero 0
		.amdhsa_exception_fp_ieee_overflow 0
		.amdhsa_exception_fp_ieee_underflow 0
		.amdhsa_exception_fp_ieee_inexact 0
		.amdhsa_exception_int_div_zero 0
	.end_amdhsa_kernel
	.section	.text._ZN7rocprim17ROCPRIM_400000_NS6detail17trampoline_kernelINS0_14default_configENS1_27scan_by_key_config_selectorIifEEZZNS1_16scan_by_key_implILNS1_25lookback_scan_determinismE0ELb0ES3_N6thrust23THRUST_200600_302600_NS6detail15normal_iteratorINS9_10device_ptrIiEEEENSB_INSC_IfEEEESG_fNS9_4plusIvEENS9_8equal_toIvEEfEE10hipError_tPvRmT2_T3_T4_T5_mT6_T7_P12ihipStream_tbENKUlT_T0_E_clISt17integral_constantIbLb0EES11_EEDaSW_SX_EUlSW_E_NS1_11comp_targetILNS1_3genE10ELNS1_11target_archE1201ELNS1_3gpuE5ELNS1_3repE0EEENS1_30default_config_static_selectorELNS0_4arch9wavefront6targetE1EEEvT1_,"axG",@progbits,_ZN7rocprim17ROCPRIM_400000_NS6detail17trampoline_kernelINS0_14default_configENS1_27scan_by_key_config_selectorIifEEZZNS1_16scan_by_key_implILNS1_25lookback_scan_determinismE0ELb0ES3_N6thrust23THRUST_200600_302600_NS6detail15normal_iteratorINS9_10device_ptrIiEEEENSB_INSC_IfEEEESG_fNS9_4plusIvEENS9_8equal_toIvEEfEE10hipError_tPvRmT2_T3_T4_T5_mT6_T7_P12ihipStream_tbENKUlT_T0_E_clISt17integral_constantIbLb0EES11_EEDaSW_SX_EUlSW_E_NS1_11comp_targetILNS1_3genE10ELNS1_11target_archE1201ELNS1_3gpuE5ELNS1_3repE0EEENS1_30default_config_static_selectorELNS0_4arch9wavefront6targetE1EEEvT1_,comdat
.Lfunc_end1131:
	.size	_ZN7rocprim17ROCPRIM_400000_NS6detail17trampoline_kernelINS0_14default_configENS1_27scan_by_key_config_selectorIifEEZZNS1_16scan_by_key_implILNS1_25lookback_scan_determinismE0ELb0ES3_N6thrust23THRUST_200600_302600_NS6detail15normal_iteratorINS9_10device_ptrIiEEEENSB_INSC_IfEEEESG_fNS9_4plusIvEENS9_8equal_toIvEEfEE10hipError_tPvRmT2_T3_T4_T5_mT6_T7_P12ihipStream_tbENKUlT_T0_E_clISt17integral_constantIbLb0EES11_EEDaSW_SX_EUlSW_E_NS1_11comp_targetILNS1_3genE10ELNS1_11target_archE1201ELNS1_3gpuE5ELNS1_3repE0EEENS1_30default_config_static_selectorELNS0_4arch9wavefront6targetE1EEEvT1_, .Lfunc_end1131-_ZN7rocprim17ROCPRIM_400000_NS6detail17trampoline_kernelINS0_14default_configENS1_27scan_by_key_config_selectorIifEEZZNS1_16scan_by_key_implILNS1_25lookback_scan_determinismE0ELb0ES3_N6thrust23THRUST_200600_302600_NS6detail15normal_iteratorINS9_10device_ptrIiEEEENSB_INSC_IfEEEESG_fNS9_4plusIvEENS9_8equal_toIvEEfEE10hipError_tPvRmT2_T3_T4_T5_mT6_T7_P12ihipStream_tbENKUlT_T0_E_clISt17integral_constantIbLb0EES11_EEDaSW_SX_EUlSW_E_NS1_11comp_targetILNS1_3genE10ELNS1_11target_archE1201ELNS1_3gpuE5ELNS1_3repE0EEENS1_30default_config_static_selectorELNS0_4arch9wavefront6targetE1EEEvT1_
                                        ; -- End function
	.section	.AMDGPU.csdata,"",@progbits
; Kernel info:
; codeLenInByte = 0
; NumSgprs: 6
; NumVgprs: 0
; NumAgprs: 0
; TotalNumVgprs: 0
; ScratchSize: 0
; MemoryBound: 0
; FloatMode: 240
; IeeeMode: 1
; LDSByteSize: 0 bytes/workgroup (compile time only)
; SGPRBlocks: 0
; VGPRBlocks: 0
; NumSGPRsForWavesPerEU: 6
; NumVGPRsForWavesPerEU: 1
; AccumOffset: 4
; Occupancy: 8
; WaveLimiterHint : 0
; COMPUTE_PGM_RSRC2:SCRATCH_EN: 0
; COMPUTE_PGM_RSRC2:USER_SGPR: 2
; COMPUTE_PGM_RSRC2:TRAP_HANDLER: 0
; COMPUTE_PGM_RSRC2:TGID_X_EN: 1
; COMPUTE_PGM_RSRC2:TGID_Y_EN: 0
; COMPUTE_PGM_RSRC2:TGID_Z_EN: 0
; COMPUTE_PGM_RSRC2:TIDIG_COMP_CNT: 0
; COMPUTE_PGM_RSRC3_GFX90A:ACCUM_OFFSET: 0
; COMPUTE_PGM_RSRC3_GFX90A:TG_SPLIT: 0
	.section	.text._ZN7rocprim17ROCPRIM_400000_NS6detail17trampoline_kernelINS0_14default_configENS1_27scan_by_key_config_selectorIifEEZZNS1_16scan_by_key_implILNS1_25lookback_scan_determinismE0ELb0ES3_N6thrust23THRUST_200600_302600_NS6detail15normal_iteratorINS9_10device_ptrIiEEEENSB_INSC_IfEEEESG_fNS9_4plusIvEENS9_8equal_toIvEEfEE10hipError_tPvRmT2_T3_T4_T5_mT6_T7_P12ihipStream_tbENKUlT_T0_E_clISt17integral_constantIbLb0EES11_EEDaSW_SX_EUlSW_E_NS1_11comp_targetILNS1_3genE5ELNS1_11target_archE942ELNS1_3gpuE9ELNS1_3repE0EEENS1_30default_config_static_selectorELNS0_4arch9wavefront6targetE1EEEvT1_,"axG",@progbits,_ZN7rocprim17ROCPRIM_400000_NS6detail17trampoline_kernelINS0_14default_configENS1_27scan_by_key_config_selectorIifEEZZNS1_16scan_by_key_implILNS1_25lookback_scan_determinismE0ELb0ES3_N6thrust23THRUST_200600_302600_NS6detail15normal_iteratorINS9_10device_ptrIiEEEENSB_INSC_IfEEEESG_fNS9_4plusIvEENS9_8equal_toIvEEfEE10hipError_tPvRmT2_T3_T4_T5_mT6_T7_P12ihipStream_tbENKUlT_T0_E_clISt17integral_constantIbLb0EES11_EEDaSW_SX_EUlSW_E_NS1_11comp_targetILNS1_3genE5ELNS1_11target_archE942ELNS1_3gpuE9ELNS1_3repE0EEENS1_30default_config_static_selectorELNS0_4arch9wavefront6targetE1EEEvT1_,comdat
	.protected	_ZN7rocprim17ROCPRIM_400000_NS6detail17trampoline_kernelINS0_14default_configENS1_27scan_by_key_config_selectorIifEEZZNS1_16scan_by_key_implILNS1_25lookback_scan_determinismE0ELb0ES3_N6thrust23THRUST_200600_302600_NS6detail15normal_iteratorINS9_10device_ptrIiEEEENSB_INSC_IfEEEESG_fNS9_4plusIvEENS9_8equal_toIvEEfEE10hipError_tPvRmT2_T3_T4_T5_mT6_T7_P12ihipStream_tbENKUlT_T0_E_clISt17integral_constantIbLb0EES11_EEDaSW_SX_EUlSW_E_NS1_11comp_targetILNS1_3genE5ELNS1_11target_archE942ELNS1_3gpuE9ELNS1_3repE0EEENS1_30default_config_static_selectorELNS0_4arch9wavefront6targetE1EEEvT1_ ; -- Begin function _ZN7rocprim17ROCPRIM_400000_NS6detail17trampoline_kernelINS0_14default_configENS1_27scan_by_key_config_selectorIifEEZZNS1_16scan_by_key_implILNS1_25lookback_scan_determinismE0ELb0ES3_N6thrust23THRUST_200600_302600_NS6detail15normal_iteratorINS9_10device_ptrIiEEEENSB_INSC_IfEEEESG_fNS9_4plusIvEENS9_8equal_toIvEEfEE10hipError_tPvRmT2_T3_T4_T5_mT6_T7_P12ihipStream_tbENKUlT_T0_E_clISt17integral_constantIbLb0EES11_EEDaSW_SX_EUlSW_E_NS1_11comp_targetILNS1_3genE5ELNS1_11target_archE942ELNS1_3gpuE9ELNS1_3repE0EEENS1_30default_config_static_selectorELNS0_4arch9wavefront6targetE1EEEvT1_
	.globl	_ZN7rocprim17ROCPRIM_400000_NS6detail17trampoline_kernelINS0_14default_configENS1_27scan_by_key_config_selectorIifEEZZNS1_16scan_by_key_implILNS1_25lookback_scan_determinismE0ELb0ES3_N6thrust23THRUST_200600_302600_NS6detail15normal_iteratorINS9_10device_ptrIiEEEENSB_INSC_IfEEEESG_fNS9_4plusIvEENS9_8equal_toIvEEfEE10hipError_tPvRmT2_T3_T4_T5_mT6_T7_P12ihipStream_tbENKUlT_T0_E_clISt17integral_constantIbLb0EES11_EEDaSW_SX_EUlSW_E_NS1_11comp_targetILNS1_3genE5ELNS1_11target_archE942ELNS1_3gpuE9ELNS1_3repE0EEENS1_30default_config_static_selectorELNS0_4arch9wavefront6targetE1EEEvT1_
	.p2align	8
	.type	_ZN7rocprim17ROCPRIM_400000_NS6detail17trampoline_kernelINS0_14default_configENS1_27scan_by_key_config_selectorIifEEZZNS1_16scan_by_key_implILNS1_25lookback_scan_determinismE0ELb0ES3_N6thrust23THRUST_200600_302600_NS6detail15normal_iteratorINS9_10device_ptrIiEEEENSB_INSC_IfEEEESG_fNS9_4plusIvEENS9_8equal_toIvEEfEE10hipError_tPvRmT2_T3_T4_T5_mT6_T7_P12ihipStream_tbENKUlT_T0_E_clISt17integral_constantIbLb0EES11_EEDaSW_SX_EUlSW_E_NS1_11comp_targetILNS1_3genE5ELNS1_11target_archE942ELNS1_3gpuE9ELNS1_3repE0EEENS1_30default_config_static_selectorELNS0_4arch9wavefront6targetE1EEEvT1_,@function
_ZN7rocprim17ROCPRIM_400000_NS6detail17trampoline_kernelINS0_14default_configENS1_27scan_by_key_config_selectorIifEEZZNS1_16scan_by_key_implILNS1_25lookback_scan_determinismE0ELb0ES3_N6thrust23THRUST_200600_302600_NS6detail15normal_iteratorINS9_10device_ptrIiEEEENSB_INSC_IfEEEESG_fNS9_4plusIvEENS9_8equal_toIvEEfEE10hipError_tPvRmT2_T3_T4_T5_mT6_T7_P12ihipStream_tbENKUlT_T0_E_clISt17integral_constantIbLb0EES11_EEDaSW_SX_EUlSW_E_NS1_11comp_targetILNS1_3genE5ELNS1_11target_archE942ELNS1_3gpuE9ELNS1_3repE0EEENS1_30default_config_static_selectorELNS0_4arch9wavefront6targetE1EEEvT1_: ; @_ZN7rocprim17ROCPRIM_400000_NS6detail17trampoline_kernelINS0_14default_configENS1_27scan_by_key_config_selectorIifEEZZNS1_16scan_by_key_implILNS1_25lookback_scan_determinismE0ELb0ES3_N6thrust23THRUST_200600_302600_NS6detail15normal_iteratorINS9_10device_ptrIiEEEENSB_INSC_IfEEEESG_fNS9_4plusIvEENS9_8equal_toIvEEfEE10hipError_tPvRmT2_T3_T4_T5_mT6_T7_P12ihipStream_tbENKUlT_T0_E_clISt17integral_constantIbLb0EES11_EEDaSW_SX_EUlSW_E_NS1_11comp_targetILNS1_3genE5ELNS1_11target_archE942ELNS1_3gpuE9ELNS1_3repE0EEENS1_30default_config_static_selectorELNS0_4arch9wavefront6targetE1EEEvT1_
; %bb.0:
	s_load_dwordx8 s[48:55], s[0:1], 0x0
	s_load_dwordx4 s[64:67], s[0:1], 0x28
	s_load_dwordx2 s[70:71], s[0:1], 0x38
	s_load_dword s3, s[0:1], 0x40
	s_load_dwordx8 s[56:63], s[0:1], 0x48
	s_waitcnt lgkmcnt(0)
	s_lshl_b64 s[68:69], s[50:51], 2
	s_add_u32 s4, s48, s68
	s_addc_u32 s5, s49, s69
	s_add_u32 s6, s52, s68
	s_mul_i32 s0, s71, s3
	s_mul_hi_u32 s1, s70, s3
	s_addc_u32 s7, s53, s69
	s_add_i32 s8, s1, s0
	s_cmp_lg_u64 s[60:61], 0
	s_mul_i32 s0, s2, 0x1700
	s_mov_b32 s1, 0
	s_cselect_b64 s[74:75], -1, 0
	s_lshl_b64 s[60:61], s[0:1], 2
	s_add_u32 s72, s4, s60
	s_addc_u32 s73, s5, s61
	s_add_u32 s52, s6, s60
	s_mul_i32 s3, s70, s3
	s_addc_u32 s53, s7, s61
	s_add_u32 s76, s3, s2
	s_addc_u32 s77, s8, 0
	s_add_u32 s4, s56, -1
	s_addc_u32 s5, s57, -1
	v_mov_b64_e32 v[2:3], s[4:5]
	v_cmp_ge_u64_e64 s[0:1], s[76:77], v[2:3]
	s_mov_b64 s[12:13], 0
	s_mov_b64 s[8:9], -1
	s_and_b64 vcc, exec, s[0:1]
	s_mul_i32 s33, s4, 0xffffe900
	s_barrier
	s_cbranch_vccz .LBB1132_122
; %bb.1:
	v_mov_b64_e32 v[2:3], s[72:73]
	flat_load_dword v1, v[2:3]
	s_add_i32 s3, s33, s66
	v_cmp_gt_u32_e64 s[50:51], s3, v0
	s_waitcnt vmcnt(0) lgkmcnt(0)
	v_mov_b32_e32 v39, v1
	s_and_saveexec_b64 s[4:5], s[50:51]
	s_cbranch_execz .LBB1132_3
; %bb.2:
	v_lshlrev_b32_e32 v2, 2, v0
	v_mov_b32_e32 v3, 0
	v_lshl_add_u64 v[2:3], s[72:73], 0, v[2:3]
	flat_load_dword v39, v[2:3]
.LBB1132_3:
	s_or_b64 exec, exec, s[4:5]
	v_or_b32_e32 v2, 0x100, v0
	v_cmp_gt_u32_e64 s[4:5], s3, v2
	v_mov_b32_e32 v40, v1
	s_and_saveexec_b64 s[6:7], s[4:5]
	s_cbranch_execz .LBB1132_5
; %bb.4:
	v_lshlrev_b32_e32 v2, 2, v0
	v_mov_b32_e32 v3, 0
	v_lshl_add_u64 v[2:3], s[72:73], 0, v[2:3]
	flat_load_dword v40, v[2:3] offset:1024
.LBB1132_5:
	s_or_b64 exec, exec, s[6:7]
	v_or_b32_e32 v2, 0x200, v0
	v_cmp_gt_u32_e64 s[6:7], s3, v2
	v_mov_b32_e32 v41, v1
	s_and_saveexec_b64 s[8:9], s[6:7]
	s_cbranch_execz .LBB1132_7
; %bb.6:
	v_lshlrev_b32_e32 v2, 2, v0
	v_mov_b32_e32 v3, 0
	v_lshl_add_u64 v[2:3], s[72:73], 0, v[2:3]
	flat_load_dword v41, v[2:3] offset:2048
.LBB1132_7:
	;; [unrolled: 12-line block ×3, first 2 shown]
	s_or_b64 exec, exec, s[10:11]
	v_or_b32_e32 v2, 0x400, v0
	v_cmp_gt_u32_e64 s[10:11], s3, v2
	v_lshlrev_b32_e32 v2, 2, v2
	v_mov_b32_e32 v3, v1
	s_and_saveexec_b64 s[12:13], s[10:11]
	s_cbranch_execz .LBB1132_11
; %bb.10:
	v_mov_b32_e32 v3, 0
	v_lshl_add_u64 v[4:5], s[72:73], 0, v[2:3]
	flat_load_dword v3, v[4:5]
.LBB1132_11:
	s_or_b64 exec, exec, s[12:13]
	v_or_b32_e32 v4, 0x500, v0
	v_cmp_gt_u32_e64 s[12:13], s3, v4
	v_lshlrev_b32_e32 v4, 2, v4
	v_mov_b32_e32 v5, v1
	s_and_saveexec_b64 s[14:15], s[12:13]
	s_cbranch_execz .LBB1132_13
; %bb.12:
	v_mov_b32_e32 v5, 0
	v_lshl_add_u64 v[6:7], s[72:73], 0, v[4:5]
	flat_load_dword v5, v[6:7]
.LBB1132_13:
	;; [unrolled: 12-line block ×18, first 2 shown]
	s_or_b64 exec, exec, s[48:49]
	v_or_b32_e32 v38, 0x1600, v0
	v_cmp_gt_u32_e64 s[48:49], s3, v38
	v_lshlrev_b32_e32 v42, 2, v38
	s_and_saveexec_b64 s[56:57], s[48:49]
	s_cbranch_execz .LBB1132_47
; %bb.46:
	v_mov_b32_e32 v43, 0
	v_lshl_add_u64 v[46:47], s[72:73], 0, v[42:43]
	flat_load_dword v1, v[46:47]
.LBB1132_47:
	s_or_b64 exec, exec, s[56:57]
	v_lshlrev_b32_e32 v38, 2, v0
	s_movk_i32 s56, 0x58
	v_mad_u32_u24 v88, v0, s56, v38
	s_waitcnt vmcnt(0) lgkmcnt(0)
	ds_write2st64_b32 v38, v39, v40 offset1:4
	ds_write2st64_b32 v38, v41, v44 offset0:8 offset1:12
	ds_write2st64_b32 v38, v3, v5 offset0:16 offset1:20
	;; [unrolled: 1-line block ×10, first 2 shown]
	ds_write_b32 v38, v1 offset:22528
	s_waitcnt lgkmcnt(0)
	s_barrier
	ds_read2_b32 v[64:65], v88 offset1:1
	ds_read2_b32 v[62:63], v88 offset0:2 offset1:3
	ds_read2_b32 v[60:61], v88 offset0:4 offset1:5
	;; [unrolled: 1-line block ×10, first 2 shown]
	ds_read_b32 v89, v88 offset:88
	s_cmp_eq_u64 s[76:77], 0
	s_mov_b64 s[56:57], s[72:73]
	s_cbranch_scc1 .LBB1132_51
; %bb.48:
	s_andn2_b64 vcc, exec, s[74:75]
	s_cbranch_vccnz .LBB1132_289
; %bb.49:
	s_lshl_b64 s[56:57], s[76:77], 2
	s_add_u32 s56, s62, s56
	s_addc_u32 s57, s63, s57
	s_add_u32 s56, s56, -4
	s_addc_u32 s57, s57, -1
	s_cbranch_execnz .LBB1132_51
.LBB1132_50:
	s_add_u32 s56, s72, -4
	s_addc_u32 s57, s73, -1
.LBB1132_51:
	v_mov_b64_e32 v[44:45], s[56:57]
	flat_load_dword v91, v[44:45]
	s_movk_i32 s56, 0xffa8
	v_mad_i32_i24 v1, v0, s56, v88
	v_cmp_ne_u32_e32 vcc, 0, v0
	s_waitcnt lgkmcnt(0)
	ds_write_b32 v1, v89 offset:23552
	s_waitcnt lgkmcnt(0)
	s_barrier
	s_and_saveexec_b64 s[56:57], vcc
	s_cbranch_execz .LBB1132_53
; %bb.52:
	v_mul_i32_i24_e32 v1, 0xffffffa8, v0
	v_add_u32_e32 v1, v88, v1
	s_waitcnt vmcnt(0)
	ds_read_b32 v91, v1 offset:23548
.LBB1132_53:
	s_or_b64 exec, exec, s[56:57]
	v_mov_b32_e32 v39, 0
	s_waitcnt lgkmcnt(0)
	s_barrier
	s_waitcnt lgkmcnt(0)
                                        ; implicit-def: $vgpr1
	s_and_saveexec_b64 s[56:57], s[50:51]
	s_cbranch_execnz .LBB1132_265
; %bb.54:
	s_or_b64 exec, exec, s[56:57]
                                        ; implicit-def: $vgpr44
	s_and_saveexec_b64 s[50:51], s[4:5]
	s_cbranch_execnz .LBB1132_266
.LBB1132_55:
	s_or_b64 exec, exec, s[50:51]
                                        ; implicit-def: $vgpr45
	s_and_saveexec_b64 s[4:5], s[6:7]
	s_cbranch_execnz .LBB1132_267
.LBB1132_56:
	s_or_b64 exec, exec, s[4:5]
                                        ; implicit-def: $vgpr39
	s_and_saveexec_b64 s[4:5], s[8:9]
	s_cbranch_execnz .LBB1132_268
.LBB1132_57:
	s_or_b64 exec, exec, s[4:5]
                                        ; implicit-def: $vgpr3
	s_and_saveexec_b64 s[4:5], s[10:11]
	s_cbranch_execnz .LBB1132_269
.LBB1132_58:
	s_or_b64 exec, exec, s[4:5]
                                        ; implicit-def: $vgpr2
	s_and_saveexec_b64 s[4:5], s[12:13]
	s_cbranch_execnz .LBB1132_270
.LBB1132_59:
	s_or_b64 exec, exec, s[4:5]
                                        ; implicit-def: $vgpr4
	s_and_saveexec_b64 s[4:5], s[14:15]
	s_cbranch_execnz .LBB1132_271
.LBB1132_60:
	s_or_b64 exec, exec, s[4:5]
                                        ; implicit-def: $vgpr5
	s_and_saveexec_b64 s[4:5], s[16:17]
	s_cbranch_execnz .LBB1132_272
.LBB1132_61:
	s_or_b64 exec, exec, s[4:5]
                                        ; implicit-def: $vgpr6
	s_and_saveexec_b64 s[4:5], s[18:19]
	s_cbranch_execnz .LBB1132_273
.LBB1132_62:
	s_or_b64 exec, exec, s[4:5]
                                        ; implicit-def: $vgpr7
	s_and_saveexec_b64 s[4:5], s[20:21]
	s_cbranch_execnz .LBB1132_274
.LBB1132_63:
	s_or_b64 exec, exec, s[4:5]
                                        ; implicit-def: $vgpr8
	s_and_saveexec_b64 s[4:5], s[22:23]
	s_cbranch_execnz .LBB1132_275
.LBB1132_64:
	s_or_b64 exec, exec, s[4:5]
                                        ; implicit-def: $vgpr9
	s_and_saveexec_b64 s[4:5], s[24:25]
	s_cbranch_execnz .LBB1132_276
.LBB1132_65:
	s_or_b64 exec, exec, s[4:5]
                                        ; implicit-def: $vgpr10
	s_and_saveexec_b64 s[4:5], s[26:27]
	s_cbranch_execnz .LBB1132_277
.LBB1132_66:
	s_or_b64 exec, exec, s[4:5]
                                        ; implicit-def: $vgpr11
	s_and_saveexec_b64 s[4:5], s[28:29]
	s_cbranch_execnz .LBB1132_278
.LBB1132_67:
	s_or_b64 exec, exec, s[4:5]
                                        ; implicit-def: $vgpr12
	s_and_saveexec_b64 s[4:5], s[30:31]
	s_cbranch_execnz .LBB1132_279
.LBB1132_68:
	s_or_b64 exec, exec, s[4:5]
                                        ; implicit-def: $vgpr13
	s_and_saveexec_b64 s[4:5], s[34:35]
	s_cbranch_execnz .LBB1132_280
.LBB1132_69:
	s_or_b64 exec, exec, s[4:5]
                                        ; implicit-def: $vgpr14
	s_and_saveexec_b64 s[4:5], s[36:37]
	s_cbranch_execnz .LBB1132_281
.LBB1132_70:
	s_or_b64 exec, exec, s[4:5]
                                        ; implicit-def: $vgpr15
	s_and_saveexec_b64 s[4:5], s[38:39]
	s_cbranch_execnz .LBB1132_282
.LBB1132_71:
	s_or_b64 exec, exec, s[4:5]
                                        ; implicit-def: $vgpr16
	s_and_saveexec_b64 s[4:5], s[40:41]
	s_cbranch_execnz .LBB1132_283
.LBB1132_72:
	s_or_b64 exec, exec, s[4:5]
                                        ; implicit-def: $vgpr17
	s_and_saveexec_b64 s[4:5], s[42:43]
	s_cbranch_execnz .LBB1132_284
.LBB1132_73:
	s_or_b64 exec, exec, s[4:5]
                                        ; implicit-def: $vgpr18
	s_and_saveexec_b64 s[4:5], s[44:45]
	s_cbranch_execnz .LBB1132_285
.LBB1132_74:
	s_or_b64 exec, exec, s[4:5]
                                        ; implicit-def: $vgpr19
	s_and_saveexec_b64 s[4:5], s[46:47]
	s_cbranch_execnz .LBB1132_286
.LBB1132_75:
	s_or_b64 exec, exec, s[4:5]
                                        ; implicit-def: $vgpr20
	s_and_saveexec_b64 s[4:5], s[48:49]
	s_cbranch_execz .LBB1132_77
.LBB1132_76:
	v_mov_b32_e32 v43, 0
	v_lshl_add_u64 v[20:21], s[52:53], 0, v[42:43]
	flat_load_dword v20, v[20:21]
.LBB1132_77:
	s_or_b64 exec, exec, s[4:5]
	s_mov_b32 s6, 0
	v_mul_u32_u24_e32 v90, 23, v0
	s_mov_b32 s7, s6
	s_waitcnt vmcnt(0) lgkmcnt(0)
	ds_write2st64_b32 v38, v1, v44 offset1:4
	ds_write2st64_b32 v38, v45, v39 offset0:8 offset1:12
	ds_write2st64_b32 v38, v3, v2 offset0:16 offset1:20
	ds_write2st64_b32 v38, v4, v5 offset0:24 offset1:28
	ds_write2st64_b32 v38, v6, v7 offset0:32 offset1:36
	ds_write2st64_b32 v38, v8, v9 offset0:40 offset1:44
	ds_write2st64_b32 v38, v10, v11 offset0:48 offset1:52
	ds_write2st64_b32 v38, v12, v13 offset0:56 offset1:60
	ds_write2st64_b32 v38, v14, v15 offset0:64 offset1:68
	ds_write2st64_b32 v38, v16, v17 offset0:72 offset1:76
	ds_write2st64_b32 v38, v18, v19 offset0:80 offset1:84
	ds_write_b32 v38, v20 offset:22528
	v_cmp_gt_u32_e32 vcc, s3, v90
	s_mov_b64 s[8:9], 0
	v_mov_b64_e32 v[10:11], s[6:7]
	v_mov_b32_e32 v66, 0
	v_mov_b32_e32 v12, 0
	s_mov_b64 s[12:13], 0
	v_mov_b64_e32 v[14:15], s[6:7]
	v_mov_b64_e32 v[16:17], s[6:7]
	;; [unrolled: 1-line block ×9, first 2 shown]
	v_mov_b32_e32 v75, 0
	v_mov_b32_e32 v1, 0
	;; [unrolled: 1-line block ×22, first 2 shown]
	s_waitcnt lgkmcnt(0)
	s_barrier
	s_waitcnt lgkmcnt(0)
                                        ; implicit-def: $sgpr4_sgpr5
                                        ; implicit-def: $vgpr30_vgpr31
                                        ; implicit-def: $vgpr28_vgpr29
                                        ; implicit-def: $vgpr26_vgpr27
                                        ; implicit-def: $vgpr24_vgpr25
                                        ; implicit-def: $vgpr22_vgpr23
                                        ; implicit-def: $vgpr20_vgpr21
                                        ; implicit-def: $vgpr8_vgpr9
                                        ; implicit-def: $vgpr6_vgpr7
                                        ; implicit-def: $vgpr4_vgpr5
                                        ; implicit-def: $vgpr2_vgpr3
	s_and_saveexec_b64 s[10:11], vcc
	s_cbranch_execz .LBB1132_121
; %bb.78:
	ds_read_b32 v1, v88
	s_mov_b32 s20, 0
	v_cmp_ne_u32_e32 vcc, v91, v64
	v_add_u32_e32 v2, 1, v90
	s_mov_b32 s21, s20
	v_cndmask_b32_e64 v66, 0, 1, vcc
	v_cmp_gt_u32_e32 vcc, s3, v2
	s_mov_b64 s[14:15], 0
	v_mov_b64_e32 v[10:11], s[20:21]
	v_mov_b32_e32 v12, 0
	v_mov_b32_e32 v75, 0
	v_mov_b64_e32 v[14:15], s[20:21]
	v_mov_b64_e32 v[16:17], s[20:21]
	;; [unrolled: 1-line block ×9, first 2 shown]
	v_mov_b32_e32 v87, 0
	v_mov_b32_e32 v67, 0
	;; [unrolled: 1-line block ×20, first 2 shown]
                                        ; implicit-def: $sgpr4_sgpr5
                                        ; implicit-def: $vgpr30_vgpr31
                                        ; implicit-def: $vgpr28_vgpr29
                                        ; implicit-def: $vgpr26_vgpr27
                                        ; implicit-def: $vgpr24_vgpr25
                                        ; implicit-def: $vgpr22_vgpr23
                                        ; implicit-def: $vgpr20_vgpr21
                                        ; implicit-def: $vgpr8_vgpr9
                                        ; implicit-def: $vgpr6_vgpr7
                                        ; implicit-def: $vgpr4_vgpr5
                                        ; implicit-def: $vgpr2_vgpr3
	s_and_saveexec_b64 s[12:13], vcc
	s_cbranch_execz .LBB1132_120
; %bb.79:
	ds_read2_b32 v[2:3], v88 offset0:1 offset1:2
	v_cmp_ne_u32_e32 vcc, v64, v65
	v_add_u32_e32 v4, 2, v90
	v_mov_b32_e32 v45, 0
	v_cndmask_b32_e64 v67, 0, 1, vcc
	v_cmp_gt_u32_e32 vcc, s3, v4
	s_waitcnt lgkmcnt(0)
	v_mov_b32_e32 v44, v2
	s_mov_b64 s[16:17], 0
	v_mov_b64_e32 v[10:11], s[20:21]
	v_mov_b64_e32 v[14:15], s[20:21]
	;; [unrolled: 1-line block ×9, first 2 shown]
	v_mov_b32_e32 v12, v45
	v_mov_b32_e32 v75, v45
	;; [unrolled: 1-line block ×21, first 2 shown]
                                        ; implicit-def: $sgpr4_sgpr5
                                        ; implicit-def: $vgpr30_vgpr31
                                        ; implicit-def: $vgpr28_vgpr29
                                        ; implicit-def: $vgpr26_vgpr27
                                        ; implicit-def: $vgpr24_vgpr25
                                        ; implicit-def: $vgpr22_vgpr23
                                        ; implicit-def: $vgpr20_vgpr21
                                        ; implicit-def: $vgpr8_vgpr9
                                        ; implicit-def: $vgpr6_vgpr7
                                        ; implicit-def: $vgpr4_vgpr5
	s_and_saveexec_b64 s[14:15], vcc
	s_cbranch_execz .LBB1132_119
; %bb.80:
	v_cmp_ne_u32_e32 vcc, v65, v62
	v_add_u32_e32 v4, 3, v90
	s_mov_b32 s21, s20
	v_cndmask_b32_e64 v68, 0, 1, vcc
	v_cmp_gt_u32_e32 vcc, s3, v4
	s_mov_b64 s[18:19], 0
	s_mov_b32 s24, 0
	v_mov_b64_e32 v[10:11], s[20:21]
	v_mov_b32_e32 v12, 0
	v_mov_b32_e32 v75, 0
	v_mov_b64_e32 v[14:15], s[20:21]
	v_mov_b64_e32 v[16:17], s[20:21]
	;; [unrolled: 1-line block ×8, first 2 shown]
	v_mov_b32_e32 v87, 0
	v_mov_b32_e32 v86, 0
	;; [unrolled: 1-line block ×18, first 2 shown]
                                        ; implicit-def: $sgpr4_sgpr5
                                        ; implicit-def: $vgpr30_vgpr31
                                        ; implicit-def: $vgpr28_vgpr29
                                        ; implicit-def: $vgpr26_vgpr27
                                        ; implicit-def: $vgpr24_vgpr25
                                        ; implicit-def: $vgpr22_vgpr23
                                        ; implicit-def: $vgpr20_vgpr21
                                        ; implicit-def: $vgpr8_vgpr9
                                        ; implicit-def: $vgpr6_vgpr7
                                        ; implicit-def: $vgpr4_vgpr5
	s_and_saveexec_b64 s[16:17], vcc
	s_cbranch_execz .LBB1132_118
; %bb.81:
	ds_read2_b32 v[4:5], v88 offset0:3 offset1:4
	v_cmp_ne_u32_e32 vcc, v62, v63
	v_add_u32_e32 v6, 4, v90
	v_mov_b32_e32 v43, 0
	s_mov_b32 s25, s24
	v_cndmask_b32_e64 v69, 0, 1, vcc
	v_cmp_gt_u32_e32 vcc, s3, v6
	s_waitcnt lgkmcnt(0)
	v_mov_b32_e32 v42, v4
	s_mov_b64 s[20:21], 0
	v_mov_b64_e32 v[10:11], s[24:25]
	v_mov_b64_e32 v[14:15], s[24:25]
	;; [unrolled: 1-line block ×8, first 2 shown]
	v_mov_b32_e32 v12, v43
	v_mov_b32_e32 v75, v43
	;; [unrolled: 1-line block ×19, first 2 shown]
                                        ; implicit-def: $sgpr4_sgpr5
                                        ; implicit-def: $vgpr30_vgpr31
                                        ; implicit-def: $vgpr28_vgpr29
                                        ; implicit-def: $vgpr26_vgpr27
                                        ; implicit-def: $vgpr24_vgpr25
                                        ; implicit-def: $vgpr22_vgpr23
                                        ; implicit-def: $vgpr20_vgpr21
                                        ; implicit-def: $vgpr8_vgpr9
                                        ; implicit-def: $vgpr6_vgpr7
	s_and_saveexec_b64 s[18:19], vcc
	s_cbranch_execz .LBB1132_117
; %bb.82:
	v_cmp_ne_u32_e32 vcc, v63, v60
	v_add_u32_e32 v6, 5, v90
	s_mov_b64 s[22:23], 0
	v_cndmask_b32_e64 v70, 0, 1, vcc
	v_cmp_gt_u32_e32 vcc, s3, v6
	s_mov_b32 s28, 0
	v_mov_b64_e32 v[10:11], s[24:25]
	v_mov_b32_e32 v12, 0
	v_mov_b32_e32 v75, 0
	v_mov_b64_e32 v[14:15], s[24:25]
	v_mov_b64_e32 v[16:17], s[24:25]
	;; [unrolled: 1-line block ×7, first 2 shown]
	v_mov_b32_e32 v87, 0
	v_mov_b32_e32 v86, 0
	;; [unrolled: 1-line block ×16, first 2 shown]
                                        ; implicit-def: $sgpr4_sgpr5
                                        ; implicit-def: $vgpr30_vgpr31
                                        ; implicit-def: $vgpr28_vgpr29
                                        ; implicit-def: $vgpr26_vgpr27
                                        ; implicit-def: $vgpr24_vgpr25
                                        ; implicit-def: $vgpr22_vgpr23
                                        ; implicit-def: $vgpr20_vgpr21
                                        ; implicit-def: $vgpr8_vgpr9
                                        ; implicit-def: $vgpr6_vgpr7
	s_and_saveexec_b64 s[20:21], vcc
	s_cbranch_execz .LBB1132_116
; %bb.83:
	ds_read2_b32 v[6:7], v88 offset0:5 offset1:6
	v_cmp_ne_u32_e32 vcc, v60, v61
	v_add_u32_e32 v8, 6, v90
	v_mov_b32_e32 v39, 0
	s_mov_b32 s29, s28
	v_cndmask_b32_e64 v71, 0, 1, vcc
	v_cmp_gt_u32_e32 vcc, s3, v8
	s_waitcnt lgkmcnt(0)
	v_mov_b32_e32 v38, v6
	s_mov_b64 s[24:25], 0
	v_mov_b64_e32 v[10:11], s[28:29]
	v_mov_b64_e32 v[14:15], s[28:29]
	;; [unrolled: 1-line block ×7, first 2 shown]
	v_mov_b32_e32 v12, v39
	v_mov_b32_e32 v75, v39
	;; [unrolled: 1-line block ×17, first 2 shown]
                                        ; implicit-def: $sgpr4_sgpr5
                                        ; implicit-def: $vgpr30_vgpr31
                                        ; implicit-def: $vgpr28_vgpr29
                                        ; implicit-def: $vgpr26_vgpr27
                                        ; implicit-def: $vgpr24_vgpr25
                                        ; implicit-def: $vgpr22_vgpr23
                                        ; implicit-def: $vgpr20_vgpr21
                                        ; implicit-def: $vgpr8_vgpr9
	s_and_saveexec_b64 s[22:23], vcc
	s_cbranch_execz .LBB1132_115
; %bb.84:
	v_cmp_ne_u32_e32 vcc, v61, v58
	v_add_u32_e32 v8, 7, v90
	s_mov_b64 s[26:27], 0
	v_cndmask_b32_e64 v72, 0, 1, vcc
	v_cmp_gt_u32_e32 vcc, s3, v8
	s_mov_b32 s34, 0
	v_mov_b64_e32 v[10:11], s[28:29]
	v_mov_b32_e32 v12, 0
	v_mov_b32_e32 v75, 0
	v_mov_b64_e32 v[14:15], s[28:29]
	v_mov_b64_e32 v[16:17], s[28:29]
	;; [unrolled: 1-line block ×6, first 2 shown]
	v_mov_b32_e32 v87, 0
	v_mov_b32_e32 v86, 0
	;; [unrolled: 1-line block ×14, first 2 shown]
                                        ; implicit-def: $sgpr4_sgpr5
                                        ; implicit-def: $vgpr30_vgpr31
                                        ; implicit-def: $vgpr28_vgpr29
                                        ; implicit-def: $vgpr26_vgpr27
                                        ; implicit-def: $vgpr24_vgpr25
                                        ; implicit-def: $vgpr22_vgpr23
                                        ; implicit-def: $vgpr20_vgpr21
                                        ; implicit-def: $vgpr8_vgpr9
	s_and_saveexec_b64 s[24:25], vcc
	s_cbranch_execz .LBB1132_114
; %bb.85:
	ds_read2_b32 v[8:9], v88 offset0:7 offset1:8
	v_cmp_ne_u32_e32 vcc, v58, v59
	v_add_u32_e32 v10, 8, v90
	v_mov_b32_e32 v37, 0
	s_mov_b32 s35, s34
	v_cndmask_b32_e64 v73, 0, 1, vcc
	v_cmp_gt_u32_e32 vcc, s3, v10
	s_waitcnt lgkmcnt(0)
	v_mov_b32_e32 v36, v8
	s_mov_b64 s[28:29], 0
	v_mov_b64_e32 v[10:11], s[34:35]
	v_mov_b64_e32 v[14:15], s[34:35]
	;; [unrolled: 1-line block ×6, first 2 shown]
	v_mov_b32_e32 v12, v37
	v_mov_b32_e32 v75, v37
	;; [unrolled: 1-line block ×15, first 2 shown]
                                        ; implicit-def: $sgpr4_sgpr5
                                        ; implicit-def: $vgpr30_vgpr31
                                        ; implicit-def: $vgpr28_vgpr29
                                        ; implicit-def: $vgpr26_vgpr27
                                        ; implicit-def: $vgpr24_vgpr25
                                        ; implicit-def: $vgpr22_vgpr23
                                        ; implicit-def: $vgpr20_vgpr21
	s_and_saveexec_b64 s[26:27], vcc
	s_cbranch_execz .LBB1132_113
; %bb.86:
	v_cmp_ne_u32_e32 vcc, v59, v56
	v_add_u32_e32 v10, 9, v90
	s_mov_b64 s[30:31], 0
	v_cndmask_b32_e64 v74, 0, 1, vcc
	v_cmp_gt_u32_e32 vcc, s3, v10
	s_mov_b32 s38, 0
	v_mov_b64_e32 v[10:11], s[34:35]
	v_mov_b32_e32 v12, 0
	v_mov_b32_e32 v75, 0
	v_mov_b64_e32 v[14:15], s[34:35]
	v_mov_b64_e32 v[16:17], s[34:35]
	;; [unrolled: 1-line block ×5, first 2 shown]
	v_mov_b32_e32 v87, 0
	v_mov_b32_e32 v86, 0
	;; [unrolled: 1-line block ×12, first 2 shown]
                                        ; implicit-def: $sgpr4_sgpr5
                                        ; implicit-def: $vgpr30_vgpr31
                                        ; implicit-def: $vgpr28_vgpr29
                                        ; implicit-def: $vgpr26_vgpr27
                                        ; implicit-def: $vgpr24_vgpr25
                                        ; implicit-def: $vgpr22_vgpr23
                                        ; implicit-def: $vgpr20_vgpr21
	s_and_saveexec_b64 s[28:29], vcc
	s_cbranch_execz .LBB1132_112
; %bb.87:
	ds_read2_b32 v[20:21], v88 offset0:9 offset1:10
	v_cmp_ne_u32_e32 vcc, v56, v57
	v_add_u32_e32 v10, 10, v90
	v_mov_b32_e32 v35, 0
	s_mov_b32 s39, s38
	v_cndmask_b32_e64 v76, 0, 1, vcc
	v_cmp_gt_u32_e32 vcc, s3, v10
	s_waitcnt lgkmcnt(0)
	v_mov_b32_e32 v34, v20
	s_mov_b64 s[34:35], 0
	v_mov_b64_e32 v[10:11], s[38:39]
	v_mov_b64_e32 v[14:15], s[38:39]
	;; [unrolled: 1-line block ×5, first 2 shown]
	v_mov_b32_e32 v12, v35
	v_mov_b32_e32 v75, v35
	;; [unrolled: 1-line block ×13, first 2 shown]
                                        ; implicit-def: $sgpr4_sgpr5
                                        ; implicit-def: $vgpr30_vgpr31
                                        ; implicit-def: $vgpr28_vgpr29
                                        ; implicit-def: $vgpr26_vgpr27
                                        ; implicit-def: $vgpr24_vgpr25
                                        ; implicit-def: $vgpr22_vgpr23
	s_and_saveexec_b64 s[30:31], vcc
	s_cbranch_execz .LBB1132_111
; %bb.88:
	v_cmp_ne_u32_e32 vcc, v57, v54
	v_add_u32_e32 v10, 11, v90
	s_mov_b64 s[36:37], 0
	v_cndmask_b32_e64 v77, 0, 1, vcc
	v_cmp_gt_u32_e32 vcc, s3, v10
	s_mov_b32 s42, 0
	v_mov_b64_e32 v[10:11], s[38:39]
	v_mov_b32_e32 v12, 0
	v_mov_b32_e32 v75, 0
	v_mov_b64_e32 v[14:15], s[38:39]
	v_mov_b64_e32 v[16:17], s[38:39]
	v_mov_b64_e32 v[18:19], s[38:39]
	v_mov_b64_e32 v[32:33], s[38:39]
	v_mov_b32_e32 v87, 0
	v_mov_b32_e32 v86, 0
	;; [unrolled: 1-line block ×10, first 2 shown]
                                        ; implicit-def: $sgpr4_sgpr5
                                        ; implicit-def: $vgpr30_vgpr31
                                        ; implicit-def: $vgpr28_vgpr29
                                        ; implicit-def: $vgpr26_vgpr27
                                        ; implicit-def: $vgpr24_vgpr25
                                        ; implicit-def: $vgpr22_vgpr23
	s_and_saveexec_b64 s[34:35], vcc
	s_cbranch_execz .LBB1132_110
; %bb.89:
	ds_read2_b32 v[22:23], v88 offset0:11 offset1:12
	v_cmp_ne_u32_e32 vcc, v54, v55
	v_add_u32_e32 v10, 12, v90
	v_mov_b32_e32 v33, 0
	s_mov_b32 s43, s42
	v_cndmask_b32_e64 v78, 0, 1, vcc
	v_cmp_gt_u32_e32 vcc, s3, v10
	s_waitcnt lgkmcnt(0)
	v_mov_b32_e32 v32, v22
	s_mov_b64 s[38:39], 0
	v_mov_b64_e32 v[10:11], s[42:43]
	v_mov_b64_e32 v[14:15], s[42:43]
	v_mov_b64_e32 v[16:17], s[42:43]
	v_mov_b64_e32 v[18:19], s[42:43]
	v_mov_b32_e32 v12, v33
	v_mov_b32_e32 v75, v33
	;; [unrolled: 1-line block ×11, first 2 shown]
                                        ; implicit-def: $sgpr4_sgpr5
                                        ; implicit-def: $vgpr30_vgpr31
                                        ; implicit-def: $vgpr28_vgpr29
                                        ; implicit-def: $vgpr26_vgpr27
                                        ; implicit-def: $vgpr24_vgpr25
	s_and_saveexec_b64 s[36:37], vcc
	s_cbranch_execz .LBB1132_109
; %bb.90:
	v_cmp_ne_u32_e32 vcc, v55, v52
	v_add_u32_e32 v10, 13, v90
	s_mov_b64 s[40:41], 0
	v_cndmask_b32_e64 v79, 0, 1, vcc
	v_cmp_gt_u32_e32 vcc, s3, v10
	s_mov_b32 s46, 0
	v_mov_b64_e32 v[10:11], s[42:43]
	v_mov_b32_e32 v12, 0
	v_mov_b32_e32 v75, 0
	v_mov_b64_e32 v[14:15], s[42:43]
	v_mov_b64_e32 v[16:17], s[42:43]
	;; [unrolled: 1-line block ×3, first 2 shown]
	v_mov_b32_e32 v87, 0
	v_mov_b32_e32 v86, 0
	;; [unrolled: 1-line block ×8, first 2 shown]
                                        ; implicit-def: $sgpr4_sgpr5
                                        ; implicit-def: $vgpr30_vgpr31
                                        ; implicit-def: $vgpr28_vgpr29
                                        ; implicit-def: $vgpr26_vgpr27
                                        ; implicit-def: $vgpr24_vgpr25
	s_and_saveexec_b64 s[38:39], vcc
	s_cbranch_execz .LBB1132_108
; %bb.91:
	ds_read2_b32 v[24:25], v88 offset0:13 offset1:14
	v_cmp_ne_u32_e32 vcc, v52, v53
	v_add_u32_e32 v10, 14, v90
	v_mov_b32_e32 v19, 0
	s_mov_b32 s47, s46
	v_cndmask_b32_e64 v80, 0, 1, vcc
	v_cmp_gt_u32_e32 vcc, s3, v10
	s_waitcnt lgkmcnt(0)
	v_mov_b32_e32 v18, v24
	s_mov_b64 s[42:43], 0
	v_mov_b64_e32 v[10:11], s[46:47]
	v_mov_b64_e32 v[14:15], s[46:47]
	;; [unrolled: 1-line block ×3, first 2 shown]
	v_mov_b32_e32 v12, v19
	v_mov_b32_e32 v75, v19
	;; [unrolled: 1-line block ×9, first 2 shown]
                                        ; implicit-def: $sgpr4_sgpr5
                                        ; implicit-def: $vgpr30_vgpr31
                                        ; implicit-def: $vgpr28_vgpr29
                                        ; implicit-def: $vgpr26_vgpr27
	s_and_saveexec_b64 s[40:41], vcc
	s_cbranch_execz .LBB1132_107
; %bb.92:
	v_cmp_ne_u32_e32 vcc, v53, v50
	v_add_u32_e32 v10, 15, v90
	s_mov_b64 s[44:45], 0
	v_cndmask_b32_e64 v81, 0, 1, vcc
	v_cmp_gt_u32_e32 vcc, s3, v10
	s_mov_b32 s50, 0
	v_mov_b64_e32 v[10:11], s[46:47]
	v_mov_b32_e32 v12, 0
	v_mov_b32_e32 v75, 0
	v_mov_b64_e32 v[14:15], s[46:47]
	v_mov_b64_e32 v[16:17], s[46:47]
	v_mov_b32_e32 v87, 0
	v_mov_b32_e32 v86, 0
	;; [unrolled: 1-line block ×6, first 2 shown]
                                        ; implicit-def: $sgpr4_sgpr5
                                        ; implicit-def: $vgpr30_vgpr31
                                        ; implicit-def: $vgpr28_vgpr29
                                        ; implicit-def: $vgpr26_vgpr27
	s_and_saveexec_b64 s[42:43], vcc
	s_cbranch_execz .LBB1132_106
; %bb.93:
	ds_read2_b32 v[26:27], v88 offset0:15 offset1:16
	v_cmp_ne_u32_e32 vcc, v50, v51
	v_add_u32_e32 v10, 16, v90
	v_mov_b32_e32 v17, 0
	s_mov_b32 s51, s50
	v_cndmask_b32_e64 v82, 0, 1, vcc
	v_cmp_gt_u32_e32 vcc, s3, v10
	s_waitcnt lgkmcnt(0)
	v_mov_b32_e32 v16, v26
	s_mov_b64 s[46:47], 0
	v_mov_b64_e32 v[10:11], s[50:51]
	v_mov_b64_e32 v[14:15], s[50:51]
	v_mov_b32_e32 v12, v17
	v_mov_b32_e32 v75, v17
	;; [unrolled: 1-line block ×7, first 2 shown]
                                        ; implicit-def: $sgpr4_sgpr5
                                        ; implicit-def: $vgpr30_vgpr31
                                        ; implicit-def: $vgpr28_vgpr29
	s_and_saveexec_b64 s[44:45], vcc
	s_cbranch_execz .LBB1132_105
; %bb.94:
	v_cmp_ne_u32_e32 vcc, v51, v48
	v_add_u32_e32 v10, 17, v90
	s_mov_b64 s[48:49], 0
	v_cndmask_b32_e64 v83, 0, 1, vcc
	v_cmp_gt_u32_e32 vcc, s3, v10
	s_mov_b32 s78, 0
	v_mov_b64_e32 v[10:11], s[50:51]
	v_mov_b32_e32 v12, 0
	v_mov_b32_e32 v75, 0
	v_mov_b64_e32 v[14:15], s[50:51]
	v_mov_b32_e32 v87, 0
	v_mov_b32_e32 v86, 0
	;; [unrolled: 1-line block ×4, first 2 shown]
                                        ; implicit-def: $sgpr4_sgpr5
                                        ; implicit-def: $vgpr30_vgpr31
                                        ; implicit-def: $vgpr28_vgpr29
	s_and_saveexec_b64 s[46:47], vcc
	s_cbranch_execz .LBB1132_104
; %bb.95:
	ds_read2_b32 v[28:29], v88 offset0:17 offset1:18
	v_cmp_ne_u32_e32 vcc, v48, v49
	v_add_u32_e32 v10, 18, v90
	v_mov_b32_e32 v15, 0
	s_mov_b32 s79, s78
	v_cndmask_b32_e64 v84, 0, 1, vcc
	v_cmp_gt_u32_e32 vcc, s3, v10
	s_waitcnt lgkmcnt(0)
	v_mov_b32_e32 v14, v28
	s_mov_b64 s[50:51], 0
	v_mov_b64_e32 v[10:11], s[78:79]
	v_mov_b32_e32 v12, v15
	v_mov_b32_e32 v75, v15
	;; [unrolled: 1-line block ×5, first 2 shown]
                                        ; implicit-def: $sgpr4_sgpr5
                                        ; implicit-def: $vgpr30_vgpr31
	s_and_saveexec_b64 s[48:49], vcc
	s_cbranch_execz .LBB1132_103
; %bb.96:
	v_cmp_ne_u32_e32 vcc, v49, v46
	v_add_u32_e32 v10, 19, v90
	s_mov_b64 s[56:57], 0
	v_cndmask_b32_e64 v85, 0, 1, vcc
	v_cmp_gt_u32_e32 vcc, s3, v10
	v_mov_b64_e32 v[10:11], s[78:79]
	v_mov_b32_e32 v12, 0
	v_mov_b32_e32 v75, 0
	;; [unrolled: 1-line block ×4, first 2 shown]
                                        ; implicit-def: $sgpr4_sgpr5
                                        ; implicit-def: $vgpr30_vgpr31
	s_and_saveexec_b64 s[50:51], vcc
	s_cbranch_execz .LBB1132_102
; %bb.97:
	ds_read2_b32 v[30:31], v88 offset0:19 offset1:20
	v_cmp_ne_u32_e32 vcc, v46, v47
	v_add_u32_e32 v10, 20, v90
	v_mov_b32_e32 v11, 0
	v_cndmask_b32_e64 v86, 0, 1, vcc
	v_cmp_gt_u32_e32 vcc, s3, v10
	s_waitcnt lgkmcnt(0)
	v_mov_b32_e32 v10, v30
	s_mov_b64 s[78:79], 0
	v_mov_b32_e32 v12, v11
	v_mov_b32_e32 v75, v11
	v_mov_b32_e32 v87, v11
                                        ; implicit-def: $sgpr4_sgpr5
	s_and_saveexec_b64 s[56:57], vcc
	s_cbranch_execz .LBB1132_101
; %bb.98:
	v_cmp_ne_u32_e32 vcc, v47, v40
	v_add_u32_e32 v10, 21, v90
	v_mov_b32_e32 v12, 0
	v_cndmask_b32_e64 v87, 0, 1, vcc
	v_cmp_gt_u32_e32 vcc, s3, v10
	v_mov_b32_e32 v75, 0
                                        ; implicit-def: $sgpr80_sgpr81
	s_and_saveexec_b64 s[4:5], vcc
	s_xor_b64 s[82:83], exec, s[4:5]
	s_cbranch_execz .LBB1132_100
; %bb.99:
	ds_read2_b32 v[12:13], v88 offset0:21 offset1:22
	v_cmp_ne_u32_e64 s[4:5], v40, v41
	v_add_u32_e32 v10, 22, v90
	v_cmp_ne_u32_e32 vcc, v41, v89
	v_cndmask_b32_e64 v75, 0, 1, s[4:5]
	v_cmp_gt_u32_e64 s[4:5], s3, v10
	s_and_b64 s[80:81], vcc, exec
	s_and_b64 s[78:79], s[4:5], exec
.LBB1132_100:
	s_or_b64 exec, exec, s[82:83]
	s_and_b64 s[4:5], s[80:81], exec
	s_and_b64 s[78:79], s[78:79], exec
	v_mov_b64_e32 v[10:11], v[30:31]
.LBB1132_101:
	s_or_b64 exec, exec, s[56:57]
	s_and_b64 s[4:5], s[4:5], exec
	s_and_b64 s[56:57], s[78:79], exec
.LBB1132_102:
	s_or_b64 exec, exec, s[50:51]
	s_and_b64 s[4:5], s[4:5], exec
	s_and_b64 s[50:51], s[56:57], exec
	v_mov_b64_e32 v[14:15], v[28:29]
.LBB1132_103:
	s_or_b64 exec, exec, s[48:49]
	s_and_b64 s[4:5], s[4:5], exec
	s_and_b64 s[48:49], s[50:51], exec
.LBB1132_104:
	s_or_b64 exec, exec, s[46:47]
	s_and_b64 s[4:5], s[4:5], exec
	s_and_b64 s[46:47], s[48:49], exec
	v_mov_b64_e32 v[16:17], v[26:27]
.LBB1132_105:
	s_or_b64 exec, exec, s[44:45]
	s_and_b64 s[4:5], s[4:5], exec
	s_and_b64 s[44:45], s[46:47], exec
.LBB1132_106:
	s_or_b64 exec, exec, s[42:43]
	s_and_b64 s[4:5], s[4:5], exec
	s_and_b64 s[42:43], s[44:45], exec
	v_mov_b64_e32 v[18:19], v[24:25]
.LBB1132_107:
	s_or_b64 exec, exec, s[40:41]
	s_and_b64 s[4:5], s[4:5], exec
	s_and_b64 s[40:41], s[42:43], exec
.LBB1132_108:
	s_or_b64 exec, exec, s[38:39]
	s_and_b64 s[4:5], s[4:5], exec
	s_and_b64 s[38:39], s[40:41], exec
	v_mov_b64_e32 v[32:33], v[22:23]
.LBB1132_109:
	s_or_b64 exec, exec, s[36:37]
	s_and_b64 s[4:5], s[4:5], exec
	s_and_b64 s[36:37], s[38:39], exec
.LBB1132_110:
	s_or_b64 exec, exec, s[34:35]
	s_and_b64 s[4:5], s[4:5], exec
	s_and_b64 s[34:35], s[36:37], exec
	v_mov_b64_e32 v[34:35], v[20:21]
.LBB1132_111:
	s_or_b64 exec, exec, s[30:31]
	s_and_b64 s[4:5], s[4:5], exec
	s_and_b64 s[30:31], s[34:35], exec
.LBB1132_112:
	s_or_b64 exec, exec, s[28:29]
	s_and_b64 s[4:5], s[4:5], exec
	s_and_b64 s[28:29], s[30:31], exec
	v_mov_b64_e32 v[36:37], v[8:9]
.LBB1132_113:
	s_or_b64 exec, exec, s[26:27]
	s_and_b64 s[4:5], s[4:5], exec
	s_and_b64 s[26:27], s[28:29], exec
.LBB1132_114:
	s_or_b64 exec, exec, s[24:25]
	s_and_b64 s[4:5], s[4:5], exec
	s_and_b64 s[24:25], s[26:27], exec
	v_mov_b64_e32 v[38:39], v[6:7]
.LBB1132_115:
	s_or_b64 exec, exec, s[22:23]
	s_and_b64 s[4:5], s[4:5], exec
	s_and_b64 s[22:23], s[24:25], exec
.LBB1132_116:
	s_or_b64 exec, exec, s[20:21]
	s_and_b64 s[4:5], s[4:5], exec
	s_and_b64 s[20:21], s[22:23], exec
	v_mov_b64_e32 v[42:43], v[4:5]
.LBB1132_117:
	s_or_b64 exec, exec, s[18:19]
	s_and_b64 s[4:5], s[4:5], exec
	s_and_b64 s[18:19], s[20:21], exec
.LBB1132_118:
	s_or_b64 exec, exec, s[16:17]
	s_and_b64 s[4:5], s[4:5], exec
	s_and_b64 s[16:17], s[18:19], exec
	v_mov_b64_e32 v[44:45], v[2:3]
.LBB1132_119:
	s_or_b64 exec, exec, s[14:15]
	s_and_b64 s[4:5], s[4:5], exec
	s_and_b64 s[14:15], s[16:17], exec
.LBB1132_120:
	s_or_b64 exec, exec, s[12:13]
	s_and_b64 s[4:5], s[4:5], exec
	s_and_b64 s[12:13], s[14:15], exec
.LBB1132_121:
	s_or_b64 exec, exec, s[10:11]
	s_mov_b32 s3, 0
	s_and_b64 vcc, exec, s[8:9]
	v_lshlrev_b32_e32 v40, 2, v0
	s_cbranch_vccnz .LBB1132_123
	s_branch .LBB1132_131
.LBB1132_122:
                                        ; implicit-def: $sgpr4_sgpr5
                                        ; implicit-def: $vgpr12_vgpr13
                                        ; implicit-def: $vgpr30_vgpr31
                                        ; implicit-def: $vgpr28_vgpr29
                                        ; implicit-def: $vgpr26_vgpr27
                                        ; implicit-def: $vgpr24_vgpr25
                                        ; implicit-def: $vgpr22_vgpr23
                                        ; implicit-def: $vgpr20_vgpr21
                                        ; implicit-def: $vgpr8_vgpr9
                                        ; implicit-def: $vgpr6_vgpr7
                                        ; implicit-def: $vgpr4_vgpr5
                                        ; implicit-def: $vgpr2_vgpr3
                                        ; implicit-def: $vgpr66
                                        ; implicit-def: $vgpr75
                                        ; implicit-def: $vgpr1
                                        ; implicit-def: $vgpr87
                                        ; implicit-def: $vgpr67
                                        ; implicit-def: $vgpr86
                                        ; implicit-def: $vgpr85
                                        ; implicit-def: $vgpr68
                                        ; implicit-def: $vgpr84
                                        ; implicit-def: $vgpr83
                                        ; implicit-def: $vgpr69
                                        ; implicit-def: $vgpr82
                                        ; implicit-def: $vgpr81
                                        ; implicit-def: $vgpr70
                                        ; implicit-def: $vgpr80
                                        ; implicit-def: $vgpr79
                                        ; implicit-def: $vgpr71
                                        ; implicit-def: $vgpr78
                                        ; implicit-def: $vgpr77
                                        ; implicit-def: $vgpr72
                                        ; implicit-def: $vgpr76
                                        ; implicit-def: $vgpr74
                                        ; implicit-def: $vgpr73
                                        ; implicit-def: $vgpr10_vgpr11
                                        ; implicit-def: $vgpr14_vgpr15
                                        ; implicit-def: $vgpr16_vgpr17
                                        ; implicit-def: $vgpr18_vgpr19
                                        ; implicit-def: $vgpr32_vgpr33
                                        ; implicit-def: $vgpr34_vgpr35
                                        ; implicit-def: $vgpr36_vgpr37
                                        ; implicit-def: $vgpr38_vgpr39
                                        ; implicit-def: $vgpr42_vgpr43
                                        ; implicit-def: $vgpr44_vgpr45
                                        ; implicit-def: $sgpr3
                                        ; implicit-def: $sgpr6
	s_and_b64 vcc, exec, s[8:9]
	v_lshlrev_b32_e32 v40, 2, v0
	s_cbranch_vccz .LBB1132_131
.LBB1132_123:
	v_mov_b32_e32 v41, 0
	v_lshl_add_u64 v[2:3], s[72:73], 0, v[40:41]
	v_add_co_u32_e32 v4, vcc, 0x1000, v2
	s_movk_i32 s3, 0x58
	s_nop 0
	v_addc_co_u32_e32 v5, vcc, 0, v3, vcc
	s_waitcnt lgkmcnt(0)
	flat_load_dword v1, v[2:3]
	flat_load_dword v8, v[2:3] offset:1024
	flat_load_dword v9, v[2:3] offset:2048
	flat_load_dword v10, v[2:3] offset:3072
	flat_load_dword v11, v[4:5]
	flat_load_dword v12, v[4:5] offset:1024
	flat_load_dword v13, v[4:5] offset:2048
	;; [unrolled: 1-line block ×3, first 2 shown]
	v_add_co_u32_e32 v4, vcc, 0x2000, v2
	v_mad_u32_u24 v32, v0, s3, v40
	s_nop 0
	v_addc_co_u32_e32 v5, vcc, 0, v3, vcc
	v_add_co_u32_e32 v6, vcc, 0x3000, v2
	s_cmp_eq_u64 s[76:77], 0
	s_nop 0
	v_addc_co_u32_e32 v7, vcc, 0, v3, vcc
	flat_load_dword v15, v[4:5]
	flat_load_dword v16, v[4:5] offset:1024
	flat_load_dword v17, v[4:5] offset:2048
	flat_load_dword v18, v[4:5] offset:3072
	flat_load_dword v19, v[6:7]
	flat_load_dword v20, v[6:7] offset:1024
	flat_load_dword v21, v[6:7] offset:2048
	;; [unrolled: 1-line block ×3, first 2 shown]
	v_add_co_u32_e32 v4, vcc, 0x4000, v2
	s_nop 1
	v_addc_co_u32_e32 v5, vcc, 0, v3, vcc
	v_add_co_u32_e32 v2, vcc, 0x5000, v2
	s_nop 1
	v_addc_co_u32_e32 v3, vcc, 0, v3, vcc
	flat_load_dword v6, v[4:5]
	flat_load_dword v7, v[4:5] offset:1024
	flat_load_dword v23, v[4:5] offset:2048
	;; [unrolled: 1-line block ×3, first 2 shown]
	flat_load_dword v25, v[2:3]
	flat_load_dword v26, v[2:3] offset:1024
	flat_load_dword v27, v[2:3] offset:2048
	s_waitcnt vmcnt(0) lgkmcnt(0)
	ds_write2st64_b32 v40, v1, v8 offset1:4
	ds_write2st64_b32 v40, v9, v10 offset0:8 offset1:12
	ds_write2st64_b32 v40, v11, v12 offset0:16 offset1:20
	ds_write2st64_b32 v40, v13, v14 offset0:24 offset1:28
	ds_write2st64_b32 v40, v15, v16 offset0:32 offset1:36
	ds_write2st64_b32 v40, v17, v18 offset0:40 offset1:44
	ds_write2st64_b32 v40, v19, v20 offset0:48 offset1:52
	ds_write2st64_b32 v40, v21, v22 offset0:56 offset1:60
	ds_write2st64_b32 v40, v6, v7 offset0:64 offset1:68
	ds_write2st64_b32 v40, v23, v24 offset0:72 offset1:76
	ds_write2st64_b32 v40, v25, v26 offset0:80 offset1:84
	ds_write_b32 v40, v27 offset:22528
	s_waitcnt lgkmcnt(0)
	s_barrier
	ds_read2_b32 v[10:11], v32 offset1:1
	ds_read2_b32 v[2:3], v32 offset0:2 offset1:3
	ds_read2_b32 v[4:5], v32 offset0:4 offset1:5
	;; [unrolled: 1-line block ×10, first 2 shown]
	ds_read_b32 v1, v32 offset:88
	s_cbranch_scc1 .LBB1132_128
; %bb.124:
	s_andn2_b64 vcc, exec, s[74:75]
	s_cbranch_vccnz .LBB1132_290
; %bb.125:
	s_lshl_b64 s[4:5], s[76:77], 2
	s_add_u32 s3, s62, s4
	s_addc_u32 s5, s63, s5
	s_add_u32 s4, s3, -4
	s_addc_u32 s5, s5, -1
	s_cbranch_execnz .LBB1132_127
.LBB1132_126:
	s_add_u32 s4, s72, -4
	s_addc_u32 s5, s73, -1
.LBB1132_127:
	s_mov_b64 s[72:73], s[4:5]
.LBB1132_128:
	v_mov_b64_e32 v[24:25], s[72:73]
	flat_load_dword v33, v[24:25]
	s_movk_i32 s3, 0xffa8
	v_mad_i32_i24 v24, v0, s3, v32
	v_cmp_ne_u32_e32 vcc, 0, v0
	s_waitcnt lgkmcnt(0)
	ds_write_b32 v24, v1 offset:23552
	s_waitcnt lgkmcnt(0)
	s_barrier
	s_and_saveexec_b64 s[4:5], vcc
	s_cbranch_execz .LBB1132_130
; %bb.129:
	v_mul_i32_i24_e32 v24, 0xffffffa8, v0
	v_add_u32_e32 v24, v32, v24
	s_waitcnt vmcnt(0)
	ds_read_b32 v33, v24 offset:23548
.LBB1132_130:
	s_or_b64 exec, exec, s[4:5]
	v_mov_b32_e32 v41, 0
	v_lshl_add_u64 v[24:25], s[52:53], 0, v[40:41]
	s_movk_i32 s3, 0x1000
	v_add_co_u32_e32 v26, vcc, s3, v24
	s_movk_i32 s3, 0x2000
	s_nop 0
	v_addc_co_u32_e32 v27, vcc, 0, v25, vcc
	s_waitcnt lgkmcnt(0)
	s_barrier
	flat_load_dword v30, v[24:25]
	flat_load_dword v31, v[24:25] offset:1024
	flat_load_dword v34, v[24:25] offset:2048
	;; [unrolled: 1-line block ×3, first 2 shown]
	flat_load_dword v36, v[26:27]
	flat_load_dword v37, v[26:27] offset:1024
	flat_load_dword v38, v[26:27] offset:2048
	;; [unrolled: 1-line block ×3, first 2 shown]
	v_add_co_u32_e32 v26, vcc, s3, v24
	s_movk_i32 s3, 0x3000
	s_nop 0
	v_addc_co_u32_e32 v27, vcc, 0, v25, vcc
	v_add_co_u32_e32 v28, vcc, s3, v24
	s_movk_i32 s3, 0x4000
	s_nop 0
	v_addc_co_u32_e32 v29, vcc, 0, v25, vcc
	flat_load_dword v41, v[26:27]
	flat_load_dword v42, v[26:27] offset:1024
	flat_load_dword v43, v[26:27] offset:2048
	;; [unrolled: 1-line block ×3, first 2 shown]
	flat_load_dword v45, v[28:29]
	flat_load_dword v46, v[28:29] offset:1024
	flat_load_dword v47, v[28:29] offset:2048
	;; [unrolled: 1-line block ×3, first 2 shown]
	v_add_co_u32_e32 v26, vcc, s3, v24
	s_movk_i32 s3, 0x5000
	s_nop 0
	v_addc_co_u32_e32 v27, vcc, 0, v25, vcc
	v_add_co_u32_e32 v24, vcc, s3, v24
	v_cmp_ne_u32_e64 s[4:5], v23, v1
	s_nop 0
	v_addc_co_u32_e32 v25, vcc, 0, v25, vcc
	flat_load_dword v28, v[26:27]
	flat_load_dword v29, v[26:27] offset:1024
	flat_load_dword v49, v[26:27] offset:2048
	;; [unrolled: 1-line block ×3, first 2 shown]
	flat_load_dword v51, v[24:25]
	flat_load_dword v52, v[24:25] offset:1024
	flat_load_dword v53, v[24:25] offset:2048
	v_cmp_ne_u32_e32 vcc, v22, v23
	s_mov_b64 s[12:13], -1
                                        ; implicit-def: $sgpr3
                                        ; implicit-def: $sgpr6
	s_waitcnt vmcnt(0) lgkmcnt(0)
	ds_write2st64_b32 v40, v30, v31 offset1:4
	ds_write2st64_b32 v40, v34, v35 offset0:8 offset1:12
	ds_write2st64_b32 v40, v36, v37 offset0:16 offset1:20
	;; [unrolled: 1-line block ×10, first 2 shown]
	ds_write_b32 v40, v53 offset:22528
	v_cndmask_b32_e64 v75, 0, 1, vcc
	v_cmp_ne_u32_e32 vcc, v21, v22
	s_waitcnt lgkmcnt(0)
	s_barrier
	v_cndmask_b32_e64 v87, 0, 1, vcc
	v_cmp_ne_u32_e32 vcc, v20, v21
	s_waitcnt lgkmcnt(0)
                                        ; implicit-def: $vgpr34_vgpr35
                                        ; implicit-def: $vgpr36_vgpr37
                                        ; implicit-def: $vgpr38_vgpr39
                                        ; implicit-def: $vgpr42_vgpr43
                                        ; implicit-def: $vgpr44_vgpr45
	s_nop 0
	v_cndmask_b32_e64 v86, 0, 1, vcc
	v_cmp_ne_u32_e32 vcc, v19, v20
	s_nop 1
	v_cndmask_b32_e64 v85, 0, 1, vcc
	v_cmp_ne_u32_e32 vcc, v18, v19
	;; [unrolled: 3-line block ×3, first 2 shown]
                                        ; implicit-def: $vgpr18_vgpr19
	s_nop 1
	v_cndmask_b32_e64 v83, 0, 1, vcc
	v_cmp_ne_u32_e32 vcc, v16, v17
	s_nop 1
	v_cndmask_b32_e64 v82, 0, 1, vcc
	v_cmp_ne_u32_e32 vcc, v15, v16
                                        ; implicit-def: $vgpr16_vgpr17
	s_nop 1
	v_cndmask_b32_e64 v81, 0, 1, vcc
	v_cmp_ne_u32_e32 vcc, v14, v15
	s_nop 1
	v_cndmask_b32_e64 v80, 0, 1, vcc
	v_cmp_ne_u32_e32 vcc, v13, v14
                                        ; implicit-def: $vgpr14_vgpr15
	s_nop 1
	v_cndmask_b32_e64 v79, 0, 1, vcc
	v_cmp_ne_u32_e32 vcc, v12, v13
	s_nop 1
	v_cndmask_b32_e64 v78, 0, 1, vcc
	v_cmp_ne_u32_e32 vcc, v9, v12
	s_nop 1
	v_cndmask_b32_e64 v77, 0, 1, vcc
	v_cmp_ne_u32_e32 vcc, v8, v9
	s_nop 1
	v_cndmask_b32_e64 v76, 0, 1, vcc
	v_cmp_ne_u32_e32 vcc, v7, v8
	s_nop 1
	v_cndmask_b32_e64 v74, 0, 1, vcc
	v_cmp_ne_u32_e32 vcc, v6, v7
	s_nop 1
	v_cndmask_b32_e64 v73, 0, 1, vcc
	v_cmp_ne_u32_e32 vcc, v5, v6
	s_nop 1
	v_cndmask_b32_e64 v72, 0, 1, vcc
	v_cmp_ne_u32_e32 vcc, v4, v5
	s_nop 1
	v_cndmask_b32_e64 v71, 0, 1, vcc
	v_cmp_ne_u32_e32 vcc, v3, v4
	s_nop 1
	v_cndmask_b32_e64 v70, 0, 1, vcc
	v_cmp_ne_u32_e32 vcc, v2, v3
	s_nop 1
	v_cndmask_b32_e64 v69, 0, 1, vcc
	v_cmp_ne_u32_e32 vcc, v11, v2
	ds_read_b32 v1, v32
	ds_read2_b32 v[2:3], v32 offset0:1 offset1:2
	ds_read2_b32 v[4:5], v32 offset0:3 offset1:4
	;; [unrolled: 1-line block ×11, first 2 shown]
	v_cndmask_b32_e64 v68, 0, 1, vcc
	v_cmp_ne_u32_e32 vcc, v10, v11
	s_nop 1
	v_cndmask_b32_e64 v67, 0, 1, vcc
	v_cmp_ne_u32_e32 vcc, v33, v10
                                        ; implicit-def: $vgpr10_vgpr11
                                        ; implicit-def: $vgpr32_vgpr33
	s_nop 1
	v_cndmask_b32_e64 v66, 0, 1, vcc
.LBB1132_131:
	v_mov_b32_e32 v46, s6
	v_mov_b32_e32 v41, s3
	s_and_saveexec_b64 s[6:7], s[12:13]
	s_cbranch_execz .LBB1132_133
; %bb.132:
	v_cndmask_b32_e64 v46, 0, 1, s[4:5]
	s_waitcnt lgkmcnt(0)
	v_mov_b32_e32 v41, v13
	v_mov_b64_e32 v[44:45], v[2:3]
	v_mov_b64_e32 v[42:43], v[4:5]
	;; [unrolled: 1-line block ×10, first 2 shown]
.LBB1132_133:
	s_or_b64 exec, exec, s[6:7]
	s_waitcnt lgkmcnt(10)
	v_or_b32_e32 v2, v46, v75
	s_cmp_lg_u32 s2, 0
	s_waitcnt lgkmcnt(4)
	v_or_b32_e32 v24, v2, v87
	s_waitcnt lgkmcnt(0)
	v_lshrrev_b32_e32 v13, 5, v0
	v_cmp_gt_u32_e32 vcc, 64, v0
	s_barrier
	s_cbranch_scc0 .LBB1132_192
; %bb.134:
	v_mov_b32_e32 v6, 0
	v_add_f32_e32 v2, v44, v1
	v_cmp_eq_u16_sdwa s[52:53], v67, v6 src0_sel:BYTE_0 src1_sel:DWORD
	v_cmp_eq_u16_sdwa s[4:5], v68, v6 src0_sel:BYTE_0 src1_sel:DWORD
	v_cmp_eq_u16_sdwa s[6:7], v69, v6 src0_sel:BYTE_0 src1_sel:DWORD
	v_cndmask_b32_e64 v2, v44, v2, s[52:53]
	v_add_f32_e32 v2, v45, v2
	v_cndmask_b32_e64 v2, v45, v2, s[4:5]
	v_add_f32_e32 v2, v42, v2
	v_cndmask_b32_e64 v2, v42, v2, s[6:7]
	v_add_f32_e32 v2, v43, v2
	v_cmp_eq_u16_sdwa s[8:9], v70, v6 src0_sel:BYTE_0 src1_sel:DWORD
	v_cmp_eq_u16_sdwa s[10:11], v71, v6 src0_sel:BYTE_0 src1_sel:DWORD
	v_cmp_eq_u16_sdwa s[12:13], v72, v6 src0_sel:BYTE_0 src1_sel:DWORD
	v_cndmask_b32_e64 v2, v43, v2, s[8:9]
	v_add_f32_e32 v2, v38, v2
	v_cndmask_b32_e64 v2, v38, v2, s[10:11]
	v_add_f32_e32 v2, v39, v2
	v_cndmask_b32_e64 v2, v39, v2, s[12:13]
	;; [unrolled: 9-line block ×7, first 2 shown]
	v_add_f32_e32 v2, v41, v2
	v_cmp_eq_u16_sdwa s[46:47], v46, v6 src0_sel:BYTE_0 src1_sel:DWORD
	v_and_b32_e32 v3, 0xff, v66
	s_nop 0
	v_cndmask_b32_e64 v25, v41, v2, s[46:47]
	v_or_b32_e32 v2, v24, v86
	v_or_b32_e32 v2, v2, v85
	;; [unrolled: 1-line block ×19, first 2 shown]
	v_and_b32_e32 v2, 1, v2
	v_cmp_eq_u32_e64 s[48:49], 1, v2
	v_add_lshl_u32 v2, v13, v0, 3
	s_nop 0
	v_cndmask_b32_e64 v26, v3, 1, s[48:49]
	ds_write_b32 v2, v25
	ds_write_b8 v2, v26 offset:4
	s_waitcnt lgkmcnt(0)
	s_barrier
	s_and_saveexec_b64 s[50:51], vcc
	s_cbranch_execz .LBB1132_148
; %bb.135:
	v_lshrrev_b32_e32 v2, 3, v0
	v_add_lshl_u32 v4, v2, v40, 3
	ds_read2_b32 v[8:9], v4 offset0:2 offset1:4
	ds_read_b64 v[2:3], v4
	ds_read_u8 v7, v4 offset:12
	ds_read_u8 v20, v4 offset:20
	ds_read_b32 v22, v4 offset:24
	ds_read_u8 v23, v4 offset:28
	s_waitcnt lgkmcnt(4)
	v_add_f32_e32 v5, v2, v8
	s_waitcnt lgkmcnt(3)
	v_cmp_eq_u16_sdwa s[48:49], v7, v6 src0_sel:BYTE_0 src1_sel:DWORD
	v_and_b32_e32 v21, 0xffffff00, v3
	s_nop 0
	v_cndmask_b32_e64 v8, v8, v5, s[48:49]
	v_add_f32_e32 v8, v9, v8
	s_waitcnt lgkmcnt(2)
	v_cmp_eq_u16_sdwa s[48:49], v20, v6 src0_sel:BYTE_0 src1_sel:DWORD
	v_and_b32_e32 v5, 1, v3
	s_nop 0
	v_cndmask_b32_e64 v6, v9, v8, s[48:49]
	s_waitcnt lgkmcnt(0)
	v_or_b32_e32 v8, v23, v20
	v_or_b32_e32 v7, v8, v7
	v_add_f32_e32 v6, v22, v6
	v_cmp_eq_u16_e64 s[48:49], 0, v23
	v_and_b32_e32 v7, 1, v7
	s_nop 0
	v_cndmask_b32_e64 v6, v22, v6, s[48:49]
	v_cmp_eq_u32_e64 s[48:49], 1, v7
	v_mbcnt_lo_u32_b32 v7, -1, 0
	v_mbcnt_hi_u32_b32 v7, -1, v7
	v_cndmask_b32_e64 v9, v5, 1, s[48:49]
	v_or_b32_e32 v8, v9, v21
	v_and_b32_e32 v20, 15, v7
	v_mov_b32_dpp v23, v6 row_shr:1 row_mask:0xf bank_mask:0xf
	v_mov_b32_dpp v22, v8 row_shr:1 row_mask:0xf bank_mask:0xf
	v_cmp_ne_u32_e64 s[48:49], 0, v20
	s_and_saveexec_b64 s[56:57], s[48:49]
; %bb.136:
	v_add_f32_e32 v8, v6, v23
	v_cmp_eq_u32_e64 s[48:49], 0, v9
	s_nop 1
	v_cndmask_b32_e64 v6, v6, v8, s[48:49]
	v_and_b32_e32 v8, 1, v9
	v_and_b32_e32 v9, 1, v22
	v_cmp_eq_u32_e64 s[48:49], 1, v8
	s_nop 1
	v_cndmask_b32_e64 v9, v9, 1, s[48:49]
	v_or_b32_e32 v8, v9, v21
; %bb.137:
	s_or_b64 exec, exec, s[56:57]
	v_mov_b32_dpp v22, v6 row_shr:2 row_mask:0xf bank_mask:0xf
	v_mov_b32_dpp v21, v8 row_shr:2 row_mask:0xf bank_mask:0xf
	v_cmp_lt_u32_e64 s[48:49], 1, v20
	s_and_saveexec_b64 s[56:57], s[48:49]
; %bb.138:
	v_add_f32_e32 v22, v6, v22
	v_cmp_eq_u32_e64 s[48:49], 0, v9
	v_and_b32_e32 v9, 1, v9
	v_and_b32_e32 v21, 1, v21
	v_cndmask_b32_e64 v6, v6, v22, s[48:49]
	v_cmp_eq_u32_e64 s[48:49], 1, v9
	s_movk_i32 s3, 0xff00
	s_nop 0
	v_cndmask_b32_e64 v9, v21, 1, s[48:49]
	v_and_or_b32 v8, v8, s3, v9
; %bb.139:
	s_or_b64 exec, exec, s[56:57]
	v_mov_b32_dpp v22, v6 row_shr:4 row_mask:0xf bank_mask:0xf
	v_mov_b32_dpp v21, v8 row_shr:4 row_mask:0xf bank_mask:0xf
	v_cmp_lt_u32_e64 s[48:49], 3, v20
	s_and_saveexec_b64 s[56:57], s[48:49]
; %bb.140:
	v_add_f32_e32 v22, v6, v22
	v_cmp_eq_u32_e64 s[48:49], 0, v9
	v_and_b32_e32 v9, 1, v9
	v_and_b32_e32 v21, 1, v21
	v_cndmask_b32_e64 v6, v6, v22, s[48:49]
	v_cmp_eq_u32_e64 s[48:49], 1, v9
	s_movk_i32 s3, 0xff00
	s_nop 0
	v_cndmask_b32_e64 v9, v21, 1, s[48:49]
	v_and_or_b32 v8, v8, s3, v9
; %bb.141:
	s_or_b64 exec, exec, s[56:57]
	v_mov_b32_dpp v22, v6 row_shr:8 row_mask:0xf bank_mask:0xf
	v_mov_b32_dpp v21, v8 row_shr:8 row_mask:0xf bank_mask:0xf
	v_cmp_lt_u32_e64 s[48:49], 7, v20
	s_and_saveexec_b64 s[56:57], s[48:49]
; %bb.142:
	v_add_f32_e32 v20, v6, v22
	v_cmp_eq_u32_e64 s[48:49], 0, v9
	v_and_b32_e32 v9, 1, v9
	s_movk_i32 s3, 0xff00
	v_cndmask_b32_e64 v6, v6, v20, s[48:49]
	v_and_b32_e32 v20, 1, v21
	v_cmp_eq_u32_e64 s[48:49], 1, v9
	s_nop 1
	v_cndmask_b32_e64 v9, v20, 1, s[48:49]
	v_and_or_b32 v8, v8, s3, v9
; %bb.143:
	s_or_b64 exec, exec, s[56:57]
	v_and_b32_e32 v22, 16, v7
	v_mov_b32_dpp v21, v6 row_bcast:15 row_mask:0xf bank_mask:0xf
	v_mov_b32_dpp v20, v8 row_bcast:15 row_mask:0xf bank_mask:0xf
	v_cmp_ne_u32_e64 s[48:49], 0, v22
	s_and_saveexec_b64 s[56:57], s[48:49]
; %bb.144:
	v_add_f32_e32 v21, v6, v21
	v_cmp_eq_u32_e64 s[48:49], 0, v9
	v_and_b32_e32 v9, 1, v9
	v_and_b32_e32 v20, 1, v20
	v_cndmask_b32_e64 v6, v6, v21, s[48:49]
	v_cmp_eq_u32_e64 s[48:49], 1, v9
	s_movk_i32 s3, 0xff00
	s_nop 0
	v_cndmask_b32_e64 v9, v20, 1, s[48:49]
	v_and_or_b32 v8, v8, s3, v9
; %bb.145:
	s_or_b64 exec, exec, s[56:57]
	v_mov_b32_dpp v21, v6 row_bcast:31 row_mask:0xf bank_mask:0xf
	v_mov_b32_dpp v20, v8 row_bcast:31 row_mask:0xf bank_mask:0xf
	v_cmp_lt_u32_e64 s[48:49], 31, v7
	s_and_saveexec_b64 s[56:57], s[48:49]
; %bb.146:
	v_add_f32_e32 v21, v6, v21
	v_cmp_eq_u32_e64 s[48:49], 0, v9
	v_and_b32_e32 v9, 1, v9
	v_and_b32_e32 v20, 1, v20
	v_cndmask_b32_e64 v6, v6, v21, s[48:49]
	v_cmp_eq_u32_e64 s[48:49], 1, v9
	s_movk_i32 s3, 0xff00
	s_nop 0
	v_cndmask_b32_e64 v9, v20, 1, s[48:49]
	v_and_or_b32 v8, v8, s3, v9
; %bb.147:
	s_or_b64 exec, exec, s[56:57]
	v_add_u32_e32 v9, -1, v7
	v_and_b32_e32 v20, 64, v7
	v_cmp_lt_i32_e64 s[48:49], v9, v20
	; wave barrier
	s_nop 1
	v_cndmask_b32_e64 v7, v9, v7, s[48:49]
	v_lshlrev_b32_e32 v7, 2, v7
	ds_bpermute_b32 v6, v7, v6
	ds_bpermute_b32 v7, v7, v8
	v_mov_b32_e32 v8, 0
	v_cmp_eq_u32_sdwa s[48:49], v3, v8 src0_sel:BYTE_0 src1_sel:DWORD
	s_waitcnt lgkmcnt(1)
	v_add_f32_e32 v6, v2, v6
	v_cndmask_b32_e64 v2, v2, v6, s[48:49]
	s_waitcnt lgkmcnt(0)
	v_and_b32_e32 v3, 1, v7
	v_cmp_eq_u32_e64 s[48:49], 1, v5
	s_nop 1
	v_cndmask_b32_e64 v3, v3, 1, s[48:49]
	v_cmp_eq_u32_e64 s[48:49], 0, v0
	s_nop 1
	v_cndmask_b32_e64 v5, v2, v25, s[48:49]
	v_cndmask_b32_e64 v6, v3, v26, s[48:49]
	ds_write_b32 v4, v5
	ds_write_b8 v4, v6 offset:4
	; wave barrier
	ds_read2_b32 v[2:3], v4 offset0:2 offset1:4
	ds_read_u8 v7, v4 offset:12
	ds_read_u8 v8, v4 offset:20
	ds_read_b32 v9, v4 offset:24
	ds_read_u8 v20, v4 offset:28
	s_waitcnt lgkmcnt(4)
	v_add_f32_e32 v5, v5, v2
	s_waitcnt lgkmcnt(3)
	v_cmp_eq_u16_e64 s[48:49], 0, v7
	s_nop 1
	v_cndmask_b32_e64 v2, v2, v5, s[48:49]
	v_and_b32_e32 v5, 1, v7
	v_cmp_eq_u32_e64 s[48:49], 1, v5
	s_nop 1
	v_cndmask_b32_e64 v5, v6, 1, s[48:49]
	v_add_f32_e32 v6, v2, v3
	s_waitcnt lgkmcnt(2)
	v_cmp_eq_u16_e64 s[48:49], 0, v8
	ds_write_b8 v4, v5 offset:12
	s_nop 0
	v_cndmask_b32_e64 v3, v3, v6, s[48:49]
	v_and_b32_e32 v6, 1, v8
	v_cmp_eq_u32_e64 s[48:49], 1, v6
	s_nop 1
	v_cndmask_b32_e64 v5, v5, 1, s[48:49]
	ds_write2_b32 v4, v2, v3 offset0:2 offset1:4
	ds_write_b8 v4, v5 offset:20
	s_waitcnt lgkmcnt(4)
	v_add_f32_e32 v2, v3, v9
	s_waitcnt lgkmcnt(3)
	v_cmp_eq_u16_e64 s[48:49], 0, v20
	v_and_b32_e32 v3, 1, v20
	s_nop 0
	v_cndmask_b32_e64 v2, v9, v2, s[48:49]
	v_cmp_eq_u32_e64 s[48:49], 1, v3
	s_nop 1
	v_cndmask_b32_e64 v3, v5, 1, s[48:49]
	ds_write_b32 v4, v2 offset:24
	ds_write_b8 v4, v3 offset:28
.LBB1132_148:
	s_or_b64 exec, exec, s[50:51]
	v_cmp_eq_u32_e64 s[48:49], 0, v0
	v_cmp_ne_u32_e64 s[50:51], 0, v0
	s_waitcnt lgkmcnt(0)
	s_barrier
	s_and_saveexec_b64 s[56:57], s[50:51]
	s_cbranch_execz .LBB1132_150
; %bb.149:
	v_add_u32_e32 v2, -1, v0
	v_lshrrev_b32_e32 v3, 5, v2
	v_add_lshl_u32 v2, v3, v2, 3
	ds_read_b32 v25, v2
	ds_read_u8 v26, v2 offset:4
.LBB1132_150:
	s_or_b64 exec, exec, s[56:57]
	s_and_saveexec_b64 s[56:57], vcc
	s_cbranch_execz .LBB1132_191
; %bb.151:
	v_mov_b32_e32 v5, 0
	ds_read_b64 v[2:3], v5 offset:2096
	v_mbcnt_lo_u32_b32 v4, -1, 0
	v_mbcnt_hi_u32_b32 v21, -1, v4
	s_mov_b32 s73, 0
	v_cmp_eq_u32_e64 s[50:51], 0, v21
	s_waitcnt lgkmcnt(0)
	v_readfirstlane_b32 s3, v3
	s_and_saveexec_b64 s[62:63], s[50:51]
	s_cbranch_execz .LBB1132_153
; %bb.152:
	s_add_i32 s72, s2, 64
	s_lshl_b64 s[74:75], s[72:73], 4
	s_add_u32 s74, s64, s74
	s_addc_u32 s75, s65, s75
	s_and_b32 s77, s3, 0xff000000
	s_mov_b32 s76, s73
	s_and_b32 s79, s3, 0xff0000
	s_mov_b32 s78, s73
	s_or_b64 s[76:77], s[78:79], s[76:77]
	s_and_b32 s79, s3, 0xff00
	s_or_b64 s[76:77], s[76:77], s[78:79]
	s_and_b32 s79, s3, 0xff
	s_or_b64 s[72:73], s[76:77], s[78:79]
	v_mov_b32_e32 v3, s73
	v_mov_b32_e32 v4, 1
	v_mov_b64_e32 v[6:7], s[74:75]
	;;#ASMSTART
	global_store_dwordx4 v[6:7], v[2:5] off sc1	
s_waitcnt vmcnt(0)
	;;#ASMEND
.LBB1132_153:
	s_or_b64 exec, exec, s[62:63]
	v_xad_u32 v20, v21, -1, s2
	v_add_u32_e32 v4, 64, v20
	v_lshl_add_u64 v[22:23], v[4:5], 4, s[64:65]
	;;#ASMSTART
	global_load_dwordx4 v[6:9], v[22:23] off sc1	
s_waitcnt vmcnt(0)
	;;#ASMEND
	s_nop 0
	v_cmp_eq_u16_sdwa s[72:73], v8, v5 src0_sel:BYTE_0 src1_sel:DWORD
	s_and_saveexec_b64 s[62:63], s[72:73]
	s_cbranch_execz .LBB1132_157
; %bb.154:
	s_mov_b64 s[72:73], 0
	v_mov_b32_e32 v3, 0
.LBB1132_155:                           ; =>This Inner Loop Header: Depth=1
	;;#ASMSTART
	global_load_dwordx4 v[6:9], v[22:23] off sc1	
s_waitcnt vmcnt(0)
	;;#ASMEND
	s_nop 0
	v_cmp_ne_u16_sdwa s[74:75], v8, v3 src0_sel:BYTE_0 src1_sel:DWORD
	s_or_b64 s[72:73], s[74:75], s[72:73]
	s_andn2_b64 exec, exec, s[72:73]
	s_cbranch_execnz .LBB1132_155
; %bb.156:
	s_or_b64 exec, exec, s[72:73]
.LBB1132_157:
	s_or_b64 exec, exec, s[62:63]
	v_mov_b32_e32 v3, 2
	v_cmp_eq_u16_sdwa s[62:63], v8, v3 src0_sel:BYTE_0 src1_sel:DWORD
	v_lshlrev_b64 v[4:5], v21, -1
	v_and_b32_e32 v22, 0xff, v7
	v_and_b32_e32 v3, s63, v5
	v_or_b32_e32 v3, 0x80000000, v3
	v_ffbl_b32_e32 v29, v3
	v_and_b32_e32 v3, 63, v21
	v_cmp_ne_u32_e32 vcc, 63, v3
	v_and_b32_e32 v9, s62, v4
	v_add_u32_e32 v29, 32, v29
	v_addc_co_u32_e32 v23, vcc, 0, v21, vcc
	v_lshlrev_b32_e32 v27, 2, v23
	ds_bpermute_b32 v28, v27, v6
	ds_bpermute_b32 v23, v27, v22
	v_ffbl_b32_e32 v9, v9
	v_min_u32_e32 v9, v9, v29
	v_cmp_lt_u32_e32 vcc, v3, v9
	s_and_saveexec_b64 s[62:63], vcc
	s_cbranch_execz .LBB1132_159
; %bb.158:
	v_mov_b32_e32 v22, 0
	s_waitcnt lgkmcnt(1)
	v_add_f32_e32 v28, v6, v28
	v_cmp_eq_u16_sdwa vcc, v7, v22 src0_sel:BYTE_0 src1_sel:DWORD
	v_and_b32_e32 v7, 1, v7
	s_waitcnt lgkmcnt(0)
	v_and_b32_e32 v22, 1, v23
	v_cndmask_b32_e32 v6, v6, v28, vcc
	v_cmp_eq_u32_e32 vcc, 1, v7
	s_nop 1
	v_cndmask_b32_e64 v7, v22, 1, vcc
	v_and_b32_e32 v22, 0xffff, v7
.LBB1132_159:
	s_or_b64 exec, exec, s[62:63]
	v_cmp_gt_u32_e32 vcc, 62, v3
	v_add_u32_e32 v29, 2, v3
	s_waitcnt lgkmcnt(0)
	v_cndmask_b32_e64 v23, 0, 1, vcc
	v_lshlrev_b32_e32 v23, 1, v23
	v_add_lshl_u32 v28, v23, v21, 2
	ds_bpermute_b32 v30, v28, v6
	ds_bpermute_b32 v23, v28, v22
	v_cmp_le_u32_e32 vcc, v29, v9
	s_and_saveexec_b64 s[62:63], vcc
	s_cbranch_execz .LBB1132_161
; %bb.160:
	v_mov_b32_e32 v22, 0
	s_waitcnt lgkmcnt(1)
	v_add_f32_e32 v30, v6, v30
	v_cmp_eq_u16_sdwa vcc, v7, v22 src0_sel:BYTE_0 src1_sel:DWORD
	v_and_b32_e32 v7, 1, v7
	s_waitcnt lgkmcnt(0)
	v_and_b32_e32 v22, 1, v23
	v_cndmask_b32_e32 v6, v6, v30, vcc
	v_cmp_eq_u32_e32 vcc, 1, v7
	s_nop 1
	v_cndmask_b32_e64 v7, v22, 1, vcc
	v_and_b32_e32 v22, 0xffff, v7
.LBB1132_161:
	s_or_b64 exec, exec, s[62:63]
	v_cmp_gt_u32_e32 vcc, 60, v3
	v_add_u32_e32 v31, 4, v3
	s_waitcnt lgkmcnt(0)
	v_cndmask_b32_e64 v23, 0, 1, vcc
	v_lshlrev_b32_e32 v23, 2, v23
	v_add_lshl_u32 v30, v23, v21, 2
	ds_bpermute_b32 v47, v30, v6
	ds_bpermute_b32 v23, v30, v22
	v_cmp_le_u32_e32 vcc, v31, v9
	;; [unrolled: 26-line block ×5, first 2 shown]
	s_and_saveexec_b64 s[62:63], vcc
	s_cbranch_execz .LBB1132_169
; %bb.168:
	v_mov_b32_e32 v9, 0
	s_waitcnt lgkmcnt(1)
	v_add_f32_e32 v22, v6, v23
	v_cmp_eq_u16_sdwa vcc, v7, v9 src0_sel:BYTE_0 src1_sel:DWORD
	v_and_b32_e32 v7, 1, v7
	s_waitcnt lgkmcnt(0)
	v_and_b32_e32 v9, 1, v21
	v_cndmask_b32_e32 v6, v6, v22, vcc
	v_cmp_eq_u32_e32 vcc, 1, v7
	s_nop 1
	v_cndmask_b32_e64 v7, v9, 1, vcc
.LBB1132_169:
	s_or_b64 exec, exec, s[62:63]
	s_waitcnt lgkmcnt(0)
	v_mov_b32_e32 v21, 0
	v_mov_b32_e32 v55, 2
	s_branch .LBB1132_171
.LBB1132_170:                           ;   in Loop: Header=BB1132_171 Depth=1
	s_or_b64 exec, exec, s[62:63]
	s_waitcnt lgkmcnt(0)
	ds_bpermute_b32 v23, v52, v6
	ds_bpermute_b32 v22, v52, v22
	v_and_b32_e32 v56, 1, v7
	v_cmp_eq_u16_sdwa vcc, v7, v21 src0_sel:BYTE_0 src1_sel:DWORD
	v_subrev_u32_e32 v20, 64, v20
	s_waitcnt lgkmcnt(1)
	v_add_f32_e32 v23, v6, v23
	v_cndmask_b32_e32 v23, v6, v23, vcc
	v_cmp_eq_u32_e32 vcc, 1, v56
	s_waitcnt lgkmcnt(0)
	s_nop 0
	v_cndmask_b32_e64 v22, v22, 1, vcc
	v_cmp_gt_u32_e32 vcc, v54, v9
	v_and_b32_e32 v9, 1, v51
	s_nop 0
	v_cndmask_b32_e32 v6, v23, v6, vcc
	v_cndmask_b32_e32 v7, v22, v7, vcc
	v_add_f32_e32 v6, v53, v6
	v_cmp_eq_u16_sdwa vcc, v51, v21 src0_sel:BYTE_0 src1_sel:DWORD
	v_and_b32_e32 v7, 1, v7
	s_nop 0
	v_cndmask_b32_e32 v6, v53, v6, vcc
	v_cmp_eq_u32_e32 vcc, 1, v9
	s_nop 1
	v_cndmask_b32_e64 v7, v7, 1, vcc
.LBB1132_171:                           ; =>This Loop Header: Depth=1
                                        ;     Child Loop BB1132_174 Depth 2
	v_cmp_ne_u16_sdwa s[62:63], v8, v55 src0_sel:BYTE_0 src1_sel:DWORD
	v_mov_b32_e32 v51, v7
	v_mov_b32_e32 v53, v6
	v_cndmask_b32_e64 v7, 0, 1, s[62:63]
	;;#ASMSTART
	;;#ASMEND
	s_nop 0
	v_cmp_ne_u32_e32 vcc, 0, v7
	s_cmp_lg_u64 vcc, exec
	s_cbranch_scc1 .LBB1132_186
; %bb.172:                              ;   in Loop: Header=BB1132_171 Depth=1
	v_lshl_add_u64 v[22:23], v[20:21], 4, s[64:65]
	;;#ASMSTART
	global_load_dwordx4 v[6:9], v[22:23] off sc1	
s_waitcnt vmcnt(0)
	;;#ASMEND
	s_nop 0
	v_cmp_eq_u16_sdwa s[72:73], v8, v21 src0_sel:BYTE_0 src1_sel:DWORD
	s_and_saveexec_b64 s[62:63], s[72:73]
	s_cbranch_execz .LBB1132_176
; %bb.173:                              ;   in Loop: Header=BB1132_171 Depth=1
	s_mov_b64 s[72:73], 0
.LBB1132_174:                           ;   Parent Loop BB1132_171 Depth=1
                                        ; =>  This Inner Loop Header: Depth=2
	;;#ASMSTART
	global_load_dwordx4 v[6:9], v[22:23] off sc1	
s_waitcnt vmcnt(0)
	;;#ASMEND
	s_nop 0
	v_cmp_ne_u16_sdwa s[74:75], v8, v21 src0_sel:BYTE_0 src1_sel:DWORD
	s_or_b64 s[72:73], s[74:75], s[72:73]
	s_andn2_b64 exec, exec, s[72:73]
	s_cbranch_execnz .LBB1132_174
; %bb.175:                              ;   in Loop: Header=BB1132_171 Depth=1
	s_or_b64 exec, exec, s[72:73]
.LBB1132_176:                           ;   in Loop: Header=BB1132_171 Depth=1
	s_or_b64 exec, exec, s[62:63]
	v_cmp_eq_u16_sdwa s[62:63], v8, v55 src0_sel:BYTE_0 src1_sel:DWORD
	v_and_b32_e32 v22, 0xff, v7
	ds_bpermute_b32 v56, v27, v6
	v_and_b32_e32 v9, s63, v5
	v_or_b32_e32 v9, 0x80000000, v9
	ds_bpermute_b32 v23, v27, v22
	v_and_b32_e32 v57, s62, v4
	v_ffbl_b32_e32 v9, v9
	v_add_u32_e32 v9, 32, v9
	v_ffbl_b32_e32 v57, v57
	v_min_u32_e32 v9, v57, v9
	v_cmp_lt_u32_e32 vcc, v3, v9
	s_and_saveexec_b64 s[62:63], vcc
	s_cbranch_execz .LBB1132_178
; %bb.177:                              ;   in Loop: Header=BB1132_171 Depth=1
	s_waitcnt lgkmcnt(1)
	v_add_f32_e32 v22, v6, v56
	v_cmp_eq_u16_sdwa vcc, v7, v21 src0_sel:BYTE_0 src1_sel:DWORD
	v_and_b32_e32 v7, 1, v7
	s_nop 0
	v_cndmask_b32_e32 v6, v6, v22, vcc
	s_waitcnt lgkmcnt(0)
	v_and_b32_e32 v22, 1, v23
	v_cmp_eq_u32_e32 vcc, 1, v7
	s_nop 1
	v_cndmask_b32_e64 v7, v22, 1, vcc
	v_and_b32_e32 v22, 0xffff, v7
.LBB1132_178:                           ;   in Loop: Header=BB1132_171 Depth=1
	s_or_b64 exec, exec, s[62:63]
	s_waitcnt lgkmcnt(1)
	ds_bpermute_b32 v56, v28, v6
	s_waitcnt lgkmcnt(1)
	ds_bpermute_b32 v23, v28, v22
	v_cmp_le_u32_e32 vcc, v29, v9
	s_and_saveexec_b64 s[62:63], vcc
	s_cbranch_execz .LBB1132_180
; %bb.179:                              ;   in Loop: Header=BB1132_171 Depth=1
	s_waitcnt lgkmcnt(1)
	v_add_f32_e32 v22, v6, v56
	v_cmp_eq_u16_sdwa vcc, v7, v21 src0_sel:BYTE_0 src1_sel:DWORD
	v_and_b32_e32 v7, 1, v7
	s_nop 0
	v_cndmask_b32_e32 v6, v6, v22, vcc
	s_waitcnt lgkmcnt(0)
	v_and_b32_e32 v22, 1, v23
	v_cmp_eq_u32_e32 vcc, 1, v7
	s_nop 1
	v_cndmask_b32_e64 v7, v22, 1, vcc
	v_and_b32_e32 v22, 0xffff, v7
.LBB1132_180:                           ;   in Loop: Header=BB1132_171 Depth=1
	s_or_b64 exec, exec, s[62:63]
	s_waitcnt lgkmcnt(1)
	ds_bpermute_b32 v56, v30, v6
	s_waitcnt lgkmcnt(1)
	ds_bpermute_b32 v23, v30, v22
	v_cmp_le_u32_e32 vcc, v31, v9
	;; [unrolled: 22-line block ×4, first 2 shown]
	s_and_saveexec_b64 s[62:63], vcc
	s_cbranch_execz .LBB1132_170
; %bb.185:                              ;   in Loop: Header=BB1132_171 Depth=1
	s_waitcnt lgkmcnt(1)
	v_add_f32_e32 v22, v6, v56
	v_cmp_eq_u16_sdwa vcc, v7, v21 src0_sel:BYTE_0 src1_sel:DWORD
	v_and_b32_e32 v7, 1, v7
	s_nop 0
	v_cndmask_b32_e32 v6, v6, v22, vcc
	s_waitcnt lgkmcnt(0)
	v_and_b32_e32 v22, 1, v23
	v_cmp_eq_u32_e32 vcc, 1, v7
	s_nop 1
	v_cndmask_b32_e64 v7, v22, 1, vcc
	v_and_b32_e32 v22, 0xffff, v7
	s_branch .LBB1132_170
.LBB1132_186:                           ;   in Loop: Header=BB1132_171 Depth=1
                                        ; implicit-def: $vgpr7
	s_cbranch_execz .LBB1132_171
; %bb.187:
	s_and_saveexec_b64 s[62:63], s[50:51]
	s_cbranch_execz .LBB1132_189
; %bb.188:
	s_and_b32 s50, s3, 0xff
	s_cmp_eq_u32 s50, 0
	s_cselect_b64 vcc, -1, 0
	s_bitcmp1_b32 s3, 0
	s_mov_b32 s51, 0
	s_cselect_b64 s[72:73], -1, 0
	s_add_i32 s50, s2, 64
	s_lshl_b64 s[2:3], s[50:51], 4
	v_add_f32_e32 v3, v53, v2
	s_add_u32 s2, s64, s2
	v_cndmask_b32_e32 v2, v2, v3, vcc
	v_and_b32_e32 v3, 1, v51
	s_addc_u32 s3, s65, s3
	v_cndmask_b32_e64 v3, v3, 1, s[72:73]
	v_mov_b32_e32 v4, 2
	v_mov_b32_e32 v5, 0
	v_mov_b64_e32 v[6:7], s[2:3]
	;;#ASMSTART
	global_store_dwordx4 v[6:7], v[2:5] off sc1	
s_waitcnt vmcnt(0)
	;;#ASMEND
.LBB1132_189:
	s_or_b64 exec, exec, s[62:63]
	s_and_b64 exec, exec, s[48:49]
	s_cbranch_execz .LBB1132_191
; %bb.190:
	v_mov_b32_e32 v2, 0
	ds_write_b32 v2, v53
	ds_write_b8 v2, v51 offset:4
.LBB1132_191:
	s_or_b64 exec, exec, s[56:57]
	v_mov_b32_e32 v2, 0
	s_waitcnt lgkmcnt(0)
	s_barrier
	ds_read_b32 v3, v2
	v_and_b32_e32 v4, 1, v66
	v_and_b32_e32 v5, 1, v26
	v_cmp_eq_u32_e32 vcc, 1, v4
	s_nop 1
	v_cndmask_b32_e64 v4, v5, 1, vcc
	v_add_f32_e32 v5, v1, v25
	v_cmp_eq_u16_sdwa vcc, v66, v2 src0_sel:BYTE_0 src1_sel:DWORD
	v_cndmask_b32_e64 v4, v4, v66, s[48:49]
	s_nop 0
	v_cndmask_b32_e32 v5, v1, v5, vcc
	v_cndmask_b32_e64 v5, v5, v1, s[48:49]
	s_waitcnt lgkmcnt(0)
	v_add_f32_e32 v3, v5, v3
	v_cmp_eq_u16_sdwa vcc, v4, v2 src0_sel:BYTE_0 src1_sel:DWORD
	s_nop 1
	v_cndmask_b32_e32 v63, v5, v3, vcc
	v_add_f32_e32 v2, v44, v63
	v_cndmask_b32_e64 v26, v44, v2, s[52:53]
	v_add_f32_e32 v2, v45, v26
	v_cndmask_b32_e64 v27, v45, v2, s[4:5]
	;; [unrolled: 2-line block ×22, first 2 shown]
	s_branch .LBB1132_214
.LBB1132_192:
                                        ; implicit-def: $vgpr61
                                        ; implicit-def: $vgpr60
                                        ; implicit-def: $vgpr59
                                        ; implicit-def: $vgpr58
                                        ; implicit-def: $vgpr57
                                        ; implicit-def: $vgpr56
                                        ; implicit-def: $vgpr55
                                        ; implicit-def: $vgpr54
                                        ; implicit-def: $vgpr53
                                        ; implicit-def: $vgpr52
                                        ; implicit-def: $vgpr51
                                        ; implicit-def: $vgpr50
                                        ; implicit-def: $vgpr49
                                        ; implicit-def: $vgpr48
                                        ; implicit-def: $vgpr47
                                        ; implicit-def: $vgpr31
                                        ; implicit-def: $vgpr30
                                        ; implicit-def: $vgpr29
                                        ; implicit-def: $vgpr28
                                        ; implicit-def: $vgpr27
                                        ; implicit-def: $vgpr26
                                        ; implicit-def: $vgpr63
                                        ; implicit-def: $vgpr62
	s_cbranch_execz .LBB1132_214
; %bb.193:
	s_cmp_lg_u64 s[70:71], 0
	s_cselect_b32 s5, s59, 0
	s_cselect_b32 s4, s58, 0
	s_cmp_lg_u64 s[4:5], 0
	s_cselect_b64 s[6:7], -1, 0
	v_cmp_eq_u32_e32 vcc, 0, v0
	v_cmp_ne_u32_e64 s[2:3], 0, v0
	s_and_b64 s[8:9], vcc, s[6:7]
	s_and_saveexec_b64 s[6:7], s[8:9]
	s_cbranch_execz .LBB1132_195
; %bb.194:
	v_mov_b32_e32 v2, 0
	global_load_dword v3, v2, s[4:5]
	global_load_ubyte v4, v2, s[4:5] offset:4
	v_and_b32_e32 v5, 1, v66
	v_cmp_eq_u16_sdwa s[4:5], v66, v2 src0_sel:BYTE_0 src1_sel:DWORD
	s_waitcnt vmcnt(1)
	v_add_f32_e32 v3, v1, v3
	s_waitcnt vmcnt(0)
	v_and_b32_e32 v4, 1, v4
	v_cndmask_b32_e64 v1, v1, v3, s[4:5]
	v_cmp_eq_u32_e64 s[4:5], 1, v5
	s_nop 1
	v_cndmask_b32_e64 v66, v4, 1, s[4:5]
.LBB1132_195:
	s_or_b64 exec, exec, s[6:7]
	v_mov_b32_e32 v7, 0
	v_add_f32_e32 v2, v44, v1
	v_cmp_eq_u16_sdwa s[4:5], v67, v7 src0_sel:BYTE_0 src1_sel:DWORD
	v_cmp_eq_u16_sdwa s[6:7], v68, v7 src0_sel:BYTE_0 src1_sel:DWORD
	v_cmp_eq_u16_sdwa s[8:9], v69, v7 src0_sel:BYTE_0 src1_sel:DWORD
	v_cndmask_b32_e64 v26, v44, v2, s[4:5]
	v_add_f32_e32 v2, v45, v26
	v_cndmask_b32_e64 v27, v45, v2, s[6:7]
	v_add_f32_e32 v2, v42, v27
	v_cndmask_b32_e64 v28, v42, v2, s[8:9]
	v_add_f32_e32 v2, v43, v28
	v_cmp_eq_u16_sdwa s[10:11], v70, v7 src0_sel:BYTE_0 src1_sel:DWORD
	v_cmp_eq_u16_sdwa s[12:13], v71, v7 src0_sel:BYTE_0 src1_sel:DWORD
	v_cmp_eq_u16_sdwa s[14:15], v72, v7 src0_sel:BYTE_0 src1_sel:DWORD
	v_cndmask_b32_e64 v29, v43, v2, s[10:11]
	v_add_f32_e32 v2, v38, v29
	v_cndmask_b32_e64 v30, v38, v2, s[12:13]
	v_add_f32_e32 v2, v39, v30
	v_cndmask_b32_e64 v31, v39, v2, s[14:15]
	;; [unrolled: 9-line block ×7, first 2 shown]
	v_add_f32_e32 v2, v41, v61
	v_cmp_eq_u16_sdwa s[48:49], v46, v7 src0_sel:BYTE_0 src1_sel:DWORD
	v_and_b32_e32 v3, 0xff, v66
	s_nop 0
	v_cndmask_b32_e64 v62, v41, v2, s[48:49]
	v_or_b32_e32 v2, v24, v86
	v_or_b32_e32 v2, v2, v85
	;; [unrolled: 1-line block ×19, first 2 shown]
	v_and_b32_e32 v2, 1, v2
	v_cmp_eq_u32_e64 s[50:51], 1, v2
	v_add_lshl_u32 v2, v13, v0, 3
	s_nop 0
	v_cndmask_b32_e64 v5, v3, 1, s[50:51]
	v_cmp_gt_u32_e64 s[50:51], 64, v0
	ds_write_b32 v2, v62
	ds_write_b8 v2, v5 offset:4
	s_waitcnt lgkmcnt(0)
	s_barrier
	s_and_saveexec_b64 s[52:53], s[50:51]
	s_cbranch_execz .LBB1132_209
; %bb.196:
	v_lshrrev_b32_e32 v2, 3, v0
	v_add_lshl_u32 v4, v2, v40, 3
	ds_read2_b32 v[8:9], v4 offset0:2 offset1:4
	ds_read_b64 v[2:3], v4
	ds_read_u8 v13, v4 offset:12
	ds_read_u8 v20, v4 offset:20
	ds_read_b32 v22, v4 offset:24
	ds_read_u8 v23, v4 offset:28
	s_waitcnt lgkmcnt(4)
	v_add_f32_e32 v6, v2, v8
	s_waitcnt lgkmcnt(3)
	v_cmp_eq_u16_sdwa s[50:51], v13, v7 src0_sel:BYTE_0 src1_sel:DWORD
	v_and_b32_e32 v21, 0xffffff00, v3
	s_nop 0
	v_cndmask_b32_e64 v8, v8, v6, s[50:51]
	v_add_f32_e32 v8, v9, v8
	s_waitcnt lgkmcnt(2)
	v_cmp_eq_u16_sdwa s[50:51], v20, v7 src0_sel:BYTE_0 src1_sel:DWORD
	v_and_b32_e32 v6, 1, v3
	s_nop 0
	v_cndmask_b32_e64 v7, v9, v8, s[50:51]
	s_waitcnt lgkmcnt(0)
	v_or_b32_e32 v8, v23, v20
	v_or_b32_e32 v8, v8, v13
	v_add_f32_e32 v7, v22, v7
	v_cmp_eq_u16_e64 s[50:51], 0, v23
	v_and_b32_e32 v8, 1, v8
	s_nop 0
	v_cndmask_b32_e64 v7, v22, v7, s[50:51]
	v_cmp_eq_u32_e64 s[50:51], 1, v8
	v_mbcnt_lo_u32_b32 v8, -1, 0
	v_mbcnt_hi_u32_b32 v8, -1, v8
	v_cndmask_b32_e64 v13, v6, 1, s[50:51]
	v_or_b32_e32 v9, v13, v21
	v_and_b32_e32 v20, 15, v8
	v_mov_b32_dpp v23, v7 row_shr:1 row_mask:0xf bank_mask:0xf
	v_mov_b32_dpp v22, v9 row_shr:1 row_mask:0xf bank_mask:0xf
	v_cmp_ne_u32_e64 s[50:51], 0, v20
	s_and_saveexec_b64 s[56:57], s[50:51]
; %bb.197:
	v_add_f32_e32 v9, v7, v23
	v_cmp_eq_u32_e64 s[50:51], 0, v13
	s_nop 1
	v_cndmask_b32_e64 v7, v7, v9, s[50:51]
	v_and_b32_e32 v9, 1, v13
	v_and_b32_e32 v13, 1, v22
	v_cmp_eq_u32_e64 s[50:51], 1, v9
	s_nop 1
	v_cndmask_b32_e64 v13, v13, 1, s[50:51]
	v_or_b32_e32 v9, v13, v21
; %bb.198:
	s_or_b64 exec, exec, s[56:57]
	v_mov_b32_dpp v22, v7 row_shr:2 row_mask:0xf bank_mask:0xf
	v_mov_b32_dpp v21, v9 row_shr:2 row_mask:0xf bank_mask:0xf
	v_cmp_lt_u32_e64 s[50:51], 1, v20
	s_and_saveexec_b64 s[56:57], s[50:51]
; %bb.199:
	v_add_f32_e32 v22, v7, v22
	v_cmp_eq_u32_e64 s[50:51], 0, v13
	v_and_b32_e32 v13, 1, v13
	v_and_b32_e32 v21, 1, v21
	v_cndmask_b32_e64 v7, v7, v22, s[50:51]
	v_cmp_eq_u32_e64 s[50:51], 1, v13
	s_nop 1
	v_cndmask_b32_e64 v13, v21, 1, s[50:51]
	s_movk_i32 s50, 0xff00
	v_and_or_b32 v9, v9, s50, v13
; %bb.200:
	s_or_b64 exec, exec, s[56:57]
	v_mov_b32_dpp v22, v7 row_shr:4 row_mask:0xf bank_mask:0xf
	v_mov_b32_dpp v21, v9 row_shr:4 row_mask:0xf bank_mask:0xf
	v_cmp_lt_u32_e64 s[50:51], 3, v20
	s_and_saveexec_b64 s[56:57], s[50:51]
; %bb.201:
	v_add_f32_e32 v22, v7, v22
	v_cmp_eq_u32_e64 s[50:51], 0, v13
	v_and_b32_e32 v13, 1, v13
	v_and_b32_e32 v21, 1, v21
	v_cndmask_b32_e64 v7, v7, v22, s[50:51]
	v_cmp_eq_u32_e64 s[50:51], 1, v13
	s_nop 1
	v_cndmask_b32_e64 v13, v21, 1, s[50:51]
	s_movk_i32 s50, 0xff00
	v_and_or_b32 v9, v9, s50, v13
; %bb.202:
	s_or_b64 exec, exec, s[56:57]
	v_mov_b32_dpp v22, v7 row_shr:8 row_mask:0xf bank_mask:0xf
	v_mov_b32_dpp v21, v9 row_shr:8 row_mask:0xf bank_mask:0xf
	v_cmp_lt_u32_e64 s[50:51], 7, v20
	s_and_saveexec_b64 s[56:57], s[50:51]
; %bb.203:
	v_add_f32_e32 v20, v7, v22
	v_cmp_eq_u32_e64 s[50:51], 0, v13
	v_and_b32_e32 v13, 1, v13
	s_nop 0
	v_cndmask_b32_e64 v7, v7, v20, s[50:51]
	v_and_b32_e32 v20, 1, v21
	v_cmp_eq_u32_e64 s[50:51], 1, v13
	s_nop 1
	v_cndmask_b32_e64 v13, v20, 1, s[50:51]
	s_movk_i32 s50, 0xff00
	v_and_or_b32 v9, v9, s50, v13
; %bb.204:
	s_or_b64 exec, exec, s[56:57]
	v_and_b32_e32 v22, 16, v8
	v_mov_b32_dpp v21, v7 row_bcast:15 row_mask:0xf bank_mask:0xf
	v_mov_b32_dpp v20, v9 row_bcast:15 row_mask:0xf bank_mask:0xf
	v_cmp_ne_u32_e64 s[50:51], 0, v22
	s_and_saveexec_b64 s[56:57], s[50:51]
; %bb.205:
	v_add_f32_e32 v21, v7, v21
	v_cmp_eq_u32_e64 s[50:51], 0, v13
	v_and_b32_e32 v13, 1, v13
	v_and_b32_e32 v20, 1, v20
	v_cndmask_b32_e64 v7, v7, v21, s[50:51]
	v_cmp_eq_u32_e64 s[50:51], 1, v13
	s_nop 1
	v_cndmask_b32_e64 v13, v20, 1, s[50:51]
	s_movk_i32 s50, 0xff00
	v_and_or_b32 v9, v9, s50, v13
; %bb.206:
	s_or_b64 exec, exec, s[56:57]
	v_mov_b32_dpp v21, v7 row_bcast:31 row_mask:0xf bank_mask:0xf
	v_mov_b32_dpp v20, v9 row_bcast:31 row_mask:0xf bank_mask:0xf
	v_cmp_lt_u32_e64 s[50:51], 31, v8
	s_and_saveexec_b64 s[56:57], s[50:51]
; %bb.207:
	v_add_f32_e32 v21, v7, v21
	v_cmp_eq_u32_e64 s[50:51], 0, v13
	v_and_b32_e32 v13, 1, v13
	v_and_b32_e32 v20, 1, v20
	v_cndmask_b32_e64 v7, v7, v21, s[50:51]
	v_cmp_eq_u32_e64 s[50:51], 1, v13
	s_nop 1
	v_cndmask_b32_e64 v13, v20, 1, s[50:51]
	s_movk_i32 s50, 0xff00
	v_and_or_b32 v9, v9, s50, v13
; %bb.208:
	s_or_b64 exec, exec, s[56:57]
	v_add_u32_e32 v13, -1, v8
	v_and_b32_e32 v20, 64, v8
	v_cmp_lt_i32_e64 s[50:51], v13, v20
	; wave barrier
	s_nop 1
	v_cndmask_b32_e64 v8, v13, v8, s[50:51]
	v_lshlrev_b32_e32 v8, 2, v8
	ds_bpermute_b32 v7, v8, v7
	ds_bpermute_b32 v8, v8, v9
	v_mov_b32_e32 v9, 0
	v_cmp_eq_u32_sdwa s[50:51], v3, v9 src0_sel:BYTE_0 src1_sel:DWORD
	s_waitcnt lgkmcnt(1)
	v_add_f32_e32 v7, v2, v7
	v_cndmask_b32_e64 v2, v2, v7, s[50:51]
	s_waitcnt lgkmcnt(0)
	v_and_b32_e32 v3, 1, v8
	v_cmp_eq_u32_e64 s[50:51], 1, v6
	v_cndmask_b32_e32 v6, v2, v62, vcc
	s_nop 0
	v_cndmask_b32_e64 v3, v3, 1, s[50:51]
	v_cndmask_b32_e32 v5, v3, v5, vcc
	ds_write_b32 v4, v6
	ds_write_b8 v4, v5 offset:4
	; wave barrier
	ds_read2_b32 v[2:3], v4 offset0:2 offset1:4
	ds_read_u8 v7, v4 offset:12
	ds_read_u8 v8, v4 offset:20
	ds_read_b32 v9, v4 offset:24
	ds_read_u8 v13, v4 offset:28
	s_waitcnt lgkmcnt(4)
	v_add_f32_e32 v6, v6, v2
	s_waitcnt lgkmcnt(3)
	v_cmp_eq_u16_e64 s[50:51], 0, v7
	s_nop 1
	v_cndmask_b32_e64 v2, v2, v6, s[50:51]
	v_and_b32_e32 v6, 1, v7
	v_cmp_eq_u32_e64 s[50:51], 1, v6
	v_add_f32_e32 v6, v2, v3
	s_nop 0
	v_cndmask_b32_e64 v5, v5, 1, s[50:51]
	s_waitcnt lgkmcnt(2)
	v_cmp_eq_u16_e64 s[50:51], 0, v8
	ds_write_b8 v4, v5 offset:12
	s_nop 0
	v_cndmask_b32_e64 v3, v3, v6, s[50:51]
	v_and_b32_e32 v6, 1, v8
	v_cmp_eq_u32_e64 s[50:51], 1, v6
	s_nop 1
	v_cndmask_b32_e64 v5, v5, 1, s[50:51]
	ds_write2_b32 v4, v2, v3 offset0:2 offset1:4
	ds_write_b8 v4, v5 offset:20
	s_waitcnt lgkmcnt(4)
	v_add_f32_e32 v2, v3, v9
	s_waitcnt lgkmcnt(3)
	v_cmp_eq_u16_e64 s[50:51], 0, v13
	v_and_b32_e32 v3, 1, v13
	s_nop 0
	v_cndmask_b32_e64 v2, v9, v2, s[50:51]
	v_cmp_eq_u32_e64 s[50:51], 1, v3
	s_nop 1
	v_cndmask_b32_e64 v3, v5, 1, s[50:51]
	ds_write_b32 v4, v2 offset:24
	ds_write_b8 v4, v3 offset:28
.LBB1132_209:
	s_or_b64 exec, exec, s[52:53]
	v_mov_b32_e32 v2, v62
	s_waitcnt lgkmcnt(0)
	s_barrier
	s_and_saveexec_b64 s[50:51], s[2:3]
	s_cbranch_execnz .LBB1132_287
; %bb.210:
	s_or_b64 exec, exec, s[50:51]
	s_and_saveexec_b64 s[50:51], s[2:3]
	s_cbranch_execnz .LBB1132_288
.LBB1132_211:
	s_or_b64 exec, exec, s[50:51]
	s_and_saveexec_b64 s[2:3], vcc
	s_cbranch_execz .LBB1132_213
.LBB1132_212:
	v_mov_b32_e32 v5, 0
	s_waitcnt lgkmcnt(0)
	ds_read_b32 v2, v5 offset:2096
	ds_read_u8 v3, v5 offset:2100
	s_add_u32 s4, s64, 0x400
	s_addc_u32 s5, s65, 0
	v_mov_b32_e32 v4, 2
	v_mov_b64_e32 v[6:7], s[4:5]
	s_waitcnt lgkmcnt(0)
	;;#ASMSTART
	global_store_dwordx4 v[6:7], v[2:5] off sc1	
s_waitcnt vmcnt(0)
	;;#ASMEND
.LBB1132_213:
	s_or_b64 exec, exec, s[2:3]
	v_mov_b32_e32 v63, v1
.LBB1132_214:
	s_add_u32 s2, s54, s68
	s_addc_u32 s3, s55, s69
	s_add_u32 s2, s2, s60
	s_addc_u32 s3, s3, s61
	s_and_b64 vcc, exec, s[0:1]
	s_cbranch_vccz .LBB1132_260
; %bb.215:
	s_movk_i32 s0, 0x5c
	v_mul_i32_i24_e32 v32, 0xffffffa8, v0
	v_mul_u32_u24_e32 v1, 0x5c, v0
	s_waitcnt lgkmcnt(0)
	v_mad_u32_u24 v2, v0, s0, v32
	s_barrier
	ds_write2_b32 v1, v63, v26 offset1:1
	ds_write2_b32 v1, v27, v28 offset0:2 offset1:3
	ds_write2_b32 v1, v29, v30 offset0:4 offset1:5
	;; [unrolled: 1-line block ×10, first 2 shown]
	ds_write_b32 v1, v62 offset:88
	s_waitcnt lgkmcnt(0)
	s_barrier
	ds_read2st64_b32 v[24:25], v2 offset0:4 offset1:8
	ds_read2st64_b32 v[22:23], v2 offset0:12 offset1:16
	;; [unrolled: 1-line block ×11, first 2 shown]
	s_add_i32 s33, s33, s66
	v_mov_b32_e32 v41, 0
	v_lshl_add_u64 v[4:5], s[2:3], 0, v[40:41]
	v_cmp_gt_u32_e32 vcc, s33, v0
	s_and_saveexec_b64 s[0:1], vcc
	s_cbranch_execz .LBB1132_217
; %bb.216:
	v_add_u32_e32 v1, v1, v32
	ds_read_b32 v1, v1
	s_waitcnt lgkmcnt(0)
	flat_store_dword v[4:5], v1
.LBB1132_217:
	s_or_b64 exec, exec, s[0:1]
	v_or_b32_e32 v1, 0x100, v0
	v_cmp_gt_u32_e32 vcc, s33, v1
	s_and_saveexec_b64 s[0:1], vcc
	s_cbranch_execz .LBB1132_219
; %bb.218:
	s_waitcnt lgkmcnt(0)
	flat_store_dword v[4:5], v24 offset:1024
.LBB1132_219:
	s_or_b64 exec, exec, s[0:1]
	v_or_b32_e32 v1, 0x200, v0
	v_cmp_gt_u32_e32 vcc, s33, v1
	s_and_saveexec_b64 s[0:1], vcc
	s_cbranch_execz .LBB1132_221
; %bb.220:
	s_waitcnt lgkmcnt(0)
	flat_store_dword v[4:5], v25 offset:2048
.LBB1132_221:
	;; [unrolled: 9-line block ×3, first 2 shown]
	s_or_b64 exec, exec, s[0:1]
	v_or_b32_e32 v1, 0x400, v0
	v_cmp_gt_u32_e32 vcc, s33, v1
	s_and_saveexec_b64 s[0:1], vcc
	s_cbranch_execz .LBB1132_225
; %bb.224:
	s_waitcnt lgkmcnt(0)
	v_add_co_u32_e32 v24, vcc, 0x1000, v4
	s_nop 1
	v_addc_co_u32_e32 v25, vcc, 0, v5, vcc
	flat_store_dword v[24:25], v23
.LBB1132_225:
	s_or_b64 exec, exec, s[0:1]
	v_or_b32_e32 v1, 0x500, v0
	v_cmp_gt_u32_e32 vcc, s33, v1
	s_and_saveexec_b64 s[0:1], vcc
	s_cbranch_execz .LBB1132_227
; %bb.226:
	s_waitcnt lgkmcnt(0)
	v_add_co_u32_e32 v22, vcc, 0x1000, v4
	s_nop 1
	v_addc_co_u32_e32 v23, vcc, 0, v5, vcc
	flat_store_dword v[22:23], v20 offset:1024
.LBB1132_227:
	s_or_b64 exec, exec, s[0:1]
	v_or_b32_e32 v1, 0x600, v0
	v_cmp_gt_u32_e32 vcc, s33, v1
	s_and_saveexec_b64 s[0:1], vcc
	s_cbranch_execz .LBB1132_229
; %bb.228:
	s_waitcnt lgkmcnt(0)
	v_add_co_u32_e32 v22, vcc, 0x1000, v4
	s_nop 1
	v_addc_co_u32_e32 v23, vcc, 0, v5, vcc
	flat_store_dword v[22:23], v21 offset:2048
.LBB1132_229:
	s_or_b64 exec, exec, s[0:1]
	v_or_b32_e32 v1, 0x700, v0
	v_cmp_gt_u32_e32 vcc, s33, v1
	s_and_saveexec_b64 s[0:1], vcc
	s_cbranch_execz .LBB1132_231
; %bb.230:
	s_waitcnt lgkmcnt(0)
	v_add_co_u32_e32 v20, vcc, 0x1000, v4
	s_nop 1
	v_addc_co_u32_e32 v21, vcc, 0, v5, vcc
	flat_store_dword v[20:21], v18 offset:3072
.LBB1132_231:
	s_or_b64 exec, exec, s[0:1]
	v_or_b32_e32 v1, 0x800, v0
	v_cmp_gt_u32_e32 vcc, s33, v1
	s_and_saveexec_b64 s[0:1], vcc
	s_cbranch_execz .LBB1132_233
; %bb.232:
	s_waitcnt lgkmcnt(0)
	v_add_co_u32_e32 v20, vcc, 0x2000, v4
	s_nop 1
	v_addc_co_u32_e32 v21, vcc, 0, v5, vcc
	flat_store_dword v[20:21], v19
.LBB1132_233:
	s_or_b64 exec, exec, s[0:1]
	v_or_b32_e32 v1, 0x900, v0
	v_cmp_gt_u32_e32 vcc, s33, v1
	s_and_saveexec_b64 s[0:1], vcc
	s_cbranch_execz .LBB1132_235
; %bb.234:
	s_waitcnt lgkmcnt(0)
	v_add_co_u32_e32 v18, vcc, 0x2000, v4
	s_nop 1
	v_addc_co_u32_e32 v19, vcc, 0, v5, vcc
	flat_store_dword v[18:19], v16 offset:1024
.LBB1132_235:
	s_or_b64 exec, exec, s[0:1]
	v_or_b32_e32 v1, 0xa00, v0
	v_cmp_gt_u32_e32 vcc, s33, v1
	s_and_saveexec_b64 s[0:1], vcc
	s_cbranch_execz .LBB1132_237
; %bb.236:
	s_waitcnt lgkmcnt(0)
	v_add_co_u32_e32 v18, vcc, 0x2000, v4
	s_nop 1
	v_addc_co_u32_e32 v19, vcc, 0, v5, vcc
	flat_store_dword v[18:19], v17 offset:2048
.LBB1132_237:
	s_or_b64 exec, exec, s[0:1]
	v_or_b32_e32 v1, 0xb00, v0
	v_cmp_gt_u32_e32 vcc, s33, v1
	s_and_saveexec_b64 s[0:1], vcc
	s_cbranch_execz .LBB1132_239
; %bb.238:
	s_waitcnt lgkmcnt(0)
	v_add_co_u32_e32 v16, vcc, 0x2000, v4
	s_nop 1
	v_addc_co_u32_e32 v17, vcc, 0, v5, vcc
	flat_store_dword v[16:17], v14 offset:3072
.LBB1132_239:
	;; [unrolled: 48-line block ×4, first 2 shown]
	s_or_b64 exec, exec, s[0:1]
	v_or_b32_e32 v1, 0x1400, v0
	v_cmp_gt_u32_e32 vcc, s33, v1
	s_and_saveexec_b64 s[0:1], vcc
	s_cbranch_execz .LBB1132_257
; %bb.256:
	s_waitcnt lgkmcnt(0)
	v_add_co_u32_e32 v8, vcc, 0x5000, v4
	s_nop 1
	v_addc_co_u32_e32 v9, vcc, 0, v5, vcc
	flat_store_dword v[8:9], v7
.LBB1132_257:
	s_or_b64 exec, exec, s[0:1]
	v_or_b32_e32 v1, 0x1500, v0
	v_cmp_gt_u32_e32 vcc, s33, v1
	s_and_saveexec_b64 s[0:1], vcc
	s_cbranch_execz .LBB1132_259
; %bb.258:
	v_add_co_u32_e32 v4, vcc, 0x5000, v4
	s_nop 1
	v_addc_co_u32_e32 v5, vcc, 0, v5, vcc
	s_waitcnt lgkmcnt(0)
	flat_store_dword v[4:5], v2 offset:1024
.LBB1132_259:
	s_or_b64 exec, exec, s[0:1]
	s_waitcnt lgkmcnt(0)
	v_or_b32_e32 v2, 0x1600, v0
	v_mov_b32_e32 v1, v41
	v_cmp_gt_u32_e64 s[0:1], s33, v2
	s_branch .LBB1132_262
.LBB1132_260:
	s_mov_b64 s[0:1], 0
                                        ; implicit-def: $vgpr3
	s_cbranch_execz .LBB1132_262
; %bb.261:
	v_mul_u32_u24_e32 v1, 0x5c, v0
	s_waitcnt lgkmcnt(0)
	s_barrier
	s_movk_i32 s4, 0x5c
	ds_write2_b32 v1, v63, v26 offset1:1
	ds_write2_b32 v1, v27, v28 offset0:2 offset1:3
	ds_write2_b32 v1, v29, v30 offset0:4 offset1:5
	;; [unrolled: 1-line block ×10, first 2 shown]
	ds_write_b32 v1, v62 offset:88
	v_mov_b32_e32 v1, 0
	v_mul_i32_i24_e32 v2, 0xffffffa8, v0
	v_mad_u32_u24 v2, v0, s4, v2
	v_mov_b32_e32 v41, v1
	s_waitcnt lgkmcnt(0)
	s_barrier
	ds_read2st64_b32 v[4:5], v2 offset1:4
	ds_read2st64_b32 v[6:7], v2 offset0:8 offset1:12
	ds_read2st64_b32 v[8:9], v2 offset0:16 offset1:20
	;; [unrolled: 1-line block ×10, first 2 shown]
	ds_read_b32 v3, v2 offset:22528
	v_lshl_add_u64 v[26:27], s[2:3], 0, v[40:41]
	s_movk_i32 s4, 0x1000
	s_waitcnt lgkmcnt(0)
	flat_store_dword v[26:27], v4
	flat_store_dword v[26:27], v5 offset:1024
	flat_store_dword v[26:27], v6 offset:2048
	;; [unrolled: 1-line block ×3, first 2 shown]
	v_add_co_u32_e32 v4, vcc, s4, v26
	s_movk_i32 s4, 0x2000
	s_nop 0
	v_addc_co_u32_e32 v5, vcc, 0, v27, vcc
	flat_store_dword v[4:5], v8
	flat_store_dword v[4:5], v9 offset:1024
	flat_store_dword v[4:5], v10 offset:2048
	;; [unrolled: 1-line block ×3, first 2 shown]
	v_add_co_u32_e32 v4, vcc, s4, v26
	s_movk_i32 s4, 0x3000
	s_nop 0
	v_addc_co_u32_e32 v5, vcc, 0, v27, vcc
	flat_store_dword v[4:5], v12
	flat_store_dword v[4:5], v13 offset:1024
	flat_store_dword v[4:5], v14 offset:2048
	;; [unrolled: 1-line block ×3, first 2 shown]
	v_add_co_u32_e32 v4, vcc, s4, v26
	s_or_b64 s[0:1], s[0:1], exec
	s_nop 0
	v_addc_co_u32_e32 v5, vcc, 0, v27, vcc
	flat_store_dword v[4:5], v16
	flat_store_dword v[4:5], v17 offset:1024
	flat_store_dword v[4:5], v18 offset:2048
	;; [unrolled: 1-line block ×3, first 2 shown]
	v_add_co_u32_e32 v4, vcc, 0x4000, v26
	s_nop 1
	v_addc_co_u32_e32 v5, vcc, 0, v27, vcc
	flat_store_dword v[4:5], v20
	flat_store_dword v[4:5], v21 offset:1024
	flat_store_dword v[4:5], v22 offset:2048
	;; [unrolled: 1-line block ×3, first 2 shown]
	v_add_co_u32_e32 v4, vcc, 0x5000, v26
	s_nop 1
	v_addc_co_u32_e32 v5, vcc, 0, v27, vcc
	flat_store_dword v[4:5], v24
	flat_store_dword v[4:5], v25 offset:1024
.LBB1132_262:
	s_and_saveexec_b64 s[4:5], s[0:1]
	s_cbranch_execnz .LBB1132_264
; %bb.263:
	s_endpgm
.LBB1132_264:
	v_lshl_add_u64 v[0:1], v[0:1], 2, s[2:3]
	v_add_co_u32_e32 v0, vcc, 0x5000, v0
	s_nop 1
	v_addc_co_u32_e32 v1, vcc, 0, v1, vcc
	flat_store_dword v[0:1], v3 offset:2048
	s_endpgm
.LBB1132_265:
	v_lshl_add_u64 v[44:45], s[52:53], 0, v[38:39]
	flat_load_dword v1, v[44:45]
	s_or_b64 exec, exec, s[56:57]
                                        ; implicit-def: $vgpr44
	s_and_saveexec_b64 s[50:51], s[4:5]
	s_cbranch_execz .LBB1132_55
.LBB1132_266:
	v_mov_b32_e32 v39, 0
	v_lshl_add_u64 v[44:45], s[52:53], 0, v[38:39]
	flat_load_dword v44, v[44:45] offset:1024
	s_or_b64 exec, exec, s[50:51]
                                        ; implicit-def: $vgpr45
	s_and_saveexec_b64 s[4:5], s[6:7]
	s_cbranch_execz .LBB1132_56
.LBB1132_267:
	v_mov_b32_e32 v39, 0
	v_lshl_add_u64 v[66:67], s[52:53], 0, v[38:39]
	flat_load_dword v45, v[66:67] offset:2048
	s_or_b64 exec, exec, s[4:5]
                                        ; implicit-def: $vgpr39
	s_and_saveexec_b64 s[4:5], s[8:9]
	s_cbranch_execz .LBB1132_57
.LBB1132_268:
	v_mov_b32_e32 v39, 0
	v_lshl_add_u64 v[66:67], s[52:53], 0, v[38:39]
	flat_load_dword v39, v[66:67] offset:3072
	s_or_b64 exec, exec, s[4:5]
                                        ; implicit-def: $vgpr3
	s_and_saveexec_b64 s[4:5], s[10:11]
	s_cbranch_execz .LBB1132_58
.LBB1132_269:
	v_mov_b32_e32 v3, 0
	v_lshl_add_u64 v[2:3], s[52:53], 0, v[2:3]
	flat_load_dword v3, v[2:3]
	s_or_b64 exec, exec, s[4:5]
                                        ; implicit-def: $vgpr2
	s_and_saveexec_b64 s[4:5], s[12:13]
	s_cbranch_execz .LBB1132_59
.LBB1132_270:
	v_mov_b32_e32 v5, 0
	v_lshl_add_u64 v[4:5], s[52:53], 0, v[4:5]
	flat_load_dword v2, v[4:5]
	s_or_b64 exec, exec, s[4:5]
                                        ; implicit-def: $vgpr4
	s_and_saveexec_b64 s[4:5], s[14:15]
	s_cbranch_execz .LBB1132_60
.LBB1132_271:
	v_mov_b32_e32 v7, 0
	v_lshl_add_u64 v[4:5], s[52:53], 0, v[6:7]
	flat_load_dword v4, v[4:5]
	s_or_b64 exec, exec, s[4:5]
                                        ; implicit-def: $vgpr5
	s_and_saveexec_b64 s[4:5], s[16:17]
	s_cbranch_execz .LBB1132_61
.LBB1132_272:
	v_mov_b32_e32 v9, 0
	v_lshl_add_u64 v[6:7], s[52:53], 0, v[8:9]
	flat_load_dword v5, v[6:7]
	s_or_b64 exec, exec, s[4:5]
                                        ; implicit-def: $vgpr6
	s_and_saveexec_b64 s[4:5], s[18:19]
	s_cbranch_execz .LBB1132_62
.LBB1132_273:
	v_mov_b32_e32 v11, 0
	v_lshl_add_u64 v[6:7], s[52:53], 0, v[10:11]
	flat_load_dword v6, v[6:7]
	s_or_b64 exec, exec, s[4:5]
                                        ; implicit-def: $vgpr7
	s_and_saveexec_b64 s[4:5], s[20:21]
	s_cbranch_execz .LBB1132_63
.LBB1132_274:
	v_mov_b32_e32 v13, 0
	v_lshl_add_u64 v[8:9], s[52:53], 0, v[12:13]
	flat_load_dword v7, v[8:9]
	s_or_b64 exec, exec, s[4:5]
                                        ; implicit-def: $vgpr8
	s_and_saveexec_b64 s[4:5], s[22:23]
	s_cbranch_execz .LBB1132_64
.LBB1132_275:
	v_mov_b32_e32 v15, 0
	v_lshl_add_u64 v[8:9], s[52:53], 0, v[14:15]
	flat_load_dword v8, v[8:9]
	s_or_b64 exec, exec, s[4:5]
                                        ; implicit-def: $vgpr9
	s_and_saveexec_b64 s[4:5], s[24:25]
	s_cbranch_execz .LBB1132_65
.LBB1132_276:
	v_mov_b32_e32 v17, 0
	v_lshl_add_u64 v[10:11], s[52:53], 0, v[16:17]
	flat_load_dword v9, v[10:11]
	s_or_b64 exec, exec, s[4:5]
                                        ; implicit-def: $vgpr10
	s_and_saveexec_b64 s[4:5], s[26:27]
	s_cbranch_execz .LBB1132_66
.LBB1132_277:
	v_mov_b32_e32 v19, 0
	v_lshl_add_u64 v[10:11], s[52:53], 0, v[18:19]
	flat_load_dword v10, v[10:11]
	s_or_b64 exec, exec, s[4:5]
                                        ; implicit-def: $vgpr11
	s_and_saveexec_b64 s[4:5], s[28:29]
	s_cbranch_execz .LBB1132_67
.LBB1132_278:
	v_mov_b32_e32 v21, 0
	v_lshl_add_u64 v[12:13], s[52:53], 0, v[20:21]
	flat_load_dword v11, v[12:13]
	s_or_b64 exec, exec, s[4:5]
                                        ; implicit-def: $vgpr12
	s_and_saveexec_b64 s[4:5], s[30:31]
	s_cbranch_execz .LBB1132_68
.LBB1132_279:
	v_mov_b32_e32 v23, 0
	v_lshl_add_u64 v[12:13], s[52:53], 0, v[22:23]
	flat_load_dword v12, v[12:13]
	s_or_b64 exec, exec, s[4:5]
                                        ; implicit-def: $vgpr13
	s_and_saveexec_b64 s[4:5], s[34:35]
	s_cbranch_execz .LBB1132_69
.LBB1132_280:
	v_mov_b32_e32 v25, 0
	v_lshl_add_u64 v[14:15], s[52:53], 0, v[24:25]
	flat_load_dword v13, v[14:15]
	s_or_b64 exec, exec, s[4:5]
                                        ; implicit-def: $vgpr14
	s_and_saveexec_b64 s[4:5], s[36:37]
	s_cbranch_execz .LBB1132_70
.LBB1132_281:
	v_mov_b32_e32 v27, 0
	v_lshl_add_u64 v[14:15], s[52:53], 0, v[26:27]
	flat_load_dword v14, v[14:15]
	s_or_b64 exec, exec, s[4:5]
                                        ; implicit-def: $vgpr15
	s_and_saveexec_b64 s[4:5], s[38:39]
	s_cbranch_execz .LBB1132_71
.LBB1132_282:
	v_mov_b32_e32 v29, 0
	v_lshl_add_u64 v[16:17], s[52:53], 0, v[28:29]
	flat_load_dword v15, v[16:17]
	s_or_b64 exec, exec, s[4:5]
                                        ; implicit-def: $vgpr16
	s_and_saveexec_b64 s[4:5], s[40:41]
	s_cbranch_execz .LBB1132_72
.LBB1132_283:
	v_mov_b32_e32 v31, 0
	v_lshl_add_u64 v[16:17], s[52:53], 0, v[30:31]
	flat_load_dword v16, v[16:17]
	s_or_b64 exec, exec, s[4:5]
                                        ; implicit-def: $vgpr17
	s_and_saveexec_b64 s[4:5], s[42:43]
	s_cbranch_execz .LBB1132_73
.LBB1132_284:
	v_mov_b32_e32 v33, 0
	v_lshl_add_u64 v[18:19], s[52:53], 0, v[32:33]
	flat_load_dword v17, v[18:19]
	s_or_b64 exec, exec, s[4:5]
                                        ; implicit-def: $vgpr18
	s_and_saveexec_b64 s[4:5], s[44:45]
	s_cbranch_execz .LBB1132_74
.LBB1132_285:
	v_mov_b32_e32 v35, 0
	v_lshl_add_u64 v[18:19], s[52:53], 0, v[34:35]
	flat_load_dword v18, v[18:19]
	s_or_b64 exec, exec, s[4:5]
                                        ; implicit-def: $vgpr19
	s_and_saveexec_b64 s[4:5], s[46:47]
	s_cbranch_execz .LBB1132_75
.LBB1132_286:
	v_mov_b32_e32 v37, 0
	v_lshl_add_u64 v[20:21], s[52:53], 0, v[36:37]
	flat_load_dword v19, v[20:21]
	s_or_b64 exec, exec, s[4:5]
                                        ; implicit-def: $vgpr20
	s_and_saveexec_b64 s[4:5], s[48:49]
	s_cbranch_execnz .LBB1132_76
	s_branch .LBB1132_77
.LBB1132_287:
	v_add_u32_e32 v2, -1, v0
	v_lshrrev_b32_e32 v3, 5, v2
	v_add_lshl_u32 v2, v3, v2, 3
	ds_read_b32 v2, v2
	s_or_b64 exec, exec, s[50:51]
	s_and_saveexec_b64 s[50:51], s[2:3]
	s_cbranch_execz .LBB1132_211
.LBB1132_288:
	v_mov_b32_e32 v3, 0
	s_waitcnt lgkmcnt(0)
	v_add_f32_e32 v2, v1, v2
	v_cmp_eq_u16_sdwa s[2:3], v66, v3 src0_sel:BYTE_0 src1_sel:DWORD
	;;#ASMSTART
	;;#ASMEND
	s_nop 1
	v_cndmask_b32_e64 v1, v1, v2, s[2:3]
	v_add_f32_e32 v2, v44, v1
	v_cndmask_b32_e64 v26, v44, v2, s[4:5]
	v_add_f32_e32 v2, v45, v26
	;; [unrolled: 2-line block ×22, first 2 shown]
	v_cndmask_b32_e64 v62, v41, v2, s[48:49]
	s_or_b64 exec, exec, s[50:51]
	s_and_saveexec_b64 s[2:3], vcc
	s_cbranch_execnz .LBB1132_212
	s_branch .LBB1132_213
.LBB1132_289:
                                        ; implicit-def: $sgpr56_sgpr57
	s_branch .LBB1132_50
.LBB1132_290:
                                        ; implicit-def: $sgpr4_sgpr5
	s_branch .LBB1132_126
	.section	.rodata,"a",@progbits
	.p2align	6, 0x0
	.amdhsa_kernel _ZN7rocprim17ROCPRIM_400000_NS6detail17trampoline_kernelINS0_14default_configENS1_27scan_by_key_config_selectorIifEEZZNS1_16scan_by_key_implILNS1_25lookback_scan_determinismE0ELb0ES3_N6thrust23THRUST_200600_302600_NS6detail15normal_iteratorINS9_10device_ptrIiEEEENSB_INSC_IfEEEESG_fNS9_4plusIvEENS9_8equal_toIvEEfEE10hipError_tPvRmT2_T3_T4_T5_mT6_T7_P12ihipStream_tbENKUlT_T0_E_clISt17integral_constantIbLb0EES11_EEDaSW_SX_EUlSW_E_NS1_11comp_targetILNS1_3genE5ELNS1_11target_archE942ELNS1_3gpuE9ELNS1_3repE0EEENS1_30default_config_static_selectorELNS0_4arch9wavefront6targetE1EEEvT1_
		.amdhsa_group_segment_fixed_size 25600
		.amdhsa_private_segment_fixed_size 0
		.amdhsa_kernarg_size 112
		.amdhsa_user_sgpr_count 2
		.amdhsa_user_sgpr_dispatch_ptr 0
		.amdhsa_user_sgpr_queue_ptr 0
		.amdhsa_user_sgpr_kernarg_segment_ptr 1
		.amdhsa_user_sgpr_dispatch_id 0
		.amdhsa_user_sgpr_kernarg_preload_length 0
		.amdhsa_user_sgpr_kernarg_preload_offset 0
		.amdhsa_user_sgpr_private_segment_size 0
		.amdhsa_uses_dynamic_stack 0
		.amdhsa_enable_private_segment 0
		.amdhsa_system_sgpr_workgroup_id_x 1
		.amdhsa_system_sgpr_workgroup_id_y 0
		.amdhsa_system_sgpr_workgroup_id_z 0
		.amdhsa_system_sgpr_workgroup_info 0
		.amdhsa_system_vgpr_workitem_id 0
		.amdhsa_next_free_vgpr 92
		.amdhsa_next_free_sgpr 84
		.amdhsa_accum_offset 92
		.amdhsa_reserve_vcc 1
		.amdhsa_float_round_mode_32 0
		.amdhsa_float_round_mode_16_64 0
		.amdhsa_float_denorm_mode_32 3
		.amdhsa_float_denorm_mode_16_64 3
		.amdhsa_dx10_clamp 1
		.amdhsa_ieee_mode 1
		.amdhsa_fp16_overflow 0
		.amdhsa_tg_split 0
		.amdhsa_exception_fp_ieee_invalid_op 0
		.amdhsa_exception_fp_denorm_src 0
		.amdhsa_exception_fp_ieee_div_zero 0
		.amdhsa_exception_fp_ieee_overflow 0
		.amdhsa_exception_fp_ieee_underflow 0
		.amdhsa_exception_fp_ieee_inexact 0
		.amdhsa_exception_int_div_zero 0
	.end_amdhsa_kernel
	.section	.text._ZN7rocprim17ROCPRIM_400000_NS6detail17trampoline_kernelINS0_14default_configENS1_27scan_by_key_config_selectorIifEEZZNS1_16scan_by_key_implILNS1_25lookback_scan_determinismE0ELb0ES3_N6thrust23THRUST_200600_302600_NS6detail15normal_iteratorINS9_10device_ptrIiEEEENSB_INSC_IfEEEESG_fNS9_4plusIvEENS9_8equal_toIvEEfEE10hipError_tPvRmT2_T3_T4_T5_mT6_T7_P12ihipStream_tbENKUlT_T0_E_clISt17integral_constantIbLb0EES11_EEDaSW_SX_EUlSW_E_NS1_11comp_targetILNS1_3genE5ELNS1_11target_archE942ELNS1_3gpuE9ELNS1_3repE0EEENS1_30default_config_static_selectorELNS0_4arch9wavefront6targetE1EEEvT1_,"axG",@progbits,_ZN7rocprim17ROCPRIM_400000_NS6detail17trampoline_kernelINS0_14default_configENS1_27scan_by_key_config_selectorIifEEZZNS1_16scan_by_key_implILNS1_25lookback_scan_determinismE0ELb0ES3_N6thrust23THRUST_200600_302600_NS6detail15normal_iteratorINS9_10device_ptrIiEEEENSB_INSC_IfEEEESG_fNS9_4plusIvEENS9_8equal_toIvEEfEE10hipError_tPvRmT2_T3_T4_T5_mT6_T7_P12ihipStream_tbENKUlT_T0_E_clISt17integral_constantIbLb0EES11_EEDaSW_SX_EUlSW_E_NS1_11comp_targetILNS1_3genE5ELNS1_11target_archE942ELNS1_3gpuE9ELNS1_3repE0EEENS1_30default_config_static_selectorELNS0_4arch9wavefront6targetE1EEEvT1_,comdat
.Lfunc_end1132:
	.size	_ZN7rocprim17ROCPRIM_400000_NS6detail17trampoline_kernelINS0_14default_configENS1_27scan_by_key_config_selectorIifEEZZNS1_16scan_by_key_implILNS1_25lookback_scan_determinismE0ELb0ES3_N6thrust23THRUST_200600_302600_NS6detail15normal_iteratorINS9_10device_ptrIiEEEENSB_INSC_IfEEEESG_fNS9_4plusIvEENS9_8equal_toIvEEfEE10hipError_tPvRmT2_T3_T4_T5_mT6_T7_P12ihipStream_tbENKUlT_T0_E_clISt17integral_constantIbLb0EES11_EEDaSW_SX_EUlSW_E_NS1_11comp_targetILNS1_3genE5ELNS1_11target_archE942ELNS1_3gpuE9ELNS1_3repE0EEENS1_30default_config_static_selectorELNS0_4arch9wavefront6targetE1EEEvT1_, .Lfunc_end1132-_ZN7rocprim17ROCPRIM_400000_NS6detail17trampoline_kernelINS0_14default_configENS1_27scan_by_key_config_selectorIifEEZZNS1_16scan_by_key_implILNS1_25lookback_scan_determinismE0ELb0ES3_N6thrust23THRUST_200600_302600_NS6detail15normal_iteratorINS9_10device_ptrIiEEEENSB_INSC_IfEEEESG_fNS9_4plusIvEENS9_8equal_toIvEEfEE10hipError_tPvRmT2_T3_T4_T5_mT6_T7_P12ihipStream_tbENKUlT_T0_E_clISt17integral_constantIbLb0EES11_EEDaSW_SX_EUlSW_E_NS1_11comp_targetILNS1_3genE5ELNS1_11target_archE942ELNS1_3gpuE9ELNS1_3repE0EEENS1_30default_config_static_selectorELNS0_4arch9wavefront6targetE1EEEvT1_
                                        ; -- End function
	.section	.AMDGPU.csdata,"",@progbits
; Kernel info:
; codeLenInByte = 15972
; NumSgprs: 90
; NumVgprs: 92
; NumAgprs: 0
; TotalNumVgprs: 92
; ScratchSize: 0
; MemoryBound: 0
; FloatMode: 240
; IeeeMode: 1
; LDSByteSize: 25600 bytes/workgroup (compile time only)
; SGPRBlocks: 11
; VGPRBlocks: 11
; NumSGPRsForWavesPerEU: 90
; NumVGPRsForWavesPerEU: 92
; AccumOffset: 92
; Occupancy: 2
; WaveLimiterHint : 1
; COMPUTE_PGM_RSRC2:SCRATCH_EN: 0
; COMPUTE_PGM_RSRC2:USER_SGPR: 2
; COMPUTE_PGM_RSRC2:TRAP_HANDLER: 0
; COMPUTE_PGM_RSRC2:TGID_X_EN: 1
; COMPUTE_PGM_RSRC2:TGID_Y_EN: 0
; COMPUTE_PGM_RSRC2:TGID_Z_EN: 0
; COMPUTE_PGM_RSRC2:TIDIG_COMP_CNT: 0
; COMPUTE_PGM_RSRC3_GFX90A:ACCUM_OFFSET: 22
; COMPUTE_PGM_RSRC3_GFX90A:TG_SPLIT: 0
	.section	.text._ZN7rocprim17ROCPRIM_400000_NS6detail17trampoline_kernelINS0_14default_configENS1_27scan_by_key_config_selectorIifEEZZNS1_16scan_by_key_implILNS1_25lookback_scan_determinismE0ELb0ES3_N6thrust23THRUST_200600_302600_NS6detail15normal_iteratorINS9_10device_ptrIiEEEENSB_INSC_IfEEEESG_fNS9_4plusIvEENS9_8equal_toIvEEfEE10hipError_tPvRmT2_T3_T4_T5_mT6_T7_P12ihipStream_tbENKUlT_T0_E_clISt17integral_constantIbLb0EES11_EEDaSW_SX_EUlSW_E_NS1_11comp_targetILNS1_3genE4ELNS1_11target_archE910ELNS1_3gpuE8ELNS1_3repE0EEENS1_30default_config_static_selectorELNS0_4arch9wavefront6targetE1EEEvT1_,"axG",@progbits,_ZN7rocprim17ROCPRIM_400000_NS6detail17trampoline_kernelINS0_14default_configENS1_27scan_by_key_config_selectorIifEEZZNS1_16scan_by_key_implILNS1_25lookback_scan_determinismE0ELb0ES3_N6thrust23THRUST_200600_302600_NS6detail15normal_iteratorINS9_10device_ptrIiEEEENSB_INSC_IfEEEESG_fNS9_4plusIvEENS9_8equal_toIvEEfEE10hipError_tPvRmT2_T3_T4_T5_mT6_T7_P12ihipStream_tbENKUlT_T0_E_clISt17integral_constantIbLb0EES11_EEDaSW_SX_EUlSW_E_NS1_11comp_targetILNS1_3genE4ELNS1_11target_archE910ELNS1_3gpuE8ELNS1_3repE0EEENS1_30default_config_static_selectorELNS0_4arch9wavefront6targetE1EEEvT1_,comdat
	.protected	_ZN7rocprim17ROCPRIM_400000_NS6detail17trampoline_kernelINS0_14default_configENS1_27scan_by_key_config_selectorIifEEZZNS1_16scan_by_key_implILNS1_25lookback_scan_determinismE0ELb0ES3_N6thrust23THRUST_200600_302600_NS6detail15normal_iteratorINS9_10device_ptrIiEEEENSB_INSC_IfEEEESG_fNS9_4plusIvEENS9_8equal_toIvEEfEE10hipError_tPvRmT2_T3_T4_T5_mT6_T7_P12ihipStream_tbENKUlT_T0_E_clISt17integral_constantIbLb0EES11_EEDaSW_SX_EUlSW_E_NS1_11comp_targetILNS1_3genE4ELNS1_11target_archE910ELNS1_3gpuE8ELNS1_3repE0EEENS1_30default_config_static_selectorELNS0_4arch9wavefront6targetE1EEEvT1_ ; -- Begin function _ZN7rocprim17ROCPRIM_400000_NS6detail17trampoline_kernelINS0_14default_configENS1_27scan_by_key_config_selectorIifEEZZNS1_16scan_by_key_implILNS1_25lookback_scan_determinismE0ELb0ES3_N6thrust23THRUST_200600_302600_NS6detail15normal_iteratorINS9_10device_ptrIiEEEENSB_INSC_IfEEEESG_fNS9_4plusIvEENS9_8equal_toIvEEfEE10hipError_tPvRmT2_T3_T4_T5_mT6_T7_P12ihipStream_tbENKUlT_T0_E_clISt17integral_constantIbLb0EES11_EEDaSW_SX_EUlSW_E_NS1_11comp_targetILNS1_3genE4ELNS1_11target_archE910ELNS1_3gpuE8ELNS1_3repE0EEENS1_30default_config_static_selectorELNS0_4arch9wavefront6targetE1EEEvT1_
	.globl	_ZN7rocprim17ROCPRIM_400000_NS6detail17trampoline_kernelINS0_14default_configENS1_27scan_by_key_config_selectorIifEEZZNS1_16scan_by_key_implILNS1_25lookback_scan_determinismE0ELb0ES3_N6thrust23THRUST_200600_302600_NS6detail15normal_iteratorINS9_10device_ptrIiEEEENSB_INSC_IfEEEESG_fNS9_4plusIvEENS9_8equal_toIvEEfEE10hipError_tPvRmT2_T3_T4_T5_mT6_T7_P12ihipStream_tbENKUlT_T0_E_clISt17integral_constantIbLb0EES11_EEDaSW_SX_EUlSW_E_NS1_11comp_targetILNS1_3genE4ELNS1_11target_archE910ELNS1_3gpuE8ELNS1_3repE0EEENS1_30default_config_static_selectorELNS0_4arch9wavefront6targetE1EEEvT1_
	.p2align	8
	.type	_ZN7rocprim17ROCPRIM_400000_NS6detail17trampoline_kernelINS0_14default_configENS1_27scan_by_key_config_selectorIifEEZZNS1_16scan_by_key_implILNS1_25lookback_scan_determinismE0ELb0ES3_N6thrust23THRUST_200600_302600_NS6detail15normal_iteratorINS9_10device_ptrIiEEEENSB_INSC_IfEEEESG_fNS9_4plusIvEENS9_8equal_toIvEEfEE10hipError_tPvRmT2_T3_T4_T5_mT6_T7_P12ihipStream_tbENKUlT_T0_E_clISt17integral_constantIbLb0EES11_EEDaSW_SX_EUlSW_E_NS1_11comp_targetILNS1_3genE4ELNS1_11target_archE910ELNS1_3gpuE8ELNS1_3repE0EEENS1_30default_config_static_selectorELNS0_4arch9wavefront6targetE1EEEvT1_,@function
_ZN7rocprim17ROCPRIM_400000_NS6detail17trampoline_kernelINS0_14default_configENS1_27scan_by_key_config_selectorIifEEZZNS1_16scan_by_key_implILNS1_25lookback_scan_determinismE0ELb0ES3_N6thrust23THRUST_200600_302600_NS6detail15normal_iteratorINS9_10device_ptrIiEEEENSB_INSC_IfEEEESG_fNS9_4plusIvEENS9_8equal_toIvEEfEE10hipError_tPvRmT2_T3_T4_T5_mT6_T7_P12ihipStream_tbENKUlT_T0_E_clISt17integral_constantIbLb0EES11_EEDaSW_SX_EUlSW_E_NS1_11comp_targetILNS1_3genE4ELNS1_11target_archE910ELNS1_3gpuE8ELNS1_3repE0EEENS1_30default_config_static_selectorELNS0_4arch9wavefront6targetE1EEEvT1_: ; @_ZN7rocprim17ROCPRIM_400000_NS6detail17trampoline_kernelINS0_14default_configENS1_27scan_by_key_config_selectorIifEEZZNS1_16scan_by_key_implILNS1_25lookback_scan_determinismE0ELb0ES3_N6thrust23THRUST_200600_302600_NS6detail15normal_iteratorINS9_10device_ptrIiEEEENSB_INSC_IfEEEESG_fNS9_4plusIvEENS9_8equal_toIvEEfEE10hipError_tPvRmT2_T3_T4_T5_mT6_T7_P12ihipStream_tbENKUlT_T0_E_clISt17integral_constantIbLb0EES11_EEDaSW_SX_EUlSW_E_NS1_11comp_targetILNS1_3genE4ELNS1_11target_archE910ELNS1_3gpuE8ELNS1_3repE0EEENS1_30default_config_static_selectorELNS0_4arch9wavefront6targetE1EEEvT1_
; %bb.0:
	.section	.rodata,"a",@progbits
	.p2align	6, 0x0
	.amdhsa_kernel _ZN7rocprim17ROCPRIM_400000_NS6detail17trampoline_kernelINS0_14default_configENS1_27scan_by_key_config_selectorIifEEZZNS1_16scan_by_key_implILNS1_25lookback_scan_determinismE0ELb0ES3_N6thrust23THRUST_200600_302600_NS6detail15normal_iteratorINS9_10device_ptrIiEEEENSB_INSC_IfEEEESG_fNS9_4plusIvEENS9_8equal_toIvEEfEE10hipError_tPvRmT2_T3_T4_T5_mT6_T7_P12ihipStream_tbENKUlT_T0_E_clISt17integral_constantIbLb0EES11_EEDaSW_SX_EUlSW_E_NS1_11comp_targetILNS1_3genE4ELNS1_11target_archE910ELNS1_3gpuE8ELNS1_3repE0EEENS1_30default_config_static_selectorELNS0_4arch9wavefront6targetE1EEEvT1_
		.amdhsa_group_segment_fixed_size 0
		.amdhsa_private_segment_fixed_size 0
		.amdhsa_kernarg_size 112
		.amdhsa_user_sgpr_count 2
		.amdhsa_user_sgpr_dispatch_ptr 0
		.amdhsa_user_sgpr_queue_ptr 0
		.amdhsa_user_sgpr_kernarg_segment_ptr 1
		.amdhsa_user_sgpr_dispatch_id 0
		.amdhsa_user_sgpr_kernarg_preload_length 0
		.amdhsa_user_sgpr_kernarg_preload_offset 0
		.amdhsa_user_sgpr_private_segment_size 0
		.amdhsa_uses_dynamic_stack 0
		.amdhsa_enable_private_segment 0
		.amdhsa_system_sgpr_workgroup_id_x 1
		.amdhsa_system_sgpr_workgroup_id_y 0
		.amdhsa_system_sgpr_workgroup_id_z 0
		.amdhsa_system_sgpr_workgroup_info 0
		.amdhsa_system_vgpr_workitem_id 0
		.amdhsa_next_free_vgpr 1
		.amdhsa_next_free_sgpr 0
		.amdhsa_accum_offset 4
		.amdhsa_reserve_vcc 0
		.amdhsa_float_round_mode_32 0
		.amdhsa_float_round_mode_16_64 0
		.amdhsa_float_denorm_mode_32 3
		.amdhsa_float_denorm_mode_16_64 3
		.amdhsa_dx10_clamp 1
		.amdhsa_ieee_mode 1
		.amdhsa_fp16_overflow 0
		.amdhsa_tg_split 0
		.amdhsa_exception_fp_ieee_invalid_op 0
		.amdhsa_exception_fp_denorm_src 0
		.amdhsa_exception_fp_ieee_div_zero 0
		.amdhsa_exception_fp_ieee_overflow 0
		.amdhsa_exception_fp_ieee_underflow 0
		.amdhsa_exception_fp_ieee_inexact 0
		.amdhsa_exception_int_div_zero 0
	.end_amdhsa_kernel
	.section	.text._ZN7rocprim17ROCPRIM_400000_NS6detail17trampoline_kernelINS0_14default_configENS1_27scan_by_key_config_selectorIifEEZZNS1_16scan_by_key_implILNS1_25lookback_scan_determinismE0ELb0ES3_N6thrust23THRUST_200600_302600_NS6detail15normal_iteratorINS9_10device_ptrIiEEEENSB_INSC_IfEEEESG_fNS9_4plusIvEENS9_8equal_toIvEEfEE10hipError_tPvRmT2_T3_T4_T5_mT6_T7_P12ihipStream_tbENKUlT_T0_E_clISt17integral_constantIbLb0EES11_EEDaSW_SX_EUlSW_E_NS1_11comp_targetILNS1_3genE4ELNS1_11target_archE910ELNS1_3gpuE8ELNS1_3repE0EEENS1_30default_config_static_selectorELNS0_4arch9wavefront6targetE1EEEvT1_,"axG",@progbits,_ZN7rocprim17ROCPRIM_400000_NS6detail17trampoline_kernelINS0_14default_configENS1_27scan_by_key_config_selectorIifEEZZNS1_16scan_by_key_implILNS1_25lookback_scan_determinismE0ELb0ES3_N6thrust23THRUST_200600_302600_NS6detail15normal_iteratorINS9_10device_ptrIiEEEENSB_INSC_IfEEEESG_fNS9_4plusIvEENS9_8equal_toIvEEfEE10hipError_tPvRmT2_T3_T4_T5_mT6_T7_P12ihipStream_tbENKUlT_T0_E_clISt17integral_constantIbLb0EES11_EEDaSW_SX_EUlSW_E_NS1_11comp_targetILNS1_3genE4ELNS1_11target_archE910ELNS1_3gpuE8ELNS1_3repE0EEENS1_30default_config_static_selectorELNS0_4arch9wavefront6targetE1EEEvT1_,comdat
.Lfunc_end1133:
	.size	_ZN7rocprim17ROCPRIM_400000_NS6detail17trampoline_kernelINS0_14default_configENS1_27scan_by_key_config_selectorIifEEZZNS1_16scan_by_key_implILNS1_25lookback_scan_determinismE0ELb0ES3_N6thrust23THRUST_200600_302600_NS6detail15normal_iteratorINS9_10device_ptrIiEEEENSB_INSC_IfEEEESG_fNS9_4plusIvEENS9_8equal_toIvEEfEE10hipError_tPvRmT2_T3_T4_T5_mT6_T7_P12ihipStream_tbENKUlT_T0_E_clISt17integral_constantIbLb0EES11_EEDaSW_SX_EUlSW_E_NS1_11comp_targetILNS1_3genE4ELNS1_11target_archE910ELNS1_3gpuE8ELNS1_3repE0EEENS1_30default_config_static_selectorELNS0_4arch9wavefront6targetE1EEEvT1_, .Lfunc_end1133-_ZN7rocprim17ROCPRIM_400000_NS6detail17trampoline_kernelINS0_14default_configENS1_27scan_by_key_config_selectorIifEEZZNS1_16scan_by_key_implILNS1_25lookback_scan_determinismE0ELb0ES3_N6thrust23THRUST_200600_302600_NS6detail15normal_iteratorINS9_10device_ptrIiEEEENSB_INSC_IfEEEESG_fNS9_4plusIvEENS9_8equal_toIvEEfEE10hipError_tPvRmT2_T3_T4_T5_mT6_T7_P12ihipStream_tbENKUlT_T0_E_clISt17integral_constantIbLb0EES11_EEDaSW_SX_EUlSW_E_NS1_11comp_targetILNS1_3genE4ELNS1_11target_archE910ELNS1_3gpuE8ELNS1_3repE0EEENS1_30default_config_static_selectorELNS0_4arch9wavefront6targetE1EEEvT1_
                                        ; -- End function
	.section	.AMDGPU.csdata,"",@progbits
; Kernel info:
; codeLenInByte = 0
; NumSgprs: 6
; NumVgprs: 0
; NumAgprs: 0
; TotalNumVgprs: 0
; ScratchSize: 0
; MemoryBound: 0
; FloatMode: 240
; IeeeMode: 1
; LDSByteSize: 0 bytes/workgroup (compile time only)
; SGPRBlocks: 0
; VGPRBlocks: 0
; NumSGPRsForWavesPerEU: 6
; NumVGPRsForWavesPerEU: 1
; AccumOffset: 4
; Occupancy: 8
; WaveLimiterHint : 0
; COMPUTE_PGM_RSRC2:SCRATCH_EN: 0
; COMPUTE_PGM_RSRC2:USER_SGPR: 2
; COMPUTE_PGM_RSRC2:TRAP_HANDLER: 0
; COMPUTE_PGM_RSRC2:TGID_X_EN: 1
; COMPUTE_PGM_RSRC2:TGID_Y_EN: 0
; COMPUTE_PGM_RSRC2:TGID_Z_EN: 0
; COMPUTE_PGM_RSRC2:TIDIG_COMP_CNT: 0
; COMPUTE_PGM_RSRC3_GFX90A:ACCUM_OFFSET: 0
; COMPUTE_PGM_RSRC3_GFX90A:TG_SPLIT: 0
	.section	.text._ZN7rocprim17ROCPRIM_400000_NS6detail17trampoline_kernelINS0_14default_configENS1_27scan_by_key_config_selectorIifEEZZNS1_16scan_by_key_implILNS1_25lookback_scan_determinismE0ELb0ES3_N6thrust23THRUST_200600_302600_NS6detail15normal_iteratorINS9_10device_ptrIiEEEENSB_INSC_IfEEEESG_fNS9_4plusIvEENS9_8equal_toIvEEfEE10hipError_tPvRmT2_T3_T4_T5_mT6_T7_P12ihipStream_tbENKUlT_T0_E_clISt17integral_constantIbLb0EES11_EEDaSW_SX_EUlSW_E_NS1_11comp_targetILNS1_3genE3ELNS1_11target_archE908ELNS1_3gpuE7ELNS1_3repE0EEENS1_30default_config_static_selectorELNS0_4arch9wavefront6targetE1EEEvT1_,"axG",@progbits,_ZN7rocprim17ROCPRIM_400000_NS6detail17trampoline_kernelINS0_14default_configENS1_27scan_by_key_config_selectorIifEEZZNS1_16scan_by_key_implILNS1_25lookback_scan_determinismE0ELb0ES3_N6thrust23THRUST_200600_302600_NS6detail15normal_iteratorINS9_10device_ptrIiEEEENSB_INSC_IfEEEESG_fNS9_4plusIvEENS9_8equal_toIvEEfEE10hipError_tPvRmT2_T3_T4_T5_mT6_T7_P12ihipStream_tbENKUlT_T0_E_clISt17integral_constantIbLb0EES11_EEDaSW_SX_EUlSW_E_NS1_11comp_targetILNS1_3genE3ELNS1_11target_archE908ELNS1_3gpuE7ELNS1_3repE0EEENS1_30default_config_static_selectorELNS0_4arch9wavefront6targetE1EEEvT1_,comdat
	.protected	_ZN7rocprim17ROCPRIM_400000_NS6detail17trampoline_kernelINS0_14default_configENS1_27scan_by_key_config_selectorIifEEZZNS1_16scan_by_key_implILNS1_25lookback_scan_determinismE0ELb0ES3_N6thrust23THRUST_200600_302600_NS6detail15normal_iteratorINS9_10device_ptrIiEEEENSB_INSC_IfEEEESG_fNS9_4plusIvEENS9_8equal_toIvEEfEE10hipError_tPvRmT2_T3_T4_T5_mT6_T7_P12ihipStream_tbENKUlT_T0_E_clISt17integral_constantIbLb0EES11_EEDaSW_SX_EUlSW_E_NS1_11comp_targetILNS1_3genE3ELNS1_11target_archE908ELNS1_3gpuE7ELNS1_3repE0EEENS1_30default_config_static_selectorELNS0_4arch9wavefront6targetE1EEEvT1_ ; -- Begin function _ZN7rocprim17ROCPRIM_400000_NS6detail17trampoline_kernelINS0_14default_configENS1_27scan_by_key_config_selectorIifEEZZNS1_16scan_by_key_implILNS1_25lookback_scan_determinismE0ELb0ES3_N6thrust23THRUST_200600_302600_NS6detail15normal_iteratorINS9_10device_ptrIiEEEENSB_INSC_IfEEEESG_fNS9_4plusIvEENS9_8equal_toIvEEfEE10hipError_tPvRmT2_T3_T4_T5_mT6_T7_P12ihipStream_tbENKUlT_T0_E_clISt17integral_constantIbLb0EES11_EEDaSW_SX_EUlSW_E_NS1_11comp_targetILNS1_3genE3ELNS1_11target_archE908ELNS1_3gpuE7ELNS1_3repE0EEENS1_30default_config_static_selectorELNS0_4arch9wavefront6targetE1EEEvT1_
	.globl	_ZN7rocprim17ROCPRIM_400000_NS6detail17trampoline_kernelINS0_14default_configENS1_27scan_by_key_config_selectorIifEEZZNS1_16scan_by_key_implILNS1_25lookback_scan_determinismE0ELb0ES3_N6thrust23THRUST_200600_302600_NS6detail15normal_iteratorINS9_10device_ptrIiEEEENSB_INSC_IfEEEESG_fNS9_4plusIvEENS9_8equal_toIvEEfEE10hipError_tPvRmT2_T3_T4_T5_mT6_T7_P12ihipStream_tbENKUlT_T0_E_clISt17integral_constantIbLb0EES11_EEDaSW_SX_EUlSW_E_NS1_11comp_targetILNS1_3genE3ELNS1_11target_archE908ELNS1_3gpuE7ELNS1_3repE0EEENS1_30default_config_static_selectorELNS0_4arch9wavefront6targetE1EEEvT1_
	.p2align	8
	.type	_ZN7rocprim17ROCPRIM_400000_NS6detail17trampoline_kernelINS0_14default_configENS1_27scan_by_key_config_selectorIifEEZZNS1_16scan_by_key_implILNS1_25lookback_scan_determinismE0ELb0ES3_N6thrust23THRUST_200600_302600_NS6detail15normal_iteratorINS9_10device_ptrIiEEEENSB_INSC_IfEEEESG_fNS9_4plusIvEENS9_8equal_toIvEEfEE10hipError_tPvRmT2_T3_T4_T5_mT6_T7_P12ihipStream_tbENKUlT_T0_E_clISt17integral_constantIbLb0EES11_EEDaSW_SX_EUlSW_E_NS1_11comp_targetILNS1_3genE3ELNS1_11target_archE908ELNS1_3gpuE7ELNS1_3repE0EEENS1_30default_config_static_selectorELNS0_4arch9wavefront6targetE1EEEvT1_,@function
_ZN7rocprim17ROCPRIM_400000_NS6detail17trampoline_kernelINS0_14default_configENS1_27scan_by_key_config_selectorIifEEZZNS1_16scan_by_key_implILNS1_25lookback_scan_determinismE0ELb0ES3_N6thrust23THRUST_200600_302600_NS6detail15normal_iteratorINS9_10device_ptrIiEEEENSB_INSC_IfEEEESG_fNS9_4plusIvEENS9_8equal_toIvEEfEE10hipError_tPvRmT2_T3_T4_T5_mT6_T7_P12ihipStream_tbENKUlT_T0_E_clISt17integral_constantIbLb0EES11_EEDaSW_SX_EUlSW_E_NS1_11comp_targetILNS1_3genE3ELNS1_11target_archE908ELNS1_3gpuE7ELNS1_3repE0EEENS1_30default_config_static_selectorELNS0_4arch9wavefront6targetE1EEEvT1_: ; @_ZN7rocprim17ROCPRIM_400000_NS6detail17trampoline_kernelINS0_14default_configENS1_27scan_by_key_config_selectorIifEEZZNS1_16scan_by_key_implILNS1_25lookback_scan_determinismE0ELb0ES3_N6thrust23THRUST_200600_302600_NS6detail15normal_iteratorINS9_10device_ptrIiEEEENSB_INSC_IfEEEESG_fNS9_4plusIvEENS9_8equal_toIvEEfEE10hipError_tPvRmT2_T3_T4_T5_mT6_T7_P12ihipStream_tbENKUlT_T0_E_clISt17integral_constantIbLb0EES11_EEDaSW_SX_EUlSW_E_NS1_11comp_targetILNS1_3genE3ELNS1_11target_archE908ELNS1_3gpuE7ELNS1_3repE0EEENS1_30default_config_static_selectorELNS0_4arch9wavefront6targetE1EEEvT1_
; %bb.0:
	.section	.rodata,"a",@progbits
	.p2align	6, 0x0
	.amdhsa_kernel _ZN7rocprim17ROCPRIM_400000_NS6detail17trampoline_kernelINS0_14default_configENS1_27scan_by_key_config_selectorIifEEZZNS1_16scan_by_key_implILNS1_25lookback_scan_determinismE0ELb0ES3_N6thrust23THRUST_200600_302600_NS6detail15normal_iteratorINS9_10device_ptrIiEEEENSB_INSC_IfEEEESG_fNS9_4plusIvEENS9_8equal_toIvEEfEE10hipError_tPvRmT2_T3_T4_T5_mT6_T7_P12ihipStream_tbENKUlT_T0_E_clISt17integral_constantIbLb0EES11_EEDaSW_SX_EUlSW_E_NS1_11comp_targetILNS1_3genE3ELNS1_11target_archE908ELNS1_3gpuE7ELNS1_3repE0EEENS1_30default_config_static_selectorELNS0_4arch9wavefront6targetE1EEEvT1_
		.amdhsa_group_segment_fixed_size 0
		.amdhsa_private_segment_fixed_size 0
		.amdhsa_kernarg_size 112
		.amdhsa_user_sgpr_count 2
		.amdhsa_user_sgpr_dispatch_ptr 0
		.amdhsa_user_sgpr_queue_ptr 0
		.amdhsa_user_sgpr_kernarg_segment_ptr 1
		.amdhsa_user_sgpr_dispatch_id 0
		.amdhsa_user_sgpr_kernarg_preload_length 0
		.amdhsa_user_sgpr_kernarg_preload_offset 0
		.amdhsa_user_sgpr_private_segment_size 0
		.amdhsa_uses_dynamic_stack 0
		.amdhsa_enable_private_segment 0
		.amdhsa_system_sgpr_workgroup_id_x 1
		.amdhsa_system_sgpr_workgroup_id_y 0
		.amdhsa_system_sgpr_workgroup_id_z 0
		.amdhsa_system_sgpr_workgroup_info 0
		.amdhsa_system_vgpr_workitem_id 0
		.amdhsa_next_free_vgpr 1
		.amdhsa_next_free_sgpr 0
		.amdhsa_accum_offset 4
		.amdhsa_reserve_vcc 0
		.amdhsa_float_round_mode_32 0
		.amdhsa_float_round_mode_16_64 0
		.amdhsa_float_denorm_mode_32 3
		.amdhsa_float_denorm_mode_16_64 3
		.amdhsa_dx10_clamp 1
		.amdhsa_ieee_mode 1
		.amdhsa_fp16_overflow 0
		.amdhsa_tg_split 0
		.amdhsa_exception_fp_ieee_invalid_op 0
		.amdhsa_exception_fp_denorm_src 0
		.amdhsa_exception_fp_ieee_div_zero 0
		.amdhsa_exception_fp_ieee_overflow 0
		.amdhsa_exception_fp_ieee_underflow 0
		.amdhsa_exception_fp_ieee_inexact 0
		.amdhsa_exception_int_div_zero 0
	.end_amdhsa_kernel
	.section	.text._ZN7rocprim17ROCPRIM_400000_NS6detail17trampoline_kernelINS0_14default_configENS1_27scan_by_key_config_selectorIifEEZZNS1_16scan_by_key_implILNS1_25lookback_scan_determinismE0ELb0ES3_N6thrust23THRUST_200600_302600_NS6detail15normal_iteratorINS9_10device_ptrIiEEEENSB_INSC_IfEEEESG_fNS9_4plusIvEENS9_8equal_toIvEEfEE10hipError_tPvRmT2_T3_T4_T5_mT6_T7_P12ihipStream_tbENKUlT_T0_E_clISt17integral_constantIbLb0EES11_EEDaSW_SX_EUlSW_E_NS1_11comp_targetILNS1_3genE3ELNS1_11target_archE908ELNS1_3gpuE7ELNS1_3repE0EEENS1_30default_config_static_selectorELNS0_4arch9wavefront6targetE1EEEvT1_,"axG",@progbits,_ZN7rocprim17ROCPRIM_400000_NS6detail17trampoline_kernelINS0_14default_configENS1_27scan_by_key_config_selectorIifEEZZNS1_16scan_by_key_implILNS1_25lookback_scan_determinismE0ELb0ES3_N6thrust23THRUST_200600_302600_NS6detail15normal_iteratorINS9_10device_ptrIiEEEENSB_INSC_IfEEEESG_fNS9_4plusIvEENS9_8equal_toIvEEfEE10hipError_tPvRmT2_T3_T4_T5_mT6_T7_P12ihipStream_tbENKUlT_T0_E_clISt17integral_constantIbLb0EES11_EEDaSW_SX_EUlSW_E_NS1_11comp_targetILNS1_3genE3ELNS1_11target_archE908ELNS1_3gpuE7ELNS1_3repE0EEENS1_30default_config_static_selectorELNS0_4arch9wavefront6targetE1EEEvT1_,comdat
.Lfunc_end1134:
	.size	_ZN7rocprim17ROCPRIM_400000_NS6detail17trampoline_kernelINS0_14default_configENS1_27scan_by_key_config_selectorIifEEZZNS1_16scan_by_key_implILNS1_25lookback_scan_determinismE0ELb0ES3_N6thrust23THRUST_200600_302600_NS6detail15normal_iteratorINS9_10device_ptrIiEEEENSB_INSC_IfEEEESG_fNS9_4plusIvEENS9_8equal_toIvEEfEE10hipError_tPvRmT2_T3_T4_T5_mT6_T7_P12ihipStream_tbENKUlT_T0_E_clISt17integral_constantIbLb0EES11_EEDaSW_SX_EUlSW_E_NS1_11comp_targetILNS1_3genE3ELNS1_11target_archE908ELNS1_3gpuE7ELNS1_3repE0EEENS1_30default_config_static_selectorELNS0_4arch9wavefront6targetE1EEEvT1_, .Lfunc_end1134-_ZN7rocprim17ROCPRIM_400000_NS6detail17trampoline_kernelINS0_14default_configENS1_27scan_by_key_config_selectorIifEEZZNS1_16scan_by_key_implILNS1_25lookback_scan_determinismE0ELb0ES3_N6thrust23THRUST_200600_302600_NS6detail15normal_iteratorINS9_10device_ptrIiEEEENSB_INSC_IfEEEESG_fNS9_4plusIvEENS9_8equal_toIvEEfEE10hipError_tPvRmT2_T3_T4_T5_mT6_T7_P12ihipStream_tbENKUlT_T0_E_clISt17integral_constantIbLb0EES11_EEDaSW_SX_EUlSW_E_NS1_11comp_targetILNS1_3genE3ELNS1_11target_archE908ELNS1_3gpuE7ELNS1_3repE0EEENS1_30default_config_static_selectorELNS0_4arch9wavefront6targetE1EEEvT1_
                                        ; -- End function
	.section	.AMDGPU.csdata,"",@progbits
; Kernel info:
; codeLenInByte = 0
; NumSgprs: 6
; NumVgprs: 0
; NumAgprs: 0
; TotalNumVgprs: 0
; ScratchSize: 0
; MemoryBound: 0
; FloatMode: 240
; IeeeMode: 1
; LDSByteSize: 0 bytes/workgroup (compile time only)
; SGPRBlocks: 0
; VGPRBlocks: 0
; NumSGPRsForWavesPerEU: 6
; NumVGPRsForWavesPerEU: 1
; AccumOffset: 4
; Occupancy: 8
; WaveLimiterHint : 0
; COMPUTE_PGM_RSRC2:SCRATCH_EN: 0
; COMPUTE_PGM_RSRC2:USER_SGPR: 2
; COMPUTE_PGM_RSRC2:TRAP_HANDLER: 0
; COMPUTE_PGM_RSRC2:TGID_X_EN: 1
; COMPUTE_PGM_RSRC2:TGID_Y_EN: 0
; COMPUTE_PGM_RSRC2:TGID_Z_EN: 0
; COMPUTE_PGM_RSRC2:TIDIG_COMP_CNT: 0
; COMPUTE_PGM_RSRC3_GFX90A:ACCUM_OFFSET: 0
; COMPUTE_PGM_RSRC3_GFX90A:TG_SPLIT: 0
	.section	.text._ZN7rocprim17ROCPRIM_400000_NS6detail17trampoline_kernelINS0_14default_configENS1_27scan_by_key_config_selectorIifEEZZNS1_16scan_by_key_implILNS1_25lookback_scan_determinismE0ELb0ES3_N6thrust23THRUST_200600_302600_NS6detail15normal_iteratorINS9_10device_ptrIiEEEENSB_INSC_IfEEEESG_fNS9_4plusIvEENS9_8equal_toIvEEfEE10hipError_tPvRmT2_T3_T4_T5_mT6_T7_P12ihipStream_tbENKUlT_T0_E_clISt17integral_constantIbLb0EES11_EEDaSW_SX_EUlSW_E_NS1_11comp_targetILNS1_3genE2ELNS1_11target_archE906ELNS1_3gpuE6ELNS1_3repE0EEENS1_30default_config_static_selectorELNS0_4arch9wavefront6targetE1EEEvT1_,"axG",@progbits,_ZN7rocprim17ROCPRIM_400000_NS6detail17trampoline_kernelINS0_14default_configENS1_27scan_by_key_config_selectorIifEEZZNS1_16scan_by_key_implILNS1_25lookback_scan_determinismE0ELb0ES3_N6thrust23THRUST_200600_302600_NS6detail15normal_iteratorINS9_10device_ptrIiEEEENSB_INSC_IfEEEESG_fNS9_4plusIvEENS9_8equal_toIvEEfEE10hipError_tPvRmT2_T3_T4_T5_mT6_T7_P12ihipStream_tbENKUlT_T0_E_clISt17integral_constantIbLb0EES11_EEDaSW_SX_EUlSW_E_NS1_11comp_targetILNS1_3genE2ELNS1_11target_archE906ELNS1_3gpuE6ELNS1_3repE0EEENS1_30default_config_static_selectorELNS0_4arch9wavefront6targetE1EEEvT1_,comdat
	.protected	_ZN7rocprim17ROCPRIM_400000_NS6detail17trampoline_kernelINS0_14default_configENS1_27scan_by_key_config_selectorIifEEZZNS1_16scan_by_key_implILNS1_25lookback_scan_determinismE0ELb0ES3_N6thrust23THRUST_200600_302600_NS6detail15normal_iteratorINS9_10device_ptrIiEEEENSB_INSC_IfEEEESG_fNS9_4plusIvEENS9_8equal_toIvEEfEE10hipError_tPvRmT2_T3_T4_T5_mT6_T7_P12ihipStream_tbENKUlT_T0_E_clISt17integral_constantIbLb0EES11_EEDaSW_SX_EUlSW_E_NS1_11comp_targetILNS1_3genE2ELNS1_11target_archE906ELNS1_3gpuE6ELNS1_3repE0EEENS1_30default_config_static_selectorELNS0_4arch9wavefront6targetE1EEEvT1_ ; -- Begin function _ZN7rocprim17ROCPRIM_400000_NS6detail17trampoline_kernelINS0_14default_configENS1_27scan_by_key_config_selectorIifEEZZNS1_16scan_by_key_implILNS1_25lookback_scan_determinismE0ELb0ES3_N6thrust23THRUST_200600_302600_NS6detail15normal_iteratorINS9_10device_ptrIiEEEENSB_INSC_IfEEEESG_fNS9_4plusIvEENS9_8equal_toIvEEfEE10hipError_tPvRmT2_T3_T4_T5_mT6_T7_P12ihipStream_tbENKUlT_T0_E_clISt17integral_constantIbLb0EES11_EEDaSW_SX_EUlSW_E_NS1_11comp_targetILNS1_3genE2ELNS1_11target_archE906ELNS1_3gpuE6ELNS1_3repE0EEENS1_30default_config_static_selectorELNS0_4arch9wavefront6targetE1EEEvT1_
	.globl	_ZN7rocprim17ROCPRIM_400000_NS6detail17trampoline_kernelINS0_14default_configENS1_27scan_by_key_config_selectorIifEEZZNS1_16scan_by_key_implILNS1_25lookback_scan_determinismE0ELb0ES3_N6thrust23THRUST_200600_302600_NS6detail15normal_iteratorINS9_10device_ptrIiEEEENSB_INSC_IfEEEESG_fNS9_4plusIvEENS9_8equal_toIvEEfEE10hipError_tPvRmT2_T3_T4_T5_mT6_T7_P12ihipStream_tbENKUlT_T0_E_clISt17integral_constantIbLb0EES11_EEDaSW_SX_EUlSW_E_NS1_11comp_targetILNS1_3genE2ELNS1_11target_archE906ELNS1_3gpuE6ELNS1_3repE0EEENS1_30default_config_static_selectorELNS0_4arch9wavefront6targetE1EEEvT1_
	.p2align	8
	.type	_ZN7rocprim17ROCPRIM_400000_NS6detail17trampoline_kernelINS0_14default_configENS1_27scan_by_key_config_selectorIifEEZZNS1_16scan_by_key_implILNS1_25lookback_scan_determinismE0ELb0ES3_N6thrust23THRUST_200600_302600_NS6detail15normal_iteratorINS9_10device_ptrIiEEEENSB_INSC_IfEEEESG_fNS9_4plusIvEENS9_8equal_toIvEEfEE10hipError_tPvRmT2_T3_T4_T5_mT6_T7_P12ihipStream_tbENKUlT_T0_E_clISt17integral_constantIbLb0EES11_EEDaSW_SX_EUlSW_E_NS1_11comp_targetILNS1_3genE2ELNS1_11target_archE906ELNS1_3gpuE6ELNS1_3repE0EEENS1_30default_config_static_selectorELNS0_4arch9wavefront6targetE1EEEvT1_,@function
_ZN7rocprim17ROCPRIM_400000_NS6detail17trampoline_kernelINS0_14default_configENS1_27scan_by_key_config_selectorIifEEZZNS1_16scan_by_key_implILNS1_25lookback_scan_determinismE0ELb0ES3_N6thrust23THRUST_200600_302600_NS6detail15normal_iteratorINS9_10device_ptrIiEEEENSB_INSC_IfEEEESG_fNS9_4plusIvEENS9_8equal_toIvEEfEE10hipError_tPvRmT2_T3_T4_T5_mT6_T7_P12ihipStream_tbENKUlT_T0_E_clISt17integral_constantIbLb0EES11_EEDaSW_SX_EUlSW_E_NS1_11comp_targetILNS1_3genE2ELNS1_11target_archE906ELNS1_3gpuE6ELNS1_3repE0EEENS1_30default_config_static_selectorELNS0_4arch9wavefront6targetE1EEEvT1_: ; @_ZN7rocprim17ROCPRIM_400000_NS6detail17trampoline_kernelINS0_14default_configENS1_27scan_by_key_config_selectorIifEEZZNS1_16scan_by_key_implILNS1_25lookback_scan_determinismE0ELb0ES3_N6thrust23THRUST_200600_302600_NS6detail15normal_iteratorINS9_10device_ptrIiEEEENSB_INSC_IfEEEESG_fNS9_4plusIvEENS9_8equal_toIvEEfEE10hipError_tPvRmT2_T3_T4_T5_mT6_T7_P12ihipStream_tbENKUlT_T0_E_clISt17integral_constantIbLb0EES11_EEDaSW_SX_EUlSW_E_NS1_11comp_targetILNS1_3genE2ELNS1_11target_archE906ELNS1_3gpuE6ELNS1_3repE0EEENS1_30default_config_static_selectorELNS0_4arch9wavefront6targetE1EEEvT1_
; %bb.0:
	.section	.rodata,"a",@progbits
	.p2align	6, 0x0
	.amdhsa_kernel _ZN7rocprim17ROCPRIM_400000_NS6detail17trampoline_kernelINS0_14default_configENS1_27scan_by_key_config_selectorIifEEZZNS1_16scan_by_key_implILNS1_25lookback_scan_determinismE0ELb0ES3_N6thrust23THRUST_200600_302600_NS6detail15normal_iteratorINS9_10device_ptrIiEEEENSB_INSC_IfEEEESG_fNS9_4plusIvEENS9_8equal_toIvEEfEE10hipError_tPvRmT2_T3_T4_T5_mT6_T7_P12ihipStream_tbENKUlT_T0_E_clISt17integral_constantIbLb0EES11_EEDaSW_SX_EUlSW_E_NS1_11comp_targetILNS1_3genE2ELNS1_11target_archE906ELNS1_3gpuE6ELNS1_3repE0EEENS1_30default_config_static_selectorELNS0_4arch9wavefront6targetE1EEEvT1_
		.amdhsa_group_segment_fixed_size 0
		.amdhsa_private_segment_fixed_size 0
		.amdhsa_kernarg_size 112
		.amdhsa_user_sgpr_count 2
		.amdhsa_user_sgpr_dispatch_ptr 0
		.amdhsa_user_sgpr_queue_ptr 0
		.amdhsa_user_sgpr_kernarg_segment_ptr 1
		.amdhsa_user_sgpr_dispatch_id 0
		.amdhsa_user_sgpr_kernarg_preload_length 0
		.amdhsa_user_sgpr_kernarg_preload_offset 0
		.amdhsa_user_sgpr_private_segment_size 0
		.amdhsa_uses_dynamic_stack 0
		.amdhsa_enable_private_segment 0
		.amdhsa_system_sgpr_workgroup_id_x 1
		.amdhsa_system_sgpr_workgroup_id_y 0
		.amdhsa_system_sgpr_workgroup_id_z 0
		.amdhsa_system_sgpr_workgroup_info 0
		.amdhsa_system_vgpr_workitem_id 0
		.amdhsa_next_free_vgpr 1
		.amdhsa_next_free_sgpr 0
		.amdhsa_accum_offset 4
		.amdhsa_reserve_vcc 0
		.amdhsa_float_round_mode_32 0
		.amdhsa_float_round_mode_16_64 0
		.amdhsa_float_denorm_mode_32 3
		.amdhsa_float_denorm_mode_16_64 3
		.amdhsa_dx10_clamp 1
		.amdhsa_ieee_mode 1
		.amdhsa_fp16_overflow 0
		.amdhsa_tg_split 0
		.amdhsa_exception_fp_ieee_invalid_op 0
		.amdhsa_exception_fp_denorm_src 0
		.amdhsa_exception_fp_ieee_div_zero 0
		.amdhsa_exception_fp_ieee_overflow 0
		.amdhsa_exception_fp_ieee_underflow 0
		.amdhsa_exception_fp_ieee_inexact 0
		.amdhsa_exception_int_div_zero 0
	.end_amdhsa_kernel
	.section	.text._ZN7rocprim17ROCPRIM_400000_NS6detail17trampoline_kernelINS0_14default_configENS1_27scan_by_key_config_selectorIifEEZZNS1_16scan_by_key_implILNS1_25lookback_scan_determinismE0ELb0ES3_N6thrust23THRUST_200600_302600_NS6detail15normal_iteratorINS9_10device_ptrIiEEEENSB_INSC_IfEEEESG_fNS9_4plusIvEENS9_8equal_toIvEEfEE10hipError_tPvRmT2_T3_T4_T5_mT6_T7_P12ihipStream_tbENKUlT_T0_E_clISt17integral_constantIbLb0EES11_EEDaSW_SX_EUlSW_E_NS1_11comp_targetILNS1_3genE2ELNS1_11target_archE906ELNS1_3gpuE6ELNS1_3repE0EEENS1_30default_config_static_selectorELNS0_4arch9wavefront6targetE1EEEvT1_,"axG",@progbits,_ZN7rocprim17ROCPRIM_400000_NS6detail17trampoline_kernelINS0_14default_configENS1_27scan_by_key_config_selectorIifEEZZNS1_16scan_by_key_implILNS1_25lookback_scan_determinismE0ELb0ES3_N6thrust23THRUST_200600_302600_NS6detail15normal_iteratorINS9_10device_ptrIiEEEENSB_INSC_IfEEEESG_fNS9_4plusIvEENS9_8equal_toIvEEfEE10hipError_tPvRmT2_T3_T4_T5_mT6_T7_P12ihipStream_tbENKUlT_T0_E_clISt17integral_constantIbLb0EES11_EEDaSW_SX_EUlSW_E_NS1_11comp_targetILNS1_3genE2ELNS1_11target_archE906ELNS1_3gpuE6ELNS1_3repE0EEENS1_30default_config_static_selectorELNS0_4arch9wavefront6targetE1EEEvT1_,comdat
.Lfunc_end1135:
	.size	_ZN7rocprim17ROCPRIM_400000_NS6detail17trampoline_kernelINS0_14default_configENS1_27scan_by_key_config_selectorIifEEZZNS1_16scan_by_key_implILNS1_25lookback_scan_determinismE0ELb0ES3_N6thrust23THRUST_200600_302600_NS6detail15normal_iteratorINS9_10device_ptrIiEEEENSB_INSC_IfEEEESG_fNS9_4plusIvEENS9_8equal_toIvEEfEE10hipError_tPvRmT2_T3_T4_T5_mT6_T7_P12ihipStream_tbENKUlT_T0_E_clISt17integral_constantIbLb0EES11_EEDaSW_SX_EUlSW_E_NS1_11comp_targetILNS1_3genE2ELNS1_11target_archE906ELNS1_3gpuE6ELNS1_3repE0EEENS1_30default_config_static_selectorELNS0_4arch9wavefront6targetE1EEEvT1_, .Lfunc_end1135-_ZN7rocprim17ROCPRIM_400000_NS6detail17trampoline_kernelINS0_14default_configENS1_27scan_by_key_config_selectorIifEEZZNS1_16scan_by_key_implILNS1_25lookback_scan_determinismE0ELb0ES3_N6thrust23THRUST_200600_302600_NS6detail15normal_iteratorINS9_10device_ptrIiEEEENSB_INSC_IfEEEESG_fNS9_4plusIvEENS9_8equal_toIvEEfEE10hipError_tPvRmT2_T3_T4_T5_mT6_T7_P12ihipStream_tbENKUlT_T0_E_clISt17integral_constantIbLb0EES11_EEDaSW_SX_EUlSW_E_NS1_11comp_targetILNS1_3genE2ELNS1_11target_archE906ELNS1_3gpuE6ELNS1_3repE0EEENS1_30default_config_static_selectorELNS0_4arch9wavefront6targetE1EEEvT1_
                                        ; -- End function
	.section	.AMDGPU.csdata,"",@progbits
; Kernel info:
; codeLenInByte = 0
; NumSgprs: 6
; NumVgprs: 0
; NumAgprs: 0
; TotalNumVgprs: 0
; ScratchSize: 0
; MemoryBound: 0
; FloatMode: 240
; IeeeMode: 1
; LDSByteSize: 0 bytes/workgroup (compile time only)
; SGPRBlocks: 0
; VGPRBlocks: 0
; NumSGPRsForWavesPerEU: 6
; NumVGPRsForWavesPerEU: 1
; AccumOffset: 4
; Occupancy: 8
; WaveLimiterHint : 0
; COMPUTE_PGM_RSRC2:SCRATCH_EN: 0
; COMPUTE_PGM_RSRC2:USER_SGPR: 2
; COMPUTE_PGM_RSRC2:TRAP_HANDLER: 0
; COMPUTE_PGM_RSRC2:TGID_X_EN: 1
; COMPUTE_PGM_RSRC2:TGID_Y_EN: 0
; COMPUTE_PGM_RSRC2:TGID_Z_EN: 0
; COMPUTE_PGM_RSRC2:TIDIG_COMP_CNT: 0
; COMPUTE_PGM_RSRC3_GFX90A:ACCUM_OFFSET: 0
; COMPUTE_PGM_RSRC3_GFX90A:TG_SPLIT: 0
	.section	.text._ZN7rocprim17ROCPRIM_400000_NS6detail17trampoline_kernelINS0_14default_configENS1_27scan_by_key_config_selectorIifEEZZNS1_16scan_by_key_implILNS1_25lookback_scan_determinismE0ELb0ES3_N6thrust23THRUST_200600_302600_NS6detail15normal_iteratorINS9_10device_ptrIiEEEENSB_INSC_IfEEEESG_fNS9_4plusIvEENS9_8equal_toIvEEfEE10hipError_tPvRmT2_T3_T4_T5_mT6_T7_P12ihipStream_tbENKUlT_T0_E_clISt17integral_constantIbLb0EES11_EEDaSW_SX_EUlSW_E_NS1_11comp_targetILNS1_3genE10ELNS1_11target_archE1200ELNS1_3gpuE4ELNS1_3repE0EEENS1_30default_config_static_selectorELNS0_4arch9wavefront6targetE1EEEvT1_,"axG",@progbits,_ZN7rocprim17ROCPRIM_400000_NS6detail17trampoline_kernelINS0_14default_configENS1_27scan_by_key_config_selectorIifEEZZNS1_16scan_by_key_implILNS1_25lookback_scan_determinismE0ELb0ES3_N6thrust23THRUST_200600_302600_NS6detail15normal_iteratorINS9_10device_ptrIiEEEENSB_INSC_IfEEEESG_fNS9_4plusIvEENS9_8equal_toIvEEfEE10hipError_tPvRmT2_T3_T4_T5_mT6_T7_P12ihipStream_tbENKUlT_T0_E_clISt17integral_constantIbLb0EES11_EEDaSW_SX_EUlSW_E_NS1_11comp_targetILNS1_3genE10ELNS1_11target_archE1200ELNS1_3gpuE4ELNS1_3repE0EEENS1_30default_config_static_selectorELNS0_4arch9wavefront6targetE1EEEvT1_,comdat
	.protected	_ZN7rocprim17ROCPRIM_400000_NS6detail17trampoline_kernelINS0_14default_configENS1_27scan_by_key_config_selectorIifEEZZNS1_16scan_by_key_implILNS1_25lookback_scan_determinismE0ELb0ES3_N6thrust23THRUST_200600_302600_NS6detail15normal_iteratorINS9_10device_ptrIiEEEENSB_INSC_IfEEEESG_fNS9_4plusIvEENS9_8equal_toIvEEfEE10hipError_tPvRmT2_T3_T4_T5_mT6_T7_P12ihipStream_tbENKUlT_T0_E_clISt17integral_constantIbLb0EES11_EEDaSW_SX_EUlSW_E_NS1_11comp_targetILNS1_3genE10ELNS1_11target_archE1200ELNS1_3gpuE4ELNS1_3repE0EEENS1_30default_config_static_selectorELNS0_4arch9wavefront6targetE1EEEvT1_ ; -- Begin function _ZN7rocprim17ROCPRIM_400000_NS6detail17trampoline_kernelINS0_14default_configENS1_27scan_by_key_config_selectorIifEEZZNS1_16scan_by_key_implILNS1_25lookback_scan_determinismE0ELb0ES3_N6thrust23THRUST_200600_302600_NS6detail15normal_iteratorINS9_10device_ptrIiEEEENSB_INSC_IfEEEESG_fNS9_4plusIvEENS9_8equal_toIvEEfEE10hipError_tPvRmT2_T3_T4_T5_mT6_T7_P12ihipStream_tbENKUlT_T0_E_clISt17integral_constantIbLb0EES11_EEDaSW_SX_EUlSW_E_NS1_11comp_targetILNS1_3genE10ELNS1_11target_archE1200ELNS1_3gpuE4ELNS1_3repE0EEENS1_30default_config_static_selectorELNS0_4arch9wavefront6targetE1EEEvT1_
	.globl	_ZN7rocprim17ROCPRIM_400000_NS6detail17trampoline_kernelINS0_14default_configENS1_27scan_by_key_config_selectorIifEEZZNS1_16scan_by_key_implILNS1_25lookback_scan_determinismE0ELb0ES3_N6thrust23THRUST_200600_302600_NS6detail15normal_iteratorINS9_10device_ptrIiEEEENSB_INSC_IfEEEESG_fNS9_4plusIvEENS9_8equal_toIvEEfEE10hipError_tPvRmT2_T3_T4_T5_mT6_T7_P12ihipStream_tbENKUlT_T0_E_clISt17integral_constantIbLb0EES11_EEDaSW_SX_EUlSW_E_NS1_11comp_targetILNS1_3genE10ELNS1_11target_archE1200ELNS1_3gpuE4ELNS1_3repE0EEENS1_30default_config_static_selectorELNS0_4arch9wavefront6targetE1EEEvT1_
	.p2align	8
	.type	_ZN7rocprim17ROCPRIM_400000_NS6detail17trampoline_kernelINS0_14default_configENS1_27scan_by_key_config_selectorIifEEZZNS1_16scan_by_key_implILNS1_25lookback_scan_determinismE0ELb0ES3_N6thrust23THRUST_200600_302600_NS6detail15normal_iteratorINS9_10device_ptrIiEEEENSB_INSC_IfEEEESG_fNS9_4plusIvEENS9_8equal_toIvEEfEE10hipError_tPvRmT2_T3_T4_T5_mT6_T7_P12ihipStream_tbENKUlT_T0_E_clISt17integral_constantIbLb0EES11_EEDaSW_SX_EUlSW_E_NS1_11comp_targetILNS1_3genE10ELNS1_11target_archE1200ELNS1_3gpuE4ELNS1_3repE0EEENS1_30default_config_static_selectorELNS0_4arch9wavefront6targetE1EEEvT1_,@function
_ZN7rocprim17ROCPRIM_400000_NS6detail17trampoline_kernelINS0_14default_configENS1_27scan_by_key_config_selectorIifEEZZNS1_16scan_by_key_implILNS1_25lookback_scan_determinismE0ELb0ES3_N6thrust23THRUST_200600_302600_NS6detail15normal_iteratorINS9_10device_ptrIiEEEENSB_INSC_IfEEEESG_fNS9_4plusIvEENS9_8equal_toIvEEfEE10hipError_tPvRmT2_T3_T4_T5_mT6_T7_P12ihipStream_tbENKUlT_T0_E_clISt17integral_constantIbLb0EES11_EEDaSW_SX_EUlSW_E_NS1_11comp_targetILNS1_3genE10ELNS1_11target_archE1200ELNS1_3gpuE4ELNS1_3repE0EEENS1_30default_config_static_selectorELNS0_4arch9wavefront6targetE1EEEvT1_: ; @_ZN7rocprim17ROCPRIM_400000_NS6detail17trampoline_kernelINS0_14default_configENS1_27scan_by_key_config_selectorIifEEZZNS1_16scan_by_key_implILNS1_25lookback_scan_determinismE0ELb0ES3_N6thrust23THRUST_200600_302600_NS6detail15normal_iteratorINS9_10device_ptrIiEEEENSB_INSC_IfEEEESG_fNS9_4plusIvEENS9_8equal_toIvEEfEE10hipError_tPvRmT2_T3_T4_T5_mT6_T7_P12ihipStream_tbENKUlT_T0_E_clISt17integral_constantIbLb0EES11_EEDaSW_SX_EUlSW_E_NS1_11comp_targetILNS1_3genE10ELNS1_11target_archE1200ELNS1_3gpuE4ELNS1_3repE0EEENS1_30default_config_static_selectorELNS0_4arch9wavefront6targetE1EEEvT1_
; %bb.0:
	.section	.rodata,"a",@progbits
	.p2align	6, 0x0
	.amdhsa_kernel _ZN7rocprim17ROCPRIM_400000_NS6detail17trampoline_kernelINS0_14default_configENS1_27scan_by_key_config_selectorIifEEZZNS1_16scan_by_key_implILNS1_25lookback_scan_determinismE0ELb0ES3_N6thrust23THRUST_200600_302600_NS6detail15normal_iteratorINS9_10device_ptrIiEEEENSB_INSC_IfEEEESG_fNS9_4plusIvEENS9_8equal_toIvEEfEE10hipError_tPvRmT2_T3_T4_T5_mT6_T7_P12ihipStream_tbENKUlT_T0_E_clISt17integral_constantIbLb0EES11_EEDaSW_SX_EUlSW_E_NS1_11comp_targetILNS1_3genE10ELNS1_11target_archE1200ELNS1_3gpuE4ELNS1_3repE0EEENS1_30default_config_static_selectorELNS0_4arch9wavefront6targetE1EEEvT1_
		.amdhsa_group_segment_fixed_size 0
		.amdhsa_private_segment_fixed_size 0
		.amdhsa_kernarg_size 112
		.amdhsa_user_sgpr_count 2
		.amdhsa_user_sgpr_dispatch_ptr 0
		.amdhsa_user_sgpr_queue_ptr 0
		.amdhsa_user_sgpr_kernarg_segment_ptr 1
		.amdhsa_user_sgpr_dispatch_id 0
		.amdhsa_user_sgpr_kernarg_preload_length 0
		.amdhsa_user_sgpr_kernarg_preload_offset 0
		.amdhsa_user_sgpr_private_segment_size 0
		.amdhsa_uses_dynamic_stack 0
		.amdhsa_enable_private_segment 0
		.amdhsa_system_sgpr_workgroup_id_x 1
		.amdhsa_system_sgpr_workgroup_id_y 0
		.amdhsa_system_sgpr_workgroup_id_z 0
		.amdhsa_system_sgpr_workgroup_info 0
		.amdhsa_system_vgpr_workitem_id 0
		.amdhsa_next_free_vgpr 1
		.amdhsa_next_free_sgpr 0
		.amdhsa_accum_offset 4
		.amdhsa_reserve_vcc 0
		.amdhsa_float_round_mode_32 0
		.amdhsa_float_round_mode_16_64 0
		.amdhsa_float_denorm_mode_32 3
		.amdhsa_float_denorm_mode_16_64 3
		.amdhsa_dx10_clamp 1
		.amdhsa_ieee_mode 1
		.amdhsa_fp16_overflow 0
		.amdhsa_tg_split 0
		.amdhsa_exception_fp_ieee_invalid_op 0
		.amdhsa_exception_fp_denorm_src 0
		.amdhsa_exception_fp_ieee_div_zero 0
		.amdhsa_exception_fp_ieee_overflow 0
		.amdhsa_exception_fp_ieee_underflow 0
		.amdhsa_exception_fp_ieee_inexact 0
		.amdhsa_exception_int_div_zero 0
	.end_amdhsa_kernel
	.section	.text._ZN7rocprim17ROCPRIM_400000_NS6detail17trampoline_kernelINS0_14default_configENS1_27scan_by_key_config_selectorIifEEZZNS1_16scan_by_key_implILNS1_25lookback_scan_determinismE0ELb0ES3_N6thrust23THRUST_200600_302600_NS6detail15normal_iteratorINS9_10device_ptrIiEEEENSB_INSC_IfEEEESG_fNS9_4plusIvEENS9_8equal_toIvEEfEE10hipError_tPvRmT2_T3_T4_T5_mT6_T7_P12ihipStream_tbENKUlT_T0_E_clISt17integral_constantIbLb0EES11_EEDaSW_SX_EUlSW_E_NS1_11comp_targetILNS1_3genE10ELNS1_11target_archE1200ELNS1_3gpuE4ELNS1_3repE0EEENS1_30default_config_static_selectorELNS0_4arch9wavefront6targetE1EEEvT1_,"axG",@progbits,_ZN7rocprim17ROCPRIM_400000_NS6detail17trampoline_kernelINS0_14default_configENS1_27scan_by_key_config_selectorIifEEZZNS1_16scan_by_key_implILNS1_25lookback_scan_determinismE0ELb0ES3_N6thrust23THRUST_200600_302600_NS6detail15normal_iteratorINS9_10device_ptrIiEEEENSB_INSC_IfEEEESG_fNS9_4plusIvEENS9_8equal_toIvEEfEE10hipError_tPvRmT2_T3_T4_T5_mT6_T7_P12ihipStream_tbENKUlT_T0_E_clISt17integral_constantIbLb0EES11_EEDaSW_SX_EUlSW_E_NS1_11comp_targetILNS1_3genE10ELNS1_11target_archE1200ELNS1_3gpuE4ELNS1_3repE0EEENS1_30default_config_static_selectorELNS0_4arch9wavefront6targetE1EEEvT1_,comdat
.Lfunc_end1136:
	.size	_ZN7rocprim17ROCPRIM_400000_NS6detail17trampoline_kernelINS0_14default_configENS1_27scan_by_key_config_selectorIifEEZZNS1_16scan_by_key_implILNS1_25lookback_scan_determinismE0ELb0ES3_N6thrust23THRUST_200600_302600_NS6detail15normal_iteratorINS9_10device_ptrIiEEEENSB_INSC_IfEEEESG_fNS9_4plusIvEENS9_8equal_toIvEEfEE10hipError_tPvRmT2_T3_T4_T5_mT6_T7_P12ihipStream_tbENKUlT_T0_E_clISt17integral_constantIbLb0EES11_EEDaSW_SX_EUlSW_E_NS1_11comp_targetILNS1_3genE10ELNS1_11target_archE1200ELNS1_3gpuE4ELNS1_3repE0EEENS1_30default_config_static_selectorELNS0_4arch9wavefront6targetE1EEEvT1_, .Lfunc_end1136-_ZN7rocprim17ROCPRIM_400000_NS6detail17trampoline_kernelINS0_14default_configENS1_27scan_by_key_config_selectorIifEEZZNS1_16scan_by_key_implILNS1_25lookback_scan_determinismE0ELb0ES3_N6thrust23THRUST_200600_302600_NS6detail15normal_iteratorINS9_10device_ptrIiEEEENSB_INSC_IfEEEESG_fNS9_4plusIvEENS9_8equal_toIvEEfEE10hipError_tPvRmT2_T3_T4_T5_mT6_T7_P12ihipStream_tbENKUlT_T0_E_clISt17integral_constantIbLb0EES11_EEDaSW_SX_EUlSW_E_NS1_11comp_targetILNS1_3genE10ELNS1_11target_archE1200ELNS1_3gpuE4ELNS1_3repE0EEENS1_30default_config_static_selectorELNS0_4arch9wavefront6targetE1EEEvT1_
                                        ; -- End function
	.section	.AMDGPU.csdata,"",@progbits
; Kernel info:
; codeLenInByte = 0
; NumSgprs: 6
; NumVgprs: 0
; NumAgprs: 0
; TotalNumVgprs: 0
; ScratchSize: 0
; MemoryBound: 0
; FloatMode: 240
; IeeeMode: 1
; LDSByteSize: 0 bytes/workgroup (compile time only)
; SGPRBlocks: 0
; VGPRBlocks: 0
; NumSGPRsForWavesPerEU: 6
; NumVGPRsForWavesPerEU: 1
; AccumOffset: 4
; Occupancy: 8
; WaveLimiterHint : 0
; COMPUTE_PGM_RSRC2:SCRATCH_EN: 0
; COMPUTE_PGM_RSRC2:USER_SGPR: 2
; COMPUTE_PGM_RSRC2:TRAP_HANDLER: 0
; COMPUTE_PGM_RSRC2:TGID_X_EN: 1
; COMPUTE_PGM_RSRC2:TGID_Y_EN: 0
; COMPUTE_PGM_RSRC2:TGID_Z_EN: 0
; COMPUTE_PGM_RSRC2:TIDIG_COMP_CNT: 0
; COMPUTE_PGM_RSRC3_GFX90A:ACCUM_OFFSET: 0
; COMPUTE_PGM_RSRC3_GFX90A:TG_SPLIT: 0
	.section	.text._ZN7rocprim17ROCPRIM_400000_NS6detail17trampoline_kernelINS0_14default_configENS1_27scan_by_key_config_selectorIifEEZZNS1_16scan_by_key_implILNS1_25lookback_scan_determinismE0ELb0ES3_N6thrust23THRUST_200600_302600_NS6detail15normal_iteratorINS9_10device_ptrIiEEEENSB_INSC_IfEEEESG_fNS9_4plusIvEENS9_8equal_toIvEEfEE10hipError_tPvRmT2_T3_T4_T5_mT6_T7_P12ihipStream_tbENKUlT_T0_E_clISt17integral_constantIbLb0EES11_EEDaSW_SX_EUlSW_E_NS1_11comp_targetILNS1_3genE9ELNS1_11target_archE1100ELNS1_3gpuE3ELNS1_3repE0EEENS1_30default_config_static_selectorELNS0_4arch9wavefront6targetE1EEEvT1_,"axG",@progbits,_ZN7rocprim17ROCPRIM_400000_NS6detail17trampoline_kernelINS0_14default_configENS1_27scan_by_key_config_selectorIifEEZZNS1_16scan_by_key_implILNS1_25lookback_scan_determinismE0ELb0ES3_N6thrust23THRUST_200600_302600_NS6detail15normal_iteratorINS9_10device_ptrIiEEEENSB_INSC_IfEEEESG_fNS9_4plusIvEENS9_8equal_toIvEEfEE10hipError_tPvRmT2_T3_T4_T5_mT6_T7_P12ihipStream_tbENKUlT_T0_E_clISt17integral_constantIbLb0EES11_EEDaSW_SX_EUlSW_E_NS1_11comp_targetILNS1_3genE9ELNS1_11target_archE1100ELNS1_3gpuE3ELNS1_3repE0EEENS1_30default_config_static_selectorELNS0_4arch9wavefront6targetE1EEEvT1_,comdat
	.protected	_ZN7rocprim17ROCPRIM_400000_NS6detail17trampoline_kernelINS0_14default_configENS1_27scan_by_key_config_selectorIifEEZZNS1_16scan_by_key_implILNS1_25lookback_scan_determinismE0ELb0ES3_N6thrust23THRUST_200600_302600_NS6detail15normal_iteratorINS9_10device_ptrIiEEEENSB_INSC_IfEEEESG_fNS9_4plusIvEENS9_8equal_toIvEEfEE10hipError_tPvRmT2_T3_T4_T5_mT6_T7_P12ihipStream_tbENKUlT_T0_E_clISt17integral_constantIbLb0EES11_EEDaSW_SX_EUlSW_E_NS1_11comp_targetILNS1_3genE9ELNS1_11target_archE1100ELNS1_3gpuE3ELNS1_3repE0EEENS1_30default_config_static_selectorELNS0_4arch9wavefront6targetE1EEEvT1_ ; -- Begin function _ZN7rocprim17ROCPRIM_400000_NS6detail17trampoline_kernelINS0_14default_configENS1_27scan_by_key_config_selectorIifEEZZNS1_16scan_by_key_implILNS1_25lookback_scan_determinismE0ELb0ES3_N6thrust23THRUST_200600_302600_NS6detail15normal_iteratorINS9_10device_ptrIiEEEENSB_INSC_IfEEEESG_fNS9_4plusIvEENS9_8equal_toIvEEfEE10hipError_tPvRmT2_T3_T4_T5_mT6_T7_P12ihipStream_tbENKUlT_T0_E_clISt17integral_constantIbLb0EES11_EEDaSW_SX_EUlSW_E_NS1_11comp_targetILNS1_3genE9ELNS1_11target_archE1100ELNS1_3gpuE3ELNS1_3repE0EEENS1_30default_config_static_selectorELNS0_4arch9wavefront6targetE1EEEvT1_
	.globl	_ZN7rocprim17ROCPRIM_400000_NS6detail17trampoline_kernelINS0_14default_configENS1_27scan_by_key_config_selectorIifEEZZNS1_16scan_by_key_implILNS1_25lookback_scan_determinismE0ELb0ES3_N6thrust23THRUST_200600_302600_NS6detail15normal_iteratorINS9_10device_ptrIiEEEENSB_INSC_IfEEEESG_fNS9_4plusIvEENS9_8equal_toIvEEfEE10hipError_tPvRmT2_T3_T4_T5_mT6_T7_P12ihipStream_tbENKUlT_T0_E_clISt17integral_constantIbLb0EES11_EEDaSW_SX_EUlSW_E_NS1_11comp_targetILNS1_3genE9ELNS1_11target_archE1100ELNS1_3gpuE3ELNS1_3repE0EEENS1_30default_config_static_selectorELNS0_4arch9wavefront6targetE1EEEvT1_
	.p2align	8
	.type	_ZN7rocprim17ROCPRIM_400000_NS6detail17trampoline_kernelINS0_14default_configENS1_27scan_by_key_config_selectorIifEEZZNS1_16scan_by_key_implILNS1_25lookback_scan_determinismE0ELb0ES3_N6thrust23THRUST_200600_302600_NS6detail15normal_iteratorINS9_10device_ptrIiEEEENSB_INSC_IfEEEESG_fNS9_4plusIvEENS9_8equal_toIvEEfEE10hipError_tPvRmT2_T3_T4_T5_mT6_T7_P12ihipStream_tbENKUlT_T0_E_clISt17integral_constantIbLb0EES11_EEDaSW_SX_EUlSW_E_NS1_11comp_targetILNS1_3genE9ELNS1_11target_archE1100ELNS1_3gpuE3ELNS1_3repE0EEENS1_30default_config_static_selectorELNS0_4arch9wavefront6targetE1EEEvT1_,@function
_ZN7rocprim17ROCPRIM_400000_NS6detail17trampoline_kernelINS0_14default_configENS1_27scan_by_key_config_selectorIifEEZZNS1_16scan_by_key_implILNS1_25lookback_scan_determinismE0ELb0ES3_N6thrust23THRUST_200600_302600_NS6detail15normal_iteratorINS9_10device_ptrIiEEEENSB_INSC_IfEEEESG_fNS9_4plusIvEENS9_8equal_toIvEEfEE10hipError_tPvRmT2_T3_T4_T5_mT6_T7_P12ihipStream_tbENKUlT_T0_E_clISt17integral_constantIbLb0EES11_EEDaSW_SX_EUlSW_E_NS1_11comp_targetILNS1_3genE9ELNS1_11target_archE1100ELNS1_3gpuE3ELNS1_3repE0EEENS1_30default_config_static_selectorELNS0_4arch9wavefront6targetE1EEEvT1_: ; @_ZN7rocprim17ROCPRIM_400000_NS6detail17trampoline_kernelINS0_14default_configENS1_27scan_by_key_config_selectorIifEEZZNS1_16scan_by_key_implILNS1_25lookback_scan_determinismE0ELb0ES3_N6thrust23THRUST_200600_302600_NS6detail15normal_iteratorINS9_10device_ptrIiEEEENSB_INSC_IfEEEESG_fNS9_4plusIvEENS9_8equal_toIvEEfEE10hipError_tPvRmT2_T3_T4_T5_mT6_T7_P12ihipStream_tbENKUlT_T0_E_clISt17integral_constantIbLb0EES11_EEDaSW_SX_EUlSW_E_NS1_11comp_targetILNS1_3genE9ELNS1_11target_archE1100ELNS1_3gpuE3ELNS1_3repE0EEENS1_30default_config_static_selectorELNS0_4arch9wavefront6targetE1EEEvT1_
; %bb.0:
	.section	.rodata,"a",@progbits
	.p2align	6, 0x0
	.amdhsa_kernel _ZN7rocprim17ROCPRIM_400000_NS6detail17trampoline_kernelINS0_14default_configENS1_27scan_by_key_config_selectorIifEEZZNS1_16scan_by_key_implILNS1_25lookback_scan_determinismE0ELb0ES3_N6thrust23THRUST_200600_302600_NS6detail15normal_iteratorINS9_10device_ptrIiEEEENSB_INSC_IfEEEESG_fNS9_4plusIvEENS9_8equal_toIvEEfEE10hipError_tPvRmT2_T3_T4_T5_mT6_T7_P12ihipStream_tbENKUlT_T0_E_clISt17integral_constantIbLb0EES11_EEDaSW_SX_EUlSW_E_NS1_11comp_targetILNS1_3genE9ELNS1_11target_archE1100ELNS1_3gpuE3ELNS1_3repE0EEENS1_30default_config_static_selectorELNS0_4arch9wavefront6targetE1EEEvT1_
		.amdhsa_group_segment_fixed_size 0
		.amdhsa_private_segment_fixed_size 0
		.amdhsa_kernarg_size 112
		.amdhsa_user_sgpr_count 2
		.amdhsa_user_sgpr_dispatch_ptr 0
		.amdhsa_user_sgpr_queue_ptr 0
		.amdhsa_user_sgpr_kernarg_segment_ptr 1
		.amdhsa_user_sgpr_dispatch_id 0
		.amdhsa_user_sgpr_kernarg_preload_length 0
		.amdhsa_user_sgpr_kernarg_preload_offset 0
		.amdhsa_user_sgpr_private_segment_size 0
		.amdhsa_uses_dynamic_stack 0
		.amdhsa_enable_private_segment 0
		.amdhsa_system_sgpr_workgroup_id_x 1
		.amdhsa_system_sgpr_workgroup_id_y 0
		.amdhsa_system_sgpr_workgroup_id_z 0
		.amdhsa_system_sgpr_workgroup_info 0
		.amdhsa_system_vgpr_workitem_id 0
		.amdhsa_next_free_vgpr 1
		.amdhsa_next_free_sgpr 0
		.amdhsa_accum_offset 4
		.amdhsa_reserve_vcc 0
		.amdhsa_float_round_mode_32 0
		.amdhsa_float_round_mode_16_64 0
		.amdhsa_float_denorm_mode_32 3
		.amdhsa_float_denorm_mode_16_64 3
		.amdhsa_dx10_clamp 1
		.amdhsa_ieee_mode 1
		.amdhsa_fp16_overflow 0
		.amdhsa_tg_split 0
		.amdhsa_exception_fp_ieee_invalid_op 0
		.amdhsa_exception_fp_denorm_src 0
		.amdhsa_exception_fp_ieee_div_zero 0
		.amdhsa_exception_fp_ieee_overflow 0
		.amdhsa_exception_fp_ieee_underflow 0
		.amdhsa_exception_fp_ieee_inexact 0
		.amdhsa_exception_int_div_zero 0
	.end_amdhsa_kernel
	.section	.text._ZN7rocprim17ROCPRIM_400000_NS6detail17trampoline_kernelINS0_14default_configENS1_27scan_by_key_config_selectorIifEEZZNS1_16scan_by_key_implILNS1_25lookback_scan_determinismE0ELb0ES3_N6thrust23THRUST_200600_302600_NS6detail15normal_iteratorINS9_10device_ptrIiEEEENSB_INSC_IfEEEESG_fNS9_4plusIvEENS9_8equal_toIvEEfEE10hipError_tPvRmT2_T3_T4_T5_mT6_T7_P12ihipStream_tbENKUlT_T0_E_clISt17integral_constantIbLb0EES11_EEDaSW_SX_EUlSW_E_NS1_11comp_targetILNS1_3genE9ELNS1_11target_archE1100ELNS1_3gpuE3ELNS1_3repE0EEENS1_30default_config_static_selectorELNS0_4arch9wavefront6targetE1EEEvT1_,"axG",@progbits,_ZN7rocprim17ROCPRIM_400000_NS6detail17trampoline_kernelINS0_14default_configENS1_27scan_by_key_config_selectorIifEEZZNS1_16scan_by_key_implILNS1_25lookback_scan_determinismE0ELb0ES3_N6thrust23THRUST_200600_302600_NS6detail15normal_iteratorINS9_10device_ptrIiEEEENSB_INSC_IfEEEESG_fNS9_4plusIvEENS9_8equal_toIvEEfEE10hipError_tPvRmT2_T3_T4_T5_mT6_T7_P12ihipStream_tbENKUlT_T0_E_clISt17integral_constantIbLb0EES11_EEDaSW_SX_EUlSW_E_NS1_11comp_targetILNS1_3genE9ELNS1_11target_archE1100ELNS1_3gpuE3ELNS1_3repE0EEENS1_30default_config_static_selectorELNS0_4arch9wavefront6targetE1EEEvT1_,comdat
.Lfunc_end1137:
	.size	_ZN7rocprim17ROCPRIM_400000_NS6detail17trampoline_kernelINS0_14default_configENS1_27scan_by_key_config_selectorIifEEZZNS1_16scan_by_key_implILNS1_25lookback_scan_determinismE0ELb0ES3_N6thrust23THRUST_200600_302600_NS6detail15normal_iteratorINS9_10device_ptrIiEEEENSB_INSC_IfEEEESG_fNS9_4plusIvEENS9_8equal_toIvEEfEE10hipError_tPvRmT2_T3_T4_T5_mT6_T7_P12ihipStream_tbENKUlT_T0_E_clISt17integral_constantIbLb0EES11_EEDaSW_SX_EUlSW_E_NS1_11comp_targetILNS1_3genE9ELNS1_11target_archE1100ELNS1_3gpuE3ELNS1_3repE0EEENS1_30default_config_static_selectorELNS0_4arch9wavefront6targetE1EEEvT1_, .Lfunc_end1137-_ZN7rocprim17ROCPRIM_400000_NS6detail17trampoline_kernelINS0_14default_configENS1_27scan_by_key_config_selectorIifEEZZNS1_16scan_by_key_implILNS1_25lookback_scan_determinismE0ELb0ES3_N6thrust23THRUST_200600_302600_NS6detail15normal_iteratorINS9_10device_ptrIiEEEENSB_INSC_IfEEEESG_fNS9_4plusIvEENS9_8equal_toIvEEfEE10hipError_tPvRmT2_T3_T4_T5_mT6_T7_P12ihipStream_tbENKUlT_T0_E_clISt17integral_constantIbLb0EES11_EEDaSW_SX_EUlSW_E_NS1_11comp_targetILNS1_3genE9ELNS1_11target_archE1100ELNS1_3gpuE3ELNS1_3repE0EEENS1_30default_config_static_selectorELNS0_4arch9wavefront6targetE1EEEvT1_
                                        ; -- End function
	.section	.AMDGPU.csdata,"",@progbits
; Kernel info:
; codeLenInByte = 0
; NumSgprs: 6
; NumVgprs: 0
; NumAgprs: 0
; TotalNumVgprs: 0
; ScratchSize: 0
; MemoryBound: 0
; FloatMode: 240
; IeeeMode: 1
; LDSByteSize: 0 bytes/workgroup (compile time only)
; SGPRBlocks: 0
; VGPRBlocks: 0
; NumSGPRsForWavesPerEU: 6
; NumVGPRsForWavesPerEU: 1
; AccumOffset: 4
; Occupancy: 8
; WaveLimiterHint : 0
; COMPUTE_PGM_RSRC2:SCRATCH_EN: 0
; COMPUTE_PGM_RSRC2:USER_SGPR: 2
; COMPUTE_PGM_RSRC2:TRAP_HANDLER: 0
; COMPUTE_PGM_RSRC2:TGID_X_EN: 1
; COMPUTE_PGM_RSRC2:TGID_Y_EN: 0
; COMPUTE_PGM_RSRC2:TGID_Z_EN: 0
; COMPUTE_PGM_RSRC2:TIDIG_COMP_CNT: 0
; COMPUTE_PGM_RSRC3_GFX90A:ACCUM_OFFSET: 0
; COMPUTE_PGM_RSRC3_GFX90A:TG_SPLIT: 0
	.section	.text._ZN7rocprim17ROCPRIM_400000_NS6detail17trampoline_kernelINS0_14default_configENS1_27scan_by_key_config_selectorIifEEZZNS1_16scan_by_key_implILNS1_25lookback_scan_determinismE0ELb0ES3_N6thrust23THRUST_200600_302600_NS6detail15normal_iteratorINS9_10device_ptrIiEEEENSB_INSC_IfEEEESG_fNS9_4plusIvEENS9_8equal_toIvEEfEE10hipError_tPvRmT2_T3_T4_T5_mT6_T7_P12ihipStream_tbENKUlT_T0_E_clISt17integral_constantIbLb0EES11_EEDaSW_SX_EUlSW_E_NS1_11comp_targetILNS1_3genE8ELNS1_11target_archE1030ELNS1_3gpuE2ELNS1_3repE0EEENS1_30default_config_static_selectorELNS0_4arch9wavefront6targetE1EEEvT1_,"axG",@progbits,_ZN7rocprim17ROCPRIM_400000_NS6detail17trampoline_kernelINS0_14default_configENS1_27scan_by_key_config_selectorIifEEZZNS1_16scan_by_key_implILNS1_25lookback_scan_determinismE0ELb0ES3_N6thrust23THRUST_200600_302600_NS6detail15normal_iteratorINS9_10device_ptrIiEEEENSB_INSC_IfEEEESG_fNS9_4plusIvEENS9_8equal_toIvEEfEE10hipError_tPvRmT2_T3_T4_T5_mT6_T7_P12ihipStream_tbENKUlT_T0_E_clISt17integral_constantIbLb0EES11_EEDaSW_SX_EUlSW_E_NS1_11comp_targetILNS1_3genE8ELNS1_11target_archE1030ELNS1_3gpuE2ELNS1_3repE0EEENS1_30default_config_static_selectorELNS0_4arch9wavefront6targetE1EEEvT1_,comdat
	.protected	_ZN7rocprim17ROCPRIM_400000_NS6detail17trampoline_kernelINS0_14default_configENS1_27scan_by_key_config_selectorIifEEZZNS1_16scan_by_key_implILNS1_25lookback_scan_determinismE0ELb0ES3_N6thrust23THRUST_200600_302600_NS6detail15normal_iteratorINS9_10device_ptrIiEEEENSB_INSC_IfEEEESG_fNS9_4plusIvEENS9_8equal_toIvEEfEE10hipError_tPvRmT2_T3_T4_T5_mT6_T7_P12ihipStream_tbENKUlT_T0_E_clISt17integral_constantIbLb0EES11_EEDaSW_SX_EUlSW_E_NS1_11comp_targetILNS1_3genE8ELNS1_11target_archE1030ELNS1_3gpuE2ELNS1_3repE0EEENS1_30default_config_static_selectorELNS0_4arch9wavefront6targetE1EEEvT1_ ; -- Begin function _ZN7rocprim17ROCPRIM_400000_NS6detail17trampoline_kernelINS0_14default_configENS1_27scan_by_key_config_selectorIifEEZZNS1_16scan_by_key_implILNS1_25lookback_scan_determinismE0ELb0ES3_N6thrust23THRUST_200600_302600_NS6detail15normal_iteratorINS9_10device_ptrIiEEEENSB_INSC_IfEEEESG_fNS9_4plusIvEENS9_8equal_toIvEEfEE10hipError_tPvRmT2_T3_T4_T5_mT6_T7_P12ihipStream_tbENKUlT_T0_E_clISt17integral_constantIbLb0EES11_EEDaSW_SX_EUlSW_E_NS1_11comp_targetILNS1_3genE8ELNS1_11target_archE1030ELNS1_3gpuE2ELNS1_3repE0EEENS1_30default_config_static_selectorELNS0_4arch9wavefront6targetE1EEEvT1_
	.globl	_ZN7rocprim17ROCPRIM_400000_NS6detail17trampoline_kernelINS0_14default_configENS1_27scan_by_key_config_selectorIifEEZZNS1_16scan_by_key_implILNS1_25lookback_scan_determinismE0ELb0ES3_N6thrust23THRUST_200600_302600_NS6detail15normal_iteratorINS9_10device_ptrIiEEEENSB_INSC_IfEEEESG_fNS9_4plusIvEENS9_8equal_toIvEEfEE10hipError_tPvRmT2_T3_T4_T5_mT6_T7_P12ihipStream_tbENKUlT_T0_E_clISt17integral_constantIbLb0EES11_EEDaSW_SX_EUlSW_E_NS1_11comp_targetILNS1_3genE8ELNS1_11target_archE1030ELNS1_3gpuE2ELNS1_3repE0EEENS1_30default_config_static_selectorELNS0_4arch9wavefront6targetE1EEEvT1_
	.p2align	8
	.type	_ZN7rocprim17ROCPRIM_400000_NS6detail17trampoline_kernelINS0_14default_configENS1_27scan_by_key_config_selectorIifEEZZNS1_16scan_by_key_implILNS1_25lookback_scan_determinismE0ELb0ES3_N6thrust23THRUST_200600_302600_NS6detail15normal_iteratorINS9_10device_ptrIiEEEENSB_INSC_IfEEEESG_fNS9_4plusIvEENS9_8equal_toIvEEfEE10hipError_tPvRmT2_T3_T4_T5_mT6_T7_P12ihipStream_tbENKUlT_T0_E_clISt17integral_constantIbLb0EES11_EEDaSW_SX_EUlSW_E_NS1_11comp_targetILNS1_3genE8ELNS1_11target_archE1030ELNS1_3gpuE2ELNS1_3repE0EEENS1_30default_config_static_selectorELNS0_4arch9wavefront6targetE1EEEvT1_,@function
_ZN7rocprim17ROCPRIM_400000_NS6detail17trampoline_kernelINS0_14default_configENS1_27scan_by_key_config_selectorIifEEZZNS1_16scan_by_key_implILNS1_25lookback_scan_determinismE0ELb0ES3_N6thrust23THRUST_200600_302600_NS6detail15normal_iteratorINS9_10device_ptrIiEEEENSB_INSC_IfEEEESG_fNS9_4plusIvEENS9_8equal_toIvEEfEE10hipError_tPvRmT2_T3_T4_T5_mT6_T7_P12ihipStream_tbENKUlT_T0_E_clISt17integral_constantIbLb0EES11_EEDaSW_SX_EUlSW_E_NS1_11comp_targetILNS1_3genE8ELNS1_11target_archE1030ELNS1_3gpuE2ELNS1_3repE0EEENS1_30default_config_static_selectorELNS0_4arch9wavefront6targetE1EEEvT1_: ; @_ZN7rocprim17ROCPRIM_400000_NS6detail17trampoline_kernelINS0_14default_configENS1_27scan_by_key_config_selectorIifEEZZNS1_16scan_by_key_implILNS1_25lookback_scan_determinismE0ELb0ES3_N6thrust23THRUST_200600_302600_NS6detail15normal_iteratorINS9_10device_ptrIiEEEENSB_INSC_IfEEEESG_fNS9_4plusIvEENS9_8equal_toIvEEfEE10hipError_tPvRmT2_T3_T4_T5_mT6_T7_P12ihipStream_tbENKUlT_T0_E_clISt17integral_constantIbLb0EES11_EEDaSW_SX_EUlSW_E_NS1_11comp_targetILNS1_3genE8ELNS1_11target_archE1030ELNS1_3gpuE2ELNS1_3repE0EEENS1_30default_config_static_selectorELNS0_4arch9wavefront6targetE1EEEvT1_
; %bb.0:
	.section	.rodata,"a",@progbits
	.p2align	6, 0x0
	.amdhsa_kernel _ZN7rocprim17ROCPRIM_400000_NS6detail17trampoline_kernelINS0_14default_configENS1_27scan_by_key_config_selectorIifEEZZNS1_16scan_by_key_implILNS1_25lookback_scan_determinismE0ELb0ES3_N6thrust23THRUST_200600_302600_NS6detail15normal_iteratorINS9_10device_ptrIiEEEENSB_INSC_IfEEEESG_fNS9_4plusIvEENS9_8equal_toIvEEfEE10hipError_tPvRmT2_T3_T4_T5_mT6_T7_P12ihipStream_tbENKUlT_T0_E_clISt17integral_constantIbLb0EES11_EEDaSW_SX_EUlSW_E_NS1_11comp_targetILNS1_3genE8ELNS1_11target_archE1030ELNS1_3gpuE2ELNS1_3repE0EEENS1_30default_config_static_selectorELNS0_4arch9wavefront6targetE1EEEvT1_
		.amdhsa_group_segment_fixed_size 0
		.amdhsa_private_segment_fixed_size 0
		.amdhsa_kernarg_size 112
		.amdhsa_user_sgpr_count 2
		.amdhsa_user_sgpr_dispatch_ptr 0
		.amdhsa_user_sgpr_queue_ptr 0
		.amdhsa_user_sgpr_kernarg_segment_ptr 1
		.amdhsa_user_sgpr_dispatch_id 0
		.amdhsa_user_sgpr_kernarg_preload_length 0
		.amdhsa_user_sgpr_kernarg_preload_offset 0
		.amdhsa_user_sgpr_private_segment_size 0
		.amdhsa_uses_dynamic_stack 0
		.amdhsa_enable_private_segment 0
		.amdhsa_system_sgpr_workgroup_id_x 1
		.amdhsa_system_sgpr_workgroup_id_y 0
		.amdhsa_system_sgpr_workgroup_id_z 0
		.amdhsa_system_sgpr_workgroup_info 0
		.amdhsa_system_vgpr_workitem_id 0
		.amdhsa_next_free_vgpr 1
		.amdhsa_next_free_sgpr 0
		.amdhsa_accum_offset 4
		.amdhsa_reserve_vcc 0
		.amdhsa_float_round_mode_32 0
		.amdhsa_float_round_mode_16_64 0
		.amdhsa_float_denorm_mode_32 3
		.amdhsa_float_denorm_mode_16_64 3
		.amdhsa_dx10_clamp 1
		.amdhsa_ieee_mode 1
		.amdhsa_fp16_overflow 0
		.amdhsa_tg_split 0
		.amdhsa_exception_fp_ieee_invalid_op 0
		.amdhsa_exception_fp_denorm_src 0
		.amdhsa_exception_fp_ieee_div_zero 0
		.amdhsa_exception_fp_ieee_overflow 0
		.amdhsa_exception_fp_ieee_underflow 0
		.amdhsa_exception_fp_ieee_inexact 0
		.amdhsa_exception_int_div_zero 0
	.end_amdhsa_kernel
	.section	.text._ZN7rocprim17ROCPRIM_400000_NS6detail17trampoline_kernelINS0_14default_configENS1_27scan_by_key_config_selectorIifEEZZNS1_16scan_by_key_implILNS1_25lookback_scan_determinismE0ELb0ES3_N6thrust23THRUST_200600_302600_NS6detail15normal_iteratorINS9_10device_ptrIiEEEENSB_INSC_IfEEEESG_fNS9_4plusIvEENS9_8equal_toIvEEfEE10hipError_tPvRmT2_T3_T4_T5_mT6_T7_P12ihipStream_tbENKUlT_T0_E_clISt17integral_constantIbLb0EES11_EEDaSW_SX_EUlSW_E_NS1_11comp_targetILNS1_3genE8ELNS1_11target_archE1030ELNS1_3gpuE2ELNS1_3repE0EEENS1_30default_config_static_selectorELNS0_4arch9wavefront6targetE1EEEvT1_,"axG",@progbits,_ZN7rocprim17ROCPRIM_400000_NS6detail17trampoline_kernelINS0_14default_configENS1_27scan_by_key_config_selectorIifEEZZNS1_16scan_by_key_implILNS1_25lookback_scan_determinismE0ELb0ES3_N6thrust23THRUST_200600_302600_NS6detail15normal_iteratorINS9_10device_ptrIiEEEENSB_INSC_IfEEEESG_fNS9_4plusIvEENS9_8equal_toIvEEfEE10hipError_tPvRmT2_T3_T4_T5_mT6_T7_P12ihipStream_tbENKUlT_T0_E_clISt17integral_constantIbLb0EES11_EEDaSW_SX_EUlSW_E_NS1_11comp_targetILNS1_3genE8ELNS1_11target_archE1030ELNS1_3gpuE2ELNS1_3repE0EEENS1_30default_config_static_selectorELNS0_4arch9wavefront6targetE1EEEvT1_,comdat
.Lfunc_end1138:
	.size	_ZN7rocprim17ROCPRIM_400000_NS6detail17trampoline_kernelINS0_14default_configENS1_27scan_by_key_config_selectorIifEEZZNS1_16scan_by_key_implILNS1_25lookback_scan_determinismE0ELb0ES3_N6thrust23THRUST_200600_302600_NS6detail15normal_iteratorINS9_10device_ptrIiEEEENSB_INSC_IfEEEESG_fNS9_4plusIvEENS9_8equal_toIvEEfEE10hipError_tPvRmT2_T3_T4_T5_mT6_T7_P12ihipStream_tbENKUlT_T0_E_clISt17integral_constantIbLb0EES11_EEDaSW_SX_EUlSW_E_NS1_11comp_targetILNS1_3genE8ELNS1_11target_archE1030ELNS1_3gpuE2ELNS1_3repE0EEENS1_30default_config_static_selectorELNS0_4arch9wavefront6targetE1EEEvT1_, .Lfunc_end1138-_ZN7rocprim17ROCPRIM_400000_NS6detail17trampoline_kernelINS0_14default_configENS1_27scan_by_key_config_selectorIifEEZZNS1_16scan_by_key_implILNS1_25lookback_scan_determinismE0ELb0ES3_N6thrust23THRUST_200600_302600_NS6detail15normal_iteratorINS9_10device_ptrIiEEEENSB_INSC_IfEEEESG_fNS9_4plusIvEENS9_8equal_toIvEEfEE10hipError_tPvRmT2_T3_T4_T5_mT6_T7_P12ihipStream_tbENKUlT_T0_E_clISt17integral_constantIbLb0EES11_EEDaSW_SX_EUlSW_E_NS1_11comp_targetILNS1_3genE8ELNS1_11target_archE1030ELNS1_3gpuE2ELNS1_3repE0EEENS1_30default_config_static_selectorELNS0_4arch9wavefront6targetE1EEEvT1_
                                        ; -- End function
	.section	.AMDGPU.csdata,"",@progbits
; Kernel info:
; codeLenInByte = 0
; NumSgprs: 6
; NumVgprs: 0
; NumAgprs: 0
; TotalNumVgprs: 0
; ScratchSize: 0
; MemoryBound: 0
; FloatMode: 240
; IeeeMode: 1
; LDSByteSize: 0 bytes/workgroup (compile time only)
; SGPRBlocks: 0
; VGPRBlocks: 0
; NumSGPRsForWavesPerEU: 6
; NumVGPRsForWavesPerEU: 1
; AccumOffset: 4
; Occupancy: 8
; WaveLimiterHint : 0
; COMPUTE_PGM_RSRC2:SCRATCH_EN: 0
; COMPUTE_PGM_RSRC2:USER_SGPR: 2
; COMPUTE_PGM_RSRC2:TRAP_HANDLER: 0
; COMPUTE_PGM_RSRC2:TGID_X_EN: 1
; COMPUTE_PGM_RSRC2:TGID_Y_EN: 0
; COMPUTE_PGM_RSRC2:TGID_Z_EN: 0
; COMPUTE_PGM_RSRC2:TIDIG_COMP_CNT: 0
; COMPUTE_PGM_RSRC3_GFX90A:ACCUM_OFFSET: 0
; COMPUTE_PGM_RSRC3_GFX90A:TG_SPLIT: 0
	.section	.text._ZN7rocprim17ROCPRIM_400000_NS6detail30init_device_scan_by_key_kernelINS1_19lookback_scan_stateINS0_5tupleIJfbEEELb1ELb1EEEN6thrust23THRUST_200600_302600_NS6detail15normal_iteratorINS8_10device_ptrIiEEEEjNS1_16block_id_wrapperIjLb1EEEEEvT_jjPNSG_10value_typeET0_PNSt15iterator_traitsISJ_E10value_typeEmT1_T2_,"axG",@progbits,_ZN7rocprim17ROCPRIM_400000_NS6detail30init_device_scan_by_key_kernelINS1_19lookback_scan_stateINS0_5tupleIJfbEEELb1ELb1EEEN6thrust23THRUST_200600_302600_NS6detail15normal_iteratorINS8_10device_ptrIiEEEEjNS1_16block_id_wrapperIjLb1EEEEEvT_jjPNSG_10value_typeET0_PNSt15iterator_traitsISJ_E10value_typeEmT1_T2_,comdat
	.protected	_ZN7rocprim17ROCPRIM_400000_NS6detail30init_device_scan_by_key_kernelINS1_19lookback_scan_stateINS0_5tupleIJfbEEELb1ELb1EEEN6thrust23THRUST_200600_302600_NS6detail15normal_iteratorINS8_10device_ptrIiEEEEjNS1_16block_id_wrapperIjLb1EEEEEvT_jjPNSG_10value_typeET0_PNSt15iterator_traitsISJ_E10value_typeEmT1_T2_ ; -- Begin function _ZN7rocprim17ROCPRIM_400000_NS6detail30init_device_scan_by_key_kernelINS1_19lookback_scan_stateINS0_5tupleIJfbEEELb1ELb1EEEN6thrust23THRUST_200600_302600_NS6detail15normal_iteratorINS8_10device_ptrIiEEEEjNS1_16block_id_wrapperIjLb1EEEEEvT_jjPNSG_10value_typeET0_PNSt15iterator_traitsISJ_E10value_typeEmT1_T2_
	.globl	_ZN7rocprim17ROCPRIM_400000_NS6detail30init_device_scan_by_key_kernelINS1_19lookback_scan_stateINS0_5tupleIJfbEEELb1ELb1EEEN6thrust23THRUST_200600_302600_NS6detail15normal_iteratorINS8_10device_ptrIiEEEEjNS1_16block_id_wrapperIjLb1EEEEEvT_jjPNSG_10value_typeET0_PNSt15iterator_traitsISJ_E10value_typeEmT1_T2_
	.p2align	8
	.type	_ZN7rocprim17ROCPRIM_400000_NS6detail30init_device_scan_by_key_kernelINS1_19lookback_scan_stateINS0_5tupleIJfbEEELb1ELb1EEEN6thrust23THRUST_200600_302600_NS6detail15normal_iteratorINS8_10device_ptrIiEEEEjNS1_16block_id_wrapperIjLb1EEEEEvT_jjPNSG_10value_typeET0_PNSt15iterator_traitsISJ_E10value_typeEmT1_T2_,@function
_ZN7rocprim17ROCPRIM_400000_NS6detail30init_device_scan_by_key_kernelINS1_19lookback_scan_stateINS0_5tupleIJfbEEELb1ELb1EEEN6thrust23THRUST_200600_302600_NS6detail15normal_iteratorINS8_10device_ptrIiEEEEjNS1_16block_id_wrapperIjLb1EEEEEvT_jjPNSG_10value_typeET0_PNSt15iterator_traitsISJ_E10value_typeEmT1_T2_: ; @_ZN7rocprim17ROCPRIM_400000_NS6detail30init_device_scan_by_key_kernelINS1_19lookback_scan_stateINS0_5tupleIJfbEEELb1ELb1EEEN6thrust23THRUST_200600_302600_NS6detail15normal_iteratorINS8_10device_ptrIiEEEEjNS1_16block_id_wrapperIjLb1EEEEEvT_jjPNSG_10value_typeET0_PNSt15iterator_traitsISJ_E10value_typeEmT1_T2_
; %bb.0:
	s_load_dword s3, s[0:1], 0x4c
	s_load_dwordx8 s[4:11], s[0:1], 0x0
	s_load_dword s18, s[0:1], 0x40
	s_waitcnt lgkmcnt(0)
	s_and_b32 s19, s3, 0xffff
	s_mul_i32 s2, s2, s19
	s_cmp_eq_u64 s[8:9], 0
	v_add_u32_e32 v4, s2, v0
	s_cbranch_scc1 .LBB1139_10
; %bb.1:
	s_cmp_lt_u32 s7, s6
	s_cselect_b32 s2, s7, 0
	s_mov_b32 s13, 0
	v_cmp_eq_u32_e32 vcc, s2, v4
	s_and_saveexec_b64 s[2:3], vcc
	s_cbranch_execz .LBB1139_9
; %bb.2:
	s_add_i32 s12, s7, 64
	s_lshl_b64 s[12:13], s[12:13], 4
	s_add_u32 s16, s4, s12
	s_addc_u32 s17, s5, s13
	v_mov_b64_e32 v[0:1], s[16:17]
	;;#ASMSTART
	global_load_dwordx4 v[0:3], v[0:1] off sc1	
s_waitcnt vmcnt(0)
	;;#ASMEND
	v_mov_b32_e32 v7, 0
	v_and_b32_e32 v6, 0xff, v2
	s_mov_b64 s[14:15], 0
	v_cmp_eq_u64_e32 vcc, 0, v[6:7]
	s_and_saveexec_b64 s[12:13], vcc
	s_cbranch_execz .LBB1139_8
; %bb.3:
	s_mov_b32 s7, 1
	v_mov_b64_e32 v[8:9], s[16:17]
.LBB1139_4:                             ; =>This Loop Header: Depth=1
                                        ;     Child Loop BB1139_5 Depth 2
	s_max_u32 s16, s7, 1
.LBB1139_5:                             ;   Parent Loop BB1139_4 Depth=1
                                        ; =>  This Inner Loop Header: Depth=2
	s_add_i32 s16, s16, -1
	s_cmp_eq_u32 s16, 0
	s_sleep 1
	s_cbranch_scc0 .LBB1139_5
; %bb.6:                                ;   in Loop: Header=BB1139_4 Depth=1
	s_cmp_lt_u32 s7, 32
	s_cselect_b64 s[16:17], -1, 0
	s_cmp_lg_u64 s[16:17], 0
	;;#ASMSTART
	global_load_dwordx4 v[0:3], v[8:9] off sc1	
s_waitcnt vmcnt(0)
	;;#ASMEND
	s_addc_u32 s7, s7, 0
	v_and_b32_e32 v6, 0xff, v2
	v_cmp_ne_u64_e32 vcc, 0, v[6:7]
	s_or_b64 s[14:15], vcc, s[14:15]
	s_andn2_b64 exec, exec, s[14:15]
	s_cbranch_execnz .LBB1139_4
; %bb.7:
	s_or_b64 exec, exec, s[14:15]
.LBB1139_8:
	s_or_b64 exec, exec, s[12:13]
	v_mov_b32_e32 v2, 0
	global_store_dword v2, v0, s[8:9]
	global_store_byte v2, v1, s[8:9] offset:4
.LBB1139_9:
	s_or_b64 exec, exec, s[2:3]
.LBB1139_10:
	v_cmp_eq_u32_e32 vcc, 0, v4
	s_and_saveexec_b64 s[2:3], vcc
	s_cbranch_execz .LBB1139_12
; %bb.11:
	s_load_dwordx2 s[8:9], s[0:1], 0x38
	v_mov_b32_e32 v0, 0
	s_waitcnt lgkmcnt(0)
	global_store_dword v0, v0, s[8:9]
.LBB1139_12:
	s_or_b64 exec, exec, s[2:3]
	v_cmp_gt_u32_e32 vcc, s6, v4
	s_and_saveexec_b64 s[2:3], vcc
	s_cbranch_execz .LBB1139_14
; %bb.13:
	v_add_u32_e32 v0, 64, v4
	v_mov_b32_e32 v1, 0
	v_lshl_add_u64 v[6:7], v[0:1], 4, s[4:5]
	v_mov_b32_e32 v0, v1
	v_mov_b32_e32 v2, v1
	;; [unrolled: 1-line block ×3, first 2 shown]
	global_store_dwordx4 v[6:7], v[0:3], off
.LBB1139_14:
	s_or_b64 exec, exec, s[2:3]
	v_cmp_gt_u32_e32 vcc, 64, v4
	v_mov_b32_e32 v5, 0
	s_and_saveexec_b64 s[2:3], vcc
	s_cbranch_execz .LBB1139_16
; %bb.15:
	v_lshl_add_u64 v[6:7], v[4:5], 4, s[4:5]
	v_mov_b32_e32 v2, 0xff
	v_mov_b32_e32 v0, v5
	;; [unrolled: 1-line block ×4, first 2 shown]
	global_store_dwordx4 v[6:7], v[0:3], off
.LBB1139_16:
	s_or_b64 exec, exec, s[2:3]
	s_load_dwordx2 s[2:3], s[0:1], 0x28
	s_waitcnt lgkmcnt(0)
	v_cmp_gt_u64_e32 vcc, s[2:3], v[4:5]
	s_and_saveexec_b64 s[4:5], vcc
	s_cbranch_execz .LBB1139_19
; %bb.17:
	s_load_dword s12, s[0:1], 0x30
	s_load_dwordx2 s[6:7], s[0:1], 0x20
	s_mov_b32 s5, 0
	s_mov_b32 s1, s5
	s_mul_i32 s0, s18, s19
	s_waitcnt lgkmcnt(0)
	s_add_i32 s4, s12, -1
	s_lshl_b64 s[4:5], s[4:5], 2
	s_add_u32 s4, s10, s4
	v_mad_u64_u32 v[0:1], s[8:9], s12, v4, 0
	s_addc_u32 s5, s11, s5
	v_lshl_add_u64 v[0:1], v[0:1], 2, s[4:5]
	s_mul_hi_u32 s5, s12, s0
	s_mul_i32 s4, s12, s0
	s_lshl_b64 s[4:5], s[4:5], 2
	v_lshl_add_u64 v[2:3], v[4:5], 2, s[6:7]
	s_lshl_b64 s[6:7], s[0:1], 2
	s_mov_b64 s[8:9], 0
.LBB1139_18:                            ; =>This Inner Loop Header: Depth=1
	global_load_dword v6, v[0:1], off
	v_lshl_add_u64 v[4:5], v[4:5], 0, s[0:1]
	v_cmp_le_u64_e32 vcc, s[2:3], v[4:5]
	v_lshl_add_u64 v[0:1], v[0:1], 0, s[4:5]
	s_or_b64 s[8:9], vcc, s[8:9]
	s_waitcnt vmcnt(0)
	global_store_dword v[2:3], v6, off
	v_lshl_add_u64 v[2:3], v[2:3], 0, s[6:7]
	s_andn2_b64 exec, exec, s[8:9]
	s_cbranch_execnz .LBB1139_18
.LBB1139_19:
	s_endpgm
	.section	.rodata,"a",@progbits
	.p2align	6, 0x0
	.amdhsa_kernel _ZN7rocprim17ROCPRIM_400000_NS6detail30init_device_scan_by_key_kernelINS1_19lookback_scan_stateINS0_5tupleIJfbEEELb1ELb1EEEN6thrust23THRUST_200600_302600_NS6detail15normal_iteratorINS8_10device_ptrIiEEEEjNS1_16block_id_wrapperIjLb1EEEEEvT_jjPNSG_10value_typeET0_PNSt15iterator_traitsISJ_E10value_typeEmT1_T2_
		.amdhsa_group_segment_fixed_size 0
		.amdhsa_private_segment_fixed_size 0
		.amdhsa_kernarg_size 320
		.amdhsa_user_sgpr_count 2
		.amdhsa_user_sgpr_dispatch_ptr 0
		.amdhsa_user_sgpr_queue_ptr 0
		.amdhsa_user_sgpr_kernarg_segment_ptr 1
		.amdhsa_user_sgpr_dispatch_id 0
		.amdhsa_user_sgpr_kernarg_preload_length 0
		.amdhsa_user_sgpr_kernarg_preload_offset 0
		.amdhsa_user_sgpr_private_segment_size 0
		.amdhsa_uses_dynamic_stack 0
		.amdhsa_enable_private_segment 0
		.amdhsa_system_sgpr_workgroup_id_x 1
		.amdhsa_system_sgpr_workgroup_id_y 0
		.amdhsa_system_sgpr_workgroup_id_z 0
		.amdhsa_system_sgpr_workgroup_info 0
		.amdhsa_system_vgpr_workitem_id 0
		.amdhsa_next_free_vgpr 10
		.amdhsa_next_free_sgpr 20
		.amdhsa_accum_offset 12
		.amdhsa_reserve_vcc 1
		.amdhsa_float_round_mode_32 0
		.amdhsa_float_round_mode_16_64 0
		.amdhsa_float_denorm_mode_32 3
		.amdhsa_float_denorm_mode_16_64 3
		.amdhsa_dx10_clamp 1
		.amdhsa_ieee_mode 1
		.amdhsa_fp16_overflow 0
		.amdhsa_tg_split 0
		.amdhsa_exception_fp_ieee_invalid_op 0
		.amdhsa_exception_fp_denorm_src 0
		.amdhsa_exception_fp_ieee_div_zero 0
		.amdhsa_exception_fp_ieee_overflow 0
		.amdhsa_exception_fp_ieee_underflow 0
		.amdhsa_exception_fp_ieee_inexact 0
		.amdhsa_exception_int_div_zero 0
	.end_amdhsa_kernel
	.section	.text._ZN7rocprim17ROCPRIM_400000_NS6detail30init_device_scan_by_key_kernelINS1_19lookback_scan_stateINS0_5tupleIJfbEEELb1ELb1EEEN6thrust23THRUST_200600_302600_NS6detail15normal_iteratorINS8_10device_ptrIiEEEEjNS1_16block_id_wrapperIjLb1EEEEEvT_jjPNSG_10value_typeET0_PNSt15iterator_traitsISJ_E10value_typeEmT1_T2_,"axG",@progbits,_ZN7rocprim17ROCPRIM_400000_NS6detail30init_device_scan_by_key_kernelINS1_19lookback_scan_stateINS0_5tupleIJfbEEELb1ELb1EEEN6thrust23THRUST_200600_302600_NS6detail15normal_iteratorINS8_10device_ptrIiEEEEjNS1_16block_id_wrapperIjLb1EEEEEvT_jjPNSG_10value_typeET0_PNSt15iterator_traitsISJ_E10value_typeEmT1_T2_,comdat
.Lfunc_end1139:
	.size	_ZN7rocprim17ROCPRIM_400000_NS6detail30init_device_scan_by_key_kernelINS1_19lookback_scan_stateINS0_5tupleIJfbEEELb1ELb1EEEN6thrust23THRUST_200600_302600_NS6detail15normal_iteratorINS8_10device_ptrIiEEEEjNS1_16block_id_wrapperIjLb1EEEEEvT_jjPNSG_10value_typeET0_PNSt15iterator_traitsISJ_E10value_typeEmT1_T2_, .Lfunc_end1139-_ZN7rocprim17ROCPRIM_400000_NS6detail30init_device_scan_by_key_kernelINS1_19lookback_scan_stateINS0_5tupleIJfbEEELb1ELb1EEEN6thrust23THRUST_200600_302600_NS6detail15normal_iteratorINS8_10device_ptrIiEEEEjNS1_16block_id_wrapperIjLb1EEEEEvT_jjPNSG_10value_typeET0_PNSt15iterator_traitsISJ_E10value_typeEmT1_T2_
                                        ; -- End function
	.section	.AMDGPU.csdata,"",@progbits
; Kernel info:
; codeLenInByte = 584
; NumSgprs: 26
; NumVgprs: 10
; NumAgprs: 0
; TotalNumVgprs: 10
; ScratchSize: 0
; MemoryBound: 0
; FloatMode: 240
; IeeeMode: 1
; LDSByteSize: 0 bytes/workgroup (compile time only)
; SGPRBlocks: 3
; VGPRBlocks: 1
; NumSGPRsForWavesPerEU: 26
; NumVGPRsForWavesPerEU: 10
; AccumOffset: 12
; Occupancy: 8
; WaveLimiterHint : 0
; COMPUTE_PGM_RSRC2:SCRATCH_EN: 0
; COMPUTE_PGM_RSRC2:USER_SGPR: 2
; COMPUTE_PGM_RSRC2:TRAP_HANDLER: 0
; COMPUTE_PGM_RSRC2:TGID_X_EN: 1
; COMPUTE_PGM_RSRC2:TGID_Y_EN: 0
; COMPUTE_PGM_RSRC2:TGID_Z_EN: 0
; COMPUTE_PGM_RSRC2:TIDIG_COMP_CNT: 0
; COMPUTE_PGM_RSRC3_GFX90A:ACCUM_OFFSET: 2
; COMPUTE_PGM_RSRC3_GFX90A:TG_SPLIT: 0
	.section	.text._ZN7rocprim17ROCPRIM_400000_NS6detail30init_device_scan_by_key_kernelINS1_19lookback_scan_stateINS0_5tupleIJfbEEELb1ELb1EEENS1_16block_id_wrapperIjLb1EEEEEvT_jjPNS9_10value_typeET0_,"axG",@progbits,_ZN7rocprim17ROCPRIM_400000_NS6detail30init_device_scan_by_key_kernelINS1_19lookback_scan_stateINS0_5tupleIJfbEEELb1ELb1EEENS1_16block_id_wrapperIjLb1EEEEEvT_jjPNS9_10value_typeET0_,comdat
	.protected	_ZN7rocprim17ROCPRIM_400000_NS6detail30init_device_scan_by_key_kernelINS1_19lookback_scan_stateINS0_5tupleIJfbEEELb1ELb1EEENS1_16block_id_wrapperIjLb1EEEEEvT_jjPNS9_10value_typeET0_ ; -- Begin function _ZN7rocprim17ROCPRIM_400000_NS6detail30init_device_scan_by_key_kernelINS1_19lookback_scan_stateINS0_5tupleIJfbEEELb1ELb1EEENS1_16block_id_wrapperIjLb1EEEEEvT_jjPNS9_10value_typeET0_
	.globl	_ZN7rocprim17ROCPRIM_400000_NS6detail30init_device_scan_by_key_kernelINS1_19lookback_scan_stateINS0_5tupleIJfbEEELb1ELb1EEENS1_16block_id_wrapperIjLb1EEEEEvT_jjPNS9_10value_typeET0_
	.p2align	8
	.type	_ZN7rocprim17ROCPRIM_400000_NS6detail30init_device_scan_by_key_kernelINS1_19lookback_scan_stateINS0_5tupleIJfbEEELb1ELb1EEENS1_16block_id_wrapperIjLb1EEEEEvT_jjPNS9_10value_typeET0_,@function
_ZN7rocprim17ROCPRIM_400000_NS6detail30init_device_scan_by_key_kernelINS1_19lookback_scan_stateINS0_5tupleIJfbEEELb1ELb1EEENS1_16block_id_wrapperIjLb1EEEEEvT_jjPNS9_10value_typeET0_: ; @_ZN7rocprim17ROCPRIM_400000_NS6detail30init_device_scan_by_key_kernelINS1_19lookback_scan_stateINS0_5tupleIJfbEEELb1ELb1EEENS1_16block_id_wrapperIjLb1EEEEEvT_jjPNS9_10value_typeET0_
; %bb.0:
	s_load_dword s3, s[0:1], 0x2c
	s_load_dwordx8 s[4:11], s[0:1], 0x0
	s_waitcnt lgkmcnt(0)
	s_and_b32 s0, s3, 0xffff
	s_mul_i32 s2, s2, s0
	s_cmp_eq_u64 s[8:9], 0
	v_add_u32_e32 v0, s2, v0
	s_cbranch_scc1 .LBB1140_10
; %bb.1:
	s_cmp_lt_u32 s7, s6
	s_cselect_b32 s0, s7, 0
	s_mov_b32 s3, 0
	v_cmp_eq_u32_e32 vcc, s0, v0
	s_and_saveexec_b64 s[0:1], vcc
	s_cbranch_execz .LBB1140_9
; %bb.2:
	s_add_i32 s2, s7, 64
	s_lshl_b64 s[2:3], s[2:3], 4
	s_add_u32 s14, s4, s2
	s_addc_u32 s15, s5, s3
	v_mov_b64_e32 v[2:3], s[14:15]
	;;#ASMSTART
	global_load_dwordx4 v[2:5], v[2:3] off sc1	
s_waitcnt vmcnt(0)
	;;#ASMEND
	v_mov_b32_e32 v7, 0
	v_and_b32_e32 v6, 0xff, v4
	s_mov_b64 s[12:13], 0
	v_cmp_eq_u64_e32 vcc, 0, v[6:7]
	s_and_saveexec_b64 s[2:3], vcc
	s_cbranch_execz .LBB1140_8
; %bb.3:
	s_mov_b32 s7, 1
	v_mov_b64_e32 v[8:9], s[14:15]
.LBB1140_4:                             ; =>This Loop Header: Depth=1
                                        ;     Child Loop BB1140_5 Depth 2
	s_max_u32 s14, s7, 1
.LBB1140_5:                             ;   Parent Loop BB1140_4 Depth=1
                                        ; =>  This Inner Loop Header: Depth=2
	s_add_i32 s14, s14, -1
	s_cmp_eq_u32 s14, 0
	s_sleep 1
	s_cbranch_scc0 .LBB1140_5
; %bb.6:                                ;   in Loop: Header=BB1140_4 Depth=1
	s_cmp_lt_u32 s7, 32
	s_cselect_b64 s[14:15], -1, 0
	s_cmp_lg_u64 s[14:15], 0
	;;#ASMSTART
	global_load_dwordx4 v[2:5], v[8:9] off sc1	
s_waitcnt vmcnt(0)
	;;#ASMEND
	s_addc_u32 s7, s7, 0
	v_and_b32_e32 v6, 0xff, v4
	v_cmp_ne_u64_e32 vcc, 0, v[6:7]
	s_or_b64 s[12:13], vcc, s[12:13]
	s_andn2_b64 exec, exec, s[12:13]
	s_cbranch_execnz .LBB1140_4
; %bb.7:
	s_or_b64 exec, exec, s[12:13]
.LBB1140_8:
	s_or_b64 exec, exec, s[2:3]
	v_mov_b32_e32 v1, 0
	global_store_dword v1, v2, s[8:9]
	global_store_byte v1, v3, s[8:9] offset:4
.LBB1140_9:
	s_or_b64 exec, exec, s[0:1]
.LBB1140_10:
	v_cmp_eq_u32_e32 vcc, 0, v0
	s_and_saveexec_b64 s[0:1], vcc
	s_cbranch_execnz .LBB1140_14
; %bb.11:
	s_or_b64 exec, exec, s[0:1]
	v_cmp_gt_u32_e32 vcc, s6, v0
	s_and_saveexec_b64 s[0:1], vcc
	s_cbranch_execnz .LBB1140_15
.LBB1140_12:
	s_or_b64 exec, exec, s[0:1]
	v_cmp_gt_u32_e32 vcc, 64, v0
	s_and_saveexec_b64 s[0:1], vcc
	s_cbranch_execnz .LBB1140_16
.LBB1140_13:
	s_endpgm
.LBB1140_14:
	v_mov_b32_e32 v1, 0
	global_store_dword v1, v1, s[10:11]
	s_or_b64 exec, exec, s[0:1]
	v_cmp_gt_u32_e32 vcc, s6, v0
	s_and_saveexec_b64 s[0:1], vcc
	s_cbranch_execz .LBB1140_12
.LBB1140_15:
	v_add_u32_e32 v2, 64, v0
	v_mov_b32_e32 v3, 0
	v_lshl_add_u64 v[6:7], v[2:3], 4, s[4:5]
	v_mov_b32_e32 v2, v3
	v_mov_b32_e32 v4, v3
	;; [unrolled: 1-line block ×3, first 2 shown]
	global_store_dwordx4 v[6:7], v[2:5], off
	s_or_b64 exec, exec, s[0:1]
	v_cmp_gt_u32_e32 vcc, 64, v0
	s_and_saveexec_b64 s[0:1], vcc
	s_cbranch_execz .LBB1140_13
.LBB1140_16:
	v_mov_b32_e32 v1, 0
	v_lshl_add_u64 v[4:5], v[0:1], 4, s[4:5]
	v_mov_b32_e32 v2, 0xff
	v_mov_b32_e32 v0, v1
	;; [unrolled: 1-line block ×3, first 2 shown]
	global_store_dwordx4 v[4:5], v[0:3], off
	s_endpgm
	.section	.rodata,"a",@progbits
	.p2align	6, 0x0
	.amdhsa_kernel _ZN7rocprim17ROCPRIM_400000_NS6detail30init_device_scan_by_key_kernelINS1_19lookback_scan_stateINS0_5tupleIJfbEEELb1ELb1EEENS1_16block_id_wrapperIjLb1EEEEEvT_jjPNS9_10value_typeET0_
		.amdhsa_group_segment_fixed_size 0
		.amdhsa_private_segment_fixed_size 0
		.amdhsa_kernarg_size 288
		.amdhsa_user_sgpr_count 2
		.amdhsa_user_sgpr_dispatch_ptr 0
		.amdhsa_user_sgpr_queue_ptr 0
		.amdhsa_user_sgpr_kernarg_segment_ptr 1
		.amdhsa_user_sgpr_dispatch_id 0
		.amdhsa_user_sgpr_kernarg_preload_length 0
		.amdhsa_user_sgpr_kernarg_preload_offset 0
		.amdhsa_user_sgpr_private_segment_size 0
		.amdhsa_uses_dynamic_stack 0
		.amdhsa_enable_private_segment 0
		.amdhsa_system_sgpr_workgroup_id_x 1
		.amdhsa_system_sgpr_workgroup_id_y 0
		.amdhsa_system_sgpr_workgroup_id_z 0
		.amdhsa_system_sgpr_workgroup_info 0
		.amdhsa_system_vgpr_workitem_id 0
		.amdhsa_next_free_vgpr 10
		.amdhsa_next_free_sgpr 16
		.amdhsa_accum_offset 12
		.amdhsa_reserve_vcc 1
		.amdhsa_float_round_mode_32 0
		.amdhsa_float_round_mode_16_64 0
		.amdhsa_float_denorm_mode_32 3
		.amdhsa_float_denorm_mode_16_64 3
		.amdhsa_dx10_clamp 1
		.amdhsa_ieee_mode 1
		.amdhsa_fp16_overflow 0
		.amdhsa_tg_split 0
		.amdhsa_exception_fp_ieee_invalid_op 0
		.amdhsa_exception_fp_denorm_src 0
		.amdhsa_exception_fp_ieee_div_zero 0
		.amdhsa_exception_fp_ieee_overflow 0
		.amdhsa_exception_fp_ieee_underflow 0
		.amdhsa_exception_fp_ieee_inexact 0
		.amdhsa_exception_int_div_zero 0
	.end_amdhsa_kernel
	.section	.text._ZN7rocprim17ROCPRIM_400000_NS6detail30init_device_scan_by_key_kernelINS1_19lookback_scan_stateINS0_5tupleIJfbEEELb1ELb1EEENS1_16block_id_wrapperIjLb1EEEEEvT_jjPNS9_10value_typeET0_,"axG",@progbits,_ZN7rocprim17ROCPRIM_400000_NS6detail30init_device_scan_by_key_kernelINS1_19lookback_scan_stateINS0_5tupleIJfbEEELb1ELb1EEENS1_16block_id_wrapperIjLb1EEEEEvT_jjPNS9_10value_typeET0_,comdat
.Lfunc_end1140:
	.size	_ZN7rocprim17ROCPRIM_400000_NS6detail30init_device_scan_by_key_kernelINS1_19lookback_scan_stateINS0_5tupleIJfbEEELb1ELb1EEENS1_16block_id_wrapperIjLb1EEEEEvT_jjPNS9_10value_typeET0_, .Lfunc_end1140-_ZN7rocprim17ROCPRIM_400000_NS6detail30init_device_scan_by_key_kernelINS1_19lookback_scan_stateINS0_5tupleIJfbEEELb1ELb1EEENS1_16block_id_wrapperIjLb1EEEEEvT_jjPNS9_10value_typeET0_
                                        ; -- End function
	.section	.AMDGPU.csdata,"",@progbits
; Kernel info:
; codeLenInByte = 416
; NumSgprs: 22
; NumVgprs: 10
; NumAgprs: 0
; TotalNumVgprs: 10
; ScratchSize: 0
; MemoryBound: 0
; FloatMode: 240
; IeeeMode: 1
; LDSByteSize: 0 bytes/workgroup (compile time only)
; SGPRBlocks: 2
; VGPRBlocks: 1
; NumSGPRsForWavesPerEU: 22
; NumVGPRsForWavesPerEU: 10
; AccumOffset: 12
; Occupancy: 8
; WaveLimiterHint : 0
; COMPUTE_PGM_RSRC2:SCRATCH_EN: 0
; COMPUTE_PGM_RSRC2:USER_SGPR: 2
; COMPUTE_PGM_RSRC2:TRAP_HANDLER: 0
; COMPUTE_PGM_RSRC2:TGID_X_EN: 1
; COMPUTE_PGM_RSRC2:TGID_Y_EN: 0
; COMPUTE_PGM_RSRC2:TGID_Z_EN: 0
; COMPUTE_PGM_RSRC2:TIDIG_COMP_CNT: 0
; COMPUTE_PGM_RSRC3_GFX90A:ACCUM_OFFSET: 2
; COMPUTE_PGM_RSRC3_GFX90A:TG_SPLIT: 0
	.section	.text._ZN7rocprim17ROCPRIM_400000_NS6detail17trampoline_kernelINS0_14default_configENS1_27scan_by_key_config_selectorIifEEZZNS1_16scan_by_key_implILNS1_25lookback_scan_determinismE0ELb0ES3_N6thrust23THRUST_200600_302600_NS6detail15normal_iteratorINS9_10device_ptrIiEEEENSB_INSC_IfEEEESG_fNS9_4plusIvEENS9_8equal_toIvEEfEE10hipError_tPvRmT2_T3_T4_T5_mT6_T7_P12ihipStream_tbENKUlT_T0_E_clISt17integral_constantIbLb1EES11_EEDaSW_SX_EUlSW_E_NS1_11comp_targetILNS1_3genE0ELNS1_11target_archE4294967295ELNS1_3gpuE0ELNS1_3repE0EEENS1_30default_config_static_selectorELNS0_4arch9wavefront6targetE1EEEvT1_,"axG",@progbits,_ZN7rocprim17ROCPRIM_400000_NS6detail17trampoline_kernelINS0_14default_configENS1_27scan_by_key_config_selectorIifEEZZNS1_16scan_by_key_implILNS1_25lookback_scan_determinismE0ELb0ES3_N6thrust23THRUST_200600_302600_NS6detail15normal_iteratorINS9_10device_ptrIiEEEENSB_INSC_IfEEEESG_fNS9_4plusIvEENS9_8equal_toIvEEfEE10hipError_tPvRmT2_T3_T4_T5_mT6_T7_P12ihipStream_tbENKUlT_T0_E_clISt17integral_constantIbLb1EES11_EEDaSW_SX_EUlSW_E_NS1_11comp_targetILNS1_3genE0ELNS1_11target_archE4294967295ELNS1_3gpuE0ELNS1_3repE0EEENS1_30default_config_static_selectorELNS0_4arch9wavefront6targetE1EEEvT1_,comdat
	.protected	_ZN7rocprim17ROCPRIM_400000_NS6detail17trampoline_kernelINS0_14default_configENS1_27scan_by_key_config_selectorIifEEZZNS1_16scan_by_key_implILNS1_25lookback_scan_determinismE0ELb0ES3_N6thrust23THRUST_200600_302600_NS6detail15normal_iteratorINS9_10device_ptrIiEEEENSB_INSC_IfEEEESG_fNS9_4plusIvEENS9_8equal_toIvEEfEE10hipError_tPvRmT2_T3_T4_T5_mT6_T7_P12ihipStream_tbENKUlT_T0_E_clISt17integral_constantIbLb1EES11_EEDaSW_SX_EUlSW_E_NS1_11comp_targetILNS1_3genE0ELNS1_11target_archE4294967295ELNS1_3gpuE0ELNS1_3repE0EEENS1_30default_config_static_selectorELNS0_4arch9wavefront6targetE1EEEvT1_ ; -- Begin function _ZN7rocprim17ROCPRIM_400000_NS6detail17trampoline_kernelINS0_14default_configENS1_27scan_by_key_config_selectorIifEEZZNS1_16scan_by_key_implILNS1_25lookback_scan_determinismE0ELb0ES3_N6thrust23THRUST_200600_302600_NS6detail15normal_iteratorINS9_10device_ptrIiEEEENSB_INSC_IfEEEESG_fNS9_4plusIvEENS9_8equal_toIvEEfEE10hipError_tPvRmT2_T3_T4_T5_mT6_T7_P12ihipStream_tbENKUlT_T0_E_clISt17integral_constantIbLb1EES11_EEDaSW_SX_EUlSW_E_NS1_11comp_targetILNS1_3genE0ELNS1_11target_archE4294967295ELNS1_3gpuE0ELNS1_3repE0EEENS1_30default_config_static_selectorELNS0_4arch9wavefront6targetE1EEEvT1_
	.globl	_ZN7rocprim17ROCPRIM_400000_NS6detail17trampoline_kernelINS0_14default_configENS1_27scan_by_key_config_selectorIifEEZZNS1_16scan_by_key_implILNS1_25lookback_scan_determinismE0ELb0ES3_N6thrust23THRUST_200600_302600_NS6detail15normal_iteratorINS9_10device_ptrIiEEEENSB_INSC_IfEEEESG_fNS9_4plusIvEENS9_8equal_toIvEEfEE10hipError_tPvRmT2_T3_T4_T5_mT6_T7_P12ihipStream_tbENKUlT_T0_E_clISt17integral_constantIbLb1EES11_EEDaSW_SX_EUlSW_E_NS1_11comp_targetILNS1_3genE0ELNS1_11target_archE4294967295ELNS1_3gpuE0ELNS1_3repE0EEENS1_30default_config_static_selectorELNS0_4arch9wavefront6targetE1EEEvT1_
	.p2align	8
	.type	_ZN7rocprim17ROCPRIM_400000_NS6detail17trampoline_kernelINS0_14default_configENS1_27scan_by_key_config_selectorIifEEZZNS1_16scan_by_key_implILNS1_25lookback_scan_determinismE0ELb0ES3_N6thrust23THRUST_200600_302600_NS6detail15normal_iteratorINS9_10device_ptrIiEEEENSB_INSC_IfEEEESG_fNS9_4plusIvEENS9_8equal_toIvEEfEE10hipError_tPvRmT2_T3_T4_T5_mT6_T7_P12ihipStream_tbENKUlT_T0_E_clISt17integral_constantIbLb1EES11_EEDaSW_SX_EUlSW_E_NS1_11comp_targetILNS1_3genE0ELNS1_11target_archE4294967295ELNS1_3gpuE0ELNS1_3repE0EEENS1_30default_config_static_selectorELNS0_4arch9wavefront6targetE1EEEvT1_,@function
_ZN7rocprim17ROCPRIM_400000_NS6detail17trampoline_kernelINS0_14default_configENS1_27scan_by_key_config_selectorIifEEZZNS1_16scan_by_key_implILNS1_25lookback_scan_determinismE0ELb0ES3_N6thrust23THRUST_200600_302600_NS6detail15normal_iteratorINS9_10device_ptrIiEEEENSB_INSC_IfEEEESG_fNS9_4plusIvEENS9_8equal_toIvEEfEE10hipError_tPvRmT2_T3_T4_T5_mT6_T7_P12ihipStream_tbENKUlT_T0_E_clISt17integral_constantIbLb1EES11_EEDaSW_SX_EUlSW_E_NS1_11comp_targetILNS1_3genE0ELNS1_11target_archE4294967295ELNS1_3gpuE0ELNS1_3repE0EEENS1_30default_config_static_selectorELNS0_4arch9wavefront6targetE1EEEvT1_: ; @_ZN7rocprim17ROCPRIM_400000_NS6detail17trampoline_kernelINS0_14default_configENS1_27scan_by_key_config_selectorIifEEZZNS1_16scan_by_key_implILNS1_25lookback_scan_determinismE0ELb0ES3_N6thrust23THRUST_200600_302600_NS6detail15normal_iteratorINS9_10device_ptrIiEEEENSB_INSC_IfEEEESG_fNS9_4plusIvEENS9_8equal_toIvEEfEE10hipError_tPvRmT2_T3_T4_T5_mT6_T7_P12ihipStream_tbENKUlT_T0_E_clISt17integral_constantIbLb1EES11_EEDaSW_SX_EUlSW_E_NS1_11comp_targetILNS1_3genE0ELNS1_11target_archE4294967295ELNS1_3gpuE0ELNS1_3repE0EEENS1_30default_config_static_selectorELNS0_4arch9wavefront6targetE1EEEvT1_
; %bb.0:
	.section	.rodata,"a",@progbits
	.p2align	6, 0x0
	.amdhsa_kernel _ZN7rocprim17ROCPRIM_400000_NS6detail17trampoline_kernelINS0_14default_configENS1_27scan_by_key_config_selectorIifEEZZNS1_16scan_by_key_implILNS1_25lookback_scan_determinismE0ELb0ES3_N6thrust23THRUST_200600_302600_NS6detail15normal_iteratorINS9_10device_ptrIiEEEENSB_INSC_IfEEEESG_fNS9_4plusIvEENS9_8equal_toIvEEfEE10hipError_tPvRmT2_T3_T4_T5_mT6_T7_P12ihipStream_tbENKUlT_T0_E_clISt17integral_constantIbLb1EES11_EEDaSW_SX_EUlSW_E_NS1_11comp_targetILNS1_3genE0ELNS1_11target_archE4294967295ELNS1_3gpuE0ELNS1_3repE0EEENS1_30default_config_static_selectorELNS0_4arch9wavefront6targetE1EEEvT1_
		.amdhsa_group_segment_fixed_size 0
		.amdhsa_private_segment_fixed_size 0
		.amdhsa_kernarg_size 112
		.amdhsa_user_sgpr_count 2
		.amdhsa_user_sgpr_dispatch_ptr 0
		.amdhsa_user_sgpr_queue_ptr 0
		.amdhsa_user_sgpr_kernarg_segment_ptr 1
		.amdhsa_user_sgpr_dispatch_id 0
		.amdhsa_user_sgpr_kernarg_preload_length 0
		.amdhsa_user_sgpr_kernarg_preload_offset 0
		.amdhsa_user_sgpr_private_segment_size 0
		.amdhsa_uses_dynamic_stack 0
		.amdhsa_enable_private_segment 0
		.amdhsa_system_sgpr_workgroup_id_x 1
		.amdhsa_system_sgpr_workgroup_id_y 0
		.amdhsa_system_sgpr_workgroup_id_z 0
		.amdhsa_system_sgpr_workgroup_info 0
		.amdhsa_system_vgpr_workitem_id 0
		.amdhsa_next_free_vgpr 1
		.amdhsa_next_free_sgpr 0
		.amdhsa_accum_offset 4
		.amdhsa_reserve_vcc 0
		.amdhsa_float_round_mode_32 0
		.amdhsa_float_round_mode_16_64 0
		.amdhsa_float_denorm_mode_32 3
		.amdhsa_float_denorm_mode_16_64 3
		.amdhsa_dx10_clamp 1
		.amdhsa_ieee_mode 1
		.amdhsa_fp16_overflow 0
		.amdhsa_tg_split 0
		.amdhsa_exception_fp_ieee_invalid_op 0
		.amdhsa_exception_fp_denorm_src 0
		.amdhsa_exception_fp_ieee_div_zero 0
		.amdhsa_exception_fp_ieee_overflow 0
		.amdhsa_exception_fp_ieee_underflow 0
		.amdhsa_exception_fp_ieee_inexact 0
		.amdhsa_exception_int_div_zero 0
	.end_amdhsa_kernel
	.section	.text._ZN7rocprim17ROCPRIM_400000_NS6detail17trampoline_kernelINS0_14default_configENS1_27scan_by_key_config_selectorIifEEZZNS1_16scan_by_key_implILNS1_25lookback_scan_determinismE0ELb0ES3_N6thrust23THRUST_200600_302600_NS6detail15normal_iteratorINS9_10device_ptrIiEEEENSB_INSC_IfEEEESG_fNS9_4plusIvEENS9_8equal_toIvEEfEE10hipError_tPvRmT2_T3_T4_T5_mT6_T7_P12ihipStream_tbENKUlT_T0_E_clISt17integral_constantIbLb1EES11_EEDaSW_SX_EUlSW_E_NS1_11comp_targetILNS1_3genE0ELNS1_11target_archE4294967295ELNS1_3gpuE0ELNS1_3repE0EEENS1_30default_config_static_selectorELNS0_4arch9wavefront6targetE1EEEvT1_,"axG",@progbits,_ZN7rocprim17ROCPRIM_400000_NS6detail17trampoline_kernelINS0_14default_configENS1_27scan_by_key_config_selectorIifEEZZNS1_16scan_by_key_implILNS1_25lookback_scan_determinismE0ELb0ES3_N6thrust23THRUST_200600_302600_NS6detail15normal_iteratorINS9_10device_ptrIiEEEENSB_INSC_IfEEEESG_fNS9_4plusIvEENS9_8equal_toIvEEfEE10hipError_tPvRmT2_T3_T4_T5_mT6_T7_P12ihipStream_tbENKUlT_T0_E_clISt17integral_constantIbLb1EES11_EEDaSW_SX_EUlSW_E_NS1_11comp_targetILNS1_3genE0ELNS1_11target_archE4294967295ELNS1_3gpuE0ELNS1_3repE0EEENS1_30default_config_static_selectorELNS0_4arch9wavefront6targetE1EEEvT1_,comdat
.Lfunc_end1141:
	.size	_ZN7rocprim17ROCPRIM_400000_NS6detail17trampoline_kernelINS0_14default_configENS1_27scan_by_key_config_selectorIifEEZZNS1_16scan_by_key_implILNS1_25lookback_scan_determinismE0ELb0ES3_N6thrust23THRUST_200600_302600_NS6detail15normal_iteratorINS9_10device_ptrIiEEEENSB_INSC_IfEEEESG_fNS9_4plusIvEENS9_8equal_toIvEEfEE10hipError_tPvRmT2_T3_T4_T5_mT6_T7_P12ihipStream_tbENKUlT_T0_E_clISt17integral_constantIbLb1EES11_EEDaSW_SX_EUlSW_E_NS1_11comp_targetILNS1_3genE0ELNS1_11target_archE4294967295ELNS1_3gpuE0ELNS1_3repE0EEENS1_30default_config_static_selectorELNS0_4arch9wavefront6targetE1EEEvT1_, .Lfunc_end1141-_ZN7rocprim17ROCPRIM_400000_NS6detail17trampoline_kernelINS0_14default_configENS1_27scan_by_key_config_selectorIifEEZZNS1_16scan_by_key_implILNS1_25lookback_scan_determinismE0ELb0ES3_N6thrust23THRUST_200600_302600_NS6detail15normal_iteratorINS9_10device_ptrIiEEEENSB_INSC_IfEEEESG_fNS9_4plusIvEENS9_8equal_toIvEEfEE10hipError_tPvRmT2_T3_T4_T5_mT6_T7_P12ihipStream_tbENKUlT_T0_E_clISt17integral_constantIbLb1EES11_EEDaSW_SX_EUlSW_E_NS1_11comp_targetILNS1_3genE0ELNS1_11target_archE4294967295ELNS1_3gpuE0ELNS1_3repE0EEENS1_30default_config_static_selectorELNS0_4arch9wavefront6targetE1EEEvT1_
                                        ; -- End function
	.section	.AMDGPU.csdata,"",@progbits
; Kernel info:
; codeLenInByte = 0
; NumSgprs: 6
; NumVgprs: 0
; NumAgprs: 0
; TotalNumVgprs: 0
; ScratchSize: 0
; MemoryBound: 0
; FloatMode: 240
; IeeeMode: 1
; LDSByteSize: 0 bytes/workgroup (compile time only)
; SGPRBlocks: 0
; VGPRBlocks: 0
; NumSGPRsForWavesPerEU: 6
; NumVGPRsForWavesPerEU: 1
; AccumOffset: 4
; Occupancy: 8
; WaveLimiterHint : 0
; COMPUTE_PGM_RSRC2:SCRATCH_EN: 0
; COMPUTE_PGM_RSRC2:USER_SGPR: 2
; COMPUTE_PGM_RSRC2:TRAP_HANDLER: 0
; COMPUTE_PGM_RSRC2:TGID_X_EN: 1
; COMPUTE_PGM_RSRC2:TGID_Y_EN: 0
; COMPUTE_PGM_RSRC2:TGID_Z_EN: 0
; COMPUTE_PGM_RSRC2:TIDIG_COMP_CNT: 0
; COMPUTE_PGM_RSRC3_GFX90A:ACCUM_OFFSET: 0
; COMPUTE_PGM_RSRC3_GFX90A:TG_SPLIT: 0
	.section	.text._ZN7rocprim17ROCPRIM_400000_NS6detail17trampoline_kernelINS0_14default_configENS1_27scan_by_key_config_selectorIifEEZZNS1_16scan_by_key_implILNS1_25lookback_scan_determinismE0ELb0ES3_N6thrust23THRUST_200600_302600_NS6detail15normal_iteratorINS9_10device_ptrIiEEEENSB_INSC_IfEEEESG_fNS9_4plusIvEENS9_8equal_toIvEEfEE10hipError_tPvRmT2_T3_T4_T5_mT6_T7_P12ihipStream_tbENKUlT_T0_E_clISt17integral_constantIbLb1EES11_EEDaSW_SX_EUlSW_E_NS1_11comp_targetILNS1_3genE10ELNS1_11target_archE1201ELNS1_3gpuE5ELNS1_3repE0EEENS1_30default_config_static_selectorELNS0_4arch9wavefront6targetE1EEEvT1_,"axG",@progbits,_ZN7rocprim17ROCPRIM_400000_NS6detail17trampoline_kernelINS0_14default_configENS1_27scan_by_key_config_selectorIifEEZZNS1_16scan_by_key_implILNS1_25lookback_scan_determinismE0ELb0ES3_N6thrust23THRUST_200600_302600_NS6detail15normal_iteratorINS9_10device_ptrIiEEEENSB_INSC_IfEEEESG_fNS9_4plusIvEENS9_8equal_toIvEEfEE10hipError_tPvRmT2_T3_T4_T5_mT6_T7_P12ihipStream_tbENKUlT_T0_E_clISt17integral_constantIbLb1EES11_EEDaSW_SX_EUlSW_E_NS1_11comp_targetILNS1_3genE10ELNS1_11target_archE1201ELNS1_3gpuE5ELNS1_3repE0EEENS1_30default_config_static_selectorELNS0_4arch9wavefront6targetE1EEEvT1_,comdat
	.protected	_ZN7rocprim17ROCPRIM_400000_NS6detail17trampoline_kernelINS0_14default_configENS1_27scan_by_key_config_selectorIifEEZZNS1_16scan_by_key_implILNS1_25lookback_scan_determinismE0ELb0ES3_N6thrust23THRUST_200600_302600_NS6detail15normal_iteratorINS9_10device_ptrIiEEEENSB_INSC_IfEEEESG_fNS9_4plusIvEENS9_8equal_toIvEEfEE10hipError_tPvRmT2_T3_T4_T5_mT6_T7_P12ihipStream_tbENKUlT_T0_E_clISt17integral_constantIbLb1EES11_EEDaSW_SX_EUlSW_E_NS1_11comp_targetILNS1_3genE10ELNS1_11target_archE1201ELNS1_3gpuE5ELNS1_3repE0EEENS1_30default_config_static_selectorELNS0_4arch9wavefront6targetE1EEEvT1_ ; -- Begin function _ZN7rocprim17ROCPRIM_400000_NS6detail17trampoline_kernelINS0_14default_configENS1_27scan_by_key_config_selectorIifEEZZNS1_16scan_by_key_implILNS1_25lookback_scan_determinismE0ELb0ES3_N6thrust23THRUST_200600_302600_NS6detail15normal_iteratorINS9_10device_ptrIiEEEENSB_INSC_IfEEEESG_fNS9_4plusIvEENS9_8equal_toIvEEfEE10hipError_tPvRmT2_T3_T4_T5_mT6_T7_P12ihipStream_tbENKUlT_T0_E_clISt17integral_constantIbLb1EES11_EEDaSW_SX_EUlSW_E_NS1_11comp_targetILNS1_3genE10ELNS1_11target_archE1201ELNS1_3gpuE5ELNS1_3repE0EEENS1_30default_config_static_selectorELNS0_4arch9wavefront6targetE1EEEvT1_
	.globl	_ZN7rocprim17ROCPRIM_400000_NS6detail17trampoline_kernelINS0_14default_configENS1_27scan_by_key_config_selectorIifEEZZNS1_16scan_by_key_implILNS1_25lookback_scan_determinismE0ELb0ES3_N6thrust23THRUST_200600_302600_NS6detail15normal_iteratorINS9_10device_ptrIiEEEENSB_INSC_IfEEEESG_fNS9_4plusIvEENS9_8equal_toIvEEfEE10hipError_tPvRmT2_T3_T4_T5_mT6_T7_P12ihipStream_tbENKUlT_T0_E_clISt17integral_constantIbLb1EES11_EEDaSW_SX_EUlSW_E_NS1_11comp_targetILNS1_3genE10ELNS1_11target_archE1201ELNS1_3gpuE5ELNS1_3repE0EEENS1_30default_config_static_selectorELNS0_4arch9wavefront6targetE1EEEvT1_
	.p2align	8
	.type	_ZN7rocprim17ROCPRIM_400000_NS6detail17trampoline_kernelINS0_14default_configENS1_27scan_by_key_config_selectorIifEEZZNS1_16scan_by_key_implILNS1_25lookback_scan_determinismE0ELb0ES3_N6thrust23THRUST_200600_302600_NS6detail15normal_iteratorINS9_10device_ptrIiEEEENSB_INSC_IfEEEESG_fNS9_4plusIvEENS9_8equal_toIvEEfEE10hipError_tPvRmT2_T3_T4_T5_mT6_T7_P12ihipStream_tbENKUlT_T0_E_clISt17integral_constantIbLb1EES11_EEDaSW_SX_EUlSW_E_NS1_11comp_targetILNS1_3genE10ELNS1_11target_archE1201ELNS1_3gpuE5ELNS1_3repE0EEENS1_30default_config_static_selectorELNS0_4arch9wavefront6targetE1EEEvT1_,@function
_ZN7rocprim17ROCPRIM_400000_NS6detail17trampoline_kernelINS0_14default_configENS1_27scan_by_key_config_selectorIifEEZZNS1_16scan_by_key_implILNS1_25lookback_scan_determinismE0ELb0ES3_N6thrust23THRUST_200600_302600_NS6detail15normal_iteratorINS9_10device_ptrIiEEEENSB_INSC_IfEEEESG_fNS9_4plusIvEENS9_8equal_toIvEEfEE10hipError_tPvRmT2_T3_T4_T5_mT6_T7_P12ihipStream_tbENKUlT_T0_E_clISt17integral_constantIbLb1EES11_EEDaSW_SX_EUlSW_E_NS1_11comp_targetILNS1_3genE10ELNS1_11target_archE1201ELNS1_3gpuE5ELNS1_3repE0EEENS1_30default_config_static_selectorELNS0_4arch9wavefront6targetE1EEEvT1_: ; @_ZN7rocprim17ROCPRIM_400000_NS6detail17trampoline_kernelINS0_14default_configENS1_27scan_by_key_config_selectorIifEEZZNS1_16scan_by_key_implILNS1_25lookback_scan_determinismE0ELb0ES3_N6thrust23THRUST_200600_302600_NS6detail15normal_iteratorINS9_10device_ptrIiEEEENSB_INSC_IfEEEESG_fNS9_4plusIvEENS9_8equal_toIvEEfEE10hipError_tPvRmT2_T3_T4_T5_mT6_T7_P12ihipStream_tbENKUlT_T0_E_clISt17integral_constantIbLb1EES11_EEDaSW_SX_EUlSW_E_NS1_11comp_targetILNS1_3genE10ELNS1_11target_archE1201ELNS1_3gpuE5ELNS1_3repE0EEENS1_30default_config_static_selectorELNS0_4arch9wavefront6targetE1EEEvT1_
; %bb.0:
	.section	.rodata,"a",@progbits
	.p2align	6, 0x0
	.amdhsa_kernel _ZN7rocprim17ROCPRIM_400000_NS6detail17trampoline_kernelINS0_14default_configENS1_27scan_by_key_config_selectorIifEEZZNS1_16scan_by_key_implILNS1_25lookback_scan_determinismE0ELb0ES3_N6thrust23THRUST_200600_302600_NS6detail15normal_iteratorINS9_10device_ptrIiEEEENSB_INSC_IfEEEESG_fNS9_4plusIvEENS9_8equal_toIvEEfEE10hipError_tPvRmT2_T3_T4_T5_mT6_T7_P12ihipStream_tbENKUlT_T0_E_clISt17integral_constantIbLb1EES11_EEDaSW_SX_EUlSW_E_NS1_11comp_targetILNS1_3genE10ELNS1_11target_archE1201ELNS1_3gpuE5ELNS1_3repE0EEENS1_30default_config_static_selectorELNS0_4arch9wavefront6targetE1EEEvT1_
		.amdhsa_group_segment_fixed_size 0
		.amdhsa_private_segment_fixed_size 0
		.amdhsa_kernarg_size 112
		.amdhsa_user_sgpr_count 2
		.amdhsa_user_sgpr_dispatch_ptr 0
		.amdhsa_user_sgpr_queue_ptr 0
		.amdhsa_user_sgpr_kernarg_segment_ptr 1
		.amdhsa_user_sgpr_dispatch_id 0
		.amdhsa_user_sgpr_kernarg_preload_length 0
		.amdhsa_user_sgpr_kernarg_preload_offset 0
		.amdhsa_user_sgpr_private_segment_size 0
		.amdhsa_uses_dynamic_stack 0
		.amdhsa_enable_private_segment 0
		.amdhsa_system_sgpr_workgroup_id_x 1
		.amdhsa_system_sgpr_workgroup_id_y 0
		.amdhsa_system_sgpr_workgroup_id_z 0
		.amdhsa_system_sgpr_workgroup_info 0
		.amdhsa_system_vgpr_workitem_id 0
		.amdhsa_next_free_vgpr 1
		.amdhsa_next_free_sgpr 0
		.amdhsa_accum_offset 4
		.amdhsa_reserve_vcc 0
		.amdhsa_float_round_mode_32 0
		.amdhsa_float_round_mode_16_64 0
		.amdhsa_float_denorm_mode_32 3
		.amdhsa_float_denorm_mode_16_64 3
		.amdhsa_dx10_clamp 1
		.amdhsa_ieee_mode 1
		.amdhsa_fp16_overflow 0
		.amdhsa_tg_split 0
		.amdhsa_exception_fp_ieee_invalid_op 0
		.amdhsa_exception_fp_denorm_src 0
		.amdhsa_exception_fp_ieee_div_zero 0
		.amdhsa_exception_fp_ieee_overflow 0
		.amdhsa_exception_fp_ieee_underflow 0
		.amdhsa_exception_fp_ieee_inexact 0
		.amdhsa_exception_int_div_zero 0
	.end_amdhsa_kernel
	.section	.text._ZN7rocprim17ROCPRIM_400000_NS6detail17trampoline_kernelINS0_14default_configENS1_27scan_by_key_config_selectorIifEEZZNS1_16scan_by_key_implILNS1_25lookback_scan_determinismE0ELb0ES3_N6thrust23THRUST_200600_302600_NS6detail15normal_iteratorINS9_10device_ptrIiEEEENSB_INSC_IfEEEESG_fNS9_4plusIvEENS9_8equal_toIvEEfEE10hipError_tPvRmT2_T3_T4_T5_mT6_T7_P12ihipStream_tbENKUlT_T0_E_clISt17integral_constantIbLb1EES11_EEDaSW_SX_EUlSW_E_NS1_11comp_targetILNS1_3genE10ELNS1_11target_archE1201ELNS1_3gpuE5ELNS1_3repE0EEENS1_30default_config_static_selectorELNS0_4arch9wavefront6targetE1EEEvT1_,"axG",@progbits,_ZN7rocprim17ROCPRIM_400000_NS6detail17trampoline_kernelINS0_14default_configENS1_27scan_by_key_config_selectorIifEEZZNS1_16scan_by_key_implILNS1_25lookback_scan_determinismE0ELb0ES3_N6thrust23THRUST_200600_302600_NS6detail15normal_iteratorINS9_10device_ptrIiEEEENSB_INSC_IfEEEESG_fNS9_4plusIvEENS9_8equal_toIvEEfEE10hipError_tPvRmT2_T3_T4_T5_mT6_T7_P12ihipStream_tbENKUlT_T0_E_clISt17integral_constantIbLb1EES11_EEDaSW_SX_EUlSW_E_NS1_11comp_targetILNS1_3genE10ELNS1_11target_archE1201ELNS1_3gpuE5ELNS1_3repE0EEENS1_30default_config_static_selectorELNS0_4arch9wavefront6targetE1EEEvT1_,comdat
.Lfunc_end1142:
	.size	_ZN7rocprim17ROCPRIM_400000_NS6detail17trampoline_kernelINS0_14default_configENS1_27scan_by_key_config_selectorIifEEZZNS1_16scan_by_key_implILNS1_25lookback_scan_determinismE0ELb0ES3_N6thrust23THRUST_200600_302600_NS6detail15normal_iteratorINS9_10device_ptrIiEEEENSB_INSC_IfEEEESG_fNS9_4plusIvEENS9_8equal_toIvEEfEE10hipError_tPvRmT2_T3_T4_T5_mT6_T7_P12ihipStream_tbENKUlT_T0_E_clISt17integral_constantIbLb1EES11_EEDaSW_SX_EUlSW_E_NS1_11comp_targetILNS1_3genE10ELNS1_11target_archE1201ELNS1_3gpuE5ELNS1_3repE0EEENS1_30default_config_static_selectorELNS0_4arch9wavefront6targetE1EEEvT1_, .Lfunc_end1142-_ZN7rocprim17ROCPRIM_400000_NS6detail17trampoline_kernelINS0_14default_configENS1_27scan_by_key_config_selectorIifEEZZNS1_16scan_by_key_implILNS1_25lookback_scan_determinismE0ELb0ES3_N6thrust23THRUST_200600_302600_NS6detail15normal_iteratorINS9_10device_ptrIiEEEENSB_INSC_IfEEEESG_fNS9_4plusIvEENS9_8equal_toIvEEfEE10hipError_tPvRmT2_T3_T4_T5_mT6_T7_P12ihipStream_tbENKUlT_T0_E_clISt17integral_constantIbLb1EES11_EEDaSW_SX_EUlSW_E_NS1_11comp_targetILNS1_3genE10ELNS1_11target_archE1201ELNS1_3gpuE5ELNS1_3repE0EEENS1_30default_config_static_selectorELNS0_4arch9wavefront6targetE1EEEvT1_
                                        ; -- End function
	.section	.AMDGPU.csdata,"",@progbits
; Kernel info:
; codeLenInByte = 0
; NumSgprs: 6
; NumVgprs: 0
; NumAgprs: 0
; TotalNumVgprs: 0
; ScratchSize: 0
; MemoryBound: 0
; FloatMode: 240
; IeeeMode: 1
; LDSByteSize: 0 bytes/workgroup (compile time only)
; SGPRBlocks: 0
; VGPRBlocks: 0
; NumSGPRsForWavesPerEU: 6
; NumVGPRsForWavesPerEU: 1
; AccumOffset: 4
; Occupancy: 8
; WaveLimiterHint : 0
; COMPUTE_PGM_RSRC2:SCRATCH_EN: 0
; COMPUTE_PGM_RSRC2:USER_SGPR: 2
; COMPUTE_PGM_RSRC2:TRAP_HANDLER: 0
; COMPUTE_PGM_RSRC2:TGID_X_EN: 1
; COMPUTE_PGM_RSRC2:TGID_Y_EN: 0
; COMPUTE_PGM_RSRC2:TGID_Z_EN: 0
; COMPUTE_PGM_RSRC2:TIDIG_COMP_CNT: 0
; COMPUTE_PGM_RSRC3_GFX90A:ACCUM_OFFSET: 0
; COMPUTE_PGM_RSRC3_GFX90A:TG_SPLIT: 0
	.section	.text._ZN7rocprim17ROCPRIM_400000_NS6detail17trampoline_kernelINS0_14default_configENS1_27scan_by_key_config_selectorIifEEZZNS1_16scan_by_key_implILNS1_25lookback_scan_determinismE0ELb0ES3_N6thrust23THRUST_200600_302600_NS6detail15normal_iteratorINS9_10device_ptrIiEEEENSB_INSC_IfEEEESG_fNS9_4plusIvEENS9_8equal_toIvEEfEE10hipError_tPvRmT2_T3_T4_T5_mT6_T7_P12ihipStream_tbENKUlT_T0_E_clISt17integral_constantIbLb1EES11_EEDaSW_SX_EUlSW_E_NS1_11comp_targetILNS1_3genE5ELNS1_11target_archE942ELNS1_3gpuE9ELNS1_3repE0EEENS1_30default_config_static_selectorELNS0_4arch9wavefront6targetE1EEEvT1_,"axG",@progbits,_ZN7rocprim17ROCPRIM_400000_NS6detail17trampoline_kernelINS0_14default_configENS1_27scan_by_key_config_selectorIifEEZZNS1_16scan_by_key_implILNS1_25lookback_scan_determinismE0ELb0ES3_N6thrust23THRUST_200600_302600_NS6detail15normal_iteratorINS9_10device_ptrIiEEEENSB_INSC_IfEEEESG_fNS9_4plusIvEENS9_8equal_toIvEEfEE10hipError_tPvRmT2_T3_T4_T5_mT6_T7_P12ihipStream_tbENKUlT_T0_E_clISt17integral_constantIbLb1EES11_EEDaSW_SX_EUlSW_E_NS1_11comp_targetILNS1_3genE5ELNS1_11target_archE942ELNS1_3gpuE9ELNS1_3repE0EEENS1_30default_config_static_selectorELNS0_4arch9wavefront6targetE1EEEvT1_,comdat
	.protected	_ZN7rocprim17ROCPRIM_400000_NS6detail17trampoline_kernelINS0_14default_configENS1_27scan_by_key_config_selectorIifEEZZNS1_16scan_by_key_implILNS1_25lookback_scan_determinismE0ELb0ES3_N6thrust23THRUST_200600_302600_NS6detail15normal_iteratorINS9_10device_ptrIiEEEENSB_INSC_IfEEEESG_fNS9_4plusIvEENS9_8equal_toIvEEfEE10hipError_tPvRmT2_T3_T4_T5_mT6_T7_P12ihipStream_tbENKUlT_T0_E_clISt17integral_constantIbLb1EES11_EEDaSW_SX_EUlSW_E_NS1_11comp_targetILNS1_3genE5ELNS1_11target_archE942ELNS1_3gpuE9ELNS1_3repE0EEENS1_30default_config_static_selectorELNS0_4arch9wavefront6targetE1EEEvT1_ ; -- Begin function _ZN7rocprim17ROCPRIM_400000_NS6detail17trampoline_kernelINS0_14default_configENS1_27scan_by_key_config_selectorIifEEZZNS1_16scan_by_key_implILNS1_25lookback_scan_determinismE0ELb0ES3_N6thrust23THRUST_200600_302600_NS6detail15normal_iteratorINS9_10device_ptrIiEEEENSB_INSC_IfEEEESG_fNS9_4plusIvEENS9_8equal_toIvEEfEE10hipError_tPvRmT2_T3_T4_T5_mT6_T7_P12ihipStream_tbENKUlT_T0_E_clISt17integral_constantIbLb1EES11_EEDaSW_SX_EUlSW_E_NS1_11comp_targetILNS1_3genE5ELNS1_11target_archE942ELNS1_3gpuE9ELNS1_3repE0EEENS1_30default_config_static_selectorELNS0_4arch9wavefront6targetE1EEEvT1_
	.globl	_ZN7rocprim17ROCPRIM_400000_NS6detail17trampoline_kernelINS0_14default_configENS1_27scan_by_key_config_selectorIifEEZZNS1_16scan_by_key_implILNS1_25lookback_scan_determinismE0ELb0ES3_N6thrust23THRUST_200600_302600_NS6detail15normal_iteratorINS9_10device_ptrIiEEEENSB_INSC_IfEEEESG_fNS9_4plusIvEENS9_8equal_toIvEEfEE10hipError_tPvRmT2_T3_T4_T5_mT6_T7_P12ihipStream_tbENKUlT_T0_E_clISt17integral_constantIbLb1EES11_EEDaSW_SX_EUlSW_E_NS1_11comp_targetILNS1_3genE5ELNS1_11target_archE942ELNS1_3gpuE9ELNS1_3repE0EEENS1_30default_config_static_selectorELNS0_4arch9wavefront6targetE1EEEvT1_
	.p2align	8
	.type	_ZN7rocprim17ROCPRIM_400000_NS6detail17trampoline_kernelINS0_14default_configENS1_27scan_by_key_config_selectorIifEEZZNS1_16scan_by_key_implILNS1_25lookback_scan_determinismE0ELb0ES3_N6thrust23THRUST_200600_302600_NS6detail15normal_iteratorINS9_10device_ptrIiEEEENSB_INSC_IfEEEESG_fNS9_4plusIvEENS9_8equal_toIvEEfEE10hipError_tPvRmT2_T3_T4_T5_mT6_T7_P12ihipStream_tbENKUlT_T0_E_clISt17integral_constantIbLb1EES11_EEDaSW_SX_EUlSW_E_NS1_11comp_targetILNS1_3genE5ELNS1_11target_archE942ELNS1_3gpuE9ELNS1_3repE0EEENS1_30default_config_static_selectorELNS0_4arch9wavefront6targetE1EEEvT1_,@function
_ZN7rocprim17ROCPRIM_400000_NS6detail17trampoline_kernelINS0_14default_configENS1_27scan_by_key_config_selectorIifEEZZNS1_16scan_by_key_implILNS1_25lookback_scan_determinismE0ELb0ES3_N6thrust23THRUST_200600_302600_NS6detail15normal_iteratorINS9_10device_ptrIiEEEENSB_INSC_IfEEEESG_fNS9_4plusIvEENS9_8equal_toIvEEfEE10hipError_tPvRmT2_T3_T4_T5_mT6_T7_P12ihipStream_tbENKUlT_T0_E_clISt17integral_constantIbLb1EES11_EEDaSW_SX_EUlSW_E_NS1_11comp_targetILNS1_3genE5ELNS1_11target_archE942ELNS1_3gpuE9ELNS1_3repE0EEENS1_30default_config_static_selectorELNS0_4arch9wavefront6targetE1EEEvT1_: ; @_ZN7rocprim17ROCPRIM_400000_NS6detail17trampoline_kernelINS0_14default_configENS1_27scan_by_key_config_selectorIifEEZZNS1_16scan_by_key_implILNS1_25lookback_scan_determinismE0ELb0ES3_N6thrust23THRUST_200600_302600_NS6detail15normal_iteratorINS9_10device_ptrIiEEEENSB_INSC_IfEEEESG_fNS9_4plusIvEENS9_8equal_toIvEEfEE10hipError_tPvRmT2_T3_T4_T5_mT6_T7_P12ihipStream_tbENKUlT_T0_E_clISt17integral_constantIbLb1EES11_EEDaSW_SX_EUlSW_E_NS1_11comp_targetILNS1_3genE5ELNS1_11target_archE942ELNS1_3gpuE9ELNS1_3repE0EEENS1_30default_config_static_selectorELNS0_4arch9wavefront6targetE1EEEvT1_
; %bb.0:
	s_load_dwordx4 s[72:75], s[0:1], 0x28
	s_load_dwordx2 s[76:77], s[0:1], 0x38
	v_cmp_ne_u32_e64 s[4:5], 0, v0
	v_cmp_eq_u32_e64 s[54:55], 0, v0
	s_and_saveexec_b64 s[2:3], s[54:55]
	s_cbranch_execz .LBB1143_4
; %bb.1:
	s_mov_b64 s[8:9], exec
	v_mbcnt_lo_u32_b32 v1, s8, 0
	v_mbcnt_hi_u32_b32 v1, s9, v1
	v_cmp_eq_u32_e32 vcc, 0, v1
                                        ; implicit-def: $vgpr2
	s_and_saveexec_b64 s[6:7], vcc
	s_cbranch_execz .LBB1143_3
; %bb.2:
	s_load_dwordx2 s[10:11], s[0:1], 0x68
	s_bcnt1_i32_b64 s8, s[8:9]
	v_mov_b32_e32 v2, 0
	v_mov_b32_e32 v3, s8
	s_waitcnt lgkmcnt(0)
	global_atomic_add v2, v2, v3, s[10:11] sc0
.LBB1143_3:
	s_or_b64 exec, exec, s[6:7]
	s_waitcnt vmcnt(0)
	v_readfirstlane_b32 s6, v2
	v_mov_b32_e32 v2, 0
	s_nop 0
	v_add_u32_e32 v1, s6, v1
	ds_write_b32 v2, v1
.LBB1143_4:
	s_or_b64 exec, exec, s[2:3]
	s_load_dwordx8 s[56:63], s[0:1], 0x0
	s_load_dword s2, s[0:1], 0x40
	s_load_dwordx8 s[64:71], s[0:1], 0x48
	v_mov_b32_e32 v1, 0
	s_waitcnt lgkmcnt(0)
	s_barrier
	ds_read_b32 v1, v1
	s_lshl_b64 s[58:59], s[58:59], 2
	s_add_u32 s3, s56, s58
	s_addc_u32 s6, s57, s59
	s_add_u32 s7, s60, s58
	s_mul_i32 s0, s77, s2
	s_mul_hi_u32 s1, s76, s2
	s_addc_u32 s8, s61, s59
	s_add_i32 s9, s1, s0
	s_waitcnt lgkmcnt(0)
	v_readfirstlane_b32 s75, v1
	s_cmp_lg_u64 s[68:69], 0
	s_mov_b32 s1, 0
	s_mul_i32 s0, s75, 0x1700
	s_cselect_b64 s[78:79], -1, 0
	s_lshl_b64 s[56:57], s[0:1], 2
	s_add_u32 s68, s3, s56
	s_addc_u32 s69, s6, s57
	s_add_u32 s60, s7, s56
	s_mul_i32 s2, s76, s2
	s_addc_u32 s61, s8, s57
	s_add_u32 s80, s2, s75
	s_addc_u32 s81, s9, 0
	s_add_u32 s0, s64, -1
	s_addc_u32 s1, s65, -1
	v_mov_b64_e32 v[2:3], s[0:1]
	v_cmp_ge_u64_e64 s[2:3], s[80:81], v[2:3]
	s_mov_b64 s[12:13], 0
	s_mov_b64 s[8:9], -1
	s_and_b64 vcc, exec, s[2:3]
	s_mul_i32 s33, s0, 0xffffe900
	s_barrier
	s_barrier
	s_cbranch_vccz .LBB1143_126
; %bb.5:
	v_mov_b64_e32 v[2:3], s[68:69]
	flat_load_dword v3, v[2:3]
	s_add_i32 s86, s33, s74
	v_cmp_gt_u32_e64 s[6:7], s86, v0
	s_waitcnt vmcnt(0) lgkmcnt(0)
	v_mov_b32_e32 v13, v3
	s_and_saveexec_b64 s[0:1], s[6:7]
	s_cbranch_execz .LBB1143_7
; %bb.6:
	v_lshlrev_b32_e32 v4, 2, v0
	v_mov_b32_e32 v5, 0
	v_lshl_add_u64 v[4:5], s[68:69], 0, v[4:5]
	flat_load_dword v13, v[4:5]
.LBB1143_7:
	s_or_b64 exec, exec, s[0:1]
	v_or_b32_e32 v1, 0x100, v0
	v_cmp_gt_u32_e64 s[8:9], s86, v1
	v_mov_b32_e32 v23, v3
	s_and_saveexec_b64 s[0:1], s[8:9]
	s_cbranch_execz .LBB1143_9
; %bb.8:
	v_lshlrev_b32_e32 v4, 2, v0
	v_mov_b32_e32 v5, 0
	v_lshl_add_u64 v[4:5], s[68:69], 0, v[4:5]
	flat_load_dword v23, v[4:5] offset:1024
.LBB1143_9:
	s_or_b64 exec, exec, s[0:1]
	v_or_b32_e32 v1, 0x200, v0
	v_cmp_gt_u32_e64 s[10:11], s86, v1
	v_mov_b32_e32 v24, v3
	s_and_saveexec_b64 s[0:1], s[10:11]
	s_cbranch_execz .LBB1143_11
; %bb.10:
	v_lshlrev_b32_e32 v4, 2, v0
	v_mov_b32_e32 v5, 0
	v_lshl_add_u64 v[4:5], s[68:69], 0, v[4:5]
	flat_load_dword v24, v[4:5] offset:2048
.LBB1143_11:
	;; [unrolled: 12-line block ×3, first 2 shown]
	s_or_b64 exec, exec, s[0:1]
	v_or_b32_e32 v1, 0x400, v0
	v_cmp_gt_u32_e64 s[14:15], s86, v1
	v_mov_b32_e32 v26, v3
	s_and_saveexec_b64 s[0:1], s[14:15]
	s_cbranch_execz .LBB1143_15
; %bb.14:
	v_lshlrev_b32_e32 v4, 2, v1
	v_mov_b32_e32 v5, 0
	v_lshl_add_u64 v[4:5], s[68:69], 0, v[4:5]
	flat_load_dword v26, v[4:5]
.LBB1143_15:
	s_or_b64 exec, exec, s[0:1]
	v_or_b32_e32 v4, 0x500, v0
	v_cmp_gt_u32_e64 s[16:17], s86, v4
	v_mov_b32_e32 v27, v3
	s_and_saveexec_b64 s[0:1], s[16:17]
	s_cbranch_execz .LBB1143_17
; %bb.16:
	v_lshlrev_b32_e32 v6, 2, v4
	v_mov_b32_e32 v7, 0
	v_lshl_add_u64 v[6:7], s[68:69], 0, v[6:7]
	flat_load_dword v27, v[6:7]
.LBB1143_17:
	;; [unrolled: 12-line block ×18, first 2 shown]
	s_or_b64 exec, exec, s[0:1]
	v_or_b32_e32 v22, 0x1600, v0
	v_cmp_gt_u32_e64 s[52:53], s86, v22
	s_and_saveexec_b64 s[0:1], s[52:53]
	s_cbranch_execz .LBB1143_51
; %bb.50:
	v_lshlrev_b32_e32 v2, 2, v22
	v_mov_b32_e32 v3, 0
	v_lshl_add_u64 v[2:3], s[68:69], 0, v[2:3]
	flat_load_dword v3, v[2:3]
.LBB1143_51:
	s_or_b64 exec, exec, s[0:1]
	v_lshlrev_b32_e32 v2, 2, v0
	s_movk_i32 s0, 0x58
	s_waitcnt vmcnt(0) lgkmcnt(0)
	ds_write2st64_b32 v2, v13, v23 offset1:4
	ds_write2st64_b32 v2, v24, v25 offset0:8 offset1:12
	ds_write2st64_b32 v2, v26, v27 offset0:16 offset1:20
	;; [unrolled: 1-line block ×10, first 2 shown]
	ds_write_b32 v2, v3 offset:22528
	v_mad_u32_u24 v13, v0, s0, v2
	s_waitcnt lgkmcnt(0)
	s_barrier
	ds_read2_b32 v[64:65], v13 offset1:1
	ds_read2_b32 v[62:63], v13 offset0:2 offset1:3
	ds_read2_b32 v[60:61], v13 offset0:4 offset1:5
	;; [unrolled: 1-line block ×10, first 2 shown]
	ds_read_b32 v88, v13 offset:88
	s_cmp_eq_u64 s[80:81], 0
	s_mov_b64 s[0:1], s[68:69]
	s_cbranch_scc1 .LBB1143_55
; %bb.52:
	s_andn2_b64 vcc, exec, s[78:79]
	s_cbranch_vccnz .LBB1143_297
; %bb.53:
	s_lshl_b64 s[0:1], s[80:81], 2
	s_add_u32 s0, s70, s0
	s_addc_u32 s1, s71, s1
	s_add_u32 s0, s0, -4
	s_addc_u32 s1, s1, -1
	s_cbranch_execnz .LBB1143_55
.LBB1143_54:
	s_add_u32 s0, s68, -4
	s_addc_u32 s1, s69, -1
.LBB1143_55:
	v_mov_b64_e32 v[24:25], s[0:1]
	flat_load_dword v90, v[24:25]
	s_movk_i32 s0, 0xffa8
	v_mad_i32_i24 v3, v0, s0, v13
	s_waitcnt lgkmcnt(0)
	ds_write_b32 v3, v88 offset:23552
	s_waitcnt lgkmcnt(0)
	s_barrier
	s_and_saveexec_b64 s[0:1], s[4:5]
	s_cbranch_execz .LBB1143_57
; %bb.56:
	v_mul_i32_i24_e32 v3, 0xffffffa8, v0
	v_add_u32_e32 v3, v13, v3
	s_waitcnt vmcnt(0)
	ds_read_b32 v90, v3 offset:23548
.LBB1143_57:
	s_or_b64 exec, exec, s[0:1]
	v_mov_b32_e32 v3, 0
	s_waitcnt lgkmcnt(0)
	s_barrier
	s_waitcnt lgkmcnt(0)
                                        ; implicit-def: $vgpr23
	s_and_saveexec_b64 s[0:1], s[6:7]
	s_cbranch_execnz .LBB1143_273
; %bb.58:
	s_or_b64 exec, exec, s[0:1]
                                        ; implicit-def: $vgpr24
	s_and_saveexec_b64 s[0:1], s[8:9]
	s_cbranch_execnz .LBB1143_274
.LBB1143_59:
	s_or_b64 exec, exec, s[0:1]
                                        ; implicit-def: $vgpr25
	s_and_saveexec_b64 s[0:1], s[10:11]
	s_cbranch_execnz .LBB1143_275
.LBB1143_60:
	s_or_b64 exec, exec, s[0:1]
                                        ; implicit-def: $vgpr3
	s_and_saveexec_b64 s[0:1], s[12:13]
	s_cbranch_execnz .LBB1143_276
.LBB1143_61:
	s_or_b64 exec, exec, s[0:1]
                                        ; implicit-def: $vgpr26
	s_and_saveexec_b64 s[0:1], s[14:15]
	s_cbranch_execnz .LBB1143_277
.LBB1143_62:
	s_or_b64 exec, exec, s[0:1]
                                        ; implicit-def: $vgpr1
	s_and_saveexec_b64 s[0:1], s[16:17]
	s_cbranch_execnz .LBB1143_278
.LBB1143_63:
	s_or_b64 exec, exec, s[0:1]
                                        ; implicit-def: $vgpr4
	s_and_saveexec_b64 s[0:1], s[18:19]
	s_cbranch_execnz .LBB1143_279
.LBB1143_64:
	s_or_b64 exec, exec, s[0:1]
                                        ; implicit-def: $vgpr5
	s_and_saveexec_b64 s[0:1], s[20:21]
	s_cbranch_execnz .LBB1143_280
.LBB1143_65:
	s_or_b64 exec, exec, s[0:1]
                                        ; implicit-def: $vgpr6
	s_and_saveexec_b64 s[0:1], s[22:23]
	s_cbranch_execnz .LBB1143_281
.LBB1143_66:
	s_or_b64 exec, exec, s[0:1]
                                        ; implicit-def: $vgpr7
	s_and_saveexec_b64 s[0:1], s[24:25]
	s_cbranch_execnz .LBB1143_282
.LBB1143_67:
	s_or_b64 exec, exec, s[0:1]
                                        ; implicit-def: $vgpr8
	s_and_saveexec_b64 s[0:1], s[26:27]
	s_cbranch_execnz .LBB1143_283
.LBB1143_68:
	s_or_b64 exec, exec, s[0:1]
                                        ; implicit-def: $vgpr9
	s_and_saveexec_b64 s[0:1], s[28:29]
	s_cbranch_execnz .LBB1143_284
.LBB1143_69:
	s_or_b64 exec, exec, s[0:1]
                                        ; implicit-def: $vgpr10
	s_and_saveexec_b64 s[0:1], s[30:31]
	s_cbranch_execnz .LBB1143_285
.LBB1143_70:
	s_or_b64 exec, exec, s[0:1]
                                        ; implicit-def: $vgpr11
	s_and_saveexec_b64 s[0:1], s[34:35]
	s_cbranch_execnz .LBB1143_286
.LBB1143_71:
	s_or_b64 exec, exec, s[0:1]
                                        ; implicit-def: $vgpr12
	s_and_saveexec_b64 s[0:1], s[36:37]
	s_cbranch_execnz .LBB1143_287
.LBB1143_72:
	s_or_b64 exec, exec, s[0:1]
                                        ; implicit-def: $vgpr14
	s_and_saveexec_b64 s[0:1], s[38:39]
	s_cbranch_execnz .LBB1143_288
.LBB1143_73:
	s_or_b64 exec, exec, s[0:1]
                                        ; implicit-def: $vgpr15
	s_and_saveexec_b64 s[0:1], s[40:41]
	s_cbranch_execnz .LBB1143_289
.LBB1143_74:
	s_or_b64 exec, exec, s[0:1]
                                        ; implicit-def: $vgpr16
	s_and_saveexec_b64 s[0:1], s[42:43]
	s_cbranch_execnz .LBB1143_290
.LBB1143_75:
	s_or_b64 exec, exec, s[0:1]
                                        ; implicit-def: $vgpr17
	s_and_saveexec_b64 s[0:1], s[44:45]
	s_cbranch_execnz .LBB1143_291
.LBB1143_76:
	s_or_b64 exec, exec, s[0:1]
                                        ; implicit-def: $vgpr18
	s_and_saveexec_b64 s[0:1], s[46:47]
	s_cbranch_execnz .LBB1143_292
.LBB1143_77:
	s_or_b64 exec, exec, s[0:1]
                                        ; implicit-def: $vgpr19
	s_and_saveexec_b64 s[0:1], s[48:49]
	s_cbranch_execnz .LBB1143_293
.LBB1143_78:
	s_or_b64 exec, exec, s[0:1]
                                        ; implicit-def: $vgpr20
	s_and_saveexec_b64 s[0:1], s[50:51]
	s_cbranch_execnz .LBB1143_294
.LBB1143_79:
	s_or_b64 exec, exec, s[0:1]
                                        ; implicit-def: $vgpr21
	s_and_saveexec_b64 s[0:1], s[52:53]
	s_cbranch_execz .LBB1143_81
.LBB1143_80:
	v_lshlrev_b32_e32 v28, 2, v22
	v_mov_b32_e32 v29, 0
	v_lshl_add_u64 v[28:29], s[60:61], 0, v[28:29]
	flat_load_dword v21, v[28:29]
.LBB1143_81:
	s_or_b64 exec, exec, s[0:1]
	s_mov_b32 s6, 0
	v_mul_u32_u24_e32 v89, 23, v0
	s_mov_b32 s7, s6
	s_waitcnt vmcnt(0) lgkmcnt(0)
	ds_write2st64_b32 v2, v23, v24 offset1:4
	ds_write2st64_b32 v2, v25, v3 offset0:8 offset1:12
	ds_write2st64_b32 v2, v26, v1 offset0:16 offset1:20
	;; [unrolled: 1-line block ×10, first 2 shown]
	ds_write_b32 v2, v21 offset:22528
	v_cmp_gt_u32_e32 vcc, s86, v89
	s_mov_b64 s[8:9], 0
	v_mov_b64_e32 v[10:11], s[6:7]
	v_mov_b32_e32 v66, 0
	v_mov_b32_e32 v12, 0
	s_mov_b64 s[12:13], 0
	v_mov_b64_e32 v[14:15], s[6:7]
	v_mov_b64_e32 v[16:17], s[6:7]
	;; [unrolled: 1-line block ×9, first 2 shown]
	v_mov_b32_e32 v75, 0
	v_mov_b32_e32 v1, 0
	;; [unrolled: 1-line block ×22, first 2 shown]
	s_waitcnt lgkmcnt(0)
	s_barrier
	s_waitcnt lgkmcnt(0)
                                        ; implicit-def: $sgpr0_sgpr1
                                        ; implicit-def: $vgpr32_vgpr33
                                        ; implicit-def: $vgpr30_vgpr31
                                        ; implicit-def: $vgpr26_vgpr27
                                        ; implicit-def: $vgpr24_vgpr25
                                        ; implicit-def: $vgpr22_vgpr23
                                        ; implicit-def: $vgpr20_vgpr21
                                        ; implicit-def: $vgpr8_vgpr9
                                        ; implicit-def: $vgpr6_vgpr7
                                        ; implicit-def: $vgpr4_vgpr5
                                        ; implicit-def: $vgpr2_vgpr3
	s_and_saveexec_b64 s[10:11], vcc
	s_cbranch_execz .LBB1143_125
; %bb.82:
	ds_read_b32 v1, v13
	s_mov_b32 s20, 0
	v_cmp_ne_u32_e32 vcc, v90, v64
	v_add_u32_e32 v2, 1, v89
	s_mov_b32 s21, s20
	v_cndmask_b32_e64 v66, 0, 1, vcc
	v_cmp_gt_u32_e32 vcc, s86, v2
	s_mov_b64 s[14:15], 0
	v_mov_b64_e32 v[10:11], s[20:21]
	v_mov_b32_e32 v12, 0
	v_mov_b32_e32 v75, 0
	v_mov_b64_e32 v[14:15], s[20:21]
	v_mov_b64_e32 v[16:17], s[20:21]
	;; [unrolled: 1-line block ×9, first 2 shown]
	v_mov_b32_e32 v87, 0
	v_mov_b32_e32 v67, 0
	;; [unrolled: 1-line block ×20, first 2 shown]
                                        ; implicit-def: $sgpr0_sgpr1
                                        ; implicit-def: $vgpr32_vgpr33
                                        ; implicit-def: $vgpr30_vgpr31
                                        ; implicit-def: $vgpr26_vgpr27
                                        ; implicit-def: $vgpr24_vgpr25
                                        ; implicit-def: $vgpr22_vgpr23
                                        ; implicit-def: $vgpr20_vgpr21
                                        ; implicit-def: $vgpr8_vgpr9
                                        ; implicit-def: $vgpr6_vgpr7
                                        ; implicit-def: $vgpr4_vgpr5
                                        ; implicit-def: $vgpr2_vgpr3
	s_and_saveexec_b64 s[12:13], vcc
	s_cbranch_execz .LBB1143_124
; %bb.83:
	ds_read2_b32 v[2:3], v13 offset0:1 offset1:2
	v_cmp_ne_u32_e32 vcc, v64, v65
	v_add_u32_e32 v4, 2, v89
	v_mov_b32_e32 v45, 0
	v_cndmask_b32_e64 v67, 0, 1, vcc
	v_cmp_gt_u32_e32 vcc, s86, v4
	s_waitcnt lgkmcnt(0)
	v_mov_b32_e32 v44, v2
	s_mov_b64 s[16:17], 0
	v_mov_b64_e32 v[10:11], s[20:21]
	v_mov_b64_e32 v[14:15], s[20:21]
	v_mov_b64_e32 v[16:17], s[20:21]
	v_mov_b64_e32 v[18:19], s[20:21]
	v_mov_b64_e32 v[28:29], s[20:21]
	v_mov_b64_e32 v[34:35], s[20:21]
	v_mov_b64_e32 v[36:37], s[20:21]
	v_mov_b64_e32 v[38:39], s[20:21]
	v_mov_b64_e32 v[42:43], s[20:21]
	v_mov_b32_e32 v12, v45
	v_mov_b32_e32 v75, v45
	;; [unrolled: 1-line block ×21, first 2 shown]
                                        ; implicit-def: $sgpr0_sgpr1
                                        ; implicit-def: $vgpr32_vgpr33
                                        ; implicit-def: $vgpr30_vgpr31
                                        ; implicit-def: $vgpr26_vgpr27
                                        ; implicit-def: $vgpr24_vgpr25
                                        ; implicit-def: $vgpr22_vgpr23
                                        ; implicit-def: $vgpr20_vgpr21
                                        ; implicit-def: $vgpr8_vgpr9
                                        ; implicit-def: $vgpr6_vgpr7
                                        ; implicit-def: $vgpr4_vgpr5
	s_and_saveexec_b64 s[14:15], vcc
	s_cbranch_execz .LBB1143_123
; %bb.84:
	v_cmp_ne_u32_e32 vcc, v65, v62
	v_add_u32_e32 v4, 3, v89
	s_mov_b32 s21, s20
	v_cndmask_b32_e64 v68, 0, 1, vcc
	v_cmp_gt_u32_e32 vcc, s86, v4
	s_mov_b64 s[18:19], 0
	s_mov_b32 s24, 0
	v_mov_b64_e32 v[10:11], s[20:21]
	v_mov_b32_e32 v12, 0
	v_mov_b32_e32 v75, 0
	v_mov_b64_e32 v[14:15], s[20:21]
	v_mov_b64_e32 v[16:17], s[20:21]
	;; [unrolled: 1-line block ×8, first 2 shown]
	v_mov_b32_e32 v87, 0
	v_mov_b32_e32 v86, 0
	;; [unrolled: 1-line block ×18, first 2 shown]
                                        ; implicit-def: $sgpr0_sgpr1
                                        ; implicit-def: $vgpr32_vgpr33
                                        ; implicit-def: $vgpr30_vgpr31
                                        ; implicit-def: $vgpr26_vgpr27
                                        ; implicit-def: $vgpr24_vgpr25
                                        ; implicit-def: $vgpr22_vgpr23
                                        ; implicit-def: $vgpr20_vgpr21
                                        ; implicit-def: $vgpr8_vgpr9
                                        ; implicit-def: $vgpr6_vgpr7
                                        ; implicit-def: $vgpr4_vgpr5
	s_and_saveexec_b64 s[16:17], vcc
	s_cbranch_execz .LBB1143_122
; %bb.85:
	ds_read2_b32 v[4:5], v13 offset0:3 offset1:4
	v_cmp_ne_u32_e32 vcc, v62, v63
	v_add_u32_e32 v6, 4, v89
	v_mov_b32_e32 v43, 0
	s_mov_b32 s25, s24
	v_cndmask_b32_e64 v69, 0, 1, vcc
	v_cmp_gt_u32_e32 vcc, s86, v6
	s_waitcnt lgkmcnt(0)
	v_mov_b32_e32 v42, v4
	s_mov_b64 s[20:21], 0
	v_mov_b64_e32 v[10:11], s[24:25]
	v_mov_b64_e32 v[14:15], s[24:25]
	;; [unrolled: 1-line block ×8, first 2 shown]
	v_mov_b32_e32 v12, v43
	v_mov_b32_e32 v75, v43
	;; [unrolled: 1-line block ×19, first 2 shown]
                                        ; implicit-def: $sgpr0_sgpr1
                                        ; implicit-def: $vgpr32_vgpr33
                                        ; implicit-def: $vgpr30_vgpr31
                                        ; implicit-def: $vgpr26_vgpr27
                                        ; implicit-def: $vgpr24_vgpr25
                                        ; implicit-def: $vgpr22_vgpr23
                                        ; implicit-def: $vgpr20_vgpr21
                                        ; implicit-def: $vgpr8_vgpr9
                                        ; implicit-def: $vgpr6_vgpr7
	s_and_saveexec_b64 s[18:19], vcc
	s_cbranch_execz .LBB1143_121
; %bb.86:
	v_cmp_ne_u32_e32 vcc, v63, v60
	v_add_u32_e32 v6, 5, v89
	s_mov_b64 s[22:23], 0
	v_cndmask_b32_e64 v70, 0, 1, vcc
	v_cmp_gt_u32_e32 vcc, s86, v6
	s_mov_b32 s28, 0
	v_mov_b64_e32 v[10:11], s[24:25]
	v_mov_b32_e32 v12, 0
	v_mov_b32_e32 v75, 0
	v_mov_b64_e32 v[14:15], s[24:25]
	v_mov_b64_e32 v[16:17], s[24:25]
	;; [unrolled: 1-line block ×7, first 2 shown]
	v_mov_b32_e32 v87, 0
	v_mov_b32_e32 v86, 0
	;; [unrolled: 1-line block ×16, first 2 shown]
                                        ; implicit-def: $sgpr0_sgpr1
                                        ; implicit-def: $vgpr32_vgpr33
                                        ; implicit-def: $vgpr30_vgpr31
                                        ; implicit-def: $vgpr26_vgpr27
                                        ; implicit-def: $vgpr24_vgpr25
                                        ; implicit-def: $vgpr22_vgpr23
                                        ; implicit-def: $vgpr20_vgpr21
                                        ; implicit-def: $vgpr8_vgpr9
                                        ; implicit-def: $vgpr6_vgpr7
	s_and_saveexec_b64 s[20:21], vcc
	s_cbranch_execz .LBB1143_120
; %bb.87:
	ds_read2_b32 v[6:7], v13 offset0:5 offset1:6
	v_cmp_ne_u32_e32 vcc, v60, v61
	v_add_u32_e32 v8, 6, v89
	v_mov_b32_e32 v39, 0
	s_mov_b32 s29, s28
	v_cndmask_b32_e64 v71, 0, 1, vcc
	v_cmp_gt_u32_e32 vcc, s86, v8
	s_waitcnt lgkmcnt(0)
	v_mov_b32_e32 v38, v6
	s_mov_b64 s[24:25], 0
	v_mov_b64_e32 v[10:11], s[28:29]
	v_mov_b64_e32 v[14:15], s[28:29]
	;; [unrolled: 1-line block ×7, first 2 shown]
	v_mov_b32_e32 v12, v39
	v_mov_b32_e32 v75, v39
	;; [unrolled: 1-line block ×17, first 2 shown]
                                        ; implicit-def: $sgpr0_sgpr1
                                        ; implicit-def: $vgpr32_vgpr33
                                        ; implicit-def: $vgpr30_vgpr31
                                        ; implicit-def: $vgpr26_vgpr27
                                        ; implicit-def: $vgpr24_vgpr25
                                        ; implicit-def: $vgpr22_vgpr23
                                        ; implicit-def: $vgpr20_vgpr21
                                        ; implicit-def: $vgpr8_vgpr9
	s_and_saveexec_b64 s[22:23], vcc
	s_cbranch_execz .LBB1143_119
; %bb.88:
	v_cmp_ne_u32_e32 vcc, v61, v58
	v_add_u32_e32 v8, 7, v89
	s_mov_b64 s[26:27], 0
	v_cndmask_b32_e64 v72, 0, 1, vcc
	v_cmp_gt_u32_e32 vcc, s86, v8
	s_mov_b32 s34, 0
	v_mov_b64_e32 v[10:11], s[28:29]
	v_mov_b32_e32 v12, 0
	v_mov_b32_e32 v75, 0
	v_mov_b64_e32 v[14:15], s[28:29]
	v_mov_b64_e32 v[16:17], s[28:29]
	;; [unrolled: 1-line block ×6, first 2 shown]
	v_mov_b32_e32 v87, 0
	v_mov_b32_e32 v86, 0
	;; [unrolled: 1-line block ×14, first 2 shown]
                                        ; implicit-def: $sgpr0_sgpr1
                                        ; implicit-def: $vgpr32_vgpr33
                                        ; implicit-def: $vgpr30_vgpr31
                                        ; implicit-def: $vgpr26_vgpr27
                                        ; implicit-def: $vgpr24_vgpr25
                                        ; implicit-def: $vgpr22_vgpr23
                                        ; implicit-def: $vgpr20_vgpr21
                                        ; implicit-def: $vgpr8_vgpr9
	s_and_saveexec_b64 s[24:25], vcc
	s_cbranch_execz .LBB1143_118
; %bb.89:
	ds_read2_b32 v[8:9], v13 offset0:7 offset1:8
	v_cmp_ne_u32_e32 vcc, v58, v59
	v_add_u32_e32 v10, 8, v89
	v_mov_b32_e32 v37, 0
	s_mov_b32 s35, s34
	v_cndmask_b32_e64 v73, 0, 1, vcc
	v_cmp_gt_u32_e32 vcc, s86, v10
	s_waitcnt lgkmcnt(0)
	v_mov_b32_e32 v36, v8
	s_mov_b64 s[28:29], 0
	v_mov_b64_e32 v[10:11], s[34:35]
	v_mov_b64_e32 v[14:15], s[34:35]
	;; [unrolled: 1-line block ×6, first 2 shown]
	v_mov_b32_e32 v12, v37
	v_mov_b32_e32 v75, v37
	;; [unrolled: 1-line block ×15, first 2 shown]
                                        ; implicit-def: $sgpr0_sgpr1
                                        ; implicit-def: $vgpr32_vgpr33
                                        ; implicit-def: $vgpr30_vgpr31
                                        ; implicit-def: $vgpr26_vgpr27
                                        ; implicit-def: $vgpr24_vgpr25
                                        ; implicit-def: $vgpr22_vgpr23
                                        ; implicit-def: $vgpr20_vgpr21
	s_and_saveexec_b64 s[26:27], vcc
	s_cbranch_execz .LBB1143_117
; %bb.90:
	v_cmp_ne_u32_e32 vcc, v59, v56
	v_add_u32_e32 v10, 9, v89
	s_mov_b64 s[30:31], 0
	v_cndmask_b32_e64 v74, 0, 1, vcc
	v_cmp_gt_u32_e32 vcc, s86, v10
	s_mov_b32 s38, 0
	v_mov_b64_e32 v[10:11], s[34:35]
	v_mov_b32_e32 v12, 0
	v_mov_b32_e32 v75, 0
	v_mov_b64_e32 v[14:15], s[34:35]
	v_mov_b64_e32 v[16:17], s[34:35]
	;; [unrolled: 1-line block ×5, first 2 shown]
	v_mov_b32_e32 v87, 0
	v_mov_b32_e32 v86, 0
	;; [unrolled: 1-line block ×12, first 2 shown]
                                        ; implicit-def: $sgpr0_sgpr1
                                        ; implicit-def: $vgpr32_vgpr33
                                        ; implicit-def: $vgpr30_vgpr31
                                        ; implicit-def: $vgpr26_vgpr27
                                        ; implicit-def: $vgpr24_vgpr25
                                        ; implicit-def: $vgpr22_vgpr23
                                        ; implicit-def: $vgpr20_vgpr21
	s_and_saveexec_b64 s[28:29], vcc
	s_cbranch_execz .LBB1143_116
; %bb.91:
	ds_read2_b32 v[20:21], v13 offset0:9 offset1:10
	v_cmp_ne_u32_e32 vcc, v56, v57
	v_add_u32_e32 v10, 10, v89
	v_mov_b32_e32 v35, 0
	s_mov_b32 s39, s38
	v_cndmask_b32_e64 v76, 0, 1, vcc
	v_cmp_gt_u32_e32 vcc, s86, v10
	s_waitcnt lgkmcnt(0)
	v_mov_b32_e32 v34, v20
	s_mov_b64 s[34:35], 0
	v_mov_b64_e32 v[10:11], s[38:39]
	v_mov_b64_e32 v[14:15], s[38:39]
	;; [unrolled: 1-line block ×5, first 2 shown]
	v_mov_b32_e32 v12, v35
	v_mov_b32_e32 v75, v35
	;; [unrolled: 1-line block ×13, first 2 shown]
                                        ; implicit-def: $sgpr0_sgpr1
                                        ; implicit-def: $vgpr32_vgpr33
                                        ; implicit-def: $vgpr30_vgpr31
                                        ; implicit-def: $vgpr26_vgpr27
                                        ; implicit-def: $vgpr24_vgpr25
                                        ; implicit-def: $vgpr22_vgpr23
	s_and_saveexec_b64 s[30:31], vcc
	s_cbranch_execz .LBB1143_115
; %bb.92:
	v_cmp_ne_u32_e32 vcc, v57, v54
	v_add_u32_e32 v10, 11, v89
	s_mov_b64 s[36:37], 0
	v_cndmask_b32_e64 v77, 0, 1, vcc
	v_cmp_gt_u32_e32 vcc, s86, v10
	s_mov_b32 s42, 0
	v_mov_b64_e32 v[10:11], s[38:39]
	v_mov_b32_e32 v12, 0
	v_mov_b32_e32 v75, 0
	v_mov_b64_e32 v[14:15], s[38:39]
	v_mov_b64_e32 v[16:17], s[38:39]
	;; [unrolled: 1-line block ×4, first 2 shown]
	v_mov_b32_e32 v87, 0
	v_mov_b32_e32 v86, 0
	;; [unrolled: 1-line block ×10, first 2 shown]
                                        ; implicit-def: $sgpr0_sgpr1
                                        ; implicit-def: $vgpr32_vgpr33
                                        ; implicit-def: $vgpr30_vgpr31
                                        ; implicit-def: $vgpr26_vgpr27
                                        ; implicit-def: $vgpr24_vgpr25
                                        ; implicit-def: $vgpr22_vgpr23
	s_and_saveexec_b64 s[34:35], vcc
	s_cbranch_execz .LBB1143_114
; %bb.93:
	ds_read2_b32 v[22:23], v13 offset0:11 offset1:12
	v_cmp_ne_u32_e32 vcc, v54, v55
	v_add_u32_e32 v10, 12, v89
	v_mov_b32_e32 v29, 0
	s_mov_b32 s43, s42
	v_cndmask_b32_e64 v78, 0, 1, vcc
	v_cmp_gt_u32_e32 vcc, s86, v10
	s_waitcnt lgkmcnt(0)
	v_mov_b32_e32 v28, v22
	s_mov_b64 s[38:39], 0
	v_mov_b64_e32 v[10:11], s[42:43]
	v_mov_b64_e32 v[14:15], s[42:43]
	v_mov_b64_e32 v[16:17], s[42:43]
	v_mov_b64_e32 v[18:19], s[42:43]
	v_mov_b32_e32 v12, v29
	v_mov_b32_e32 v75, v29
	;; [unrolled: 1-line block ×11, first 2 shown]
                                        ; implicit-def: $sgpr0_sgpr1
                                        ; implicit-def: $vgpr32_vgpr33
                                        ; implicit-def: $vgpr30_vgpr31
                                        ; implicit-def: $vgpr26_vgpr27
                                        ; implicit-def: $vgpr24_vgpr25
	s_and_saveexec_b64 s[36:37], vcc
	s_cbranch_execz .LBB1143_113
; %bb.94:
	v_cmp_ne_u32_e32 vcc, v55, v52
	v_add_u32_e32 v10, 13, v89
	s_mov_b64 s[40:41], 0
	v_cndmask_b32_e64 v79, 0, 1, vcc
	v_cmp_gt_u32_e32 vcc, s86, v10
	s_mov_b32 s46, 0
	v_mov_b64_e32 v[10:11], s[42:43]
	v_mov_b32_e32 v12, 0
	v_mov_b32_e32 v75, 0
	v_mov_b64_e32 v[14:15], s[42:43]
	v_mov_b64_e32 v[16:17], s[42:43]
	v_mov_b64_e32 v[18:19], s[42:43]
	v_mov_b32_e32 v87, 0
	v_mov_b32_e32 v86, 0
	;; [unrolled: 1-line block ×8, first 2 shown]
                                        ; implicit-def: $sgpr0_sgpr1
                                        ; implicit-def: $vgpr32_vgpr33
                                        ; implicit-def: $vgpr30_vgpr31
                                        ; implicit-def: $vgpr26_vgpr27
                                        ; implicit-def: $vgpr24_vgpr25
	s_and_saveexec_b64 s[38:39], vcc
	s_cbranch_execz .LBB1143_112
; %bb.95:
	ds_read2_b32 v[24:25], v13 offset0:13 offset1:14
	v_cmp_ne_u32_e32 vcc, v52, v53
	v_add_u32_e32 v10, 14, v89
	v_mov_b32_e32 v19, 0
	s_mov_b32 s47, s46
	v_cndmask_b32_e64 v80, 0, 1, vcc
	v_cmp_gt_u32_e32 vcc, s86, v10
	s_waitcnt lgkmcnt(0)
	v_mov_b32_e32 v18, v24
	s_mov_b64 s[42:43], 0
	v_mov_b64_e32 v[10:11], s[46:47]
	v_mov_b64_e32 v[14:15], s[46:47]
	v_mov_b64_e32 v[16:17], s[46:47]
	v_mov_b32_e32 v12, v19
	v_mov_b32_e32 v75, v19
	;; [unrolled: 1-line block ×9, first 2 shown]
                                        ; implicit-def: $sgpr0_sgpr1
                                        ; implicit-def: $vgpr32_vgpr33
                                        ; implicit-def: $vgpr30_vgpr31
                                        ; implicit-def: $vgpr26_vgpr27
	s_and_saveexec_b64 s[40:41], vcc
	s_cbranch_execz .LBB1143_111
; %bb.96:
	v_cmp_ne_u32_e32 vcc, v53, v50
	v_add_u32_e32 v10, 15, v89
	s_mov_b64 s[44:45], 0
	v_cndmask_b32_e64 v81, 0, 1, vcc
	v_cmp_gt_u32_e32 vcc, s86, v10
	s_mov_b32 s50, 0
	v_mov_b64_e32 v[10:11], s[46:47]
	v_mov_b32_e32 v12, 0
	v_mov_b32_e32 v75, 0
	v_mov_b64_e32 v[14:15], s[46:47]
	v_mov_b64_e32 v[16:17], s[46:47]
	v_mov_b32_e32 v87, 0
	v_mov_b32_e32 v86, 0
	;; [unrolled: 1-line block ×6, first 2 shown]
                                        ; implicit-def: $sgpr0_sgpr1
                                        ; implicit-def: $vgpr32_vgpr33
                                        ; implicit-def: $vgpr30_vgpr31
                                        ; implicit-def: $vgpr26_vgpr27
	s_and_saveexec_b64 s[42:43], vcc
	s_cbranch_execz .LBB1143_110
; %bb.97:
	ds_read2_b32 v[26:27], v13 offset0:15 offset1:16
	v_cmp_ne_u32_e32 vcc, v50, v51
	v_add_u32_e32 v10, 16, v89
	v_mov_b32_e32 v17, 0
	s_mov_b32 s51, s50
	v_cndmask_b32_e64 v82, 0, 1, vcc
	v_cmp_gt_u32_e32 vcc, s86, v10
	s_waitcnt lgkmcnt(0)
	v_mov_b32_e32 v16, v26
	s_mov_b64 s[46:47], 0
	v_mov_b64_e32 v[10:11], s[50:51]
	v_mov_b64_e32 v[14:15], s[50:51]
	v_mov_b32_e32 v12, v17
	v_mov_b32_e32 v75, v17
	;; [unrolled: 1-line block ×7, first 2 shown]
                                        ; implicit-def: $sgpr0_sgpr1
                                        ; implicit-def: $vgpr32_vgpr33
                                        ; implicit-def: $vgpr30_vgpr31
	s_and_saveexec_b64 s[44:45], vcc
	s_cbranch_execz .LBB1143_109
; %bb.98:
	v_cmp_ne_u32_e32 vcc, v51, v48
	v_add_u32_e32 v10, 17, v89
	s_mov_b64 s[48:49], 0
	v_cndmask_b32_e64 v83, 0, 1, vcc
	v_cmp_gt_u32_e32 vcc, s86, v10
	s_mov_b32 s64, 0
	v_mov_b64_e32 v[10:11], s[50:51]
	v_mov_b32_e32 v12, 0
	v_mov_b32_e32 v75, 0
	v_mov_b64_e32 v[14:15], s[50:51]
	v_mov_b32_e32 v87, 0
	v_mov_b32_e32 v86, 0
	;; [unrolled: 1-line block ×4, first 2 shown]
                                        ; implicit-def: $sgpr0_sgpr1
                                        ; implicit-def: $vgpr32_vgpr33
                                        ; implicit-def: $vgpr30_vgpr31
	s_and_saveexec_b64 s[46:47], vcc
	s_cbranch_execz .LBB1143_108
; %bb.99:
	ds_read2_b32 v[30:31], v13 offset0:17 offset1:18
	v_cmp_ne_u32_e32 vcc, v48, v49
	v_add_u32_e32 v10, 18, v89
	v_mov_b32_e32 v15, 0
	s_mov_b32 s65, s64
	v_cndmask_b32_e64 v84, 0, 1, vcc
	v_cmp_gt_u32_e32 vcc, s86, v10
	s_waitcnt lgkmcnt(0)
	v_mov_b32_e32 v14, v30
	s_mov_b64 s[50:51], 0
	v_mov_b64_e32 v[10:11], s[64:65]
	v_mov_b32_e32 v12, v15
	v_mov_b32_e32 v75, v15
	;; [unrolled: 1-line block ×5, first 2 shown]
                                        ; implicit-def: $sgpr0_sgpr1
                                        ; implicit-def: $vgpr32_vgpr33
	s_and_saveexec_b64 s[48:49], vcc
	s_cbranch_execz .LBB1143_107
; %bb.100:
	v_cmp_ne_u32_e32 vcc, v49, v46
	v_add_u32_e32 v10, 19, v89
	s_mov_b64 s[52:53], 0
	v_cndmask_b32_e64 v85, 0, 1, vcc
	v_cmp_gt_u32_e32 vcc, s86, v10
	v_mov_b64_e32 v[10:11], s[64:65]
	v_mov_b32_e32 v12, 0
	v_mov_b32_e32 v75, 0
	;; [unrolled: 1-line block ×4, first 2 shown]
                                        ; implicit-def: $sgpr0_sgpr1
                                        ; implicit-def: $vgpr32_vgpr33
	s_and_saveexec_b64 s[50:51], vcc
	s_cbranch_execz .LBB1143_106
; %bb.101:
	ds_read2_b32 v[32:33], v13 offset0:19 offset1:20
	v_cmp_ne_u32_e32 vcc, v46, v47
	v_add_u32_e32 v10, 20, v89
	v_mov_b32_e32 v11, 0
	v_cndmask_b32_e64 v86, 0, 1, vcc
	v_cmp_gt_u32_e32 vcc, s86, v10
	s_waitcnt lgkmcnt(0)
	v_mov_b32_e32 v10, v32
	s_mov_b64 s[64:65], 0
	v_mov_b32_e32 v12, v11
	v_mov_b32_e32 v75, v11
	;; [unrolled: 1-line block ×3, first 2 shown]
                                        ; implicit-def: $sgpr0_sgpr1
	s_and_saveexec_b64 s[52:53], vcc
	s_cbranch_execz .LBB1143_105
; %bb.102:
	v_cmp_ne_u32_e32 vcc, v47, v40
	v_add_u32_e32 v10, 21, v89
	v_mov_b32_e32 v12, 0
	v_cndmask_b32_e64 v87, 0, 1, vcc
	v_cmp_gt_u32_e32 vcc, s86, v10
	v_mov_b32_e32 v75, 0
                                        ; implicit-def: $sgpr82_sgpr83
	s_and_saveexec_b64 s[0:1], vcc
	s_xor_b64 s[84:85], exec, s[0:1]
	s_cbranch_execz .LBB1143_104
; %bb.103:
	ds_read2_b32 v[12:13], v13 offset0:21 offset1:22
	v_cmp_ne_u32_e64 s[0:1], v40, v41
	v_add_u32_e32 v10, 22, v89
	v_cmp_ne_u32_e32 vcc, v41, v88
	v_cndmask_b32_e64 v75, 0, 1, s[0:1]
	v_cmp_gt_u32_e64 s[0:1], s86, v10
	s_and_b64 s[82:83], vcc, exec
	s_and_b64 s[64:65], s[0:1], exec
.LBB1143_104:
	s_or_b64 exec, exec, s[84:85]
	s_and_b64 s[0:1], s[82:83], exec
	s_and_b64 s[64:65], s[64:65], exec
	v_mov_b64_e32 v[10:11], v[32:33]
.LBB1143_105:
	s_or_b64 exec, exec, s[52:53]
	s_and_b64 s[0:1], s[0:1], exec
	s_and_b64 s[52:53], s[64:65], exec
.LBB1143_106:
	s_or_b64 exec, exec, s[50:51]
	s_and_b64 s[0:1], s[0:1], exec
	s_and_b64 s[50:51], s[52:53], exec
	v_mov_b64_e32 v[14:15], v[30:31]
.LBB1143_107:
	s_or_b64 exec, exec, s[48:49]
	s_and_b64 s[0:1], s[0:1], exec
	s_and_b64 s[48:49], s[50:51], exec
.LBB1143_108:
	s_or_b64 exec, exec, s[46:47]
	s_and_b64 s[0:1], s[0:1], exec
	s_and_b64 s[46:47], s[48:49], exec
	v_mov_b64_e32 v[16:17], v[26:27]
.LBB1143_109:
	s_or_b64 exec, exec, s[44:45]
	s_and_b64 s[0:1], s[0:1], exec
	s_and_b64 s[44:45], s[46:47], exec
.LBB1143_110:
	s_or_b64 exec, exec, s[42:43]
	s_and_b64 s[0:1], s[0:1], exec
	s_and_b64 s[42:43], s[44:45], exec
	v_mov_b64_e32 v[18:19], v[24:25]
.LBB1143_111:
	s_or_b64 exec, exec, s[40:41]
	s_and_b64 s[0:1], s[0:1], exec
	s_and_b64 s[40:41], s[42:43], exec
.LBB1143_112:
	s_or_b64 exec, exec, s[38:39]
	s_and_b64 s[0:1], s[0:1], exec
	s_and_b64 s[38:39], s[40:41], exec
	v_mov_b64_e32 v[28:29], v[22:23]
.LBB1143_113:
	s_or_b64 exec, exec, s[36:37]
	s_and_b64 s[0:1], s[0:1], exec
	s_and_b64 s[36:37], s[38:39], exec
.LBB1143_114:
	s_or_b64 exec, exec, s[34:35]
	s_and_b64 s[0:1], s[0:1], exec
	s_and_b64 s[34:35], s[36:37], exec
	v_mov_b64_e32 v[34:35], v[20:21]
.LBB1143_115:
	s_or_b64 exec, exec, s[30:31]
	s_and_b64 s[0:1], s[0:1], exec
	s_and_b64 s[30:31], s[34:35], exec
.LBB1143_116:
	s_or_b64 exec, exec, s[28:29]
	s_and_b64 s[0:1], s[0:1], exec
	s_and_b64 s[28:29], s[30:31], exec
	v_mov_b64_e32 v[36:37], v[8:9]
.LBB1143_117:
	s_or_b64 exec, exec, s[26:27]
	s_and_b64 s[0:1], s[0:1], exec
	s_and_b64 s[26:27], s[28:29], exec
.LBB1143_118:
	s_or_b64 exec, exec, s[24:25]
	s_and_b64 s[0:1], s[0:1], exec
	s_and_b64 s[24:25], s[26:27], exec
	v_mov_b64_e32 v[38:39], v[6:7]
.LBB1143_119:
	s_or_b64 exec, exec, s[22:23]
	s_and_b64 s[0:1], s[0:1], exec
	s_and_b64 s[22:23], s[24:25], exec
.LBB1143_120:
	s_or_b64 exec, exec, s[20:21]
	s_and_b64 s[0:1], s[0:1], exec
	s_and_b64 s[20:21], s[22:23], exec
	v_mov_b64_e32 v[42:43], v[4:5]
.LBB1143_121:
	s_or_b64 exec, exec, s[18:19]
	s_and_b64 s[0:1], s[0:1], exec
	s_and_b64 s[18:19], s[20:21], exec
.LBB1143_122:
	s_or_b64 exec, exec, s[16:17]
	s_and_b64 s[0:1], s[0:1], exec
	s_and_b64 s[16:17], s[18:19], exec
	v_mov_b64_e32 v[44:45], v[2:3]
.LBB1143_123:
	s_or_b64 exec, exec, s[14:15]
	s_and_b64 s[0:1], s[0:1], exec
	s_and_b64 s[14:15], s[16:17], exec
.LBB1143_124:
	s_or_b64 exec, exec, s[12:13]
	s_and_b64 s[0:1], s[0:1], exec
	s_and_b64 s[12:13], s[14:15], exec
.LBB1143_125:
	s_or_b64 exec, exec, s[10:11]
	s_mov_b32 s7, 0
	s_and_b64 vcc, exec, s[8:9]
	v_lshlrev_b32_e32 v40, 2, v0
	s_cbranch_vccnz .LBB1143_127
	s_branch .LBB1143_135
.LBB1143_126:
                                        ; implicit-def: $sgpr0_sgpr1
                                        ; implicit-def: $vgpr12_vgpr13
                                        ; implicit-def: $vgpr32_vgpr33
                                        ; implicit-def: $vgpr30_vgpr31
                                        ; implicit-def: $vgpr26_vgpr27
                                        ; implicit-def: $vgpr24_vgpr25
                                        ; implicit-def: $vgpr22_vgpr23
                                        ; implicit-def: $vgpr20_vgpr21
                                        ; implicit-def: $vgpr8_vgpr9
                                        ; implicit-def: $vgpr6_vgpr7
                                        ; implicit-def: $vgpr4_vgpr5
                                        ; implicit-def: $vgpr2_vgpr3
                                        ; implicit-def: $vgpr66
                                        ; implicit-def: $vgpr75
                                        ; implicit-def: $vgpr1
                                        ; implicit-def: $vgpr87
                                        ; implicit-def: $vgpr67
                                        ; implicit-def: $vgpr86
                                        ; implicit-def: $vgpr85
                                        ; implicit-def: $vgpr68
                                        ; implicit-def: $vgpr84
                                        ; implicit-def: $vgpr83
                                        ; implicit-def: $vgpr69
                                        ; implicit-def: $vgpr82
                                        ; implicit-def: $vgpr81
                                        ; implicit-def: $vgpr70
                                        ; implicit-def: $vgpr80
                                        ; implicit-def: $vgpr79
                                        ; implicit-def: $vgpr71
                                        ; implicit-def: $vgpr78
                                        ; implicit-def: $vgpr77
                                        ; implicit-def: $vgpr72
                                        ; implicit-def: $vgpr76
                                        ; implicit-def: $vgpr74
                                        ; implicit-def: $vgpr73
                                        ; implicit-def: $vgpr10_vgpr11
                                        ; implicit-def: $vgpr14_vgpr15
                                        ; implicit-def: $vgpr16_vgpr17
                                        ; implicit-def: $vgpr18_vgpr19
                                        ; implicit-def: $vgpr28_vgpr29
                                        ; implicit-def: $vgpr34_vgpr35
                                        ; implicit-def: $vgpr36_vgpr37
                                        ; implicit-def: $vgpr38_vgpr39
                                        ; implicit-def: $vgpr42_vgpr43
                                        ; implicit-def: $vgpr44_vgpr45
                                        ; implicit-def: $sgpr7
                                        ; implicit-def: $sgpr6
	s_and_b64 vcc, exec, s[8:9]
	v_lshlrev_b32_e32 v40, 2, v0
	s_cbranch_vccz .LBB1143_135
.LBB1143_127:
	v_mov_b32_e32 v41, 0
	v_lshl_add_u64 v[2:3], s[68:69], 0, v[40:41]
	v_add_co_u32_e32 v4, vcc, 0x1000, v2
	s_movk_i32 s0, 0x58
	s_nop 0
	v_addc_co_u32_e32 v5, vcc, 0, v3, vcc
	s_waitcnt lgkmcnt(0)
	flat_load_dword v1, v[2:3]
	flat_load_dword v8, v[2:3] offset:1024
	flat_load_dword v9, v[2:3] offset:2048
	;; [unrolled: 1-line block ×3, first 2 shown]
	flat_load_dword v11, v[4:5]
	flat_load_dword v12, v[4:5] offset:1024
	flat_load_dword v13, v[4:5] offset:2048
	;; [unrolled: 1-line block ×3, first 2 shown]
	v_add_co_u32_e32 v4, vcc, 0x2000, v2
	v_mad_u32_u24 v28, v0, s0, v40
	s_nop 0
	v_addc_co_u32_e32 v5, vcc, 0, v3, vcc
	v_add_co_u32_e32 v6, vcc, 0x3000, v2
	s_cmp_eq_u64 s[80:81], 0
	s_nop 0
	v_addc_co_u32_e32 v7, vcc, 0, v3, vcc
	flat_load_dword v15, v[4:5]
	flat_load_dword v16, v[4:5] offset:1024
	flat_load_dword v17, v[4:5] offset:2048
	;; [unrolled: 1-line block ×3, first 2 shown]
	flat_load_dword v19, v[6:7]
	flat_load_dword v20, v[6:7] offset:1024
	flat_load_dword v21, v[6:7] offset:2048
	;; [unrolled: 1-line block ×3, first 2 shown]
	v_add_co_u32_e32 v4, vcc, 0x4000, v2
	s_nop 1
	v_addc_co_u32_e32 v5, vcc, 0, v3, vcc
	v_add_co_u32_e32 v2, vcc, 0x5000, v2
	s_nop 1
	v_addc_co_u32_e32 v3, vcc, 0, v3, vcc
	flat_load_dword v6, v[4:5]
	flat_load_dword v7, v[4:5] offset:1024
	flat_load_dword v23, v[4:5] offset:2048
	;; [unrolled: 1-line block ×3, first 2 shown]
	flat_load_dword v25, v[2:3]
	flat_load_dword v26, v[2:3] offset:1024
	flat_load_dword v27, v[2:3] offset:2048
	s_waitcnt vmcnt(0) lgkmcnt(0)
	ds_write2st64_b32 v40, v1, v8 offset1:4
	ds_write2st64_b32 v40, v9, v10 offset0:8 offset1:12
	ds_write2st64_b32 v40, v11, v12 offset0:16 offset1:20
	;; [unrolled: 1-line block ×10, first 2 shown]
	ds_write_b32 v40, v27 offset:22528
	s_waitcnt lgkmcnt(0)
	s_barrier
	ds_read2_b32 v[10:11], v28 offset1:1
	ds_read2_b32 v[2:3], v28 offset0:2 offset1:3
	ds_read2_b32 v[4:5], v28 offset0:4 offset1:5
	;; [unrolled: 1-line block ×10, first 2 shown]
	ds_read_b32 v1, v28 offset:88
	s_cbranch_scc1 .LBB1143_132
; %bb.128:
	s_andn2_b64 vcc, exec, s[78:79]
	s_cbranch_vccnz .LBB1143_298
; %bb.129:
	s_lshl_b64 s[0:1], s[80:81], 2
	s_add_u32 s0, s70, s0
	s_addc_u32 s1, s71, s1
	s_add_u32 s0, s0, -4
	s_addc_u32 s1, s1, -1
	s_cbranch_execnz .LBB1143_131
.LBB1143_130:
	s_add_u32 s0, s68, -4
	s_addc_u32 s1, s69, -1
.LBB1143_131:
	s_mov_b64 s[68:69], s[0:1]
.LBB1143_132:
	v_mov_b64_e32 v[24:25], s[68:69]
	flat_load_dword v29, v[24:25]
	s_movk_i32 s0, 0xffa8
	v_mad_i32_i24 v24, v0, s0, v28
	s_waitcnt lgkmcnt(0)
	ds_write_b32 v24, v1 offset:23552
	s_waitcnt lgkmcnt(0)
	s_barrier
	s_and_saveexec_b64 s[0:1], s[4:5]
	s_cbranch_execz .LBB1143_134
; %bb.133:
	v_mul_i32_i24_e32 v24, 0xffffffa8, v0
	v_add_u32_e32 v24, v28, v24
	s_waitcnt vmcnt(0)
	ds_read_b32 v29, v24 offset:23548
.LBB1143_134:
	s_or_b64 exec, exec, s[0:1]
	v_mov_b32_e32 v41, 0
	v_lshl_add_u64 v[24:25], s[60:61], 0, v[40:41]
	s_movk_i32 s0, 0x1000
	v_add_co_u32_e32 v26, vcc, s0, v24
	s_movk_i32 s0, 0x2000
	s_nop 0
	v_addc_co_u32_e32 v27, vcc, 0, v25, vcc
	s_waitcnt lgkmcnt(0)
	s_barrier
	flat_load_dword v32, v[24:25]
	flat_load_dword v33, v[24:25] offset:1024
	flat_load_dword v34, v[24:25] offset:2048
	;; [unrolled: 1-line block ×3, first 2 shown]
	flat_load_dword v36, v[26:27]
	flat_load_dword v37, v[26:27] offset:1024
	flat_load_dword v38, v[26:27] offset:2048
	;; [unrolled: 1-line block ×3, first 2 shown]
	v_add_co_u32_e32 v26, vcc, s0, v24
	s_movk_i32 s0, 0x3000
	s_nop 0
	v_addc_co_u32_e32 v27, vcc, 0, v25, vcc
	v_add_co_u32_e32 v30, vcc, s0, v24
	s_movk_i32 s0, 0x4000
	s_nop 0
	v_addc_co_u32_e32 v31, vcc, 0, v25, vcc
	flat_load_dword v41, v[26:27]
	flat_load_dword v42, v[26:27] offset:1024
	flat_load_dword v43, v[26:27] offset:2048
	;; [unrolled: 1-line block ×3, first 2 shown]
	flat_load_dword v45, v[30:31]
	flat_load_dword v46, v[30:31] offset:1024
	flat_load_dword v47, v[30:31] offset:2048
	;; [unrolled: 1-line block ×3, first 2 shown]
	v_add_co_u32_e32 v26, vcc, s0, v24
	s_movk_i32 s0, 0x5000
	s_nop 0
	v_addc_co_u32_e32 v27, vcc, 0, v25, vcc
	v_add_co_u32_e32 v24, vcc, s0, v24
	v_cmp_ne_u32_e64 s[0:1], v23, v1
	s_nop 0
	v_addc_co_u32_e32 v25, vcc, 0, v25, vcc
	flat_load_dword v30, v[26:27]
	flat_load_dword v31, v[26:27] offset:1024
	flat_load_dword v49, v[26:27] offset:2048
	;; [unrolled: 1-line block ×3, first 2 shown]
	flat_load_dword v51, v[24:25]
	flat_load_dword v52, v[24:25] offset:1024
	flat_load_dword v53, v[24:25] offset:2048
	v_cmp_ne_u32_e32 vcc, v22, v23
	s_mov_b64 s[12:13], -1
                                        ; implicit-def: $sgpr7
                                        ; implicit-def: $sgpr6
	s_waitcnt vmcnt(0) lgkmcnt(0)
	ds_write2st64_b32 v40, v32, v33 offset1:4
	ds_write2st64_b32 v40, v34, v35 offset0:8 offset1:12
	ds_write2st64_b32 v40, v36, v37 offset0:16 offset1:20
	;; [unrolled: 1-line block ×10, first 2 shown]
	ds_write_b32 v40, v53 offset:22528
	v_cndmask_b32_e64 v75, 0, 1, vcc
	v_cmp_ne_u32_e32 vcc, v21, v22
	s_waitcnt lgkmcnt(0)
	s_barrier
	v_cndmask_b32_e64 v87, 0, 1, vcc
	v_cmp_ne_u32_e32 vcc, v20, v21
	s_waitcnt lgkmcnt(0)
                                        ; implicit-def: $vgpr34_vgpr35
                                        ; implicit-def: $vgpr36_vgpr37
                                        ; implicit-def: $vgpr38_vgpr39
                                        ; implicit-def: $vgpr42_vgpr43
                                        ; implicit-def: $vgpr44_vgpr45
	s_nop 0
	v_cndmask_b32_e64 v86, 0, 1, vcc
	v_cmp_ne_u32_e32 vcc, v19, v20
	s_nop 1
	v_cndmask_b32_e64 v85, 0, 1, vcc
	v_cmp_ne_u32_e32 vcc, v18, v19
	;; [unrolled: 3-line block ×3, first 2 shown]
                                        ; implicit-def: $vgpr18_vgpr19
	s_nop 1
	v_cndmask_b32_e64 v83, 0, 1, vcc
	v_cmp_ne_u32_e32 vcc, v16, v17
	s_nop 1
	v_cndmask_b32_e64 v82, 0, 1, vcc
	v_cmp_ne_u32_e32 vcc, v15, v16
                                        ; implicit-def: $vgpr16_vgpr17
	s_nop 1
	v_cndmask_b32_e64 v81, 0, 1, vcc
	v_cmp_ne_u32_e32 vcc, v14, v15
	s_nop 1
	v_cndmask_b32_e64 v80, 0, 1, vcc
	v_cmp_ne_u32_e32 vcc, v13, v14
                                        ; implicit-def: $vgpr14_vgpr15
	s_nop 1
	v_cndmask_b32_e64 v79, 0, 1, vcc
	v_cmp_ne_u32_e32 vcc, v12, v13
	s_nop 1
	v_cndmask_b32_e64 v78, 0, 1, vcc
	v_cmp_ne_u32_e32 vcc, v9, v12
	s_nop 1
	v_cndmask_b32_e64 v77, 0, 1, vcc
	v_cmp_ne_u32_e32 vcc, v8, v9
	s_nop 1
	v_cndmask_b32_e64 v76, 0, 1, vcc
	v_cmp_ne_u32_e32 vcc, v7, v8
	s_nop 1
	v_cndmask_b32_e64 v74, 0, 1, vcc
	v_cmp_ne_u32_e32 vcc, v6, v7
	s_nop 1
	v_cndmask_b32_e64 v73, 0, 1, vcc
	v_cmp_ne_u32_e32 vcc, v5, v6
	s_nop 1
	v_cndmask_b32_e64 v72, 0, 1, vcc
	v_cmp_ne_u32_e32 vcc, v4, v5
	s_nop 1
	v_cndmask_b32_e64 v71, 0, 1, vcc
	v_cmp_ne_u32_e32 vcc, v3, v4
	s_nop 1
	v_cndmask_b32_e64 v70, 0, 1, vcc
	v_cmp_ne_u32_e32 vcc, v2, v3
	s_nop 1
	v_cndmask_b32_e64 v69, 0, 1, vcc
	v_cmp_ne_u32_e32 vcc, v11, v2
	ds_read_b32 v1, v28
	ds_read2_b32 v[2:3], v28 offset0:1 offset1:2
	ds_read2_b32 v[4:5], v28 offset0:3 offset1:4
	;; [unrolled: 1-line block ×11, first 2 shown]
	v_cndmask_b32_e64 v68, 0, 1, vcc
	v_cmp_ne_u32_e32 vcc, v10, v11
	s_nop 1
	v_cndmask_b32_e64 v67, 0, 1, vcc
	v_cmp_ne_u32_e32 vcc, v29, v10
                                        ; implicit-def: $vgpr10_vgpr11
                                        ; implicit-def: $vgpr28_vgpr29
	s_nop 1
	v_cndmask_b32_e64 v66, 0, 1, vcc
.LBB1143_135:
	v_mov_b32_e32 v46, s6
	v_mov_b32_e32 v41, s7
	s_and_saveexec_b64 s[6:7], s[12:13]
	s_cbranch_execz .LBB1143_137
; %bb.136:
	v_cndmask_b32_e64 v46, 0, 1, s[0:1]
	s_waitcnt lgkmcnt(0)
	v_mov_b32_e32 v41, v13
	v_mov_b64_e32 v[44:45], v[2:3]
	v_mov_b64_e32 v[42:43], v[4:5]
	;; [unrolled: 1-line block ×10, first 2 shown]
.LBB1143_137:
	s_or_b64 exec, exec, s[6:7]
	s_waitcnt lgkmcnt(10)
	v_or_b32_e32 v2, v46, v75
	s_cmp_lg_u32 s75, 0
	s_waitcnt lgkmcnt(4)
	v_or_b32_e32 v24, v2, v87
	s_waitcnt lgkmcnt(0)
	v_lshrrev_b32_e32 v13, 5, v0
	v_cmp_gt_u32_e32 vcc, 64, v0
	s_barrier
	s_cbranch_scc0 .LBB1143_200
; %bb.138:
	v_mov_b32_e32 v6, 0
	v_add_f32_e32 v2, v44, v1
	v_cmp_eq_u16_sdwa s[6:7], v67, v6 src0_sel:BYTE_0 src1_sel:DWORD
	v_cmp_eq_u16_sdwa s[8:9], v68, v6 src0_sel:BYTE_0 src1_sel:DWORD
	v_cmp_eq_u16_sdwa s[10:11], v69, v6 src0_sel:BYTE_0 src1_sel:DWORD
	v_cndmask_b32_e64 v2, v44, v2, s[6:7]
	v_add_f32_e32 v2, v45, v2
	v_cndmask_b32_e64 v2, v45, v2, s[8:9]
	v_add_f32_e32 v2, v42, v2
	v_cndmask_b32_e64 v2, v42, v2, s[10:11]
	v_add_f32_e32 v2, v43, v2
	v_cmp_eq_u16_sdwa s[12:13], v70, v6 src0_sel:BYTE_0 src1_sel:DWORD
	v_cmp_eq_u16_sdwa s[14:15], v71, v6 src0_sel:BYTE_0 src1_sel:DWORD
	v_cmp_eq_u16_sdwa s[16:17], v72, v6 src0_sel:BYTE_0 src1_sel:DWORD
	v_cndmask_b32_e64 v2, v43, v2, s[12:13]
	v_add_f32_e32 v2, v38, v2
	v_cndmask_b32_e64 v2, v38, v2, s[14:15]
	v_add_f32_e32 v2, v39, v2
	v_cndmask_b32_e64 v2, v39, v2, s[16:17]
	;; [unrolled: 9-line block ×7, first 2 shown]
	v_add_f32_e32 v2, v41, v2
	v_cmp_eq_u16_sdwa s[50:51], v46, v6 src0_sel:BYTE_0 src1_sel:DWORD
	v_and_b32_e32 v3, 0xff, v66
	s_nop 0
	v_cndmask_b32_e64 v25, v41, v2, s[50:51]
	v_or_b32_e32 v2, v24, v86
	v_or_b32_e32 v2, v2, v85
	;; [unrolled: 1-line block ×19, first 2 shown]
	v_and_b32_e32 v2, 1, v2
	v_cmp_eq_u32_e64 s[0:1], 1, v2
	v_add_lshl_u32 v2, v13, v0, 3
	s_nop 0
	v_cndmask_b32_e64 v26, v3, 1, s[0:1]
	ds_write_b32 v2, v25
	ds_write_b8 v2, v26 offset:4
	s_waitcnt lgkmcnt(0)
	s_barrier
	s_and_saveexec_b64 s[52:53], vcc
	s_cbranch_execz .LBB1143_152
; %bb.139:
	v_lshrrev_b32_e32 v2, 3, v0
	v_add_lshl_u32 v4, v2, v40, 3
	ds_read2_b32 v[8:9], v4 offset0:2 offset1:4
	ds_read_b64 v[2:3], v4
	ds_read_u8 v7, v4 offset:12
	ds_read_u8 v20, v4 offset:20
	ds_read_b32 v22, v4 offset:24
	ds_read_u8 v23, v4 offset:28
	s_waitcnt lgkmcnt(4)
	v_add_f32_e32 v5, v2, v8
	s_waitcnt lgkmcnt(3)
	v_cmp_eq_u16_sdwa s[0:1], v7, v6 src0_sel:BYTE_0 src1_sel:DWORD
	v_and_b32_e32 v21, 0xffffff00, v3
	s_nop 0
	v_cndmask_b32_e64 v8, v8, v5, s[0:1]
	v_add_f32_e32 v8, v9, v8
	s_waitcnt lgkmcnt(2)
	v_cmp_eq_u16_sdwa s[0:1], v20, v6 src0_sel:BYTE_0 src1_sel:DWORD
	v_and_b32_e32 v5, 1, v3
	s_nop 0
	v_cndmask_b32_e64 v6, v9, v8, s[0:1]
	s_waitcnt lgkmcnt(0)
	v_or_b32_e32 v8, v23, v20
	v_or_b32_e32 v7, v8, v7
	v_add_f32_e32 v6, v22, v6
	v_cmp_eq_u16_e64 s[0:1], 0, v23
	v_and_b32_e32 v7, 1, v7
	s_nop 0
	v_cndmask_b32_e64 v6, v22, v6, s[0:1]
	v_cmp_eq_u32_e64 s[0:1], 1, v7
	v_mbcnt_lo_u32_b32 v7, -1, 0
	v_mbcnt_hi_u32_b32 v7, -1, v7
	v_cndmask_b32_e64 v9, v5, 1, s[0:1]
	v_or_b32_e32 v8, v9, v21
	v_and_b32_e32 v20, 15, v7
	v_mov_b32_dpp v23, v6 row_shr:1 row_mask:0xf bank_mask:0xf
	v_mov_b32_dpp v22, v8 row_shr:1 row_mask:0xf bank_mask:0xf
	v_cmp_ne_u32_e64 s[0:1], 0, v20
	s_and_saveexec_b64 s[60:61], s[0:1]
; %bb.140:
	v_add_f32_e32 v8, v6, v23
	v_cmp_eq_u32_e64 s[0:1], 0, v9
	s_nop 1
	v_cndmask_b32_e64 v6, v6, v8, s[0:1]
	v_and_b32_e32 v8, 1, v9
	v_and_b32_e32 v9, 1, v22
	v_cmp_eq_u32_e64 s[0:1], 1, v8
	s_nop 1
	v_cndmask_b32_e64 v9, v9, 1, s[0:1]
	v_or_b32_e32 v8, v9, v21
; %bb.141:
	s_or_b64 exec, exec, s[60:61]
	v_mov_b32_dpp v22, v6 row_shr:2 row_mask:0xf bank_mask:0xf
	v_mov_b32_dpp v21, v8 row_shr:2 row_mask:0xf bank_mask:0xf
	v_cmp_lt_u32_e64 s[0:1], 1, v20
	s_and_saveexec_b64 s[60:61], s[0:1]
; %bb.142:
	v_add_f32_e32 v22, v6, v22
	v_cmp_eq_u32_e64 s[0:1], 0, v9
	v_and_b32_e32 v9, 1, v9
	v_and_b32_e32 v21, 1, v21
	v_cndmask_b32_e64 v6, v6, v22, s[0:1]
	v_cmp_eq_u32_e64 s[0:1], 1, v9
	s_nop 1
	v_cndmask_b32_e64 v9, v21, 1, s[0:1]
	s_movk_i32 s0, 0xff00
	v_and_or_b32 v8, v8, s0, v9
; %bb.143:
	s_or_b64 exec, exec, s[60:61]
	v_mov_b32_dpp v22, v6 row_shr:4 row_mask:0xf bank_mask:0xf
	v_mov_b32_dpp v21, v8 row_shr:4 row_mask:0xf bank_mask:0xf
	v_cmp_lt_u32_e64 s[0:1], 3, v20
	s_and_saveexec_b64 s[60:61], s[0:1]
; %bb.144:
	v_add_f32_e32 v22, v6, v22
	v_cmp_eq_u32_e64 s[0:1], 0, v9
	v_and_b32_e32 v9, 1, v9
	v_and_b32_e32 v21, 1, v21
	v_cndmask_b32_e64 v6, v6, v22, s[0:1]
	v_cmp_eq_u32_e64 s[0:1], 1, v9
	s_nop 1
	v_cndmask_b32_e64 v9, v21, 1, s[0:1]
	s_movk_i32 s0, 0xff00
	v_and_or_b32 v8, v8, s0, v9
; %bb.145:
	s_or_b64 exec, exec, s[60:61]
	v_mov_b32_dpp v22, v6 row_shr:8 row_mask:0xf bank_mask:0xf
	v_mov_b32_dpp v21, v8 row_shr:8 row_mask:0xf bank_mask:0xf
	v_cmp_lt_u32_e64 s[0:1], 7, v20
	s_and_saveexec_b64 s[60:61], s[0:1]
; %bb.146:
	v_add_f32_e32 v20, v6, v22
	v_cmp_eq_u32_e64 s[0:1], 0, v9
	v_and_b32_e32 v9, 1, v9
	s_nop 0
	v_cndmask_b32_e64 v6, v6, v20, s[0:1]
	v_and_b32_e32 v20, 1, v21
	v_cmp_eq_u32_e64 s[0:1], 1, v9
	s_nop 1
	v_cndmask_b32_e64 v9, v20, 1, s[0:1]
	s_movk_i32 s0, 0xff00
	v_and_or_b32 v8, v8, s0, v9
; %bb.147:
	s_or_b64 exec, exec, s[60:61]
	v_and_b32_e32 v22, 16, v7
	v_mov_b32_dpp v21, v6 row_bcast:15 row_mask:0xf bank_mask:0xf
	v_mov_b32_dpp v20, v8 row_bcast:15 row_mask:0xf bank_mask:0xf
	v_cmp_ne_u32_e64 s[0:1], 0, v22
	s_and_saveexec_b64 s[60:61], s[0:1]
; %bb.148:
	v_add_f32_e32 v21, v6, v21
	v_cmp_eq_u32_e64 s[0:1], 0, v9
	v_and_b32_e32 v9, 1, v9
	v_and_b32_e32 v20, 1, v20
	v_cndmask_b32_e64 v6, v6, v21, s[0:1]
	v_cmp_eq_u32_e64 s[0:1], 1, v9
	s_nop 1
	v_cndmask_b32_e64 v9, v20, 1, s[0:1]
	s_movk_i32 s0, 0xff00
	v_and_or_b32 v8, v8, s0, v9
; %bb.149:
	s_or_b64 exec, exec, s[60:61]
	v_mov_b32_dpp v21, v6 row_bcast:31 row_mask:0xf bank_mask:0xf
	v_mov_b32_dpp v20, v8 row_bcast:31 row_mask:0xf bank_mask:0xf
	v_cmp_lt_u32_e64 s[0:1], 31, v7
	s_and_saveexec_b64 s[60:61], s[0:1]
; %bb.150:
	v_add_f32_e32 v21, v6, v21
	v_cmp_eq_u32_e64 s[0:1], 0, v9
	v_and_b32_e32 v9, 1, v9
	v_and_b32_e32 v20, 1, v20
	v_cndmask_b32_e64 v6, v6, v21, s[0:1]
	v_cmp_eq_u32_e64 s[0:1], 1, v9
	s_nop 1
	v_cndmask_b32_e64 v9, v20, 1, s[0:1]
	s_movk_i32 s0, 0xff00
	v_and_or_b32 v8, v8, s0, v9
; %bb.151:
	s_or_b64 exec, exec, s[60:61]
	v_add_u32_e32 v9, -1, v7
	v_and_b32_e32 v20, 64, v7
	v_cmp_lt_i32_e64 s[0:1], v9, v20
	; wave barrier
	s_nop 1
	v_cndmask_b32_e64 v7, v9, v7, s[0:1]
	v_lshlrev_b32_e32 v7, 2, v7
	ds_bpermute_b32 v6, v7, v6
	ds_bpermute_b32 v7, v7, v8
	v_mov_b32_e32 v8, 0
	v_cmp_eq_u32_sdwa s[0:1], v3, v8 src0_sel:BYTE_0 src1_sel:DWORD
	s_waitcnt lgkmcnt(1)
	v_add_f32_e32 v6, v2, v6
	v_cndmask_b32_e64 v2, v2, v6, s[0:1]
	s_waitcnt lgkmcnt(0)
	v_and_b32_e32 v3, 1, v7
	v_cmp_eq_u32_e64 s[0:1], 1, v5
	v_cndmask_b32_e64 v5, v2, v25, s[54:55]
	s_nop 0
	v_cndmask_b32_e64 v3, v3, 1, s[0:1]
	v_cndmask_b32_e64 v6, v3, v26, s[54:55]
	ds_write_b32 v4, v5
	ds_write_b8 v4, v6 offset:4
	; wave barrier
	ds_read2_b32 v[2:3], v4 offset0:2 offset1:4
	ds_read_u8 v7, v4 offset:12
	ds_read_u8 v8, v4 offset:20
	ds_read_b32 v9, v4 offset:24
	ds_read_u8 v20, v4 offset:28
	s_waitcnt lgkmcnt(4)
	v_add_f32_e32 v5, v5, v2
	s_waitcnt lgkmcnt(3)
	v_cmp_eq_u16_e64 s[0:1], 0, v7
	s_nop 1
	v_cndmask_b32_e64 v2, v2, v5, s[0:1]
	v_and_b32_e32 v5, 1, v7
	v_cmp_eq_u32_e64 s[0:1], 1, v5
	s_nop 1
	v_cndmask_b32_e64 v5, v6, 1, s[0:1]
	v_add_f32_e32 v6, v2, v3
	s_waitcnt lgkmcnt(2)
	v_cmp_eq_u16_e64 s[0:1], 0, v8
	ds_write_b8 v4, v5 offset:12
	s_nop 0
	v_cndmask_b32_e64 v3, v3, v6, s[0:1]
	v_and_b32_e32 v6, 1, v8
	v_cmp_eq_u32_e64 s[0:1], 1, v6
	s_nop 1
	v_cndmask_b32_e64 v5, v5, 1, s[0:1]
	ds_write2_b32 v4, v2, v3 offset0:2 offset1:4
	ds_write_b8 v4, v5 offset:20
	s_waitcnt lgkmcnt(4)
	v_add_f32_e32 v2, v3, v9
	s_waitcnt lgkmcnt(3)
	v_cmp_eq_u16_e64 s[0:1], 0, v20
	v_and_b32_e32 v3, 1, v20
	s_nop 0
	v_cndmask_b32_e64 v2, v9, v2, s[0:1]
	v_cmp_eq_u32_e64 s[0:1], 1, v3
	s_nop 1
	v_cndmask_b32_e64 v3, v5, 1, s[0:1]
	ds_write_b32 v4, v2 offset:24
	ds_write_b8 v4, v3 offset:28
.LBB1143_152:
	s_or_b64 exec, exec, s[52:53]
	s_waitcnt lgkmcnt(0)
	s_barrier
	s_and_saveexec_b64 s[0:1], s[4:5]
	s_cbranch_execz .LBB1143_154
; %bb.153:
	v_add_u32_e32 v2, -1, v0
	v_lshrrev_b32_e32 v3, 5, v2
	v_add_lshl_u32 v2, v3, v2, 3
	ds_read_b32 v25, v2
	ds_read_u8 v26, v2 offset:4
.LBB1143_154:
	s_or_b64 exec, exec, s[0:1]
	s_and_saveexec_b64 s[0:1], vcc
	s_cbranch_execz .LBB1143_199
; %bb.155:
	v_mov_b32_e32 v5, 0
	ds_read_b64 v[2:3], v5 offset:2096
	v_mbcnt_lo_u32_b32 v4, -1, 0
	v_mbcnt_hi_u32_b32 v21, -1, v4
	s_mov_b32 s65, 0
	v_cmp_eq_u32_e64 s[52:53], 0, v21
	s_waitcnt lgkmcnt(0)
	v_readfirstlane_b32 s68, v3
	s_and_saveexec_b64 s[60:61], s[52:53]
	s_cbranch_execz .LBB1143_157
; %bb.156:
	s_add_i32 s64, s75, 64
	s_lshl_b64 s[70:71], s[64:65], 4
	s_add_u32 s70, s72, s70
	s_addc_u32 s71, s73, s71
	s_and_b32 s79, s68, 0xff000000
	s_mov_b32 s78, s65
	s_and_b32 s81, s68, 0xff0000
	s_mov_b32 s80, s65
	s_or_b64 s[78:79], s[80:81], s[78:79]
	s_and_b32 s81, s68, 0xff00
	s_or_b64 s[78:79], s[78:79], s[80:81]
	s_and_b32 s81, s68, 0xff
	s_or_b64 s[64:65], s[78:79], s[80:81]
	v_mov_b32_e32 v3, s65
	v_mov_b32_e32 v4, 1
	v_mov_b64_e32 v[6:7], s[70:71]
	;;#ASMSTART
	global_store_dwordx4 v[6:7], v[2:5] off sc1	
s_waitcnt vmcnt(0)
	;;#ASMEND
.LBB1143_157:
	s_or_b64 exec, exec, s[60:61]
	v_xad_u32 v20, v21, -1, s75
	v_add_u32_e32 v4, 64, v20
	v_lshl_add_u64 v[22:23], v[4:5], 4, s[72:73]
	;;#ASMSTART
	global_load_dwordx4 v[6:9], v[22:23] off sc1	
s_waitcnt vmcnt(0)
	;;#ASMEND
	s_nop 0
	v_cmp_eq_u16_sdwa s[64:65], v8, v5 src0_sel:BYTE_0 src1_sel:DWORD
	s_and_saveexec_b64 s[60:61], s[64:65]
	s_cbranch_execz .LBB1143_163
; %bb.158:
	s_mov_b32 s69, 1
	s_mov_b64 s[64:65], 0
	v_mov_b32_e32 v3, 0
.LBB1143_159:                           ; =>This Loop Header: Depth=1
                                        ;     Child Loop BB1143_160 Depth 2
	s_max_u32 s70, s69, 1
.LBB1143_160:                           ;   Parent Loop BB1143_159 Depth=1
                                        ; =>  This Inner Loop Header: Depth=2
	s_add_i32 s70, s70, -1
	s_cmp_eq_u32 s70, 0
	s_sleep 1
	s_cbranch_scc0 .LBB1143_160
; %bb.161:                              ;   in Loop: Header=BB1143_159 Depth=1
	s_cmp_lt_u32 s69, 32
	s_cselect_b64 s[70:71], -1, 0
	s_cmp_lg_u64 s[70:71], 0
	s_addc_u32 s69, s69, 0
	;;#ASMSTART
	global_load_dwordx4 v[6:9], v[22:23] off sc1	
s_waitcnt vmcnt(0)
	;;#ASMEND
	s_nop 0
	v_cmp_ne_u16_sdwa s[70:71], v8, v3 src0_sel:BYTE_0 src1_sel:DWORD
	s_or_b64 s[64:65], s[70:71], s[64:65]
	s_andn2_b64 exec, exec, s[64:65]
	s_cbranch_execnz .LBB1143_159
; %bb.162:
	s_or_b64 exec, exec, s[64:65]
.LBB1143_163:
	s_or_b64 exec, exec, s[60:61]
	v_mov_b32_e32 v3, 2
	v_cmp_eq_u16_sdwa s[60:61], v8, v3 src0_sel:BYTE_0 src1_sel:DWORD
	v_lshlrev_b64 v[4:5], v21, -1
	v_and_b32_e32 v22, 0xff, v7
	v_and_b32_e32 v3, s61, v5
	v_or_b32_e32 v3, 0x80000000, v3
	v_ffbl_b32_e32 v31, v3
	v_and_b32_e32 v3, 63, v21
	v_cmp_ne_u32_e32 vcc, 63, v3
	v_and_b32_e32 v9, s60, v4
	v_add_u32_e32 v31, 32, v31
	v_addc_co_u32_e32 v23, vcc, 0, v21, vcc
	v_lshlrev_b32_e32 v27, 2, v23
	ds_bpermute_b32 v30, v27, v6
	ds_bpermute_b32 v23, v27, v22
	v_ffbl_b32_e32 v9, v9
	v_min_u32_e32 v9, v9, v31
	v_cmp_lt_u32_e32 vcc, v3, v9
	s_and_saveexec_b64 s[60:61], vcc
	s_cbranch_execz .LBB1143_165
; %bb.164:
	v_mov_b32_e32 v22, 0
	s_waitcnt lgkmcnt(1)
	v_add_f32_e32 v30, v6, v30
	v_cmp_eq_u16_sdwa vcc, v7, v22 src0_sel:BYTE_0 src1_sel:DWORD
	v_and_b32_e32 v7, 1, v7
	s_waitcnt lgkmcnt(0)
	v_and_b32_e32 v22, 1, v23
	v_cndmask_b32_e32 v6, v6, v30, vcc
	v_cmp_eq_u32_e32 vcc, 1, v7
	s_nop 1
	v_cndmask_b32_e64 v7, v22, 1, vcc
	v_and_b32_e32 v22, 0xffff, v7
.LBB1143_165:
	s_or_b64 exec, exec, s[60:61]
	v_cmp_gt_u32_e32 vcc, 62, v3
	v_add_u32_e32 v31, 2, v3
	s_waitcnt lgkmcnt(0)
	v_cndmask_b32_e64 v23, 0, 1, vcc
	v_lshlrev_b32_e32 v23, 1, v23
	v_add_lshl_u32 v30, v23, v21, 2
	ds_bpermute_b32 v32, v30, v6
	ds_bpermute_b32 v23, v30, v22
	v_cmp_le_u32_e32 vcc, v31, v9
	s_and_saveexec_b64 s[60:61], vcc
	s_cbranch_execz .LBB1143_167
; %bb.166:
	v_mov_b32_e32 v22, 0
	s_waitcnt lgkmcnt(1)
	v_add_f32_e32 v32, v6, v32
	v_cmp_eq_u16_sdwa vcc, v7, v22 src0_sel:BYTE_0 src1_sel:DWORD
	v_and_b32_e32 v7, 1, v7
	s_waitcnt lgkmcnt(0)
	v_and_b32_e32 v22, 1, v23
	v_cndmask_b32_e32 v6, v6, v32, vcc
	v_cmp_eq_u32_e32 vcc, 1, v7
	s_nop 1
	v_cndmask_b32_e64 v7, v22, 1, vcc
	v_and_b32_e32 v22, 0xffff, v7
.LBB1143_167:
	s_or_b64 exec, exec, s[60:61]
	v_cmp_gt_u32_e32 vcc, 60, v3
	v_add_u32_e32 v33, 4, v3
	s_waitcnt lgkmcnt(0)
	v_cndmask_b32_e64 v23, 0, 1, vcc
	v_lshlrev_b32_e32 v23, 2, v23
	v_add_lshl_u32 v32, v23, v21, 2
	ds_bpermute_b32 v47, v32, v6
	ds_bpermute_b32 v23, v32, v22
	v_cmp_le_u32_e32 vcc, v33, v9
	;; [unrolled: 26-line block ×5, first 2 shown]
	s_and_saveexec_b64 s[60:61], vcc
	s_cbranch_execz .LBB1143_175
; %bb.174:
	v_mov_b32_e32 v9, 0
	s_waitcnt lgkmcnt(1)
	v_add_f32_e32 v22, v6, v23
	v_cmp_eq_u16_sdwa vcc, v7, v9 src0_sel:BYTE_0 src1_sel:DWORD
	v_and_b32_e32 v7, 1, v7
	s_waitcnt lgkmcnt(0)
	v_and_b32_e32 v9, 1, v21
	v_cndmask_b32_e32 v6, v6, v22, vcc
	v_cmp_eq_u32_e32 vcc, 1, v7
	s_nop 1
	v_cndmask_b32_e64 v7, v9, 1, vcc
.LBB1143_175:
	s_or_b64 exec, exec, s[60:61]
	s_waitcnt lgkmcnt(0)
	v_mov_b32_e32 v21, 0
	v_mov_b32_e32 v55, 2
	s_branch .LBB1143_177
.LBB1143_176:                           ;   in Loop: Header=BB1143_177 Depth=1
	s_or_b64 exec, exec, s[60:61]
	s_waitcnt lgkmcnt(0)
	ds_bpermute_b32 v23, v52, v6
	ds_bpermute_b32 v22, v52, v22
	v_and_b32_e32 v56, 1, v7
	v_cmp_eq_u16_sdwa vcc, v7, v21 src0_sel:BYTE_0 src1_sel:DWORD
	v_subrev_u32_e32 v20, 64, v20
	s_waitcnt lgkmcnt(1)
	v_add_f32_e32 v23, v6, v23
	v_cndmask_b32_e32 v23, v6, v23, vcc
	v_cmp_eq_u32_e32 vcc, 1, v56
	s_waitcnt lgkmcnt(0)
	s_nop 0
	v_cndmask_b32_e64 v22, v22, 1, vcc
	v_cmp_gt_u32_e32 vcc, v54, v9
	v_and_b32_e32 v9, 1, v51
	s_nop 0
	v_cndmask_b32_e32 v6, v23, v6, vcc
	v_cndmask_b32_e32 v7, v22, v7, vcc
	v_add_f32_e32 v6, v53, v6
	v_cmp_eq_u16_sdwa vcc, v51, v21 src0_sel:BYTE_0 src1_sel:DWORD
	v_and_b32_e32 v7, 1, v7
	s_nop 0
	v_cndmask_b32_e32 v6, v53, v6, vcc
	v_cmp_eq_u32_e32 vcc, 1, v9
	s_nop 1
	v_cndmask_b32_e64 v7, v7, 1, vcc
.LBB1143_177:                           ; =>This Loop Header: Depth=1
                                        ;     Child Loop BB1143_180 Depth 2
                                        ;       Child Loop BB1143_181 Depth 3
	v_cmp_ne_u16_sdwa s[60:61], v8, v55 src0_sel:BYTE_0 src1_sel:DWORD
	v_mov_b32_e32 v51, v7
	v_mov_b32_e32 v53, v6
	v_cndmask_b32_e64 v7, 0, 1, s[60:61]
	;;#ASMSTART
	;;#ASMEND
	s_nop 0
	v_cmp_ne_u32_e32 vcc, 0, v7
	s_cmp_lg_u64 vcc, exec
	s_cbranch_scc1 .LBB1143_194
; %bb.178:                              ;   in Loop: Header=BB1143_177 Depth=1
	v_lshl_add_u64 v[22:23], v[20:21], 4, s[72:73]
	;;#ASMSTART
	global_load_dwordx4 v[6:9], v[22:23] off sc1	
s_waitcnt vmcnt(0)
	;;#ASMEND
	s_nop 0
	v_cmp_eq_u16_sdwa s[64:65], v8, v21 src0_sel:BYTE_0 src1_sel:DWORD
	s_and_saveexec_b64 s[60:61], s[64:65]
	s_cbranch_execz .LBB1143_184
; %bb.179:                              ;   in Loop: Header=BB1143_177 Depth=1
	s_mov_b32 s69, 1
	s_mov_b64 s[64:65], 0
.LBB1143_180:                           ;   Parent Loop BB1143_177 Depth=1
                                        ; =>  This Loop Header: Depth=2
                                        ;       Child Loop BB1143_181 Depth 3
	s_max_u32 s70, s69, 1
.LBB1143_181:                           ;   Parent Loop BB1143_177 Depth=1
                                        ;     Parent Loop BB1143_180 Depth=2
                                        ; =>    This Inner Loop Header: Depth=3
	s_add_i32 s70, s70, -1
	s_cmp_eq_u32 s70, 0
	s_sleep 1
	s_cbranch_scc0 .LBB1143_181
; %bb.182:                              ;   in Loop: Header=BB1143_180 Depth=2
	s_cmp_lt_u32 s69, 32
	s_cselect_b64 s[70:71], -1, 0
	s_cmp_lg_u64 s[70:71], 0
	s_addc_u32 s69, s69, 0
	;;#ASMSTART
	global_load_dwordx4 v[6:9], v[22:23] off sc1	
s_waitcnt vmcnt(0)
	;;#ASMEND
	s_nop 0
	v_cmp_ne_u16_sdwa s[70:71], v8, v21 src0_sel:BYTE_0 src1_sel:DWORD
	s_or_b64 s[64:65], s[70:71], s[64:65]
	s_andn2_b64 exec, exec, s[64:65]
	s_cbranch_execnz .LBB1143_180
; %bb.183:                              ;   in Loop: Header=BB1143_177 Depth=1
	s_or_b64 exec, exec, s[64:65]
.LBB1143_184:                           ;   in Loop: Header=BB1143_177 Depth=1
	s_or_b64 exec, exec, s[60:61]
	v_cmp_eq_u16_sdwa s[60:61], v8, v55 src0_sel:BYTE_0 src1_sel:DWORD
	v_and_b32_e32 v22, 0xff, v7
	ds_bpermute_b32 v56, v27, v6
	v_and_b32_e32 v9, s61, v5
	v_or_b32_e32 v9, 0x80000000, v9
	ds_bpermute_b32 v23, v27, v22
	v_and_b32_e32 v57, s60, v4
	v_ffbl_b32_e32 v9, v9
	v_add_u32_e32 v9, 32, v9
	v_ffbl_b32_e32 v57, v57
	v_min_u32_e32 v9, v57, v9
	v_cmp_lt_u32_e32 vcc, v3, v9
	s_and_saveexec_b64 s[60:61], vcc
	s_cbranch_execz .LBB1143_186
; %bb.185:                              ;   in Loop: Header=BB1143_177 Depth=1
	s_waitcnt lgkmcnt(1)
	v_add_f32_e32 v22, v6, v56
	v_cmp_eq_u16_sdwa vcc, v7, v21 src0_sel:BYTE_0 src1_sel:DWORD
	v_and_b32_e32 v7, 1, v7
	s_nop 0
	v_cndmask_b32_e32 v6, v6, v22, vcc
	s_waitcnt lgkmcnt(0)
	v_and_b32_e32 v22, 1, v23
	v_cmp_eq_u32_e32 vcc, 1, v7
	s_nop 1
	v_cndmask_b32_e64 v7, v22, 1, vcc
	v_and_b32_e32 v22, 0xffff, v7
.LBB1143_186:                           ;   in Loop: Header=BB1143_177 Depth=1
	s_or_b64 exec, exec, s[60:61]
	s_waitcnt lgkmcnt(1)
	ds_bpermute_b32 v56, v30, v6
	s_waitcnt lgkmcnt(1)
	ds_bpermute_b32 v23, v30, v22
	v_cmp_le_u32_e32 vcc, v31, v9
	s_and_saveexec_b64 s[60:61], vcc
	s_cbranch_execz .LBB1143_188
; %bb.187:                              ;   in Loop: Header=BB1143_177 Depth=1
	s_waitcnt lgkmcnt(1)
	v_add_f32_e32 v22, v6, v56
	v_cmp_eq_u16_sdwa vcc, v7, v21 src0_sel:BYTE_0 src1_sel:DWORD
	v_and_b32_e32 v7, 1, v7
	s_nop 0
	v_cndmask_b32_e32 v6, v6, v22, vcc
	s_waitcnt lgkmcnt(0)
	v_and_b32_e32 v22, 1, v23
	v_cmp_eq_u32_e32 vcc, 1, v7
	s_nop 1
	v_cndmask_b32_e64 v7, v22, 1, vcc
	v_and_b32_e32 v22, 0xffff, v7
.LBB1143_188:                           ;   in Loop: Header=BB1143_177 Depth=1
	s_or_b64 exec, exec, s[60:61]
	s_waitcnt lgkmcnt(1)
	ds_bpermute_b32 v56, v32, v6
	s_waitcnt lgkmcnt(1)
	ds_bpermute_b32 v23, v32, v22
	v_cmp_le_u32_e32 vcc, v33, v9
	;; [unrolled: 22-line block ×4, first 2 shown]
	s_and_saveexec_b64 s[60:61], vcc
	s_cbranch_execz .LBB1143_176
; %bb.193:                              ;   in Loop: Header=BB1143_177 Depth=1
	s_waitcnt lgkmcnt(1)
	v_add_f32_e32 v22, v6, v56
	v_cmp_eq_u16_sdwa vcc, v7, v21 src0_sel:BYTE_0 src1_sel:DWORD
	v_and_b32_e32 v7, 1, v7
	s_nop 0
	v_cndmask_b32_e32 v6, v6, v22, vcc
	s_waitcnt lgkmcnt(0)
	v_and_b32_e32 v22, 1, v23
	v_cmp_eq_u32_e32 vcc, 1, v7
	s_nop 1
	v_cndmask_b32_e64 v7, v22, 1, vcc
	v_and_b32_e32 v22, 0xffff, v7
	s_branch .LBB1143_176
.LBB1143_194:                           ;   in Loop: Header=BB1143_177 Depth=1
                                        ; implicit-def: $vgpr7
	s_cbranch_execz .LBB1143_177
; %bb.195:
	s_and_saveexec_b64 s[60:61], s[52:53]
	s_cbranch_execz .LBB1143_197
; %bb.196:
	s_and_b32 s52, s68, 0xff
	s_cmp_eq_u32 s52, 0
	s_cselect_b64 vcc, -1, 0
	s_bitcmp1_b32 s68, 0
	s_mov_b32 s53, 0
	s_cselect_b64 s[64:65], -1, 0
	s_add_i32 s52, s75, 64
	s_lshl_b64 s[52:53], s[52:53], 4
	v_add_f32_e32 v3, v53, v2
	s_add_u32 s52, s72, s52
	v_cndmask_b32_e32 v2, v2, v3, vcc
	v_and_b32_e32 v3, 1, v51
	s_addc_u32 s53, s73, s53
	v_cndmask_b32_e64 v3, v3, 1, s[64:65]
	v_mov_b32_e32 v4, 2
	v_mov_b32_e32 v5, 0
	v_mov_b64_e32 v[6:7], s[52:53]
	;;#ASMSTART
	global_store_dwordx4 v[6:7], v[2:5] off sc1	
s_waitcnt vmcnt(0)
	;;#ASMEND
.LBB1143_197:
	s_or_b64 exec, exec, s[60:61]
	s_and_b64 exec, exec, s[54:55]
	s_cbranch_execz .LBB1143_199
; %bb.198:
	v_mov_b32_e32 v2, 0
	ds_write_b32 v2, v53
	ds_write_b8 v2, v51 offset:4
.LBB1143_199:
	s_or_b64 exec, exec, s[0:1]
	v_mov_b32_e32 v2, 0
	s_waitcnt lgkmcnt(0)
	s_barrier
	ds_read_b32 v3, v2
	v_and_b32_e32 v4, 1, v66
	v_and_b32_e32 v5, 1, v26
	v_cmp_eq_u32_e32 vcc, 1, v4
	s_nop 1
	v_cndmask_b32_e64 v4, v5, 1, vcc
	v_add_f32_e32 v5, v1, v25
	v_cmp_eq_u16_sdwa vcc, v66, v2 src0_sel:BYTE_0 src1_sel:DWORD
	v_cndmask_b32_e64 v4, v4, v66, s[54:55]
	s_nop 0
	v_cndmask_b32_e32 v5, v1, v5, vcc
	v_cndmask_b32_e64 v5, v5, v1, s[54:55]
	s_waitcnt lgkmcnt(0)
	v_add_f32_e32 v3, v5, v3
	v_cmp_eq_u16_sdwa vcc, v4, v2 src0_sel:BYTE_0 src1_sel:DWORD
	s_nop 1
	v_cndmask_b32_e32 v63, v5, v3, vcc
	v_add_f32_e32 v2, v44, v63
	v_cndmask_b32_e64 v26, v44, v2, s[6:7]
	v_add_f32_e32 v2, v45, v26
	v_cndmask_b32_e64 v27, v45, v2, s[8:9]
	;; [unrolled: 2-line block ×22, first 2 shown]
	s_branch .LBB1143_222
.LBB1143_200:
                                        ; implicit-def: $vgpr61
                                        ; implicit-def: $vgpr60
                                        ; implicit-def: $vgpr59
                                        ; implicit-def: $vgpr58
                                        ; implicit-def: $vgpr57
                                        ; implicit-def: $vgpr56
                                        ; implicit-def: $vgpr55
                                        ; implicit-def: $vgpr54
                                        ; implicit-def: $vgpr53
                                        ; implicit-def: $vgpr52
                                        ; implicit-def: $vgpr51
                                        ; implicit-def: $vgpr50
                                        ; implicit-def: $vgpr49
                                        ; implicit-def: $vgpr48
                                        ; implicit-def: $vgpr47
                                        ; implicit-def: $vgpr33
                                        ; implicit-def: $vgpr32
                                        ; implicit-def: $vgpr31
                                        ; implicit-def: $vgpr30
                                        ; implicit-def: $vgpr27
                                        ; implicit-def: $vgpr26
                                        ; implicit-def: $vgpr63
                                        ; implicit-def: $vgpr62
	s_cbranch_execz .LBB1143_222
; %bb.201:
	s_cmp_lg_u64 s[76:77], 0
	s_cselect_b32 s7, s67, 0
	s_cselect_b32 s6, s66, 0
	s_cmp_lg_u64 s[6:7], 0
	s_cselect_b64 s[0:1], -1, 0
	s_and_b64 s[8:9], s[54:55], s[0:1]
	s_and_saveexec_b64 s[0:1], s[8:9]
	s_cbranch_execz .LBB1143_203
; %bb.202:
	v_mov_b32_e32 v2, 0
	global_load_dword v3, v2, s[6:7]
	global_load_ubyte v4, v2, s[6:7] offset:4
	v_and_b32_e32 v5, 1, v66
	v_cmp_eq_u16_sdwa vcc, v66, v2 src0_sel:BYTE_0 src1_sel:DWORD
	s_waitcnt vmcnt(1)
	v_add_f32_e32 v3, v1, v3
	s_waitcnt vmcnt(0)
	v_and_b32_e32 v4, 1, v4
	v_cndmask_b32_e32 v1, v1, v3, vcc
	v_cmp_eq_u32_e32 vcc, 1, v5
	s_nop 1
	v_cndmask_b32_e64 v66, v4, 1, vcc
.LBB1143_203:
	s_or_b64 exec, exec, s[0:1]
	v_mov_b32_e32 v7, 0
	v_add_f32_e32 v2, v44, v1
	v_cmp_eq_u16_sdwa vcc, v67, v7 src0_sel:BYTE_0 src1_sel:DWORD
	v_cmp_eq_u16_sdwa s[6:7], v68, v7 src0_sel:BYTE_0 src1_sel:DWORD
	v_cmp_eq_u16_sdwa s[8:9], v69, v7 src0_sel:BYTE_0 src1_sel:DWORD
	v_cndmask_b32_e32 v26, v44, v2, vcc
	v_add_f32_e32 v2, v45, v26
	v_cndmask_b32_e64 v27, v45, v2, s[6:7]
	v_add_f32_e32 v2, v42, v27
	v_cndmask_b32_e64 v30, v42, v2, s[8:9]
	v_add_f32_e32 v2, v43, v30
	v_cmp_eq_u16_sdwa s[10:11], v70, v7 src0_sel:BYTE_0 src1_sel:DWORD
	v_cmp_eq_u16_sdwa s[12:13], v71, v7 src0_sel:BYTE_0 src1_sel:DWORD
	v_cmp_eq_u16_sdwa s[14:15], v72, v7 src0_sel:BYTE_0 src1_sel:DWORD
	v_cndmask_b32_e64 v31, v43, v2, s[10:11]
	v_add_f32_e32 v2, v38, v31
	v_cndmask_b32_e64 v32, v38, v2, s[12:13]
	v_add_f32_e32 v2, v39, v32
	v_cndmask_b32_e64 v33, v39, v2, s[14:15]
	v_add_f32_e32 v2, v36, v33
	v_cmp_eq_u16_sdwa s[16:17], v73, v7 src0_sel:BYTE_0 src1_sel:DWORD
	v_cmp_eq_u16_sdwa s[18:19], v74, v7 src0_sel:BYTE_0 src1_sel:DWORD
	v_cmp_eq_u16_sdwa s[20:21], v76, v7 src0_sel:BYTE_0 src1_sel:DWORD
	v_cndmask_b32_e64 v47, v36, v2, s[16:17]
	;; [unrolled: 9-line block ×6, first 2 shown]
	v_add_f32_e32 v2, v11, v59
	v_cndmask_b32_e64 v60, v11, v2, s[44:45]
	v_add_f32_e32 v2, v12, v60
	v_cndmask_b32_e64 v61, v12, v2, s[46:47]
	v_add_f32_e32 v2, v41, v61
	v_cmp_eq_u16_sdwa s[48:49], v46, v7 src0_sel:BYTE_0 src1_sel:DWORD
	v_and_b32_e32 v3, 0xff, v66
	s_nop 0
	v_cndmask_b32_e64 v62, v41, v2, s[48:49]
	v_or_b32_e32 v2, v24, v86
	v_or_b32_e32 v2, v2, v85
	;; [unrolled: 1-line block ×19, first 2 shown]
	v_and_b32_e32 v2, 1, v2
	v_cmp_eq_u32_e64 s[0:1], 1, v2
	v_add_lshl_u32 v2, v13, v0, 3
	s_nop 0
	v_cndmask_b32_e64 v5, v3, 1, s[0:1]
	v_cmp_gt_u32_e64 s[0:1], 64, v0
	ds_write_b32 v2, v62
	ds_write_b8 v2, v5 offset:4
	s_waitcnt lgkmcnt(0)
	s_barrier
	s_and_saveexec_b64 s[50:51], s[0:1]
	s_cbranch_execz .LBB1143_217
; %bb.204:
	v_lshrrev_b32_e32 v2, 3, v0
	v_add_lshl_u32 v4, v2, v40, 3
	ds_read2_b32 v[8:9], v4 offset0:2 offset1:4
	ds_read_b64 v[2:3], v4
	ds_read_u8 v13, v4 offset:12
	ds_read_u8 v20, v4 offset:20
	ds_read_b32 v22, v4 offset:24
	ds_read_u8 v23, v4 offset:28
	s_waitcnt lgkmcnt(4)
	v_add_f32_e32 v6, v2, v8
	s_waitcnt lgkmcnt(3)
	v_cmp_eq_u16_sdwa s[0:1], v13, v7 src0_sel:BYTE_0 src1_sel:DWORD
	v_and_b32_e32 v21, 0xffffff00, v3
	s_nop 0
	v_cndmask_b32_e64 v8, v8, v6, s[0:1]
	v_add_f32_e32 v8, v9, v8
	s_waitcnt lgkmcnt(2)
	v_cmp_eq_u16_sdwa s[0:1], v20, v7 src0_sel:BYTE_0 src1_sel:DWORD
	v_and_b32_e32 v6, 1, v3
	s_nop 0
	v_cndmask_b32_e64 v7, v9, v8, s[0:1]
	s_waitcnt lgkmcnt(0)
	v_or_b32_e32 v8, v23, v20
	v_or_b32_e32 v8, v8, v13
	v_add_f32_e32 v7, v22, v7
	v_cmp_eq_u16_e64 s[0:1], 0, v23
	v_and_b32_e32 v8, 1, v8
	s_nop 0
	v_cndmask_b32_e64 v7, v22, v7, s[0:1]
	v_cmp_eq_u32_e64 s[0:1], 1, v8
	v_mbcnt_lo_u32_b32 v8, -1, 0
	v_mbcnt_hi_u32_b32 v8, -1, v8
	v_cndmask_b32_e64 v13, v6, 1, s[0:1]
	v_or_b32_e32 v9, v13, v21
	v_and_b32_e32 v20, 15, v8
	v_mov_b32_dpp v23, v7 row_shr:1 row_mask:0xf bank_mask:0xf
	v_mov_b32_dpp v22, v9 row_shr:1 row_mask:0xf bank_mask:0xf
	v_cmp_ne_u32_e64 s[0:1], 0, v20
	s_and_saveexec_b64 s[52:53], s[0:1]
; %bb.205:
	v_add_f32_e32 v9, v7, v23
	v_cmp_eq_u32_e64 s[0:1], 0, v13
	s_nop 1
	v_cndmask_b32_e64 v7, v7, v9, s[0:1]
	v_and_b32_e32 v9, 1, v13
	v_and_b32_e32 v13, 1, v22
	v_cmp_eq_u32_e64 s[0:1], 1, v9
	s_nop 1
	v_cndmask_b32_e64 v13, v13, 1, s[0:1]
	v_or_b32_e32 v9, v13, v21
; %bb.206:
	s_or_b64 exec, exec, s[52:53]
	v_mov_b32_dpp v22, v7 row_shr:2 row_mask:0xf bank_mask:0xf
	v_mov_b32_dpp v21, v9 row_shr:2 row_mask:0xf bank_mask:0xf
	v_cmp_lt_u32_e64 s[0:1], 1, v20
	s_and_saveexec_b64 s[52:53], s[0:1]
; %bb.207:
	v_add_f32_e32 v22, v7, v22
	v_cmp_eq_u32_e64 s[0:1], 0, v13
	v_and_b32_e32 v13, 1, v13
	v_and_b32_e32 v21, 1, v21
	v_cndmask_b32_e64 v7, v7, v22, s[0:1]
	v_cmp_eq_u32_e64 s[0:1], 1, v13
	s_nop 1
	v_cndmask_b32_e64 v13, v21, 1, s[0:1]
	s_movk_i32 s0, 0xff00
	v_and_or_b32 v9, v9, s0, v13
; %bb.208:
	s_or_b64 exec, exec, s[52:53]
	v_mov_b32_dpp v22, v7 row_shr:4 row_mask:0xf bank_mask:0xf
	v_mov_b32_dpp v21, v9 row_shr:4 row_mask:0xf bank_mask:0xf
	v_cmp_lt_u32_e64 s[0:1], 3, v20
	s_and_saveexec_b64 s[52:53], s[0:1]
; %bb.209:
	v_add_f32_e32 v22, v7, v22
	v_cmp_eq_u32_e64 s[0:1], 0, v13
	v_and_b32_e32 v13, 1, v13
	v_and_b32_e32 v21, 1, v21
	v_cndmask_b32_e64 v7, v7, v22, s[0:1]
	v_cmp_eq_u32_e64 s[0:1], 1, v13
	s_nop 1
	v_cndmask_b32_e64 v13, v21, 1, s[0:1]
	s_movk_i32 s0, 0xff00
	v_and_or_b32 v9, v9, s0, v13
; %bb.210:
	s_or_b64 exec, exec, s[52:53]
	v_mov_b32_dpp v22, v7 row_shr:8 row_mask:0xf bank_mask:0xf
	v_mov_b32_dpp v21, v9 row_shr:8 row_mask:0xf bank_mask:0xf
	v_cmp_lt_u32_e64 s[0:1], 7, v20
	s_and_saveexec_b64 s[52:53], s[0:1]
; %bb.211:
	v_add_f32_e32 v20, v7, v22
	v_cmp_eq_u32_e64 s[0:1], 0, v13
	v_and_b32_e32 v13, 1, v13
	s_nop 0
	v_cndmask_b32_e64 v7, v7, v20, s[0:1]
	v_and_b32_e32 v20, 1, v21
	v_cmp_eq_u32_e64 s[0:1], 1, v13
	s_nop 1
	v_cndmask_b32_e64 v13, v20, 1, s[0:1]
	s_movk_i32 s0, 0xff00
	v_and_or_b32 v9, v9, s0, v13
; %bb.212:
	s_or_b64 exec, exec, s[52:53]
	v_and_b32_e32 v22, 16, v8
	v_mov_b32_dpp v21, v7 row_bcast:15 row_mask:0xf bank_mask:0xf
	v_mov_b32_dpp v20, v9 row_bcast:15 row_mask:0xf bank_mask:0xf
	v_cmp_ne_u32_e64 s[0:1], 0, v22
	s_and_saveexec_b64 s[52:53], s[0:1]
; %bb.213:
	v_add_f32_e32 v21, v7, v21
	v_cmp_eq_u32_e64 s[0:1], 0, v13
	v_and_b32_e32 v13, 1, v13
	v_and_b32_e32 v20, 1, v20
	v_cndmask_b32_e64 v7, v7, v21, s[0:1]
	v_cmp_eq_u32_e64 s[0:1], 1, v13
	s_nop 1
	v_cndmask_b32_e64 v13, v20, 1, s[0:1]
	s_movk_i32 s0, 0xff00
	v_and_or_b32 v9, v9, s0, v13
; %bb.214:
	s_or_b64 exec, exec, s[52:53]
	v_mov_b32_dpp v21, v7 row_bcast:31 row_mask:0xf bank_mask:0xf
	v_mov_b32_dpp v20, v9 row_bcast:31 row_mask:0xf bank_mask:0xf
	v_cmp_lt_u32_e64 s[0:1], 31, v8
	s_and_saveexec_b64 s[52:53], s[0:1]
; %bb.215:
	v_add_f32_e32 v21, v7, v21
	v_cmp_eq_u32_e64 s[0:1], 0, v13
	v_and_b32_e32 v13, 1, v13
	v_and_b32_e32 v20, 1, v20
	v_cndmask_b32_e64 v7, v7, v21, s[0:1]
	v_cmp_eq_u32_e64 s[0:1], 1, v13
	s_nop 1
	v_cndmask_b32_e64 v13, v20, 1, s[0:1]
	s_movk_i32 s0, 0xff00
	v_and_or_b32 v9, v9, s0, v13
; %bb.216:
	s_or_b64 exec, exec, s[52:53]
	v_add_u32_e32 v13, -1, v8
	v_and_b32_e32 v20, 64, v8
	v_cmp_lt_i32_e64 s[0:1], v13, v20
	; wave barrier
	s_nop 1
	v_cndmask_b32_e64 v8, v13, v8, s[0:1]
	v_lshlrev_b32_e32 v8, 2, v8
	ds_bpermute_b32 v7, v8, v7
	ds_bpermute_b32 v8, v8, v9
	v_mov_b32_e32 v9, 0
	v_cmp_eq_u32_sdwa s[0:1], v3, v9 src0_sel:BYTE_0 src1_sel:DWORD
	s_waitcnt lgkmcnt(1)
	v_add_f32_e32 v7, v2, v7
	v_cndmask_b32_e64 v2, v2, v7, s[0:1]
	s_waitcnt lgkmcnt(0)
	v_and_b32_e32 v3, 1, v8
	v_cmp_eq_u32_e64 s[0:1], 1, v6
	v_cndmask_b32_e64 v6, v2, v62, s[54:55]
	s_nop 0
	v_cndmask_b32_e64 v3, v3, 1, s[0:1]
	v_cndmask_b32_e64 v5, v3, v5, s[54:55]
	ds_write_b32 v4, v6
	ds_write_b8 v4, v5 offset:4
	; wave barrier
	ds_read2_b32 v[2:3], v4 offset0:2 offset1:4
	ds_read_u8 v7, v4 offset:12
	ds_read_u8 v8, v4 offset:20
	ds_read_b32 v9, v4 offset:24
	ds_read_u8 v13, v4 offset:28
	s_waitcnt lgkmcnt(4)
	v_add_f32_e32 v6, v6, v2
	s_waitcnt lgkmcnt(3)
	v_cmp_eq_u16_e64 s[0:1], 0, v7
	s_nop 1
	v_cndmask_b32_e64 v2, v2, v6, s[0:1]
	v_and_b32_e32 v6, 1, v7
	v_cmp_eq_u32_e64 s[0:1], 1, v6
	v_add_f32_e32 v6, v2, v3
	s_nop 0
	v_cndmask_b32_e64 v5, v5, 1, s[0:1]
	s_waitcnt lgkmcnt(2)
	v_cmp_eq_u16_e64 s[0:1], 0, v8
	ds_write_b8 v4, v5 offset:12
	s_nop 0
	v_cndmask_b32_e64 v3, v3, v6, s[0:1]
	v_and_b32_e32 v6, 1, v8
	v_cmp_eq_u32_e64 s[0:1], 1, v6
	s_nop 1
	v_cndmask_b32_e64 v5, v5, 1, s[0:1]
	ds_write2_b32 v4, v2, v3 offset0:2 offset1:4
	ds_write_b8 v4, v5 offset:20
	s_waitcnt lgkmcnt(4)
	v_add_f32_e32 v2, v3, v9
	s_waitcnt lgkmcnt(3)
	v_cmp_eq_u16_e64 s[0:1], 0, v13
	v_and_b32_e32 v3, 1, v13
	s_nop 0
	v_cndmask_b32_e64 v2, v9, v2, s[0:1]
	v_cmp_eq_u32_e64 s[0:1], 1, v3
	s_nop 1
	v_cndmask_b32_e64 v3, v5, 1, s[0:1]
	ds_write_b32 v4, v2 offset:24
	ds_write_b8 v4, v3 offset:28
.LBB1143_217:
	s_or_b64 exec, exec, s[50:51]
	v_mov_b32_e32 v2, v62
	s_waitcnt lgkmcnt(0)
	s_barrier
	s_and_saveexec_b64 s[0:1], s[4:5]
	s_cbranch_execnz .LBB1143_295
; %bb.218:
	s_or_b64 exec, exec, s[0:1]
	s_and_saveexec_b64 s[50:51], s[4:5]
	s_cbranch_execnz .LBB1143_296
.LBB1143_219:
	s_or_b64 exec, exec, s[50:51]
	s_and_saveexec_b64 s[0:1], s[54:55]
	s_cbranch_execz .LBB1143_221
.LBB1143_220:
	v_mov_b32_e32 v5, 0
	s_waitcnt lgkmcnt(0)
	ds_read_b32 v2, v5 offset:2096
	ds_read_u8 v3, v5 offset:2100
	s_add_u32 s4, s72, 0x400
	s_addc_u32 s5, s73, 0
	v_mov_b32_e32 v4, 2
	v_mov_b64_e32 v[6:7], s[4:5]
	s_waitcnt lgkmcnt(0)
	;;#ASMSTART
	global_store_dwordx4 v[6:7], v[2:5] off sc1	
s_waitcnt vmcnt(0)
	;;#ASMEND
.LBB1143_221:
	s_or_b64 exec, exec, s[0:1]
	v_mov_b32_e32 v63, v1
.LBB1143_222:
	s_add_u32 s0, s62, s58
	s_addc_u32 s1, s63, s59
	s_add_u32 s0, s0, s56
	s_addc_u32 s1, s1, s57
	s_and_b64 vcc, exec, s[2:3]
	s_cbranch_vccz .LBB1143_268
; %bb.223:
	s_movk_i32 s2, 0x5c
	v_mul_i32_i24_e32 v28, 0xffffffa8, v0
	v_mul_u32_u24_e32 v1, 0x5c, v0
	s_waitcnt lgkmcnt(0)
	v_mad_u32_u24 v2, v0, s2, v28
	s_barrier
	ds_write2_b32 v1, v63, v26 offset1:1
	ds_write2_b32 v1, v27, v30 offset0:2 offset1:3
	ds_write2_b32 v1, v31, v32 offset0:4 offset1:5
	;; [unrolled: 1-line block ×10, first 2 shown]
	ds_write_b32 v1, v62 offset:88
	s_waitcnt lgkmcnt(0)
	s_barrier
	ds_read2st64_b32 v[24:25], v2 offset0:4 offset1:8
	ds_read2st64_b32 v[22:23], v2 offset0:12 offset1:16
	;; [unrolled: 1-line block ×11, first 2 shown]
	s_add_i32 s33, s33, s74
	v_mov_b32_e32 v41, 0
	v_lshl_add_u64 v[4:5], s[0:1], 0, v[40:41]
	v_cmp_gt_u32_e32 vcc, s33, v0
	s_and_saveexec_b64 s[2:3], vcc
	s_cbranch_execz .LBB1143_225
; %bb.224:
	v_add_u32_e32 v1, v1, v28
	ds_read_b32 v1, v1
	s_waitcnt lgkmcnt(0)
	flat_store_dword v[4:5], v1
.LBB1143_225:
	s_or_b64 exec, exec, s[2:3]
	v_or_b32_e32 v1, 0x100, v0
	v_cmp_gt_u32_e32 vcc, s33, v1
	s_and_saveexec_b64 s[2:3], vcc
	s_cbranch_execz .LBB1143_227
; %bb.226:
	s_waitcnt lgkmcnt(0)
	flat_store_dword v[4:5], v24 offset:1024
.LBB1143_227:
	s_or_b64 exec, exec, s[2:3]
	v_or_b32_e32 v1, 0x200, v0
	v_cmp_gt_u32_e32 vcc, s33, v1
	s_and_saveexec_b64 s[2:3], vcc
	s_cbranch_execz .LBB1143_229
; %bb.228:
	s_waitcnt lgkmcnt(0)
	flat_store_dword v[4:5], v25 offset:2048
.LBB1143_229:
	;; [unrolled: 9-line block ×3, first 2 shown]
	s_or_b64 exec, exec, s[2:3]
	v_or_b32_e32 v1, 0x400, v0
	v_cmp_gt_u32_e32 vcc, s33, v1
	s_and_saveexec_b64 s[2:3], vcc
	s_cbranch_execz .LBB1143_233
; %bb.232:
	s_waitcnt lgkmcnt(0)
	v_add_co_u32_e32 v24, vcc, 0x1000, v4
	s_nop 1
	v_addc_co_u32_e32 v25, vcc, 0, v5, vcc
	flat_store_dword v[24:25], v23
.LBB1143_233:
	s_or_b64 exec, exec, s[2:3]
	v_or_b32_e32 v1, 0x500, v0
	v_cmp_gt_u32_e32 vcc, s33, v1
	s_and_saveexec_b64 s[2:3], vcc
	s_cbranch_execz .LBB1143_235
; %bb.234:
	s_waitcnt lgkmcnt(0)
	v_add_co_u32_e32 v22, vcc, 0x1000, v4
	s_nop 1
	v_addc_co_u32_e32 v23, vcc, 0, v5, vcc
	flat_store_dword v[22:23], v20 offset:1024
.LBB1143_235:
	s_or_b64 exec, exec, s[2:3]
	v_or_b32_e32 v1, 0x600, v0
	v_cmp_gt_u32_e32 vcc, s33, v1
	s_and_saveexec_b64 s[2:3], vcc
	s_cbranch_execz .LBB1143_237
; %bb.236:
	s_waitcnt lgkmcnt(0)
	v_add_co_u32_e32 v22, vcc, 0x1000, v4
	s_nop 1
	v_addc_co_u32_e32 v23, vcc, 0, v5, vcc
	flat_store_dword v[22:23], v21 offset:2048
.LBB1143_237:
	s_or_b64 exec, exec, s[2:3]
	v_or_b32_e32 v1, 0x700, v0
	v_cmp_gt_u32_e32 vcc, s33, v1
	s_and_saveexec_b64 s[2:3], vcc
	s_cbranch_execz .LBB1143_239
; %bb.238:
	s_waitcnt lgkmcnt(0)
	v_add_co_u32_e32 v20, vcc, 0x1000, v4
	s_nop 1
	v_addc_co_u32_e32 v21, vcc, 0, v5, vcc
	flat_store_dword v[20:21], v18 offset:3072
.LBB1143_239:
	s_or_b64 exec, exec, s[2:3]
	v_or_b32_e32 v1, 0x800, v0
	v_cmp_gt_u32_e32 vcc, s33, v1
	s_and_saveexec_b64 s[2:3], vcc
	s_cbranch_execz .LBB1143_241
; %bb.240:
	s_waitcnt lgkmcnt(0)
	v_add_co_u32_e32 v20, vcc, 0x2000, v4
	s_nop 1
	v_addc_co_u32_e32 v21, vcc, 0, v5, vcc
	flat_store_dword v[20:21], v19
.LBB1143_241:
	s_or_b64 exec, exec, s[2:3]
	v_or_b32_e32 v1, 0x900, v0
	v_cmp_gt_u32_e32 vcc, s33, v1
	s_and_saveexec_b64 s[2:3], vcc
	s_cbranch_execz .LBB1143_243
; %bb.242:
	s_waitcnt lgkmcnt(0)
	v_add_co_u32_e32 v18, vcc, 0x2000, v4
	s_nop 1
	v_addc_co_u32_e32 v19, vcc, 0, v5, vcc
	flat_store_dword v[18:19], v16 offset:1024
.LBB1143_243:
	s_or_b64 exec, exec, s[2:3]
	v_or_b32_e32 v1, 0xa00, v0
	v_cmp_gt_u32_e32 vcc, s33, v1
	s_and_saveexec_b64 s[2:3], vcc
	s_cbranch_execz .LBB1143_245
; %bb.244:
	s_waitcnt lgkmcnt(0)
	v_add_co_u32_e32 v18, vcc, 0x2000, v4
	s_nop 1
	v_addc_co_u32_e32 v19, vcc, 0, v5, vcc
	flat_store_dword v[18:19], v17 offset:2048
.LBB1143_245:
	s_or_b64 exec, exec, s[2:3]
	v_or_b32_e32 v1, 0xb00, v0
	v_cmp_gt_u32_e32 vcc, s33, v1
	s_and_saveexec_b64 s[2:3], vcc
	s_cbranch_execz .LBB1143_247
; %bb.246:
	s_waitcnt lgkmcnt(0)
	v_add_co_u32_e32 v16, vcc, 0x2000, v4
	s_nop 1
	v_addc_co_u32_e32 v17, vcc, 0, v5, vcc
	flat_store_dword v[16:17], v14 offset:3072
.LBB1143_247:
	;; [unrolled: 48-line block ×4, first 2 shown]
	s_or_b64 exec, exec, s[2:3]
	v_or_b32_e32 v1, 0x1400, v0
	v_cmp_gt_u32_e32 vcc, s33, v1
	s_and_saveexec_b64 s[2:3], vcc
	s_cbranch_execz .LBB1143_265
; %bb.264:
	s_waitcnt lgkmcnt(0)
	v_add_co_u32_e32 v8, vcc, 0x5000, v4
	s_nop 1
	v_addc_co_u32_e32 v9, vcc, 0, v5, vcc
	flat_store_dword v[8:9], v7
.LBB1143_265:
	s_or_b64 exec, exec, s[2:3]
	v_or_b32_e32 v1, 0x1500, v0
	v_cmp_gt_u32_e32 vcc, s33, v1
	s_and_saveexec_b64 s[2:3], vcc
	s_cbranch_execz .LBB1143_267
; %bb.266:
	v_add_co_u32_e32 v4, vcc, 0x5000, v4
	s_nop 1
	v_addc_co_u32_e32 v5, vcc, 0, v5, vcc
	s_waitcnt lgkmcnt(0)
	flat_store_dword v[4:5], v2 offset:1024
.LBB1143_267:
	s_or_b64 exec, exec, s[2:3]
	s_waitcnt lgkmcnt(0)
	v_or_b32_e32 v2, 0x1600, v0
	v_mov_b32_e32 v1, v41
	v_cmp_gt_u32_e64 s[2:3], s33, v2
	s_branch .LBB1143_270
.LBB1143_268:
	s_mov_b64 s[2:3], 0
                                        ; implicit-def: $vgpr3
	s_cbranch_execz .LBB1143_270
; %bb.269:
	v_mul_u32_u24_e32 v1, 0x5c, v0
	s_waitcnt lgkmcnt(0)
	s_barrier
	s_movk_i32 s4, 0x5c
	ds_write2_b32 v1, v63, v26 offset1:1
	ds_write2_b32 v1, v27, v30 offset0:2 offset1:3
	ds_write2_b32 v1, v31, v32 offset0:4 offset1:5
	;; [unrolled: 1-line block ×10, first 2 shown]
	ds_write_b32 v1, v62 offset:88
	v_mov_b32_e32 v1, 0
	v_mul_i32_i24_e32 v2, 0xffffffa8, v0
	v_mad_u32_u24 v2, v0, s4, v2
	v_mov_b32_e32 v41, v1
	s_waitcnt lgkmcnt(0)
	s_barrier
	ds_read2st64_b32 v[4:5], v2 offset1:4
	ds_read2st64_b32 v[6:7], v2 offset0:8 offset1:12
	ds_read2st64_b32 v[8:9], v2 offset0:16 offset1:20
	;; [unrolled: 1-line block ×10, first 2 shown]
	ds_read_b32 v3, v2 offset:22528
	v_lshl_add_u64 v[26:27], s[0:1], 0, v[40:41]
	s_movk_i32 s4, 0x1000
	s_waitcnt lgkmcnt(0)
	flat_store_dword v[26:27], v4
	flat_store_dword v[26:27], v5 offset:1024
	flat_store_dword v[26:27], v6 offset:2048
	;; [unrolled: 1-line block ×3, first 2 shown]
	v_add_co_u32_e32 v4, vcc, s4, v26
	s_movk_i32 s4, 0x2000
	s_nop 0
	v_addc_co_u32_e32 v5, vcc, 0, v27, vcc
	flat_store_dword v[4:5], v8
	flat_store_dword v[4:5], v9 offset:1024
	flat_store_dword v[4:5], v10 offset:2048
	;; [unrolled: 1-line block ×3, first 2 shown]
	v_add_co_u32_e32 v4, vcc, s4, v26
	s_movk_i32 s4, 0x3000
	s_nop 0
	v_addc_co_u32_e32 v5, vcc, 0, v27, vcc
	flat_store_dword v[4:5], v12
	flat_store_dword v[4:5], v13 offset:1024
	flat_store_dword v[4:5], v14 offset:2048
	flat_store_dword v[4:5], v15 offset:3072
	v_add_co_u32_e32 v4, vcc, s4, v26
	s_or_b64 s[2:3], s[2:3], exec
	s_nop 0
	v_addc_co_u32_e32 v5, vcc, 0, v27, vcc
	flat_store_dword v[4:5], v16
	flat_store_dword v[4:5], v17 offset:1024
	flat_store_dword v[4:5], v18 offset:2048
	;; [unrolled: 1-line block ×3, first 2 shown]
	v_add_co_u32_e32 v4, vcc, 0x4000, v26
	s_nop 1
	v_addc_co_u32_e32 v5, vcc, 0, v27, vcc
	flat_store_dword v[4:5], v20
	flat_store_dword v[4:5], v21 offset:1024
	flat_store_dword v[4:5], v22 offset:2048
	flat_store_dword v[4:5], v23 offset:3072
	v_add_co_u32_e32 v4, vcc, 0x5000, v26
	s_nop 1
	v_addc_co_u32_e32 v5, vcc, 0, v27, vcc
	flat_store_dword v[4:5], v24
	flat_store_dword v[4:5], v25 offset:1024
.LBB1143_270:
	s_and_saveexec_b64 s[4:5], s[2:3]
	s_cbranch_execnz .LBB1143_272
; %bb.271:
	s_endpgm
.LBB1143_272:
	v_lshl_add_u64 v[0:1], v[0:1], 2, s[0:1]
	v_add_co_u32_e32 v0, vcc, 0x5000, v0
	s_nop 1
	v_addc_co_u32_e32 v1, vcc, 0, v1, vcc
	flat_store_dword v[0:1], v3 offset:2048
	s_endpgm
.LBB1143_273:
	v_lshl_add_u64 v[24:25], s[60:61], 0, v[2:3]
	flat_load_dword v23, v[24:25]
	s_or_b64 exec, exec, s[0:1]
                                        ; implicit-def: $vgpr24
	s_and_saveexec_b64 s[0:1], s[8:9]
	s_cbranch_execz .LBB1143_59
.LBB1143_274:
	v_mov_b32_e32 v3, 0
	v_lshl_add_u64 v[24:25], s[60:61], 0, v[2:3]
	flat_load_dword v24, v[24:25] offset:1024
	s_or_b64 exec, exec, s[0:1]
                                        ; implicit-def: $vgpr25
	s_and_saveexec_b64 s[0:1], s[10:11]
	s_cbranch_execz .LBB1143_60
.LBB1143_275:
	v_mov_b32_e32 v3, 0
	v_lshl_add_u64 v[26:27], s[60:61], 0, v[2:3]
	flat_load_dword v25, v[26:27] offset:2048
	s_or_b64 exec, exec, s[0:1]
                                        ; implicit-def: $vgpr3
	s_and_saveexec_b64 s[0:1], s[12:13]
	s_cbranch_execz .LBB1143_61
.LBB1143_276:
	v_mov_b32_e32 v3, 0
	v_lshl_add_u64 v[26:27], s[60:61], 0, v[2:3]
	flat_load_dword v3, v[26:27] offset:3072
	s_or_b64 exec, exec, s[0:1]
                                        ; implicit-def: $vgpr26
	s_and_saveexec_b64 s[0:1], s[14:15]
	s_cbranch_execz .LBB1143_62
.LBB1143_277:
	v_lshlrev_b32_e32 v26, 2, v1
	v_mov_b32_e32 v27, 0
	v_lshl_add_u64 v[26:27], s[60:61], 0, v[26:27]
	flat_load_dword v26, v[26:27]
	s_or_b64 exec, exec, s[0:1]
                                        ; implicit-def: $vgpr1
	s_and_saveexec_b64 s[0:1], s[16:17]
	s_cbranch_execz .LBB1143_63
.LBB1143_278:
	v_lshlrev_b32_e32 v28, 2, v4
	v_mov_b32_e32 v29, 0
	v_lshl_add_u64 v[28:29], s[60:61], 0, v[28:29]
	flat_load_dword v1, v[28:29]
	s_or_b64 exec, exec, s[0:1]
                                        ; implicit-def: $vgpr4
	s_and_saveexec_b64 s[0:1], s[18:19]
	s_cbranch_execz .LBB1143_64
.LBB1143_279:
	v_lshlrev_b32_e32 v4, 2, v5
	v_mov_b32_e32 v5, 0
	v_lshl_add_u64 v[4:5], s[60:61], 0, v[4:5]
	flat_load_dword v4, v[4:5]
	s_or_b64 exec, exec, s[0:1]
                                        ; implicit-def: $vgpr5
	s_and_saveexec_b64 s[0:1], s[20:21]
	s_cbranch_execz .LBB1143_65
.LBB1143_280:
	v_lshlrev_b32_e32 v28, 2, v6
	v_mov_b32_e32 v29, 0
	v_lshl_add_u64 v[28:29], s[60:61], 0, v[28:29]
	flat_load_dword v5, v[28:29]
	s_or_b64 exec, exec, s[0:1]
                                        ; implicit-def: $vgpr6
	s_and_saveexec_b64 s[0:1], s[22:23]
	s_cbranch_execz .LBB1143_66
.LBB1143_281:
	v_lshlrev_b32_e32 v6, 2, v7
	v_mov_b32_e32 v7, 0
	v_lshl_add_u64 v[6:7], s[60:61], 0, v[6:7]
	flat_load_dword v6, v[6:7]
	s_or_b64 exec, exec, s[0:1]
                                        ; implicit-def: $vgpr7
	s_and_saveexec_b64 s[0:1], s[24:25]
	s_cbranch_execz .LBB1143_67
.LBB1143_282:
	v_lshlrev_b32_e32 v28, 2, v8
	v_mov_b32_e32 v29, 0
	v_lshl_add_u64 v[28:29], s[60:61], 0, v[28:29]
	flat_load_dword v7, v[28:29]
	s_or_b64 exec, exec, s[0:1]
                                        ; implicit-def: $vgpr8
	s_and_saveexec_b64 s[0:1], s[26:27]
	s_cbranch_execz .LBB1143_68
.LBB1143_283:
	v_lshlrev_b32_e32 v8, 2, v9
	v_mov_b32_e32 v9, 0
	v_lshl_add_u64 v[8:9], s[60:61], 0, v[8:9]
	flat_load_dword v8, v[8:9]
	s_or_b64 exec, exec, s[0:1]
                                        ; implicit-def: $vgpr9
	s_and_saveexec_b64 s[0:1], s[28:29]
	s_cbranch_execz .LBB1143_69
.LBB1143_284:
	v_lshlrev_b32_e32 v28, 2, v10
	v_mov_b32_e32 v29, 0
	v_lshl_add_u64 v[28:29], s[60:61], 0, v[28:29]
	flat_load_dword v9, v[28:29]
	s_or_b64 exec, exec, s[0:1]
                                        ; implicit-def: $vgpr10
	s_and_saveexec_b64 s[0:1], s[30:31]
	s_cbranch_execz .LBB1143_70
.LBB1143_285:
	v_lshlrev_b32_e32 v10, 2, v11
	v_mov_b32_e32 v11, 0
	v_lshl_add_u64 v[10:11], s[60:61], 0, v[10:11]
	flat_load_dword v10, v[10:11]
	s_or_b64 exec, exec, s[0:1]
                                        ; implicit-def: $vgpr11
	s_and_saveexec_b64 s[0:1], s[34:35]
	s_cbranch_execz .LBB1143_71
.LBB1143_286:
	v_lshlrev_b32_e32 v28, 2, v12
	v_mov_b32_e32 v29, 0
	v_lshl_add_u64 v[28:29], s[60:61], 0, v[28:29]
	flat_load_dword v11, v[28:29]
	s_or_b64 exec, exec, s[0:1]
                                        ; implicit-def: $vgpr12
	s_and_saveexec_b64 s[0:1], s[36:37]
	s_cbranch_execz .LBB1143_72
.LBB1143_287:
	v_lshlrev_b32_e32 v28, 2, v14
	v_mov_b32_e32 v29, 0
	v_lshl_add_u64 v[28:29], s[60:61], 0, v[28:29]
	flat_load_dword v12, v[28:29]
	s_or_b64 exec, exec, s[0:1]
                                        ; implicit-def: $vgpr14
	s_and_saveexec_b64 s[0:1], s[38:39]
	s_cbranch_execz .LBB1143_73
.LBB1143_288:
	v_lshlrev_b32_e32 v14, 2, v15
	v_mov_b32_e32 v15, 0
	v_lshl_add_u64 v[14:15], s[60:61], 0, v[14:15]
	flat_load_dword v14, v[14:15]
	s_or_b64 exec, exec, s[0:1]
                                        ; implicit-def: $vgpr15
	s_and_saveexec_b64 s[0:1], s[40:41]
	s_cbranch_execz .LBB1143_74
.LBB1143_289:
	v_lshlrev_b32_e32 v28, 2, v16
	v_mov_b32_e32 v29, 0
	v_lshl_add_u64 v[28:29], s[60:61], 0, v[28:29]
	flat_load_dword v15, v[28:29]
	s_or_b64 exec, exec, s[0:1]
                                        ; implicit-def: $vgpr16
	s_and_saveexec_b64 s[0:1], s[42:43]
	s_cbranch_execz .LBB1143_75
.LBB1143_290:
	v_lshlrev_b32_e32 v16, 2, v17
	v_mov_b32_e32 v17, 0
	v_lshl_add_u64 v[16:17], s[60:61], 0, v[16:17]
	flat_load_dword v16, v[16:17]
	s_or_b64 exec, exec, s[0:1]
                                        ; implicit-def: $vgpr17
	s_and_saveexec_b64 s[0:1], s[44:45]
	s_cbranch_execz .LBB1143_76
.LBB1143_291:
	v_lshlrev_b32_e32 v28, 2, v18
	v_mov_b32_e32 v29, 0
	v_lshl_add_u64 v[28:29], s[60:61], 0, v[28:29]
	flat_load_dword v17, v[28:29]
	s_or_b64 exec, exec, s[0:1]
                                        ; implicit-def: $vgpr18
	s_and_saveexec_b64 s[0:1], s[46:47]
	s_cbranch_execz .LBB1143_77
.LBB1143_292:
	v_lshlrev_b32_e32 v18, 2, v19
	v_mov_b32_e32 v19, 0
	v_lshl_add_u64 v[18:19], s[60:61], 0, v[18:19]
	flat_load_dword v18, v[18:19]
	s_or_b64 exec, exec, s[0:1]
                                        ; implicit-def: $vgpr19
	s_and_saveexec_b64 s[0:1], s[48:49]
	s_cbranch_execz .LBB1143_78
.LBB1143_293:
	v_lshlrev_b32_e32 v28, 2, v20
	v_mov_b32_e32 v29, 0
	v_lshl_add_u64 v[28:29], s[60:61], 0, v[28:29]
	flat_load_dword v19, v[28:29]
	s_or_b64 exec, exec, s[0:1]
                                        ; implicit-def: $vgpr20
	s_and_saveexec_b64 s[0:1], s[50:51]
	s_cbranch_execz .LBB1143_79
.LBB1143_294:
	v_lshlrev_b32_e32 v20, 2, v21
	v_mov_b32_e32 v21, 0
	v_lshl_add_u64 v[20:21], s[60:61], 0, v[20:21]
	flat_load_dword v20, v[20:21]
	s_or_b64 exec, exec, s[0:1]
                                        ; implicit-def: $vgpr21
	s_and_saveexec_b64 s[0:1], s[52:53]
	s_cbranch_execnz .LBB1143_80
	s_branch .LBB1143_81
.LBB1143_295:
	v_add_u32_e32 v2, -1, v0
	v_lshrrev_b32_e32 v3, 5, v2
	v_add_lshl_u32 v2, v3, v2, 3
	ds_read_b32 v2, v2
	s_or_b64 exec, exec, s[0:1]
	s_and_saveexec_b64 s[50:51], s[4:5]
	s_cbranch_execz .LBB1143_219
.LBB1143_296:
	v_mov_b32_e32 v3, 0
	s_waitcnt lgkmcnt(0)
	v_add_f32_e32 v2, v1, v2
	v_cmp_eq_u16_sdwa s[0:1], v66, v3 src0_sel:BYTE_0 src1_sel:DWORD
	;;#ASMSTART
	;;#ASMEND
	s_nop 1
	v_cndmask_b32_e64 v1, v1, v2, s[0:1]
	v_add_f32_e32 v2, v44, v1
	v_cndmask_b32_e32 v26, v44, v2, vcc
	v_add_f32_e32 v2, v45, v26
	v_cndmask_b32_e64 v27, v45, v2, s[6:7]
	v_add_f32_e32 v2, v42, v27
	v_cndmask_b32_e64 v30, v42, v2, s[8:9]
	v_add_f32_e32 v2, v43, v30
	v_cndmask_b32_e64 v31, v43, v2, s[10:11]
	v_add_f32_e32 v2, v38, v31
	v_cndmask_b32_e64 v32, v38, v2, s[12:13]
	v_add_f32_e32 v2, v39, v32
	v_cndmask_b32_e64 v33, v39, v2, s[14:15]
	v_add_f32_e32 v2, v36, v33
	v_cndmask_b32_e64 v47, v36, v2, s[16:17]
	v_add_f32_e32 v2, v37, v47
	v_cndmask_b32_e64 v48, v37, v2, s[18:19]
	v_add_f32_e32 v2, v34, v48
	v_cndmask_b32_e64 v49, v34, v2, s[20:21]
	v_add_f32_e32 v2, v35, v49
	v_cndmask_b32_e64 v50, v35, v2, s[22:23]
	v_add_f32_e32 v2, v28, v50
	v_cndmask_b32_e64 v51, v28, v2, s[24:25]
	v_add_f32_e32 v2, v29, v51
	v_cndmask_b32_e64 v52, v29, v2, s[26:27]
	v_add_f32_e32 v2, v18, v52
	v_cndmask_b32_e64 v53, v18, v2, s[28:29]
	v_add_f32_e32 v2, v19, v53
	v_cndmask_b32_e64 v54, v19, v2, s[30:31]
	v_add_f32_e32 v2, v16, v54
	v_cndmask_b32_e64 v55, v16, v2, s[34:35]
	v_add_f32_e32 v2, v17, v55
	v_cndmask_b32_e64 v56, v17, v2, s[36:37]
	v_add_f32_e32 v2, v14, v56
	v_cndmask_b32_e64 v57, v14, v2, s[38:39]
	v_add_f32_e32 v2, v15, v57
	v_cndmask_b32_e64 v58, v15, v2, s[40:41]
	v_add_f32_e32 v2, v10, v58
	v_cndmask_b32_e64 v59, v10, v2, s[42:43]
	v_add_f32_e32 v2, v11, v59
	v_cndmask_b32_e64 v60, v11, v2, s[44:45]
	v_add_f32_e32 v2, v12, v60
	v_cndmask_b32_e64 v61, v12, v2, s[46:47]
	v_add_f32_e32 v2, v41, v61
	v_cndmask_b32_e64 v62, v41, v2, s[48:49]
	s_or_b64 exec, exec, s[50:51]
	s_and_saveexec_b64 s[0:1], s[54:55]
	s_cbranch_execnz .LBB1143_220
	s_branch .LBB1143_221
.LBB1143_297:
                                        ; implicit-def: $sgpr0_sgpr1
	s_branch .LBB1143_54
.LBB1143_298:
                                        ; implicit-def: $sgpr0_sgpr1
	s_branch .LBB1143_130
	.section	.rodata,"a",@progbits
	.p2align	6, 0x0
	.amdhsa_kernel _ZN7rocprim17ROCPRIM_400000_NS6detail17trampoline_kernelINS0_14default_configENS1_27scan_by_key_config_selectorIifEEZZNS1_16scan_by_key_implILNS1_25lookback_scan_determinismE0ELb0ES3_N6thrust23THRUST_200600_302600_NS6detail15normal_iteratorINS9_10device_ptrIiEEEENSB_INSC_IfEEEESG_fNS9_4plusIvEENS9_8equal_toIvEEfEE10hipError_tPvRmT2_T3_T4_T5_mT6_T7_P12ihipStream_tbENKUlT_T0_E_clISt17integral_constantIbLb1EES11_EEDaSW_SX_EUlSW_E_NS1_11comp_targetILNS1_3genE5ELNS1_11target_archE942ELNS1_3gpuE9ELNS1_3repE0EEENS1_30default_config_static_selectorELNS0_4arch9wavefront6targetE1EEEvT1_
		.amdhsa_group_segment_fixed_size 25600
		.amdhsa_private_segment_fixed_size 0
		.amdhsa_kernarg_size 112
		.amdhsa_user_sgpr_count 2
		.amdhsa_user_sgpr_dispatch_ptr 0
		.amdhsa_user_sgpr_queue_ptr 0
		.amdhsa_user_sgpr_kernarg_segment_ptr 1
		.amdhsa_user_sgpr_dispatch_id 0
		.amdhsa_user_sgpr_kernarg_preload_length 0
		.amdhsa_user_sgpr_kernarg_preload_offset 0
		.amdhsa_user_sgpr_private_segment_size 0
		.amdhsa_uses_dynamic_stack 0
		.amdhsa_enable_private_segment 0
		.amdhsa_system_sgpr_workgroup_id_x 1
		.amdhsa_system_sgpr_workgroup_id_y 0
		.amdhsa_system_sgpr_workgroup_id_z 0
		.amdhsa_system_sgpr_workgroup_info 0
		.amdhsa_system_vgpr_workitem_id 0
		.amdhsa_next_free_vgpr 91
		.amdhsa_next_free_sgpr 87
		.amdhsa_accum_offset 92
		.amdhsa_reserve_vcc 1
		.amdhsa_float_round_mode_32 0
		.amdhsa_float_round_mode_16_64 0
		.amdhsa_float_denorm_mode_32 3
		.amdhsa_float_denorm_mode_16_64 3
		.amdhsa_dx10_clamp 1
		.amdhsa_ieee_mode 1
		.amdhsa_fp16_overflow 0
		.amdhsa_tg_split 0
		.amdhsa_exception_fp_ieee_invalid_op 0
		.amdhsa_exception_fp_denorm_src 0
		.amdhsa_exception_fp_ieee_div_zero 0
		.amdhsa_exception_fp_ieee_overflow 0
		.amdhsa_exception_fp_ieee_underflow 0
		.amdhsa_exception_fp_ieee_inexact 0
		.amdhsa_exception_int_div_zero 0
	.end_amdhsa_kernel
	.section	.text._ZN7rocprim17ROCPRIM_400000_NS6detail17trampoline_kernelINS0_14default_configENS1_27scan_by_key_config_selectorIifEEZZNS1_16scan_by_key_implILNS1_25lookback_scan_determinismE0ELb0ES3_N6thrust23THRUST_200600_302600_NS6detail15normal_iteratorINS9_10device_ptrIiEEEENSB_INSC_IfEEEESG_fNS9_4plusIvEENS9_8equal_toIvEEfEE10hipError_tPvRmT2_T3_T4_T5_mT6_T7_P12ihipStream_tbENKUlT_T0_E_clISt17integral_constantIbLb1EES11_EEDaSW_SX_EUlSW_E_NS1_11comp_targetILNS1_3genE5ELNS1_11target_archE942ELNS1_3gpuE9ELNS1_3repE0EEENS1_30default_config_static_selectorELNS0_4arch9wavefront6targetE1EEEvT1_,"axG",@progbits,_ZN7rocprim17ROCPRIM_400000_NS6detail17trampoline_kernelINS0_14default_configENS1_27scan_by_key_config_selectorIifEEZZNS1_16scan_by_key_implILNS1_25lookback_scan_determinismE0ELb0ES3_N6thrust23THRUST_200600_302600_NS6detail15normal_iteratorINS9_10device_ptrIiEEEENSB_INSC_IfEEEESG_fNS9_4plusIvEENS9_8equal_toIvEEfEE10hipError_tPvRmT2_T3_T4_T5_mT6_T7_P12ihipStream_tbENKUlT_T0_E_clISt17integral_constantIbLb1EES11_EEDaSW_SX_EUlSW_E_NS1_11comp_targetILNS1_3genE5ELNS1_11target_archE942ELNS1_3gpuE9ELNS1_3repE0EEENS1_30default_config_static_selectorELNS0_4arch9wavefront6targetE1EEEvT1_,comdat
.Lfunc_end1143:
	.size	_ZN7rocprim17ROCPRIM_400000_NS6detail17trampoline_kernelINS0_14default_configENS1_27scan_by_key_config_selectorIifEEZZNS1_16scan_by_key_implILNS1_25lookback_scan_determinismE0ELb0ES3_N6thrust23THRUST_200600_302600_NS6detail15normal_iteratorINS9_10device_ptrIiEEEENSB_INSC_IfEEEESG_fNS9_4plusIvEENS9_8equal_toIvEEfEE10hipError_tPvRmT2_T3_T4_T5_mT6_T7_P12ihipStream_tbENKUlT_T0_E_clISt17integral_constantIbLb1EES11_EEDaSW_SX_EUlSW_E_NS1_11comp_targetILNS1_3genE5ELNS1_11target_archE942ELNS1_3gpuE9ELNS1_3repE0EEENS1_30default_config_static_selectorELNS0_4arch9wavefront6targetE1EEEvT1_, .Lfunc_end1143-_ZN7rocprim17ROCPRIM_400000_NS6detail17trampoline_kernelINS0_14default_configENS1_27scan_by_key_config_selectorIifEEZZNS1_16scan_by_key_implILNS1_25lookback_scan_determinismE0ELb0ES3_N6thrust23THRUST_200600_302600_NS6detail15normal_iteratorINS9_10device_ptrIiEEEENSB_INSC_IfEEEESG_fNS9_4plusIvEENS9_8equal_toIvEEfEE10hipError_tPvRmT2_T3_T4_T5_mT6_T7_P12ihipStream_tbENKUlT_T0_E_clISt17integral_constantIbLb1EES11_EEDaSW_SX_EUlSW_E_NS1_11comp_targetILNS1_3genE5ELNS1_11target_archE942ELNS1_3gpuE9ELNS1_3repE0EEENS1_30default_config_static_selectorELNS0_4arch9wavefront6targetE1EEEvT1_
                                        ; -- End function
	.section	.AMDGPU.csdata,"",@progbits
; Kernel info:
; codeLenInByte = 16228
; NumSgprs: 93
; NumVgprs: 91
; NumAgprs: 0
; TotalNumVgprs: 91
; ScratchSize: 0
; MemoryBound: 0
; FloatMode: 240
; IeeeMode: 1
; LDSByteSize: 25600 bytes/workgroup (compile time only)
; SGPRBlocks: 11
; VGPRBlocks: 11
; NumSGPRsForWavesPerEU: 93
; NumVGPRsForWavesPerEU: 91
; AccumOffset: 92
; Occupancy: 2
; WaveLimiterHint : 1
; COMPUTE_PGM_RSRC2:SCRATCH_EN: 0
; COMPUTE_PGM_RSRC2:USER_SGPR: 2
; COMPUTE_PGM_RSRC2:TRAP_HANDLER: 0
; COMPUTE_PGM_RSRC2:TGID_X_EN: 1
; COMPUTE_PGM_RSRC2:TGID_Y_EN: 0
; COMPUTE_PGM_RSRC2:TGID_Z_EN: 0
; COMPUTE_PGM_RSRC2:TIDIG_COMP_CNT: 0
; COMPUTE_PGM_RSRC3_GFX90A:ACCUM_OFFSET: 22
; COMPUTE_PGM_RSRC3_GFX90A:TG_SPLIT: 0
	.section	.text._ZN7rocprim17ROCPRIM_400000_NS6detail17trampoline_kernelINS0_14default_configENS1_27scan_by_key_config_selectorIifEEZZNS1_16scan_by_key_implILNS1_25lookback_scan_determinismE0ELb0ES3_N6thrust23THRUST_200600_302600_NS6detail15normal_iteratorINS9_10device_ptrIiEEEENSB_INSC_IfEEEESG_fNS9_4plusIvEENS9_8equal_toIvEEfEE10hipError_tPvRmT2_T3_T4_T5_mT6_T7_P12ihipStream_tbENKUlT_T0_E_clISt17integral_constantIbLb1EES11_EEDaSW_SX_EUlSW_E_NS1_11comp_targetILNS1_3genE4ELNS1_11target_archE910ELNS1_3gpuE8ELNS1_3repE0EEENS1_30default_config_static_selectorELNS0_4arch9wavefront6targetE1EEEvT1_,"axG",@progbits,_ZN7rocprim17ROCPRIM_400000_NS6detail17trampoline_kernelINS0_14default_configENS1_27scan_by_key_config_selectorIifEEZZNS1_16scan_by_key_implILNS1_25lookback_scan_determinismE0ELb0ES3_N6thrust23THRUST_200600_302600_NS6detail15normal_iteratorINS9_10device_ptrIiEEEENSB_INSC_IfEEEESG_fNS9_4plusIvEENS9_8equal_toIvEEfEE10hipError_tPvRmT2_T3_T4_T5_mT6_T7_P12ihipStream_tbENKUlT_T0_E_clISt17integral_constantIbLb1EES11_EEDaSW_SX_EUlSW_E_NS1_11comp_targetILNS1_3genE4ELNS1_11target_archE910ELNS1_3gpuE8ELNS1_3repE0EEENS1_30default_config_static_selectorELNS0_4arch9wavefront6targetE1EEEvT1_,comdat
	.protected	_ZN7rocprim17ROCPRIM_400000_NS6detail17trampoline_kernelINS0_14default_configENS1_27scan_by_key_config_selectorIifEEZZNS1_16scan_by_key_implILNS1_25lookback_scan_determinismE0ELb0ES3_N6thrust23THRUST_200600_302600_NS6detail15normal_iteratorINS9_10device_ptrIiEEEENSB_INSC_IfEEEESG_fNS9_4plusIvEENS9_8equal_toIvEEfEE10hipError_tPvRmT2_T3_T4_T5_mT6_T7_P12ihipStream_tbENKUlT_T0_E_clISt17integral_constantIbLb1EES11_EEDaSW_SX_EUlSW_E_NS1_11comp_targetILNS1_3genE4ELNS1_11target_archE910ELNS1_3gpuE8ELNS1_3repE0EEENS1_30default_config_static_selectorELNS0_4arch9wavefront6targetE1EEEvT1_ ; -- Begin function _ZN7rocprim17ROCPRIM_400000_NS6detail17trampoline_kernelINS0_14default_configENS1_27scan_by_key_config_selectorIifEEZZNS1_16scan_by_key_implILNS1_25lookback_scan_determinismE0ELb0ES3_N6thrust23THRUST_200600_302600_NS6detail15normal_iteratorINS9_10device_ptrIiEEEENSB_INSC_IfEEEESG_fNS9_4plusIvEENS9_8equal_toIvEEfEE10hipError_tPvRmT2_T3_T4_T5_mT6_T7_P12ihipStream_tbENKUlT_T0_E_clISt17integral_constantIbLb1EES11_EEDaSW_SX_EUlSW_E_NS1_11comp_targetILNS1_3genE4ELNS1_11target_archE910ELNS1_3gpuE8ELNS1_3repE0EEENS1_30default_config_static_selectorELNS0_4arch9wavefront6targetE1EEEvT1_
	.globl	_ZN7rocprim17ROCPRIM_400000_NS6detail17trampoline_kernelINS0_14default_configENS1_27scan_by_key_config_selectorIifEEZZNS1_16scan_by_key_implILNS1_25lookback_scan_determinismE0ELb0ES3_N6thrust23THRUST_200600_302600_NS6detail15normal_iteratorINS9_10device_ptrIiEEEENSB_INSC_IfEEEESG_fNS9_4plusIvEENS9_8equal_toIvEEfEE10hipError_tPvRmT2_T3_T4_T5_mT6_T7_P12ihipStream_tbENKUlT_T0_E_clISt17integral_constantIbLb1EES11_EEDaSW_SX_EUlSW_E_NS1_11comp_targetILNS1_3genE4ELNS1_11target_archE910ELNS1_3gpuE8ELNS1_3repE0EEENS1_30default_config_static_selectorELNS0_4arch9wavefront6targetE1EEEvT1_
	.p2align	8
	.type	_ZN7rocprim17ROCPRIM_400000_NS6detail17trampoline_kernelINS0_14default_configENS1_27scan_by_key_config_selectorIifEEZZNS1_16scan_by_key_implILNS1_25lookback_scan_determinismE0ELb0ES3_N6thrust23THRUST_200600_302600_NS6detail15normal_iteratorINS9_10device_ptrIiEEEENSB_INSC_IfEEEESG_fNS9_4plusIvEENS9_8equal_toIvEEfEE10hipError_tPvRmT2_T3_T4_T5_mT6_T7_P12ihipStream_tbENKUlT_T0_E_clISt17integral_constantIbLb1EES11_EEDaSW_SX_EUlSW_E_NS1_11comp_targetILNS1_3genE4ELNS1_11target_archE910ELNS1_3gpuE8ELNS1_3repE0EEENS1_30default_config_static_selectorELNS0_4arch9wavefront6targetE1EEEvT1_,@function
_ZN7rocprim17ROCPRIM_400000_NS6detail17trampoline_kernelINS0_14default_configENS1_27scan_by_key_config_selectorIifEEZZNS1_16scan_by_key_implILNS1_25lookback_scan_determinismE0ELb0ES3_N6thrust23THRUST_200600_302600_NS6detail15normal_iteratorINS9_10device_ptrIiEEEENSB_INSC_IfEEEESG_fNS9_4plusIvEENS9_8equal_toIvEEfEE10hipError_tPvRmT2_T3_T4_T5_mT6_T7_P12ihipStream_tbENKUlT_T0_E_clISt17integral_constantIbLb1EES11_EEDaSW_SX_EUlSW_E_NS1_11comp_targetILNS1_3genE4ELNS1_11target_archE910ELNS1_3gpuE8ELNS1_3repE0EEENS1_30default_config_static_selectorELNS0_4arch9wavefront6targetE1EEEvT1_: ; @_ZN7rocprim17ROCPRIM_400000_NS6detail17trampoline_kernelINS0_14default_configENS1_27scan_by_key_config_selectorIifEEZZNS1_16scan_by_key_implILNS1_25lookback_scan_determinismE0ELb0ES3_N6thrust23THRUST_200600_302600_NS6detail15normal_iteratorINS9_10device_ptrIiEEEENSB_INSC_IfEEEESG_fNS9_4plusIvEENS9_8equal_toIvEEfEE10hipError_tPvRmT2_T3_T4_T5_mT6_T7_P12ihipStream_tbENKUlT_T0_E_clISt17integral_constantIbLb1EES11_EEDaSW_SX_EUlSW_E_NS1_11comp_targetILNS1_3genE4ELNS1_11target_archE910ELNS1_3gpuE8ELNS1_3repE0EEENS1_30default_config_static_selectorELNS0_4arch9wavefront6targetE1EEEvT1_
; %bb.0:
	.section	.rodata,"a",@progbits
	.p2align	6, 0x0
	.amdhsa_kernel _ZN7rocprim17ROCPRIM_400000_NS6detail17trampoline_kernelINS0_14default_configENS1_27scan_by_key_config_selectorIifEEZZNS1_16scan_by_key_implILNS1_25lookback_scan_determinismE0ELb0ES3_N6thrust23THRUST_200600_302600_NS6detail15normal_iteratorINS9_10device_ptrIiEEEENSB_INSC_IfEEEESG_fNS9_4plusIvEENS9_8equal_toIvEEfEE10hipError_tPvRmT2_T3_T4_T5_mT6_T7_P12ihipStream_tbENKUlT_T0_E_clISt17integral_constantIbLb1EES11_EEDaSW_SX_EUlSW_E_NS1_11comp_targetILNS1_3genE4ELNS1_11target_archE910ELNS1_3gpuE8ELNS1_3repE0EEENS1_30default_config_static_selectorELNS0_4arch9wavefront6targetE1EEEvT1_
		.amdhsa_group_segment_fixed_size 0
		.amdhsa_private_segment_fixed_size 0
		.amdhsa_kernarg_size 112
		.amdhsa_user_sgpr_count 2
		.amdhsa_user_sgpr_dispatch_ptr 0
		.amdhsa_user_sgpr_queue_ptr 0
		.amdhsa_user_sgpr_kernarg_segment_ptr 1
		.amdhsa_user_sgpr_dispatch_id 0
		.amdhsa_user_sgpr_kernarg_preload_length 0
		.amdhsa_user_sgpr_kernarg_preload_offset 0
		.amdhsa_user_sgpr_private_segment_size 0
		.amdhsa_uses_dynamic_stack 0
		.amdhsa_enable_private_segment 0
		.amdhsa_system_sgpr_workgroup_id_x 1
		.amdhsa_system_sgpr_workgroup_id_y 0
		.amdhsa_system_sgpr_workgroup_id_z 0
		.amdhsa_system_sgpr_workgroup_info 0
		.amdhsa_system_vgpr_workitem_id 0
		.amdhsa_next_free_vgpr 1
		.amdhsa_next_free_sgpr 0
		.amdhsa_accum_offset 4
		.amdhsa_reserve_vcc 0
		.amdhsa_float_round_mode_32 0
		.amdhsa_float_round_mode_16_64 0
		.amdhsa_float_denorm_mode_32 3
		.amdhsa_float_denorm_mode_16_64 3
		.amdhsa_dx10_clamp 1
		.amdhsa_ieee_mode 1
		.amdhsa_fp16_overflow 0
		.amdhsa_tg_split 0
		.amdhsa_exception_fp_ieee_invalid_op 0
		.amdhsa_exception_fp_denorm_src 0
		.amdhsa_exception_fp_ieee_div_zero 0
		.amdhsa_exception_fp_ieee_overflow 0
		.amdhsa_exception_fp_ieee_underflow 0
		.amdhsa_exception_fp_ieee_inexact 0
		.amdhsa_exception_int_div_zero 0
	.end_amdhsa_kernel
	.section	.text._ZN7rocprim17ROCPRIM_400000_NS6detail17trampoline_kernelINS0_14default_configENS1_27scan_by_key_config_selectorIifEEZZNS1_16scan_by_key_implILNS1_25lookback_scan_determinismE0ELb0ES3_N6thrust23THRUST_200600_302600_NS6detail15normal_iteratorINS9_10device_ptrIiEEEENSB_INSC_IfEEEESG_fNS9_4plusIvEENS9_8equal_toIvEEfEE10hipError_tPvRmT2_T3_T4_T5_mT6_T7_P12ihipStream_tbENKUlT_T0_E_clISt17integral_constantIbLb1EES11_EEDaSW_SX_EUlSW_E_NS1_11comp_targetILNS1_3genE4ELNS1_11target_archE910ELNS1_3gpuE8ELNS1_3repE0EEENS1_30default_config_static_selectorELNS0_4arch9wavefront6targetE1EEEvT1_,"axG",@progbits,_ZN7rocprim17ROCPRIM_400000_NS6detail17trampoline_kernelINS0_14default_configENS1_27scan_by_key_config_selectorIifEEZZNS1_16scan_by_key_implILNS1_25lookback_scan_determinismE0ELb0ES3_N6thrust23THRUST_200600_302600_NS6detail15normal_iteratorINS9_10device_ptrIiEEEENSB_INSC_IfEEEESG_fNS9_4plusIvEENS9_8equal_toIvEEfEE10hipError_tPvRmT2_T3_T4_T5_mT6_T7_P12ihipStream_tbENKUlT_T0_E_clISt17integral_constantIbLb1EES11_EEDaSW_SX_EUlSW_E_NS1_11comp_targetILNS1_3genE4ELNS1_11target_archE910ELNS1_3gpuE8ELNS1_3repE0EEENS1_30default_config_static_selectorELNS0_4arch9wavefront6targetE1EEEvT1_,comdat
.Lfunc_end1144:
	.size	_ZN7rocprim17ROCPRIM_400000_NS6detail17trampoline_kernelINS0_14default_configENS1_27scan_by_key_config_selectorIifEEZZNS1_16scan_by_key_implILNS1_25lookback_scan_determinismE0ELb0ES3_N6thrust23THRUST_200600_302600_NS6detail15normal_iteratorINS9_10device_ptrIiEEEENSB_INSC_IfEEEESG_fNS9_4plusIvEENS9_8equal_toIvEEfEE10hipError_tPvRmT2_T3_T4_T5_mT6_T7_P12ihipStream_tbENKUlT_T0_E_clISt17integral_constantIbLb1EES11_EEDaSW_SX_EUlSW_E_NS1_11comp_targetILNS1_3genE4ELNS1_11target_archE910ELNS1_3gpuE8ELNS1_3repE0EEENS1_30default_config_static_selectorELNS0_4arch9wavefront6targetE1EEEvT1_, .Lfunc_end1144-_ZN7rocprim17ROCPRIM_400000_NS6detail17trampoline_kernelINS0_14default_configENS1_27scan_by_key_config_selectorIifEEZZNS1_16scan_by_key_implILNS1_25lookback_scan_determinismE0ELb0ES3_N6thrust23THRUST_200600_302600_NS6detail15normal_iteratorINS9_10device_ptrIiEEEENSB_INSC_IfEEEESG_fNS9_4plusIvEENS9_8equal_toIvEEfEE10hipError_tPvRmT2_T3_T4_T5_mT6_T7_P12ihipStream_tbENKUlT_T0_E_clISt17integral_constantIbLb1EES11_EEDaSW_SX_EUlSW_E_NS1_11comp_targetILNS1_3genE4ELNS1_11target_archE910ELNS1_3gpuE8ELNS1_3repE0EEENS1_30default_config_static_selectorELNS0_4arch9wavefront6targetE1EEEvT1_
                                        ; -- End function
	.section	.AMDGPU.csdata,"",@progbits
; Kernel info:
; codeLenInByte = 0
; NumSgprs: 6
; NumVgprs: 0
; NumAgprs: 0
; TotalNumVgprs: 0
; ScratchSize: 0
; MemoryBound: 0
; FloatMode: 240
; IeeeMode: 1
; LDSByteSize: 0 bytes/workgroup (compile time only)
; SGPRBlocks: 0
; VGPRBlocks: 0
; NumSGPRsForWavesPerEU: 6
; NumVGPRsForWavesPerEU: 1
; AccumOffset: 4
; Occupancy: 8
; WaveLimiterHint : 0
; COMPUTE_PGM_RSRC2:SCRATCH_EN: 0
; COMPUTE_PGM_RSRC2:USER_SGPR: 2
; COMPUTE_PGM_RSRC2:TRAP_HANDLER: 0
; COMPUTE_PGM_RSRC2:TGID_X_EN: 1
; COMPUTE_PGM_RSRC2:TGID_Y_EN: 0
; COMPUTE_PGM_RSRC2:TGID_Z_EN: 0
; COMPUTE_PGM_RSRC2:TIDIG_COMP_CNT: 0
; COMPUTE_PGM_RSRC3_GFX90A:ACCUM_OFFSET: 0
; COMPUTE_PGM_RSRC3_GFX90A:TG_SPLIT: 0
	.section	.text._ZN7rocprim17ROCPRIM_400000_NS6detail17trampoline_kernelINS0_14default_configENS1_27scan_by_key_config_selectorIifEEZZNS1_16scan_by_key_implILNS1_25lookback_scan_determinismE0ELb0ES3_N6thrust23THRUST_200600_302600_NS6detail15normal_iteratorINS9_10device_ptrIiEEEENSB_INSC_IfEEEESG_fNS9_4plusIvEENS9_8equal_toIvEEfEE10hipError_tPvRmT2_T3_T4_T5_mT6_T7_P12ihipStream_tbENKUlT_T0_E_clISt17integral_constantIbLb1EES11_EEDaSW_SX_EUlSW_E_NS1_11comp_targetILNS1_3genE3ELNS1_11target_archE908ELNS1_3gpuE7ELNS1_3repE0EEENS1_30default_config_static_selectorELNS0_4arch9wavefront6targetE1EEEvT1_,"axG",@progbits,_ZN7rocprim17ROCPRIM_400000_NS6detail17trampoline_kernelINS0_14default_configENS1_27scan_by_key_config_selectorIifEEZZNS1_16scan_by_key_implILNS1_25lookback_scan_determinismE0ELb0ES3_N6thrust23THRUST_200600_302600_NS6detail15normal_iteratorINS9_10device_ptrIiEEEENSB_INSC_IfEEEESG_fNS9_4plusIvEENS9_8equal_toIvEEfEE10hipError_tPvRmT2_T3_T4_T5_mT6_T7_P12ihipStream_tbENKUlT_T0_E_clISt17integral_constantIbLb1EES11_EEDaSW_SX_EUlSW_E_NS1_11comp_targetILNS1_3genE3ELNS1_11target_archE908ELNS1_3gpuE7ELNS1_3repE0EEENS1_30default_config_static_selectorELNS0_4arch9wavefront6targetE1EEEvT1_,comdat
	.protected	_ZN7rocprim17ROCPRIM_400000_NS6detail17trampoline_kernelINS0_14default_configENS1_27scan_by_key_config_selectorIifEEZZNS1_16scan_by_key_implILNS1_25lookback_scan_determinismE0ELb0ES3_N6thrust23THRUST_200600_302600_NS6detail15normal_iteratorINS9_10device_ptrIiEEEENSB_INSC_IfEEEESG_fNS9_4plusIvEENS9_8equal_toIvEEfEE10hipError_tPvRmT2_T3_T4_T5_mT6_T7_P12ihipStream_tbENKUlT_T0_E_clISt17integral_constantIbLb1EES11_EEDaSW_SX_EUlSW_E_NS1_11comp_targetILNS1_3genE3ELNS1_11target_archE908ELNS1_3gpuE7ELNS1_3repE0EEENS1_30default_config_static_selectorELNS0_4arch9wavefront6targetE1EEEvT1_ ; -- Begin function _ZN7rocprim17ROCPRIM_400000_NS6detail17trampoline_kernelINS0_14default_configENS1_27scan_by_key_config_selectorIifEEZZNS1_16scan_by_key_implILNS1_25lookback_scan_determinismE0ELb0ES3_N6thrust23THRUST_200600_302600_NS6detail15normal_iteratorINS9_10device_ptrIiEEEENSB_INSC_IfEEEESG_fNS9_4plusIvEENS9_8equal_toIvEEfEE10hipError_tPvRmT2_T3_T4_T5_mT6_T7_P12ihipStream_tbENKUlT_T0_E_clISt17integral_constantIbLb1EES11_EEDaSW_SX_EUlSW_E_NS1_11comp_targetILNS1_3genE3ELNS1_11target_archE908ELNS1_3gpuE7ELNS1_3repE0EEENS1_30default_config_static_selectorELNS0_4arch9wavefront6targetE1EEEvT1_
	.globl	_ZN7rocprim17ROCPRIM_400000_NS6detail17trampoline_kernelINS0_14default_configENS1_27scan_by_key_config_selectorIifEEZZNS1_16scan_by_key_implILNS1_25lookback_scan_determinismE0ELb0ES3_N6thrust23THRUST_200600_302600_NS6detail15normal_iteratorINS9_10device_ptrIiEEEENSB_INSC_IfEEEESG_fNS9_4plusIvEENS9_8equal_toIvEEfEE10hipError_tPvRmT2_T3_T4_T5_mT6_T7_P12ihipStream_tbENKUlT_T0_E_clISt17integral_constantIbLb1EES11_EEDaSW_SX_EUlSW_E_NS1_11comp_targetILNS1_3genE3ELNS1_11target_archE908ELNS1_3gpuE7ELNS1_3repE0EEENS1_30default_config_static_selectorELNS0_4arch9wavefront6targetE1EEEvT1_
	.p2align	8
	.type	_ZN7rocprim17ROCPRIM_400000_NS6detail17trampoline_kernelINS0_14default_configENS1_27scan_by_key_config_selectorIifEEZZNS1_16scan_by_key_implILNS1_25lookback_scan_determinismE0ELb0ES3_N6thrust23THRUST_200600_302600_NS6detail15normal_iteratorINS9_10device_ptrIiEEEENSB_INSC_IfEEEESG_fNS9_4plusIvEENS9_8equal_toIvEEfEE10hipError_tPvRmT2_T3_T4_T5_mT6_T7_P12ihipStream_tbENKUlT_T0_E_clISt17integral_constantIbLb1EES11_EEDaSW_SX_EUlSW_E_NS1_11comp_targetILNS1_3genE3ELNS1_11target_archE908ELNS1_3gpuE7ELNS1_3repE0EEENS1_30default_config_static_selectorELNS0_4arch9wavefront6targetE1EEEvT1_,@function
_ZN7rocprim17ROCPRIM_400000_NS6detail17trampoline_kernelINS0_14default_configENS1_27scan_by_key_config_selectorIifEEZZNS1_16scan_by_key_implILNS1_25lookback_scan_determinismE0ELb0ES3_N6thrust23THRUST_200600_302600_NS6detail15normal_iteratorINS9_10device_ptrIiEEEENSB_INSC_IfEEEESG_fNS9_4plusIvEENS9_8equal_toIvEEfEE10hipError_tPvRmT2_T3_T4_T5_mT6_T7_P12ihipStream_tbENKUlT_T0_E_clISt17integral_constantIbLb1EES11_EEDaSW_SX_EUlSW_E_NS1_11comp_targetILNS1_3genE3ELNS1_11target_archE908ELNS1_3gpuE7ELNS1_3repE0EEENS1_30default_config_static_selectorELNS0_4arch9wavefront6targetE1EEEvT1_: ; @_ZN7rocprim17ROCPRIM_400000_NS6detail17trampoline_kernelINS0_14default_configENS1_27scan_by_key_config_selectorIifEEZZNS1_16scan_by_key_implILNS1_25lookback_scan_determinismE0ELb0ES3_N6thrust23THRUST_200600_302600_NS6detail15normal_iteratorINS9_10device_ptrIiEEEENSB_INSC_IfEEEESG_fNS9_4plusIvEENS9_8equal_toIvEEfEE10hipError_tPvRmT2_T3_T4_T5_mT6_T7_P12ihipStream_tbENKUlT_T0_E_clISt17integral_constantIbLb1EES11_EEDaSW_SX_EUlSW_E_NS1_11comp_targetILNS1_3genE3ELNS1_11target_archE908ELNS1_3gpuE7ELNS1_3repE0EEENS1_30default_config_static_selectorELNS0_4arch9wavefront6targetE1EEEvT1_
; %bb.0:
	.section	.rodata,"a",@progbits
	.p2align	6, 0x0
	.amdhsa_kernel _ZN7rocprim17ROCPRIM_400000_NS6detail17trampoline_kernelINS0_14default_configENS1_27scan_by_key_config_selectorIifEEZZNS1_16scan_by_key_implILNS1_25lookback_scan_determinismE0ELb0ES3_N6thrust23THRUST_200600_302600_NS6detail15normal_iteratorINS9_10device_ptrIiEEEENSB_INSC_IfEEEESG_fNS9_4plusIvEENS9_8equal_toIvEEfEE10hipError_tPvRmT2_T3_T4_T5_mT6_T7_P12ihipStream_tbENKUlT_T0_E_clISt17integral_constantIbLb1EES11_EEDaSW_SX_EUlSW_E_NS1_11comp_targetILNS1_3genE3ELNS1_11target_archE908ELNS1_3gpuE7ELNS1_3repE0EEENS1_30default_config_static_selectorELNS0_4arch9wavefront6targetE1EEEvT1_
		.amdhsa_group_segment_fixed_size 0
		.amdhsa_private_segment_fixed_size 0
		.amdhsa_kernarg_size 112
		.amdhsa_user_sgpr_count 2
		.amdhsa_user_sgpr_dispatch_ptr 0
		.amdhsa_user_sgpr_queue_ptr 0
		.amdhsa_user_sgpr_kernarg_segment_ptr 1
		.amdhsa_user_sgpr_dispatch_id 0
		.amdhsa_user_sgpr_kernarg_preload_length 0
		.amdhsa_user_sgpr_kernarg_preload_offset 0
		.amdhsa_user_sgpr_private_segment_size 0
		.amdhsa_uses_dynamic_stack 0
		.amdhsa_enable_private_segment 0
		.amdhsa_system_sgpr_workgroup_id_x 1
		.amdhsa_system_sgpr_workgroup_id_y 0
		.amdhsa_system_sgpr_workgroup_id_z 0
		.amdhsa_system_sgpr_workgroup_info 0
		.amdhsa_system_vgpr_workitem_id 0
		.amdhsa_next_free_vgpr 1
		.amdhsa_next_free_sgpr 0
		.amdhsa_accum_offset 4
		.amdhsa_reserve_vcc 0
		.amdhsa_float_round_mode_32 0
		.amdhsa_float_round_mode_16_64 0
		.amdhsa_float_denorm_mode_32 3
		.amdhsa_float_denorm_mode_16_64 3
		.amdhsa_dx10_clamp 1
		.amdhsa_ieee_mode 1
		.amdhsa_fp16_overflow 0
		.amdhsa_tg_split 0
		.amdhsa_exception_fp_ieee_invalid_op 0
		.amdhsa_exception_fp_denorm_src 0
		.amdhsa_exception_fp_ieee_div_zero 0
		.amdhsa_exception_fp_ieee_overflow 0
		.amdhsa_exception_fp_ieee_underflow 0
		.amdhsa_exception_fp_ieee_inexact 0
		.amdhsa_exception_int_div_zero 0
	.end_amdhsa_kernel
	.section	.text._ZN7rocprim17ROCPRIM_400000_NS6detail17trampoline_kernelINS0_14default_configENS1_27scan_by_key_config_selectorIifEEZZNS1_16scan_by_key_implILNS1_25lookback_scan_determinismE0ELb0ES3_N6thrust23THRUST_200600_302600_NS6detail15normal_iteratorINS9_10device_ptrIiEEEENSB_INSC_IfEEEESG_fNS9_4plusIvEENS9_8equal_toIvEEfEE10hipError_tPvRmT2_T3_T4_T5_mT6_T7_P12ihipStream_tbENKUlT_T0_E_clISt17integral_constantIbLb1EES11_EEDaSW_SX_EUlSW_E_NS1_11comp_targetILNS1_3genE3ELNS1_11target_archE908ELNS1_3gpuE7ELNS1_3repE0EEENS1_30default_config_static_selectorELNS0_4arch9wavefront6targetE1EEEvT1_,"axG",@progbits,_ZN7rocprim17ROCPRIM_400000_NS6detail17trampoline_kernelINS0_14default_configENS1_27scan_by_key_config_selectorIifEEZZNS1_16scan_by_key_implILNS1_25lookback_scan_determinismE0ELb0ES3_N6thrust23THRUST_200600_302600_NS6detail15normal_iteratorINS9_10device_ptrIiEEEENSB_INSC_IfEEEESG_fNS9_4plusIvEENS9_8equal_toIvEEfEE10hipError_tPvRmT2_T3_T4_T5_mT6_T7_P12ihipStream_tbENKUlT_T0_E_clISt17integral_constantIbLb1EES11_EEDaSW_SX_EUlSW_E_NS1_11comp_targetILNS1_3genE3ELNS1_11target_archE908ELNS1_3gpuE7ELNS1_3repE0EEENS1_30default_config_static_selectorELNS0_4arch9wavefront6targetE1EEEvT1_,comdat
.Lfunc_end1145:
	.size	_ZN7rocprim17ROCPRIM_400000_NS6detail17trampoline_kernelINS0_14default_configENS1_27scan_by_key_config_selectorIifEEZZNS1_16scan_by_key_implILNS1_25lookback_scan_determinismE0ELb0ES3_N6thrust23THRUST_200600_302600_NS6detail15normal_iteratorINS9_10device_ptrIiEEEENSB_INSC_IfEEEESG_fNS9_4plusIvEENS9_8equal_toIvEEfEE10hipError_tPvRmT2_T3_T4_T5_mT6_T7_P12ihipStream_tbENKUlT_T0_E_clISt17integral_constantIbLb1EES11_EEDaSW_SX_EUlSW_E_NS1_11comp_targetILNS1_3genE3ELNS1_11target_archE908ELNS1_3gpuE7ELNS1_3repE0EEENS1_30default_config_static_selectorELNS0_4arch9wavefront6targetE1EEEvT1_, .Lfunc_end1145-_ZN7rocprim17ROCPRIM_400000_NS6detail17trampoline_kernelINS0_14default_configENS1_27scan_by_key_config_selectorIifEEZZNS1_16scan_by_key_implILNS1_25lookback_scan_determinismE0ELb0ES3_N6thrust23THRUST_200600_302600_NS6detail15normal_iteratorINS9_10device_ptrIiEEEENSB_INSC_IfEEEESG_fNS9_4plusIvEENS9_8equal_toIvEEfEE10hipError_tPvRmT2_T3_T4_T5_mT6_T7_P12ihipStream_tbENKUlT_T0_E_clISt17integral_constantIbLb1EES11_EEDaSW_SX_EUlSW_E_NS1_11comp_targetILNS1_3genE3ELNS1_11target_archE908ELNS1_3gpuE7ELNS1_3repE0EEENS1_30default_config_static_selectorELNS0_4arch9wavefront6targetE1EEEvT1_
                                        ; -- End function
	.section	.AMDGPU.csdata,"",@progbits
; Kernel info:
; codeLenInByte = 0
; NumSgprs: 6
; NumVgprs: 0
; NumAgprs: 0
; TotalNumVgprs: 0
; ScratchSize: 0
; MemoryBound: 0
; FloatMode: 240
; IeeeMode: 1
; LDSByteSize: 0 bytes/workgroup (compile time only)
; SGPRBlocks: 0
; VGPRBlocks: 0
; NumSGPRsForWavesPerEU: 6
; NumVGPRsForWavesPerEU: 1
; AccumOffset: 4
; Occupancy: 8
; WaveLimiterHint : 0
; COMPUTE_PGM_RSRC2:SCRATCH_EN: 0
; COMPUTE_PGM_RSRC2:USER_SGPR: 2
; COMPUTE_PGM_RSRC2:TRAP_HANDLER: 0
; COMPUTE_PGM_RSRC2:TGID_X_EN: 1
; COMPUTE_PGM_RSRC2:TGID_Y_EN: 0
; COMPUTE_PGM_RSRC2:TGID_Z_EN: 0
; COMPUTE_PGM_RSRC2:TIDIG_COMP_CNT: 0
; COMPUTE_PGM_RSRC3_GFX90A:ACCUM_OFFSET: 0
; COMPUTE_PGM_RSRC3_GFX90A:TG_SPLIT: 0
	.section	.text._ZN7rocprim17ROCPRIM_400000_NS6detail17trampoline_kernelINS0_14default_configENS1_27scan_by_key_config_selectorIifEEZZNS1_16scan_by_key_implILNS1_25lookback_scan_determinismE0ELb0ES3_N6thrust23THRUST_200600_302600_NS6detail15normal_iteratorINS9_10device_ptrIiEEEENSB_INSC_IfEEEESG_fNS9_4plusIvEENS9_8equal_toIvEEfEE10hipError_tPvRmT2_T3_T4_T5_mT6_T7_P12ihipStream_tbENKUlT_T0_E_clISt17integral_constantIbLb1EES11_EEDaSW_SX_EUlSW_E_NS1_11comp_targetILNS1_3genE2ELNS1_11target_archE906ELNS1_3gpuE6ELNS1_3repE0EEENS1_30default_config_static_selectorELNS0_4arch9wavefront6targetE1EEEvT1_,"axG",@progbits,_ZN7rocprim17ROCPRIM_400000_NS6detail17trampoline_kernelINS0_14default_configENS1_27scan_by_key_config_selectorIifEEZZNS1_16scan_by_key_implILNS1_25lookback_scan_determinismE0ELb0ES3_N6thrust23THRUST_200600_302600_NS6detail15normal_iteratorINS9_10device_ptrIiEEEENSB_INSC_IfEEEESG_fNS9_4plusIvEENS9_8equal_toIvEEfEE10hipError_tPvRmT2_T3_T4_T5_mT6_T7_P12ihipStream_tbENKUlT_T0_E_clISt17integral_constantIbLb1EES11_EEDaSW_SX_EUlSW_E_NS1_11comp_targetILNS1_3genE2ELNS1_11target_archE906ELNS1_3gpuE6ELNS1_3repE0EEENS1_30default_config_static_selectorELNS0_4arch9wavefront6targetE1EEEvT1_,comdat
	.protected	_ZN7rocprim17ROCPRIM_400000_NS6detail17trampoline_kernelINS0_14default_configENS1_27scan_by_key_config_selectorIifEEZZNS1_16scan_by_key_implILNS1_25lookback_scan_determinismE0ELb0ES3_N6thrust23THRUST_200600_302600_NS6detail15normal_iteratorINS9_10device_ptrIiEEEENSB_INSC_IfEEEESG_fNS9_4plusIvEENS9_8equal_toIvEEfEE10hipError_tPvRmT2_T3_T4_T5_mT6_T7_P12ihipStream_tbENKUlT_T0_E_clISt17integral_constantIbLb1EES11_EEDaSW_SX_EUlSW_E_NS1_11comp_targetILNS1_3genE2ELNS1_11target_archE906ELNS1_3gpuE6ELNS1_3repE0EEENS1_30default_config_static_selectorELNS0_4arch9wavefront6targetE1EEEvT1_ ; -- Begin function _ZN7rocprim17ROCPRIM_400000_NS6detail17trampoline_kernelINS0_14default_configENS1_27scan_by_key_config_selectorIifEEZZNS1_16scan_by_key_implILNS1_25lookback_scan_determinismE0ELb0ES3_N6thrust23THRUST_200600_302600_NS6detail15normal_iteratorINS9_10device_ptrIiEEEENSB_INSC_IfEEEESG_fNS9_4plusIvEENS9_8equal_toIvEEfEE10hipError_tPvRmT2_T3_T4_T5_mT6_T7_P12ihipStream_tbENKUlT_T0_E_clISt17integral_constantIbLb1EES11_EEDaSW_SX_EUlSW_E_NS1_11comp_targetILNS1_3genE2ELNS1_11target_archE906ELNS1_3gpuE6ELNS1_3repE0EEENS1_30default_config_static_selectorELNS0_4arch9wavefront6targetE1EEEvT1_
	.globl	_ZN7rocprim17ROCPRIM_400000_NS6detail17trampoline_kernelINS0_14default_configENS1_27scan_by_key_config_selectorIifEEZZNS1_16scan_by_key_implILNS1_25lookback_scan_determinismE0ELb0ES3_N6thrust23THRUST_200600_302600_NS6detail15normal_iteratorINS9_10device_ptrIiEEEENSB_INSC_IfEEEESG_fNS9_4plusIvEENS9_8equal_toIvEEfEE10hipError_tPvRmT2_T3_T4_T5_mT6_T7_P12ihipStream_tbENKUlT_T0_E_clISt17integral_constantIbLb1EES11_EEDaSW_SX_EUlSW_E_NS1_11comp_targetILNS1_3genE2ELNS1_11target_archE906ELNS1_3gpuE6ELNS1_3repE0EEENS1_30default_config_static_selectorELNS0_4arch9wavefront6targetE1EEEvT1_
	.p2align	8
	.type	_ZN7rocprim17ROCPRIM_400000_NS6detail17trampoline_kernelINS0_14default_configENS1_27scan_by_key_config_selectorIifEEZZNS1_16scan_by_key_implILNS1_25lookback_scan_determinismE0ELb0ES3_N6thrust23THRUST_200600_302600_NS6detail15normal_iteratorINS9_10device_ptrIiEEEENSB_INSC_IfEEEESG_fNS9_4plusIvEENS9_8equal_toIvEEfEE10hipError_tPvRmT2_T3_T4_T5_mT6_T7_P12ihipStream_tbENKUlT_T0_E_clISt17integral_constantIbLb1EES11_EEDaSW_SX_EUlSW_E_NS1_11comp_targetILNS1_3genE2ELNS1_11target_archE906ELNS1_3gpuE6ELNS1_3repE0EEENS1_30default_config_static_selectorELNS0_4arch9wavefront6targetE1EEEvT1_,@function
_ZN7rocprim17ROCPRIM_400000_NS6detail17trampoline_kernelINS0_14default_configENS1_27scan_by_key_config_selectorIifEEZZNS1_16scan_by_key_implILNS1_25lookback_scan_determinismE0ELb0ES3_N6thrust23THRUST_200600_302600_NS6detail15normal_iteratorINS9_10device_ptrIiEEEENSB_INSC_IfEEEESG_fNS9_4plusIvEENS9_8equal_toIvEEfEE10hipError_tPvRmT2_T3_T4_T5_mT6_T7_P12ihipStream_tbENKUlT_T0_E_clISt17integral_constantIbLb1EES11_EEDaSW_SX_EUlSW_E_NS1_11comp_targetILNS1_3genE2ELNS1_11target_archE906ELNS1_3gpuE6ELNS1_3repE0EEENS1_30default_config_static_selectorELNS0_4arch9wavefront6targetE1EEEvT1_: ; @_ZN7rocprim17ROCPRIM_400000_NS6detail17trampoline_kernelINS0_14default_configENS1_27scan_by_key_config_selectorIifEEZZNS1_16scan_by_key_implILNS1_25lookback_scan_determinismE0ELb0ES3_N6thrust23THRUST_200600_302600_NS6detail15normal_iteratorINS9_10device_ptrIiEEEENSB_INSC_IfEEEESG_fNS9_4plusIvEENS9_8equal_toIvEEfEE10hipError_tPvRmT2_T3_T4_T5_mT6_T7_P12ihipStream_tbENKUlT_T0_E_clISt17integral_constantIbLb1EES11_EEDaSW_SX_EUlSW_E_NS1_11comp_targetILNS1_3genE2ELNS1_11target_archE906ELNS1_3gpuE6ELNS1_3repE0EEENS1_30default_config_static_selectorELNS0_4arch9wavefront6targetE1EEEvT1_
; %bb.0:
	.section	.rodata,"a",@progbits
	.p2align	6, 0x0
	.amdhsa_kernel _ZN7rocprim17ROCPRIM_400000_NS6detail17trampoline_kernelINS0_14default_configENS1_27scan_by_key_config_selectorIifEEZZNS1_16scan_by_key_implILNS1_25lookback_scan_determinismE0ELb0ES3_N6thrust23THRUST_200600_302600_NS6detail15normal_iteratorINS9_10device_ptrIiEEEENSB_INSC_IfEEEESG_fNS9_4plusIvEENS9_8equal_toIvEEfEE10hipError_tPvRmT2_T3_T4_T5_mT6_T7_P12ihipStream_tbENKUlT_T0_E_clISt17integral_constantIbLb1EES11_EEDaSW_SX_EUlSW_E_NS1_11comp_targetILNS1_3genE2ELNS1_11target_archE906ELNS1_3gpuE6ELNS1_3repE0EEENS1_30default_config_static_selectorELNS0_4arch9wavefront6targetE1EEEvT1_
		.amdhsa_group_segment_fixed_size 0
		.amdhsa_private_segment_fixed_size 0
		.amdhsa_kernarg_size 112
		.amdhsa_user_sgpr_count 2
		.amdhsa_user_sgpr_dispatch_ptr 0
		.amdhsa_user_sgpr_queue_ptr 0
		.amdhsa_user_sgpr_kernarg_segment_ptr 1
		.amdhsa_user_sgpr_dispatch_id 0
		.amdhsa_user_sgpr_kernarg_preload_length 0
		.amdhsa_user_sgpr_kernarg_preload_offset 0
		.amdhsa_user_sgpr_private_segment_size 0
		.amdhsa_uses_dynamic_stack 0
		.amdhsa_enable_private_segment 0
		.amdhsa_system_sgpr_workgroup_id_x 1
		.amdhsa_system_sgpr_workgroup_id_y 0
		.amdhsa_system_sgpr_workgroup_id_z 0
		.amdhsa_system_sgpr_workgroup_info 0
		.amdhsa_system_vgpr_workitem_id 0
		.amdhsa_next_free_vgpr 1
		.amdhsa_next_free_sgpr 0
		.amdhsa_accum_offset 4
		.amdhsa_reserve_vcc 0
		.amdhsa_float_round_mode_32 0
		.amdhsa_float_round_mode_16_64 0
		.amdhsa_float_denorm_mode_32 3
		.amdhsa_float_denorm_mode_16_64 3
		.amdhsa_dx10_clamp 1
		.amdhsa_ieee_mode 1
		.amdhsa_fp16_overflow 0
		.amdhsa_tg_split 0
		.amdhsa_exception_fp_ieee_invalid_op 0
		.amdhsa_exception_fp_denorm_src 0
		.amdhsa_exception_fp_ieee_div_zero 0
		.amdhsa_exception_fp_ieee_overflow 0
		.amdhsa_exception_fp_ieee_underflow 0
		.amdhsa_exception_fp_ieee_inexact 0
		.amdhsa_exception_int_div_zero 0
	.end_amdhsa_kernel
	.section	.text._ZN7rocprim17ROCPRIM_400000_NS6detail17trampoline_kernelINS0_14default_configENS1_27scan_by_key_config_selectorIifEEZZNS1_16scan_by_key_implILNS1_25lookback_scan_determinismE0ELb0ES3_N6thrust23THRUST_200600_302600_NS6detail15normal_iteratorINS9_10device_ptrIiEEEENSB_INSC_IfEEEESG_fNS9_4plusIvEENS9_8equal_toIvEEfEE10hipError_tPvRmT2_T3_T4_T5_mT6_T7_P12ihipStream_tbENKUlT_T0_E_clISt17integral_constantIbLb1EES11_EEDaSW_SX_EUlSW_E_NS1_11comp_targetILNS1_3genE2ELNS1_11target_archE906ELNS1_3gpuE6ELNS1_3repE0EEENS1_30default_config_static_selectorELNS0_4arch9wavefront6targetE1EEEvT1_,"axG",@progbits,_ZN7rocprim17ROCPRIM_400000_NS6detail17trampoline_kernelINS0_14default_configENS1_27scan_by_key_config_selectorIifEEZZNS1_16scan_by_key_implILNS1_25lookback_scan_determinismE0ELb0ES3_N6thrust23THRUST_200600_302600_NS6detail15normal_iteratorINS9_10device_ptrIiEEEENSB_INSC_IfEEEESG_fNS9_4plusIvEENS9_8equal_toIvEEfEE10hipError_tPvRmT2_T3_T4_T5_mT6_T7_P12ihipStream_tbENKUlT_T0_E_clISt17integral_constantIbLb1EES11_EEDaSW_SX_EUlSW_E_NS1_11comp_targetILNS1_3genE2ELNS1_11target_archE906ELNS1_3gpuE6ELNS1_3repE0EEENS1_30default_config_static_selectorELNS0_4arch9wavefront6targetE1EEEvT1_,comdat
.Lfunc_end1146:
	.size	_ZN7rocprim17ROCPRIM_400000_NS6detail17trampoline_kernelINS0_14default_configENS1_27scan_by_key_config_selectorIifEEZZNS1_16scan_by_key_implILNS1_25lookback_scan_determinismE0ELb0ES3_N6thrust23THRUST_200600_302600_NS6detail15normal_iteratorINS9_10device_ptrIiEEEENSB_INSC_IfEEEESG_fNS9_4plusIvEENS9_8equal_toIvEEfEE10hipError_tPvRmT2_T3_T4_T5_mT6_T7_P12ihipStream_tbENKUlT_T0_E_clISt17integral_constantIbLb1EES11_EEDaSW_SX_EUlSW_E_NS1_11comp_targetILNS1_3genE2ELNS1_11target_archE906ELNS1_3gpuE6ELNS1_3repE0EEENS1_30default_config_static_selectorELNS0_4arch9wavefront6targetE1EEEvT1_, .Lfunc_end1146-_ZN7rocprim17ROCPRIM_400000_NS6detail17trampoline_kernelINS0_14default_configENS1_27scan_by_key_config_selectorIifEEZZNS1_16scan_by_key_implILNS1_25lookback_scan_determinismE0ELb0ES3_N6thrust23THRUST_200600_302600_NS6detail15normal_iteratorINS9_10device_ptrIiEEEENSB_INSC_IfEEEESG_fNS9_4plusIvEENS9_8equal_toIvEEfEE10hipError_tPvRmT2_T3_T4_T5_mT6_T7_P12ihipStream_tbENKUlT_T0_E_clISt17integral_constantIbLb1EES11_EEDaSW_SX_EUlSW_E_NS1_11comp_targetILNS1_3genE2ELNS1_11target_archE906ELNS1_3gpuE6ELNS1_3repE0EEENS1_30default_config_static_selectorELNS0_4arch9wavefront6targetE1EEEvT1_
                                        ; -- End function
	.section	.AMDGPU.csdata,"",@progbits
; Kernel info:
; codeLenInByte = 0
; NumSgprs: 6
; NumVgprs: 0
; NumAgprs: 0
; TotalNumVgprs: 0
; ScratchSize: 0
; MemoryBound: 0
; FloatMode: 240
; IeeeMode: 1
; LDSByteSize: 0 bytes/workgroup (compile time only)
; SGPRBlocks: 0
; VGPRBlocks: 0
; NumSGPRsForWavesPerEU: 6
; NumVGPRsForWavesPerEU: 1
; AccumOffset: 4
; Occupancy: 8
; WaveLimiterHint : 0
; COMPUTE_PGM_RSRC2:SCRATCH_EN: 0
; COMPUTE_PGM_RSRC2:USER_SGPR: 2
; COMPUTE_PGM_RSRC2:TRAP_HANDLER: 0
; COMPUTE_PGM_RSRC2:TGID_X_EN: 1
; COMPUTE_PGM_RSRC2:TGID_Y_EN: 0
; COMPUTE_PGM_RSRC2:TGID_Z_EN: 0
; COMPUTE_PGM_RSRC2:TIDIG_COMP_CNT: 0
; COMPUTE_PGM_RSRC3_GFX90A:ACCUM_OFFSET: 0
; COMPUTE_PGM_RSRC3_GFX90A:TG_SPLIT: 0
	.section	.text._ZN7rocprim17ROCPRIM_400000_NS6detail17trampoline_kernelINS0_14default_configENS1_27scan_by_key_config_selectorIifEEZZNS1_16scan_by_key_implILNS1_25lookback_scan_determinismE0ELb0ES3_N6thrust23THRUST_200600_302600_NS6detail15normal_iteratorINS9_10device_ptrIiEEEENSB_INSC_IfEEEESG_fNS9_4plusIvEENS9_8equal_toIvEEfEE10hipError_tPvRmT2_T3_T4_T5_mT6_T7_P12ihipStream_tbENKUlT_T0_E_clISt17integral_constantIbLb1EES11_EEDaSW_SX_EUlSW_E_NS1_11comp_targetILNS1_3genE10ELNS1_11target_archE1200ELNS1_3gpuE4ELNS1_3repE0EEENS1_30default_config_static_selectorELNS0_4arch9wavefront6targetE1EEEvT1_,"axG",@progbits,_ZN7rocprim17ROCPRIM_400000_NS6detail17trampoline_kernelINS0_14default_configENS1_27scan_by_key_config_selectorIifEEZZNS1_16scan_by_key_implILNS1_25lookback_scan_determinismE0ELb0ES3_N6thrust23THRUST_200600_302600_NS6detail15normal_iteratorINS9_10device_ptrIiEEEENSB_INSC_IfEEEESG_fNS9_4plusIvEENS9_8equal_toIvEEfEE10hipError_tPvRmT2_T3_T4_T5_mT6_T7_P12ihipStream_tbENKUlT_T0_E_clISt17integral_constantIbLb1EES11_EEDaSW_SX_EUlSW_E_NS1_11comp_targetILNS1_3genE10ELNS1_11target_archE1200ELNS1_3gpuE4ELNS1_3repE0EEENS1_30default_config_static_selectorELNS0_4arch9wavefront6targetE1EEEvT1_,comdat
	.protected	_ZN7rocprim17ROCPRIM_400000_NS6detail17trampoline_kernelINS0_14default_configENS1_27scan_by_key_config_selectorIifEEZZNS1_16scan_by_key_implILNS1_25lookback_scan_determinismE0ELb0ES3_N6thrust23THRUST_200600_302600_NS6detail15normal_iteratorINS9_10device_ptrIiEEEENSB_INSC_IfEEEESG_fNS9_4plusIvEENS9_8equal_toIvEEfEE10hipError_tPvRmT2_T3_T4_T5_mT6_T7_P12ihipStream_tbENKUlT_T0_E_clISt17integral_constantIbLb1EES11_EEDaSW_SX_EUlSW_E_NS1_11comp_targetILNS1_3genE10ELNS1_11target_archE1200ELNS1_3gpuE4ELNS1_3repE0EEENS1_30default_config_static_selectorELNS0_4arch9wavefront6targetE1EEEvT1_ ; -- Begin function _ZN7rocprim17ROCPRIM_400000_NS6detail17trampoline_kernelINS0_14default_configENS1_27scan_by_key_config_selectorIifEEZZNS1_16scan_by_key_implILNS1_25lookback_scan_determinismE0ELb0ES3_N6thrust23THRUST_200600_302600_NS6detail15normal_iteratorINS9_10device_ptrIiEEEENSB_INSC_IfEEEESG_fNS9_4plusIvEENS9_8equal_toIvEEfEE10hipError_tPvRmT2_T3_T4_T5_mT6_T7_P12ihipStream_tbENKUlT_T0_E_clISt17integral_constantIbLb1EES11_EEDaSW_SX_EUlSW_E_NS1_11comp_targetILNS1_3genE10ELNS1_11target_archE1200ELNS1_3gpuE4ELNS1_3repE0EEENS1_30default_config_static_selectorELNS0_4arch9wavefront6targetE1EEEvT1_
	.globl	_ZN7rocprim17ROCPRIM_400000_NS6detail17trampoline_kernelINS0_14default_configENS1_27scan_by_key_config_selectorIifEEZZNS1_16scan_by_key_implILNS1_25lookback_scan_determinismE0ELb0ES3_N6thrust23THRUST_200600_302600_NS6detail15normal_iteratorINS9_10device_ptrIiEEEENSB_INSC_IfEEEESG_fNS9_4plusIvEENS9_8equal_toIvEEfEE10hipError_tPvRmT2_T3_T4_T5_mT6_T7_P12ihipStream_tbENKUlT_T0_E_clISt17integral_constantIbLb1EES11_EEDaSW_SX_EUlSW_E_NS1_11comp_targetILNS1_3genE10ELNS1_11target_archE1200ELNS1_3gpuE4ELNS1_3repE0EEENS1_30default_config_static_selectorELNS0_4arch9wavefront6targetE1EEEvT1_
	.p2align	8
	.type	_ZN7rocprim17ROCPRIM_400000_NS6detail17trampoline_kernelINS0_14default_configENS1_27scan_by_key_config_selectorIifEEZZNS1_16scan_by_key_implILNS1_25lookback_scan_determinismE0ELb0ES3_N6thrust23THRUST_200600_302600_NS6detail15normal_iteratorINS9_10device_ptrIiEEEENSB_INSC_IfEEEESG_fNS9_4plusIvEENS9_8equal_toIvEEfEE10hipError_tPvRmT2_T3_T4_T5_mT6_T7_P12ihipStream_tbENKUlT_T0_E_clISt17integral_constantIbLb1EES11_EEDaSW_SX_EUlSW_E_NS1_11comp_targetILNS1_3genE10ELNS1_11target_archE1200ELNS1_3gpuE4ELNS1_3repE0EEENS1_30default_config_static_selectorELNS0_4arch9wavefront6targetE1EEEvT1_,@function
_ZN7rocprim17ROCPRIM_400000_NS6detail17trampoline_kernelINS0_14default_configENS1_27scan_by_key_config_selectorIifEEZZNS1_16scan_by_key_implILNS1_25lookback_scan_determinismE0ELb0ES3_N6thrust23THRUST_200600_302600_NS6detail15normal_iteratorINS9_10device_ptrIiEEEENSB_INSC_IfEEEESG_fNS9_4plusIvEENS9_8equal_toIvEEfEE10hipError_tPvRmT2_T3_T4_T5_mT6_T7_P12ihipStream_tbENKUlT_T0_E_clISt17integral_constantIbLb1EES11_EEDaSW_SX_EUlSW_E_NS1_11comp_targetILNS1_3genE10ELNS1_11target_archE1200ELNS1_3gpuE4ELNS1_3repE0EEENS1_30default_config_static_selectorELNS0_4arch9wavefront6targetE1EEEvT1_: ; @_ZN7rocprim17ROCPRIM_400000_NS6detail17trampoline_kernelINS0_14default_configENS1_27scan_by_key_config_selectorIifEEZZNS1_16scan_by_key_implILNS1_25lookback_scan_determinismE0ELb0ES3_N6thrust23THRUST_200600_302600_NS6detail15normal_iteratorINS9_10device_ptrIiEEEENSB_INSC_IfEEEESG_fNS9_4plusIvEENS9_8equal_toIvEEfEE10hipError_tPvRmT2_T3_T4_T5_mT6_T7_P12ihipStream_tbENKUlT_T0_E_clISt17integral_constantIbLb1EES11_EEDaSW_SX_EUlSW_E_NS1_11comp_targetILNS1_3genE10ELNS1_11target_archE1200ELNS1_3gpuE4ELNS1_3repE0EEENS1_30default_config_static_selectorELNS0_4arch9wavefront6targetE1EEEvT1_
; %bb.0:
	.section	.rodata,"a",@progbits
	.p2align	6, 0x0
	.amdhsa_kernel _ZN7rocprim17ROCPRIM_400000_NS6detail17trampoline_kernelINS0_14default_configENS1_27scan_by_key_config_selectorIifEEZZNS1_16scan_by_key_implILNS1_25lookback_scan_determinismE0ELb0ES3_N6thrust23THRUST_200600_302600_NS6detail15normal_iteratorINS9_10device_ptrIiEEEENSB_INSC_IfEEEESG_fNS9_4plusIvEENS9_8equal_toIvEEfEE10hipError_tPvRmT2_T3_T4_T5_mT6_T7_P12ihipStream_tbENKUlT_T0_E_clISt17integral_constantIbLb1EES11_EEDaSW_SX_EUlSW_E_NS1_11comp_targetILNS1_3genE10ELNS1_11target_archE1200ELNS1_3gpuE4ELNS1_3repE0EEENS1_30default_config_static_selectorELNS0_4arch9wavefront6targetE1EEEvT1_
		.amdhsa_group_segment_fixed_size 0
		.amdhsa_private_segment_fixed_size 0
		.amdhsa_kernarg_size 112
		.amdhsa_user_sgpr_count 2
		.amdhsa_user_sgpr_dispatch_ptr 0
		.amdhsa_user_sgpr_queue_ptr 0
		.amdhsa_user_sgpr_kernarg_segment_ptr 1
		.amdhsa_user_sgpr_dispatch_id 0
		.amdhsa_user_sgpr_kernarg_preload_length 0
		.amdhsa_user_sgpr_kernarg_preload_offset 0
		.amdhsa_user_sgpr_private_segment_size 0
		.amdhsa_uses_dynamic_stack 0
		.amdhsa_enable_private_segment 0
		.amdhsa_system_sgpr_workgroup_id_x 1
		.amdhsa_system_sgpr_workgroup_id_y 0
		.amdhsa_system_sgpr_workgroup_id_z 0
		.amdhsa_system_sgpr_workgroup_info 0
		.amdhsa_system_vgpr_workitem_id 0
		.amdhsa_next_free_vgpr 1
		.amdhsa_next_free_sgpr 0
		.amdhsa_accum_offset 4
		.amdhsa_reserve_vcc 0
		.amdhsa_float_round_mode_32 0
		.amdhsa_float_round_mode_16_64 0
		.amdhsa_float_denorm_mode_32 3
		.amdhsa_float_denorm_mode_16_64 3
		.amdhsa_dx10_clamp 1
		.amdhsa_ieee_mode 1
		.amdhsa_fp16_overflow 0
		.amdhsa_tg_split 0
		.amdhsa_exception_fp_ieee_invalid_op 0
		.amdhsa_exception_fp_denorm_src 0
		.amdhsa_exception_fp_ieee_div_zero 0
		.amdhsa_exception_fp_ieee_overflow 0
		.amdhsa_exception_fp_ieee_underflow 0
		.amdhsa_exception_fp_ieee_inexact 0
		.amdhsa_exception_int_div_zero 0
	.end_amdhsa_kernel
	.section	.text._ZN7rocprim17ROCPRIM_400000_NS6detail17trampoline_kernelINS0_14default_configENS1_27scan_by_key_config_selectorIifEEZZNS1_16scan_by_key_implILNS1_25lookback_scan_determinismE0ELb0ES3_N6thrust23THRUST_200600_302600_NS6detail15normal_iteratorINS9_10device_ptrIiEEEENSB_INSC_IfEEEESG_fNS9_4plusIvEENS9_8equal_toIvEEfEE10hipError_tPvRmT2_T3_T4_T5_mT6_T7_P12ihipStream_tbENKUlT_T0_E_clISt17integral_constantIbLb1EES11_EEDaSW_SX_EUlSW_E_NS1_11comp_targetILNS1_3genE10ELNS1_11target_archE1200ELNS1_3gpuE4ELNS1_3repE0EEENS1_30default_config_static_selectorELNS0_4arch9wavefront6targetE1EEEvT1_,"axG",@progbits,_ZN7rocprim17ROCPRIM_400000_NS6detail17trampoline_kernelINS0_14default_configENS1_27scan_by_key_config_selectorIifEEZZNS1_16scan_by_key_implILNS1_25lookback_scan_determinismE0ELb0ES3_N6thrust23THRUST_200600_302600_NS6detail15normal_iteratorINS9_10device_ptrIiEEEENSB_INSC_IfEEEESG_fNS9_4plusIvEENS9_8equal_toIvEEfEE10hipError_tPvRmT2_T3_T4_T5_mT6_T7_P12ihipStream_tbENKUlT_T0_E_clISt17integral_constantIbLb1EES11_EEDaSW_SX_EUlSW_E_NS1_11comp_targetILNS1_3genE10ELNS1_11target_archE1200ELNS1_3gpuE4ELNS1_3repE0EEENS1_30default_config_static_selectorELNS0_4arch9wavefront6targetE1EEEvT1_,comdat
.Lfunc_end1147:
	.size	_ZN7rocprim17ROCPRIM_400000_NS6detail17trampoline_kernelINS0_14default_configENS1_27scan_by_key_config_selectorIifEEZZNS1_16scan_by_key_implILNS1_25lookback_scan_determinismE0ELb0ES3_N6thrust23THRUST_200600_302600_NS6detail15normal_iteratorINS9_10device_ptrIiEEEENSB_INSC_IfEEEESG_fNS9_4plusIvEENS9_8equal_toIvEEfEE10hipError_tPvRmT2_T3_T4_T5_mT6_T7_P12ihipStream_tbENKUlT_T0_E_clISt17integral_constantIbLb1EES11_EEDaSW_SX_EUlSW_E_NS1_11comp_targetILNS1_3genE10ELNS1_11target_archE1200ELNS1_3gpuE4ELNS1_3repE0EEENS1_30default_config_static_selectorELNS0_4arch9wavefront6targetE1EEEvT1_, .Lfunc_end1147-_ZN7rocprim17ROCPRIM_400000_NS6detail17trampoline_kernelINS0_14default_configENS1_27scan_by_key_config_selectorIifEEZZNS1_16scan_by_key_implILNS1_25lookback_scan_determinismE0ELb0ES3_N6thrust23THRUST_200600_302600_NS6detail15normal_iteratorINS9_10device_ptrIiEEEENSB_INSC_IfEEEESG_fNS9_4plusIvEENS9_8equal_toIvEEfEE10hipError_tPvRmT2_T3_T4_T5_mT6_T7_P12ihipStream_tbENKUlT_T0_E_clISt17integral_constantIbLb1EES11_EEDaSW_SX_EUlSW_E_NS1_11comp_targetILNS1_3genE10ELNS1_11target_archE1200ELNS1_3gpuE4ELNS1_3repE0EEENS1_30default_config_static_selectorELNS0_4arch9wavefront6targetE1EEEvT1_
                                        ; -- End function
	.section	.AMDGPU.csdata,"",@progbits
; Kernel info:
; codeLenInByte = 0
; NumSgprs: 6
; NumVgprs: 0
; NumAgprs: 0
; TotalNumVgprs: 0
; ScratchSize: 0
; MemoryBound: 0
; FloatMode: 240
; IeeeMode: 1
; LDSByteSize: 0 bytes/workgroup (compile time only)
; SGPRBlocks: 0
; VGPRBlocks: 0
; NumSGPRsForWavesPerEU: 6
; NumVGPRsForWavesPerEU: 1
; AccumOffset: 4
; Occupancy: 8
; WaveLimiterHint : 0
; COMPUTE_PGM_RSRC2:SCRATCH_EN: 0
; COMPUTE_PGM_RSRC2:USER_SGPR: 2
; COMPUTE_PGM_RSRC2:TRAP_HANDLER: 0
; COMPUTE_PGM_RSRC2:TGID_X_EN: 1
; COMPUTE_PGM_RSRC2:TGID_Y_EN: 0
; COMPUTE_PGM_RSRC2:TGID_Z_EN: 0
; COMPUTE_PGM_RSRC2:TIDIG_COMP_CNT: 0
; COMPUTE_PGM_RSRC3_GFX90A:ACCUM_OFFSET: 0
; COMPUTE_PGM_RSRC3_GFX90A:TG_SPLIT: 0
	.section	.text._ZN7rocprim17ROCPRIM_400000_NS6detail17trampoline_kernelINS0_14default_configENS1_27scan_by_key_config_selectorIifEEZZNS1_16scan_by_key_implILNS1_25lookback_scan_determinismE0ELb0ES3_N6thrust23THRUST_200600_302600_NS6detail15normal_iteratorINS9_10device_ptrIiEEEENSB_INSC_IfEEEESG_fNS9_4plusIvEENS9_8equal_toIvEEfEE10hipError_tPvRmT2_T3_T4_T5_mT6_T7_P12ihipStream_tbENKUlT_T0_E_clISt17integral_constantIbLb1EES11_EEDaSW_SX_EUlSW_E_NS1_11comp_targetILNS1_3genE9ELNS1_11target_archE1100ELNS1_3gpuE3ELNS1_3repE0EEENS1_30default_config_static_selectorELNS0_4arch9wavefront6targetE1EEEvT1_,"axG",@progbits,_ZN7rocprim17ROCPRIM_400000_NS6detail17trampoline_kernelINS0_14default_configENS1_27scan_by_key_config_selectorIifEEZZNS1_16scan_by_key_implILNS1_25lookback_scan_determinismE0ELb0ES3_N6thrust23THRUST_200600_302600_NS6detail15normal_iteratorINS9_10device_ptrIiEEEENSB_INSC_IfEEEESG_fNS9_4plusIvEENS9_8equal_toIvEEfEE10hipError_tPvRmT2_T3_T4_T5_mT6_T7_P12ihipStream_tbENKUlT_T0_E_clISt17integral_constantIbLb1EES11_EEDaSW_SX_EUlSW_E_NS1_11comp_targetILNS1_3genE9ELNS1_11target_archE1100ELNS1_3gpuE3ELNS1_3repE0EEENS1_30default_config_static_selectorELNS0_4arch9wavefront6targetE1EEEvT1_,comdat
	.protected	_ZN7rocprim17ROCPRIM_400000_NS6detail17trampoline_kernelINS0_14default_configENS1_27scan_by_key_config_selectorIifEEZZNS1_16scan_by_key_implILNS1_25lookback_scan_determinismE0ELb0ES3_N6thrust23THRUST_200600_302600_NS6detail15normal_iteratorINS9_10device_ptrIiEEEENSB_INSC_IfEEEESG_fNS9_4plusIvEENS9_8equal_toIvEEfEE10hipError_tPvRmT2_T3_T4_T5_mT6_T7_P12ihipStream_tbENKUlT_T0_E_clISt17integral_constantIbLb1EES11_EEDaSW_SX_EUlSW_E_NS1_11comp_targetILNS1_3genE9ELNS1_11target_archE1100ELNS1_3gpuE3ELNS1_3repE0EEENS1_30default_config_static_selectorELNS0_4arch9wavefront6targetE1EEEvT1_ ; -- Begin function _ZN7rocprim17ROCPRIM_400000_NS6detail17trampoline_kernelINS0_14default_configENS1_27scan_by_key_config_selectorIifEEZZNS1_16scan_by_key_implILNS1_25lookback_scan_determinismE0ELb0ES3_N6thrust23THRUST_200600_302600_NS6detail15normal_iteratorINS9_10device_ptrIiEEEENSB_INSC_IfEEEESG_fNS9_4plusIvEENS9_8equal_toIvEEfEE10hipError_tPvRmT2_T3_T4_T5_mT6_T7_P12ihipStream_tbENKUlT_T0_E_clISt17integral_constantIbLb1EES11_EEDaSW_SX_EUlSW_E_NS1_11comp_targetILNS1_3genE9ELNS1_11target_archE1100ELNS1_3gpuE3ELNS1_3repE0EEENS1_30default_config_static_selectorELNS0_4arch9wavefront6targetE1EEEvT1_
	.globl	_ZN7rocprim17ROCPRIM_400000_NS6detail17trampoline_kernelINS0_14default_configENS1_27scan_by_key_config_selectorIifEEZZNS1_16scan_by_key_implILNS1_25lookback_scan_determinismE0ELb0ES3_N6thrust23THRUST_200600_302600_NS6detail15normal_iteratorINS9_10device_ptrIiEEEENSB_INSC_IfEEEESG_fNS9_4plusIvEENS9_8equal_toIvEEfEE10hipError_tPvRmT2_T3_T4_T5_mT6_T7_P12ihipStream_tbENKUlT_T0_E_clISt17integral_constantIbLb1EES11_EEDaSW_SX_EUlSW_E_NS1_11comp_targetILNS1_3genE9ELNS1_11target_archE1100ELNS1_3gpuE3ELNS1_3repE0EEENS1_30default_config_static_selectorELNS0_4arch9wavefront6targetE1EEEvT1_
	.p2align	8
	.type	_ZN7rocprim17ROCPRIM_400000_NS6detail17trampoline_kernelINS0_14default_configENS1_27scan_by_key_config_selectorIifEEZZNS1_16scan_by_key_implILNS1_25lookback_scan_determinismE0ELb0ES3_N6thrust23THRUST_200600_302600_NS6detail15normal_iteratorINS9_10device_ptrIiEEEENSB_INSC_IfEEEESG_fNS9_4plusIvEENS9_8equal_toIvEEfEE10hipError_tPvRmT2_T3_T4_T5_mT6_T7_P12ihipStream_tbENKUlT_T0_E_clISt17integral_constantIbLb1EES11_EEDaSW_SX_EUlSW_E_NS1_11comp_targetILNS1_3genE9ELNS1_11target_archE1100ELNS1_3gpuE3ELNS1_3repE0EEENS1_30default_config_static_selectorELNS0_4arch9wavefront6targetE1EEEvT1_,@function
_ZN7rocprim17ROCPRIM_400000_NS6detail17trampoline_kernelINS0_14default_configENS1_27scan_by_key_config_selectorIifEEZZNS1_16scan_by_key_implILNS1_25lookback_scan_determinismE0ELb0ES3_N6thrust23THRUST_200600_302600_NS6detail15normal_iteratorINS9_10device_ptrIiEEEENSB_INSC_IfEEEESG_fNS9_4plusIvEENS9_8equal_toIvEEfEE10hipError_tPvRmT2_T3_T4_T5_mT6_T7_P12ihipStream_tbENKUlT_T0_E_clISt17integral_constantIbLb1EES11_EEDaSW_SX_EUlSW_E_NS1_11comp_targetILNS1_3genE9ELNS1_11target_archE1100ELNS1_3gpuE3ELNS1_3repE0EEENS1_30default_config_static_selectorELNS0_4arch9wavefront6targetE1EEEvT1_: ; @_ZN7rocprim17ROCPRIM_400000_NS6detail17trampoline_kernelINS0_14default_configENS1_27scan_by_key_config_selectorIifEEZZNS1_16scan_by_key_implILNS1_25lookback_scan_determinismE0ELb0ES3_N6thrust23THRUST_200600_302600_NS6detail15normal_iteratorINS9_10device_ptrIiEEEENSB_INSC_IfEEEESG_fNS9_4plusIvEENS9_8equal_toIvEEfEE10hipError_tPvRmT2_T3_T4_T5_mT6_T7_P12ihipStream_tbENKUlT_T0_E_clISt17integral_constantIbLb1EES11_EEDaSW_SX_EUlSW_E_NS1_11comp_targetILNS1_3genE9ELNS1_11target_archE1100ELNS1_3gpuE3ELNS1_3repE0EEENS1_30default_config_static_selectorELNS0_4arch9wavefront6targetE1EEEvT1_
; %bb.0:
	.section	.rodata,"a",@progbits
	.p2align	6, 0x0
	.amdhsa_kernel _ZN7rocprim17ROCPRIM_400000_NS6detail17trampoline_kernelINS0_14default_configENS1_27scan_by_key_config_selectorIifEEZZNS1_16scan_by_key_implILNS1_25lookback_scan_determinismE0ELb0ES3_N6thrust23THRUST_200600_302600_NS6detail15normal_iteratorINS9_10device_ptrIiEEEENSB_INSC_IfEEEESG_fNS9_4plusIvEENS9_8equal_toIvEEfEE10hipError_tPvRmT2_T3_T4_T5_mT6_T7_P12ihipStream_tbENKUlT_T0_E_clISt17integral_constantIbLb1EES11_EEDaSW_SX_EUlSW_E_NS1_11comp_targetILNS1_3genE9ELNS1_11target_archE1100ELNS1_3gpuE3ELNS1_3repE0EEENS1_30default_config_static_selectorELNS0_4arch9wavefront6targetE1EEEvT1_
		.amdhsa_group_segment_fixed_size 0
		.amdhsa_private_segment_fixed_size 0
		.amdhsa_kernarg_size 112
		.amdhsa_user_sgpr_count 2
		.amdhsa_user_sgpr_dispatch_ptr 0
		.amdhsa_user_sgpr_queue_ptr 0
		.amdhsa_user_sgpr_kernarg_segment_ptr 1
		.amdhsa_user_sgpr_dispatch_id 0
		.amdhsa_user_sgpr_kernarg_preload_length 0
		.amdhsa_user_sgpr_kernarg_preload_offset 0
		.amdhsa_user_sgpr_private_segment_size 0
		.amdhsa_uses_dynamic_stack 0
		.amdhsa_enable_private_segment 0
		.amdhsa_system_sgpr_workgroup_id_x 1
		.amdhsa_system_sgpr_workgroup_id_y 0
		.amdhsa_system_sgpr_workgroup_id_z 0
		.amdhsa_system_sgpr_workgroup_info 0
		.amdhsa_system_vgpr_workitem_id 0
		.amdhsa_next_free_vgpr 1
		.amdhsa_next_free_sgpr 0
		.amdhsa_accum_offset 4
		.amdhsa_reserve_vcc 0
		.amdhsa_float_round_mode_32 0
		.amdhsa_float_round_mode_16_64 0
		.amdhsa_float_denorm_mode_32 3
		.amdhsa_float_denorm_mode_16_64 3
		.amdhsa_dx10_clamp 1
		.amdhsa_ieee_mode 1
		.amdhsa_fp16_overflow 0
		.amdhsa_tg_split 0
		.amdhsa_exception_fp_ieee_invalid_op 0
		.amdhsa_exception_fp_denorm_src 0
		.amdhsa_exception_fp_ieee_div_zero 0
		.amdhsa_exception_fp_ieee_overflow 0
		.amdhsa_exception_fp_ieee_underflow 0
		.amdhsa_exception_fp_ieee_inexact 0
		.amdhsa_exception_int_div_zero 0
	.end_amdhsa_kernel
	.section	.text._ZN7rocprim17ROCPRIM_400000_NS6detail17trampoline_kernelINS0_14default_configENS1_27scan_by_key_config_selectorIifEEZZNS1_16scan_by_key_implILNS1_25lookback_scan_determinismE0ELb0ES3_N6thrust23THRUST_200600_302600_NS6detail15normal_iteratorINS9_10device_ptrIiEEEENSB_INSC_IfEEEESG_fNS9_4plusIvEENS9_8equal_toIvEEfEE10hipError_tPvRmT2_T3_T4_T5_mT6_T7_P12ihipStream_tbENKUlT_T0_E_clISt17integral_constantIbLb1EES11_EEDaSW_SX_EUlSW_E_NS1_11comp_targetILNS1_3genE9ELNS1_11target_archE1100ELNS1_3gpuE3ELNS1_3repE0EEENS1_30default_config_static_selectorELNS0_4arch9wavefront6targetE1EEEvT1_,"axG",@progbits,_ZN7rocprim17ROCPRIM_400000_NS6detail17trampoline_kernelINS0_14default_configENS1_27scan_by_key_config_selectorIifEEZZNS1_16scan_by_key_implILNS1_25lookback_scan_determinismE0ELb0ES3_N6thrust23THRUST_200600_302600_NS6detail15normal_iteratorINS9_10device_ptrIiEEEENSB_INSC_IfEEEESG_fNS9_4plusIvEENS9_8equal_toIvEEfEE10hipError_tPvRmT2_T3_T4_T5_mT6_T7_P12ihipStream_tbENKUlT_T0_E_clISt17integral_constantIbLb1EES11_EEDaSW_SX_EUlSW_E_NS1_11comp_targetILNS1_3genE9ELNS1_11target_archE1100ELNS1_3gpuE3ELNS1_3repE0EEENS1_30default_config_static_selectorELNS0_4arch9wavefront6targetE1EEEvT1_,comdat
.Lfunc_end1148:
	.size	_ZN7rocprim17ROCPRIM_400000_NS6detail17trampoline_kernelINS0_14default_configENS1_27scan_by_key_config_selectorIifEEZZNS1_16scan_by_key_implILNS1_25lookback_scan_determinismE0ELb0ES3_N6thrust23THRUST_200600_302600_NS6detail15normal_iteratorINS9_10device_ptrIiEEEENSB_INSC_IfEEEESG_fNS9_4plusIvEENS9_8equal_toIvEEfEE10hipError_tPvRmT2_T3_T4_T5_mT6_T7_P12ihipStream_tbENKUlT_T0_E_clISt17integral_constantIbLb1EES11_EEDaSW_SX_EUlSW_E_NS1_11comp_targetILNS1_3genE9ELNS1_11target_archE1100ELNS1_3gpuE3ELNS1_3repE0EEENS1_30default_config_static_selectorELNS0_4arch9wavefront6targetE1EEEvT1_, .Lfunc_end1148-_ZN7rocprim17ROCPRIM_400000_NS6detail17trampoline_kernelINS0_14default_configENS1_27scan_by_key_config_selectorIifEEZZNS1_16scan_by_key_implILNS1_25lookback_scan_determinismE0ELb0ES3_N6thrust23THRUST_200600_302600_NS6detail15normal_iteratorINS9_10device_ptrIiEEEENSB_INSC_IfEEEESG_fNS9_4plusIvEENS9_8equal_toIvEEfEE10hipError_tPvRmT2_T3_T4_T5_mT6_T7_P12ihipStream_tbENKUlT_T0_E_clISt17integral_constantIbLb1EES11_EEDaSW_SX_EUlSW_E_NS1_11comp_targetILNS1_3genE9ELNS1_11target_archE1100ELNS1_3gpuE3ELNS1_3repE0EEENS1_30default_config_static_selectorELNS0_4arch9wavefront6targetE1EEEvT1_
                                        ; -- End function
	.section	.AMDGPU.csdata,"",@progbits
; Kernel info:
; codeLenInByte = 0
; NumSgprs: 6
; NumVgprs: 0
; NumAgprs: 0
; TotalNumVgprs: 0
; ScratchSize: 0
; MemoryBound: 0
; FloatMode: 240
; IeeeMode: 1
; LDSByteSize: 0 bytes/workgroup (compile time only)
; SGPRBlocks: 0
; VGPRBlocks: 0
; NumSGPRsForWavesPerEU: 6
; NumVGPRsForWavesPerEU: 1
; AccumOffset: 4
; Occupancy: 8
; WaveLimiterHint : 0
; COMPUTE_PGM_RSRC2:SCRATCH_EN: 0
; COMPUTE_PGM_RSRC2:USER_SGPR: 2
; COMPUTE_PGM_RSRC2:TRAP_HANDLER: 0
; COMPUTE_PGM_RSRC2:TGID_X_EN: 1
; COMPUTE_PGM_RSRC2:TGID_Y_EN: 0
; COMPUTE_PGM_RSRC2:TGID_Z_EN: 0
; COMPUTE_PGM_RSRC2:TIDIG_COMP_CNT: 0
; COMPUTE_PGM_RSRC3_GFX90A:ACCUM_OFFSET: 0
; COMPUTE_PGM_RSRC3_GFX90A:TG_SPLIT: 0
	.section	.text._ZN7rocprim17ROCPRIM_400000_NS6detail17trampoline_kernelINS0_14default_configENS1_27scan_by_key_config_selectorIifEEZZNS1_16scan_by_key_implILNS1_25lookback_scan_determinismE0ELb0ES3_N6thrust23THRUST_200600_302600_NS6detail15normal_iteratorINS9_10device_ptrIiEEEENSB_INSC_IfEEEESG_fNS9_4plusIvEENS9_8equal_toIvEEfEE10hipError_tPvRmT2_T3_T4_T5_mT6_T7_P12ihipStream_tbENKUlT_T0_E_clISt17integral_constantIbLb1EES11_EEDaSW_SX_EUlSW_E_NS1_11comp_targetILNS1_3genE8ELNS1_11target_archE1030ELNS1_3gpuE2ELNS1_3repE0EEENS1_30default_config_static_selectorELNS0_4arch9wavefront6targetE1EEEvT1_,"axG",@progbits,_ZN7rocprim17ROCPRIM_400000_NS6detail17trampoline_kernelINS0_14default_configENS1_27scan_by_key_config_selectorIifEEZZNS1_16scan_by_key_implILNS1_25lookback_scan_determinismE0ELb0ES3_N6thrust23THRUST_200600_302600_NS6detail15normal_iteratorINS9_10device_ptrIiEEEENSB_INSC_IfEEEESG_fNS9_4plusIvEENS9_8equal_toIvEEfEE10hipError_tPvRmT2_T3_T4_T5_mT6_T7_P12ihipStream_tbENKUlT_T0_E_clISt17integral_constantIbLb1EES11_EEDaSW_SX_EUlSW_E_NS1_11comp_targetILNS1_3genE8ELNS1_11target_archE1030ELNS1_3gpuE2ELNS1_3repE0EEENS1_30default_config_static_selectorELNS0_4arch9wavefront6targetE1EEEvT1_,comdat
	.protected	_ZN7rocprim17ROCPRIM_400000_NS6detail17trampoline_kernelINS0_14default_configENS1_27scan_by_key_config_selectorIifEEZZNS1_16scan_by_key_implILNS1_25lookback_scan_determinismE0ELb0ES3_N6thrust23THRUST_200600_302600_NS6detail15normal_iteratorINS9_10device_ptrIiEEEENSB_INSC_IfEEEESG_fNS9_4plusIvEENS9_8equal_toIvEEfEE10hipError_tPvRmT2_T3_T4_T5_mT6_T7_P12ihipStream_tbENKUlT_T0_E_clISt17integral_constantIbLb1EES11_EEDaSW_SX_EUlSW_E_NS1_11comp_targetILNS1_3genE8ELNS1_11target_archE1030ELNS1_3gpuE2ELNS1_3repE0EEENS1_30default_config_static_selectorELNS0_4arch9wavefront6targetE1EEEvT1_ ; -- Begin function _ZN7rocprim17ROCPRIM_400000_NS6detail17trampoline_kernelINS0_14default_configENS1_27scan_by_key_config_selectorIifEEZZNS1_16scan_by_key_implILNS1_25lookback_scan_determinismE0ELb0ES3_N6thrust23THRUST_200600_302600_NS6detail15normal_iteratorINS9_10device_ptrIiEEEENSB_INSC_IfEEEESG_fNS9_4plusIvEENS9_8equal_toIvEEfEE10hipError_tPvRmT2_T3_T4_T5_mT6_T7_P12ihipStream_tbENKUlT_T0_E_clISt17integral_constantIbLb1EES11_EEDaSW_SX_EUlSW_E_NS1_11comp_targetILNS1_3genE8ELNS1_11target_archE1030ELNS1_3gpuE2ELNS1_3repE0EEENS1_30default_config_static_selectorELNS0_4arch9wavefront6targetE1EEEvT1_
	.globl	_ZN7rocprim17ROCPRIM_400000_NS6detail17trampoline_kernelINS0_14default_configENS1_27scan_by_key_config_selectorIifEEZZNS1_16scan_by_key_implILNS1_25lookback_scan_determinismE0ELb0ES3_N6thrust23THRUST_200600_302600_NS6detail15normal_iteratorINS9_10device_ptrIiEEEENSB_INSC_IfEEEESG_fNS9_4plusIvEENS9_8equal_toIvEEfEE10hipError_tPvRmT2_T3_T4_T5_mT6_T7_P12ihipStream_tbENKUlT_T0_E_clISt17integral_constantIbLb1EES11_EEDaSW_SX_EUlSW_E_NS1_11comp_targetILNS1_3genE8ELNS1_11target_archE1030ELNS1_3gpuE2ELNS1_3repE0EEENS1_30default_config_static_selectorELNS0_4arch9wavefront6targetE1EEEvT1_
	.p2align	8
	.type	_ZN7rocprim17ROCPRIM_400000_NS6detail17trampoline_kernelINS0_14default_configENS1_27scan_by_key_config_selectorIifEEZZNS1_16scan_by_key_implILNS1_25lookback_scan_determinismE0ELb0ES3_N6thrust23THRUST_200600_302600_NS6detail15normal_iteratorINS9_10device_ptrIiEEEENSB_INSC_IfEEEESG_fNS9_4plusIvEENS9_8equal_toIvEEfEE10hipError_tPvRmT2_T3_T4_T5_mT6_T7_P12ihipStream_tbENKUlT_T0_E_clISt17integral_constantIbLb1EES11_EEDaSW_SX_EUlSW_E_NS1_11comp_targetILNS1_3genE8ELNS1_11target_archE1030ELNS1_3gpuE2ELNS1_3repE0EEENS1_30default_config_static_selectorELNS0_4arch9wavefront6targetE1EEEvT1_,@function
_ZN7rocprim17ROCPRIM_400000_NS6detail17trampoline_kernelINS0_14default_configENS1_27scan_by_key_config_selectorIifEEZZNS1_16scan_by_key_implILNS1_25lookback_scan_determinismE0ELb0ES3_N6thrust23THRUST_200600_302600_NS6detail15normal_iteratorINS9_10device_ptrIiEEEENSB_INSC_IfEEEESG_fNS9_4plusIvEENS9_8equal_toIvEEfEE10hipError_tPvRmT2_T3_T4_T5_mT6_T7_P12ihipStream_tbENKUlT_T0_E_clISt17integral_constantIbLb1EES11_EEDaSW_SX_EUlSW_E_NS1_11comp_targetILNS1_3genE8ELNS1_11target_archE1030ELNS1_3gpuE2ELNS1_3repE0EEENS1_30default_config_static_selectorELNS0_4arch9wavefront6targetE1EEEvT1_: ; @_ZN7rocprim17ROCPRIM_400000_NS6detail17trampoline_kernelINS0_14default_configENS1_27scan_by_key_config_selectorIifEEZZNS1_16scan_by_key_implILNS1_25lookback_scan_determinismE0ELb0ES3_N6thrust23THRUST_200600_302600_NS6detail15normal_iteratorINS9_10device_ptrIiEEEENSB_INSC_IfEEEESG_fNS9_4plusIvEENS9_8equal_toIvEEfEE10hipError_tPvRmT2_T3_T4_T5_mT6_T7_P12ihipStream_tbENKUlT_T0_E_clISt17integral_constantIbLb1EES11_EEDaSW_SX_EUlSW_E_NS1_11comp_targetILNS1_3genE8ELNS1_11target_archE1030ELNS1_3gpuE2ELNS1_3repE0EEENS1_30default_config_static_selectorELNS0_4arch9wavefront6targetE1EEEvT1_
; %bb.0:
	.section	.rodata,"a",@progbits
	.p2align	6, 0x0
	.amdhsa_kernel _ZN7rocprim17ROCPRIM_400000_NS6detail17trampoline_kernelINS0_14default_configENS1_27scan_by_key_config_selectorIifEEZZNS1_16scan_by_key_implILNS1_25lookback_scan_determinismE0ELb0ES3_N6thrust23THRUST_200600_302600_NS6detail15normal_iteratorINS9_10device_ptrIiEEEENSB_INSC_IfEEEESG_fNS9_4plusIvEENS9_8equal_toIvEEfEE10hipError_tPvRmT2_T3_T4_T5_mT6_T7_P12ihipStream_tbENKUlT_T0_E_clISt17integral_constantIbLb1EES11_EEDaSW_SX_EUlSW_E_NS1_11comp_targetILNS1_3genE8ELNS1_11target_archE1030ELNS1_3gpuE2ELNS1_3repE0EEENS1_30default_config_static_selectorELNS0_4arch9wavefront6targetE1EEEvT1_
		.amdhsa_group_segment_fixed_size 0
		.amdhsa_private_segment_fixed_size 0
		.amdhsa_kernarg_size 112
		.amdhsa_user_sgpr_count 2
		.amdhsa_user_sgpr_dispatch_ptr 0
		.amdhsa_user_sgpr_queue_ptr 0
		.amdhsa_user_sgpr_kernarg_segment_ptr 1
		.amdhsa_user_sgpr_dispatch_id 0
		.amdhsa_user_sgpr_kernarg_preload_length 0
		.amdhsa_user_sgpr_kernarg_preload_offset 0
		.amdhsa_user_sgpr_private_segment_size 0
		.amdhsa_uses_dynamic_stack 0
		.amdhsa_enable_private_segment 0
		.amdhsa_system_sgpr_workgroup_id_x 1
		.amdhsa_system_sgpr_workgroup_id_y 0
		.amdhsa_system_sgpr_workgroup_id_z 0
		.amdhsa_system_sgpr_workgroup_info 0
		.amdhsa_system_vgpr_workitem_id 0
		.amdhsa_next_free_vgpr 1
		.amdhsa_next_free_sgpr 0
		.amdhsa_accum_offset 4
		.amdhsa_reserve_vcc 0
		.amdhsa_float_round_mode_32 0
		.amdhsa_float_round_mode_16_64 0
		.amdhsa_float_denorm_mode_32 3
		.amdhsa_float_denorm_mode_16_64 3
		.amdhsa_dx10_clamp 1
		.amdhsa_ieee_mode 1
		.amdhsa_fp16_overflow 0
		.amdhsa_tg_split 0
		.amdhsa_exception_fp_ieee_invalid_op 0
		.amdhsa_exception_fp_denorm_src 0
		.amdhsa_exception_fp_ieee_div_zero 0
		.amdhsa_exception_fp_ieee_overflow 0
		.amdhsa_exception_fp_ieee_underflow 0
		.amdhsa_exception_fp_ieee_inexact 0
		.amdhsa_exception_int_div_zero 0
	.end_amdhsa_kernel
	.section	.text._ZN7rocprim17ROCPRIM_400000_NS6detail17trampoline_kernelINS0_14default_configENS1_27scan_by_key_config_selectorIifEEZZNS1_16scan_by_key_implILNS1_25lookback_scan_determinismE0ELb0ES3_N6thrust23THRUST_200600_302600_NS6detail15normal_iteratorINS9_10device_ptrIiEEEENSB_INSC_IfEEEESG_fNS9_4plusIvEENS9_8equal_toIvEEfEE10hipError_tPvRmT2_T3_T4_T5_mT6_T7_P12ihipStream_tbENKUlT_T0_E_clISt17integral_constantIbLb1EES11_EEDaSW_SX_EUlSW_E_NS1_11comp_targetILNS1_3genE8ELNS1_11target_archE1030ELNS1_3gpuE2ELNS1_3repE0EEENS1_30default_config_static_selectorELNS0_4arch9wavefront6targetE1EEEvT1_,"axG",@progbits,_ZN7rocprim17ROCPRIM_400000_NS6detail17trampoline_kernelINS0_14default_configENS1_27scan_by_key_config_selectorIifEEZZNS1_16scan_by_key_implILNS1_25lookback_scan_determinismE0ELb0ES3_N6thrust23THRUST_200600_302600_NS6detail15normal_iteratorINS9_10device_ptrIiEEEENSB_INSC_IfEEEESG_fNS9_4plusIvEENS9_8equal_toIvEEfEE10hipError_tPvRmT2_T3_T4_T5_mT6_T7_P12ihipStream_tbENKUlT_T0_E_clISt17integral_constantIbLb1EES11_EEDaSW_SX_EUlSW_E_NS1_11comp_targetILNS1_3genE8ELNS1_11target_archE1030ELNS1_3gpuE2ELNS1_3repE0EEENS1_30default_config_static_selectorELNS0_4arch9wavefront6targetE1EEEvT1_,comdat
.Lfunc_end1149:
	.size	_ZN7rocprim17ROCPRIM_400000_NS6detail17trampoline_kernelINS0_14default_configENS1_27scan_by_key_config_selectorIifEEZZNS1_16scan_by_key_implILNS1_25lookback_scan_determinismE0ELb0ES3_N6thrust23THRUST_200600_302600_NS6detail15normal_iteratorINS9_10device_ptrIiEEEENSB_INSC_IfEEEESG_fNS9_4plusIvEENS9_8equal_toIvEEfEE10hipError_tPvRmT2_T3_T4_T5_mT6_T7_P12ihipStream_tbENKUlT_T0_E_clISt17integral_constantIbLb1EES11_EEDaSW_SX_EUlSW_E_NS1_11comp_targetILNS1_3genE8ELNS1_11target_archE1030ELNS1_3gpuE2ELNS1_3repE0EEENS1_30default_config_static_selectorELNS0_4arch9wavefront6targetE1EEEvT1_, .Lfunc_end1149-_ZN7rocprim17ROCPRIM_400000_NS6detail17trampoline_kernelINS0_14default_configENS1_27scan_by_key_config_selectorIifEEZZNS1_16scan_by_key_implILNS1_25lookback_scan_determinismE0ELb0ES3_N6thrust23THRUST_200600_302600_NS6detail15normal_iteratorINS9_10device_ptrIiEEEENSB_INSC_IfEEEESG_fNS9_4plusIvEENS9_8equal_toIvEEfEE10hipError_tPvRmT2_T3_T4_T5_mT6_T7_P12ihipStream_tbENKUlT_T0_E_clISt17integral_constantIbLb1EES11_EEDaSW_SX_EUlSW_E_NS1_11comp_targetILNS1_3genE8ELNS1_11target_archE1030ELNS1_3gpuE2ELNS1_3repE0EEENS1_30default_config_static_selectorELNS0_4arch9wavefront6targetE1EEEvT1_
                                        ; -- End function
	.section	.AMDGPU.csdata,"",@progbits
; Kernel info:
; codeLenInByte = 0
; NumSgprs: 6
; NumVgprs: 0
; NumAgprs: 0
; TotalNumVgprs: 0
; ScratchSize: 0
; MemoryBound: 0
; FloatMode: 240
; IeeeMode: 1
; LDSByteSize: 0 bytes/workgroup (compile time only)
; SGPRBlocks: 0
; VGPRBlocks: 0
; NumSGPRsForWavesPerEU: 6
; NumVGPRsForWavesPerEU: 1
; AccumOffset: 4
; Occupancy: 8
; WaveLimiterHint : 0
; COMPUTE_PGM_RSRC2:SCRATCH_EN: 0
; COMPUTE_PGM_RSRC2:USER_SGPR: 2
; COMPUTE_PGM_RSRC2:TRAP_HANDLER: 0
; COMPUTE_PGM_RSRC2:TGID_X_EN: 1
; COMPUTE_PGM_RSRC2:TGID_Y_EN: 0
; COMPUTE_PGM_RSRC2:TGID_Z_EN: 0
; COMPUTE_PGM_RSRC2:TIDIG_COMP_CNT: 0
; COMPUTE_PGM_RSRC3_GFX90A:ACCUM_OFFSET: 0
; COMPUTE_PGM_RSRC3_GFX90A:TG_SPLIT: 0
	.section	.text._ZN7rocprim17ROCPRIM_400000_NS6detail30init_device_scan_by_key_kernelINS1_19lookback_scan_stateINS0_5tupleIJfbEEELb1ELb1EEEN6thrust23THRUST_200600_302600_NS6detail15normal_iteratorINS8_10device_ptrIiEEEEjNS1_16block_id_wrapperIjLb0EEEEEvT_jjPNSG_10value_typeET0_PNSt15iterator_traitsISJ_E10value_typeEmT1_T2_,"axG",@progbits,_ZN7rocprim17ROCPRIM_400000_NS6detail30init_device_scan_by_key_kernelINS1_19lookback_scan_stateINS0_5tupleIJfbEEELb1ELb1EEEN6thrust23THRUST_200600_302600_NS6detail15normal_iteratorINS8_10device_ptrIiEEEEjNS1_16block_id_wrapperIjLb0EEEEEvT_jjPNSG_10value_typeET0_PNSt15iterator_traitsISJ_E10value_typeEmT1_T2_,comdat
	.protected	_ZN7rocprim17ROCPRIM_400000_NS6detail30init_device_scan_by_key_kernelINS1_19lookback_scan_stateINS0_5tupleIJfbEEELb1ELb1EEEN6thrust23THRUST_200600_302600_NS6detail15normal_iteratorINS8_10device_ptrIiEEEEjNS1_16block_id_wrapperIjLb0EEEEEvT_jjPNSG_10value_typeET0_PNSt15iterator_traitsISJ_E10value_typeEmT1_T2_ ; -- Begin function _ZN7rocprim17ROCPRIM_400000_NS6detail30init_device_scan_by_key_kernelINS1_19lookback_scan_stateINS0_5tupleIJfbEEELb1ELb1EEEN6thrust23THRUST_200600_302600_NS6detail15normal_iteratorINS8_10device_ptrIiEEEEjNS1_16block_id_wrapperIjLb0EEEEEvT_jjPNSG_10value_typeET0_PNSt15iterator_traitsISJ_E10value_typeEmT1_T2_
	.globl	_ZN7rocprim17ROCPRIM_400000_NS6detail30init_device_scan_by_key_kernelINS1_19lookback_scan_stateINS0_5tupleIJfbEEELb1ELb1EEEN6thrust23THRUST_200600_302600_NS6detail15normal_iteratorINS8_10device_ptrIiEEEEjNS1_16block_id_wrapperIjLb0EEEEEvT_jjPNSG_10value_typeET0_PNSt15iterator_traitsISJ_E10value_typeEmT1_T2_
	.p2align	8
	.type	_ZN7rocprim17ROCPRIM_400000_NS6detail30init_device_scan_by_key_kernelINS1_19lookback_scan_stateINS0_5tupleIJfbEEELb1ELb1EEEN6thrust23THRUST_200600_302600_NS6detail15normal_iteratorINS8_10device_ptrIiEEEEjNS1_16block_id_wrapperIjLb0EEEEEvT_jjPNSG_10value_typeET0_PNSt15iterator_traitsISJ_E10value_typeEmT1_T2_,@function
_ZN7rocprim17ROCPRIM_400000_NS6detail30init_device_scan_by_key_kernelINS1_19lookback_scan_stateINS0_5tupleIJfbEEELb1ELb1EEEN6thrust23THRUST_200600_302600_NS6detail15normal_iteratorINS8_10device_ptrIiEEEEjNS1_16block_id_wrapperIjLb0EEEEEvT_jjPNSG_10value_typeET0_PNSt15iterator_traitsISJ_E10value_typeEmT1_T2_: ; @_ZN7rocprim17ROCPRIM_400000_NS6detail30init_device_scan_by_key_kernelINS1_19lookback_scan_stateINS0_5tupleIJfbEEELb1ELb1EEEN6thrust23THRUST_200600_302600_NS6detail15normal_iteratorINS8_10device_ptrIiEEEEjNS1_16block_id_wrapperIjLb0EEEEEvT_jjPNSG_10value_typeET0_PNSt15iterator_traitsISJ_E10value_typeEmT1_T2_
; %bb.0:
	s_load_dword s3, s[0:1], 0x44
	s_load_dwordx8 s[4:11], s[0:1], 0x0
	s_load_dword s18, s[0:1], 0x38
	s_waitcnt lgkmcnt(0)
	s_and_b32 s19, s3, 0xffff
	s_mul_i32 s2, s2, s19
	s_cmp_eq_u64 s[8:9], 0
	v_add_u32_e32 v4, s2, v0
	s_cbranch_scc1 .LBB1150_10
; %bb.1:
	s_cmp_lt_u32 s7, s6
	s_cselect_b32 s2, s7, 0
	s_mov_b32 s13, 0
	v_cmp_eq_u32_e32 vcc, s2, v4
	s_and_saveexec_b64 s[2:3], vcc
	s_cbranch_execz .LBB1150_9
; %bb.2:
	s_add_i32 s12, s7, 64
	s_lshl_b64 s[12:13], s[12:13], 4
	s_add_u32 s16, s4, s12
	s_addc_u32 s17, s5, s13
	v_mov_b64_e32 v[0:1], s[16:17]
	;;#ASMSTART
	global_load_dwordx4 v[0:3], v[0:1] off sc1	
s_waitcnt vmcnt(0)
	;;#ASMEND
	v_mov_b32_e32 v7, 0
	v_and_b32_e32 v6, 0xff, v2
	s_mov_b64 s[14:15], 0
	v_cmp_eq_u64_e32 vcc, 0, v[6:7]
	s_and_saveexec_b64 s[12:13], vcc
	s_cbranch_execz .LBB1150_8
; %bb.3:
	s_mov_b32 s7, 1
	v_mov_b64_e32 v[8:9], s[16:17]
.LBB1150_4:                             ; =>This Loop Header: Depth=1
                                        ;     Child Loop BB1150_5 Depth 2
	s_max_u32 s16, s7, 1
.LBB1150_5:                             ;   Parent Loop BB1150_4 Depth=1
                                        ; =>  This Inner Loop Header: Depth=2
	s_add_i32 s16, s16, -1
	s_cmp_eq_u32 s16, 0
	s_sleep 1
	s_cbranch_scc0 .LBB1150_5
; %bb.6:                                ;   in Loop: Header=BB1150_4 Depth=1
	s_cmp_lt_u32 s7, 32
	s_cselect_b64 s[16:17], -1, 0
	s_cmp_lg_u64 s[16:17], 0
	;;#ASMSTART
	global_load_dwordx4 v[0:3], v[8:9] off sc1	
s_waitcnt vmcnt(0)
	;;#ASMEND
	s_addc_u32 s7, s7, 0
	v_and_b32_e32 v6, 0xff, v2
	v_cmp_ne_u64_e32 vcc, 0, v[6:7]
	s_or_b64 s[14:15], vcc, s[14:15]
	s_andn2_b64 exec, exec, s[14:15]
	s_cbranch_execnz .LBB1150_4
; %bb.7:
	s_or_b64 exec, exec, s[14:15]
.LBB1150_8:
	s_or_b64 exec, exec, s[12:13]
	v_mov_b32_e32 v2, 0
	global_store_dword v2, v0, s[8:9]
	global_store_byte v2, v1, s[8:9] offset:4
.LBB1150_9:
	s_or_b64 exec, exec, s[2:3]
.LBB1150_10:
	v_cmp_gt_u32_e32 vcc, s6, v4
	s_and_saveexec_b64 s[2:3], vcc
	s_cbranch_execz .LBB1150_12
; %bb.11:
	v_add_u32_e32 v0, 64, v4
	v_mov_b32_e32 v1, 0
	v_lshl_add_u64 v[6:7], v[0:1], 4, s[4:5]
	v_mov_b32_e32 v0, v1
	v_mov_b32_e32 v2, v1
	;; [unrolled: 1-line block ×3, first 2 shown]
	global_store_dwordx4 v[6:7], v[0:3], off
.LBB1150_12:
	s_or_b64 exec, exec, s[2:3]
	v_cmp_gt_u32_e32 vcc, 64, v4
	v_mov_b32_e32 v5, 0
	s_and_saveexec_b64 s[2:3], vcc
	s_cbranch_execz .LBB1150_14
; %bb.13:
	v_lshl_add_u64 v[6:7], v[4:5], 4, s[4:5]
	v_mov_b32_e32 v2, 0xff
	v_mov_b32_e32 v0, v5
	;; [unrolled: 1-line block ×4, first 2 shown]
	global_store_dwordx4 v[6:7], v[0:3], off
.LBB1150_14:
	s_or_b64 exec, exec, s[2:3]
	s_load_dwordx2 s[2:3], s[0:1], 0x28
	s_waitcnt lgkmcnt(0)
	v_cmp_gt_u64_e32 vcc, s[2:3], v[4:5]
	s_and_saveexec_b64 s[4:5], vcc
	s_cbranch_execz .LBB1150_17
; %bb.15:
	s_load_dword s12, s[0:1], 0x30
	s_load_dwordx2 s[6:7], s[0:1], 0x20
	s_mov_b32 s5, 0
	s_mov_b32 s1, s5
	s_mul_i32 s0, s18, s19
	s_waitcnt lgkmcnt(0)
	s_add_i32 s4, s12, -1
	s_lshl_b64 s[4:5], s[4:5], 2
	s_add_u32 s4, s10, s4
	v_mad_u64_u32 v[0:1], s[8:9], s12, v4, 0
	s_addc_u32 s5, s11, s5
	v_lshl_add_u64 v[0:1], v[0:1], 2, s[4:5]
	s_mul_hi_u32 s5, s12, s0
	s_mul_i32 s4, s12, s0
	s_lshl_b64 s[4:5], s[4:5], 2
	v_lshl_add_u64 v[2:3], v[4:5], 2, s[6:7]
	s_lshl_b64 s[6:7], s[0:1], 2
	s_mov_b64 s[8:9], 0
.LBB1150_16:                            ; =>This Inner Loop Header: Depth=1
	global_load_dword v6, v[0:1], off
	v_lshl_add_u64 v[4:5], v[4:5], 0, s[0:1]
	v_cmp_le_u64_e32 vcc, s[2:3], v[4:5]
	v_lshl_add_u64 v[0:1], v[0:1], 0, s[4:5]
	s_or_b64 s[8:9], vcc, s[8:9]
	s_waitcnt vmcnt(0)
	global_store_dword v[2:3], v6, off
	v_lshl_add_u64 v[2:3], v[2:3], 0, s[6:7]
	s_andn2_b64 exec, exec, s[8:9]
	s_cbranch_execnz .LBB1150_16
.LBB1150_17:
	s_endpgm
	.section	.rodata,"a",@progbits
	.p2align	6, 0x0
	.amdhsa_kernel _ZN7rocprim17ROCPRIM_400000_NS6detail30init_device_scan_by_key_kernelINS1_19lookback_scan_stateINS0_5tupleIJfbEEELb1ELb1EEEN6thrust23THRUST_200600_302600_NS6detail15normal_iteratorINS8_10device_ptrIiEEEEjNS1_16block_id_wrapperIjLb0EEEEEvT_jjPNSG_10value_typeET0_PNSt15iterator_traitsISJ_E10value_typeEmT1_T2_
		.amdhsa_group_segment_fixed_size 0
		.amdhsa_private_segment_fixed_size 0
		.amdhsa_kernarg_size 312
		.amdhsa_user_sgpr_count 2
		.amdhsa_user_sgpr_dispatch_ptr 0
		.amdhsa_user_sgpr_queue_ptr 0
		.amdhsa_user_sgpr_kernarg_segment_ptr 1
		.amdhsa_user_sgpr_dispatch_id 0
		.amdhsa_user_sgpr_kernarg_preload_length 0
		.amdhsa_user_sgpr_kernarg_preload_offset 0
		.amdhsa_user_sgpr_private_segment_size 0
		.amdhsa_uses_dynamic_stack 0
		.amdhsa_enable_private_segment 0
		.amdhsa_system_sgpr_workgroup_id_x 1
		.amdhsa_system_sgpr_workgroup_id_y 0
		.amdhsa_system_sgpr_workgroup_id_z 0
		.amdhsa_system_sgpr_workgroup_info 0
		.amdhsa_system_vgpr_workitem_id 0
		.amdhsa_next_free_vgpr 10
		.amdhsa_next_free_sgpr 20
		.amdhsa_accum_offset 12
		.amdhsa_reserve_vcc 1
		.amdhsa_float_round_mode_32 0
		.amdhsa_float_round_mode_16_64 0
		.amdhsa_float_denorm_mode_32 3
		.amdhsa_float_denorm_mode_16_64 3
		.amdhsa_dx10_clamp 1
		.amdhsa_ieee_mode 1
		.amdhsa_fp16_overflow 0
		.amdhsa_tg_split 0
		.amdhsa_exception_fp_ieee_invalid_op 0
		.amdhsa_exception_fp_denorm_src 0
		.amdhsa_exception_fp_ieee_div_zero 0
		.amdhsa_exception_fp_ieee_overflow 0
		.amdhsa_exception_fp_ieee_underflow 0
		.amdhsa_exception_fp_ieee_inexact 0
		.amdhsa_exception_int_div_zero 0
	.end_amdhsa_kernel
	.section	.text._ZN7rocprim17ROCPRIM_400000_NS6detail30init_device_scan_by_key_kernelINS1_19lookback_scan_stateINS0_5tupleIJfbEEELb1ELb1EEEN6thrust23THRUST_200600_302600_NS6detail15normal_iteratorINS8_10device_ptrIiEEEEjNS1_16block_id_wrapperIjLb0EEEEEvT_jjPNSG_10value_typeET0_PNSt15iterator_traitsISJ_E10value_typeEmT1_T2_,"axG",@progbits,_ZN7rocprim17ROCPRIM_400000_NS6detail30init_device_scan_by_key_kernelINS1_19lookback_scan_stateINS0_5tupleIJfbEEELb1ELb1EEEN6thrust23THRUST_200600_302600_NS6detail15normal_iteratorINS8_10device_ptrIiEEEEjNS1_16block_id_wrapperIjLb0EEEEEvT_jjPNSG_10value_typeET0_PNSt15iterator_traitsISJ_E10value_typeEmT1_T2_,comdat
.Lfunc_end1150:
	.size	_ZN7rocprim17ROCPRIM_400000_NS6detail30init_device_scan_by_key_kernelINS1_19lookback_scan_stateINS0_5tupleIJfbEEELb1ELb1EEEN6thrust23THRUST_200600_302600_NS6detail15normal_iteratorINS8_10device_ptrIiEEEEjNS1_16block_id_wrapperIjLb0EEEEEvT_jjPNSG_10value_typeET0_PNSt15iterator_traitsISJ_E10value_typeEmT1_T2_, .Lfunc_end1150-_ZN7rocprim17ROCPRIM_400000_NS6detail30init_device_scan_by_key_kernelINS1_19lookback_scan_stateINS0_5tupleIJfbEEELb1ELb1EEEN6thrust23THRUST_200600_302600_NS6detail15normal_iteratorINS8_10device_ptrIiEEEEjNS1_16block_id_wrapperIjLb0EEEEEvT_jjPNSG_10value_typeET0_PNSt15iterator_traitsISJ_E10value_typeEmT1_T2_
                                        ; -- End function
	.section	.AMDGPU.csdata,"",@progbits
; Kernel info:
; codeLenInByte = 544
; NumSgprs: 26
; NumVgprs: 10
; NumAgprs: 0
; TotalNumVgprs: 10
; ScratchSize: 0
; MemoryBound: 0
; FloatMode: 240
; IeeeMode: 1
; LDSByteSize: 0 bytes/workgroup (compile time only)
; SGPRBlocks: 3
; VGPRBlocks: 1
; NumSGPRsForWavesPerEU: 26
; NumVGPRsForWavesPerEU: 10
; AccumOffset: 12
; Occupancy: 8
; WaveLimiterHint : 0
; COMPUTE_PGM_RSRC2:SCRATCH_EN: 0
; COMPUTE_PGM_RSRC2:USER_SGPR: 2
; COMPUTE_PGM_RSRC2:TRAP_HANDLER: 0
; COMPUTE_PGM_RSRC2:TGID_X_EN: 1
; COMPUTE_PGM_RSRC2:TGID_Y_EN: 0
; COMPUTE_PGM_RSRC2:TGID_Z_EN: 0
; COMPUTE_PGM_RSRC2:TIDIG_COMP_CNT: 0
; COMPUTE_PGM_RSRC3_GFX90A:ACCUM_OFFSET: 2
; COMPUTE_PGM_RSRC3_GFX90A:TG_SPLIT: 0
	.section	.text._ZN7rocprim17ROCPRIM_400000_NS6detail30init_device_scan_by_key_kernelINS1_19lookback_scan_stateINS0_5tupleIJfbEEELb1ELb1EEENS1_16block_id_wrapperIjLb0EEEEEvT_jjPNS9_10value_typeET0_,"axG",@progbits,_ZN7rocprim17ROCPRIM_400000_NS6detail30init_device_scan_by_key_kernelINS1_19lookback_scan_stateINS0_5tupleIJfbEEELb1ELb1EEENS1_16block_id_wrapperIjLb0EEEEEvT_jjPNS9_10value_typeET0_,comdat
	.protected	_ZN7rocprim17ROCPRIM_400000_NS6detail30init_device_scan_by_key_kernelINS1_19lookback_scan_stateINS0_5tupleIJfbEEELb1ELb1EEENS1_16block_id_wrapperIjLb0EEEEEvT_jjPNS9_10value_typeET0_ ; -- Begin function _ZN7rocprim17ROCPRIM_400000_NS6detail30init_device_scan_by_key_kernelINS1_19lookback_scan_stateINS0_5tupleIJfbEEELb1ELb1EEENS1_16block_id_wrapperIjLb0EEEEEvT_jjPNS9_10value_typeET0_
	.globl	_ZN7rocprim17ROCPRIM_400000_NS6detail30init_device_scan_by_key_kernelINS1_19lookback_scan_stateINS0_5tupleIJfbEEELb1ELb1EEENS1_16block_id_wrapperIjLb0EEEEEvT_jjPNS9_10value_typeET0_
	.p2align	8
	.type	_ZN7rocprim17ROCPRIM_400000_NS6detail30init_device_scan_by_key_kernelINS1_19lookback_scan_stateINS0_5tupleIJfbEEELb1ELb1EEENS1_16block_id_wrapperIjLb0EEEEEvT_jjPNS9_10value_typeET0_,@function
_ZN7rocprim17ROCPRIM_400000_NS6detail30init_device_scan_by_key_kernelINS1_19lookback_scan_stateINS0_5tupleIJfbEEELb1ELb1EEENS1_16block_id_wrapperIjLb0EEEEEvT_jjPNS9_10value_typeET0_: ; @_ZN7rocprim17ROCPRIM_400000_NS6detail30init_device_scan_by_key_kernelINS1_19lookback_scan_stateINS0_5tupleIJfbEEELb1ELb1EEENS1_16block_id_wrapperIjLb0EEEEEvT_jjPNS9_10value_typeET0_
; %bb.0:
	s_load_dword s3, s[0:1], 0x2c
	s_load_dwordx2 s[8:9], s[0:1], 0x10
	s_load_dwordx4 s[4:7], s[0:1], 0x0
	s_waitcnt lgkmcnt(0)
	s_and_b32 s0, s3, 0xffff
	s_mul_i32 s2, s2, s0
	s_cmp_eq_u64 s[8:9], 0
	v_add_u32_e32 v0, s2, v0
	s_cbranch_scc1 .LBB1151_10
; %bb.1:
	s_cmp_lt_u32 s7, s6
	s_cselect_b32 s0, s7, 0
	s_mov_b32 s3, 0
	v_cmp_eq_u32_e32 vcc, s0, v0
	s_and_saveexec_b64 s[0:1], vcc
	s_cbranch_execz .LBB1151_9
; %bb.2:
	s_add_i32 s2, s7, 64
	s_lshl_b64 s[2:3], s[2:3], 4
	s_add_u32 s12, s4, s2
	s_addc_u32 s13, s5, s3
	v_mov_b64_e32 v[2:3], s[12:13]
	;;#ASMSTART
	global_load_dwordx4 v[2:5], v[2:3] off sc1	
s_waitcnt vmcnt(0)
	;;#ASMEND
	v_mov_b32_e32 v7, 0
	v_and_b32_e32 v6, 0xff, v4
	s_mov_b64 s[10:11], 0
	v_cmp_eq_u64_e32 vcc, 0, v[6:7]
	s_and_saveexec_b64 s[2:3], vcc
	s_cbranch_execz .LBB1151_8
; %bb.3:
	s_mov_b32 s7, 1
	v_mov_b64_e32 v[8:9], s[12:13]
.LBB1151_4:                             ; =>This Loop Header: Depth=1
                                        ;     Child Loop BB1151_5 Depth 2
	s_max_u32 s12, s7, 1
.LBB1151_5:                             ;   Parent Loop BB1151_4 Depth=1
                                        ; =>  This Inner Loop Header: Depth=2
	s_add_i32 s12, s12, -1
	s_cmp_eq_u32 s12, 0
	s_sleep 1
	s_cbranch_scc0 .LBB1151_5
; %bb.6:                                ;   in Loop: Header=BB1151_4 Depth=1
	s_cmp_lt_u32 s7, 32
	s_cselect_b64 s[12:13], -1, 0
	s_cmp_lg_u64 s[12:13], 0
	;;#ASMSTART
	global_load_dwordx4 v[2:5], v[8:9] off sc1	
s_waitcnt vmcnt(0)
	;;#ASMEND
	s_addc_u32 s7, s7, 0
	v_and_b32_e32 v6, 0xff, v4
	v_cmp_ne_u64_e32 vcc, 0, v[6:7]
	s_or_b64 s[10:11], vcc, s[10:11]
	s_andn2_b64 exec, exec, s[10:11]
	s_cbranch_execnz .LBB1151_4
; %bb.7:
	s_or_b64 exec, exec, s[10:11]
.LBB1151_8:
	s_or_b64 exec, exec, s[2:3]
	v_mov_b32_e32 v1, 0
	global_store_dword v1, v2, s[8:9]
	global_store_byte v1, v3, s[8:9] offset:4
.LBB1151_9:
	s_or_b64 exec, exec, s[0:1]
.LBB1151_10:
	v_cmp_gt_u32_e32 vcc, s6, v0
	s_and_saveexec_b64 s[0:1], vcc
	s_cbranch_execnz .LBB1151_13
; %bb.11:
	s_or_b64 exec, exec, s[0:1]
	v_cmp_gt_u32_e32 vcc, 64, v0
	s_and_saveexec_b64 s[0:1], vcc
	s_cbranch_execnz .LBB1151_14
.LBB1151_12:
	s_endpgm
.LBB1151_13:
	v_add_u32_e32 v2, 64, v0
	v_mov_b32_e32 v3, 0
	v_lshl_add_u64 v[6:7], v[2:3], 4, s[4:5]
	v_mov_b32_e32 v2, v3
	v_mov_b32_e32 v4, v3
	;; [unrolled: 1-line block ×3, first 2 shown]
	global_store_dwordx4 v[6:7], v[2:5], off
	s_or_b64 exec, exec, s[0:1]
	v_cmp_gt_u32_e32 vcc, 64, v0
	s_and_saveexec_b64 s[0:1], vcc
	s_cbranch_execz .LBB1151_12
.LBB1151_14:
	v_mov_b32_e32 v1, 0
	v_lshl_add_u64 v[4:5], v[0:1], 4, s[4:5]
	v_mov_b32_e32 v2, 0xff
	v_mov_b32_e32 v0, v1
	;; [unrolled: 1-line block ×3, first 2 shown]
	global_store_dwordx4 v[4:5], v[0:3], off
	s_endpgm
	.section	.rodata,"a",@progbits
	.p2align	6, 0x0
	.amdhsa_kernel _ZN7rocprim17ROCPRIM_400000_NS6detail30init_device_scan_by_key_kernelINS1_19lookback_scan_stateINS0_5tupleIJfbEEELb1ELb1EEENS1_16block_id_wrapperIjLb0EEEEEvT_jjPNS9_10value_typeET0_
		.amdhsa_group_segment_fixed_size 0
		.amdhsa_private_segment_fixed_size 0
		.amdhsa_kernarg_size 288
		.amdhsa_user_sgpr_count 2
		.amdhsa_user_sgpr_dispatch_ptr 0
		.amdhsa_user_sgpr_queue_ptr 0
		.amdhsa_user_sgpr_kernarg_segment_ptr 1
		.amdhsa_user_sgpr_dispatch_id 0
		.amdhsa_user_sgpr_kernarg_preload_length 0
		.amdhsa_user_sgpr_kernarg_preload_offset 0
		.amdhsa_user_sgpr_private_segment_size 0
		.amdhsa_uses_dynamic_stack 0
		.amdhsa_enable_private_segment 0
		.amdhsa_system_sgpr_workgroup_id_x 1
		.amdhsa_system_sgpr_workgroup_id_y 0
		.amdhsa_system_sgpr_workgroup_id_z 0
		.amdhsa_system_sgpr_workgroup_info 0
		.amdhsa_system_vgpr_workitem_id 0
		.amdhsa_next_free_vgpr 10
		.amdhsa_next_free_sgpr 14
		.amdhsa_accum_offset 12
		.amdhsa_reserve_vcc 1
		.amdhsa_float_round_mode_32 0
		.amdhsa_float_round_mode_16_64 0
		.amdhsa_float_denorm_mode_32 3
		.amdhsa_float_denorm_mode_16_64 3
		.amdhsa_dx10_clamp 1
		.amdhsa_ieee_mode 1
		.amdhsa_fp16_overflow 0
		.amdhsa_tg_split 0
		.amdhsa_exception_fp_ieee_invalid_op 0
		.amdhsa_exception_fp_denorm_src 0
		.amdhsa_exception_fp_ieee_div_zero 0
		.amdhsa_exception_fp_ieee_overflow 0
		.amdhsa_exception_fp_ieee_underflow 0
		.amdhsa_exception_fp_ieee_inexact 0
		.amdhsa_exception_int_div_zero 0
	.end_amdhsa_kernel
	.section	.text._ZN7rocprim17ROCPRIM_400000_NS6detail30init_device_scan_by_key_kernelINS1_19lookback_scan_stateINS0_5tupleIJfbEEELb1ELb1EEENS1_16block_id_wrapperIjLb0EEEEEvT_jjPNS9_10value_typeET0_,"axG",@progbits,_ZN7rocprim17ROCPRIM_400000_NS6detail30init_device_scan_by_key_kernelINS1_19lookback_scan_stateINS0_5tupleIJfbEEELb1ELb1EEENS1_16block_id_wrapperIjLb0EEEEEvT_jjPNS9_10value_typeET0_,comdat
.Lfunc_end1151:
	.size	_ZN7rocprim17ROCPRIM_400000_NS6detail30init_device_scan_by_key_kernelINS1_19lookback_scan_stateINS0_5tupleIJfbEEELb1ELb1EEENS1_16block_id_wrapperIjLb0EEEEEvT_jjPNS9_10value_typeET0_, .Lfunc_end1151-_ZN7rocprim17ROCPRIM_400000_NS6detail30init_device_scan_by_key_kernelINS1_19lookback_scan_stateINS0_5tupleIJfbEEELb1ELb1EEENS1_16block_id_wrapperIjLb0EEEEEvT_jjPNS9_10value_typeET0_
                                        ; -- End function
	.section	.AMDGPU.csdata,"",@progbits
; Kernel info:
; codeLenInByte = 380
; NumSgprs: 20
; NumVgprs: 10
; NumAgprs: 0
; TotalNumVgprs: 10
; ScratchSize: 0
; MemoryBound: 0
; FloatMode: 240
; IeeeMode: 1
; LDSByteSize: 0 bytes/workgroup (compile time only)
; SGPRBlocks: 2
; VGPRBlocks: 1
; NumSGPRsForWavesPerEU: 20
; NumVGPRsForWavesPerEU: 10
; AccumOffset: 12
; Occupancy: 8
; WaveLimiterHint : 0
; COMPUTE_PGM_RSRC2:SCRATCH_EN: 0
; COMPUTE_PGM_RSRC2:USER_SGPR: 2
; COMPUTE_PGM_RSRC2:TRAP_HANDLER: 0
; COMPUTE_PGM_RSRC2:TGID_X_EN: 1
; COMPUTE_PGM_RSRC2:TGID_Y_EN: 0
; COMPUTE_PGM_RSRC2:TGID_Z_EN: 0
; COMPUTE_PGM_RSRC2:TIDIG_COMP_CNT: 0
; COMPUTE_PGM_RSRC3_GFX90A:ACCUM_OFFSET: 2
; COMPUTE_PGM_RSRC3_GFX90A:TG_SPLIT: 0
	.section	.text._ZN7rocprim17ROCPRIM_400000_NS6detail17trampoline_kernelINS0_14default_configENS1_27scan_by_key_config_selectorIifEEZZNS1_16scan_by_key_implILNS1_25lookback_scan_determinismE0ELb0ES3_N6thrust23THRUST_200600_302600_NS6detail15normal_iteratorINS9_10device_ptrIiEEEENSB_INSC_IfEEEESG_fNS9_4plusIvEENS9_8equal_toIvEEfEE10hipError_tPvRmT2_T3_T4_T5_mT6_T7_P12ihipStream_tbENKUlT_T0_E_clISt17integral_constantIbLb1EES10_IbLb0EEEEDaSW_SX_EUlSW_E_NS1_11comp_targetILNS1_3genE0ELNS1_11target_archE4294967295ELNS1_3gpuE0ELNS1_3repE0EEENS1_30default_config_static_selectorELNS0_4arch9wavefront6targetE1EEEvT1_,"axG",@progbits,_ZN7rocprim17ROCPRIM_400000_NS6detail17trampoline_kernelINS0_14default_configENS1_27scan_by_key_config_selectorIifEEZZNS1_16scan_by_key_implILNS1_25lookback_scan_determinismE0ELb0ES3_N6thrust23THRUST_200600_302600_NS6detail15normal_iteratorINS9_10device_ptrIiEEEENSB_INSC_IfEEEESG_fNS9_4plusIvEENS9_8equal_toIvEEfEE10hipError_tPvRmT2_T3_T4_T5_mT6_T7_P12ihipStream_tbENKUlT_T0_E_clISt17integral_constantIbLb1EES10_IbLb0EEEEDaSW_SX_EUlSW_E_NS1_11comp_targetILNS1_3genE0ELNS1_11target_archE4294967295ELNS1_3gpuE0ELNS1_3repE0EEENS1_30default_config_static_selectorELNS0_4arch9wavefront6targetE1EEEvT1_,comdat
	.protected	_ZN7rocprim17ROCPRIM_400000_NS6detail17trampoline_kernelINS0_14default_configENS1_27scan_by_key_config_selectorIifEEZZNS1_16scan_by_key_implILNS1_25lookback_scan_determinismE0ELb0ES3_N6thrust23THRUST_200600_302600_NS6detail15normal_iteratorINS9_10device_ptrIiEEEENSB_INSC_IfEEEESG_fNS9_4plusIvEENS9_8equal_toIvEEfEE10hipError_tPvRmT2_T3_T4_T5_mT6_T7_P12ihipStream_tbENKUlT_T0_E_clISt17integral_constantIbLb1EES10_IbLb0EEEEDaSW_SX_EUlSW_E_NS1_11comp_targetILNS1_3genE0ELNS1_11target_archE4294967295ELNS1_3gpuE0ELNS1_3repE0EEENS1_30default_config_static_selectorELNS0_4arch9wavefront6targetE1EEEvT1_ ; -- Begin function _ZN7rocprim17ROCPRIM_400000_NS6detail17trampoline_kernelINS0_14default_configENS1_27scan_by_key_config_selectorIifEEZZNS1_16scan_by_key_implILNS1_25lookback_scan_determinismE0ELb0ES3_N6thrust23THRUST_200600_302600_NS6detail15normal_iteratorINS9_10device_ptrIiEEEENSB_INSC_IfEEEESG_fNS9_4plusIvEENS9_8equal_toIvEEfEE10hipError_tPvRmT2_T3_T4_T5_mT6_T7_P12ihipStream_tbENKUlT_T0_E_clISt17integral_constantIbLb1EES10_IbLb0EEEEDaSW_SX_EUlSW_E_NS1_11comp_targetILNS1_3genE0ELNS1_11target_archE4294967295ELNS1_3gpuE0ELNS1_3repE0EEENS1_30default_config_static_selectorELNS0_4arch9wavefront6targetE1EEEvT1_
	.globl	_ZN7rocprim17ROCPRIM_400000_NS6detail17trampoline_kernelINS0_14default_configENS1_27scan_by_key_config_selectorIifEEZZNS1_16scan_by_key_implILNS1_25lookback_scan_determinismE0ELb0ES3_N6thrust23THRUST_200600_302600_NS6detail15normal_iteratorINS9_10device_ptrIiEEEENSB_INSC_IfEEEESG_fNS9_4plusIvEENS9_8equal_toIvEEfEE10hipError_tPvRmT2_T3_T4_T5_mT6_T7_P12ihipStream_tbENKUlT_T0_E_clISt17integral_constantIbLb1EES10_IbLb0EEEEDaSW_SX_EUlSW_E_NS1_11comp_targetILNS1_3genE0ELNS1_11target_archE4294967295ELNS1_3gpuE0ELNS1_3repE0EEENS1_30default_config_static_selectorELNS0_4arch9wavefront6targetE1EEEvT1_
	.p2align	8
	.type	_ZN7rocprim17ROCPRIM_400000_NS6detail17trampoline_kernelINS0_14default_configENS1_27scan_by_key_config_selectorIifEEZZNS1_16scan_by_key_implILNS1_25lookback_scan_determinismE0ELb0ES3_N6thrust23THRUST_200600_302600_NS6detail15normal_iteratorINS9_10device_ptrIiEEEENSB_INSC_IfEEEESG_fNS9_4plusIvEENS9_8equal_toIvEEfEE10hipError_tPvRmT2_T3_T4_T5_mT6_T7_P12ihipStream_tbENKUlT_T0_E_clISt17integral_constantIbLb1EES10_IbLb0EEEEDaSW_SX_EUlSW_E_NS1_11comp_targetILNS1_3genE0ELNS1_11target_archE4294967295ELNS1_3gpuE0ELNS1_3repE0EEENS1_30default_config_static_selectorELNS0_4arch9wavefront6targetE1EEEvT1_,@function
_ZN7rocprim17ROCPRIM_400000_NS6detail17trampoline_kernelINS0_14default_configENS1_27scan_by_key_config_selectorIifEEZZNS1_16scan_by_key_implILNS1_25lookback_scan_determinismE0ELb0ES3_N6thrust23THRUST_200600_302600_NS6detail15normal_iteratorINS9_10device_ptrIiEEEENSB_INSC_IfEEEESG_fNS9_4plusIvEENS9_8equal_toIvEEfEE10hipError_tPvRmT2_T3_T4_T5_mT6_T7_P12ihipStream_tbENKUlT_T0_E_clISt17integral_constantIbLb1EES10_IbLb0EEEEDaSW_SX_EUlSW_E_NS1_11comp_targetILNS1_3genE0ELNS1_11target_archE4294967295ELNS1_3gpuE0ELNS1_3repE0EEENS1_30default_config_static_selectorELNS0_4arch9wavefront6targetE1EEEvT1_: ; @_ZN7rocprim17ROCPRIM_400000_NS6detail17trampoline_kernelINS0_14default_configENS1_27scan_by_key_config_selectorIifEEZZNS1_16scan_by_key_implILNS1_25lookback_scan_determinismE0ELb0ES3_N6thrust23THRUST_200600_302600_NS6detail15normal_iteratorINS9_10device_ptrIiEEEENSB_INSC_IfEEEESG_fNS9_4plusIvEENS9_8equal_toIvEEfEE10hipError_tPvRmT2_T3_T4_T5_mT6_T7_P12ihipStream_tbENKUlT_T0_E_clISt17integral_constantIbLb1EES10_IbLb0EEEEDaSW_SX_EUlSW_E_NS1_11comp_targetILNS1_3genE0ELNS1_11target_archE4294967295ELNS1_3gpuE0ELNS1_3repE0EEENS1_30default_config_static_selectorELNS0_4arch9wavefront6targetE1EEEvT1_
; %bb.0:
	.section	.rodata,"a",@progbits
	.p2align	6, 0x0
	.amdhsa_kernel _ZN7rocprim17ROCPRIM_400000_NS6detail17trampoline_kernelINS0_14default_configENS1_27scan_by_key_config_selectorIifEEZZNS1_16scan_by_key_implILNS1_25lookback_scan_determinismE0ELb0ES3_N6thrust23THRUST_200600_302600_NS6detail15normal_iteratorINS9_10device_ptrIiEEEENSB_INSC_IfEEEESG_fNS9_4plusIvEENS9_8equal_toIvEEfEE10hipError_tPvRmT2_T3_T4_T5_mT6_T7_P12ihipStream_tbENKUlT_T0_E_clISt17integral_constantIbLb1EES10_IbLb0EEEEDaSW_SX_EUlSW_E_NS1_11comp_targetILNS1_3genE0ELNS1_11target_archE4294967295ELNS1_3gpuE0ELNS1_3repE0EEENS1_30default_config_static_selectorELNS0_4arch9wavefront6targetE1EEEvT1_
		.amdhsa_group_segment_fixed_size 0
		.amdhsa_private_segment_fixed_size 0
		.amdhsa_kernarg_size 112
		.amdhsa_user_sgpr_count 2
		.amdhsa_user_sgpr_dispatch_ptr 0
		.amdhsa_user_sgpr_queue_ptr 0
		.amdhsa_user_sgpr_kernarg_segment_ptr 1
		.amdhsa_user_sgpr_dispatch_id 0
		.amdhsa_user_sgpr_kernarg_preload_length 0
		.amdhsa_user_sgpr_kernarg_preload_offset 0
		.amdhsa_user_sgpr_private_segment_size 0
		.amdhsa_uses_dynamic_stack 0
		.amdhsa_enable_private_segment 0
		.amdhsa_system_sgpr_workgroup_id_x 1
		.amdhsa_system_sgpr_workgroup_id_y 0
		.amdhsa_system_sgpr_workgroup_id_z 0
		.amdhsa_system_sgpr_workgroup_info 0
		.amdhsa_system_vgpr_workitem_id 0
		.amdhsa_next_free_vgpr 1
		.amdhsa_next_free_sgpr 0
		.amdhsa_accum_offset 4
		.amdhsa_reserve_vcc 0
		.amdhsa_float_round_mode_32 0
		.amdhsa_float_round_mode_16_64 0
		.amdhsa_float_denorm_mode_32 3
		.amdhsa_float_denorm_mode_16_64 3
		.amdhsa_dx10_clamp 1
		.amdhsa_ieee_mode 1
		.amdhsa_fp16_overflow 0
		.amdhsa_tg_split 0
		.amdhsa_exception_fp_ieee_invalid_op 0
		.amdhsa_exception_fp_denorm_src 0
		.amdhsa_exception_fp_ieee_div_zero 0
		.amdhsa_exception_fp_ieee_overflow 0
		.amdhsa_exception_fp_ieee_underflow 0
		.amdhsa_exception_fp_ieee_inexact 0
		.amdhsa_exception_int_div_zero 0
	.end_amdhsa_kernel
	.section	.text._ZN7rocprim17ROCPRIM_400000_NS6detail17trampoline_kernelINS0_14default_configENS1_27scan_by_key_config_selectorIifEEZZNS1_16scan_by_key_implILNS1_25lookback_scan_determinismE0ELb0ES3_N6thrust23THRUST_200600_302600_NS6detail15normal_iteratorINS9_10device_ptrIiEEEENSB_INSC_IfEEEESG_fNS9_4plusIvEENS9_8equal_toIvEEfEE10hipError_tPvRmT2_T3_T4_T5_mT6_T7_P12ihipStream_tbENKUlT_T0_E_clISt17integral_constantIbLb1EES10_IbLb0EEEEDaSW_SX_EUlSW_E_NS1_11comp_targetILNS1_3genE0ELNS1_11target_archE4294967295ELNS1_3gpuE0ELNS1_3repE0EEENS1_30default_config_static_selectorELNS0_4arch9wavefront6targetE1EEEvT1_,"axG",@progbits,_ZN7rocprim17ROCPRIM_400000_NS6detail17trampoline_kernelINS0_14default_configENS1_27scan_by_key_config_selectorIifEEZZNS1_16scan_by_key_implILNS1_25lookback_scan_determinismE0ELb0ES3_N6thrust23THRUST_200600_302600_NS6detail15normal_iteratorINS9_10device_ptrIiEEEENSB_INSC_IfEEEESG_fNS9_4plusIvEENS9_8equal_toIvEEfEE10hipError_tPvRmT2_T3_T4_T5_mT6_T7_P12ihipStream_tbENKUlT_T0_E_clISt17integral_constantIbLb1EES10_IbLb0EEEEDaSW_SX_EUlSW_E_NS1_11comp_targetILNS1_3genE0ELNS1_11target_archE4294967295ELNS1_3gpuE0ELNS1_3repE0EEENS1_30default_config_static_selectorELNS0_4arch9wavefront6targetE1EEEvT1_,comdat
.Lfunc_end1152:
	.size	_ZN7rocprim17ROCPRIM_400000_NS6detail17trampoline_kernelINS0_14default_configENS1_27scan_by_key_config_selectorIifEEZZNS1_16scan_by_key_implILNS1_25lookback_scan_determinismE0ELb0ES3_N6thrust23THRUST_200600_302600_NS6detail15normal_iteratorINS9_10device_ptrIiEEEENSB_INSC_IfEEEESG_fNS9_4plusIvEENS9_8equal_toIvEEfEE10hipError_tPvRmT2_T3_T4_T5_mT6_T7_P12ihipStream_tbENKUlT_T0_E_clISt17integral_constantIbLb1EES10_IbLb0EEEEDaSW_SX_EUlSW_E_NS1_11comp_targetILNS1_3genE0ELNS1_11target_archE4294967295ELNS1_3gpuE0ELNS1_3repE0EEENS1_30default_config_static_selectorELNS0_4arch9wavefront6targetE1EEEvT1_, .Lfunc_end1152-_ZN7rocprim17ROCPRIM_400000_NS6detail17trampoline_kernelINS0_14default_configENS1_27scan_by_key_config_selectorIifEEZZNS1_16scan_by_key_implILNS1_25lookback_scan_determinismE0ELb0ES3_N6thrust23THRUST_200600_302600_NS6detail15normal_iteratorINS9_10device_ptrIiEEEENSB_INSC_IfEEEESG_fNS9_4plusIvEENS9_8equal_toIvEEfEE10hipError_tPvRmT2_T3_T4_T5_mT6_T7_P12ihipStream_tbENKUlT_T0_E_clISt17integral_constantIbLb1EES10_IbLb0EEEEDaSW_SX_EUlSW_E_NS1_11comp_targetILNS1_3genE0ELNS1_11target_archE4294967295ELNS1_3gpuE0ELNS1_3repE0EEENS1_30default_config_static_selectorELNS0_4arch9wavefront6targetE1EEEvT1_
                                        ; -- End function
	.section	.AMDGPU.csdata,"",@progbits
; Kernel info:
; codeLenInByte = 0
; NumSgprs: 6
; NumVgprs: 0
; NumAgprs: 0
; TotalNumVgprs: 0
; ScratchSize: 0
; MemoryBound: 0
; FloatMode: 240
; IeeeMode: 1
; LDSByteSize: 0 bytes/workgroup (compile time only)
; SGPRBlocks: 0
; VGPRBlocks: 0
; NumSGPRsForWavesPerEU: 6
; NumVGPRsForWavesPerEU: 1
; AccumOffset: 4
; Occupancy: 8
; WaveLimiterHint : 0
; COMPUTE_PGM_RSRC2:SCRATCH_EN: 0
; COMPUTE_PGM_RSRC2:USER_SGPR: 2
; COMPUTE_PGM_RSRC2:TRAP_HANDLER: 0
; COMPUTE_PGM_RSRC2:TGID_X_EN: 1
; COMPUTE_PGM_RSRC2:TGID_Y_EN: 0
; COMPUTE_PGM_RSRC2:TGID_Z_EN: 0
; COMPUTE_PGM_RSRC2:TIDIG_COMP_CNT: 0
; COMPUTE_PGM_RSRC3_GFX90A:ACCUM_OFFSET: 0
; COMPUTE_PGM_RSRC3_GFX90A:TG_SPLIT: 0
	.section	.text._ZN7rocprim17ROCPRIM_400000_NS6detail17trampoline_kernelINS0_14default_configENS1_27scan_by_key_config_selectorIifEEZZNS1_16scan_by_key_implILNS1_25lookback_scan_determinismE0ELb0ES3_N6thrust23THRUST_200600_302600_NS6detail15normal_iteratorINS9_10device_ptrIiEEEENSB_INSC_IfEEEESG_fNS9_4plusIvEENS9_8equal_toIvEEfEE10hipError_tPvRmT2_T3_T4_T5_mT6_T7_P12ihipStream_tbENKUlT_T0_E_clISt17integral_constantIbLb1EES10_IbLb0EEEEDaSW_SX_EUlSW_E_NS1_11comp_targetILNS1_3genE10ELNS1_11target_archE1201ELNS1_3gpuE5ELNS1_3repE0EEENS1_30default_config_static_selectorELNS0_4arch9wavefront6targetE1EEEvT1_,"axG",@progbits,_ZN7rocprim17ROCPRIM_400000_NS6detail17trampoline_kernelINS0_14default_configENS1_27scan_by_key_config_selectorIifEEZZNS1_16scan_by_key_implILNS1_25lookback_scan_determinismE0ELb0ES3_N6thrust23THRUST_200600_302600_NS6detail15normal_iteratorINS9_10device_ptrIiEEEENSB_INSC_IfEEEESG_fNS9_4plusIvEENS9_8equal_toIvEEfEE10hipError_tPvRmT2_T3_T4_T5_mT6_T7_P12ihipStream_tbENKUlT_T0_E_clISt17integral_constantIbLb1EES10_IbLb0EEEEDaSW_SX_EUlSW_E_NS1_11comp_targetILNS1_3genE10ELNS1_11target_archE1201ELNS1_3gpuE5ELNS1_3repE0EEENS1_30default_config_static_selectorELNS0_4arch9wavefront6targetE1EEEvT1_,comdat
	.protected	_ZN7rocprim17ROCPRIM_400000_NS6detail17trampoline_kernelINS0_14default_configENS1_27scan_by_key_config_selectorIifEEZZNS1_16scan_by_key_implILNS1_25lookback_scan_determinismE0ELb0ES3_N6thrust23THRUST_200600_302600_NS6detail15normal_iteratorINS9_10device_ptrIiEEEENSB_INSC_IfEEEESG_fNS9_4plusIvEENS9_8equal_toIvEEfEE10hipError_tPvRmT2_T3_T4_T5_mT6_T7_P12ihipStream_tbENKUlT_T0_E_clISt17integral_constantIbLb1EES10_IbLb0EEEEDaSW_SX_EUlSW_E_NS1_11comp_targetILNS1_3genE10ELNS1_11target_archE1201ELNS1_3gpuE5ELNS1_3repE0EEENS1_30default_config_static_selectorELNS0_4arch9wavefront6targetE1EEEvT1_ ; -- Begin function _ZN7rocprim17ROCPRIM_400000_NS6detail17trampoline_kernelINS0_14default_configENS1_27scan_by_key_config_selectorIifEEZZNS1_16scan_by_key_implILNS1_25lookback_scan_determinismE0ELb0ES3_N6thrust23THRUST_200600_302600_NS6detail15normal_iteratorINS9_10device_ptrIiEEEENSB_INSC_IfEEEESG_fNS9_4plusIvEENS9_8equal_toIvEEfEE10hipError_tPvRmT2_T3_T4_T5_mT6_T7_P12ihipStream_tbENKUlT_T0_E_clISt17integral_constantIbLb1EES10_IbLb0EEEEDaSW_SX_EUlSW_E_NS1_11comp_targetILNS1_3genE10ELNS1_11target_archE1201ELNS1_3gpuE5ELNS1_3repE0EEENS1_30default_config_static_selectorELNS0_4arch9wavefront6targetE1EEEvT1_
	.globl	_ZN7rocprim17ROCPRIM_400000_NS6detail17trampoline_kernelINS0_14default_configENS1_27scan_by_key_config_selectorIifEEZZNS1_16scan_by_key_implILNS1_25lookback_scan_determinismE0ELb0ES3_N6thrust23THRUST_200600_302600_NS6detail15normal_iteratorINS9_10device_ptrIiEEEENSB_INSC_IfEEEESG_fNS9_4plusIvEENS9_8equal_toIvEEfEE10hipError_tPvRmT2_T3_T4_T5_mT6_T7_P12ihipStream_tbENKUlT_T0_E_clISt17integral_constantIbLb1EES10_IbLb0EEEEDaSW_SX_EUlSW_E_NS1_11comp_targetILNS1_3genE10ELNS1_11target_archE1201ELNS1_3gpuE5ELNS1_3repE0EEENS1_30default_config_static_selectorELNS0_4arch9wavefront6targetE1EEEvT1_
	.p2align	8
	.type	_ZN7rocprim17ROCPRIM_400000_NS6detail17trampoline_kernelINS0_14default_configENS1_27scan_by_key_config_selectorIifEEZZNS1_16scan_by_key_implILNS1_25lookback_scan_determinismE0ELb0ES3_N6thrust23THRUST_200600_302600_NS6detail15normal_iteratorINS9_10device_ptrIiEEEENSB_INSC_IfEEEESG_fNS9_4plusIvEENS9_8equal_toIvEEfEE10hipError_tPvRmT2_T3_T4_T5_mT6_T7_P12ihipStream_tbENKUlT_T0_E_clISt17integral_constantIbLb1EES10_IbLb0EEEEDaSW_SX_EUlSW_E_NS1_11comp_targetILNS1_3genE10ELNS1_11target_archE1201ELNS1_3gpuE5ELNS1_3repE0EEENS1_30default_config_static_selectorELNS0_4arch9wavefront6targetE1EEEvT1_,@function
_ZN7rocprim17ROCPRIM_400000_NS6detail17trampoline_kernelINS0_14default_configENS1_27scan_by_key_config_selectorIifEEZZNS1_16scan_by_key_implILNS1_25lookback_scan_determinismE0ELb0ES3_N6thrust23THRUST_200600_302600_NS6detail15normal_iteratorINS9_10device_ptrIiEEEENSB_INSC_IfEEEESG_fNS9_4plusIvEENS9_8equal_toIvEEfEE10hipError_tPvRmT2_T3_T4_T5_mT6_T7_P12ihipStream_tbENKUlT_T0_E_clISt17integral_constantIbLb1EES10_IbLb0EEEEDaSW_SX_EUlSW_E_NS1_11comp_targetILNS1_3genE10ELNS1_11target_archE1201ELNS1_3gpuE5ELNS1_3repE0EEENS1_30default_config_static_selectorELNS0_4arch9wavefront6targetE1EEEvT1_: ; @_ZN7rocprim17ROCPRIM_400000_NS6detail17trampoline_kernelINS0_14default_configENS1_27scan_by_key_config_selectorIifEEZZNS1_16scan_by_key_implILNS1_25lookback_scan_determinismE0ELb0ES3_N6thrust23THRUST_200600_302600_NS6detail15normal_iteratorINS9_10device_ptrIiEEEENSB_INSC_IfEEEESG_fNS9_4plusIvEENS9_8equal_toIvEEfEE10hipError_tPvRmT2_T3_T4_T5_mT6_T7_P12ihipStream_tbENKUlT_T0_E_clISt17integral_constantIbLb1EES10_IbLb0EEEEDaSW_SX_EUlSW_E_NS1_11comp_targetILNS1_3genE10ELNS1_11target_archE1201ELNS1_3gpuE5ELNS1_3repE0EEENS1_30default_config_static_selectorELNS0_4arch9wavefront6targetE1EEEvT1_
; %bb.0:
	.section	.rodata,"a",@progbits
	.p2align	6, 0x0
	.amdhsa_kernel _ZN7rocprim17ROCPRIM_400000_NS6detail17trampoline_kernelINS0_14default_configENS1_27scan_by_key_config_selectorIifEEZZNS1_16scan_by_key_implILNS1_25lookback_scan_determinismE0ELb0ES3_N6thrust23THRUST_200600_302600_NS6detail15normal_iteratorINS9_10device_ptrIiEEEENSB_INSC_IfEEEESG_fNS9_4plusIvEENS9_8equal_toIvEEfEE10hipError_tPvRmT2_T3_T4_T5_mT6_T7_P12ihipStream_tbENKUlT_T0_E_clISt17integral_constantIbLb1EES10_IbLb0EEEEDaSW_SX_EUlSW_E_NS1_11comp_targetILNS1_3genE10ELNS1_11target_archE1201ELNS1_3gpuE5ELNS1_3repE0EEENS1_30default_config_static_selectorELNS0_4arch9wavefront6targetE1EEEvT1_
		.amdhsa_group_segment_fixed_size 0
		.amdhsa_private_segment_fixed_size 0
		.amdhsa_kernarg_size 112
		.amdhsa_user_sgpr_count 2
		.amdhsa_user_sgpr_dispatch_ptr 0
		.amdhsa_user_sgpr_queue_ptr 0
		.amdhsa_user_sgpr_kernarg_segment_ptr 1
		.amdhsa_user_sgpr_dispatch_id 0
		.amdhsa_user_sgpr_kernarg_preload_length 0
		.amdhsa_user_sgpr_kernarg_preload_offset 0
		.amdhsa_user_sgpr_private_segment_size 0
		.amdhsa_uses_dynamic_stack 0
		.amdhsa_enable_private_segment 0
		.amdhsa_system_sgpr_workgroup_id_x 1
		.amdhsa_system_sgpr_workgroup_id_y 0
		.amdhsa_system_sgpr_workgroup_id_z 0
		.amdhsa_system_sgpr_workgroup_info 0
		.amdhsa_system_vgpr_workitem_id 0
		.amdhsa_next_free_vgpr 1
		.amdhsa_next_free_sgpr 0
		.amdhsa_accum_offset 4
		.amdhsa_reserve_vcc 0
		.amdhsa_float_round_mode_32 0
		.amdhsa_float_round_mode_16_64 0
		.amdhsa_float_denorm_mode_32 3
		.amdhsa_float_denorm_mode_16_64 3
		.amdhsa_dx10_clamp 1
		.amdhsa_ieee_mode 1
		.amdhsa_fp16_overflow 0
		.amdhsa_tg_split 0
		.amdhsa_exception_fp_ieee_invalid_op 0
		.amdhsa_exception_fp_denorm_src 0
		.amdhsa_exception_fp_ieee_div_zero 0
		.amdhsa_exception_fp_ieee_overflow 0
		.amdhsa_exception_fp_ieee_underflow 0
		.amdhsa_exception_fp_ieee_inexact 0
		.amdhsa_exception_int_div_zero 0
	.end_amdhsa_kernel
	.section	.text._ZN7rocprim17ROCPRIM_400000_NS6detail17trampoline_kernelINS0_14default_configENS1_27scan_by_key_config_selectorIifEEZZNS1_16scan_by_key_implILNS1_25lookback_scan_determinismE0ELb0ES3_N6thrust23THRUST_200600_302600_NS6detail15normal_iteratorINS9_10device_ptrIiEEEENSB_INSC_IfEEEESG_fNS9_4plusIvEENS9_8equal_toIvEEfEE10hipError_tPvRmT2_T3_T4_T5_mT6_T7_P12ihipStream_tbENKUlT_T0_E_clISt17integral_constantIbLb1EES10_IbLb0EEEEDaSW_SX_EUlSW_E_NS1_11comp_targetILNS1_3genE10ELNS1_11target_archE1201ELNS1_3gpuE5ELNS1_3repE0EEENS1_30default_config_static_selectorELNS0_4arch9wavefront6targetE1EEEvT1_,"axG",@progbits,_ZN7rocprim17ROCPRIM_400000_NS6detail17trampoline_kernelINS0_14default_configENS1_27scan_by_key_config_selectorIifEEZZNS1_16scan_by_key_implILNS1_25lookback_scan_determinismE0ELb0ES3_N6thrust23THRUST_200600_302600_NS6detail15normal_iteratorINS9_10device_ptrIiEEEENSB_INSC_IfEEEESG_fNS9_4plusIvEENS9_8equal_toIvEEfEE10hipError_tPvRmT2_T3_T4_T5_mT6_T7_P12ihipStream_tbENKUlT_T0_E_clISt17integral_constantIbLb1EES10_IbLb0EEEEDaSW_SX_EUlSW_E_NS1_11comp_targetILNS1_3genE10ELNS1_11target_archE1201ELNS1_3gpuE5ELNS1_3repE0EEENS1_30default_config_static_selectorELNS0_4arch9wavefront6targetE1EEEvT1_,comdat
.Lfunc_end1153:
	.size	_ZN7rocprim17ROCPRIM_400000_NS6detail17trampoline_kernelINS0_14default_configENS1_27scan_by_key_config_selectorIifEEZZNS1_16scan_by_key_implILNS1_25lookback_scan_determinismE0ELb0ES3_N6thrust23THRUST_200600_302600_NS6detail15normal_iteratorINS9_10device_ptrIiEEEENSB_INSC_IfEEEESG_fNS9_4plusIvEENS9_8equal_toIvEEfEE10hipError_tPvRmT2_T3_T4_T5_mT6_T7_P12ihipStream_tbENKUlT_T0_E_clISt17integral_constantIbLb1EES10_IbLb0EEEEDaSW_SX_EUlSW_E_NS1_11comp_targetILNS1_3genE10ELNS1_11target_archE1201ELNS1_3gpuE5ELNS1_3repE0EEENS1_30default_config_static_selectorELNS0_4arch9wavefront6targetE1EEEvT1_, .Lfunc_end1153-_ZN7rocprim17ROCPRIM_400000_NS6detail17trampoline_kernelINS0_14default_configENS1_27scan_by_key_config_selectorIifEEZZNS1_16scan_by_key_implILNS1_25lookback_scan_determinismE0ELb0ES3_N6thrust23THRUST_200600_302600_NS6detail15normal_iteratorINS9_10device_ptrIiEEEENSB_INSC_IfEEEESG_fNS9_4plusIvEENS9_8equal_toIvEEfEE10hipError_tPvRmT2_T3_T4_T5_mT6_T7_P12ihipStream_tbENKUlT_T0_E_clISt17integral_constantIbLb1EES10_IbLb0EEEEDaSW_SX_EUlSW_E_NS1_11comp_targetILNS1_3genE10ELNS1_11target_archE1201ELNS1_3gpuE5ELNS1_3repE0EEENS1_30default_config_static_selectorELNS0_4arch9wavefront6targetE1EEEvT1_
                                        ; -- End function
	.section	.AMDGPU.csdata,"",@progbits
; Kernel info:
; codeLenInByte = 0
; NumSgprs: 6
; NumVgprs: 0
; NumAgprs: 0
; TotalNumVgprs: 0
; ScratchSize: 0
; MemoryBound: 0
; FloatMode: 240
; IeeeMode: 1
; LDSByteSize: 0 bytes/workgroup (compile time only)
; SGPRBlocks: 0
; VGPRBlocks: 0
; NumSGPRsForWavesPerEU: 6
; NumVGPRsForWavesPerEU: 1
; AccumOffset: 4
; Occupancy: 8
; WaveLimiterHint : 0
; COMPUTE_PGM_RSRC2:SCRATCH_EN: 0
; COMPUTE_PGM_RSRC2:USER_SGPR: 2
; COMPUTE_PGM_RSRC2:TRAP_HANDLER: 0
; COMPUTE_PGM_RSRC2:TGID_X_EN: 1
; COMPUTE_PGM_RSRC2:TGID_Y_EN: 0
; COMPUTE_PGM_RSRC2:TGID_Z_EN: 0
; COMPUTE_PGM_RSRC2:TIDIG_COMP_CNT: 0
; COMPUTE_PGM_RSRC3_GFX90A:ACCUM_OFFSET: 0
; COMPUTE_PGM_RSRC3_GFX90A:TG_SPLIT: 0
	.section	.text._ZN7rocprim17ROCPRIM_400000_NS6detail17trampoline_kernelINS0_14default_configENS1_27scan_by_key_config_selectorIifEEZZNS1_16scan_by_key_implILNS1_25lookback_scan_determinismE0ELb0ES3_N6thrust23THRUST_200600_302600_NS6detail15normal_iteratorINS9_10device_ptrIiEEEENSB_INSC_IfEEEESG_fNS9_4plusIvEENS9_8equal_toIvEEfEE10hipError_tPvRmT2_T3_T4_T5_mT6_T7_P12ihipStream_tbENKUlT_T0_E_clISt17integral_constantIbLb1EES10_IbLb0EEEEDaSW_SX_EUlSW_E_NS1_11comp_targetILNS1_3genE5ELNS1_11target_archE942ELNS1_3gpuE9ELNS1_3repE0EEENS1_30default_config_static_selectorELNS0_4arch9wavefront6targetE1EEEvT1_,"axG",@progbits,_ZN7rocprim17ROCPRIM_400000_NS6detail17trampoline_kernelINS0_14default_configENS1_27scan_by_key_config_selectorIifEEZZNS1_16scan_by_key_implILNS1_25lookback_scan_determinismE0ELb0ES3_N6thrust23THRUST_200600_302600_NS6detail15normal_iteratorINS9_10device_ptrIiEEEENSB_INSC_IfEEEESG_fNS9_4plusIvEENS9_8equal_toIvEEfEE10hipError_tPvRmT2_T3_T4_T5_mT6_T7_P12ihipStream_tbENKUlT_T0_E_clISt17integral_constantIbLb1EES10_IbLb0EEEEDaSW_SX_EUlSW_E_NS1_11comp_targetILNS1_3genE5ELNS1_11target_archE942ELNS1_3gpuE9ELNS1_3repE0EEENS1_30default_config_static_selectorELNS0_4arch9wavefront6targetE1EEEvT1_,comdat
	.protected	_ZN7rocprim17ROCPRIM_400000_NS6detail17trampoline_kernelINS0_14default_configENS1_27scan_by_key_config_selectorIifEEZZNS1_16scan_by_key_implILNS1_25lookback_scan_determinismE0ELb0ES3_N6thrust23THRUST_200600_302600_NS6detail15normal_iteratorINS9_10device_ptrIiEEEENSB_INSC_IfEEEESG_fNS9_4plusIvEENS9_8equal_toIvEEfEE10hipError_tPvRmT2_T3_T4_T5_mT6_T7_P12ihipStream_tbENKUlT_T0_E_clISt17integral_constantIbLb1EES10_IbLb0EEEEDaSW_SX_EUlSW_E_NS1_11comp_targetILNS1_3genE5ELNS1_11target_archE942ELNS1_3gpuE9ELNS1_3repE0EEENS1_30default_config_static_selectorELNS0_4arch9wavefront6targetE1EEEvT1_ ; -- Begin function _ZN7rocprim17ROCPRIM_400000_NS6detail17trampoline_kernelINS0_14default_configENS1_27scan_by_key_config_selectorIifEEZZNS1_16scan_by_key_implILNS1_25lookback_scan_determinismE0ELb0ES3_N6thrust23THRUST_200600_302600_NS6detail15normal_iteratorINS9_10device_ptrIiEEEENSB_INSC_IfEEEESG_fNS9_4plusIvEENS9_8equal_toIvEEfEE10hipError_tPvRmT2_T3_T4_T5_mT6_T7_P12ihipStream_tbENKUlT_T0_E_clISt17integral_constantIbLb1EES10_IbLb0EEEEDaSW_SX_EUlSW_E_NS1_11comp_targetILNS1_3genE5ELNS1_11target_archE942ELNS1_3gpuE9ELNS1_3repE0EEENS1_30default_config_static_selectorELNS0_4arch9wavefront6targetE1EEEvT1_
	.globl	_ZN7rocprim17ROCPRIM_400000_NS6detail17trampoline_kernelINS0_14default_configENS1_27scan_by_key_config_selectorIifEEZZNS1_16scan_by_key_implILNS1_25lookback_scan_determinismE0ELb0ES3_N6thrust23THRUST_200600_302600_NS6detail15normal_iteratorINS9_10device_ptrIiEEEENSB_INSC_IfEEEESG_fNS9_4plusIvEENS9_8equal_toIvEEfEE10hipError_tPvRmT2_T3_T4_T5_mT6_T7_P12ihipStream_tbENKUlT_T0_E_clISt17integral_constantIbLb1EES10_IbLb0EEEEDaSW_SX_EUlSW_E_NS1_11comp_targetILNS1_3genE5ELNS1_11target_archE942ELNS1_3gpuE9ELNS1_3repE0EEENS1_30default_config_static_selectorELNS0_4arch9wavefront6targetE1EEEvT1_
	.p2align	8
	.type	_ZN7rocprim17ROCPRIM_400000_NS6detail17trampoline_kernelINS0_14default_configENS1_27scan_by_key_config_selectorIifEEZZNS1_16scan_by_key_implILNS1_25lookback_scan_determinismE0ELb0ES3_N6thrust23THRUST_200600_302600_NS6detail15normal_iteratorINS9_10device_ptrIiEEEENSB_INSC_IfEEEESG_fNS9_4plusIvEENS9_8equal_toIvEEfEE10hipError_tPvRmT2_T3_T4_T5_mT6_T7_P12ihipStream_tbENKUlT_T0_E_clISt17integral_constantIbLb1EES10_IbLb0EEEEDaSW_SX_EUlSW_E_NS1_11comp_targetILNS1_3genE5ELNS1_11target_archE942ELNS1_3gpuE9ELNS1_3repE0EEENS1_30default_config_static_selectorELNS0_4arch9wavefront6targetE1EEEvT1_,@function
_ZN7rocprim17ROCPRIM_400000_NS6detail17trampoline_kernelINS0_14default_configENS1_27scan_by_key_config_selectorIifEEZZNS1_16scan_by_key_implILNS1_25lookback_scan_determinismE0ELb0ES3_N6thrust23THRUST_200600_302600_NS6detail15normal_iteratorINS9_10device_ptrIiEEEENSB_INSC_IfEEEESG_fNS9_4plusIvEENS9_8equal_toIvEEfEE10hipError_tPvRmT2_T3_T4_T5_mT6_T7_P12ihipStream_tbENKUlT_T0_E_clISt17integral_constantIbLb1EES10_IbLb0EEEEDaSW_SX_EUlSW_E_NS1_11comp_targetILNS1_3genE5ELNS1_11target_archE942ELNS1_3gpuE9ELNS1_3repE0EEENS1_30default_config_static_selectorELNS0_4arch9wavefront6targetE1EEEvT1_: ; @_ZN7rocprim17ROCPRIM_400000_NS6detail17trampoline_kernelINS0_14default_configENS1_27scan_by_key_config_selectorIifEEZZNS1_16scan_by_key_implILNS1_25lookback_scan_determinismE0ELb0ES3_N6thrust23THRUST_200600_302600_NS6detail15normal_iteratorINS9_10device_ptrIiEEEENSB_INSC_IfEEEESG_fNS9_4plusIvEENS9_8equal_toIvEEfEE10hipError_tPvRmT2_T3_T4_T5_mT6_T7_P12ihipStream_tbENKUlT_T0_E_clISt17integral_constantIbLb1EES10_IbLb0EEEEDaSW_SX_EUlSW_E_NS1_11comp_targetILNS1_3genE5ELNS1_11target_archE942ELNS1_3gpuE9ELNS1_3repE0EEENS1_30default_config_static_selectorELNS0_4arch9wavefront6targetE1EEEvT1_
; %bb.0:
	s_load_dwordx8 s[48:55], s[0:1], 0x0
	s_load_dwordx4 s[64:67], s[0:1], 0x28
	s_load_dwordx2 s[70:71], s[0:1], 0x38
	s_load_dword s3, s[0:1], 0x40
	s_load_dwordx8 s[56:63], s[0:1], 0x48
	s_waitcnt lgkmcnt(0)
	s_lshl_b64 s[68:69], s[50:51], 2
	s_add_u32 s4, s48, s68
	s_addc_u32 s5, s49, s69
	s_add_u32 s6, s52, s68
	s_mul_i32 s0, s71, s3
	s_mul_hi_u32 s1, s70, s3
	s_addc_u32 s7, s53, s69
	s_add_i32 s8, s1, s0
	s_cmp_lg_u64 s[60:61], 0
	s_mul_i32 s0, s2, 0x1700
	s_mov_b32 s1, 0
	s_cselect_b64 s[74:75], -1, 0
	s_lshl_b64 s[60:61], s[0:1], 2
	s_add_u32 s72, s4, s60
	s_addc_u32 s73, s5, s61
	s_add_u32 s52, s6, s60
	s_mul_i32 s3, s70, s3
	s_addc_u32 s53, s7, s61
	s_add_u32 s76, s3, s2
	s_addc_u32 s77, s8, 0
	s_add_u32 s4, s56, -1
	s_addc_u32 s5, s57, -1
	v_mov_b64_e32 v[2:3], s[4:5]
	v_cmp_ge_u64_e64 s[0:1], s[76:77], v[2:3]
	s_mov_b64 s[12:13], 0
	s_mov_b64 s[8:9], -1
	s_and_b64 vcc, exec, s[0:1]
	s_mul_i32 s33, s4, 0xffffe900
	s_barrier
	s_cbranch_vccz .LBB1154_122
; %bb.1:
	v_mov_b64_e32 v[2:3], s[72:73]
	flat_load_dword v3, v[2:3]
	s_add_i32 s3, s33, s66
	v_cmp_gt_u32_e64 s[50:51], s3, v0
	s_waitcnt vmcnt(0) lgkmcnt(0)
	v_mov_b32_e32 v13, v3
	s_and_saveexec_b64 s[4:5], s[50:51]
	s_cbranch_execz .LBB1154_3
; %bb.2:
	v_lshlrev_b32_e32 v4, 2, v0
	v_mov_b32_e32 v5, 0
	v_lshl_add_u64 v[4:5], s[72:73], 0, v[4:5]
	flat_load_dword v13, v[4:5]
.LBB1154_3:
	s_or_b64 exec, exec, s[4:5]
	v_or_b32_e32 v1, 0x100, v0
	v_cmp_gt_u32_e64 s[4:5], s3, v1
	v_mov_b32_e32 v23, v3
	s_and_saveexec_b64 s[6:7], s[4:5]
	s_cbranch_execz .LBB1154_5
; %bb.4:
	v_lshlrev_b32_e32 v4, 2, v0
	v_mov_b32_e32 v5, 0
	v_lshl_add_u64 v[4:5], s[72:73], 0, v[4:5]
	flat_load_dword v23, v[4:5] offset:1024
.LBB1154_5:
	s_or_b64 exec, exec, s[6:7]
	v_or_b32_e32 v1, 0x200, v0
	v_cmp_gt_u32_e64 s[6:7], s3, v1
	v_mov_b32_e32 v24, v3
	s_and_saveexec_b64 s[8:9], s[6:7]
	s_cbranch_execz .LBB1154_7
; %bb.6:
	v_lshlrev_b32_e32 v4, 2, v0
	v_mov_b32_e32 v5, 0
	v_lshl_add_u64 v[4:5], s[72:73], 0, v[4:5]
	flat_load_dword v24, v[4:5] offset:2048
.LBB1154_7:
	;; [unrolled: 12-line block ×3, first 2 shown]
	s_or_b64 exec, exec, s[10:11]
	v_or_b32_e32 v1, 0x400, v0
	v_cmp_gt_u32_e64 s[10:11], s3, v1
	v_mov_b32_e32 v26, v3
	s_and_saveexec_b64 s[12:13], s[10:11]
	s_cbranch_execz .LBB1154_11
; %bb.10:
	v_lshlrev_b32_e32 v4, 2, v1
	v_mov_b32_e32 v5, 0
	v_lshl_add_u64 v[4:5], s[72:73], 0, v[4:5]
	flat_load_dword v26, v[4:5]
.LBB1154_11:
	s_or_b64 exec, exec, s[12:13]
	v_or_b32_e32 v4, 0x500, v0
	v_cmp_gt_u32_e64 s[12:13], s3, v4
	v_mov_b32_e32 v27, v3
	s_and_saveexec_b64 s[14:15], s[12:13]
	s_cbranch_execz .LBB1154_13
; %bb.12:
	v_lshlrev_b32_e32 v6, 2, v4
	v_mov_b32_e32 v7, 0
	v_lshl_add_u64 v[6:7], s[72:73], 0, v[6:7]
	flat_load_dword v27, v[6:7]
.LBB1154_13:
	;; [unrolled: 12-line block ×18, first 2 shown]
	s_or_b64 exec, exec, s[48:49]
	v_or_b32_e32 v22, 0x1600, v0
	v_cmp_gt_u32_e64 s[48:49], s3, v22
	s_and_saveexec_b64 s[56:57], s[48:49]
	s_cbranch_execz .LBB1154_47
; %bb.46:
	v_lshlrev_b32_e32 v2, 2, v22
	v_mov_b32_e32 v3, 0
	v_lshl_add_u64 v[2:3], s[72:73], 0, v[2:3]
	flat_load_dword v3, v[2:3]
.LBB1154_47:
	s_or_b64 exec, exec, s[56:57]
	v_lshlrev_b32_e32 v2, 2, v0
	s_movk_i32 s56, 0x58
	s_waitcnt vmcnt(0) lgkmcnt(0)
	ds_write2st64_b32 v2, v13, v23 offset1:4
	ds_write2st64_b32 v2, v24, v25 offset0:8 offset1:12
	ds_write2st64_b32 v2, v26, v27 offset0:16 offset1:20
	;; [unrolled: 1-line block ×10, first 2 shown]
	ds_write_b32 v2, v3 offset:22528
	v_mad_u32_u24 v13, v0, s56, v2
	s_waitcnt lgkmcnt(0)
	s_barrier
	ds_read2_b32 v[64:65], v13 offset1:1
	ds_read2_b32 v[62:63], v13 offset0:2 offset1:3
	ds_read2_b32 v[60:61], v13 offset0:4 offset1:5
	;; [unrolled: 1-line block ×10, first 2 shown]
	ds_read_b32 v88, v13 offset:88
	s_cmp_eq_u64 s[76:77], 0
	s_mov_b64 s[56:57], s[72:73]
	s_cbranch_scc1 .LBB1154_51
; %bb.48:
	s_andn2_b64 vcc, exec, s[74:75]
	s_cbranch_vccnz .LBB1154_293
; %bb.49:
	s_lshl_b64 s[56:57], s[76:77], 2
	s_add_u32 s56, s62, s56
	s_addc_u32 s57, s63, s57
	s_add_u32 s56, s56, -4
	s_addc_u32 s57, s57, -1
	s_cbranch_execnz .LBB1154_51
.LBB1154_50:
	s_add_u32 s56, s72, -4
	s_addc_u32 s57, s73, -1
.LBB1154_51:
	v_mov_b64_e32 v[24:25], s[56:57]
	flat_load_dword v90, v[24:25]
	s_movk_i32 s56, 0xffa8
	v_mad_i32_i24 v3, v0, s56, v13
	v_cmp_ne_u32_e32 vcc, 0, v0
	s_waitcnt lgkmcnt(0)
	ds_write_b32 v3, v88 offset:23552
	s_waitcnt lgkmcnt(0)
	s_barrier
	s_and_saveexec_b64 s[56:57], vcc
	s_cbranch_execz .LBB1154_53
; %bb.52:
	v_mul_i32_i24_e32 v3, 0xffffffa8, v0
	v_add_u32_e32 v3, v13, v3
	s_waitcnt vmcnt(0)
	ds_read_b32 v90, v3 offset:23548
.LBB1154_53:
	s_or_b64 exec, exec, s[56:57]
	v_mov_b32_e32 v3, 0
	s_waitcnt lgkmcnt(0)
	s_barrier
	s_waitcnt lgkmcnt(0)
                                        ; implicit-def: $vgpr23
	s_and_saveexec_b64 s[56:57], s[50:51]
	s_cbranch_execnz .LBB1154_269
; %bb.54:
	s_or_b64 exec, exec, s[56:57]
                                        ; implicit-def: $vgpr24
	s_and_saveexec_b64 s[50:51], s[4:5]
	s_cbranch_execnz .LBB1154_270
.LBB1154_55:
	s_or_b64 exec, exec, s[50:51]
                                        ; implicit-def: $vgpr25
	s_and_saveexec_b64 s[4:5], s[6:7]
	s_cbranch_execnz .LBB1154_271
.LBB1154_56:
	s_or_b64 exec, exec, s[4:5]
                                        ; implicit-def: $vgpr3
	s_and_saveexec_b64 s[4:5], s[8:9]
	s_cbranch_execnz .LBB1154_272
.LBB1154_57:
	s_or_b64 exec, exec, s[4:5]
                                        ; implicit-def: $vgpr26
	s_and_saveexec_b64 s[4:5], s[10:11]
	s_cbranch_execnz .LBB1154_273
.LBB1154_58:
	s_or_b64 exec, exec, s[4:5]
                                        ; implicit-def: $vgpr1
	s_and_saveexec_b64 s[4:5], s[12:13]
	s_cbranch_execnz .LBB1154_274
.LBB1154_59:
	s_or_b64 exec, exec, s[4:5]
                                        ; implicit-def: $vgpr4
	s_and_saveexec_b64 s[4:5], s[14:15]
	s_cbranch_execnz .LBB1154_275
.LBB1154_60:
	s_or_b64 exec, exec, s[4:5]
                                        ; implicit-def: $vgpr5
	s_and_saveexec_b64 s[4:5], s[16:17]
	s_cbranch_execnz .LBB1154_276
.LBB1154_61:
	s_or_b64 exec, exec, s[4:5]
                                        ; implicit-def: $vgpr6
	s_and_saveexec_b64 s[4:5], s[18:19]
	s_cbranch_execnz .LBB1154_277
.LBB1154_62:
	s_or_b64 exec, exec, s[4:5]
                                        ; implicit-def: $vgpr7
	s_and_saveexec_b64 s[4:5], s[20:21]
	s_cbranch_execnz .LBB1154_278
.LBB1154_63:
	s_or_b64 exec, exec, s[4:5]
                                        ; implicit-def: $vgpr8
	s_and_saveexec_b64 s[4:5], s[22:23]
	s_cbranch_execnz .LBB1154_279
.LBB1154_64:
	s_or_b64 exec, exec, s[4:5]
                                        ; implicit-def: $vgpr9
	s_and_saveexec_b64 s[4:5], s[24:25]
	s_cbranch_execnz .LBB1154_280
.LBB1154_65:
	s_or_b64 exec, exec, s[4:5]
                                        ; implicit-def: $vgpr10
	s_and_saveexec_b64 s[4:5], s[26:27]
	s_cbranch_execnz .LBB1154_281
.LBB1154_66:
	s_or_b64 exec, exec, s[4:5]
                                        ; implicit-def: $vgpr11
	s_and_saveexec_b64 s[4:5], s[28:29]
	s_cbranch_execnz .LBB1154_282
.LBB1154_67:
	s_or_b64 exec, exec, s[4:5]
                                        ; implicit-def: $vgpr12
	s_and_saveexec_b64 s[4:5], s[30:31]
	s_cbranch_execnz .LBB1154_283
.LBB1154_68:
	s_or_b64 exec, exec, s[4:5]
                                        ; implicit-def: $vgpr14
	s_and_saveexec_b64 s[4:5], s[34:35]
	s_cbranch_execnz .LBB1154_284
.LBB1154_69:
	s_or_b64 exec, exec, s[4:5]
                                        ; implicit-def: $vgpr15
	s_and_saveexec_b64 s[4:5], s[36:37]
	s_cbranch_execnz .LBB1154_285
.LBB1154_70:
	s_or_b64 exec, exec, s[4:5]
                                        ; implicit-def: $vgpr16
	s_and_saveexec_b64 s[4:5], s[38:39]
	s_cbranch_execnz .LBB1154_286
.LBB1154_71:
	s_or_b64 exec, exec, s[4:5]
                                        ; implicit-def: $vgpr17
	s_and_saveexec_b64 s[4:5], s[40:41]
	s_cbranch_execnz .LBB1154_287
.LBB1154_72:
	s_or_b64 exec, exec, s[4:5]
                                        ; implicit-def: $vgpr18
	s_and_saveexec_b64 s[4:5], s[42:43]
	s_cbranch_execnz .LBB1154_288
.LBB1154_73:
	s_or_b64 exec, exec, s[4:5]
                                        ; implicit-def: $vgpr19
	s_and_saveexec_b64 s[4:5], s[44:45]
	s_cbranch_execnz .LBB1154_289
.LBB1154_74:
	s_or_b64 exec, exec, s[4:5]
                                        ; implicit-def: $vgpr20
	s_and_saveexec_b64 s[4:5], s[46:47]
	s_cbranch_execnz .LBB1154_290
.LBB1154_75:
	s_or_b64 exec, exec, s[4:5]
                                        ; implicit-def: $vgpr21
	s_and_saveexec_b64 s[4:5], s[48:49]
	s_cbranch_execz .LBB1154_77
.LBB1154_76:
	v_lshlrev_b32_e32 v28, 2, v22
	v_mov_b32_e32 v29, 0
	v_lshl_add_u64 v[28:29], s[52:53], 0, v[28:29]
	flat_load_dword v21, v[28:29]
.LBB1154_77:
	s_or_b64 exec, exec, s[4:5]
	s_mov_b32 s6, 0
	v_mul_u32_u24_e32 v89, 23, v0
	s_mov_b32 s7, s6
	s_waitcnt vmcnt(0) lgkmcnt(0)
	ds_write2st64_b32 v2, v23, v24 offset1:4
	ds_write2st64_b32 v2, v25, v3 offset0:8 offset1:12
	ds_write2st64_b32 v2, v26, v1 offset0:16 offset1:20
	;; [unrolled: 1-line block ×10, first 2 shown]
	ds_write_b32 v2, v21 offset:22528
	v_cmp_gt_u32_e32 vcc, s3, v89
	s_mov_b64 s[8:9], 0
	v_mov_b64_e32 v[10:11], s[6:7]
	v_mov_b32_e32 v66, 0
	v_mov_b32_e32 v12, 0
	s_mov_b64 s[12:13], 0
	v_mov_b64_e32 v[14:15], s[6:7]
	v_mov_b64_e32 v[16:17], s[6:7]
	;; [unrolled: 1-line block ×9, first 2 shown]
	v_mov_b32_e32 v75, 0
	v_mov_b32_e32 v1, 0
	;; [unrolled: 1-line block ×22, first 2 shown]
	s_waitcnt lgkmcnt(0)
	s_barrier
	s_waitcnt lgkmcnt(0)
                                        ; implicit-def: $sgpr4_sgpr5
                                        ; implicit-def: $vgpr32_vgpr33
                                        ; implicit-def: $vgpr30_vgpr31
                                        ; implicit-def: $vgpr28_vgpr29
                                        ; implicit-def: $vgpr24_vgpr25
                                        ; implicit-def: $vgpr22_vgpr23
                                        ; implicit-def: $vgpr20_vgpr21
                                        ; implicit-def: $vgpr8_vgpr9
                                        ; implicit-def: $vgpr6_vgpr7
                                        ; implicit-def: $vgpr4_vgpr5
                                        ; implicit-def: $vgpr2_vgpr3
	s_and_saveexec_b64 s[10:11], vcc
	s_cbranch_execz .LBB1154_121
; %bb.78:
	ds_read_b32 v1, v13
	s_mov_b32 s20, 0
	v_cmp_ne_u32_e32 vcc, v90, v64
	v_add_u32_e32 v2, 1, v89
	s_mov_b32 s21, s20
	v_cndmask_b32_e64 v66, 0, 1, vcc
	v_cmp_gt_u32_e32 vcc, s3, v2
	s_mov_b64 s[14:15], 0
	v_mov_b64_e32 v[10:11], s[20:21]
	v_mov_b32_e32 v12, 0
	v_mov_b32_e32 v75, 0
	v_mov_b64_e32 v[14:15], s[20:21]
	v_mov_b64_e32 v[16:17], s[20:21]
	v_mov_b64_e32 v[18:19], s[20:21]
	v_mov_b64_e32 v[26:27], s[20:21]
	v_mov_b64_e32 v[34:35], s[20:21]
	v_mov_b64_e32 v[36:37], s[20:21]
	v_mov_b64_e32 v[38:39], s[20:21]
	v_mov_b64_e32 v[42:43], s[20:21]
	v_mov_b64_e32 v[44:45], s[20:21]
	v_mov_b32_e32 v87, 0
	v_mov_b32_e32 v67, 0
	;; [unrolled: 1-line block ×20, first 2 shown]
                                        ; implicit-def: $sgpr4_sgpr5
                                        ; implicit-def: $vgpr32_vgpr33
                                        ; implicit-def: $vgpr30_vgpr31
                                        ; implicit-def: $vgpr28_vgpr29
                                        ; implicit-def: $vgpr24_vgpr25
                                        ; implicit-def: $vgpr22_vgpr23
                                        ; implicit-def: $vgpr20_vgpr21
                                        ; implicit-def: $vgpr8_vgpr9
                                        ; implicit-def: $vgpr6_vgpr7
                                        ; implicit-def: $vgpr4_vgpr5
                                        ; implicit-def: $vgpr2_vgpr3
	s_and_saveexec_b64 s[12:13], vcc
	s_cbranch_execz .LBB1154_120
; %bb.79:
	ds_read2_b32 v[2:3], v13 offset0:1 offset1:2
	v_cmp_ne_u32_e32 vcc, v64, v65
	v_add_u32_e32 v4, 2, v89
	v_mov_b32_e32 v45, 0
	v_cndmask_b32_e64 v67, 0, 1, vcc
	v_cmp_gt_u32_e32 vcc, s3, v4
	s_waitcnt lgkmcnt(0)
	v_mov_b32_e32 v44, v2
	s_mov_b64 s[16:17], 0
	v_mov_b64_e32 v[10:11], s[20:21]
	v_mov_b64_e32 v[14:15], s[20:21]
	;; [unrolled: 1-line block ×9, first 2 shown]
	v_mov_b32_e32 v12, v45
	v_mov_b32_e32 v75, v45
	;; [unrolled: 1-line block ×21, first 2 shown]
                                        ; implicit-def: $sgpr4_sgpr5
                                        ; implicit-def: $vgpr32_vgpr33
                                        ; implicit-def: $vgpr30_vgpr31
                                        ; implicit-def: $vgpr28_vgpr29
                                        ; implicit-def: $vgpr24_vgpr25
                                        ; implicit-def: $vgpr22_vgpr23
                                        ; implicit-def: $vgpr20_vgpr21
                                        ; implicit-def: $vgpr8_vgpr9
                                        ; implicit-def: $vgpr6_vgpr7
                                        ; implicit-def: $vgpr4_vgpr5
	s_and_saveexec_b64 s[14:15], vcc
	s_cbranch_execz .LBB1154_119
; %bb.80:
	v_cmp_ne_u32_e32 vcc, v65, v62
	v_add_u32_e32 v4, 3, v89
	s_mov_b32 s21, s20
	v_cndmask_b32_e64 v68, 0, 1, vcc
	v_cmp_gt_u32_e32 vcc, s3, v4
	s_mov_b64 s[18:19], 0
	s_mov_b32 s24, 0
	v_mov_b64_e32 v[10:11], s[20:21]
	v_mov_b32_e32 v12, 0
	v_mov_b32_e32 v75, 0
	v_mov_b64_e32 v[14:15], s[20:21]
	v_mov_b64_e32 v[16:17], s[20:21]
	;; [unrolled: 1-line block ×8, first 2 shown]
	v_mov_b32_e32 v87, 0
	v_mov_b32_e32 v86, 0
	;; [unrolled: 1-line block ×18, first 2 shown]
                                        ; implicit-def: $sgpr4_sgpr5
                                        ; implicit-def: $vgpr32_vgpr33
                                        ; implicit-def: $vgpr30_vgpr31
                                        ; implicit-def: $vgpr28_vgpr29
                                        ; implicit-def: $vgpr24_vgpr25
                                        ; implicit-def: $vgpr22_vgpr23
                                        ; implicit-def: $vgpr20_vgpr21
                                        ; implicit-def: $vgpr8_vgpr9
                                        ; implicit-def: $vgpr6_vgpr7
                                        ; implicit-def: $vgpr4_vgpr5
	s_and_saveexec_b64 s[16:17], vcc
	s_cbranch_execz .LBB1154_118
; %bb.81:
	ds_read2_b32 v[4:5], v13 offset0:3 offset1:4
	v_cmp_ne_u32_e32 vcc, v62, v63
	v_add_u32_e32 v6, 4, v89
	v_mov_b32_e32 v43, 0
	s_mov_b32 s25, s24
	v_cndmask_b32_e64 v69, 0, 1, vcc
	v_cmp_gt_u32_e32 vcc, s3, v6
	s_waitcnt lgkmcnt(0)
	v_mov_b32_e32 v42, v4
	s_mov_b64 s[20:21], 0
	v_mov_b64_e32 v[10:11], s[24:25]
	v_mov_b64_e32 v[14:15], s[24:25]
	;; [unrolled: 1-line block ×8, first 2 shown]
	v_mov_b32_e32 v12, v43
	v_mov_b32_e32 v75, v43
	;; [unrolled: 1-line block ×19, first 2 shown]
                                        ; implicit-def: $sgpr4_sgpr5
                                        ; implicit-def: $vgpr32_vgpr33
                                        ; implicit-def: $vgpr30_vgpr31
                                        ; implicit-def: $vgpr28_vgpr29
                                        ; implicit-def: $vgpr24_vgpr25
                                        ; implicit-def: $vgpr22_vgpr23
                                        ; implicit-def: $vgpr20_vgpr21
                                        ; implicit-def: $vgpr8_vgpr9
                                        ; implicit-def: $vgpr6_vgpr7
	s_and_saveexec_b64 s[18:19], vcc
	s_cbranch_execz .LBB1154_117
; %bb.82:
	v_cmp_ne_u32_e32 vcc, v63, v60
	v_add_u32_e32 v6, 5, v89
	s_mov_b64 s[22:23], 0
	v_cndmask_b32_e64 v70, 0, 1, vcc
	v_cmp_gt_u32_e32 vcc, s3, v6
	s_mov_b32 s28, 0
	v_mov_b64_e32 v[10:11], s[24:25]
	v_mov_b32_e32 v12, 0
	v_mov_b32_e32 v75, 0
	v_mov_b64_e32 v[14:15], s[24:25]
	v_mov_b64_e32 v[16:17], s[24:25]
	;; [unrolled: 1-line block ×7, first 2 shown]
	v_mov_b32_e32 v87, 0
	v_mov_b32_e32 v86, 0
	;; [unrolled: 1-line block ×16, first 2 shown]
                                        ; implicit-def: $sgpr4_sgpr5
                                        ; implicit-def: $vgpr32_vgpr33
                                        ; implicit-def: $vgpr30_vgpr31
                                        ; implicit-def: $vgpr28_vgpr29
                                        ; implicit-def: $vgpr24_vgpr25
                                        ; implicit-def: $vgpr22_vgpr23
                                        ; implicit-def: $vgpr20_vgpr21
                                        ; implicit-def: $vgpr8_vgpr9
                                        ; implicit-def: $vgpr6_vgpr7
	s_and_saveexec_b64 s[20:21], vcc
	s_cbranch_execz .LBB1154_116
; %bb.83:
	ds_read2_b32 v[6:7], v13 offset0:5 offset1:6
	v_cmp_ne_u32_e32 vcc, v60, v61
	v_add_u32_e32 v8, 6, v89
	v_mov_b32_e32 v39, 0
	s_mov_b32 s29, s28
	v_cndmask_b32_e64 v71, 0, 1, vcc
	v_cmp_gt_u32_e32 vcc, s3, v8
	s_waitcnt lgkmcnt(0)
	v_mov_b32_e32 v38, v6
	s_mov_b64 s[24:25], 0
	v_mov_b64_e32 v[10:11], s[28:29]
	v_mov_b64_e32 v[14:15], s[28:29]
	;; [unrolled: 1-line block ×7, first 2 shown]
	v_mov_b32_e32 v12, v39
	v_mov_b32_e32 v75, v39
	;; [unrolled: 1-line block ×17, first 2 shown]
                                        ; implicit-def: $sgpr4_sgpr5
                                        ; implicit-def: $vgpr32_vgpr33
                                        ; implicit-def: $vgpr30_vgpr31
                                        ; implicit-def: $vgpr28_vgpr29
                                        ; implicit-def: $vgpr24_vgpr25
                                        ; implicit-def: $vgpr22_vgpr23
                                        ; implicit-def: $vgpr20_vgpr21
                                        ; implicit-def: $vgpr8_vgpr9
	s_and_saveexec_b64 s[22:23], vcc
	s_cbranch_execz .LBB1154_115
; %bb.84:
	v_cmp_ne_u32_e32 vcc, v61, v58
	v_add_u32_e32 v8, 7, v89
	s_mov_b64 s[26:27], 0
	v_cndmask_b32_e64 v72, 0, 1, vcc
	v_cmp_gt_u32_e32 vcc, s3, v8
	s_mov_b32 s34, 0
	v_mov_b64_e32 v[10:11], s[28:29]
	v_mov_b32_e32 v12, 0
	v_mov_b32_e32 v75, 0
	v_mov_b64_e32 v[14:15], s[28:29]
	v_mov_b64_e32 v[16:17], s[28:29]
	;; [unrolled: 1-line block ×6, first 2 shown]
	v_mov_b32_e32 v87, 0
	v_mov_b32_e32 v86, 0
	;; [unrolled: 1-line block ×14, first 2 shown]
                                        ; implicit-def: $sgpr4_sgpr5
                                        ; implicit-def: $vgpr32_vgpr33
                                        ; implicit-def: $vgpr30_vgpr31
                                        ; implicit-def: $vgpr28_vgpr29
                                        ; implicit-def: $vgpr24_vgpr25
                                        ; implicit-def: $vgpr22_vgpr23
                                        ; implicit-def: $vgpr20_vgpr21
                                        ; implicit-def: $vgpr8_vgpr9
	s_and_saveexec_b64 s[24:25], vcc
	s_cbranch_execz .LBB1154_114
; %bb.85:
	ds_read2_b32 v[8:9], v13 offset0:7 offset1:8
	v_cmp_ne_u32_e32 vcc, v58, v59
	v_add_u32_e32 v10, 8, v89
	v_mov_b32_e32 v37, 0
	s_mov_b32 s35, s34
	v_cndmask_b32_e64 v73, 0, 1, vcc
	v_cmp_gt_u32_e32 vcc, s3, v10
	s_waitcnt lgkmcnt(0)
	v_mov_b32_e32 v36, v8
	s_mov_b64 s[28:29], 0
	v_mov_b64_e32 v[10:11], s[34:35]
	v_mov_b64_e32 v[14:15], s[34:35]
	;; [unrolled: 1-line block ×6, first 2 shown]
	v_mov_b32_e32 v12, v37
	v_mov_b32_e32 v75, v37
	;; [unrolled: 1-line block ×15, first 2 shown]
                                        ; implicit-def: $sgpr4_sgpr5
                                        ; implicit-def: $vgpr32_vgpr33
                                        ; implicit-def: $vgpr30_vgpr31
                                        ; implicit-def: $vgpr28_vgpr29
                                        ; implicit-def: $vgpr24_vgpr25
                                        ; implicit-def: $vgpr22_vgpr23
                                        ; implicit-def: $vgpr20_vgpr21
	s_and_saveexec_b64 s[26:27], vcc
	s_cbranch_execz .LBB1154_113
; %bb.86:
	v_cmp_ne_u32_e32 vcc, v59, v56
	v_add_u32_e32 v10, 9, v89
	s_mov_b64 s[30:31], 0
	v_cndmask_b32_e64 v74, 0, 1, vcc
	v_cmp_gt_u32_e32 vcc, s3, v10
	s_mov_b32 s38, 0
	v_mov_b64_e32 v[10:11], s[34:35]
	v_mov_b32_e32 v12, 0
	v_mov_b32_e32 v75, 0
	v_mov_b64_e32 v[14:15], s[34:35]
	v_mov_b64_e32 v[16:17], s[34:35]
	;; [unrolled: 1-line block ×5, first 2 shown]
	v_mov_b32_e32 v87, 0
	v_mov_b32_e32 v86, 0
	;; [unrolled: 1-line block ×12, first 2 shown]
                                        ; implicit-def: $sgpr4_sgpr5
                                        ; implicit-def: $vgpr32_vgpr33
                                        ; implicit-def: $vgpr30_vgpr31
                                        ; implicit-def: $vgpr28_vgpr29
                                        ; implicit-def: $vgpr24_vgpr25
                                        ; implicit-def: $vgpr22_vgpr23
                                        ; implicit-def: $vgpr20_vgpr21
	s_and_saveexec_b64 s[28:29], vcc
	s_cbranch_execz .LBB1154_112
; %bb.87:
	ds_read2_b32 v[20:21], v13 offset0:9 offset1:10
	v_cmp_ne_u32_e32 vcc, v56, v57
	v_add_u32_e32 v10, 10, v89
	v_mov_b32_e32 v35, 0
	s_mov_b32 s39, s38
	v_cndmask_b32_e64 v76, 0, 1, vcc
	v_cmp_gt_u32_e32 vcc, s3, v10
	s_waitcnt lgkmcnt(0)
	v_mov_b32_e32 v34, v20
	s_mov_b64 s[34:35], 0
	v_mov_b64_e32 v[10:11], s[38:39]
	v_mov_b64_e32 v[14:15], s[38:39]
	;; [unrolled: 1-line block ×5, first 2 shown]
	v_mov_b32_e32 v12, v35
	v_mov_b32_e32 v75, v35
	;; [unrolled: 1-line block ×13, first 2 shown]
                                        ; implicit-def: $sgpr4_sgpr5
                                        ; implicit-def: $vgpr32_vgpr33
                                        ; implicit-def: $vgpr30_vgpr31
                                        ; implicit-def: $vgpr28_vgpr29
                                        ; implicit-def: $vgpr24_vgpr25
                                        ; implicit-def: $vgpr22_vgpr23
	s_and_saveexec_b64 s[30:31], vcc
	s_cbranch_execz .LBB1154_111
; %bb.88:
	v_cmp_ne_u32_e32 vcc, v57, v54
	v_add_u32_e32 v10, 11, v89
	s_mov_b64 s[36:37], 0
	v_cndmask_b32_e64 v77, 0, 1, vcc
	v_cmp_gt_u32_e32 vcc, s3, v10
	s_mov_b32 s42, 0
	v_mov_b64_e32 v[10:11], s[38:39]
	v_mov_b32_e32 v12, 0
	v_mov_b32_e32 v75, 0
	v_mov_b64_e32 v[14:15], s[38:39]
	v_mov_b64_e32 v[16:17], s[38:39]
	v_mov_b64_e32 v[18:19], s[38:39]
	v_mov_b64_e32 v[26:27], s[38:39]
	v_mov_b32_e32 v87, 0
	v_mov_b32_e32 v86, 0
	;; [unrolled: 1-line block ×10, first 2 shown]
                                        ; implicit-def: $sgpr4_sgpr5
                                        ; implicit-def: $vgpr32_vgpr33
                                        ; implicit-def: $vgpr30_vgpr31
                                        ; implicit-def: $vgpr28_vgpr29
                                        ; implicit-def: $vgpr24_vgpr25
                                        ; implicit-def: $vgpr22_vgpr23
	s_and_saveexec_b64 s[34:35], vcc
	s_cbranch_execz .LBB1154_110
; %bb.89:
	ds_read2_b32 v[22:23], v13 offset0:11 offset1:12
	v_cmp_ne_u32_e32 vcc, v54, v55
	v_add_u32_e32 v10, 12, v89
	v_mov_b32_e32 v27, 0
	s_mov_b32 s43, s42
	v_cndmask_b32_e64 v78, 0, 1, vcc
	v_cmp_gt_u32_e32 vcc, s3, v10
	s_waitcnt lgkmcnt(0)
	v_mov_b32_e32 v26, v22
	s_mov_b64 s[38:39], 0
	v_mov_b64_e32 v[10:11], s[42:43]
	v_mov_b64_e32 v[14:15], s[42:43]
	;; [unrolled: 1-line block ×4, first 2 shown]
	v_mov_b32_e32 v12, v27
	v_mov_b32_e32 v75, v27
	v_mov_b32_e32 v87, v27
	v_mov_b32_e32 v86, v27
	v_mov_b32_e32 v85, v27
	v_mov_b32_e32 v84, v27
	v_mov_b32_e32 v83, v27
	v_mov_b32_e32 v82, v27
	v_mov_b32_e32 v81, v27
	v_mov_b32_e32 v80, v27
	v_mov_b32_e32 v79, v27
                                        ; implicit-def: $sgpr4_sgpr5
                                        ; implicit-def: $vgpr32_vgpr33
                                        ; implicit-def: $vgpr30_vgpr31
                                        ; implicit-def: $vgpr28_vgpr29
                                        ; implicit-def: $vgpr24_vgpr25
	s_and_saveexec_b64 s[36:37], vcc
	s_cbranch_execz .LBB1154_109
; %bb.90:
	v_cmp_ne_u32_e32 vcc, v55, v52
	v_add_u32_e32 v10, 13, v89
	s_mov_b64 s[40:41], 0
	v_cndmask_b32_e64 v79, 0, 1, vcc
	v_cmp_gt_u32_e32 vcc, s3, v10
	s_mov_b32 s46, 0
	v_mov_b64_e32 v[10:11], s[42:43]
	v_mov_b32_e32 v12, 0
	v_mov_b32_e32 v75, 0
	v_mov_b64_e32 v[14:15], s[42:43]
	v_mov_b64_e32 v[16:17], s[42:43]
	;; [unrolled: 1-line block ×3, first 2 shown]
	v_mov_b32_e32 v87, 0
	v_mov_b32_e32 v86, 0
	;; [unrolled: 1-line block ×8, first 2 shown]
                                        ; implicit-def: $sgpr4_sgpr5
                                        ; implicit-def: $vgpr32_vgpr33
                                        ; implicit-def: $vgpr30_vgpr31
                                        ; implicit-def: $vgpr28_vgpr29
                                        ; implicit-def: $vgpr24_vgpr25
	s_and_saveexec_b64 s[38:39], vcc
	s_cbranch_execz .LBB1154_108
; %bb.91:
	ds_read2_b32 v[24:25], v13 offset0:13 offset1:14
	v_cmp_ne_u32_e32 vcc, v52, v53
	v_add_u32_e32 v10, 14, v89
	v_mov_b32_e32 v19, 0
	s_mov_b32 s47, s46
	v_cndmask_b32_e64 v80, 0, 1, vcc
	v_cmp_gt_u32_e32 vcc, s3, v10
	s_waitcnt lgkmcnt(0)
	v_mov_b32_e32 v18, v24
	s_mov_b64 s[42:43], 0
	v_mov_b64_e32 v[10:11], s[46:47]
	v_mov_b64_e32 v[14:15], s[46:47]
	;; [unrolled: 1-line block ×3, first 2 shown]
	v_mov_b32_e32 v12, v19
	v_mov_b32_e32 v75, v19
	;; [unrolled: 1-line block ×9, first 2 shown]
                                        ; implicit-def: $sgpr4_sgpr5
                                        ; implicit-def: $vgpr32_vgpr33
                                        ; implicit-def: $vgpr30_vgpr31
                                        ; implicit-def: $vgpr28_vgpr29
	s_and_saveexec_b64 s[40:41], vcc
	s_cbranch_execz .LBB1154_107
; %bb.92:
	v_cmp_ne_u32_e32 vcc, v53, v50
	v_add_u32_e32 v10, 15, v89
	s_mov_b64 s[44:45], 0
	v_cndmask_b32_e64 v81, 0, 1, vcc
	v_cmp_gt_u32_e32 vcc, s3, v10
	s_mov_b32 s50, 0
	v_mov_b64_e32 v[10:11], s[46:47]
	v_mov_b32_e32 v12, 0
	v_mov_b32_e32 v75, 0
	v_mov_b64_e32 v[14:15], s[46:47]
	v_mov_b64_e32 v[16:17], s[46:47]
	v_mov_b32_e32 v87, 0
	v_mov_b32_e32 v86, 0
	;; [unrolled: 1-line block ×6, first 2 shown]
                                        ; implicit-def: $sgpr4_sgpr5
                                        ; implicit-def: $vgpr32_vgpr33
                                        ; implicit-def: $vgpr30_vgpr31
                                        ; implicit-def: $vgpr28_vgpr29
	s_and_saveexec_b64 s[42:43], vcc
	s_cbranch_execz .LBB1154_106
; %bb.93:
	ds_read2_b32 v[28:29], v13 offset0:15 offset1:16
	v_cmp_ne_u32_e32 vcc, v50, v51
	v_add_u32_e32 v10, 16, v89
	v_mov_b32_e32 v17, 0
	s_mov_b32 s51, s50
	v_cndmask_b32_e64 v82, 0, 1, vcc
	v_cmp_gt_u32_e32 vcc, s3, v10
	s_waitcnt lgkmcnt(0)
	v_mov_b32_e32 v16, v28
	s_mov_b64 s[46:47], 0
	v_mov_b64_e32 v[10:11], s[50:51]
	v_mov_b64_e32 v[14:15], s[50:51]
	v_mov_b32_e32 v12, v17
	v_mov_b32_e32 v75, v17
	;; [unrolled: 1-line block ×7, first 2 shown]
                                        ; implicit-def: $sgpr4_sgpr5
                                        ; implicit-def: $vgpr32_vgpr33
                                        ; implicit-def: $vgpr30_vgpr31
	s_and_saveexec_b64 s[44:45], vcc
	s_cbranch_execz .LBB1154_105
; %bb.94:
	v_cmp_ne_u32_e32 vcc, v51, v48
	v_add_u32_e32 v10, 17, v89
	s_mov_b64 s[48:49], 0
	v_cndmask_b32_e64 v83, 0, 1, vcc
	v_cmp_gt_u32_e32 vcc, s3, v10
	s_mov_b32 s78, 0
	v_mov_b64_e32 v[10:11], s[50:51]
	v_mov_b32_e32 v12, 0
	v_mov_b32_e32 v75, 0
	v_mov_b64_e32 v[14:15], s[50:51]
	v_mov_b32_e32 v87, 0
	v_mov_b32_e32 v86, 0
	;; [unrolled: 1-line block ×4, first 2 shown]
                                        ; implicit-def: $sgpr4_sgpr5
                                        ; implicit-def: $vgpr32_vgpr33
                                        ; implicit-def: $vgpr30_vgpr31
	s_and_saveexec_b64 s[46:47], vcc
	s_cbranch_execz .LBB1154_104
; %bb.95:
	ds_read2_b32 v[30:31], v13 offset0:17 offset1:18
	v_cmp_ne_u32_e32 vcc, v48, v49
	v_add_u32_e32 v10, 18, v89
	v_mov_b32_e32 v15, 0
	s_mov_b32 s79, s78
	v_cndmask_b32_e64 v84, 0, 1, vcc
	v_cmp_gt_u32_e32 vcc, s3, v10
	s_waitcnt lgkmcnt(0)
	v_mov_b32_e32 v14, v30
	s_mov_b64 s[50:51], 0
	v_mov_b64_e32 v[10:11], s[78:79]
	v_mov_b32_e32 v12, v15
	v_mov_b32_e32 v75, v15
	;; [unrolled: 1-line block ×5, first 2 shown]
                                        ; implicit-def: $sgpr4_sgpr5
                                        ; implicit-def: $vgpr32_vgpr33
	s_and_saveexec_b64 s[48:49], vcc
	s_cbranch_execz .LBB1154_103
; %bb.96:
	v_cmp_ne_u32_e32 vcc, v49, v46
	v_add_u32_e32 v10, 19, v89
	s_mov_b64 s[56:57], 0
	v_cndmask_b32_e64 v85, 0, 1, vcc
	v_cmp_gt_u32_e32 vcc, s3, v10
	v_mov_b64_e32 v[10:11], s[78:79]
	v_mov_b32_e32 v12, 0
	v_mov_b32_e32 v75, 0
	;; [unrolled: 1-line block ×4, first 2 shown]
                                        ; implicit-def: $sgpr4_sgpr5
                                        ; implicit-def: $vgpr32_vgpr33
	s_and_saveexec_b64 s[50:51], vcc
	s_cbranch_execz .LBB1154_102
; %bb.97:
	ds_read2_b32 v[32:33], v13 offset0:19 offset1:20
	v_cmp_ne_u32_e32 vcc, v46, v47
	v_add_u32_e32 v10, 20, v89
	v_mov_b32_e32 v11, 0
	v_cndmask_b32_e64 v86, 0, 1, vcc
	v_cmp_gt_u32_e32 vcc, s3, v10
	s_waitcnt lgkmcnt(0)
	v_mov_b32_e32 v10, v32
	s_mov_b64 s[78:79], 0
	v_mov_b32_e32 v12, v11
	v_mov_b32_e32 v75, v11
	;; [unrolled: 1-line block ×3, first 2 shown]
                                        ; implicit-def: $sgpr4_sgpr5
	s_and_saveexec_b64 s[56:57], vcc
	s_cbranch_execz .LBB1154_101
; %bb.98:
	v_cmp_ne_u32_e32 vcc, v47, v40
	v_add_u32_e32 v10, 21, v89
	v_mov_b32_e32 v12, 0
	v_cndmask_b32_e64 v87, 0, 1, vcc
	v_cmp_gt_u32_e32 vcc, s3, v10
	v_mov_b32_e32 v75, 0
                                        ; implicit-def: $sgpr80_sgpr81
	s_and_saveexec_b64 s[4:5], vcc
	s_xor_b64 s[82:83], exec, s[4:5]
	s_cbranch_execz .LBB1154_100
; %bb.99:
	ds_read2_b32 v[12:13], v13 offset0:21 offset1:22
	v_cmp_ne_u32_e64 s[4:5], v40, v41
	v_add_u32_e32 v10, 22, v89
	v_cmp_ne_u32_e32 vcc, v41, v88
	v_cndmask_b32_e64 v75, 0, 1, s[4:5]
	v_cmp_gt_u32_e64 s[4:5], s3, v10
	s_and_b64 s[80:81], vcc, exec
	s_and_b64 s[78:79], s[4:5], exec
.LBB1154_100:
	s_or_b64 exec, exec, s[82:83]
	s_and_b64 s[4:5], s[80:81], exec
	s_and_b64 s[78:79], s[78:79], exec
	v_mov_b64_e32 v[10:11], v[32:33]
.LBB1154_101:
	s_or_b64 exec, exec, s[56:57]
	s_and_b64 s[4:5], s[4:5], exec
	s_and_b64 s[56:57], s[78:79], exec
.LBB1154_102:
	s_or_b64 exec, exec, s[50:51]
	s_and_b64 s[4:5], s[4:5], exec
	s_and_b64 s[50:51], s[56:57], exec
	v_mov_b64_e32 v[14:15], v[30:31]
.LBB1154_103:
	s_or_b64 exec, exec, s[48:49]
	s_and_b64 s[4:5], s[4:5], exec
	s_and_b64 s[48:49], s[50:51], exec
.LBB1154_104:
	s_or_b64 exec, exec, s[46:47]
	s_and_b64 s[4:5], s[4:5], exec
	s_and_b64 s[46:47], s[48:49], exec
	v_mov_b64_e32 v[16:17], v[28:29]
.LBB1154_105:
	s_or_b64 exec, exec, s[44:45]
	s_and_b64 s[4:5], s[4:5], exec
	s_and_b64 s[44:45], s[46:47], exec
.LBB1154_106:
	s_or_b64 exec, exec, s[42:43]
	s_and_b64 s[4:5], s[4:5], exec
	s_and_b64 s[42:43], s[44:45], exec
	v_mov_b64_e32 v[18:19], v[24:25]
.LBB1154_107:
	s_or_b64 exec, exec, s[40:41]
	s_and_b64 s[4:5], s[4:5], exec
	s_and_b64 s[40:41], s[42:43], exec
.LBB1154_108:
	s_or_b64 exec, exec, s[38:39]
	s_and_b64 s[4:5], s[4:5], exec
	s_and_b64 s[38:39], s[40:41], exec
	v_mov_b64_e32 v[26:27], v[22:23]
.LBB1154_109:
	s_or_b64 exec, exec, s[36:37]
	s_and_b64 s[4:5], s[4:5], exec
	s_and_b64 s[36:37], s[38:39], exec
.LBB1154_110:
	s_or_b64 exec, exec, s[34:35]
	s_and_b64 s[4:5], s[4:5], exec
	s_and_b64 s[34:35], s[36:37], exec
	v_mov_b64_e32 v[34:35], v[20:21]
.LBB1154_111:
	s_or_b64 exec, exec, s[30:31]
	s_and_b64 s[4:5], s[4:5], exec
	s_and_b64 s[30:31], s[34:35], exec
.LBB1154_112:
	s_or_b64 exec, exec, s[28:29]
	s_and_b64 s[4:5], s[4:5], exec
	s_and_b64 s[28:29], s[30:31], exec
	v_mov_b64_e32 v[36:37], v[8:9]
.LBB1154_113:
	s_or_b64 exec, exec, s[26:27]
	s_and_b64 s[4:5], s[4:5], exec
	s_and_b64 s[26:27], s[28:29], exec
.LBB1154_114:
	s_or_b64 exec, exec, s[24:25]
	s_and_b64 s[4:5], s[4:5], exec
	s_and_b64 s[24:25], s[26:27], exec
	v_mov_b64_e32 v[38:39], v[6:7]
.LBB1154_115:
	s_or_b64 exec, exec, s[22:23]
	s_and_b64 s[4:5], s[4:5], exec
	s_and_b64 s[22:23], s[24:25], exec
.LBB1154_116:
	s_or_b64 exec, exec, s[20:21]
	s_and_b64 s[4:5], s[4:5], exec
	s_and_b64 s[20:21], s[22:23], exec
	v_mov_b64_e32 v[42:43], v[4:5]
.LBB1154_117:
	s_or_b64 exec, exec, s[18:19]
	s_and_b64 s[4:5], s[4:5], exec
	s_and_b64 s[18:19], s[20:21], exec
.LBB1154_118:
	s_or_b64 exec, exec, s[16:17]
	s_and_b64 s[4:5], s[4:5], exec
	s_and_b64 s[16:17], s[18:19], exec
	v_mov_b64_e32 v[44:45], v[2:3]
.LBB1154_119:
	s_or_b64 exec, exec, s[14:15]
	s_and_b64 s[4:5], s[4:5], exec
	s_and_b64 s[14:15], s[16:17], exec
.LBB1154_120:
	s_or_b64 exec, exec, s[12:13]
	s_and_b64 s[4:5], s[4:5], exec
	s_and_b64 s[12:13], s[14:15], exec
.LBB1154_121:
	s_or_b64 exec, exec, s[10:11]
	s_mov_b32 s3, 0
	s_and_b64 vcc, exec, s[8:9]
	v_lshlrev_b32_e32 v40, 2, v0
	s_cbranch_vccnz .LBB1154_123
	s_branch .LBB1154_131
.LBB1154_122:
                                        ; implicit-def: $sgpr4_sgpr5
                                        ; implicit-def: $vgpr12_vgpr13
                                        ; implicit-def: $vgpr32_vgpr33
                                        ; implicit-def: $vgpr30_vgpr31
                                        ; implicit-def: $vgpr28_vgpr29
                                        ; implicit-def: $vgpr24_vgpr25
                                        ; implicit-def: $vgpr22_vgpr23
                                        ; implicit-def: $vgpr20_vgpr21
                                        ; implicit-def: $vgpr8_vgpr9
                                        ; implicit-def: $vgpr6_vgpr7
                                        ; implicit-def: $vgpr4_vgpr5
                                        ; implicit-def: $vgpr2_vgpr3
                                        ; implicit-def: $vgpr66
                                        ; implicit-def: $vgpr75
                                        ; implicit-def: $vgpr1
                                        ; implicit-def: $vgpr87
                                        ; implicit-def: $vgpr67
                                        ; implicit-def: $vgpr86
                                        ; implicit-def: $vgpr85
                                        ; implicit-def: $vgpr68
                                        ; implicit-def: $vgpr84
                                        ; implicit-def: $vgpr83
                                        ; implicit-def: $vgpr69
                                        ; implicit-def: $vgpr82
                                        ; implicit-def: $vgpr81
                                        ; implicit-def: $vgpr70
                                        ; implicit-def: $vgpr80
                                        ; implicit-def: $vgpr79
                                        ; implicit-def: $vgpr71
                                        ; implicit-def: $vgpr78
                                        ; implicit-def: $vgpr77
                                        ; implicit-def: $vgpr72
                                        ; implicit-def: $vgpr76
                                        ; implicit-def: $vgpr74
                                        ; implicit-def: $vgpr73
                                        ; implicit-def: $vgpr10_vgpr11
                                        ; implicit-def: $vgpr14_vgpr15
                                        ; implicit-def: $vgpr16_vgpr17
                                        ; implicit-def: $vgpr18_vgpr19
                                        ; implicit-def: $vgpr26_vgpr27
                                        ; implicit-def: $vgpr34_vgpr35
                                        ; implicit-def: $vgpr36_vgpr37
                                        ; implicit-def: $vgpr38_vgpr39
                                        ; implicit-def: $vgpr42_vgpr43
                                        ; implicit-def: $vgpr44_vgpr45
                                        ; implicit-def: $sgpr3
                                        ; implicit-def: $sgpr6
	s_and_b64 vcc, exec, s[8:9]
	v_lshlrev_b32_e32 v40, 2, v0
	s_cbranch_vccz .LBB1154_131
.LBB1154_123:
	v_mov_b32_e32 v41, 0
	v_lshl_add_u64 v[2:3], s[72:73], 0, v[40:41]
	v_add_co_u32_e32 v4, vcc, 0x1000, v2
	s_movk_i32 s3, 0x58
	s_nop 0
	v_addc_co_u32_e32 v5, vcc, 0, v3, vcc
	s_waitcnt lgkmcnt(0)
	flat_load_dword v1, v[2:3]
	flat_load_dword v8, v[2:3] offset:1024
	flat_load_dword v9, v[2:3] offset:2048
	;; [unrolled: 1-line block ×3, first 2 shown]
	flat_load_dword v11, v[4:5]
	flat_load_dword v12, v[4:5] offset:1024
	flat_load_dword v13, v[4:5] offset:2048
	;; [unrolled: 1-line block ×3, first 2 shown]
	v_add_co_u32_e32 v4, vcc, 0x2000, v2
	v_mad_u32_u24 v26, v0, s3, v40
	s_nop 0
	v_addc_co_u32_e32 v5, vcc, 0, v3, vcc
	v_add_co_u32_e32 v6, vcc, 0x3000, v2
	s_cmp_eq_u64 s[76:77], 0
	s_nop 0
	v_addc_co_u32_e32 v7, vcc, 0, v3, vcc
	flat_load_dword v15, v[4:5]
	flat_load_dword v16, v[4:5] offset:1024
	flat_load_dword v17, v[4:5] offset:2048
	;; [unrolled: 1-line block ×3, first 2 shown]
	flat_load_dword v19, v[6:7]
	flat_load_dword v20, v[6:7] offset:1024
	flat_load_dword v21, v[6:7] offset:2048
	flat_load_dword v22, v[6:7] offset:3072
	v_add_co_u32_e32 v4, vcc, 0x4000, v2
	s_nop 1
	v_addc_co_u32_e32 v5, vcc, 0, v3, vcc
	v_add_co_u32_e32 v2, vcc, 0x5000, v2
	s_nop 1
	v_addc_co_u32_e32 v3, vcc, 0, v3, vcc
	flat_load_dword v6, v[4:5]
	flat_load_dword v7, v[4:5] offset:1024
	flat_load_dword v23, v[4:5] offset:2048
	;; [unrolled: 1-line block ×3, first 2 shown]
	flat_load_dword v25, v[2:3]
	flat_load_dword v27, v[2:3] offset:1024
	flat_load_dword v28, v[2:3] offset:2048
	s_waitcnt vmcnt(0) lgkmcnt(0)
	ds_write2st64_b32 v40, v1, v8 offset1:4
	ds_write2st64_b32 v40, v9, v10 offset0:8 offset1:12
	ds_write2st64_b32 v40, v11, v12 offset0:16 offset1:20
	;; [unrolled: 1-line block ×10, first 2 shown]
	ds_write_b32 v40, v28 offset:22528
	s_waitcnt lgkmcnt(0)
	s_barrier
	ds_read2_b32 v[10:11], v26 offset1:1
	ds_read2_b32 v[2:3], v26 offset0:2 offset1:3
	ds_read2_b32 v[4:5], v26 offset0:4 offset1:5
	;; [unrolled: 1-line block ×10, first 2 shown]
	ds_read_b32 v1, v26 offset:88
	s_cbranch_scc1 .LBB1154_128
; %bb.124:
	s_andn2_b64 vcc, exec, s[74:75]
	s_cbranch_vccnz .LBB1154_294
; %bb.125:
	s_lshl_b64 s[4:5], s[76:77], 2
	s_add_u32 s3, s62, s4
	s_addc_u32 s5, s63, s5
	s_add_u32 s4, s3, -4
	s_addc_u32 s5, s5, -1
	s_cbranch_execnz .LBB1154_127
.LBB1154_126:
	s_add_u32 s4, s72, -4
	s_addc_u32 s5, s73, -1
.LBB1154_127:
	s_mov_b64 s[72:73], s[4:5]
.LBB1154_128:
	v_mov_b64_e32 v[24:25], s[72:73]
	flat_load_dword v27, v[24:25]
	s_movk_i32 s3, 0xffa8
	v_mad_i32_i24 v24, v0, s3, v26
	v_cmp_ne_u32_e32 vcc, 0, v0
	s_waitcnt lgkmcnt(0)
	ds_write_b32 v24, v1 offset:23552
	s_waitcnt lgkmcnt(0)
	s_barrier
	s_and_saveexec_b64 s[4:5], vcc
	s_cbranch_execz .LBB1154_130
; %bb.129:
	v_mul_i32_i24_e32 v24, 0xffffffa8, v0
	v_add_u32_e32 v24, v26, v24
	s_waitcnt vmcnt(0)
	ds_read_b32 v27, v24 offset:23548
.LBB1154_130:
	s_or_b64 exec, exec, s[4:5]
	v_mov_b32_e32 v41, 0
	v_lshl_add_u64 v[24:25], s[52:53], 0, v[40:41]
	s_movk_i32 s3, 0x1000
	v_add_co_u32_e32 v28, vcc, s3, v24
	s_movk_i32 s3, 0x2000
	s_nop 0
	v_addc_co_u32_e32 v29, vcc, 0, v25, vcc
	s_waitcnt lgkmcnt(0)
	s_barrier
	flat_load_dword v32, v[24:25]
	flat_load_dword v33, v[24:25] offset:1024
	flat_load_dword v34, v[24:25] offset:2048
	;; [unrolled: 1-line block ×3, first 2 shown]
	flat_load_dword v36, v[28:29]
	flat_load_dword v37, v[28:29] offset:1024
	flat_load_dword v38, v[28:29] offset:2048
	;; [unrolled: 1-line block ×3, first 2 shown]
	v_add_co_u32_e32 v28, vcc, s3, v24
	s_movk_i32 s3, 0x3000
	s_nop 0
	v_addc_co_u32_e32 v29, vcc, 0, v25, vcc
	v_add_co_u32_e32 v30, vcc, s3, v24
	s_movk_i32 s3, 0x4000
	s_nop 0
	v_addc_co_u32_e32 v31, vcc, 0, v25, vcc
	flat_load_dword v41, v[28:29]
	flat_load_dword v42, v[28:29] offset:1024
	flat_load_dword v43, v[28:29] offset:2048
	;; [unrolled: 1-line block ×3, first 2 shown]
	flat_load_dword v45, v[30:31]
	flat_load_dword v46, v[30:31] offset:1024
	flat_load_dword v47, v[30:31] offset:2048
	;; [unrolled: 1-line block ×3, first 2 shown]
	v_add_co_u32_e32 v28, vcc, s3, v24
	s_movk_i32 s3, 0x5000
	s_nop 0
	v_addc_co_u32_e32 v29, vcc, 0, v25, vcc
	v_add_co_u32_e32 v24, vcc, s3, v24
	v_cmp_ne_u32_e64 s[4:5], v23, v1
	s_nop 0
	v_addc_co_u32_e32 v25, vcc, 0, v25, vcc
	flat_load_dword v30, v[28:29]
	flat_load_dword v31, v[28:29] offset:1024
	flat_load_dword v49, v[28:29] offset:2048
	;; [unrolled: 1-line block ×3, first 2 shown]
	flat_load_dword v51, v[24:25]
	flat_load_dword v52, v[24:25] offset:1024
	flat_load_dword v53, v[24:25] offset:2048
	v_cmp_ne_u32_e32 vcc, v22, v23
	s_mov_b64 s[12:13], -1
                                        ; implicit-def: $sgpr3
                                        ; implicit-def: $sgpr6
	s_waitcnt vmcnt(0) lgkmcnt(0)
	ds_write2st64_b32 v40, v32, v33 offset1:4
	ds_write2st64_b32 v40, v34, v35 offset0:8 offset1:12
	ds_write2st64_b32 v40, v36, v37 offset0:16 offset1:20
	;; [unrolled: 1-line block ×10, first 2 shown]
	ds_write_b32 v40, v53 offset:22528
	v_cndmask_b32_e64 v75, 0, 1, vcc
	v_cmp_ne_u32_e32 vcc, v21, v22
	s_waitcnt lgkmcnt(0)
	s_barrier
	v_cndmask_b32_e64 v87, 0, 1, vcc
	v_cmp_ne_u32_e32 vcc, v20, v21
	s_waitcnt lgkmcnt(0)
                                        ; implicit-def: $vgpr34_vgpr35
                                        ; implicit-def: $vgpr36_vgpr37
                                        ; implicit-def: $vgpr38_vgpr39
                                        ; implicit-def: $vgpr42_vgpr43
                                        ; implicit-def: $vgpr44_vgpr45
	s_nop 0
	v_cndmask_b32_e64 v86, 0, 1, vcc
	v_cmp_ne_u32_e32 vcc, v19, v20
	s_nop 1
	v_cndmask_b32_e64 v85, 0, 1, vcc
	v_cmp_ne_u32_e32 vcc, v18, v19
	;; [unrolled: 3-line block ×3, first 2 shown]
                                        ; implicit-def: $vgpr18_vgpr19
	s_nop 1
	v_cndmask_b32_e64 v83, 0, 1, vcc
	v_cmp_ne_u32_e32 vcc, v16, v17
	s_nop 1
	v_cndmask_b32_e64 v82, 0, 1, vcc
	v_cmp_ne_u32_e32 vcc, v15, v16
                                        ; implicit-def: $vgpr16_vgpr17
	s_nop 1
	v_cndmask_b32_e64 v81, 0, 1, vcc
	v_cmp_ne_u32_e32 vcc, v14, v15
	s_nop 1
	v_cndmask_b32_e64 v80, 0, 1, vcc
	v_cmp_ne_u32_e32 vcc, v13, v14
                                        ; implicit-def: $vgpr14_vgpr15
	s_nop 1
	v_cndmask_b32_e64 v79, 0, 1, vcc
	v_cmp_ne_u32_e32 vcc, v12, v13
	s_nop 1
	v_cndmask_b32_e64 v78, 0, 1, vcc
	v_cmp_ne_u32_e32 vcc, v9, v12
	;; [unrolled: 3-line block ×10, first 2 shown]
	ds_read_b32 v1, v26
	ds_read2_b32 v[2:3], v26 offset0:1 offset1:2
	ds_read2_b32 v[4:5], v26 offset0:3 offset1:4
	;; [unrolled: 1-line block ×11, first 2 shown]
	v_cndmask_b32_e64 v68, 0, 1, vcc
	v_cmp_ne_u32_e32 vcc, v10, v11
	s_nop 1
	v_cndmask_b32_e64 v67, 0, 1, vcc
	v_cmp_ne_u32_e32 vcc, v27, v10
                                        ; implicit-def: $vgpr10_vgpr11
                                        ; implicit-def: $vgpr26_vgpr27
	s_nop 1
	v_cndmask_b32_e64 v66, 0, 1, vcc
.LBB1154_131:
	v_mov_b32_e32 v46, s6
	v_mov_b32_e32 v41, s3
	s_and_saveexec_b64 s[6:7], s[12:13]
	s_cbranch_execz .LBB1154_133
; %bb.132:
	v_cndmask_b32_e64 v46, 0, 1, s[4:5]
	s_waitcnt lgkmcnt(0)
	v_mov_b32_e32 v41, v13
	v_mov_b64_e32 v[44:45], v[2:3]
	v_mov_b64_e32 v[42:43], v[4:5]
	v_mov_b64_e32 v[38:39], v[6:7]
	v_mov_b64_e32 v[36:37], v[8:9]
	v_mov_b64_e32 v[34:35], v[20:21]
	v_mov_b64_e32 v[26:27], v[22:23]
	v_mov_b64_e32 v[18:19], v[24:25]
	v_mov_b64_e32 v[16:17], v[28:29]
	v_mov_b64_e32 v[14:15], v[30:31]
	v_mov_b64_e32 v[10:11], v[32:33]
.LBB1154_133:
	s_or_b64 exec, exec, s[6:7]
	s_waitcnt lgkmcnt(10)
	v_or_b32_e32 v2, v46, v75
	s_cmp_lg_u32 s2, 0
	s_waitcnt lgkmcnt(4)
	v_or_b32_e32 v24, v2, v87
	s_waitcnt lgkmcnt(0)
	v_lshrrev_b32_e32 v13, 5, v0
	v_cmp_gt_u32_e32 vcc, 64, v0
	s_barrier
	s_cbranch_scc0 .LBB1154_196
; %bb.134:
	v_mov_b32_e32 v6, 0
	v_add_f32_e32 v2, v44, v1
	v_cmp_eq_u16_sdwa s[52:53], v67, v6 src0_sel:BYTE_0 src1_sel:DWORD
	v_cmp_eq_u16_sdwa s[4:5], v68, v6 src0_sel:BYTE_0 src1_sel:DWORD
	v_cmp_eq_u16_sdwa s[6:7], v69, v6 src0_sel:BYTE_0 src1_sel:DWORD
	v_cndmask_b32_e64 v2, v44, v2, s[52:53]
	v_add_f32_e32 v2, v45, v2
	v_cndmask_b32_e64 v2, v45, v2, s[4:5]
	v_add_f32_e32 v2, v42, v2
	v_cndmask_b32_e64 v2, v42, v2, s[6:7]
	v_add_f32_e32 v2, v43, v2
	v_cmp_eq_u16_sdwa s[8:9], v70, v6 src0_sel:BYTE_0 src1_sel:DWORD
	v_cmp_eq_u16_sdwa s[10:11], v71, v6 src0_sel:BYTE_0 src1_sel:DWORD
	v_cmp_eq_u16_sdwa s[12:13], v72, v6 src0_sel:BYTE_0 src1_sel:DWORD
	v_cndmask_b32_e64 v2, v43, v2, s[8:9]
	v_add_f32_e32 v2, v38, v2
	v_cndmask_b32_e64 v2, v38, v2, s[10:11]
	v_add_f32_e32 v2, v39, v2
	v_cndmask_b32_e64 v2, v39, v2, s[12:13]
	;; [unrolled: 9-line block ×7, first 2 shown]
	v_add_f32_e32 v2, v41, v2
	v_cmp_eq_u16_sdwa s[46:47], v46, v6 src0_sel:BYTE_0 src1_sel:DWORD
	v_and_b32_e32 v3, 0xff, v66
	s_nop 0
	v_cndmask_b32_e64 v25, v41, v2, s[46:47]
	v_or_b32_e32 v2, v24, v86
	v_or_b32_e32 v2, v2, v85
	v_or_b32_e32 v2, v2, v84
	v_or_b32_e32 v2, v2, v83
	v_or_b32_e32 v2, v2, v82
	v_or_b32_e32 v2, v2, v81
	v_or_b32_e32 v2, v2, v80
	v_or_b32_e32 v2, v2, v79
	v_or_b32_e32 v2, v2, v78
	v_or_b32_e32 v2, v2, v77
	v_or_b32_e32 v2, v2, v76
	v_or_b32_e32 v2, v2, v74
	v_or_b32_e32 v2, v2, v73
	v_or_b32_e32 v2, v2, v72
	v_or_b32_e32 v2, v2, v71
	v_or_b32_e32 v2, v2, v70
	v_or_b32_e32 v2, v2, v69
	v_or_b32_e32 v2, v2, v68
	v_or_b32_e32 v2, v2, v67
	v_and_b32_e32 v2, 1, v2
	v_cmp_eq_u32_e64 s[48:49], 1, v2
	v_add_lshl_u32 v2, v13, v0, 3
	s_nop 0
	v_cndmask_b32_e64 v28, v3, 1, s[48:49]
	ds_write_b32 v2, v25
	ds_write_b8 v2, v28 offset:4
	s_waitcnt lgkmcnt(0)
	s_barrier
	s_and_saveexec_b64 s[50:51], vcc
	s_cbranch_execz .LBB1154_148
; %bb.135:
	v_lshrrev_b32_e32 v2, 3, v0
	v_add_lshl_u32 v4, v2, v40, 3
	ds_read2_b32 v[8:9], v4 offset0:2 offset1:4
	ds_read_b64 v[2:3], v4
	ds_read_u8 v7, v4 offset:12
	ds_read_u8 v20, v4 offset:20
	ds_read_b32 v22, v4 offset:24
	ds_read_u8 v23, v4 offset:28
	s_waitcnt lgkmcnt(4)
	v_add_f32_e32 v5, v2, v8
	s_waitcnt lgkmcnt(3)
	v_cmp_eq_u16_sdwa s[48:49], v7, v6 src0_sel:BYTE_0 src1_sel:DWORD
	v_and_b32_e32 v21, 0xffffff00, v3
	s_nop 0
	v_cndmask_b32_e64 v8, v8, v5, s[48:49]
	v_add_f32_e32 v8, v9, v8
	s_waitcnt lgkmcnt(2)
	v_cmp_eq_u16_sdwa s[48:49], v20, v6 src0_sel:BYTE_0 src1_sel:DWORD
	v_and_b32_e32 v5, 1, v3
	s_nop 0
	v_cndmask_b32_e64 v6, v9, v8, s[48:49]
	s_waitcnt lgkmcnt(0)
	v_or_b32_e32 v8, v23, v20
	v_or_b32_e32 v7, v8, v7
	v_add_f32_e32 v6, v22, v6
	v_cmp_eq_u16_e64 s[48:49], 0, v23
	v_and_b32_e32 v7, 1, v7
	s_nop 0
	v_cndmask_b32_e64 v6, v22, v6, s[48:49]
	v_cmp_eq_u32_e64 s[48:49], 1, v7
	v_mbcnt_lo_u32_b32 v7, -1, 0
	v_mbcnt_hi_u32_b32 v7, -1, v7
	v_cndmask_b32_e64 v9, v5, 1, s[48:49]
	v_or_b32_e32 v8, v9, v21
	v_and_b32_e32 v20, 15, v7
	v_mov_b32_dpp v23, v6 row_shr:1 row_mask:0xf bank_mask:0xf
	v_mov_b32_dpp v22, v8 row_shr:1 row_mask:0xf bank_mask:0xf
	v_cmp_ne_u32_e64 s[48:49], 0, v20
	s_and_saveexec_b64 s[56:57], s[48:49]
; %bb.136:
	v_add_f32_e32 v8, v6, v23
	v_cmp_eq_u32_e64 s[48:49], 0, v9
	s_nop 1
	v_cndmask_b32_e64 v6, v6, v8, s[48:49]
	v_and_b32_e32 v8, 1, v9
	v_and_b32_e32 v9, 1, v22
	v_cmp_eq_u32_e64 s[48:49], 1, v8
	s_nop 1
	v_cndmask_b32_e64 v9, v9, 1, s[48:49]
	v_or_b32_e32 v8, v9, v21
; %bb.137:
	s_or_b64 exec, exec, s[56:57]
	v_mov_b32_dpp v22, v6 row_shr:2 row_mask:0xf bank_mask:0xf
	v_mov_b32_dpp v21, v8 row_shr:2 row_mask:0xf bank_mask:0xf
	v_cmp_lt_u32_e64 s[48:49], 1, v20
	s_and_saveexec_b64 s[56:57], s[48:49]
; %bb.138:
	v_add_f32_e32 v22, v6, v22
	v_cmp_eq_u32_e64 s[48:49], 0, v9
	v_and_b32_e32 v9, 1, v9
	v_and_b32_e32 v21, 1, v21
	v_cndmask_b32_e64 v6, v6, v22, s[48:49]
	v_cmp_eq_u32_e64 s[48:49], 1, v9
	s_movk_i32 s3, 0xff00
	s_nop 0
	v_cndmask_b32_e64 v9, v21, 1, s[48:49]
	v_and_or_b32 v8, v8, s3, v9
; %bb.139:
	s_or_b64 exec, exec, s[56:57]
	v_mov_b32_dpp v22, v6 row_shr:4 row_mask:0xf bank_mask:0xf
	v_mov_b32_dpp v21, v8 row_shr:4 row_mask:0xf bank_mask:0xf
	v_cmp_lt_u32_e64 s[48:49], 3, v20
	s_and_saveexec_b64 s[56:57], s[48:49]
; %bb.140:
	v_add_f32_e32 v22, v6, v22
	v_cmp_eq_u32_e64 s[48:49], 0, v9
	v_and_b32_e32 v9, 1, v9
	v_and_b32_e32 v21, 1, v21
	v_cndmask_b32_e64 v6, v6, v22, s[48:49]
	v_cmp_eq_u32_e64 s[48:49], 1, v9
	s_movk_i32 s3, 0xff00
	s_nop 0
	v_cndmask_b32_e64 v9, v21, 1, s[48:49]
	v_and_or_b32 v8, v8, s3, v9
; %bb.141:
	s_or_b64 exec, exec, s[56:57]
	v_mov_b32_dpp v22, v6 row_shr:8 row_mask:0xf bank_mask:0xf
	v_mov_b32_dpp v21, v8 row_shr:8 row_mask:0xf bank_mask:0xf
	v_cmp_lt_u32_e64 s[48:49], 7, v20
	s_and_saveexec_b64 s[56:57], s[48:49]
; %bb.142:
	v_add_f32_e32 v20, v6, v22
	v_cmp_eq_u32_e64 s[48:49], 0, v9
	v_and_b32_e32 v9, 1, v9
	s_movk_i32 s3, 0xff00
	v_cndmask_b32_e64 v6, v6, v20, s[48:49]
	v_and_b32_e32 v20, 1, v21
	v_cmp_eq_u32_e64 s[48:49], 1, v9
	s_nop 1
	v_cndmask_b32_e64 v9, v20, 1, s[48:49]
	v_and_or_b32 v8, v8, s3, v9
; %bb.143:
	s_or_b64 exec, exec, s[56:57]
	v_and_b32_e32 v22, 16, v7
	v_mov_b32_dpp v21, v6 row_bcast:15 row_mask:0xf bank_mask:0xf
	v_mov_b32_dpp v20, v8 row_bcast:15 row_mask:0xf bank_mask:0xf
	v_cmp_ne_u32_e64 s[48:49], 0, v22
	s_and_saveexec_b64 s[56:57], s[48:49]
; %bb.144:
	v_add_f32_e32 v21, v6, v21
	v_cmp_eq_u32_e64 s[48:49], 0, v9
	v_and_b32_e32 v9, 1, v9
	v_and_b32_e32 v20, 1, v20
	v_cndmask_b32_e64 v6, v6, v21, s[48:49]
	v_cmp_eq_u32_e64 s[48:49], 1, v9
	s_movk_i32 s3, 0xff00
	s_nop 0
	v_cndmask_b32_e64 v9, v20, 1, s[48:49]
	v_and_or_b32 v8, v8, s3, v9
; %bb.145:
	s_or_b64 exec, exec, s[56:57]
	v_mov_b32_dpp v21, v6 row_bcast:31 row_mask:0xf bank_mask:0xf
	v_mov_b32_dpp v20, v8 row_bcast:31 row_mask:0xf bank_mask:0xf
	v_cmp_lt_u32_e64 s[48:49], 31, v7
	s_and_saveexec_b64 s[56:57], s[48:49]
; %bb.146:
	v_add_f32_e32 v21, v6, v21
	v_cmp_eq_u32_e64 s[48:49], 0, v9
	v_and_b32_e32 v9, 1, v9
	v_and_b32_e32 v20, 1, v20
	v_cndmask_b32_e64 v6, v6, v21, s[48:49]
	v_cmp_eq_u32_e64 s[48:49], 1, v9
	s_movk_i32 s3, 0xff00
	s_nop 0
	v_cndmask_b32_e64 v9, v20, 1, s[48:49]
	v_and_or_b32 v8, v8, s3, v9
; %bb.147:
	s_or_b64 exec, exec, s[56:57]
	v_add_u32_e32 v9, -1, v7
	v_and_b32_e32 v20, 64, v7
	v_cmp_lt_i32_e64 s[48:49], v9, v20
	; wave barrier
	s_nop 1
	v_cndmask_b32_e64 v7, v9, v7, s[48:49]
	v_lshlrev_b32_e32 v7, 2, v7
	ds_bpermute_b32 v6, v7, v6
	ds_bpermute_b32 v7, v7, v8
	v_mov_b32_e32 v8, 0
	v_cmp_eq_u32_sdwa s[48:49], v3, v8 src0_sel:BYTE_0 src1_sel:DWORD
	s_waitcnt lgkmcnt(1)
	v_add_f32_e32 v6, v2, v6
	v_cndmask_b32_e64 v2, v2, v6, s[48:49]
	s_waitcnt lgkmcnt(0)
	v_and_b32_e32 v3, 1, v7
	v_cmp_eq_u32_e64 s[48:49], 1, v5
	s_nop 1
	v_cndmask_b32_e64 v3, v3, 1, s[48:49]
	v_cmp_eq_u32_e64 s[48:49], 0, v0
	s_nop 1
	v_cndmask_b32_e64 v5, v2, v25, s[48:49]
	v_cndmask_b32_e64 v6, v3, v28, s[48:49]
	ds_write_b32 v4, v5
	ds_write_b8 v4, v6 offset:4
	; wave barrier
	ds_read2_b32 v[2:3], v4 offset0:2 offset1:4
	ds_read_u8 v7, v4 offset:12
	ds_read_u8 v8, v4 offset:20
	ds_read_b32 v9, v4 offset:24
	ds_read_u8 v20, v4 offset:28
	s_waitcnt lgkmcnt(4)
	v_add_f32_e32 v5, v5, v2
	s_waitcnt lgkmcnt(3)
	v_cmp_eq_u16_e64 s[48:49], 0, v7
	s_nop 1
	v_cndmask_b32_e64 v2, v2, v5, s[48:49]
	v_and_b32_e32 v5, 1, v7
	v_cmp_eq_u32_e64 s[48:49], 1, v5
	s_nop 1
	v_cndmask_b32_e64 v5, v6, 1, s[48:49]
	v_add_f32_e32 v6, v2, v3
	s_waitcnt lgkmcnt(2)
	v_cmp_eq_u16_e64 s[48:49], 0, v8
	ds_write_b8 v4, v5 offset:12
	s_nop 0
	v_cndmask_b32_e64 v3, v3, v6, s[48:49]
	v_and_b32_e32 v6, 1, v8
	v_cmp_eq_u32_e64 s[48:49], 1, v6
	s_nop 1
	v_cndmask_b32_e64 v5, v5, 1, s[48:49]
	ds_write2_b32 v4, v2, v3 offset0:2 offset1:4
	ds_write_b8 v4, v5 offset:20
	s_waitcnt lgkmcnt(4)
	v_add_f32_e32 v2, v3, v9
	s_waitcnt lgkmcnt(3)
	v_cmp_eq_u16_e64 s[48:49], 0, v20
	v_and_b32_e32 v3, 1, v20
	s_nop 0
	v_cndmask_b32_e64 v2, v9, v2, s[48:49]
	v_cmp_eq_u32_e64 s[48:49], 1, v3
	s_nop 1
	v_cndmask_b32_e64 v3, v5, 1, s[48:49]
	ds_write_b32 v4, v2 offset:24
	ds_write_b8 v4, v3 offset:28
.LBB1154_148:
	s_or_b64 exec, exec, s[50:51]
	v_cmp_eq_u32_e64 s[48:49], 0, v0
	v_cmp_ne_u32_e64 s[50:51], 0, v0
	s_waitcnt lgkmcnt(0)
	s_barrier
	s_and_saveexec_b64 s[56:57], s[50:51]
	s_cbranch_execz .LBB1154_150
; %bb.149:
	v_add_u32_e32 v2, -1, v0
	v_lshrrev_b32_e32 v3, 5, v2
	v_add_lshl_u32 v2, v3, v2, 3
	ds_read_b32 v25, v2
	ds_read_u8 v28, v2 offset:4
.LBB1154_150:
	s_or_b64 exec, exec, s[56:57]
	s_and_saveexec_b64 s[56:57], vcc
	s_cbranch_execz .LBB1154_195
; %bb.151:
	v_mov_b32_e32 v5, 0
	ds_read_b64 v[2:3], v5 offset:2096
	v_mbcnt_lo_u32_b32 v4, -1, 0
	v_mbcnt_hi_u32_b32 v21, -1, v4
	s_mov_b32 s73, 0
	v_cmp_eq_u32_e64 s[50:51], 0, v21
	s_waitcnt lgkmcnt(0)
	v_readfirstlane_b32 s3, v3
	s_and_saveexec_b64 s[62:63], s[50:51]
	s_cbranch_execz .LBB1154_153
; %bb.152:
	s_add_i32 s72, s2, 64
	s_lshl_b64 s[74:75], s[72:73], 4
	s_add_u32 s74, s64, s74
	s_addc_u32 s75, s65, s75
	s_and_b32 s77, s3, 0xff000000
	s_mov_b32 s76, s73
	s_and_b32 s79, s3, 0xff0000
	s_mov_b32 s78, s73
	s_or_b64 s[76:77], s[78:79], s[76:77]
	s_and_b32 s79, s3, 0xff00
	s_or_b64 s[76:77], s[76:77], s[78:79]
	s_and_b32 s79, s3, 0xff
	s_or_b64 s[72:73], s[76:77], s[78:79]
	v_mov_b32_e32 v3, s73
	v_mov_b32_e32 v4, 1
	v_mov_b64_e32 v[6:7], s[74:75]
	;;#ASMSTART
	global_store_dwordx4 v[6:7], v[2:5] off sc1	
s_waitcnt vmcnt(0)
	;;#ASMEND
.LBB1154_153:
	s_or_b64 exec, exec, s[62:63]
	v_xad_u32 v20, v21, -1, s2
	v_add_u32_e32 v4, 64, v20
	v_lshl_add_u64 v[22:23], v[4:5], 4, s[64:65]
	;;#ASMSTART
	global_load_dwordx4 v[6:9], v[22:23] off sc1	
s_waitcnt vmcnt(0)
	;;#ASMEND
	s_nop 0
	v_cmp_eq_u16_sdwa s[72:73], v8, v5 src0_sel:BYTE_0 src1_sel:DWORD
	s_and_saveexec_b64 s[62:63], s[72:73]
	s_cbranch_execz .LBB1154_159
; %bb.154:
	s_mov_b32 s67, 1
	s_mov_b64 s[72:73], 0
	v_mov_b32_e32 v3, 0
.LBB1154_155:                           ; =>This Loop Header: Depth=1
                                        ;     Child Loop BB1154_156 Depth 2
	s_max_u32 s74, s67, 1
.LBB1154_156:                           ;   Parent Loop BB1154_155 Depth=1
                                        ; =>  This Inner Loop Header: Depth=2
	s_add_i32 s74, s74, -1
	s_cmp_eq_u32 s74, 0
	s_sleep 1
	s_cbranch_scc0 .LBB1154_156
; %bb.157:                              ;   in Loop: Header=BB1154_155 Depth=1
	s_cmp_lt_u32 s67, 32
	s_cselect_b64 s[74:75], -1, 0
	s_cmp_lg_u64 s[74:75], 0
	s_addc_u32 s67, s67, 0
	;;#ASMSTART
	global_load_dwordx4 v[6:9], v[22:23] off sc1	
s_waitcnt vmcnt(0)
	;;#ASMEND
	s_nop 0
	v_cmp_ne_u16_sdwa s[74:75], v8, v3 src0_sel:BYTE_0 src1_sel:DWORD
	s_or_b64 s[72:73], s[74:75], s[72:73]
	s_andn2_b64 exec, exec, s[72:73]
	s_cbranch_execnz .LBB1154_155
; %bb.158:
	s_or_b64 exec, exec, s[72:73]
.LBB1154_159:
	s_or_b64 exec, exec, s[62:63]
	v_mov_b32_e32 v3, 2
	v_cmp_eq_u16_sdwa s[62:63], v8, v3 src0_sel:BYTE_0 src1_sel:DWORD
	v_lshlrev_b64 v[4:5], v21, -1
	v_and_b32_e32 v22, 0xff, v7
	v_and_b32_e32 v3, s63, v5
	v_or_b32_e32 v3, 0x80000000, v3
	v_ffbl_b32_e32 v31, v3
	v_and_b32_e32 v3, 63, v21
	v_cmp_ne_u32_e32 vcc, 63, v3
	v_and_b32_e32 v9, s62, v4
	v_add_u32_e32 v31, 32, v31
	v_addc_co_u32_e32 v23, vcc, 0, v21, vcc
	v_lshlrev_b32_e32 v29, 2, v23
	ds_bpermute_b32 v30, v29, v6
	ds_bpermute_b32 v23, v29, v22
	v_ffbl_b32_e32 v9, v9
	v_min_u32_e32 v9, v9, v31
	v_cmp_lt_u32_e32 vcc, v3, v9
	s_and_saveexec_b64 s[62:63], vcc
	s_cbranch_execz .LBB1154_161
; %bb.160:
	v_mov_b32_e32 v22, 0
	s_waitcnt lgkmcnt(1)
	v_add_f32_e32 v30, v6, v30
	v_cmp_eq_u16_sdwa vcc, v7, v22 src0_sel:BYTE_0 src1_sel:DWORD
	v_and_b32_e32 v7, 1, v7
	s_waitcnt lgkmcnt(0)
	v_and_b32_e32 v22, 1, v23
	v_cndmask_b32_e32 v6, v6, v30, vcc
	v_cmp_eq_u32_e32 vcc, 1, v7
	s_nop 1
	v_cndmask_b32_e64 v7, v22, 1, vcc
	v_and_b32_e32 v22, 0xffff, v7
.LBB1154_161:
	s_or_b64 exec, exec, s[62:63]
	v_cmp_gt_u32_e32 vcc, 62, v3
	v_add_u32_e32 v31, 2, v3
	s_waitcnt lgkmcnt(0)
	v_cndmask_b32_e64 v23, 0, 1, vcc
	v_lshlrev_b32_e32 v23, 1, v23
	v_add_lshl_u32 v30, v23, v21, 2
	ds_bpermute_b32 v32, v30, v6
	ds_bpermute_b32 v23, v30, v22
	v_cmp_le_u32_e32 vcc, v31, v9
	s_and_saveexec_b64 s[62:63], vcc
	s_cbranch_execz .LBB1154_163
; %bb.162:
	v_mov_b32_e32 v22, 0
	s_waitcnt lgkmcnt(1)
	v_add_f32_e32 v32, v6, v32
	v_cmp_eq_u16_sdwa vcc, v7, v22 src0_sel:BYTE_0 src1_sel:DWORD
	v_and_b32_e32 v7, 1, v7
	s_waitcnt lgkmcnt(0)
	v_and_b32_e32 v22, 1, v23
	v_cndmask_b32_e32 v6, v6, v32, vcc
	v_cmp_eq_u32_e32 vcc, 1, v7
	s_nop 1
	v_cndmask_b32_e64 v7, v22, 1, vcc
	v_and_b32_e32 v22, 0xffff, v7
.LBB1154_163:
	s_or_b64 exec, exec, s[62:63]
	v_cmp_gt_u32_e32 vcc, 60, v3
	v_add_u32_e32 v33, 4, v3
	s_waitcnt lgkmcnt(0)
	v_cndmask_b32_e64 v23, 0, 1, vcc
	v_lshlrev_b32_e32 v23, 2, v23
	v_add_lshl_u32 v32, v23, v21, 2
	ds_bpermute_b32 v47, v32, v6
	ds_bpermute_b32 v23, v32, v22
	v_cmp_le_u32_e32 vcc, v33, v9
	;; [unrolled: 26-line block ×5, first 2 shown]
	s_and_saveexec_b64 s[62:63], vcc
	s_cbranch_execz .LBB1154_171
; %bb.170:
	v_mov_b32_e32 v9, 0
	s_waitcnt lgkmcnt(1)
	v_add_f32_e32 v22, v6, v23
	v_cmp_eq_u16_sdwa vcc, v7, v9 src0_sel:BYTE_0 src1_sel:DWORD
	v_and_b32_e32 v7, 1, v7
	s_waitcnt lgkmcnt(0)
	v_and_b32_e32 v9, 1, v21
	v_cndmask_b32_e32 v6, v6, v22, vcc
	v_cmp_eq_u32_e32 vcc, 1, v7
	s_nop 1
	v_cndmask_b32_e64 v7, v9, 1, vcc
.LBB1154_171:
	s_or_b64 exec, exec, s[62:63]
	s_waitcnt lgkmcnt(0)
	v_mov_b32_e32 v21, 0
	v_mov_b32_e32 v55, 2
	s_branch .LBB1154_173
.LBB1154_172:                           ;   in Loop: Header=BB1154_173 Depth=1
	s_or_b64 exec, exec, s[62:63]
	s_waitcnt lgkmcnt(0)
	ds_bpermute_b32 v23, v52, v6
	ds_bpermute_b32 v22, v52, v22
	v_and_b32_e32 v56, 1, v7
	v_cmp_eq_u16_sdwa vcc, v7, v21 src0_sel:BYTE_0 src1_sel:DWORD
	v_subrev_u32_e32 v20, 64, v20
	s_waitcnt lgkmcnt(1)
	v_add_f32_e32 v23, v6, v23
	v_cndmask_b32_e32 v23, v6, v23, vcc
	v_cmp_eq_u32_e32 vcc, 1, v56
	s_waitcnt lgkmcnt(0)
	s_nop 0
	v_cndmask_b32_e64 v22, v22, 1, vcc
	v_cmp_gt_u32_e32 vcc, v54, v9
	v_and_b32_e32 v9, 1, v51
	s_nop 0
	v_cndmask_b32_e32 v6, v23, v6, vcc
	v_cndmask_b32_e32 v7, v22, v7, vcc
	v_add_f32_e32 v6, v53, v6
	v_cmp_eq_u16_sdwa vcc, v51, v21 src0_sel:BYTE_0 src1_sel:DWORD
	v_and_b32_e32 v7, 1, v7
	s_nop 0
	v_cndmask_b32_e32 v6, v53, v6, vcc
	v_cmp_eq_u32_e32 vcc, 1, v9
	s_nop 1
	v_cndmask_b32_e64 v7, v7, 1, vcc
.LBB1154_173:                           ; =>This Loop Header: Depth=1
                                        ;     Child Loop BB1154_176 Depth 2
                                        ;       Child Loop BB1154_177 Depth 3
	v_cmp_ne_u16_sdwa s[62:63], v8, v55 src0_sel:BYTE_0 src1_sel:DWORD
	v_mov_b32_e32 v51, v7
	v_mov_b32_e32 v53, v6
	v_cndmask_b32_e64 v7, 0, 1, s[62:63]
	;;#ASMSTART
	;;#ASMEND
	s_nop 0
	v_cmp_ne_u32_e32 vcc, 0, v7
	s_cmp_lg_u64 vcc, exec
	s_cbranch_scc1 .LBB1154_190
; %bb.174:                              ;   in Loop: Header=BB1154_173 Depth=1
	v_lshl_add_u64 v[22:23], v[20:21], 4, s[64:65]
	;;#ASMSTART
	global_load_dwordx4 v[6:9], v[22:23] off sc1	
s_waitcnt vmcnt(0)
	;;#ASMEND
	s_nop 0
	v_cmp_eq_u16_sdwa s[72:73], v8, v21 src0_sel:BYTE_0 src1_sel:DWORD
	s_and_saveexec_b64 s[62:63], s[72:73]
	s_cbranch_execz .LBB1154_180
; %bb.175:                              ;   in Loop: Header=BB1154_173 Depth=1
	s_mov_b32 s67, 1
	s_mov_b64 s[72:73], 0
.LBB1154_176:                           ;   Parent Loop BB1154_173 Depth=1
                                        ; =>  This Loop Header: Depth=2
                                        ;       Child Loop BB1154_177 Depth 3
	s_max_u32 s74, s67, 1
.LBB1154_177:                           ;   Parent Loop BB1154_173 Depth=1
                                        ;     Parent Loop BB1154_176 Depth=2
                                        ; =>    This Inner Loop Header: Depth=3
	s_add_i32 s74, s74, -1
	s_cmp_eq_u32 s74, 0
	s_sleep 1
	s_cbranch_scc0 .LBB1154_177
; %bb.178:                              ;   in Loop: Header=BB1154_176 Depth=2
	s_cmp_lt_u32 s67, 32
	s_cselect_b64 s[74:75], -1, 0
	s_cmp_lg_u64 s[74:75], 0
	s_addc_u32 s67, s67, 0
	;;#ASMSTART
	global_load_dwordx4 v[6:9], v[22:23] off sc1	
s_waitcnt vmcnt(0)
	;;#ASMEND
	s_nop 0
	v_cmp_ne_u16_sdwa s[74:75], v8, v21 src0_sel:BYTE_0 src1_sel:DWORD
	s_or_b64 s[72:73], s[74:75], s[72:73]
	s_andn2_b64 exec, exec, s[72:73]
	s_cbranch_execnz .LBB1154_176
; %bb.179:                              ;   in Loop: Header=BB1154_173 Depth=1
	s_or_b64 exec, exec, s[72:73]
.LBB1154_180:                           ;   in Loop: Header=BB1154_173 Depth=1
	s_or_b64 exec, exec, s[62:63]
	v_cmp_eq_u16_sdwa s[62:63], v8, v55 src0_sel:BYTE_0 src1_sel:DWORD
	v_and_b32_e32 v22, 0xff, v7
	ds_bpermute_b32 v56, v29, v6
	v_and_b32_e32 v9, s63, v5
	v_or_b32_e32 v9, 0x80000000, v9
	ds_bpermute_b32 v23, v29, v22
	v_and_b32_e32 v57, s62, v4
	v_ffbl_b32_e32 v9, v9
	v_add_u32_e32 v9, 32, v9
	v_ffbl_b32_e32 v57, v57
	v_min_u32_e32 v9, v57, v9
	v_cmp_lt_u32_e32 vcc, v3, v9
	s_and_saveexec_b64 s[62:63], vcc
	s_cbranch_execz .LBB1154_182
; %bb.181:                              ;   in Loop: Header=BB1154_173 Depth=1
	s_waitcnt lgkmcnt(1)
	v_add_f32_e32 v22, v6, v56
	v_cmp_eq_u16_sdwa vcc, v7, v21 src0_sel:BYTE_0 src1_sel:DWORD
	v_and_b32_e32 v7, 1, v7
	s_nop 0
	v_cndmask_b32_e32 v6, v6, v22, vcc
	s_waitcnt lgkmcnt(0)
	v_and_b32_e32 v22, 1, v23
	v_cmp_eq_u32_e32 vcc, 1, v7
	s_nop 1
	v_cndmask_b32_e64 v7, v22, 1, vcc
	v_and_b32_e32 v22, 0xffff, v7
.LBB1154_182:                           ;   in Loop: Header=BB1154_173 Depth=1
	s_or_b64 exec, exec, s[62:63]
	s_waitcnt lgkmcnt(1)
	ds_bpermute_b32 v56, v30, v6
	s_waitcnt lgkmcnt(1)
	ds_bpermute_b32 v23, v30, v22
	v_cmp_le_u32_e32 vcc, v31, v9
	s_and_saveexec_b64 s[62:63], vcc
	s_cbranch_execz .LBB1154_184
; %bb.183:                              ;   in Loop: Header=BB1154_173 Depth=1
	s_waitcnt lgkmcnt(1)
	v_add_f32_e32 v22, v6, v56
	v_cmp_eq_u16_sdwa vcc, v7, v21 src0_sel:BYTE_0 src1_sel:DWORD
	v_and_b32_e32 v7, 1, v7
	s_nop 0
	v_cndmask_b32_e32 v6, v6, v22, vcc
	s_waitcnt lgkmcnt(0)
	v_and_b32_e32 v22, 1, v23
	v_cmp_eq_u32_e32 vcc, 1, v7
	s_nop 1
	v_cndmask_b32_e64 v7, v22, 1, vcc
	v_and_b32_e32 v22, 0xffff, v7
.LBB1154_184:                           ;   in Loop: Header=BB1154_173 Depth=1
	s_or_b64 exec, exec, s[62:63]
	s_waitcnt lgkmcnt(1)
	ds_bpermute_b32 v56, v32, v6
	s_waitcnt lgkmcnt(1)
	ds_bpermute_b32 v23, v32, v22
	v_cmp_le_u32_e32 vcc, v33, v9
	;; [unrolled: 22-line block ×4, first 2 shown]
	s_and_saveexec_b64 s[62:63], vcc
	s_cbranch_execz .LBB1154_172
; %bb.189:                              ;   in Loop: Header=BB1154_173 Depth=1
	s_waitcnt lgkmcnt(1)
	v_add_f32_e32 v22, v6, v56
	v_cmp_eq_u16_sdwa vcc, v7, v21 src0_sel:BYTE_0 src1_sel:DWORD
	v_and_b32_e32 v7, 1, v7
	s_nop 0
	v_cndmask_b32_e32 v6, v6, v22, vcc
	s_waitcnt lgkmcnt(0)
	v_and_b32_e32 v22, 1, v23
	v_cmp_eq_u32_e32 vcc, 1, v7
	s_nop 1
	v_cndmask_b32_e64 v7, v22, 1, vcc
	v_and_b32_e32 v22, 0xffff, v7
	s_branch .LBB1154_172
.LBB1154_190:                           ;   in Loop: Header=BB1154_173 Depth=1
                                        ; implicit-def: $vgpr7
	s_cbranch_execz .LBB1154_173
; %bb.191:
	s_and_saveexec_b64 s[62:63], s[50:51]
	s_cbranch_execz .LBB1154_193
; %bb.192:
	s_and_b32 s50, s3, 0xff
	s_cmp_eq_u32 s50, 0
	s_cselect_b64 vcc, -1, 0
	s_bitcmp1_b32 s3, 0
	s_mov_b32 s51, 0
	s_cselect_b64 s[72:73], -1, 0
	s_add_i32 s50, s2, 64
	s_lshl_b64 s[2:3], s[50:51], 4
	v_add_f32_e32 v3, v53, v2
	s_add_u32 s2, s64, s2
	v_cndmask_b32_e32 v2, v2, v3, vcc
	v_and_b32_e32 v3, 1, v51
	s_addc_u32 s3, s65, s3
	v_cndmask_b32_e64 v3, v3, 1, s[72:73]
	v_mov_b32_e32 v4, 2
	v_mov_b32_e32 v5, 0
	v_mov_b64_e32 v[6:7], s[2:3]
	;;#ASMSTART
	global_store_dwordx4 v[6:7], v[2:5] off sc1	
s_waitcnt vmcnt(0)
	;;#ASMEND
.LBB1154_193:
	s_or_b64 exec, exec, s[62:63]
	s_and_b64 exec, exec, s[48:49]
	s_cbranch_execz .LBB1154_195
; %bb.194:
	v_mov_b32_e32 v2, 0
	ds_write_b32 v2, v53
	ds_write_b8 v2, v51 offset:4
.LBB1154_195:
	s_or_b64 exec, exec, s[56:57]
	v_mov_b32_e32 v2, 0
	s_waitcnt lgkmcnt(0)
	s_barrier
	ds_read_b32 v3, v2
	v_and_b32_e32 v4, 1, v66
	v_and_b32_e32 v5, 1, v28
	v_cmp_eq_u32_e32 vcc, 1, v4
	s_nop 1
	v_cndmask_b32_e64 v4, v5, 1, vcc
	v_add_f32_e32 v5, v1, v25
	v_cmp_eq_u16_sdwa vcc, v66, v2 src0_sel:BYTE_0 src1_sel:DWORD
	v_cndmask_b32_e64 v4, v4, v66, s[48:49]
	s_nop 0
	v_cndmask_b32_e32 v5, v1, v5, vcc
	v_cndmask_b32_e64 v5, v5, v1, s[48:49]
	s_waitcnt lgkmcnt(0)
	v_add_f32_e32 v3, v5, v3
	v_cmp_eq_u16_sdwa vcc, v4, v2 src0_sel:BYTE_0 src1_sel:DWORD
	s_nop 1
	v_cndmask_b32_e32 v63, v5, v3, vcc
	v_add_f32_e32 v2, v44, v63
	v_cndmask_b32_e64 v28, v44, v2, s[52:53]
	v_add_f32_e32 v2, v45, v28
	v_cndmask_b32_e64 v29, v45, v2, s[4:5]
	;; [unrolled: 2-line block ×22, first 2 shown]
	s_branch .LBB1154_218
.LBB1154_196:
                                        ; implicit-def: $vgpr61
                                        ; implicit-def: $vgpr60
                                        ; implicit-def: $vgpr59
                                        ; implicit-def: $vgpr58
                                        ; implicit-def: $vgpr57
                                        ; implicit-def: $vgpr56
                                        ; implicit-def: $vgpr55
                                        ; implicit-def: $vgpr54
                                        ; implicit-def: $vgpr53
                                        ; implicit-def: $vgpr52
                                        ; implicit-def: $vgpr51
                                        ; implicit-def: $vgpr50
                                        ; implicit-def: $vgpr49
                                        ; implicit-def: $vgpr48
                                        ; implicit-def: $vgpr47
                                        ; implicit-def: $vgpr33
                                        ; implicit-def: $vgpr32
                                        ; implicit-def: $vgpr31
                                        ; implicit-def: $vgpr30
                                        ; implicit-def: $vgpr29
                                        ; implicit-def: $vgpr28
                                        ; implicit-def: $vgpr63
                                        ; implicit-def: $vgpr62
	s_cbranch_execz .LBB1154_218
; %bb.197:
	s_cmp_lg_u64 s[70:71], 0
	s_cselect_b32 s5, s59, 0
	s_cselect_b32 s4, s58, 0
	s_cmp_lg_u64 s[4:5], 0
	s_cselect_b64 s[6:7], -1, 0
	v_cmp_eq_u32_e32 vcc, 0, v0
	v_cmp_ne_u32_e64 s[2:3], 0, v0
	s_and_b64 s[8:9], vcc, s[6:7]
	s_and_saveexec_b64 s[6:7], s[8:9]
	s_cbranch_execz .LBB1154_199
; %bb.198:
	v_mov_b32_e32 v2, 0
	global_load_dword v3, v2, s[4:5]
	global_load_ubyte v4, v2, s[4:5] offset:4
	v_and_b32_e32 v5, 1, v66
	v_cmp_eq_u16_sdwa s[4:5], v66, v2 src0_sel:BYTE_0 src1_sel:DWORD
	s_waitcnt vmcnt(1)
	v_add_f32_e32 v3, v1, v3
	s_waitcnt vmcnt(0)
	v_and_b32_e32 v4, 1, v4
	v_cndmask_b32_e64 v1, v1, v3, s[4:5]
	v_cmp_eq_u32_e64 s[4:5], 1, v5
	s_nop 1
	v_cndmask_b32_e64 v66, v4, 1, s[4:5]
.LBB1154_199:
	s_or_b64 exec, exec, s[6:7]
	v_mov_b32_e32 v7, 0
	v_add_f32_e32 v2, v44, v1
	v_cmp_eq_u16_sdwa s[4:5], v67, v7 src0_sel:BYTE_0 src1_sel:DWORD
	v_cmp_eq_u16_sdwa s[6:7], v68, v7 src0_sel:BYTE_0 src1_sel:DWORD
	v_cmp_eq_u16_sdwa s[8:9], v69, v7 src0_sel:BYTE_0 src1_sel:DWORD
	v_cndmask_b32_e64 v28, v44, v2, s[4:5]
	v_add_f32_e32 v2, v45, v28
	v_cndmask_b32_e64 v29, v45, v2, s[6:7]
	v_add_f32_e32 v2, v42, v29
	v_cndmask_b32_e64 v30, v42, v2, s[8:9]
	v_add_f32_e32 v2, v43, v30
	v_cmp_eq_u16_sdwa s[10:11], v70, v7 src0_sel:BYTE_0 src1_sel:DWORD
	v_cmp_eq_u16_sdwa s[12:13], v71, v7 src0_sel:BYTE_0 src1_sel:DWORD
	v_cmp_eq_u16_sdwa s[14:15], v72, v7 src0_sel:BYTE_0 src1_sel:DWORD
	v_cndmask_b32_e64 v31, v43, v2, s[10:11]
	v_add_f32_e32 v2, v38, v31
	v_cndmask_b32_e64 v32, v38, v2, s[12:13]
	v_add_f32_e32 v2, v39, v32
	v_cndmask_b32_e64 v33, v39, v2, s[14:15]
	;; [unrolled: 9-line block ×7, first 2 shown]
	v_add_f32_e32 v2, v41, v61
	v_cmp_eq_u16_sdwa s[48:49], v46, v7 src0_sel:BYTE_0 src1_sel:DWORD
	v_and_b32_e32 v3, 0xff, v66
	s_nop 0
	v_cndmask_b32_e64 v62, v41, v2, s[48:49]
	v_or_b32_e32 v2, v24, v86
	v_or_b32_e32 v2, v2, v85
	;; [unrolled: 1-line block ×19, first 2 shown]
	v_and_b32_e32 v2, 1, v2
	v_cmp_eq_u32_e64 s[50:51], 1, v2
	v_add_lshl_u32 v2, v13, v0, 3
	s_nop 0
	v_cndmask_b32_e64 v5, v3, 1, s[50:51]
	v_cmp_gt_u32_e64 s[50:51], 64, v0
	ds_write_b32 v2, v62
	ds_write_b8 v2, v5 offset:4
	s_waitcnt lgkmcnt(0)
	s_barrier
	s_and_saveexec_b64 s[52:53], s[50:51]
	s_cbranch_execz .LBB1154_213
; %bb.200:
	v_lshrrev_b32_e32 v2, 3, v0
	v_add_lshl_u32 v4, v2, v40, 3
	ds_read2_b32 v[8:9], v4 offset0:2 offset1:4
	ds_read_b64 v[2:3], v4
	ds_read_u8 v13, v4 offset:12
	ds_read_u8 v20, v4 offset:20
	ds_read_b32 v22, v4 offset:24
	ds_read_u8 v23, v4 offset:28
	s_waitcnt lgkmcnt(4)
	v_add_f32_e32 v6, v2, v8
	s_waitcnt lgkmcnt(3)
	v_cmp_eq_u16_sdwa s[50:51], v13, v7 src0_sel:BYTE_0 src1_sel:DWORD
	v_and_b32_e32 v21, 0xffffff00, v3
	s_nop 0
	v_cndmask_b32_e64 v8, v8, v6, s[50:51]
	v_add_f32_e32 v8, v9, v8
	s_waitcnt lgkmcnt(2)
	v_cmp_eq_u16_sdwa s[50:51], v20, v7 src0_sel:BYTE_0 src1_sel:DWORD
	v_and_b32_e32 v6, 1, v3
	s_nop 0
	v_cndmask_b32_e64 v7, v9, v8, s[50:51]
	s_waitcnt lgkmcnt(0)
	v_or_b32_e32 v8, v23, v20
	v_or_b32_e32 v8, v8, v13
	v_add_f32_e32 v7, v22, v7
	v_cmp_eq_u16_e64 s[50:51], 0, v23
	v_and_b32_e32 v8, 1, v8
	s_nop 0
	v_cndmask_b32_e64 v7, v22, v7, s[50:51]
	v_cmp_eq_u32_e64 s[50:51], 1, v8
	v_mbcnt_lo_u32_b32 v8, -1, 0
	v_mbcnt_hi_u32_b32 v8, -1, v8
	v_cndmask_b32_e64 v13, v6, 1, s[50:51]
	v_or_b32_e32 v9, v13, v21
	v_and_b32_e32 v20, 15, v8
	v_mov_b32_dpp v23, v7 row_shr:1 row_mask:0xf bank_mask:0xf
	v_mov_b32_dpp v22, v9 row_shr:1 row_mask:0xf bank_mask:0xf
	v_cmp_ne_u32_e64 s[50:51], 0, v20
	s_and_saveexec_b64 s[56:57], s[50:51]
; %bb.201:
	v_add_f32_e32 v9, v7, v23
	v_cmp_eq_u32_e64 s[50:51], 0, v13
	s_nop 1
	v_cndmask_b32_e64 v7, v7, v9, s[50:51]
	v_and_b32_e32 v9, 1, v13
	v_and_b32_e32 v13, 1, v22
	v_cmp_eq_u32_e64 s[50:51], 1, v9
	s_nop 1
	v_cndmask_b32_e64 v13, v13, 1, s[50:51]
	v_or_b32_e32 v9, v13, v21
; %bb.202:
	s_or_b64 exec, exec, s[56:57]
	v_mov_b32_dpp v22, v7 row_shr:2 row_mask:0xf bank_mask:0xf
	v_mov_b32_dpp v21, v9 row_shr:2 row_mask:0xf bank_mask:0xf
	v_cmp_lt_u32_e64 s[50:51], 1, v20
	s_and_saveexec_b64 s[56:57], s[50:51]
; %bb.203:
	v_add_f32_e32 v22, v7, v22
	v_cmp_eq_u32_e64 s[50:51], 0, v13
	v_and_b32_e32 v13, 1, v13
	v_and_b32_e32 v21, 1, v21
	v_cndmask_b32_e64 v7, v7, v22, s[50:51]
	v_cmp_eq_u32_e64 s[50:51], 1, v13
	s_nop 1
	v_cndmask_b32_e64 v13, v21, 1, s[50:51]
	s_movk_i32 s50, 0xff00
	v_and_or_b32 v9, v9, s50, v13
; %bb.204:
	s_or_b64 exec, exec, s[56:57]
	v_mov_b32_dpp v22, v7 row_shr:4 row_mask:0xf bank_mask:0xf
	v_mov_b32_dpp v21, v9 row_shr:4 row_mask:0xf bank_mask:0xf
	v_cmp_lt_u32_e64 s[50:51], 3, v20
	s_and_saveexec_b64 s[56:57], s[50:51]
; %bb.205:
	v_add_f32_e32 v22, v7, v22
	v_cmp_eq_u32_e64 s[50:51], 0, v13
	v_and_b32_e32 v13, 1, v13
	v_and_b32_e32 v21, 1, v21
	v_cndmask_b32_e64 v7, v7, v22, s[50:51]
	v_cmp_eq_u32_e64 s[50:51], 1, v13
	s_nop 1
	v_cndmask_b32_e64 v13, v21, 1, s[50:51]
	s_movk_i32 s50, 0xff00
	v_and_or_b32 v9, v9, s50, v13
; %bb.206:
	s_or_b64 exec, exec, s[56:57]
	v_mov_b32_dpp v22, v7 row_shr:8 row_mask:0xf bank_mask:0xf
	v_mov_b32_dpp v21, v9 row_shr:8 row_mask:0xf bank_mask:0xf
	v_cmp_lt_u32_e64 s[50:51], 7, v20
	s_and_saveexec_b64 s[56:57], s[50:51]
; %bb.207:
	v_add_f32_e32 v20, v7, v22
	v_cmp_eq_u32_e64 s[50:51], 0, v13
	v_and_b32_e32 v13, 1, v13
	s_nop 0
	v_cndmask_b32_e64 v7, v7, v20, s[50:51]
	v_and_b32_e32 v20, 1, v21
	v_cmp_eq_u32_e64 s[50:51], 1, v13
	s_nop 1
	v_cndmask_b32_e64 v13, v20, 1, s[50:51]
	s_movk_i32 s50, 0xff00
	v_and_or_b32 v9, v9, s50, v13
; %bb.208:
	s_or_b64 exec, exec, s[56:57]
	v_and_b32_e32 v22, 16, v8
	v_mov_b32_dpp v21, v7 row_bcast:15 row_mask:0xf bank_mask:0xf
	v_mov_b32_dpp v20, v9 row_bcast:15 row_mask:0xf bank_mask:0xf
	v_cmp_ne_u32_e64 s[50:51], 0, v22
	s_and_saveexec_b64 s[56:57], s[50:51]
; %bb.209:
	v_add_f32_e32 v21, v7, v21
	v_cmp_eq_u32_e64 s[50:51], 0, v13
	v_and_b32_e32 v13, 1, v13
	v_and_b32_e32 v20, 1, v20
	v_cndmask_b32_e64 v7, v7, v21, s[50:51]
	v_cmp_eq_u32_e64 s[50:51], 1, v13
	s_nop 1
	v_cndmask_b32_e64 v13, v20, 1, s[50:51]
	s_movk_i32 s50, 0xff00
	v_and_or_b32 v9, v9, s50, v13
; %bb.210:
	s_or_b64 exec, exec, s[56:57]
	v_mov_b32_dpp v21, v7 row_bcast:31 row_mask:0xf bank_mask:0xf
	v_mov_b32_dpp v20, v9 row_bcast:31 row_mask:0xf bank_mask:0xf
	v_cmp_lt_u32_e64 s[50:51], 31, v8
	s_and_saveexec_b64 s[56:57], s[50:51]
; %bb.211:
	v_add_f32_e32 v21, v7, v21
	v_cmp_eq_u32_e64 s[50:51], 0, v13
	v_and_b32_e32 v13, 1, v13
	v_and_b32_e32 v20, 1, v20
	v_cndmask_b32_e64 v7, v7, v21, s[50:51]
	v_cmp_eq_u32_e64 s[50:51], 1, v13
	s_nop 1
	v_cndmask_b32_e64 v13, v20, 1, s[50:51]
	s_movk_i32 s50, 0xff00
	v_and_or_b32 v9, v9, s50, v13
; %bb.212:
	s_or_b64 exec, exec, s[56:57]
	v_add_u32_e32 v13, -1, v8
	v_and_b32_e32 v20, 64, v8
	v_cmp_lt_i32_e64 s[50:51], v13, v20
	; wave barrier
	s_nop 1
	v_cndmask_b32_e64 v8, v13, v8, s[50:51]
	v_lshlrev_b32_e32 v8, 2, v8
	ds_bpermute_b32 v7, v8, v7
	ds_bpermute_b32 v8, v8, v9
	v_mov_b32_e32 v9, 0
	v_cmp_eq_u32_sdwa s[50:51], v3, v9 src0_sel:BYTE_0 src1_sel:DWORD
	s_waitcnt lgkmcnt(1)
	v_add_f32_e32 v7, v2, v7
	v_cndmask_b32_e64 v2, v2, v7, s[50:51]
	s_waitcnt lgkmcnt(0)
	v_and_b32_e32 v3, 1, v8
	v_cmp_eq_u32_e64 s[50:51], 1, v6
	v_cndmask_b32_e32 v6, v2, v62, vcc
	s_nop 0
	v_cndmask_b32_e64 v3, v3, 1, s[50:51]
	v_cndmask_b32_e32 v5, v3, v5, vcc
	ds_write_b32 v4, v6
	ds_write_b8 v4, v5 offset:4
	; wave barrier
	ds_read2_b32 v[2:3], v4 offset0:2 offset1:4
	ds_read_u8 v7, v4 offset:12
	ds_read_u8 v8, v4 offset:20
	ds_read_b32 v9, v4 offset:24
	ds_read_u8 v13, v4 offset:28
	s_waitcnt lgkmcnt(4)
	v_add_f32_e32 v6, v6, v2
	s_waitcnt lgkmcnt(3)
	v_cmp_eq_u16_e64 s[50:51], 0, v7
	s_nop 1
	v_cndmask_b32_e64 v2, v2, v6, s[50:51]
	v_and_b32_e32 v6, 1, v7
	v_cmp_eq_u32_e64 s[50:51], 1, v6
	v_add_f32_e32 v6, v2, v3
	s_nop 0
	v_cndmask_b32_e64 v5, v5, 1, s[50:51]
	s_waitcnt lgkmcnt(2)
	v_cmp_eq_u16_e64 s[50:51], 0, v8
	ds_write_b8 v4, v5 offset:12
	s_nop 0
	v_cndmask_b32_e64 v3, v3, v6, s[50:51]
	v_and_b32_e32 v6, 1, v8
	v_cmp_eq_u32_e64 s[50:51], 1, v6
	s_nop 1
	v_cndmask_b32_e64 v5, v5, 1, s[50:51]
	ds_write2_b32 v4, v2, v3 offset0:2 offset1:4
	ds_write_b8 v4, v5 offset:20
	s_waitcnt lgkmcnt(4)
	v_add_f32_e32 v2, v3, v9
	s_waitcnt lgkmcnt(3)
	v_cmp_eq_u16_e64 s[50:51], 0, v13
	v_and_b32_e32 v3, 1, v13
	s_nop 0
	v_cndmask_b32_e64 v2, v9, v2, s[50:51]
	v_cmp_eq_u32_e64 s[50:51], 1, v3
	s_nop 1
	v_cndmask_b32_e64 v3, v5, 1, s[50:51]
	ds_write_b32 v4, v2 offset:24
	ds_write_b8 v4, v3 offset:28
.LBB1154_213:
	s_or_b64 exec, exec, s[52:53]
	v_mov_b32_e32 v2, v62
	s_waitcnt lgkmcnt(0)
	s_barrier
	s_and_saveexec_b64 s[50:51], s[2:3]
	s_cbranch_execnz .LBB1154_291
; %bb.214:
	s_or_b64 exec, exec, s[50:51]
	s_and_saveexec_b64 s[50:51], s[2:3]
	s_cbranch_execnz .LBB1154_292
.LBB1154_215:
	s_or_b64 exec, exec, s[50:51]
	s_and_saveexec_b64 s[2:3], vcc
	s_cbranch_execz .LBB1154_217
.LBB1154_216:
	v_mov_b32_e32 v5, 0
	s_waitcnt lgkmcnt(0)
	ds_read_b32 v2, v5 offset:2096
	ds_read_u8 v3, v5 offset:2100
	s_add_u32 s4, s64, 0x400
	s_addc_u32 s5, s65, 0
	v_mov_b32_e32 v4, 2
	v_mov_b64_e32 v[6:7], s[4:5]
	s_waitcnt lgkmcnt(0)
	;;#ASMSTART
	global_store_dwordx4 v[6:7], v[2:5] off sc1	
s_waitcnt vmcnt(0)
	;;#ASMEND
.LBB1154_217:
	s_or_b64 exec, exec, s[2:3]
	v_mov_b32_e32 v63, v1
.LBB1154_218:
	s_add_u32 s2, s54, s68
	s_addc_u32 s3, s55, s69
	s_add_u32 s2, s2, s60
	s_addc_u32 s3, s3, s61
	s_and_b64 vcc, exec, s[0:1]
	s_cbranch_vccz .LBB1154_264
; %bb.219:
	s_movk_i32 s0, 0x5c
	v_mul_i32_i24_e32 v26, 0xffffffa8, v0
	v_mul_u32_u24_e32 v1, 0x5c, v0
	s_waitcnt lgkmcnt(0)
	v_mad_u32_u24 v2, v0, s0, v26
	s_barrier
	ds_write2_b32 v1, v63, v28 offset1:1
	ds_write2_b32 v1, v29, v30 offset0:2 offset1:3
	ds_write2_b32 v1, v31, v32 offset0:4 offset1:5
	;; [unrolled: 1-line block ×10, first 2 shown]
	ds_write_b32 v1, v62 offset:88
	s_waitcnt lgkmcnt(0)
	s_barrier
	ds_read2st64_b32 v[24:25], v2 offset0:4 offset1:8
	ds_read2st64_b32 v[22:23], v2 offset0:12 offset1:16
	;; [unrolled: 1-line block ×11, first 2 shown]
	s_add_i32 s33, s33, s66
	v_mov_b32_e32 v41, 0
	v_lshl_add_u64 v[4:5], s[2:3], 0, v[40:41]
	v_cmp_gt_u32_e32 vcc, s33, v0
	s_and_saveexec_b64 s[0:1], vcc
	s_cbranch_execz .LBB1154_221
; %bb.220:
	v_add_u32_e32 v1, v1, v26
	ds_read_b32 v1, v1
	s_waitcnt lgkmcnt(0)
	flat_store_dword v[4:5], v1
.LBB1154_221:
	s_or_b64 exec, exec, s[0:1]
	v_or_b32_e32 v1, 0x100, v0
	v_cmp_gt_u32_e32 vcc, s33, v1
	s_and_saveexec_b64 s[0:1], vcc
	s_cbranch_execz .LBB1154_223
; %bb.222:
	s_waitcnt lgkmcnt(0)
	flat_store_dword v[4:5], v24 offset:1024
.LBB1154_223:
	s_or_b64 exec, exec, s[0:1]
	v_or_b32_e32 v1, 0x200, v0
	v_cmp_gt_u32_e32 vcc, s33, v1
	s_and_saveexec_b64 s[0:1], vcc
	s_cbranch_execz .LBB1154_225
; %bb.224:
	s_waitcnt lgkmcnt(0)
	flat_store_dword v[4:5], v25 offset:2048
.LBB1154_225:
	;; [unrolled: 9-line block ×3, first 2 shown]
	s_or_b64 exec, exec, s[0:1]
	v_or_b32_e32 v1, 0x400, v0
	v_cmp_gt_u32_e32 vcc, s33, v1
	s_and_saveexec_b64 s[0:1], vcc
	s_cbranch_execz .LBB1154_229
; %bb.228:
	s_waitcnt lgkmcnt(0)
	v_add_co_u32_e32 v24, vcc, 0x1000, v4
	s_nop 1
	v_addc_co_u32_e32 v25, vcc, 0, v5, vcc
	flat_store_dword v[24:25], v23
.LBB1154_229:
	s_or_b64 exec, exec, s[0:1]
	v_or_b32_e32 v1, 0x500, v0
	v_cmp_gt_u32_e32 vcc, s33, v1
	s_and_saveexec_b64 s[0:1], vcc
	s_cbranch_execz .LBB1154_231
; %bb.230:
	s_waitcnt lgkmcnt(0)
	v_add_co_u32_e32 v22, vcc, 0x1000, v4
	s_nop 1
	v_addc_co_u32_e32 v23, vcc, 0, v5, vcc
	flat_store_dword v[22:23], v20 offset:1024
.LBB1154_231:
	s_or_b64 exec, exec, s[0:1]
	v_or_b32_e32 v1, 0x600, v0
	v_cmp_gt_u32_e32 vcc, s33, v1
	s_and_saveexec_b64 s[0:1], vcc
	s_cbranch_execz .LBB1154_233
; %bb.232:
	s_waitcnt lgkmcnt(0)
	v_add_co_u32_e32 v22, vcc, 0x1000, v4
	s_nop 1
	v_addc_co_u32_e32 v23, vcc, 0, v5, vcc
	flat_store_dword v[22:23], v21 offset:2048
.LBB1154_233:
	s_or_b64 exec, exec, s[0:1]
	v_or_b32_e32 v1, 0x700, v0
	v_cmp_gt_u32_e32 vcc, s33, v1
	s_and_saveexec_b64 s[0:1], vcc
	s_cbranch_execz .LBB1154_235
; %bb.234:
	s_waitcnt lgkmcnt(0)
	v_add_co_u32_e32 v20, vcc, 0x1000, v4
	s_nop 1
	v_addc_co_u32_e32 v21, vcc, 0, v5, vcc
	flat_store_dword v[20:21], v18 offset:3072
.LBB1154_235:
	s_or_b64 exec, exec, s[0:1]
	v_or_b32_e32 v1, 0x800, v0
	v_cmp_gt_u32_e32 vcc, s33, v1
	s_and_saveexec_b64 s[0:1], vcc
	s_cbranch_execz .LBB1154_237
; %bb.236:
	s_waitcnt lgkmcnt(0)
	v_add_co_u32_e32 v20, vcc, 0x2000, v4
	s_nop 1
	v_addc_co_u32_e32 v21, vcc, 0, v5, vcc
	flat_store_dword v[20:21], v19
.LBB1154_237:
	s_or_b64 exec, exec, s[0:1]
	v_or_b32_e32 v1, 0x900, v0
	v_cmp_gt_u32_e32 vcc, s33, v1
	s_and_saveexec_b64 s[0:1], vcc
	s_cbranch_execz .LBB1154_239
; %bb.238:
	s_waitcnt lgkmcnt(0)
	v_add_co_u32_e32 v18, vcc, 0x2000, v4
	s_nop 1
	v_addc_co_u32_e32 v19, vcc, 0, v5, vcc
	flat_store_dword v[18:19], v16 offset:1024
.LBB1154_239:
	s_or_b64 exec, exec, s[0:1]
	v_or_b32_e32 v1, 0xa00, v0
	v_cmp_gt_u32_e32 vcc, s33, v1
	s_and_saveexec_b64 s[0:1], vcc
	s_cbranch_execz .LBB1154_241
; %bb.240:
	s_waitcnt lgkmcnt(0)
	v_add_co_u32_e32 v18, vcc, 0x2000, v4
	s_nop 1
	v_addc_co_u32_e32 v19, vcc, 0, v5, vcc
	flat_store_dword v[18:19], v17 offset:2048
.LBB1154_241:
	s_or_b64 exec, exec, s[0:1]
	v_or_b32_e32 v1, 0xb00, v0
	v_cmp_gt_u32_e32 vcc, s33, v1
	s_and_saveexec_b64 s[0:1], vcc
	s_cbranch_execz .LBB1154_243
; %bb.242:
	s_waitcnt lgkmcnt(0)
	v_add_co_u32_e32 v16, vcc, 0x2000, v4
	s_nop 1
	v_addc_co_u32_e32 v17, vcc, 0, v5, vcc
	flat_store_dword v[16:17], v14 offset:3072
.LBB1154_243:
	;; [unrolled: 48-line block ×4, first 2 shown]
	s_or_b64 exec, exec, s[0:1]
	v_or_b32_e32 v1, 0x1400, v0
	v_cmp_gt_u32_e32 vcc, s33, v1
	s_and_saveexec_b64 s[0:1], vcc
	s_cbranch_execz .LBB1154_261
; %bb.260:
	s_waitcnt lgkmcnt(0)
	v_add_co_u32_e32 v8, vcc, 0x5000, v4
	s_nop 1
	v_addc_co_u32_e32 v9, vcc, 0, v5, vcc
	flat_store_dword v[8:9], v7
.LBB1154_261:
	s_or_b64 exec, exec, s[0:1]
	v_or_b32_e32 v1, 0x1500, v0
	v_cmp_gt_u32_e32 vcc, s33, v1
	s_and_saveexec_b64 s[0:1], vcc
	s_cbranch_execz .LBB1154_263
; %bb.262:
	v_add_co_u32_e32 v4, vcc, 0x5000, v4
	s_nop 1
	v_addc_co_u32_e32 v5, vcc, 0, v5, vcc
	s_waitcnt lgkmcnt(0)
	flat_store_dword v[4:5], v2 offset:1024
.LBB1154_263:
	s_or_b64 exec, exec, s[0:1]
	s_waitcnt lgkmcnt(0)
	v_or_b32_e32 v2, 0x1600, v0
	v_mov_b32_e32 v1, v41
	v_cmp_gt_u32_e64 s[0:1], s33, v2
	s_branch .LBB1154_266
.LBB1154_264:
	s_mov_b64 s[0:1], 0
                                        ; implicit-def: $vgpr3
	s_cbranch_execz .LBB1154_266
; %bb.265:
	v_mul_u32_u24_e32 v1, 0x5c, v0
	s_waitcnt lgkmcnt(0)
	s_barrier
	s_movk_i32 s4, 0x5c
	ds_write2_b32 v1, v63, v28 offset1:1
	ds_write2_b32 v1, v29, v30 offset0:2 offset1:3
	ds_write2_b32 v1, v31, v32 offset0:4 offset1:5
	ds_write2_b32 v1, v33, v47 offset0:6 offset1:7
	ds_write2_b32 v1, v48, v49 offset0:8 offset1:9
	ds_write2_b32 v1, v50, v51 offset0:10 offset1:11
	ds_write2_b32 v1, v52, v53 offset0:12 offset1:13
	ds_write2_b32 v1, v54, v55 offset0:14 offset1:15
	ds_write2_b32 v1, v56, v57 offset0:16 offset1:17
	ds_write2_b32 v1, v58, v59 offset0:18 offset1:19
	ds_write2_b32 v1, v60, v61 offset0:20 offset1:21
	ds_write_b32 v1, v62 offset:88
	v_mov_b32_e32 v1, 0
	v_mul_i32_i24_e32 v2, 0xffffffa8, v0
	v_mad_u32_u24 v2, v0, s4, v2
	v_mov_b32_e32 v41, v1
	s_waitcnt lgkmcnt(0)
	s_barrier
	ds_read2st64_b32 v[4:5], v2 offset1:4
	ds_read2st64_b32 v[6:7], v2 offset0:8 offset1:12
	ds_read2st64_b32 v[8:9], v2 offset0:16 offset1:20
	ds_read2st64_b32 v[10:11], v2 offset0:24 offset1:28
	ds_read2st64_b32 v[12:13], v2 offset0:32 offset1:36
	ds_read2st64_b32 v[14:15], v2 offset0:40 offset1:44
	ds_read2st64_b32 v[16:17], v2 offset0:48 offset1:52
	ds_read2st64_b32 v[18:19], v2 offset0:56 offset1:60
	ds_read2st64_b32 v[20:21], v2 offset0:64 offset1:68
	ds_read2st64_b32 v[22:23], v2 offset0:72 offset1:76
	ds_read2st64_b32 v[24:25], v2 offset0:80 offset1:84
	ds_read_b32 v3, v2 offset:22528
	v_lshl_add_u64 v[26:27], s[2:3], 0, v[40:41]
	s_movk_i32 s4, 0x1000
	s_waitcnt lgkmcnt(0)
	flat_store_dword v[26:27], v4
	flat_store_dword v[26:27], v5 offset:1024
	flat_store_dword v[26:27], v6 offset:2048
	;; [unrolled: 1-line block ×3, first 2 shown]
	v_add_co_u32_e32 v4, vcc, s4, v26
	s_movk_i32 s4, 0x2000
	s_nop 0
	v_addc_co_u32_e32 v5, vcc, 0, v27, vcc
	flat_store_dword v[4:5], v8
	flat_store_dword v[4:5], v9 offset:1024
	flat_store_dword v[4:5], v10 offset:2048
	;; [unrolled: 1-line block ×3, first 2 shown]
	v_add_co_u32_e32 v4, vcc, s4, v26
	s_movk_i32 s4, 0x3000
	s_nop 0
	v_addc_co_u32_e32 v5, vcc, 0, v27, vcc
	flat_store_dword v[4:5], v12
	flat_store_dword v[4:5], v13 offset:1024
	flat_store_dword v[4:5], v14 offset:2048
	flat_store_dword v[4:5], v15 offset:3072
	v_add_co_u32_e32 v4, vcc, s4, v26
	s_or_b64 s[0:1], s[0:1], exec
	s_nop 0
	v_addc_co_u32_e32 v5, vcc, 0, v27, vcc
	flat_store_dword v[4:5], v16
	flat_store_dword v[4:5], v17 offset:1024
	flat_store_dword v[4:5], v18 offset:2048
	;; [unrolled: 1-line block ×3, first 2 shown]
	v_add_co_u32_e32 v4, vcc, 0x4000, v26
	s_nop 1
	v_addc_co_u32_e32 v5, vcc, 0, v27, vcc
	flat_store_dword v[4:5], v20
	flat_store_dword v[4:5], v21 offset:1024
	flat_store_dword v[4:5], v22 offset:2048
	;; [unrolled: 1-line block ×3, first 2 shown]
	v_add_co_u32_e32 v4, vcc, 0x5000, v26
	s_nop 1
	v_addc_co_u32_e32 v5, vcc, 0, v27, vcc
	flat_store_dword v[4:5], v24
	flat_store_dword v[4:5], v25 offset:1024
.LBB1154_266:
	s_and_saveexec_b64 s[4:5], s[0:1]
	s_cbranch_execnz .LBB1154_268
; %bb.267:
	s_endpgm
.LBB1154_268:
	v_lshl_add_u64 v[0:1], v[0:1], 2, s[2:3]
	v_add_co_u32_e32 v0, vcc, 0x5000, v0
	s_nop 1
	v_addc_co_u32_e32 v1, vcc, 0, v1, vcc
	flat_store_dword v[0:1], v3 offset:2048
	s_endpgm
.LBB1154_269:
	v_lshl_add_u64 v[24:25], s[52:53], 0, v[2:3]
	flat_load_dword v23, v[24:25]
	s_or_b64 exec, exec, s[56:57]
                                        ; implicit-def: $vgpr24
	s_and_saveexec_b64 s[50:51], s[4:5]
	s_cbranch_execz .LBB1154_55
.LBB1154_270:
	v_mov_b32_e32 v3, 0
	v_lshl_add_u64 v[24:25], s[52:53], 0, v[2:3]
	flat_load_dword v24, v[24:25] offset:1024
	s_or_b64 exec, exec, s[50:51]
                                        ; implicit-def: $vgpr25
	s_and_saveexec_b64 s[4:5], s[6:7]
	s_cbranch_execz .LBB1154_56
.LBB1154_271:
	v_mov_b32_e32 v3, 0
	v_lshl_add_u64 v[26:27], s[52:53], 0, v[2:3]
	flat_load_dword v25, v[26:27] offset:2048
	s_or_b64 exec, exec, s[4:5]
                                        ; implicit-def: $vgpr3
	s_and_saveexec_b64 s[4:5], s[8:9]
	s_cbranch_execz .LBB1154_57
.LBB1154_272:
	v_mov_b32_e32 v3, 0
	v_lshl_add_u64 v[26:27], s[52:53], 0, v[2:3]
	flat_load_dword v3, v[26:27] offset:3072
	s_or_b64 exec, exec, s[4:5]
                                        ; implicit-def: $vgpr26
	s_and_saveexec_b64 s[4:5], s[10:11]
	s_cbranch_execz .LBB1154_58
.LBB1154_273:
	v_lshlrev_b32_e32 v26, 2, v1
	v_mov_b32_e32 v27, 0
	v_lshl_add_u64 v[26:27], s[52:53], 0, v[26:27]
	flat_load_dword v26, v[26:27]
	s_or_b64 exec, exec, s[4:5]
                                        ; implicit-def: $vgpr1
	s_and_saveexec_b64 s[4:5], s[12:13]
	s_cbranch_execz .LBB1154_59
.LBB1154_274:
	v_lshlrev_b32_e32 v28, 2, v4
	v_mov_b32_e32 v29, 0
	v_lshl_add_u64 v[28:29], s[52:53], 0, v[28:29]
	flat_load_dword v1, v[28:29]
	s_or_b64 exec, exec, s[4:5]
                                        ; implicit-def: $vgpr4
	s_and_saveexec_b64 s[4:5], s[14:15]
	s_cbranch_execz .LBB1154_60
.LBB1154_275:
	v_lshlrev_b32_e32 v4, 2, v5
	v_mov_b32_e32 v5, 0
	v_lshl_add_u64 v[4:5], s[52:53], 0, v[4:5]
	flat_load_dword v4, v[4:5]
	s_or_b64 exec, exec, s[4:5]
                                        ; implicit-def: $vgpr5
	s_and_saveexec_b64 s[4:5], s[16:17]
	s_cbranch_execz .LBB1154_61
.LBB1154_276:
	v_lshlrev_b32_e32 v28, 2, v6
	v_mov_b32_e32 v29, 0
	v_lshl_add_u64 v[28:29], s[52:53], 0, v[28:29]
	flat_load_dword v5, v[28:29]
	s_or_b64 exec, exec, s[4:5]
                                        ; implicit-def: $vgpr6
	s_and_saveexec_b64 s[4:5], s[18:19]
	s_cbranch_execz .LBB1154_62
.LBB1154_277:
	v_lshlrev_b32_e32 v6, 2, v7
	v_mov_b32_e32 v7, 0
	v_lshl_add_u64 v[6:7], s[52:53], 0, v[6:7]
	flat_load_dword v6, v[6:7]
	s_or_b64 exec, exec, s[4:5]
                                        ; implicit-def: $vgpr7
	s_and_saveexec_b64 s[4:5], s[20:21]
	s_cbranch_execz .LBB1154_63
.LBB1154_278:
	v_lshlrev_b32_e32 v28, 2, v8
	v_mov_b32_e32 v29, 0
	v_lshl_add_u64 v[28:29], s[52:53], 0, v[28:29]
	flat_load_dword v7, v[28:29]
	s_or_b64 exec, exec, s[4:5]
                                        ; implicit-def: $vgpr8
	s_and_saveexec_b64 s[4:5], s[22:23]
	s_cbranch_execz .LBB1154_64
.LBB1154_279:
	v_lshlrev_b32_e32 v8, 2, v9
	v_mov_b32_e32 v9, 0
	v_lshl_add_u64 v[8:9], s[52:53], 0, v[8:9]
	flat_load_dword v8, v[8:9]
	s_or_b64 exec, exec, s[4:5]
                                        ; implicit-def: $vgpr9
	s_and_saveexec_b64 s[4:5], s[24:25]
	s_cbranch_execz .LBB1154_65
.LBB1154_280:
	v_lshlrev_b32_e32 v28, 2, v10
	v_mov_b32_e32 v29, 0
	v_lshl_add_u64 v[28:29], s[52:53], 0, v[28:29]
	flat_load_dword v9, v[28:29]
	s_or_b64 exec, exec, s[4:5]
                                        ; implicit-def: $vgpr10
	s_and_saveexec_b64 s[4:5], s[26:27]
	s_cbranch_execz .LBB1154_66
.LBB1154_281:
	v_lshlrev_b32_e32 v10, 2, v11
	v_mov_b32_e32 v11, 0
	v_lshl_add_u64 v[10:11], s[52:53], 0, v[10:11]
	flat_load_dword v10, v[10:11]
	s_or_b64 exec, exec, s[4:5]
                                        ; implicit-def: $vgpr11
	s_and_saveexec_b64 s[4:5], s[28:29]
	s_cbranch_execz .LBB1154_67
.LBB1154_282:
	v_lshlrev_b32_e32 v28, 2, v12
	v_mov_b32_e32 v29, 0
	v_lshl_add_u64 v[28:29], s[52:53], 0, v[28:29]
	flat_load_dword v11, v[28:29]
	s_or_b64 exec, exec, s[4:5]
                                        ; implicit-def: $vgpr12
	s_and_saveexec_b64 s[4:5], s[30:31]
	s_cbranch_execz .LBB1154_68
.LBB1154_283:
	v_lshlrev_b32_e32 v28, 2, v14
	v_mov_b32_e32 v29, 0
	v_lshl_add_u64 v[28:29], s[52:53], 0, v[28:29]
	flat_load_dword v12, v[28:29]
	s_or_b64 exec, exec, s[4:5]
                                        ; implicit-def: $vgpr14
	s_and_saveexec_b64 s[4:5], s[34:35]
	s_cbranch_execz .LBB1154_69
.LBB1154_284:
	v_lshlrev_b32_e32 v14, 2, v15
	v_mov_b32_e32 v15, 0
	v_lshl_add_u64 v[14:15], s[52:53], 0, v[14:15]
	flat_load_dword v14, v[14:15]
	s_or_b64 exec, exec, s[4:5]
                                        ; implicit-def: $vgpr15
	s_and_saveexec_b64 s[4:5], s[36:37]
	s_cbranch_execz .LBB1154_70
.LBB1154_285:
	v_lshlrev_b32_e32 v28, 2, v16
	v_mov_b32_e32 v29, 0
	v_lshl_add_u64 v[28:29], s[52:53], 0, v[28:29]
	flat_load_dword v15, v[28:29]
	s_or_b64 exec, exec, s[4:5]
                                        ; implicit-def: $vgpr16
	s_and_saveexec_b64 s[4:5], s[38:39]
	s_cbranch_execz .LBB1154_71
.LBB1154_286:
	v_lshlrev_b32_e32 v16, 2, v17
	v_mov_b32_e32 v17, 0
	v_lshl_add_u64 v[16:17], s[52:53], 0, v[16:17]
	flat_load_dword v16, v[16:17]
	s_or_b64 exec, exec, s[4:5]
                                        ; implicit-def: $vgpr17
	s_and_saveexec_b64 s[4:5], s[40:41]
	s_cbranch_execz .LBB1154_72
.LBB1154_287:
	v_lshlrev_b32_e32 v28, 2, v18
	v_mov_b32_e32 v29, 0
	v_lshl_add_u64 v[28:29], s[52:53], 0, v[28:29]
	flat_load_dword v17, v[28:29]
	s_or_b64 exec, exec, s[4:5]
                                        ; implicit-def: $vgpr18
	s_and_saveexec_b64 s[4:5], s[42:43]
	s_cbranch_execz .LBB1154_73
.LBB1154_288:
	v_lshlrev_b32_e32 v18, 2, v19
	v_mov_b32_e32 v19, 0
	v_lshl_add_u64 v[18:19], s[52:53], 0, v[18:19]
	flat_load_dword v18, v[18:19]
	s_or_b64 exec, exec, s[4:5]
                                        ; implicit-def: $vgpr19
	s_and_saveexec_b64 s[4:5], s[44:45]
	s_cbranch_execz .LBB1154_74
.LBB1154_289:
	v_lshlrev_b32_e32 v28, 2, v20
	v_mov_b32_e32 v29, 0
	v_lshl_add_u64 v[28:29], s[52:53], 0, v[28:29]
	flat_load_dword v19, v[28:29]
	s_or_b64 exec, exec, s[4:5]
                                        ; implicit-def: $vgpr20
	s_and_saveexec_b64 s[4:5], s[46:47]
	s_cbranch_execz .LBB1154_75
.LBB1154_290:
	v_lshlrev_b32_e32 v20, 2, v21
	v_mov_b32_e32 v21, 0
	v_lshl_add_u64 v[20:21], s[52:53], 0, v[20:21]
	flat_load_dword v20, v[20:21]
	s_or_b64 exec, exec, s[4:5]
                                        ; implicit-def: $vgpr21
	s_and_saveexec_b64 s[4:5], s[48:49]
	s_cbranch_execnz .LBB1154_76
	s_branch .LBB1154_77
.LBB1154_291:
	v_add_u32_e32 v2, -1, v0
	v_lshrrev_b32_e32 v3, 5, v2
	v_add_lshl_u32 v2, v3, v2, 3
	ds_read_b32 v2, v2
	s_or_b64 exec, exec, s[50:51]
	s_and_saveexec_b64 s[50:51], s[2:3]
	s_cbranch_execz .LBB1154_215
.LBB1154_292:
	v_mov_b32_e32 v3, 0
	s_waitcnt lgkmcnt(0)
	v_add_f32_e32 v2, v1, v2
	v_cmp_eq_u16_sdwa s[2:3], v66, v3 src0_sel:BYTE_0 src1_sel:DWORD
	;;#ASMSTART
	;;#ASMEND
	s_nop 1
	v_cndmask_b32_e64 v1, v1, v2, s[2:3]
	v_add_f32_e32 v2, v44, v1
	v_cndmask_b32_e64 v28, v44, v2, s[4:5]
	v_add_f32_e32 v2, v45, v28
	;; [unrolled: 2-line block ×22, first 2 shown]
	v_cndmask_b32_e64 v62, v41, v2, s[48:49]
	s_or_b64 exec, exec, s[50:51]
	s_and_saveexec_b64 s[2:3], vcc
	s_cbranch_execnz .LBB1154_216
	s_branch .LBB1154_217
.LBB1154_293:
                                        ; implicit-def: $sgpr56_sgpr57
	s_branch .LBB1154_50
.LBB1154_294:
                                        ; implicit-def: $sgpr4_sgpr5
	s_branch .LBB1154_126
	.section	.rodata,"a",@progbits
	.p2align	6, 0x0
	.amdhsa_kernel _ZN7rocprim17ROCPRIM_400000_NS6detail17trampoline_kernelINS0_14default_configENS1_27scan_by_key_config_selectorIifEEZZNS1_16scan_by_key_implILNS1_25lookback_scan_determinismE0ELb0ES3_N6thrust23THRUST_200600_302600_NS6detail15normal_iteratorINS9_10device_ptrIiEEEENSB_INSC_IfEEEESG_fNS9_4plusIvEENS9_8equal_toIvEEfEE10hipError_tPvRmT2_T3_T4_T5_mT6_T7_P12ihipStream_tbENKUlT_T0_E_clISt17integral_constantIbLb1EES10_IbLb0EEEEDaSW_SX_EUlSW_E_NS1_11comp_targetILNS1_3genE5ELNS1_11target_archE942ELNS1_3gpuE9ELNS1_3repE0EEENS1_30default_config_static_selectorELNS0_4arch9wavefront6targetE1EEEvT1_
		.amdhsa_group_segment_fixed_size 25600
		.amdhsa_private_segment_fixed_size 0
		.amdhsa_kernarg_size 112
		.amdhsa_user_sgpr_count 2
		.amdhsa_user_sgpr_dispatch_ptr 0
		.amdhsa_user_sgpr_queue_ptr 0
		.amdhsa_user_sgpr_kernarg_segment_ptr 1
		.amdhsa_user_sgpr_dispatch_id 0
		.amdhsa_user_sgpr_kernarg_preload_length 0
		.amdhsa_user_sgpr_kernarg_preload_offset 0
		.amdhsa_user_sgpr_private_segment_size 0
		.amdhsa_uses_dynamic_stack 0
		.amdhsa_enable_private_segment 0
		.amdhsa_system_sgpr_workgroup_id_x 1
		.amdhsa_system_sgpr_workgroup_id_y 0
		.amdhsa_system_sgpr_workgroup_id_z 0
		.amdhsa_system_sgpr_workgroup_info 0
		.amdhsa_system_vgpr_workitem_id 0
		.amdhsa_next_free_vgpr 91
		.amdhsa_next_free_sgpr 84
		.amdhsa_accum_offset 92
		.amdhsa_reserve_vcc 1
		.amdhsa_float_round_mode_32 0
		.amdhsa_float_round_mode_16_64 0
		.amdhsa_float_denorm_mode_32 3
		.amdhsa_float_denorm_mode_16_64 3
		.amdhsa_dx10_clamp 1
		.amdhsa_ieee_mode 1
		.amdhsa_fp16_overflow 0
		.amdhsa_tg_split 0
		.amdhsa_exception_fp_ieee_invalid_op 0
		.amdhsa_exception_fp_denorm_src 0
		.amdhsa_exception_fp_ieee_div_zero 0
		.amdhsa_exception_fp_ieee_overflow 0
		.amdhsa_exception_fp_ieee_underflow 0
		.amdhsa_exception_fp_ieee_inexact 0
		.amdhsa_exception_int_div_zero 0
	.end_amdhsa_kernel
	.section	.text._ZN7rocprim17ROCPRIM_400000_NS6detail17trampoline_kernelINS0_14default_configENS1_27scan_by_key_config_selectorIifEEZZNS1_16scan_by_key_implILNS1_25lookback_scan_determinismE0ELb0ES3_N6thrust23THRUST_200600_302600_NS6detail15normal_iteratorINS9_10device_ptrIiEEEENSB_INSC_IfEEEESG_fNS9_4plusIvEENS9_8equal_toIvEEfEE10hipError_tPvRmT2_T3_T4_T5_mT6_T7_P12ihipStream_tbENKUlT_T0_E_clISt17integral_constantIbLb1EES10_IbLb0EEEEDaSW_SX_EUlSW_E_NS1_11comp_targetILNS1_3genE5ELNS1_11target_archE942ELNS1_3gpuE9ELNS1_3repE0EEENS1_30default_config_static_selectorELNS0_4arch9wavefront6targetE1EEEvT1_,"axG",@progbits,_ZN7rocprim17ROCPRIM_400000_NS6detail17trampoline_kernelINS0_14default_configENS1_27scan_by_key_config_selectorIifEEZZNS1_16scan_by_key_implILNS1_25lookback_scan_determinismE0ELb0ES3_N6thrust23THRUST_200600_302600_NS6detail15normal_iteratorINS9_10device_ptrIiEEEENSB_INSC_IfEEEESG_fNS9_4plusIvEENS9_8equal_toIvEEfEE10hipError_tPvRmT2_T3_T4_T5_mT6_T7_P12ihipStream_tbENKUlT_T0_E_clISt17integral_constantIbLb1EES10_IbLb0EEEEDaSW_SX_EUlSW_E_NS1_11comp_targetILNS1_3genE5ELNS1_11target_archE942ELNS1_3gpuE9ELNS1_3repE0EEENS1_30default_config_static_selectorELNS0_4arch9wavefront6targetE1EEEvT1_,comdat
.Lfunc_end1154:
	.size	_ZN7rocprim17ROCPRIM_400000_NS6detail17trampoline_kernelINS0_14default_configENS1_27scan_by_key_config_selectorIifEEZZNS1_16scan_by_key_implILNS1_25lookback_scan_determinismE0ELb0ES3_N6thrust23THRUST_200600_302600_NS6detail15normal_iteratorINS9_10device_ptrIiEEEENSB_INSC_IfEEEESG_fNS9_4plusIvEENS9_8equal_toIvEEfEE10hipError_tPvRmT2_T3_T4_T5_mT6_T7_P12ihipStream_tbENKUlT_T0_E_clISt17integral_constantIbLb1EES10_IbLb0EEEEDaSW_SX_EUlSW_E_NS1_11comp_targetILNS1_3genE5ELNS1_11target_archE942ELNS1_3gpuE9ELNS1_3repE0EEENS1_30default_config_static_selectorELNS0_4arch9wavefront6targetE1EEEvT1_, .Lfunc_end1154-_ZN7rocprim17ROCPRIM_400000_NS6detail17trampoline_kernelINS0_14default_configENS1_27scan_by_key_config_selectorIifEEZZNS1_16scan_by_key_implILNS1_25lookback_scan_determinismE0ELb0ES3_N6thrust23THRUST_200600_302600_NS6detail15normal_iteratorINS9_10device_ptrIiEEEENSB_INSC_IfEEEESG_fNS9_4plusIvEENS9_8equal_toIvEEfEE10hipError_tPvRmT2_T3_T4_T5_mT6_T7_P12ihipStream_tbENKUlT_T0_E_clISt17integral_constantIbLb1EES10_IbLb0EEEEDaSW_SX_EUlSW_E_NS1_11comp_targetILNS1_3genE5ELNS1_11target_archE942ELNS1_3gpuE9ELNS1_3repE0EEENS1_30default_config_static_selectorELNS0_4arch9wavefront6targetE1EEEvT1_
                                        ; -- End function
	.section	.AMDGPU.csdata,"",@progbits
; Kernel info:
; codeLenInByte = 16128
; NumSgprs: 90
; NumVgprs: 91
; NumAgprs: 0
; TotalNumVgprs: 91
; ScratchSize: 0
; MemoryBound: 0
; FloatMode: 240
; IeeeMode: 1
; LDSByteSize: 25600 bytes/workgroup (compile time only)
; SGPRBlocks: 11
; VGPRBlocks: 11
; NumSGPRsForWavesPerEU: 90
; NumVGPRsForWavesPerEU: 91
; AccumOffset: 92
; Occupancy: 2
; WaveLimiterHint : 1
; COMPUTE_PGM_RSRC2:SCRATCH_EN: 0
; COMPUTE_PGM_RSRC2:USER_SGPR: 2
; COMPUTE_PGM_RSRC2:TRAP_HANDLER: 0
; COMPUTE_PGM_RSRC2:TGID_X_EN: 1
; COMPUTE_PGM_RSRC2:TGID_Y_EN: 0
; COMPUTE_PGM_RSRC2:TGID_Z_EN: 0
; COMPUTE_PGM_RSRC2:TIDIG_COMP_CNT: 0
; COMPUTE_PGM_RSRC3_GFX90A:ACCUM_OFFSET: 22
; COMPUTE_PGM_RSRC3_GFX90A:TG_SPLIT: 0
	.section	.text._ZN7rocprim17ROCPRIM_400000_NS6detail17trampoline_kernelINS0_14default_configENS1_27scan_by_key_config_selectorIifEEZZNS1_16scan_by_key_implILNS1_25lookback_scan_determinismE0ELb0ES3_N6thrust23THRUST_200600_302600_NS6detail15normal_iteratorINS9_10device_ptrIiEEEENSB_INSC_IfEEEESG_fNS9_4plusIvEENS9_8equal_toIvEEfEE10hipError_tPvRmT2_T3_T4_T5_mT6_T7_P12ihipStream_tbENKUlT_T0_E_clISt17integral_constantIbLb1EES10_IbLb0EEEEDaSW_SX_EUlSW_E_NS1_11comp_targetILNS1_3genE4ELNS1_11target_archE910ELNS1_3gpuE8ELNS1_3repE0EEENS1_30default_config_static_selectorELNS0_4arch9wavefront6targetE1EEEvT1_,"axG",@progbits,_ZN7rocprim17ROCPRIM_400000_NS6detail17trampoline_kernelINS0_14default_configENS1_27scan_by_key_config_selectorIifEEZZNS1_16scan_by_key_implILNS1_25lookback_scan_determinismE0ELb0ES3_N6thrust23THRUST_200600_302600_NS6detail15normal_iteratorINS9_10device_ptrIiEEEENSB_INSC_IfEEEESG_fNS9_4plusIvEENS9_8equal_toIvEEfEE10hipError_tPvRmT2_T3_T4_T5_mT6_T7_P12ihipStream_tbENKUlT_T0_E_clISt17integral_constantIbLb1EES10_IbLb0EEEEDaSW_SX_EUlSW_E_NS1_11comp_targetILNS1_3genE4ELNS1_11target_archE910ELNS1_3gpuE8ELNS1_3repE0EEENS1_30default_config_static_selectorELNS0_4arch9wavefront6targetE1EEEvT1_,comdat
	.protected	_ZN7rocprim17ROCPRIM_400000_NS6detail17trampoline_kernelINS0_14default_configENS1_27scan_by_key_config_selectorIifEEZZNS1_16scan_by_key_implILNS1_25lookback_scan_determinismE0ELb0ES3_N6thrust23THRUST_200600_302600_NS6detail15normal_iteratorINS9_10device_ptrIiEEEENSB_INSC_IfEEEESG_fNS9_4plusIvEENS9_8equal_toIvEEfEE10hipError_tPvRmT2_T3_T4_T5_mT6_T7_P12ihipStream_tbENKUlT_T0_E_clISt17integral_constantIbLb1EES10_IbLb0EEEEDaSW_SX_EUlSW_E_NS1_11comp_targetILNS1_3genE4ELNS1_11target_archE910ELNS1_3gpuE8ELNS1_3repE0EEENS1_30default_config_static_selectorELNS0_4arch9wavefront6targetE1EEEvT1_ ; -- Begin function _ZN7rocprim17ROCPRIM_400000_NS6detail17trampoline_kernelINS0_14default_configENS1_27scan_by_key_config_selectorIifEEZZNS1_16scan_by_key_implILNS1_25lookback_scan_determinismE0ELb0ES3_N6thrust23THRUST_200600_302600_NS6detail15normal_iteratorINS9_10device_ptrIiEEEENSB_INSC_IfEEEESG_fNS9_4plusIvEENS9_8equal_toIvEEfEE10hipError_tPvRmT2_T3_T4_T5_mT6_T7_P12ihipStream_tbENKUlT_T0_E_clISt17integral_constantIbLb1EES10_IbLb0EEEEDaSW_SX_EUlSW_E_NS1_11comp_targetILNS1_3genE4ELNS1_11target_archE910ELNS1_3gpuE8ELNS1_3repE0EEENS1_30default_config_static_selectorELNS0_4arch9wavefront6targetE1EEEvT1_
	.globl	_ZN7rocprim17ROCPRIM_400000_NS6detail17trampoline_kernelINS0_14default_configENS1_27scan_by_key_config_selectorIifEEZZNS1_16scan_by_key_implILNS1_25lookback_scan_determinismE0ELb0ES3_N6thrust23THRUST_200600_302600_NS6detail15normal_iteratorINS9_10device_ptrIiEEEENSB_INSC_IfEEEESG_fNS9_4plusIvEENS9_8equal_toIvEEfEE10hipError_tPvRmT2_T3_T4_T5_mT6_T7_P12ihipStream_tbENKUlT_T0_E_clISt17integral_constantIbLb1EES10_IbLb0EEEEDaSW_SX_EUlSW_E_NS1_11comp_targetILNS1_3genE4ELNS1_11target_archE910ELNS1_3gpuE8ELNS1_3repE0EEENS1_30default_config_static_selectorELNS0_4arch9wavefront6targetE1EEEvT1_
	.p2align	8
	.type	_ZN7rocprim17ROCPRIM_400000_NS6detail17trampoline_kernelINS0_14default_configENS1_27scan_by_key_config_selectorIifEEZZNS1_16scan_by_key_implILNS1_25lookback_scan_determinismE0ELb0ES3_N6thrust23THRUST_200600_302600_NS6detail15normal_iteratorINS9_10device_ptrIiEEEENSB_INSC_IfEEEESG_fNS9_4plusIvEENS9_8equal_toIvEEfEE10hipError_tPvRmT2_T3_T4_T5_mT6_T7_P12ihipStream_tbENKUlT_T0_E_clISt17integral_constantIbLb1EES10_IbLb0EEEEDaSW_SX_EUlSW_E_NS1_11comp_targetILNS1_3genE4ELNS1_11target_archE910ELNS1_3gpuE8ELNS1_3repE0EEENS1_30default_config_static_selectorELNS0_4arch9wavefront6targetE1EEEvT1_,@function
_ZN7rocprim17ROCPRIM_400000_NS6detail17trampoline_kernelINS0_14default_configENS1_27scan_by_key_config_selectorIifEEZZNS1_16scan_by_key_implILNS1_25lookback_scan_determinismE0ELb0ES3_N6thrust23THRUST_200600_302600_NS6detail15normal_iteratorINS9_10device_ptrIiEEEENSB_INSC_IfEEEESG_fNS9_4plusIvEENS9_8equal_toIvEEfEE10hipError_tPvRmT2_T3_T4_T5_mT6_T7_P12ihipStream_tbENKUlT_T0_E_clISt17integral_constantIbLb1EES10_IbLb0EEEEDaSW_SX_EUlSW_E_NS1_11comp_targetILNS1_3genE4ELNS1_11target_archE910ELNS1_3gpuE8ELNS1_3repE0EEENS1_30default_config_static_selectorELNS0_4arch9wavefront6targetE1EEEvT1_: ; @_ZN7rocprim17ROCPRIM_400000_NS6detail17trampoline_kernelINS0_14default_configENS1_27scan_by_key_config_selectorIifEEZZNS1_16scan_by_key_implILNS1_25lookback_scan_determinismE0ELb0ES3_N6thrust23THRUST_200600_302600_NS6detail15normal_iteratorINS9_10device_ptrIiEEEENSB_INSC_IfEEEESG_fNS9_4plusIvEENS9_8equal_toIvEEfEE10hipError_tPvRmT2_T3_T4_T5_mT6_T7_P12ihipStream_tbENKUlT_T0_E_clISt17integral_constantIbLb1EES10_IbLb0EEEEDaSW_SX_EUlSW_E_NS1_11comp_targetILNS1_3genE4ELNS1_11target_archE910ELNS1_3gpuE8ELNS1_3repE0EEENS1_30default_config_static_selectorELNS0_4arch9wavefront6targetE1EEEvT1_
; %bb.0:
	.section	.rodata,"a",@progbits
	.p2align	6, 0x0
	.amdhsa_kernel _ZN7rocprim17ROCPRIM_400000_NS6detail17trampoline_kernelINS0_14default_configENS1_27scan_by_key_config_selectorIifEEZZNS1_16scan_by_key_implILNS1_25lookback_scan_determinismE0ELb0ES3_N6thrust23THRUST_200600_302600_NS6detail15normal_iteratorINS9_10device_ptrIiEEEENSB_INSC_IfEEEESG_fNS9_4plusIvEENS9_8equal_toIvEEfEE10hipError_tPvRmT2_T3_T4_T5_mT6_T7_P12ihipStream_tbENKUlT_T0_E_clISt17integral_constantIbLb1EES10_IbLb0EEEEDaSW_SX_EUlSW_E_NS1_11comp_targetILNS1_3genE4ELNS1_11target_archE910ELNS1_3gpuE8ELNS1_3repE0EEENS1_30default_config_static_selectorELNS0_4arch9wavefront6targetE1EEEvT1_
		.amdhsa_group_segment_fixed_size 0
		.amdhsa_private_segment_fixed_size 0
		.amdhsa_kernarg_size 112
		.amdhsa_user_sgpr_count 2
		.amdhsa_user_sgpr_dispatch_ptr 0
		.amdhsa_user_sgpr_queue_ptr 0
		.amdhsa_user_sgpr_kernarg_segment_ptr 1
		.amdhsa_user_sgpr_dispatch_id 0
		.amdhsa_user_sgpr_kernarg_preload_length 0
		.amdhsa_user_sgpr_kernarg_preload_offset 0
		.amdhsa_user_sgpr_private_segment_size 0
		.amdhsa_uses_dynamic_stack 0
		.amdhsa_enable_private_segment 0
		.amdhsa_system_sgpr_workgroup_id_x 1
		.amdhsa_system_sgpr_workgroup_id_y 0
		.amdhsa_system_sgpr_workgroup_id_z 0
		.amdhsa_system_sgpr_workgroup_info 0
		.amdhsa_system_vgpr_workitem_id 0
		.amdhsa_next_free_vgpr 1
		.amdhsa_next_free_sgpr 0
		.amdhsa_accum_offset 4
		.amdhsa_reserve_vcc 0
		.amdhsa_float_round_mode_32 0
		.amdhsa_float_round_mode_16_64 0
		.amdhsa_float_denorm_mode_32 3
		.amdhsa_float_denorm_mode_16_64 3
		.amdhsa_dx10_clamp 1
		.amdhsa_ieee_mode 1
		.amdhsa_fp16_overflow 0
		.amdhsa_tg_split 0
		.amdhsa_exception_fp_ieee_invalid_op 0
		.amdhsa_exception_fp_denorm_src 0
		.amdhsa_exception_fp_ieee_div_zero 0
		.amdhsa_exception_fp_ieee_overflow 0
		.amdhsa_exception_fp_ieee_underflow 0
		.amdhsa_exception_fp_ieee_inexact 0
		.amdhsa_exception_int_div_zero 0
	.end_amdhsa_kernel
	.section	.text._ZN7rocprim17ROCPRIM_400000_NS6detail17trampoline_kernelINS0_14default_configENS1_27scan_by_key_config_selectorIifEEZZNS1_16scan_by_key_implILNS1_25lookback_scan_determinismE0ELb0ES3_N6thrust23THRUST_200600_302600_NS6detail15normal_iteratorINS9_10device_ptrIiEEEENSB_INSC_IfEEEESG_fNS9_4plusIvEENS9_8equal_toIvEEfEE10hipError_tPvRmT2_T3_T4_T5_mT6_T7_P12ihipStream_tbENKUlT_T0_E_clISt17integral_constantIbLb1EES10_IbLb0EEEEDaSW_SX_EUlSW_E_NS1_11comp_targetILNS1_3genE4ELNS1_11target_archE910ELNS1_3gpuE8ELNS1_3repE0EEENS1_30default_config_static_selectorELNS0_4arch9wavefront6targetE1EEEvT1_,"axG",@progbits,_ZN7rocprim17ROCPRIM_400000_NS6detail17trampoline_kernelINS0_14default_configENS1_27scan_by_key_config_selectorIifEEZZNS1_16scan_by_key_implILNS1_25lookback_scan_determinismE0ELb0ES3_N6thrust23THRUST_200600_302600_NS6detail15normal_iteratorINS9_10device_ptrIiEEEENSB_INSC_IfEEEESG_fNS9_4plusIvEENS9_8equal_toIvEEfEE10hipError_tPvRmT2_T3_T4_T5_mT6_T7_P12ihipStream_tbENKUlT_T0_E_clISt17integral_constantIbLb1EES10_IbLb0EEEEDaSW_SX_EUlSW_E_NS1_11comp_targetILNS1_3genE4ELNS1_11target_archE910ELNS1_3gpuE8ELNS1_3repE0EEENS1_30default_config_static_selectorELNS0_4arch9wavefront6targetE1EEEvT1_,comdat
.Lfunc_end1155:
	.size	_ZN7rocprim17ROCPRIM_400000_NS6detail17trampoline_kernelINS0_14default_configENS1_27scan_by_key_config_selectorIifEEZZNS1_16scan_by_key_implILNS1_25lookback_scan_determinismE0ELb0ES3_N6thrust23THRUST_200600_302600_NS6detail15normal_iteratorINS9_10device_ptrIiEEEENSB_INSC_IfEEEESG_fNS9_4plusIvEENS9_8equal_toIvEEfEE10hipError_tPvRmT2_T3_T4_T5_mT6_T7_P12ihipStream_tbENKUlT_T0_E_clISt17integral_constantIbLb1EES10_IbLb0EEEEDaSW_SX_EUlSW_E_NS1_11comp_targetILNS1_3genE4ELNS1_11target_archE910ELNS1_3gpuE8ELNS1_3repE0EEENS1_30default_config_static_selectorELNS0_4arch9wavefront6targetE1EEEvT1_, .Lfunc_end1155-_ZN7rocprim17ROCPRIM_400000_NS6detail17trampoline_kernelINS0_14default_configENS1_27scan_by_key_config_selectorIifEEZZNS1_16scan_by_key_implILNS1_25lookback_scan_determinismE0ELb0ES3_N6thrust23THRUST_200600_302600_NS6detail15normal_iteratorINS9_10device_ptrIiEEEENSB_INSC_IfEEEESG_fNS9_4plusIvEENS9_8equal_toIvEEfEE10hipError_tPvRmT2_T3_T4_T5_mT6_T7_P12ihipStream_tbENKUlT_T0_E_clISt17integral_constantIbLb1EES10_IbLb0EEEEDaSW_SX_EUlSW_E_NS1_11comp_targetILNS1_3genE4ELNS1_11target_archE910ELNS1_3gpuE8ELNS1_3repE0EEENS1_30default_config_static_selectorELNS0_4arch9wavefront6targetE1EEEvT1_
                                        ; -- End function
	.section	.AMDGPU.csdata,"",@progbits
; Kernel info:
; codeLenInByte = 0
; NumSgprs: 6
; NumVgprs: 0
; NumAgprs: 0
; TotalNumVgprs: 0
; ScratchSize: 0
; MemoryBound: 0
; FloatMode: 240
; IeeeMode: 1
; LDSByteSize: 0 bytes/workgroup (compile time only)
; SGPRBlocks: 0
; VGPRBlocks: 0
; NumSGPRsForWavesPerEU: 6
; NumVGPRsForWavesPerEU: 1
; AccumOffset: 4
; Occupancy: 8
; WaveLimiterHint : 0
; COMPUTE_PGM_RSRC2:SCRATCH_EN: 0
; COMPUTE_PGM_RSRC2:USER_SGPR: 2
; COMPUTE_PGM_RSRC2:TRAP_HANDLER: 0
; COMPUTE_PGM_RSRC2:TGID_X_EN: 1
; COMPUTE_PGM_RSRC2:TGID_Y_EN: 0
; COMPUTE_PGM_RSRC2:TGID_Z_EN: 0
; COMPUTE_PGM_RSRC2:TIDIG_COMP_CNT: 0
; COMPUTE_PGM_RSRC3_GFX90A:ACCUM_OFFSET: 0
; COMPUTE_PGM_RSRC3_GFX90A:TG_SPLIT: 0
	.section	.text._ZN7rocprim17ROCPRIM_400000_NS6detail17trampoline_kernelINS0_14default_configENS1_27scan_by_key_config_selectorIifEEZZNS1_16scan_by_key_implILNS1_25lookback_scan_determinismE0ELb0ES3_N6thrust23THRUST_200600_302600_NS6detail15normal_iteratorINS9_10device_ptrIiEEEENSB_INSC_IfEEEESG_fNS9_4plusIvEENS9_8equal_toIvEEfEE10hipError_tPvRmT2_T3_T4_T5_mT6_T7_P12ihipStream_tbENKUlT_T0_E_clISt17integral_constantIbLb1EES10_IbLb0EEEEDaSW_SX_EUlSW_E_NS1_11comp_targetILNS1_3genE3ELNS1_11target_archE908ELNS1_3gpuE7ELNS1_3repE0EEENS1_30default_config_static_selectorELNS0_4arch9wavefront6targetE1EEEvT1_,"axG",@progbits,_ZN7rocprim17ROCPRIM_400000_NS6detail17trampoline_kernelINS0_14default_configENS1_27scan_by_key_config_selectorIifEEZZNS1_16scan_by_key_implILNS1_25lookback_scan_determinismE0ELb0ES3_N6thrust23THRUST_200600_302600_NS6detail15normal_iteratorINS9_10device_ptrIiEEEENSB_INSC_IfEEEESG_fNS9_4plusIvEENS9_8equal_toIvEEfEE10hipError_tPvRmT2_T3_T4_T5_mT6_T7_P12ihipStream_tbENKUlT_T0_E_clISt17integral_constantIbLb1EES10_IbLb0EEEEDaSW_SX_EUlSW_E_NS1_11comp_targetILNS1_3genE3ELNS1_11target_archE908ELNS1_3gpuE7ELNS1_3repE0EEENS1_30default_config_static_selectorELNS0_4arch9wavefront6targetE1EEEvT1_,comdat
	.protected	_ZN7rocprim17ROCPRIM_400000_NS6detail17trampoline_kernelINS0_14default_configENS1_27scan_by_key_config_selectorIifEEZZNS1_16scan_by_key_implILNS1_25lookback_scan_determinismE0ELb0ES3_N6thrust23THRUST_200600_302600_NS6detail15normal_iteratorINS9_10device_ptrIiEEEENSB_INSC_IfEEEESG_fNS9_4plusIvEENS9_8equal_toIvEEfEE10hipError_tPvRmT2_T3_T4_T5_mT6_T7_P12ihipStream_tbENKUlT_T0_E_clISt17integral_constantIbLb1EES10_IbLb0EEEEDaSW_SX_EUlSW_E_NS1_11comp_targetILNS1_3genE3ELNS1_11target_archE908ELNS1_3gpuE7ELNS1_3repE0EEENS1_30default_config_static_selectorELNS0_4arch9wavefront6targetE1EEEvT1_ ; -- Begin function _ZN7rocprim17ROCPRIM_400000_NS6detail17trampoline_kernelINS0_14default_configENS1_27scan_by_key_config_selectorIifEEZZNS1_16scan_by_key_implILNS1_25lookback_scan_determinismE0ELb0ES3_N6thrust23THRUST_200600_302600_NS6detail15normal_iteratorINS9_10device_ptrIiEEEENSB_INSC_IfEEEESG_fNS9_4plusIvEENS9_8equal_toIvEEfEE10hipError_tPvRmT2_T3_T4_T5_mT6_T7_P12ihipStream_tbENKUlT_T0_E_clISt17integral_constantIbLb1EES10_IbLb0EEEEDaSW_SX_EUlSW_E_NS1_11comp_targetILNS1_3genE3ELNS1_11target_archE908ELNS1_3gpuE7ELNS1_3repE0EEENS1_30default_config_static_selectorELNS0_4arch9wavefront6targetE1EEEvT1_
	.globl	_ZN7rocprim17ROCPRIM_400000_NS6detail17trampoline_kernelINS0_14default_configENS1_27scan_by_key_config_selectorIifEEZZNS1_16scan_by_key_implILNS1_25lookback_scan_determinismE0ELb0ES3_N6thrust23THRUST_200600_302600_NS6detail15normal_iteratorINS9_10device_ptrIiEEEENSB_INSC_IfEEEESG_fNS9_4plusIvEENS9_8equal_toIvEEfEE10hipError_tPvRmT2_T3_T4_T5_mT6_T7_P12ihipStream_tbENKUlT_T0_E_clISt17integral_constantIbLb1EES10_IbLb0EEEEDaSW_SX_EUlSW_E_NS1_11comp_targetILNS1_3genE3ELNS1_11target_archE908ELNS1_3gpuE7ELNS1_3repE0EEENS1_30default_config_static_selectorELNS0_4arch9wavefront6targetE1EEEvT1_
	.p2align	8
	.type	_ZN7rocprim17ROCPRIM_400000_NS6detail17trampoline_kernelINS0_14default_configENS1_27scan_by_key_config_selectorIifEEZZNS1_16scan_by_key_implILNS1_25lookback_scan_determinismE0ELb0ES3_N6thrust23THRUST_200600_302600_NS6detail15normal_iteratorINS9_10device_ptrIiEEEENSB_INSC_IfEEEESG_fNS9_4plusIvEENS9_8equal_toIvEEfEE10hipError_tPvRmT2_T3_T4_T5_mT6_T7_P12ihipStream_tbENKUlT_T0_E_clISt17integral_constantIbLb1EES10_IbLb0EEEEDaSW_SX_EUlSW_E_NS1_11comp_targetILNS1_3genE3ELNS1_11target_archE908ELNS1_3gpuE7ELNS1_3repE0EEENS1_30default_config_static_selectorELNS0_4arch9wavefront6targetE1EEEvT1_,@function
_ZN7rocprim17ROCPRIM_400000_NS6detail17trampoline_kernelINS0_14default_configENS1_27scan_by_key_config_selectorIifEEZZNS1_16scan_by_key_implILNS1_25lookback_scan_determinismE0ELb0ES3_N6thrust23THRUST_200600_302600_NS6detail15normal_iteratorINS9_10device_ptrIiEEEENSB_INSC_IfEEEESG_fNS9_4plusIvEENS9_8equal_toIvEEfEE10hipError_tPvRmT2_T3_T4_T5_mT6_T7_P12ihipStream_tbENKUlT_T0_E_clISt17integral_constantIbLb1EES10_IbLb0EEEEDaSW_SX_EUlSW_E_NS1_11comp_targetILNS1_3genE3ELNS1_11target_archE908ELNS1_3gpuE7ELNS1_3repE0EEENS1_30default_config_static_selectorELNS0_4arch9wavefront6targetE1EEEvT1_: ; @_ZN7rocprim17ROCPRIM_400000_NS6detail17trampoline_kernelINS0_14default_configENS1_27scan_by_key_config_selectorIifEEZZNS1_16scan_by_key_implILNS1_25lookback_scan_determinismE0ELb0ES3_N6thrust23THRUST_200600_302600_NS6detail15normal_iteratorINS9_10device_ptrIiEEEENSB_INSC_IfEEEESG_fNS9_4plusIvEENS9_8equal_toIvEEfEE10hipError_tPvRmT2_T3_T4_T5_mT6_T7_P12ihipStream_tbENKUlT_T0_E_clISt17integral_constantIbLb1EES10_IbLb0EEEEDaSW_SX_EUlSW_E_NS1_11comp_targetILNS1_3genE3ELNS1_11target_archE908ELNS1_3gpuE7ELNS1_3repE0EEENS1_30default_config_static_selectorELNS0_4arch9wavefront6targetE1EEEvT1_
; %bb.0:
	.section	.rodata,"a",@progbits
	.p2align	6, 0x0
	.amdhsa_kernel _ZN7rocprim17ROCPRIM_400000_NS6detail17trampoline_kernelINS0_14default_configENS1_27scan_by_key_config_selectorIifEEZZNS1_16scan_by_key_implILNS1_25lookback_scan_determinismE0ELb0ES3_N6thrust23THRUST_200600_302600_NS6detail15normal_iteratorINS9_10device_ptrIiEEEENSB_INSC_IfEEEESG_fNS9_4plusIvEENS9_8equal_toIvEEfEE10hipError_tPvRmT2_T3_T4_T5_mT6_T7_P12ihipStream_tbENKUlT_T0_E_clISt17integral_constantIbLb1EES10_IbLb0EEEEDaSW_SX_EUlSW_E_NS1_11comp_targetILNS1_3genE3ELNS1_11target_archE908ELNS1_3gpuE7ELNS1_3repE0EEENS1_30default_config_static_selectorELNS0_4arch9wavefront6targetE1EEEvT1_
		.amdhsa_group_segment_fixed_size 0
		.amdhsa_private_segment_fixed_size 0
		.amdhsa_kernarg_size 112
		.amdhsa_user_sgpr_count 2
		.amdhsa_user_sgpr_dispatch_ptr 0
		.amdhsa_user_sgpr_queue_ptr 0
		.amdhsa_user_sgpr_kernarg_segment_ptr 1
		.amdhsa_user_sgpr_dispatch_id 0
		.amdhsa_user_sgpr_kernarg_preload_length 0
		.amdhsa_user_sgpr_kernarg_preload_offset 0
		.amdhsa_user_sgpr_private_segment_size 0
		.amdhsa_uses_dynamic_stack 0
		.amdhsa_enable_private_segment 0
		.amdhsa_system_sgpr_workgroup_id_x 1
		.amdhsa_system_sgpr_workgroup_id_y 0
		.amdhsa_system_sgpr_workgroup_id_z 0
		.amdhsa_system_sgpr_workgroup_info 0
		.amdhsa_system_vgpr_workitem_id 0
		.amdhsa_next_free_vgpr 1
		.amdhsa_next_free_sgpr 0
		.amdhsa_accum_offset 4
		.amdhsa_reserve_vcc 0
		.amdhsa_float_round_mode_32 0
		.amdhsa_float_round_mode_16_64 0
		.amdhsa_float_denorm_mode_32 3
		.amdhsa_float_denorm_mode_16_64 3
		.amdhsa_dx10_clamp 1
		.amdhsa_ieee_mode 1
		.amdhsa_fp16_overflow 0
		.amdhsa_tg_split 0
		.amdhsa_exception_fp_ieee_invalid_op 0
		.amdhsa_exception_fp_denorm_src 0
		.amdhsa_exception_fp_ieee_div_zero 0
		.amdhsa_exception_fp_ieee_overflow 0
		.amdhsa_exception_fp_ieee_underflow 0
		.amdhsa_exception_fp_ieee_inexact 0
		.amdhsa_exception_int_div_zero 0
	.end_amdhsa_kernel
	.section	.text._ZN7rocprim17ROCPRIM_400000_NS6detail17trampoline_kernelINS0_14default_configENS1_27scan_by_key_config_selectorIifEEZZNS1_16scan_by_key_implILNS1_25lookback_scan_determinismE0ELb0ES3_N6thrust23THRUST_200600_302600_NS6detail15normal_iteratorINS9_10device_ptrIiEEEENSB_INSC_IfEEEESG_fNS9_4plusIvEENS9_8equal_toIvEEfEE10hipError_tPvRmT2_T3_T4_T5_mT6_T7_P12ihipStream_tbENKUlT_T0_E_clISt17integral_constantIbLb1EES10_IbLb0EEEEDaSW_SX_EUlSW_E_NS1_11comp_targetILNS1_3genE3ELNS1_11target_archE908ELNS1_3gpuE7ELNS1_3repE0EEENS1_30default_config_static_selectorELNS0_4arch9wavefront6targetE1EEEvT1_,"axG",@progbits,_ZN7rocprim17ROCPRIM_400000_NS6detail17trampoline_kernelINS0_14default_configENS1_27scan_by_key_config_selectorIifEEZZNS1_16scan_by_key_implILNS1_25lookback_scan_determinismE0ELb0ES3_N6thrust23THRUST_200600_302600_NS6detail15normal_iteratorINS9_10device_ptrIiEEEENSB_INSC_IfEEEESG_fNS9_4plusIvEENS9_8equal_toIvEEfEE10hipError_tPvRmT2_T3_T4_T5_mT6_T7_P12ihipStream_tbENKUlT_T0_E_clISt17integral_constantIbLb1EES10_IbLb0EEEEDaSW_SX_EUlSW_E_NS1_11comp_targetILNS1_3genE3ELNS1_11target_archE908ELNS1_3gpuE7ELNS1_3repE0EEENS1_30default_config_static_selectorELNS0_4arch9wavefront6targetE1EEEvT1_,comdat
.Lfunc_end1156:
	.size	_ZN7rocprim17ROCPRIM_400000_NS6detail17trampoline_kernelINS0_14default_configENS1_27scan_by_key_config_selectorIifEEZZNS1_16scan_by_key_implILNS1_25lookback_scan_determinismE0ELb0ES3_N6thrust23THRUST_200600_302600_NS6detail15normal_iteratorINS9_10device_ptrIiEEEENSB_INSC_IfEEEESG_fNS9_4plusIvEENS9_8equal_toIvEEfEE10hipError_tPvRmT2_T3_T4_T5_mT6_T7_P12ihipStream_tbENKUlT_T0_E_clISt17integral_constantIbLb1EES10_IbLb0EEEEDaSW_SX_EUlSW_E_NS1_11comp_targetILNS1_3genE3ELNS1_11target_archE908ELNS1_3gpuE7ELNS1_3repE0EEENS1_30default_config_static_selectorELNS0_4arch9wavefront6targetE1EEEvT1_, .Lfunc_end1156-_ZN7rocprim17ROCPRIM_400000_NS6detail17trampoline_kernelINS0_14default_configENS1_27scan_by_key_config_selectorIifEEZZNS1_16scan_by_key_implILNS1_25lookback_scan_determinismE0ELb0ES3_N6thrust23THRUST_200600_302600_NS6detail15normal_iteratorINS9_10device_ptrIiEEEENSB_INSC_IfEEEESG_fNS9_4plusIvEENS9_8equal_toIvEEfEE10hipError_tPvRmT2_T3_T4_T5_mT6_T7_P12ihipStream_tbENKUlT_T0_E_clISt17integral_constantIbLb1EES10_IbLb0EEEEDaSW_SX_EUlSW_E_NS1_11comp_targetILNS1_3genE3ELNS1_11target_archE908ELNS1_3gpuE7ELNS1_3repE0EEENS1_30default_config_static_selectorELNS0_4arch9wavefront6targetE1EEEvT1_
                                        ; -- End function
	.section	.AMDGPU.csdata,"",@progbits
; Kernel info:
; codeLenInByte = 0
; NumSgprs: 6
; NumVgprs: 0
; NumAgprs: 0
; TotalNumVgprs: 0
; ScratchSize: 0
; MemoryBound: 0
; FloatMode: 240
; IeeeMode: 1
; LDSByteSize: 0 bytes/workgroup (compile time only)
; SGPRBlocks: 0
; VGPRBlocks: 0
; NumSGPRsForWavesPerEU: 6
; NumVGPRsForWavesPerEU: 1
; AccumOffset: 4
; Occupancy: 8
; WaveLimiterHint : 0
; COMPUTE_PGM_RSRC2:SCRATCH_EN: 0
; COMPUTE_PGM_RSRC2:USER_SGPR: 2
; COMPUTE_PGM_RSRC2:TRAP_HANDLER: 0
; COMPUTE_PGM_RSRC2:TGID_X_EN: 1
; COMPUTE_PGM_RSRC2:TGID_Y_EN: 0
; COMPUTE_PGM_RSRC2:TGID_Z_EN: 0
; COMPUTE_PGM_RSRC2:TIDIG_COMP_CNT: 0
; COMPUTE_PGM_RSRC3_GFX90A:ACCUM_OFFSET: 0
; COMPUTE_PGM_RSRC3_GFX90A:TG_SPLIT: 0
	.section	.text._ZN7rocprim17ROCPRIM_400000_NS6detail17trampoline_kernelINS0_14default_configENS1_27scan_by_key_config_selectorIifEEZZNS1_16scan_by_key_implILNS1_25lookback_scan_determinismE0ELb0ES3_N6thrust23THRUST_200600_302600_NS6detail15normal_iteratorINS9_10device_ptrIiEEEENSB_INSC_IfEEEESG_fNS9_4plusIvEENS9_8equal_toIvEEfEE10hipError_tPvRmT2_T3_T4_T5_mT6_T7_P12ihipStream_tbENKUlT_T0_E_clISt17integral_constantIbLb1EES10_IbLb0EEEEDaSW_SX_EUlSW_E_NS1_11comp_targetILNS1_3genE2ELNS1_11target_archE906ELNS1_3gpuE6ELNS1_3repE0EEENS1_30default_config_static_selectorELNS0_4arch9wavefront6targetE1EEEvT1_,"axG",@progbits,_ZN7rocprim17ROCPRIM_400000_NS6detail17trampoline_kernelINS0_14default_configENS1_27scan_by_key_config_selectorIifEEZZNS1_16scan_by_key_implILNS1_25lookback_scan_determinismE0ELb0ES3_N6thrust23THRUST_200600_302600_NS6detail15normal_iteratorINS9_10device_ptrIiEEEENSB_INSC_IfEEEESG_fNS9_4plusIvEENS9_8equal_toIvEEfEE10hipError_tPvRmT2_T3_T4_T5_mT6_T7_P12ihipStream_tbENKUlT_T0_E_clISt17integral_constantIbLb1EES10_IbLb0EEEEDaSW_SX_EUlSW_E_NS1_11comp_targetILNS1_3genE2ELNS1_11target_archE906ELNS1_3gpuE6ELNS1_3repE0EEENS1_30default_config_static_selectorELNS0_4arch9wavefront6targetE1EEEvT1_,comdat
	.protected	_ZN7rocprim17ROCPRIM_400000_NS6detail17trampoline_kernelINS0_14default_configENS1_27scan_by_key_config_selectorIifEEZZNS1_16scan_by_key_implILNS1_25lookback_scan_determinismE0ELb0ES3_N6thrust23THRUST_200600_302600_NS6detail15normal_iteratorINS9_10device_ptrIiEEEENSB_INSC_IfEEEESG_fNS9_4plusIvEENS9_8equal_toIvEEfEE10hipError_tPvRmT2_T3_T4_T5_mT6_T7_P12ihipStream_tbENKUlT_T0_E_clISt17integral_constantIbLb1EES10_IbLb0EEEEDaSW_SX_EUlSW_E_NS1_11comp_targetILNS1_3genE2ELNS1_11target_archE906ELNS1_3gpuE6ELNS1_3repE0EEENS1_30default_config_static_selectorELNS0_4arch9wavefront6targetE1EEEvT1_ ; -- Begin function _ZN7rocprim17ROCPRIM_400000_NS6detail17trampoline_kernelINS0_14default_configENS1_27scan_by_key_config_selectorIifEEZZNS1_16scan_by_key_implILNS1_25lookback_scan_determinismE0ELb0ES3_N6thrust23THRUST_200600_302600_NS6detail15normal_iteratorINS9_10device_ptrIiEEEENSB_INSC_IfEEEESG_fNS9_4plusIvEENS9_8equal_toIvEEfEE10hipError_tPvRmT2_T3_T4_T5_mT6_T7_P12ihipStream_tbENKUlT_T0_E_clISt17integral_constantIbLb1EES10_IbLb0EEEEDaSW_SX_EUlSW_E_NS1_11comp_targetILNS1_3genE2ELNS1_11target_archE906ELNS1_3gpuE6ELNS1_3repE0EEENS1_30default_config_static_selectorELNS0_4arch9wavefront6targetE1EEEvT1_
	.globl	_ZN7rocprim17ROCPRIM_400000_NS6detail17trampoline_kernelINS0_14default_configENS1_27scan_by_key_config_selectorIifEEZZNS1_16scan_by_key_implILNS1_25lookback_scan_determinismE0ELb0ES3_N6thrust23THRUST_200600_302600_NS6detail15normal_iteratorINS9_10device_ptrIiEEEENSB_INSC_IfEEEESG_fNS9_4plusIvEENS9_8equal_toIvEEfEE10hipError_tPvRmT2_T3_T4_T5_mT6_T7_P12ihipStream_tbENKUlT_T0_E_clISt17integral_constantIbLb1EES10_IbLb0EEEEDaSW_SX_EUlSW_E_NS1_11comp_targetILNS1_3genE2ELNS1_11target_archE906ELNS1_3gpuE6ELNS1_3repE0EEENS1_30default_config_static_selectorELNS0_4arch9wavefront6targetE1EEEvT1_
	.p2align	8
	.type	_ZN7rocprim17ROCPRIM_400000_NS6detail17trampoline_kernelINS0_14default_configENS1_27scan_by_key_config_selectorIifEEZZNS1_16scan_by_key_implILNS1_25lookback_scan_determinismE0ELb0ES3_N6thrust23THRUST_200600_302600_NS6detail15normal_iteratorINS9_10device_ptrIiEEEENSB_INSC_IfEEEESG_fNS9_4plusIvEENS9_8equal_toIvEEfEE10hipError_tPvRmT2_T3_T4_T5_mT6_T7_P12ihipStream_tbENKUlT_T0_E_clISt17integral_constantIbLb1EES10_IbLb0EEEEDaSW_SX_EUlSW_E_NS1_11comp_targetILNS1_3genE2ELNS1_11target_archE906ELNS1_3gpuE6ELNS1_3repE0EEENS1_30default_config_static_selectorELNS0_4arch9wavefront6targetE1EEEvT1_,@function
_ZN7rocprim17ROCPRIM_400000_NS6detail17trampoline_kernelINS0_14default_configENS1_27scan_by_key_config_selectorIifEEZZNS1_16scan_by_key_implILNS1_25lookback_scan_determinismE0ELb0ES3_N6thrust23THRUST_200600_302600_NS6detail15normal_iteratorINS9_10device_ptrIiEEEENSB_INSC_IfEEEESG_fNS9_4plusIvEENS9_8equal_toIvEEfEE10hipError_tPvRmT2_T3_T4_T5_mT6_T7_P12ihipStream_tbENKUlT_T0_E_clISt17integral_constantIbLb1EES10_IbLb0EEEEDaSW_SX_EUlSW_E_NS1_11comp_targetILNS1_3genE2ELNS1_11target_archE906ELNS1_3gpuE6ELNS1_3repE0EEENS1_30default_config_static_selectorELNS0_4arch9wavefront6targetE1EEEvT1_: ; @_ZN7rocprim17ROCPRIM_400000_NS6detail17trampoline_kernelINS0_14default_configENS1_27scan_by_key_config_selectorIifEEZZNS1_16scan_by_key_implILNS1_25lookback_scan_determinismE0ELb0ES3_N6thrust23THRUST_200600_302600_NS6detail15normal_iteratorINS9_10device_ptrIiEEEENSB_INSC_IfEEEESG_fNS9_4plusIvEENS9_8equal_toIvEEfEE10hipError_tPvRmT2_T3_T4_T5_mT6_T7_P12ihipStream_tbENKUlT_T0_E_clISt17integral_constantIbLb1EES10_IbLb0EEEEDaSW_SX_EUlSW_E_NS1_11comp_targetILNS1_3genE2ELNS1_11target_archE906ELNS1_3gpuE6ELNS1_3repE0EEENS1_30default_config_static_selectorELNS0_4arch9wavefront6targetE1EEEvT1_
; %bb.0:
	.section	.rodata,"a",@progbits
	.p2align	6, 0x0
	.amdhsa_kernel _ZN7rocprim17ROCPRIM_400000_NS6detail17trampoline_kernelINS0_14default_configENS1_27scan_by_key_config_selectorIifEEZZNS1_16scan_by_key_implILNS1_25lookback_scan_determinismE0ELb0ES3_N6thrust23THRUST_200600_302600_NS6detail15normal_iteratorINS9_10device_ptrIiEEEENSB_INSC_IfEEEESG_fNS9_4plusIvEENS9_8equal_toIvEEfEE10hipError_tPvRmT2_T3_T4_T5_mT6_T7_P12ihipStream_tbENKUlT_T0_E_clISt17integral_constantIbLb1EES10_IbLb0EEEEDaSW_SX_EUlSW_E_NS1_11comp_targetILNS1_3genE2ELNS1_11target_archE906ELNS1_3gpuE6ELNS1_3repE0EEENS1_30default_config_static_selectorELNS0_4arch9wavefront6targetE1EEEvT1_
		.amdhsa_group_segment_fixed_size 0
		.amdhsa_private_segment_fixed_size 0
		.amdhsa_kernarg_size 112
		.amdhsa_user_sgpr_count 2
		.amdhsa_user_sgpr_dispatch_ptr 0
		.amdhsa_user_sgpr_queue_ptr 0
		.amdhsa_user_sgpr_kernarg_segment_ptr 1
		.amdhsa_user_sgpr_dispatch_id 0
		.amdhsa_user_sgpr_kernarg_preload_length 0
		.amdhsa_user_sgpr_kernarg_preload_offset 0
		.amdhsa_user_sgpr_private_segment_size 0
		.amdhsa_uses_dynamic_stack 0
		.amdhsa_enable_private_segment 0
		.amdhsa_system_sgpr_workgroup_id_x 1
		.amdhsa_system_sgpr_workgroup_id_y 0
		.amdhsa_system_sgpr_workgroup_id_z 0
		.amdhsa_system_sgpr_workgroup_info 0
		.amdhsa_system_vgpr_workitem_id 0
		.amdhsa_next_free_vgpr 1
		.amdhsa_next_free_sgpr 0
		.amdhsa_accum_offset 4
		.amdhsa_reserve_vcc 0
		.amdhsa_float_round_mode_32 0
		.amdhsa_float_round_mode_16_64 0
		.amdhsa_float_denorm_mode_32 3
		.amdhsa_float_denorm_mode_16_64 3
		.amdhsa_dx10_clamp 1
		.amdhsa_ieee_mode 1
		.amdhsa_fp16_overflow 0
		.amdhsa_tg_split 0
		.amdhsa_exception_fp_ieee_invalid_op 0
		.amdhsa_exception_fp_denorm_src 0
		.amdhsa_exception_fp_ieee_div_zero 0
		.amdhsa_exception_fp_ieee_overflow 0
		.amdhsa_exception_fp_ieee_underflow 0
		.amdhsa_exception_fp_ieee_inexact 0
		.amdhsa_exception_int_div_zero 0
	.end_amdhsa_kernel
	.section	.text._ZN7rocprim17ROCPRIM_400000_NS6detail17trampoline_kernelINS0_14default_configENS1_27scan_by_key_config_selectorIifEEZZNS1_16scan_by_key_implILNS1_25lookback_scan_determinismE0ELb0ES3_N6thrust23THRUST_200600_302600_NS6detail15normal_iteratorINS9_10device_ptrIiEEEENSB_INSC_IfEEEESG_fNS9_4plusIvEENS9_8equal_toIvEEfEE10hipError_tPvRmT2_T3_T4_T5_mT6_T7_P12ihipStream_tbENKUlT_T0_E_clISt17integral_constantIbLb1EES10_IbLb0EEEEDaSW_SX_EUlSW_E_NS1_11comp_targetILNS1_3genE2ELNS1_11target_archE906ELNS1_3gpuE6ELNS1_3repE0EEENS1_30default_config_static_selectorELNS0_4arch9wavefront6targetE1EEEvT1_,"axG",@progbits,_ZN7rocprim17ROCPRIM_400000_NS6detail17trampoline_kernelINS0_14default_configENS1_27scan_by_key_config_selectorIifEEZZNS1_16scan_by_key_implILNS1_25lookback_scan_determinismE0ELb0ES3_N6thrust23THRUST_200600_302600_NS6detail15normal_iteratorINS9_10device_ptrIiEEEENSB_INSC_IfEEEESG_fNS9_4plusIvEENS9_8equal_toIvEEfEE10hipError_tPvRmT2_T3_T4_T5_mT6_T7_P12ihipStream_tbENKUlT_T0_E_clISt17integral_constantIbLb1EES10_IbLb0EEEEDaSW_SX_EUlSW_E_NS1_11comp_targetILNS1_3genE2ELNS1_11target_archE906ELNS1_3gpuE6ELNS1_3repE0EEENS1_30default_config_static_selectorELNS0_4arch9wavefront6targetE1EEEvT1_,comdat
.Lfunc_end1157:
	.size	_ZN7rocprim17ROCPRIM_400000_NS6detail17trampoline_kernelINS0_14default_configENS1_27scan_by_key_config_selectorIifEEZZNS1_16scan_by_key_implILNS1_25lookback_scan_determinismE0ELb0ES3_N6thrust23THRUST_200600_302600_NS6detail15normal_iteratorINS9_10device_ptrIiEEEENSB_INSC_IfEEEESG_fNS9_4plusIvEENS9_8equal_toIvEEfEE10hipError_tPvRmT2_T3_T4_T5_mT6_T7_P12ihipStream_tbENKUlT_T0_E_clISt17integral_constantIbLb1EES10_IbLb0EEEEDaSW_SX_EUlSW_E_NS1_11comp_targetILNS1_3genE2ELNS1_11target_archE906ELNS1_3gpuE6ELNS1_3repE0EEENS1_30default_config_static_selectorELNS0_4arch9wavefront6targetE1EEEvT1_, .Lfunc_end1157-_ZN7rocprim17ROCPRIM_400000_NS6detail17trampoline_kernelINS0_14default_configENS1_27scan_by_key_config_selectorIifEEZZNS1_16scan_by_key_implILNS1_25lookback_scan_determinismE0ELb0ES3_N6thrust23THRUST_200600_302600_NS6detail15normal_iteratorINS9_10device_ptrIiEEEENSB_INSC_IfEEEESG_fNS9_4plusIvEENS9_8equal_toIvEEfEE10hipError_tPvRmT2_T3_T4_T5_mT6_T7_P12ihipStream_tbENKUlT_T0_E_clISt17integral_constantIbLb1EES10_IbLb0EEEEDaSW_SX_EUlSW_E_NS1_11comp_targetILNS1_3genE2ELNS1_11target_archE906ELNS1_3gpuE6ELNS1_3repE0EEENS1_30default_config_static_selectorELNS0_4arch9wavefront6targetE1EEEvT1_
                                        ; -- End function
	.section	.AMDGPU.csdata,"",@progbits
; Kernel info:
; codeLenInByte = 0
; NumSgprs: 6
; NumVgprs: 0
; NumAgprs: 0
; TotalNumVgprs: 0
; ScratchSize: 0
; MemoryBound: 0
; FloatMode: 240
; IeeeMode: 1
; LDSByteSize: 0 bytes/workgroup (compile time only)
; SGPRBlocks: 0
; VGPRBlocks: 0
; NumSGPRsForWavesPerEU: 6
; NumVGPRsForWavesPerEU: 1
; AccumOffset: 4
; Occupancy: 8
; WaveLimiterHint : 0
; COMPUTE_PGM_RSRC2:SCRATCH_EN: 0
; COMPUTE_PGM_RSRC2:USER_SGPR: 2
; COMPUTE_PGM_RSRC2:TRAP_HANDLER: 0
; COMPUTE_PGM_RSRC2:TGID_X_EN: 1
; COMPUTE_PGM_RSRC2:TGID_Y_EN: 0
; COMPUTE_PGM_RSRC2:TGID_Z_EN: 0
; COMPUTE_PGM_RSRC2:TIDIG_COMP_CNT: 0
; COMPUTE_PGM_RSRC3_GFX90A:ACCUM_OFFSET: 0
; COMPUTE_PGM_RSRC3_GFX90A:TG_SPLIT: 0
	.section	.text._ZN7rocprim17ROCPRIM_400000_NS6detail17trampoline_kernelINS0_14default_configENS1_27scan_by_key_config_selectorIifEEZZNS1_16scan_by_key_implILNS1_25lookback_scan_determinismE0ELb0ES3_N6thrust23THRUST_200600_302600_NS6detail15normal_iteratorINS9_10device_ptrIiEEEENSB_INSC_IfEEEESG_fNS9_4plusIvEENS9_8equal_toIvEEfEE10hipError_tPvRmT2_T3_T4_T5_mT6_T7_P12ihipStream_tbENKUlT_T0_E_clISt17integral_constantIbLb1EES10_IbLb0EEEEDaSW_SX_EUlSW_E_NS1_11comp_targetILNS1_3genE10ELNS1_11target_archE1200ELNS1_3gpuE4ELNS1_3repE0EEENS1_30default_config_static_selectorELNS0_4arch9wavefront6targetE1EEEvT1_,"axG",@progbits,_ZN7rocprim17ROCPRIM_400000_NS6detail17trampoline_kernelINS0_14default_configENS1_27scan_by_key_config_selectorIifEEZZNS1_16scan_by_key_implILNS1_25lookback_scan_determinismE0ELb0ES3_N6thrust23THRUST_200600_302600_NS6detail15normal_iteratorINS9_10device_ptrIiEEEENSB_INSC_IfEEEESG_fNS9_4plusIvEENS9_8equal_toIvEEfEE10hipError_tPvRmT2_T3_T4_T5_mT6_T7_P12ihipStream_tbENKUlT_T0_E_clISt17integral_constantIbLb1EES10_IbLb0EEEEDaSW_SX_EUlSW_E_NS1_11comp_targetILNS1_3genE10ELNS1_11target_archE1200ELNS1_3gpuE4ELNS1_3repE0EEENS1_30default_config_static_selectorELNS0_4arch9wavefront6targetE1EEEvT1_,comdat
	.protected	_ZN7rocprim17ROCPRIM_400000_NS6detail17trampoline_kernelINS0_14default_configENS1_27scan_by_key_config_selectorIifEEZZNS1_16scan_by_key_implILNS1_25lookback_scan_determinismE0ELb0ES3_N6thrust23THRUST_200600_302600_NS6detail15normal_iteratorINS9_10device_ptrIiEEEENSB_INSC_IfEEEESG_fNS9_4plusIvEENS9_8equal_toIvEEfEE10hipError_tPvRmT2_T3_T4_T5_mT6_T7_P12ihipStream_tbENKUlT_T0_E_clISt17integral_constantIbLb1EES10_IbLb0EEEEDaSW_SX_EUlSW_E_NS1_11comp_targetILNS1_3genE10ELNS1_11target_archE1200ELNS1_3gpuE4ELNS1_3repE0EEENS1_30default_config_static_selectorELNS0_4arch9wavefront6targetE1EEEvT1_ ; -- Begin function _ZN7rocprim17ROCPRIM_400000_NS6detail17trampoline_kernelINS0_14default_configENS1_27scan_by_key_config_selectorIifEEZZNS1_16scan_by_key_implILNS1_25lookback_scan_determinismE0ELb0ES3_N6thrust23THRUST_200600_302600_NS6detail15normal_iteratorINS9_10device_ptrIiEEEENSB_INSC_IfEEEESG_fNS9_4plusIvEENS9_8equal_toIvEEfEE10hipError_tPvRmT2_T3_T4_T5_mT6_T7_P12ihipStream_tbENKUlT_T0_E_clISt17integral_constantIbLb1EES10_IbLb0EEEEDaSW_SX_EUlSW_E_NS1_11comp_targetILNS1_3genE10ELNS1_11target_archE1200ELNS1_3gpuE4ELNS1_3repE0EEENS1_30default_config_static_selectorELNS0_4arch9wavefront6targetE1EEEvT1_
	.globl	_ZN7rocprim17ROCPRIM_400000_NS6detail17trampoline_kernelINS0_14default_configENS1_27scan_by_key_config_selectorIifEEZZNS1_16scan_by_key_implILNS1_25lookback_scan_determinismE0ELb0ES3_N6thrust23THRUST_200600_302600_NS6detail15normal_iteratorINS9_10device_ptrIiEEEENSB_INSC_IfEEEESG_fNS9_4plusIvEENS9_8equal_toIvEEfEE10hipError_tPvRmT2_T3_T4_T5_mT6_T7_P12ihipStream_tbENKUlT_T0_E_clISt17integral_constantIbLb1EES10_IbLb0EEEEDaSW_SX_EUlSW_E_NS1_11comp_targetILNS1_3genE10ELNS1_11target_archE1200ELNS1_3gpuE4ELNS1_3repE0EEENS1_30default_config_static_selectorELNS0_4arch9wavefront6targetE1EEEvT1_
	.p2align	8
	.type	_ZN7rocprim17ROCPRIM_400000_NS6detail17trampoline_kernelINS0_14default_configENS1_27scan_by_key_config_selectorIifEEZZNS1_16scan_by_key_implILNS1_25lookback_scan_determinismE0ELb0ES3_N6thrust23THRUST_200600_302600_NS6detail15normal_iteratorINS9_10device_ptrIiEEEENSB_INSC_IfEEEESG_fNS9_4plusIvEENS9_8equal_toIvEEfEE10hipError_tPvRmT2_T3_T4_T5_mT6_T7_P12ihipStream_tbENKUlT_T0_E_clISt17integral_constantIbLb1EES10_IbLb0EEEEDaSW_SX_EUlSW_E_NS1_11comp_targetILNS1_3genE10ELNS1_11target_archE1200ELNS1_3gpuE4ELNS1_3repE0EEENS1_30default_config_static_selectorELNS0_4arch9wavefront6targetE1EEEvT1_,@function
_ZN7rocprim17ROCPRIM_400000_NS6detail17trampoline_kernelINS0_14default_configENS1_27scan_by_key_config_selectorIifEEZZNS1_16scan_by_key_implILNS1_25lookback_scan_determinismE0ELb0ES3_N6thrust23THRUST_200600_302600_NS6detail15normal_iteratorINS9_10device_ptrIiEEEENSB_INSC_IfEEEESG_fNS9_4plusIvEENS9_8equal_toIvEEfEE10hipError_tPvRmT2_T3_T4_T5_mT6_T7_P12ihipStream_tbENKUlT_T0_E_clISt17integral_constantIbLb1EES10_IbLb0EEEEDaSW_SX_EUlSW_E_NS1_11comp_targetILNS1_3genE10ELNS1_11target_archE1200ELNS1_3gpuE4ELNS1_3repE0EEENS1_30default_config_static_selectorELNS0_4arch9wavefront6targetE1EEEvT1_: ; @_ZN7rocprim17ROCPRIM_400000_NS6detail17trampoline_kernelINS0_14default_configENS1_27scan_by_key_config_selectorIifEEZZNS1_16scan_by_key_implILNS1_25lookback_scan_determinismE0ELb0ES3_N6thrust23THRUST_200600_302600_NS6detail15normal_iteratorINS9_10device_ptrIiEEEENSB_INSC_IfEEEESG_fNS9_4plusIvEENS9_8equal_toIvEEfEE10hipError_tPvRmT2_T3_T4_T5_mT6_T7_P12ihipStream_tbENKUlT_T0_E_clISt17integral_constantIbLb1EES10_IbLb0EEEEDaSW_SX_EUlSW_E_NS1_11comp_targetILNS1_3genE10ELNS1_11target_archE1200ELNS1_3gpuE4ELNS1_3repE0EEENS1_30default_config_static_selectorELNS0_4arch9wavefront6targetE1EEEvT1_
; %bb.0:
	.section	.rodata,"a",@progbits
	.p2align	6, 0x0
	.amdhsa_kernel _ZN7rocprim17ROCPRIM_400000_NS6detail17trampoline_kernelINS0_14default_configENS1_27scan_by_key_config_selectorIifEEZZNS1_16scan_by_key_implILNS1_25lookback_scan_determinismE0ELb0ES3_N6thrust23THRUST_200600_302600_NS6detail15normal_iteratorINS9_10device_ptrIiEEEENSB_INSC_IfEEEESG_fNS9_4plusIvEENS9_8equal_toIvEEfEE10hipError_tPvRmT2_T3_T4_T5_mT6_T7_P12ihipStream_tbENKUlT_T0_E_clISt17integral_constantIbLb1EES10_IbLb0EEEEDaSW_SX_EUlSW_E_NS1_11comp_targetILNS1_3genE10ELNS1_11target_archE1200ELNS1_3gpuE4ELNS1_3repE0EEENS1_30default_config_static_selectorELNS0_4arch9wavefront6targetE1EEEvT1_
		.amdhsa_group_segment_fixed_size 0
		.amdhsa_private_segment_fixed_size 0
		.amdhsa_kernarg_size 112
		.amdhsa_user_sgpr_count 2
		.amdhsa_user_sgpr_dispatch_ptr 0
		.amdhsa_user_sgpr_queue_ptr 0
		.amdhsa_user_sgpr_kernarg_segment_ptr 1
		.amdhsa_user_sgpr_dispatch_id 0
		.amdhsa_user_sgpr_kernarg_preload_length 0
		.amdhsa_user_sgpr_kernarg_preload_offset 0
		.amdhsa_user_sgpr_private_segment_size 0
		.amdhsa_uses_dynamic_stack 0
		.amdhsa_enable_private_segment 0
		.amdhsa_system_sgpr_workgroup_id_x 1
		.amdhsa_system_sgpr_workgroup_id_y 0
		.amdhsa_system_sgpr_workgroup_id_z 0
		.amdhsa_system_sgpr_workgroup_info 0
		.amdhsa_system_vgpr_workitem_id 0
		.amdhsa_next_free_vgpr 1
		.amdhsa_next_free_sgpr 0
		.amdhsa_accum_offset 4
		.amdhsa_reserve_vcc 0
		.amdhsa_float_round_mode_32 0
		.amdhsa_float_round_mode_16_64 0
		.amdhsa_float_denorm_mode_32 3
		.amdhsa_float_denorm_mode_16_64 3
		.amdhsa_dx10_clamp 1
		.amdhsa_ieee_mode 1
		.amdhsa_fp16_overflow 0
		.amdhsa_tg_split 0
		.amdhsa_exception_fp_ieee_invalid_op 0
		.amdhsa_exception_fp_denorm_src 0
		.amdhsa_exception_fp_ieee_div_zero 0
		.amdhsa_exception_fp_ieee_overflow 0
		.amdhsa_exception_fp_ieee_underflow 0
		.amdhsa_exception_fp_ieee_inexact 0
		.amdhsa_exception_int_div_zero 0
	.end_amdhsa_kernel
	.section	.text._ZN7rocprim17ROCPRIM_400000_NS6detail17trampoline_kernelINS0_14default_configENS1_27scan_by_key_config_selectorIifEEZZNS1_16scan_by_key_implILNS1_25lookback_scan_determinismE0ELb0ES3_N6thrust23THRUST_200600_302600_NS6detail15normal_iteratorINS9_10device_ptrIiEEEENSB_INSC_IfEEEESG_fNS9_4plusIvEENS9_8equal_toIvEEfEE10hipError_tPvRmT2_T3_T4_T5_mT6_T7_P12ihipStream_tbENKUlT_T0_E_clISt17integral_constantIbLb1EES10_IbLb0EEEEDaSW_SX_EUlSW_E_NS1_11comp_targetILNS1_3genE10ELNS1_11target_archE1200ELNS1_3gpuE4ELNS1_3repE0EEENS1_30default_config_static_selectorELNS0_4arch9wavefront6targetE1EEEvT1_,"axG",@progbits,_ZN7rocprim17ROCPRIM_400000_NS6detail17trampoline_kernelINS0_14default_configENS1_27scan_by_key_config_selectorIifEEZZNS1_16scan_by_key_implILNS1_25lookback_scan_determinismE0ELb0ES3_N6thrust23THRUST_200600_302600_NS6detail15normal_iteratorINS9_10device_ptrIiEEEENSB_INSC_IfEEEESG_fNS9_4plusIvEENS9_8equal_toIvEEfEE10hipError_tPvRmT2_T3_T4_T5_mT6_T7_P12ihipStream_tbENKUlT_T0_E_clISt17integral_constantIbLb1EES10_IbLb0EEEEDaSW_SX_EUlSW_E_NS1_11comp_targetILNS1_3genE10ELNS1_11target_archE1200ELNS1_3gpuE4ELNS1_3repE0EEENS1_30default_config_static_selectorELNS0_4arch9wavefront6targetE1EEEvT1_,comdat
.Lfunc_end1158:
	.size	_ZN7rocprim17ROCPRIM_400000_NS6detail17trampoline_kernelINS0_14default_configENS1_27scan_by_key_config_selectorIifEEZZNS1_16scan_by_key_implILNS1_25lookback_scan_determinismE0ELb0ES3_N6thrust23THRUST_200600_302600_NS6detail15normal_iteratorINS9_10device_ptrIiEEEENSB_INSC_IfEEEESG_fNS9_4plusIvEENS9_8equal_toIvEEfEE10hipError_tPvRmT2_T3_T4_T5_mT6_T7_P12ihipStream_tbENKUlT_T0_E_clISt17integral_constantIbLb1EES10_IbLb0EEEEDaSW_SX_EUlSW_E_NS1_11comp_targetILNS1_3genE10ELNS1_11target_archE1200ELNS1_3gpuE4ELNS1_3repE0EEENS1_30default_config_static_selectorELNS0_4arch9wavefront6targetE1EEEvT1_, .Lfunc_end1158-_ZN7rocprim17ROCPRIM_400000_NS6detail17trampoline_kernelINS0_14default_configENS1_27scan_by_key_config_selectorIifEEZZNS1_16scan_by_key_implILNS1_25lookback_scan_determinismE0ELb0ES3_N6thrust23THRUST_200600_302600_NS6detail15normal_iteratorINS9_10device_ptrIiEEEENSB_INSC_IfEEEESG_fNS9_4plusIvEENS9_8equal_toIvEEfEE10hipError_tPvRmT2_T3_T4_T5_mT6_T7_P12ihipStream_tbENKUlT_T0_E_clISt17integral_constantIbLb1EES10_IbLb0EEEEDaSW_SX_EUlSW_E_NS1_11comp_targetILNS1_3genE10ELNS1_11target_archE1200ELNS1_3gpuE4ELNS1_3repE0EEENS1_30default_config_static_selectorELNS0_4arch9wavefront6targetE1EEEvT1_
                                        ; -- End function
	.section	.AMDGPU.csdata,"",@progbits
; Kernel info:
; codeLenInByte = 0
; NumSgprs: 6
; NumVgprs: 0
; NumAgprs: 0
; TotalNumVgprs: 0
; ScratchSize: 0
; MemoryBound: 0
; FloatMode: 240
; IeeeMode: 1
; LDSByteSize: 0 bytes/workgroup (compile time only)
; SGPRBlocks: 0
; VGPRBlocks: 0
; NumSGPRsForWavesPerEU: 6
; NumVGPRsForWavesPerEU: 1
; AccumOffset: 4
; Occupancy: 8
; WaveLimiterHint : 0
; COMPUTE_PGM_RSRC2:SCRATCH_EN: 0
; COMPUTE_PGM_RSRC2:USER_SGPR: 2
; COMPUTE_PGM_RSRC2:TRAP_HANDLER: 0
; COMPUTE_PGM_RSRC2:TGID_X_EN: 1
; COMPUTE_PGM_RSRC2:TGID_Y_EN: 0
; COMPUTE_PGM_RSRC2:TGID_Z_EN: 0
; COMPUTE_PGM_RSRC2:TIDIG_COMP_CNT: 0
; COMPUTE_PGM_RSRC3_GFX90A:ACCUM_OFFSET: 0
; COMPUTE_PGM_RSRC3_GFX90A:TG_SPLIT: 0
	.section	.text._ZN7rocprim17ROCPRIM_400000_NS6detail17trampoline_kernelINS0_14default_configENS1_27scan_by_key_config_selectorIifEEZZNS1_16scan_by_key_implILNS1_25lookback_scan_determinismE0ELb0ES3_N6thrust23THRUST_200600_302600_NS6detail15normal_iteratorINS9_10device_ptrIiEEEENSB_INSC_IfEEEESG_fNS9_4plusIvEENS9_8equal_toIvEEfEE10hipError_tPvRmT2_T3_T4_T5_mT6_T7_P12ihipStream_tbENKUlT_T0_E_clISt17integral_constantIbLb1EES10_IbLb0EEEEDaSW_SX_EUlSW_E_NS1_11comp_targetILNS1_3genE9ELNS1_11target_archE1100ELNS1_3gpuE3ELNS1_3repE0EEENS1_30default_config_static_selectorELNS0_4arch9wavefront6targetE1EEEvT1_,"axG",@progbits,_ZN7rocprim17ROCPRIM_400000_NS6detail17trampoline_kernelINS0_14default_configENS1_27scan_by_key_config_selectorIifEEZZNS1_16scan_by_key_implILNS1_25lookback_scan_determinismE0ELb0ES3_N6thrust23THRUST_200600_302600_NS6detail15normal_iteratorINS9_10device_ptrIiEEEENSB_INSC_IfEEEESG_fNS9_4plusIvEENS9_8equal_toIvEEfEE10hipError_tPvRmT2_T3_T4_T5_mT6_T7_P12ihipStream_tbENKUlT_T0_E_clISt17integral_constantIbLb1EES10_IbLb0EEEEDaSW_SX_EUlSW_E_NS1_11comp_targetILNS1_3genE9ELNS1_11target_archE1100ELNS1_3gpuE3ELNS1_3repE0EEENS1_30default_config_static_selectorELNS0_4arch9wavefront6targetE1EEEvT1_,comdat
	.protected	_ZN7rocprim17ROCPRIM_400000_NS6detail17trampoline_kernelINS0_14default_configENS1_27scan_by_key_config_selectorIifEEZZNS1_16scan_by_key_implILNS1_25lookback_scan_determinismE0ELb0ES3_N6thrust23THRUST_200600_302600_NS6detail15normal_iteratorINS9_10device_ptrIiEEEENSB_INSC_IfEEEESG_fNS9_4plusIvEENS9_8equal_toIvEEfEE10hipError_tPvRmT2_T3_T4_T5_mT6_T7_P12ihipStream_tbENKUlT_T0_E_clISt17integral_constantIbLb1EES10_IbLb0EEEEDaSW_SX_EUlSW_E_NS1_11comp_targetILNS1_3genE9ELNS1_11target_archE1100ELNS1_3gpuE3ELNS1_3repE0EEENS1_30default_config_static_selectorELNS0_4arch9wavefront6targetE1EEEvT1_ ; -- Begin function _ZN7rocprim17ROCPRIM_400000_NS6detail17trampoline_kernelINS0_14default_configENS1_27scan_by_key_config_selectorIifEEZZNS1_16scan_by_key_implILNS1_25lookback_scan_determinismE0ELb0ES3_N6thrust23THRUST_200600_302600_NS6detail15normal_iteratorINS9_10device_ptrIiEEEENSB_INSC_IfEEEESG_fNS9_4plusIvEENS9_8equal_toIvEEfEE10hipError_tPvRmT2_T3_T4_T5_mT6_T7_P12ihipStream_tbENKUlT_T0_E_clISt17integral_constantIbLb1EES10_IbLb0EEEEDaSW_SX_EUlSW_E_NS1_11comp_targetILNS1_3genE9ELNS1_11target_archE1100ELNS1_3gpuE3ELNS1_3repE0EEENS1_30default_config_static_selectorELNS0_4arch9wavefront6targetE1EEEvT1_
	.globl	_ZN7rocprim17ROCPRIM_400000_NS6detail17trampoline_kernelINS0_14default_configENS1_27scan_by_key_config_selectorIifEEZZNS1_16scan_by_key_implILNS1_25lookback_scan_determinismE0ELb0ES3_N6thrust23THRUST_200600_302600_NS6detail15normal_iteratorINS9_10device_ptrIiEEEENSB_INSC_IfEEEESG_fNS9_4plusIvEENS9_8equal_toIvEEfEE10hipError_tPvRmT2_T3_T4_T5_mT6_T7_P12ihipStream_tbENKUlT_T0_E_clISt17integral_constantIbLb1EES10_IbLb0EEEEDaSW_SX_EUlSW_E_NS1_11comp_targetILNS1_3genE9ELNS1_11target_archE1100ELNS1_3gpuE3ELNS1_3repE0EEENS1_30default_config_static_selectorELNS0_4arch9wavefront6targetE1EEEvT1_
	.p2align	8
	.type	_ZN7rocprim17ROCPRIM_400000_NS6detail17trampoline_kernelINS0_14default_configENS1_27scan_by_key_config_selectorIifEEZZNS1_16scan_by_key_implILNS1_25lookback_scan_determinismE0ELb0ES3_N6thrust23THRUST_200600_302600_NS6detail15normal_iteratorINS9_10device_ptrIiEEEENSB_INSC_IfEEEESG_fNS9_4plusIvEENS9_8equal_toIvEEfEE10hipError_tPvRmT2_T3_T4_T5_mT6_T7_P12ihipStream_tbENKUlT_T0_E_clISt17integral_constantIbLb1EES10_IbLb0EEEEDaSW_SX_EUlSW_E_NS1_11comp_targetILNS1_3genE9ELNS1_11target_archE1100ELNS1_3gpuE3ELNS1_3repE0EEENS1_30default_config_static_selectorELNS0_4arch9wavefront6targetE1EEEvT1_,@function
_ZN7rocprim17ROCPRIM_400000_NS6detail17trampoline_kernelINS0_14default_configENS1_27scan_by_key_config_selectorIifEEZZNS1_16scan_by_key_implILNS1_25lookback_scan_determinismE0ELb0ES3_N6thrust23THRUST_200600_302600_NS6detail15normal_iteratorINS9_10device_ptrIiEEEENSB_INSC_IfEEEESG_fNS9_4plusIvEENS9_8equal_toIvEEfEE10hipError_tPvRmT2_T3_T4_T5_mT6_T7_P12ihipStream_tbENKUlT_T0_E_clISt17integral_constantIbLb1EES10_IbLb0EEEEDaSW_SX_EUlSW_E_NS1_11comp_targetILNS1_3genE9ELNS1_11target_archE1100ELNS1_3gpuE3ELNS1_3repE0EEENS1_30default_config_static_selectorELNS0_4arch9wavefront6targetE1EEEvT1_: ; @_ZN7rocprim17ROCPRIM_400000_NS6detail17trampoline_kernelINS0_14default_configENS1_27scan_by_key_config_selectorIifEEZZNS1_16scan_by_key_implILNS1_25lookback_scan_determinismE0ELb0ES3_N6thrust23THRUST_200600_302600_NS6detail15normal_iteratorINS9_10device_ptrIiEEEENSB_INSC_IfEEEESG_fNS9_4plusIvEENS9_8equal_toIvEEfEE10hipError_tPvRmT2_T3_T4_T5_mT6_T7_P12ihipStream_tbENKUlT_T0_E_clISt17integral_constantIbLb1EES10_IbLb0EEEEDaSW_SX_EUlSW_E_NS1_11comp_targetILNS1_3genE9ELNS1_11target_archE1100ELNS1_3gpuE3ELNS1_3repE0EEENS1_30default_config_static_selectorELNS0_4arch9wavefront6targetE1EEEvT1_
; %bb.0:
	.section	.rodata,"a",@progbits
	.p2align	6, 0x0
	.amdhsa_kernel _ZN7rocprim17ROCPRIM_400000_NS6detail17trampoline_kernelINS0_14default_configENS1_27scan_by_key_config_selectorIifEEZZNS1_16scan_by_key_implILNS1_25lookback_scan_determinismE0ELb0ES3_N6thrust23THRUST_200600_302600_NS6detail15normal_iteratorINS9_10device_ptrIiEEEENSB_INSC_IfEEEESG_fNS9_4plusIvEENS9_8equal_toIvEEfEE10hipError_tPvRmT2_T3_T4_T5_mT6_T7_P12ihipStream_tbENKUlT_T0_E_clISt17integral_constantIbLb1EES10_IbLb0EEEEDaSW_SX_EUlSW_E_NS1_11comp_targetILNS1_3genE9ELNS1_11target_archE1100ELNS1_3gpuE3ELNS1_3repE0EEENS1_30default_config_static_selectorELNS0_4arch9wavefront6targetE1EEEvT1_
		.amdhsa_group_segment_fixed_size 0
		.amdhsa_private_segment_fixed_size 0
		.amdhsa_kernarg_size 112
		.amdhsa_user_sgpr_count 2
		.amdhsa_user_sgpr_dispatch_ptr 0
		.amdhsa_user_sgpr_queue_ptr 0
		.amdhsa_user_sgpr_kernarg_segment_ptr 1
		.amdhsa_user_sgpr_dispatch_id 0
		.amdhsa_user_sgpr_kernarg_preload_length 0
		.amdhsa_user_sgpr_kernarg_preload_offset 0
		.amdhsa_user_sgpr_private_segment_size 0
		.amdhsa_uses_dynamic_stack 0
		.amdhsa_enable_private_segment 0
		.amdhsa_system_sgpr_workgroup_id_x 1
		.amdhsa_system_sgpr_workgroup_id_y 0
		.amdhsa_system_sgpr_workgroup_id_z 0
		.amdhsa_system_sgpr_workgroup_info 0
		.amdhsa_system_vgpr_workitem_id 0
		.amdhsa_next_free_vgpr 1
		.amdhsa_next_free_sgpr 0
		.amdhsa_accum_offset 4
		.amdhsa_reserve_vcc 0
		.amdhsa_float_round_mode_32 0
		.amdhsa_float_round_mode_16_64 0
		.amdhsa_float_denorm_mode_32 3
		.amdhsa_float_denorm_mode_16_64 3
		.amdhsa_dx10_clamp 1
		.amdhsa_ieee_mode 1
		.amdhsa_fp16_overflow 0
		.amdhsa_tg_split 0
		.amdhsa_exception_fp_ieee_invalid_op 0
		.amdhsa_exception_fp_denorm_src 0
		.amdhsa_exception_fp_ieee_div_zero 0
		.amdhsa_exception_fp_ieee_overflow 0
		.amdhsa_exception_fp_ieee_underflow 0
		.amdhsa_exception_fp_ieee_inexact 0
		.amdhsa_exception_int_div_zero 0
	.end_amdhsa_kernel
	.section	.text._ZN7rocprim17ROCPRIM_400000_NS6detail17trampoline_kernelINS0_14default_configENS1_27scan_by_key_config_selectorIifEEZZNS1_16scan_by_key_implILNS1_25lookback_scan_determinismE0ELb0ES3_N6thrust23THRUST_200600_302600_NS6detail15normal_iteratorINS9_10device_ptrIiEEEENSB_INSC_IfEEEESG_fNS9_4plusIvEENS9_8equal_toIvEEfEE10hipError_tPvRmT2_T3_T4_T5_mT6_T7_P12ihipStream_tbENKUlT_T0_E_clISt17integral_constantIbLb1EES10_IbLb0EEEEDaSW_SX_EUlSW_E_NS1_11comp_targetILNS1_3genE9ELNS1_11target_archE1100ELNS1_3gpuE3ELNS1_3repE0EEENS1_30default_config_static_selectorELNS0_4arch9wavefront6targetE1EEEvT1_,"axG",@progbits,_ZN7rocprim17ROCPRIM_400000_NS6detail17trampoline_kernelINS0_14default_configENS1_27scan_by_key_config_selectorIifEEZZNS1_16scan_by_key_implILNS1_25lookback_scan_determinismE0ELb0ES3_N6thrust23THRUST_200600_302600_NS6detail15normal_iteratorINS9_10device_ptrIiEEEENSB_INSC_IfEEEESG_fNS9_4plusIvEENS9_8equal_toIvEEfEE10hipError_tPvRmT2_T3_T4_T5_mT6_T7_P12ihipStream_tbENKUlT_T0_E_clISt17integral_constantIbLb1EES10_IbLb0EEEEDaSW_SX_EUlSW_E_NS1_11comp_targetILNS1_3genE9ELNS1_11target_archE1100ELNS1_3gpuE3ELNS1_3repE0EEENS1_30default_config_static_selectorELNS0_4arch9wavefront6targetE1EEEvT1_,comdat
.Lfunc_end1159:
	.size	_ZN7rocprim17ROCPRIM_400000_NS6detail17trampoline_kernelINS0_14default_configENS1_27scan_by_key_config_selectorIifEEZZNS1_16scan_by_key_implILNS1_25lookback_scan_determinismE0ELb0ES3_N6thrust23THRUST_200600_302600_NS6detail15normal_iteratorINS9_10device_ptrIiEEEENSB_INSC_IfEEEESG_fNS9_4plusIvEENS9_8equal_toIvEEfEE10hipError_tPvRmT2_T3_T4_T5_mT6_T7_P12ihipStream_tbENKUlT_T0_E_clISt17integral_constantIbLb1EES10_IbLb0EEEEDaSW_SX_EUlSW_E_NS1_11comp_targetILNS1_3genE9ELNS1_11target_archE1100ELNS1_3gpuE3ELNS1_3repE0EEENS1_30default_config_static_selectorELNS0_4arch9wavefront6targetE1EEEvT1_, .Lfunc_end1159-_ZN7rocprim17ROCPRIM_400000_NS6detail17trampoline_kernelINS0_14default_configENS1_27scan_by_key_config_selectorIifEEZZNS1_16scan_by_key_implILNS1_25lookback_scan_determinismE0ELb0ES3_N6thrust23THRUST_200600_302600_NS6detail15normal_iteratorINS9_10device_ptrIiEEEENSB_INSC_IfEEEESG_fNS9_4plusIvEENS9_8equal_toIvEEfEE10hipError_tPvRmT2_T3_T4_T5_mT6_T7_P12ihipStream_tbENKUlT_T0_E_clISt17integral_constantIbLb1EES10_IbLb0EEEEDaSW_SX_EUlSW_E_NS1_11comp_targetILNS1_3genE9ELNS1_11target_archE1100ELNS1_3gpuE3ELNS1_3repE0EEENS1_30default_config_static_selectorELNS0_4arch9wavefront6targetE1EEEvT1_
                                        ; -- End function
	.section	.AMDGPU.csdata,"",@progbits
; Kernel info:
; codeLenInByte = 0
; NumSgprs: 6
; NumVgprs: 0
; NumAgprs: 0
; TotalNumVgprs: 0
; ScratchSize: 0
; MemoryBound: 0
; FloatMode: 240
; IeeeMode: 1
; LDSByteSize: 0 bytes/workgroup (compile time only)
; SGPRBlocks: 0
; VGPRBlocks: 0
; NumSGPRsForWavesPerEU: 6
; NumVGPRsForWavesPerEU: 1
; AccumOffset: 4
; Occupancy: 8
; WaveLimiterHint : 0
; COMPUTE_PGM_RSRC2:SCRATCH_EN: 0
; COMPUTE_PGM_RSRC2:USER_SGPR: 2
; COMPUTE_PGM_RSRC2:TRAP_HANDLER: 0
; COMPUTE_PGM_RSRC2:TGID_X_EN: 1
; COMPUTE_PGM_RSRC2:TGID_Y_EN: 0
; COMPUTE_PGM_RSRC2:TGID_Z_EN: 0
; COMPUTE_PGM_RSRC2:TIDIG_COMP_CNT: 0
; COMPUTE_PGM_RSRC3_GFX90A:ACCUM_OFFSET: 0
; COMPUTE_PGM_RSRC3_GFX90A:TG_SPLIT: 0
	.section	.text._ZN7rocprim17ROCPRIM_400000_NS6detail17trampoline_kernelINS0_14default_configENS1_27scan_by_key_config_selectorIifEEZZNS1_16scan_by_key_implILNS1_25lookback_scan_determinismE0ELb0ES3_N6thrust23THRUST_200600_302600_NS6detail15normal_iteratorINS9_10device_ptrIiEEEENSB_INSC_IfEEEESG_fNS9_4plusIvEENS9_8equal_toIvEEfEE10hipError_tPvRmT2_T3_T4_T5_mT6_T7_P12ihipStream_tbENKUlT_T0_E_clISt17integral_constantIbLb1EES10_IbLb0EEEEDaSW_SX_EUlSW_E_NS1_11comp_targetILNS1_3genE8ELNS1_11target_archE1030ELNS1_3gpuE2ELNS1_3repE0EEENS1_30default_config_static_selectorELNS0_4arch9wavefront6targetE1EEEvT1_,"axG",@progbits,_ZN7rocprim17ROCPRIM_400000_NS6detail17trampoline_kernelINS0_14default_configENS1_27scan_by_key_config_selectorIifEEZZNS1_16scan_by_key_implILNS1_25lookback_scan_determinismE0ELb0ES3_N6thrust23THRUST_200600_302600_NS6detail15normal_iteratorINS9_10device_ptrIiEEEENSB_INSC_IfEEEESG_fNS9_4plusIvEENS9_8equal_toIvEEfEE10hipError_tPvRmT2_T3_T4_T5_mT6_T7_P12ihipStream_tbENKUlT_T0_E_clISt17integral_constantIbLb1EES10_IbLb0EEEEDaSW_SX_EUlSW_E_NS1_11comp_targetILNS1_3genE8ELNS1_11target_archE1030ELNS1_3gpuE2ELNS1_3repE0EEENS1_30default_config_static_selectorELNS0_4arch9wavefront6targetE1EEEvT1_,comdat
	.protected	_ZN7rocprim17ROCPRIM_400000_NS6detail17trampoline_kernelINS0_14default_configENS1_27scan_by_key_config_selectorIifEEZZNS1_16scan_by_key_implILNS1_25lookback_scan_determinismE0ELb0ES3_N6thrust23THRUST_200600_302600_NS6detail15normal_iteratorINS9_10device_ptrIiEEEENSB_INSC_IfEEEESG_fNS9_4plusIvEENS9_8equal_toIvEEfEE10hipError_tPvRmT2_T3_T4_T5_mT6_T7_P12ihipStream_tbENKUlT_T0_E_clISt17integral_constantIbLb1EES10_IbLb0EEEEDaSW_SX_EUlSW_E_NS1_11comp_targetILNS1_3genE8ELNS1_11target_archE1030ELNS1_3gpuE2ELNS1_3repE0EEENS1_30default_config_static_selectorELNS0_4arch9wavefront6targetE1EEEvT1_ ; -- Begin function _ZN7rocprim17ROCPRIM_400000_NS6detail17trampoline_kernelINS0_14default_configENS1_27scan_by_key_config_selectorIifEEZZNS1_16scan_by_key_implILNS1_25lookback_scan_determinismE0ELb0ES3_N6thrust23THRUST_200600_302600_NS6detail15normal_iteratorINS9_10device_ptrIiEEEENSB_INSC_IfEEEESG_fNS9_4plusIvEENS9_8equal_toIvEEfEE10hipError_tPvRmT2_T3_T4_T5_mT6_T7_P12ihipStream_tbENKUlT_T0_E_clISt17integral_constantIbLb1EES10_IbLb0EEEEDaSW_SX_EUlSW_E_NS1_11comp_targetILNS1_3genE8ELNS1_11target_archE1030ELNS1_3gpuE2ELNS1_3repE0EEENS1_30default_config_static_selectorELNS0_4arch9wavefront6targetE1EEEvT1_
	.globl	_ZN7rocprim17ROCPRIM_400000_NS6detail17trampoline_kernelINS0_14default_configENS1_27scan_by_key_config_selectorIifEEZZNS1_16scan_by_key_implILNS1_25lookback_scan_determinismE0ELb0ES3_N6thrust23THRUST_200600_302600_NS6detail15normal_iteratorINS9_10device_ptrIiEEEENSB_INSC_IfEEEESG_fNS9_4plusIvEENS9_8equal_toIvEEfEE10hipError_tPvRmT2_T3_T4_T5_mT6_T7_P12ihipStream_tbENKUlT_T0_E_clISt17integral_constantIbLb1EES10_IbLb0EEEEDaSW_SX_EUlSW_E_NS1_11comp_targetILNS1_3genE8ELNS1_11target_archE1030ELNS1_3gpuE2ELNS1_3repE0EEENS1_30default_config_static_selectorELNS0_4arch9wavefront6targetE1EEEvT1_
	.p2align	8
	.type	_ZN7rocprim17ROCPRIM_400000_NS6detail17trampoline_kernelINS0_14default_configENS1_27scan_by_key_config_selectorIifEEZZNS1_16scan_by_key_implILNS1_25lookback_scan_determinismE0ELb0ES3_N6thrust23THRUST_200600_302600_NS6detail15normal_iteratorINS9_10device_ptrIiEEEENSB_INSC_IfEEEESG_fNS9_4plusIvEENS9_8equal_toIvEEfEE10hipError_tPvRmT2_T3_T4_T5_mT6_T7_P12ihipStream_tbENKUlT_T0_E_clISt17integral_constantIbLb1EES10_IbLb0EEEEDaSW_SX_EUlSW_E_NS1_11comp_targetILNS1_3genE8ELNS1_11target_archE1030ELNS1_3gpuE2ELNS1_3repE0EEENS1_30default_config_static_selectorELNS0_4arch9wavefront6targetE1EEEvT1_,@function
_ZN7rocprim17ROCPRIM_400000_NS6detail17trampoline_kernelINS0_14default_configENS1_27scan_by_key_config_selectorIifEEZZNS1_16scan_by_key_implILNS1_25lookback_scan_determinismE0ELb0ES3_N6thrust23THRUST_200600_302600_NS6detail15normal_iteratorINS9_10device_ptrIiEEEENSB_INSC_IfEEEESG_fNS9_4plusIvEENS9_8equal_toIvEEfEE10hipError_tPvRmT2_T3_T4_T5_mT6_T7_P12ihipStream_tbENKUlT_T0_E_clISt17integral_constantIbLb1EES10_IbLb0EEEEDaSW_SX_EUlSW_E_NS1_11comp_targetILNS1_3genE8ELNS1_11target_archE1030ELNS1_3gpuE2ELNS1_3repE0EEENS1_30default_config_static_selectorELNS0_4arch9wavefront6targetE1EEEvT1_: ; @_ZN7rocprim17ROCPRIM_400000_NS6detail17trampoline_kernelINS0_14default_configENS1_27scan_by_key_config_selectorIifEEZZNS1_16scan_by_key_implILNS1_25lookback_scan_determinismE0ELb0ES3_N6thrust23THRUST_200600_302600_NS6detail15normal_iteratorINS9_10device_ptrIiEEEENSB_INSC_IfEEEESG_fNS9_4plusIvEENS9_8equal_toIvEEfEE10hipError_tPvRmT2_T3_T4_T5_mT6_T7_P12ihipStream_tbENKUlT_T0_E_clISt17integral_constantIbLb1EES10_IbLb0EEEEDaSW_SX_EUlSW_E_NS1_11comp_targetILNS1_3genE8ELNS1_11target_archE1030ELNS1_3gpuE2ELNS1_3repE0EEENS1_30default_config_static_selectorELNS0_4arch9wavefront6targetE1EEEvT1_
; %bb.0:
	.section	.rodata,"a",@progbits
	.p2align	6, 0x0
	.amdhsa_kernel _ZN7rocprim17ROCPRIM_400000_NS6detail17trampoline_kernelINS0_14default_configENS1_27scan_by_key_config_selectorIifEEZZNS1_16scan_by_key_implILNS1_25lookback_scan_determinismE0ELb0ES3_N6thrust23THRUST_200600_302600_NS6detail15normal_iteratorINS9_10device_ptrIiEEEENSB_INSC_IfEEEESG_fNS9_4plusIvEENS9_8equal_toIvEEfEE10hipError_tPvRmT2_T3_T4_T5_mT6_T7_P12ihipStream_tbENKUlT_T0_E_clISt17integral_constantIbLb1EES10_IbLb0EEEEDaSW_SX_EUlSW_E_NS1_11comp_targetILNS1_3genE8ELNS1_11target_archE1030ELNS1_3gpuE2ELNS1_3repE0EEENS1_30default_config_static_selectorELNS0_4arch9wavefront6targetE1EEEvT1_
		.amdhsa_group_segment_fixed_size 0
		.amdhsa_private_segment_fixed_size 0
		.amdhsa_kernarg_size 112
		.amdhsa_user_sgpr_count 2
		.amdhsa_user_sgpr_dispatch_ptr 0
		.amdhsa_user_sgpr_queue_ptr 0
		.amdhsa_user_sgpr_kernarg_segment_ptr 1
		.amdhsa_user_sgpr_dispatch_id 0
		.amdhsa_user_sgpr_kernarg_preload_length 0
		.amdhsa_user_sgpr_kernarg_preload_offset 0
		.amdhsa_user_sgpr_private_segment_size 0
		.amdhsa_uses_dynamic_stack 0
		.amdhsa_enable_private_segment 0
		.amdhsa_system_sgpr_workgroup_id_x 1
		.amdhsa_system_sgpr_workgroup_id_y 0
		.amdhsa_system_sgpr_workgroup_id_z 0
		.amdhsa_system_sgpr_workgroup_info 0
		.amdhsa_system_vgpr_workitem_id 0
		.amdhsa_next_free_vgpr 1
		.amdhsa_next_free_sgpr 0
		.amdhsa_accum_offset 4
		.amdhsa_reserve_vcc 0
		.amdhsa_float_round_mode_32 0
		.amdhsa_float_round_mode_16_64 0
		.amdhsa_float_denorm_mode_32 3
		.amdhsa_float_denorm_mode_16_64 3
		.amdhsa_dx10_clamp 1
		.amdhsa_ieee_mode 1
		.amdhsa_fp16_overflow 0
		.amdhsa_tg_split 0
		.amdhsa_exception_fp_ieee_invalid_op 0
		.amdhsa_exception_fp_denorm_src 0
		.amdhsa_exception_fp_ieee_div_zero 0
		.amdhsa_exception_fp_ieee_overflow 0
		.amdhsa_exception_fp_ieee_underflow 0
		.amdhsa_exception_fp_ieee_inexact 0
		.amdhsa_exception_int_div_zero 0
	.end_amdhsa_kernel
	.section	.text._ZN7rocprim17ROCPRIM_400000_NS6detail17trampoline_kernelINS0_14default_configENS1_27scan_by_key_config_selectorIifEEZZNS1_16scan_by_key_implILNS1_25lookback_scan_determinismE0ELb0ES3_N6thrust23THRUST_200600_302600_NS6detail15normal_iteratorINS9_10device_ptrIiEEEENSB_INSC_IfEEEESG_fNS9_4plusIvEENS9_8equal_toIvEEfEE10hipError_tPvRmT2_T3_T4_T5_mT6_T7_P12ihipStream_tbENKUlT_T0_E_clISt17integral_constantIbLb1EES10_IbLb0EEEEDaSW_SX_EUlSW_E_NS1_11comp_targetILNS1_3genE8ELNS1_11target_archE1030ELNS1_3gpuE2ELNS1_3repE0EEENS1_30default_config_static_selectorELNS0_4arch9wavefront6targetE1EEEvT1_,"axG",@progbits,_ZN7rocprim17ROCPRIM_400000_NS6detail17trampoline_kernelINS0_14default_configENS1_27scan_by_key_config_selectorIifEEZZNS1_16scan_by_key_implILNS1_25lookback_scan_determinismE0ELb0ES3_N6thrust23THRUST_200600_302600_NS6detail15normal_iteratorINS9_10device_ptrIiEEEENSB_INSC_IfEEEESG_fNS9_4plusIvEENS9_8equal_toIvEEfEE10hipError_tPvRmT2_T3_T4_T5_mT6_T7_P12ihipStream_tbENKUlT_T0_E_clISt17integral_constantIbLb1EES10_IbLb0EEEEDaSW_SX_EUlSW_E_NS1_11comp_targetILNS1_3genE8ELNS1_11target_archE1030ELNS1_3gpuE2ELNS1_3repE0EEENS1_30default_config_static_selectorELNS0_4arch9wavefront6targetE1EEEvT1_,comdat
.Lfunc_end1160:
	.size	_ZN7rocprim17ROCPRIM_400000_NS6detail17trampoline_kernelINS0_14default_configENS1_27scan_by_key_config_selectorIifEEZZNS1_16scan_by_key_implILNS1_25lookback_scan_determinismE0ELb0ES3_N6thrust23THRUST_200600_302600_NS6detail15normal_iteratorINS9_10device_ptrIiEEEENSB_INSC_IfEEEESG_fNS9_4plusIvEENS9_8equal_toIvEEfEE10hipError_tPvRmT2_T3_T4_T5_mT6_T7_P12ihipStream_tbENKUlT_T0_E_clISt17integral_constantIbLb1EES10_IbLb0EEEEDaSW_SX_EUlSW_E_NS1_11comp_targetILNS1_3genE8ELNS1_11target_archE1030ELNS1_3gpuE2ELNS1_3repE0EEENS1_30default_config_static_selectorELNS0_4arch9wavefront6targetE1EEEvT1_, .Lfunc_end1160-_ZN7rocprim17ROCPRIM_400000_NS6detail17trampoline_kernelINS0_14default_configENS1_27scan_by_key_config_selectorIifEEZZNS1_16scan_by_key_implILNS1_25lookback_scan_determinismE0ELb0ES3_N6thrust23THRUST_200600_302600_NS6detail15normal_iteratorINS9_10device_ptrIiEEEENSB_INSC_IfEEEESG_fNS9_4plusIvEENS9_8equal_toIvEEfEE10hipError_tPvRmT2_T3_T4_T5_mT6_T7_P12ihipStream_tbENKUlT_T0_E_clISt17integral_constantIbLb1EES10_IbLb0EEEEDaSW_SX_EUlSW_E_NS1_11comp_targetILNS1_3genE8ELNS1_11target_archE1030ELNS1_3gpuE2ELNS1_3repE0EEENS1_30default_config_static_selectorELNS0_4arch9wavefront6targetE1EEEvT1_
                                        ; -- End function
	.section	.AMDGPU.csdata,"",@progbits
; Kernel info:
; codeLenInByte = 0
; NumSgprs: 6
; NumVgprs: 0
; NumAgprs: 0
; TotalNumVgprs: 0
; ScratchSize: 0
; MemoryBound: 0
; FloatMode: 240
; IeeeMode: 1
; LDSByteSize: 0 bytes/workgroup (compile time only)
; SGPRBlocks: 0
; VGPRBlocks: 0
; NumSGPRsForWavesPerEU: 6
; NumVGPRsForWavesPerEU: 1
; AccumOffset: 4
; Occupancy: 8
; WaveLimiterHint : 0
; COMPUTE_PGM_RSRC2:SCRATCH_EN: 0
; COMPUTE_PGM_RSRC2:USER_SGPR: 2
; COMPUTE_PGM_RSRC2:TRAP_HANDLER: 0
; COMPUTE_PGM_RSRC2:TGID_X_EN: 1
; COMPUTE_PGM_RSRC2:TGID_Y_EN: 0
; COMPUTE_PGM_RSRC2:TGID_Z_EN: 0
; COMPUTE_PGM_RSRC2:TIDIG_COMP_CNT: 0
; COMPUTE_PGM_RSRC3_GFX90A:ACCUM_OFFSET: 0
; COMPUTE_PGM_RSRC3_GFX90A:TG_SPLIT: 0
	.section	.text._ZN7rocprim17ROCPRIM_400000_NS6detail30init_device_scan_by_key_kernelINS1_19lookback_scan_stateINS0_5tupleIJfbEEELb0ELb1EEEN6thrust23THRUST_200600_302600_NS6detail15normal_iteratorINS8_10device_ptrIiEEEEjNS1_16block_id_wrapperIjLb1EEEEEvT_jjPNSG_10value_typeET0_PNSt15iterator_traitsISJ_E10value_typeEmT1_T2_,"axG",@progbits,_ZN7rocprim17ROCPRIM_400000_NS6detail30init_device_scan_by_key_kernelINS1_19lookback_scan_stateINS0_5tupleIJfbEEELb0ELb1EEEN6thrust23THRUST_200600_302600_NS6detail15normal_iteratorINS8_10device_ptrIiEEEEjNS1_16block_id_wrapperIjLb1EEEEEvT_jjPNSG_10value_typeET0_PNSt15iterator_traitsISJ_E10value_typeEmT1_T2_,comdat
	.protected	_ZN7rocprim17ROCPRIM_400000_NS6detail30init_device_scan_by_key_kernelINS1_19lookback_scan_stateINS0_5tupleIJfbEEELb0ELb1EEEN6thrust23THRUST_200600_302600_NS6detail15normal_iteratorINS8_10device_ptrIiEEEEjNS1_16block_id_wrapperIjLb1EEEEEvT_jjPNSG_10value_typeET0_PNSt15iterator_traitsISJ_E10value_typeEmT1_T2_ ; -- Begin function _ZN7rocprim17ROCPRIM_400000_NS6detail30init_device_scan_by_key_kernelINS1_19lookback_scan_stateINS0_5tupleIJfbEEELb0ELb1EEEN6thrust23THRUST_200600_302600_NS6detail15normal_iteratorINS8_10device_ptrIiEEEEjNS1_16block_id_wrapperIjLb1EEEEEvT_jjPNSG_10value_typeET0_PNSt15iterator_traitsISJ_E10value_typeEmT1_T2_
	.globl	_ZN7rocprim17ROCPRIM_400000_NS6detail30init_device_scan_by_key_kernelINS1_19lookback_scan_stateINS0_5tupleIJfbEEELb0ELb1EEEN6thrust23THRUST_200600_302600_NS6detail15normal_iteratorINS8_10device_ptrIiEEEEjNS1_16block_id_wrapperIjLb1EEEEEvT_jjPNSG_10value_typeET0_PNSt15iterator_traitsISJ_E10value_typeEmT1_T2_
	.p2align	8
	.type	_ZN7rocprim17ROCPRIM_400000_NS6detail30init_device_scan_by_key_kernelINS1_19lookback_scan_stateINS0_5tupleIJfbEEELb0ELb1EEEN6thrust23THRUST_200600_302600_NS6detail15normal_iteratorINS8_10device_ptrIiEEEEjNS1_16block_id_wrapperIjLb1EEEEEvT_jjPNSG_10value_typeET0_PNSt15iterator_traitsISJ_E10value_typeEmT1_T2_,@function
_ZN7rocprim17ROCPRIM_400000_NS6detail30init_device_scan_by_key_kernelINS1_19lookback_scan_stateINS0_5tupleIJfbEEELb0ELb1EEEN6thrust23THRUST_200600_302600_NS6detail15normal_iteratorINS8_10device_ptrIiEEEEjNS1_16block_id_wrapperIjLb1EEEEEvT_jjPNSG_10value_typeET0_PNSt15iterator_traitsISJ_E10value_typeEmT1_T2_: ; @_ZN7rocprim17ROCPRIM_400000_NS6detail30init_device_scan_by_key_kernelINS1_19lookback_scan_stateINS0_5tupleIJfbEEELb0ELb1EEEN6thrust23THRUST_200600_302600_NS6detail15normal_iteratorINS8_10device_ptrIiEEEEjNS1_16block_id_wrapperIjLb1EEEEEvT_jjPNSG_10value_typeET0_PNSt15iterator_traitsISJ_E10value_typeEmT1_T2_
; %bb.0:
	s_load_dword s3, s[0:1], 0x4c
	s_load_dwordx8 s[4:11], s[0:1], 0x0
	s_load_dword s18, s[0:1], 0x40
	s_waitcnt lgkmcnt(0)
	s_and_b32 s19, s3, 0xffff
	s_mul_i32 s2, s2, s19
	s_cmp_eq_u64 s[8:9], 0
	v_add_u32_e32 v4, s2, v0
	s_cbranch_scc1 .LBB1161_8
; %bb.1:
	s_cmp_lt_u32 s7, s6
	s_cselect_b32 s2, s7, 0
	s_mov_b32 s13, 0
	v_cmp_eq_u32_e32 vcc, s2, v4
	s_and_saveexec_b64 s[2:3], vcc
	s_cbranch_execz .LBB1161_7
; %bb.2:
	s_add_i32 s12, s7, 64
	s_lshl_b64 s[12:13], s[12:13], 4
	s_add_u32 s16, s4, s12
	s_addc_u32 s17, s5, s13
	v_mov_b64_e32 v[0:1], s[16:17]
	;;#ASMSTART
	global_load_dwordx4 v[0:3], v[0:1] off sc1	
s_waitcnt vmcnt(0)
	;;#ASMEND
	v_mov_b32_e32 v7, 0
	v_and_b32_e32 v6, 0xff, v2
	s_mov_b64 s[14:15], 0
	v_cmp_eq_u64_e32 vcc, 0, v[6:7]
	s_and_saveexec_b64 s[12:13], vcc
	s_cbranch_execz .LBB1161_6
; %bb.3:
	v_mov_b64_e32 v[8:9], s[16:17]
.LBB1161_4:                             ; =>This Inner Loop Header: Depth=1
	;;#ASMSTART
	global_load_dwordx4 v[0:3], v[8:9] off sc1	
s_waitcnt vmcnt(0)
	;;#ASMEND
	s_nop 0
	v_and_b32_e32 v6, 0xff, v2
	v_cmp_ne_u64_e32 vcc, 0, v[6:7]
	s_or_b64 s[14:15], vcc, s[14:15]
	s_andn2_b64 exec, exec, s[14:15]
	s_cbranch_execnz .LBB1161_4
; %bb.5:
	s_or_b64 exec, exec, s[14:15]
.LBB1161_6:
	s_or_b64 exec, exec, s[12:13]
	v_mov_b32_e32 v2, 0
	global_store_dword v2, v0, s[8:9]
	global_store_byte v2, v1, s[8:9] offset:4
.LBB1161_7:
	s_or_b64 exec, exec, s[2:3]
.LBB1161_8:
	v_cmp_eq_u32_e32 vcc, 0, v4
	s_and_saveexec_b64 s[2:3], vcc
	s_cbranch_execz .LBB1161_10
; %bb.9:
	s_load_dwordx2 s[8:9], s[0:1], 0x38
	v_mov_b32_e32 v0, 0
	s_waitcnt lgkmcnt(0)
	global_store_dword v0, v0, s[8:9]
.LBB1161_10:
	s_or_b64 exec, exec, s[2:3]
	v_cmp_gt_u32_e32 vcc, s6, v4
	s_and_saveexec_b64 s[2:3], vcc
	s_cbranch_execz .LBB1161_12
; %bb.11:
	v_add_u32_e32 v0, 64, v4
	v_mov_b32_e32 v1, 0
	v_lshl_add_u64 v[6:7], v[0:1], 4, s[4:5]
	v_mov_b32_e32 v0, v1
	v_mov_b32_e32 v2, v1
	;; [unrolled: 1-line block ×3, first 2 shown]
	global_store_dwordx4 v[6:7], v[0:3], off
.LBB1161_12:
	s_or_b64 exec, exec, s[2:3]
	v_cmp_gt_u32_e32 vcc, 64, v4
	v_mov_b32_e32 v5, 0
	s_and_saveexec_b64 s[2:3], vcc
	s_cbranch_execz .LBB1161_14
; %bb.13:
	v_lshl_add_u64 v[6:7], v[4:5], 4, s[4:5]
	v_mov_b32_e32 v2, 0xff
	v_mov_b32_e32 v0, v5
	;; [unrolled: 1-line block ×4, first 2 shown]
	global_store_dwordx4 v[6:7], v[0:3], off
.LBB1161_14:
	s_or_b64 exec, exec, s[2:3]
	s_load_dwordx2 s[2:3], s[0:1], 0x28
	s_waitcnt lgkmcnt(0)
	v_cmp_gt_u64_e32 vcc, s[2:3], v[4:5]
	s_and_saveexec_b64 s[4:5], vcc
	s_cbranch_execz .LBB1161_17
; %bb.15:
	s_load_dword s12, s[0:1], 0x30
	s_load_dwordx2 s[6:7], s[0:1], 0x20
	s_mov_b32 s5, 0
	s_mov_b32 s1, s5
	s_mul_i32 s0, s18, s19
	s_waitcnt lgkmcnt(0)
	s_add_i32 s4, s12, -1
	s_lshl_b64 s[4:5], s[4:5], 2
	s_add_u32 s4, s10, s4
	v_mad_u64_u32 v[0:1], s[8:9], s12, v4, 0
	s_addc_u32 s5, s11, s5
	v_lshl_add_u64 v[0:1], v[0:1], 2, s[4:5]
	s_mul_hi_u32 s5, s12, s0
	s_mul_i32 s4, s12, s0
	s_lshl_b64 s[4:5], s[4:5], 2
	v_lshl_add_u64 v[2:3], v[4:5], 2, s[6:7]
	s_lshl_b64 s[6:7], s[0:1], 2
	s_mov_b64 s[8:9], 0
.LBB1161_16:                            ; =>This Inner Loop Header: Depth=1
	global_load_dword v6, v[0:1], off
	v_lshl_add_u64 v[4:5], v[4:5], 0, s[0:1]
	v_cmp_le_u64_e32 vcc, s[2:3], v[4:5]
	v_lshl_add_u64 v[0:1], v[0:1], 0, s[4:5]
	s_or_b64 s[8:9], vcc, s[8:9]
	s_waitcnt vmcnt(0)
	global_store_dword v[2:3], v6, off
	v_lshl_add_u64 v[2:3], v[2:3], 0, s[6:7]
	s_andn2_b64 exec, exec, s[8:9]
	s_cbranch_execnz .LBB1161_16
.LBB1161_17:
	s_endpgm
	.section	.rodata,"a",@progbits
	.p2align	6, 0x0
	.amdhsa_kernel _ZN7rocprim17ROCPRIM_400000_NS6detail30init_device_scan_by_key_kernelINS1_19lookback_scan_stateINS0_5tupleIJfbEEELb0ELb1EEEN6thrust23THRUST_200600_302600_NS6detail15normal_iteratorINS8_10device_ptrIiEEEEjNS1_16block_id_wrapperIjLb1EEEEEvT_jjPNSG_10value_typeET0_PNSt15iterator_traitsISJ_E10value_typeEmT1_T2_
		.amdhsa_group_segment_fixed_size 0
		.amdhsa_private_segment_fixed_size 0
		.amdhsa_kernarg_size 320
		.amdhsa_user_sgpr_count 2
		.amdhsa_user_sgpr_dispatch_ptr 0
		.amdhsa_user_sgpr_queue_ptr 0
		.amdhsa_user_sgpr_kernarg_segment_ptr 1
		.amdhsa_user_sgpr_dispatch_id 0
		.amdhsa_user_sgpr_kernarg_preload_length 0
		.amdhsa_user_sgpr_kernarg_preload_offset 0
		.amdhsa_user_sgpr_private_segment_size 0
		.amdhsa_uses_dynamic_stack 0
		.amdhsa_enable_private_segment 0
		.amdhsa_system_sgpr_workgroup_id_x 1
		.amdhsa_system_sgpr_workgroup_id_y 0
		.amdhsa_system_sgpr_workgroup_id_z 0
		.amdhsa_system_sgpr_workgroup_info 0
		.amdhsa_system_vgpr_workitem_id 0
		.amdhsa_next_free_vgpr 10
		.amdhsa_next_free_sgpr 20
		.amdhsa_accum_offset 12
		.amdhsa_reserve_vcc 1
		.amdhsa_float_round_mode_32 0
		.amdhsa_float_round_mode_16_64 0
		.amdhsa_float_denorm_mode_32 3
		.amdhsa_float_denorm_mode_16_64 3
		.amdhsa_dx10_clamp 1
		.amdhsa_ieee_mode 1
		.amdhsa_fp16_overflow 0
		.amdhsa_tg_split 0
		.amdhsa_exception_fp_ieee_invalid_op 0
		.amdhsa_exception_fp_denorm_src 0
		.amdhsa_exception_fp_ieee_div_zero 0
		.amdhsa_exception_fp_ieee_overflow 0
		.amdhsa_exception_fp_ieee_underflow 0
		.amdhsa_exception_fp_ieee_inexact 0
		.amdhsa_exception_int_div_zero 0
	.end_amdhsa_kernel
	.section	.text._ZN7rocprim17ROCPRIM_400000_NS6detail30init_device_scan_by_key_kernelINS1_19lookback_scan_stateINS0_5tupleIJfbEEELb0ELb1EEEN6thrust23THRUST_200600_302600_NS6detail15normal_iteratorINS8_10device_ptrIiEEEEjNS1_16block_id_wrapperIjLb1EEEEEvT_jjPNSG_10value_typeET0_PNSt15iterator_traitsISJ_E10value_typeEmT1_T2_,"axG",@progbits,_ZN7rocprim17ROCPRIM_400000_NS6detail30init_device_scan_by_key_kernelINS1_19lookback_scan_stateINS0_5tupleIJfbEEELb0ELb1EEEN6thrust23THRUST_200600_302600_NS6detail15normal_iteratorINS8_10device_ptrIiEEEEjNS1_16block_id_wrapperIjLb1EEEEEvT_jjPNSG_10value_typeET0_PNSt15iterator_traitsISJ_E10value_typeEmT1_T2_,comdat
.Lfunc_end1161:
	.size	_ZN7rocprim17ROCPRIM_400000_NS6detail30init_device_scan_by_key_kernelINS1_19lookback_scan_stateINS0_5tupleIJfbEEELb0ELb1EEEN6thrust23THRUST_200600_302600_NS6detail15normal_iteratorINS8_10device_ptrIiEEEEjNS1_16block_id_wrapperIjLb1EEEEEvT_jjPNSG_10value_typeET0_PNSt15iterator_traitsISJ_E10value_typeEmT1_T2_, .Lfunc_end1161-_ZN7rocprim17ROCPRIM_400000_NS6detail30init_device_scan_by_key_kernelINS1_19lookback_scan_stateINS0_5tupleIJfbEEELb0ELb1EEEN6thrust23THRUST_200600_302600_NS6detail15normal_iteratorINS8_10device_ptrIiEEEEjNS1_16block_id_wrapperIjLb1EEEEEvT_jjPNSG_10value_typeET0_PNSt15iterator_traitsISJ_E10value_typeEmT1_T2_
                                        ; -- End function
	.section	.AMDGPU.csdata,"",@progbits
; Kernel info:
; codeLenInByte = 548
; NumSgprs: 26
; NumVgprs: 10
; NumAgprs: 0
; TotalNumVgprs: 10
; ScratchSize: 0
; MemoryBound: 0
; FloatMode: 240
; IeeeMode: 1
; LDSByteSize: 0 bytes/workgroup (compile time only)
; SGPRBlocks: 3
; VGPRBlocks: 1
; NumSGPRsForWavesPerEU: 26
; NumVGPRsForWavesPerEU: 10
; AccumOffset: 12
; Occupancy: 8
; WaveLimiterHint : 0
; COMPUTE_PGM_RSRC2:SCRATCH_EN: 0
; COMPUTE_PGM_RSRC2:USER_SGPR: 2
; COMPUTE_PGM_RSRC2:TRAP_HANDLER: 0
; COMPUTE_PGM_RSRC2:TGID_X_EN: 1
; COMPUTE_PGM_RSRC2:TGID_Y_EN: 0
; COMPUTE_PGM_RSRC2:TGID_Z_EN: 0
; COMPUTE_PGM_RSRC2:TIDIG_COMP_CNT: 0
; COMPUTE_PGM_RSRC3_GFX90A:ACCUM_OFFSET: 2
; COMPUTE_PGM_RSRC3_GFX90A:TG_SPLIT: 0
	.section	.text._ZN7rocprim17ROCPRIM_400000_NS6detail30init_device_scan_by_key_kernelINS1_19lookback_scan_stateINS0_5tupleIJfbEEELb0ELb1EEENS1_16block_id_wrapperIjLb1EEEEEvT_jjPNS9_10value_typeET0_,"axG",@progbits,_ZN7rocprim17ROCPRIM_400000_NS6detail30init_device_scan_by_key_kernelINS1_19lookback_scan_stateINS0_5tupleIJfbEEELb0ELb1EEENS1_16block_id_wrapperIjLb1EEEEEvT_jjPNS9_10value_typeET0_,comdat
	.protected	_ZN7rocprim17ROCPRIM_400000_NS6detail30init_device_scan_by_key_kernelINS1_19lookback_scan_stateINS0_5tupleIJfbEEELb0ELb1EEENS1_16block_id_wrapperIjLb1EEEEEvT_jjPNS9_10value_typeET0_ ; -- Begin function _ZN7rocprim17ROCPRIM_400000_NS6detail30init_device_scan_by_key_kernelINS1_19lookback_scan_stateINS0_5tupleIJfbEEELb0ELb1EEENS1_16block_id_wrapperIjLb1EEEEEvT_jjPNS9_10value_typeET0_
	.globl	_ZN7rocprim17ROCPRIM_400000_NS6detail30init_device_scan_by_key_kernelINS1_19lookback_scan_stateINS0_5tupleIJfbEEELb0ELb1EEENS1_16block_id_wrapperIjLb1EEEEEvT_jjPNS9_10value_typeET0_
	.p2align	8
	.type	_ZN7rocprim17ROCPRIM_400000_NS6detail30init_device_scan_by_key_kernelINS1_19lookback_scan_stateINS0_5tupleIJfbEEELb0ELb1EEENS1_16block_id_wrapperIjLb1EEEEEvT_jjPNS9_10value_typeET0_,@function
_ZN7rocprim17ROCPRIM_400000_NS6detail30init_device_scan_by_key_kernelINS1_19lookback_scan_stateINS0_5tupleIJfbEEELb0ELb1EEENS1_16block_id_wrapperIjLb1EEEEEvT_jjPNS9_10value_typeET0_: ; @_ZN7rocprim17ROCPRIM_400000_NS6detail30init_device_scan_by_key_kernelINS1_19lookback_scan_stateINS0_5tupleIJfbEEELb0ELb1EEENS1_16block_id_wrapperIjLb1EEEEEvT_jjPNS9_10value_typeET0_
; %bb.0:
	s_load_dword s3, s[0:1], 0x2c
	s_load_dwordx8 s[4:11], s[0:1], 0x0
	s_waitcnt lgkmcnt(0)
	s_and_b32 s0, s3, 0xffff
	s_mul_i32 s2, s2, s0
	s_cmp_eq_u64 s[8:9], 0
	v_add_u32_e32 v0, s2, v0
	s_cbranch_scc1 .LBB1162_8
; %bb.1:
	s_cmp_lt_u32 s7, s6
	s_cselect_b32 s0, s7, 0
	s_mov_b32 s3, 0
	v_cmp_eq_u32_e32 vcc, s0, v0
	s_and_saveexec_b64 s[0:1], vcc
	s_cbranch_execz .LBB1162_7
; %bb.2:
	s_add_i32 s2, s7, 64
	s_lshl_b64 s[2:3], s[2:3], 4
	s_add_u32 s14, s4, s2
	s_addc_u32 s15, s5, s3
	v_mov_b64_e32 v[2:3], s[14:15]
	;;#ASMSTART
	global_load_dwordx4 v[2:5], v[2:3] off sc1	
s_waitcnt vmcnt(0)
	;;#ASMEND
	v_mov_b32_e32 v7, 0
	v_and_b32_e32 v6, 0xff, v4
	s_mov_b64 s[12:13], 0
	v_cmp_eq_u64_e32 vcc, 0, v[6:7]
	s_and_saveexec_b64 s[2:3], vcc
	s_cbranch_execz .LBB1162_6
; %bb.3:
	v_mov_b64_e32 v[8:9], s[14:15]
.LBB1162_4:                             ; =>This Inner Loop Header: Depth=1
	;;#ASMSTART
	global_load_dwordx4 v[2:5], v[8:9] off sc1	
s_waitcnt vmcnt(0)
	;;#ASMEND
	s_nop 0
	v_and_b32_e32 v6, 0xff, v4
	v_cmp_ne_u64_e32 vcc, 0, v[6:7]
	s_or_b64 s[12:13], vcc, s[12:13]
	s_andn2_b64 exec, exec, s[12:13]
	s_cbranch_execnz .LBB1162_4
; %bb.5:
	s_or_b64 exec, exec, s[12:13]
.LBB1162_6:
	s_or_b64 exec, exec, s[2:3]
	v_mov_b32_e32 v1, 0
	global_store_dword v1, v2, s[8:9]
	global_store_byte v1, v3, s[8:9] offset:4
.LBB1162_7:
	s_or_b64 exec, exec, s[0:1]
.LBB1162_8:
	v_cmp_eq_u32_e32 vcc, 0, v0
	s_and_saveexec_b64 s[0:1], vcc
	s_cbranch_execnz .LBB1162_12
; %bb.9:
	s_or_b64 exec, exec, s[0:1]
	v_cmp_gt_u32_e32 vcc, s6, v0
	s_and_saveexec_b64 s[0:1], vcc
	s_cbranch_execnz .LBB1162_13
.LBB1162_10:
	s_or_b64 exec, exec, s[0:1]
	v_cmp_gt_u32_e32 vcc, 64, v0
	s_and_saveexec_b64 s[0:1], vcc
	s_cbranch_execnz .LBB1162_14
.LBB1162_11:
	s_endpgm
.LBB1162_12:
	v_mov_b32_e32 v1, 0
	global_store_dword v1, v1, s[10:11]
	s_or_b64 exec, exec, s[0:1]
	v_cmp_gt_u32_e32 vcc, s6, v0
	s_and_saveexec_b64 s[0:1], vcc
	s_cbranch_execz .LBB1162_10
.LBB1162_13:
	v_add_u32_e32 v2, 64, v0
	v_mov_b32_e32 v3, 0
	v_lshl_add_u64 v[6:7], v[2:3], 4, s[4:5]
	v_mov_b32_e32 v2, v3
	v_mov_b32_e32 v4, v3
	;; [unrolled: 1-line block ×3, first 2 shown]
	global_store_dwordx4 v[6:7], v[2:5], off
	s_or_b64 exec, exec, s[0:1]
	v_cmp_gt_u32_e32 vcc, 64, v0
	s_and_saveexec_b64 s[0:1], vcc
	s_cbranch_execz .LBB1162_11
.LBB1162_14:
	v_mov_b32_e32 v1, 0
	v_lshl_add_u64 v[4:5], v[0:1], 4, s[4:5]
	v_mov_b32_e32 v2, 0xff
	v_mov_b32_e32 v0, v1
	;; [unrolled: 1-line block ×3, first 2 shown]
	global_store_dwordx4 v[4:5], v[0:3], off
	s_endpgm
	.section	.rodata,"a",@progbits
	.p2align	6, 0x0
	.amdhsa_kernel _ZN7rocprim17ROCPRIM_400000_NS6detail30init_device_scan_by_key_kernelINS1_19lookback_scan_stateINS0_5tupleIJfbEEELb0ELb1EEENS1_16block_id_wrapperIjLb1EEEEEvT_jjPNS9_10value_typeET0_
		.amdhsa_group_segment_fixed_size 0
		.amdhsa_private_segment_fixed_size 0
		.amdhsa_kernarg_size 288
		.amdhsa_user_sgpr_count 2
		.amdhsa_user_sgpr_dispatch_ptr 0
		.amdhsa_user_sgpr_queue_ptr 0
		.amdhsa_user_sgpr_kernarg_segment_ptr 1
		.amdhsa_user_sgpr_dispatch_id 0
		.amdhsa_user_sgpr_kernarg_preload_length 0
		.amdhsa_user_sgpr_kernarg_preload_offset 0
		.amdhsa_user_sgpr_private_segment_size 0
		.amdhsa_uses_dynamic_stack 0
		.amdhsa_enable_private_segment 0
		.amdhsa_system_sgpr_workgroup_id_x 1
		.amdhsa_system_sgpr_workgroup_id_y 0
		.amdhsa_system_sgpr_workgroup_id_z 0
		.amdhsa_system_sgpr_workgroup_info 0
		.amdhsa_system_vgpr_workitem_id 0
		.amdhsa_next_free_vgpr 10
		.amdhsa_next_free_sgpr 16
		.amdhsa_accum_offset 12
		.amdhsa_reserve_vcc 1
		.amdhsa_float_round_mode_32 0
		.amdhsa_float_round_mode_16_64 0
		.amdhsa_float_denorm_mode_32 3
		.amdhsa_float_denorm_mode_16_64 3
		.amdhsa_dx10_clamp 1
		.amdhsa_ieee_mode 1
		.amdhsa_fp16_overflow 0
		.amdhsa_tg_split 0
		.amdhsa_exception_fp_ieee_invalid_op 0
		.amdhsa_exception_fp_denorm_src 0
		.amdhsa_exception_fp_ieee_div_zero 0
		.amdhsa_exception_fp_ieee_overflow 0
		.amdhsa_exception_fp_ieee_underflow 0
		.amdhsa_exception_fp_ieee_inexact 0
		.amdhsa_exception_int_div_zero 0
	.end_amdhsa_kernel
	.section	.text._ZN7rocprim17ROCPRIM_400000_NS6detail30init_device_scan_by_key_kernelINS1_19lookback_scan_stateINS0_5tupleIJfbEEELb0ELb1EEENS1_16block_id_wrapperIjLb1EEEEEvT_jjPNS9_10value_typeET0_,"axG",@progbits,_ZN7rocprim17ROCPRIM_400000_NS6detail30init_device_scan_by_key_kernelINS1_19lookback_scan_stateINS0_5tupleIJfbEEELb0ELb1EEENS1_16block_id_wrapperIjLb1EEEEEvT_jjPNS9_10value_typeET0_,comdat
.Lfunc_end1162:
	.size	_ZN7rocprim17ROCPRIM_400000_NS6detail30init_device_scan_by_key_kernelINS1_19lookback_scan_stateINS0_5tupleIJfbEEELb0ELb1EEENS1_16block_id_wrapperIjLb1EEEEEvT_jjPNS9_10value_typeET0_, .Lfunc_end1162-_ZN7rocprim17ROCPRIM_400000_NS6detail30init_device_scan_by_key_kernelINS1_19lookback_scan_stateINS0_5tupleIJfbEEELb0ELb1EEENS1_16block_id_wrapperIjLb1EEEEEvT_jjPNS9_10value_typeET0_
                                        ; -- End function
	.section	.AMDGPU.csdata,"",@progbits
; Kernel info:
; codeLenInByte = 380
; NumSgprs: 22
; NumVgprs: 10
; NumAgprs: 0
; TotalNumVgprs: 10
; ScratchSize: 0
; MemoryBound: 0
; FloatMode: 240
; IeeeMode: 1
; LDSByteSize: 0 bytes/workgroup (compile time only)
; SGPRBlocks: 2
; VGPRBlocks: 1
; NumSGPRsForWavesPerEU: 22
; NumVGPRsForWavesPerEU: 10
; AccumOffset: 12
; Occupancy: 8
; WaveLimiterHint : 0
; COMPUTE_PGM_RSRC2:SCRATCH_EN: 0
; COMPUTE_PGM_RSRC2:USER_SGPR: 2
; COMPUTE_PGM_RSRC2:TRAP_HANDLER: 0
; COMPUTE_PGM_RSRC2:TGID_X_EN: 1
; COMPUTE_PGM_RSRC2:TGID_Y_EN: 0
; COMPUTE_PGM_RSRC2:TGID_Z_EN: 0
; COMPUTE_PGM_RSRC2:TIDIG_COMP_CNT: 0
; COMPUTE_PGM_RSRC3_GFX90A:ACCUM_OFFSET: 2
; COMPUTE_PGM_RSRC3_GFX90A:TG_SPLIT: 0
	.section	.text._ZN7rocprim17ROCPRIM_400000_NS6detail17trampoline_kernelINS0_14default_configENS1_27scan_by_key_config_selectorIifEEZZNS1_16scan_by_key_implILNS1_25lookback_scan_determinismE0ELb0ES3_N6thrust23THRUST_200600_302600_NS6detail15normal_iteratorINS9_10device_ptrIiEEEENSB_INSC_IfEEEESG_fNS9_4plusIvEENS9_8equal_toIvEEfEE10hipError_tPvRmT2_T3_T4_T5_mT6_T7_P12ihipStream_tbENKUlT_T0_E_clISt17integral_constantIbLb0EES10_IbLb1EEEEDaSW_SX_EUlSW_E_NS1_11comp_targetILNS1_3genE0ELNS1_11target_archE4294967295ELNS1_3gpuE0ELNS1_3repE0EEENS1_30default_config_static_selectorELNS0_4arch9wavefront6targetE1EEEvT1_,"axG",@progbits,_ZN7rocprim17ROCPRIM_400000_NS6detail17trampoline_kernelINS0_14default_configENS1_27scan_by_key_config_selectorIifEEZZNS1_16scan_by_key_implILNS1_25lookback_scan_determinismE0ELb0ES3_N6thrust23THRUST_200600_302600_NS6detail15normal_iteratorINS9_10device_ptrIiEEEENSB_INSC_IfEEEESG_fNS9_4plusIvEENS9_8equal_toIvEEfEE10hipError_tPvRmT2_T3_T4_T5_mT6_T7_P12ihipStream_tbENKUlT_T0_E_clISt17integral_constantIbLb0EES10_IbLb1EEEEDaSW_SX_EUlSW_E_NS1_11comp_targetILNS1_3genE0ELNS1_11target_archE4294967295ELNS1_3gpuE0ELNS1_3repE0EEENS1_30default_config_static_selectorELNS0_4arch9wavefront6targetE1EEEvT1_,comdat
	.protected	_ZN7rocprim17ROCPRIM_400000_NS6detail17trampoline_kernelINS0_14default_configENS1_27scan_by_key_config_selectorIifEEZZNS1_16scan_by_key_implILNS1_25lookback_scan_determinismE0ELb0ES3_N6thrust23THRUST_200600_302600_NS6detail15normal_iteratorINS9_10device_ptrIiEEEENSB_INSC_IfEEEESG_fNS9_4plusIvEENS9_8equal_toIvEEfEE10hipError_tPvRmT2_T3_T4_T5_mT6_T7_P12ihipStream_tbENKUlT_T0_E_clISt17integral_constantIbLb0EES10_IbLb1EEEEDaSW_SX_EUlSW_E_NS1_11comp_targetILNS1_3genE0ELNS1_11target_archE4294967295ELNS1_3gpuE0ELNS1_3repE0EEENS1_30default_config_static_selectorELNS0_4arch9wavefront6targetE1EEEvT1_ ; -- Begin function _ZN7rocprim17ROCPRIM_400000_NS6detail17trampoline_kernelINS0_14default_configENS1_27scan_by_key_config_selectorIifEEZZNS1_16scan_by_key_implILNS1_25lookback_scan_determinismE0ELb0ES3_N6thrust23THRUST_200600_302600_NS6detail15normal_iteratorINS9_10device_ptrIiEEEENSB_INSC_IfEEEESG_fNS9_4plusIvEENS9_8equal_toIvEEfEE10hipError_tPvRmT2_T3_T4_T5_mT6_T7_P12ihipStream_tbENKUlT_T0_E_clISt17integral_constantIbLb0EES10_IbLb1EEEEDaSW_SX_EUlSW_E_NS1_11comp_targetILNS1_3genE0ELNS1_11target_archE4294967295ELNS1_3gpuE0ELNS1_3repE0EEENS1_30default_config_static_selectorELNS0_4arch9wavefront6targetE1EEEvT1_
	.globl	_ZN7rocprim17ROCPRIM_400000_NS6detail17trampoline_kernelINS0_14default_configENS1_27scan_by_key_config_selectorIifEEZZNS1_16scan_by_key_implILNS1_25lookback_scan_determinismE0ELb0ES3_N6thrust23THRUST_200600_302600_NS6detail15normal_iteratorINS9_10device_ptrIiEEEENSB_INSC_IfEEEESG_fNS9_4plusIvEENS9_8equal_toIvEEfEE10hipError_tPvRmT2_T3_T4_T5_mT6_T7_P12ihipStream_tbENKUlT_T0_E_clISt17integral_constantIbLb0EES10_IbLb1EEEEDaSW_SX_EUlSW_E_NS1_11comp_targetILNS1_3genE0ELNS1_11target_archE4294967295ELNS1_3gpuE0ELNS1_3repE0EEENS1_30default_config_static_selectorELNS0_4arch9wavefront6targetE1EEEvT1_
	.p2align	8
	.type	_ZN7rocprim17ROCPRIM_400000_NS6detail17trampoline_kernelINS0_14default_configENS1_27scan_by_key_config_selectorIifEEZZNS1_16scan_by_key_implILNS1_25lookback_scan_determinismE0ELb0ES3_N6thrust23THRUST_200600_302600_NS6detail15normal_iteratorINS9_10device_ptrIiEEEENSB_INSC_IfEEEESG_fNS9_4plusIvEENS9_8equal_toIvEEfEE10hipError_tPvRmT2_T3_T4_T5_mT6_T7_P12ihipStream_tbENKUlT_T0_E_clISt17integral_constantIbLb0EES10_IbLb1EEEEDaSW_SX_EUlSW_E_NS1_11comp_targetILNS1_3genE0ELNS1_11target_archE4294967295ELNS1_3gpuE0ELNS1_3repE0EEENS1_30default_config_static_selectorELNS0_4arch9wavefront6targetE1EEEvT1_,@function
_ZN7rocprim17ROCPRIM_400000_NS6detail17trampoline_kernelINS0_14default_configENS1_27scan_by_key_config_selectorIifEEZZNS1_16scan_by_key_implILNS1_25lookback_scan_determinismE0ELb0ES3_N6thrust23THRUST_200600_302600_NS6detail15normal_iteratorINS9_10device_ptrIiEEEENSB_INSC_IfEEEESG_fNS9_4plusIvEENS9_8equal_toIvEEfEE10hipError_tPvRmT2_T3_T4_T5_mT6_T7_P12ihipStream_tbENKUlT_T0_E_clISt17integral_constantIbLb0EES10_IbLb1EEEEDaSW_SX_EUlSW_E_NS1_11comp_targetILNS1_3genE0ELNS1_11target_archE4294967295ELNS1_3gpuE0ELNS1_3repE0EEENS1_30default_config_static_selectorELNS0_4arch9wavefront6targetE1EEEvT1_: ; @_ZN7rocprim17ROCPRIM_400000_NS6detail17trampoline_kernelINS0_14default_configENS1_27scan_by_key_config_selectorIifEEZZNS1_16scan_by_key_implILNS1_25lookback_scan_determinismE0ELb0ES3_N6thrust23THRUST_200600_302600_NS6detail15normal_iteratorINS9_10device_ptrIiEEEENSB_INSC_IfEEEESG_fNS9_4plusIvEENS9_8equal_toIvEEfEE10hipError_tPvRmT2_T3_T4_T5_mT6_T7_P12ihipStream_tbENKUlT_T0_E_clISt17integral_constantIbLb0EES10_IbLb1EEEEDaSW_SX_EUlSW_E_NS1_11comp_targetILNS1_3genE0ELNS1_11target_archE4294967295ELNS1_3gpuE0ELNS1_3repE0EEENS1_30default_config_static_selectorELNS0_4arch9wavefront6targetE1EEEvT1_
; %bb.0:
	.section	.rodata,"a",@progbits
	.p2align	6, 0x0
	.amdhsa_kernel _ZN7rocprim17ROCPRIM_400000_NS6detail17trampoline_kernelINS0_14default_configENS1_27scan_by_key_config_selectorIifEEZZNS1_16scan_by_key_implILNS1_25lookback_scan_determinismE0ELb0ES3_N6thrust23THRUST_200600_302600_NS6detail15normal_iteratorINS9_10device_ptrIiEEEENSB_INSC_IfEEEESG_fNS9_4plusIvEENS9_8equal_toIvEEfEE10hipError_tPvRmT2_T3_T4_T5_mT6_T7_P12ihipStream_tbENKUlT_T0_E_clISt17integral_constantIbLb0EES10_IbLb1EEEEDaSW_SX_EUlSW_E_NS1_11comp_targetILNS1_3genE0ELNS1_11target_archE4294967295ELNS1_3gpuE0ELNS1_3repE0EEENS1_30default_config_static_selectorELNS0_4arch9wavefront6targetE1EEEvT1_
		.amdhsa_group_segment_fixed_size 0
		.amdhsa_private_segment_fixed_size 0
		.amdhsa_kernarg_size 112
		.amdhsa_user_sgpr_count 2
		.amdhsa_user_sgpr_dispatch_ptr 0
		.amdhsa_user_sgpr_queue_ptr 0
		.amdhsa_user_sgpr_kernarg_segment_ptr 1
		.amdhsa_user_sgpr_dispatch_id 0
		.amdhsa_user_sgpr_kernarg_preload_length 0
		.amdhsa_user_sgpr_kernarg_preload_offset 0
		.amdhsa_user_sgpr_private_segment_size 0
		.amdhsa_uses_dynamic_stack 0
		.amdhsa_enable_private_segment 0
		.amdhsa_system_sgpr_workgroup_id_x 1
		.amdhsa_system_sgpr_workgroup_id_y 0
		.amdhsa_system_sgpr_workgroup_id_z 0
		.amdhsa_system_sgpr_workgroup_info 0
		.amdhsa_system_vgpr_workitem_id 0
		.amdhsa_next_free_vgpr 1
		.amdhsa_next_free_sgpr 0
		.amdhsa_accum_offset 4
		.amdhsa_reserve_vcc 0
		.amdhsa_float_round_mode_32 0
		.amdhsa_float_round_mode_16_64 0
		.amdhsa_float_denorm_mode_32 3
		.amdhsa_float_denorm_mode_16_64 3
		.amdhsa_dx10_clamp 1
		.amdhsa_ieee_mode 1
		.amdhsa_fp16_overflow 0
		.amdhsa_tg_split 0
		.amdhsa_exception_fp_ieee_invalid_op 0
		.amdhsa_exception_fp_denorm_src 0
		.amdhsa_exception_fp_ieee_div_zero 0
		.amdhsa_exception_fp_ieee_overflow 0
		.amdhsa_exception_fp_ieee_underflow 0
		.amdhsa_exception_fp_ieee_inexact 0
		.amdhsa_exception_int_div_zero 0
	.end_amdhsa_kernel
	.section	.text._ZN7rocprim17ROCPRIM_400000_NS6detail17trampoline_kernelINS0_14default_configENS1_27scan_by_key_config_selectorIifEEZZNS1_16scan_by_key_implILNS1_25lookback_scan_determinismE0ELb0ES3_N6thrust23THRUST_200600_302600_NS6detail15normal_iteratorINS9_10device_ptrIiEEEENSB_INSC_IfEEEESG_fNS9_4plusIvEENS9_8equal_toIvEEfEE10hipError_tPvRmT2_T3_T4_T5_mT6_T7_P12ihipStream_tbENKUlT_T0_E_clISt17integral_constantIbLb0EES10_IbLb1EEEEDaSW_SX_EUlSW_E_NS1_11comp_targetILNS1_3genE0ELNS1_11target_archE4294967295ELNS1_3gpuE0ELNS1_3repE0EEENS1_30default_config_static_selectorELNS0_4arch9wavefront6targetE1EEEvT1_,"axG",@progbits,_ZN7rocprim17ROCPRIM_400000_NS6detail17trampoline_kernelINS0_14default_configENS1_27scan_by_key_config_selectorIifEEZZNS1_16scan_by_key_implILNS1_25lookback_scan_determinismE0ELb0ES3_N6thrust23THRUST_200600_302600_NS6detail15normal_iteratorINS9_10device_ptrIiEEEENSB_INSC_IfEEEESG_fNS9_4plusIvEENS9_8equal_toIvEEfEE10hipError_tPvRmT2_T3_T4_T5_mT6_T7_P12ihipStream_tbENKUlT_T0_E_clISt17integral_constantIbLb0EES10_IbLb1EEEEDaSW_SX_EUlSW_E_NS1_11comp_targetILNS1_3genE0ELNS1_11target_archE4294967295ELNS1_3gpuE0ELNS1_3repE0EEENS1_30default_config_static_selectorELNS0_4arch9wavefront6targetE1EEEvT1_,comdat
.Lfunc_end1163:
	.size	_ZN7rocprim17ROCPRIM_400000_NS6detail17trampoline_kernelINS0_14default_configENS1_27scan_by_key_config_selectorIifEEZZNS1_16scan_by_key_implILNS1_25lookback_scan_determinismE0ELb0ES3_N6thrust23THRUST_200600_302600_NS6detail15normal_iteratorINS9_10device_ptrIiEEEENSB_INSC_IfEEEESG_fNS9_4plusIvEENS9_8equal_toIvEEfEE10hipError_tPvRmT2_T3_T4_T5_mT6_T7_P12ihipStream_tbENKUlT_T0_E_clISt17integral_constantIbLb0EES10_IbLb1EEEEDaSW_SX_EUlSW_E_NS1_11comp_targetILNS1_3genE0ELNS1_11target_archE4294967295ELNS1_3gpuE0ELNS1_3repE0EEENS1_30default_config_static_selectorELNS0_4arch9wavefront6targetE1EEEvT1_, .Lfunc_end1163-_ZN7rocprim17ROCPRIM_400000_NS6detail17trampoline_kernelINS0_14default_configENS1_27scan_by_key_config_selectorIifEEZZNS1_16scan_by_key_implILNS1_25lookback_scan_determinismE0ELb0ES3_N6thrust23THRUST_200600_302600_NS6detail15normal_iteratorINS9_10device_ptrIiEEEENSB_INSC_IfEEEESG_fNS9_4plusIvEENS9_8equal_toIvEEfEE10hipError_tPvRmT2_T3_T4_T5_mT6_T7_P12ihipStream_tbENKUlT_T0_E_clISt17integral_constantIbLb0EES10_IbLb1EEEEDaSW_SX_EUlSW_E_NS1_11comp_targetILNS1_3genE0ELNS1_11target_archE4294967295ELNS1_3gpuE0ELNS1_3repE0EEENS1_30default_config_static_selectorELNS0_4arch9wavefront6targetE1EEEvT1_
                                        ; -- End function
	.section	.AMDGPU.csdata,"",@progbits
; Kernel info:
; codeLenInByte = 0
; NumSgprs: 6
; NumVgprs: 0
; NumAgprs: 0
; TotalNumVgprs: 0
; ScratchSize: 0
; MemoryBound: 0
; FloatMode: 240
; IeeeMode: 1
; LDSByteSize: 0 bytes/workgroup (compile time only)
; SGPRBlocks: 0
; VGPRBlocks: 0
; NumSGPRsForWavesPerEU: 6
; NumVGPRsForWavesPerEU: 1
; AccumOffset: 4
; Occupancy: 8
; WaveLimiterHint : 0
; COMPUTE_PGM_RSRC2:SCRATCH_EN: 0
; COMPUTE_PGM_RSRC2:USER_SGPR: 2
; COMPUTE_PGM_RSRC2:TRAP_HANDLER: 0
; COMPUTE_PGM_RSRC2:TGID_X_EN: 1
; COMPUTE_PGM_RSRC2:TGID_Y_EN: 0
; COMPUTE_PGM_RSRC2:TGID_Z_EN: 0
; COMPUTE_PGM_RSRC2:TIDIG_COMP_CNT: 0
; COMPUTE_PGM_RSRC3_GFX90A:ACCUM_OFFSET: 0
; COMPUTE_PGM_RSRC3_GFX90A:TG_SPLIT: 0
	.section	.text._ZN7rocprim17ROCPRIM_400000_NS6detail17trampoline_kernelINS0_14default_configENS1_27scan_by_key_config_selectorIifEEZZNS1_16scan_by_key_implILNS1_25lookback_scan_determinismE0ELb0ES3_N6thrust23THRUST_200600_302600_NS6detail15normal_iteratorINS9_10device_ptrIiEEEENSB_INSC_IfEEEESG_fNS9_4plusIvEENS9_8equal_toIvEEfEE10hipError_tPvRmT2_T3_T4_T5_mT6_T7_P12ihipStream_tbENKUlT_T0_E_clISt17integral_constantIbLb0EES10_IbLb1EEEEDaSW_SX_EUlSW_E_NS1_11comp_targetILNS1_3genE10ELNS1_11target_archE1201ELNS1_3gpuE5ELNS1_3repE0EEENS1_30default_config_static_selectorELNS0_4arch9wavefront6targetE1EEEvT1_,"axG",@progbits,_ZN7rocprim17ROCPRIM_400000_NS6detail17trampoline_kernelINS0_14default_configENS1_27scan_by_key_config_selectorIifEEZZNS1_16scan_by_key_implILNS1_25lookback_scan_determinismE0ELb0ES3_N6thrust23THRUST_200600_302600_NS6detail15normal_iteratorINS9_10device_ptrIiEEEENSB_INSC_IfEEEESG_fNS9_4plusIvEENS9_8equal_toIvEEfEE10hipError_tPvRmT2_T3_T4_T5_mT6_T7_P12ihipStream_tbENKUlT_T0_E_clISt17integral_constantIbLb0EES10_IbLb1EEEEDaSW_SX_EUlSW_E_NS1_11comp_targetILNS1_3genE10ELNS1_11target_archE1201ELNS1_3gpuE5ELNS1_3repE0EEENS1_30default_config_static_selectorELNS0_4arch9wavefront6targetE1EEEvT1_,comdat
	.protected	_ZN7rocprim17ROCPRIM_400000_NS6detail17trampoline_kernelINS0_14default_configENS1_27scan_by_key_config_selectorIifEEZZNS1_16scan_by_key_implILNS1_25lookback_scan_determinismE0ELb0ES3_N6thrust23THRUST_200600_302600_NS6detail15normal_iteratorINS9_10device_ptrIiEEEENSB_INSC_IfEEEESG_fNS9_4plusIvEENS9_8equal_toIvEEfEE10hipError_tPvRmT2_T3_T4_T5_mT6_T7_P12ihipStream_tbENKUlT_T0_E_clISt17integral_constantIbLb0EES10_IbLb1EEEEDaSW_SX_EUlSW_E_NS1_11comp_targetILNS1_3genE10ELNS1_11target_archE1201ELNS1_3gpuE5ELNS1_3repE0EEENS1_30default_config_static_selectorELNS0_4arch9wavefront6targetE1EEEvT1_ ; -- Begin function _ZN7rocprim17ROCPRIM_400000_NS6detail17trampoline_kernelINS0_14default_configENS1_27scan_by_key_config_selectorIifEEZZNS1_16scan_by_key_implILNS1_25lookback_scan_determinismE0ELb0ES3_N6thrust23THRUST_200600_302600_NS6detail15normal_iteratorINS9_10device_ptrIiEEEENSB_INSC_IfEEEESG_fNS9_4plusIvEENS9_8equal_toIvEEfEE10hipError_tPvRmT2_T3_T4_T5_mT6_T7_P12ihipStream_tbENKUlT_T0_E_clISt17integral_constantIbLb0EES10_IbLb1EEEEDaSW_SX_EUlSW_E_NS1_11comp_targetILNS1_3genE10ELNS1_11target_archE1201ELNS1_3gpuE5ELNS1_3repE0EEENS1_30default_config_static_selectorELNS0_4arch9wavefront6targetE1EEEvT1_
	.globl	_ZN7rocprim17ROCPRIM_400000_NS6detail17trampoline_kernelINS0_14default_configENS1_27scan_by_key_config_selectorIifEEZZNS1_16scan_by_key_implILNS1_25lookback_scan_determinismE0ELb0ES3_N6thrust23THRUST_200600_302600_NS6detail15normal_iteratorINS9_10device_ptrIiEEEENSB_INSC_IfEEEESG_fNS9_4plusIvEENS9_8equal_toIvEEfEE10hipError_tPvRmT2_T3_T4_T5_mT6_T7_P12ihipStream_tbENKUlT_T0_E_clISt17integral_constantIbLb0EES10_IbLb1EEEEDaSW_SX_EUlSW_E_NS1_11comp_targetILNS1_3genE10ELNS1_11target_archE1201ELNS1_3gpuE5ELNS1_3repE0EEENS1_30default_config_static_selectorELNS0_4arch9wavefront6targetE1EEEvT1_
	.p2align	8
	.type	_ZN7rocprim17ROCPRIM_400000_NS6detail17trampoline_kernelINS0_14default_configENS1_27scan_by_key_config_selectorIifEEZZNS1_16scan_by_key_implILNS1_25lookback_scan_determinismE0ELb0ES3_N6thrust23THRUST_200600_302600_NS6detail15normal_iteratorINS9_10device_ptrIiEEEENSB_INSC_IfEEEESG_fNS9_4plusIvEENS9_8equal_toIvEEfEE10hipError_tPvRmT2_T3_T4_T5_mT6_T7_P12ihipStream_tbENKUlT_T0_E_clISt17integral_constantIbLb0EES10_IbLb1EEEEDaSW_SX_EUlSW_E_NS1_11comp_targetILNS1_3genE10ELNS1_11target_archE1201ELNS1_3gpuE5ELNS1_3repE0EEENS1_30default_config_static_selectorELNS0_4arch9wavefront6targetE1EEEvT1_,@function
_ZN7rocprim17ROCPRIM_400000_NS6detail17trampoline_kernelINS0_14default_configENS1_27scan_by_key_config_selectorIifEEZZNS1_16scan_by_key_implILNS1_25lookback_scan_determinismE0ELb0ES3_N6thrust23THRUST_200600_302600_NS6detail15normal_iteratorINS9_10device_ptrIiEEEENSB_INSC_IfEEEESG_fNS9_4plusIvEENS9_8equal_toIvEEfEE10hipError_tPvRmT2_T3_T4_T5_mT6_T7_P12ihipStream_tbENKUlT_T0_E_clISt17integral_constantIbLb0EES10_IbLb1EEEEDaSW_SX_EUlSW_E_NS1_11comp_targetILNS1_3genE10ELNS1_11target_archE1201ELNS1_3gpuE5ELNS1_3repE0EEENS1_30default_config_static_selectorELNS0_4arch9wavefront6targetE1EEEvT1_: ; @_ZN7rocprim17ROCPRIM_400000_NS6detail17trampoline_kernelINS0_14default_configENS1_27scan_by_key_config_selectorIifEEZZNS1_16scan_by_key_implILNS1_25lookback_scan_determinismE0ELb0ES3_N6thrust23THRUST_200600_302600_NS6detail15normal_iteratorINS9_10device_ptrIiEEEENSB_INSC_IfEEEESG_fNS9_4plusIvEENS9_8equal_toIvEEfEE10hipError_tPvRmT2_T3_T4_T5_mT6_T7_P12ihipStream_tbENKUlT_T0_E_clISt17integral_constantIbLb0EES10_IbLb1EEEEDaSW_SX_EUlSW_E_NS1_11comp_targetILNS1_3genE10ELNS1_11target_archE1201ELNS1_3gpuE5ELNS1_3repE0EEENS1_30default_config_static_selectorELNS0_4arch9wavefront6targetE1EEEvT1_
; %bb.0:
	.section	.rodata,"a",@progbits
	.p2align	6, 0x0
	.amdhsa_kernel _ZN7rocprim17ROCPRIM_400000_NS6detail17trampoline_kernelINS0_14default_configENS1_27scan_by_key_config_selectorIifEEZZNS1_16scan_by_key_implILNS1_25lookback_scan_determinismE0ELb0ES3_N6thrust23THRUST_200600_302600_NS6detail15normal_iteratorINS9_10device_ptrIiEEEENSB_INSC_IfEEEESG_fNS9_4plusIvEENS9_8equal_toIvEEfEE10hipError_tPvRmT2_T3_T4_T5_mT6_T7_P12ihipStream_tbENKUlT_T0_E_clISt17integral_constantIbLb0EES10_IbLb1EEEEDaSW_SX_EUlSW_E_NS1_11comp_targetILNS1_3genE10ELNS1_11target_archE1201ELNS1_3gpuE5ELNS1_3repE0EEENS1_30default_config_static_selectorELNS0_4arch9wavefront6targetE1EEEvT1_
		.amdhsa_group_segment_fixed_size 0
		.amdhsa_private_segment_fixed_size 0
		.amdhsa_kernarg_size 112
		.amdhsa_user_sgpr_count 2
		.amdhsa_user_sgpr_dispatch_ptr 0
		.amdhsa_user_sgpr_queue_ptr 0
		.amdhsa_user_sgpr_kernarg_segment_ptr 1
		.amdhsa_user_sgpr_dispatch_id 0
		.amdhsa_user_sgpr_kernarg_preload_length 0
		.amdhsa_user_sgpr_kernarg_preload_offset 0
		.amdhsa_user_sgpr_private_segment_size 0
		.amdhsa_uses_dynamic_stack 0
		.amdhsa_enable_private_segment 0
		.amdhsa_system_sgpr_workgroup_id_x 1
		.amdhsa_system_sgpr_workgroup_id_y 0
		.amdhsa_system_sgpr_workgroup_id_z 0
		.amdhsa_system_sgpr_workgroup_info 0
		.amdhsa_system_vgpr_workitem_id 0
		.amdhsa_next_free_vgpr 1
		.amdhsa_next_free_sgpr 0
		.amdhsa_accum_offset 4
		.amdhsa_reserve_vcc 0
		.amdhsa_float_round_mode_32 0
		.amdhsa_float_round_mode_16_64 0
		.amdhsa_float_denorm_mode_32 3
		.amdhsa_float_denorm_mode_16_64 3
		.amdhsa_dx10_clamp 1
		.amdhsa_ieee_mode 1
		.amdhsa_fp16_overflow 0
		.amdhsa_tg_split 0
		.amdhsa_exception_fp_ieee_invalid_op 0
		.amdhsa_exception_fp_denorm_src 0
		.amdhsa_exception_fp_ieee_div_zero 0
		.amdhsa_exception_fp_ieee_overflow 0
		.amdhsa_exception_fp_ieee_underflow 0
		.amdhsa_exception_fp_ieee_inexact 0
		.amdhsa_exception_int_div_zero 0
	.end_amdhsa_kernel
	.section	.text._ZN7rocprim17ROCPRIM_400000_NS6detail17trampoline_kernelINS0_14default_configENS1_27scan_by_key_config_selectorIifEEZZNS1_16scan_by_key_implILNS1_25lookback_scan_determinismE0ELb0ES3_N6thrust23THRUST_200600_302600_NS6detail15normal_iteratorINS9_10device_ptrIiEEEENSB_INSC_IfEEEESG_fNS9_4plusIvEENS9_8equal_toIvEEfEE10hipError_tPvRmT2_T3_T4_T5_mT6_T7_P12ihipStream_tbENKUlT_T0_E_clISt17integral_constantIbLb0EES10_IbLb1EEEEDaSW_SX_EUlSW_E_NS1_11comp_targetILNS1_3genE10ELNS1_11target_archE1201ELNS1_3gpuE5ELNS1_3repE0EEENS1_30default_config_static_selectorELNS0_4arch9wavefront6targetE1EEEvT1_,"axG",@progbits,_ZN7rocprim17ROCPRIM_400000_NS6detail17trampoline_kernelINS0_14default_configENS1_27scan_by_key_config_selectorIifEEZZNS1_16scan_by_key_implILNS1_25lookback_scan_determinismE0ELb0ES3_N6thrust23THRUST_200600_302600_NS6detail15normal_iteratorINS9_10device_ptrIiEEEENSB_INSC_IfEEEESG_fNS9_4plusIvEENS9_8equal_toIvEEfEE10hipError_tPvRmT2_T3_T4_T5_mT6_T7_P12ihipStream_tbENKUlT_T0_E_clISt17integral_constantIbLb0EES10_IbLb1EEEEDaSW_SX_EUlSW_E_NS1_11comp_targetILNS1_3genE10ELNS1_11target_archE1201ELNS1_3gpuE5ELNS1_3repE0EEENS1_30default_config_static_selectorELNS0_4arch9wavefront6targetE1EEEvT1_,comdat
.Lfunc_end1164:
	.size	_ZN7rocprim17ROCPRIM_400000_NS6detail17trampoline_kernelINS0_14default_configENS1_27scan_by_key_config_selectorIifEEZZNS1_16scan_by_key_implILNS1_25lookback_scan_determinismE0ELb0ES3_N6thrust23THRUST_200600_302600_NS6detail15normal_iteratorINS9_10device_ptrIiEEEENSB_INSC_IfEEEESG_fNS9_4plusIvEENS9_8equal_toIvEEfEE10hipError_tPvRmT2_T3_T4_T5_mT6_T7_P12ihipStream_tbENKUlT_T0_E_clISt17integral_constantIbLb0EES10_IbLb1EEEEDaSW_SX_EUlSW_E_NS1_11comp_targetILNS1_3genE10ELNS1_11target_archE1201ELNS1_3gpuE5ELNS1_3repE0EEENS1_30default_config_static_selectorELNS0_4arch9wavefront6targetE1EEEvT1_, .Lfunc_end1164-_ZN7rocprim17ROCPRIM_400000_NS6detail17trampoline_kernelINS0_14default_configENS1_27scan_by_key_config_selectorIifEEZZNS1_16scan_by_key_implILNS1_25lookback_scan_determinismE0ELb0ES3_N6thrust23THRUST_200600_302600_NS6detail15normal_iteratorINS9_10device_ptrIiEEEENSB_INSC_IfEEEESG_fNS9_4plusIvEENS9_8equal_toIvEEfEE10hipError_tPvRmT2_T3_T4_T5_mT6_T7_P12ihipStream_tbENKUlT_T0_E_clISt17integral_constantIbLb0EES10_IbLb1EEEEDaSW_SX_EUlSW_E_NS1_11comp_targetILNS1_3genE10ELNS1_11target_archE1201ELNS1_3gpuE5ELNS1_3repE0EEENS1_30default_config_static_selectorELNS0_4arch9wavefront6targetE1EEEvT1_
                                        ; -- End function
	.section	.AMDGPU.csdata,"",@progbits
; Kernel info:
; codeLenInByte = 0
; NumSgprs: 6
; NumVgprs: 0
; NumAgprs: 0
; TotalNumVgprs: 0
; ScratchSize: 0
; MemoryBound: 0
; FloatMode: 240
; IeeeMode: 1
; LDSByteSize: 0 bytes/workgroup (compile time only)
; SGPRBlocks: 0
; VGPRBlocks: 0
; NumSGPRsForWavesPerEU: 6
; NumVGPRsForWavesPerEU: 1
; AccumOffset: 4
; Occupancy: 8
; WaveLimiterHint : 0
; COMPUTE_PGM_RSRC2:SCRATCH_EN: 0
; COMPUTE_PGM_RSRC2:USER_SGPR: 2
; COMPUTE_PGM_RSRC2:TRAP_HANDLER: 0
; COMPUTE_PGM_RSRC2:TGID_X_EN: 1
; COMPUTE_PGM_RSRC2:TGID_Y_EN: 0
; COMPUTE_PGM_RSRC2:TGID_Z_EN: 0
; COMPUTE_PGM_RSRC2:TIDIG_COMP_CNT: 0
; COMPUTE_PGM_RSRC3_GFX90A:ACCUM_OFFSET: 0
; COMPUTE_PGM_RSRC3_GFX90A:TG_SPLIT: 0
	.section	.text._ZN7rocprim17ROCPRIM_400000_NS6detail17trampoline_kernelINS0_14default_configENS1_27scan_by_key_config_selectorIifEEZZNS1_16scan_by_key_implILNS1_25lookback_scan_determinismE0ELb0ES3_N6thrust23THRUST_200600_302600_NS6detail15normal_iteratorINS9_10device_ptrIiEEEENSB_INSC_IfEEEESG_fNS9_4plusIvEENS9_8equal_toIvEEfEE10hipError_tPvRmT2_T3_T4_T5_mT6_T7_P12ihipStream_tbENKUlT_T0_E_clISt17integral_constantIbLb0EES10_IbLb1EEEEDaSW_SX_EUlSW_E_NS1_11comp_targetILNS1_3genE5ELNS1_11target_archE942ELNS1_3gpuE9ELNS1_3repE0EEENS1_30default_config_static_selectorELNS0_4arch9wavefront6targetE1EEEvT1_,"axG",@progbits,_ZN7rocprim17ROCPRIM_400000_NS6detail17trampoline_kernelINS0_14default_configENS1_27scan_by_key_config_selectorIifEEZZNS1_16scan_by_key_implILNS1_25lookback_scan_determinismE0ELb0ES3_N6thrust23THRUST_200600_302600_NS6detail15normal_iteratorINS9_10device_ptrIiEEEENSB_INSC_IfEEEESG_fNS9_4plusIvEENS9_8equal_toIvEEfEE10hipError_tPvRmT2_T3_T4_T5_mT6_T7_P12ihipStream_tbENKUlT_T0_E_clISt17integral_constantIbLb0EES10_IbLb1EEEEDaSW_SX_EUlSW_E_NS1_11comp_targetILNS1_3genE5ELNS1_11target_archE942ELNS1_3gpuE9ELNS1_3repE0EEENS1_30default_config_static_selectorELNS0_4arch9wavefront6targetE1EEEvT1_,comdat
	.protected	_ZN7rocprim17ROCPRIM_400000_NS6detail17trampoline_kernelINS0_14default_configENS1_27scan_by_key_config_selectorIifEEZZNS1_16scan_by_key_implILNS1_25lookback_scan_determinismE0ELb0ES3_N6thrust23THRUST_200600_302600_NS6detail15normal_iteratorINS9_10device_ptrIiEEEENSB_INSC_IfEEEESG_fNS9_4plusIvEENS9_8equal_toIvEEfEE10hipError_tPvRmT2_T3_T4_T5_mT6_T7_P12ihipStream_tbENKUlT_T0_E_clISt17integral_constantIbLb0EES10_IbLb1EEEEDaSW_SX_EUlSW_E_NS1_11comp_targetILNS1_3genE5ELNS1_11target_archE942ELNS1_3gpuE9ELNS1_3repE0EEENS1_30default_config_static_selectorELNS0_4arch9wavefront6targetE1EEEvT1_ ; -- Begin function _ZN7rocprim17ROCPRIM_400000_NS6detail17trampoline_kernelINS0_14default_configENS1_27scan_by_key_config_selectorIifEEZZNS1_16scan_by_key_implILNS1_25lookback_scan_determinismE0ELb0ES3_N6thrust23THRUST_200600_302600_NS6detail15normal_iteratorINS9_10device_ptrIiEEEENSB_INSC_IfEEEESG_fNS9_4plusIvEENS9_8equal_toIvEEfEE10hipError_tPvRmT2_T3_T4_T5_mT6_T7_P12ihipStream_tbENKUlT_T0_E_clISt17integral_constantIbLb0EES10_IbLb1EEEEDaSW_SX_EUlSW_E_NS1_11comp_targetILNS1_3genE5ELNS1_11target_archE942ELNS1_3gpuE9ELNS1_3repE0EEENS1_30default_config_static_selectorELNS0_4arch9wavefront6targetE1EEEvT1_
	.globl	_ZN7rocprim17ROCPRIM_400000_NS6detail17trampoline_kernelINS0_14default_configENS1_27scan_by_key_config_selectorIifEEZZNS1_16scan_by_key_implILNS1_25lookback_scan_determinismE0ELb0ES3_N6thrust23THRUST_200600_302600_NS6detail15normal_iteratorINS9_10device_ptrIiEEEENSB_INSC_IfEEEESG_fNS9_4plusIvEENS9_8equal_toIvEEfEE10hipError_tPvRmT2_T3_T4_T5_mT6_T7_P12ihipStream_tbENKUlT_T0_E_clISt17integral_constantIbLb0EES10_IbLb1EEEEDaSW_SX_EUlSW_E_NS1_11comp_targetILNS1_3genE5ELNS1_11target_archE942ELNS1_3gpuE9ELNS1_3repE0EEENS1_30default_config_static_selectorELNS0_4arch9wavefront6targetE1EEEvT1_
	.p2align	8
	.type	_ZN7rocprim17ROCPRIM_400000_NS6detail17trampoline_kernelINS0_14default_configENS1_27scan_by_key_config_selectorIifEEZZNS1_16scan_by_key_implILNS1_25lookback_scan_determinismE0ELb0ES3_N6thrust23THRUST_200600_302600_NS6detail15normal_iteratorINS9_10device_ptrIiEEEENSB_INSC_IfEEEESG_fNS9_4plusIvEENS9_8equal_toIvEEfEE10hipError_tPvRmT2_T3_T4_T5_mT6_T7_P12ihipStream_tbENKUlT_T0_E_clISt17integral_constantIbLb0EES10_IbLb1EEEEDaSW_SX_EUlSW_E_NS1_11comp_targetILNS1_3genE5ELNS1_11target_archE942ELNS1_3gpuE9ELNS1_3repE0EEENS1_30default_config_static_selectorELNS0_4arch9wavefront6targetE1EEEvT1_,@function
_ZN7rocprim17ROCPRIM_400000_NS6detail17trampoline_kernelINS0_14default_configENS1_27scan_by_key_config_selectorIifEEZZNS1_16scan_by_key_implILNS1_25lookback_scan_determinismE0ELb0ES3_N6thrust23THRUST_200600_302600_NS6detail15normal_iteratorINS9_10device_ptrIiEEEENSB_INSC_IfEEEESG_fNS9_4plusIvEENS9_8equal_toIvEEfEE10hipError_tPvRmT2_T3_T4_T5_mT6_T7_P12ihipStream_tbENKUlT_T0_E_clISt17integral_constantIbLb0EES10_IbLb1EEEEDaSW_SX_EUlSW_E_NS1_11comp_targetILNS1_3genE5ELNS1_11target_archE942ELNS1_3gpuE9ELNS1_3repE0EEENS1_30default_config_static_selectorELNS0_4arch9wavefront6targetE1EEEvT1_: ; @_ZN7rocprim17ROCPRIM_400000_NS6detail17trampoline_kernelINS0_14default_configENS1_27scan_by_key_config_selectorIifEEZZNS1_16scan_by_key_implILNS1_25lookback_scan_determinismE0ELb0ES3_N6thrust23THRUST_200600_302600_NS6detail15normal_iteratorINS9_10device_ptrIiEEEENSB_INSC_IfEEEESG_fNS9_4plusIvEENS9_8equal_toIvEEfEE10hipError_tPvRmT2_T3_T4_T5_mT6_T7_P12ihipStream_tbENKUlT_T0_E_clISt17integral_constantIbLb0EES10_IbLb1EEEEDaSW_SX_EUlSW_E_NS1_11comp_targetILNS1_3genE5ELNS1_11target_archE942ELNS1_3gpuE9ELNS1_3repE0EEENS1_30default_config_static_selectorELNS0_4arch9wavefront6targetE1EEEvT1_
; %bb.0:
	s_load_dwordx4 s[72:75], s[0:1], 0x28
	s_load_dwordx2 s[76:77], s[0:1], 0x38
	v_cmp_ne_u32_e64 s[4:5], 0, v0
	v_cmp_eq_u32_e64 s[54:55], 0, v0
	s_and_saveexec_b64 s[2:3], s[54:55]
	s_cbranch_execz .LBB1165_4
; %bb.1:
	s_mov_b64 s[8:9], exec
	v_mbcnt_lo_u32_b32 v1, s8, 0
	v_mbcnt_hi_u32_b32 v1, s9, v1
	v_cmp_eq_u32_e32 vcc, 0, v1
                                        ; implicit-def: $vgpr2
	s_and_saveexec_b64 s[6:7], vcc
	s_cbranch_execz .LBB1165_3
; %bb.2:
	s_load_dwordx2 s[10:11], s[0:1], 0x68
	s_bcnt1_i32_b64 s8, s[8:9]
	v_mov_b32_e32 v2, 0
	v_mov_b32_e32 v3, s8
	s_waitcnt lgkmcnt(0)
	global_atomic_add v2, v2, v3, s[10:11] sc0
.LBB1165_3:
	s_or_b64 exec, exec, s[6:7]
	s_waitcnt vmcnt(0)
	v_readfirstlane_b32 s6, v2
	v_mov_b32_e32 v2, 0
	s_nop 0
	v_add_u32_e32 v1, s6, v1
	ds_write_b32 v2, v1
.LBB1165_4:
	s_or_b64 exec, exec, s[2:3]
	s_load_dwordx8 s[56:63], s[0:1], 0x0
	s_load_dword s2, s[0:1], 0x40
	s_load_dwordx8 s[64:71], s[0:1], 0x48
	v_mov_b32_e32 v1, 0
	s_waitcnt lgkmcnt(0)
	s_barrier
	ds_read_b32 v1, v1
	s_lshl_b64 s[58:59], s[58:59], 2
	s_add_u32 s3, s56, s58
	s_addc_u32 s6, s57, s59
	s_add_u32 s7, s60, s58
	s_mul_i32 s0, s77, s2
	s_mul_hi_u32 s1, s76, s2
	s_addc_u32 s8, s61, s59
	s_add_i32 s9, s1, s0
	s_waitcnt lgkmcnt(0)
	v_readfirstlane_b32 s75, v1
	s_cmp_lg_u64 s[68:69], 0
	s_mov_b32 s1, 0
	s_mul_i32 s0, s75, 0x1700
	s_cselect_b64 s[78:79], -1, 0
	s_lshl_b64 s[56:57], s[0:1], 2
	s_add_u32 s68, s3, s56
	s_addc_u32 s69, s6, s57
	s_add_u32 s60, s7, s56
	s_mul_i32 s2, s76, s2
	s_addc_u32 s61, s8, s57
	s_add_u32 s80, s2, s75
	s_addc_u32 s81, s9, 0
	s_add_u32 s0, s64, -1
	s_addc_u32 s1, s65, -1
	v_mov_b64_e32 v[2:3], s[0:1]
	v_cmp_ge_u64_e64 s[2:3], s[80:81], v[2:3]
	s_mov_b64 s[12:13], 0
	s_mov_b64 s[8:9], -1
	s_and_b64 vcc, exec, s[2:3]
	s_mul_i32 s33, s0, 0xffffe900
	s_barrier
	s_barrier
	s_cbranch_vccz .LBB1165_126
; %bb.5:
	v_mov_b64_e32 v[2:3], s[68:69]
	flat_load_dword v1, v[2:3]
	s_add_i32 s86, s33, s74
	v_cmp_gt_u32_e64 s[6:7], s86, v0
	s_waitcnt vmcnt(0) lgkmcnt(0)
	v_mov_b32_e32 v39, v1
	s_and_saveexec_b64 s[0:1], s[6:7]
	s_cbranch_execz .LBB1165_7
; %bb.6:
	v_lshlrev_b32_e32 v2, 2, v0
	v_mov_b32_e32 v3, 0
	v_lshl_add_u64 v[2:3], s[68:69], 0, v[2:3]
	flat_load_dword v39, v[2:3]
.LBB1165_7:
	s_or_b64 exec, exec, s[0:1]
	v_or_b32_e32 v2, 0x100, v0
	v_cmp_gt_u32_e64 s[8:9], s86, v2
	v_mov_b32_e32 v40, v1
	s_and_saveexec_b64 s[0:1], s[8:9]
	s_cbranch_execz .LBB1165_9
; %bb.8:
	v_lshlrev_b32_e32 v2, 2, v0
	v_mov_b32_e32 v3, 0
	v_lshl_add_u64 v[2:3], s[68:69], 0, v[2:3]
	flat_load_dword v40, v[2:3] offset:1024
.LBB1165_9:
	s_or_b64 exec, exec, s[0:1]
	v_or_b32_e32 v2, 0x200, v0
	v_cmp_gt_u32_e64 s[10:11], s86, v2
	v_mov_b32_e32 v41, v1
	s_and_saveexec_b64 s[0:1], s[10:11]
	s_cbranch_execz .LBB1165_11
; %bb.10:
	v_lshlrev_b32_e32 v2, 2, v0
	v_mov_b32_e32 v3, 0
	v_lshl_add_u64 v[2:3], s[68:69], 0, v[2:3]
	flat_load_dword v41, v[2:3] offset:2048
.LBB1165_11:
	;; [unrolled: 12-line block ×3, first 2 shown]
	s_or_b64 exec, exec, s[0:1]
	v_or_b32_e32 v2, 0x400, v0
	v_cmp_gt_u32_e64 s[14:15], s86, v2
	v_lshlrev_b32_e32 v2, 2, v2
	v_mov_b32_e32 v3, v1
	s_and_saveexec_b64 s[0:1], s[14:15]
	s_cbranch_execz .LBB1165_15
; %bb.14:
	v_mov_b32_e32 v3, 0
	v_lshl_add_u64 v[4:5], s[68:69], 0, v[2:3]
	flat_load_dword v3, v[4:5]
.LBB1165_15:
	s_or_b64 exec, exec, s[0:1]
	v_or_b32_e32 v4, 0x500, v0
	v_cmp_gt_u32_e64 s[16:17], s86, v4
	v_lshlrev_b32_e32 v4, 2, v4
	v_mov_b32_e32 v5, v1
	s_and_saveexec_b64 s[0:1], s[16:17]
	s_cbranch_execz .LBB1165_17
; %bb.16:
	v_mov_b32_e32 v5, 0
	v_lshl_add_u64 v[6:7], s[68:69], 0, v[4:5]
	flat_load_dword v5, v[6:7]
.LBB1165_17:
	;; [unrolled: 12-line block ×18, first 2 shown]
	s_or_b64 exec, exec, s[0:1]
	v_or_b32_e32 v38, 0x1600, v0
	v_cmp_gt_u32_e64 s[52:53], s86, v38
	v_lshlrev_b32_e32 v42, 2, v38
	s_and_saveexec_b64 s[0:1], s[52:53]
	s_cbranch_execz .LBB1165_51
; %bb.50:
	v_mov_b32_e32 v43, 0
	v_lshl_add_u64 v[46:47], s[68:69], 0, v[42:43]
	flat_load_dword v1, v[46:47]
.LBB1165_51:
	s_or_b64 exec, exec, s[0:1]
	v_lshlrev_b32_e32 v38, 2, v0
	s_movk_i32 s0, 0x58
	v_mad_u32_u24 v88, v0, s0, v38
	s_waitcnt vmcnt(0) lgkmcnt(0)
	ds_write2st64_b32 v38, v39, v40 offset1:4
	ds_write2st64_b32 v38, v41, v44 offset0:8 offset1:12
	ds_write2st64_b32 v38, v3, v5 offset0:16 offset1:20
	;; [unrolled: 1-line block ×10, first 2 shown]
	ds_write_b32 v38, v1 offset:22528
	s_waitcnt lgkmcnt(0)
	s_barrier
	ds_read2_b32 v[64:65], v88 offset1:1
	ds_read2_b32 v[62:63], v88 offset0:2 offset1:3
	ds_read2_b32 v[60:61], v88 offset0:4 offset1:5
	;; [unrolled: 1-line block ×10, first 2 shown]
	ds_read_b32 v89, v88 offset:88
	s_cmp_eq_u64 s[80:81], 0
	s_mov_b64 s[0:1], s[68:69]
	s_cbranch_scc1 .LBB1165_55
; %bb.52:
	s_andn2_b64 vcc, exec, s[78:79]
	s_cbranch_vccnz .LBB1165_293
; %bb.53:
	s_lshl_b64 s[0:1], s[80:81], 2
	s_add_u32 s0, s70, s0
	s_addc_u32 s1, s71, s1
	s_add_u32 s0, s0, -4
	s_addc_u32 s1, s1, -1
	s_cbranch_execnz .LBB1165_55
.LBB1165_54:
	s_add_u32 s0, s68, -4
	s_addc_u32 s1, s69, -1
.LBB1165_55:
	v_mov_b64_e32 v[44:45], s[0:1]
	flat_load_dword v91, v[44:45]
	s_movk_i32 s0, 0xffa8
	v_mad_i32_i24 v1, v0, s0, v88
	s_waitcnt lgkmcnt(0)
	ds_write_b32 v1, v89 offset:23552
	s_waitcnt lgkmcnt(0)
	s_barrier
	s_and_saveexec_b64 s[0:1], s[4:5]
	s_cbranch_execz .LBB1165_57
; %bb.56:
	v_mul_i32_i24_e32 v1, 0xffffffa8, v0
	v_add_u32_e32 v1, v88, v1
	s_waitcnt vmcnt(0)
	ds_read_b32 v91, v1 offset:23548
.LBB1165_57:
	s_or_b64 exec, exec, s[0:1]
	v_mov_b32_e32 v39, 0
	s_waitcnt lgkmcnt(0)
	s_barrier
	s_waitcnt lgkmcnt(0)
                                        ; implicit-def: $vgpr1
	s_and_saveexec_b64 s[0:1], s[6:7]
	s_cbranch_execnz .LBB1165_269
; %bb.58:
	s_or_b64 exec, exec, s[0:1]
                                        ; implicit-def: $vgpr44
	s_and_saveexec_b64 s[0:1], s[8:9]
	s_cbranch_execnz .LBB1165_270
.LBB1165_59:
	s_or_b64 exec, exec, s[0:1]
                                        ; implicit-def: $vgpr45
	s_and_saveexec_b64 s[0:1], s[10:11]
	s_cbranch_execnz .LBB1165_271
.LBB1165_60:
	s_or_b64 exec, exec, s[0:1]
                                        ; implicit-def: $vgpr39
	s_and_saveexec_b64 s[0:1], s[12:13]
	s_cbranch_execnz .LBB1165_272
.LBB1165_61:
	s_or_b64 exec, exec, s[0:1]
                                        ; implicit-def: $vgpr3
	s_and_saveexec_b64 s[0:1], s[14:15]
	s_cbranch_execnz .LBB1165_273
.LBB1165_62:
	s_or_b64 exec, exec, s[0:1]
                                        ; implicit-def: $vgpr2
	s_and_saveexec_b64 s[0:1], s[16:17]
	s_cbranch_execnz .LBB1165_274
.LBB1165_63:
	s_or_b64 exec, exec, s[0:1]
                                        ; implicit-def: $vgpr4
	s_and_saveexec_b64 s[0:1], s[18:19]
	s_cbranch_execnz .LBB1165_275
.LBB1165_64:
	s_or_b64 exec, exec, s[0:1]
                                        ; implicit-def: $vgpr5
	s_and_saveexec_b64 s[0:1], s[20:21]
	s_cbranch_execnz .LBB1165_276
.LBB1165_65:
	s_or_b64 exec, exec, s[0:1]
                                        ; implicit-def: $vgpr6
	s_and_saveexec_b64 s[0:1], s[22:23]
	s_cbranch_execnz .LBB1165_277
.LBB1165_66:
	s_or_b64 exec, exec, s[0:1]
                                        ; implicit-def: $vgpr7
	s_and_saveexec_b64 s[0:1], s[24:25]
	s_cbranch_execnz .LBB1165_278
.LBB1165_67:
	s_or_b64 exec, exec, s[0:1]
                                        ; implicit-def: $vgpr8
	s_and_saveexec_b64 s[0:1], s[26:27]
	s_cbranch_execnz .LBB1165_279
.LBB1165_68:
	s_or_b64 exec, exec, s[0:1]
                                        ; implicit-def: $vgpr9
	s_and_saveexec_b64 s[0:1], s[28:29]
	s_cbranch_execnz .LBB1165_280
.LBB1165_69:
	s_or_b64 exec, exec, s[0:1]
                                        ; implicit-def: $vgpr10
	s_and_saveexec_b64 s[0:1], s[30:31]
	s_cbranch_execnz .LBB1165_281
.LBB1165_70:
	s_or_b64 exec, exec, s[0:1]
                                        ; implicit-def: $vgpr11
	s_and_saveexec_b64 s[0:1], s[34:35]
	s_cbranch_execnz .LBB1165_282
.LBB1165_71:
	s_or_b64 exec, exec, s[0:1]
                                        ; implicit-def: $vgpr12
	s_and_saveexec_b64 s[0:1], s[36:37]
	s_cbranch_execnz .LBB1165_283
.LBB1165_72:
	s_or_b64 exec, exec, s[0:1]
                                        ; implicit-def: $vgpr13
	s_and_saveexec_b64 s[0:1], s[38:39]
	s_cbranch_execnz .LBB1165_284
.LBB1165_73:
	s_or_b64 exec, exec, s[0:1]
                                        ; implicit-def: $vgpr14
	s_and_saveexec_b64 s[0:1], s[40:41]
	s_cbranch_execnz .LBB1165_285
.LBB1165_74:
	s_or_b64 exec, exec, s[0:1]
                                        ; implicit-def: $vgpr15
	s_and_saveexec_b64 s[0:1], s[42:43]
	s_cbranch_execnz .LBB1165_286
.LBB1165_75:
	s_or_b64 exec, exec, s[0:1]
                                        ; implicit-def: $vgpr16
	s_and_saveexec_b64 s[0:1], s[44:45]
	s_cbranch_execnz .LBB1165_287
.LBB1165_76:
	s_or_b64 exec, exec, s[0:1]
                                        ; implicit-def: $vgpr17
	s_and_saveexec_b64 s[0:1], s[46:47]
	s_cbranch_execnz .LBB1165_288
.LBB1165_77:
	s_or_b64 exec, exec, s[0:1]
                                        ; implicit-def: $vgpr18
	s_and_saveexec_b64 s[0:1], s[48:49]
	s_cbranch_execnz .LBB1165_289
.LBB1165_78:
	s_or_b64 exec, exec, s[0:1]
                                        ; implicit-def: $vgpr19
	s_and_saveexec_b64 s[0:1], s[50:51]
	s_cbranch_execnz .LBB1165_290
.LBB1165_79:
	s_or_b64 exec, exec, s[0:1]
                                        ; implicit-def: $vgpr20
	s_and_saveexec_b64 s[0:1], s[52:53]
	s_cbranch_execz .LBB1165_81
.LBB1165_80:
	v_mov_b32_e32 v43, 0
	v_lshl_add_u64 v[20:21], s[60:61], 0, v[42:43]
	flat_load_dword v20, v[20:21]
.LBB1165_81:
	s_or_b64 exec, exec, s[0:1]
	s_mov_b32 s6, 0
	v_mul_u32_u24_e32 v90, 23, v0
	s_mov_b32 s7, s6
	s_waitcnt vmcnt(0) lgkmcnt(0)
	ds_write2st64_b32 v38, v1, v44 offset1:4
	ds_write2st64_b32 v38, v45, v39 offset0:8 offset1:12
	ds_write2st64_b32 v38, v3, v2 offset0:16 offset1:20
	;; [unrolled: 1-line block ×10, first 2 shown]
	ds_write_b32 v38, v20 offset:22528
	v_cmp_gt_u32_e32 vcc, s86, v90
	s_mov_b64 s[8:9], 0
	v_mov_b64_e32 v[10:11], s[6:7]
	v_mov_b32_e32 v66, 0
	v_mov_b32_e32 v12, 0
	s_mov_b64 s[12:13], 0
	v_mov_b64_e32 v[14:15], s[6:7]
	v_mov_b64_e32 v[16:17], s[6:7]
	;; [unrolled: 1-line block ×9, first 2 shown]
	v_mov_b32_e32 v75, 0
	v_mov_b32_e32 v1, 0
	v_mov_b32_e32 v87, 0
	v_mov_b32_e32 v67, 0
	v_mov_b32_e32 v86, 0
	v_mov_b32_e32 v85, 0
	v_mov_b32_e32 v68, 0
	v_mov_b32_e32 v84, 0
	v_mov_b32_e32 v83, 0
	v_mov_b32_e32 v69, 0
	v_mov_b32_e32 v82, 0
	v_mov_b32_e32 v81, 0
	v_mov_b32_e32 v70, 0
	v_mov_b32_e32 v80, 0
	v_mov_b32_e32 v79, 0
	v_mov_b32_e32 v71, 0
	v_mov_b32_e32 v78, 0
	v_mov_b32_e32 v77, 0
	v_mov_b32_e32 v72, 0
	v_mov_b32_e32 v76, 0
	v_mov_b32_e32 v74, 0
	v_mov_b32_e32 v73, 0
	s_waitcnt lgkmcnt(0)
	s_barrier
	s_waitcnt lgkmcnt(0)
                                        ; implicit-def: $sgpr0_sgpr1
                                        ; implicit-def: $vgpr30_vgpr31
                                        ; implicit-def: $vgpr28_vgpr29
                                        ; implicit-def: $vgpr26_vgpr27
                                        ; implicit-def: $vgpr24_vgpr25
                                        ; implicit-def: $vgpr22_vgpr23
                                        ; implicit-def: $vgpr20_vgpr21
                                        ; implicit-def: $vgpr8_vgpr9
                                        ; implicit-def: $vgpr6_vgpr7
                                        ; implicit-def: $vgpr4_vgpr5
                                        ; implicit-def: $vgpr2_vgpr3
	s_and_saveexec_b64 s[10:11], vcc
	s_cbranch_execz .LBB1165_125
; %bb.82:
	ds_read_b32 v1, v88
	s_mov_b32 s20, 0
	v_cmp_ne_u32_e32 vcc, v91, v64
	v_add_u32_e32 v2, 1, v90
	s_mov_b32 s21, s20
	v_cndmask_b32_e64 v66, 0, 1, vcc
	v_cmp_gt_u32_e32 vcc, s86, v2
	s_mov_b64 s[14:15], 0
	v_mov_b64_e32 v[10:11], s[20:21]
	v_mov_b32_e32 v12, 0
	v_mov_b32_e32 v75, 0
	v_mov_b64_e32 v[14:15], s[20:21]
	v_mov_b64_e32 v[16:17], s[20:21]
	v_mov_b64_e32 v[18:19], s[20:21]
	v_mov_b64_e32 v[32:33], s[20:21]
	v_mov_b64_e32 v[34:35], s[20:21]
	v_mov_b64_e32 v[36:37], s[20:21]
	v_mov_b64_e32 v[38:39], s[20:21]
	v_mov_b64_e32 v[42:43], s[20:21]
	v_mov_b64_e32 v[44:45], s[20:21]
	v_mov_b32_e32 v87, 0
	v_mov_b32_e32 v67, 0
	;; [unrolled: 1-line block ×20, first 2 shown]
                                        ; implicit-def: $sgpr0_sgpr1
                                        ; implicit-def: $vgpr30_vgpr31
                                        ; implicit-def: $vgpr28_vgpr29
                                        ; implicit-def: $vgpr26_vgpr27
                                        ; implicit-def: $vgpr24_vgpr25
                                        ; implicit-def: $vgpr22_vgpr23
                                        ; implicit-def: $vgpr20_vgpr21
                                        ; implicit-def: $vgpr8_vgpr9
                                        ; implicit-def: $vgpr6_vgpr7
                                        ; implicit-def: $vgpr4_vgpr5
                                        ; implicit-def: $vgpr2_vgpr3
	s_and_saveexec_b64 s[12:13], vcc
	s_cbranch_execz .LBB1165_124
; %bb.83:
	ds_read2_b32 v[2:3], v88 offset0:1 offset1:2
	v_cmp_ne_u32_e32 vcc, v64, v65
	v_add_u32_e32 v4, 2, v90
	v_mov_b32_e32 v45, 0
	v_cndmask_b32_e64 v67, 0, 1, vcc
	v_cmp_gt_u32_e32 vcc, s86, v4
	s_waitcnt lgkmcnt(0)
	v_mov_b32_e32 v44, v2
	s_mov_b64 s[16:17], 0
	v_mov_b64_e32 v[10:11], s[20:21]
	v_mov_b64_e32 v[14:15], s[20:21]
	;; [unrolled: 1-line block ×9, first 2 shown]
	v_mov_b32_e32 v12, v45
	v_mov_b32_e32 v75, v45
	;; [unrolled: 1-line block ×21, first 2 shown]
                                        ; implicit-def: $sgpr0_sgpr1
                                        ; implicit-def: $vgpr30_vgpr31
                                        ; implicit-def: $vgpr28_vgpr29
                                        ; implicit-def: $vgpr26_vgpr27
                                        ; implicit-def: $vgpr24_vgpr25
                                        ; implicit-def: $vgpr22_vgpr23
                                        ; implicit-def: $vgpr20_vgpr21
                                        ; implicit-def: $vgpr8_vgpr9
                                        ; implicit-def: $vgpr6_vgpr7
                                        ; implicit-def: $vgpr4_vgpr5
	s_and_saveexec_b64 s[14:15], vcc
	s_cbranch_execz .LBB1165_123
; %bb.84:
	v_cmp_ne_u32_e32 vcc, v65, v62
	v_add_u32_e32 v4, 3, v90
	s_mov_b32 s21, s20
	v_cndmask_b32_e64 v68, 0, 1, vcc
	v_cmp_gt_u32_e32 vcc, s86, v4
	s_mov_b64 s[18:19], 0
	s_mov_b32 s24, 0
	v_mov_b64_e32 v[10:11], s[20:21]
	v_mov_b32_e32 v12, 0
	v_mov_b32_e32 v75, 0
	v_mov_b64_e32 v[14:15], s[20:21]
	v_mov_b64_e32 v[16:17], s[20:21]
	;; [unrolled: 1-line block ×8, first 2 shown]
	v_mov_b32_e32 v87, 0
	v_mov_b32_e32 v86, 0
	;; [unrolled: 1-line block ×18, first 2 shown]
                                        ; implicit-def: $sgpr0_sgpr1
                                        ; implicit-def: $vgpr30_vgpr31
                                        ; implicit-def: $vgpr28_vgpr29
                                        ; implicit-def: $vgpr26_vgpr27
                                        ; implicit-def: $vgpr24_vgpr25
                                        ; implicit-def: $vgpr22_vgpr23
                                        ; implicit-def: $vgpr20_vgpr21
                                        ; implicit-def: $vgpr8_vgpr9
                                        ; implicit-def: $vgpr6_vgpr7
                                        ; implicit-def: $vgpr4_vgpr5
	s_and_saveexec_b64 s[16:17], vcc
	s_cbranch_execz .LBB1165_122
; %bb.85:
	ds_read2_b32 v[4:5], v88 offset0:3 offset1:4
	v_cmp_ne_u32_e32 vcc, v62, v63
	v_add_u32_e32 v6, 4, v90
	v_mov_b32_e32 v43, 0
	s_mov_b32 s25, s24
	v_cndmask_b32_e64 v69, 0, 1, vcc
	v_cmp_gt_u32_e32 vcc, s86, v6
	s_waitcnt lgkmcnt(0)
	v_mov_b32_e32 v42, v4
	s_mov_b64 s[20:21], 0
	v_mov_b64_e32 v[10:11], s[24:25]
	v_mov_b64_e32 v[14:15], s[24:25]
	;; [unrolled: 1-line block ×8, first 2 shown]
	v_mov_b32_e32 v12, v43
	v_mov_b32_e32 v75, v43
	;; [unrolled: 1-line block ×19, first 2 shown]
                                        ; implicit-def: $sgpr0_sgpr1
                                        ; implicit-def: $vgpr30_vgpr31
                                        ; implicit-def: $vgpr28_vgpr29
                                        ; implicit-def: $vgpr26_vgpr27
                                        ; implicit-def: $vgpr24_vgpr25
                                        ; implicit-def: $vgpr22_vgpr23
                                        ; implicit-def: $vgpr20_vgpr21
                                        ; implicit-def: $vgpr8_vgpr9
                                        ; implicit-def: $vgpr6_vgpr7
	s_and_saveexec_b64 s[18:19], vcc
	s_cbranch_execz .LBB1165_121
; %bb.86:
	v_cmp_ne_u32_e32 vcc, v63, v60
	v_add_u32_e32 v6, 5, v90
	s_mov_b64 s[22:23], 0
	v_cndmask_b32_e64 v70, 0, 1, vcc
	v_cmp_gt_u32_e32 vcc, s86, v6
	s_mov_b32 s28, 0
	v_mov_b64_e32 v[10:11], s[24:25]
	v_mov_b32_e32 v12, 0
	v_mov_b32_e32 v75, 0
	v_mov_b64_e32 v[14:15], s[24:25]
	v_mov_b64_e32 v[16:17], s[24:25]
	;; [unrolled: 1-line block ×7, first 2 shown]
	v_mov_b32_e32 v87, 0
	v_mov_b32_e32 v86, 0
	;; [unrolled: 1-line block ×16, first 2 shown]
                                        ; implicit-def: $sgpr0_sgpr1
                                        ; implicit-def: $vgpr30_vgpr31
                                        ; implicit-def: $vgpr28_vgpr29
                                        ; implicit-def: $vgpr26_vgpr27
                                        ; implicit-def: $vgpr24_vgpr25
                                        ; implicit-def: $vgpr22_vgpr23
                                        ; implicit-def: $vgpr20_vgpr21
                                        ; implicit-def: $vgpr8_vgpr9
                                        ; implicit-def: $vgpr6_vgpr7
	s_and_saveexec_b64 s[20:21], vcc
	s_cbranch_execz .LBB1165_120
; %bb.87:
	ds_read2_b32 v[6:7], v88 offset0:5 offset1:6
	v_cmp_ne_u32_e32 vcc, v60, v61
	v_add_u32_e32 v8, 6, v90
	v_mov_b32_e32 v39, 0
	s_mov_b32 s29, s28
	v_cndmask_b32_e64 v71, 0, 1, vcc
	v_cmp_gt_u32_e32 vcc, s86, v8
	s_waitcnt lgkmcnt(0)
	v_mov_b32_e32 v38, v6
	s_mov_b64 s[24:25], 0
	v_mov_b64_e32 v[10:11], s[28:29]
	v_mov_b64_e32 v[14:15], s[28:29]
	;; [unrolled: 1-line block ×7, first 2 shown]
	v_mov_b32_e32 v12, v39
	v_mov_b32_e32 v75, v39
	;; [unrolled: 1-line block ×17, first 2 shown]
                                        ; implicit-def: $sgpr0_sgpr1
                                        ; implicit-def: $vgpr30_vgpr31
                                        ; implicit-def: $vgpr28_vgpr29
                                        ; implicit-def: $vgpr26_vgpr27
                                        ; implicit-def: $vgpr24_vgpr25
                                        ; implicit-def: $vgpr22_vgpr23
                                        ; implicit-def: $vgpr20_vgpr21
                                        ; implicit-def: $vgpr8_vgpr9
	s_and_saveexec_b64 s[22:23], vcc
	s_cbranch_execz .LBB1165_119
; %bb.88:
	v_cmp_ne_u32_e32 vcc, v61, v58
	v_add_u32_e32 v8, 7, v90
	s_mov_b64 s[26:27], 0
	v_cndmask_b32_e64 v72, 0, 1, vcc
	v_cmp_gt_u32_e32 vcc, s86, v8
	s_mov_b32 s34, 0
	v_mov_b64_e32 v[10:11], s[28:29]
	v_mov_b32_e32 v12, 0
	v_mov_b32_e32 v75, 0
	v_mov_b64_e32 v[14:15], s[28:29]
	v_mov_b64_e32 v[16:17], s[28:29]
	;; [unrolled: 1-line block ×6, first 2 shown]
	v_mov_b32_e32 v87, 0
	v_mov_b32_e32 v86, 0
	;; [unrolled: 1-line block ×14, first 2 shown]
                                        ; implicit-def: $sgpr0_sgpr1
                                        ; implicit-def: $vgpr30_vgpr31
                                        ; implicit-def: $vgpr28_vgpr29
                                        ; implicit-def: $vgpr26_vgpr27
                                        ; implicit-def: $vgpr24_vgpr25
                                        ; implicit-def: $vgpr22_vgpr23
                                        ; implicit-def: $vgpr20_vgpr21
                                        ; implicit-def: $vgpr8_vgpr9
	s_and_saveexec_b64 s[24:25], vcc
	s_cbranch_execz .LBB1165_118
; %bb.89:
	ds_read2_b32 v[8:9], v88 offset0:7 offset1:8
	v_cmp_ne_u32_e32 vcc, v58, v59
	v_add_u32_e32 v10, 8, v90
	v_mov_b32_e32 v37, 0
	s_mov_b32 s35, s34
	v_cndmask_b32_e64 v73, 0, 1, vcc
	v_cmp_gt_u32_e32 vcc, s86, v10
	s_waitcnt lgkmcnt(0)
	v_mov_b32_e32 v36, v8
	s_mov_b64 s[28:29], 0
	v_mov_b64_e32 v[10:11], s[34:35]
	v_mov_b64_e32 v[14:15], s[34:35]
	;; [unrolled: 1-line block ×6, first 2 shown]
	v_mov_b32_e32 v12, v37
	v_mov_b32_e32 v75, v37
	;; [unrolled: 1-line block ×15, first 2 shown]
                                        ; implicit-def: $sgpr0_sgpr1
                                        ; implicit-def: $vgpr30_vgpr31
                                        ; implicit-def: $vgpr28_vgpr29
                                        ; implicit-def: $vgpr26_vgpr27
                                        ; implicit-def: $vgpr24_vgpr25
                                        ; implicit-def: $vgpr22_vgpr23
                                        ; implicit-def: $vgpr20_vgpr21
	s_and_saveexec_b64 s[26:27], vcc
	s_cbranch_execz .LBB1165_117
; %bb.90:
	v_cmp_ne_u32_e32 vcc, v59, v56
	v_add_u32_e32 v10, 9, v90
	s_mov_b64 s[30:31], 0
	v_cndmask_b32_e64 v74, 0, 1, vcc
	v_cmp_gt_u32_e32 vcc, s86, v10
	s_mov_b32 s38, 0
	v_mov_b64_e32 v[10:11], s[34:35]
	v_mov_b32_e32 v12, 0
	v_mov_b32_e32 v75, 0
	v_mov_b64_e32 v[14:15], s[34:35]
	v_mov_b64_e32 v[16:17], s[34:35]
	;; [unrolled: 1-line block ×5, first 2 shown]
	v_mov_b32_e32 v87, 0
	v_mov_b32_e32 v86, 0
	;; [unrolled: 1-line block ×12, first 2 shown]
                                        ; implicit-def: $sgpr0_sgpr1
                                        ; implicit-def: $vgpr30_vgpr31
                                        ; implicit-def: $vgpr28_vgpr29
                                        ; implicit-def: $vgpr26_vgpr27
                                        ; implicit-def: $vgpr24_vgpr25
                                        ; implicit-def: $vgpr22_vgpr23
                                        ; implicit-def: $vgpr20_vgpr21
	s_and_saveexec_b64 s[28:29], vcc
	s_cbranch_execz .LBB1165_116
; %bb.91:
	ds_read2_b32 v[20:21], v88 offset0:9 offset1:10
	v_cmp_ne_u32_e32 vcc, v56, v57
	v_add_u32_e32 v10, 10, v90
	v_mov_b32_e32 v35, 0
	s_mov_b32 s39, s38
	v_cndmask_b32_e64 v76, 0, 1, vcc
	v_cmp_gt_u32_e32 vcc, s86, v10
	s_waitcnt lgkmcnt(0)
	v_mov_b32_e32 v34, v20
	s_mov_b64 s[34:35], 0
	v_mov_b64_e32 v[10:11], s[38:39]
	v_mov_b64_e32 v[14:15], s[38:39]
	v_mov_b64_e32 v[16:17], s[38:39]
	v_mov_b64_e32 v[18:19], s[38:39]
	v_mov_b64_e32 v[32:33], s[38:39]
	v_mov_b32_e32 v12, v35
	v_mov_b32_e32 v75, v35
	;; [unrolled: 1-line block ×13, first 2 shown]
                                        ; implicit-def: $sgpr0_sgpr1
                                        ; implicit-def: $vgpr30_vgpr31
                                        ; implicit-def: $vgpr28_vgpr29
                                        ; implicit-def: $vgpr26_vgpr27
                                        ; implicit-def: $vgpr24_vgpr25
                                        ; implicit-def: $vgpr22_vgpr23
	s_and_saveexec_b64 s[30:31], vcc
	s_cbranch_execz .LBB1165_115
; %bb.92:
	v_cmp_ne_u32_e32 vcc, v57, v54
	v_add_u32_e32 v10, 11, v90
	s_mov_b64 s[36:37], 0
	v_cndmask_b32_e64 v77, 0, 1, vcc
	v_cmp_gt_u32_e32 vcc, s86, v10
	s_mov_b32 s42, 0
	v_mov_b64_e32 v[10:11], s[38:39]
	v_mov_b32_e32 v12, 0
	v_mov_b32_e32 v75, 0
	v_mov_b64_e32 v[14:15], s[38:39]
	v_mov_b64_e32 v[16:17], s[38:39]
	;; [unrolled: 1-line block ×4, first 2 shown]
	v_mov_b32_e32 v87, 0
	v_mov_b32_e32 v86, 0
	;; [unrolled: 1-line block ×10, first 2 shown]
                                        ; implicit-def: $sgpr0_sgpr1
                                        ; implicit-def: $vgpr30_vgpr31
                                        ; implicit-def: $vgpr28_vgpr29
                                        ; implicit-def: $vgpr26_vgpr27
                                        ; implicit-def: $vgpr24_vgpr25
                                        ; implicit-def: $vgpr22_vgpr23
	s_and_saveexec_b64 s[34:35], vcc
	s_cbranch_execz .LBB1165_114
; %bb.93:
	ds_read2_b32 v[22:23], v88 offset0:11 offset1:12
	v_cmp_ne_u32_e32 vcc, v54, v55
	v_add_u32_e32 v10, 12, v90
	v_mov_b32_e32 v33, 0
	s_mov_b32 s43, s42
	v_cndmask_b32_e64 v78, 0, 1, vcc
	v_cmp_gt_u32_e32 vcc, s86, v10
	s_waitcnt lgkmcnt(0)
	v_mov_b32_e32 v32, v22
	s_mov_b64 s[38:39], 0
	v_mov_b64_e32 v[10:11], s[42:43]
	v_mov_b64_e32 v[14:15], s[42:43]
	;; [unrolled: 1-line block ×4, first 2 shown]
	v_mov_b32_e32 v12, v33
	v_mov_b32_e32 v75, v33
	;; [unrolled: 1-line block ×11, first 2 shown]
                                        ; implicit-def: $sgpr0_sgpr1
                                        ; implicit-def: $vgpr30_vgpr31
                                        ; implicit-def: $vgpr28_vgpr29
                                        ; implicit-def: $vgpr26_vgpr27
                                        ; implicit-def: $vgpr24_vgpr25
	s_and_saveexec_b64 s[36:37], vcc
	s_cbranch_execz .LBB1165_113
; %bb.94:
	v_cmp_ne_u32_e32 vcc, v55, v52
	v_add_u32_e32 v10, 13, v90
	s_mov_b64 s[40:41], 0
	v_cndmask_b32_e64 v79, 0, 1, vcc
	v_cmp_gt_u32_e32 vcc, s86, v10
	s_mov_b32 s46, 0
	v_mov_b64_e32 v[10:11], s[42:43]
	v_mov_b32_e32 v12, 0
	v_mov_b32_e32 v75, 0
	v_mov_b64_e32 v[14:15], s[42:43]
	v_mov_b64_e32 v[16:17], s[42:43]
	;; [unrolled: 1-line block ×3, first 2 shown]
	v_mov_b32_e32 v87, 0
	v_mov_b32_e32 v86, 0
	;; [unrolled: 1-line block ×8, first 2 shown]
                                        ; implicit-def: $sgpr0_sgpr1
                                        ; implicit-def: $vgpr30_vgpr31
                                        ; implicit-def: $vgpr28_vgpr29
                                        ; implicit-def: $vgpr26_vgpr27
                                        ; implicit-def: $vgpr24_vgpr25
	s_and_saveexec_b64 s[38:39], vcc
	s_cbranch_execz .LBB1165_112
; %bb.95:
	ds_read2_b32 v[24:25], v88 offset0:13 offset1:14
	v_cmp_ne_u32_e32 vcc, v52, v53
	v_add_u32_e32 v10, 14, v90
	v_mov_b32_e32 v19, 0
	s_mov_b32 s47, s46
	v_cndmask_b32_e64 v80, 0, 1, vcc
	v_cmp_gt_u32_e32 vcc, s86, v10
	s_waitcnt lgkmcnt(0)
	v_mov_b32_e32 v18, v24
	s_mov_b64 s[42:43], 0
	v_mov_b64_e32 v[10:11], s[46:47]
	v_mov_b64_e32 v[14:15], s[46:47]
	v_mov_b64_e32 v[16:17], s[46:47]
	v_mov_b32_e32 v12, v19
	v_mov_b32_e32 v75, v19
	;; [unrolled: 1-line block ×9, first 2 shown]
                                        ; implicit-def: $sgpr0_sgpr1
                                        ; implicit-def: $vgpr30_vgpr31
                                        ; implicit-def: $vgpr28_vgpr29
                                        ; implicit-def: $vgpr26_vgpr27
	s_and_saveexec_b64 s[40:41], vcc
	s_cbranch_execz .LBB1165_111
; %bb.96:
	v_cmp_ne_u32_e32 vcc, v53, v50
	v_add_u32_e32 v10, 15, v90
	s_mov_b64 s[44:45], 0
	v_cndmask_b32_e64 v81, 0, 1, vcc
	v_cmp_gt_u32_e32 vcc, s86, v10
	s_mov_b32 s50, 0
	v_mov_b64_e32 v[10:11], s[46:47]
	v_mov_b32_e32 v12, 0
	v_mov_b32_e32 v75, 0
	v_mov_b64_e32 v[14:15], s[46:47]
	v_mov_b64_e32 v[16:17], s[46:47]
	v_mov_b32_e32 v87, 0
	v_mov_b32_e32 v86, 0
	;; [unrolled: 1-line block ×6, first 2 shown]
                                        ; implicit-def: $sgpr0_sgpr1
                                        ; implicit-def: $vgpr30_vgpr31
                                        ; implicit-def: $vgpr28_vgpr29
                                        ; implicit-def: $vgpr26_vgpr27
	s_and_saveexec_b64 s[42:43], vcc
	s_cbranch_execz .LBB1165_110
; %bb.97:
	ds_read2_b32 v[26:27], v88 offset0:15 offset1:16
	v_cmp_ne_u32_e32 vcc, v50, v51
	v_add_u32_e32 v10, 16, v90
	v_mov_b32_e32 v17, 0
	s_mov_b32 s51, s50
	v_cndmask_b32_e64 v82, 0, 1, vcc
	v_cmp_gt_u32_e32 vcc, s86, v10
	s_waitcnt lgkmcnt(0)
	v_mov_b32_e32 v16, v26
	s_mov_b64 s[46:47], 0
	v_mov_b64_e32 v[10:11], s[50:51]
	v_mov_b64_e32 v[14:15], s[50:51]
	v_mov_b32_e32 v12, v17
	v_mov_b32_e32 v75, v17
	;; [unrolled: 1-line block ×7, first 2 shown]
                                        ; implicit-def: $sgpr0_sgpr1
                                        ; implicit-def: $vgpr30_vgpr31
                                        ; implicit-def: $vgpr28_vgpr29
	s_and_saveexec_b64 s[44:45], vcc
	s_cbranch_execz .LBB1165_109
; %bb.98:
	v_cmp_ne_u32_e32 vcc, v51, v48
	v_add_u32_e32 v10, 17, v90
	s_mov_b64 s[48:49], 0
	v_cndmask_b32_e64 v83, 0, 1, vcc
	v_cmp_gt_u32_e32 vcc, s86, v10
	s_mov_b32 s64, 0
	v_mov_b64_e32 v[10:11], s[50:51]
	v_mov_b32_e32 v12, 0
	v_mov_b32_e32 v75, 0
	v_mov_b64_e32 v[14:15], s[50:51]
	v_mov_b32_e32 v87, 0
	v_mov_b32_e32 v86, 0
	;; [unrolled: 1-line block ×4, first 2 shown]
                                        ; implicit-def: $sgpr0_sgpr1
                                        ; implicit-def: $vgpr30_vgpr31
                                        ; implicit-def: $vgpr28_vgpr29
	s_and_saveexec_b64 s[46:47], vcc
	s_cbranch_execz .LBB1165_108
; %bb.99:
	ds_read2_b32 v[28:29], v88 offset0:17 offset1:18
	v_cmp_ne_u32_e32 vcc, v48, v49
	v_add_u32_e32 v10, 18, v90
	v_mov_b32_e32 v15, 0
	s_mov_b32 s65, s64
	v_cndmask_b32_e64 v84, 0, 1, vcc
	v_cmp_gt_u32_e32 vcc, s86, v10
	s_waitcnt lgkmcnt(0)
	v_mov_b32_e32 v14, v28
	s_mov_b64 s[50:51], 0
	v_mov_b64_e32 v[10:11], s[64:65]
	v_mov_b32_e32 v12, v15
	v_mov_b32_e32 v75, v15
	;; [unrolled: 1-line block ×5, first 2 shown]
                                        ; implicit-def: $sgpr0_sgpr1
                                        ; implicit-def: $vgpr30_vgpr31
	s_and_saveexec_b64 s[48:49], vcc
	s_cbranch_execz .LBB1165_107
; %bb.100:
	v_cmp_ne_u32_e32 vcc, v49, v46
	v_add_u32_e32 v10, 19, v90
	s_mov_b64 s[52:53], 0
	v_cndmask_b32_e64 v85, 0, 1, vcc
	v_cmp_gt_u32_e32 vcc, s86, v10
	v_mov_b64_e32 v[10:11], s[64:65]
	v_mov_b32_e32 v12, 0
	v_mov_b32_e32 v75, 0
	;; [unrolled: 1-line block ×4, first 2 shown]
                                        ; implicit-def: $sgpr0_sgpr1
                                        ; implicit-def: $vgpr30_vgpr31
	s_and_saveexec_b64 s[50:51], vcc
	s_cbranch_execz .LBB1165_106
; %bb.101:
	ds_read2_b32 v[30:31], v88 offset0:19 offset1:20
	v_cmp_ne_u32_e32 vcc, v46, v47
	v_add_u32_e32 v10, 20, v90
	v_mov_b32_e32 v11, 0
	v_cndmask_b32_e64 v86, 0, 1, vcc
	v_cmp_gt_u32_e32 vcc, s86, v10
	s_waitcnt lgkmcnt(0)
	v_mov_b32_e32 v10, v30
	s_mov_b64 s[64:65], 0
	v_mov_b32_e32 v12, v11
	v_mov_b32_e32 v75, v11
	;; [unrolled: 1-line block ×3, first 2 shown]
                                        ; implicit-def: $sgpr0_sgpr1
	s_and_saveexec_b64 s[52:53], vcc
	s_cbranch_execz .LBB1165_105
; %bb.102:
	v_cmp_ne_u32_e32 vcc, v47, v40
	v_add_u32_e32 v10, 21, v90
	v_mov_b32_e32 v12, 0
	v_cndmask_b32_e64 v87, 0, 1, vcc
	v_cmp_gt_u32_e32 vcc, s86, v10
	v_mov_b32_e32 v75, 0
                                        ; implicit-def: $sgpr82_sgpr83
	s_and_saveexec_b64 s[0:1], vcc
	s_xor_b64 s[84:85], exec, s[0:1]
	s_cbranch_execz .LBB1165_104
; %bb.103:
	ds_read2_b32 v[12:13], v88 offset0:21 offset1:22
	v_cmp_ne_u32_e64 s[0:1], v40, v41
	v_add_u32_e32 v10, 22, v90
	v_cmp_ne_u32_e32 vcc, v41, v89
	v_cndmask_b32_e64 v75, 0, 1, s[0:1]
	v_cmp_gt_u32_e64 s[0:1], s86, v10
	s_and_b64 s[82:83], vcc, exec
	s_and_b64 s[64:65], s[0:1], exec
.LBB1165_104:
	s_or_b64 exec, exec, s[84:85]
	s_and_b64 s[0:1], s[82:83], exec
	s_and_b64 s[64:65], s[64:65], exec
	v_mov_b64_e32 v[10:11], v[30:31]
.LBB1165_105:
	s_or_b64 exec, exec, s[52:53]
	s_and_b64 s[0:1], s[0:1], exec
	s_and_b64 s[52:53], s[64:65], exec
.LBB1165_106:
	s_or_b64 exec, exec, s[50:51]
	s_and_b64 s[0:1], s[0:1], exec
	s_and_b64 s[50:51], s[52:53], exec
	v_mov_b64_e32 v[14:15], v[28:29]
.LBB1165_107:
	s_or_b64 exec, exec, s[48:49]
	s_and_b64 s[0:1], s[0:1], exec
	s_and_b64 s[48:49], s[50:51], exec
.LBB1165_108:
	s_or_b64 exec, exec, s[46:47]
	s_and_b64 s[0:1], s[0:1], exec
	s_and_b64 s[46:47], s[48:49], exec
	v_mov_b64_e32 v[16:17], v[26:27]
.LBB1165_109:
	s_or_b64 exec, exec, s[44:45]
	s_and_b64 s[0:1], s[0:1], exec
	s_and_b64 s[44:45], s[46:47], exec
.LBB1165_110:
	s_or_b64 exec, exec, s[42:43]
	s_and_b64 s[0:1], s[0:1], exec
	s_and_b64 s[42:43], s[44:45], exec
	v_mov_b64_e32 v[18:19], v[24:25]
.LBB1165_111:
	s_or_b64 exec, exec, s[40:41]
	s_and_b64 s[0:1], s[0:1], exec
	s_and_b64 s[40:41], s[42:43], exec
.LBB1165_112:
	s_or_b64 exec, exec, s[38:39]
	s_and_b64 s[0:1], s[0:1], exec
	s_and_b64 s[38:39], s[40:41], exec
	v_mov_b64_e32 v[32:33], v[22:23]
.LBB1165_113:
	s_or_b64 exec, exec, s[36:37]
	s_and_b64 s[0:1], s[0:1], exec
	s_and_b64 s[36:37], s[38:39], exec
.LBB1165_114:
	s_or_b64 exec, exec, s[34:35]
	s_and_b64 s[0:1], s[0:1], exec
	s_and_b64 s[34:35], s[36:37], exec
	v_mov_b64_e32 v[34:35], v[20:21]
.LBB1165_115:
	s_or_b64 exec, exec, s[30:31]
	s_and_b64 s[0:1], s[0:1], exec
	s_and_b64 s[30:31], s[34:35], exec
.LBB1165_116:
	s_or_b64 exec, exec, s[28:29]
	s_and_b64 s[0:1], s[0:1], exec
	s_and_b64 s[28:29], s[30:31], exec
	v_mov_b64_e32 v[36:37], v[8:9]
.LBB1165_117:
	s_or_b64 exec, exec, s[26:27]
	s_and_b64 s[0:1], s[0:1], exec
	s_and_b64 s[26:27], s[28:29], exec
.LBB1165_118:
	s_or_b64 exec, exec, s[24:25]
	s_and_b64 s[0:1], s[0:1], exec
	s_and_b64 s[24:25], s[26:27], exec
	v_mov_b64_e32 v[38:39], v[6:7]
.LBB1165_119:
	s_or_b64 exec, exec, s[22:23]
	s_and_b64 s[0:1], s[0:1], exec
	s_and_b64 s[22:23], s[24:25], exec
.LBB1165_120:
	s_or_b64 exec, exec, s[20:21]
	s_and_b64 s[0:1], s[0:1], exec
	s_and_b64 s[20:21], s[22:23], exec
	v_mov_b64_e32 v[42:43], v[4:5]
.LBB1165_121:
	s_or_b64 exec, exec, s[18:19]
	s_and_b64 s[0:1], s[0:1], exec
	s_and_b64 s[18:19], s[20:21], exec
.LBB1165_122:
	s_or_b64 exec, exec, s[16:17]
	s_and_b64 s[0:1], s[0:1], exec
	s_and_b64 s[16:17], s[18:19], exec
	v_mov_b64_e32 v[44:45], v[2:3]
.LBB1165_123:
	s_or_b64 exec, exec, s[14:15]
	s_and_b64 s[0:1], s[0:1], exec
	s_and_b64 s[14:15], s[16:17], exec
.LBB1165_124:
	s_or_b64 exec, exec, s[12:13]
	s_and_b64 s[0:1], s[0:1], exec
	s_and_b64 s[12:13], s[14:15], exec
.LBB1165_125:
	s_or_b64 exec, exec, s[10:11]
	s_mov_b32 s7, 0
	s_and_b64 vcc, exec, s[8:9]
	v_lshlrev_b32_e32 v40, 2, v0
	s_cbranch_vccnz .LBB1165_127
	s_branch .LBB1165_135
.LBB1165_126:
                                        ; implicit-def: $sgpr0_sgpr1
                                        ; implicit-def: $vgpr12_vgpr13
                                        ; implicit-def: $vgpr30_vgpr31
                                        ; implicit-def: $vgpr28_vgpr29
                                        ; implicit-def: $vgpr26_vgpr27
                                        ; implicit-def: $vgpr24_vgpr25
                                        ; implicit-def: $vgpr22_vgpr23
                                        ; implicit-def: $vgpr20_vgpr21
                                        ; implicit-def: $vgpr8_vgpr9
                                        ; implicit-def: $vgpr6_vgpr7
                                        ; implicit-def: $vgpr4_vgpr5
                                        ; implicit-def: $vgpr2_vgpr3
                                        ; implicit-def: $vgpr66
                                        ; implicit-def: $vgpr75
                                        ; implicit-def: $vgpr1
                                        ; implicit-def: $vgpr87
                                        ; implicit-def: $vgpr67
                                        ; implicit-def: $vgpr86
                                        ; implicit-def: $vgpr85
                                        ; implicit-def: $vgpr68
                                        ; implicit-def: $vgpr84
                                        ; implicit-def: $vgpr83
                                        ; implicit-def: $vgpr69
                                        ; implicit-def: $vgpr82
                                        ; implicit-def: $vgpr81
                                        ; implicit-def: $vgpr70
                                        ; implicit-def: $vgpr80
                                        ; implicit-def: $vgpr79
                                        ; implicit-def: $vgpr71
                                        ; implicit-def: $vgpr78
                                        ; implicit-def: $vgpr77
                                        ; implicit-def: $vgpr72
                                        ; implicit-def: $vgpr76
                                        ; implicit-def: $vgpr74
                                        ; implicit-def: $vgpr73
                                        ; implicit-def: $vgpr10_vgpr11
                                        ; implicit-def: $vgpr14_vgpr15
                                        ; implicit-def: $vgpr16_vgpr17
                                        ; implicit-def: $vgpr18_vgpr19
                                        ; implicit-def: $vgpr32_vgpr33
                                        ; implicit-def: $vgpr34_vgpr35
                                        ; implicit-def: $vgpr36_vgpr37
                                        ; implicit-def: $vgpr38_vgpr39
                                        ; implicit-def: $vgpr42_vgpr43
                                        ; implicit-def: $vgpr44_vgpr45
                                        ; implicit-def: $sgpr7
                                        ; implicit-def: $sgpr6
	s_and_b64 vcc, exec, s[8:9]
	v_lshlrev_b32_e32 v40, 2, v0
	s_cbranch_vccz .LBB1165_135
.LBB1165_127:
	v_mov_b32_e32 v41, 0
	v_lshl_add_u64 v[2:3], s[68:69], 0, v[40:41]
	v_add_co_u32_e32 v4, vcc, 0x1000, v2
	s_movk_i32 s0, 0x58
	s_nop 0
	v_addc_co_u32_e32 v5, vcc, 0, v3, vcc
	s_waitcnt lgkmcnt(0)
	flat_load_dword v1, v[2:3]
	flat_load_dword v8, v[2:3] offset:1024
	flat_load_dword v9, v[2:3] offset:2048
	;; [unrolled: 1-line block ×3, first 2 shown]
	flat_load_dword v11, v[4:5]
	flat_load_dword v12, v[4:5] offset:1024
	flat_load_dword v13, v[4:5] offset:2048
	;; [unrolled: 1-line block ×3, first 2 shown]
	v_add_co_u32_e32 v4, vcc, 0x2000, v2
	v_mad_u32_u24 v32, v0, s0, v40
	s_nop 0
	v_addc_co_u32_e32 v5, vcc, 0, v3, vcc
	v_add_co_u32_e32 v6, vcc, 0x3000, v2
	s_cmp_eq_u64 s[80:81], 0
	s_nop 0
	v_addc_co_u32_e32 v7, vcc, 0, v3, vcc
	flat_load_dword v15, v[4:5]
	flat_load_dword v16, v[4:5] offset:1024
	flat_load_dword v17, v[4:5] offset:2048
	;; [unrolled: 1-line block ×3, first 2 shown]
	flat_load_dword v19, v[6:7]
	flat_load_dword v20, v[6:7] offset:1024
	flat_load_dword v21, v[6:7] offset:2048
	;; [unrolled: 1-line block ×3, first 2 shown]
	v_add_co_u32_e32 v4, vcc, 0x4000, v2
	s_nop 1
	v_addc_co_u32_e32 v5, vcc, 0, v3, vcc
	v_add_co_u32_e32 v2, vcc, 0x5000, v2
	s_nop 1
	v_addc_co_u32_e32 v3, vcc, 0, v3, vcc
	flat_load_dword v6, v[4:5]
	flat_load_dword v7, v[4:5] offset:1024
	flat_load_dword v23, v[4:5] offset:2048
	;; [unrolled: 1-line block ×3, first 2 shown]
	flat_load_dword v25, v[2:3]
	flat_load_dword v26, v[2:3] offset:1024
	flat_load_dword v27, v[2:3] offset:2048
	s_waitcnt vmcnt(0) lgkmcnt(0)
	ds_write2st64_b32 v40, v1, v8 offset1:4
	ds_write2st64_b32 v40, v9, v10 offset0:8 offset1:12
	ds_write2st64_b32 v40, v11, v12 offset0:16 offset1:20
	;; [unrolled: 1-line block ×10, first 2 shown]
	ds_write_b32 v40, v27 offset:22528
	s_waitcnt lgkmcnt(0)
	s_barrier
	ds_read2_b32 v[10:11], v32 offset1:1
	ds_read2_b32 v[2:3], v32 offset0:2 offset1:3
	ds_read2_b32 v[4:5], v32 offset0:4 offset1:5
	;; [unrolled: 1-line block ×10, first 2 shown]
	ds_read_b32 v1, v32 offset:88
	s_cbranch_scc1 .LBB1165_132
; %bb.128:
	s_andn2_b64 vcc, exec, s[78:79]
	s_cbranch_vccnz .LBB1165_294
; %bb.129:
	s_lshl_b64 s[0:1], s[80:81], 2
	s_add_u32 s0, s70, s0
	s_addc_u32 s1, s71, s1
	s_add_u32 s0, s0, -4
	s_addc_u32 s1, s1, -1
	s_cbranch_execnz .LBB1165_131
.LBB1165_130:
	s_add_u32 s0, s68, -4
	s_addc_u32 s1, s69, -1
.LBB1165_131:
	s_mov_b64 s[68:69], s[0:1]
.LBB1165_132:
	v_mov_b64_e32 v[24:25], s[68:69]
	flat_load_dword v33, v[24:25]
	s_movk_i32 s0, 0xffa8
	v_mad_i32_i24 v24, v0, s0, v32
	s_waitcnt lgkmcnt(0)
	ds_write_b32 v24, v1 offset:23552
	s_waitcnt lgkmcnt(0)
	s_barrier
	s_and_saveexec_b64 s[0:1], s[4:5]
	s_cbranch_execz .LBB1165_134
; %bb.133:
	v_mul_i32_i24_e32 v24, 0xffffffa8, v0
	v_add_u32_e32 v24, v32, v24
	s_waitcnt vmcnt(0)
	ds_read_b32 v33, v24 offset:23548
.LBB1165_134:
	s_or_b64 exec, exec, s[0:1]
	v_mov_b32_e32 v41, 0
	v_lshl_add_u64 v[24:25], s[60:61], 0, v[40:41]
	s_movk_i32 s0, 0x1000
	v_add_co_u32_e32 v26, vcc, s0, v24
	s_movk_i32 s0, 0x2000
	s_nop 0
	v_addc_co_u32_e32 v27, vcc, 0, v25, vcc
	s_waitcnt lgkmcnt(0)
	s_barrier
	flat_load_dword v30, v[24:25]
	flat_load_dword v31, v[24:25] offset:1024
	flat_load_dword v34, v[24:25] offset:2048
	;; [unrolled: 1-line block ×3, first 2 shown]
	flat_load_dword v36, v[26:27]
	flat_load_dword v37, v[26:27] offset:1024
	flat_load_dword v38, v[26:27] offset:2048
	;; [unrolled: 1-line block ×3, first 2 shown]
	v_add_co_u32_e32 v26, vcc, s0, v24
	s_movk_i32 s0, 0x3000
	s_nop 0
	v_addc_co_u32_e32 v27, vcc, 0, v25, vcc
	v_add_co_u32_e32 v28, vcc, s0, v24
	s_movk_i32 s0, 0x4000
	s_nop 0
	v_addc_co_u32_e32 v29, vcc, 0, v25, vcc
	flat_load_dword v41, v[26:27]
	flat_load_dword v42, v[26:27] offset:1024
	flat_load_dword v43, v[26:27] offset:2048
	;; [unrolled: 1-line block ×3, first 2 shown]
	flat_load_dword v45, v[28:29]
	flat_load_dword v46, v[28:29] offset:1024
	flat_load_dword v47, v[28:29] offset:2048
	;; [unrolled: 1-line block ×3, first 2 shown]
	v_add_co_u32_e32 v26, vcc, s0, v24
	s_movk_i32 s0, 0x5000
	s_nop 0
	v_addc_co_u32_e32 v27, vcc, 0, v25, vcc
	v_add_co_u32_e32 v24, vcc, s0, v24
	v_cmp_ne_u32_e64 s[0:1], v23, v1
	s_nop 0
	v_addc_co_u32_e32 v25, vcc, 0, v25, vcc
	flat_load_dword v28, v[26:27]
	flat_load_dword v29, v[26:27] offset:1024
	flat_load_dword v49, v[26:27] offset:2048
	;; [unrolled: 1-line block ×3, first 2 shown]
	flat_load_dword v51, v[24:25]
	flat_load_dword v52, v[24:25] offset:1024
	flat_load_dword v53, v[24:25] offset:2048
	v_cmp_ne_u32_e32 vcc, v22, v23
	s_mov_b64 s[12:13], -1
                                        ; implicit-def: $sgpr7
                                        ; implicit-def: $sgpr6
	s_waitcnt vmcnt(0) lgkmcnt(0)
	ds_write2st64_b32 v40, v30, v31 offset1:4
	ds_write2st64_b32 v40, v34, v35 offset0:8 offset1:12
	ds_write2st64_b32 v40, v36, v37 offset0:16 offset1:20
	;; [unrolled: 1-line block ×10, first 2 shown]
	ds_write_b32 v40, v53 offset:22528
	v_cndmask_b32_e64 v75, 0, 1, vcc
	v_cmp_ne_u32_e32 vcc, v21, v22
	s_waitcnt lgkmcnt(0)
	s_barrier
	v_cndmask_b32_e64 v87, 0, 1, vcc
	v_cmp_ne_u32_e32 vcc, v20, v21
	s_waitcnt lgkmcnt(0)
                                        ; implicit-def: $vgpr34_vgpr35
                                        ; implicit-def: $vgpr36_vgpr37
                                        ; implicit-def: $vgpr38_vgpr39
                                        ; implicit-def: $vgpr42_vgpr43
                                        ; implicit-def: $vgpr44_vgpr45
	s_nop 0
	v_cndmask_b32_e64 v86, 0, 1, vcc
	v_cmp_ne_u32_e32 vcc, v19, v20
	s_nop 1
	v_cndmask_b32_e64 v85, 0, 1, vcc
	v_cmp_ne_u32_e32 vcc, v18, v19
	;; [unrolled: 3-line block ×3, first 2 shown]
                                        ; implicit-def: $vgpr18_vgpr19
	s_nop 1
	v_cndmask_b32_e64 v83, 0, 1, vcc
	v_cmp_ne_u32_e32 vcc, v16, v17
	s_nop 1
	v_cndmask_b32_e64 v82, 0, 1, vcc
	v_cmp_ne_u32_e32 vcc, v15, v16
                                        ; implicit-def: $vgpr16_vgpr17
	s_nop 1
	v_cndmask_b32_e64 v81, 0, 1, vcc
	v_cmp_ne_u32_e32 vcc, v14, v15
	s_nop 1
	v_cndmask_b32_e64 v80, 0, 1, vcc
	v_cmp_ne_u32_e32 vcc, v13, v14
                                        ; implicit-def: $vgpr14_vgpr15
	s_nop 1
	v_cndmask_b32_e64 v79, 0, 1, vcc
	v_cmp_ne_u32_e32 vcc, v12, v13
	s_nop 1
	v_cndmask_b32_e64 v78, 0, 1, vcc
	v_cmp_ne_u32_e32 vcc, v9, v12
	;; [unrolled: 3-line block ×10, first 2 shown]
	ds_read_b32 v1, v32
	ds_read2_b32 v[2:3], v32 offset0:1 offset1:2
	ds_read2_b32 v[4:5], v32 offset0:3 offset1:4
	;; [unrolled: 1-line block ×11, first 2 shown]
	v_cndmask_b32_e64 v68, 0, 1, vcc
	v_cmp_ne_u32_e32 vcc, v10, v11
	s_nop 1
	v_cndmask_b32_e64 v67, 0, 1, vcc
	v_cmp_ne_u32_e32 vcc, v33, v10
                                        ; implicit-def: $vgpr10_vgpr11
                                        ; implicit-def: $vgpr32_vgpr33
	s_nop 1
	v_cndmask_b32_e64 v66, 0, 1, vcc
.LBB1165_135:
	v_mov_b32_e32 v46, s6
	v_mov_b32_e32 v41, s7
	s_and_saveexec_b64 s[6:7], s[12:13]
	s_cbranch_execz .LBB1165_137
; %bb.136:
	v_cndmask_b32_e64 v46, 0, 1, s[0:1]
	s_waitcnt lgkmcnt(0)
	v_mov_b32_e32 v41, v13
	v_mov_b64_e32 v[44:45], v[2:3]
	v_mov_b64_e32 v[42:43], v[4:5]
	;; [unrolled: 1-line block ×10, first 2 shown]
.LBB1165_137:
	s_or_b64 exec, exec, s[6:7]
	s_waitcnt lgkmcnt(10)
	v_or_b32_e32 v2, v46, v75
	s_cmp_lg_u32 s75, 0
	s_waitcnt lgkmcnt(4)
	v_or_b32_e32 v24, v2, v87
	s_waitcnt lgkmcnt(0)
	v_lshrrev_b32_e32 v13, 5, v0
	v_cmp_gt_u32_e32 vcc, 64, v0
	s_barrier
	s_cbranch_scc0 .LBB1165_196
; %bb.138:
	v_mov_b32_e32 v6, 0
	v_add_f32_e32 v2, v44, v1
	v_cmp_eq_u16_sdwa s[6:7], v67, v6 src0_sel:BYTE_0 src1_sel:DWORD
	v_cmp_eq_u16_sdwa s[8:9], v68, v6 src0_sel:BYTE_0 src1_sel:DWORD
	v_cmp_eq_u16_sdwa s[10:11], v69, v6 src0_sel:BYTE_0 src1_sel:DWORD
	v_cndmask_b32_e64 v2, v44, v2, s[6:7]
	v_add_f32_e32 v2, v45, v2
	v_cndmask_b32_e64 v2, v45, v2, s[8:9]
	v_add_f32_e32 v2, v42, v2
	v_cndmask_b32_e64 v2, v42, v2, s[10:11]
	v_add_f32_e32 v2, v43, v2
	v_cmp_eq_u16_sdwa s[12:13], v70, v6 src0_sel:BYTE_0 src1_sel:DWORD
	v_cmp_eq_u16_sdwa s[14:15], v71, v6 src0_sel:BYTE_0 src1_sel:DWORD
	v_cmp_eq_u16_sdwa s[16:17], v72, v6 src0_sel:BYTE_0 src1_sel:DWORD
	v_cndmask_b32_e64 v2, v43, v2, s[12:13]
	v_add_f32_e32 v2, v38, v2
	v_cndmask_b32_e64 v2, v38, v2, s[14:15]
	v_add_f32_e32 v2, v39, v2
	v_cndmask_b32_e64 v2, v39, v2, s[16:17]
	;; [unrolled: 9-line block ×7, first 2 shown]
	v_add_f32_e32 v2, v41, v2
	v_cmp_eq_u16_sdwa s[50:51], v46, v6 src0_sel:BYTE_0 src1_sel:DWORD
	v_and_b32_e32 v3, 0xff, v66
	s_nop 0
	v_cndmask_b32_e64 v25, v41, v2, s[50:51]
	v_or_b32_e32 v2, v24, v86
	v_or_b32_e32 v2, v2, v85
	;; [unrolled: 1-line block ×19, first 2 shown]
	v_and_b32_e32 v2, 1, v2
	v_cmp_eq_u32_e64 s[0:1], 1, v2
	v_add_lshl_u32 v2, v13, v0, 3
	s_nop 0
	v_cndmask_b32_e64 v26, v3, 1, s[0:1]
	ds_write_b32 v2, v25
	ds_write_b8 v2, v26 offset:4
	s_waitcnt lgkmcnt(0)
	s_barrier
	s_and_saveexec_b64 s[52:53], vcc
	s_cbranch_execz .LBB1165_152
; %bb.139:
	v_lshrrev_b32_e32 v2, 3, v0
	v_add_lshl_u32 v4, v2, v40, 3
	ds_read2_b32 v[8:9], v4 offset0:2 offset1:4
	ds_read_b64 v[2:3], v4
	ds_read_u8 v7, v4 offset:12
	ds_read_u8 v20, v4 offset:20
	ds_read_b32 v22, v4 offset:24
	ds_read_u8 v23, v4 offset:28
	s_waitcnt lgkmcnt(4)
	v_add_f32_e32 v5, v2, v8
	s_waitcnt lgkmcnt(3)
	v_cmp_eq_u16_sdwa s[0:1], v7, v6 src0_sel:BYTE_0 src1_sel:DWORD
	v_and_b32_e32 v21, 0xffffff00, v3
	s_nop 0
	v_cndmask_b32_e64 v8, v8, v5, s[0:1]
	v_add_f32_e32 v8, v9, v8
	s_waitcnt lgkmcnt(2)
	v_cmp_eq_u16_sdwa s[0:1], v20, v6 src0_sel:BYTE_0 src1_sel:DWORD
	v_and_b32_e32 v5, 1, v3
	s_nop 0
	v_cndmask_b32_e64 v6, v9, v8, s[0:1]
	s_waitcnt lgkmcnt(0)
	v_or_b32_e32 v8, v23, v20
	v_or_b32_e32 v7, v8, v7
	v_add_f32_e32 v6, v22, v6
	v_cmp_eq_u16_e64 s[0:1], 0, v23
	v_and_b32_e32 v7, 1, v7
	s_nop 0
	v_cndmask_b32_e64 v6, v22, v6, s[0:1]
	v_cmp_eq_u32_e64 s[0:1], 1, v7
	v_mbcnt_lo_u32_b32 v7, -1, 0
	v_mbcnt_hi_u32_b32 v7, -1, v7
	v_cndmask_b32_e64 v9, v5, 1, s[0:1]
	v_or_b32_e32 v8, v9, v21
	v_and_b32_e32 v20, 15, v7
	v_mov_b32_dpp v23, v6 row_shr:1 row_mask:0xf bank_mask:0xf
	v_mov_b32_dpp v22, v8 row_shr:1 row_mask:0xf bank_mask:0xf
	v_cmp_ne_u32_e64 s[0:1], 0, v20
	s_and_saveexec_b64 s[60:61], s[0:1]
; %bb.140:
	v_add_f32_e32 v8, v6, v23
	v_cmp_eq_u32_e64 s[0:1], 0, v9
	s_nop 1
	v_cndmask_b32_e64 v6, v6, v8, s[0:1]
	v_and_b32_e32 v8, 1, v9
	v_and_b32_e32 v9, 1, v22
	v_cmp_eq_u32_e64 s[0:1], 1, v8
	s_nop 1
	v_cndmask_b32_e64 v9, v9, 1, s[0:1]
	v_or_b32_e32 v8, v9, v21
; %bb.141:
	s_or_b64 exec, exec, s[60:61]
	v_mov_b32_dpp v22, v6 row_shr:2 row_mask:0xf bank_mask:0xf
	v_mov_b32_dpp v21, v8 row_shr:2 row_mask:0xf bank_mask:0xf
	v_cmp_lt_u32_e64 s[0:1], 1, v20
	s_and_saveexec_b64 s[60:61], s[0:1]
; %bb.142:
	v_add_f32_e32 v22, v6, v22
	v_cmp_eq_u32_e64 s[0:1], 0, v9
	v_and_b32_e32 v9, 1, v9
	v_and_b32_e32 v21, 1, v21
	v_cndmask_b32_e64 v6, v6, v22, s[0:1]
	v_cmp_eq_u32_e64 s[0:1], 1, v9
	s_nop 1
	v_cndmask_b32_e64 v9, v21, 1, s[0:1]
	s_movk_i32 s0, 0xff00
	v_and_or_b32 v8, v8, s0, v9
; %bb.143:
	s_or_b64 exec, exec, s[60:61]
	v_mov_b32_dpp v22, v6 row_shr:4 row_mask:0xf bank_mask:0xf
	v_mov_b32_dpp v21, v8 row_shr:4 row_mask:0xf bank_mask:0xf
	v_cmp_lt_u32_e64 s[0:1], 3, v20
	s_and_saveexec_b64 s[60:61], s[0:1]
; %bb.144:
	v_add_f32_e32 v22, v6, v22
	v_cmp_eq_u32_e64 s[0:1], 0, v9
	v_and_b32_e32 v9, 1, v9
	v_and_b32_e32 v21, 1, v21
	v_cndmask_b32_e64 v6, v6, v22, s[0:1]
	v_cmp_eq_u32_e64 s[0:1], 1, v9
	s_nop 1
	v_cndmask_b32_e64 v9, v21, 1, s[0:1]
	s_movk_i32 s0, 0xff00
	v_and_or_b32 v8, v8, s0, v9
; %bb.145:
	s_or_b64 exec, exec, s[60:61]
	v_mov_b32_dpp v22, v6 row_shr:8 row_mask:0xf bank_mask:0xf
	v_mov_b32_dpp v21, v8 row_shr:8 row_mask:0xf bank_mask:0xf
	v_cmp_lt_u32_e64 s[0:1], 7, v20
	s_and_saveexec_b64 s[60:61], s[0:1]
; %bb.146:
	v_add_f32_e32 v20, v6, v22
	v_cmp_eq_u32_e64 s[0:1], 0, v9
	v_and_b32_e32 v9, 1, v9
	s_nop 0
	v_cndmask_b32_e64 v6, v6, v20, s[0:1]
	v_and_b32_e32 v20, 1, v21
	v_cmp_eq_u32_e64 s[0:1], 1, v9
	s_nop 1
	v_cndmask_b32_e64 v9, v20, 1, s[0:1]
	s_movk_i32 s0, 0xff00
	v_and_or_b32 v8, v8, s0, v9
; %bb.147:
	s_or_b64 exec, exec, s[60:61]
	v_and_b32_e32 v22, 16, v7
	v_mov_b32_dpp v21, v6 row_bcast:15 row_mask:0xf bank_mask:0xf
	v_mov_b32_dpp v20, v8 row_bcast:15 row_mask:0xf bank_mask:0xf
	v_cmp_ne_u32_e64 s[0:1], 0, v22
	s_and_saveexec_b64 s[60:61], s[0:1]
; %bb.148:
	v_add_f32_e32 v21, v6, v21
	v_cmp_eq_u32_e64 s[0:1], 0, v9
	v_and_b32_e32 v9, 1, v9
	v_and_b32_e32 v20, 1, v20
	v_cndmask_b32_e64 v6, v6, v21, s[0:1]
	v_cmp_eq_u32_e64 s[0:1], 1, v9
	s_nop 1
	v_cndmask_b32_e64 v9, v20, 1, s[0:1]
	s_movk_i32 s0, 0xff00
	v_and_or_b32 v8, v8, s0, v9
; %bb.149:
	s_or_b64 exec, exec, s[60:61]
	v_mov_b32_dpp v21, v6 row_bcast:31 row_mask:0xf bank_mask:0xf
	v_mov_b32_dpp v20, v8 row_bcast:31 row_mask:0xf bank_mask:0xf
	v_cmp_lt_u32_e64 s[0:1], 31, v7
	s_and_saveexec_b64 s[60:61], s[0:1]
; %bb.150:
	v_add_f32_e32 v21, v6, v21
	v_cmp_eq_u32_e64 s[0:1], 0, v9
	v_and_b32_e32 v9, 1, v9
	v_and_b32_e32 v20, 1, v20
	v_cndmask_b32_e64 v6, v6, v21, s[0:1]
	v_cmp_eq_u32_e64 s[0:1], 1, v9
	s_nop 1
	v_cndmask_b32_e64 v9, v20, 1, s[0:1]
	s_movk_i32 s0, 0xff00
	v_and_or_b32 v8, v8, s0, v9
; %bb.151:
	s_or_b64 exec, exec, s[60:61]
	v_add_u32_e32 v9, -1, v7
	v_and_b32_e32 v20, 64, v7
	v_cmp_lt_i32_e64 s[0:1], v9, v20
	; wave barrier
	s_nop 1
	v_cndmask_b32_e64 v7, v9, v7, s[0:1]
	v_lshlrev_b32_e32 v7, 2, v7
	ds_bpermute_b32 v6, v7, v6
	ds_bpermute_b32 v7, v7, v8
	v_mov_b32_e32 v8, 0
	v_cmp_eq_u32_sdwa s[0:1], v3, v8 src0_sel:BYTE_0 src1_sel:DWORD
	s_waitcnt lgkmcnt(1)
	v_add_f32_e32 v6, v2, v6
	v_cndmask_b32_e64 v2, v2, v6, s[0:1]
	s_waitcnt lgkmcnt(0)
	v_and_b32_e32 v3, 1, v7
	v_cmp_eq_u32_e64 s[0:1], 1, v5
	v_cndmask_b32_e64 v5, v2, v25, s[54:55]
	s_nop 0
	v_cndmask_b32_e64 v3, v3, 1, s[0:1]
	v_cndmask_b32_e64 v6, v3, v26, s[54:55]
	ds_write_b32 v4, v5
	ds_write_b8 v4, v6 offset:4
	; wave barrier
	ds_read2_b32 v[2:3], v4 offset0:2 offset1:4
	ds_read_u8 v7, v4 offset:12
	ds_read_u8 v8, v4 offset:20
	ds_read_b32 v9, v4 offset:24
	ds_read_u8 v20, v4 offset:28
	s_waitcnt lgkmcnt(4)
	v_add_f32_e32 v5, v5, v2
	s_waitcnt lgkmcnt(3)
	v_cmp_eq_u16_e64 s[0:1], 0, v7
	s_nop 1
	v_cndmask_b32_e64 v2, v2, v5, s[0:1]
	v_and_b32_e32 v5, 1, v7
	v_cmp_eq_u32_e64 s[0:1], 1, v5
	s_nop 1
	v_cndmask_b32_e64 v5, v6, 1, s[0:1]
	v_add_f32_e32 v6, v2, v3
	s_waitcnt lgkmcnt(2)
	v_cmp_eq_u16_e64 s[0:1], 0, v8
	ds_write_b8 v4, v5 offset:12
	s_nop 0
	v_cndmask_b32_e64 v3, v3, v6, s[0:1]
	v_and_b32_e32 v6, 1, v8
	v_cmp_eq_u32_e64 s[0:1], 1, v6
	s_nop 1
	v_cndmask_b32_e64 v5, v5, 1, s[0:1]
	ds_write2_b32 v4, v2, v3 offset0:2 offset1:4
	ds_write_b8 v4, v5 offset:20
	s_waitcnt lgkmcnt(4)
	v_add_f32_e32 v2, v3, v9
	s_waitcnt lgkmcnt(3)
	v_cmp_eq_u16_e64 s[0:1], 0, v20
	v_and_b32_e32 v3, 1, v20
	s_nop 0
	v_cndmask_b32_e64 v2, v9, v2, s[0:1]
	v_cmp_eq_u32_e64 s[0:1], 1, v3
	s_nop 1
	v_cndmask_b32_e64 v3, v5, 1, s[0:1]
	ds_write_b32 v4, v2 offset:24
	ds_write_b8 v4, v3 offset:28
.LBB1165_152:
	s_or_b64 exec, exec, s[52:53]
	s_waitcnt lgkmcnt(0)
	s_barrier
	s_and_saveexec_b64 s[0:1], s[4:5]
	s_cbranch_execz .LBB1165_154
; %bb.153:
	v_add_u32_e32 v2, -1, v0
	v_lshrrev_b32_e32 v3, 5, v2
	v_add_lshl_u32 v2, v3, v2, 3
	ds_read_b32 v25, v2
	ds_read_u8 v26, v2 offset:4
.LBB1165_154:
	s_or_b64 exec, exec, s[0:1]
	s_and_saveexec_b64 s[0:1], vcc
	s_cbranch_execz .LBB1165_195
; %bb.155:
	v_mov_b32_e32 v5, 0
	ds_read_b64 v[2:3], v5 offset:2096
	v_mbcnt_lo_u32_b32 v4, -1, 0
	v_mbcnt_hi_u32_b32 v21, -1, v4
	s_mov_b32 s65, 0
	v_cmp_eq_u32_e64 s[52:53], 0, v21
	s_waitcnt lgkmcnt(0)
	v_readfirstlane_b32 s68, v3
	s_and_saveexec_b64 s[60:61], s[52:53]
	s_cbranch_execz .LBB1165_157
; %bb.156:
	s_add_i32 s64, s75, 64
	s_lshl_b64 s[70:71], s[64:65], 4
	s_add_u32 s70, s72, s70
	s_addc_u32 s71, s73, s71
	s_and_b32 s79, s68, 0xff000000
	s_mov_b32 s78, s65
	s_and_b32 s81, s68, 0xff0000
	s_mov_b32 s80, s65
	s_or_b64 s[78:79], s[80:81], s[78:79]
	s_and_b32 s81, s68, 0xff00
	s_or_b64 s[78:79], s[78:79], s[80:81]
	s_and_b32 s81, s68, 0xff
	s_or_b64 s[64:65], s[78:79], s[80:81]
	v_mov_b32_e32 v3, s65
	v_mov_b32_e32 v4, 1
	v_mov_b64_e32 v[6:7], s[70:71]
	;;#ASMSTART
	global_store_dwordx4 v[6:7], v[2:5] off sc1	
s_waitcnt vmcnt(0)
	;;#ASMEND
.LBB1165_157:
	s_or_b64 exec, exec, s[60:61]
	v_xad_u32 v20, v21, -1, s75
	v_add_u32_e32 v4, 64, v20
	v_lshl_add_u64 v[22:23], v[4:5], 4, s[72:73]
	;;#ASMSTART
	global_load_dwordx4 v[6:9], v[22:23] off sc1	
s_waitcnt vmcnt(0)
	;;#ASMEND
	s_nop 0
	v_cmp_eq_u16_sdwa s[64:65], v8, v5 src0_sel:BYTE_0 src1_sel:DWORD
	s_and_saveexec_b64 s[60:61], s[64:65]
	s_cbranch_execz .LBB1165_161
; %bb.158:
	s_mov_b64 s[64:65], 0
	v_mov_b32_e32 v3, 0
.LBB1165_159:                           ; =>This Inner Loop Header: Depth=1
	;;#ASMSTART
	global_load_dwordx4 v[6:9], v[22:23] off sc1	
s_waitcnt vmcnt(0)
	;;#ASMEND
	s_nop 0
	v_cmp_ne_u16_sdwa s[70:71], v8, v3 src0_sel:BYTE_0 src1_sel:DWORD
	s_or_b64 s[64:65], s[70:71], s[64:65]
	s_andn2_b64 exec, exec, s[64:65]
	s_cbranch_execnz .LBB1165_159
; %bb.160:
	s_or_b64 exec, exec, s[64:65]
.LBB1165_161:
	s_or_b64 exec, exec, s[60:61]
	v_mov_b32_e32 v3, 2
	v_cmp_eq_u16_sdwa s[60:61], v8, v3 src0_sel:BYTE_0 src1_sel:DWORD
	v_lshlrev_b64 v[4:5], v21, -1
	v_and_b32_e32 v22, 0xff, v7
	v_and_b32_e32 v3, s61, v5
	v_or_b32_e32 v3, 0x80000000, v3
	v_ffbl_b32_e32 v29, v3
	v_and_b32_e32 v3, 63, v21
	v_cmp_ne_u32_e32 vcc, 63, v3
	v_and_b32_e32 v9, s60, v4
	v_add_u32_e32 v29, 32, v29
	v_addc_co_u32_e32 v23, vcc, 0, v21, vcc
	v_lshlrev_b32_e32 v27, 2, v23
	ds_bpermute_b32 v28, v27, v6
	ds_bpermute_b32 v23, v27, v22
	v_ffbl_b32_e32 v9, v9
	v_min_u32_e32 v9, v9, v29
	v_cmp_lt_u32_e32 vcc, v3, v9
	s_and_saveexec_b64 s[60:61], vcc
	s_cbranch_execz .LBB1165_163
; %bb.162:
	v_mov_b32_e32 v22, 0
	s_waitcnt lgkmcnt(1)
	v_add_f32_e32 v28, v6, v28
	v_cmp_eq_u16_sdwa vcc, v7, v22 src0_sel:BYTE_0 src1_sel:DWORD
	v_and_b32_e32 v7, 1, v7
	s_waitcnt lgkmcnt(0)
	v_and_b32_e32 v22, 1, v23
	v_cndmask_b32_e32 v6, v6, v28, vcc
	v_cmp_eq_u32_e32 vcc, 1, v7
	s_nop 1
	v_cndmask_b32_e64 v7, v22, 1, vcc
	v_and_b32_e32 v22, 0xffff, v7
.LBB1165_163:
	s_or_b64 exec, exec, s[60:61]
	v_cmp_gt_u32_e32 vcc, 62, v3
	v_add_u32_e32 v29, 2, v3
	s_waitcnt lgkmcnt(0)
	v_cndmask_b32_e64 v23, 0, 1, vcc
	v_lshlrev_b32_e32 v23, 1, v23
	v_add_lshl_u32 v28, v23, v21, 2
	ds_bpermute_b32 v30, v28, v6
	ds_bpermute_b32 v23, v28, v22
	v_cmp_le_u32_e32 vcc, v29, v9
	s_and_saveexec_b64 s[60:61], vcc
	s_cbranch_execz .LBB1165_165
; %bb.164:
	v_mov_b32_e32 v22, 0
	s_waitcnt lgkmcnt(1)
	v_add_f32_e32 v30, v6, v30
	v_cmp_eq_u16_sdwa vcc, v7, v22 src0_sel:BYTE_0 src1_sel:DWORD
	v_and_b32_e32 v7, 1, v7
	s_waitcnt lgkmcnt(0)
	v_and_b32_e32 v22, 1, v23
	v_cndmask_b32_e32 v6, v6, v30, vcc
	v_cmp_eq_u32_e32 vcc, 1, v7
	s_nop 1
	v_cndmask_b32_e64 v7, v22, 1, vcc
	v_and_b32_e32 v22, 0xffff, v7
.LBB1165_165:
	s_or_b64 exec, exec, s[60:61]
	v_cmp_gt_u32_e32 vcc, 60, v3
	v_add_u32_e32 v31, 4, v3
	s_waitcnt lgkmcnt(0)
	v_cndmask_b32_e64 v23, 0, 1, vcc
	v_lshlrev_b32_e32 v23, 2, v23
	v_add_lshl_u32 v30, v23, v21, 2
	ds_bpermute_b32 v47, v30, v6
	ds_bpermute_b32 v23, v30, v22
	v_cmp_le_u32_e32 vcc, v31, v9
	;; [unrolled: 26-line block ×5, first 2 shown]
	s_and_saveexec_b64 s[60:61], vcc
	s_cbranch_execz .LBB1165_173
; %bb.172:
	v_mov_b32_e32 v9, 0
	s_waitcnt lgkmcnt(1)
	v_add_f32_e32 v22, v6, v23
	v_cmp_eq_u16_sdwa vcc, v7, v9 src0_sel:BYTE_0 src1_sel:DWORD
	v_and_b32_e32 v7, 1, v7
	s_waitcnt lgkmcnt(0)
	v_and_b32_e32 v9, 1, v21
	v_cndmask_b32_e32 v6, v6, v22, vcc
	v_cmp_eq_u32_e32 vcc, 1, v7
	s_nop 1
	v_cndmask_b32_e64 v7, v9, 1, vcc
.LBB1165_173:
	s_or_b64 exec, exec, s[60:61]
	s_waitcnt lgkmcnt(0)
	v_mov_b32_e32 v21, 0
	v_mov_b32_e32 v55, 2
	s_branch .LBB1165_175
.LBB1165_174:                           ;   in Loop: Header=BB1165_175 Depth=1
	s_or_b64 exec, exec, s[60:61]
	s_waitcnt lgkmcnt(0)
	ds_bpermute_b32 v23, v52, v6
	ds_bpermute_b32 v22, v52, v22
	v_and_b32_e32 v56, 1, v7
	v_cmp_eq_u16_sdwa vcc, v7, v21 src0_sel:BYTE_0 src1_sel:DWORD
	v_subrev_u32_e32 v20, 64, v20
	s_waitcnt lgkmcnt(1)
	v_add_f32_e32 v23, v6, v23
	v_cndmask_b32_e32 v23, v6, v23, vcc
	v_cmp_eq_u32_e32 vcc, 1, v56
	s_waitcnt lgkmcnt(0)
	s_nop 0
	v_cndmask_b32_e64 v22, v22, 1, vcc
	v_cmp_gt_u32_e32 vcc, v54, v9
	v_and_b32_e32 v9, 1, v51
	s_nop 0
	v_cndmask_b32_e32 v6, v23, v6, vcc
	v_cndmask_b32_e32 v7, v22, v7, vcc
	v_add_f32_e32 v6, v53, v6
	v_cmp_eq_u16_sdwa vcc, v51, v21 src0_sel:BYTE_0 src1_sel:DWORD
	v_and_b32_e32 v7, 1, v7
	s_nop 0
	v_cndmask_b32_e32 v6, v53, v6, vcc
	v_cmp_eq_u32_e32 vcc, 1, v9
	s_nop 1
	v_cndmask_b32_e64 v7, v7, 1, vcc
.LBB1165_175:                           ; =>This Loop Header: Depth=1
                                        ;     Child Loop BB1165_178 Depth 2
	v_cmp_ne_u16_sdwa s[60:61], v8, v55 src0_sel:BYTE_0 src1_sel:DWORD
	v_mov_b32_e32 v51, v7
	v_mov_b32_e32 v53, v6
	v_cndmask_b32_e64 v7, 0, 1, s[60:61]
	;;#ASMSTART
	;;#ASMEND
	s_nop 0
	v_cmp_ne_u32_e32 vcc, 0, v7
	s_cmp_lg_u64 vcc, exec
	s_cbranch_scc1 .LBB1165_190
; %bb.176:                              ;   in Loop: Header=BB1165_175 Depth=1
	v_lshl_add_u64 v[22:23], v[20:21], 4, s[72:73]
	;;#ASMSTART
	global_load_dwordx4 v[6:9], v[22:23] off sc1	
s_waitcnt vmcnt(0)
	;;#ASMEND
	s_nop 0
	v_cmp_eq_u16_sdwa s[64:65], v8, v21 src0_sel:BYTE_0 src1_sel:DWORD
	s_and_saveexec_b64 s[60:61], s[64:65]
	s_cbranch_execz .LBB1165_180
; %bb.177:                              ;   in Loop: Header=BB1165_175 Depth=1
	s_mov_b64 s[64:65], 0
.LBB1165_178:                           ;   Parent Loop BB1165_175 Depth=1
                                        ; =>  This Inner Loop Header: Depth=2
	;;#ASMSTART
	global_load_dwordx4 v[6:9], v[22:23] off sc1	
s_waitcnt vmcnt(0)
	;;#ASMEND
	s_nop 0
	v_cmp_ne_u16_sdwa s[70:71], v8, v21 src0_sel:BYTE_0 src1_sel:DWORD
	s_or_b64 s[64:65], s[70:71], s[64:65]
	s_andn2_b64 exec, exec, s[64:65]
	s_cbranch_execnz .LBB1165_178
; %bb.179:                              ;   in Loop: Header=BB1165_175 Depth=1
	s_or_b64 exec, exec, s[64:65]
.LBB1165_180:                           ;   in Loop: Header=BB1165_175 Depth=1
	s_or_b64 exec, exec, s[60:61]
	v_cmp_eq_u16_sdwa s[60:61], v8, v55 src0_sel:BYTE_0 src1_sel:DWORD
	v_and_b32_e32 v22, 0xff, v7
	ds_bpermute_b32 v56, v27, v6
	v_and_b32_e32 v9, s61, v5
	v_or_b32_e32 v9, 0x80000000, v9
	ds_bpermute_b32 v23, v27, v22
	v_and_b32_e32 v57, s60, v4
	v_ffbl_b32_e32 v9, v9
	v_add_u32_e32 v9, 32, v9
	v_ffbl_b32_e32 v57, v57
	v_min_u32_e32 v9, v57, v9
	v_cmp_lt_u32_e32 vcc, v3, v9
	s_and_saveexec_b64 s[60:61], vcc
	s_cbranch_execz .LBB1165_182
; %bb.181:                              ;   in Loop: Header=BB1165_175 Depth=1
	s_waitcnt lgkmcnt(1)
	v_add_f32_e32 v22, v6, v56
	v_cmp_eq_u16_sdwa vcc, v7, v21 src0_sel:BYTE_0 src1_sel:DWORD
	v_and_b32_e32 v7, 1, v7
	s_nop 0
	v_cndmask_b32_e32 v6, v6, v22, vcc
	s_waitcnt lgkmcnt(0)
	v_and_b32_e32 v22, 1, v23
	v_cmp_eq_u32_e32 vcc, 1, v7
	s_nop 1
	v_cndmask_b32_e64 v7, v22, 1, vcc
	v_and_b32_e32 v22, 0xffff, v7
.LBB1165_182:                           ;   in Loop: Header=BB1165_175 Depth=1
	s_or_b64 exec, exec, s[60:61]
	s_waitcnt lgkmcnt(1)
	ds_bpermute_b32 v56, v28, v6
	s_waitcnt lgkmcnt(1)
	ds_bpermute_b32 v23, v28, v22
	v_cmp_le_u32_e32 vcc, v29, v9
	s_and_saveexec_b64 s[60:61], vcc
	s_cbranch_execz .LBB1165_184
; %bb.183:                              ;   in Loop: Header=BB1165_175 Depth=1
	s_waitcnt lgkmcnt(1)
	v_add_f32_e32 v22, v6, v56
	v_cmp_eq_u16_sdwa vcc, v7, v21 src0_sel:BYTE_0 src1_sel:DWORD
	v_and_b32_e32 v7, 1, v7
	s_nop 0
	v_cndmask_b32_e32 v6, v6, v22, vcc
	s_waitcnt lgkmcnt(0)
	v_and_b32_e32 v22, 1, v23
	v_cmp_eq_u32_e32 vcc, 1, v7
	s_nop 1
	v_cndmask_b32_e64 v7, v22, 1, vcc
	v_and_b32_e32 v22, 0xffff, v7
.LBB1165_184:                           ;   in Loop: Header=BB1165_175 Depth=1
	s_or_b64 exec, exec, s[60:61]
	s_waitcnt lgkmcnt(1)
	ds_bpermute_b32 v56, v30, v6
	s_waitcnt lgkmcnt(1)
	ds_bpermute_b32 v23, v30, v22
	v_cmp_le_u32_e32 vcc, v31, v9
	;; [unrolled: 22-line block ×4, first 2 shown]
	s_and_saveexec_b64 s[60:61], vcc
	s_cbranch_execz .LBB1165_174
; %bb.189:                              ;   in Loop: Header=BB1165_175 Depth=1
	s_waitcnt lgkmcnt(1)
	v_add_f32_e32 v22, v6, v56
	v_cmp_eq_u16_sdwa vcc, v7, v21 src0_sel:BYTE_0 src1_sel:DWORD
	v_and_b32_e32 v7, 1, v7
	s_nop 0
	v_cndmask_b32_e32 v6, v6, v22, vcc
	s_waitcnt lgkmcnt(0)
	v_and_b32_e32 v22, 1, v23
	v_cmp_eq_u32_e32 vcc, 1, v7
	s_nop 1
	v_cndmask_b32_e64 v7, v22, 1, vcc
	v_and_b32_e32 v22, 0xffff, v7
	s_branch .LBB1165_174
.LBB1165_190:                           ;   in Loop: Header=BB1165_175 Depth=1
                                        ; implicit-def: $vgpr7
	s_cbranch_execz .LBB1165_175
; %bb.191:
	s_and_saveexec_b64 s[60:61], s[52:53]
	s_cbranch_execz .LBB1165_193
; %bb.192:
	s_and_b32 s52, s68, 0xff
	s_cmp_eq_u32 s52, 0
	s_cselect_b64 vcc, -1, 0
	s_bitcmp1_b32 s68, 0
	s_mov_b32 s53, 0
	s_cselect_b64 s[64:65], -1, 0
	s_add_i32 s52, s75, 64
	s_lshl_b64 s[52:53], s[52:53], 4
	v_add_f32_e32 v3, v53, v2
	s_add_u32 s52, s72, s52
	v_cndmask_b32_e32 v2, v2, v3, vcc
	v_and_b32_e32 v3, 1, v51
	s_addc_u32 s53, s73, s53
	v_cndmask_b32_e64 v3, v3, 1, s[64:65]
	v_mov_b32_e32 v4, 2
	v_mov_b32_e32 v5, 0
	v_mov_b64_e32 v[6:7], s[52:53]
	;;#ASMSTART
	global_store_dwordx4 v[6:7], v[2:5] off sc1	
s_waitcnt vmcnt(0)
	;;#ASMEND
.LBB1165_193:
	s_or_b64 exec, exec, s[60:61]
	s_and_b64 exec, exec, s[54:55]
	s_cbranch_execz .LBB1165_195
; %bb.194:
	v_mov_b32_e32 v2, 0
	ds_write_b32 v2, v53
	ds_write_b8 v2, v51 offset:4
.LBB1165_195:
	s_or_b64 exec, exec, s[0:1]
	v_mov_b32_e32 v2, 0
	s_waitcnt lgkmcnt(0)
	s_barrier
	ds_read_b32 v3, v2
	v_and_b32_e32 v4, 1, v66
	v_and_b32_e32 v5, 1, v26
	v_cmp_eq_u32_e32 vcc, 1, v4
	s_nop 1
	v_cndmask_b32_e64 v4, v5, 1, vcc
	v_add_f32_e32 v5, v1, v25
	v_cmp_eq_u16_sdwa vcc, v66, v2 src0_sel:BYTE_0 src1_sel:DWORD
	v_cndmask_b32_e64 v4, v4, v66, s[54:55]
	s_nop 0
	v_cndmask_b32_e32 v5, v1, v5, vcc
	v_cndmask_b32_e64 v5, v5, v1, s[54:55]
	s_waitcnt lgkmcnt(0)
	v_add_f32_e32 v3, v5, v3
	v_cmp_eq_u16_sdwa vcc, v4, v2 src0_sel:BYTE_0 src1_sel:DWORD
	s_nop 1
	v_cndmask_b32_e32 v63, v5, v3, vcc
	v_add_f32_e32 v2, v44, v63
	v_cndmask_b32_e64 v26, v44, v2, s[6:7]
	v_add_f32_e32 v2, v45, v26
	v_cndmask_b32_e64 v27, v45, v2, s[8:9]
	;; [unrolled: 2-line block ×22, first 2 shown]
	s_branch .LBB1165_218
.LBB1165_196:
                                        ; implicit-def: $vgpr61
                                        ; implicit-def: $vgpr60
                                        ; implicit-def: $vgpr59
                                        ; implicit-def: $vgpr58
                                        ; implicit-def: $vgpr57
                                        ; implicit-def: $vgpr56
                                        ; implicit-def: $vgpr55
                                        ; implicit-def: $vgpr54
                                        ; implicit-def: $vgpr53
                                        ; implicit-def: $vgpr52
                                        ; implicit-def: $vgpr51
                                        ; implicit-def: $vgpr50
                                        ; implicit-def: $vgpr49
                                        ; implicit-def: $vgpr48
                                        ; implicit-def: $vgpr47
                                        ; implicit-def: $vgpr31
                                        ; implicit-def: $vgpr30
                                        ; implicit-def: $vgpr29
                                        ; implicit-def: $vgpr28
                                        ; implicit-def: $vgpr27
                                        ; implicit-def: $vgpr26
                                        ; implicit-def: $vgpr63
                                        ; implicit-def: $vgpr62
	s_cbranch_execz .LBB1165_218
; %bb.197:
	s_cmp_lg_u64 s[76:77], 0
	s_cselect_b32 s7, s67, 0
	s_cselect_b32 s6, s66, 0
	s_cmp_lg_u64 s[6:7], 0
	s_cselect_b64 s[0:1], -1, 0
	s_and_b64 s[8:9], s[54:55], s[0:1]
	s_and_saveexec_b64 s[0:1], s[8:9]
	s_cbranch_execz .LBB1165_199
; %bb.198:
	v_mov_b32_e32 v2, 0
	global_load_dword v3, v2, s[6:7]
	global_load_ubyte v4, v2, s[6:7] offset:4
	v_and_b32_e32 v5, 1, v66
	v_cmp_eq_u16_sdwa vcc, v66, v2 src0_sel:BYTE_0 src1_sel:DWORD
	s_waitcnt vmcnt(1)
	v_add_f32_e32 v3, v1, v3
	s_waitcnt vmcnt(0)
	v_and_b32_e32 v4, 1, v4
	v_cndmask_b32_e32 v1, v1, v3, vcc
	v_cmp_eq_u32_e32 vcc, 1, v5
	s_nop 1
	v_cndmask_b32_e64 v66, v4, 1, vcc
.LBB1165_199:
	s_or_b64 exec, exec, s[0:1]
	v_mov_b32_e32 v7, 0
	v_add_f32_e32 v2, v44, v1
	v_cmp_eq_u16_sdwa vcc, v67, v7 src0_sel:BYTE_0 src1_sel:DWORD
	v_cmp_eq_u16_sdwa s[6:7], v68, v7 src0_sel:BYTE_0 src1_sel:DWORD
	v_cmp_eq_u16_sdwa s[8:9], v69, v7 src0_sel:BYTE_0 src1_sel:DWORD
	v_cndmask_b32_e32 v26, v44, v2, vcc
	v_add_f32_e32 v2, v45, v26
	v_cndmask_b32_e64 v27, v45, v2, s[6:7]
	v_add_f32_e32 v2, v42, v27
	v_cndmask_b32_e64 v28, v42, v2, s[8:9]
	v_add_f32_e32 v2, v43, v28
	v_cmp_eq_u16_sdwa s[10:11], v70, v7 src0_sel:BYTE_0 src1_sel:DWORD
	v_cmp_eq_u16_sdwa s[12:13], v71, v7 src0_sel:BYTE_0 src1_sel:DWORD
	v_cmp_eq_u16_sdwa s[14:15], v72, v7 src0_sel:BYTE_0 src1_sel:DWORD
	v_cndmask_b32_e64 v29, v43, v2, s[10:11]
	v_add_f32_e32 v2, v38, v29
	v_cndmask_b32_e64 v30, v38, v2, s[12:13]
	v_add_f32_e32 v2, v39, v30
	v_cndmask_b32_e64 v31, v39, v2, s[14:15]
	v_add_f32_e32 v2, v36, v31
	v_cmp_eq_u16_sdwa s[16:17], v73, v7 src0_sel:BYTE_0 src1_sel:DWORD
	v_cmp_eq_u16_sdwa s[18:19], v74, v7 src0_sel:BYTE_0 src1_sel:DWORD
	v_cmp_eq_u16_sdwa s[20:21], v76, v7 src0_sel:BYTE_0 src1_sel:DWORD
	v_cndmask_b32_e64 v47, v36, v2, s[16:17]
	;; [unrolled: 9-line block ×6, first 2 shown]
	v_add_f32_e32 v2, v11, v59
	v_cndmask_b32_e64 v60, v11, v2, s[44:45]
	v_add_f32_e32 v2, v12, v60
	v_cndmask_b32_e64 v61, v12, v2, s[46:47]
	v_add_f32_e32 v2, v41, v61
	v_cmp_eq_u16_sdwa s[48:49], v46, v7 src0_sel:BYTE_0 src1_sel:DWORD
	v_and_b32_e32 v3, 0xff, v66
	s_nop 0
	v_cndmask_b32_e64 v62, v41, v2, s[48:49]
	v_or_b32_e32 v2, v24, v86
	v_or_b32_e32 v2, v2, v85
	;; [unrolled: 1-line block ×19, first 2 shown]
	v_and_b32_e32 v2, 1, v2
	v_cmp_eq_u32_e64 s[0:1], 1, v2
	v_add_lshl_u32 v2, v13, v0, 3
	s_nop 0
	v_cndmask_b32_e64 v5, v3, 1, s[0:1]
	v_cmp_gt_u32_e64 s[0:1], 64, v0
	ds_write_b32 v2, v62
	ds_write_b8 v2, v5 offset:4
	s_waitcnt lgkmcnt(0)
	s_barrier
	s_and_saveexec_b64 s[50:51], s[0:1]
	s_cbranch_execz .LBB1165_213
; %bb.200:
	v_lshrrev_b32_e32 v2, 3, v0
	v_add_lshl_u32 v4, v2, v40, 3
	ds_read2_b32 v[8:9], v4 offset0:2 offset1:4
	ds_read_b64 v[2:3], v4
	ds_read_u8 v13, v4 offset:12
	ds_read_u8 v20, v4 offset:20
	ds_read_b32 v22, v4 offset:24
	ds_read_u8 v23, v4 offset:28
	s_waitcnt lgkmcnt(4)
	v_add_f32_e32 v6, v2, v8
	s_waitcnt lgkmcnt(3)
	v_cmp_eq_u16_sdwa s[0:1], v13, v7 src0_sel:BYTE_0 src1_sel:DWORD
	v_and_b32_e32 v21, 0xffffff00, v3
	s_nop 0
	v_cndmask_b32_e64 v8, v8, v6, s[0:1]
	v_add_f32_e32 v8, v9, v8
	s_waitcnt lgkmcnt(2)
	v_cmp_eq_u16_sdwa s[0:1], v20, v7 src0_sel:BYTE_0 src1_sel:DWORD
	v_and_b32_e32 v6, 1, v3
	s_nop 0
	v_cndmask_b32_e64 v7, v9, v8, s[0:1]
	s_waitcnt lgkmcnt(0)
	v_or_b32_e32 v8, v23, v20
	v_or_b32_e32 v8, v8, v13
	v_add_f32_e32 v7, v22, v7
	v_cmp_eq_u16_e64 s[0:1], 0, v23
	v_and_b32_e32 v8, 1, v8
	s_nop 0
	v_cndmask_b32_e64 v7, v22, v7, s[0:1]
	v_cmp_eq_u32_e64 s[0:1], 1, v8
	v_mbcnt_lo_u32_b32 v8, -1, 0
	v_mbcnt_hi_u32_b32 v8, -1, v8
	v_cndmask_b32_e64 v13, v6, 1, s[0:1]
	v_or_b32_e32 v9, v13, v21
	v_and_b32_e32 v20, 15, v8
	v_mov_b32_dpp v23, v7 row_shr:1 row_mask:0xf bank_mask:0xf
	v_mov_b32_dpp v22, v9 row_shr:1 row_mask:0xf bank_mask:0xf
	v_cmp_ne_u32_e64 s[0:1], 0, v20
	s_and_saveexec_b64 s[52:53], s[0:1]
; %bb.201:
	v_add_f32_e32 v9, v7, v23
	v_cmp_eq_u32_e64 s[0:1], 0, v13
	s_nop 1
	v_cndmask_b32_e64 v7, v7, v9, s[0:1]
	v_and_b32_e32 v9, 1, v13
	v_and_b32_e32 v13, 1, v22
	v_cmp_eq_u32_e64 s[0:1], 1, v9
	s_nop 1
	v_cndmask_b32_e64 v13, v13, 1, s[0:1]
	v_or_b32_e32 v9, v13, v21
; %bb.202:
	s_or_b64 exec, exec, s[52:53]
	v_mov_b32_dpp v22, v7 row_shr:2 row_mask:0xf bank_mask:0xf
	v_mov_b32_dpp v21, v9 row_shr:2 row_mask:0xf bank_mask:0xf
	v_cmp_lt_u32_e64 s[0:1], 1, v20
	s_and_saveexec_b64 s[52:53], s[0:1]
; %bb.203:
	v_add_f32_e32 v22, v7, v22
	v_cmp_eq_u32_e64 s[0:1], 0, v13
	v_and_b32_e32 v13, 1, v13
	v_and_b32_e32 v21, 1, v21
	v_cndmask_b32_e64 v7, v7, v22, s[0:1]
	v_cmp_eq_u32_e64 s[0:1], 1, v13
	s_nop 1
	v_cndmask_b32_e64 v13, v21, 1, s[0:1]
	s_movk_i32 s0, 0xff00
	v_and_or_b32 v9, v9, s0, v13
; %bb.204:
	s_or_b64 exec, exec, s[52:53]
	v_mov_b32_dpp v22, v7 row_shr:4 row_mask:0xf bank_mask:0xf
	v_mov_b32_dpp v21, v9 row_shr:4 row_mask:0xf bank_mask:0xf
	v_cmp_lt_u32_e64 s[0:1], 3, v20
	s_and_saveexec_b64 s[52:53], s[0:1]
; %bb.205:
	v_add_f32_e32 v22, v7, v22
	v_cmp_eq_u32_e64 s[0:1], 0, v13
	v_and_b32_e32 v13, 1, v13
	v_and_b32_e32 v21, 1, v21
	v_cndmask_b32_e64 v7, v7, v22, s[0:1]
	v_cmp_eq_u32_e64 s[0:1], 1, v13
	s_nop 1
	v_cndmask_b32_e64 v13, v21, 1, s[0:1]
	s_movk_i32 s0, 0xff00
	v_and_or_b32 v9, v9, s0, v13
; %bb.206:
	s_or_b64 exec, exec, s[52:53]
	v_mov_b32_dpp v22, v7 row_shr:8 row_mask:0xf bank_mask:0xf
	v_mov_b32_dpp v21, v9 row_shr:8 row_mask:0xf bank_mask:0xf
	v_cmp_lt_u32_e64 s[0:1], 7, v20
	s_and_saveexec_b64 s[52:53], s[0:1]
; %bb.207:
	v_add_f32_e32 v20, v7, v22
	v_cmp_eq_u32_e64 s[0:1], 0, v13
	v_and_b32_e32 v13, 1, v13
	s_nop 0
	v_cndmask_b32_e64 v7, v7, v20, s[0:1]
	v_and_b32_e32 v20, 1, v21
	v_cmp_eq_u32_e64 s[0:1], 1, v13
	s_nop 1
	v_cndmask_b32_e64 v13, v20, 1, s[0:1]
	s_movk_i32 s0, 0xff00
	v_and_or_b32 v9, v9, s0, v13
; %bb.208:
	s_or_b64 exec, exec, s[52:53]
	v_and_b32_e32 v22, 16, v8
	v_mov_b32_dpp v21, v7 row_bcast:15 row_mask:0xf bank_mask:0xf
	v_mov_b32_dpp v20, v9 row_bcast:15 row_mask:0xf bank_mask:0xf
	v_cmp_ne_u32_e64 s[0:1], 0, v22
	s_and_saveexec_b64 s[52:53], s[0:1]
; %bb.209:
	v_add_f32_e32 v21, v7, v21
	v_cmp_eq_u32_e64 s[0:1], 0, v13
	v_and_b32_e32 v13, 1, v13
	v_and_b32_e32 v20, 1, v20
	v_cndmask_b32_e64 v7, v7, v21, s[0:1]
	v_cmp_eq_u32_e64 s[0:1], 1, v13
	s_nop 1
	v_cndmask_b32_e64 v13, v20, 1, s[0:1]
	s_movk_i32 s0, 0xff00
	v_and_or_b32 v9, v9, s0, v13
; %bb.210:
	s_or_b64 exec, exec, s[52:53]
	v_mov_b32_dpp v21, v7 row_bcast:31 row_mask:0xf bank_mask:0xf
	v_mov_b32_dpp v20, v9 row_bcast:31 row_mask:0xf bank_mask:0xf
	v_cmp_lt_u32_e64 s[0:1], 31, v8
	s_and_saveexec_b64 s[52:53], s[0:1]
; %bb.211:
	v_add_f32_e32 v21, v7, v21
	v_cmp_eq_u32_e64 s[0:1], 0, v13
	v_and_b32_e32 v13, 1, v13
	v_and_b32_e32 v20, 1, v20
	v_cndmask_b32_e64 v7, v7, v21, s[0:1]
	v_cmp_eq_u32_e64 s[0:1], 1, v13
	s_nop 1
	v_cndmask_b32_e64 v13, v20, 1, s[0:1]
	s_movk_i32 s0, 0xff00
	v_and_or_b32 v9, v9, s0, v13
; %bb.212:
	s_or_b64 exec, exec, s[52:53]
	v_add_u32_e32 v13, -1, v8
	v_and_b32_e32 v20, 64, v8
	v_cmp_lt_i32_e64 s[0:1], v13, v20
	; wave barrier
	s_nop 1
	v_cndmask_b32_e64 v8, v13, v8, s[0:1]
	v_lshlrev_b32_e32 v8, 2, v8
	ds_bpermute_b32 v7, v8, v7
	ds_bpermute_b32 v8, v8, v9
	v_mov_b32_e32 v9, 0
	v_cmp_eq_u32_sdwa s[0:1], v3, v9 src0_sel:BYTE_0 src1_sel:DWORD
	s_waitcnt lgkmcnt(1)
	v_add_f32_e32 v7, v2, v7
	v_cndmask_b32_e64 v2, v2, v7, s[0:1]
	s_waitcnt lgkmcnt(0)
	v_and_b32_e32 v3, 1, v8
	v_cmp_eq_u32_e64 s[0:1], 1, v6
	v_cndmask_b32_e64 v6, v2, v62, s[54:55]
	s_nop 0
	v_cndmask_b32_e64 v3, v3, 1, s[0:1]
	v_cndmask_b32_e64 v5, v3, v5, s[54:55]
	ds_write_b32 v4, v6
	ds_write_b8 v4, v5 offset:4
	; wave barrier
	ds_read2_b32 v[2:3], v4 offset0:2 offset1:4
	ds_read_u8 v7, v4 offset:12
	ds_read_u8 v8, v4 offset:20
	ds_read_b32 v9, v4 offset:24
	ds_read_u8 v13, v4 offset:28
	s_waitcnt lgkmcnt(4)
	v_add_f32_e32 v6, v6, v2
	s_waitcnt lgkmcnt(3)
	v_cmp_eq_u16_e64 s[0:1], 0, v7
	s_nop 1
	v_cndmask_b32_e64 v2, v2, v6, s[0:1]
	v_and_b32_e32 v6, 1, v7
	v_cmp_eq_u32_e64 s[0:1], 1, v6
	v_add_f32_e32 v6, v2, v3
	s_nop 0
	v_cndmask_b32_e64 v5, v5, 1, s[0:1]
	s_waitcnt lgkmcnt(2)
	v_cmp_eq_u16_e64 s[0:1], 0, v8
	ds_write_b8 v4, v5 offset:12
	s_nop 0
	v_cndmask_b32_e64 v3, v3, v6, s[0:1]
	v_and_b32_e32 v6, 1, v8
	v_cmp_eq_u32_e64 s[0:1], 1, v6
	s_nop 1
	v_cndmask_b32_e64 v5, v5, 1, s[0:1]
	ds_write2_b32 v4, v2, v3 offset0:2 offset1:4
	ds_write_b8 v4, v5 offset:20
	s_waitcnt lgkmcnt(4)
	v_add_f32_e32 v2, v3, v9
	s_waitcnt lgkmcnt(3)
	v_cmp_eq_u16_e64 s[0:1], 0, v13
	v_and_b32_e32 v3, 1, v13
	s_nop 0
	v_cndmask_b32_e64 v2, v9, v2, s[0:1]
	v_cmp_eq_u32_e64 s[0:1], 1, v3
	s_nop 1
	v_cndmask_b32_e64 v3, v5, 1, s[0:1]
	ds_write_b32 v4, v2 offset:24
	ds_write_b8 v4, v3 offset:28
.LBB1165_213:
	s_or_b64 exec, exec, s[50:51]
	v_mov_b32_e32 v2, v62
	s_waitcnt lgkmcnt(0)
	s_barrier
	s_and_saveexec_b64 s[0:1], s[4:5]
	s_cbranch_execnz .LBB1165_291
; %bb.214:
	s_or_b64 exec, exec, s[0:1]
	s_and_saveexec_b64 s[50:51], s[4:5]
	s_cbranch_execnz .LBB1165_292
.LBB1165_215:
	s_or_b64 exec, exec, s[50:51]
	s_and_saveexec_b64 s[0:1], s[54:55]
	s_cbranch_execz .LBB1165_217
.LBB1165_216:
	v_mov_b32_e32 v5, 0
	s_waitcnt lgkmcnt(0)
	ds_read_b32 v2, v5 offset:2096
	ds_read_u8 v3, v5 offset:2100
	s_add_u32 s4, s72, 0x400
	s_addc_u32 s5, s73, 0
	v_mov_b32_e32 v4, 2
	v_mov_b64_e32 v[6:7], s[4:5]
	s_waitcnt lgkmcnt(0)
	;;#ASMSTART
	global_store_dwordx4 v[6:7], v[2:5] off sc1	
s_waitcnt vmcnt(0)
	;;#ASMEND
.LBB1165_217:
	s_or_b64 exec, exec, s[0:1]
	v_mov_b32_e32 v63, v1
.LBB1165_218:
	s_add_u32 s0, s62, s58
	s_addc_u32 s1, s63, s59
	s_add_u32 s0, s0, s56
	s_addc_u32 s1, s1, s57
	s_and_b64 vcc, exec, s[2:3]
	s_cbranch_vccz .LBB1165_264
; %bb.219:
	s_movk_i32 s2, 0x5c
	v_mul_i32_i24_e32 v32, 0xffffffa8, v0
	v_mul_u32_u24_e32 v1, 0x5c, v0
	s_waitcnt lgkmcnt(0)
	v_mad_u32_u24 v2, v0, s2, v32
	s_barrier
	ds_write2_b32 v1, v63, v26 offset1:1
	ds_write2_b32 v1, v27, v28 offset0:2 offset1:3
	ds_write2_b32 v1, v29, v30 offset0:4 offset1:5
	;; [unrolled: 1-line block ×10, first 2 shown]
	ds_write_b32 v1, v62 offset:88
	s_waitcnt lgkmcnt(0)
	s_barrier
	ds_read2st64_b32 v[24:25], v2 offset0:4 offset1:8
	ds_read2st64_b32 v[22:23], v2 offset0:12 offset1:16
	;; [unrolled: 1-line block ×11, first 2 shown]
	s_add_i32 s33, s33, s74
	v_mov_b32_e32 v41, 0
	v_lshl_add_u64 v[4:5], s[0:1], 0, v[40:41]
	v_cmp_gt_u32_e32 vcc, s33, v0
	s_and_saveexec_b64 s[2:3], vcc
	s_cbranch_execz .LBB1165_221
; %bb.220:
	v_add_u32_e32 v1, v1, v32
	ds_read_b32 v1, v1
	s_waitcnt lgkmcnt(0)
	flat_store_dword v[4:5], v1
.LBB1165_221:
	s_or_b64 exec, exec, s[2:3]
	v_or_b32_e32 v1, 0x100, v0
	v_cmp_gt_u32_e32 vcc, s33, v1
	s_and_saveexec_b64 s[2:3], vcc
	s_cbranch_execz .LBB1165_223
; %bb.222:
	s_waitcnt lgkmcnt(0)
	flat_store_dword v[4:5], v24 offset:1024
.LBB1165_223:
	s_or_b64 exec, exec, s[2:3]
	v_or_b32_e32 v1, 0x200, v0
	v_cmp_gt_u32_e32 vcc, s33, v1
	s_and_saveexec_b64 s[2:3], vcc
	s_cbranch_execz .LBB1165_225
; %bb.224:
	s_waitcnt lgkmcnt(0)
	flat_store_dword v[4:5], v25 offset:2048
.LBB1165_225:
	;; [unrolled: 9-line block ×3, first 2 shown]
	s_or_b64 exec, exec, s[2:3]
	v_or_b32_e32 v1, 0x400, v0
	v_cmp_gt_u32_e32 vcc, s33, v1
	s_and_saveexec_b64 s[2:3], vcc
	s_cbranch_execz .LBB1165_229
; %bb.228:
	s_waitcnt lgkmcnt(0)
	v_add_co_u32_e32 v24, vcc, 0x1000, v4
	s_nop 1
	v_addc_co_u32_e32 v25, vcc, 0, v5, vcc
	flat_store_dword v[24:25], v23
.LBB1165_229:
	s_or_b64 exec, exec, s[2:3]
	v_or_b32_e32 v1, 0x500, v0
	v_cmp_gt_u32_e32 vcc, s33, v1
	s_and_saveexec_b64 s[2:3], vcc
	s_cbranch_execz .LBB1165_231
; %bb.230:
	s_waitcnt lgkmcnt(0)
	v_add_co_u32_e32 v22, vcc, 0x1000, v4
	s_nop 1
	v_addc_co_u32_e32 v23, vcc, 0, v5, vcc
	flat_store_dword v[22:23], v20 offset:1024
.LBB1165_231:
	s_or_b64 exec, exec, s[2:3]
	v_or_b32_e32 v1, 0x600, v0
	v_cmp_gt_u32_e32 vcc, s33, v1
	s_and_saveexec_b64 s[2:3], vcc
	s_cbranch_execz .LBB1165_233
; %bb.232:
	s_waitcnt lgkmcnt(0)
	v_add_co_u32_e32 v22, vcc, 0x1000, v4
	s_nop 1
	v_addc_co_u32_e32 v23, vcc, 0, v5, vcc
	flat_store_dword v[22:23], v21 offset:2048
.LBB1165_233:
	s_or_b64 exec, exec, s[2:3]
	v_or_b32_e32 v1, 0x700, v0
	v_cmp_gt_u32_e32 vcc, s33, v1
	s_and_saveexec_b64 s[2:3], vcc
	s_cbranch_execz .LBB1165_235
; %bb.234:
	s_waitcnt lgkmcnt(0)
	v_add_co_u32_e32 v20, vcc, 0x1000, v4
	s_nop 1
	v_addc_co_u32_e32 v21, vcc, 0, v5, vcc
	flat_store_dword v[20:21], v18 offset:3072
.LBB1165_235:
	s_or_b64 exec, exec, s[2:3]
	v_or_b32_e32 v1, 0x800, v0
	v_cmp_gt_u32_e32 vcc, s33, v1
	s_and_saveexec_b64 s[2:3], vcc
	s_cbranch_execz .LBB1165_237
; %bb.236:
	s_waitcnt lgkmcnt(0)
	v_add_co_u32_e32 v20, vcc, 0x2000, v4
	s_nop 1
	v_addc_co_u32_e32 v21, vcc, 0, v5, vcc
	flat_store_dword v[20:21], v19
.LBB1165_237:
	s_or_b64 exec, exec, s[2:3]
	v_or_b32_e32 v1, 0x900, v0
	v_cmp_gt_u32_e32 vcc, s33, v1
	s_and_saveexec_b64 s[2:3], vcc
	s_cbranch_execz .LBB1165_239
; %bb.238:
	s_waitcnt lgkmcnt(0)
	v_add_co_u32_e32 v18, vcc, 0x2000, v4
	s_nop 1
	v_addc_co_u32_e32 v19, vcc, 0, v5, vcc
	flat_store_dword v[18:19], v16 offset:1024
.LBB1165_239:
	s_or_b64 exec, exec, s[2:3]
	v_or_b32_e32 v1, 0xa00, v0
	v_cmp_gt_u32_e32 vcc, s33, v1
	s_and_saveexec_b64 s[2:3], vcc
	s_cbranch_execz .LBB1165_241
; %bb.240:
	s_waitcnt lgkmcnt(0)
	v_add_co_u32_e32 v18, vcc, 0x2000, v4
	s_nop 1
	v_addc_co_u32_e32 v19, vcc, 0, v5, vcc
	flat_store_dword v[18:19], v17 offset:2048
.LBB1165_241:
	s_or_b64 exec, exec, s[2:3]
	v_or_b32_e32 v1, 0xb00, v0
	v_cmp_gt_u32_e32 vcc, s33, v1
	s_and_saveexec_b64 s[2:3], vcc
	s_cbranch_execz .LBB1165_243
; %bb.242:
	s_waitcnt lgkmcnt(0)
	v_add_co_u32_e32 v16, vcc, 0x2000, v4
	s_nop 1
	v_addc_co_u32_e32 v17, vcc, 0, v5, vcc
	flat_store_dword v[16:17], v14 offset:3072
.LBB1165_243:
	;; [unrolled: 48-line block ×4, first 2 shown]
	s_or_b64 exec, exec, s[2:3]
	v_or_b32_e32 v1, 0x1400, v0
	v_cmp_gt_u32_e32 vcc, s33, v1
	s_and_saveexec_b64 s[2:3], vcc
	s_cbranch_execz .LBB1165_261
; %bb.260:
	s_waitcnt lgkmcnt(0)
	v_add_co_u32_e32 v8, vcc, 0x5000, v4
	s_nop 1
	v_addc_co_u32_e32 v9, vcc, 0, v5, vcc
	flat_store_dword v[8:9], v7
.LBB1165_261:
	s_or_b64 exec, exec, s[2:3]
	v_or_b32_e32 v1, 0x1500, v0
	v_cmp_gt_u32_e32 vcc, s33, v1
	s_and_saveexec_b64 s[2:3], vcc
	s_cbranch_execz .LBB1165_263
; %bb.262:
	v_add_co_u32_e32 v4, vcc, 0x5000, v4
	s_nop 1
	v_addc_co_u32_e32 v5, vcc, 0, v5, vcc
	s_waitcnt lgkmcnt(0)
	flat_store_dword v[4:5], v2 offset:1024
.LBB1165_263:
	s_or_b64 exec, exec, s[2:3]
	s_waitcnt lgkmcnt(0)
	v_or_b32_e32 v2, 0x1600, v0
	v_mov_b32_e32 v1, v41
	v_cmp_gt_u32_e64 s[2:3], s33, v2
	s_branch .LBB1165_266
.LBB1165_264:
	s_mov_b64 s[2:3], 0
                                        ; implicit-def: $vgpr3
	s_cbranch_execz .LBB1165_266
; %bb.265:
	v_mul_u32_u24_e32 v1, 0x5c, v0
	s_waitcnt lgkmcnt(0)
	s_barrier
	s_movk_i32 s4, 0x5c
	ds_write2_b32 v1, v63, v26 offset1:1
	ds_write2_b32 v1, v27, v28 offset0:2 offset1:3
	ds_write2_b32 v1, v29, v30 offset0:4 offset1:5
	;; [unrolled: 1-line block ×10, first 2 shown]
	ds_write_b32 v1, v62 offset:88
	v_mov_b32_e32 v1, 0
	v_mul_i32_i24_e32 v2, 0xffffffa8, v0
	v_mad_u32_u24 v2, v0, s4, v2
	v_mov_b32_e32 v41, v1
	s_waitcnt lgkmcnt(0)
	s_barrier
	ds_read2st64_b32 v[4:5], v2 offset1:4
	ds_read2st64_b32 v[6:7], v2 offset0:8 offset1:12
	ds_read2st64_b32 v[8:9], v2 offset0:16 offset1:20
	;; [unrolled: 1-line block ×10, first 2 shown]
	ds_read_b32 v3, v2 offset:22528
	v_lshl_add_u64 v[26:27], s[0:1], 0, v[40:41]
	s_movk_i32 s4, 0x1000
	s_waitcnt lgkmcnt(0)
	flat_store_dword v[26:27], v4
	flat_store_dword v[26:27], v5 offset:1024
	flat_store_dword v[26:27], v6 offset:2048
	;; [unrolled: 1-line block ×3, first 2 shown]
	v_add_co_u32_e32 v4, vcc, s4, v26
	s_movk_i32 s4, 0x2000
	s_nop 0
	v_addc_co_u32_e32 v5, vcc, 0, v27, vcc
	flat_store_dword v[4:5], v8
	flat_store_dword v[4:5], v9 offset:1024
	flat_store_dword v[4:5], v10 offset:2048
	;; [unrolled: 1-line block ×3, first 2 shown]
	v_add_co_u32_e32 v4, vcc, s4, v26
	s_movk_i32 s4, 0x3000
	s_nop 0
	v_addc_co_u32_e32 v5, vcc, 0, v27, vcc
	flat_store_dword v[4:5], v12
	flat_store_dword v[4:5], v13 offset:1024
	flat_store_dword v[4:5], v14 offset:2048
	;; [unrolled: 1-line block ×3, first 2 shown]
	v_add_co_u32_e32 v4, vcc, s4, v26
	s_or_b64 s[2:3], s[2:3], exec
	s_nop 0
	v_addc_co_u32_e32 v5, vcc, 0, v27, vcc
	flat_store_dword v[4:5], v16
	flat_store_dword v[4:5], v17 offset:1024
	flat_store_dword v[4:5], v18 offset:2048
	;; [unrolled: 1-line block ×3, first 2 shown]
	v_add_co_u32_e32 v4, vcc, 0x4000, v26
	s_nop 1
	v_addc_co_u32_e32 v5, vcc, 0, v27, vcc
	flat_store_dword v[4:5], v20
	flat_store_dword v[4:5], v21 offset:1024
	flat_store_dword v[4:5], v22 offset:2048
	;; [unrolled: 1-line block ×3, first 2 shown]
	v_add_co_u32_e32 v4, vcc, 0x5000, v26
	s_nop 1
	v_addc_co_u32_e32 v5, vcc, 0, v27, vcc
	flat_store_dword v[4:5], v24
	flat_store_dword v[4:5], v25 offset:1024
.LBB1165_266:
	s_and_saveexec_b64 s[4:5], s[2:3]
	s_cbranch_execnz .LBB1165_268
; %bb.267:
	s_endpgm
.LBB1165_268:
	v_lshl_add_u64 v[0:1], v[0:1], 2, s[0:1]
	v_add_co_u32_e32 v0, vcc, 0x5000, v0
	s_nop 1
	v_addc_co_u32_e32 v1, vcc, 0, v1, vcc
	flat_store_dword v[0:1], v3 offset:2048
	s_endpgm
.LBB1165_269:
	v_lshl_add_u64 v[44:45], s[60:61], 0, v[38:39]
	flat_load_dword v1, v[44:45]
	s_or_b64 exec, exec, s[0:1]
                                        ; implicit-def: $vgpr44
	s_and_saveexec_b64 s[0:1], s[8:9]
	s_cbranch_execz .LBB1165_59
.LBB1165_270:
	v_mov_b32_e32 v39, 0
	v_lshl_add_u64 v[44:45], s[60:61], 0, v[38:39]
	flat_load_dword v44, v[44:45] offset:1024
	s_or_b64 exec, exec, s[0:1]
                                        ; implicit-def: $vgpr45
	s_and_saveexec_b64 s[0:1], s[10:11]
	s_cbranch_execz .LBB1165_60
.LBB1165_271:
	v_mov_b32_e32 v39, 0
	v_lshl_add_u64 v[66:67], s[60:61], 0, v[38:39]
	flat_load_dword v45, v[66:67] offset:2048
	s_or_b64 exec, exec, s[0:1]
                                        ; implicit-def: $vgpr39
	s_and_saveexec_b64 s[0:1], s[12:13]
	s_cbranch_execz .LBB1165_61
.LBB1165_272:
	v_mov_b32_e32 v39, 0
	v_lshl_add_u64 v[66:67], s[60:61], 0, v[38:39]
	flat_load_dword v39, v[66:67] offset:3072
	s_or_b64 exec, exec, s[0:1]
                                        ; implicit-def: $vgpr3
	s_and_saveexec_b64 s[0:1], s[14:15]
	s_cbranch_execz .LBB1165_62
.LBB1165_273:
	v_mov_b32_e32 v3, 0
	v_lshl_add_u64 v[2:3], s[60:61], 0, v[2:3]
	flat_load_dword v3, v[2:3]
	s_or_b64 exec, exec, s[0:1]
                                        ; implicit-def: $vgpr2
	s_and_saveexec_b64 s[0:1], s[16:17]
	s_cbranch_execz .LBB1165_63
.LBB1165_274:
	v_mov_b32_e32 v5, 0
	v_lshl_add_u64 v[4:5], s[60:61], 0, v[4:5]
	flat_load_dword v2, v[4:5]
	s_or_b64 exec, exec, s[0:1]
                                        ; implicit-def: $vgpr4
	s_and_saveexec_b64 s[0:1], s[18:19]
	s_cbranch_execz .LBB1165_64
.LBB1165_275:
	v_mov_b32_e32 v7, 0
	v_lshl_add_u64 v[4:5], s[60:61], 0, v[6:7]
	flat_load_dword v4, v[4:5]
	s_or_b64 exec, exec, s[0:1]
                                        ; implicit-def: $vgpr5
	s_and_saveexec_b64 s[0:1], s[20:21]
	s_cbranch_execz .LBB1165_65
.LBB1165_276:
	v_mov_b32_e32 v9, 0
	v_lshl_add_u64 v[6:7], s[60:61], 0, v[8:9]
	flat_load_dword v5, v[6:7]
	s_or_b64 exec, exec, s[0:1]
                                        ; implicit-def: $vgpr6
	s_and_saveexec_b64 s[0:1], s[22:23]
	s_cbranch_execz .LBB1165_66
.LBB1165_277:
	v_mov_b32_e32 v11, 0
	v_lshl_add_u64 v[6:7], s[60:61], 0, v[10:11]
	flat_load_dword v6, v[6:7]
	s_or_b64 exec, exec, s[0:1]
                                        ; implicit-def: $vgpr7
	s_and_saveexec_b64 s[0:1], s[24:25]
	s_cbranch_execz .LBB1165_67
.LBB1165_278:
	v_mov_b32_e32 v13, 0
	v_lshl_add_u64 v[8:9], s[60:61], 0, v[12:13]
	flat_load_dword v7, v[8:9]
	s_or_b64 exec, exec, s[0:1]
                                        ; implicit-def: $vgpr8
	s_and_saveexec_b64 s[0:1], s[26:27]
	s_cbranch_execz .LBB1165_68
.LBB1165_279:
	v_mov_b32_e32 v15, 0
	v_lshl_add_u64 v[8:9], s[60:61], 0, v[14:15]
	flat_load_dword v8, v[8:9]
	s_or_b64 exec, exec, s[0:1]
                                        ; implicit-def: $vgpr9
	s_and_saveexec_b64 s[0:1], s[28:29]
	s_cbranch_execz .LBB1165_69
.LBB1165_280:
	v_mov_b32_e32 v17, 0
	v_lshl_add_u64 v[10:11], s[60:61], 0, v[16:17]
	flat_load_dword v9, v[10:11]
	s_or_b64 exec, exec, s[0:1]
                                        ; implicit-def: $vgpr10
	s_and_saveexec_b64 s[0:1], s[30:31]
	s_cbranch_execz .LBB1165_70
.LBB1165_281:
	v_mov_b32_e32 v19, 0
	v_lshl_add_u64 v[10:11], s[60:61], 0, v[18:19]
	flat_load_dword v10, v[10:11]
	s_or_b64 exec, exec, s[0:1]
                                        ; implicit-def: $vgpr11
	s_and_saveexec_b64 s[0:1], s[34:35]
	s_cbranch_execz .LBB1165_71
.LBB1165_282:
	v_mov_b32_e32 v21, 0
	v_lshl_add_u64 v[12:13], s[60:61], 0, v[20:21]
	flat_load_dword v11, v[12:13]
	s_or_b64 exec, exec, s[0:1]
                                        ; implicit-def: $vgpr12
	s_and_saveexec_b64 s[0:1], s[36:37]
	s_cbranch_execz .LBB1165_72
.LBB1165_283:
	v_mov_b32_e32 v23, 0
	v_lshl_add_u64 v[12:13], s[60:61], 0, v[22:23]
	flat_load_dword v12, v[12:13]
	s_or_b64 exec, exec, s[0:1]
                                        ; implicit-def: $vgpr13
	s_and_saveexec_b64 s[0:1], s[38:39]
	s_cbranch_execz .LBB1165_73
.LBB1165_284:
	v_mov_b32_e32 v25, 0
	v_lshl_add_u64 v[14:15], s[60:61], 0, v[24:25]
	flat_load_dword v13, v[14:15]
	s_or_b64 exec, exec, s[0:1]
                                        ; implicit-def: $vgpr14
	s_and_saveexec_b64 s[0:1], s[40:41]
	s_cbranch_execz .LBB1165_74
.LBB1165_285:
	v_mov_b32_e32 v27, 0
	v_lshl_add_u64 v[14:15], s[60:61], 0, v[26:27]
	flat_load_dword v14, v[14:15]
	s_or_b64 exec, exec, s[0:1]
                                        ; implicit-def: $vgpr15
	s_and_saveexec_b64 s[0:1], s[42:43]
	s_cbranch_execz .LBB1165_75
.LBB1165_286:
	v_mov_b32_e32 v29, 0
	v_lshl_add_u64 v[16:17], s[60:61], 0, v[28:29]
	flat_load_dword v15, v[16:17]
	s_or_b64 exec, exec, s[0:1]
                                        ; implicit-def: $vgpr16
	s_and_saveexec_b64 s[0:1], s[44:45]
	s_cbranch_execz .LBB1165_76
.LBB1165_287:
	v_mov_b32_e32 v31, 0
	v_lshl_add_u64 v[16:17], s[60:61], 0, v[30:31]
	flat_load_dword v16, v[16:17]
	s_or_b64 exec, exec, s[0:1]
                                        ; implicit-def: $vgpr17
	s_and_saveexec_b64 s[0:1], s[46:47]
	s_cbranch_execz .LBB1165_77
.LBB1165_288:
	v_mov_b32_e32 v33, 0
	v_lshl_add_u64 v[18:19], s[60:61], 0, v[32:33]
	flat_load_dword v17, v[18:19]
	s_or_b64 exec, exec, s[0:1]
                                        ; implicit-def: $vgpr18
	s_and_saveexec_b64 s[0:1], s[48:49]
	s_cbranch_execz .LBB1165_78
.LBB1165_289:
	v_mov_b32_e32 v35, 0
	v_lshl_add_u64 v[18:19], s[60:61], 0, v[34:35]
	flat_load_dword v18, v[18:19]
	s_or_b64 exec, exec, s[0:1]
                                        ; implicit-def: $vgpr19
	s_and_saveexec_b64 s[0:1], s[50:51]
	s_cbranch_execz .LBB1165_79
.LBB1165_290:
	v_mov_b32_e32 v37, 0
	v_lshl_add_u64 v[20:21], s[60:61], 0, v[36:37]
	flat_load_dword v19, v[20:21]
	s_or_b64 exec, exec, s[0:1]
                                        ; implicit-def: $vgpr20
	s_and_saveexec_b64 s[0:1], s[52:53]
	s_cbranch_execnz .LBB1165_80
	s_branch .LBB1165_81
.LBB1165_291:
	v_add_u32_e32 v2, -1, v0
	v_lshrrev_b32_e32 v3, 5, v2
	v_add_lshl_u32 v2, v3, v2, 3
	ds_read_b32 v2, v2
	s_or_b64 exec, exec, s[0:1]
	s_and_saveexec_b64 s[50:51], s[4:5]
	s_cbranch_execz .LBB1165_215
.LBB1165_292:
	v_mov_b32_e32 v3, 0
	s_waitcnt lgkmcnt(0)
	v_add_f32_e32 v2, v1, v2
	v_cmp_eq_u16_sdwa s[0:1], v66, v3 src0_sel:BYTE_0 src1_sel:DWORD
	;;#ASMSTART
	;;#ASMEND
	s_nop 1
	v_cndmask_b32_e64 v1, v1, v2, s[0:1]
	v_add_f32_e32 v2, v44, v1
	v_cndmask_b32_e32 v26, v44, v2, vcc
	v_add_f32_e32 v2, v45, v26
	v_cndmask_b32_e64 v27, v45, v2, s[6:7]
	v_add_f32_e32 v2, v42, v27
	v_cndmask_b32_e64 v28, v42, v2, s[8:9]
	;; [unrolled: 2-line block ×21, first 2 shown]
	s_or_b64 exec, exec, s[50:51]
	s_and_saveexec_b64 s[0:1], s[54:55]
	s_cbranch_execnz .LBB1165_216
	s_branch .LBB1165_217
.LBB1165_293:
                                        ; implicit-def: $sgpr0_sgpr1
	s_branch .LBB1165_54
.LBB1165_294:
                                        ; implicit-def: $sgpr0_sgpr1
	s_branch .LBB1165_130
	.section	.rodata,"a",@progbits
	.p2align	6, 0x0
	.amdhsa_kernel _ZN7rocprim17ROCPRIM_400000_NS6detail17trampoline_kernelINS0_14default_configENS1_27scan_by_key_config_selectorIifEEZZNS1_16scan_by_key_implILNS1_25lookback_scan_determinismE0ELb0ES3_N6thrust23THRUST_200600_302600_NS6detail15normal_iteratorINS9_10device_ptrIiEEEENSB_INSC_IfEEEESG_fNS9_4plusIvEENS9_8equal_toIvEEfEE10hipError_tPvRmT2_T3_T4_T5_mT6_T7_P12ihipStream_tbENKUlT_T0_E_clISt17integral_constantIbLb0EES10_IbLb1EEEEDaSW_SX_EUlSW_E_NS1_11comp_targetILNS1_3genE5ELNS1_11target_archE942ELNS1_3gpuE9ELNS1_3repE0EEENS1_30default_config_static_selectorELNS0_4arch9wavefront6targetE1EEEvT1_
		.amdhsa_group_segment_fixed_size 25600
		.amdhsa_private_segment_fixed_size 0
		.amdhsa_kernarg_size 112
		.amdhsa_user_sgpr_count 2
		.amdhsa_user_sgpr_dispatch_ptr 0
		.amdhsa_user_sgpr_queue_ptr 0
		.amdhsa_user_sgpr_kernarg_segment_ptr 1
		.amdhsa_user_sgpr_dispatch_id 0
		.amdhsa_user_sgpr_kernarg_preload_length 0
		.amdhsa_user_sgpr_kernarg_preload_offset 0
		.amdhsa_user_sgpr_private_segment_size 0
		.amdhsa_uses_dynamic_stack 0
		.amdhsa_enable_private_segment 0
		.amdhsa_system_sgpr_workgroup_id_x 1
		.amdhsa_system_sgpr_workgroup_id_y 0
		.amdhsa_system_sgpr_workgroup_id_z 0
		.amdhsa_system_sgpr_workgroup_info 0
		.amdhsa_system_vgpr_workitem_id 0
		.amdhsa_next_free_vgpr 92
		.amdhsa_next_free_sgpr 87
		.amdhsa_accum_offset 92
		.amdhsa_reserve_vcc 1
		.amdhsa_float_round_mode_32 0
		.amdhsa_float_round_mode_16_64 0
		.amdhsa_float_denorm_mode_32 3
		.amdhsa_float_denorm_mode_16_64 3
		.amdhsa_dx10_clamp 1
		.amdhsa_ieee_mode 1
		.amdhsa_fp16_overflow 0
		.amdhsa_tg_split 0
		.amdhsa_exception_fp_ieee_invalid_op 0
		.amdhsa_exception_fp_denorm_src 0
		.amdhsa_exception_fp_ieee_div_zero 0
		.amdhsa_exception_fp_ieee_overflow 0
		.amdhsa_exception_fp_ieee_underflow 0
		.amdhsa_exception_fp_ieee_inexact 0
		.amdhsa_exception_int_div_zero 0
	.end_amdhsa_kernel
	.section	.text._ZN7rocprim17ROCPRIM_400000_NS6detail17trampoline_kernelINS0_14default_configENS1_27scan_by_key_config_selectorIifEEZZNS1_16scan_by_key_implILNS1_25lookback_scan_determinismE0ELb0ES3_N6thrust23THRUST_200600_302600_NS6detail15normal_iteratorINS9_10device_ptrIiEEEENSB_INSC_IfEEEESG_fNS9_4plusIvEENS9_8equal_toIvEEfEE10hipError_tPvRmT2_T3_T4_T5_mT6_T7_P12ihipStream_tbENKUlT_T0_E_clISt17integral_constantIbLb0EES10_IbLb1EEEEDaSW_SX_EUlSW_E_NS1_11comp_targetILNS1_3genE5ELNS1_11target_archE942ELNS1_3gpuE9ELNS1_3repE0EEENS1_30default_config_static_selectorELNS0_4arch9wavefront6targetE1EEEvT1_,"axG",@progbits,_ZN7rocprim17ROCPRIM_400000_NS6detail17trampoline_kernelINS0_14default_configENS1_27scan_by_key_config_selectorIifEEZZNS1_16scan_by_key_implILNS1_25lookback_scan_determinismE0ELb0ES3_N6thrust23THRUST_200600_302600_NS6detail15normal_iteratorINS9_10device_ptrIiEEEENSB_INSC_IfEEEESG_fNS9_4plusIvEENS9_8equal_toIvEEfEE10hipError_tPvRmT2_T3_T4_T5_mT6_T7_P12ihipStream_tbENKUlT_T0_E_clISt17integral_constantIbLb0EES10_IbLb1EEEEDaSW_SX_EUlSW_E_NS1_11comp_targetILNS1_3genE5ELNS1_11target_archE942ELNS1_3gpuE9ELNS1_3repE0EEENS1_30default_config_static_selectorELNS0_4arch9wavefront6targetE1EEEvT1_,comdat
.Lfunc_end1165:
	.size	_ZN7rocprim17ROCPRIM_400000_NS6detail17trampoline_kernelINS0_14default_configENS1_27scan_by_key_config_selectorIifEEZZNS1_16scan_by_key_implILNS1_25lookback_scan_determinismE0ELb0ES3_N6thrust23THRUST_200600_302600_NS6detail15normal_iteratorINS9_10device_ptrIiEEEENSB_INSC_IfEEEESG_fNS9_4plusIvEENS9_8equal_toIvEEfEE10hipError_tPvRmT2_T3_T4_T5_mT6_T7_P12ihipStream_tbENKUlT_T0_E_clISt17integral_constantIbLb0EES10_IbLb1EEEEDaSW_SX_EUlSW_E_NS1_11comp_targetILNS1_3genE5ELNS1_11target_archE942ELNS1_3gpuE9ELNS1_3repE0EEENS1_30default_config_static_selectorELNS0_4arch9wavefront6targetE1EEEvT1_, .Lfunc_end1165-_ZN7rocprim17ROCPRIM_400000_NS6detail17trampoline_kernelINS0_14default_configENS1_27scan_by_key_config_selectorIifEEZZNS1_16scan_by_key_implILNS1_25lookback_scan_determinismE0ELb0ES3_N6thrust23THRUST_200600_302600_NS6detail15normal_iteratorINS9_10device_ptrIiEEEENSB_INSC_IfEEEESG_fNS9_4plusIvEENS9_8equal_toIvEEfEE10hipError_tPvRmT2_T3_T4_T5_mT6_T7_P12ihipStream_tbENKUlT_T0_E_clISt17integral_constantIbLb0EES10_IbLb1EEEEDaSW_SX_EUlSW_E_NS1_11comp_targetILNS1_3genE5ELNS1_11target_archE942ELNS1_3gpuE9ELNS1_3repE0EEENS1_30default_config_static_selectorELNS0_4arch9wavefront6targetE1EEEvT1_
                                        ; -- End function
	.section	.AMDGPU.csdata,"",@progbits
; Kernel info:
; codeLenInByte = 16072
; NumSgprs: 93
; NumVgprs: 92
; NumAgprs: 0
; TotalNumVgprs: 92
; ScratchSize: 0
; MemoryBound: 0
; FloatMode: 240
; IeeeMode: 1
; LDSByteSize: 25600 bytes/workgroup (compile time only)
; SGPRBlocks: 11
; VGPRBlocks: 11
; NumSGPRsForWavesPerEU: 93
; NumVGPRsForWavesPerEU: 92
; AccumOffset: 92
; Occupancy: 2
; WaveLimiterHint : 1
; COMPUTE_PGM_RSRC2:SCRATCH_EN: 0
; COMPUTE_PGM_RSRC2:USER_SGPR: 2
; COMPUTE_PGM_RSRC2:TRAP_HANDLER: 0
; COMPUTE_PGM_RSRC2:TGID_X_EN: 1
; COMPUTE_PGM_RSRC2:TGID_Y_EN: 0
; COMPUTE_PGM_RSRC2:TGID_Z_EN: 0
; COMPUTE_PGM_RSRC2:TIDIG_COMP_CNT: 0
; COMPUTE_PGM_RSRC3_GFX90A:ACCUM_OFFSET: 22
; COMPUTE_PGM_RSRC3_GFX90A:TG_SPLIT: 0
	.section	.text._ZN7rocprim17ROCPRIM_400000_NS6detail17trampoline_kernelINS0_14default_configENS1_27scan_by_key_config_selectorIifEEZZNS1_16scan_by_key_implILNS1_25lookback_scan_determinismE0ELb0ES3_N6thrust23THRUST_200600_302600_NS6detail15normal_iteratorINS9_10device_ptrIiEEEENSB_INSC_IfEEEESG_fNS9_4plusIvEENS9_8equal_toIvEEfEE10hipError_tPvRmT2_T3_T4_T5_mT6_T7_P12ihipStream_tbENKUlT_T0_E_clISt17integral_constantIbLb0EES10_IbLb1EEEEDaSW_SX_EUlSW_E_NS1_11comp_targetILNS1_3genE4ELNS1_11target_archE910ELNS1_3gpuE8ELNS1_3repE0EEENS1_30default_config_static_selectorELNS0_4arch9wavefront6targetE1EEEvT1_,"axG",@progbits,_ZN7rocprim17ROCPRIM_400000_NS6detail17trampoline_kernelINS0_14default_configENS1_27scan_by_key_config_selectorIifEEZZNS1_16scan_by_key_implILNS1_25lookback_scan_determinismE0ELb0ES3_N6thrust23THRUST_200600_302600_NS6detail15normal_iteratorINS9_10device_ptrIiEEEENSB_INSC_IfEEEESG_fNS9_4plusIvEENS9_8equal_toIvEEfEE10hipError_tPvRmT2_T3_T4_T5_mT6_T7_P12ihipStream_tbENKUlT_T0_E_clISt17integral_constantIbLb0EES10_IbLb1EEEEDaSW_SX_EUlSW_E_NS1_11comp_targetILNS1_3genE4ELNS1_11target_archE910ELNS1_3gpuE8ELNS1_3repE0EEENS1_30default_config_static_selectorELNS0_4arch9wavefront6targetE1EEEvT1_,comdat
	.protected	_ZN7rocprim17ROCPRIM_400000_NS6detail17trampoline_kernelINS0_14default_configENS1_27scan_by_key_config_selectorIifEEZZNS1_16scan_by_key_implILNS1_25lookback_scan_determinismE0ELb0ES3_N6thrust23THRUST_200600_302600_NS6detail15normal_iteratorINS9_10device_ptrIiEEEENSB_INSC_IfEEEESG_fNS9_4plusIvEENS9_8equal_toIvEEfEE10hipError_tPvRmT2_T3_T4_T5_mT6_T7_P12ihipStream_tbENKUlT_T0_E_clISt17integral_constantIbLb0EES10_IbLb1EEEEDaSW_SX_EUlSW_E_NS1_11comp_targetILNS1_3genE4ELNS1_11target_archE910ELNS1_3gpuE8ELNS1_3repE0EEENS1_30default_config_static_selectorELNS0_4arch9wavefront6targetE1EEEvT1_ ; -- Begin function _ZN7rocprim17ROCPRIM_400000_NS6detail17trampoline_kernelINS0_14default_configENS1_27scan_by_key_config_selectorIifEEZZNS1_16scan_by_key_implILNS1_25lookback_scan_determinismE0ELb0ES3_N6thrust23THRUST_200600_302600_NS6detail15normal_iteratorINS9_10device_ptrIiEEEENSB_INSC_IfEEEESG_fNS9_4plusIvEENS9_8equal_toIvEEfEE10hipError_tPvRmT2_T3_T4_T5_mT6_T7_P12ihipStream_tbENKUlT_T0_E_clISt17integral_constantIbLb0EES10_IbLb1EEEEDaSW_SX_EUlSW_E_NS1_11comp_targetILNS1_3genE4ELNS1_11target_archE910ELNS1_3gpuE8ELNS1_3repE0EEENS1_30default_config_static_selectorELNS0_4arch9wavefront6targetE1EEEvT1_
	.globl	_ZN7rocprim17ROCPRIM_400000_NS6detail17trampoline_kernelINS0_14default_configENS1_27scan_by_key_config_selectorIifEEZZNS1_16scan_by_key_implILNS1_25lookback_scan_determinismE0ELb0ES3_N6thrust23THRUST_200600_302600_NS6detail15normal_iteratorINS9_10device_ptrIiEEEENSB_INSC_IfEEEESG_fNS9_4plusIvEENS9_8equal_toIvEEfEE10hipError_tPvRmT2_T3_T4_T5_mT6_T7_P12ihipStream_tbENKUlT_T0_E_clISt17integral_constantIbLb0EES10_IbLb1EEEEDaSW_SX_EUlSW_E_NS1_11comp_targetILNS1_3genE4ELNS1_11target_archE910ELNS1_3gpuE8ELNS1_3repE0EEENS1_30default_config_static_selectorELNS0_4arch9wavefront6targetE1EEEvT1_
	.p2align	8
	.type	_ZN7rocprim17ROCPRIM_400000_NS6detail17trampoline_kernelINS0_14default_configENS1_27scan_by_key_config_selectorIifEEZZNS1_16scan_by_key_implILNS1_25lookback_scan_determinismE0ELb0ES3_N6thrust23THRUST_200600_302600_NS6detail15normal_iteratorINS9_10device_ptrIiEEEENSB_INSC_IfEEEESG_fNS9_4plusIvEENS9_8equal_toIvEEfEE10hipError_tPvRmT2_T3_T4_T5_mT6_T7_P12ihipStream_tbENKUlT_T0_E_clISt17integral_constantIbLb0EES10_IbLb1EEEEDaSW_SX_EUlSW_E_NS1_11comp_targetILNS1_3genE4ELNS1_11target_archE910ELNS1_3gpuE8ELNS1_3repE0EEENS1_30default_config_static_selectorELNS0_4arch9wavefront6targetE1EEEvT1_,@function
_ZN7rocprim17ROCPRIM_400000_NS6detail17trampoline_kernelINS0_14default_configENS1_27scan_by_key_config_selectorIifEEZZNS1_16scan_by_key_implILNS1_25lookback_scan_determinismE0ELb0ES3_N6thrust23THRUST_200600_302600_NS6detail15normal_iteratorINS9_10device_ptrIiEEEENSB_INSC_IfEEEESG_fNS9_4plusIvEENS9_8equal_toIvEEfEE10hipError_tPvRmT2_T3_T4_T5_mT6_T7_P12ihipStream_tbENKUlT_T0_E_clISt17integral_constantIbLb0EES10_IbLb1EEEEDaSW_SX_EUlSW_E_NS1_11comp_targetILNS1_3genE4ELNS1_11target_archE910ELNS1_3gpuE8ELNS1_3repE0EEENS1_30default_config_static_selectorELNS0_4arch9wavefront6targetE1EEEvT1_: ; @_ZN7rocprim17ROCPRIM_400000_NS6detail17trampoline_kernelINS0_14default_configENS1_27scan_by_key_config_selectorIifEEZZNS1_16scan_by_key_implILNS1_25lookback_scan_determinismE0ELb0ES3_N6thrust23THRUST_200600_302600_NS6detail15normal_iteratorINS9_10device_ptrIiEEEENSB_INSC_IfEEEESG_fNS9_4plusIvEENS9_8equal_toIvEEfEE10hipError_tPvRmT2_T3_T4_T5_mT6_T7_P12ihipStream_tbENKUlT_T0_E_clISt17integral_constantIbLb0EES10_IbLb1EEEEDaSW_SX_EUlSW_E_NS1_11comp_targetILNS1_3genE4ELNS1_11target_archE910ELNS1_3gpuE8ELNS1_3repE0EEENS1_30default_config_static_selectorELNS0_4arch9wavefront6targetE1EEEvT1_
; %bb.0:
	.section	.rodata,"a",@progbits
	.p2align	6, 0x0
	.amdhsa_kernel _ZN7rocprim17ROCPRIM_400000_NS6detail17trampoline_kernelINS0_14default_configENS1_27scan_by_key_config_selectorIifEEZZNS1_16scan_by_key_implILNS1_25lookback_scan_determinismE0ELb0ES3_N6thrust23THRUST_200600_302600_NS6detail15normal_iteratorINS9_10device_ptrIiEEEENSB_INSC_IfEEEESG_fNS9_4plusIvEENS9_8equal_toIvEEfEE10hipError_tPvRmT2_T3_T4_T5_mT6_T7_P12ihipStream_tbENKUlT_T0_E_clISt17integral_constantIbLb0EES10_IbLb1EEEEDaSW_SX_EUlSW_E_NS1_11comp_targetILNS1_3genE4ELNS1_11target_archE910ELNS1_3gpuE8ELNS1_3repE0EEENS1_30default_config_static_selectorELNS0_4arch9wavefront6targetE1EEEvT1_
		.amdhsa_group_segment_fixed_size 0
		.amdhsa_private_segment_fixed_size 0
		.amdhsa_kernarg_size 112
		.amdhsa_user_sgpr_count 2
		.amdhsa_user_sgpr_dispatch_ptr 0
		.amdhsa_user_sgpr_queue_ptr 0
		.amdhsa_user_sgpr_kernarg_segment_ptr 1
		.amdhsa_user_sgpr_dispatch_id 0
		.amdhsa_user_sgpr_kernarg_preload_length 0
		.amdhsa_user_sgpr_kernarg_preload_offset 0
		.amdhsa_user_sgpr_private_segment_size 0
		.amdhsa_uses_dynamic_stack 0
		.amdhsa_enable_private_segment 0
		.amdhsa_system_sgpr_workgroup_id_x 1
		.amdhsa_system_sgpr_workgroup_id_y 0
		.amdhsa_system_sgpr_workgroup_id_z 0
		.amdhsa_system_sgpr_workgroup_info 0
		.amdhsa_system_vgpr_workitem_id 0
		.amdhsa_next_free_vgpr 1
		.amdhsa_next_free_sgpr 0
		.amdhsa_accum_offset 4
		.amdhsa_reserve_vcc 0
		.amdhsa_float_round_mode_32 0
		.amdhsa_float_round_mode_16_64 0
		.amdhsa_float_denorm_mode_32 3
		.amdhsa_float_denorm_mode_16_64 3
		.amdhsa_dx10_clamp 1
		.amdhsa_ieee_mode 1
		.amdhsa_fp16_overflow 0
		.amdhsa_tg_split 0
		.amdhsa_exception_fp_ieee_invalid_op 0
		.amdhsa_exception_fp_denorm_src 0
		.amdhsa_exception_fp_ieee_div_zero 0
		.amdhsa_exception_fp_ieee_overflow 0
		.amdhsa_exception_fp_ieee_underflow 0
		.amdhsa_exception_fp_ieee_inexact 0
		.amdhsa_exception_int_div_zero 0
	.end_amdhsa_kernel
	.section	.text._ZN7rocprim17ROCPRIM_400000_NS6detail17trampoline_kernelINS0_14default_configENS1_27scan_by_key_config_selectorIifEEZZNS1_16scan_by_key_implILNS1_25lookback_scan_determinismE0ELb0ES3_N6thrust23THRUST_200600_302600_NS6detail15normal_iteratorINS9_10device_ptrIiEEEENSB_INSC_IfEEEESG_fNS9_4plusIvEENS9_8equal_toIvEEfEE10hipError_tPvRmT2_T3_T4_T5_mT6_T7_P12ihipStream_tbENKUlT_T0_E_clISt17integral_constantIbLb0EES10_IbLb1EEEEDaSW_SX_EUlSW_E_NS1_11comp_targetILNS1_3genE4ELNS1_11target_archE910ELNS1_3gpuE8ELNS1_3repE0EEENS1_30default_config_static_selectorELNS0_4arch9wavefront6targetE1EEEvT1_,"axG",@progbits,_ZN7rocprim17ROCPRIM_400000_NS6detail17trampoline_kernelINS0_14default_configENS1_27scan_by_key_config_selectorIifEEZZNS1_16scan_by_key_implILNS1_25lookback_scan_determinismE0ELb0ES3_N6thrust23THRUST_200600_302600_NS6detail15normal_iteratorINS9_10device_ptrIiEEEENSB_INSC_IfEEEESG_fNS9_4plusIvEENS9_8equal_toIvEEfEE10hipError_tPvRmT2_T3_T4_T5_mT6_T7_P12ihipStream_tbENKUlT_T0_E_clISt17integral_constantIbLb0EES10_IbLb1EEEEDaSW_SX_EUlSW_E_NS1_11comp_targetILNS1_3genE4ELNS1_11target_archE910ELNS1_3gpuE8ELNS1_3repE0EEENS1_30default_config_static_selectorELNS0_4arch9wavefront6targetE1EEEvT1_,comdat
.Lfunc_end1166:
	.size	_ZN7rocprim17ROCPRIM_400000_NS6detail17trampoline_kernelINS0_14default_configENS1_27scan_by_key_config_selectorIifEEZZNS1_16scan_by_key_implILNS1_25lookback_scan_determinismE0ELb0ES3_N6thrust23THRUST_200600_302600_NS6detail15normal_iteratorINS9_10device_ptrIiEEEENSB_INSC_IfEEEESG_fNS9_4plusIvEENS9_8equal_toIvEEfEE10hipError_tPvRmT2_T3_T4_T5_mT6_T7_P12ihipStream_tbENKUlT_T0_E_clISt17integral_constantIbLb0EES10_IbLb1EEEEDaSW_SX_EUlSW_E_NS1_11comp_targetILNS1_3genE4ELNS1_11target_archE910ELNS1_3gpuE8ELNS1_3repE0EEENS1_30default_config_static_selectorELNS0_4arch9wavefront6targetE1EEEvT1_, .Lfunc_end1166-_ZN7rocprim17ROCPRIM_400000_NS6detail17trampoline_kernelINS0_14default_configENS1_27scan_by_key_config_selectorIifEEZZNS1_16scan_by_key_implILNS1_25lookback_scan_determinismE0ELb0ES3_N6thrust23THRUST_200600_302600_NS6detail15normal_iteratorINS9_10device_ptrIiEEEENSB_INSC_IfEEEESG_fNS9_4plusIvEENS9_8equal_toIvEEfEE10hipError_tPvRmT2_T3_T4_T5_mT6_T7_P12ihipStream_tbENKUlT_T0_E_clISt17integral_constantIbLb0EES10_IbLb1EEEEDaSW_SX_EUlSW_E_NS1_11comp_targetILNS1_3genE4ELNS1_11target_archE910ELNS1_3gpuE8ELNS1_3repE0EEENS1_30default_config_static_selectorELNS0_4arch9wavefront6targetE1EEEvT1_
                                        ; -- End function
	.section	.AMDGPU.csdata,"",@progbits
; Kernel info:
; codeLenInByte = 0
; NumSgprs: 6
; NumVgprs: 0
; NumAgprs: 0
; TotalNumVgprs: 0
; ScratchSize: 0
; MemoryBound: 0
; FloatMode: 240
; IeeeMode: 1
; LDSByteSize: 0 bytes/workgroup (compile time only)
; SGPRBlocks: 0
; VGPRBlocks: 0
; NumSGPRsForWavesPerEU: 6
; NumVGPRsForWavesPerEU: 1
; AccumOffset: 4
; Occupancy: 8
; WaveLimiterHint : 0
; COMPUTE_PGM_RSRC2:SCRATCH_EN: 0
; COMPUTE_PGM_RSRC2:USER_SGPR: 2
; COMPUTE_PGM_RSRC2:TRAP_HANDLER: 0
; COMPUTE_PGM_RSRC2:TGID_X_EN: 1
; COMPUTE_PGM_RSRC2:TGID_Y_EN: 0
; COMPUTE_PGM_RSRC2:TGID_Z_EN: 0
; COMPUTE_PGM_RSRC2:TIDIG_COMP_CNT: 0
; COMPUTE_PGM_RSRC3_GFX90A:ACCUM_OFFSET: 0
; COMPUTE_PGM_RSRC3_GFX90A:TG_SPLIT: 0
	.section	.text._ZN7rocprim17ROCPRIM_400000_NS6detail17trampoline_kernelINS0_14default_configENS1_27scan_by_key_config_selectorIifEEZZNS1_16scan_by_key_implILNS1_25lookback_scan_determinismE0ELb0ES3_N6thrust23THRUST_200600_302600_NS6detail15normal_iteratorINS9_10device_ptrIiEEEENSB_INSC_IfEEEESG_fNS9_4plusIvEENS9_8equal_toIvEEfEE10hipError_tPvRmT2_T3_T4_T5_mT6_T7_P12ihipStream_tbENKUlT_T0_E_clISt17integral_constantIbLb0EES10_IbLb1EEEEDaSW_SX_EUlSW_E_NS1_11comp_targetILNS1_3genE3ELNS1_11target_archE908ELNS1_3gpuE7ELNS1_3repE0EEENS1_30default_config_static_selectorELNS0_4arch9wavefront6targetE1EEEvT1_,"axG",@progbits,_ZN7rocprim17ROCPRIM_400000_NS6detail17trampoline_kernelINS0_14default_configENS1_27scan_by_key_config_selectorIifEEZZNS1_16scan_by_key_implILNS1_25lookback_scan_determinismE0ELb0ES3_N6thrust23THRUST_200600_302600_NS6detail15normal_iteratorINS9_10device_ptrIiEEEENSB_INSC_IfEEEESG_fNS9_4plusIvEENS9_8equal_toIvEEfEE10hipError_tPvRmT2_T3_T4_T5_mT6_T7_P12ihipStream_tbENKUlT_T0_E_clISt17integral_constantIbLb0EES10_IbLb1EEEEDaSW_SX_EUlSW_E_NS1_11comp_targetILNS1_3genE3ELNS1_11target_archE908ELNS1_3gpuE7ELNS1_3repE0EEENS1_30default_config_static_selectorELNS0_4arch9wavefront6targetE1EEEvT1_,comdat
	.protected	_ZN7rocprim17ROCPRIM_400000_NS6detail17trampoline_kernelINS0_14default_configENS1_27scan_by_key_config_selectorIifEEZZNS1_16scan_by_key_implILNS1_25lookback_scan_determinismE0ELb0ES3_N6thrust23THRUST_200600_302600_NS6detail15normal_iteratorINS9_10device_ptrIiEEEENSB_INSC_IfEEEESG_fNS9_4plusIvEENS9_8equal_toIvEEfEE10hipError_tPvRmT2_T3_T4_T5_mT6_T7_P12ihipStream_tbENKUlT_T0_E_clISt17integral_constantIbLb0EES10_IbLb1EEEEDaSW_SX_EUlSW_E_NS1_11comp_targetILNS1_3genE3ELNS1_11target_archE908ELNS1_3gpuE7ELNS1_3repE0EEENS1_30default_config_static_selectorELNS0_4arch9wavefront6targetE1EEEvT1_ ; -- Begin function _ZN7rocprim17ROCPRIM_400000_NS6detail17trampoline_kernelINS0_14default_configENS1_27scan_by_key_config_selectorIifEEZZNS1_16scan_by_key_implILNS1_25lookback_scan_determinismE0ELb0ES3_N6thrust23THRUST_200600_302600_NS6detail15normal_iteratorINS9_10device_ptrIiEEEENSB_INSC_IfEEEESG_fNS9_4plusIvEENS9_8equal_toIvEEfEE10hipError_tPvRmT2_T3_T4_T5_mT6_T7_P12ihipStream_tbENKUlT_T0_E_clISt17integral_constantIbLb0EES10_IbLb1EEEEDaSW_SX_EUlSW_E_NS1_11comp_targetILNS1_3genE3ELNS1_11target_archE908ELNS1_3gpuE7ELNS1_3repE0EEENS1_30default_config_static_selectorELNS0_4arch9wavefront6targetE1EEEvT1_
	.globl	_ZN7rocprim17ROCPRIM_400000_NS6detail17trampoline_kernelINS0_14default_configENS1_27scan_by_key_config_selectorIifEEZZNS1_16scan_by_key_implILNS1_25lookback_scan_determinismE0ELb0ES3_N6thrust23THRUST_200600_302600_NS6detail15normal_iteratorINS9_10device_ptrIiEEEENSB_INSC_IfEEEESG_fNS9_4plusIvEENS9_8equal_toIvEEfEE10hipError_tPvRmT2_T3_T4_T5_mT6_T7_P12ihipStream_tbENKUlT_T0_E_clISt17integral_constantIbLb0EES10_IbLb1EEEEDaSW_SX_EUlSW_E_NS1_11comp_targetILNS1_3genE3ELNS1_11target_archE908ELNS1_3gpuE7ELNS1_3repE0EEENS1_30default_config_static_selectorELNS0_4arch9wavefront6targetE1EEEvT1_
	.p2align	8
	.type	_ZN7rocprim17ROCPRIM_400000_NS6detail17trampoline_kernelINS0_14default_configENS1_27scan_by_key_config_selectorIifEEZZNS1_16scan_by_key_implILNS1_25lookback_scan_determinismE0ELb0ES3_N6thrust23THRUST_200600_302600_NS6detail15normal_iteratorINS9_10device_ptrIiEEEENSB_INSC_IfEEEESG_fNS9_4plusIvEENS9_8equal_toIvEEfEE10hipError_tPvRmT2_T3_T4_T5_mT6_T7_P12ihipStream_tbENKUlT_T0_E_clISt17integral_constantIbLb0EES10_IbLb1EEEEDaSW_SX_EUlSW_E_NS1_11comp_targetILNS1_3genE3ELNS1_11target_archE908ELNS1_3gpuE7ELNS1_3repE0EEENS1_30default_config_static_selectorELNS0_4arch9wavefront6targetE1EEEvT1_,@function
_ZN7rocprim17ROCPRIM_400000_NS6detail17trampoline_kernelINS0_14default_configENS1_27scan_by_key_config_selectorIifEEZZNS1_16scan_by_key_implILNS1_25lookback_scan_determinismE0ELb0ES3_N6thrust23THRUST_200600_302600_NS6detail15normal_iteratorINS9_10device_ptrIiEEEENSB_INSC_IfEEEESG_fNS9_4plusIvEENS9_8equal_toIvEEfEE10hipError_tPvRmT2_T3_T4_T5_mT6_T7_P12ihipStream_tbENKUlT_T0_E_clISt17integral_constantIbLb0EES10_IbLb1EEEEDaSW_SX_EUlSW_E_NS1_11comp_targetILNS1_3genE3ELNS1_11target_archE908ELNS1_3gpuE7ELNS1_3repE0EEENS1_30default_config_static_selectorELNS0_4arch9wavefront6targetE1EEEvT1_: ; @_ZN7rocprim17ROCPRIM_400000_NS6detail17trampoline_kernelINS0_14default_configENS1_27scan_by_key_config_selectorIifEEZZNS1_16scan_by_key_implILNS1_25lookback_scan_determinismE0ELb0ES3_N6thrust23THRUST_200600_302600_NS6detail15normal_iteratorINS9_10device_ptrIiEEEENSB_INSC_IfEEEESG_fNS9_4plusIvEENS9_8equal_toIvEEfEE10hipError_tPvRmT2_T3_T4_T5_mT6_T7_P12ihipStream_tbENKUlT_T0_E_clISt17integral_constantIbLb0EES10_IbLb1EEEEDaSW_SX_EUlSW_E_NS1_11comp_targetILNS1_3genE3ELNS1_11target_archE908ELNS1_3gpuE7ELNS1_3repE0EEENS1_30default_config_static_selectorELNS0_4arch9wavefront6targetE1EEEvT1_
; %bb.0:
	.section	.rodata,"a",@progbits
	.p2align	6, 0x0
	.amdhsa_kernel _ZN7rocprim17ROCPRIM_400000_NS6detail17trampoline_kernelINS0_14default_configENS1_27scan_by_key_config_selectorIifEEZZNS1_16scan_by_key_implILNS1_25lookback_scan_determinismE0ELb0ES3_N6thrust23THRUST_200600_302600_NS6detail15normal_iteratorINS9_10device_ptrIiEEEENSB_INSC_IfEEEESG_fNS9_4plusIvEENS9_8equal_toIvEEfEE10hipError_tPvRmT2_T3_T4_T5_mT6_T7_P12ihipStream_tbENKUlT_T0_E_clISt17integral_constantIbLb0EES10_IbLb1EEEEDaSW_SX_EUlSW_E_NS1_11comp_targetILNS1_3genE3ELNS1_11target_archE908ELNS1_3gpuE7ELNS1_3repE0EEENS1_30default_config_static_selectorELNS0_4arch9wavefront6targetE1EEEvT1_
		.amdhsa_group_segment_fixed_size 0
		.amdhsa_private_segment_fixed_size 0
		.amdhsa_kernarg_size 112
		.amdhsa_user_sgpr_count 2
		.amdhsa_user_sgpr_dispatch_ptr 0
		.amdhsa_user_sgpr_queue_ptr 0
		.amdhsa_user_sgpr_kernarg_segment_ptr 1
		.amdhsa_user_sgpr_dispatch_id 0
		.amdhsa_user_sgpr_kernarg_preload_length 0
		.amdhsa_user_sgpr_kernarg_preload_offset 0
		.amdhsa_user_sgpr_private_segment_size 0
		.amdhsa_uses_dynamic_stack 0
		.amdhsa_enable_private_segment 0
		.amdhsa_system_sgpr_workgroup_id_x 1
		.amdhsa_system_sgpr_workgroup_id_y 0
		.amdhsa_system_sgpr_workgroup_id_z 0
		.amdhsa_system_sgpr_workgroup_info 0
		.amdhsa_system_vgpr_workitem_id 0
		.amdhsa_next_free_vgpr 1
		.amdhsa_next_free_sgpr 0
		.amdhsa_accum_offset 4
		.amdhsa_reserve_vcc 0
		.amdhsa_float_round_mode_32 0
		.amdhsa_float_round_mode_16_64 0
		.amdhsa_float_denorm_mode_32 3
		.amdhsa_float_denorm_mode_16_64 3
		.amdhsa_dx10_clamp 1
		.amdhsa_ieee_mode 1
		.amdhsa_fp16_overflow 0
		.amdhsa_tg_split 0
		.amdhsa_exception_fp_ieee_invalid_op 0
		.amdhsa_exception_fp_denorm_src 0
		.amdhsa_exception_fp_ieee_div_zero 0
		.amdhsa_exception_fp_ieee_overflow 0
		.amdhsa_exception_fp_ieee_underflow 0
		.amdhsa_exception_fp_ieee_inexact 0
		.amdhsa_exception_int_div_zero 0
	.end_amdhsa_kernel
	.section	.text._ZN7rocprim17ROCPRIM_400000_NS6detail17trampoline_kernelINS0_14default_configENS1_27scan_by_key_config_selectorIifEEZZNS1_16scan_by_key_implILNS1_25lookback_scan_determinismE0ELb0ES3_N6thrust23THRUST_200600_302600_NS6detail15normal_iteratorINS9_10device_ptrIiEEEENSB_INSC_IfEEEESG_fNS9_4plusIvEENS9_8equal_toIvEEfEE10hipError_tPvRmT2_T3_T4_T5_mT6_T7_P12ihipStream_tbENKUlT_T0_E_clISt17integral_constantIbLb0EES10_IbLb1EEEEDaSW_SX_EUlSW_E_NS1_11comp_targetILNS1_3genE3ELNS1_11target_archE908ELNS1_3gpuE7ELNS1_3repE0EEENS1_30default_config_static_selectorELNS0_4arch9wavefront6targetE1EEEvT1_,"axG",@progbits,_ZN7rocprim17ROCPRIM_400000_NS6detail17trampoline_kernelINS0_14default_configENS1_27scan_by_key_config_selectorIifEEZZNS1_16scan_by_key_implILNS1_25lookback_scan_determinismE0ELb0ES3_N6thrust23THRUST_200600_302600_NS6detail15normal_iteratorINS9_10device_ptrIiEEEENSB_INSC_IfEEEESG_fNS9_4plusIvEENS9_8equal_toIvEEfEE10hipError_tPvRmT2_T3_T4_T5_mT6_T7_P12ihipStream_tbENKUlT_T0_E_clISt17integral_constantIbLb0EES10_IbLb1EEEEDaSW_SX_EUlSW_E_NS1_11comp_targetILNS1_3genE3ELNS1_11target_archE908ELNS1_3gpuE7ELNS1_3repE0EEENS1_30default_config_static_selectorELNS0_4arch9wavefront6targetE1EEEvT1_,comdat
.Lfunc_end1167:
	.size	_ZN7rocprim17ROCPRIM_400000_NS6detail17trampoline_kernelINS0_14default_configENS1_27scan_by_key_config_selectorIifEEZZNS1_16scan_by_key_implILNS1_25lookback_scan_determinismE0ELb0ES3_N6thrust23THRUST_200600_302600_NS6detail15normal_iteratorINS9_10device_ptrIiEEEENSB_INSC_IfEEEESG_fNS9_4plusIvEENS9_8equal_toIvEEfEE10hipError_tPvRmT2_T3_T4_T5_mT6_T7_P12ihipStream_tbENKUlT_T0_E_clISt17integral_constantIbLb0EES10_IbLb1EEEEDaSW_SX_EUlSW_E_NS1_11comp_targetILNS1_3genE3ELNS1_11target_archE908ELNS1_3gpuE7ELNS1_3repE0EEENS1_30default_config_static_selectorELNS0_4arch9wavefront6targetE1EEEvT1_, .Lfunc_end1167-_ZN7rocprim17ROCPRIM_400000_NS6detail17trampoline_kernelINS0_14default_configENS1_27scan_by_key_config_selectorIifEEZZNS1_16scan_by_key_implILNS1_25lookback_scan_determinismE0ELb0ES3_N6thrust23THRUST_200600_302600_NS6detail15normal_iteratorINS9_10device_ptrIiEEEENSB_INSC_IfEEEESG_fNS9_4plusIvEENS9_8equal_toIvEEfEE10hipError_tPvRmT2_T3_T4_T5_mT6_T7_P12ihipStream_tbENKUlT_T0_E_clISt17integral_constantIbLb0EES10_IbLb1EEEEDaSW_SX_EUlSW_E_NS1_11comp_targetILNS1_3genE3ELNS1_11target_archE908ELNS1_3gpuE7ELNS1_3repE0EEENS1_30default_config_static_selectorELNS0_4arch9wavefront6targetE1EEEvT1_
                                        ; -- End function
	.section	.AMDGPU.csdata,"",@progbits
; Kernel info:
; codeLenInByte = 0
; NumSgprs: 6
; NumVgprs: 0
; NumAgprs: 0
; TotalNumVgprs: 0
; ScratchSize: 0
; MemoryBound: 0
; FloatMode: 240
; IeeeMode: 1
; LDSByteSize: 0 bytes/workgroup (compile time only)
; SGPRBlocks: 0
; VGPRBlocks: 0
; NumSGPRsForWavesPerEU: 6
; NumVGPRsForWavesPerEU: 1
; AccumOffset: 4
; Occupancy: 8
; WaveLimiterHint : 0
; COMPUTE_PGM_RSRC2:SCRATCH_EN: 0
; COMPUTE_PGM_RSRC2:USER_SGPR: 2
; COMPUTE_PGM_RSRC2:TRAP_HANDLER: 0
; COMPUTE_PGM_RSRC2:TGID_X_EN: 1
; COMPUTE_PGM_RSRC2:TGID_Y_EN: 0
; COMPUTE_PGM_RSRC2:TGID_Z_EN: 0
; COMPUTE_PGM_RSRC2:TIDIG_COMP_CNT: 0
; COMPUTE_PGM_RSRC3_GFX90A:ACCUM_OFFSET: 0
; COMPUTE_PGM_RSRC3_GFX90A:TG_SPLIT: 0
	.section	.text._ZN7rocprim17ROCPRIM_400000_NS6detail17trampoline_kernelINS0_14default_configENS1_27scan_by_key_config_selectorIifEEZZNS1_16scan_by_key_implILNS1_25lookback_scan_determinismE0ELb0ES3_N6thrust23THRUST_200600_302600_NS6detail15normal_iteratorINS9_10device_ptrIiEEEENSB_INSC_IfEEEESG_fNS9_4plusIvEENS9_8equal_toIvEEfEE10hipError_tPvRmT2_T3_T4_T5_mT6_T7_P12ihipStream_tbENKUlT_T0_E_clISt17integral_constantIbLb0EES10_IbLb1EEEEDaSW_SX_EUlSW_E_NS1_11comp_targetILNS1_3genE2ELNS1_11target_archE906ELNS1_3gpuE6ELNS1_3repE0EEENS1_30default_config_static_selectorELNS0_4arch9wavefront6targetE1EEEvT1_,"axG",@progbits,_ZN7rocprim17ROCPRIM_400000_NS6detail17trampoline_kernelINS0_14default_configENS1_27scan_by_key_config_selectorIifEEZZNS1_16scan_by_key_implILNS1_25lookback_scan_determinismE0ELb0ES3_N6thrust23THRUST_200600_302600_NS6detail15normal_iteratorINS9_10device_ptrIiEEEENSB_INSC_IfEEEESG_fNS9_4plusIvEENS9_8equal_toIvEEfEE10hipError_tPvRmT2_T3_T4_T5_mT6_T7_P12ihipStream_tbENKUlT_T0_E_clISt17integral_constantIbLb0EES10_IbLb1EEEEDaSW_SX_EUlSW_E_NS1_11comp_targetILNS1_3genE2ELNS1_11target_archE906ELNS1_3gpuE6ELNS1_3repE0EEENS1_30default_config_static_selectorELNS0_4arch9wavefront6targetE1EEEvT1_,comdat
	.protected	_ZN7rocprim17ROCPRIM_400000_NS6detail17trampoline_kernelINS0_14default_configENS1_27scan_by_key_config_selectorIifEEZZNS1_16scan_by_key_implILNS1_25lookback_scan_determinismE0ELb0ES3_N6thrust23THRUST_200600_302600_NS6detail15normal_iteratorINS9_10device_ptrIiEEEENSB_INSC_IfEEEESG_fNS9_4plusIvEENS9_8equal_toIvEEfEE10hipError_tPvRmT2_T3_T4_T5_mT6_T7_P12ihipStream_tbENKUlT_T0_E_clISt17integral_constantIbLb0EES10_IbLb1EEEEDaSW_SX_EUlSW_E_NS1_11comp_targetILNS1_3genE2ELNS1_11target_archE906ELNS1_3gpuE6ELNS1_3repE0EEENS1_30default_config_static_selectorELNS0_4arch9wavefront6targetE1EEEvT1_ ; -- Begin function _ZN7rocprim17ROCPRIM_400000_NS6detail17trampoline_kernelINS0_14default_configENS1_27scan_by_key_config_selectorIifEEZZNS1_16scan_by_key_implILNS1_25lookback_scan_determinismE0ELb0ES3_N6thrust23THRUST_200600_302600_NS6detail15normal_iteratorINS9_10device_ptrIiEEEENSB_INSC_IfEEEESG_fNS9_4plusIvEENS9_8equal_toIvEEfEE10hipError_tPvRmT2_T3_T4_T5_mT6_T7_P12ihipStream_tbENKUlT_T0_E_clISt17integral_constantIbLb0EES10_IbLb1EEEEDaSW_SX_EUlSW_E_NS1_11comp_targetILNS1_3genE2ELNS1_11target_archE906ELNS1_3gpuE6ELNS1_3repE0EEENS1_30default_config_static_selectorELNS0_4arch9wavefront6targetE1EEEvT1_
	.globl	_ZN7rocprim17ROCPRIM_400000_NS6detail17trampoline_kernelINS0_14default_configENS1_27scan_by_key_config_selectorIifEEZZNS1_16scan_by_key_implILNS1_25lookback_scan_determinismE0ELb0ES3_N6thrust23THRUST_200600_302600_NS6detail15normal_iteratorINS9_10device_ptrIiEEEENSB_INSC_IfEEEESG_fNS9_4plusIvEENS9_8equal_toIvEEfEE10hipError_tPvRmT2_T3_T4_T5_mT6_T7_P12ihipStream_tbENKUlT_T0_E_clISt17integral_constantIbLb0EES10_IbLb1EEEEDaSW_SX_EUlSW_E_NS1_11comp_targetILNS1_3genE2ELNS1_11target_archE906ELNS1_3gpuE6ELNS1_3repE0EEENS1_30default_config_static_selectorELNS0_4arch9wavefront6targetE1EEEvT1_
	.p2align	8
	.type	_ZN7rocprim17ROCPRIM_400000_NS6detail17trampoline_kernelINS0_14default_configENS1_27scan_by_key_config_selectorIifEEZZNS1_16scan_by_key_implILNS1_25lookback_scan_determinismE0ELb0ES3_N6thrust23THRUST_200600_302600_NS6detail15normal_iteratorINS9_10device_ptrIiEEEENSB_INSC_IfEEEESG_fNS9_4plusIvEENS9_8equal_toIvEEfEE10hipError_tPvRmT2_T3_T4_T5_mT6_T7_P12ihipStream_tbENKUlT_T0_E_clISt17integral_constantIbLb0EES10_IbLb1EEEEDaSW_SX_EUlSW_E_NS1_11comp_targetILNS1_3genE2ELNS1_11target_archE906ELNS1_3gpuE6ELNS1_3repE0EEENS1_30default_config_static_selectorELNS0_4arch9wavefront6targetE1EEEvT1_,@function
_ZN7rocprim17ROCPRIM_400000_NS6detail17trampoline_kernelINS0_14default_configENS1_27scan_by_key_config_selectorIifEEZZNS1_16scan_by_key_implILNS1_25lookback_scan_determinismE0ELb0ES3_N6thrust23THRUST_200600_302600_NS6detail15normal_iteratorINS9_10device_ptrIiEEEENSB_INSC_IfEEEESG_fNS9_4plusIvEENS9_8equal_toIvEEfEE10hipError_tPvRmT2_T3_T4_T5_mT6_T7_P12ihipStream_tbENKUlT_T0_E_clISt17integral_constantIbLb0EES10_IbLb1EEEEDaSW_SX_EUlSW_E_NS1_11comp_targetILNS1_3genE2ELNS1_11target_archE906ELNS1_3gpuE6ELNS1_3repE0EEENS1_30default_config_static_selectorELNS0_4arch9wavefront6targetE1EEEvT1_: ; @_ZN7rocprim17ROCPRIM_400000_NS6detail17trampoline_kernelINS0_14default_configENS1_27scan_by_key_config_selectorIifEEZZNS1_16scan_by_key_implILNS1_25lookback_scan_determinismE0ELb0ES3_N6thrust23THRUST_200600_302600_NS6detail15normal_iteratorINS9_10device_ptrIiEEEENSB_INSC_IfEEEESG_fNS9_4plusIvEENS9_8equal_toIvEEfEE10hipError_tPvRmT2_T3_T4_T5_mT6_T7_P12ihipStream_tbENKUlT_T0_E_clISt17integral_constantIbLb0EES10_IbLb1EEEEDaSW_SX_EUlSW_E_NS1_11comp_targetILNS1_3genE2ELNS1_11target_archE906ELNS1_3gpuE6ELNS1_3repE0EEENS1_30default_config_static_selectorELNS0_4arch9wavefront6targetE1EEEvT1_
; %bb.0:
	.section	.rodata,"a",@progbits
	.p2align	6, 0x0
	.amdhsa_kernel _ZN7rocprim17ROCPRIM_400000_NS6detail17trampoline_kernelINS0_14default_configENS1_27scan_by_key_config_selectorIifEEZZNS1_16scan_by_key_implILNS1_25lookback_scan_determinismE0ELb0ES3_N6thrust23THRUST_200600_302600_NS6detail15normal_iteratorINS9_10device_ptrIiEEEENSB_INSC_IfEEEESG_fNS9_4plusIvEENS9_8equal_toIvEEfEE10hipError_tPvRmT2_T3_T4_T5_mT6_T7_P12ihipStream_tbENKUlT_T0_E_clISt17integral_constantIbLb0EES10_IbLb1EEEEDaSW_SX_EUlSW_E_NS1_11comp_targetILNS1_3genE2ELNS1_11target_archE906ELNS1_3gpuE6ELNS1_3repE0EEENS1_30default_config_static_selectorELNS0_4arch9wavefront6targetE1EEEvT1_
		.amdhsa_group_segment_fixed_size 0
		.amdhsa_private_segment_fixed_size 0
		.amdhsa_kernarg_size 112
		.amdhsa_user_sgpr_count 2
		.amdhsa_user_sgpr_dispatch_ptr 0
		.amdhsa_user_sgpr_queue_ptr 0
		.amdhsa_user_sgpr_kernarg_segment_ptr 1
		.amdhsa_user_sgpr_dispatch_id 0
		.amdhsa_user_sgpr_kernarg_preload_length 0
		.amdhsa_user_sgpr_kernarg_preload_offset 0
		.amdhsa_user_sgpr_private_segment_size 0
		.amdhsa_uses_dynamic_stack 0
		.amdhsa_enable_private_segment 0
		.amdhsa_system_sgpr_workgroup_id_x 1
		.amdhsa_system_sgpr_workgroup_id_y 0
		.amdhsa_system_sgpr_workgroup_id_z 0
		.amdhsa_system_sgpr_workgroup_info 0
		.amdhsa_system_vgpr_workitem_id 0
		.amdhsa_next_free_vgpr 1
		.amdhsa_next_free_sgpr 0
		.amdhsa_accum_offset 4
		.amdhsa_reserve_vcc 0
		.amdhsa_float_round_mode_32 0
		.amdhsa_float_round_mode_16_64 0
		.amdhsa_float_denorm_mode_32 3
		.amdhsa_float_denorm_mode_16_64 3
		.amdhsa_dx10_clamp 1
		.amdhsa_ieee_mode 1
		.amdhsa_fp16_overflow 0
		.amdhsa_tg_split 0
		.amdhsa_exception_fp_ieee_invalid_op 0
		.amdhsa_exception_fp_denorm_src 0
		.amdhsa_exception_fp_ieee_div_zero 0
		.amdhsa_exception_fp_ieee_overflow 0
		.amdhsa_exception_fp_ieee_underflow 0
		.amdhsa_exception_fp_ieee_inexact 0
		.amdhsa_exception_int_div_zero 0
	.end_amdhsa_kernel
	.section	.text._ZN7rocprim17ROCPRIM_400000_NS6detail17trampoline_kernelINS0_14default_configENS1_27scan_by_key_config_selectorIifEEZZNS1_16scan_by_key_implILNS1_25lookback_scan_determinismE0ELb0ES3_N6thrust23THRUST_200600_302600_NS6detail15normal_iteratorINS9_10device_ptrIiEEEENSB_INSC_IfEEEESG_fNS9_4plusIvEENS9_8equal_toIvEEfEE10hipError_tPvRmT2_T3_T4_T5_mT6_T7_P12ihipStream_tbENKUlT_T0_E_clISt17integral_constantIbLb0EES10_IbLb1EEEEDaSW_SX_EUlSW_E_NS1_11comp_targetILNS1_3genE2ELNS1_11target_archE906ELNS1_3gpuE6ELNS1_3repE0EEENS1_30default_config_static_selectorELNS0_4arch9wavefront6targetE1EEEvT1_,"axG",@progbits,_ZN7rocprim17ROCPRIM_400000_NS6detail17trampoline_kernelINS0_14default_configENS1_27scan_by_key_config_selectorIifEEZZNS1_16scan_by_key_implILNS1_25lookback_scan_determinismE0ELb0ES3_N6thrust23THRUST_200600_302600_NS6detail15normal_iteratorINS9_10device_ptrIiEEEENSB_INSC_IfEEEESG_fNS9_4plusIvEENS9_8equal_toIvEEfEE10hipError_tPvRmT2_T3_T4_T5_mT6_T7_P12ihipStream_tbENKUlT_T0_E_clISt17integral_constantIbLb0EES10_IbLb1EEEEDaSW_SX_EUlSW_E_NS1_11comp_targetILNS1_3genE2ELNS1_11target_archE906ELNS1_3gpuE6ELNS1_3repE0EEENS1_30default_config_static_selectorELNS0_4arch9wavefront6targetE1EEEvT1_,comdat
.Lfunc_end1168:
	.size	_ZN7rocprim17ROCPRIM_400000_NS6detail17trampoline_kernelINS0_14default_configENS1_27scan_by_key_config_selectorIifEEZZNS1_16scan_by_key_implILNS1_25lookback_scan_determinismE0ELb0ES3_N6thrust23THRUST_200600_302600_NS6detail15normal_iteratorINS9_10device_ptrIiEEEENSB_INSC_IfEEEESG_fNS9_4plusIvEENS9_8equal_toIvEEfEE10hipError_tPvRmT2_T3_T4_T5_mT6_T7_P12ihipStream_tbENKUlT_T0_E_clISt17integral_constantIbLb0EES10_IbLb1EEEEDaSW_SX_EUlSW_E_NS1_11comp_targetILNS1_3genE2ELNS1_11target_archE906ELNS1_3gpuE6ELNS1_3repE0EEENS1_30default_config_static_selectorELNS0_4arch9wavefront6targetE1EEEvT1_, .Lfunc_end1168-_ZN7rocprim17ROCPRIM_400000_NS6detail17trampoline_kernelINS0_14default_configENS1_27scan_by_key_config_selectorIifEEZZNS1_16scan_by_key_implILNS1_25lookback_scan_determinismE0ELb0ES3_N6thrust23THRUST_200600_302600_NS6detail15normal_iteratorINS9_10device_ptrIiEEEENSB_INSC_IfEEEESG_fNS9_4plusIvEENS9_8equal_toIvEEfEE10hipError_tPvRmT2_T3_T4_T5_mT6_T7_P12ihipStream_tbENKUlT_T0_E_clISt17integral_constantIbLb0EES10_IbLb1EEEEDaSW_SX_EUlSW_E_NS1_11comp_targetILNS1_3genE2ELNS1_11target_archE906ELNS1_3gpuE6ELNS1_3repE0EEENS1_30default_config_static_selectorELNS0_4arch9wavefront6targetE1EEEvT1_
                                        ; -- End function
	.section	.AMDGPU.csdata,"",@progbits
; Kernel info:
; codeLenInByte = 0
; NumSgprs: 6
; NumVgprs: 0
; NumAgprs: 0
; TotalNumVgprs: 0
; ScratchSize: 0
; MemoryBound: 0
; FloatMode: 240
; IeeeMode: 1
; LDSByteSize: 0 bytes/workgroup (compile time only)
; SGPRBlocks: 0
; VGPRBlocks: 0
; NumSGPRsForWavesPerEU: 6
; NumVGPRsForWavesPerEU: 1
; AccumOffset: 4
; Occupancy: 8
; WaveLimiterHint : 0
; COMPUTE_PGM_RSRC2:SCRATCH_EN: 0
; COMPUTE_PGM_RSRC2:USER_SGPR: 2
; COMPUTE_PGM_RSRC2:TRAP_HANDLER: 0
; COMPUTE_PGM_RSRC2:TGID_X_EN: 1
; COMPUTE_PGM_RSRC2:TGID_Y_EN: 0
; COMPUTE_PGM_RSRC2:TGID_Z_EN: 0
; COMPUTE_PGM_RSRC2:TIDIG_COMP_CNT: 0
; COMPUTE_PGM_RSRC3_GFX90A:ACCUM_OFFSET: 0
; COMPUTE_PGM_RSRC3_GFX90A:TG_SPLIT: 0
	.section	.text._ZN7rocprim17ROCPRIM_400000_NS6detail17trampoline_kernelINS0_14default_configENS1_27scan_by_key_config_selectorIifEEZZNS1_16scan_by_key_implILNS1_25lookback_scan_determinismE0ELb0ES3_N6thrust23THRUST_200600_302600_NS6detail15normal_iteratorINS9_10device_ptrIiEEEENSB_INSC_IfEEEESG_fNS9_4plusIvEENS9_8equal_toIvEEfEE10hipError_tPvRmT2_T3_T4_T5_mT6_T7_P12ihipStream_tbENKUlT_T0_E_clISt17integral_constantIbLb0EES10_IbLb1EEEEDaSW_SX_EUlSW_E_NS1_11comp_targetILNS1_3genE10ELNS1_11target_archE1200ELNS1_3gpuE4ELNS1_3repE0EEENS1_30default_config_static_selectorELNS0_4arch9wavefront6targetE1EEEvT1_,"axG",@progbits,_ZN7rocprim17ROCPRIM_400000_NS6detail17trampoline_kernelINS0_14default_configENS1_27scan_by_key_config_selectorIifEEZZNS1_16scan_by_key_implILNS1_25lookback_scan_determinismE0ELb0ES3_N6thrust23THRUST_200600_302600_NS6detail15normal_iteratorINS9_10device_ptrIiEEEENSB_INSC_IfEEEESG_fNS9_4plusIvEENS9_8equal_toIvEEfEE10hipError_tPvRmT2_T3_T4_T5_mT6_T7_P12ihipStream_tbENKUlT_T0_E_clISt17integral_constantIbLb0EES10_IbLb1EEEEDaSW_SX_EUlSW_E_NS1_11comp_targetILNS1_3genE10ELNS1_11target_archE1200ELNS1_3gpuE4ELNS1_3repE0EEENS1_30default_config_static_selectorELNS0_4arch9wavefront6targetE1EEEvT1_,comdat
	.protected	_ZN7rocprim17ROCPRIM_400000_NS6detail17trampoline_kernelINS0_14default_configENS1_27scan_by_key_config_selectorIifEEZZNS1_16scan_by_key_implILNS1_25lookback_scan_determinismE0ELb0ES3_N6thrust23THRUST_200600_302600_NS6detail15normal_iteratorINS9_10device_ptrIiEEEENSB_INSC_IfEEEESG_fNS9_4plusIvEENS9_8equal_toIvEEfEE10hipError_tPvRmT2_T3_T4_T5_mT6_T7_P12ihipStream_tbENKUlT_T0_E_clISt17integral_constantIbLb0EES10_IbLb1EEEEDaSW_SX_EUlSW_E_NS1_11comp_targetILNS1_3genE10ELNS1_11target_archE1200ELNS1_3gpuE4ELNS1_3repE0EEENS1_30default_config_static_selectorELNS0_4arch9wavefront6targetE1EEEvT1_ ; -- Begin function _ZN7rocprim17ROCPRIM_400000_NS6detail17trampoline_kernelINS0_14default_configENS1_27scan_by_key_config_selectorIifEEZZNS1_16scan_by_key_implILNS1_25lookback_scan_determinismE0ELb0ES3_N6thrust23THRUST_200600_302600_NS6detail15normal_iteratorINS9_10device_ptrIiEEEENSB_INSC_IfEEEESG_fNS9_4plusIvEENS9_8equal_toIvEEfEE10hipError_tPvRmT2_T3_T4_T5_mT6_T7_P12ihipStream_tbENKUlT_T0_E_clISt17integral_constantIbLb0EES10_IbLb1EEEEDaSW_SX_EUlSW_E_NS1_11comp_targetILNS1_3genE10ELNS1_11target_archE1200ELNS1_3gpuE4ELNS1_3repE0EEENS1_30default_config_static_selectorELNS0_4arch9wavefront6targetE1EEEvT1_
	.globl	_ZN7rocprim17ROCPRIM_400000_NS6detail17trampoline_kernelINS0_14default_configENS1_27scan_by_key_config_selectorIifEEZZNS1_16scan_by_key_implILNS1_25lookback_scan_determinismE0ELb0ES3_N6thrust23THRUST_200600_302600_NS6detail15normal_iteratorINS9_10device_ptrIiEEEENSB_INSC_IfEEEESG_fNS9_4plusIvEENS9_8equal_toIvEEfEE10hipError_tPvRmT2_T3_T4_T5_mT6_T7_P12ihipStream_tbENKUlT_T0_E_clISt17integral_constantIbLb0EES10_IbLb1EEEEDaSW_SX_EUlSW_E_NS1_11comp_targetILNS1_3genE10ELNS1_11target_archE1200ELNS1_3gpuE4ELNS1_3repE0EEENS1_30default_config_static_selectorELNS0_4arch9wavefront6targetE1EEEvT1_
	.p2align	8
	.type	_ZN7rocprim17ROCPRIM_400000_NS6detail17trampoline_kernelINS0_14default_configENS1_27scan_by_key_config_selectorIifEEZZNS1_16scan_by_key_implILNS1_25lookback_scan_determinismE0ELb0ES3_N6thrust23THRUST_200600_302600_NS6detail15normal_iteratorINS9_10device_ptrIiEEEENSB_INSC_IfEEEESG_fNS9_4plusIvEENS9_8equal_toIvEEfEE10hipError_tPvRmT2_T3_T4_T5_mT6_T7_P12ihipStream_tbENKUlT_T0_E_clISt17integral_constantIbLb0EES10_IbLb1EEEEDaSW_SX_EUlSW_E_NS1_11comp_targetILNS1_3genE10ELNS1_11target_archE1200ELNS1_3gpuE4ELNS1_3repE0EEENS1_30default_config_static_selectorELNS0_4arch9wavefront6targetE1EEEvT1_,@function
_ZN7rocprim17ROCPRIM_400000_NS6detail17trampoline_kernelINS0_14default_configENS1_27scan_by_key_config_selectorIifEEZZNS1_16scan_by_key_implILNS1_25lookback_scan_determinismE0ELb0ES3_N6thrust23THRUST_200600_302600_NS6detail15normal_iteratorINS9_10device_ptrIiEEEENSB_INSC_IfEEEESG_fNS9_4plusIvEENS9_8equal_toIvEEfEE10hipError_tPvRmT2_T3_T4_T5_mT6_T7_P12ihipStream_tbENKUlT_T0_E_clISt17integral_constantIbLb0EES10_IbLb1EEEEDaSW_SX_EUlSW_E_NS1_11comp_targetILNS1_3genE10ELNS1_11target_archE1200ELNS1_3gpuE4ELNS1_3repE0EEENS1_30default_config_static_selectorELNS0_4arch9wavefront6targetE1EEEvT1_: ; @_ZN7rocprim17ROCPRIM_400000_NS6detail17trampoline_kernelINS0_14default_configENS1_27scan_by_key_config_selectorIifEEZZNS1_16scan_by_key_implILNS1_25lookback_scan_determinismE0ELb0ES3_N6thrust23THRUST_200600_302600_NS6detail15normal_iteratorINS9_10device_ptrIiEEEENSB_INSC_IfEEEESG_fNS9_4plusIvEENS9_8equal_toIvEEfEE10hipError_tPvRmT2_T3_T4_T5_mT6_T7_P12ihipStream_tbENKUlT_T0_E_clISt17integral_constantIbLb0EES10_IbLb1EEEEDaSW_SX_EUlSW_E_NS1_11comp_targetILNS1_3genE10ELNS1_11target_archE1200ELNS1_3gpuE4ELNS1_3repE0EEENS1_30default_config_static_selectorELNS0_4arch9wavefront6targetE1EEEvT1_
; %bb.0:
	.section	.rodata,"a",@progbits
	.p2align	6, 0x0
	.amdhsa_kernel _ZN7rocprim17ROCPRIM_400000_NS6detail17trampoline_kernelINS0_14default_configENS1_27scan_by_key_config_selectorIifEEZZNS1_16scan_by_key_implILNS1_25lookback_scan_determinismE0ELb0ES3_N6thrust23THRUST_200600_302600_NS6detail15normal_iteratorINS9_10device_ptrIiEEEENSB_INSC_IfEEEESG_fNS9_4plusIvEENS9_8equal_toIvEEfEE10hipError_tPvRmT2_T3_T4_T5_mT6_T7_P12ihipStream_tbENKUlT_T0_E_clISt17integral_constantIbLb0EES10_IbLb1EEEEDaSW_SX_EUlSW_E_NS1_11comp_targetILNS1_3genE10ELNS1_11target_archE1200ELNS1_3gpuE4ELNS1_3repE0EEENS1_30default_config_static_selectorELNS0_4arch9wavefront6targetE1EEEvT1_
		.amdhsa_group_segment_fixed_size 0
		.amdhsa_private_segment_fixed_size 0
		.amdhsa_kernarg_size 112
		.amdhsa_user_sgpr_count 2
		.amdhsa_user_sgpr_dispatch_ptr 0
		.amdhsa_user_sgpr_queue_ptr 0
		.amdhsa_user_sgpr_kernarg_segment_ptr 1
		.amdhsa_user_sgpr_dispatch_id 0
		.amdhsa_user_sgpr_kernarg_preload_length 0
		.amdhsa_user_sgpr_kernarg_preload_offset 0
		.amdhsa_user_sgpr_private_segment_size 0
		.amdhsa_uses_dynamic_stack 0
		.amdhsa_enable_private_segment 0
		.amdhsa_system_sgpr_workgroup_id_x 1
		.amdhsa_system_sgpr_workgroup_id_y 0
		.amdhsa_system_sgpr_workgroup_id_z 0
		.amdhsa_system_sgpr_workgroup_info 0
		.amdhsa_system_vgpr_workitem_id 0
		.amdhsa_next_free_vgpr 1
		.amdhsa_next_free_sgpr 0
		.amdhsa_accum_offset 4
		.amdhsa_reserve_vcc 0
		.amdhsa_float_round_mode_32 0
		.amdhsa_float_round_mode_16_64 0
		.amdhsa_float_denorm_mode_32 3
		.amdhsa_float_denorm_mode_16_64 3
		.amdhsa_dx10_clamp 1
		.amdhsa_ieee_mode 1
		.amdhsa_fp16_overflow 0
		.amdhsa_tg_split 0
		.amdhsa_exception_fp_ieee_invalid_op 0
		.amdhsa_exception_fp_denorm_src 0
		.amdhsa_exception_fp_ieee_div_zero 0
		.amdhsa_exception_fp_ieee_overflow 0
		.amdhsa_exception_fp_ieee_underflow 0
		.amdhsa_exception_fp_ieee_inexact 0
		.amdhsa_exception_int_div_zero 0
	.end_amdhsa_kernel
	.section	.text._ZN7rocprim17ROCPRIM_400000_NS6detail17trampoline_kernelINS0_14default_configENS1_27scan_by_key_config_selectorIifEEZZNS1_16scan_by_key_implILNS1_25lookback_scan_determinismE0ELb0ES3_N6thrust23THRUST_200600_302600_NS6detail15normal_iteratorINS9_10device_ptrIiEEEENSB_INSC_IfEEEESG_fNS9_4plusIvEENS9_8equal_toIvEEfEE10hipError_tPvRmT2_T3_T4_T5_mT6_T7_P12ihipStream_tbENKUlT_T0_E_clISt17integral_constantIbLb0EES10_IbLb1EEEEDaSW_SX_EUlSW_E_NS1_11comp_targetILNS1_3genE10ELNS1_11target_archE1200ELNS1_3gpuE4ELNS1_3repE0EEENS1_30default_config_static_selectorELNS0_4arch9wavefront6targetE1EEEvT1_,"axG",@progbits,_ZN7rocprim17ROCPRIM_400000_NS6detail17trampoline_kernelINS0_14default_configENS1_27scan_by_key_config_selectorIifEEZZNS1_16scan_by_key_implILNS1_25lookback_scan_determinismE0ELb0ES3_N6thrust23THRUST_200600_302600_NS6detail15normal_iteratorINS9_10device_ptrIiEEEENSB_INSC_IfEEEESG_fNS9_4plusIvEENS9_8equal_toIvEEfEE10hipError_tPvRmT2_T3_T4_T5_mT6_T7_P12ihipStream_tbENKUlT_T0_E_clISt17integral_constantIbLb0EES10_IbLb1EEEEDaSW_SX_EUlSW_E_NS1_11comp_targetILNS1_3genE10ELNS1_11target_archE1200ELNS1_3gpuE4ELNS1_3repE0EEENS1_30default_config_static_selectorELNS0_4arch9wavefront6targetE1EEEvT1_,comdat
.Lfunc_end1169:
	.size	_ZN7rocprim17ROCPRIM_400000_NS6detail17trampoline_kernelINS0_14default_configENS1_27scan_by_key_config_selectorIifEEZZNS1_16scan_by_key_implILNS1_25lookback_scan_determinismE0ELb0ES3_N6thrust23THRUST_200600_302600_NS6detail15normal_iteratorINS9_10device_ptrIiEEEENSB_INSC_IfEEEESG_fNS9_4plusIvEENS9_8equal_toIvEEfEE10hipError_tPvRmT2_T3_T4_T5_mT6_T7_P12ihipStream_tbENKUlT_T0_E_clISt17integral_constantIbLb0EES10_IbLb1EEEEDaSW_SX_EUlSW_E_NS1_11comp_targetILNS1_3genE10ELNS1_11target_archE1200ELNS1_3gpuE4ELNS1_3repE0EEENS1_30default_config_static_selectorELNS0_4arch9wavefront6targetE1EEEvT1_, .Lfunc_end1169-_ZN7rocprim17ROCPRIM_400000_NS6detail17trampoline_kernelINS0_14default_configENS1_27scan_by_key_config_selectorIifEEZZNS1_16scan_by_key_implILNS1_25lookback_scan_determinismE0ELb0ES3_N6thrust23THRUST_200600_302600_NS6detail15normal_iteratorINS9_10device_ptrIiEEEENSB_INSC_IfEEEESG_fNS9_4plusIvEENS9_8equal_toIvEEfEE10hipError_tPvRmT2_T3_T4_T5_mT6_T7_P12ihipStream_tbENKUlT_T0_E_clISt17integral_constantIbLb0EES10_IbLb1EEEEDaSW_SX_EUlSW_E_NS1_11comp_targetILNS1_3genE10ELNS1_11target_archE1200ELNS1_3gpuE4ELNS1_3repE0EEENS1_30default_config_static_selectorELNS0_4arch9wavefront6targetE1EEEvT1_
                                        ; -- End function
	.section	.AMDGPU.csdata,"",@progbits
; Kernel info:
; codeLenInByte = 0
; NumSgprs: 6
; NumVgprs: 0
; NumAgprs: 0
; TotalNumVgprs: 0
; ScratchSize: 0
; MemoryBound: 0
; FloatMode: 240
; IeeeMode: 1
; LDSByteSize: 0 bytes/workgroup (compile time only)
; SGPRBlocks: 0
; VGPRBlocks: 0
; NumSGPRsForWavesPerEU: 6
; NumVGPRsForWavesPerEU: 1
; AccumOffset: 4
; Occupancy: 8
; WaveLimiterHint : 0
; COMPUTE_PGM_RSRC2:SCRATCH_EN: 0
; COMPUTE_PGM_RSRC2:USER_SGPR: 2
; COMPUTE_PGM_RSRC2:TRAP_HANDLER: 0
; COMPUTE_PGM_RSRC2:TGID_X_EN: 1
; COMPUTE_PGM_RSRC2:TGID_Y_EN: 0
; COMPUTE_PGM_RSRC2:TGID_Z_EN: 0
; COMPUTE_PGM_RSRC2:TIDIG_COMP_CNT: 0
; COMPUTE_PGM_RSRC3_GFX90A:ACCUM_OFFSET: 0
; COMPUTE_PGM_RSRC3_GFX90A:TG_SPLIT: 0
	.section	.text._ZN7rocprim17ROCPRIM_400000_NS6detail17trampoline_kernelINS0_14default_configENS1_27scan_by_key_config_selectorIifEEZZNS1_16scan_by_key_implILNS1_25lookback_scan_determinismE0ELb0ES3_N6thrust23THRUST_200600_302600_NS6detail15normal_iteratorINS9_10device_ptrIiEEEENSB_INSC_IfEEEESG_fNS9_4plusIvEENS9_8equal_toIvEEfEE10hipError_tPvRmT2_T3_T4_T5_mT6_T7_P12ihipStream_tbENKUlT_T0_E_clISt17integral_constantIbLb0EES10_IbLb1EEEEDaSW_SX_EUlSW_E_NS1_11comp_targetILNS1_3genE9ELNS1_11target_archE1100ELNS1_3gpuE3ELNS1_3repE0EEENS1_30default_config_static_selectorELNS0_4arch9wavefront6targetE1EEEvT1_,"axG",@progbits,_ZN7rocprim17ROCPRIM_400000_NS6detail17trampoline_kernelINS0_14default_configENS1_27scan_by_key_config_selectorIifEEZZNS1_16scan_by_key_implILNS1_25lookback_scan_determinismE0ELb0ES3_N6thrust23THRUST_200600_302600_NS6detail15normal_iteratorINS9_10device_ptrIiEEEENSB_INSC_IfEEEESG_fNS9_4plusIvEENS9_8equal_toIvEEfEE10hipError_tPvRmT2_T3_T4_T5_mT6_T7_P12ihipStream_tbENKUlT_T0_E_clISt17integral_constantIbLb0EES10_IbLb1EEEEDaSW_SX_EUlSW_E_NS1_11comp_targetILNS1_3genE9ELNS1_11target_archE1100ELNS1_3gpuE3ELNS1_3repE0EEENS1_30default_config_static_selectorELNS0_4arch9wavefront6targetE1EEEvT1_,comdat
	.protected	_ZN7rocprim17ROCPRIM_400000_NS6detail17trampoline_kernelINS0_14default_configENS1_27scan_by_key_config_selectorIifEEZZNS1_16scan_by_key_implILNS1_25lookback_scan_determinismE0ELb0ES3_N6thrust23THRUST_200600_302600_NS6detail15normal_iteratorINS9_10device_ptrIiEEEENSB_INSC_IfEEEESG_fNS9_4plusIvEENS9_8equal_toIvEEfEE10hipError_tPvRmT2_T3_T4_T5_mT6_T7_P12ihipStream_tbENKUlT_T0_E_clISt17integral_constantIbLb0EES10_IbLb1EEEEDaSW_SX_EUlSW_E_NS1_11comp_targetILNS1_3genE9ELNS1_11target_archE1100ELNS1_3gpuE3ELNS1_3repE0EEENS1_30default_config_static_selectorELNS0_4arch9wavefront6targetE1EEEvT1_ ; -- Begin function _ZN7rocprim17ROCPRIM_400000_NS6detail17trampoline_kernelINS0_14default_configENS1_27scan_by_key_config_selectorIifEEZZNS1_16scan_by_key_implILNS1_25lookback_scan_determinismE0ELb0ES3_N6thrust23THRUST_200600_302600_NS6detail15normal_iteratorINS9_10device_ptrIiEEEENSB_INSC_IfEEEESG_fNS9_4plusIvEENS9_8equal_toIvEEfEE10hipError_tPvRmT2_T3_T4_T5_mT6_T7_P12ihipStream_tbENKUlT_T0_E_clISt17integral_constantIbLb0EES10_IbLb1EEEEDaSW_SX_EUlSW_E_NS1_11comp_targetILNS1_3genE9ELNS1_11target_archE1100ELNS1_3gpuE3ELNS1_3repE0EEENS1_30default_config_static_selectorELNS0_4arch9wavefront6targetE1EEEvT1_
	.globl	_ZN7rocprim17ROCPRIM_400000_NS6detail17trampoline_kernelINS0_14default_configENS1_27scan_by_key_config_selectorIifEEZZNS1_16scan_by_key_implILNS1_25lookback_scan_determinismE0ELb0ES3_N6thrust23THRUST_200600_302600_NS6detail15normal_iteratorINS9_10device_ptrIiEEEENSB_INSC_IfEEEESG_fNS9_4plusIvEENS9_8equal_toIvEEfEE10hipError_tPvRmT2_T3_T4_T5_mT6_T7_P12ihipStream_tbENKUlT_T0_E_clISt17integral_constantIbLb0EES10_IbLb1EEEEDaSW_SX_EUlSW_E_NS1_11comp_targetILNS1_3genE9ELNS1_11target_archE1100ELNS1_3gpuE3ELNS1_3repE0EEENS1_30default_config_static_selectorELNS0_4arch9wavefront6targetE1EEEvT1_
	.p2align	8
	.type	_ZN7rocprim17ROCPRIM_400000_NS6detail17trampoline_kernelINS0_14default_configENS1_27scan_by_key_config_selectorIifEEZZNS1_16scan_by_key_implILNS1_25lookback_scan_determinismE0ELb0ES3_N6thrust23THRUST_200600_302600_NS6detail15normal_iteratorINS9_10device_ptrIiEEEENSB_INSC_IfEEEESG_fNS9_4plusIvEENS9_8equal_toIvEEfEE10hipError_tPvRmT2_T3_T4_T5_mT6_T7_P12ihipStream_tbENKUlT_T0_E_clISt17integral_constantIbLb0EES10_IbLb1EEEEDaSW_SX_EUlSW_E_NS1_11comp_targetILNS1_3genE9ELNS1_11target_archE1100ELNS1_3gpuE3ELNS1_3repE0EEENS1_30default_config_static_selectorELNS0_4arch9wavefront6targetE1EEEvT1_,@function
_ZN7rocprim17ROCPRIM_400000_NS6detail17trampoline_kernelINS0_14default_configENS1_27scan_by_key_config_selectorIifEEZZNS1_16scan_by_key_implILNS1_25lookback_scan_determinismE0ELb0ES3_N6thrust23THRUST_200600_302600_NS6detail15normal_iteratorINS9_10device_ptrIiEEEENSB_INSC_IfEEEESG_fNS9_4plusIvEENS9_8equal_toIvEEfEE10hipError_tPvRmT2_T3_T4_T5_mT6_T7_P12ihipStream_tbENKUlT_T0_E_clISt17integral_constantIbLb0EES10_IbLb1EEEEDaSW_SX_EUlSW_E_NS1_11comp_targetILNS1_3genE9ELNS1_11target_archE1100ELNS1_3gpuE3ELNS1_3repE0EEENS1_30default_config_static_selectorELNS0_4arch9wavefront6targetE1EEEvT1_: ; @_ZN7rocprim17ROCPRIM_400000_NS6detail17trampoline_kernelINS0_14default_configENS1_27scan_by_key_config_selectorIifEEZZNS1_16scan_by_key_implILNS1_25lookback_scan_determinismE0ELb0ES3_N6thrust23THRUST_200600_302600_NS6detail15normal_iteratorINS9_10device_ptrIiEEEENSB_INSC_IfEEEESG_fNS9_4plusIvEENS9_8equal_toIvEEfEE10hipError_tPvRmT2_T3_T4_T5_mT6_T7_P12ihipStream_tbENKUlT_T0_E_clISt17integral_constantIbLb0EES10_IbLb1EEEEDaSW_SX_EUlSW_E_NS1_11comp_targetILNS1_3genE9ELNS1_11target_archE1100ELNS1_3gpuE3ELNS1_3repE0EEENS1_30default_config_static_selectorELNS0_4arch9wavefront6targetE1EEEvT1_
; %bb.0:
	.section	.rodata,"a",@progbits
	.p2align	6, 0x0
	.amdhsa_kernel _ZN7rocprim17ROCPRIM_400000_NS6detail17trampoline_kernelINS0_14default_configENS1_27scan_by_key_config_selectorIifEEZZNS1_16scan_by_key_implILNS1_25lookback_scan_determinismE0ELb0ES3_N6thrust23THRUST_200600_302600_NS6detail15normal_iteratorINS9_10device_ptrIiEEEENSB_INSC_IfEEEESG_fNS9_4plusIvEENS9_8equal_toIvEEfEE10hipError_tPvRmT2_T3_T4_T5_mT6_T7_P12ihipStream_tbENKUlT_T0_E_clISt17integral_constantIbLb0EES10_IbLb1EEEEDaSW_SX_EUlSW_E_NS1_11comp_targetILNS1_3genE9ELNS1_11target_archE1100ELNS1_3gpuE3ELNS1_3repE0EEENS1_30default_config_static_selectorELNS0_4arch9wavefront6targetE1EEEvT1_
		.amdhsa_group_segment_fixed_size 0
		.amdhsa_private_segment_fixed_size 0
		.amdhsa_kernarg_size 112
		.amdhsa_user_sgpr_count 2
		.amdhsa_user_sgpr_dispatch_ptr 0
		.amdhsa_user_sgpr_queue_ptr 0
		.amdhsa_user_sgpr_kernarg_segment_ptr 1
		.amdhsa_user_sgpr_dispatch_id 0
		.amdhsa_user_sgpr_kernarg_preload_length 0
		.amdhsa_user_sgpr_kernarg_preload_offset 0
		.amdhsa_user_sgpr_private_segment_size 0
		.amdhsa_uses_dynamic_stack 0
		.amdhsa_enable_private_segment 0
		.amdhsa_system_sgpr_workgroup_id_x 1
		.amdhsa_system_sgpr_workgroup_id_y 0
		.amdhsa_system_sgpr_workgroup_id_z 0
		.amdhsa_system_sgpr_workgroup_info 0
		.amdhsa_system_vgpr_workitem_id 0
		.amdhsa_next_free_vgpr 1
		.amdhsa_next_free_sgpr 0
		.amdhsa_accum_offset 4
		.amdhsa_reserve_vcc 0
		.amdhsa_float_round_mode_32 0
		.amdhsa_float_round_mode_16_64 0
		.amdhsa_float_denorm_mode_32 3
		.amdhsa_float_denorm_mode_16_64 3
		.amdhsa_dx10_clamp 1
		.amdhsa_ieee_mode 1
		.amdhsa_fp16_overflow 0
		.amdhsa_tg_split 0
		.amdhsa_exception_fp_ieee_invalid_op 0
		.amdhsa_exception_fp_denorm_src 0
		.amdhsa_exception_fp_ieee_div_zero 0
		.amdhsa_exception_fp_ieee_overflow 0
		.amdhsa_exception_fp_ieee_underflow 0
		.amdhsa_exception_fp_ieee_inexact 0
		.amdhsa_exception_int_div_zero 0
	.end_amdhsa_kernel
	.section	.text._ZN7rocprim17ROCPRIM_400000_NS6detail17trampoline_kernelINS0_14default_configENS1_27scan_by_key_config_selectorIifEEZZNS1_16scan_by_key_implILNS1_25lookback_scan_determinismE0ELb0ES3_N6thrust23THRUST_200600_302600_NS6detail15normal_iteratorINS9_10device_ptrIiEEEENSB_INSC_IfEEEESG_fNS9_4plusIvEENS9_8equal_toIvEEfEE10hipError_tPvRmT2_T3_T4_T5_mT6_T7_P12ihipStream_tbENKUlT_T0_E_clISt17integral_constantIbLb0EES10_IbLb1EEEEDaSW_SX_EUlSW_E_NS1_11comp_targetILNS1_3genE9ELNS1_11target_archE1100ELNS1_3gpuE3ELNS1_3repE0EEENS1_30default_config_static_selectorELNS0_4arch9wavefront6targetE1EEEvT1_,"axG",@progbits,_ZN7rocprim17ROCPRIM_400000_NS6detail17trampoline_kernelINS0_14default_configENS1_27scan_by_key_config_selectorIifEEZZNS1_16scan_by_key_implILNS1_25lookback_scan_determinismE0ELb0ES3_N6thrust23THRUST_200600_302600_NS6detail15normal_iteratorINS9_10device_ptrIiEEEENSB_INSC_IfEEEESG_fNS9_4plusIvEENS9_8equal_toIvEEfEE10hipError_tPvRmT2_T3_T4_T5_mT6_T7_P12ihipStream_tbENKUlT_T0_E_clISt17integral_constantIbLb0EES10_IbLb1EEEEDaSW_SX_EUlSW_E_NS1_11comp_targetILNS1_3genE9ELNS1_11target_archE1100ELNS1_3gpuE3ELNS1_3repE0EEENS1_30default_config_static_selectorELNS0_4arch9wavefront6targetE1EEEvT1_,comdat
.Lfunc_end1170:
	.size	_ZN7rocprim17ROCPRIM_400000_NS6detail17trampoline_kernelINS0_14default_configENS1_27scan_by_key_config_selectorIifEEZZNS1_16scan_by_key_implILNS1_25lookback_scan_determinismE0ELb0ES3_N6thrust23THRUST_200600_302600_NS6detail15normal_iteratorINS9_10device_ptrIiEEEENSB_INSC_IfEEEESG_fNS9_4plusIvEENS9_8equal_toIvEEfEE10hipError_tPvRmT2_T3_T4_T5_mT6_T7_P12ihipStream_tbENKUlT_T0_E_clISt17integral_constantIbLb0EES10_IbLb1EEEEDaSW_SX_EUlSW_E_NS1_11comp_targetILNS1_3genE9ELNS1_11target_archE1100ELNS1_3gpuE3ELNS1_3repE0EEENS1_30default_config_static_selectorELNS0_4arch9wavefront6targetE1EEEvT1_, .Lfunc_end1170-_ZN7rocprim17ROCPRIM_400000_NS6detail17trampoline_kernelINS0_14default_configENS1_27scan_by_key_config_selectorIifEEZZNS1_16scan_by_key_implILNS1_25lookback_scan_determinismE0ELb0ES3_N6thrust23THRUST_200600_302600_NS6detail15normal_iteratorINS9_10device_ptrIiEEEENSB_INSC_IfEEEESG_fNS9_4plusIvEENS9_8equal_toIvEEfEE10hipError_tPvRmT2_T3_T4_T5_mT6_T7_P12ihipStream_tbENKUlT_T0_E_clISt17integral_constantIbLb0EES10_IbLb1EEEEDaSW_SX_EUlSW_E_NS1_11comp_targetILNS1_3genE9ELNS1_11target_archE1100ELNS1_3gpuE3ELNS1_3repE0EEENS1_30default_config_static_selectorELNS0_4arch9wavefront6targetE1EEEvT1_
                                        ; -- End function
	.section	.AMDGPU.csdata,"",@progbits
; Kernel info:
; codeLenInByte = 0
; NumSgprs: 6
; NumVgprs: 0
; NumAgprs: 0
; TotalNumVgprs: 0
; ScratchSize: 0
; MemoryBound: 0
; FloatMode: 240
; IeeeMode: 1
; LDSByteSize: 0 bytes/workgroup (compile time only)
; SGPRBlocks: 0
; VGPRBlocks: 0
; NumSGPRsForWavesPerEU: 6
; NumVGPRsForWavesPerEU: 1
; AccumOffset: 4
; Occupancy: 8
; WaveLimiterHint : 0
; COMPUTE_PGM_RSRC2:SCRATCH_EN: 0
; COMPUTE_PGM_RSRC2:USER_SGPR: 2
; COMPUTE_PGM_RSRC2:TRAP_HANDLER: 0
; COMPUTE_PGM_RSRC2:TGID_X_EN: 1
; COMPUTE_PGM_RSRC2:TGID_Y_EN: 0
; COMPUTE_PGM_RSRC2:TGID_Z_EN: 0
; COMPUTE_PGM_RSRC2:TIDIG_COMP_CNT: 0
; COMPUTE_PGM_RSRC3_GFX90A:ACCUM_OFFSET: 0
; COMPUTE_PGM_RSRC3_GFX90A:TG_SPLIT: 0
	.section	.text._ZN7rocprim17ROCPRIM_400000_NS6detail17trampoline_kernelINS0_14default_configENS1_27scan_by_key_config_selectorIifEEZZNS1_16scan_by_key_implILNS1_25lookback_scan_determinismE0ELb0ES3_N6thrust23THRUST_200600_302600_NS6detail15normal_iteratorINS9_10device_ptrIiEEEENSB_INSC_IfEEEESG_fNS9_4plusIvEENS9_8equal_toIvEEfEE10hipError_tPvRmT2_T3_T4_T5_mT6_T7_P12ihipStream_tbENKUlT_T0_E_clISt17integral_constantIbLb0EES10_IbLb1EEEEDaSW_SX_EUlSW_E_NS1_11comp_targetILNS1_3genE8ELNS1_11target_archE1030ELNS1_3gpuE2ELNS1_3repE0EEENS1_30default_config_static_selectorELNS0_4arch9wavefront6targetE1EEEvT1_,"axG",@progbits,_ZN7rocprim17ROCPRIM_400000_NS6detail17trampoline_kernelINS0_14default_configENS1_27scan_by_key_config_selectorIifEEZZNS1_16scan_by_key_implILNS1_25lookback_scan_determinismE0ELb0ES3_N6thrust23THRUST_200600_302600_NS6detail15normal_iteratorINS9_10device_ptrIiEEEENSB_INSC_IfEEEESG_fNS9_4plusIvEENS9_8equal_toIvEEfEE10hipError_tPvRmT2_T3_T4_T5_mT6_T7_P12ihipStream_tbENKUlT_T0_E_clISt17integral_constantIbLb0EES10_IbLb1EEEEDaSW_SX_EUlSW_E_NS1_11comp_targetILNS1_3genE8ELNS1_11target_archE1030ELNS1_3gpuE2ELNS1_3repE0EEENS1_30default_config_static_selectorELNS0_4arch9wavefront6targetE1EEEvT1_,comdat
	.protected	_ZN7rocprim17ROCPRIM_400000_NS6detail17trampoline_kernelINS0_14default_configENS1_27scan_by_key_config_selectorIifEEZZNS1_16scan_by_key_implILNS1_25lookback_scan_determinismE0ELb0ES3_N6thrust23THRUST_200600_302600_NS6detail15normal_iteratorINS9_10device_ptrIiEEEENSB_INSC_IfEEEESG_fNS9_4plusIvEENS9_8equal_toIvEEfEE10hipError_tPvRmT2_T3_T4_T5_mT6_T7_P12ihipStream_tbENKUlT_T0_E_clISt17integral_constantIbLb0EES10_IbLb1EEEEDaSW_SX_EUlSW_E_NS1_11comp_targetILNS1_3genE8ELNS1_11target_archE1030ELNS1_3gpuE2ELNS1_3repE0EEENS1_30default_config_static_selectorELNS0_4arch9wavefront6targetE1EEEvT1_ ; -- Begin function _ZN7rocprim17ROCPRIM_400000_NS6detail17trampoline_kernelINS0_14default_configENS1_27scan_by_key_config_selectorIifEEZZNS1_16scan_by_key_implILNS1_25lookback_scan_determinismE0ELb0ES3_N6thrust23THRUST_200600_302600_NS6detail15normal_iteratorINS9_10device_ptrIiEEEENSB_INSC_IfEEEESG_fNS9_4plusIvEENS9_8equal_toIvEEfEE10hipError_tPvRmT2_T3_T4_T5_mT6_T7_P12ihipStream_tbENKUlT_T0_E_clISt17integral_constantIbLb0EES10_IbLb1EEEEDaSW_SX_EUlSW_E_NS1_11comp_targetILNS1_3genE8ELNS1_11target_archE1030ELNS1_3gpuE2ELNS1_3repE0EEENS1_30default_config_static_selectorELNS0_4arch9wavefront6targetE1EEEvT1_
	.globl	_ZN7rocprim17ROCPRIM_400000_NS6detail17trampoline_kernelINS0_14default_configENS1_27scan_by_key_config_selectorIifEEZZNS1_16scan_by_key_implILNS1_25lookback_scan_determinismE0ELb0ES3_N6thrust23THRUST_200600_302600_NS6detail15normal_iteratorINS9_10device_ptrIiEEEENSB_INSC_IfEEEESG_fNS9_4plusIvEENS9_8equal_toIvEEfEE10hipError_tPvRmT2_T3_T4_T5_mT6_T7_P12ihipStream_tbENKUlT_T0_E_clISt17integral_constantIbLb0EES10_IbLb1EEEEDaSW_SX_EUlSW_E_NS1_11comp_targetILNS1_3genE8ELNS1_11target_archE1030ELNS1_3gpuE2ELNS1_3repE0EEENS1_30default_config_static_selectorELNS0_4arch9wavefront6targetE1EEEvT1_
	.p2align	8
	.type	_ZN7rocprim17ROCPRIM_400000_NS6detail17trampoline_kernelINS0_14default_configENS1_27scan_by_key_config_selectorIifEEZZNS1_16scan_by_key_implILNS1_25lookback_scan_determinismE0ELb0ES3_N6thrust23THRUST_200600_302600_NS6detail15normal_iteratorINS9_10device_ptrIiEEEENSB_INSC_IfEEEESG_fNS9_4plusIvEENS9_8equal_toIvEEfEE10hipError_tPvRmT2_T3_T4_T5_mT6_T7_P12ihipStream_tbENKUlT_T0_E_clISt17integral_constantIbLb0EES10_IbLb1EEEEDaSW_SX_EUlSW_E_NS1_11comp_targetILNS1_3genE8ELNS1_11target_archE1030ELNS1_3gpuE2ELNS1_3repE0EEENS1_30default_config_static_selectorELNS0_4arch9wavefront6targetE1EEEvT1_,@function
_ZN7rocprim17ROCPRIM_400000_NS6detail17trampoline_kernelINS0_14default_configENS1_27scan_by_key_config_selectorIifEEZZNS1_16scan_by_key_implILNS1_25lookback_scan_determinismE0ELb0ES3_N6thrust23THRUST_200600_302600_NS6detail15normal_iteratorINS9_10device_ptrIiEEEENSB_INSC_IfEEEESG_fNS9_4plusIvEENS9_8equal_toIvEEfEE10hipError_tPvRmT2_T3_T4_T5_mT6_T7_P12ihipStream_tbENKUlT_T0_E_clISt17integral_constantIbLb0EES10_IbLb1EEEEDaSW_SX_EUlSW_E_NS1_11comp_targetILNS1_3genE8ELNS1_11target_archE1030ELNS1_3gpuE2ELNS1_3repE0EEENS1_30default_config_static_selectorELNS0_4arch9wavefront6targetE1EEEvT1_: ; @_ZN7rocprim17ROCPRIM_400000_NS6detail17trampoline_kernelINS0_14default_configENS1_27scan_by_key_config_selectorIifEEZZNS1_16scan_by_key_implILNS1_25lookback_scan_determinismE0ELb0ES3_N6thrust23THRUST_200600_302600_NS6detail15normal_iteratorINS9_10device_ptrIiEEEENSB_INSC_IfEEEESG_fNS9_4plusIvEENS9_8equal_toIvEEfEE10hipError_tPvRmT2_T3_T4_T5_mT6_T7_P12ihipStream_tbENKUlT_T0_E_clISt17integral_constantIbLb0EES10_IbLb1EEEEDaSW_SX_EUlSW_E_NS1_11comp_targetILNS1_3genE8ELNS1_11target_archE1030ELNS1_3gpuE2ELNS1_3repE0EEENS1_30default_config_static_selectorELNS0_4arch9wavefront6targetE1EEEvT1_
; %bb.0:
	.section	.rodata,"a",@progbits
	.p2align	6, 0x0
	.amdhsa_kernel _ZN7rocprim17ROCPRIM_400000_NS6detail17trampoline_kernelINS0_14default_configENS1_27scan_by_key_config_selectorIifEEZZNS1_16scan_by_key_implILNS1_25lookback_scan_determinismE0ELb0ES3_N6thrust23THRUST_200600_302600_NS6detail15normal_iteratorINS9_10device_ptrIiEEEENSB_INSC_IfEEEESG_fNS9_4plusIvEENS9_8equal_toIvEEfEE10hipError_tPvRmT2_T3_T4_T5_mT6_T7_P12ihipStream_tbENKUlT_T0_E_clISt17integral_constantIbLb0EES10_IbLb1EEEEDaSW_SX_EUlSW_E_NS1_11comp_targetILNS1_3genE8ELNS1_11target_archE1030ELNS1_3gpuE2ELNS1_3repE0EEENS1_30default_config_static_selectorELNS0_4arch9wavefront6targetE1EEEvT1_
		.amdhsa_group_segment_fixed_size 0
		.amdhsa_private_segment_fixed_size 0
		.amdhsa_kernarg_size 112
		.amdhsa_user_sgpr_count 2
		.amdhsa_user_sgpr_dispatch_ptr 0
		.amdhsa_user_sgpr_queue_ptr 0
		.amdhsa_user_sgpr_kernarg_segment_ptr 1
		.amdhsa_user_sgpr_dispatch_id 0
		.amdhsa_user_sgpr_kernarg_preload_length 0
		.amdhsa_user_sgpr_kernarg_preload_offset 0
		.amdhsa_user_sgpr_private_segment_size 0
		.amdhsa_uses_dynamic_stack 0
		.amdhsa_enable_private_segment 0
		.amdhsa_system_sgpr_workgroup_id_x 1
		.amdhsa_system_sgpr_workgroup_id_y 0
		.amdhsa_system_sgpr_workgroup_id_z 0
		.amdhsa_system_sgpr_workgroup_info 0
		.amdhsa_system_vgpr_workitem_id 0
		.amdhsa_next_free_vgpr 1
		.amdhsa_next_free_sgpr 0
		.amdhsa_accum_offset 4
		.amdhsa_reserve_vcc 0
		.amdhsa_float_round_mode_32 0
		.amdhsa_float_round_mode_16_64 0
		.amdhsa_float_denorm_mode_32 3
		.amdhsa_float_denorm_mode_16_64 3
		.amdhsa_dx10_clamp 1
		.amdhsa_ieee_mode 1
		.amdhsa_fp16_overflow 0
		.amdhsa_tg_split 0
		.amdhsa_exception_fp_ieee_invalid_op 0
		.amdhsa_exception_fp_denorm_src 0
		.amdhsa_exception_fp_ieee_div_zero 0
		.amdhsa_exception_fp_ieee_overflow 0
		.amdhsa_exception_fp_ieee_underflow 0
		.amdhsa_exception_fp_ieee_inexact 0
		.amdhsa_exception_int_div_zero 0
	.end_amdhsa_kernel
	.section	.text._ZN7rocprim17ROCPRIM_400000_NS6detail17trampoline_kernelINS0_14default_configENS1_27scan_by_key_config_selectorIifEEZZNS1_16scan_by_key_implILNS1_25lookback_scan_determinismE0ELb0ES3_N6thrust23THRUST_200600_302600_NS6detail15normal_iteratorINS9_10device_ptrIiEEEENSB_INSC_IfEEEESG_fNS9_4plusIvEENS9_8equal_toIvEEfEE10hipError_tPvRmT2_T3_T4_T5_mT6_T7_P12ihipStream_tbENKUlT_T0_E_clISt17integral_constantIbLb0EES10_IbLb1EEEEDaSW_SX_EUlSW_E_NS1_11comp_targetILNS1_3genE8ELNS1_11target_archE1030ELNS1_3gpuE2ELNS1_3repE0EEENS1_30default_config_static_selectorELNS0_4arch9wavefront6targetE1EEEvT1_,"axG",@progbits,_ZN7rocprim17ROCPRIM_400000_NS6detail17trampoline_kernelINS0_14default_configENS1_27scan_by_key_config_selectorIifEEZZNS1_16scan_by_key_implILNS1_25lookback_scan_determinismE0ELb0ES3_N6thrust23THRUST_200600_302600_NS6detail15normal_iteratorINS9_10device_ptrIiEEEENSB_INSC_IfEEEESG_fNS9_4plusIvEENS9_8equal_toIvEEfEE10hipError_tPvRmT2_T3_T4_T5_mT6_T7_P12ihipStream_tbENKUlT_T0_E_clISt17integral_constantIbLb0EES10_IbLb1EEEEDaSW_SX_EUlSW_E_NS1_11comp_targetILNS1_3genE8ELNS1_11target_archE1030ELNS1_3gpuE2ELNS1_3repE0EEENS1_30default_config_static_selectorELNS0_4arch9wavefront6targetE1EEEvT1_,comdat
.Lfunc_end1171:
	.size	_ZN7rocprim17ROCPRIM_400000_NS6detail17trampoline_kernelINS0_14default_configENS1_27scan_by_key_config_selectorIifEEZZNS1_16scan_by_key_implILNS1_25lookback_scan_determinismE0ELb0ES3_N6thrust23THRUST_200600_302600_NS6detail15normal_iteratorINS9_10device_ptrIiEEEENSB_INSC_IfEEEESG_fNS9_4plusIvEENS9_8equal_toIvEEfEE10hipError_tPvRmT2_T3_T4_T5_mT6_T7_P12ihipStream_tbENKUlT_T0_E_clISt17integral_constantIbLb0EES10_IbLb1EEEEDaSW_SX_EUlSW_E_NS1_11comp_targetILNS1_3genE8ELNS1_11target_archE1030ELNS1_3gpuE2ELNS1_3repE0EEENS1_30default_config_static_selectorELNS0_4arch9wavefront6targetE1EEEvT1_, .Lfunc_end1171-_ZN7rocprim17ROCPRIM_400000_NS6detail17trampoline_kernelINS0_14default_configENS1_27scan_by_key_config_selectorIifEEZZNS1_16scan_by_key_implILNS1_25lookback_scan_determinismE0ELb0ES3_N6thrust23THRUST_200600_302600_NS6detail15normal_iteratorINS9_10device_ptrIiEEEENSB_INSC_IfEEEESG_fNS9_4plusIvEENS9_8equal_toIvEEfEE10hipError_tPvRmT2_T3_T4_T5_mT6_T7_P12ihipStream_tbENKUlT_T0_E_clISt17integral_constantIbLb0EES10_IbLb1EEEEDaSW_SX_EUlSW_E_NS1_11comp_targetILNS1_3genE8ELNS1_11target_archE1030ELNS1_3gpuE2ELNS1_3repE0EEENS1_30default_config_static_selectorELNS0_4arch9wavefront6targetE1EEEvT1_
                                        ; -- End function
	.section	.AMDGPU.csdata,"",@progbits
; Kernel info:
; codeLenInByte = 0
; NumSgprs: 6
; NumVgprs: 0
; NumAgprs: 0
; TotalNumVgprs: 0
; ScratchSize: 0
; MemoryBound: 0
; FloatMode: 240
; IeeeMode: 1
; LDSByteSize: 0 bytes/workgroup (compile time only)
; SGPRBlocks: 0
; VGPRBlocks: 0
; NumSGPRsForWavesPerEU: 6
; NumVGPRsForWavesPerEU: 1
; AccumOffset: 4
; Occupancy: 8
; WaveLimiterHint : 0
; COMPUTE_PGM_RSRC2:SCRATCH_EN: 0
; COMPUTE_PGM_RSRC2:USER_SGPR: 2
; COMPUTE_PGM_RSRC2:TRAP_HANDLER: 0
; COMPUTE_PGM_RSRC2:TGID_X_EN: 1
; COMPUTE_PGM_RSRC2:TGID_Y_EN: 0
; COMPUTE_PGM_RSRC2:TGID_Z_EN: 0
; COMPUTE_PGM_RSRC2:TIDIG_COMP_CNT: 0
; COMPUTE_PGM_RSRC3_GFX90A:ACCUM_OFFSET: 0
; COMPUTE_PGM_RSRC3_GFX90A:TG_SPLIT: 0
	.section	.text._ZN6thrust23THRUST_200600_302600_NS11hip_rocprim14__parallel_for6kernelILj256ENS1_11__transform17unary_transform_fINS0_7pointerIiNS1_3tagENS0_11use_defaultES8_EENS0_10device_ptrIyEENS4_14no_stencil_tagENS0_8identityIiEENS4_21always_true_predicateEEElLj1EEEvT0_T1_SI_,"axG",@progbits,_ZN6thrust23THRUST_200600_302600_NS11hip_rocprim14__parallel_for6kernelILj256ENS1_11__transform17unary_transform_fINS0_7pointerIiNS1_3tagENS0_11use_defaultES8_EENS0_10device_ptrIyEENS4_14no_stencil_tagENS0_8identityIiEENS4_21always_true_predicateEEElLj1EEEvT0_T1_SI_,comdat
	.protected	_ZN6thrust23THRUST_200600_302600_NS11hip_rocprim14__parallel_for6kernelILj256ENS1_11__transform17unary_transform_fINS0_7pointerIiNS1_3tagENS0_11use_defaultES8_EENS0_10device_ptrIyEENS4_14no_stencil_tagENS0_8identityIiEENS4_21always_true_predicateEEElLj1EEEvT0_T1_SI_ ; -- Begin function _ZN6thrust23THRUST_200600_302600_NS11hip_rocprim14__parallel_for6kernelILj256ENS1_11__transform17unary_transform_fINS0_7pointerIiNS1_3tagENS0_11use_defaultES8_EENS0_10device_ptrIyEENS4_14no_stencil_tagENS0_8identityIiEENS4_21always_true_predicateEEElLj1EEEvT0_T1_SI_
	.globl	_ZN6thrust23THRUST_200600_302600_NS11hip_rocprim14__parallel_for6kernelILj256ENS1_11__transform17unary_transform_fINS0_7pointerIiNS1_3tagENS0_11use_defaultES8_EENS0_10device_ptrIyEENS4_14no_stencil_tagENS0_8identityIiEENS4_21always_true_predicateEEElLj1EEEvT0_T1_SI_
	.p2align	8
	.type	_ZN6thrust23THRUST_200600_302600_NS11hip_rocprim14__parallel_for6kernelILj256ENS1_11__transform17unary_transform_fINS0_7pointerIiNS1_3tagENS0_11use_defaultES8_EENS0_10device_ptrIyEENS4_14no_stencil_tagENS0_8identityIiEENS4_21always_true_predicateEEElLj1EEEvT0_T1_SI_,@function
_ZN6thrust23THRUST_200600_302600_NS11hip_rocprim14__parallel_for6kernelILj256ENS1_11__transform17unary_transform_fINS0_7pointerIiNS1_3tagENS0_11use_defaultES8_EENS0_10device_ptrIyEENS4_14no_stencil_tagENS0_8identityIiEENS4_21always_true_predicateEEElLj1EEEvT0_T1_SI_: ; @_ZN6thrust23THRUST_200600_302600_NS11hip_rocprim14__parallel_for6kernelILj256ENS1_11__transform17unary_transform_fINS0_7pointerIiNS1_3tagENS0_11use_defaultES8_EENS0_10device_ptrIyEENS4_14no_stencil_tagENS0_8identityIiEENS4_21always_true_predicateEEElLj1EEEvT0_T1_SI_
; %bb.0:
	s_load_dwordx4 s[8:11], s[0:1], 0x18
	s_load_dwordx4 s[4:7], s[0:1], 0x0
	s_lshl_b32 s0, s2, 8
	v_mov_b64_e32 v[2:3], 0x100
	s_waitcnt lgkmcnt(0)
	s_add_u32 s0, s0, s10
	s_addc_u32 s1, 0, s11
	s_sub_u32 s2, s8, s0
	s_subb_u32 s3, s9, s1
	v_cmp_lt_i64_e32 vcc, s[2:3], v[2:3]
	s_and_b64 s[8:9], vcc, exec
	s_cselect_b32 s8, s2, 0x100
	s_cmpk_lg_i32 s8, 0x100
	s_mov_b64 s[2:3], -1
	s_cbranch_scc1 .LBB1172_3
; %bb.1:
	s_andn2_b64 vcc, exec, s[2:3]
	s_cbranch_vccz .LBB1172_6
.LBB1172_2:
	s_endpgm
.LBB1172_3:
	v_cmp_gt_u32_e32 vcc, s8, v0
	s_and_saveexec_b64 s[2:3], vcc
	s_cbranch_execz .LBB1172_5
; %bb.4:
	v_mov_b32_e32 v1, 0
	v_lshl_add_u64 v[2:3], s[0:1], 0, v[0:1]
	v_lshl_add_u64 v[4:5], v[2:3], 2, s[4:5]
	flat_load_dword v4, v[4:5]
	v_lshl_add_u64 v[2:3], v[2:3], 3, s[6:7]
	s_waitcnt vmcnt(0) lgkmcnt(0)
	v_ashrrev_i32_e32 v5, 31, v4
	flat_store_dwordx2 v[2:3], v[4:5]
.LBB1172_5:
	s_or_b64 exec, exec, s[2:3]
	s_cbranch_execnz .LBB1172_2
.LBB1172_6:
	v_mov_b32_e32 v1, 0
	v_lshl_add_u64 v[0:1], s[0:1], 0, v[0:1]
	v_lshl_add_u64 v[2:3], v[0:1], 2, s[4:5]
	flat_load_dword v2, v[2:3]
	v_lshl_add_u64 v[0:1], v[0:1], 3, s[6:7]
	s_waitcnt vmcnt(0) lgkmcnt(0)
	v_ashrrev_i32_e32 v3, 31, v2
	flat_store_dwordx2 v[0:1], v[2:3]
	s_endpgm
	.section	.rodata,"a",@progbits
	.p2align	6, 0x0
	.amdhsa_kernel _ZN6thrust23THRUST_200600_302600_NS11hip_rocprim14__parallel_for6kernelILj256ENS1_11__transform17unary_transform_fINS0_7pointerIiNS1_3tagENS0_11use_defaultES8_EENS0_10device_ptrIyEENS4_14no_stencil_tagENS0_8identityIiEENS4_21always_true_predicateEEElLj1EEEvT0_T1_SI_
		.amdhsa_group_segment_fixed_size 0
		.amdhsa_private_segment_fixed_size 0
		.amdhsa_kernarg_size 40
		.amdhsa_user_sgpr_count 2
		.amdhsa_user_sgpr_dispatch_ptr 0
		.amdhsa_user_sgpr_queue_ptr 0
		.amdhsa_user_sgpr_kernarg_segment_ptr 1
		.amdhsa_user_sgpr_dispatch_id 0
		.amdhsa_user_sgpr_kernarg_preload_length 0
		.amdhsa_user_sgpr_kernarg_preload_offset 0
		.amdhsa_user_sgpr_private_segment_size 0
		.amdhsa_uses_dynamic_stack 0
		.amdhsa_enable_private_segment 0
		.amdhsa_system_sgpr_workgroup_id_x 1
		.amdhsa_system_sgpr_workgroup_id_y 0
		.amdhsa_system_sgpr_workgroup_id_z 0
		.amdhsa_system_sgpr_workgroup_info 0
		.amdhsa_system_vgpr_workitem_id 0
		.amdhsa_next_free_vgpr 6
		.amdhsa_next_free_sgpr 12
		.amdhsa_accum_offset 8
		.amdhsa_reserve_vcc 1
		.amdhsa_float_round_mode_32 0
		.amdhsa_float_round_mode_16_64 0
		.amdhsa_float_denorm_mode_32 3
		.amdhsa_float_denorm_mode_16_64 3
		.amdhsa_dx10_clamp 1
		.amdhsa_ieee_mode 1
		.amdhsa_fp16_overflow 0
		.amdhsa_tg_split 0
		.amdhsa_exception_fp_ieee_invalid_op 0
		.amdhsa_exception_fp_denorm_src 0
		.amdhsa_exception_fp_ieee_div_zero 0
		.amdhsa_exception_fp_ieee_overflow 0
		.amdhsa_exception_fp_ieee_underflow 0
		.amdhsa_exception_fp_ieee_inexact 0
		.amdhsa_exception_int_div_zero 0
	.end_amdhsa_kernel
	.section	.text._ZN6thrust23THRUST_200600_302600_NS11hip_rocprim14__parallel_for6kernelILj256ENS1_11__transform17unary_transform_fINS0_7pointerIiNS1_3tagENS0_11use_defaultES8_EENS0_10device_ptrIyEENS4_14no_stencil_tagENS0_8identityIiEENS4_21always_true_predicateEEElLj1EEEvT0_T1_SI_,"axG",@progbits,_ZN6thrust23THRUST_200600_302600_NS11hip_rocprim14__parallel_for6kernelILj256ENS1_11__transform17unary_transform_fINS0_7pointerIiNS1_3tagENS0_11use_defaultES8_EENS0_10device_ptrIyEENS4_14no_stencil_tagENS0_8identityIiEENS4_21always_true_predicateEEElLj1EEEvT0_T1_SI_,comdat
.Lfunc_end1172:
	.size	_ZN6thrust23THRUST_200600_302600_NS11hip_rocprim14__parallel_for6kernelILj256ENS1_11__transform17unary_transform_fINS0_7pointerIiNS1_3tagENS0_11use_defaultES8_EENS0_10device_ptrIyEENS4_14no_stencil_tagENS0_8identityIiEENS4_21always_true_predicateEEElLj1EEEvT0_T1_SI_, .Lfunc_end1172-_ZN6thrust23THRUST_200600_302600_NS11hip_rocprim14__parallel_for6kernelILj256ENS1_11__transform17unary_transform_fINS0_7pointerIiNS1_3tagENS0_11use_defaultES8_EENS0_10device_ptrIyEENS4_14no_stencil_tagENS0_8identityIiEENS4_21always_true_predicateEEElLj1EEEvT0_T1_SI_
                                        ; -- End function
	.section	.AMDGPU.csdata,"",@progbits
; Kernel info:
; codeLenInByte = 216
; NumSgprs: 18
; NumVgprs: 6
; NumAgprs: 0
; TotalNumVgprs: 6
; ScratchSize: 0
; MemoryBound: 0
; FloatMode: 240
; IeeeMode: 1
; LDSByteSize: 0 bytes/workgroup (compile time only)
; SGPRBlocks: 2
; VGPRBlocks: 0
; NumSGPRsForWavesPerEU: 18
; NumVGPRsForWavesPerEU: 6
; AccumOffset: 8
; Occupancy: 8
; WaveLimiterHint : 0
; COMPUTE_PGM_RSRC2:SCRATCH_EN: 0
; COMPUTE_PGM_RSRC2:USER_SGPR: 2
; COMPUTE_PGM_RSRC2:TRAP_HANDLER: 0
; COMPUTE_PGM_RSRC2:TGID_X_EN: 1
; COMPUTE_PGM_RSRC2:TGID_Y_EN: 0
; COMPUTE_PGM_RSRC2:TGID_Z_EN: 0
; COMPUTE_PGM_RSRC2:TIDIG_COMP_CNT: 0
; COMPUTE_PGM_RSRC3_GFX90A:ACCUM_OFFSET: 1
; COMPUTE_PGM_RSRC3_GFX90A:TG_SPLIT: 0
	.section	.text._ZN6thrust23THRUST_200600_302600_NS11hip_rocprim14__parallel_for6kernelILj256ENS1_20__uninitialized_fill7functorINS0_10device_ptrIyEEyEEmLj1EEEvT0_T1_SA_,"axG",@progbits,_ZN6thrust23THRUST_200600_302600_NS11hip_rocprim14__parallel_for6kernelILj256ENS1_20__uninitialized_fill7functorINS0_10device_ptrIyEEyEEmLj1EEEvT0_T1_SA_,comdat
	.protected	_ZN6thrust23THRUST_200600_302600_NS11hip_rocprim14__parallel_for6kernelILj256ENS1_20__uninitialized_fill7functorINS0_10device_ptrIyEEyEEmLj1EEEvT0_T1_SA_ ; -- Begin function _ZN6thrust23THRUST_200600_302600_NS11hip_rocprim14__parallel_for6kernelILj256ENS1_20__uninitialized_fill7functorINS0_10device_ptrIyEEyEEmLj1EEEvT0_T1_SA_
	.globl	_ZN6thrust23THRUST_200600_302600_NS11hip_rocprim14__parallel_for6kernelILj256ENS1_20__uninitialized_fill7functorINS0_10device_ptrIyEEyEEmLj1EEEvT0_T1_SA_
	.p2align	8
	.type	_ZN6thrust23THRUST_200600_302600_NS11hip_rocprim14__parallel_for6kernelILj256ENS1_20__uninitialized_fill7functorINS0_10device_ptrIyEEyEEmLj1EEEvT0_T1_SA_,@function
_ZN6thrust23THRUST_200600_302600_NS11hip_rocprim14__parallel_for6kernelILj256ENS1_20__uninitialized_fill7functorINS0_10device_ptrIyEEyEEmLj1EEEvT0_T1_SA_: ; @_ZN6thrust23THRUST_200600_302600_NS11hip_rocprim14__parallel_for6kernelILj256ENS1_20__uninitialized_fill7functorINS0_10device_ptrIyEEyEEmLj1EEEvT0_T1_SA_
; %bb.0:
	s_load_dwordx8 s[4:11], s[0:1], 0x0
	s_lshl_b32 s0, s2, 8
	v_mov_b64_e32 v[2:3], 0x100
	s_waitcnt lgkmcnt(0)
	s_add_u32 s0, s0, s10
	s_addc_u32 s1, 0, s11
	s_sub_u32 s2, s8, s0
	s_subb_u32 s3, s9, s1
	v_cmp_lt_u64_e32 vcc, s[2:3], v[2:3]
	s_cbranch_vccz .LBB1173_2
; %bb.1:
	v_cmp_gt_u32_e32 vcc, s2, v0
	s_and_b64 s[2:3], vcc, exec
	s_cbranch_execz .LBB1173_3
	s_branch .LBB1173_4
.LBB1173_2:
	s_mov_b64 s[2:3], 0
.LBB1173_3:
	s_or_b64 s[2:3], s[2:3], exec
.LBB1173_4:
	s_and_saveexec_b64 s[8:9], s[2:3]
	s_cbranch_execnz .LBB1173_6
; %bb.5:
	s_endpgm
.LBB1173_6:
	s_lshl_b64 s[0:1], s[0:1], 3
	s_add_u32 s0, s4, s0
	v_mov_b32_e32 v1, 0
	s_addc_u32 s1, s5, s1
	v_mov_b32_e32 v2, s6
	v_mov_b32_e32 v3, s7
	v_lshl_add_u64 v[0:1], v[0:1], 3, s[0:1]
	flat_store_dwordx2 v[0:1], v[2:3]
	s_endpgm
	.section	.rodata,"a",@progbits
	.p2align	6, 0x0
	.amdhsa_kernel _ZN6thrust23THRUST_200600_302600_NS11hip_rocprim14__parallel_for6kernelILj256ENS1_20__uninitialized_fill7functorINS0_10device_ptrIyEEyEEmLj1EEEvT0_T1_SA_
		.amdhsa_group_segment_fixed_size 0
		.amdhsa_private_segment_fixed_size 0
		.amdhsa_kernarg_size 32
		.amdhsa_user_sgpr_count 2
		.amdhsa_user_sgpr_dispatch_ptr 0
		.amdhsa_user_sgpr_queue_ptr 0
		.amdhsa_user_sgpr_kernarg_segment_ptr 1
		.amdhsa_user_sgpr_dispatch_id 0
		.amdhsa_user_sgpr_kernarg_preload_length 0
		.amdhsa_user_sgpr_kernarg_preload_offset 0
		.amdhsa_user_sgpr_private_segment_size 0
		.amdhsa_uses_dynamic_stack 0
		.amdhsa_enable_private_segment 0
		.amdhsa_system_sgpr_workgroup_id_x 1
		.amdhsa_system_sgpr_workgroup_id_y 0
		.amdhsa_system_sgpr_workgroup_id_z 0
		.amdhsa_system_sgpr_workgroup_info 0
		.amdhsa_system_vgpr_workitem_id 0
		.amdhsa_next_free_vgpr 4
		.amdhsa_next_free_sgpr 12
		.amdhsa_accum_offset 4
		.amdhsa_reserve_vcc 1
		.amdhsa_float_round_mode_32 0
		.amdhsa_float_round_mode_16_64 0
		.amdhsa_float_denorm_mode_32 3
		.amdhsa_float_denorm_mode_16_64 3
		.amdhsa_dx10_clamp 1
		.amdhsa_ieee_mode 1
		.amdhsa_fp16_overflow 0
		.amdhsa_tg_split 0
		.amdhsa_exception_fp_ieee_invalid_op 0
		.amdhsa_exception_fp_denorm_src 0
		.amdhsa_exception_fp_ieee_div_zero 0
		.amdhsa_exception_fp_ieee_overflow 0
		.amdhsa_exception_fp_ieee_underflow 0
		.amdhsa_exception_fp_ieee_inexact 0
		.amdhsa_exception_int_div_zero 0
	.end_amdhsa_kernel
	.section	.text._ZN6thrust23THRUST_200600_302600_NS11hip_rocprim14__parallel_for6kernelILj256ENS1_20__uninitialized_fill7functorINS0_10device_ptrIyEEyEEmLj1EEEvT0_T1_SA_,"axG",@progbits,_ZN6thrust23THRUST_200600_302600_NS11hip_rocprim14__parallel_for6kernelILj256ENS1_20__uninitialized_fill7functorINS0_10device_ptrIyEEyEEmLj1EEEvT0_T1_SA_,comdat
.Lfunc_end1173:
	.size	_ZN6thrust23THRUST_200600_302600_NS11hip_rocprim14__parallel_for6kernelILj256ENS1_20__uninitialized_fill7functorINS0_10device_ptrIyEEyEEmLj1EEEvT0_T1_SA_, .Lfunc_end1173-_ZN6thrust23THRUST_200600_302600_NS11hip_rocprim14__parallel_for6kernelILj256ENS1_20__uninitialized_fill7functorINS0_10device_ptrIyEEyEEmLj1EEEvT0_T1_SA_
                                        ; -- End function
	.section	.AMDGPU.csdata,"",@progbits
; Kernel info:
; codeLenInByte = 128
; NumSgprs: 18
; NumVgprs: 4
; NumAgprs: 0
; TotalNumVgprs: 4
; ScratchSize: 0
; MemoryBound: 0
; FloatMode: 240
; IeeeMode: 1
; LDSByteSize: 0 bytes/workgroup (compile time only)
; SGPRBlocks: 2
; VGPRBlocks: 0
; NumSGPRsForWavesPerEU: 18
; NumVGPRsForWavesPerEU: 4
; AccumOffset: 4
; Occupancy: 8
; WaveLimiterHint : 0
; COMPUTE_PGM_RSRC2:SCRATCH_EN: 0
; COMPUTE_PGM_RSRC2:USER_SGPR: 2
; COMPUTE_PGM_RSRC2:TRAP_HANDLER: 0
; COMPUTE_PGM_RSRC2:TGID_X_EN: 1
; COMPUTE_PGM_RSRC2:TGID_Y_EN: 0
; COMPUTE_PGM_RSRC2:TGID_Z_EN: 0
; COMPUTE_PGM_RSRC2:TIDIG_COMP_CNT: 0
; COMPUTE_PGM_RSRC3_GFX90A:ACCUM_OFFSET: 0
; COMPUTE_PGM_RSRC3_GFX90A:TG_SPLIT: 0
	.section	.text._ZN7rocprim17ROCPRIM_400000_NS6detail30init_device_scan_by_key_kernelINS1_19lookback_scan_stateINS0_5tupleIJybEEELb0ELb0EEEN6thrust23THRUST_200600_302600_NS6detail15normal_iteratorINS8_10device_ptrIiEEEEjNS1_16block_id_wrapperIjLb0EEEEEvT_jjPNSG_10value_typeET0_PNSt15iterator_traitsISJ_E10value_typeEmT1_T2_,"axG",@progbits,_ZN7rocprim17ROCPRIM_400000_NS6detail30init_device_scan_by_key_kernelINS1_19lookback_scan_stateINS0_5tupleIJybEEELb0ELb0EEEN6thrust23THRUST_200600_302600_NS6detail15normal_iteratorINS8_10device_ptrIiEEEEjNS1_16block_id_wrapperIjLb0EEEEEvT_jjPNSG_10value_typeET0_PNSt15iterator_traitsISJ_E10value_typeEmT1_T2_,comdat
	.protected	_ZN7rocprim17ROCPRIM_400000_NS6detail30init_device_scan_by_key_kernelINS1_19lookback_scan_stateINS0_5tupleIJybEEELb0ELb0EEEN6thrust23THRUST_200600_302600_NS6detail15normal_iteratorINS8_10device_ptrIiEEEEjNS1_16block_id_wrapperIjLb0EEEEEvT_jjPNSG_10value_typeET0_PNSt15iterator_traitsISJ_E10value_typeEmT1_T2_ ; -- Begin function _ZN7rocprim17ROCPRIM_400000_NS6detail30init_device_scan_by_key_kernelINS1_19lookback_scan_stateINS0_5tupleIJybEEELb0ELb0EEEN6thrust23THRUST_200600_302600_NS6detail15normal_iteratorINS8_10device_ptrIiEEEEjNS1_16block_id_wrapperIjLb0EEEEEvT_jjPNSG_10value_typeET0_PNSt15iterator_traitsISJ_E10value_typeEmT1_T2_
	.globl	_ZN7rocprim17ROCPRIM_400000_NS6detail30init_device_scan_by_key_kernelINS1_19lookback_scan_stateINS0_5tupleIJybEEELb0ELb0EEEN6thrust23THRUST_200600_302600_NS6detail15normal_iteratorINS8_10device_ptrIiEEEEjNS1_16block_id_wrapperIjLb0EEEEEvT_jjPNSG_10value_typeET0_PNSt15iterator_traitsISJ_E10value_typeEmT1_T2_
	.p2align	8
	.type	_ZN7rocprim17ROCPRIM_400000_NS6detail30init_device_scan_by_key_kernelINS1_19lookback_scan_stateINS0_5tupleIJybEEELb0ELb0EEEN6thrust23THRUST_200600_302600_NS6detail15normal_iteratorINS8_10device_ptrIiEEEEjNS1_16block_id_wrapperIjLb0EEEEEvT_jjPNSG_10value_typeET0_PNSt15iterator_traitsISJ_E10value_typeEmT1_T2_,@function
_ZN7rocprim17ROCPRIM_400000_NS6detail30init_device_scan_by_key_kernelINS1_19lookback_scan_stateINS0_5tupleIJybEEELb0ELb0EEEN6thrust23THRUST_200600_302600_NS6detail15normal_iteratorINS8_10device_ptrIiEEEEjNS1_16block_id_wrapperIjLb0EEEEEvT_jjPNSG_10value_typeET0_PNSt15iterator_traitsISJ_E10value_typeEmT1_T2_: ; @_ZN7rocprim17ROCPRIM_400000_NS6detail30init_device_scan_by_key_kernelINS1_19lookback_scan_stateINS0_5tupleIJybEEELb0ELb0EEEN6thrust23THRUST_200600_302600_NS6detail15normal_iteratorINS8_10device_ptrIiEEEEjNS1_16block_id_wrapperIjLb0EEEEEvT_jjPNSG_10value_typeET0_PNSt15iterator_traitsISJ_E10value_typeEmT1_T2_
; %bb.0:
	s_load_dword s3, s[0:1], 0x54
	s_load_dwordx8 s[4:11], s[0:1], 0x10
	s_load_dword s20, s[0:1], 0x48
	s_waitcnt lgkmcnt(0)
	s_and_b32 s21, s3, 0xffff
	s_mul_i32 s2, s2, s21
	s_cmp_eq_u64 s[8:9], 0
	v_add_u32_e32 v0, s2, v0
	s_cbranch_scc1 .LBB1174_7
; %bb.1:
	s_cmp_lt_u32 s7, s6
	s_cselect_b32 s2, s7, 0
	s_mov_b32 s17, 0
	v_cmp_eq_u32_e32 vcc, s2, v0
	s_and_saveexec_b64 s[2:3], vcc
	s_cbranch_execz .LBB1174_6
; %bb.2:
	s_add_i32 s16, s7, 64
	v_mov_b32_e32 v1, s16
	global_load_ubyte v1, v1, s[4:5] sc1
	s_load_dwordx4 s[12:15], s[0:1], 0x0
	s_add_u32 s18, s4, s16
	s_addc_u32 s19, s5, 0
	s_waitcnt vmcnt(0)
	v_cmp_ne_u16_e32 vcc, 0, v1
	v_readfirstlane_b32 s7, v1
	s_cbranch_vccnz .LBB1174_5
; %bb.3:
	v_mov_b32_e32 v1, 0
.LBB1174_4:                             ; =>This Inner Loop Header: Depth=1
	global_load_ubyte v2, v1, s[18:19] sc1
	s_waitcnt vmcnt(0)
	v_cmp_eq_u16_e32 vcc, 0, v2
	v_readfirstlane_b32 s7, v2
	s_cbranch_vccnz .LBB1174_4
.LBB1174_5:
	s_and_b32 s7, 0xffff, s7
	s_cmp_eq_u32 s7, 1
	s_waitcnt lgkmcnt(0)
	s_cselect_b32 s7, s13, s15
	s_cselect_b32 s14, s12, s14
	s_lshl_b64 s[12:13], s[16:17], 4
	s_add_u32 s12, s14, s12
	s_addc_u32 s13, s7, s13
	v_mov_b32_e32 v1, 0
	s_waitcnt vmcnt(0)
	global_load_dword v2, v1, s[12:13] sc1
	global_load_dword v3, v1, s[12:13] offset:4 sc1
	global_load_dword v4, v1, s[12:13] offset:8 sc1
	;; [unrolled: 1-line block ×3, first 2 shown]
	s_waitcnt vmcnt(2)
	global_store_dwordx2 v1, v[2:3], s[8:9]
	s_waitcnt vmcnt(2)
	global_store_byte v1, v4, s[8:9] offset:8
.LBB1174_6:
	s_or_b64 exec, exec, s[2:3]
.LBB1174_7:
	v_cmp_gt_u32_e32 vcc, s6, v0
	s_and_saveexec_b64 s[2:3], vcc
	s_cbranch_execz .LBB1174_9
; %bb.8:
	v_add_u32_e32 v1, 64, v0
	v_mov_b32_e32 v2, 0
	global_store_byte v1, v2, s[4:5]
.LBB1174_9:
	s_or_b64 exec, exec, s[2:3]
	v_cmp_gt_u32_e32 vcc, 64, v0
	v_mov_b32_e32 v1, 0
	s_and_saveexec_b64 s[2:3], vcc
	s_cbranch_execz .LBB1174_11
; %bb.10:
	v_lshl_add_u64 v[2:3], s[4:5], 0, v[0:1]
	v_mov_b32_e32 v4, 0xff
	global_store_byte v[2:3], v4, off
.LBB1174_11:
	s_or_b64 exec, exec, s[2:3]
	s_load_dwordx2 s[2:3], s[0:1], 0x38
	s_waitcnt lgkmcnt(0)
	v_cmp_gt_u64_e32 vcc, s[2:3], v[0:1]
	s_and_saveexec_b64 s[4:5], vcc
	s_cbranch_execz .LBB1174_14
; %bb.12:
	s_load_dword s12, s[0:1], 0x40
	s_load_dwordx2 s[6:7], s[0:1], 0x30
	s_mov_b32 s5, 0
	s_mov_b32 s1, s5
	s_mul_i32 s0, s20, s21
	s_waitcnt lgkmcnt(0)
	s_add_i32 s4, s12, -1
	s_lshl_b64 s[4:5], s[4:5], 2
	s_add_u32 s4, s10, s4
	v_mad_u64_u32 v[2:3], s[8:9], s12, v0, 0
	s_addc_u32 s5, s11, s5
	v_lshl_add_u64 v[2:3], v[2:3], 2, s[4:5]
	s_mul_hi_u32 s5, s12, s0
	s_mul_i32 s4, s12, s0
	s_lshl_b64 s[4:5], s[4:5], 2
	s_waitcnt vmcnt(2)
	v_lshl_add_u64 v[4:5], v[0:1], 2, s[6:7]
	s_lshl_b64 s[6:7], s[0:1], 2
	s_mov_b64 s[8:9], 0
.LBB1174_13:                            ; =>This Inner Loop Header: Depth=1
	global_load_dword v6, v[2:3], off
	v_lshl_add_u64 v[0:1], v[0:1], 0, s[0:1]
	v_cmp_le_u64_e32 vcc, s[2:3], v[0:1]
	v_lshl_add_u64 v[2:3], v[2:3], 0, s[4:5]
	s_or_b64 s[8:9], vcc, s[8:9]
	s_waitcnt vmcnt(0)
	global_store_dword v[4:5], v6, off
	v_lshl_add_u64 v[4:5], v[4:5], 0, s[6:7]
	s_andn2_b64 exec, exec, s[8:9]
	s_cbranch_execnz .LBB1174_13
.LBB1174_14:
	s_endpgm
	.section	.rodata,"a",@progbits
	.p2align	6, 0x0
	.amdhsa_kernel _ZN7rocprim17ROCPRIM_400000_NS6detail30init_device_scan_by_key_kernelINS1_19lookback_scan_stateINS0_5tupleIJybEEELb0ELb0EEEN6thrust23THRUST_200600_302600_NS6detail15normal_iteratorINS8_10device_ptrIiEEEEjNS1_16block_id_wrapperIjLb0EEEEEvT_jjPNSG_10value_typeET0_PNSt15iterator_traitsISJ_E10value_typeEmT1_T2_
		.amdhsa_group_segment_fixed_size 0
		.amdhsa_private_segment_fixed_size 0
		.amdhsa_kernarg_size 328
		.amdhsa_user_sgpr_count 2
		.amdhsa_user_sgpr_dispatch_ptr 0
		.amdhsa_user_sgpr_queue_ptr 0
		.amdhsa_user_sgpr_kernarg_segment_ptr 1
		.amdhsa_user_sgpr_dispatch_id 0
		.amdhsa_user_sgpr_kernarg_preload_length 0
		.amdhsa_user_sgpr_kernarg_preload_offset 0
		.amdhsa_user_sgpr_private_segment_size 0
		.amdhsa_uses_dynamic_stack 0
		.amdhsa_enable_private_segment 0
		.amdhsa_system_sgpr_workgroup_id_x 1
		.amdhsa_system_sgpr_workgroup_id_y 0
		.amdhsa_system_sgpr_workgroup_id_z 0
		.amdhsa_system_sgpr_workgroup_info 0
		.amdhsa_system_vgpr_workitem_id 0
		.amdhsa_next_free_vgpr 7
		.amdhsa_next_free_sgpr 22
		.amdhsa_accum_offset 8
		.amdhsa_reserve_vcc 1
		.amdhsa_float_round_mode_32 0
		.amdhsa_float_round_mode_16_64 0
		.amdhsa_float_denorm_mode_32 3
		.amdhsa_float_denorm_mode_16_64 3
		.amdhsa_dx10_clamp 1
		.amdhsa_ieee_mode 1
		.amdhsa_fp16_overflow 0
		.amdhsa_tg_split 0
		.amdhsa_exception_fp_ieee_invalid_op 0
		.amdhsa_exception_fp_denorm_src 0
		.amdhsa_exception_fp_ieee_div_zero 0
		.amdhsa_exception_fp_ieee_overflow 0
		.amdhsa_exception_fp_ieee_underflow 0
		.amdhsa_exception_fp_ieee_inexact 0
		.amdhsa_exception_int_div_zero 0
	.end_amdhsa_kernel
	.section	.text._ZN7rocprim17ROCPRIM_400000_NS6detail30init_device_scan_by_key_kernelINS1_19lookback_scan_stateINS0_5tupleIJybEEELb0ELb0EEEN6thrust23THRUST_200600_302600_NS6detail15normal_iteratorINS8_10device_ptrIiEEEEjNS1_16block_id_wrapperIjLb0EEEEEvT_jjPNSG_10value_typeET0_PNSt15iterator_traitsISJ_E10value_typeEmT1_T2_,"axG",@progbits,_ZN7rocprim17ROCPRIM_400000_NS6detail30init_device_scan_by_key_kernelINS1_19lookback_scan_stateINS0_5tupleIJybEEELb0ELb0EEEN6thrust23THRUST_200600_302600_NS6detail15normal_iteratorINS8_10device_ptrIiEEEEjNS1_16block_id_wrapperIjLb0EEEEEvT_jjPNSG_10value_typeET0_PNSt15iterator_traitsISJ_E10value_typeEmT1_T2_,comdat
.Lfunc_end1174:
	.size	_ZN7rocprim17ROCPRIM_400000_NS6detail30init_device_scan_by_key_kernelINS1_19lookback_scan_stateINS0_5tupleIJybEEELb0ELb0EEEN6thrust23THRUST_200600_302600_NS6detail15normal_iteratorINS8_10device_ptrIiEEEEjNS1_16block_id_wrapperIjLb0EEEEEvT_jjPNSG_10value_typeET0_PNSt15iterator_traitsISJ_E10value_typeEmT1_T2_, .Lfunc_end1174-_ZN7rocprim17ROCPRIM_400000_NS6detail30init_device_scan_by_key_kernelINS1_19lookback_scan_stateINS0_5tupleIJybEEELb0ELb0EEEN6thrust23THRUST_200600_302600_NS6detail15normal_iteratorINS8_10device_ptrIiEEEEjNS1_16block_id_wrapperIjLb0EEEEEvT_jjPNSG_10value_typeET0_PNSt15iterator_traitsISJ_E10value_typeEmT1_T2_
                                        ; -- End function
	.section	.AMDGPU.csdata,"",@progbits
; Kernel info:
; codeLenInByte = 516
; NumSgprs: 28
; NumVgprs: 7
; NumAgprs: 0
; TotalNumVgprs: 7
; ScratchSize: 0
; MemoryBound: 0
; FloatMode: 240
; IeeeMode: 1
; LDSByteSize: 0 bytes/workgroup (compile time only)
; SGPRBlocks: 3
; VGPRBlocks: 0
; NumSGPRsForWavesPerEU: 28
; NumVGPRsForWavesPerEU: 7
; AccumOffset: 8
; Occupancy: 8
; WaveLimiterHint : 0
; COMPUTE_PGM_RSRC2:SCRATCH_EN: 0
; COMPUTE_PGM_RSRC2:USER_SGPR: 2
; COMPUTE_PGM_RSRC2:TRAP_HANDLER: 0
; COMPUTE_PGM_RSRC2:TGID_X_EN: 1
; COMPUTE_PGM_RSRC2:TGID_Y_EN: 0
; COMPUTE_PGM_RSRC2:TGID_Z_EN: 0
; COMPUTE_PGM_RSRC2:TIDIG_COMP_CNT: 0
; COMPUTE_PGM_RSRC3_GFX90A:ACCUM_OFFSET: 1
; COMPUTE_PGM_RSRC3_GFX90A:TG_SPLIT: 0
	.section	.text._ZN7rocprim17ROCPRIM_400000_NS6detail30init_device_scan_by_key_kernelINS1_19lookback_scan_stateINS0_5tupleIJybEEELb0ELb0EEENS1_16block_id_wrapperIjLb0EEEEEvT_jjPNS9_10value_typeET0_,"axG",@progbits,_ZN7rocprim17ROCPRIM_400000_NS6detail30init_device_scan_by_key_kernelINS1_19lookback_scan_stateINS0_5tupleIJybEEELb0ELb0EEENS1_16block_id_wrapperIjLb0EEEEEvT_jjPNS9_10value_typeET0_,comdat
	.protected	_ZN7rocprim17ROCPRIM_400000_NS6detail30init_device_scan_by_key_kernelINS1_19lookback_scan_stateINS0_5tupleIJybEEELb0ELb0EEENS1_16block_id_wrapperIjLb0EEEEEvT_jjPNS9_10value_typeET0_ ; -- Begin function _ZN7rocprim17ROCPRIM_400000_NS6detail30init_device_scan_by_key_kernelINS1_19lookback_scan_stateINS0_5tupleIJybEEELb0ELb0EEENS1_16block_id_wrapperIjLb0EEEEEvT_jjPNS9_10value_typeET0_
	.globl	_ZN7rocprim17ROCPRIM_400000_NS6detail30init_device_scan_by_key_kernelINS1_19lookback_scan_stateINS0_5tupleIJybEEELb0ELb0EEENS1_16block_id_wrapperIjLb0EEEEEvT_jjPNS9_10value_typeET0_
	.p2align	8
	.type	_ZN7rocprim17ROCPRIM_400000_NS6detail30init_device_scan_by_key_kernelINS1_19lookback_scan_stateINS0_5tupleIJybEEELb0ELb0EEENS1_16block_id_wrapperIjLb0EEEEEvT_jjPNS9_10value_typeET0_,@function
_ZN7rocprim17ROCPRIM_400000_NS6detail30init_device_scan_by_key_kernelINS1_19lookback_scan_stateINS0_5tupleIJybEEELb0ELb0EEENS1_16block_id_wrapperIjLb0EEEEEvT_jjPNS9_10value_typeET0_: ; @_ZN7rocprim17ROCPRIM_400000_NS6detail30init_device_scan_by_key_kernelINS1_19lookback_scan_stateINS0_5tupleIJybEEELb0ELb0EEENS1_16block_id_wrapperIjLb0EEEEEvT_jjPNS9_10value_typeET0_
; %bb.0:
	s_load_dword s3, s[0:1], 0x3c
	s_load_dwordx2 s[8:9], s[0:1], 0x20
	s_load_dwordx4 s[4:7], s[0:1], 0x10
	s_waitcnt lgkmcnt(0)
	s_and_b32 s3, s3, 0xffff
	s_mul_i32 s2, s2, s3
	s_cmp_eq_u64 s[8:9], 0
	v_add_u32_e32 v0, s2, v0
	s_cbranch_scc1 .LBB1175_7
; %bb.1:
	s_cmp_lt_u32 s7, s6
	s_cselect_b32 s2, s7, 0
	s_mov_b32 s13, 0
	v_cmp_eq_u32_e32 vcc, s2, v0
	s_and_saveexec_b64 s[10:11], vcc
	s_cbranch_execz .LBB1175_6
; %bb.2:
	s_add_i32 s12, s7, 64
	v_mov_b32_e32 v1, s12
	global_load_ubyte v1, v1, s[4:5] sc1
	s_load_dwordx4 s[0:3], s[0:1], 0x0
	s_add_u32 s14, s4, s12
	s_addc_u32 s15, s5, 0
	s_waitcnt vmcnt(0)
	v_cmp_ne_u16_e32 vcc, 0, v1
	v_readfirstlane_b32 s7, v1
	s_cbranch_vccnz .LBB1175_5
; %bb.3:
	v_mov_b32_e32 v1, 0
.LBB1175_4:                             ; =>This Inner Loop Header: Depth=1
	global_load_ubyte v2, v1, s[14:15] sc1
	s_waitcnt vmcnt(0)
	v_cmp_eq_u16_e32 vcc, 0, v2
	v_readfirstlane_b32 s7, v2
	s_cbranch_vccnz .LBB1175_4
.LBB1175_5:
	s_and_b32 s7, 0xffff, s7
	s_cmp_eq_u32 s7, 1
	s_waitcnt lgkmcnt(0)
	s_cselect_b32 s3, s1, s3
	s_cselect_b32 s2, s0, s2
	s_lshl_b64 s[0:1], s[12:13], 4
	s_add_u32 s0, s2, s0
	s_addc_u32 s1, s3, s1
	v_mov_b32_e32 v1, 0
	s_waitcnt vmcnt(0)
	global_load_dword v2, v1, s[0:1] sc1
	global_load_dword v3, v1, s[0:1] offset:4 sc1
	global_load_dword v4, v1, s[0:1] offset:8 sc1
	;; [unrolled: 1-line block ×3, first 2 shown]
	s_waitcnt vmcnt(2)
	global_store_dwordx2 v1, v[2:3], s[8:9]
	s_waitcnt vmcnt(2)
	global_store_byte v1, v4, s[8:9] offset:8
.LBB1175_6:
	s_or_b64 exec, exec, s[10:11]
.LBB1175_7:
	v_cmp_gt_u32_e32 vcc, s6, v0
	s_and_saveexec_b64 s[0:1], vcc
	s_cbranch_execnz .LBB1175_10
; %bb.8:
	s_or_b64 exec, exec, s[0:1]
	v_cmp_gt_u32_e32 vcc, 64, v0
	s_and_saveexec_b64 s[0:1], vcc
	s_cbranch_execnz .LBB1175_11
.LBB1175_9:
	s_endpgm
.LBB1175_10:
	v_add_u32_e32 v1, 64, v0
	v_mov_b32_e32 v2, 0
	global_store_byte v1, v2, s[4:5]
	s_or_b64 exec, exec, s[0:1]
	v_cmp_gt_u32_e32 vcc, 64, v0
	s_and_saveexec_b64 s[0:1], vcc
	s_cbranch_execz .LBB1175_9
.LBB1175_11:
	v_mov_b32_e32 v1, 0xff
	global_store_byte v0, v1, s[4:5]
	s_endpgm
	.section	.rodata,"a",@progbits
	.p2align	6, 0x0
	.amdhsa_kernel _ZN7rocprim17ROCPRIM_400000_NS6detail30init_device_scan_by_key_kernelINS1_19lookback_scan_stateINS0_5tupleIJybEEELb0ELb0EEENS1_16block_id_wrapperIjLb0EEEEEvT_jjPNS9_10value_typeET0_
		.amdhsa_group_segment_fixed_size 0
		.amdhsa_private_segment_fixed_size 0
		.amdhsa_kernarg_size 304
		.amdhsa_user_sgpr_count 2
		.amdhsa_user_sgpr_dispatch_ptr 0
		.amdhsa_user_sgpr_queue_ptr 0
		.amdhsa_user_sgpr_kernarg_segment_ptr 1
		.amdhsa_user_sgpr_dispatch_id 0
		.amdhsa_user_sgpr_kernarg_preload_length 0
		.amdhsa_user_sgpr_kernarg_preload_offset 0
		.amdhsa_user_sgpr_private_segment_size 0
		.amdhsa_uses_dynamic_stack 0
		.amdhsa_enable_private_segment 0
		.amdhsa_system_sgpr_workgroup_id_x 1
		.amdhsa_system_sgpr_workgroup_id_y 0
		.amdhsa_system_sgpr_workgroup_id_z 0
		.amdhsa_system_sgpr_workgroup_info 0
		.amdhsa_system_vgpr_workitem_id 0
		.amdhsa_next_free_vgpr 6
		.amdhsa_next_free_sgpr 16
		.amdhsa_accum_offset 8
		.amdhsa_reserve_vcc 1
		.amdhsa_float_round_mode_32 0
		.amdhsa_float_round_mode_16_64 0
		.amdhsa_float_denorm_mode_32 3
		.amdhsa_float_denorm_mode_16_64 3
		.amdhsa_dx10_clamp 1
		.amdhsa_ieee_mode 1
		.amdhsa_fp16_overflow 0
		.amdhsa_tg_split 0
		.amdhsa_exception_fp_ieee_invalid_op 0
		.amdhsa_exception_fp_denorm_src 0
		.amdhsa_exception_fp_ieee_div_zero 0
		.amdhsa_exception_fp_ieee_overflow 0
		.amdhsa_exception_fp_ieee_underflow 0
		.amdhsa_exception_fp_ieee_inexact 0
		.amdhsa_exception_int_div_zero 0
	.end_amdhsa_kernel
	.section	.text._ZN7rocprim17ROCPRIM_400000_NS6detail30init_device_scan_by_key_kernelINS1_19lookback_scan_stateINS0_5tupleIJybEEELb0ELb0EEENS1_16block_id_wrapperIjLb0EEEEEvT_jjPNS9_10value_typeET0_,"axG",@progbits,_ZN7rocprim17ROCPRIM_400000_NS6detail30init_device_scan_by_key_kernelINS1_19lookback_scan_stateINS0_5tupleIJybEEELb0ELb0EEENS1_16block_id_wrapperIjLb0EEEEEvT_jjPNS9_10value_typeET0_,comdat
.Lfunc_end1175:
	.size	_ZN7rocprim17ROCPRIM_400000_NS6detail30init_device_scan_by_key_kernelINS1_19lookback_scan_stateINS0_5tupleIJybEEELb0ELb0EEENS1_16block_id_wrapperIjLb0EEEEEvT_jjPNS9_10value_typeET0_, .Lfunc_end1175-_ZN7rocprim17ROCPRIM_400000_NS6detail30init_device_scan_by_key_kernelINS1_19lookback_scan_stateINS0_5tupleIJybEEELb0ELb0EEENS1_16block_id_wrapperIjLb0EEEEEvT_jjPNS9_10value_typeET0_
                                        ; -- End function
	.section	.AMDGPU.csdata,"",@progbits
; Kernel info:
; codeLenInByte = 340
; NumSgprs: 22
; NumVgprs: 6
; NumAgprs: 0
; TotalNumVgprs: 6
; ScratchSize: 0
; MemoryBound: 0
; FloatMode: 240
; IeeeMode: 1
; LDSByteSize: 0 bytes/workgroup (compile time only)
; SGPRBlocks: 2
; VGPRBlocks: 0
; NumSGPRsForWavesPerEU: 22
; NumVGPRsForWavesPerEU: 6
; AccumOffset: 8
; Occupancy: 8
; WaveLimiterHint : 0
; COMPUTE_PGM_RSRC2:SCRATCH_EN: 0
; COMPUTE_PGM_RSRC2:USER_SGPR: 2
; COMPUTE_PGM_RSRC2:TRAP_HANDLER: 0
; COMPUTE_PGM_RSRC2:TGID_X_EN: 1
; COMPUTE_PGM_RSRC2:TGID_Y_EN: 0
; COMPUTE_PGM_RSRC2:TGID_Z_EN: 0
; COMPUTE_PGM_RSRC2:TIDIG_COMP_CNT: 0
; COMPUTE_PGM_RSRC3_GFX90A:ACCUM_OFFSET: 1
; COMPUTE_PGM_RSRC3_GFX90A:TG_SPLIT: 0
	.section	.text._ZN7rocprim17ROCPRIM_400000_NS6detail17trampoline_kernelINS0_14default_configENS1_27scan_by_key_config_selectorIiyEEZZNS1_16scan_by_key_implILNS1_25lookback_scan_determinismE0ELb0ES3_N6thrust23THRUST_200600_302600_NS6detail15normal_iteratorINS9_10device_ptrIiEEEENSB_INSC_IyEEEESG_yNS9_4plusIvEENS9_8equal_toIvEEyEE10hipError_tPvRmT2_T3_T4_T5_mT6_T7_P12ihipStream_tbENKUlT_T0_E_clISt17integral_constantIbLb0EES11_EEDaSW_SX_EUlSW_E_NS1_11comp_targetILNS1_3genE0ELNS1_11target_archE4294967295ELNS1_3gpuE0ELNS1_3repE0EEENS1_30default_config_static_selectorELNS0_4arch9wavefront6targetE1EEEvT1_,"axG",@progbits,_ZN7rocprim17ROCPRIM_400000_NS6detail17trampoline_kernelINS0_14default_configENS1_27scan_by_key_config_selectorIiyEEZZNS1_16scan_by_key_implILNS1_25lookback_scan_determinismE0ELb0ES3_N6thrust23THRUST_200600_302600_NS6detail15normal_iteratorINS9_10device_ptrIiEEEENSB_INSC_IyEEEESG_yNS9_4plusIvEENS9_8equal_toIvEEyEE10hipError_tPvRmT2_T3_T4_T5_mT6_T7_P12ihipStream_tbENKUlT_T0_E_clISt17integral_constantIbLb0EES11_EEDaSW_SX_EUlSW_E_NS1_11comp_targetILNS1_3genE0ELNS1_11target_archE4294967295ELNS1_3gpuE0ELNS1_3repE0EEENS1_30default_config_static_selectorELNS0_4arch9wavefront6targetE1EEEvT1_,comdat
	.protected	_ZN7rocprim17ROCPRIM_400000_NS6detail17trampoline_kernelINS0_14default_configENS1_27scan_by_key_config_selectorIiyEEZZNS1_16scan_by_key_implILNS1_25lookback_scan_determinismE0ELb0ES3_N6thrust23THRUST_200600_302600_NS6detail15normal_iteratorINS9_10device_ptrIiEEEENSB_INSC_IyEEEESG_yNS9_4plusIvEENS9_8equal_toIvEEyEE10hipError_tPvRmT2_T3_T4_T5_mT6_T7_P12ihipStream_tbENKUlT_T0_E_clISt17integral_constantIbLb0EES11_EEDaSW_SX_EUlSW_E_NS1_11comp_targetILNS1_3genE0ELNS1_11target_archE4294967295ELNS1_3gpuE0ELNS1_3repE0EEENS1_30default_config_static_selectorELNS0_4arch9wavefront6targetE1EEEvT1_ ; -- Begin function _ZN7rocprim17ROCPRIM_400000_NS6detail17trampoline_kernelINS0_14default_configENS1_27scan_by_key_config_selectorIiyEEZZNS1_16scan_by_key_implILNS1_25lookback_scan_determinismE0ELb0ES3_N6thrust23THRUST_200600_302600_NS6detail15normal_iteratorINS9_10device_ptrIiEEEENSB_INSC_IyEEEESG_yNS9_4plusIvEENS9_8equal_toIvEEyEE10hipError_tPvRmT2_T3_T4_T5_mT6_T7_P12ihipStream_tbENKUlT_T0_E_clISt17integral_constantIbLb0EES11_EEDaSW_SX_EUlSW_E_NS1_11comp_targetILNS1_3genE0ELNS1_11target_archE4294967295ELNS1_3gpuE0ELNS1_3repE0EEENS1_30default_config_static_selectorELNS0_4arch9wavefront6targetE1EEEvT1_
	.globl	_ZN7rocprim17ROCPRIM_400000_NS6detail17trampoline_kernelINS0_14default_configENS1_27scan_by_key_config_selectorIiyEEZZNS1_16scan_by_key_implILNS1_25lookback_scan_determinismE0ELb0ES3_N6thrust23THRUST_200600_302600_NS6detail15normal_iteratorINS9_10device_ptrIiEEEENSB_INSC_IyEEEESG_yNS9_4plusIvEENS9_8equal_toIvEEyEE10hipError_tPvRmT2_T3_T4_T5_mT6_T7_P12ihipStream_tbENKUlT_T0_E_clISt17integral_constantIbLb0EES11_EEDaSW_SX_EUlSW_E_NS1_11comp_targetILNS1_3genE0ELNS1_11target_archE4294967295ELNS1_3gpuE0ELNS1_3repE0EEENS1_30default_config_static_selectorELNS0_4arch9wavefront6targetE1EEEvT1_
	.p2align	8
	.type	_ZN7rocprim17ROCPRIM_400000_NS6detail17trampoline_kernelINS0_14default_configENS1_27scan_by_key_config_selectorIiyEEZZNS1_16scan_by_key_implILNS1_25lookback_scan_determinismE0ELb0ES3_N6thrust23THRUST_200600_302600_NS6detail15normal_iteratorINS9_10device_ptrIiEEEENSB_INSC_IyEEEESG_yNS9_4plusIvEENS9_8equal_toIvEEyEE10hipError_tPvRmT2_T3_T4_T5_mT6_T7_P12ihipStream_tbENKUlT_T0_E_clISt17integral_constantIbLb0EES11_EEDaSW_SX_EUlSW_E_NS1_11comp_targetILNS1_3genE0ELNS1_11target_archE4294967295ELNS1_3gpuE0ELNS1_3repE0EEENS1_30default_config_static_selectorELNS0_4arch9wavefront6targetE1EEEvT1_,@function
_ZN7rocprim17ROCPRIM_400000_NS6detail17trampoline_kernelINS0_14default_configENS1_27scan_by_key_config_selectorIiyEEZZNS1_16scan_by_key_implILNS1_25lookback_scan_determinismE0ELb0ES3_N6thrust23THRUST_200600_302600_NS6detail15normal_iteratorINS9_10device_ptrIiEEEENSB_INSC_IyEEEESG_yNS9_4plusIvEENS9_8equal_toIvEEyEE10hipError_tPvRmT2_T3_T4_T5_mT6_T7_P12ihipStream_tbENKUlT_T0_E_clISt17integral_constantIbLb0EES11_EEDaSW_SX_EUlSW_E_NS1_11comp_targetILNS1_3genE0ELNS1_11target_archE4294967295ELNS1_3gpuE0ELNS1_3repE0EEENS1_30default_config_static_selectorELNS0_4arch9wavefront6targetE1EEEvT1_: ; @_ZN7rocprim17ROCPRIM_400000_NS6detail17trampoline_kernelINS0_14default_configENS1_27scan_by_key_config_selectorIiyEEZZNS1_16scan_by_key_implILNS1_25lookback_scan_determinismE0ELb0ES3_N6thrust23THRUST_200600_302600_NS6detail15normal_iteratorINS9_10device_ptrIiEEEENSB_INSC_IyEEEESG_yNS9_4plusIvEENS9_8equal_toIvEEyEE10hipError_tPvRmT2_T3_T4_T5_mT6_T7_P12ihipStream_tbENKUlT_T0_E_clISt17integral_constantIbLb0EES11_EEDaSW_SX_EUlSW_E_NS1_11comp_targetILNS1_3genE0ELNS1_11target_archE4294967295ELNS1_3gpuE0ELNS1_3repE0EEENS1_30default_config_static_selectorELNS0_4arch9wavefront6targetE1EEEvT1_
; %bb.0:
	.section	.rodata,"a",@progbits
	.p2align	6, 0x0
	.amdhsa_kernel _ZN7rocprim17ROCPRIM_400000_NS6detail17trampoline_kernelINS0_14default_configENS1_27scan_by_key_config_selectorIiyEEZZNS1_16scan_by_key_implILNS1_25lookback_scan_determinismE0ELb0ES3_N6thrust23THRUST_200600_302600_NS6detail15normal_iteratorINS9_10device_ptrIiEEEENSB_INSC_IyEEEESG_yNS9_4plusIvEENS9_8equal_toIvEEyEE10hipError_tPvRmT2_T3_T4_T5_mT6_T7_P12ihipStream_tbENKUlT_T0_E_clISt17integral_constantIbLb0EES11_EEDaSW_SX_EUlSW_E_NS1_11comp_targetILNS1_3genE0ELNS1_11target_archE4294967295ELNS1_3gpuE0ELNS1_3repE0EEENS1_30default_config_static_selectorELNS0_4arch9wavefront6targetE1EEEvT1_
		.amdhsa_group_segment_fixed_size 0
		.amdhsa_private_segment_fixed_size 0
		.amdhsa_kernarg_size 136
		.amdhsa_user_sgpr_count 2
		.amdhsa_user_sgpr_dispatch_ptr 0
		.amdhsa_user_sgpr_queue_ptr 0
		.amdhsa_user_sgpr_kernarg_segment_ptr 1
		.amdhsa_user_sgpr_dispatch_id 0
		.amdhsa_user_sgpr_kernarg_preload_length 0
		.amdhsa_user_sgpr_kernarg_preload_offset 0
		.amdhsa_user_sgpr_private_segment_size 0
		.amdhsa_uses_dynamic_stack 0
		.amdhsa_enable_private_segment 0
		.amdhsa_system_sgpr_workgroup_id_x 1
		.amdhsa_system_sgpr_workgroup_id_y 0
		.amdhsa_system_sgpr_workgroup_id_z 0
		.amdhsa_system_sgpr_workgroup_info 0
		.amdhsa_system_vgpr_workitem_id 0
		.amdhsa_next_free_vgpr 1
		.amdhsa_next_free_sgpr 0
		.amdhsa_accum_offset 4
		.amdhsa_reserve_vcc 0
		.amdhsa_float_round_mode_32 0
		.amdhsa_float_round_mode_16_64 0
		.amdhsa_float_denorm_mode_32 3
		.amdhsa_float_denorm_mode_16_64 3
		.amdhsa_dx10_clamp 1
		.amdhsa_ieee_mode 1
		.amdhsa_fp16_overflow 0
		.amdhsa_tg_split 0
		.amdhsa_exception_fp_ieee_invalid_op 0
		.amdhsa_exception_fp_denorm_src 0
		.amdhsa_exception_fp_ieee_div_zero 0
		.amdhsa_exception_fp_ieee_overflow 0
		.amdhsa_exception_fp_ieee_underflow 0
		.amdhsa_exception_fp_ieee_inexact 0
		.amdhsa_exception_int_div_zero 0
	.end_amdhsa_kernel
	.section	.text._ZN7rocprim17ROCPRIM_400000_NS6detail17trampoline_kernelINS0_14default_configENS1_27scan_by_key_config_selectorIiyEEZZNS1_16scan_by_key_implILNS1_25lookback_scan_determinismE0ELb0ES3_N6thrust23THRUST_200600_302600_NS6detail15normal_iteratorINS9_10device_ptrIiEEEENSB_INSC_IyEEEESG_yNS9_4plusIvEENS9_8equal_toIvEEyEE10hipError_tPvRmT2_T3_T4_T5_mT6_T7_P12ihipStream_tbENKUlT_T0_E_clISt17integral_constantIbLb0EES11_EEDaSW_SX_EUlSW_E_NS1_11comp_targetILNS1_3genE0ELNS1_11target_archE4294967295ELNS1_3gpuE0ELNS1_3repE0EEENS1_30default_config_static_selectorELNS0_4arch9wavefront6targetE1EEEvT1_,"axG",@progbits,_ZN7rocprim17ROCPRIM_400000_NS6detail17trampoline_kernelINS0_14default_configENS1_27scan_by_key_config_selectorIiyEEZZNS1_16scan_by_key_implILNS1_25lookback_scan_determinismE0ELb0ES3_N6thrust23THRUST_200600_302600_NS6detail15normal_iteratorINS9_10device_ptrIiEEEENSB_INSC_IyEEEESG_yNS9_4plusIvEENS9_8equal_toIvEEyEE10hipError_tPvRmT2_T3_T4_T5_mT6_T7_P12ihipStream_tbENKUlT_T0_E_clISt17integral_constantIbLb0EES11_EEDaSW_SX_EUlSW_E_NS1_11comp_targetILNS1_3genE0ELNS1_11target_archE4294967295ELNS1_3gpuE0ELNS1_3repE0EEENS1_30default_config_static_selectorELNS0_4arch9wavefront6targetE1EEEvT1_,comdat
.Lfunc_end1176:
	.size	_ZN7rocprim17ROCPRIM_400000_NS6detail17trampoline_kernelINS0_14default_configENS1_27scan_by_key_config_selectorIiyEEZZNS1_16scan_by_key_implILNS1_25lookback_scan_determinismE0ELb0ES3_N6thrust23THRUST_200600_302600_NS6detail15normal_iteratorINS9_10device_ptrIiEEEENSB_INSC_IyEEEESG_yNS9_4plusIvEENS9_8equal_toIvEEyEE10hipError_tPvRmT2_T3_T4_T5_mT6_T7_P12ihipStream_tbENKUlT_T0_E_clISt17integral_constantIbLb0EES11_EEDaSW_SX_EUlSW_E_NS1_11comp_targetILNS1_3genE0ELNS1_11target_archE4294967295ELNS1_3gpuE0ELNS1_3repE0EEENS1_30default_config_static_selectorELNS0_4arch9wavefront6targetE1EEEvT1_, .Lfunc_end1176-_ZN7rocprim17ROCPRIM_400000_NS6detail17trampoline_kernelINS0_14default_configENS1_27scan_by_key_config_selectorIiyEEZZNS1_16scan_by_key_implILNS1_25lookback_scan_determinismE0ELb0ES3_N6thrust23THRUST_200600_302600_NS6detail15normal_iteratorINS9_10device_ptrIiEEEENSB_INSC_IyEEEESG_yNS9_4plusIvEENS9_8equal_toIvEEyEE10hipError_tPvRmT2_T3_T4_T5_mT6_T7_P12ihipStream_tbENKUlT_T0_E_clISt17integral_constantIbLb0EES11_EEDaSW_SX_EUlSW_E_NS1_11comp_targetILNS1_3genE0ELNS1_11target_archE4294967295ELNS1_3gpuE0ELNS1_3repE0EEENS1_30default_config_static_selectorELNS0_4arch9wavefront6targetE1EEEvT1_
                                        ; -- End function
	.section	.AMDGPU.csdata,"",@progbits
; Kernel info:
; codeLenInByte = 0
; NumSgprs: 6
; NumVgprs: 0
; NumAgprs: 0
; TotalNumVgprs: 0
; ScratchSize: 0
; MemoryBound: 0
; FloatMode: 240
; IeeeMode: 1
; LDSByteSize: 0 bytes/workgroup (compile time only)
; SGPRBlocks: 0
; VGPRBlocks: 0
; NumSGPRsForWavesPerEU: 6
; NumVGPRsForWavesPerEU: 1
; AccumOffset: 4
; Occupancy: 8
; WaveLimiterHint : 0
; COMPUTE_PGM_RSRC2:SCRATCH_EN: 0
; COMPUTE_PGM_RSRC2:USER_SGPR: 2
; COMPUTE_PGM_RSRC2:TRAP_HANDLER: 0
; COMPUTE_PGM_RSRC2:TGID_X_EN: 1
; COMPUTE_PGM_RSRC2:TGID_Y_EN: 0
; COMPUTE_PGM_RSRC2:TGID_Z_EN: 0
; COMPUTE_PGM_RSRC2:TIDIG_COMP_CNT: 0
; COMPUTE_PGM_RSRC3_GFX90A:ACCUM_OFFSET: 0
; COMPUTE_PGM_RSRC3_GFX90A:TG_SPLIT: 0
	.section	.text._ZN7rocprim17ROCPRIM_400000_NS6detail17trampoline_kernelINS0_14default_configENS1_27scan_by_key_config_selectorIiyEEZZNS1_16scan_by_key_implILNS1_25lookback_scan_determinismE0ELb0ES3_N6thrust23THRUST_200600_302600_NS6detail15normal_iteratorINS9_10device_ptrIiEEEENSB_INSC_IyEEEESG_yNS9_4plusIvEENS9_8equal_toIvEEyEE10hipError_tPvRmT2_T3_T4_T5_mT6_T7_P12ihipStream_tbENKUlT_T0_E_clISt17integral_constantIbLb0EES11_EEDaSW_SX_EUlSW_E_NS1_11comp_targetILNS1_3genE10ELNS1_11target_archE1201ELNS1_3gpuE5ELNS1_3repE0EEENS1_30default_config_static_selectorELNS0_4arch9wavefront6targetE1EEEvT1_,"axG",@progbits,_ZN7rocprim17ROCPRIM_400000_NS6detail17trampoline_kernelINS0_14default_configENS1_27scan_by_key_config_selectorIiyEEZZNS1_16scan_by_key_implILNS1_25lookback_scan_determinismE0ELb0ES3_N6thrust23THRUST_200600_302600_NS6detail15normal_iteratorINS9_10device_ptrIiEEEENSB_INSC_IyEEEESG_yNS9_4plusIvEENS9_8equal_toIvEEyEE10hipError_tPvRmT2_T3_T4_T5_mT6_T7_P12ihipStream_tbENKUlT_T0_E_clISt17integral_constantIbLb0EES11_EEDaSW_SX_EUlSW_E_NS1_11comp_targetILNS1_3genE10ELNS1_11target_archE1201ELNS1_3gpuE5ELNS1_3repE0EEENS1_30default_config_static_selectorELNS0_4arch9wavefront6targetE1EEEvT1_,comdat
	.protected	_ZN7rocprim17ROCPRIM_400000_NS6detail17trampoline_kernelINS0_14default_configENS1_27scan_by_key_config_selectorIiyEEZZNS1_16scan_by_key_implILNS1_25lookback_scan_determinismE0ELb0ES3_N6thrust23THRUST_200600_302600_NS6detail15normal_iteratorINS9_10device_ptrIiEEEENSB_INSC_IyEEEESG_yNS9_4plusIvEENS9_8equal_toIvEEyEE10hipError_tPvRmT2_T3_T4_T5_mT6_T7_P12ihipStream_tbENKUlT_T0_E_clISt17integral_constantIbLb0EES11_EEDaSW_SX_EUlSW_E_NS1_11comp_targetILNS1_3genE10ELNS1_11target_archE1201ELNS1_3gpuE5ELNS1_3repE0EEENS1_30default_config_static_selectorELNS0_4arch9wavefront6targetE1EEEvT1_ ; -- Begin function _ZN7rocprim17ROCPRIM_400000_NS6detail17trampoline_kernelINS0_14default_configENS1_27scan_by_key_config_selectorIiyEEZZNS1_16scan_by_key_implILNS1_25lookback_scan_determinismE0ELb0ES3_N6thrust23THRUST_200600_302600_NS6detail15normal_iteratorINS9_10device_ptrIiEEEENSB_INSC_IyEEEESG_yNS9_4plusIvEENS9_8equal_toIvEEyEE10hipError_tPvRmT2_T3_T4_T5_mT6_T7_P12ihipStream_tbENKUlT_T0_E_clISt17integral_constantIbLb0EES11_EEDaSW_SX_EUlSW_E_NS1_11comp_targetILNS1_3genE10ELNS1_11target_archE1201ELNS1_3gpuE5ELNS1_3repE0EEENS1_30default_config_static_selectorELNS0_4arch9wavefront6targetE1EEEvT1_
	.globl	_ZN7rocprim17ROCPRIM_400000_NS6detail17trampoline_kernelINS0_14default_configENS1_27scan_by_key_config_selectorIiyEEZZNS1_16scan_by_key_implILNS1_25lookback_scan_determinismE0ELb0ES3_N6thrust23THRUST_200600_302600_NS6detail15normal_iteratorINS9_10device_ptrIiEEEENSB_INSC_IyEEEESG_yNS9_4plusIvEENS9_8equal_toIvEEyEE10hipError_tPvRmT2_T3_T4_T5_mT6_T7_P12ihipStream_tbENKUlT_T0_E_clISt17integral_constantIbLb0EES11_EEDaSW_SX_EUlSW_E_NS1_11comp_targetILNS1_3genE10ELNS1_11target_archE1201ELNS1_3gpuE5ELNS1_3repE0EEENS1_30default_config_static_selectorELNS0_4arch9wavefront6targetE1EEEvT1_
	.p2align	8
	.type	_ZN7rocprim17ROCPRIM_400000_NS6detail17trampoline_kernelINS0_14default_configENS1_27scan_by_key_config_selectorIiyEEZZNS1_16scan_by_key_implILNS1_25lookback_scan_determinismE0ELb0ES3_N6thrust23THRUST_200600_302600_NS6detail15normal_iteratorINS9_10device_ptrIiEEEENSB_INSC_IyEEEESG_yNS9_4plusIvEENS9_8equal_toIvEEyEE10hipError_tPvRmT2_T3_T4_T5_mT6_T7_P12ihipStream_tbENKUlT_T0_E_clISt17integral_constantIbLb0EES11_EEDaSW_SX_EUlSW_E_NS1_11comp_targetILNS1_3genE10ELNS1_11target_archE1201ELNS1_3gpuE5ELNS1_3repE0EEENS1_30default_config_static_selectorELNS0_4arch9wavefront6targetE1EEEvT1_,@function
_ZN7rocprim17ROCPRIM_400000_NS6detail17trampoline_kernelINS0_14default_configENS1_27scan_by_key_config_selectorIiyEEZZNS1_16scan_by_key_implILNS1_25lookback_scan_determinismE0ELb0ES3_N6thrust23THRUST_200600_302600_NS6detail15normal_iteratorINS9_10device_ptrIiEEEENSB_INSC_IyEEEESG_yNS9_4plusIvEENS9_8equal_toIvEEyEE10hipError_tPvRmT2_T3_T4_T5_mT6_T7_P12ihipStream_tbENKUlT_T0_E_clISt17integral_constantIbLb0EES11_EEDaSW_SX_EUlSW_E_NS1_11comp_targetILNS1_3genE10ELNS1_11target_archE1201ELNS1_3gpuE5ELNS1_3repE0EEENS1_30default_config_static_selectorELNS0_4arch9wavefront6targetE1EEEvT1_: ; @_ZN7rocprim17ROCPRIM_400000_NS6detail17trampoline_kernelINS0_14default_configENS1_27scan_by_key_config_selectorIiyEEZZNS1_16scan_by_key_implILNS1_25lookback_scan_determinismE0ELb0ES3_N6thrust23THRUST_200600_302600_NS6detail15normal_iteratorINS9_10device_ptrIiEEEENSB_INSC_IyEEEESG_yNS9_4plusIvEENS9_8equal_toIvEEyEE10hipError_tPvRmT2_T3_T4_T5_mT6_T7_P12ihipStream_tbENKUlT_T0_E_clISt17integral_constantIbLb0EES11_EEDaSW_SX_EUlSW_E_NS1_11comp_targetILNS1_3genE10ELNS1_11target_archE1201ELNS1_3gpuE5ELNS1_3repE0EEENS1_30default_config_static_selectorELNS0_4arch9wavefront6targetE1EEEvT1_
; %bb.0:
	.section	.rodata,"a",@progbits
	.p2align	6, 0x0
	.amdhsa_kernel _ZN7rocprim17ROCPRIM_400000_NS6detail17trampoline_kernelINS0_14default_configENS1_27scan_by_key_config_selectorIiyEEZZNS1_16scan_by_key_implILNS1_25lookback_scan_determinismE0ELb0ES3_N6thrust23THRUST_200600_302600_NS6detail15normal_iteratorINS9_10device_ptrIiEEEENSB_INSC_IyEEEESG_yNS9_4plusIvEENS9_8equal_toIvEEyEE10hipError_tPvRmT2_T3_T4_T5_mT6_T7_P12ihipStream_tbENKUlT_T0_E_clISt17integral_constantIbLb0EES11_EEDaSW_SX_EUlSW_E_NS1_11comp_targetILNS1_3genE10ELNS1_11target_archE1201ELNS1_3gpuE5ELNS1_3repE0EEENS1_30default_config_static_selectorELNS0_4arch9wavefront6targetE1EEEvT1_
		.amdhsa_group_segment_fixed_size 0
		.amdhsa_private_segment_fixed_size 0
		.amdhsa_kernarg_size 136
		.amdhsa_user_sgpr_count 2
		.amdhsa_user_sgpr_dispatch_ptr 0
		.amdhsa_user_sgpr_queue_ptr 0
		.amdhsa_user_sgpr_kernarg_segment_ptr 1
		.amdhsa_user_sgpr_dispatch_id 0
		.amdhsa_user_sgpr_kernarg_preload_length 0
		.amdhsa_user_sgpr_kernarg_preload_offset 0
		.amdhsa_user_sgpr_private_segment_size 0
		.amdhsa_uses_dynamic_stack 0
		.amdhsa_enable_private_segment 0
		.amdhsa_system_sgpr_workgroup_id_x 1
		.amdhsa_system_sgpr_workgroup_id_y 0
		.amdhsa_system_sgpr_workgroup_id_z 0
		.amdhsa_system_sgpr_workgroup_info 0
		.amdhsa_system_vgpr_workitem_id 0
		.amdhsa_next_free_vgpr 1
		.amdhsa_next_free_sgpr 0
		.amdhsa_accum_offset 4
		.amdhsa_reserve_vcc 0
		.amdhsa_float_round_mode_32 0
		.amdhsa_float_round_mode_16_64 0
		.amdhsa_float_denorm_mode_32 3
		.amdhsa_float_denorm_mode_16_64 3
		.amdhsa_dx10_clamp 1
		.amdhsa_ieee_mode 1
		.amdhsa_fp16_overflow 0
		.amdhsa_tg_split 0
		.amdhsa_exception_fp_ieee_invalid_op 0
		.amdhsa_exception_fp_denorm_src 0
		.amdhsa_exception_fp_ieee_div_zero 0
		.amdhsa_exception_fp_ieee_overflow 0
		.amdhsa_exception_fp_ieee_underflow 0
		.amdhsa_exception_fp_ieee_inexact 0
		.amdhsa_exception_int_div_zero 0
	.end_amdhsa_kernel
	.section	.text._ZN7rocprim17ROCPRIM_400000_NS6detail17trampoline_kernelINS0_14default_configENS1_27scan_by_key_config_selectorIiyEEZZNS1_16scan_by_key_implILNS1_25lookback_scan_determinismE0ELb0ES3_N6thrust23THRUST_200600_302600_NS6detail15normal_iteratorINS9_10device_ptrIiEEEENSB_INSC_IyEEEESG_yNS9_4plusIvEENS9_8equal_toIvEEyEE10hipError_tPvRmT2_T3_T4_T5_mT6_T7_P12ihipStream_tbENKUlT_T0_E_clISt17integral_constantIbLb0EES11_EEDaSW_SX_EUlSW_E_NS1_11comp_targetILNS1_3genE10ELNS1_11target_archE1201ELNS1_3gpuE5ELNS1_3repE0EEENS1_30default_config_static_selectorELNS0_4arch9wavefront6targetE1EEEvT1_,"axG",@progbits,_ZN7rocprim17ROCPRIM_400000_NS6detail17trampoline_kernelINS0_14default_configENS1_27scan_by_key_config_selectorIiyEEZZNS1_16scan_by_key_implILNS1_25lookback_scan_determinismE0ELb0ES3_N6thrust23THRUST_200600_302600_NS6detail15normal_iteratorINS9_10device_ptrIiEEEENSB_INSC_IyEEEESG_yNS9_4plusIvEENS9_8equal_toIvEEyEE10hipError_tPvRmT2_T3_T4_T5_mT6_T7_P12ihipStream_tbENKUlT_T0_E_clISt17integral_constantIbLb0EES11_EEDaSW_SX_EUlSW_E_NS1_11comp_targetILNS1_3genE10ELNS1_11target_archE1201ELNS1_3gpuE5ELNS1_3repE0EEENS1_30default_config_static_selectorELNS0_4arch9wavefront6targetE1EEEvT1_,comdat
.Lfunc_end1177:
	.size	_ZN7rocprim17ROCPRIM_400000_NS6detail17trampoline_kernelINS0_14default_configENS1_27scan_by_key_config_selectorIiyEEZZNS1_16scan_by_key_implILNS1_25lookback_scan_determinismE0ELb0ES3_N6thrust23THRUST_200600_302600_NS6detail15normal_iteratorINS9_10device_ptrIiEEEENSB_INSC_IyEEEESG_yNS9_4plusIvEENS9_8equal_toIvEEyEE10hipError_tPvRmT2_T3_T4_T5_mT6_T7_P12ihipStream_tbENKUlT_T0_E_clISt17integral_constantIbLb0EES11_EEDaSW_SX_EUlSW_E_NS1_11comp_targetILNS1_3genE10ELNS1_11target_archE1201ELNS1_3gpuE5ELNS1_3repE0EEENS1_30default_config_static_selectorELNS0_4arch9wavefront6targetE1EEEvT1_, .Lfunc_end1177-_ZN7rocprim17ROCPRIM_400000_NS6detail17trampoline_kernelINS0_14default_configENS1_27scan_by_key_config_selectorIiyEEZZNS1_16scan_by_key_implILNS1_25lookback_scan_determinismE0ELb0ES3_N6thrust23THRUST_200600_302600_NS6detail15normal_iteratorINS9_10device_ptrIiEEEENSB_INSC_IyEEEESG_yNS9_4plusIvEENS9_8equal_toIvEEyEE10hipError_tPvRmT2_T3_T4_T5_mT6_T7_P12ihipStream_tbENKUlT_T0_E_clISt17integral_constantIbLb0EES11_EEDaSW_SX_EUlSW_E_NS1_11comp_targetILNS1_3genE10ELNS1_11target_archE1201ELNS1_3gpuE5ELNS1_3repE0EEENS1_30default_config_static_selectorELNS0_4arch9wavefront6targetE1EEEvT1_
                                        ; -- End function
	.section	.AMDGPU.csdata,"",@progbits
; Kernel info:
; codeLenInByte = 0
; NumSgprs: 6
; NumVgprs: 0
; NumAgprs: 0
; TotalNumVgprs: 0
; ScratchSize: 0
; MemoryBound: 0
; FloatMode: 240
; IeeeMode: 1
; LDSByteSize: 0 bytes/workgroup (compile time only)
; SGPRBlocks: 0
; VGPRBlocks: 0
; NumSGPRsForWavesPerEU: 6
; NumVGPRsForWavesPerEU: 1
; AccumOffset: 4
; Occupancy: 8
; WaveLimiterHint : 0
; COMPUTE_PGM_RSRC2:SCRATCH_EN: 0
; COMPUTE_PGM_RSRC2:USER_SGPR: 2
; COMPUTE_PGM_RSRC2:TRAP_HANDLER: 0
; COMPUTE_PGM_RSRC2:TGID_X_EN: 1
; COMPUTE_PGM_RSRC2:TGID_Y_EN: 0
; COMPUTE_PGM_RSRC2:TGID_Z_EN: 0
; COMPUTE_PGM_RSRC2:TIDIG_COMP_CNT: 0
; COMPUTE_PGM_RSRC3_GFX90A:ACCUM_OFFSET: 0
; COMPUTE_PGM_RSRC3_GFX90A:TG_SPLIT: 0
	.section	.text._ZN7rocprim17ROCPRIM_400000_NS6detail17trampoline_kernelINS0_14default_configENS1_27scan_by_key_config_selectorIiyEEZZNS1_16scan_by_key_implILNS1_25lookback_scan_determinismE0ELb0ES3_N6thrust23THRUST_200600_302600_NS6detail15normal_iteratorINS9_10device_ptrIiEEEENSB_INSC_IyEEEESG_yNS9_4plusIvEENS9_8equal_toIvEEyEE10hipError_tPvRmT2_T3_T4_T5_mT6_T7_P12ihipStream_tbENKUlT_T0_E_clISt17integral_constantIbLb0EES11_EEDaSW_SX_EUlSW_E_NS1_11comp_targetILNS1_3genE5ELNS1_11target_archE942ELNS1_3gpuE9ELNS1_3repE0EEENS1_30default_config_static_selectorELNS0_4arch9wavefront6targetE1EEEvT1_,"axG",@progbits,_ZN7rocprim17ROCPRIM_400000_NS6detail17trampoline_kernelINS0_14default_configENS1_27scan_by_key_config_selectorIiyEEZZNS1_16scan_by_key_implILNS1_25lookback_scan_determinismE0ELb0ES3_N6thrust23THRUST_200600_302600_NS6detail15normal_iteratorINS9_10device_ptrIiEEEENSB_INSC_IyEEEESG_yNS9_4plusIvEENS9_8equal_toIvEEyEE10hipError_tPvRmT2_T3_T4_T5_mT6_T7_P12ihipStream_tbENKUlT_T0_E_clISt17integral_constantIbLb0EES11_EEDaSW_SX_EUlSW_E_NS1_11comp_targetILNS1_3genE5ELNS1_11target_archE942ELNS1_3gpuE9ELNS1_3repE0EEENS1_30default_config_static_selectorELNS0_4arch9wavefront6targetE1EEEvT1_,comdat
	.protected	_ZN7rocprim17ROCPRIM_400000_NS6detail17trampoline_kernelINS0_14default_configENS1_27scan_by_key_config_selectorIiyEEZZNS1_16scan_by_key_implILNS1_25lookback_scan_determinismE0ELb0ES3_N6thrust23THRUST_200600_302600_NS6detail15normal_iteratorINS9_10device_ptrIiEEEENSB_INSC_IyEEEESG_yNS9_4plusIvEENS9_8equal_toIvEEyEE10hipError_tPvRmT2_T3_T4_T5_mT6_T7_P12ihipStream_tbENKUlT_T0_E_clISt17integral_constantIbLb0EES11_EEDaSW_SX_EUlSW_E_NS1_11comp_targetILNS1_3genE5ELNS1_11target_archE942ELNS1_3gpuE9ELNS1_3repE0EEENS1_30default_config_static_selectorELNS0_4arch9wavefront6targetE1EEEvT1_ ; -- Begin function _ZN7rocprim17ROCPRIM_400000_NS6detail17trampoline_kernelINS0_14default_configENS1_27scan_by_key_config_selectorIiyEEZZNS1_16scan_by_key_implILNS1_25lookback_scan_determinismE0ELb0ES3_N6thrust23THRUST_200600_302600_NS6detail15normal_iteratorINS9_10device_ptrIiEEEENSB_INSC_IyEEEESG_yNS9_4plusIvEENS9_8equal_toIvEEyEE10hipError_tPvRmT2_T3_T4_T5_mT6_T7_P12ihipStream_tbENKUlT_T0_E_clISt17integral_constantIbLb0EES11_EEDaSW_SX_EUlSW_E_NS1_11comp_targetILNS1_3genE5ELNS1_11target_archE942ELNS1_3gpuE9ELNS1_3repE0EEENS1_30default_config_static_selectorELNS0_4arch9wavefront6targetE1EEEvT1_
	.globl	_ZN7rocprim17ROCPRIM_400000_NS6detail17trampoline_kernelINS0_14default_configENS1_27scan_by_key_config_selectorIiyEEZZNS1_16scan_by_key_implILNS1_25lookback_scan_determinismE0ELb0ES3_N6thrust23THRUST_200600_302600_NS6detail15normal_iteratorINS9_10device_ptrIiEEEENSB_INSC_IyEEEESG_yNS9_4plusIvEENS9_8equal_toIvEEyEE10hipError_tPvRmT2_T3_T4_T5_mT6_T7_P12ihipStream_tbENKUlT_T0_E_clISt17integral_constantIbLb0EES11_EEDaSW_SX_EUlSW_E_NS1_11comp_targetILNS1_3genE5ELNS1_11target_archE942ELNS1_3gpuE9ELNS1_3repE0EEENS1_30default_config_static_selectorELNS0_4arch9wavefront6targetE1EEEvT1_
	.p2align	8
	.type	_ZN7rocprim17ROCPRIM_400000_NS6detail17trampoline_kernelINS0_14default_configENS1_27scan_by_key_config_selectorIiyEEZZNS1_16scan_by_key_implILNS1_25lookback_scan_determinismE0ELb0ES3_N6thrust23THRUST_200600_302600_NS6detail15normal_iteratorINS9_10device_ptrIiEEEENSB_INSC_IyEEEESG_yNS9_4plusIvEENS9_8equal_toIvEEyEE10hipError_tPvRmT2_T3_T4_T5_mT6_T7_P12ihipStream_tbENKUlT_T0_E_clISt17integral_constantIbLb0EES11_EEDaSW_SX_EUlSW_E_NS1_11comp_targetILNS1_3genE5ELNS1_11target_archE942ELNS1_3gpuE9ELNS1_3repE0EEENS1_30default_config_static_selectorELNS0_4arch9wavefront6targetE1EEEvT1_,@function
_ZN7rocprim17ROCPRIM_400000_NS6detail17trampoline_kernelINS0_14default_configENS1_27scan_by_key_config_selectorIiyEEZZNS1_16scan_by_key_implILNS1_25lookback_scan_determinismE0ELb0ES3_N6thrust23THRUST_200600_302600_NS6detail15normal_iteratorINS9_10device_ptrIiEEEENSB_INSC_IyEEEESG_yNS9_4plusIvEENS9_8equal_toIvEEyEE10hipError_tPvRmT2_T3_T4_T5_mT6_T7_P12ihipStream_tbENKUlT_T0_E_clISt17integral_constantIbLb0EES11_EEDaSW_SX_EUlSW_E_NS1_11comp_targetILNS1_3genE5ELNS1_11target_archE942ELNS1_3gpuE9ELNS1_3repE0EEENS1_30default_config_static_selectorELNS0_4arch9wavefront6targetE1EEEvT1_: ; @_ZN7rocprim17ROCPRIM_400000_NS6detail17trampoline_kernelINS0_14default_configENS1_27scan_by_key_config_selectorIiyEEZZNS1_16scan_by_key_implILNS1_25lookback_scan_determinismE0ELb0ES3_N6thrust23THRUST_200600_302600_NS6detail15normal_iteratorINS9_10device_ptrIiEEEENSB_INSC_IyEEEESG_yNS9_4plusIvEENS9_8equal_toIvEEyEE10hipError_tPvRmT2_T3_T4_T5_mT6_T7_P12ihipStream_tbENKUlT_T0_E_clISt17integral_constantIbLb0EES11_EEDaSW_SX_EUlSW_E_NS1_11comp_targetILNS1_3genE5ELNS1_11target_archE942ELNS1_3gpuE9ELNS1_3repE0EEENS1_30default_config_static_selectorELNS0_4arch9wavefront6targetE1EEEvT1_
; %bb.0:
	s_load_dwordx8 s[92:99], s[0:1], 0x0
	s_load_dwordx8 s[84:91], s[0:1], 0x30
	s_load_dwordx2 s[4:5], s[0:1], 0x50
	s_load_dword s3, s[0:1], 0x58
	s_load_dwordx8 s[16:23], s[0:1], 0x60
	s_waitcnt lgkmcnt(0)
	s_lshl_b64 s[0:1], s[94:95], 2
	s_add_u32 s8, s92, s0
	s_addc_u32 s9, s93, s1
	s_lshl_b64 s[92:93], s[94:95], 3
	s_add_u32 s10, s96, s92
	s_addc_u32 s11, s97, s93
	s_mov_b64 s[96:97], s[4:5]
	s_mul_i32 s0, s97, s3
	s_mul_hi_u32 s1, s96, s3
	s_add_i32 s12, s1, s0
	s_cmp_lg_u64 s[20:21], 0
	s_mul_i32 s0, s2, 0x1500
	s_mov_b32 s1, 0
	s_cselect_b64 s[52:53], -1, 0
	s_lshl_b64 s[4:5], s[0:1], 2
	s_add_u32 s50, s8, s4
	s_addc_u32 s51, s9, s5
	s_lshl_b64 s[94:95], s[0:1], 3
	s_add_u32 s48, s10, s94
	s_mul_i32 s3, s96, s3
	s_addc_u32 s49, s11, s95
	s_add_u32 s54, s3, s2
	s_addc_u32 s55, s12, 0
	s_mov_b64 s[14:15], s[18:19]
	s_mov_b64 s[18:19], s[22:23]
                                        ; implicit-def: $vgpr131 : SGPR spill to VGPR lane
	s_add_u32 s4, s16, -1
	v_writelane_b32 v131, s12, 0
	s_addc_u32 s5, s17, -1
	v_mov_b64_e32 v[2:3], s[4:5]
	v_writelane_b32 v131, s13, 1
	v_writelane_b32 v131, s14, 2
	;; [unrolled: 1-line block ×5, first 2 shown]
	v_cmp_ge_u64_e64 s[0:1], s[54:55], v[2:3]
	s_mov_b64 s[6:7], 0
	s_mov_b64 s[10:11], -1
	v_writelane_b32 v131, s18, 6
	s_and_b64 vcc, exec, s[0:1]
	s_mul_i32 s33, s4, 0xffffeb00
	s_barrier
	v_writelane_b32 v131, s19, 7
	s_cbranch_vccz .LBB1178_112
; %bb.1:
	v_mov_b64_e32 v[2:3], s[50:51]
	flat_load_dword v2, v[2:3]
	s_add_i32 s64, s33, s90
	v_cmp_gt_u32_e64 s[46:47], s64, v0
	s_waitcnt vmcnt(0) lgkmcnt(0)
	v_mov_b32_e32 v4, v2
	s_and_saveexec_b64 s[4:5], s[46:47]
	s_cbranch_execz .LBB1178_3
; %bb.2:
	v_lshlrev_b32_e32 v4, 2, v0
	v_mov_b32_e32 v5, 0
	v_lshl_add_u64 v[4:5], s[50:51], 0, v[4:5]
	flat_load_dword v4, v[4:5]
.LBB1178_3:
	s_or_b64 exec, exec, s[4:5]
	v_or_b32_e32 v1, 0x100, v0
	v_cmp_gt_u32_e64 s[4:5], s64, v1
	v_mov_b32_e32 v5, v2
	s_and_saveexec_b64 s[6:7], s[4:5]
	s_cbranch_execz .LBB1178_5
; %bb.4:
	v_lshlrev_b32_e32 v6, 2, v0
	v_mov_b32_e32 v7, 0
	v_lshl_add_u64 v[6:7], s[50:51], 0, v[6:7]
	flat_load_dword v5, v[6:7] offset:1024
.LBB1178_5:
	s_or_b64 exec, exec, s[6:7]
	v_or_b32_e32 v1, 0x200, v0
	v_cmp_gt_u32_e64 s[6:7], s64, v1
	v_mov_b32_e32 v6, v2
	s_and_saveexec_b64 s[8:9], s[6:7]
	s_cbranch_execz .LBB1178_7
; %bb.6:
	v_lshlrev_b32_e32 v6, 2, v0
	v_mov_b32_e32 v7, 0
	v_lshl_add_u64 v[6:7], s[50:51], 0, v[6:7]
	flat_load_dword v6, v[6:7] offset:2048
.LBB1178_7:
	s_or_b64 exec, exec, s[8:9]
	v_or_b32_e32 v16, 0x300, v0
	v_cmp_gt_u32_e64 s[8:9], s64, v16
	v_mov_b32_e32 v7, v2
	s_and_saveexec_b64 s[10:11], s[8:9]
	s_cbranch_execz .LBB1178_9
; %bb.8:
	v_lshlrev_b32_e32 v8, 2, v0
	v_mov_b32_e32 v9, 0
	v_lshl_add_u64 v[8:9], s[50:51], 0, v[8:9]
	flat_load_dword v7, v[8:9] offset:3072
.LBB1178_9:
	s_or_b64 exec, exec, s[10:11]
	v_or_b32_e32 v18, 0x400, v0
	v_cmp_gt_u32_e64 s[10:11], s64, v18
	v_mov_b32_e32 v8, v2
	s_and_saveexec_b64 s[12:13], s[10:11]
	s_cbranch_execz .LBB1178_11
; %bb.10:
	v_lshlrev_b32_e32 v8, 2, v18
	v_mov_b32_e32 v9, 0
	v_lshl_add_u64 v[8:9], s[50:51], 0, v[8:9]
	flat_load_dword v8, v[8:9]
.LBB1178_11:
	s_or_b64 exec, exec, s[12:13]
	v_or_b32_e32 v22, 0x500, v0
	v_cmp_gt_u32_e64 s[12:13], s64, v22
	v_mov_b32_e32 v9, v2
	s_and_saveexec_b64 s[14:15], s[12:13]
	s_cbranch_execz .LBB1178_13
; %bb.12:
	v_lshlrev_b32_e32 v10, 2, v22
	v_mov_b32_e32 v11, 0
	v_lshl_add_u64 v[10:11], s[50:51], 0, v[10:11]
	flat_load_dword v9, v[10:11]
.LBB1178_13:
	;; [unrolled: 12-line block ×16, first 2 shown]
	s_or_b64 exec, exec, s[44:45]
	v_or_b32_e32 v65, 0x1400, v0
	v_cmp_gt_u32_e64 s[44:45], s64, v65
	v_mov_b32_e32 v3, 0
	s_and_saveexec_b64 s[56:57], s[44:45]
	s_cbranch_execz .LBB1178_43
; %bb.42:
	v_lshlrev_b32_e32 v2, 2, v65
	v_lshl_add_u64 v[2:3], s[50:51], 0, v[2:3]
	flat_load_dword v2, v[2:3]
.LBB1178_43:
	s_or_b64 exec, exec, s[56:57]
	v_lshlrev_b32_e32 v3, 2, v0
	s_movk_i32 s3, 0x50
	s_waitcnt vmcnt(0) lgkmcnt(0)
	ds_write2st64_b32 v3, v4, v5 offset1:4
	ds_write2st64_b32 v3, v6, v7 offset0:8 offset1:12
	ds_write2st64_b32 v3, v8, v9 offset0:16 offset1:20
	;; [unrolled: 1-line block ×9, first 2 shown]
	ds_write_b32 v3, v2 offset:20480
	v_mad_u32_u24 v2, v0, s3, v3
	s_waitcnt lgkmcnt(0)
	s_barrier
	ds_read2_b32 v[40:41], v2 offset0:7 offset1:8
	ds_read2_b32 v[44:45], v2 offset0:5 offset1:6
	;; [unrolled: 1-line block ×3, first 2 shown]
	ds_read2_b32 v[36:37], v2 offset1:1
	ds_read2_b32 v[32:33], v2 offset0:4 offset1:9
	ds_read2_b32 v[8:9], v2 offset0:15 offset1:16
	ds_read_b32 v64, v2 offset:56
	ds_read2_b32 v[20:21], v2 offset0:12 offset1:13
	ds_read2_b32 v[24:25], v2 offset0:10 offset1:11
	ds_read2_b32 v[12:13], v2 offset0:17 offset1:18
	ds_read2_b32 v[4:5], v2 offset0:19 offset1:20
	s_cmp_eq_u64 s[54:55], 0
	s_mov_b64 s[56:57], s[50:51]
	s_cbranch_scc1 .LBB1178_47
; %bb.44:
	s_andn2_b64 vcc, exec, s[52:53]
	s_cbranch_vccnz .LBB1178_287
; %bb.45:
	v_readlane_b32 s68, v131, 0
	v_readlane_b32 s74, v131, 6
	;; [unrolled: 1-line block ×3, first 2 shown]
	s_lshl_b64 s[56:57], s[54:55], 2
	s_mov_b64 s[62:63], s[74:75]
	s_add_u32 s3, s62, s56
	s_addc_u32 s57, s63, s57
	s_add_u32 s56, s3, -4
	s_addc_u32 s57, s57, -1
	v_readlane_b32 s69, v131, 1
	v_readlane_b32 s70, v131, 2
	;; [unrolled: 1-line block ×5, first 2 shown]
	s_cbranch_execnz .LBB1178_47
.LBB1178_46:
	s_add_u32 s56, s50, -4
	s_addc_u32 s57, s51, -1
.LBB1178_47:
	v_mov_b64_e32 v[6:7], s[56:57]
	flat_load_dword v68, v[6:7]
	s_movk_i32 s3, 0xffb0
	v_mad_i32_i24 v66, v0, s3, v2
	v_cmp_ne_u32_e32 vcc, 0, v0
	s_waitcnt lgkmcnt(0)
	ds_write_b32 v66, v5 offset:21504
	s_waitcnt lgkmcnt(0)
	s_barrier
	s_and_saveexec_b64 s[56:57], vcc
	s_cbranch_execz .LBB1178_49
; %bb.48:
	s_waitcnt vmcnt(0)
	ds_read_b32 v68, v66 offset:21500
.LBB1178_49:
	s_or_b64 exec, exec, s[56:57]
	v_mov_b32_e32 v7, 0
	s_waitcnt lgkmcnt(0)
	s_barrier
	s_waitcnt lgkmcnt(0)
                                        ; implicit-def: $vgpr2_vgpr3
	s_and_saveexec_b64 s[56:57], s[46:47]
	s_cbranch_execnz .LBB1178_267
; %bb.50:
	s_or_b64 exec, exec, s[56:57]
                                        ; implicit-def: $vgpr6_vgpr7
	s_and_saveexec_b64 s[46:47], s[4:5]
	s_cbranch_execnz .LBB1178_268
.LBB1178_51:
	s_or_b64 exec, exec, s[46:47]
                                        ; implicit-def: $vgpr10_vgpr11
	s_and_saveexec_b64 s[4:5], s[6:7]
	s_cbranch_execnz .LBB1178_269
.LBB1178_52:
	s_or_b64 exec, exec, s[4:5]
                                        ; implicit-def: $vgpr14_vgpr15
	s_and_saveexec_b64 s[4:5], s[8:9]
	s_cbranch_execnz .LBB1178_270
.LBB1178_53:
	s_or_b64 exec, exec, s[4:5]
                                        ; implicit-def: $vgpr16_vgpr17
	s_and_saveexec_b64 s[4:5], s[10:11]
	s_cbranch_execnz .LBB1178_271
.LBB1178_54:
	s_or_b64 exec, exec, s[4:5]
                                        ; implicit-def: $vgpr18_vgpr19
	s_and_saveexec_b64 s[4:5], s[12:13]
	s_cbranch_execnz .LBB1178_272
.LBB1178_55:
	s_or_b64 exec, exec, s[4:5]
                                        ; implicit-def: $vgpr22_vgpr23
	s_and_saveexec_b64 s[4:5], s[14:15]
	s_cbranch_execnz .LBB1178_273
.LBB1178_56:
	s_or_b64 exec, exec, s[4:5]
                                        ; implicit-def: $vgpr26_vgpr27
	s_and_saveexec_b64 s[4:5], s[16:17]
	s_cbranch_execnz .LBB1178_274
.LBB1178_57:
	s_or_b64 exec, exec, s[4:5]
                                        ; implicit-def: $vgpr30_vgpr31
	s_and_saveexec_b64 s[4:5], s[18:19]
	s_cbranch_execnz .LBB1178_275
.LBB1178_58:
	s_or_b64 exec, exec, s[4:5]
                                        ; implicit-def: $vgpr34_vgpr35
	s_and_saveexec_b64 s[4:5], s[20:21]
	s_cbranch_execnz .LBB1178_276
.LBB1178_59:
	s_or_b64 exec, exec, s[4:5]
                                        ; implicit-def: $vgpr38_vgpr39
	s_and_saveexec_b64 s[4:5], s[22:23]
	s_cbranch_execnz .LBB1178_277
.LBB1178_60:
	s_or_b64 exec, exec, s[4:5]
                                        ; implicit-def: $vgpr42_vgpr43
	s_and_saveexec_b64 s[4:5], s[24:25]
	s_cbranch_execnz .LBB1178_278
.LBB1178_61:
	s_or_b64 exec, exec, s[4:5]
                                        ; implicit-def: $vgpr46_vgpr47
	s_and_saveexec_b64 s[4:5], s[26:27]
	s_cbranch_execnz .LBB1178_279
.LBB1178_62:
	s_or_b64 exec, exec, s[4:5]
                                        ; implicit-def: $vgpr48_vgpr49
	s_and_saveexec_b64 s[4:5], s[28:29]
	s_cbranch_execnz .LBB1178_280
.LBB1178_63:
	s_or_b64 exec, exec, s[4:5]
                                        ; implicit-def: $vgpr50_vgpr51
	s_and_saveexec_b64 s[4:5], s[30:31]
	s_cbranch_execnz .LBB1178_281
.LBB1178_64:
	s_or_b64 exec, exec, s[4:5]
                                        ; implicit-def: $vgpr52_vgpr53
	s_and_saveexec_b64 s[4:5], s[34:35]
	s_cbranch_execnz .LBB1178_282
.LBB1178_65:
	s_or_b64 exec, exec, s[4:5]
                                        ; implicit-def: $vgpr54_vgpr55
	s_and_saveexec_b64 s[4:5], s[36:37]
	s_cbranch_execnz .LBB1178_283
.LBB1178_66:
	s_or_b64 exec, exec, s[4:5]
                                        ; implicit-def: $vgpr56_vgpr57
	s_and_saveexec_b64 s[4:5], s[38:39]
	s_cbranch_execnz .LBB1178_284
.LBB1178_67:
	s_or_b64 exec, exec, s[4:5]
                                        ; implicit-def: $vgpr58_vgpr59
	s_and_saveexec_b64 s[4:5], s[40:41]
	s_cbranch_execnz .LBB1178_285
.LBB1178_68:
	s_or_b64 exec, exec, s[4:5]
                                        ; implicit-def: $vgpr60_vgpr61
	s_and_saveexec_b64 s[4:5], s[42:43]
	s_cbranch_execnz .LBB1178_286
.LBB1178_69:
	s_or_b64 exec, exec, s[4:5]
                                        ; implicit-def: $vgpr62_vgpr63
	s_and_saveexec_b64 s[4:5], s[44:45]
	s_cbranch_execz .LBB1178_71
.LBB1178_70:
	v_lshlrev_b32_e32 v62, 3, v65
	v_mov_b32_e32 v63, 0
	v_lshl_add_u64 v[62:63], s[48:49], 0, v[62:63]
	flat_load_dwordx2 v[62:63], v[62:63]
.LBB1178_71:
	s_or_b64 exec, exec, s[4:5]
	v_lshl_add_u32 v69, v0, 2, v66
	v_mul_u32_u24_e32 v65, 21, v0
	s_waitcnt vmcnt(0) lgkmcnt(0)
	ds_write2st64_b64 v69, v[2:3], v[6:7] offset1:4
	ds_write2st64_b64 v69, v[10:11], v[14:15] offset0:8 offset1:12
	ds_write2st64_b64 v69, v[16:17], v[18:19] offset0:16 offset1:20
	;; [unrolled: 1-line block ×9, first 2 shown]
	ds_write_b64 v69, v[62:63] offset:40960
	v_mov_b64_e32 v[10:11], 0
	v_cmp_gt_u32_e32 vcc, s64, v65
	s_mov_b64 s[6:7], 0
	s_mov_b64 s[10:11], 0
	s_mov_b32 s3, 0
	v_mov_b32_e32 v128, 0
	v_mov_b32_e32 v122, 0
	;; [unrolled: 1-line block ×5, first 2 shown]
	v_mov_b64_e32 v[70:71], v[10:11]
	v_mov_b64_e32 v[78:79], v[10:11]
	;; [unrolled: 1-line block ×8, first 2 shown]
	v_mov_b32_e32 v124, 0
	v_mov_b64_e32 v[38:39], v[10:11]
	v_mov_b64_e32 v[50:51], v[10:11]
	;; [unrolled: 1-line block ×5, first 2 shown]
	v_mov_b32_e32 v123, 0
	v_mov_b64_e32 v[34:35], v[10:11]
	v_mov_b64_e32 v[18:19], v[10:11]
	v_mov_b64_e32 v[26:27], v[10:11]
	v_mov_b64_e32 v[6:7], v[10:11]
	v_mov_b64_e32 v[14:15], v[10:11]
	v_mov_b32_e32 v1, 0
	v_mov_b64_e32 v[2:3], v[10:11]
	s_waitcnt lgkmcnt(0)
	s_barrier
	s_waitcnt lgkmcnt(0)
                                        ; implicit-def: $sgpr4_sgpr5
                                        ; implicit-def: $vgpr83
                                        ; implicit-def: $vgpr82
                                        ; implicit-def: $vgpr84
                                        ; implicit-def: $vgpr85
	s_and_saveexec_b64 s[12:13], vcc
	s_cbranch_execz .LBB1178_111
; %bb.72:
	s_movk_i32 s4, 0xa0
	v_mad_u32_u24 v2, v0, s4, v69
	ds_read_b64 v[2:3], v2
	v_cmp_ne_u32_e32 vcc, v68, v36
	v_add_u32_e32 v6, 1, v65
	v_mov_b64_e32 v[10:11], 0
	v_cndmask_b32_e64 v1, 0, 1, vcc
	v_cmp_gt_u32_e32 vcc, s64, v6
	s_mov_b64 s[18:19], 0
	v_mov_b32_e32 v128, 0
	v_mov_b32_e32 v122, 0
	;; [unrolled: 1-line block ×5, first 2 shown]
	v_mov_b64_e32 v[70:71], v[10:11]
	v_mov_b64_e32 v[78:79], v[10:11]
	;; [unrolled: 1-line block ×8, first 2 shown]
	v_mov_b32_e32 v124, 0
	v_mov_b64_e32 v[38:39], v[10:11]
	v_mov_b64_e32 v[50:51], v[10:11]
	;; [unrolled: 1-line block ×5, first 2 shown]
	v_mov_b32_e32 v123, 0
	v_mov_b64_e32 v[34:35], v[10:11]
	v_mov_b64_e32 v[18:19], v[10:11]
	;; [unrolled: 1-line block ×5, first 2 shown]
                                        ; implicit-def: $sgpr4_sgpr5
                                        ; implicit-def: $vgpr83
                                        ; implicit-def: $vgpr82
                                        ; implicit-def: $vgpr84
                                        ; implicit-def: $vgpr85
	s_and_saveexec_b64 s[14:15], vcc
	s_cbranch_execz .LBB1178_110
; %bb.73:
	v_mul_u32_u24_e32 v6, 0xa0, v0
	v_add_u32_e32 v48, v69, v6
	ds_read2_b64 v[14:17], v48 offset0:1 offset1:2
	v_cmp_ne_u32_e64 s[8:9], v36, v37
	v_add_u32_e32 v6, 2, v65
	v_mov_b64_e32 v[10:11], 0
	v_cmp_ne_u32_e32 vcc, v28, v29
	v_cmp_ne_u32_e64 s[6:7], v29, v32
	v_cmp_ne_u32_e64 s[4:5], v37, v28
	v_cndmask_b32_e64 v128, 0, 1, s[8:9]
	v_cmp_gt_u32_e64 s[8:9], s64, v6
	s_mov_b64 s[20:21], 0
	v_mov_b32_e32 v127, 0
	v_mov_b32_e32 v122, 0
	;; [unrolled: 1-line block ×4, first 2 shown]
	v_mov_b64_e32 v[70:71], v[10:11]
	v_mov_b64_e32 v[78:79], v[10:11]
	v_mov_b64_e32 v[62:63], v[10:11]
	v_mov_b64_e32 v[74:75], v[10:11]
	v_mov_b64_e32 v[54:55], v[10:11]
	v_mov_b64_e32 v[66:67], v[10:11]
	v_mov_b64_e32 v[46:47], v[10:11]
	v_mov_b64_e32 v[58:59], v[10:11]
	v_mov_b32_e32 v124, 0
	v_mov_b64_e32 v[38:39], v[10:11]
	v_mov_b64_e32 v[50:51], v[10:11]
	;; [unrolled: 1-line block ×5, first 2 shown]
	v_mov_b32_e32 v123, 0
	v_mov_b64_e32 v[34:35], v[10:11]
	v_mov_b64_e32 v[18:19], v[10:11]
	;; [unrolled: 1-line block ×4, first 2 shown]
                                        ; implicit-def: $sgpr22_sgpr23
                                        ; implicit-def: $vgpr83
                                        ; implicit-def: $vgpr82
                                        ; implicit-def: $vgpr84
                                        ; implicit-def: $vgpr85
	s_and_saveexec_b64 s[16:17], s[8:9]
	s_cbranch_execz .LBB1178_109
; %bb.74:
	v_cndmask_b32_e64 v6, 0, 1, s[4:5]
	v_cndmask_b32_e64 v7, 0, 1, s[6:7]
	v_lshlrev_b16_e32 v6, 8, v6
	v_lshlrev_b16_e32 v7, 8, v7
	v_cndmask_b32_e64 v10, 0, 1, vcc
	v_or_b32_e32 v6, v128, v6
	v_or_b32_sdwa v7, v10, v7 dst_sel:WORD_1 dst_unused:UNUSED_PAD src0_sel:DWORD src1_sel:DWORD
	v_add_u32_e32 v10, 3, v65
	v_or_b32_sdwa v83, v6, v7 dst_sel:DWORD dst_unused:UNUSED_PAD src0_sel:WORD_0 src1_sel:DWORD
	v_cmp_gt_u32_e32 vcc, s64, v10
	v_mov_b64_e32 v[10:11], 0
	v_and_b32_e32 v128, 0xffff, v83
	s_waitcnt lgkmcnt(0)
	v_mov_b32_e32 v6, v16
	v_mov_b32_e32 v7, v17
	s_mov_b64 s[4:5], 0
	v_mov_b32_e32 v127, 0
	v_mov_b32_e32 v122, 0
	;; [unrolled: 1-line block ×4, first 2 shown]
	v_mov_b64_e32 v[70:71], v[10:11]
	v_mov_b64_e32 v[78:79], v[10:11]
	;; [unrolled: 1-line block ×8, first 2 shown]
	v_mov_b32_e32 v124, 0
	v_mov_b64_e32 v[38:39], v[10:11]
	v_mov_b64_e32 v[50:51], v[10:11]
	;; [unrolled: 1-line block ×5, first 2 shown]
	v_mov_b32_e32 v123, 0
	v_mov_b64_e32 v[34:35], v[10:11]
	v_mov_b64_e32 v[18:19], v[10:11]
	;; [unrolled: 1-line block ×3, first 2 shown]
                                        ; implicit-def: $sgpr6_sgpr7
                                        ; implicit-def: $vgpr82
                                        ; implicit-def: $vgpr84
                                        ; implicit-def: $vgpr85
	s_and_saveexec_b64 s[18:19], vcc
	s_cbranch_execz .LBB1178_108
; %bb.75:
	ds_read2_b64 v[26:29], v48 offset0:3 offset1:4
	v_add_u32_e32 v10, 4, v65
	v_cmp_gt_u32_e32 vcc, s64, v10
	v_mov_b64_e32 v[10:11], 0
	v_and_b32_e32 v128, 0xffffff, v83
	s_mov_b64 s[6:7], 0
	v_mov_b32_e32 v127, 0
	v_mov_b32_e32 v122, 0
	;; [unrolled: 1-line block ×4, first 2 shown]
	v_mov_b64_e32 v[70:71], v[10:11]
	v_mov_b64_e32 v[78:79], v[10:11]
	;; [unrolled: 1-line block ×8, first 2 shown]
	v_mov_b32_e32 v124, 0
	v_mov_b64_e32 v[38:39], v[10:11]
	v_mov_b64_e32 v[50:51], v[10:11]
	;; [unrolled: 1-line block ×5, first 2 shown]
	v_mov_b32_e32 v123, 0
	v_mov_b64_e32 v[34:35], v[10:11]
	v_mov_b64_e32 v[18:19], v[10:11]
                                        ; implicit-def: $sgpr8_sgpr9
                                        ; implicit-def: $vgpr82
                                        ; implicit-def: $vgpr84
                                        ; implicit-def: $vgpr85
	s_and_saveexec_b64 s[20:21], vcc
	s_cbranch_execz .LBB1178_107
; %bb.76:
	v_add_u32_e32 v10, 5, v65
	v_cmp_gt_u32_e32 vcc, s64, v10
	v_mov_b64_e32 v[10:11], 0
	s_waitcnt lgkmcnt(0)
	v_mov_b32_e32 v18, v28
	v_mov_b32_e32 v19, v29
	;; [unrolled: 1-line block ×6, first 2 shown]
	v_mov_b64_e32 v[70:71], v[10:11]
	v_mov_b64_e32 v[78:79], v[10:11]
	;; [unrolled: 1-line block ×8, first 2 shown]
	v_mov_b32_e32 v124, 0
	v_mov_b64_e32 v[38:39], v[10:11]
	v_mov_b64_e32 v[50:51], v[10:11]
	v_mov_b64_e32 v[30:31], v[10:11]
	v_mov_b64_e32 v[42:43], v[10:11]
	v_mov_b64_e32 v[22:23], v[10:11]
	v_mov_b32_e32 v123, 0
	v_mov_b64_e32 v[34:35], v[10:11]
                                        ; implicit-def: $sgpr8_sgpr9
                                        ; implicit-def: $vgpr82
                                        ; implicit-def: $vgpr84
                                        ; implicit-def: $vgpr85
	s_and_saveexec_b64 s[22:23], vcc
	s_cbranch_execz .LBB1178_106
; %bb.77:
	ds_read2_b64 v[34:37], v48 offset0:5 offset1:6
	v_cmp_ne_u32_e32 vcc, v32, v44
	v_add_u32_e32 v10, 6, v65
	s_mov_b64 s[28:29], 0
	v_cndmask_b32_e64 v123, 0, 1, vcc
	v_cmp_gt_u32_e32 vcc, s64, v10
	v_mov_b64_e32 v[10:11], 0
	v_mov_b32_e32 v127, 0
	v_mov_b32_e32 v122, 0
	;; [unrolled: 1-line block ×4, first 2 shown]
	v_mov_b64_e32 v[70:71], v[10:11]
	v_mov_b64_e32 v[78:79], v[10:11]
	;; [unrolled: 1-line block ×8, first 2 shown]
	v_mov_b32_e32 v124, 0
	v_mov_b64_e32 v[38:39], v[10:11]
	v_mov_b64_e32 v[50:51], v[10:11]
	;; [unrolled: 1-line block ×5, first 2 shown]
                                        ; implicit-def: $sgpr6_sgpr7
                                        ; implicit-def: $vgpr82
                                        ; implicit-def: $vgpr84
                                        ; implicit-def: $vgpr85
	s_and_saveexec_b64 s[24:25], vcc
	s_cbranch_execz .LBB1178_105
; %bb.78:
	v_cmp_ne_u32_e64 s[8:9], v44, v45
	v_add_u32_e32 v10, 7, v65
	s_waitcnt lgkmcnt(0)
	v_mov_b32_e32 v22, v36
	v_cndmask_b32_e64 v127, 0, 1, s[8:9]
	v_cmp_gt_u32_e64 s[8:9], s64, v10
	v_mov_b64_e32 v[10:11], 0
	v_mov_b32_e32 v23, v37
	v_cmp_ne_u32_e32 vcc, v40, v41
	v_cmp_ne_u32_e64 s[6:7], v41, v33
	v_cmp_ne_u32_e64 s[4:5], v45, v40
	s_mov_b64 s[30:31], 0
	v_mov_b32_e32 v126, 0
	v_mov_b32_e32 v122, 0
	;; [unrolled: 1-line block ×3, first 2 shown]
	v_mov_b64_e32 v[70:71], v[10:11]
	v_mov_b64_e32 v[78:79], v[10:11]
	;; [unrolled: 1-line block ×8, first 2 shown]
	v_mov_b32_e32 v124, 0
	v_mov_b64_e32 v[38:39], v[10:11]
	v_mov_b64_e32 v[50:51], v[10:11]
	;; [unrolled: 1-line block ×4, first 2 shown]
                                        ; implicit-def: $sgpr34_sgpr35
                                        ; implicit-def: $vgpr82
                                        ; implicit-def: $vgpr84
                                        ; implicit-def: $vgpr85
	s_and_saveexec_b64 s[26:27], s[8:9]
	s_cbranch_execz .LBB1178_104
; %bb.79:
	v_cndmask_b32_e64 v10, 0, 1, s[4:5]
	v_cndmask_b32_e64 v11, 0, 1, s[6:7]
	v_lshlrev_b16_e32 v10, 8, v10
	v_lshlrev_b16_e32 v11, 8, v11
	v_cndmask_b32_e64 v16, 0, 1, vcc
	ds_read2_b64 v[42:45], v48 offset0:7 offset1:8
	v_or_b32_e32 v10, v127, v10
	v_or_b32_sdwa v11, v16, v11 dst_sel:WORD_1 dst_unused:UNUSED_PAD src0_sel:DWORD src1_sel:DWORD
	s_mov_b64 s[4:5], 0
	v_or_b32_sdwa v82, v10, v11 dst_sel:DWORD dst_unused:UNUSED_PAD src0_sel:WORD_0 src1_sel:DWORD
	v_add_u32_e32 v10, 8, v65
	v_cmp_gt_u32_e32 vcc, s64, v10
	v_mov_b64_e32 v[10:11], 0
	v_and_b32_e32 v127, 0xffff, v82
	v_mov_b32_e32 v126, 0
	v_mov_b32_e32 v122, 0
	v_mov_b32_e32 v125, 0
	v_mov_b64_e32 v[70:71], v[10:11]
	v_mov_b64_e32 v[78:79], v[10:11]
	;; [unrolled: 1-line block ×8, first 2 shown]
	v_mov_b32_e32 v124, 0
	v_mov_b64_e32 v[38:39], v[10:11]
	v_mov_b64_e32 v[50:51], v[10:11]
	;; [unrolled: 1-line block ×3, first 2 shown]
                                        ; implicit-def: $sgpr6_sgpr7
                                        ; implicit-def: $vgpr84
                                        ; implicit-def: $vgpr85
	s_and_saveexec_b64 s[28:29], vcc
	s_cbranch_execz .LBB1178_103
; %bb.80:
	v_add_u32_e32 v10, 9, v65
	v_cmp_gt_u32_e32 vcc, s64, v10
	v_mov_b64_e32 v[10:11], 0
	s_waitcnt lgkmcnt(0)
	v_mov_b32_e32 v30, v44
	v_mov_b32_e32 v31, v45
	v_and_b32_e32 v127, 0xffffff, v82
	s_mov_b64 s[6:7], 0
	v_mov_b32_e32 v126, 0
	v_mov_b32_e32 v122, 0
	;; [unrolled: 1-line block ×3, first 2 shown]
	v_mov_b64_e32 v[70:71], v[10:11]
	v_mov_b64_e32 v[78:79], v[10:11]
	;; [unrolled: 1-line block ×8, first 2 shown]
	v_mov_b32_e32 v124, 0
	v_mov_b64_e32 v[38:39], v[10:11]
	v_mov_b64_e32 v[50:51], v[10:11]
                                        ; implicit-def: $sgpr8_sgpr9
                                        ; implicit-def: $vgpr84
                                        ; implicit-def: $vgpr85
	s_and_saveexec_b64 s[30:31], vcc
	s_cbranch_execz .LBB1178_102
; %bb.81:
	ds_read2_b64 v[50:53], v48 offset0:9 offset1:10
	v_add_u32_e32 v10, 10, v65
	v_cmp_gt_u32_e32 vcc, s64, v10
	v_mov_b64_e32 v[10:11], 0
	v_mov_b32_e32 v126, 0
	v_mov_b32_e32 v122, 0
	;; [unrolled: 1-line block ×3, first 2 shown]
	v_mov_b64_e32 v[70:71], v[10:11]
	v_mov_b64_e32 v[78:79], v[10:11]
	;; [unrolled: 1-line block ×8, first 2 shown]
	v_mov_b32_e32 v124, 0
	v_mov_b64_e32 v[38:39], v[10:11]
                                        ; implicit-def: $sgpr8_sgpr9
                                        ; implicit-def: $vgpr84
                                        ; implicit-def: $vgpr85
	s_and_saveexec_b64 s[34:35], vcc
	s_cbranch_execz .LBB1178_101
; %bb.82:
	v_cmp_ne_u32_e32 vcc, v33, v24
	v_add_u32_e32 v10, 11, v65
	s_waitcnt lgkmcnt(0)
	v_mov_b32_e32 v38, v52
	v_cndmask_b32_e64 v124, 0, 1, vcc
	v_cmp_gt_u32_e32 vcc, s64, v10
	v_mov_b64_e32 v[10:11], 0
	v_mov_b32_e32 v39, v53
	s_mov_b64 s[40:41], 0
	v_mov_b32_e32 v126, 0
	v_mov_b32_e32 v122, 0
	;; [unrolled: 1-line block ×3, first 2 shown]
	v_mov_b64_e32 v[70:71], v[10:11]
	v_mov_b64_e32 v[78:79], v[10:11]
	;; [unrolled: 1-line block ×8, first 2 shown]
                                        ; implicit-def: $sgpr6_sgpr7
                                        ; implicit-def: $vgpr84
                                        ; implicit-def: $vgpr85
	s_and_saveexec_b64 s[36:37], vcc
	s_cbranch_execz .LBB1178_100
; %bb.83:
	ds_read2_b64 v[58:61], v48 offset0:11 offset1:12
	v_cmp_ne_u32_e64 s[8:9], v24, v25
	v_add_u32_e32 v10, 12, v65
	v_cmp_ne_u32_e32 vcc, v20, v21
	v_cndmask_b32_e64 v126, 0, 1, s[8:9]
	v_cmp_gt_u32_e64 s[8:9], s64, v10
	v_mov_b64_e32 v[10:11], 0
	v_cmp_ne_u32_e64 s[6:7], v21, v64
	v_cmp_ne_u32_e64 s[4:5], v25, v20
	s_mov_b64 s[42:43], 0
	v_mov_b32_e32 v125, 0
	v_mov_b32_e32 v122, 0
	v_mov_b64_e32 v[70:71], v[10:11]
	v_mov_b64_e32 v[78:79], v[10:11]
	;; [unrolled: 1-line block ×7, first 2 shown]
                                        ; implicit-def: $sgpr44_sgpr45
                                        ; implicit-def: $vgpr84
                                        ; implicit-def: $vgpr85
	s_and_saveexec_b64 s[38:39], s[8:9]
	s_cbranch_execz .LBB1178_99
; %bb.84:
	v_cndmask_b32_e64 v10, 0, 1, s[4:5]
	v_cndmask_b32_e64 v11, 0, 1, s[6:7]
	v_lshlrev_b16_e32 v10, 8, v10
	v_lshlrev_b16_e32 v11, 8, v11
	v_cndmask_b32_e64 v16, 0, 1, vcc
	v_or_b32_e32 v10, v126, v10
	v_or_b32_sdwa v11, v16, v11 dst_sel:WORD_1 dst_unused:UNUSED_PAD src0_sel:DWORD src1_sel:DWORD
	s_waitcnt lgkmcnt(0)
	v_mov_b32_e32 v46, v60
	v_or_b32_sdwa v84, v10, v11 dst_sel:DWORD dst_unused:UNUSED_PAD src0_sel:WORD_0 src1_sel:DWORD
	v_add_u32_e32 v10, 13, v65
	v_cmp_gt_u32_e32 vcc, s64, v10
	v_mov_b64_e32 v[10:11], 0
	v_and_b32_e32 v126, 0xffff, v84
	v_mov_b32_e32 v47, v61
	s_mov_b64 s[4:5], 0
	v_mov_b32_e32 v125, 0
	v_mov_b32_e32 v122, 0
	v_mov_b64_e32 v[70:71], v[10:11]
	v_mov_b64_e32 v[78:79], v[10:11]
	;; [unrolled: 1-line block ×6, first 2 shown]
                                        ; implicit-def: $sgpr6_sgpr7
                                        ; implicit-def: $vgpr85
	s_and_saveexec_b64 s[40:41], vcc
	s_cbranch_execz .LBB1178_98
; %bb.85:
	ds_read2_b64 v[66:69], v48 offset0:13 offset1:14
	v_add_u32_e32 v10, 14, v65
	v_cmp_gt_u32_e32 vcc, s64, v10
	v_mov_b64_e32 v[10:11], 0
	v_and_b32_e32 v126, 0xffffff, v84
	s_mov_b64 s[6:7], 0
	v_mov_b32_e32 v125, 0
	v_mov_b32_e32 v122, 0
	v_mov_b64_e32 v[70:71], v[10:11]
	v_mov_b64_e32 v[78:79], v[10:11]
	;; [unrolled: 1-line block ×5, first 2 shown]
                                        ; implicit-def: $sgpr8_sgpr9
                                        ; implicit-def: $vgpr85
	s_and_saveexec_b64 s[42:43], vcc
	s_cbranch_execz .LBB1178_97
; %bb.86:
	v_add_u32_e32 v10, 15, v65
	v_cmp_gt_u32_e32 vcc, s64, v10
	v_mov_b64_e32 v[10:11], 0
	s_waitcnt lgkmcnt(0)
	v_mov_b32_e32 v54, v68
	v_mov_b32_e32 v55, v69
	;; [unrolled: 1-line block ×4, first 2 shown]
	v_mov_b64_e32 v[70:71], v[10:11]
	v_mov_b64_e32 v[78:79], v[10:11]
	;; [unrolled: 1-line block ×4, first 2 shown]
                                        ; implicit-def: $sgpr8_sgpr9
                                        ; implicit-def: $vgpr85
	s_and_saveexec_b64 s[44:45], vcc
	s_cbranch_execz .LBB1178_96
; %bb.87:
	ds_read2_b64 v[74:77], v48 offset0:15 offset1:16
	v_cmp_ne_u32_e32 vcc, v64, v8
	v_add_u32_e32 v10, 16, v65
	s_mov_b64 s[58:59], 0
	v_cndmask_b32_e64 v122, 0, 1, vcc
	v_cmp_gt_u32_e32 vcc, s64, v10
	v_mov_b64_e32 v[10:11], 0
	v_mov_b32_e32 v125, 0
	v_mov_b64_e32 v[70:71], v[10:11]
	v_mov_b64_e32 v[78:79], v[10:11]
	;; [unrolled: 1-line block ×3, first 2 shown]
                                        ; implicit-def: $sgpr6_sgpr7
                                        ; implicit-def: $vgpr85
	s_and_saveexec_b64 s[46:47], vcc
	s_cbranch_execz .LBB1178_95
; %bb.88:
	v_cmp_ne_u32_e64 s[8:9], v8, v9
	v_add_u32_e32 v8, 17, v65
	v_mov_b64_e32 v[10:11], 0
	s_waitcnt lgkmcnt(0)
	v_mov_b32_e32 v62, v76
	v_mov_b32_e32 v63, v77
	v_cmp_ne_u32_e32 vcc, v12, v13
	v_cmp_ne_u32_e64 s[6:7], v13, v4
	v_cmp_ne_u32_e64 s[4:5], v9, v12
	v_cndmask_b32_e64 v125, 0, 1, s[8:9]
	v_cmp_gt_u32_e64 s[8:9], s64, v8
	s_mov_b64 s[60:61], 0
	v_mov_b64_e32 v[70:71], v[10:11]
	v_mov_b64_e32 v[78:79], v[10:11]
                                        ; implicit-def: $sgpr62_sgpr63
                                        ; implicit-def: $vgpr85
	s_and_saveexec_b64 s[56:57], s[8:9]
	s_cbranch_execz .LBB1178_94
; %bb.89:
	v_cndmask_b32_e64 v8, 0, 1, s[4:5]
	v_cndmask_b32_e64 v9, 0, 1, s[6:7]
	ds_read2_b64 v[78:81], v48 offset0:17 offset1:18
	v_lshlrev_b16_e32 v8, 8, v8
	v_lshlrev_b16_e32 v9, 8, v9
	v_cndmask_b32_e64 v10, 0, 1, vcc
	v_or_b32_e32 v8, v125, v8
	v_or_b32_sdwa v9, v10, v9 dst_sel:WORD_1 dst_unused:UNUSED_PAD src0_sel:DWORD src1_sel:DWORD
	v_mov_b64_e32 v[10:11], 0
	v_or_b32_sdwa v85, v8, v9 dst_sel:DWORD dst_unused:UNUSED_PAD src0_sel:WORD_0 src1_sel:DWORD
	v_add_u32_e32 v8, 18, v65
	v_and_b32_e32 v125, 0xffff, v85
	v_cmp_gt_u32_e32 vcc, s64, v8
	s_mov_b64 s[4:5], 0
	v_mov_b64_e32 v[70:71], v[10:11]
                                        ; implicit-def: $sgpr8_sgpr9
	s_and_saveexec_b64 s[6:7], vcc
	s_cbranch_execz .LBB1178_93
; %bb.90:
	v_add_u32_e32 v8, 19, v65
	s_waitcnt lgkmcnt(0)
	v_mov_b32_e32 v70, v80
	v_mov_b32_e32 v71, v81
	v_cmp_gt_u32_e32 vcc, s64, v8
	v_and_b32_e32 v125, 0xffffff, v85
	v_mov_b64_e32 v[10:11], 0
                                        ; implicit-def: $sgpr8_sgpr9
	s_and_saveexec_b64 s[58:59], vcc
	s_xor_b64 s[58:59], exec, s[58:59]
	s_cbranch_execz .LBB1178_92
; %bb.91:
	ds_read2_b64 v[10:13], v48 offset0:19 offset1:20
	v_cmp_ne_u32_e32 vcc, v4, v5
	v_add_u32_e32 v4, 20, v65
	v_cmp_gt_u32_e64 s[4:5], s64, v4
	s_and_b64 s[8:9], vcc, exec
	s_and_b64 s[4:5], s[4:5], exec
	s_waitcnt lgkmcnt(0)
	v_mov_b64_e32 v[72:73], v[10:11]
	v_mov_b32_e32 v125, v85
.LBB1178_92:
	s_or_b64 exec, exec, s[58:59]
	s_and_b64 s[8:9], s[8:9], exec
	s_and_b64 s[60:61], s[4:5], exec
.LBB1178_93:
	s_or_b64 exec, exec, s[6:7]
	s_and_b64 s[62:63], s[8:9], exec
	s_and_b64 s[58:59], s[60:61], exec
	s_waitcnt lgkmcnt(0)
	v_mov_b64_e32 v[64:65], v[78:79]
	v_mov_b64_e32 v[56:57], v[74:75]
	;; [unrolled: 1-line block ×9, first 2 shown]
.LBB1178_94:
	s_or_b64 exec, exec, s[56:57]
	s_and_b64 s[6:7], s[62:63], exec
	s_and_b64 s[4:5], s[58:59], exec
.LBB1178_95:
	s_or_b64 exec, exec, s[46:47]
	s_and_b64 s[8:9], s[6:7], exec
	s_and_b64 s[6:7], s[4:5], exec
.LBB1178_96:
	s_or_b64 exec, exec, s[44:45]
	s_and_b64 s[8:9], s[8:9], exec
	s_and_b64 s[4:5], s[6:7], exec
	v_mov_b32_e32 v126, v84
.LBB1178_97:
	s_or_b64 exec, exec, s[42:43]
	s_and_b64 s[6:7], s[8:9], exec
	s_and_b64 s[42:43], s[4:5], exec
.LBB1178_98:
	s_or_b64 exec, exec, s[40:41]
	s_and_b64 s[44:45], s[6:7], exec
	s_and_b64 s[40:41], s[42:43], exec
.LBB1178_99:
	s_or_b64 exec, exec, s[38:39]
	s_and_b64 s[6:7], s[44:45], exec
	s_and_b64 s[4:5], s[40:41], exec
.LBB1178_100:
	s_or_b64 exec, exec, s[36:37]
	s_and_b64 s[8:9], s[6:7], exec
	s_and_b64 s[6:7], s[4:5], exec
.LBB1178_101:
	s_or_b64 exec, exec, s[34:35]
	s_and_b64 s[8:9], s[8:9], exec
	s_and_b64 s[4:5], s[6:7], exec
	v_mov_b32_e32 v127, v82
.LBB1178_102:
	s_or_b64 exec, exec, s[30:31]
	s_and_b64 s[6:7], s[8:9], exec
	s_and_b64 s[30:31], s[4:5], exec
.LBB1178_103:
	s_or_b64 exec, exec, s[28:29]
	s_and_b64 s[34:35], s[6:7], exec
	s_and_b64 s[28:29], s[30:31], exec
.LBB1178_104:
	s_or_b64 exec, exec, s[26:27]
	s_and_b64 s[6:7], s[34:35], exec
	s_and_b64 s[4:5], s[28:29], exec
.LBB1178_105:
	s_or_b64 exec, exec, s[24:25]
	s_and_b64 s[8:9], s[6:7], exec
	s_and_b64 s[6:7], s[4:5], exec
.LBB1178_106:
	s_or_b64 exec, exec, s[22:23]
	s_and_b64 s[8:9], s[8:9], exec
	s_and_b64 s[4:5], s[6:7], exec
	v_mov_b32_e32 v128, v83
.LBB1178_107:
	s_or_b64 exec, exec, s[20:21]
	s_and_b64 s[6:7], s[8:9], exec
	s_and_b64 s[20:21], s[4:5], exec
.LBB1178_108:
	s_or_b64 exec, exec, s[18:19]
	s_and_b64 s[22:23], s[6:7], exec
	s_and_b64 s[18:19], s[20:21], exec
.LBB1178_109:
	s_or_b64 exec, exec, s[16:17]
	s_and_b64 s[4:5], s[22:23], exec
	s_and_b64 s[6:7], s[18:19], exec
.LBB1178_110:
	s_or_b64 exec, exec, s[14:15]
	s_and_b64 s[4:5], s[4:5], exec
	s_and_b64 s[6:7], s[6:7], exec
.LBB1178_111:
	s_or_b64 exec, exec, s[12:13]
	s_mov_b64 s[8:9], 0
	s_and_b64 vcc, exec, s[10:11]
	s_cbranch_vccnz .LBB1178_113
	s_branch .LBB1178_121
.LBB1178_112:
                                        ; implicit-def: $sgpr4_sgpr5
                                        ; implicit-def: $vgpr83
                                        ; implicit-def: $vgpr82
                                        ; implicit-def: $vgpr84
                                        ; implicit-def: $vgpr85
                                        ; implicit-def: $vgpr12_vgpr13
                                        ; implicit-def: $vgpr72_vgpr73
                                        ; implicit-def: $vgpr64_vgpr65
                                        ; implicit-def: $vgpr122
                                        ; implicit-def: $vgpr56_vgpr57
                                        ; implicit-def: $vgpr48_vgpr49
                                        ; implicit-def: $vgpr40_vgpr41
                                        ; implicit-def: $vgpr124
                                        ; implicit-def: $vgpr32_vgpr33
                                        ; implicit-def: $vgpr24_vgpr25
                                        ; implicit-def: $vgpr123
                                        ; implicit-def: $vgpr20_vgpr21
                                        ; implicit-def: $vgpr8_vgpr9
                                        ; implicit-def: $vgpr4_vgpr5
                                        ; implicit-def: $vgpr1
                                        ; implicit-def: $vgpr128
                                        ; implicit-def: $vgpr127
                                        ; implicit-def: $vgpr126
                                        ; implicit-def: $vgpr125
                                        ; implicit-def: $sgpr3
                                        ; implicit-def: $sgpr8_sgpr9
                                        ; implicit-def: $vgpr78_vgpr79
                                        ; implicit-def: $vgpr74_vgpr75
                                        ; implicit-def: $vgpr66_vgpr67
                                        ; implicit-def: $vgpr58_vgpr59
                                        ; implicit-def: $vgpr50_vgpr51
                                        ; implicit-def: $vgpr42_vgpr43
                                        ; implicit-def: $vgpr34_vgpr35
                                        ; implicit-def: $vgpr26_vgpr27
                                        ; implicit-def: $vgpr14_vgpr15
	s_and_b64 vcc, exec, s[10:11]
	s_cbranch_vccz .LBB1178_121
.LBB1178_113:
	s_waitcnt lgkmcnt(0)
	v_mov_b32_e32 v3, 0
	v_lshlrev_b32_e32 v2, 2, v0
	v_lshl_add_u64 v[4:5], s[50:51], 0, v[2:3]
	v_add_co_u32_e32 v6, vcc, 0x1000, v4
	s_movk_i32 s3, 0x50
	s_nop 0
	v_addc_co_u32_e32 v7, vcc, 0, v5, vcc
	flat_load_dword v1, v[4:5]
	flat_load_dword v3, v[4:5] offset:1024
	flat_load_dword v10, v[4:5] offset:2048
	;; [unrolled: 1-line block ×3, first 2 shown]
	flat_load_dword v12, v[6:7]
	flat_load_dword v13, v[6:7] offset:1024
	flat_load_dword v14, v[6:7] offset:2048
	;; [unrolled: 1-line block ×3, first 2 shown]
	v_add_co_u32_e32 v6, vcc, 0x2000, v4
	v_mad_u32_u24 v23, v0, s3, v2
	s_nop 0
	v_addc_co_u32_e32 v7, vcc, 0, v5, vcc
	v_add_co_u32_e32 v8, vcc, 0x3000, v4
	s_cmp_eq_u64 s[54:55], 0
	s_nop 0
	v_addc_co_u32_e32 v9, vcc, 0, v5, vcc
	flat_load_dword v16, v[6:7]
	flat_load_dword v17, v[6:7] offset:1024
	flat_load_dword v18, v[6:7] offset:2048
	;; [unrolled: 1-line block ×3, first 2 shown]
	flat_load_dword v20, v[8:9]
	flat_load_dword v21, v[8:9] offset:1024
	flat_load_dword v22, v[8:9] offset:2048
	;; [unrolled: 1-line block ×3, first 2 shown]
	v_add_co_u32_e32 v6, vcc, 0x4000, v4
	s_nop 1
	v_addc_co_u32_e32 v7, vcc, 0, v5, vcc
	v_add_co_u32_e32 v4, vcc, 0x5000, v4
	s_nop 1
	v_addc_co_u32_e32 v5, vcc, 0, v5, vcc
	flat_load_dword v8, v[6:7]
	flat_load_dword v9, v[6:7] offset:1024
	flat_load_dword v25, v[6:7] offset:2048
	;; [unrolled: 1-line block ×3, first 2 shown]
	flat_load_dword v27, v[4:5]
	s_waitcnt vmcnt(0) lgkmcnt(0)
	ds_write2st64_b32 v2, v1, v3 offset1:4
	ds_write2st64_b32 v2, v10, v11 offset0:8 offset1:12
	ds_write2st64_b32 v2, v12, v13 offset0:16 offset1:20
	ds_write2st64_b32 v2, v14, v15 offset0:24 offset1:28
	ds_write2st64_b32 v2, v16, v17 offset0:32 offset1:36
	ds_write2st64_b32 v2, v18, v19 offset0:40 offset1:44
	ds_write2st64_b32 v2, v20, v21 offset0:48 offset1:52
	ds_write2st64_b32 v2, v22, v24 offset0:56 offset1:60
	ds_write2st64_b32 v2, v8, v9 offset0:64 offset1:68
	ds_write2st64_b32 v2, v25, v26 offset0:72 offset1:76
	ds_write_b32 v2, v27 offset:20480
	s_waitcnt lgkmcnt(0)
	s_barrier
	ds_read2_b32 v[8:9], v23 offset0:7 offset1:8
	ds_read2_b32 v[6:7], v23 offset0:5 offset1:6
	;; [unrolled: 1-line block ×3, first 2 shown]
	ds_read2_b32 v[10:11], v23 offset1:1
	ds_read2_b32 v[4:5], v23 offset0:4 offset1:9
	ds_read2_b32 v[16:17], v23 offset0:15 offset1:16
	ds_read_b32 v22, v23 offset:56
	ds_read2_b32 v[14:15], v23 offset0:12 offset1:13
	ds_read2_b32 v[12:13], v23 offset0:10 offset1:11
	ds_read2_b32 v[18:19], v23 offset0:17 offset1:18
	ds_read2_b32 v[20:21], v23 offset0:19 offset1:20
	s_cbranch_scc1 .LBB1178_118
; %bb.114:
	s_andn2_b64 vcc, exec, s[52:53]
	s_cbranch_vccnz .LBB1178_288
; %bb.115:
	v_readlane_b32 s8, v131, 0
	v_readlane_b32 s10, v131, 2
	v_readlane_b32 s11, v131, 3
	v_readlane_b32 s14, v131, 6
	v_readlane_b32 s15, v131, 7
	s_lshl_b64 s[4:5], s[54:55], 2
	s_mov_b64 s[10:11], s[14:15]
	s_add_u32 s3, s10, s4
	s_addc_u32 s5, s11, s5
	s_add_u32 s4, s3, -4
	s_addc_u32 s5, s5, -1
	v_readlane_b32 s9, v131, 1
	v_readlane_b32 s12, v131, 4
	;; [unrolled: 1-line block ×3, first 2 shown]
	s_cbranch_execnz .LBB1178_117
.LBB1178_116:
	s_add_u32 s4, s50, -4
	s_addc_u32 s5, s51, -1
.LBB1178_117:
	s_mov_b64 s[50:51], s[4:5]
.LBB1178_118:
	v_mov_b64_e32 v[24:25], s[50:51]
	flat_load_dword v1, v[24:25]
	s_movk_i32 s3, 0xffb0
	v_mad_i32_i24 v23, v0, s3, v23
	v_cmp_ne_u32_e32 vcc, 0, v0
	s_waitcnt lgkmcnt(0)
	ds_write_b32 v23, v21 offset:21504
	s_waitcnt lgkmcnt(0)
	s_barrier
	s_and_saveexec_b64 s[4:5], vcc
	s_cbranch_execz .LBB1178_120
; %bb.119:
	s_waitcnt vmcnt(0)
	ds_read_b32 v1, v23 offset:21500
.LBB1178_120:
	s_or_b64 exec, exec, s[4:5]
	v_lshlrev_b32_e32 v24, 3, v0
	v_mov_b32_e32 v25, 0
	v_lshl_add_u64 v[24:25], s[48:49], 0, v[24:25]
	s_movk_i32 s3, 0x1000
	v_add_co_u32_e32 v26, vcc, s3, v24
	s_movk_i32 s3, 0x2000
	s_nop 0
	v_addc_co_u32_e32 v27, vcc, 0, v25, vcc
	s_waitcnt lgkmcnt(0)
	s_barrier
	flat_load_dwordx2 v[28:29], v[24:25]
	flat_load_dwordx2 v[30:31], v[24:25] offset:2048
	flat_load_dwordx2 v[32:33], v[26:27]
	flat_load_dwordx2 v[34:35], v[26:27] offset:2048
	v_add_co_u32_e32 v26, vcc, s3, v24
	s_movk_i32 s3, 0x3000
	s_nop 0
	v_addc_co_u32_e32 v27, vcc, 0, v25, vcc
	v_add_co_u32_e32 v36, vcc, s3, v24
	s_movk_i32 s3, 0x4000
	s_nop 0
	v_addc_co_u32_e32 v37, vcc, 0, v25, vcc
	flat_load_dwordx2 v[38:39], v[26:27]
	flat_load_dwordx2 v[40:41], v[26:27] offset:2048
	flat_load_dwordx2 v[42:43], v[36:37]
	flat_load_dwordx2 v[44:45], v[36:37] offset:2048
	v_add_co_u32_e32 v26, vcc, s3, v24
	s_movk_i32 s3, 0x5000
	s_nop 0
	v_addc_co_u32_e32 v27, vcc, 0, v25, vcc
	v_add_co_u32_e32 v36, vcc, s3, v24
	s_movk_i32 s3, 0x6000
	s_nop 0
	v_addc_co_u32_e32 v37, vcc, 0, v25, vcc
	flat_load_dwordx2 v[46:47], v[26:27]
	flat_load_dwordx2 v[48:49], v[26:27] offset:2048
	flat_load_dwordx2 v[50:51], v[36:37]
	flat_load_dwordx2 v[52:53], v[36:37] offset:2048
	v_add_co_u32_e32 v26, vcc, s3, v24
	s_movk_i32 s3, 0x7000
	s_nop 0
	v_addc_co_u32_e32 v27, vcc, 0, v25, vcc
	v_add_co_u32_e32 v36, vcc, s3, v24
	s_mov_b32 s3, 0x8000
	s_nop 0
	v_addc_co_u32_e32 v37, vcc, 0, v25, vcc
	flat_load_dwordx2 v[54:55], v[26:27]
	flat_load_dwordx2 v[56:57], v[26:27] offset:2048
	flat_load_dwordx2 v[58:59], v[36:37]
	flat_load_dwordx2 v[60:61], v[36:37] offset:2048
	v_add_co_u32_e32 v26, vcc, s3, v24
	s_mov_b32 s3, 0x9000
	s_nop 0
	v_addc_co_u32_e32 v27, vcc, 0, v25, vcc
	v_add_co_u32_e32 v36, vcc, s3, v24
	s_mov_b32 s3, 0xa000
	s_nop 0
	v_addc_co_u32_e32 v37, vcc, 0, v25, vcc
	flat_load_dwordx2 v[62:63], v[26:27]
	flat_load_dwordx2 v[64:65], v[26:27] offset:2048
	flat_load_dwordx2 v[66:67], v[36:37]
	flat_load_dwordx2 v[68:69], v[36:37] offset:2048
	v_add_co_u32_e32 v24, vcc, s3, v24
	v_cmp_ne_u32_e64 s[4:5], v20, v21
	s_nop 0
	v_addc_co_u32_e32 v25, vcc, 0, v25, vcc
	flat_load_dwordx2 v[24:25], v[24:25]
	v_cmp_ne_u32_e32 vcc, v17, v18
	s_movk_i32 s3, 0xa0
	s_mov_b64 s[6:7], -1
	v_cndmask_b32_e64 v21, 0, 1, vcc
	v_cmp_ne_u32_e32 vcc, v16, v17
	v_lshlrev_b16_e32 v21, 8, v21
                                        ; implicit-def: $vgpr128
                                        ; implicit-def: $vgpr127
                                        ; implicit-def: $vgpr126
                                        ; implicit-def: $vgpr125
                                        ; implicit-def: $sgpr8_sgpr9
                                        ; implicit-def: $vgpr78_vgpr79
                                        ; implicit-def: $vgpr74_vgpr75
                                        ; implicit-def: $vgpr26_vgpr27
	s_nop 0
	v_cndmask_b32_e64 v17, 0, 1, vcc
	v_cmp_ne_u32_e32 vcc, v19, v20
	v_or_b32_e32 v17, v17, v21
	s_nop 0
	v_cndmask_b32_e64 v20, 0, 1, vcc
	v_cmp_ne_u32_e32 vcc, v18, v19
	v_lshlrev_b16_e32 v20, 8, v20
	s_nop 0
	v_cndmask_b32_e64 v18, 0, 1, vcc
	v_cmp_ne_u32_e32 vcc, v22, v16
	v_or_b32_sdwa v18, v18, v20 dst_sel:WORD_1 dst_unused:UNUSED_PAD src0_sel:DWORD src1_sel:DWORD
	s_nop 0
	v_cndmask_b32_e64 v122, 0, 1, vcc
	v_cmp_ne_u32_e32 vcc, v13, v14
	v_or_b32_sdwa v85, v17, v18 dst_sel:DWORD dst_unused:UNUSED_PAD src0_sel:WORD_0 src1_sel:DWORD
	s_nop 0
	v_cndmask_b32_e64 v16, 0, 1, vcc
	v_cmp_ne_u32_e32 vcc, v12, v13
	v_lshlrev_b16_e32 v16, 8, v16
	s_nop 0
	v_cndmask_b32_e64 v13, 0, 1, vcc
	v_cmp_ne_u32_e32 vcc, v15, v22
	v_or_b32_e32 v13, v13, v16
	s_nop 0
	v_cndmask_b32_e64 v16, 0, 1, vcc
	v_cmp_ne_u32_e32 vcc, v14, v15
	v_lshlrev_b16_e32 v16, 8, v16
	s_nop 0
	v_cndmask_b32_e64 v14, 0, 1, vcc
	v_cmp_ne_u32_e32 vcc, v5, v12
	v_or_b32_sdwa v14, v14, v16 dst_sel:WORD_1 dst_unused:UNUSED_PAD src0_sel:DWORD src1_sel:DWORD
	s_nop 0
	v_cndmask_b32_e64 v124, 0, 1, vcc
	v_cmp_ne_u32_e32 vcc, v7, v8
	v_or_b32_sdwa v84, v13, v14 dst_sel:DWORD dst_unused:UNUSED_PAD src0_sel:WORD_0 src1_sel:DWORD
	s_nop 0
	v_cndmask_b32_e64 v12, 0, 1, vcc
	v_cmp_ne_u32_e32 vcc, v6, v7
	v_lshlrev_b16_e32 v12, 8, v12
	;; [unrolled: 20-line block ×3, first 2 shown]
	s_nop 0
	v_cndmask_b32_e64 v6, 0, 1, vcc
	v_cmp_ne_u32_e32 vcc, v3, v4
	v_or_b32_e32 v11, v6, v5
	s_nop 0
	v_cndmask_b32_e64 v4, 0, 1, vcc
	v_cmp_ne_u32_e32 vcc, v2, v3
	v_lshlrev_b16_e32 v4, 8, v4
	s_nop 0
	v_cndmask_b32_e64 v2, 0, 1, vcc
	v_or_b32_sdwa v14, v2, v4 dst_sel:WORD_1 dst_unused:UNUSED_PAD src0_sel:DWORD src1_sel:DWORD
	v_lshl_add_u32 v2, v0, 2, v23
	v_mad_u32_u24 v12, v0, s3, v2
	s_waitcnt vmcnt(0) lgkmcnt(0)
	ds_write2st64_b64 v2, v[28:29], v[30:31] offset1:4
	ds_write2st64_b64 v2, v[32:33], v[34:35] offset0:8 offset1:12
	ds_write2st64_b64 v2, v[38:39], v[40:41] offset0:16 offset1:20
	;; [unrolled: 1-line block ×9, first 2 shown]
	ds_write_b64 v2, v[24:25] offset:40960
	s_waitcnt lgkmcnt(0)
	s_barrier
	ds_read2_b64 v[2:5], v12 offset1:1
	ds_read2_b64 v[6:9], v12 offset0:2 offset1:3
	ds_read2_b64 v[18:21], v12 offset0:4 offset1:5
	;; [unrolled: 1-line block ×9, first 2 shown]
	ds_read_b64 v[12:13], v12 offset:160
	v_cmp_ne_u32_e32 vcc, v1, v10
	v_or_b32_sdwa v83, v11, v14 dst_sel:DWORD dst_unused:UNUSED_PAD src0_sel:WORD_0 src1_sel:DWORD
                                        ; implicit-def: $sgpr3
                                        ; implicit-def: $vgpr66_vgpr67
                                        ; implicit-def: $vgpr58_vgpr59
                                        ; implicit-def: $vgpr50_vgpr51
                                        ; implicit-def: $vgpr42_vgpr43
                                        ; implicit-def: $vgpr34_vgpr35
                                        ; implicit-def: $vgpr14_vgpr15
	s_nop 0
	v_cndmask_b32_e64 v1, 0, 1, vcc
.LBB1178_121:
	s_waitcnt lgkmcnt(0)
	v_mov_b64_e32 v[16:17], s[8:9]
	v_mov_b32_e32 v28, s3
	s_and_saveexec_b64 s[8:9], s[6:7]
	s_cbranch_execz .LBB1178_123
; %bb.122:
	v_cndmask_b32_e64 v28, 0, 1, s[4:5]
	v_mov_b64_e32 v[14:15], v[4:5]
	v_mov_b64_e32 v[26:27], v[8:9]
	;; [unrolled: 1-line block ×11, first 2 shown]
	v_mov_b32_e32 v125, v85
	v_mov_b32_e32 v126, v84
	v_mov_b32_e32 v127, v82
	v_mov_b32_e32 v128, v83
.LBB1178_123:
	s_or_b64 exec, exec, s[8:9]
	v_and_b32_e32 v129, 1, v123
	v_and_b32_e32 v37, 1, v124
	;; [unrolled: 1-line block ×4, first 2 shown]
	s_cmp_lg_u32 s2, 0
	v_lshrrev_b32_e32 v130, 8, v128
	v_cmp_eq_u32_e32 vcc, 1, v129
	v_lshrrev_b32_e32 v41, 8, v127
	v_cmp_eq_u32_e64 s[44:45], 1, v37
	v_lshrrev_b32_e32 v40, 8, v126
	v_cmp_eq_u32_e64 s[46:47], 1, v33
	;; [unrolled: 2-line block ×3, first 2 shown]
	v_mbcnt_lo_u32_b32 v29, -1, 0
	s_barrier
	s_cbranch_scc0 .LBB1178_190
; %bb.124:
	v_mov_b32_e32 v8, 0
	v_cmp_eq_u16_sdwa s[64:65], v128, v8 src0_sel:BYTE_0 src1_sel:DWORD
	v_and_b32_e32 v9, 1, v128
	s_movk_i32 s3, 0xff
	v_cndmask_b32_e64 v5, 0, v3, s[64:65]
	v_cndmask_b32_e64 v4, 0, v2, s[64:65]
	v_cmp_eq_u32_e64 s[48:49], 1, v9
	v_and_b32_e32 v9, 0x100, v128
	v_lshl_add_u64 v[4:5], v[4:5], 0, v[14:15]
	v_cmp_eq_u16_sdwa s[4:5], v130, v8 src0_sel:BYTE_0 src1_sel:DWORD
	v_cmp_ne_u32_e64 s[52:53], 0, v9
	v_and_b32_sdwa v9, v128, s3 dst_sel:DWORD dst_unused:UNUSED_PAD src0_sel:WORD_1 src1_sel:DWORD
	v_cndmask_b32_e64 v5, 0, v5, s[4:5]
	v_cndmask_b32_e64 v4, 0, v4, s[4:5]
	v_cmp_eq_u16_e64 s[6:7], 0, v9
	v_and_b32_e32 v9, 0x10000, v128
	v_lshl_add_u64 v[4:5], v[4:5], 0, v[6:7]
	v_cmp_ne_u32_e64 s[54:55], 0, v9
	v_and_b32_e32 v9, 0x1000000, v128
	v_cndmask_b32_e64 v5, 0, v5, s[6:7]
	v_cndmask_b32_e64 v4, 0, v4, s[6:7]
	v_cmp_ne_u32_e64 s[56:57], 0, v9
	v_and_b32_e32 v9, 1, v127
	v_lshl_add_u64 v[4:5], v[4:5], 0, v[26:27]
	v_cmp_eq_u16_sdwa s[8:9], v128, v8 src0_sel:BYTE_3 src1_sel:DWORD
	v_cmp_eq_u32_e64 s[58:59], 1, v9
	v_and_b32_e32 v9, 0x100, v127
	v_cndmask_b32_e64 v5, 0, v5, s[8:9]
	v_cndmask_b32_e64 v4, 0, v4, s[8:9]
	v_cmp_ne_u32_e64 s[60:61], 0, v9
	v_and_b32_sdwa v9, v127, s3 dst_sel:DWORD dst_unused:UNUSED_PAD src0_sel:WORD_1 src1_sel:DWORD
	v_lshl_add_u64 v[4:5], v[4:5], 0, v[18:19]
	v_cmp_eq_u16_sdwa s[10:11], v123, v8 src0_sel:BYTE_0 src1_sel:DWORD
	v_cmp_eq_u16_e64 s[16:17], 0, v9
	v_and_b32_e32 v9, 0x10000, v127
	v_cndmask_b32_e64 v5, 0, v5, s[10:11]
	v_cndmask_b32_e64 v4, 0, v4, s[10:11]
	v_cmp_ne_u32_e64 s[62:63], 0, v9
	v_and_b32_e32 v9, 0x1000000, v127
	v_lshl_add_u64 v[4:5], v[4:5], 0, v[34:35]
	v_cmp_eq_u16_sdwa s[12:13], v127, v8 src0_sel:BYTE_0 src1_sel:DWORD
	v_cmp_ne_u32_e64 s[66:67], 0, v9
	v_and_b32_e32 v9, 1, v126
	v_cndmask_b32_e64 v5, 0, v5, s[12:13]
	v_cndmask_b32_e64 v4, 0, v4, s[12:13]
	v_cmp_eq_u32_e64 s[68:69], 1, v9
	v_and_b32_e32 v9, 0x100, v126
	v_lshl_add_u64 v[4:5], v[4:5], 0, v[22:23]
	v_cmp_eq_u16_sdwa s[14:15], v41, v8 src0_sel:BYTE_0 src1_sel:DWORD
	v_cmp_ne_u32_e64 s[70:71], 0, v9
	v_and_b32_sdwa v9, v126, s3 dst_sel:DWORD dst_unused:UNUSED_PAD src0_sel:WORD_1 src1_sel:DWORD
	v_cndmask_b32_e64 v5, 0, v5, s[14:15]
	v_cndmask_b32_e64 v4, 0, v4, s[14:15]
	v_cmp_eq_u16_e64 s[26:27], 0, v9
	v_and_b32_e32 v9, 0x10000, v126
	v_lshl_add_u64 v[4:5], v[4:5], 0, v[42:43]
	v_cmp_ne_u32_e64 s[72:73], 0, v9
	v_and_b32_e32 v9, 0x1000000, v126
	v_cndmask_b32_e64 v5, 0, v5, s[16:17]
	v_cndmask_b32_e64 v4, 0, v4, s[16:17]
	v_cmp_ne_u32_e64 s[74:75], 0, v9
	v_and_b32_e32 v9, 1, v125
	v_lshl_add_u64 v[4:5], v[4:5], 0, v[30:31]
	v_cmp_eq_u16_sdwa s[18:19], v127, v8 src0_sel:BYTE_3 src1_sel:DWORD
	v_cmp_eq_u32_e64 s[76:77], 1, v9
	v_and_b32_e32 v9, 0x100, v125
	v_cndmask_b32_e64 v5, 0, v5, s[18:19]
	v_cndmask_b32_e64 v4, 0, v4, s[18:19]
	v_cmp_ne_u32_e64 s[78:79], 0, v9
	v_and_b32_sdwa v9, v125, s3 dst_sel:DWORD dst_unused:UNUSED_PAD src0_sel:WORD_1 src1_sel:DWORD
	v_lshl_add_u64 v[4:5], v[4:5], 0, v[50:51]
	v_cmp_eq_u16_sdwa s[20:21], v124, v8 src0_sel:BYTE_0 src1_sel:DWORD
	v_cmp_eq_u16_e64 s[38:39], 0, v9
	v_and_b32_e32 v9, 0x10000, v125
	v_cndmask_b32_e64 v5, 0, v5, s[20:21]
	v_cndmask_b32_e64 v4, 0, v4, s[20:21]
	v_cmp_ne_u32_e64 s[80:81], 0, v9
	v_and_b32_e32 v9, 0x1000000, v125
	v_lshl_add_u64 v[4:5], v[4:5], 0, v[38:39]
	v_cmp_eq_u16_sdwa s[22:23], v126, v8 src0_sel:BYTE_0 src1_sel:DWORD
	v_cmp_ne_u32_e64 s[82:83], 0, v9
	s_or_b64 s[50:51], s[50:51], s[82:83]
	v_cndmask_b32_e64 v5, 0, v5, s[22:23]
	v_cndmask_b32_e64 v4, 0, v4, s[22:23]
	v_lshl_add_u64 v[4:5], v[4:5], 0, v[58:59]
	v_cmp_eq_u16_sdwa s[24:25], v40, v8 src0_sel:BYTE_0 src1_sel:DWORD
	s_or_b64 s[50:51], s[50:51], s[80:81]
	s_or_b64 s[50:51], s[50:51], s[78:79]
	v_cndmask_b32_e64 v5, 0, v5, s[24:25]
	v_cndmask_b32_e64 v4, 0, v4, s[24:25]
	v_lshl_add_u64 v[4:5], v[4:5], 0, v[46:47]
	s_or_b64 s[50:51], s[50:51], s[76:77]
	v_cndmask_b32_e64 v5, 0, v5, s[26:27]
	v_cndmask_b32_e64 v4, 0, v4, s[26:27]
	s_or_b64 s[46:47], s[50:51], s[46:47]
	v_lshl_add_u64 v[4:5], v[4:5], 0, v[66:67]
	v_cmp_eq_u16_sdwa s[28:29], v126, v8 src0_sel:BYTE_3 src1_sel:DWORD
	s_or_b64 s[46:47], s[46:47], s[74:75]
	s_or_b64 s[46:47], s[46:47], s[72:73]
	v_cndmask_b32_e64 v5, 0, v5, s[28:29]
	v_cndmask_b32_e64 v4, 0, v4, s[28:29]
	v_lshl_add_u64 v[4:5], v[4:5], 0, v[54:55]
	v_cmp_eq_u16_sdwa s[30:31], v122, v8 src0_sel:BYTE_0 src1_sel:DWORD
	s_or_b64 s[46:47], s[46:47], s[70:71]
	s_or_b64 s[46:47], s[46:47], s[68:69]
	v_cndmask_b32_e64 v5, 0, v5, s[30:31]
	v_cndmask_b32_e64 v4, 0, v4, s[30:31]
	v_lshl_add_u64 v[4:5], v[4:5], 0, v[74:75]
	v_cmp_eq_u16_sdwa s[34:35], v125, v8 src0_sel:BYTE_0 src1_sel:DWORD
	;; [unrolled: 6-line block ×3, first 2 shown]
	s_or_b64 s[44:45], s[44:45], s[62:63]
	s_or_b64 s[44:45], s[44:45], s[60:61]
	v_cndmask_b32_e64 v5, 0, v5, s[36:37]
	v_cndmask_b32_e64 v4, 0, v4, s[36:37]
	v_lshl_add_u64 v[4:5], v[4:5], 0, v[78:79]
	s_or_b64 s[44:45], s[44:45], s[58:59]
	v_cndmask_b32_e64 v5, 0, v5, s[38:39]
	v_cndmask_b32_e64 v4, 0, v4, s[38:39]
	s_or_b64 s[44:45], s[44:45], vcc
	v_lshl_add_u64 v[4:5], v[4:5], 0, v[70:71]
	v_cmp_eq_u16_sdwa s[40:41], v125, v8 src0_sel:BYTE_3 src1_sel:DWORD
	s_or_b64 s[44:45], s[44:45], s[56:57]
	s_or_b64 s[44:45], s[44:45], s[54:55]
	v_cndmask_b32_e64 v5, 0, v5, s[40:41]
	v_cndmask_b32_e64 v4, 0, v4, s[40:41]
	v_lshl_add_u64 v[4:5], v[4:5], 0, v[10:11]
	v_cmp_eq_u16_sdwa s[42:43], v28, v8 src0_sel:BYTE_0 src1_sel:DWORD
	s_or_b64 s[44:45], s[44:45], s[52:53]
	v_and_b32_e32 v12, 0xff, v1
	v_cndmask_b32_e64 v5, 0, v5, s[42:43]
	v_cndmask_b32_e64 v4, 0, v4, s[42:43]
	s_or_b64 s[44:45], s[44:45], s[48:49]
	v_mbcnt_hi_u32_b32 v52, -1, v29
	v_lshl_add_u64 v[8:9], v[4:5], 0, v[16:17]
	v_cndmask_b32_e64 v12, v12, 1, s[44:45]
	v_and_b32_e32 v4, 15, v52
	v_mov_b32_dpp v13, v8 row_shr:1 row_mask:0xf bank_mask:0xf
	v_mov_b32_dpp v20, v9 row_shr:1 row_mask:0xf bank_mask:0xf
	;; [unrolled: 1-line block ×3, first 2 shown]
	v_cmp_ne_u32_e32 vcc, 0, v4
	s_and_saveexec_b64 s[44:45], vcc
; %bb.125:
	v_cmp_eq_u32_e32 vcc, 0, v12
	v_and_or_b32 v12, v5, 1, v12
	s_nop 0
	v_cndmask_b32_e32 v21, 0, v20, vcc
	v_cndmask_b32_e32 v20, 0, v13, vcc
	v_lshl_add_u64 v[8:9], v[20:21], 0, v[8:9]
; %bb.126:
	s_or_b64 exec, exec, s[44:45]
	s_nop 0
	v_mov_b32_dpp v13, v8 row_shr:2 row_mask:0xf bank_mask:0xf
	v_mov_b32_dpp v20, v9 row_shr:2 row_mask:0xf bank_mask:0xf
	v_mov_b32_dpp v5, v12 row_shr:2 row_mask:0xf bank_mask:0xf
	v_cmp_lt_u32_e32 vcc, 1, v4
	s_and_saveexec_b64 s[44:45], vcc
; %bb.127:
	v_cmp_eq_u32_e32 vcc, 0, v12
	v_or_b32_e32 v5, v5, v12
	v_and_b32_e32 v12, 1, v5
	v_cndmask_b32_e32 v21, 0, v20, vcc
	v_cndmask_b32_e32 v20, 0, v13, vcc
	v_lshl_add_u64 v[8:9], v[20:21], 0, v[8:9]
; %bb.128:
	s_or_b64 exec, exec, s[44:45]
	s_nop 0
	v_mov_b32_dpp v13, v8 row_shr:4 row_mask:0xf bank_mask:0xf
	v_mov_b32_dpp v20, v9 row_shr:4 row_mask:0xf bank_mask:0xf
	v_mov_b32_dpp v5, v12 row_shr:4 row_mask:0xf bank_mask:0xf
	v_cmp_lt_u32_e32 vcc, 3, v4
	s_and_saveexec_b64 s[44:45], vcc
; %bb.129:
	v_cmp_eq_u32_e32 vcc, 0, v12
	v_or_b32_e32 v5, v5, v12
	v_and_b32_e32 v12, 1, v5
	;; [unrolled: 15-line block ×3, first 2 shown]
	v_cndmask_b32_e32 v21, 0, v20, vcc
	v_cndmask_b32_e32 v20, 0, v13, vcc
	v_lshl_add_u64 v[8:9], v[20:21], 0, v[8:9]
; %bb.132:
	s_or_b64 exec, exec, s[44:45]
	v_and_b32_e32 v20, 16, v52
	v_mov_b32_dpp v5, v8 row_bcast:15 row_mask:0xf bank_mask:0xf
	v_mov_b32_dpp v13, v9 row_bcast:15 row_mask:0xf bank_mask:0xf
	;; [unrolled: 1-line block ×3, first 2 shown]
	v_cmp_ne_u32_e32 vcc, 0, v20
	s_and_saveexec_b64 s[44:45], vcc
; %bb.133:
	v_cmp_eq_u32_e32 vcc, 0, v12
	v_or_b32_e32 v4, v4, v12
	v_and_b32_e32 v12, 1, v4
	v_cndmask_b32_e32 v21, 0, v13, vcc
	v_cndmask_b32_e32 v20, 0, v5, vcc
	v_lshl_add_u64 v[8:9], v[20:21], 0, v[8:9]
; %bb.134:
	s_or_b64 exec, exec, s[44:45]
	s_nop 0
	v_mov_b32_dpp v13, v8 row_bcast:31 row_mask:0xf bank_mask:0xf
	v_mov_b32_dpp v20, v9 row_bcast:31 row_mask:0xf bank_mask:0xf
	v_mov_b32_dpp v5, v12 row_bcast:31 row_mask:0xf bank_mask:0xf
	v_cmp_lt_u32_e32 vcc, 31, v52
	v_mov_b32_e32 v4, v12
	s_and_saveexec_b64 s[44:45], vcc
; %bb.135:
	v_cmp_eq_u32_e32 vcc, 0, v12
	v_or_b32_e32 v5, v5, v12
	v_and_b32_e32 v4, 1, v5
	v_cndmask_b32_e32 v21, 0, v20, vcc
	v_cndmask_b32_e32 v20, 0, v13, vcc
	v_lshl_add_u64 v[8:9], v[20:21], 0, v[8:9]
	v_and_b32_e32 v12, 1, v5
; %bb.136:
	s_or_b64 exec, exec, s[44:45]
	v_or_b32_e32 v5, 63, v0
	v_lshrrev_b32_e32 v13, 6, v0
	v_cmp_eq_u32_e32 vcc, v5, v0
	s_and_saveexec_b64 s[44:45], vcc
	s_cbranch_execz .LBB1178_138
; %bb.137:
	v_lshlrev_b32_e32 v5, 4, v13
	ds_write_b64 v5, v[8:9]
	ds_write_b8 v5, v4 offset:8
.LBB1178_138:
	s_or_b64 exec, exec, s[44:45]
	v_cmp_gt_u32_e32 vcc, 4, v0
	s_waitcnt lgkmcnt(0)
	s_barrier
	s_and_saveexec_b64 s[46:47], vcc
	s_cbranch_execz .LBB1178_144
; %bb.139:
	v_lshlrev_b32_e32 v20, 4, v0
	ds_read_b64 v[4:5], v20
	ds_read_b32 v21, v20 offset:8
	v_and_b32_e32 v24, 3, v52
	v_cmp_ne_u32_e32 vcc, 0, v24
	s_waitcnt lgkmcnt(1)
	v_mov_b32_dpp v48, v4 row_shr:1 row_mask:0xf bank_mask:0xf
	v_mov_b32_dpp v49, v5 row_shr:1 row_mask:0xf bank_mask:0xf
	s_waitcnt lgkmcnt(0)
	v_mov_b32_dpp v45, v21 row_shr:1 row_mask:0xf bank_mask:0xf
	v_mov_b32_e32 v25, v21
	v_mov_b32_e32 v44, v21
	s_and_saveexec_b64 s[44:45], vcc
; %bb.140:
	v_mov_b32_e32 v25, 0
	v_cmp_eq_u16_sdwa vcc, v21, v25 src0_sel:BYTE_0 src1_sel:DWORD
	v_or_b32_e32 v44, v45, v21
	v_and_b32_e32 v25, 1, v44
	v_cndmask_b32_e32 v49, 0, v49, vcc
	v_cndmask_b32_e32 v48, 0, v48, vcc
	v_and_b32_e32 v44, 1, v44
	s_movk_i32 s3, 0xff00
	v_lshl_add_u64 v[4:5], v[48:49], 0, v[4:5]
	v_and_or_b32 v21, v21, s3, v44
; %bb.141:
	s_or_b64 exec, exec, s[44:45]
	v_mov_b32_dpp v45, v4 row_shr:2 row_mask:0xf bank_mask:0xf
	v_mov_b32_dpp v48, v5 row_shr:2 row_mask:0xf bank_mask:0xf
	;; [unrolled: 1-line block ×3, first 2 shown]
	v_cmp_lt_u32_e32 vcc, 1, v24
	s_and_saveexec_b64 s[48:49], vcc
; %bb.142:
	v_mov_b32_e32 v24, 0
	v_cmp_eq_u16_sdwa vcc, v44, v24 src0_sel:BYTE_0 src1_sel:DWORD
	v_and_b32_e32 v21, 1, v21
	v_cmp_eq_u32_e64 s[44:45], 1, v21
	v_cndmask_b32_e32 v25, 0, v48, vcc
	v_cndmask_b32_e32 v24, 0, v45, vcc
	v_lshl_add_u64 v[4:5], v[24:25], 0, v[4:5]
	v_and_b32_e32 v24, 1, v44
	v_cmp_eq_u32_e32 vcc, 1, v24
	s_or_b64 s[44:45], vcc, s[44:45]
	v_cndmask_b32_e64 v25, 0, 1, s[44:45]
; %bb.143:
	s_or_b64 exec, exec, s[48:49]
	ds_write_b64 v20, v[4:5]
	ds_write_b8 v20, v25 offset:8
.LBB1178_144:
	s_or_b64 exec, exec, s[46:47]
	v_cmp_gt_u32_e32 vcc, 64, v0
	v_cmp_lt_u32_e64 s[44:45], 63, v0
	v_mov_b32_e32 v44, 0
	v_mov_b64_e32 v[4:5], 0
	s_waitcnt lgkmcnt(0)
	s_barrier
	s_and_saveexec_b64 s[46:47], s[44:45]
	s_cbranch_execz .LBB1178_146
; %bb.145:
	v_lshl_add_u32 v13, v13, 4, -16
	ds_read_b64 v[4:5], v13
	ds_read_u8 v44, v13 offset:8
	v_and_b32_e32 v20, 1, v12
	v_cmp_eq_u32_e64 s[44:45], 0, v12
	s_waitcnt lgkmcnt(1)
	s_nop 0
	v_cndmask_b32_e64 v13, 0, v5, s[44:45]
	v_cndmask_b32_e64 v12, 0, v4, s[44:45]
	v_cmp_eq_u32_e64 s[44:45], 1, v20
	v_lshl_add_u64 v[8:9], v[12:13], 0, v[8:9]
	s_waitcnt lgkmcnt(0)
	v_cndmask_b32_e64 v12, v44, 1, s[44:45]
.LBB1178_146:
	s_or_b64 exec, exec, s[46:47]
	v_add_u32_e32 v13, -1, v52
	v_and_b32_e32 v20, 64, v52
	v_cmp_lt_i32_e64 s[44:45], v13, v20
	s_nop 1
	v_cndmask_b32_e64 v13, v13, v52, s[44:45]
	v_lshlrev_b32_e32 v13, 2, v13
	ds_bpermute_b32 v45, v13, v8
	ds_bpermute_b32 v48, v13, v9
	ds_bpermute_b32 v49, v13, v12
	v_cmp_eq_u32_e64 s[44:45], 0, v52
	s_and_saveexec_b64 s[48:49], vcc
	s_cbranch_execz .LBB1178_189
; %bb.147:
	v_mov_b32_e32 v13, 0
	ds_read2_b64 v[80:83], v13 offset0:6 offset1:7
	s_and_saveexec_b64 s[46:47], s[44:45]
	s_cbranch_execz .LBB1178_149
; %bb.148:
	s_add_i32 s50, s2, 64
	s_mov_b32 s51, 0
	s_lshl_b64 s[52:53], s[50:51], 4
	s_add_u32 s52, s84, s52
	s_addc_u32 s53, s85, s53
	v_mov_b32_e32 v8, s50
	v_mov_b32_e32 v9, 1
	s_waitcnt lgkmcnt(0)
	global_store_dword v13, v80, s[52:53] sc1
	global_store_dword v13, v81, s[52:53] offset:4 sc1
	global_store_dword v13, v82, s[52:53] offset:8 sc1
	;; [unrolled: 1-line block ×3, first 2 shown]
	s_waitcnt vmcnt(0)
	global_store_byte v8, v9, s[88:89] sc1
.LBB1178_149:
	s_or_b64 exec, exec, s[46:47]
	v_xad_u32 v8, v52, -1, s2
	v_add_u32_e32 v12, 64, v8
	global_load_ubyte v53, v12, s[88:89] sc1
	s_waitcnt vmcnt(0)
	v_cmp_eq_u16_e32 vcc, 0, v53
	s_and_saveexec_b64 s[46:47], vcc
	s_cbranch_execz .LBB1178_153
; %bb.150:
	v_lshl_add_u64 v[20:21], s[88:89], 0, v[12:13]
	s_mov_b64 s[50:51], 0
.LBB1178_151:                           ; =>This Inner Loop Header: Depth=1
	global_load_ubyte v53, v[20:21], off sc1
	s_waitcnt vmcnt(0)
	v_cmp_ne_u16_e32 vcc, 0, v53
	s_or_b64 s[50:51], vcc, s[50:51]
	s_andn2_b64 exec, exec, s[50:51]
	s_cbranch_execnz .LBB1178_151
; %bb.152:
	s_or_b64 exec, exec, s[50:51]
.LBB1178_153:
	s_or_b64 exec, exec, s[46:47]
	v_mov_b32_e32 v9, s87
	v_mov_b32_e32 v20, s85
	v_cmp_eq_u16_e32 vcc, 1, v53
	s_waitcnt vmcnt(0) lgkmcnt(0)
	s_nop 0
	v_cndmask_b32_e32 v21, v9, v20, vcc
	v_mov_b32_e32 v9, s86
	v_mov_b32_e32 v20, s84
	v_cndmask_b32_e32 v20, v9, v20, vcc
	v_lshl_add_u64 v[12:13], v[12:13], 4, v[20:21]
	global_load_dword v24, v[12:13], off sc1
	global_load_dword v25, v[12:13], off offset:4 sc1
	global_load_dword v84, v[12:13], off offset:8 sc1
	;; [unrolled: 1-line block ×3, first 2 shown]
	v_cmp_eq_u16_e32 vcc, 2, v53
	v_lshlrev_b64 v[12:13], v52, -1
	v_and_b32_e32 v56, 63, v52
	s_waitcnt vmcnt(0)
	v_and_b32_e32 v9, vcc_hi, v13
	v_and_b32_e32 v64, vcc_lo, v12
	v_cmp_ne_u32_e32 vcc, 63, v56
	v_or_b32_e32 v9, 0x80000000, v9
	v_ffbl_b32_e32 v9, v9
	v_addc_co_u32_e32 v20, vcc, 0, v52, vcc
	v_lshlrev_b32_e32 v57, 2, v20
	v_add_u32_e32 v9, 32, v9
	v_ffbl_b32_e32 v64, v64
	v_min_u32_e32 v9, v64, v9
	v_cmp_lt_u32_e32 vcc, v56, v9
	ds_bpermute_b32 v60, v57, v24
	ds_bpermute_b32 v61, v57, v25
	v_and_b32_e32 v20, 0xff, v84
	ds_bpermute_b32 v21, v57, v20
	s_and_saveexec_b64 s[46:47], vcc
	s_cbranch_execz .LBB1178_155
; %bb.154:
	v_mov_b32_e32 v20, 0
	v_cmp_eq_u16_sdwa vcc, v84, v20 src0_sel:BYTE_0 src1_sel:DWORD
	s_waitcnt lgkmcnt(0)
	v_or_b32_e32 v20, v21, v84
	v_and_b32_e32 v84, 1, v20
	v_cndmask_b32_e32 v61, 0, v61, vcc
	v_cndmask_b32_e32 v60, 0, v60, vcc
	v_lshl_add_u64 v[24:25], v[60:61], 0, v[24:25]
	v_and_b32_e32 v20, 1, v20
.LBB1178_155:
	s_or_b64 exec, exec, s[46:47]
	v_cmp_gt_u32_e32 vcc, 62, v56
	s_waitcnt lgkmcnt(1)
	v_add_u32_e32 v61, 2, v56
	s_waitcnt lgkmcnt(0)
	v_cndmask_b32_e64 v21, 0, 1, vcc
	v_lshlrev_b32_e32 v21, 1, v21
	v_add_lshl_u32 v60, v21, v52, 2
	ds_bpermute_b32 v64, v60, v24
	ds_bpermute_b32 v65, v60, v25
	ds_bpermute_b32 v21, v60, v20
	v_cmp_le_u32_e32 vcc, v61, v9
	s_and_saveexec_b64 s[50:51], vcc
	s_cbranch_execz .LBB1178_157
; %bb.156:
	v_mov_b32_e32 v20, 0
	v_cmp_eq_u16_sdwa vcc, v84, v20 src0_sel:BYTE_0 src1_sel:DWORD
	v_and_b32_e32 v20, 1, v84
	s_waitcnt lgkmcnt(1)
	v_cndmask_b32_e32 v65, 0, v65, vcc
	v_cndmask_b32_e32 v64, 0, v64, vcc
	v_cmp_eq_u32_e32 vcc, 1, v20
	s_waitcnt lgkmcnt(0)
	v_and_b32_e32 v20, 1, v21
	v_cmp_eq_u32_e64 s[46:47], 1, v20
	s_or_b64 s[46:47], vcc, s[46:47]
	v_lshl_add_u64 v[24:25], v[64:65], 0, v[24:25]
	v_cndmask_b32_e64 v84, 0, 1, s[46:47]
	v_cndmask_b32_e64 v20, 0, 1, s[46:47]
.LBB1178_157:
	s_or_b64 exec, exec, s[50:51]
	v_cmp_gt_u32_e32 vcc, 60, v56
	s_waitcnt lgkmcnt(1)
	v_add_u32_e32 v65, 4, v56
	s_waitcnt lgkmcnt(0)
	v_cndmask_b32_e64 v21, 0, 1, vcc
	v_lshlrev_b32_e32 v21, 2, v21
	v_add_lshl_u32 v64, v21, v52, 2
	ds_bpermute_b32 v68, v64, v24
	ds_bpermute_b32 v69, v64, v25
	ds_bpermute_b32 v21, v64, v20
	v_cmp_le_u32_e32 vcc, v65, v9
	s_and_saveexec_b64 s[50:51], vcc
	s_cbranch_execz .LBB1178_159
; %bb.158:
	v_mov_b32_e32 v20, 0
	v_cmp_eq_u16_sdwa vcc, v84, v20 src0_sel:BYTE_0 src1_sel:DWORD
	v_and_b32_e32 v20, 1, v84
	s_waitcnt lgkmcnt(1)
	v_cndmask_b32_e32 v69, 0, v69, vcc
	v_cndmask_b32_e32 v68, 0, v68, vcc
	v_cmp_eq_u32_e32 vcc, 1, v20
	s_waitcnt lgkmcnt(0)
	v_and_b32_e32 v20, 1, v21
	v_cmp_eq_u32_e64 s[46:47], 1, v20
	s_or_b64 s[46:47], vcc, s[46:47]
	v_lshl_add_u64 v[24:25], v[68:69], 0, v[24:25]
	v_cndmask_b32_e64 v84, 0, 1, s[46:47]
	v_cndmask_b32_e64 v20, 0, 1, s[46:47]
.LBB1178_159:
	;; [unrolled: 30-line block ×4, first 2 shown]
	s_or_b64 exec, exec, s[50:51]
	v_cmp_gt_u32_e32 vcc, 32, v56
	s_waitcnt lgkmcnt(1)
	v_add_u32_e32 v77, 32, v56
	s_waitcnt lgkmcnt(0)
	v_cndmask_b32_e64 v21, 0, 1, vcc
	v_lshlrev_b32_e32 v21, 5, v21
	v_add_lshl_u32 v76, v21, v52, 2
	ds_bpermute_b32 v21, v76, v24
	ds_bpermute_b32 v52, v76, v25
	;; [unrolled: 1-line block ×3, first 2 shown]
	v_cmp_le_u32_e32 vcc, v77, v9
	s_and_saveexec_b64 s[50:51], vcc
	s_cbranch_execz .LBB1178_165
; %bb.164:
	v_mov_b32_e32 v9, 0
	v_cmp_eq_u16_sdwa vcc, v84, v9 src0_sel:BYTE_0 src1_sel:DWORD
	v_and_b32_e32 v9, 1, v84
	s_waitcnt lgkmcnt(1)
	v_cndmask_b32_e32 v87, 0, v52, vcc
	v_cndmask_b32_e32 v86, 0, v21, vcc
	v_cmp_eq_u32_e32 vcc, 1, v9
	s_waitcnt lgkmcnt(0)
	v_and_b32_e32 v9, 1, v20
	v_cmp_eq_u32_e64 s[46:47], 1, v9
	s_or_b64 s[46:47], vcc, s[46:47]
	v_lshl_add_u64 v[24:25], v[86:87], 0, v[24:25]
	v_cndmask_b32_e64 v84, 0, 1, s[46:47]
.LBB1178_165:
	s_or_b64 exec, exec, s[50:51]
	v_mov_b32_e32 v9, 0
	v_mov_b32_e32 v83, 2
	s_branch .LBB1178_167
.LBB1178_166:                           ;   in Loop: Header=BB1178_167 Depth=1
	s_or_b64 exec, exec, s[52:53]
	v_cmp_eq_u16_sdwa vcc, v52, v9 src0_sel:BYTE_0 src1_sel:DWORD
	v_and_b32_e32 v84, 1, v52
	v_subrev_u32_e32 v8, 64, v8
	v_cndmask_b32_e32 v25, 0, v25, vcc
	v_cndmask_b32_e32 v24, 0, v24, vcc
	v_cmp_eq_u32_e32 vcc, 1, v84
	s_or_b64 s[46:47], vcc, s[50:51]
	v_lshl_add_u64 v[24:25], v[24:25], 0, v[20:21]
	v_cndmask_b32_e64 v84, 0, 1, s[46:47]
.LBB1178_167:                           ; =>This Loop Header: Depth=1
                                        ;     Child Loop BB1178_170 Depth 2
	v_cmp_ne_u16_sdwa s[46:47], v53, v83 src0_sel:BYTE_0 src1_sel:DWORD
	s_waitcnt lgkmcnt(1)
	v_mov_b32_e32 v52, v84
	s_waitcnt lgkmcnt(0)
	v_cndmask_b32_e64 v20, 0, 1, s[46:47]
	;;#ASMSTART
	;;#ASMEND
	s_nop 0
	v_cmp_ne_u32_e32 vcc, 0, v20
	s_cmp_lg_u64 vcc, exec
	v_mov_b64_e32 v[20:21], v[24:25]
	s_cbranch_scc1 .LBB1178_184
; %bb.168:                              ;   in Loop: Header=BB1178_167 Depth=1
	global_load_ubyte v53, v8, s[88:89] sc1
	s_waitcnt vmcnt(0)
	v_cmp_eq_u16_e32 vcc, 0, v53
	s_and_saveexec_b64 s[46:47], vcc
	s_cbranch_execz .LBB1178_172
; %bb.169:                              ;   in Loop: Header=BB1178_167 Depth=1
	v_lshl_add_u64 v[24:25], s[88:89], 0, v[8:9]
	s_mov_b64 s[50:51], 0
.LBB1178_170:                           ;   Parent Loop BB1178_167 Depth=1
                                        ; =>  This Inner Loop Header: Depth=2
	global_load_ubyte v53, v[24:25], off sc1
	s_waitcnt vmcnt(0)
	v_cmp_ne_u16_e32 vcc, 0, v53
	s_or_b64 s[50:51], vcc, s[50:51]
	s_andn2_b64 exec, exec, s[50:51]
	s_cbranch_execnz .LBB1178_170
; %bb.171:                              ;   in Loop: Header=BB1178_167 Depth=1
	s_or_b64 exec, exec, s[50:51]
.LBB1178_172:                           ;   in Loop: Header=BB1178_167 Depth=1
	s_or_b64 exec, exec, s[46:47]
	v_mov_b32_e32 v24, s87
	v_mov_b32_e32 v25, s85
	v_cmp_eq_u16_e32 vcc, 1, v53
	v_mov_b32_e32 v84, s84
	s_waitcnt vmcnt(0)
	v_cndmask_b32_e32 v25, v24, v25, vcc
	v_mov_b32_e32 v24, s86
	v_cndmask_b32_e32 v24, v24, v84, vcc
	v_lshl_add_u64 v[86:87], v[8:9], 4, v[24:25]
	global_load_dword v24, v[86:87], off sc1
	global_load_dword v25, v[86:87], off offset:4 sc1
	global_load_dword v84, v[86:87], off offset:8 sc1
	global_load_dword v85, v[86:87], off offset:12 sc1
	v_cmp_eq_u16_e32 vcc, 2, v53
	s_waitcnt vmcnt(3)
	ds_bpermute_b32 v88, v57, v24
	s_waitcnt vmcnt(0)
	v_and_b32_e32 v85, vcc_hi, v13
	v_and_b32_e32 v86, 0xff, v84
	v_or_b32_e32 v85, 0x80000000, v85
	ds_bpermute_b32 v89, v57, v25
	ds_bpermute_b32 v87, v57, v86
	v_and_b32_e32 v90, vcc_lo, v12
	v_ffbl_b32_e32 v85, v85
	v_add_u32_e32 v85, 32, v85
	v_ffbl_b32_e32 v90, v90
	v_min_u32_e32 v85, v90, v85
	v_cmp_lt_u32_e32 vcc, v56, v85
	s_and_saveexec_b64 s[46:47], vcc
	s_cbranch_execz .LBB1178_174
; %bb.173:                              ;   in Loop: Header=BB1178_167 Depth=1
	v_cmp_eq_u16_sdwa vcc, v84, v9 src0_sel:BYTE_0 src1_sel:DWORD
	s_waitcnt lgkmcnt(0)
	v_or_b32_e32 v86, v87, v84
	v_and_b32_e32 v84, 1, v86
	v_cndmask_b32_e32 v89, 0, v89, vcc
	v_cndmask_b32_e32 v88, 0, v88, vcc
	v_lshl_add_u64 v[24:25], v[88:89], 0, v[24:25]
	v_and_b32_e32 v86, 1, v86
.LBB1178_174:                           ;   in Loop: Header=BB1178_167 Depth=1
	s_or_b64 exec, exec, s[46:47]
	s_waitcnt lgkmcnt(2)
	ds_bpermute_b32 v88, v60, v24
	s_waitcnt lgkmcnt(2)
	ds_bpermute_b32 v89, v60, v25
	;; [unrolled: 2-line block ×3, first 2 shown]
	v_and_b32_e32 v90, 1, v84
	v_cmp_le_u32_e32 vcc, v61, v85
	v_cmp_eq_u32_e64 s[50:51], 1, v90
	s_and_saveexec_b64 s[46:47], vcc
	s_cbranch_execz .LBB1178_176
; %bb.175:                              ;   in Loop: Header=BB1178_167 Depth=1
	v_cmp_eq_u16_sdwa vcc, v84, v9 src0_sel:BYTE_0 src1_sel:DWORD
	s_waitcnt lgkmcnt(0)
	v_and_b32_e32 v84, 1, v87
	v_cndmask_b32_e32 v89, 0, v89, vcc
	v_cndmask_b32_e32 v88, 0, v88, vcc
	v_cmp_eq_u32_e32 vcc, 1, v84
	s_or_b64 s[52:53], s[50:51], vcc
	v_cndmask_b32_e64 v84, 0, 1, s[52:53]
	v_cndmask_b32_e64 v86, 0, 1, s[52:53]
	s_andn2_b64 s[50:51], s[50:51], exec
	s_and_b64 s[52:53], s[52:53], exec
	v_lshl_add_u64 v[24:25], v[88:89], 0, v[24:25]
	s_or_b64 s[50:51], s[50:51], s[52:53]
.LBB1178_176:                           ;   in Loop: Header=BB1178_167 Depth=1
	s_or_b64 exec, exec, s[46:47]
	s_waitcnt lgkmcnt(2)
	ds_bpermute_b32 v88, v64, v24
	s_waitcnt lgkmcnt(2)
	ds_bpermute_b32 v89, v64, v25
	s_waitcnt lgkmcnt(2)
	ds_bpermute_b32 v87, v64, v86
	v_cmp_le_u32_e32 vcc, v65, v85
	s_and_saveexec_b64 s[52:53], vcc
	s_cbranch_execz .LBB1178_178
; %bb.177:                              ;   in Loop: Header=BB1178_167 Depth=1
	v_cmp_eq_u16_sdwa vcc, v84, v9 src0_sel:BYTE_0 src1_sel:DWORD
	v_and_b32_e32 v84, 1, v84
	s_andn2_b64 s[50:51], s[50:51], exec
	s_waitcnt lgkmcnt(1)
	v_cndmask_b32_e32 v89, 0, v89, vcc
	v_cndmask_b32_e32 v88, 0, v88, vcc
	v_cmp_eq_u32_e32 vcc, 1, v84
	s_waitcnt lgkmcnt(0)
	v_and_b32_e32 v84, 1, v87
	v_cmp_eq_u32_e64 s[46:47], 1, v84
	s_or_b64 s[46:47], vcc, s[46:47]
	v_lshl_add_u64 v[24:25], v[88:89], 0, v[24:25]
	v_cndmask_b32_e64 v84, 0, 1, s[46:47]
	v_cndmask_b32_e64 v86, 0, 1, s[46:47]
	s_and_b64 s[46:47], s[46:47], exec
	s_or_b64 s[50:51], s[50:51], s[46:47]
.LBB1178_178:                           ;   in Loop: Header=BB1178_167 Depth=1
	s_or_b64 exec, exec, s[52:53]
	s_waitcnt lgkmcnt(2)
	ds_bpermute_b32 v88, v68, v24
	s_waitcnt lgkmcnt(2)
	ds_bpermute_b32 v89, v68, v25
	s_waitcnt lgkmcnt(2)
	ds_bpermute_b32 v87, v68, v86
	v_cmp_le_u32_e32 vcc, v69, v85
	s_and_saveexec_b64 s[52:53], vcc
	s_cbranch_execz .LBB1178_180
; %bb.179:                              ;   in Loop: Header=BB1178_167 Depth=1
	v_cmp_eq_u16_sdwa vcc, v84, v9 src0_sel:BYTE_0 src1_sel:DWORD
	v_and_b32_e32 v84, 1, v84
	s_andn2_b64 s[50:51], s[50:51], exec
	s_waitcnt lgkmcnt(1)
	v_cndmask_b32_e32 v89, 0, v89, vcc
	v_cndmask_b32_e32 v88, 0, v88, vcc
	v_cmp_eq_u32_e32 vcc, 1, v84
	s_waitcnt lgkmcnt(0)
	v_and_b32_e32 v84, 1, v87
	v_cmp_eq_u32_e64 s[46:47], 1, v84
	s_or_b64 s[46:47], vcc, s[46:47]
	v_lshl_add_u64 v[24:25], v[88:89], 0, v[24:25]
	v_cndmask_b32_e64 v84, 0, 1, s[46:47]
	v_cndmask_b32_e64 v86, 0, 1, s[46:47]
	s_and_b64 s[46:47], s[46:47], exec
	s_or_b64 s[50:51], s[50:51], s[46:47]
.LBB1178_180:                           ;   in Loop: Header=BB1178_167 Depth=1
	;; [unrolled: 28-line block ×3, first 2 shown]
	s_or_b64 exec, exec, s[52:53]
	s_waitcnt lgkmcnt(0)
	ds_bpermute_b32 v87, v76, v24
	ds_bpermute_b32 v88, v76, v25
	;; [unrolled: 1-line block ×3, first 2 shown]
	v_cmp_le_u32_e32 vcc, v77, v85
	s_and_saveexec_b64 s[52:53], vcc
	s_cbranch_execz .LBB1178_166
; %bb.183:                              ;   in Loop: Header=BB1178_167 Depth=1
	v_cmp_eq_u16_sdwa vcc, v84, v9 src0_sel:BYTE_0 src1_sel:DWORD
	v_and_b32_e32 v84, 1, v84
	s_andn2_b64 s[50:51], s[50:51], exec
	s_waitcnt lgkmcnt(1)
	v_cndmask_b32_e32 v89, 0, v88, vcc
	v_cndmask_b32_e32 v88, 0, v87, vcc
	v_cmp_eq_u32_e32 vcc, 1, v84
	s_waitcnt lgkmcnt(0)
	v_and_b32_e32 v84, 1, v86
	v_cmp_eq_u32_e64 s[46:47], 1, v84
	s_or_b64 s[46:47], vcc, s[46:47]
	s_and_b64 s[46:47], s[46:47], exec
	v_lshl_add_u64 v[24:25], v[88:89], 0, v[24:25]
	s_or_b64 s[50:51], s[50:51], s[46:47]
	s_branch .LBB1178_166
.LBB1178_184:                           ;   in Loop: Header=BB1178_167 Depth=1
                                        ; implicit-def: $vgpr84
                                        ; implicit-def: $vgpr24_vgpr25
                                        ; implicit-def: $vgpr53
	s_cbranch_execz .LBB1178_167
; %bb.185:
	s_and_saveexec_b64 s[46:47], s[44:45]
	s_cbranch_execz .LBB1178_187
; %bb.186:
	s_mov_b32 s3, 0
	v_mov_b32_e32 v12, 0
	s_add_i32 s2, s2, 64
	v_cmp_eq_u32_sdwa vcc, v82, v12 src0_sel:BYTE_0 src1_sel:DWORD
	s_lshl_b64 s[50:51], s[2:3], 4
	v_and_b32_e32 v13, 1, v82
	v_cndmask_b32_e32 v9, 0, v21, vcc
	v_cndmask_b32_e32 v8, 0, v20, vcc
	s_add_u32 s50, s86, s50
	v_lshl_add_u64 v[8:9], v[8:9], 0, v[80:81]
	v_and_b32_e32 v24, 1, v52
	v_cmp_eq_u32_e32 vcc, 1, v13
	s_addc_u32 s51, s87, s51
	s_nop 0
	v_cndmask_b32_e64 v13, v24, 1, vcc
	global_store_dword v12, v8, s[50:51] sc1
	global_store_dword v12, v9, s[50:51] offset:4 sc1
	global_store_dword v12, v13, s[50:51] offset:8 sc1
	;; [unrolled: 1-line block ×3, first 2 shown]
	v_mov_b32_e32 v8, s2
	v_mov_b32_e32 v9, 2
	s_waitcnt vmcnt(0) lgkmcnt(0)
	global_store_byte v8, v9, s[88:89] sc1
.LBB1178_187:
	s_or_b64 exec, exec, s[46:47]
	v_cmp_eq_u32_e32 vcc, 0, v0
	s_and_b64 exec, exec, vcc
	s_cbranch_execz .LBB1178_189
; %bb.188:
	v_mov_b32_e32 v8, 0
	ds_write_b64 v8, v[20:21] offset:48
	ds_write_b8 v8, v52 offset:56
.LBB1178_189:
	s_or_b64 exec, exec, s[48:49]
	s_waitcnt lgkmcnt(0)
	v_cndmask_b32_e64 v8, v49, v44, s[44:45]
	v_mov_b32_e32 v13, 0
	v_cndmask_b32_e64 v9, v48, v5, s[44:45]
	v_cndmask_b32_e64 v12, v45, v4, s[44:45]
	v_cmp_eq_u16_sdwa vcc, v1, v13 src0_sel:BYTE_0 src1_sel:DWORD
	v_and_b32_e32 v20, 1, v1
	v_and_b32_e32 v8, 1, v8
	s_barrier
	ds_read_b64 v[4:5], v13 offset:48
	v_cndmask_b32_e32 v12, 0, v12, vcc
	v_cndmask_b32_e32 v9, 0, v9, vcc
	v_cmp_eq_u32_e32 vcc, 1, v20
	v_cmp_eq_u32_e64 s[2:3], 1, v8
	s_or_b64 s[2:3], vcc, s[2:3]
	v_cmp_eq_u32_e32 vcc, 0, v0
	v_cndmask_b32_e64 v8, 0, 1, s[2:3]
	s_nop 0
	v_cndmask_b32_e32 v20, v8, v1, vcc
	v_cndmask_b32_e64 v9, v9, 0, vcc
	v_cndmask_b32_e64 v8, v12, 0, vcc
	v_cmp_eq_u16_sdwa vcc, v20, v13 src0_sel:BYTE_0 src1_sel:DWORD
	v_lshl_add_u64 v[8:9], v[8:9], 0, v[2:3]
	s_waitcnt lgkmcnt(0)
	v_cndmask_b32_e32 v5, 0, v5, vcc
	v_cndmask_b32_e32 v4, 0, v4, vcc
	v_lshl_add_u64 v[114:115], v[8:9], 0, v[4:5]
	v_cndmask_b32_e64 v5, 0, v115, s[64:65]
	v_cndmask_b32_e64 v4, 0, v114, s[64:65]
	v_lshl_add_u64 v[44:45], v[4:5], 0, v[14:15]
	v_cndmask_b32_e64 v5, 0, v45, s[4:5]
	v_cndmask_b32_e64 v4, 0, v44, s[4:5]
	;; [unrolled: 3-line block ×20, first 2 shown]
	v_lshl_add_u64 v[120:121], v[4:5], 0, v[16:17]
	s_branch .LBB1178_220
.LBB1178_190:
                                        ; implicit-def: $vgpr112_vgpr113_vgpr114_vgpr115
                                        ; implicit-def: $vgpr120_vgpr121
                                        ; implicit-def: $vgpr118_vgpr119
                                        ; implicit-def: $vgpr76_vgpr77
                                        ; implicit-def: $vgpr72_vgpr73
                                        ; implicit-def: $vgpr68_vgpr69
                                        ; implicit-def: $vgpr64_vgpr65
                                        ; implicit-def: $vgpr60_vgpr61
                                        ; implicit-def: $vgpr56_vgpr57
                                        ; implicit-def: $vgpr52_vgpr53
                                        ; implicit-def: $vgpr48_vgpr49
                                        ; implicit-def: $vgpr44_vgpr45
                                        ; implicit-def: $vgpr108_vgpr109_vgpr110_vgpr111
                                        ; implicit-def: $vgpr104_vgpr105_vgpr106_vgpr107
                                        ; implicit-def: $vgpr100_vgpr101_vgpr102_vgpr103
                                        ; implicit-def: $vgpr96_vgpr97_vgpr98_vgpr99
                                        ; implicit-def: $vgpr92_vgpr93_vgpr94_vgpr95
                                        ; implicit-def: $vgpr88_vgpr89_vgpr90_vgpr91
                                        ; implicit-def: $vgpr84_vgpr85_vgpr86_vgpr87
                                        ; implicit-def: $vgpr80_vgpr81_vgpr82_vgpr83
                                        ; implicit-def: $vgpr114_vgpr115_vgpr116_vgpr117
	s_cbranch_execz .LBB1178_220
; %bb.191:
	v_readlane_b32 s4, v131, 0
	v_readlane_b32 s6, v131, 2
	;; [unrolled: 1-line block ×3, first 2 shown]
	s_cmp_lg_u64 s[96:97], 0
	v_readlane_b32 s5, v131, 1
	s_mov_b64 s[2:3], s[6:7]
	s_cselect_b32 s5, s3, 0
	s_cselect_b32 s4, s2, 0
	s_cmp_lg_u64 s[4:5], 0
	v_readlane_b32 s8, v131, 4
	v_readlane_b32 s9, v131, 5
	s_cselect_b64 s[6:7], -1, 0
	v_cmp_eq_u32_e32 vcc, 0, v0
	v_cmp_ne_u32_e64 s[2:3], 0, v0
	s_and_b64 s[8:9], vcc, s[6:7]
	v_readlane_b32 s10, v131, 6
	v_readlane_b32 s11, v131, 7
	s_and_saveexec_b64 s[6:7], s[8:9]
	s_cbranch_execz .LBB1178_193
; %bb.192:
	v_mov_b32_e32 v8, 0
	global_load_dwordx2 v[4:5], v8, s[4:5]
	global_load_ubyte v9, v8, s[4:5] offset:8
	v_cmp_eq_u16_sdwa s[4:5], v1, v8 src0_sel:BYTE_0 src1_sel:DWORD
	s_waitcnt vmcnt(0)
	v_or_b32_e32 v1, v1, v9
	v_cndmask_b32_e64 v5, 0, v5, s[4:5]
	v_cndmask_b32_e64 v4, 0, v4, s[4:5]
	v_lshl_add_u64 v[2:3], v[4:5], 0, v[2:3]
	v_and_b32_e32 v1, 1, v1
.LBB1178_193:
	s_or_b64 exec, exec, s[6:7]
	v_mov_b32_e32 v9, 0
	v_cmp_eq_u16_sdwa s[4:5], v128, v9 src0_sel:BYTE_0 src1_sel:DWORD
	v_cmp_eq_u16_sdwa s[6:7], v130, v9 src0_sel:BYTE_0 src1_sel:DWORD
	s_movk_i32 s40, 0xff
	v_cndmask_b32_e64 v5, 0, v3, s[4:5]
	v_cndmask_b32_e64 v4, 0, v2, s[4:5]
	v_lshl_add_u64 v[44:45], v[4:5], 0, v[14:15]
	v_cndmask_b32_e64 v5, 0, v45, s[6:7]
	v_cndmask_b32_e64 v4, 0, v44, s[6:7]
	v_lshl_add_u64 v[80:81], v[4:5], 0, v[6:7]
	v_and_b32_sdwa v4, v128, s40 dst_sel:DWORD dst_unused:UNUSED_PAD src0_sel:WORD_1 src1_sel:DWORD
	v_cmp_eq_u16_e64 s[8:9], 0, v4
	v_cmp_eq_u16_sdwa s[10:11], v128, v9 src0_sel:BYTE_3 src1_sel:DWORD
	v_cmp_eq_u16_sdwa s[12:13], v123, v9 src0_sel:BYTE_0 src1_sel:DWORD
	v_cndmask_b32_e64 v5, 0, v81, s[8:9]
	v_cndmask_b32_e64 v4, 0, v80, s[8:9]
	v_lshl_add_u64 v[48:49], v[4:5], 0, v[26:27]
	v_cndmask_b32_e64 v5, 0, v49, s[10:11]
	v_cndmask_b32_e64 v4, 0, v48, s[10:11]
	v_lshl_add_u64 v[84:85], v[4:5], 0, v[18:19]
	;; [unrolled: 3-line block ×3, first 2 shown]
	v_cmp_eq_u16_sdwa s[14:15], v127, v9 src0_sel:BYTE_0 src1_sel:DWORD
	v_cmp_eq_u16_sdwa s[16:17], v41, v9 src0_sel:BYTE_0 src1_sel:DWORD
	v_cmp_eq_u16_sdwa s[20:21], v127, v9 src0_sel:BYTE_3 src1_sel:DWORD
	v_cndmask_b32_e64 v5, 0, v53, s[14:15]
	v_cndmask_b32_e64 v4, 0, v52, s[14:15]
	v_lshl_add_u64 v[88:89], v[4:5], 0, v[22:23]
	v_cndmask_b32_e64 v5, 0, v89, s[16:17]
	v_cndmask_b32_e64 v4, 0, v88, s[16:17]
	v_lshl_add_u64 v[56:57], v[4:5], 0, v[42:43]
	v_and_b32_sdwa v4, v127, s40 dst_sel:DWORD dst_unused:UNUSED_PAD src0_sel:WORD_1 src1_sel:DWORD
	v_cmp_eq_u16_e64 s[18:19], 0, v4
	v_cmp_eq_u16_sdwa s[22:23], v124, v9 src0_sel:BYTE_0 src1_sel:DWORD
	v_cmp_eq_u16_sdwa s[24:25], v126, v9 src0_sel:BYTE_0 src1_sel:DWORD
	v_cndmask_b32_e64 v5, 0, v57, s[18:19]
	v_cndmask_b32_e64 v4, 0, v56, s[18:19]
	v_lshl_add_u64 v[92:93], v[4:5], 0, v[30:31]
	v_cndmask_b32_e64 v5, 0, v93, s[20:21]
	v_cndmask_b32_e64 v4, 0, v92, s[20:21]
	v_lshl_add_u64 v[60:61], v[4:5], 0, v[50:51]
	;; [unrolled: 3-line block ×4, first 2 shown]
	v_cmp_eq_u16_sdwa s[26:27], v40, v9 src0_sel:BYTE_0 src1_sel:DWORD
	v_cmp_eq_u16_sdwa s[30:31], v126, v9 src0_sel:BYTE_3 src1_sel:DWORD
	v_cmp_eq_u16_sdwa s[34:35], v122, v9 src0_sel:BYTE_0 src1_sel:DWORD
	v_cndmask_b32_e64 v5, 0, v65, s[26:27]
	v_cndmask_b32_e64 v4, 0, v64, s[26:27]
	v_lshl_add_u64 v[100:101], v[4:5], 0, v[46:47]
	v_and_b32_sdwa v4, v126, s40 dst_sel:DWORD dst_unused:UNUSED_PAD src0_sel:WORD_1 src1_sel:DWORD
	v_cmp_eq_u16_e64 s[28:29], 0, v4
	v_cmp_eq_u16_sdwa s[36:37], v125, v9 src0_sel:BYTE_0 src1_sel:DWORD
	v_cmp_eq_u16_sdwa s[38:39], v36, v9 src0_sel:BYTE_0 src1_sel:DWORD
	v_cndmask_b32_e64 v5, 0, v101, s[28:29]
	v_cndmask_b32_e64 v4, 0, v100, s[28:29]
	v_lshl_add_u64 v[68:69], v[4:5], 0, v[66:67]
	v_cndmask_b32_e64 v5, 0, v69, s[30:31]
	v_cndmask_b32_e64 v4, 0, v68, s[30:31]
	v_lshl_add_u64 v[104:105], v[4:5], 0, v[54:55]
	;; [unrolled: 3-line block ×5, first 2 shown]
	v_and_b32_sdwa v4, v125, s40 dst_sel:DWORD dst_unused:UNUSED_PAD src0_sel:WORD_1 src1_sel:DWORD
	v_cmp_eq_u16_e64 s[40:41], 0, v4
	v_cmp_eq_u16_sdwa s[42:43], v125, v9 src0_sel:BYTE_3 src1_sel:DWORD
	v_cmp_eq_u16_sdwa s[44:45], v28, v9 src0_sel:BYTE_0 src1_sel:DWORD
	v_cndmask_b32_e64 v5, 0, v77, s[40:41]
	v_cndmask_b32_e64 v4, 0, v76, s[40:41]
	v_lshl_add_u64 v[112:113], v[4:5], 0, v[70:71]
	v_cndmask_b32_e64 v5, 0, v113, s[42:43]
	v_cndmask_b32_e64 v4, 0, v112, s[42:43]
	v_lshl_add_u64 v[118:119], v[4:5], 0, v[10:11]
	v_cndmask_b32_e64 v5, 0, v119, s[44:45]
	v_cndmask_b32_e64 v4, 0, v118, s[44:45]
	v_lshl_add_u64 v[120:121], v[4:5], 0, v[16:17]
	v_or_b32_e32 v4, v125, v126
	v_or3_b32 v4, v4, v127, v128
	v_lshrrev_b16_e32 v9, 7, v4
	v_and_b32_e32 v5, 1, v4
	v_and_b32_e32 v9, 2, v9
	v_or_b32_e32 v5, v5, v9
	v_lshrrev_b32_e32 v9, 23, v4
	v_mov_b32_e32 v12, 1
	v_and_b32_e32 v9, 2, v9
	v_and_b32_sdwa v4, v4, v12 dst_sel:DWORD dst_unused:UNUSED_PAD src0_sel:WORD_1 src1_sel:DWORD
	v_or_b32_e32 v4, v4, v9
	v_lshlrev_b16_e32 v4, 2, v4
	v_or_b32_e32 v4, v5, v4
	v_cmp_eq_u32_e64 s[52:53], 1, v32
	v_cmp_ne_u16_e64 s[54:55], 0, v4
	v_cmp_eq_u32_e64 s[50:51], 1, v33
	s_or_b64 s[52:53], s[54:55], s[52:53]
	v_cmp_eq_u32_e64 s[48:49], 1, v37
	s_or_b64 s[50:51], s[52:53], s[50:51]
	v_cmp_eq_u32_e64 s[46:47], 1, v129
	s_or_b64 s[48:49], s[50:51], s[48:49]
	v_and_b32_e32 v8, 0xff, v1
	s_or_b64 s[46:47], s[48:49], s[46:47]
	v_mbcnt_hi_u32_b32 v12, -1, v29
	v_cndmask_b32_e64 v13, v8, 1, s[46:47]
	v_and_b32_e32 v20, 15, v12
	v_mov_b32_dpp v24, v120 row_shr:1 row_mask:0xf bank_mask:0xf
	v_mov_b32_dpp v25, v121 row_shr:1 row_mask:0xf bank_mask:0xf
	;; [unrolled: 1-line block ×3, first 2 shown]
	v_cmp_ne_u32_e64 s[46:47], 0, v20
	v_mov_b64_e32 v[4:5], v[120:121]
	v_mov_b32_e32 v9, v121
	v_mov_b32_e32 v8, v120
	s_and_saveexec_b64 s[48:49], s[46:47]
; %bb.194:
	v_cmp_eq_u32_e64 s[46:47], 0, v13
	v_and_or_b32 v13, v21, 1, v13
	s_nop 0
	v_cndmask_b32_e64 v5, 0, v25, s[46:47]
	v_cndmask_b32_e64 v4, 0, v24, s[46:47]
	v_lshl_add_u64 v[4:5], v[120:121], 0, v[4:5]
	v_mov_b32_e32 v9, v5
	v_mov_b32_e32 v8, v4
; %bb.195:
	s_or_b64 exec, exec, s[48:49]
	s_nop 0
	v_mov_b32_dpp v24, v8 row_shr:2 row_mask:0xf bank_mask:0xf
	v_mov_b32_dpp v25, v9 row_shr:2 row_mask:0xf bank_mask:0xf
	v_mov_b32_dpp v21, v13 row_shr:2 row_mask:0xf bank_mask:0xf
	v_cmp_lt_u32_e64 s[46:47], 1, v20
	s_and_saveexec_b64 s[48:49], s[46:47]
; %bb.196:
	v_cmp_eq_u32_e64 s[46:47], 0, v13
	s_nop 1
	v_cndmask_b32_e64 v9, 0, v25, s[46:47]
	v_cndmask_b32_e64 v8, 0, v24, s[46:47]
	v_lshl_add_u64 v[8:9], v[8:9], 0, v[4:5]
	v_or_b32_e32 v4, v21, v13
	v_and_b32_e32 v13, 1, v4
	v_mov_b64_e32 v[4:5], v[8:9]
; %bb.197:
	s_or_b64 exec, exec, s[48:49]
	v_mov_b32_dpp v24, v8 row_shr:4 row_mask:0xf bank_mask:0xf
	v_mov_b32_dpp v25, v9 row_shr:4 row_mask:0xf bank_mask:0xf
	v_mov_b32_dpp v21, v13 row_shr:4 row_mask:0xf bank_mask:0xf
	v_cmp_lt_u32_e64 s[46:47], 3, v20
	s_and_saveexec_b64 s[48:49], s[46:47]
; %bb.198:
	v_cmp_eq_u32_e64 s[46:47], 0, v13
	s_nop 1
	v_cndmask_b32_e64 v9, 0, v25, s[46:47]
	v_cndmask_b32_e64 v8, 0, v24, s[46:47]
	v_lshl_add_u64 v[8:9], v[8:9], 0, v[4:5]
	v_or_b32_e32 v4, v21, v13
	v_and_b32_e32 v13, 1, v4
	v_mov_b64_e32 v[4:5], v[8:9]
; %bb.199:
	s_or_b64 exec, exec, s[48:49]
	;; [unrolled: 16-line block ×3, first 2 shown]
	v_and_b32_e32 v25, 16, v12
	v_mov_b32_dpp v21, v8 row_bcast:15 row_mask:0xf bank_mask:0xf
	v_mov_b32_dpp v24, v9 row_bcast:15 row_mask:0xf bank_mask:0xf
	;; [unrolled: 1-line block ×3, first 2 shown]
	v_cmp_ne_u32_e64 s[46:47], 0, v25
	s_and_saveexec_b64 s[48:49], s[46:47]
; %bb.202:
	v_cmp_eq_u32_e64 s[46:47], 0, v13
	s_nop 1
	v_cndmask_b32_e64 v9, 0, v24, s[46:47]
	v_cndmask_b32_e64 v8, 0, v21, s[46:47]
	v_lshl_add_u64 v[4:5], v[8:9], 0, v[4:5]
	v_or_b32_e32 v8, v20, v13
	v_and_b32_e32 v13, 1, v8
	v_mov_b32_e32 v9, v5
	v_mov_b32_e32 v8, v4
; %bb.203:
	s_or_b64 exec, exec, s[48:49]
	s_nop 0
	v_mov_b32_dpp v20, v8 row_bcast:31 row_mask:0xf bank_mask:0xf
	v_mov_b32_dpp v21, v9 row_bcast:31 row_mask:0xf bank_mask:0xf
	;; [unrolled: 1-line block ×3, first 2 shown]
	v_cmp_lt_u32_e64 s[46:47], 31, v12
	v_mov_b32_e32 v8, v13
	s_and_saveexec_b64 s[48:49], s[46:47]
; %bb.204:
	v_cmp_eq_u32_e64 s[46:47], 0, v13
	v_or_b32_e32 v9, v9, v13
	v_and_b32_e32 v8, 1, v9
	v_cndmask_b32_e64 v21, 0, v21, s[46:47]
	v_cndmask_b32_e64 v20, 0, v20, s[46:47]
	v_lshl_add_u64 v[4:5], v[20:21], 0, v[4:5]
	v_and_b32_e32 v13, 1, v9
; %bb.205:
	s_or_b64 exec, exec, s[48:49]
	v_or_b32_e32 v9, 63, v0
	v_lshrrev_b32_e32 v20, 6, v0
	v_cmp_eq_u32_e64 s[46:47], v9, v0
	s_and_saveexec_b64 s[48:49], s[46:47]
	s_cbranch_execz .LBB1178_207
; %bb.206:
	v_lshlrev_b32_e32 v9, 4, v20
	ds_write_b64 v9, v[4:5]
	ds_write_b8 v9, v8 offset:8
.LBB1178_207:
	s_or_b64 exec, exec, s[48:49]
	v_cmp_gt_u32_e64 s[46:47], 4, v0
	s_waitcnt lgkmcnt(0)
	s_barrier
	s_and_saveexec_b64 s[50:51], s[46:47]
	s_cbranch_execz .LBB1178_213
; %bb.208:
	v_lshlrev_b32_e32 v21, 4, v0
	ds_read_b64 v[8:9], v21
	ds_read_b32 v24, v21 offset:8
	v_and_b32_e32 v25, 3, v12
	v_cmp_ne_u32_e64 s[46:47], 0, v25
	s_waitcnt lgkmcnt(1)
	v_mov_b32_dpp v33, v8 row_shr:1 row_mask:0xf bank_mask:0xf
	v_mov_b32_dpp v36, v9 row_shr:1 row_mask:0xf bank_mask:0xf
	s_waitcnt lgkmcnt(0)
	v_mov_b32_dpp v32, v24 row_shr:1 row_mask:0xf bank_mask:0xf
	v_mov_b32_e32 v28, v24
	v_mov_b32_e32 v29, v24
	s_and_saveexec_b64 s[48:49], s[46:47]
; %bb.209:
	v_mov_b32_e32 v28, 0
	v_cmp_eq_u16_sdwa s[46:47], v24, v28 src0_sel:BYTE_0 src1_sel:DWORD
	s_nop 1
	v_cndmask_b32_e64 v29, 0, v36, s[46:47]
	v_cndmask_b32_e64 v28, 0, v33, s[46:47]
	v_lshl_add_u64 v[8:9], v[28:29], 0, v[8:9]
	v_or_b32_e32 v29, v32, v24
	v_and_b32_e32 v28, 1, v29
	v_and_b32_e32 v29, 1, v29
	s_movk_i32 s46, 0xff00
	v_and_or_b32 v24, v24, s46, v29
; %bb.210:
	s_or_b64 exec, exec, s[48:49]
	v_mov_b32_dpp v32, v8 row_shr:2 row_mask:0xf bank_mask:0xf
	v_mov_b32_dpp v33, v9 row_shr:2 row_mask:0xf bank_mask:0xf
	;; [unrolled: 1-line block ×3, first 2 shown]
	v_cmp_lt_u32_e64 s[46:47], 1, v25
	s_and_saveexec_b64 s[52:53], s[46:47]
; %bb.211:
	v_mov_b32_e32 v25, 0
	v_cmp_eq_u16_sdwa s[46:47], v29, v25 src0_sel:BYTE_0 src1_sel:DWORD
	v_and_b32_e32 v25, 1, v29
	v_and_b32_e32 v24, 1, v24
	v_cndmask_b32_e64 v33, 0, v33, s[46:47]
	v_cndmask_b32_e64 v32, 0, v32, s[46:47]
	v_cmp_eq_u32_e64 s[46:47], 1, v25
	v_cmp_eq_u32_e64 s[48:49], 1, v24
	s_or_b64 s[46:47], s[46:47], s[48:49]
	v_lshl_add_u64 v[8:9], v[32:33], 0, v[8:9]
	v_cndmask_b32_e64 v28, 0, 1, s[46:47]
; %bb.212:
	s_or_b64 exec, exec, s[52:53]
	ds_write_b64 v21, v[8:9]
	ds_write_b8 v21, v28 offset:8
.LBB1178_213:
	s_or_b64 exec, exec, s[50:51]
	v_cmp_lt_u32_e64 s[46:47], 63, v0
	v_mov_b64_e32 v[8:9], 0
	s_waitcnt lgkmcnt(0)
	s_barrier
	s_and_saveexec_b64 s[48:49], s[46:47]
	s_cbranch_execz .LBB1178_215
; %bb.214:
	v_lshl_add_u32 v8, v20, 4, -16
	ds_read_b64 v[8:9], v8
	v_cmp_eq_u32_e64 s[46:47], 0, v13
	s_waitcnt lgkmcnt(0)
	s_nop 0
	v_cndmask_b32_e64 v21, 0, v9, s[46:47]
	v_cndmask_b32_e64 v20, 0, v8, s[46:47]
	v_lshl_add_u64 v[4:5], v[20:21], 0, v[4:5]
.LBB1178_215:
	s_or_b64 exec, exec, s[48:49]
	v_add_u32_e32 v13, -1, v12
	v_and_b32_e32 v20, 64, v12
	v_cmp_lt_i32_e64 s[46:47], v13, v20
	s_nop 1
	v_cndmask_b32_e64 v13, v13, v12, s[46:47]
	v_lshlrev_b32_e32 v13, 2, v13
	ds_bpermute_b32 v4, v13, v4
	ds_bpermute_b32 v5, v13, v5
	s_and_saveexec_b64 s[46:47], s[2:3]
	s_cbranch_execz .LBB1178_217
; %bb.216:
	v_cmp_eq_u32_e64 s[2:3], 0, v12
	;;#ASMSTART
	;;#ASMEND
	s_waitcnt lgkmcnt(1)
	s_nop 0
	v_cndmask_b32_e64 v4, v4, v8, s[2:3]
	v_mov_b32_e32 v8, 0
	s_waitcnt lgkmcnt(0)
	v_cndmask_b32_e64 v5, v5, v9, s[2:3]
	v_cmp_eq_u16_sdwa s[2:3], v1, v8 src0_sel:BYTE_0 src1_sel:DWORD
	s_nop 1
	v_cndmask_b32_e64 v5, 0, v5, s[2:3]
	v_cndmask_b32_e64 v4, 0, v4, s[2:3]
	v_lshl_add_u64 v[2:3], v[4:5], 0, v[2:3]
	v_cndmask_b32_e64 v5, 0, v3, s[4:5]
	v_cndmask_b32_e64 v4, 0, v2, s[4:5]
	v_lshl_add_u64 v[44:45], v[4:5], 0, v[14:15]
	;; [unrolled: 3-line block ×21, first 2 shown]
.LBB1178_217:
	s_or_b64 exec, exec, s[46:47]
	s_and_saveexec_b64 s[2:3], vcc
	s_cbranch_execz .LBB1178_219
; %bb.218:
	v_mov_b32_e32 v1, 0
	s_waitcnt lgkmcnt(0)
	ds_read_b64 v[4:5], v1 offset:48
	ds_read_u8 v6, v1 offset:56
	s_waitcnt lgkmcnt(1)
	global_store_dword v1, v4, s[86:87] offset:1024 sc1
	global_store_dword v1, v5, s[86:87] offset:1028 sc1
	s_waitcnt lgkmcnt(0)
	global_store_dword v1, v6, s[86:87] offset:1032 sc1
	global_store_dword v1, v1, s[86:87] offset:1036 sc1
	v_mov_b32_e32 v4, 2
	s_waitcnt vmcnt(0)
	global_store_byte v1, v4, s[88:89] offset:64 sc1
.LBB1178_219:
	s_or_b64 exec, exec, s[2:3]
	v_mov_b64_e32 v[114:115], v[2:3]
.LBB1178_220:
	s_add_u32 s2, s98, s92
	s_addc_u32 s3, s99, s93
	s_add_u32 s2, s2, s94
	s_addc_u32 s3, s3, s95
	s_and_b64 vcc, exec, s[0:1]
	v_lshlrev_b32_e32 v42, 3, v0
	s_cbranch_vccz .LBB1178_262
; %bb.221:
	s_movk_i32 s0, 0xa8
	v_mul_i32_i24_e32 v50, 0xffffff60, v0
	v_mul_u32_u24_e32 v1, 0xa8, v0
	v_mad_u32_u24 v2, v0, s0, v50
	s_waitcnt lgkmcnt(0)
	s_barrier
	ds_write2_b64 v1, v[114:115], v[44:45] offset1:1
	ds_write2_b64 v1, v[80:81], v[48:49] offset0:2 offset1:3
	ds_write2_b64 v1, v[84:85], v[52:53] offset0:4 offset1:5
	;; [unrolled: 1-line block ×9, first 2 shown]
	ds_write_b64 v1, v[120:121] offset:160
	s_waitcnt lgkmcnt(0)
	s_barrier
	ds_read2st64_b64 v[38:41], v2 offset0:4 offset1:8
	ds_read2st64_b64 v[34:37], v2 offset0:12 offset1:16
	;; [unrolled: 1-line block ×10, first 2 shown]
	s_add_i32 s33, s33, s90
	v_mov_b32_e32 v43, 0
	v_lshl_add_u64 v[46:47], s[2:3], 0, v[42:43]
	v_cmp_gt_u32_e32 vcc, s33, v0
	s_and_saveexec_b64 s[0:1], vcc
	s_cbranch_execz .LBB1178_223
; %bb.222:
	v_add_u32_e32 v1, v1, v50
	ds_read_b64 v[50:51], v1
	s_waitcnt lgkmcnt(0)
	flat_store_dwordx2 v[46:47], v[50:51]
.LBB1178_223:
	s_or_b64 exec, exec, s[0:1]
	v_or_b32_e32 v1, 0x100, v0
	v_cmp_gt_u32_e32 vcc, s33, v1
	s_and_saveexec_b64 s[0:1], vcc
	s_cbranch_execz .LBB1178_225
; %bb.224:
	s_waitcnt lgkmcnt(0)
	flat_store_dwordx2 v[46:47], v[38:39] offset:2048
.LBB1178_225:
	s_or_b64 exec, exec, s[0:1]
	v_or_b32_e32 v1, 0x200, v0
	v_cmp_gt_u32_e32 vcc, s33, v1
	s_and_saveexec_b64 s[0:1], vcc
	s_cbranch_execz .LBB1178_227
; %bb.226:
	s_waitcnt lgkmcnt(0)
	v_add_co_u32_e32 v38, vcc, 0x1000, v46
	s_nop 1
	v_addc_co_u32_e32 v39, vcc, 0, v47, vcc
	flat_store_dwordx2 v[38:39], v[40:41]
.LBB1178_227:
	s_or_b64 exec, exec, s[0:1]
	v_or_b32_e32 v1, 0x300, v0
	v_cmp_gt_u32_e32 vcc, s33, v1
	s_and_saveexec_b64 s[0:1], vcc
	s_cbranch_execz .LBB1178_229
; %bb.228:
	s_waitcnt lgkmcnt(0)
	v_add_co_u32_e32 v38, vcc, 0x1000, v46
	s_nop 1
	v_addc_co_u32_e32 v39, vcc, 0, v47, vcc
	flat_store_dwordx2 v[38:39], v[34:35] offset:2048
.LBB1178_229:
	s_or_b64 exec, exec, s[0:1]
	v_or_b32_e32 v1, 0x400, v0
	v_cmp_gt_u32_e32 vcc, s33, v1
	s_and_saveexec_b64 s[0:1], vcc
	s_cbranch_execz .LBB1178_231
; %bb.230:
	s_waitcnt lgkmcnt(0)
	v_add_co_u32_e32 v34, vcc, 0x2000, v46
	s_nop 1
	v_addc_co_u32_e32 v35, vcc, 0, v47, vcc
	flat_store_dwordx2 v[34:35], v[36:37]
.LBB1178_231:
	s_or_b64 exec, exec, s[0:1]
	v_or_b32_e32 v1, 0x500, v0
	v_cmp_gt_u32_e32 vcc, s33, v1
	s_and_saveexec_b64 s[0:1], vcc
	s_cbranch_execz .LBB1178_233
; %bb.232:
	s_waitcnt lgkmcnt(0)
	v_add_co_u32_e32 v34, vcc, 0x2000, v46
	s_nop 1
	v_addc_co_u32_e32 v35, vcc, 0, v47, vcc
	flat_store_dwordx2 v[34:35], v[30:31] offset:2048
.LBB1178_233:
	;; [unrolled: 24-line block ×9, first 2 shown]
	s_or_b64 exec, exec, s[0:1]
	s_waitcnt lgkmcnt(0)
	v_or_b32_e32 v2, 0x1400, v0
	v_mov_b32_e32 v1, v43
	v_cmp_gt_u32_e64 s[0:1], s33, v2
	s_branch .LBB1178_264
.LBB1178_262:
	s_mov_b64 s[0:1], 0
                                        ; implicit-def: $vgpr4_vgpr5
	s_cbranch_execz .LBB1178_264
; %bb.263:
	v_mul_u32_u24_e32 v1, 0xa8, v0
	s_waitcnt lgkmcnt(0)
	s_barrier
	s_movk_i32 s4, 0xa8
	ds_write2_b64 v1, v[114:115], v[44:45] offset1:1
	ds_write2_b64 v1, v[80:81], v[48:49] offset0:2 offset1:3
	ds_write2_b64 v1, v[84:85], v[52:53] offset0:4 offset1:5
	;; [unrolled: 1-line block ×9, first 2 shown]
	ds_write_b64 v1, v[120:121] offset:160
	v_mov_b32_e32 v1, 0
	v_mul_i32_i24_e32 v2, 0xffffff60, v0
	v_mad_u32_u24 v2, v0, s4, v2
	v_mov_b32_e32 v43, v1
	s_waitcnt lgkmcnt(0)
	s_barrier
	ds_read2st64_b64 v[6:9], v2 offset1:4
	ds_read2st64_b64 v[10:13], v2 offset0:8 offset1:12
	ds_read2st64_b64 v[14:17], v2 offset0:16 offset1:20
	;; [unrolled: 1-line block ×9, first 2 shown]
	ds_read_b64 v[4:5], v2 offset:40960
	v_lshl_add_u64 v[2:3], s[2:3], 0, v[42:43]
	s_movk_i32 s4, 0x1000
	s_waitcnt lgkmcnt(0)
	flat_store_dwordx2 v[2:3], v[6:7]
	flat_store_dwordx2 v[2:3], v[8:9] offset:2048
	v_add_co_u32_e32 v6, vcc, s4, v2
	s_movk_i32 s4, 0x2000
	s_nop 0
	v_addc_co_u32_e32 v7, vcc, 0, v3, vcc
	flat_store_dwordx2 v[6:7], v[10:11]
	flat_store_dwordx2 v[6:7], v[12:13] offset:2048
	v_add_co_u32_e32 v6, vcc, s4, v2
	s_movk_i32 s4, 0x3000
	s_nop 0
	v_addc_co_u32_e32 v7, vcc, 0, v3, vcc
	;; [unrolled: 6-line block ×6, first 2 shown]
	flat_store_dwordx2 v[6:7], v[30:31]
	flat_store_dwordx2 v[6:7], v[32:33] offset:2048
	v_add_co_u32_e32 v6, vcc, s4, v2
	s_or_b64 s[0:1], s[0:1], exec
	s_nop 0
	v_addc_co_u32_e32 v7, vcc, 0, v3, vcc
	flat_store_dwordx2 v[6:7], v[34:35]
	flat_store_dwordx2 v[6:7], v[36:37] offset:2048
	v_add_co_u32_e32 v6, vcc, 0x8000, v2
	s_nop 1
	v_addc_co_u32_e32 v7, vcc, 0, v3, vcc
	v_add_co_u32_e32 v2, vcc, 0x9000, v2
	flat_store_dwordx2 v[6:7], v[38:39]
	flat_store_dwordx2 v[6:7], v[40:41] offset:2048
	v_addc_co_u32_e32 v3, vcc, 0, v3, vcc
	flat_store_dwordx2 v[2:3], v[44:45]
	flat_store_dwordx2 v[2:3], v[46:47] offset:2048
.LBB1178_264:
	s_and_saveexec_b64 s[4:5], s[0:1]
	s_cbranch_execnz .LBB1178_266
; %bb.265:
	s_endpgm
.LBB1178_266:
	v_lshl_add_u64 v[0:1], v[0:1], 3, s[2:3]
	v_add_co_u32_e32 v0, vcc, 0xa000, v0
	s_nop 1
	v_addc_co_u32_e32 v1, vcc, 0, v1, vcc
	s_waitcnt lgkmcnt(0)
	flat_store_dwordx2 v[0:1], v[4:5]
	s_endpgm
.LBB1178_267:
	v_lshlrev_b32_e32 v6, 3, v0
	v_lshl_add_u64 v[2:3], s[48:49], 0, v[6:7]
	flat_load_dwordx2 v[2:3], v[2:3]
	s_or_b64 exec, exec, s[56:57]
                                        ; implicit-def: $vgpr6_vgpr7
	s_and_saveexec_b64 s[46:47], s[4:5]
	s_cbranch_execz .LBB1178_51
.LBB1178_268:
	v_lshlrev_b32_e32 v6, 3, v0
	v_mov_b32_e32 v7, 0
	v_lshl_add_u64 v[6:7], s[48:49], 0, v[6:7]
	flat_load_dwordx2 v[6:7], v[6:7] offset:2048
	s_or_b64 exec, exec, s[46:47]
                                        ; implicit-def: $vgpr10_vgpr11
	s_and_saveexec_b64 s[4:5], s[6:7]
	s_cbranch_execz .LBB1178_52
.LBB1178_269:
	v_lshlrev_b32_e32 v10, 3, v1
	v_mov_b32_e32 v11, 0
	v_lshl_add_u64 v[10:11], s[48:49], 0, v[10:11]
	flat_load_dwordx2 v[10:11], v[10:11]
	s_or_b64 exec, exec, s[4:5]
                                        ; implicit-def: $vgpr14_vgpr15
	s_and_saveexec_b64 s[4:5], s[8:9]
	s_cbranch_execz .LBB1178_53
.LBB1178_270:
	v_lshlrev_b32_e32 v14, 3, v16
	v_mov_b32_e32 v15, 0
	v_lshl_add_u64 v[14:15], s[48:49], 0, v[14:15]
	flat_load_dwordx2 v[14:15], v[14:15]
	s_or_b64 exec, exec, s[4:5]
                                        ; implicit-def: $vgpr16_vgpr17
	s_and_saveexec_b64 s[4:5], s[10:11]
	s_cbranch_execz .LBB1178_54
.LBB1178_271:
	v_lshlrev_b32_e32 v16, 3, v18
	v_mov_b32_e32 v17, 0
	v_lshl_add_u64 v[16:17], s[48:49], 0, v[16:17]
	flat_load_dwordx2 v[16:17], v[16:17]
	s_or_b64 exec, exec, s[4:5]
                                        ; implicit-def: $vgpr18_vgpr19
	s_and_saveexec_b64 s[4:5], s[12:13]
	s_cbranch_execz .LBB1178_55
.LBB1178_272:
	v_lshlrev_b32_e32 v18, 3, v22
	v_mov_b32_e32 v19, 0
	v_lshl_add_u64 v[18:19], s[48:49], 0, v[18:19]
	flat_load_dwordx2 v[18:19], v[18:19]
	s_or_b64 exec, exec, s[4:5]
                                        ; implicit-def: $vgpr22_vgpr23
	s_and_saveexec_b64 s[4:5], s[14:15]
	s_cbranch_execz .LBB1178_56
.LBB1178_273:
	v_lshlrev_b32_e32 v22, 3, v26
	v_mov_b32_e32 v23, 0
	v_lshl_add_u64 v[22:23], s[48:49], 0, v[22:23]
	flat_load_dwordx2 v[22:23], v[22:23]
	s_or_b64 exec, exec, s[4:5]
                                        ; implicit-def: $vgpr26_vgpr27
	s_and_saveexec_b64 s[4:5], s[16:17]
	s_cbranch_execz .LBB1178_57
.LBB1178_274:
	v_lshlrev_b32_e32 v26, 3, v30
	v_mov_b32_e32 v27, 0
	v_lshl_add_u64 v[26:27], s[48:49], 0, v[26:27]
	flat_load_dwordx2 v[26:27], v[26:27]
	s_or_b64 exec, exec, s[4:5]
                                        ; implicit-def: $vgpr30_vgpr31
	s_and_saveexec_b64 s[4:5], s[18:19]
	s_cbranch_execz .LBB1178_58
.LBB1178_275:
	v_lshlrev_b32_e32 v30, 3, v34
	v_mov_b32_e32 v31, 0
	v_lshl_add_u64 v[30:31], s[48:49], 0, v[30:31]
	flat_load_dwordx2 v[30:31], v[30:31]
	s_or_b64 exec, exec, s[4:5]
                                        ; implicit-def: $vgpr34_vgpr35
	s_and_saveexec_b64 s[4:5], s[20:21]
	s_cbranch_execz .LBB1178_59
.LBB1178_276:
	v_lshlrev_b32_e32 v34, 3, v38
	v_mov_b32_e32 v35, 0
	v_lshl_add_u64 v[34:35], s[48:49], 0, v[34:35]
	flat_load_dwordx2 v[34:35], v[34:35]
	s_or_b64 exec, exec, s[4:5]
                                        ; implicit-def: $vgpr38_vgpr39
	s_and_saveexec_b64 s[4:5], s[22:23]
	s_cbranch_execz .LBB1178_60
.LBB1178_277:
	v_lshlrev_b32_e32 v38, 3, v42
	v_mov_b32_e32 v39, 0
	v_lshl_add_u64 v[38:39], s[48:49], 0, v[38:39]
	flat_load_dwordx2 v[38:39], v[38:39]
	s_or_b64 exec, exec, s[4:5]
                                        ; implicit-def: $vgpr42_vgpr43
	s_and_saveexec_b64 s[4:5], s[24:25]
	s_cbranch_execz .LBB1178_61
.LBB1178_278:
	v_lshlrev_b32_e32 v42, 3, v46
	v_mov_b32_e32 v43, 0
	v_lshl_add_u64 v[42:43], s[48:49], 0, v[42:43]
	flat_load_dwordx2 v[42:43], v[42:43]
	s_or_b64 exec, exec, s[4:5]
                                        ; implicit-def: $vgpr46_vgpr47
	s_and_saveexec_b64 s[4:5], s[26:27]
	s_cbranch_execz .LBB1178_62
.LBB1178_279:
	v_lshlrev_b32_e32 v46, 3, v48
	v_mov_b32_e32 v47, 0
	v_lshl_add_u64 v[46:47], s[48:49], 0, v[46:47]
	flat_load_dwordx2 v[46:47], v[46:47]
	s_or_b64 exec, exec, s[4:5]
                                        ; implicit-def: $vgpr48_vgpr49
	s_and_saveexec_b64 s[4:5], s[28:29]
	s_cbranch_execz .LBB1178_63
.LBB1178_280:
	v_lshlrev_b32_e32 v48, 3, v50
	v_mov_b32_e32 v49, 0
	v_lshl_add_u64 v[48:49], s[48:49], 0, v[48:49]
	flat_load_dwordx2 v[48:49], v[48:49]
	s_or_b64 exec, exec, s[4:5]
                                        ; implicit-def: $vgpr50_vgpr51
	s_and_saveexec_b64 s[4:5], s[30:31]
	s_cbranch_execz .LBB1178_64
.LBB1178_281:
	v_lshlrev_b32_e32 v50, 3, v52
	v_mov_b32_e32 v51, 0
	v_lshl_add_u64 v[50:51], s[48:49], 0, v[50:51]
	flat_load_dwordx2 v[50:51], v[50:51]
	s_or_b64 exec, exec, s[4:5]
                                        ; implicit-def: $vgpr52_vgpr53
	s_and_saveexec_b64 s[4:5], s[34:35]
	s_cbranch_execz .LBB1178_65
.LBB1178_282:
	v_lshlrev_b32_e32 v52, 3, v54
	v_mov_b32_e32 v53, 0
	v_lshl_add_u64 v[52:53], s[48:49], 0, v[52:53]
	flat_load_dwordx2 v[52:53], v[52:53]
	s_or_b64 exec, exec, s[4:5]
                                        ; implicit-def: $vgpr54_vgpr55
	s_and_saveexec_b64 s[4:5], s[36:37]
	s_cbranch_execz .LBB1178_66
.LBB1178_283:
	v_lshlrev_b32_e32 v54, 3, v56
	v_mov_b32_e32 v55, 0
	v_lshl_add_u64 v[54:55], s[48:49], 0, v[54:55]
	flat_load_dwordx2 v[54:55], v[54:55]
	s_or_b64 exec, exec, s[4:5]
                                        ; implicit-def: $vgpr56_vgpr57
	s_and_saveexec_b64 s[4:5], s[38:39]
	s_cbranch_execz .LBB1178_67
.LBB1178_284:
	v_lshlrev_b32_e32 v56, 3, v58
	v_mov_b32_e32 v57, 0
	v_lshl_add_u64 v[56:57], s[48:49], 0, v[56:57]
	flat_load_dwordx2 v[56:57], v[56:57]
	s_or_b64 exec, exec, s[4:5]
                                        ; implicit-def: $vgpr58_vgpr59
	s_and_saveexec_b64 s[4:5], s[40:41]
	s_cbranch_execz .LBB1178_68
.LBB1178_285:
	v_lshlrev_b32_e32 v58, 3, v60
	v_mov_b32_e32 v59, 0
	v_lshl_add_u64 v[58:59], s[48:49], 0, v[58:59]
	flat_load_dwordx2 v[58:59], v[58:59]
	s_or_b64 exec, exec, s[4:5]
                                        ; implicit-def: $vgpr60_vgpr61
	s_and_saveexec_b64 s[4:5], s[42:43]
	s_cbranch_execz .LBB1178_69
.LBB1178_286:
	v_lshlrev_b32_e32 v60, 3, v62
	v_mov_b32_e32 v61, 0
	v_lshl_add_u64 v[60:61], s[48:49], 0, v[60:61]
	flat_load_dwordx2 v[60:61], v[60:61]
	s_or_b64 exec, exec, s[4:5]
                                        ; implicit-def: $vgpr62_vgpr63
	s_and_saveexec_b64 s[4:5], s[44:45]
	s_cbranch_execnz .LBB1178_70
	s_branch .LBB1178_71
.LBB1178_287:
                                        ; implicit-def: $sgpr56_sgpr57
	s_branch .LBB1178_46
.LBB1178_288:
                                        ; implicit-def: $sgpr4_sgpr5
	s_branch .LBB1178_116
	.section	.rodata,"a",@progbits
	.p2align	6, 0x0
	.amdhsa_kernel _ZN7rocprim17ROCPRIM_400000_NS6detail17trampoline_kernelINS0_14default_configENS1_27scan_by_key_config_selectorIiyEEZZNS1_16scan_by_key_implILNS1_25lookback_scan_determinismE0ELb0ES3_N6thrust23THRUST_200600_302600_NS6detail15normal_iteratorINS9_10device_ptrIiEEEENSB_INSC_IyEEEESG_yNS9_4plusIvEENS9_8equal_toIvEEyEE10hipError_tPvRmT2_T3_T4_T5_mT6_T7_P12ihipStream_tbENKUlT_T0_E_clISt17integral_constantIbLb0EES11_EEDaSW_SX_EUlSW_E_NS1_11comp_targetILNS1_3genE5ELNS1_11target_archE942ELNS1_3gpuE9ELNS1_3repE0EEENS1_30default_config_static_selectorELNS0_4arch9wavefront6targetE1EEEvT1_
		.amdhsa_group_segment_fixed_size 43008
		.amdhsa_private_segment_fixed_size 0
		.amdhsa_kernarg_size 136
		.amdhsa_user_sgpr_count 2
		.amdhsa_user_sgpr_dispatch_ptr 0
		.amdhsa_user_sgpr_queue_ptr 0
		.amdhsa_user_sgpr_kernarg_segment_ptr 1
		.amdhsa_user_sgpr_dispatch_id 0
		.amdhsa_user_sgpr_kernarg_preload_length 0
		.amdhsa_user_sgpr_kernarg_preload_offset 0
		.amdhsa_user_sgpr_private_segment_size 0
		.amdhsa_uses_dynamic_stack 0
		.amdhsa_enable_private_segment 0
		.amdhsa_system_sgpr_workgroup_id_x 1
		.amdhsa_system_sgpr_workgroup_id_y 0
		.amdhsa_system_sgpr_workgroup_id_z 0
		.amdhsa_system_sgpr_workgroup_info 0
		.amdhsa_system_vgpr_workitem_id 0
		.amdhsa_next_free_vgpr 132
		.amdhsa_next_free_sgpr 100
		.amdhsa_accum_offset 132
		.amdhsa_reserve_vcc 1
		.amdhsa_float_round_mode_32 0
		.amdhsa_float_round_mode_16_64 0
		.amdhsa_float_denorm_mode_32 3
		.amdhsa_float_denorm_mode_16_64 3
		.amdhsa_dx10_clamp 1
		.amdhsa_ieee_mode 1
		.amdhsa_fp16_overflow 0
		.amdhsa_tg_split 0
		.amdhsa_exception_fp_ieee_invalid_op 0
		.amdhsa_exception_fp_denorm_src 0
		.amdhsa_exception_fp_ieee_div_zero 0
		.amdhsa_exception_fp_ieee_overflow 0
		.amdhsa_exception_fp_ieee_underflow 0
		.amdhsa_exception_fp_ieee_inexact 0
		.amdhsa_exception_int_div_zero 0
	.end_amdhsa_kernel
	.section	.text._ZN7rocprim17ROCPRIM_400000_NS6detail17trampoline_kernelINS0_14default_configENS1_27scan_by_key_config_selectorIiyEEZZNS1_16scan_by_key_implILNS1_25lookback_scan_determinismE0ELb0ES3_N6thrust23THRUST_200600_302600_NS6detail15normal_iteratorINS9_10device_ptrIiEEEENSB_INSC_IyEEEESG_yNS9_4plusIvEENS9_8equal_toIvEEyEE10hipError_tPvRmT2_T3_T4_T5_mT6_T7_P12ihipStream_tbENKUlT_T0_E_clISt17integral_constantIbLb0EES11_EEDaSW_SX_EUlSW_E_NS1_11comp_targetILNS1_3genE5ELNS1_11target_archE942ELNS1_3gpuE9ELNS1_3repE0EEENS1_30default_config_static_selectorELNS0_4arch9wavefront6targetE1EEEvT1_,"axG",@progbits,_ZN7rocprim17ROCPRIM_400000_NS6detail17trampoline_kernelINS0_14default_configENS1_27scan_by_key_config_selectorIiyEEZZNS1_16scan_by_key_implILNS1_25lookback_scan_determinismE0ELb0ES3_N6thrust23THRUST_200600_302600_NS6detail15normal_iteratorINS9_10device_ptrIiEEEENSB_INSC_IyEEEESG_yNS9_4plusIvEENS9_8equal_toIvEEyEE10hipError_tPvRmT2_T3_T4_T5_mT6_T7_P12ihipStream_tbENKUlT_T0_E_clISt17integral_constantIbLb0EES11_EEDaSW_SX_EUlSW_E_NS1_11comp_targetILNS1_3genE5ELNS1_11target_archE942ELNS1_3gpuE9ELNS1_3repE0EEENS1_30default_config_static_selectorELNS0_4arch9wavefront6targetE1EEEvT1_,comdat
.Lfunc_end1178:
	.size	_ZN7rocprim17ROCPRIM_400000_NS6detail17trampoline_kernelINS0_14default_configENS1_27scan_by_key_config_selectorIiyEEZZNS1_16scan_by_key_implILNS1_25lookback_scan_determinismE0ELb0ES3_N6thrust23THRUST_200600_302600_NS6detail15normal_iteratorINS9_10device_ptrIiEEEENSB_INSC_IyEEEESG_yNS9_4plusIvEENS9_8equal_toIvEEyEE10hipError_tPvRmT2_T3_T4_T5_mT6_T7_P12ihipStream_tbENKUlT_T0_E_clISt17integral_constantIbLb0EES11_EEDaSW_SX_EUlSW_E_NS1_11comp_targetILNS1_3genE5ELNS1_11target_archE942ELNS1_3gpuE9ELNS1_3repE0EEENS1_30default_config_static_selectorELNS0_4arch9wavefront6targetE1EEEvT1_, .Lfunc_end1178-_ZN7rocprim17ROCPRIM_400000_NS6detail17trampoline_kernelINS0_14default_configENS1_27scan_by_key_config_selectorIiyEEZZNS1_16scan_by_key_implILNS1_25lookback_scan_determinismE0ELb0ES3_N6thrust23THRUST_200600_302600_NS6detail15normal_iteratorINS9_10device_ptrIiEEEENSB_INSC_IyEEEESG_yNS9_4plusIvEENS9_8equal_toIvEEyEE10hipError_tPvRmT2_T3_T4_T5_mT6_T7_P12ihipStream_tbENKUlT_T0_E_clISt17integral_constantIbLb0EES11_EEDaSW_SX_EUlSW_E_NS1_11comp_targetILNS1_3genE5ELNS1_11target_archE942ELNS1_3gpuE9ELNS1_3repE0EEENS1_30default_config_static_selectorELNS0_4arch9wavefront6targetE1EEEvT1_
                                        ; -- End function
	.section	.AMDGPU.csdata,"",@progbits
; Kernel info:
; codeLenInByte = 16972
; NumSgprs: 106
; NumVgprs: 132
; NumAgprs: 0
; TotalNumVgprs: 132
; ScratchSize: 0
; MemoryBound: 0
; FloatMode: 240
; IeeeMode: 1
; LDSByteSize: 43008 bytes/workgroup (compile time only)
; SGPRBlocks: 13
; VGPRBlocks: 16
; NumSGPRsForWavesPerEU: 106
; NumVGPRsForWavesPerEU: 132
; AccumOffset: 132
; Occupancy: 1
; WaveLimiterHint : 1
; COMPUTE_PGM_RSRC2:SCRATCH_EN: 0
; COMPUTE_PGM_RSRC2:USER_SGPR: 2
; COMPUTE_PGM_RSRC2:TRAP_HANDLER: 0
; COMPUTE_PGM_RSRC2:TGID_X_EN: 1
; COMPUTE_PGM_RSRC2:TGID_Y_EN: 0
; COMPUTE_PGM_RSRC2:TGID_Z_EN: 0
; COMPUTE_PGM_RSRC2:TIDIG_COMP_CNT: 0
; COMPUTE_PGM_RSRC3_GFX90A:ACCUM_OFFSET: 32
; COMPUTE_PGM_RSRC3_GFX90A:TG_SPLIT: 0
	.section	.text._ZN7rocprim17ROCPRIM_400000_NS6detail17trampoline_kernelINS0_14default_configENS1_27scan_by_key_config_selectorIiyEEZZNS1_16scan_by_key_implILNS1_25lookback_scan_determinismE0ELb0ES3_N6thrust23THRUST_200600_302600_NS6detail15normal_iteratorINS9_10device_ptrIiEEEENSB_INSC_IyEEEESG_yNS9_4plusIvEENS9_8equal_toIvEEyEE10hipError_tPvRmT2_T3_T4_T5_mT6_T7_P12ihipStream_tbENKUlT_T0_E_clISt17integral_constantIbLb0EES11_EEDaSW_SX_EUlSW_E_NS1_11comp_targetILNS1_3genE4ELNS1_11target_archE910ELNS1_3gpuE8ELNS1_3repE0EEENS1_30default_config_static_selectorELNS0_4arch9wavefront6targetE1EEEvT1_,"axG",@progbits,_ZN7rocprim17ROCPRIM_400000_NS6detail17trampoline_kernelINS0_14default_configENS1_27scan_by_key_config_selectorIiyEEZZNS1_16scan_by_key_implILNS1_25lookback_scan_determinismE0ELb0ES3_N6thrust23THRUST_200600_302600_NS6detail15normal_iteratorINS9_10device_ptrIiEEEENSB_INSC_IyEEEESG_yNS9_4plusIvEENS9_8equal_toIvEEyEE10hipError_tPvRmT2_T3_T4_T5_mT6_T7_P12ihipStream_tbENKUlT_T0_E_clISt17integral_constantIbLb0EES11_EEDaSW_SX_EUlSW_E_NS1_11comp_targetILNS1_3genE4ELNS1_11target_archE910ELNS1_3gpuE8ELNS1_3repE0EEENS1_30default_config_static_selectorELNS0_4arch9wavefront6targetE1EEEvT1_,comdat
	.protected	_ZN7rocprim17ROCPRIM_400000_NS6detail17trampoline_kernelINS0_14default_configENS1_27scan_by_key_config_selectorIiyEEZZNS1_16scan_by_key_implILNS1_25lookback_scan_determinismE0ELb0ES3_N6thrust23THRUST_200600_302600_NS6detail15normal_iteratorINS9_10device_ptrIiEEEENSB_INSC_IyEEEESG_yNS9_4plusIvEENS9_8equal_toIvEEyEE10hipError_tPvRmT2_T3_T4_T5_mT6_T7_P12ihipStream_tbENKUlT_T0_E_clISt17integral_constantIbLb0EES11_EEDaSW_SX_EUlSW_E_NS1_11comp_targetILNS1_3genE4ELNS1_11target_archE910ELNS1_3gpuE8ELNS1_3repE0EEENS1_30default_config_static_selectorELNS0_4arch9wavefront6targetE1EEEvT1_ ; -- Begin function _ZN7rocprim17ROCPRIM_400000_NS6detail17trampoline_kernelINS0_14default_configENS1_27scan_by_key_config_selectorIiyEEZZNS1_16scan_by_key_implILNS1_25lookback_scan_determinismE0ELb0ES3_N6thrust23THRUST_200600_302600_NS6detail15normal_iteratorINS9_10device_ptrIiEEEENSB_INSC_IyEEEESG_yNS9_4plusIvEENS9_8equal_toIvEEyEE10hipError_tPvRmT2_T3_T4_T5_mT6_T7_P12ihipStream_tbENKUlT_T0_E_clISt17integral_constantIbLb0EES11_EEDaSW_SX_EUlSW_E_NS1_11comp_targetILNS1_3genE4ELNS1_11target_archE910ELNS1_3gpuE8ELNS1_3repE0EEENS1_30default_config_static_selectorELNS0_4arch9wavefront6targetE1EEEvT1_
	.globl	_ZN7rocprim17ROCPRIM_400000_NS6detail17trampoline_kernelINS0_14default_configENS1_27scan_by_key_config_selectorIiyEEZZNS1_16scan_by_key_implILNS1_25lookback_scan_determinismE0ELb0ES3_N6thrust23THRUST_200600_302600_NS6detail15normal_iteratorINS9_10device_ptrIiEEEENSB_INSC_IyEEEESG_yNS9_4plusIvEENS9_8equal_toIvEEyEE10hipError_tPvRmT2_T3_T4_T5_mT6_T7_P12ihipStream_tbENKUlT_T0_E_clISt17integral_constantIbLb0EES11_EEDaSW_SX_EUlSW_E_NS1_11comp_targetILNS1_3genE4ELNS1_11target_archE910ELNS1_3gpuE8ELNS1_3repE0EEENS1_30default_config_static_selectorELNS0_4arch9wavefront6targetE1EEEvT1_
	.p2align	8
	.type	_ZN7rocprim17ROCPRIM_400000_NS6detail17trampoline_kernelINS0_14default_configENS1_27scan_by_key_config_selectorIiyEEZZNS1_16scan_by_key_implILNS1_25lookback_scan_determinismE0ELb0ES3_N6thrust23THRUST_200600_302600_NS6detail15normal_iteratorINS9_10device_ptrIiEEEENSB_INSC_IyEEEESG_yNS9_4plusIvEENS9_8equal_toIvEEyEE10hipError_tPvRmT2_T3_T4_T5_mT6_T7_P12ihipStream_tbENKUlT_T0_E_clISt17integral_constantIbLb0EES11_EEDaSW_SX_EUlSW_E_NS1_11comp_targetILNS1_3genE4ELNS1_11target_archE910ELNS1_3gpuE8ELNS1_3repE0EEENS1_30default_config_static_selectorELNS0_4arch9wavefront6targetE1EEEvT1_,@function
_ZN7rocprim17ROCPRIM_400000_NS6detail17trampoline_kernelINS0_14default_configENS1_27scan_by_key_config_selectorIiyEEZZNS1_16scan_by_key_implILNS1_25lookback_scan_determinismE0ELb0ES3_N6thrust23THRUST_200600_302600_NS6detail15normal_iteratorINS9_10device_ptrIiEEEENSB_INSC_IyEEEESG_yNS9_4plusIvEENS9_8equal_toIvEEyEE10hipError_tPvRmT2_T3_T4_T5_mT6_T7_P12ihipStream_tbENKUlT_T0_E_clISt17integral_constantIbLb0EES11_EEDaSW_SX_EUlSW_E_NS1_11comp_targetILNS1_3genE4ELNS1_11target_archE910ELNS1_3gpuE8ELNS1_3repE0EEENS1_30default_config_static_selectorELNS0_4arch9wavefront6targetE1EEEvT1_: ; @_ZN7rocprim17ROCPRIM_400000_NS6detail17trampoline_kernelINS0_14default_configENS1_27scan_by_key_config_selectorIiyEEZZNS1_16scan_by_key_implILNS1_25lookback_scan_determinismE0ELb0ES3_N6thrust23THRUST_200600_302600_NS6detail15normal_iteratorINS9_10device_ptrIiEEEENSB_INSC_IyEEEESG_yNS9_4plusIvEENS9_8equal_toIvEEyEE10hipError_tPvRmT2_T3_T4_T5_mT6_T7_P12ihipStream_tbENKUlT_T0_E_clISt17integral_constantIbLb0EES11_EEDaSW_SX_EUlSW_E_NS1_11comp_targetILNS1_3genE4ELNS1_11target_archE910ELNS1_3gpuE8ELNS1_3repE0EEENS1_30default_config_static_selectorELNS0_4arch9wavefront6targetE1EEEvT1_
; %bb.0:
	.section	.rodata,"a",@progbits
	.p2align	6, 0x0
	.amdhsa_kernel _ZN7rocprim17ROCPRIM_400000_NS6detail17trampoline_kernelINS0_14default_configENS1_27scan_by_key_config_selectorIiyEEZZNS1_16scan_by_key_implILNS1_25lookback_scan_determinismE0ELb0ES3_N6thrust23THRUST_200600_302600_NS6detail15normal_iteratorINS9_10device_ptrIiEEEENSB_INSC_IyEEEESG_yNS9_4plusIvEENS9_8equal_toIvEEyEE10hipError_tPvRmT2_T3_T4_T5_mT6_T7_P12ihipStream_tbENKUlT_T0_E_clISt17integral_constantIbLb0EES11_EEDaSW_SX_EUlSW_E_NS1_11comp_targetILNS1_3genE4ELNS1_11target_archE910ELNS1_3gpuE8ELNS1_3repE0EEENS1_30default_config_static_selectorELNS0_4arch9wavefront6targetE1EEEvT1_
		.amdhsa_group_segment_fixed_size 0
		.amdhsa_private_segment_fixed_size 0
		.amdhsa_kernarg_size 136
		.amdhsa_user_sgpr_count 2
		.amdhsa_user_sgpr_dispatch_ptr 0
		.amdhsa_user_sgpr_queue_ptr 0
		.amdhsa_user_sgpr_kernarg_segment_ptr 1
		.amdhsa_user_sgpr_dispatch_id 0
		.amdhsa_user_sgpr_kernarg_preload_length 0
		.amdhsa_user_sgpr_kernarg_preload_offset 0
		.amdhsa_user_sgpr_private_segment_size 0
		.amdhsa_uses_dynamic_stack 0
		.amdhsa_enable_private_segment 0
		.amdhsa_system_sgpr_workgroup_id_x 1
		.amdhsa_system_sgpr_workgroup_id_y 0
		.amdhsa_system_sgpr_workgroup_id_z 0
		.amdhsa_system_sgpr_workgroup_info 0
		.amdhsa_system_vgpr_workitem_id 0
		.amdhsa_next_free_vgpr 1
		.amdhsa_next_free_sgpr 0
		.amdhsa_accum_offset 4
		.amdhsa_reserve_vcc 0
		.amdhsa_float_round_mode_32 0
		.amdhsa_float_round_mode_16_64 0
		.amdhsa_float_denorm_mode_32 3
		.amdhsa_float_denorm_mode_16_64 3
		.amdhsa_dx10_clamp 1
		.amdhsa_ieee_mode 1
		.amdhsa_fp16_overflow 0
		.amdhsa_tg_split 0
		.amdhsa_exception_fp_ieee_invalid_op 0
		.amdhsa_exception_fp_denorm_src 0
		.amdhsa_exception_fp_ieee_div_zero 0
		.amdhsa_exception_fp_ieee_overflow 0
		.amdhsa_exception_fp_ieee_underflow 0
		.amdhsa_exception_fp_ieee_inexact 0
		.amdhsa_exception_int_div_zero 0
	.end_amdhsa_kernel
	.section	.text._ZN7rocprim17ROCPRIM_400000_NS6detail17trampoline_kernelINS0_14default_configENS1_27scan_by_key_config_selectorIiyEEZZNS1_16scan_by_key_implILNS1_25lookback_scan_determinismE0ELb0ES3_N6thrust23THRUST_200600_302600_NS6detail15normal_iteratorINS9_10device_ptrIiEEEENSB_INSC_IyEEEESG_yNS9_4plusIvEENS9_8equal_toIvEEyEE10hipError_tPvRmT2_T3_T4_T5_mT6_T7_P12ihipStream_tbENKUlT_T0_E_clISt17integral_constantIbLb0EES11_EEDaSW_SX_EUlSW_E_NS1_11comp_targetILNS1_3genE4ELNS1_11target_archE910ELNS1_3gpuE8ELNS1_3repE0EEENS1_30default_config_static_selectorELNS0_4arch9wavefront6targetE1EEEvT1_,"axG",@progbits,_ZN7rocprim17ROCPRIM_400000_NS6detail17trampoline_kernelINS0_14default_configENS1_27scan_by_key_config_selectorIiyEEZZNS1_16scan_by_key_implILNS1_25lookback_scan_determinismE0ELb0ES3_N6thrust23THRUST_200600_302600_NS6detail15normal_iteratorINS9_10device_ptrIiEEEENSB_INSC_IyEEEESG_yNS9_4plusIvEENS9_8equal_toIvEEyEE10hipError_tPvRmT2_T3_T4_T5_mT6_T7_P12ihipStream_tbENKUlT_T0_E_clISt17integral_constantIbLb0EES11_EEDaSW_SX_EUlSW_E_NS1_11comp_targetILNS1_3genE4ELNS1_11target_archE910ELNS1_3gpuE8ELNS1_3repE0EEENS1_30default_config_static_selectorELNS0_4arch9wavefront6targetE1EEEvT1_,comdat
.Lfunc_end1179:
	.size	_ZN7rocprim17ROCPRIM_400000_NS6detail17trampoline_kernelINS0_14default_configENS1_27scan_by_key_config_selectorIiyEEZZNS1_16scan_by_key_implILNS1_25lookback_scan_determinismE0ELb0ES3_N6thrust23THRUST_200600_302600_NS6detail15normal_iteratorINS9_10device_ptrIiEEEENSB_INSC_IyEEEESG_yNS9_4plusIvEENS9_8equal_toIvEEyEE10hipError_tPvRmT2_T3_T4_T5_mT6_T7_P12ihipStream_tbENKUlT_T0_E_clISt17integral_constantIbLb0EES11_EEDaSW_SX_EUlSW_E_NS1_11comp_targetILNS1_3genE4ELNS1_11target_archE910ELNS1_3gpuE8ELNS1_3repE0EEENS1_30default_config_static_selectorELNS0_4arch9wavefront6targetE1EEEvT1_, .Lfunc_end1179-_ZN7rocprim17ROCPRIM_400000_NS6detail17trampoline_kernelINS0_14default_configENS1_27scan_by_key_config_selectorIiyEEZZNS1_16scan_by_key_implILNS1_25lookback_scan_determinismE0ELb0ES3_N6thrust23THRUST_200600_302600_NS6detail15normal_iteratorINS9_10device_ptrIiEEEENSB_INSC_IyEEEESG_yNS9_4plusIvEENS9_8equal_toIvEEyEE10hipError_tPvRmT2_T3_T4_T5_mT6_T7_P12ihipStream_tbENKUlT_T0_E_clISt17integral_constantIbLb0EES11_EEDaSW_SX_EUlSW_E_NS1_11comp_targetILNS1_3genE4ELNS1_11target_archE910ELNS1_3gpuE8ELNS1_3repE0EEENS1_30default_config_static_selectorELNS0_4arch9wavefront6targetE1EEEvT1_
                                        ; -- End function
	.section	.AMDGPU.csdata,"",@progbits
; Kernel info:
; codeLenInByte = 0
; NumSgprs: 6
; NumVgprs: 0
; NumAgprs: 0
; TotalNumVgprs: 0
; ScratchSize: 0
; MemoryBound: 0
; FloatMode: 240
; IeeeMode: 1
; LDSByteSize: 0 bytes/workgroup (compile time only)
; SGPRBlocks: 0
; VGPRBlocks: 0
; NumSGPRsForWavesPerEU: 6
; NumVGPRsForWavesPerEU: 1
; AccumOffset: 4
; Occupancy: 8
; WaveLimiterHint : 0
; COMPUTE_PGM_RSRC2:SCRATCH_EN: 0
; COMPUTE_PGM_RSRC2:USER_SGPR: 2
; COMPUTE_PGM_RSRC2:TRAP_HANDLER: 0
; COMPUTE_PGM_RSRC2:TGID_X_EN: 1
; COMPUTE_PGM_RSRC2:TGID_Y_EN: 0
; COMPUTE_PGM_RSRC2:TGID_Z_EN: 0
; COMPUTE_PGM_RSRC2:TIDIG_COMP_CNT: 0
; COMPUTE_PGM_RSRC3_GFX90A:ACCUM_OFFSET: 0
; COMPUTE_PGM_RSRC3_GFX90A:TG_SPLIT: 0
	.section	.text._ZN7rocprim17ROCPRIM_400000_NS6detail17trampoline_kernelINS0_14default_configENS1_27scan_by_key_config_selectorIiyEEZZNS1_16scan_by_key_implILNS1_25lookback_scan_determinismE0ELb0ES3_N6thrust23THRUST_200600_302600_NS6detail15normal_iteratorINS9_10device_ptrIiEEEENSB_INSC_IyEEEESG_yNS9_4plusIvEENS9_8equal_toIvEEyEE10hipError_tPvRmT2_T3_T4_T5_mT6_T7_P12ihipStream_tbENKUlT_T0_E_clISt17integral_constantIbLb0EES11_EEDaSW_SX_EUlSW_E_NS1_11comp_targetILNS1_3genE3ELNS1_11target_archE908ELNS1_3gpuE7ELNS1_3repE0EEENS1_30default_config_static_selectorELNS0_4arch9wavefront6targetE1EEEvT1_,"axG",@progbits,_ZN7rocprim17ROCPRIM_400000_NS6detail17trampoline_kernelINS0_14default_configENS1_27scan_by_key_config_selectorIiyEEZZNS1_16scan_by_key_implILNS1_25lookback_scan_determinismE0ELb0ES3_N6thrust23THRUST_200600_302600_NS6detail15normal_iteratorINS9_10device_ptrIiEEEENSB_INSC_IyEEEESG_yNS9_4plusIvEENS9_8equal_toIvEEyEE10hipError_tPvRmT2_T3_T4_T5_mT6_T7_P12ihipStream_tbENKUlT_T0_E_clISt17integral_constantIbLb0EES11_EEDaSW_SX_EUlSW_E_NS1_11comp_targetILNS1_3genE3ELNS1_11target_archE908ELNS1_3gpuE7ELNS1_3repE0EEENS1_30default_config_static_selectorELNS0_4arch9wavefront6targetE1EEEvT1_,comdat
	.protected	_ZN7rocprim17ROCPRIM_400000_NS6detail17trampoline_kernelINS0_14default_configENS1_27scan_by_key_config_selectorIiyEEZZNS1_16scan_by_key_implILNS1_25lookback_scan_determinismE0ELb0ES3_N6thrust23THRUST_200600_302600_NS6detail15normal_iteratorINS9_10device_ptrIiEEEENSB_INSC_IyEEEESG_yNS9_4plusIvEENS9_8equal_toIvEEyEE10hipError_tPvRmT2_T3_T4_T5_mT6_T7_P12ihipStream_tbENKUlT_T0_E_clISt17integral_constantIbLb0EES11_EEDaSW_SX_EUlSW_E_NS1_11comp_targetILNS1_3genE3ELNS1_11target_archE908ELNS1_3gpuE7ELNS1_3repE0EEENS1_30default_config_static_selectorELNS0_4arch9wavefront6targetE1EEEvT1_ ; -- Begin function _ZN7rocprim17ROCPRIM_400000_NS6detail17trampoline_kernelINS0_14default_configENS1_27scan_by_key_config_selectorIiyEEZZNS1_16scan_by_key_implILNS1_25lookback_scan_determinismE0ELb0ES3_N6thrust23THRUST_200600_302600_NS6detail15normal_iteratorINS9_10device_ptrIiEEEENSB_INSC_IyEEEESG_yNS9_4plusIvEENS9_8equal_toIvEEyEE10hipError_tPvRmT2_T3_T4_T5_mT6_T7_P12ihipStream_tbENKUlT_T0_E_clISt17integral_constantIbLb0EES11_EEDaSW_SX_EUlSW_E_NS1_11comp_targetILNS1_3genE3ELNS1_11target_archE908ELNS1_3gpuE7ELNS1_3repE0EEENS1_30default_config_static_selectorELNS0_4arch9wavefront6targetE1EEEvT1_
	.globl	_ZN7rocprim17ROCPRIM_400000_NS6detail17trampoline_kernelINS0_14default_configENS1_27scan_by_key_config_selectorIiyEEZZNS1_16scan_by_key_implILNS1_25lookback_scan_determinismE0ELb0ES3_N6thrust23THRUST_200600_302600_NS6detail15normal_iteratorINS9_10device_ptrIiEEEENSB_INSC_IyEEEESG_yNS9_4plusIvEENS9_8equal_toIvEEyEE10hipError_tPvRmT2_T3_T4_T5_mT6_T7_P12ihipStream_tbENKUlT_T0_E_clISt17integral_constantIbLb0EES11_EEDaSW_SX_EUlSW_E_NS1_11comp_targetILNS1_3genE3ELNS1_11target_archE908ELNS1_3gpuE7ELNS1_3repE0EEENS1_30default_config_static_selectorELNS0_4arch9wavefront6targetE1EEEvT1_
	.p2align	8
	.type	_ZN7rocprim17ROCPRIM_400000_NS6detail17trampoline_kernelINS0_14default_configENS1_27scan_by_key_config_selectorIiyEEZZNS1_16scan_by_key_implILNS1_25lookback_scan_determinismE0ELb0ES3_N6thrust23THRUST_200600_302600_NS6detail15normal_iteratorINS9_10device_ptrIiEEEENSB_INSC_IyEEEESG_yNS9_4plusIvEENS9_8equal_toIvEEyEE10hipError_tPvRmT2_T3_T4_T5_mT6_T7_P12ihipStream_tbENKUlT_T0_E_clISt17integral_constantIbLb0EES11_EEDaSW_SX_EUlSW_E_NS1_11comp_targetILNS1_3genE3ELNS1_11target_archE908ELNS1_3gpuE7ELNS1_3repE0EEENS1_30default_config_static_selectorELNS0_4arch9wavefront6targetE1EEEvT1_,@function
_ZN7rocprim17ROCPRIM_400000_NS6detail17trampoline_kernelINS0_14default_configENS1_27scan_by_key_config_selectorIiyEEZZNS1_16scan_by_key_implILNS1_25lookback_scan_determinismE0ELb0ES3_N6thrust23THRUST_200600_302600_NS6detail15normal_iteratorINS9_10device_ptrIiEEEENSB_INSC_IyEEEESG_yNS9_4plusIvEENS9_8equal_toIvEEyEE10hipError_tPvRmT2_T3_T4_T5_mT6_T7_P12ihipStream_tbENKUlT_T0_E_clISt17integral_constantIbLb0EES11_EEDaSW_SX_EUlSW_E_NS1_11comp_targetILNS1_3genE3ELNS1_11target_archE908ELNS1_3gpuE7ELNS1_3repE0EEENS1_30default_config_static_selectorELNS0_4arch9wavefront6targetE1EEEvT1_: ; @_ZN7rocprim17ROCPRIM_400000_NS6detail17trampoline_kernelINS0_14default_configENS1_27scan_by_key_config_selectorIiyEEZZNS1_16scan_by_key_implILNS1_25lookback_scan_determinismE0ELb0ES3_N6thrust23THRUST_200600_302600_NS6detail15normal_iteratorINS9_10device_ptrIiEEEENSB_INSC_IyEEEESG_yNS9_4plusIvEENS9_8equal_toIvEEyEE10hipError_tPvRmT2_T3_T4_T5_mT6_T7_P12ihipStream_tbENKUlT_T0_E_clISt17integral_constantIbLb0EES11_EEDaSW_SX_EUlSW_E_NS1_11comp_targetILNS1_3genE3ELNS1_11target_archE908ELNS1_3gpuE7ELNS1_3repE0EEENS1_30default_config_static_selectorELNS0_4arch9wavefront6targetE1EEEvT1_
; %bb.0:
	.section	.rodata,"a",@progbits
	.p2align	6, 0x0
	.amdhsa_kernel _ZN7rocprim17ROCPRIM_400000_NS6detail17trampoline_kernelINS0_14default_configENS1_27scan_by_key_config_selectorIiyEEZZNS1_16scan_by_key_implILNS1_25lookback_scan_determinismE0ELb0ES3_N6thrust23THRUST_200600_302600_NS6detail15normal_iteratorINS9_10device_ptrIiEEEENSB_INSC_IyEEEESG_yNS9_4plusIvEENS9_8equal_toIvEEyEE10hipError_tPvRmT2_T3_T4_T5_mT6_T7_P12ihipStream_tbENKUlT_T0_E_clISt17integral_constantIbLb0EES11_EEDaSW_SX_EUlSW_E_NS1_11comp_targetILNS1_3genE3ELNS1_11target_archE908ELNS1_3gpuE7ELNS1_3repE0EEENS1_30default_config_static_selectorELNS0_4arch9wavefront6targetE1EEEvT1_
		.amdhsa_group_segment_fixed_size 0
		.amdhsa_private_segment_fixed_size 0
		.amdhsa_kernarg_size 136
		.amdhsa_user_sgpr_count 2
		.amdhsa_user_sgpr_dispatch_ptr 0
		.amdhsa_user_sgpr_queue_ptr 0
		.amdhsa_user_sgpr_kernarg_segment_ptr 1
		.amdhsa_user_sgpr_dispatch_id 0
		.amdhsa_user_sgpr_kernarg_preload_length 0
		.amdhsa_user_sgpr_kernarg_preload_offset 0
		.amdhsa_user_sgpr_private_segment_size 0
		.amdhsa_uses_dynamic_stack 0
		.amdhsa_enable_private_segment 0
		.amdhsa_system_sgpr_workgroup_id_x 1
		.amdhsa_system_sgpr_workgroup_id_y 0
		.amdhsa_system_sgpr_workgroup_id_z 0
		.amdhsa_system_sgpr_workgroup_info 0
		.amdhsa_system_vgpr_workitem_id 0
		.amdhsa_next_free_vgpr 1
		.amdhsa_next_free_sgpr 0
		.amdhsa_accum_offset 4
		.amdhsa_reserve_vcc 0
		.amdhsa_float_round_mode_32 0
		.amdhsa_float_round_mode_16_64 0
		.amdhsa_float_denorm_mode_32 3
		.amdhsa_float_denorm_mode_16_64 3
		.amdhsa_dx10_clamp 1
		.amdhsa_ieee_mode 1
		.amdhsa_fp16_overflow 0
		.amdhsa_tg_split 0
		.amdhsa_exception_fp_ieee_invalid_op 0
		.amdhsa_exception_fp_denorm_src 0
		.amdhsa_exception_fp_ieee_div_zero 0
		.amdhsa_exception_fp_ieee_overflow 0
		.amdhsa_exception_fp_ieee_underflow 0
		.amdhsa_exception_fp_ieee_inexact 0
		.amdhsa_exception_int_div_zero 0
	.end_amdhsa_kernel
	.section	.text._ZN7rocprim17ROCPRIM_400000_NS6detail17trampoline_kernelINS0_14default_configENS1_27scan_by_key_config_selectorIiyEEZZNS1_16scan_by_key_implILNS1_25lookback_scan_determinismE0ELb0ES3_N6thrust23THRUST_200600_302600_NS6detail15normal_iteratorINS9_10device_ptrIiEEEENSB_INSC_IyEEEESG_yNS9_4plusIvEENS9_8equal_toIvEEyEE10hipError_tPvRmT2_T3_T4_T5_mT6_T7_P12ihipStream_tbENKUlT_T0_E_clISt17integral_constantIbLb0EES11_EEDaSW_SX_EUlSW_E_NS1_11comp_targetILNS1_3genE3ELNS1_11target_archE908ELNS1_3gpuE7ELNS1_3repE0EEENS1_30default_config_static_selectorELNS0_4arch9wavefront6targetE1EEEvT1_,"axG",@progbits,_ZN7rocprim17ROCPRIM_400000_NS6detail17trampoline_kernelINS0_14default_configENS1_27scan_by_key_config_selectorIiyEEZZNS1_16scan_by_key_implILNS1_25lookback_scan_determinismE0ELb0ES3_N6thrust23THRUST_200600_302600_NS6detail15normal_iteratorINS9_10device_ptrIiEEEENSB_INSC_IyEEEESG_yNS9_4plusIvEENS9_8equal_toIvEEyEE10hipError_tPvRmT2_T3_T4_T5_mT6_T7_P12ihipStream_tbENKUlT_T0_E_clISt17integral_constantIbLb0EES11_EEDaSW_SX_EUlSW_E_NS1_11comp_targetILNS1_3genE3ELNS1_11target_archE908ELNS1_3gpuE7ELNS1_3repE0EEENS1_30default_config_static_selectorELNS0_4arch9wavefront6targetE1EEEvT1_,comdat
.Lfunc_end1180:
	.size	_ZN7rocprim17ROCPRIM_400000_NS6detail17trampoline_kernelINS0_14default_configENS1_27scan_by_key_config_selectorIiyEEZZNS1_16scan_by_key_implILNS1_25lookback_scan_determinismE0ELb0ES3_N6thrust23THRUST_200600_302600_NS6detail15normal_iteratorINS9_10device_ptrIiEEEENSB_INSC_IyEEEESG_yNS9_4plusIvEENS9_8equal_toIvEEyEE10hipError_tPvRmT2_T3_T4_T5_mT6_T7_P12ihipStream_tbENKUlT_T0_E_clISt17integral_constantIbLb0EES11_EEDaSW_SX_EUlSW_E_NS1_11comp_targetILNS1_3genE3ELNS1_11target_archE908ELNS1_3gpuE7ELNS1_3repE0EEENS1_30default_config_static_selectorELNS0_4arch9wavefront6targetE1EEEvT1_, .Lfunc_end1180-_ZN7rocprim17ROCPRIM_400000_NS6detail17trampoline_kernelINS0_14default_configENS1_27scan_by_key_config_selectorIiyEEZZNS1_16scan_by_key_implILNS1_25lookback_scan_determinismE0ELb0ES3_N6thrust23THRUST_200600_302600_NS6detail15normal_iteratorINS9_10device_ptrIiEEEENSB_INSC_IyEEEESG_yNS9_4plusIvEENS9_8equal_toIvEEyEE10hipError_tPvRmT2_T3_T4_T5_mT6_T7_P12ihipStream_tbENKUlT_T0_E_clISt17integral_constantIbLb0EES11_EEDaSW_SX_EUlSW_E_NS1_11comp_targetILNS1_3genE3ELNS1_11target_archE908ELNS1_3gpuE7ELNS1_3repE0EEENS1_30default_config_static_selectorELNS0_4arch9wavefront6targetE1EEEvT1_
                                        ; -- End function
	.section	.AMDGPU.csdata,"",@progbits
; Kernel info:
; codeLenInByte = 0
; NumSgprs: 6
; NumVgprs: 0
; NumAgprs: 0
; TotalNumVgprs: 0
; ScratchSize: 0
; MemoryBound: 0
; FloatMode: 240
; IeeeMode: 1
; LDSByteSize: 0 bytes/workgroup (compile time only)
; SGPRBlocks: 0
; VGPRBlocks: 0
; NumSGPRsForWavesPerEU: 6
; NumVGPRsForWavesPerEU: 1
; AccumOffset: 4
; Occupancy: 8
; WaveLimiterHint : 0
; COMPUTE_PGM_RSRC2:SCRATCH_EN: 0
; COMPUTE_PGM_RSRC2:USER_SGPR: 2
; COMPUTE_PGM_RSRC2:TRAP_HANDLER: 0
; COMPUTE_PGM_RSRC2:TGID_X_EN: 1
; COMPUTE_PGM_RSRC2:TGID_Y_EN: 0
; COMPUTE_PGM_RSRC2:TGID_Z_EN: 0
; COMPUTE_PGM_RSRC2:TIDIG_COMP_CNT: 0
; COMPUTE_PGM_RSRC3_GFX90A:ACCUM_OFFSET: 0
; COMPUTE_PGM_RSRC3_GFX90A:TG_SPLIT: 0
	.section	.text._ZN7rocprim17ROCPRIM_400000_NS6detail17trampoline_kernelINS0_14default_configENS1_27scan_by_key_config_selectorIiyEEZZNS1_16scan_by_key_implILNS1_25lookback_scan_determinismE0ELb0ES3_N6thrust23THRUST_200600_302600_NS6detail15normal_iteratorINS9_10device_ptrIiEEEENSB_INSC_IyEEEESG_yNS9_4plusIvEENS9_8equal_toIvEEyEE10hipError_tPvRmT2_T3_T4_T5_mT6_T7_P12ihipStream_tbENKUlT_T0_E_clISt17integral_constantIbLb0EES11_EEDaSW_SX_EUlSW_E_NS1_11comp_targetILNS1_3genE2ELNS1_11target_archE906ELNS1_3gpuE6ELNS1_3repE0EEENS1_30default_config_static_selectorELNS0_4arch9wavefront6targetE1EEEvT1_,"axG",@progbits,_ZN7rocprim17ROCPRIM_400000_NS6detail17trampoline_kernelINS0_14default_configENS1_27scan_by_key_config_selectorIiyEEZZNS1_16scan_by_key_implILNS1_25lookback_scan_determinismE0ELb0ES3_N6thrust23THRUST_200600_302600_NS6detail15normal_iteratorINS9_10device_ptrIiEEEENSB_INSC_IyEEEESG_yNS9_4plusIvEENS9_8equal_toIvEEyEE10hipError_tPvRmT2_T3_T4_T5_mT6_T7_P12ihipStream_tbENKUlT_T0_E_clISt17integral_constantIbLb0EES11_EEDaSW_SX_EUlSW_E_NS1_11comp_targetILNS1_3genE2ELNS1_11target_archE906ELNS1_3gpuE6ELNS1_3repE0EEENS1_30default_config_static_selectorELNS0_4arch9wavefront6targetE1EEEvT1_,comdat
	.protected	_ZN7rocprim17ROCPRIM_400000_NS6detail17trampoline_kernelINS0_14default_configENS1_27scan_by_key_config_selectorIiyEEZZNS1_16scan_by_key_implILNS1_25lookback_scan_determinismE0ELb0ES3_N6thrust23THRUST_200600_302600_NS6detail15normal_iteratorINS9_10device_ptrIiEEEENSB_INSC_IyEEEESG_yNS9_4plusIvEENS9_8equal_toIvEEyEE10hipError_tPvRmT2_T3_T4_T5_mT6_T7_P12ihipStream_tbENKUlT_T0_E_clISt17integral_constantIbLb0EES11_EEDaSW_SX_EUlSW_E_NS1_11comp_targetILNS1_3genE2ELNS1_11target_archE906ELNS1_3gpuE6ELNS1_3repE0EEENS1_30default_config_static_selectorELNS0_4arch9wavefront6targetE1EEEvT1_ ; -- Begin function _ZN7rocprim17ROCPRIM_400000_NS6detail17trampoline_kernelINS0_14default_configENS1_27scan_by_key_config_selectorIiyEEZZNS1_16scan_by_key_implILNS1_25lookback_scan_determinismE0ELb0ES3_N6thrust23THRUST_200600_302600_NS6detail15normal_iteratorINS9_10device_ptrIiEEEENSB_INSC_IyEEEESG_yNS9_4plusIvEENS9_8equal_toIvEEyEE10hipError_tPvRmT2_T3_T4_T5_mT6_T7_P12ihipStream_tbENKUlT_T0_E_clISt17integral_constantIbLb0EES11_EEDaSW_SX_EUlSW_E_NS1_11comp_targetILNS1_3genE2ELNS1_11target_archE906ELNS1_3gpuE6ELNS1_3repE0EEENS1_30default_config_static_selectorELNS0_4arch9wavefront6targetE1EEEvT1_
	.globl	_ZN7rocprim17ROCPRIM_400000_NS6detail17trampoline_kernelINS0_14default_configENS1_27scan_by_key_config_selectorIiyEEZZNS1_16scan_by_key_implILNS1_25lookback_scan_determinismE0ELb0ES3_N6thrust23THRUST_200600_302600_NS6detail15normal_iteratorINS9_10device_ptrIiEEEENSB_INSC_IyEEEESG_yNS9_4plusIvEENS9_8equal_toIvEEyEE10hipError_tPvRmT2_T3_T4_T5_mT6_T7_P12ihipStream_tbENKUlT_T0_E_clISt17integral_constantIbLb0EES11_EEDaSW_SX_EUlSW_E_NS1_11comp_targetILNS1_3genE2ELNS1_11target_archE906ELNS1_3gpuE6ELNS1_3repE0EEENS1_30default_config_static_selectorELNS0_4arch9wavefront6targetE1EEEvT1_
	.p2align	8
	.type	_ZN7rocprim17ROCPRIM_400000_NS6detail17trampoline_kernelINS0_14default_configENS1_27scan_by_key_config_selectorIiyEEZZNS1_16scan_by_key_implILNS1_25lookback_scan_determinismE0ELb0ES3_N6thrust23THRUST_200600_302600_NS6detail15normal_iteratorINS9_10device_ptrIiEEEENSB_INSC_IyEEEESG_yNS9_4plusIvEENS9_8equal_toIvEEyEE10hipError_tPvRmT2_T3_T4_T5_mT6_T7_P12ihipStream_tbENKUlT_T0_E_clISt17integral_constantIbLb0EES11_EEDaSW_SX_EUlSW_E_NS1_11comp_targetILNS1_3genE2ELNS1_11target_archE906ELNS1_3gpuE6ELNS1_3repE0EEENS1_30default_config_static_selectorELNS0_4arch9wavefront6targetE1EEEvT1_,@function
_ZN7rocprim17ROCPRIM_400000_NS6detail17trampoline_kernelINS0_14default_configENS1_27scan_by_key_config_selectorIiyEEZZNS1_16scan_by_key_implILNS1_25lookback_scan_determinismE0ELb0ES3_N6thrust23THRUST_200600_302600_NS6detail15normal_iteratorINS9_10device_ptrIiEEEENSB_INSC_IyEEEESG_yNS9_4plusIvEENS9_8equal_toIvEEyEE10hipError_tPvRmT2_T3_T4_T5_mT6_T7_P12ihipStream_tbENKUlT_T0_E_clISt17integral_constantIbLb0EES11_EEDaSW_SX_EUlSW_E_NS1_11comp_targetILNS1_3genE2ELNS1_11target_archE906ELNS1_3gpuE6ELNS1_3repE0EEENS1_30default_config_static_selectorELNS0_4arch9wavefront6targetE1EEEvT1_: ; @_ZN7rocprim17ROCPRIM_400000_NS6detail17trampoline_kernelINS0_14default_configENS1_27scan_by_key_config_selectorIiyEEZZNS1_16scan_by_key_implILNS1_25lookback_scan_determinismE0ELb0ES3_N6thrust23THRUST_200600_302600_NS6detail15normal_iteratorINS9_10device_ptrIiEEEENSB_INSC_IyEEEESG_yNS9_4plusIvEENS9_8equal_toIvEEyEE10hipError_tPvRmT2_T3_T4_T5_mT6_T7_P12ihipStream_tbENKUlT_T0_E_clISt17integral_constantIbLb0EES11_EEDaSW_SX_EUlSW_E_NS1_11comp_targetILNS1_3genE2ELNS1_11target_archE906ELNS1_3gpuE6ELNS1_3repE0EEENS1_30default_config_static_selectorELNS0_4arch9wavefront6targetE1EEEvT1_
; %bb.0:
	.section	.rodata,"a",@progbits
	.p2align	6, 0x0
	.amdhsa_kernel _ZN7rocprim17ROCPRIM_400000_NS6detail17trampoline_kernelINS0_14default_configENS1_27scan_by_key_config_selectorIiyEEZZNS1_16scan_by_key_implILNS1_25lookback_scan_determinismE0ELb0ES3_N6thrust23THRUST_200600_302600_NS6detail15normal_iteratorINS9_10device_ptrIiEEEENSB_INSC_IyEEEESG_yNS9_4plusIvEENS9_8equal_toIvEEyEE10hipError_tPvRmT2_T3_T4_T5_mT6_T7_P12ihipStream_tbENKUlT_T0_E_clISt17integral_constantIbLb0EES11_EEDaSW_SX_EUlSW_E_NS1_11comp_targetILNS1_3genE2ELNS1_11target_archE906ELNS1_3gpuE6ELNS1_3repE0EEENS1_30default_config_static_selectorELNS0_4arch9wavefront6targetE1EEEvT1_
		.amdhsa_group_segment_fixed_size 0
		.amdhsa_private_segment_fixed_size 0
		.amdhsa_kernarg_size 136
		.amdhsa_user_sgpr_count 2
		.amdhsa_user_sgpr_dispatch_ptr 0
		.amdhsa_user_sgpr_queue_ptr 0
		.amdhsa_user_sgpr_kernarg_segment_ptr 1
		.amdhsa_user_sgpr_dispatch_id 0
		.amdhsa_user_sgpr_kernarg_preload_length 0
		.amdhsa_user_sgpr_kernarg_preload_offset 0
		.amdhsa_user_sgpr_private_segment_size 0
		.amdhsa_uses_dynamic_stack 0
		.amdhsa_enable_private_segment 0
		.amdhsa_system_sgpr_workgroup_id_x 1
		.amdhsa_system_sgpr_workgroup_id_y 0
		.amdhsa_system_sgpr_workgroup_id_z 0
		.amdhsa_system_sgpr_workgroup_info 0
		.amdhsa_system_vgpr_workitem_id 0
		.amdhsa_next_free_vgpr 1
		.amdhsa_next_free_sgpr 0
		.amdhsa_accum_offset 4
		.amdhsa_reserve_vcc 0
		.amdhsa_float_round_mode_32 0
		.amdhsa_float_round_mode_16_64 0
		.amdhsa_float_denorm_mode_32 3
		.amdhsa_float_denorm_mode_16_64 3
		.amdhsa_dx10_clamp 1
		.amdhsa_ieee_mode 1
		.amdhsa_fp16_overflow 0
		.amdhsa_tg_split 0
		.amdhsa_exception_fp_ieee_invalid_op 0
		.amdhsa_exception_fp_denorm_src 0
		.amdhsa_exception_fp_ieee_div_zero 0
		.amdhsa_exception_fp_ieee_overflow 0
		.amdhsa_exception_fp_ieee_underflow 0
		.amdhsa_exception_fp_ieee_inexact 0
		.amdhsa_exception_int_div_zero 0
	.end_amdhsa_kernel
	.section	.text._ZN7rocprim17ROCPRIM_400000_NS6detail17trampoline_kernelINS0_14default_configENS1_27scan_by_key_config_selectorIiyEEZZNS1_16scan_by_key_implILNS1_25lookback_scan_determinismE0ELb0ES3_N6thrust23THRUST_200600_302600_NS6detail15normal_iteratorINS9_10device_ptrIiEEEENSB_INSC_IyEEEESG_yNS9_4plusIvEENS9_8equal_toIvEEyEE10hipError_tPvRmT2_T3_T4_T5_mT6_T7_P12ihipStream_tbENKUlT_T0_E_clISt17integral_constantIbLb0EES11_EEDaSW_SX_EUlSW_E_NS1_11comp_targetILNS1_3genE2ELNS1_11target_archE906ELNS1_3gpuE6ELNS1_3repE0EEENS1_30default_config_static_selectorELNS0_4arch9wavefront6targetE1EEEvT1_,"axG",@progbits,_ZN7rocprim17ROCPRIM_400000_NS6detail17trampoline_kernelINS0_14default_configENS1_27scan_by_key_config_selectorIiyEEZZNS1_16scan_by_key_implILNS1_25lookback_scan_determinismE0ELb0ES3_N6thrust23THRUST_200600_302600_NS6detail15normal_iteratorINS9_10device_ptrIiEEEENSB_INSC_IyEEEESG_yNS9_4plusIvEENS9_8equal_toIvEEyEE10hipError_tPvRmT2_T3_T4_T5_mT6_T7_P12ihipStream_tbENKUlT_T0_E_clISt17integral_constantIbLb0EES11_EEDaSW_SX_EUlSW_E_NS1_11comp_targetILNS1_3genE2ELNS1_11target_archE906ELNS1_3gpuE6ELNS1_3repE0EEENS1_30default_config_static_selectorELNS0_4arch9wavefront6targetE1EEEvT1_,comdat
.Lfunc_end1181:
	.size	_ZN7rocprim17ROCPRIM_400000_NS6detail17trampoline_kernelINS0_14default_configENS1_27scan_by_key_config_selectorIiyEEZZNS1_16scan_by_key_implILNS1_25lookback_scan_determinismE0ELb0ES3_N6thrust23THRUST_200600_302600_NS6detail15normal_iteratorINS9_10device_ptrIiEEEENSB_INSC_IyEEEESG_yNS9_4plusIvEENS9_8equal_toIvEEyEE10hipError_tPvRmT2_T3_T4_T5_mT6_T7_P12ihipStream_tbENKUlT_T0_E_clISt17integral_constantIbLb0EES11_EEDaSW_SX_EUlSW_E_NS1_11comp_targetILNS1_3genE2ELNS1_11target_archE906ELNS1_3gpuE6ELNS1_3repE0EEENS1_30default_config_static_selectorELNS0_4arch9wavefront6targetE1EEEvT1_, .Lfunc_end1181-_ZN7rocprim17ROCPRIM_400000_NS6detail17trampoline_kernelINS0_14default_configENS1_27scan_by_key_config_selectorIiyEEZZNS1_16scan_by_key_implILNS1_25lookback_scan_determinismE0ELb0ES3_N6thrust23THRUST_200600_302600_NS6detail15normal_iteratorINS9_10device_ptrIiEEEENSB_INSC_IyEEEESG_yNS9_4plusIvEENS9_8equal_toIvEEyEE10hipError_tPvRmT2_T3_T4_T5_mT6_T7_P12ihipStream_tbENKUlT_T0_E_clISt17integral_constantIbLb0EES11_EEDaSW_SX_EUlSW_E_NS1_11comp_targetILNS1_3genE2ELNS1_11target_archE906ELNS1_3gpuE6ELNS1_3repE0EEENS1_30default_config_static_selectorELNS0_4arch9wavefront6targetE1EEEvT1_
                                        ; -- End function
	.section	.AMDGPU.csdata,"",@progbits
; Kernel info:
; codeLenInByte = 0
; NumSgprs: 6
; NumVgprs: 0
; NumAgprs: 0
; TotalNumVgprs: 0
; ScratchSize: 0
; MemoryBound: 0
; FloatMode: 240
; IeeeMode: 1
; LDSByteSize: 0 bytes/workgroup (compile time only)
; SGPRBlocks: 0
; VGPRBlocks: 0
; NumSGPRsForWavesPerEU: 6
; NumVGPRsForWavesPerEU: 1
; AccumOffset: 4
; Occupancy: 8
; WaveLimiterHint : 0
; COMPUTE_PGM_RSRC2:SCRATCH_EN: 0
; COMPUTE_PGM_RSRC2:USER_SGPR: 2
; COMPUTE_PGM_RSRC2:TRAP_HANDLER: 0
; COMPUTE_PGM_RSRC2:TGID_X_EN: 1
; COMPUTE_PGM_RSRC2:TGID_Y_EN: 0
; COMPUTE_PGM_RSRC2:TGID_Z_EN: 0
; COMPUTE_PGM_RSRC2:TIDIG_COMP_CNT: 0
; COMPUTE_PGM_RSRC3_GFX90A:ACCUM_OFFSET: 0
; COMPUTE_PGM_RSRC3_GFX90A:TG_SPLIT: 0
	.section	.text._ZN7rocprim17ROCPRIM_400000_NS6detail17trampoline_kernelINS0_14default_configENS1_27scan_by_key_config_selectorIiyEEZZNS1_16scan_by_key_implILNS1_25lookback_scan_determinismE0ELb0ES3_N6thrust23THRUST_200600_302600_NS6detail15normal_iteratorINS9_10device_ptrIiEEEENSB_INSC_IyEEEESG_yNS9_4plusIvEENS9_8equal_toIvEEyEE10hipError_tPvRmT2_T3_T4_T5_mT6_T7_P12ihipStream_tbENKUlT_T0_E_clISt17integral_constantIbLb0EES11_EEDaSW_SX_EUlSW_E_NS1_11comp_targetILNS1_3genE10ELNS1_11target_archE1200ELNS1_3gpuE4ELNS1_3repE0EEENS1_30default_config_static_selectorELNS0_4arch9wavefront6targetE1EEEvT1_,"axG",@progbits,_ZN7rocprim17ROCPRIM_400000_NS6detail17trampoline_kernelINS0_14default_configENS1_27scan_by_key_config_selectorIiyEEZZNS1_16scan_by_key_implILNS1_25lookback_scan_determinismE0ELb0ES3_N6thrust23THRUST_200600_302600_NS6detail15normal_iteratorINS9_10device_ptrIiEEEENSB_INSC_IyEEEESG_yNS9_4plusIvEENS9_8equal_toIvEEyEE10hipError_tPvRmT2_T3_T4_T5_mT6_T7_P12ihipStream_tbENKUlT_T0_E_clISt17integral_constantIbLb0EES11_EEDaSW_SX_EUlSW_E_NS1_11comp_targetILNS1_3genE10ELNS1_11target_archE1200ELNS1_3gpuE4ELNS1_3repE0EEENS1_30default_config_static_selectorELNS0_4arch9wavefront6targetE1EEEvT1_,comdat
	.protected	_ZN7rocprim17ROCPRIM_400000_NS6detail17trampoline_kernelINS0_14default_configENS1_27scan_by_key_config_selectorIiyEEZZNS1_16scan_by_key_implILNS1_25lookback_scan_determinismE0ELb0ES3_N6thrust23THRUST_200600_302600_NS6detail15normal_iteratorINS9_10device_ptrIiEEEENSB_INSC_IyEEEESG_yNS9_4plusIvEENS9_8equal_toIvEEyEE10hipError_tPvRmT2_T3_T4_T5_mT6_T7_P12ihipStream_tbENKUlT_T0_E_clISt17integral_constantIbLb0EES11_EEDaSW_SX_EUlSW_E_NS1_11comp_targetILNS1_3genE10ELNS1_11target_archE1200ELNS1_3gpuE4ELNS1_3repE0EEENS1_30default_config_static_selectorELNS0_4arch9wavefront6targetE1EEEvT1_ ; -- Begin function _ZN7rocprim17ROCPRIM_400000_NS6detail17trampoline_kernelINS0_14default_configENS1_27scan_by_key_config_selectorIiyEEZZNS1_16scan_by_key_implILNS1_25lookback_scan_determinismE0ELb0ES3_N6thrust23THRUST_200600_302600_NS6detail15normal_iteratorINS9_10device_ptrIiEEEENSB_INSC_IyEEEESG_yNS9_4plusIvEENS9_8equal_toIvEEyEE10hipError_tPvRmT2_T3_T4_T5_mT6_T7_P12ihipStream_tbENKUlT_T0_E_clISt17integral_constantIbLb0EES11_EEDaSW_SX_EUlSW_E_NS1_11comp_targetILNS1_3genE10ELNS1_11target_archE1200ELNS1_3gpuE4ELNS1_3repE0EEENS1_30default_config_static_selectorELNS0_4arch9wavefront6targetE1EEEvT1_
	.globl	_ZN7rocprim17ROCPRIM_400000_NS6detail17trampoline_kernelINS0_14default_configENS1_27scan_by_key_config_selectorIiyEEZZNS1_16scan_by_key_implILNS1_25lookback_scan_determinismE0ELb0ES3_N6thrust23THRUST_200600_302600_NS6detail15normal_iteratorINS9_10device_ptrIiEEEENSB_INSC_IyEEEESG_yNS9_4plusIvEENS9_8equal_toIvEEyEE10hipError_tPvRmT2_T3_T4_T5_mT6_T7_P12ihipStream_tbENKUlT_T0_E_clISt17integral_constantIbLb0EES11_EEDaSW_SX_EUlSW_E_NS1_11comp_targetILNS1_3genE10ELNS1_11target_archE1200ELNS1_3gpuE4ELNS1_3repE0EEENS1_30default_config_static_selectorELNS0_4arch9wavefront6targetE1EEEvT1_
	.p2align	8
	.type	_ZN7rocprim17ROCPRIM_400000_NS6detail17trampoline_kernelINS0_14default_configENS1_27scan_by_key_config_selectorIiyEEZZNS1_16scan_by_key_implILNS1_25lookback_scan_determinismE0ELb0ES3_N6thrust23THRUST_200600_302600_NS6detail15normal_iteratorINS9_10device_ptrIiEEEENSB_INSC_IyEEEESG_yNS9_4plusIvEENS9_8equal_toIvEEyEE10hipError_tPvRmT2_T3_T4_T5_mT6_T7_P12ihipStream_tbENKUlT_T0_E_clISt17integral_constantIbLb0EES11_EEDaSW_SX_EUlSW_E_NS1_11comp_targetILNS1_3genE10ELNS1_11target_archE1200ELNS1_3gpuE4ELNS1_3repE0EEENS1_30default_config_static_selectorELNS0_4arch9wavefront6targetE1EEEvT1_,@function
_ZN7rocprim17ROCPRIM_400000_NS6detail17trampoline_kernelINS0_14default_configENS1_27scan_by_key_config_selectorIiyEEZZNS1_16scan_by_key_implILNS1_25lookback_scan_determinismE0ELb0ES3_N6thrust23THRUST_200600_302600_NS6detail15normal_iteratorINS9_10device_ptrIiEEEENSB_INSC_IyEEEESG_yNS9_4plusIvEENS9_8equal_toIvEEyEE10hipError_tPvRmT2_T3_T4_T5_mT6_T7_P12ihipStream_tbENKUlT_T0_E_clISt17integral_constantIbLb0EES11_EEDaSW_SX_EUlSW_E_NS1_11comp_targetILNS1_3genE10ELNS1_11target_archE1200ELNS1_3gpuE4ELNS1_3repE0EEENS1_30default_config_static_selectorELNS0_4arch9wavefront6targetE1EEEvT1_: ; @_ZN7rocprim17ROCPRIM_400000_NS6detail17trampoline_kernelINS0_14default_configENS1_27scan_by_key_config_selectorIiyEEZZNS1_16scan_by_key_implILNS1_25lookback_scan_determinismE0ELb0ES3_N6thrust23THRUST_200600_302600_NS6detail15normal_iteratorINS9_10device_ptrIiEEEENSB_INSC_IyEEEESG_yNS9_4plusIvEENS9_8equal_toIvEEyEE10hipError_tPvRmT2_T3_T4_T5_mT6_T7_P12ihipStream_tbENKUlT_T0_E_clISt17integral_constantIbLb0EES11_EEDaSW_SX_EUlSW_E_NS1_11comp_targetILNS1_3genE10ELNS1_11target_archE1200ELNS1_3gpuE4ELNS1_3repE0EEENS1_30default_config_static_selectorELNS0_4arch9wavefront6targetE1EEEvT1_
; %bb.0:
	.section	.rodata,"a",@progbits
	.p2align	6, 0x0
	.amdhsa_kernel _ZN7rocprim17ROCPRIM_400000_NS6detail17trampoline_kernelINS0_14default_configENS1_27scan_by_key_config_selectorIiyEEZZNS1_16scan_by_key_implILNS1_25lookback_scan_determinismE0ELb0ES3_N6thrust23THRUST_200600_302600_NS6detail15normal_iteratorINS9_10device_ptrIiEEEENSB_INSC_IyEEEESG_yNS9_4plusIvEENS9_8equal_toIvEEyEE10hipError_tPvRmT2_T3_T4_T5_mT6_T7_P12ihipStream_tbENKUlT_T0_E_clISt17integral_constantIbLb0EES11_EEDaSW_SX_EUlSW_E_NS1_11comp_targetILNS1_3genE10ELNS1_11target_archE1200ELNS1_3gpuE4ELNS1_3repE0EEENS1_30default_config_static_selectorELNS0_4arch9wavefront6targetE1EEEvT1_
		.amdhsa_group_segment_fixed_size 0
		.amdhsa_private_segment_fixed_size 0
		.amdhsa_kernarg_size 136
		.amdhsa_user_sgpr_count 2
		.amdhsa_user_sgpr_dispatch_ptr 0
		.amdhsa_user_sgpr_queue_ptr 0
		.amdhsa_user_sgpr_kernarg_segment_ptr 1
		.amdhsa_user_sgpr_dispatch_id 0
		.amdhsa_user_sgpr_kernarg_preload_length 0
		.amdhsa_user_sgpr_kernarg_preload_offset 0
		.amdhsa_user_sgpr_private_segment_size 0
		.amdhsa_uses_dynamic_stack 0
		.amdhsa_enable_private_segment 0
		.amdhsa_system_sgpr_workgroup_id_x 1
		.amdhsa_system_sgpr_workgroup_id_y 0
		.amdhsa_system_sgpr_workgroup_id_z 0
		.amdhsa_system_sgpr_workgroup_info 0
		.amdhsa_system_vgpr_workitem_id 0
		.amdhsa_next_free_vgpr 1
		.amdhsa_next_free_sgpr 0
		.amdhsa_accum_offset 4
		.amdhsa_reserve_vcc 0
		.amdhsa_float_round_mode_32 0
		.amdhsa_float_round_mode_16_64 0
		.amdhsa_float_denorm_mode_32 3
		.amdhsa_float_denorm_mode_16_64 3
		.amdhsa_dx10_clamp 1
		.amdhsa_ieee_mode 1
		.amdhsa_fp16_overflow 0
		.amdhsa_tg_split 0
		.amdhsa_exception_fp_ieee_invalid_op 0
		.amdhsa_exception_fp_denorm_src 0
		.amdhsa_exception_fp_ieee_div_zero 0
		.amdhsa_exception_fp_ieee_overflow 0
		.amdhsa_exception_fp_ieee_underflow 0
		.amdhsa_exception_fp_ieee_inexact 0
		.amdhsa_exception_int_div_zero 0
	.end_amdhsa_kernel
	.section	.text._ZN7rocprim17ROCPRIM_400000_NS6detail17trampoline_kernelINS0_14default_configENS1_27scan_by_key_config_selectorIiyEEZZNS1_16scan_by_key_implILNS1_25lookback_scan_determinismE0ELb0ES3_N6thrust23THRUST_200600_302600_NS6detail15normal_iteratorINS9_10device_ptrIiEEEENSB_INSC_IyEEEESG_yNS9_4plusIvEENS9_8equal_toIvEEyEE10hipError_tPvRmT2_T3_T4_T5_mT6_T7_P12ihipStream_tbENKUlT_T0_E_clISt17integral_constantIbLb0EES11_EEDaSW_SX_EUlSW_E_NS1_11comp_targetILNS1_3genE10ELNS1_11target_archE1200ELNS1_3gpuE4ELNS1_3repE0EEENS1_30default_config_static_selectorELNS0_4arch9wavefront6targetE1EEEvT1_,"axG",@progbits,_ZN7rocprim17ROCPRIM_400000_NS6detail17trampoline_kernelINS0_14default_configENS1_27scan_by_key_config_selectorIiyEEZZNS1_16scan_by_key_implILNS1_25lookback_scan_determinismE0ELb0ES3_N6thrust23THRUST_200600_302600_NS6detail15normal_iteratorINS9_10device_ptrIiEEEENSB_INSC_IyEEEESG_yNS9_4plusIvEENS9_8equal_toIvEEyEE10hipError_tPvRmT2_T3_T4_T5_mT6_T7_P12ihipStream_tbENKUlT_T0_E_clISt17integral_constantIbLb0EES11_EEDaSW_SX_EUlSW_E_NS1_11comp_targetILNS1_3genE10ELNS1_11target_archE1200ELNS1_3gpuE4ELNS1_3repE0EEENS1_30default_config_static_selectorELNS0_4arch9wavefront6targetE1EEEvT1_,comdat
.Lfunc_end1182:
	.size	_ZN7rocprim17ROCPRIM_400000_NS6detail17trampoline_kernelINS0_14default_configENS1_27scan_by_key_config_selectorIiyEEZZNS1_16scan_by_key_implILNS1_25lookback_scan_determinismE0ELb0ES3_N6thrust23THRUST_200600_302600_NS6detail15normal_iteratorINS9_10device_ptrIiEEEENSB_INSC_IyEEEESG_yNS9_4plusIvEENS9_8equal_toIvEEyEE10hipError_tPvRmT2_T3_T4_T5_mT6_T7_P12ihipStream_tbENKUlT_T0_E_clISt17integral_constantIbLb0EES11_EEDaSW_SX_EUlSW_E_NS1_11comp_targetILNS1_3genE10ELNS1_11target_archE1200ELNS1_3gpuE4ELNS1_3repE0EEENS1_30default_config_static_selectorELNS0_4arch9wavefront6targetE1EEEvT1_, .Lfunc_end1182-_ZN7rocprim17ROCPRIM_400000_NS6detail17trampoline_kernelINS0_14default_configENS1_27scan_by_key_config_selectorIiyEEZZNS1_16scan_by_key_implILNS1_25lookback_scan_determinismE0ELb0ES3_N6thrust23THRUST_200600_302600_NS6detail15normal_iteratorINS9_10device_ptrIiEEEENSB_INSC_IyEEEESG_yNS9_4plusIvEENS9_8equal_toIvEEyEE10hipError_tPvRmT2_T3_T4_T5_mT6_T7_P12ihipStream_tbENKUlT_T0_E_clISt17integral_constantIbLb0EES11_EEDaSW_SX_EUlSW_E_NS1_11comp_targetILNS1_3genE10ELNS1_11target_archE1200ELNS1_3gpuE4ELNS1_3repE0EEENS1_30default_config_static_selectorELNS0_4arch9wavefront6targetE1EEEvT1_
                                        ; -- End function
	.section	.AMDGPU.csdata,"",@progbits
; Kernel info:
; codeLenInByte = 0
; NumSgprs: 6
; NumVgprs: 0
; NumAgprs: 0
; TotalNumVgprs: 0
; ScratchSize: 0
; MemoryBound: 0
; FloatMode: 240
; IeeeMode: 1
; LDSByteSize: 0 bytes/workgroup (compile time only)
; SGPRBlocks: 0
; VGPRBlocks: 0
; NumSGPRsForWavesPerEU: 6
; NumVGPRsForWavesPerEU: 1
; AccumOffset: 4
; Occupancy: 8
; WaveLimiterHint : 0
; COMPUTE_PGM_RSRC2:SCRATCH_EN: 0
; COMPUTE_PGM_RSRC2:USER_SGPR: 2
; COMPUTE_PGM_RSRC2:TRAP_HANDLER: 0
; COMPUTE_PGM_RSRC2:TGID_X_EN: 1
; COMPUTE_PGM_RSRC2:TGID_Y_EN: 0
; COMPUTE_PGM_RSRC2:TGID_Z_EN: 0
; COMPUTE_PGM_RSRC2:TIDIG_COMP_CNT: 0
; COMPUTE_PGM_RSRC3_GFX90A:ACCUM_OFFSET: 0
; COMPUTE_PGM_RSRC3_GFX90A:TG_SPLIT: 0
	.section	.text._ZN7rocprim17ROCPRIM_400000_NS6detail17trampoline_kernelINS0_14default_configENS1_27scan_by_key_config_selectorIiyEEZZNS1_16scan_by_key_implILNS1_25lookback_scan_determinismE0ELb0ES3_N6thrust23THRUST_200600_302600_NS6detail15normal_iteratorINS9_10device_ptrIiEEEENSB_INSC_IyEEEESG_yNS9_4plusIvEENS9_8equal_toIvEEyEE10hipError_tPvRmT2_T3_T4_T5_mT6_T7_P12ihipStream_tbENKUlT_T0_E_clISt17integral_constantIbLb0EES11_EEDaSW_SX_EUlSW_E_NS1_11comp_targetILNS1_3genE9ELNS1_11target_archE1100ELNS1_3gpuE3ELNS1_3repE0EEENS1_30default_config_static_selectorELNS0_4arch9wavefront6targetE1EEEvT1_,"axG",@progbits,_ZN7rocprim17ROCPRIM_400000_NS6detail17trampoline_kernelINS0_14default_configENS1_27scan_by_key_config_selectorIiyEEZZNS1_16scan_by_key_implILNS1_25lookback_scan_determinismE0ELb0ES3_N6thrust23THRUST_200600_302600_NS6detail15normal_iteratorINS9_10device_ptrIiEEEENSB_INSC_IyEEEESG_yNS9_4plusIvEENS9_8equal_toIvEEyEE10hipError_tPvRmT2_T3_T4_T5_mT6_T7_P12ihipStream_tbENKUlT_T0_E_clISt17integral_constantIbLb0EES11_EEDaSW_SX_EUlSW_E_NS1_11comp_targetILNS1_3genE9ELNS1_11target_archE1100ELNS1_3gpuE3ELNS1_3repE0EEENS1_30default_config_static_selectorELNS0_4arch9wavefront6targetE1EEEvT1_,comdat
	.protected	_ZN7rocprim17ROCPRIM_400000_NS6detail17trampoline_kernelINS0_14default_configENS1_27scan_by_key_config_selectorIiyEEZZNS1_16scan_by_key_implILNS1_25lookback_scan_determinismE0ELb0ES3_N6thrust23THRUST_200600_302600_NS6detail15normal_iteratorINS9_10device_ptrIiEEEENSB_INSC_IyEEEESG_yNS9_4plusIvEENS9_8equal_toIvEEyEE10hipError_tPvRmT2_T3_T4_T5_mT6_T7_P12ihipStream_tbENKUlT_T0_E_clISt17integral_constantIbLb0EES11_EEDaSW_SX_EUlSW_E_NS1_11comp_targetILNS1_3genE9ELNS1_11target_archE1100ELNS1_3gpuE3ELNS1_3repE0EEENS1_30default_config_static_selectorELNS0_4arch9wavefront6targetE1EEEvT1_ ; -- Begin function _ZN7rocprim17ROCPRIM_400000_NS6detail17trampoline_kernelINS0_14default_configENS1_27scan_by_key_config_selectorIiyEEZZNS1_16scan_by_key_implILNS1_25lookback_scan_determinismE0ELb0ES3_N6thrust23THRUST_200600_302600_NS6detail15normal_iteratorINS9_10device_ptrIiEEEENSB_INSC_IyEEEESG_yNS9_4plusIvEENS9_8equal_toIvEEyEE10hipError_tPvRmT2_T3_T4_T5_mT6_T7_P12ihipStream_tbENKUlT_T0_E_clISt17integral_constantIbLb0EES11_EEDaSW_SX_EUlSW_E_NS1_11comp_targetILNS1_3genE9ELNS1_11target_archE1100ELNS1_3gpuE3ELNS1_3repE0EEENS1_30default_config_static_selectorELNS0_4arch9wavefront6targetE1EEEvT1_
	.globl	_ZN7rocprim17ROCPRIM_400000_NS6detail17trampoline_kernelINS0_14default_configENS1_27scan_by_key_config_selectorIiyEEZZNS1_16scan_by_key_implILNS1_25lookback_scan_determinismE0ELb0ES3_N6thrust23THRUST_200600_302600_NS6detail15normal_iteratorINS9_10device_ptrIiEEEENSB_INSC_IyEEEESG_yNS9_4plusIvEENS9_8equal_toIvEEyEE10hipError_tPvRmT2_T3_T4_T5_mT6_T7_P12ihipStream_tbENKUlT_T0_E_clISt17integral_constantIbLb0EES11_EEDaSW_SX_EUlSW_E_NS1_11comp_targetILNS1_3genE9ELNS1_11target_archE1100ELNS1_3gpuE3ELNS1_3repE0EEENS1_30default_config_static_selectorELNS0_4arch9wavefront6targetE1EEEvT1_
	.p2align	8
	.type	_ZN7rocprim17ROCPRIM_400000_NS6detail17trampoline_kernelINS0_14default_configENS1_27scan_by_key_config_selectorIiyEEZZNS1_16scan_by_key_implILNS1_25lookback_scan_determinismE0ELb0ES3_N6thrust23THRUST_200600_302600_NS6detail15normal_iteratorINS9_10device_ptrIiEEEENSB_INSC_IyEEEESG_yNS9_4plusIvEENS9_8equal_toIvEEyEE10hipError_tPvRmT2_T3_T4_T5_mT6_T7_P12ihipStream_tbENKUlT_T0_E_clISt17integral_constantIbLb0EES11_EEDaSW_SX_EUlSW_E_NS1_11comp_targetILNS1_3genE9ELNS1_11target_archE1100ELNS1_3gpuE3ELNS1_3repE0EEENS1_30default_config_static_selectorELNS0_4arch9wavefront6targetE1EEEvT1_,@function
_ZN7rocprim17ROCPRIM_400000_NS6detail17trampoline_kernelINS0_14default_configENS1_27scan_by_key_config_selectorIiyEEZZNS1_16scan_by_key_implILNS1_25lookback_scan_determinismE0ELb0ES3_N6thrust23THRUST_200600_302600_NS6detail15normal_iteratorINS9_10device_ptrIiEEEENSB_INSC_IyEEEESG_yNS9_4plusIvEENS9_8equal_toIvEEyEE10hipError_tPvRmT2_T3_T4_T5_mT6_T7_P12ihipStream_tbENKUlT_T0_E_clISt17integral_constantIbLb0EES11_EEDaSW_SX_EUlSW_E_NS1_11comp_targetILNS1_3genE9ELNS1_11target_archE1100ELNS1_3gpuE3ELNS1_3repE0EEENS1_30default_config_static_selectorELNS0_4arch9wavefront6targetE1EEEvT1_: ; @_ZN7rocprim17ROCPRIM_400000_NS6detail17trampoline_kernelINS0_14default_configENS1_27scan_by_key_config_selectorIiyEEZZNS1_16scan_by_key_implILNS1_25lookback_scan_determinismE0ELb0ES3_N6thrust23THRUST_200600_302600_NS6detail15normal_iteratorINS9_10device_ptrIiEEEENSB_INSC_IyEEEESG_yNS9_4plusIvEENS9_8equal_toIvEEyEE10hipError_tPvRmT2_T3_T4_T5_mT6_T7_P12ihipStream_tbENKUlT_T0_E_clISt17integral_constantIbLb0EES11_EEDaSW_SX_EUlSW_E_NS1_11comp_targetILNS1_3genE9ELNS1_11target_archE1100ELNS1_3gpuE3ELNS1_3repE0EEENS1_30default_config_static_selectorELNS0_4arch9wavefront6targetE1EEEvT1_
; %bb.0:
	.section	.rodata,"a",@progbits
	.p2align	6, 0x0
	.amdhsa_kernel _ZN7rocprim17ROCPRIM_400000_NS6detail17trampoline_kernelINS0_14default_configENS1_27scan_by_key_config_selectorIiyEEZZNS1_16scan_by_key_implILNS1_25lookback_scan_determinismE0ELb0ES3_N6thrust23THRUST_200600_302600_NS6detail15normal_iteratorINS9_10device_ptrIiEEEENSB_INSC_IyEEEESG_yNS9_4plusIvEENS9_8equal_toIvEEyEE10hipError_tPvRmT2_T3_T4_T5_mT6_T7_P12ihipStream_tbENKUlT_T0_E_clISt17integral_constantIbLb0EES11_EEDaSW_SX_EUlSW_E_NS1_11comp_targetILNS1_3genE9ELNS1_11target_archE1100ELNS1_3gpuE3ELNS1_3repE0EEENS1_30default_config_static_selectorELNS0_4arch9wavefront6targetE1EEEvT1_
		.amdhsa_group_segment_fixed_size 0
		.amdhsa_private_segment_fixed_size 0
		.amdhsa_kernarg_size 136
		.amdhsa_user_sgpr_count 2
		.amdhsa_user_sgpr_dispatch_ptr 0
		.amdhsa_user_sgpr_queue_ptr 0
		.amdhsa_user_sgpr_kernarg_segment_ptr 1
		.amdhsa_user_sgpr_dispatch_id 0
		.amdhsa_user_sgpr_kernarg_preload_length 0
		.amdhsa_user_sgpr_kernarg_preload_offset 0
		.amdhsa_user_sgpr_private_segment_size 0
		.amdhsa_uses_dynamic_stack 0
		.amdhsa_enable_private_segment 0
		.amdhsa_system_sgpr_workgroup_id_x 1
		.amdhsa_system_sgpr_workgroup_id_y 0
		.amdhsa_system_sgpr_workgroup_id_z 0
		.amdhsa_system_sgpr_workgroup_info 0
		.amdhsa_system_vgpr_workitem_id 0
		.amdhsa_next_free_vgpr 1
		.amdhsa_next_free_sgpr 0
		.amdhsa_accum_offset 4
		.amdhsa_reserve_vcc 0
		.amdhsa_float_round_mode_32 0
		.amdhsa_float_round_mode_16_64 0
		.amdhsa_float_denorm_mode_32 3
		.amdhsa_float_denorm_mode_16_64 3
		.amdhsa_dx10_clamp 1
		.amdhsa_ieee_mode 1
		.amdhsa_fp16_overflow 0
		.amdhsa_tg_split 0
		.amdhsa_exception_fp_ieee_invalid_op 0
		.amdhsa_exception_fp_denorm_src 0
		.amdhsa_exception_fp_ieee_div_zero 0
		.amdhsa_exception_fp_ieee_overflow 0
		.amdhsa_exception_fp_ieee_underflow 0
		.amdhsa_exception_fp_ieee_inexact 0
		.amdhsa_exception_int_div_zero 0
	.end_amdhsa_kernel
	.section	.text._ZN7rocprim17ROCPRIM_400000_NS6detail17trampoline_kernelINS0_14default_configENS1_27scan_by_key_config_selectorIiyEEZZNS1_16scan_by_key_implILNS1_25lookback_scan_determinismE0ELb0ES3_N6thrust23THRUST_200600_302600_NS6detail15normal_iteratorINS9_10device_ptrIiEEEENSB_INSC_IyEEEESG_yNS9_4plusIvEENS9_8equal_toIvEEyEE10hipError_tPvRmT2_T3_T4_T5_mT6_T7_P12ihipStream_tbENKUlT_T0_E_clISt17integral_constantIbLb0EES11_EEDaSW_SX_EUlSW_E_NS1_11comp_targetILNS1_3genE9ELNS1_11target_archE1100ELNS1_3gpuE3ELNS1_3repE0EEENS1_30default_config_static_selectorELNS0_4arch9wavefront6targetE1EEEvT1_,"axG",@progbits,_ZN7rocprim17ROCPRIM_400000_NS6detail17trampoline_kernelINS0_14default_configENS1_27scan_by_key_config_selectorIiyEEZZNS1_16scan_by_key_implILNS1_25lookback_scan_determinismE0ELb0ES3_N6thrust23THRUST_200600_302600_NS6detail15normal_iteratorINS9_10device_ptrIiEEEENSB_INSC_IyEEEESG_yNS9_4plusIvEENS9_8equal_toIvEEyEE10hipError_tPvRmT2_T3_T4_T5_mT6_T7_P12ihipStream_tbENKUlT_T0_E_clISt17integral_constantIbLb0EES11_EEDaSW_SX_EUlSW_E_NS1_11comp_targetILNS1_3genE9ELNS1_11target_archE1100ELNS1_3gpuE3ELNS1_3repE0EEENS1_30default_config_static_selectorELNS0_4arch9wavefront6targetE1EEEvT1_,comdat
.Lfunc_end1183:
	.size	_ZN7rocprim17ROCPRIM_400000_NS6detail17trampoline_kernelINS0_14default_configENS1_27scan_by_key_config_selectorIiyEEZZNS1_16scan_by_key_implILNS1_25lookback_scan_determinismE0ELb0ES3_N6thrust23THRUST_200600_302600_NS6detail15normal_iteratorINS9_10device_ptrIiEEEENSB_INSC_IyEEEESG_yNS9_4plusIvEENS9_8equal_toIvEEyEE10hipError_tPvRmT2_T3_T4_T5_mT6_T7_P12ihipStream_tbENKUlT_T0_E_clISt17integral_constantIbLb0EES11_EEDaSW_SX_EUlSW_E_NS1_11comp_targetILNS1_3genE9ELNS1_11target_archE1100ELNS1_3gpuE3ELNS1_3repE0EEENS1_30default_config_static_selectorELNS0_4arch9wavefront6targetE1EEEvT1_, .Lfunc_end1183-_ZN7rocprim17ROCPRIM_400000_NS6detail17trampoline_kernelINS0_14default_configENS1_27scan_by_key_config_selectorIiyEEZZNS1_16scan_by_key_implILNS1_25lookback_scan_determinismE0ELb0ES3_N6thrust23THRUST_200600_302600_NS6detail15normal_iteratorINS9_10device_ptrIiEEEENSB_INSC_IyEEEESG_yNS9_4plusIvEENS9_8equal_toIvEEyEE10hipError_tPvRmT2_T3_T4_T5_mT6_T7_P12ihipStream_tbENKUlT_T0_E_clISt17integral_constantIbLb0EES11_EEDaSW_SX_EUlSW_E_NS1_11comp_targetILNS1_3genE9ELNS1_11target_archE1100ELNS1_3gpuE3ELNS1_3repE0EEENS1_30default_config_static_selectorELNS0_4arch9wavefront6targetE1EEEvT1_
                                        ; -- End function
	.section	.AMDGPU.csdata,"",@progbits
; Kernel info:
; codeLenInByte = 0
; NumSgprs: 6
; NumVgprs: 0
; NumAgprs: 0
; TotalNumVgprs: 0
; ScratchSize: 0
; MemoryBound: 0
; FloatMode: 240
; IeeeMode: 1
; LDSByteSize: 0 bytes/workgroup (compile time only)
; SGPRBlocks: 0
; VGPRBlocks: 0
; NumSGPRsForWavesPerEU: 6
; NumVGPRsForWavesPerEU: 1
; AccumOffset: 4
; Occupancy: 8
; WaveLimiterHint : 0
; COMPUTE_PGM_RSRC2:SCRATCH_EN: 0
; COMPUTE_PGM_RSRC2:USER_SGPR: 2
; COMPUTE_PGM_RSRC2:TRAP_HANDLER: 0
; COMPUTE_PGM_RSRC2:TGID_X_EN: 1
; COMPUTE_PGM_RSRC2:TGID_Y_EN: 0
; COMPUTE_PGM_RSRC2:TGID_Z_EN: 0
; COMPUTE_PGM_RSRC2:TIDIG_COMP_CNT: 0
; COMPUTE_PGM_RSRC3_GFX90A:ACCUM_OFFSET: 0
; COMPUTE_PGM_RSRC3_GFX90A:TG_SPLIT: 0
	.section	.text._ZN7rocprim17ROCPRIM_400000_NS6detail17trampoline_kernelINS0_14default_configENS1_27scan_by_key_config_selectorIiyEEZZNS1_16scan_by_key_implILNS1_25lookback_scan_determinismE0ELb0ES3_N6thrust23THRUST_200600_302600_NS6detail15normal_iteratorINS9_10device_ptrIiEEEENSB_INSC_IyEEEESG_yNS9_4plusIvEENS9_8equal_toIvEEyEE10hipError_tPvRmT2_T3_T4_T5_mT6_T7_P12ihipStream_tbENKUlT_T0_E_clISt17integral_constantIbLb0EES11_EEDaSW_SX_EUlSW_E_NS1_11comp_targetILNS1_3genE8ELNS1_11target_archE1030ELNS1_3gpuE2ELNS1_3repE0EEENS1_30default_config_static_selectorELNS0_4arch9wavefront6targetE1EEEvT1_,"axG",@progbits,_ZN7rocprim17ROCPRIM_400000_NS6detail17trampoline_kernelINS0_14default_configENS1_27scan_by_key_config_selectorIiyEEZZNS1_16scan_by_key_implILNS1_25lookback_scan_determinismE0ELb0ES3_N6thrust23THRUST_200600_302600_NS6detail15normal_iteratorINS9_10device_ptrIiEEEENSB_INSC_IyEEEESG_yNS9_4plusIvEENS9_8equal_toIvEEyEE10hipError_tPvRmT2_T3_T4_T5_mT6_T7_P12ihipStream_tbENKUlT_T0_E_clISt17integral_constantIbLb0EES11_EEDaSW_SX_EUlSW_E_NS1_11comp_targetILNS1_3genE8ELNS1_11target_archE1030ELNS1_3gpuE2ELNS1_3repE0EEENS1_30default_config_static_selectorELNS0_4arch9wavefront6targetE1EEEvT1_,comdat
	.protected	_ZN7rocprim17ROCPRIM_400000_NS6detail17trampoline_kernelINS0_14default_configENS1_27scan_by_key_config_selectorIiyEEZZNS1_16scan_by_key_implILNS1_25lookback_scan_determinismE0ELb0ES3_N6thrust23THRUST_200600_302600_NS6detail15normal_iteratorINS9_10device_ptrIiEEEENSB_INSC_IyEEEESG_yNS9_4plusIvEENS9_8equal_toIvEEyEE10hipError_tPvRmT2_T3_T4_T5_mT6_T7_P12ihipStream_tbENKUlT_T0_E_clISt17integral_constantIbLb0EES11_EEDaSW_SX_EUlSW_E_NS1_11comp_targetILNS1_3genE8ELNS1_11target_archE1030ELNS1_3gpuE2ELNS1_3repE0EEENS1_30default_config_static_selectorELNS0_4arch9wavefront6targetE1EEEvT1_ ; -- Begin function _ZN7rocprim17ROCPRIM_400000_NS6detail17trampoline_kernelINS0_14default_configENS1_27scan_by_key_config_selectorIiyEEZZNS1_16scan_by_key_implILNS1_25lookback_scan_determinismE0ELb0ES3_N6thrust23THRUST_200600_302600_NS6detail15normal_iteratorINS9_10device_ptrIiEEEENSB_INSC_IyEEEESG_yNS9_4plusIvEENS9_8equal_toIvEEyEE10hipError_tPvRmT2_T3_T4_T5_mT6_T7_P12ihipStream_tbENKUlT_T0_E_clISt17integral_constantIbLb0EES11_EEDaSW_SX_EUlSW_E_NS1_11comp_targetILNS1_3genE8ELNS1_11target_archE1030ELNS1_3gpuE2ELNS1_3repE0EEENS1_30default_config_static_selectorELNS0_4arch9wavefront6targetE1EEEvT1_
	.globl	_ZN7rocprim17ROCPRIM_400000_NS6detail17trampoline_kernelINS0_14default_configENS1_27scan_by_key_config_selectorIiyEEZZNS1_16scan_by_key_implILNS1_25lookback_scan_determinismE0ELb0ES3_N6thrust23THRUST_200600_302600_NS6detail15normal_iteratorINS9_10device_ptrIiEEEENSB_INSC_IyEEEESG_yNS9_4plusIvEENS9_8equal_toIvEEyEE10hipError_tPvRmT2_T3_T4_T5_mT6_T7_P12ihipStream_tbENKUlT_T0_E_clISt17integral_constantIbLb0EES11_EEDaSW_SX_EUlSW_E_NS1_11comp_targetILNS1_3genE8ELNS1_11target_archE1030ELNS1_3gpuE2ELNS1_3repE0EEENS1_30default_config_static_selectorELNS0_4arch9wavefront6targetE1EEEvT1_
	.p2align	8
	.type	_ZN7rocprim17ROCPRIM_400000_NS6detail17trampoline_kernelINS0_14default_configENS1_27scan_by_key_config_selectorIiyEEZZNS1_16scan_by_key_implILNS1_25lookback_scan_determinismE0ELb0ES3_N6thrust23THRUST_200600_302600_NS6detail15normal_iteratorINS9_10device_ptrIiEEEENSB_INSC_IyEEEESG_yNS9_4plusIvEENS9_8equal_toIvEEyEE10hipError_tPvRmT2_T3_T4_T5_mT6_T7_P12ihipStream_tbENKUlT_T0_E_clISt17integral_constantIbLb0EES11_EEDaSW_SX_EUlSW_E_NS1_11comp_targetILNS1_3genE8ELNS1_11target_archE1030ELNS1_3gpuE2ELNS1_3repE0EEENS1_30default_config_static_selectorELNS0_4arch9wavefront6targetE1EEEvT1_,@function
_ZN7rocprim17ROCPRIM_400000_NS6detail17trampoline_kernelINS0_14default_configENS1_27scan_by_key_config_selectorIiyEEZZNS1_16scan_by_key_implILNS1_25lookback_scan_determinismE0ELb0ES3_N6thrust23THRUST_200600_302600_NS6detail15normal_iteratorINS9_10device_ptrIiEEEENSB_INSC_IyEEEESG_yNS9_4plusIvEENS9_8equal_toIvEEyEE10hipError_tPvRmT2_T3_T4_T5_mT6_T7_P12ihipStream_tbENKUlT_T0_E_clISt17integral_constantIbLb0EES11_EEDaSW_SX_EUlSW_E_NS1_11comp_targetILNS1_3genE8ELNS1_11target_archE1030ELNS1_3gpuE2ELNS1_3repE0EEENS1_30default_config_static_selectorELNS0_4arch9wavefront6targetE1EEEvT1_: ; @_ZN7rocprim17ROCPRIM_400000_NS6detail17trampoline_kernelINS0_14default_configENS1_27scan_by_key_config_selectorIiyEEZZNS1_16scan_by_key_implILNS1_25lookback_scan_determinismE0ELb0ES3_N6thrust23THRUST_200600_302600_NS6detail15normal_iteratorINS9_10device_ptrIiEEEENSB_INSC_IyEEEESG_yNS9_4plusIvEENS9_8equal_toIvEEyEE10hipError_tPvRmT2_T3_T4_T5_mT6_T7_P12ihipStream_tbENKUlT_T0_E_clISt17integral_constantIbLb0EES11_EEDaSW_SX_EUlSW_E_NS1_11comp_targetILNS1_3genE8ELNS1_11target_archE1030ELNS1_3gpuE2ELNS1_3repE0EEENS1_30default_config_static_selectorELNS0_4arch9wavefront6targetE1EEEvT1_
; %bb.0:
	.section	.rodata,"a",@progbits
	.p2align	6, 0x0
	.amdhsa_kernel _ZN7rocprim17ROCPRIM_400000_NS6detail17trampoline_kernelINS0_14default_configENS1_27scan_by_key_config_selectorIiyEEZZNS1_16scan_by_key_implILNS1_25lookback_scan_determinismE0ELb0ES3_N6thrust23THRUST_200600_302600_NS6detail15normal_iteratorINS9_10device_ptrIiEEEENSB_INSC_IyEEEESG_yNS9_4plusIvEENS9_8equal_toIvEEyEE10hipError_tPvRmT2_T3_T4_T5_mT6_T7_P12ihipStream_tbENKUlT_T0_E_clISt17integral_constantIbLb0EES11_EEDaSW_SX_EUlSW_E_NS1_11comp_targetILNS1_3genE8ELNS1_11target_archE1030ELNS1_3gpuE2ELNS1_3repE0EEENS1_30default_config_static_selectorELNS0_4arch9wavefront6targetE1EEEvT1_
		.amdhsa_group_segment_fixed_size 0
		.amdhsa_private_segment_fixed_size 0
		.amdhsa_kernarg_size 136
		.amdhsa_user_sgpr_count 2
		.amdhsa_user_sgpr_dispatch_ptr 0
		.amdhsa_user_sgpr_queue_ptr 0
		.amdhsa_user_sgpr_kernarg_segment_ptr 1
		.amdhsa_user_sgpr_dispatch_id 0
		.amdhsa_user_sgpr_kernarg_preload_length 0
		.amdhsa_user_sgpr_kernarg_preload_offset 0
		.amdhsa_user_sgpr_private_segment_size 0
		.amdhsa_uses_dynamic_stack 0
		.amdhsa_enable_private_segment 0
		.amdhsa_system_sgpr_workgroup_id_x 1
		.amdhsa_system_sgpr_workgroup_id_y 0
		.amdhsa_system_sgpr_workgroup_id_z 0
		.amdhsa_system_sgpr_workgroup_info 0
		.amdhsa_system_vgpr_workitem_id 0
		.amdhsa_next_free_vgpr 1
		.amdhsa_next_free_sgpr 0
		.amdhsa_accum_offset 4
		.amdhsa_reserve_vcc 0
		.amdhsa_float_round_mode_32 0
		.amdhsa_float_round_mode_16_64 0
		.amdhsa_float_denorm_mode_32 3
		.amdhsa_float_denorm_mode_16_64 3
		.amdhsa_dx10_clamp 1
		.amdhsa_ieee_mode 1
		.amdhsa_fp16_overflow 0
		.amdhsa_tg_split 0
		.amdhsa_exception_fp_ieee_invalid_op 0
		.amdhsa_exception_fp_denorm_src 0
		.amdhsa_exception_fp_ieee_div_zero 0
		.amdhsa_exception_fp_ieee_overflow 0
		.amdhsa_exception_fp_ieee_underflow 0
		.amdhsa_exception_fp_ieee_inexact 0
		.amdhsa_exception_int_div_zero 0
	.end_amdhsa_kernel
	.section	.text._ZN7rocprim17ROCPRIM_400000_NS6detail17trampoline_kernelINS0_14default_configENS1_27scan_by_key_config_selectorIiyEEZZNS1_16scan_by_key_implILNS1_25lookback_scan_determinismE0ELb0ES3_N6thrust23THRUST_200600_302600_NS6detail15normal_iteratorINS9_10device_ptrIiEEEENSB_INSC_IyEEEESG_yNS9_4plusIvEENS9_8equal_toIvEEyEE10hipError_tPvRmT2_T3_T4_T5_mT6_T7_P12ihipStream_tbENKUlT_T0_E_clISt17integral_constantIbLb0EES11_EEDaSW_SX_EUlSW_E_NS1_11comp_targetILNS1_3genE8ELNS1_11target_archE1030ELNS1_3gpuE2ELNS1_3repE0EEENS1_30default_config_static_selectorELNS0_4arch9wavefront6targetE1EEEvT1_,"axG",@progbits,_ZN7rocprim17ROCPRIM_400000_NS6detail17trampoline_kernelINS0_14default_configENS1_27scan_by_key_config_selectorIiyEEZZNS1_16scan_by_key_implILNS1_25lookback_scan_determinismE0ELb0ES3_N6thrust23THRUST_200600_302600_NS6detail15normal_iteratorINS9_10device_ptrIiEEEENSB_INSC_IyEEEESG_yNS9_4plusIvEENS9_8equal_toIvEEyEE10hipError_tPvRmT2_T3_T4_T5_mT6_T7_P12ihipStream_tbENKUlT_T0_E_clISt17integral_constantIbLb0EES11_EEDaSW_SX_EUlSW_E_NS1_11comp_targetILNS1_3genE8ELNS1_11target_archE1030ELNS1_3gpuE2ELNS1_3repE0EEENS1_30default_config_static_selectorELNS0_4arch9wavefront6targetE1EEEvT1_,comdat
.Lfunc_end1184:
	.size	_ZN7rocprim17ROCPRIM_400000_NS6detail17trampoline_kernelINS0_14default_configENS1_27scan_by_key_config_selectorIiyEEZZNS1_16scan_by_key_implILNS1_25lookback_scan_determinismE0ELb0ES3_N6thrust23THRUST_200600_302600_NS6detail15normal_iteratorINS9_10device_ptrIiEEEENSB_INSC_IyEEEESG_yNS9_4plusIvEENS9_8equal_toIvEEyEE10hipError_tPvRmT2_T3_T4_T5_mT6_T7_P12ihipStream_tbENKUlT_T0_E_clISt17integral_constantIbLb0EES11_EEDaSW_SX_EUlSW_E_NS1_11comp_targetILNS1_3genE8ELNS1_11target_archE1030ELNS1_3gpuE2ELNS1_3repE0EEENS1_30default_config_static_selectorELNS0_4arch9wavefront6targetE1EEEvT1_, .Lfunc_end1184-_ZN7rocprim17ROCPRIM_400000_NS6detail17trampoline_kernelINS0_14default_configENS1_27scan_by_key_config_selectorIiyEEZZNS1_16scan_by_key_implILNS1_25lookback_scan_determinismE0ELb0ES3_N6thrust23THRUST_200600_302600_NS6detail15normal_iteratorINS9_10device_ptrIiEEEENSB_INSC_IyEEEESG_yNS9_4plusIvEENS9_8equal_toIvEEyEE10hipError_tPvRmT2_T3_T4_T5_mT6_T7_P12ihipStream_tbENKUlT_T0_E_clISt17integral_constantIbLb0EES11_EEDaSW_SX_EUlSW_E_NS1_11comp_targetILNS1_3genE8ELNS1_11target_archE1030ELNS1_3gpuE2ELNS1_3repE0EEENS1_30default_config_static_selectorELNS0_4arch9wavefront6targetE1EEEvT1_
                                        ; -- End function
	.section	.AMDGPU.csdata,"",@progbits
; Kernel info:
; codeLenInByte = 0
; NumSgprs: 6
; NumVgprs: 0
; NumAgprs: 0
; TotalNumVgprs: 0
; ScratchSize: 0
; MemoryBound: 0
; FloatMode: 240
; IeeeMode: 1
; LDSByteSize: 0 bytes/workgroup (compile time only)
; SGPRBlocks: 0
; VGPRBlocks: 0
; NumSGPRsForWavesPerEU: 6
; NumVGPRsForWavesPerEU: 1
; AccumOffset: 4
; Occupancy: 8
; WaveLimiterHint : 0
; COMPUTE_PGM_RSRC2:SCRATCH_EN: 0
; COMPUTE_PGM_RSRC2:USER_SGPR: 2
; COMPUTE_PGM_RSRC2:TRAP_HANDLER: 0
; COMPUTE_PGM_RSRC2:TGID_X_EN: 1
; COMPUTE_PGM_RSRC2:TGID_Y_EN: 0
; COMPUTE_PGM_RSRC2:TGID_Z_EN: 0
; COMPUTE_PGM_RSRC2:TIDIG_COMP_CNT: 0
; COMPUTE_PGM_RSRC3_GFX90A:ACCUM_OFFSET: 0
; COMPUTE_PGM_RSRC3_GFX90A:TG_SPLIT: 0
	.section	.text._ZN7rocprim17ROCPRIM_400000_NS6detail30init_device_scan_by_key_kernelINS1_19lookback_scan_stateINS0_5tupleIJybEEELb1ELb0EEEN6thrust23THRUST_200600_302600_NS6detail15normal_iteratorINS8_10device_ptrIiEEEEjNS1_16block_id_wrapperIjLb1EEEEEvT_jjPNSG_10value_typeET0_PNSt15iterator_traitsISJ_E10value_typeEmT1_T2_,"axG",@progbits,_ZN7rocprim17ROCPRIM_400000_NS6detail30init_device_scan_by_key_kernelINS1_19lookback_scan_stateINS0_5tupleIJybEEELb1ELb0EEEN6thrust23THRUST_200600_302600_NS6detail15normal_iteratorINS8_10device_ptrIiEEEEjNS1_16block_id_wrapperIjLb1EEEEEvT_jjPNSG_10value_typeET0_PNSt15iterator_traitsISJ_E10value_typeEmT1_T2_,comdat
	.protected	_ZN7rocprim17ROCPRIM_400000_NS6detail30init_device_scan_by_key_kernelINS1_19lookback_scan_stateINS0_5tupleIJybEEELb1ELb0EEEN6thrust23THRUST_200600_302600_NS6detail15normal_iteratorINS8_10device_ptrIiEEEEjNS1_16block_id_wrapperIjLb1EEEEEvT_jjPNSG_10value_typeET0_PNSt15iterator_traitsISJ_E10value_typeEmT1_T2_ ; -- Begin function _ZN7rocprim17ROCPRIM_400000_NS6detail30init_device_scan_by_key_kernelINS1_19lookback_scan_stateINS0_5tupleIJybEEELb1ELb0EEEN6thrust23THRUST_200600_302600_NS6detail15normal_iteratorINS8_10device_ptrIiEEEEjNS1_16block_id_wrapperIjLb1EEEEEvT_jjPNSG_10value_typeET0_PNSt15iterator_traitsISJ_E10value_typeEmT1_T2_
	.globl	_ZN7rocprim17ROCPRIM_400000_NS6detail30init_device_scan_by_key_kernelINS1_19lookback_scan_stateINS0_5tupleIJybEEELb1ELb0EEEN6thrust23THRUST_200600_302600_NS6detail15normal_iteratorINS8_10device_ptrIiEEEEjNS1_16block_id_wrapperIjLb1EEEEEvT_jjPNSG_10value_typeET0_PNSt15iterator_traitsISJ_E10value_typeEmT1_T2_
	.p2align	8
	.type	_ZN7rocprim17ROCPRIM_400000_NS6detail30init_device_scan_by_key_kernelINS1_19lookback_scan_stateINS0_5tupleIJybEEELb1ELb0EEEN6thrust23THRUST_200600_302600_NS6detail15normal_iteratorINS8_10device_ptrIiEEEEjNS1_16block_id_wrapperIjLb1EEEEEvT_jjPNSG_10value_typeET0_PNSt15iterator_traitsISJ_E10value_typeEmT1_T2_,@function
_ZN7rocprim17ROCPRIM_400000_NS6detail30init_device_scan_by_key_kernelINS1_19lookback_scan_stateINS0_5tupleIJybEEELb1ELb0EEEN6thrust23THRUST_200600_302600_NS6detail15normal_iteratorINS8_10device_ptrIiEEEEjNS1_16block_id_wrapperIjLb1EEEEEvT_jjPNSG_10value_typeET0_PNSt15iterator_traitsISJ_E10value_typeEmT1_T2_: ; @_ZN7rocprim17ROCPRIM_400000_NS6detail30init_device_scan_by_key_kernelINS1_19lookback_scan_stateINS0_5tupleIJybEEELb1ELb0EEEN6thrust23THRUST_200600_302600_NS6detail15normal_iteratorINS8_10device_ptrIiEEEEjNS1_16block_id_wrapperIjLb1EEEEEvT_jjPNSG_10value_typeET0_PNSt15iterator_traitsISJ_E10value_typeEmT1_T2_
; %bb.0:
	s_load_dword s3, s[0:1], 0x5c
	s_load_dwordx8 s[4:11], s[0:1], 0x10
	s_load_dword s20, s[0:1], 0x50
	s_waitcnt lgkmcnt(0)
	s_and_b32 s21, s3, 0xffff
	s_mul_i32 s2, s2, s21
	s_cmp_eq_u64 s[8:9], 0
	v_add_u32_e32 v0, s2, v0
	s_cbranch_scc1 .LBB1185_11
; %bb.1:
	s_cmp_lt_u32 s7, s6
	s_cselect_b32 s2, s7, 0
	s_mov_b32 s17, 0
	v_cmp_eq_u32_e32 vcc, s2, v0
	s_and_saveexec_b64 s[2:3], vcc
	s_cbranch_execz .LBB1185_10
; %bb.2:
	s_add_i32 s16, s7, 64
	v_mov_b32_e32 v1, s16
	global_load_ubyte v1, v1, s[4:5] sc1
	s_load_dwordx4 s[12:15], s[0:1], 0x0
	s_add_u32 s18, s4, s16
	s_addc_u32 s19, s5, 0
	s_waitcnt vmcnt(0)
	v_cmp_ne_u16_e32 vcc, 0, v1
	v_readfirstlane_b32 s7, v1
	s_cbranch_vccz .LBB1185_4
; %bb.3:
	s_and_b32 s7, 0xffff, s7
	s_branch .LBB1185_9
.LBB1185_4:
	s_mov_b32 s7, 1
	v_mov_b32_e32 v1, 0
.LBB1185_5:                             ; =>This Loop Header: Depth=1
                                        ;     Child Loop BB1185_6 Depth 2
	s_max_u32 s22, s7, 1
.LBB1185_6:                             ;   Parent Loop BB1185_5 Depth=1
                                        ; =>  This Inner Loop Header: Depth=2
	s_add_i32 s22, s22, -1
	s_cmp_eq_u32 s22, 0
	s_sleep 1
	s_cbranch_scc0 .LBB1185_6
; %bb.7:                                ;   in Loop: Header=BB1185_5 Depth=1
	global_load_ubyte v2, v1, s[18:19] sc1
	s_cmp_lt_u32 s7, 32
	s_cselect_b64 s[22:23], -1, 0
	s_cmp_lg_u64 s[22:23], 0
	s_addc_u32 s7, s7, 0
	s_waitcnt vmcnt(0)
	v_cmp_ne_u16_e32 vcc, 0, v2
	v_readfirstlane_b32 s22, v2
	s_cbranch_vccz .LBB1185_5
; %bb.8:
	s_and_b32 s7, 0xffff, s22
.LBB1185_9:
	s_cmp_eq_u32 s7, 1
	s_waitcnt lgkmcnt(0)
	s_cselect_b32 s7, s13, s15
	s_cselect_b32 s14, s12, s14
	s_lshl_b64 s[12:13], s[16:17], 4
	s_add_u32 s12, s14, s12
	s_addc_u32 s13, s7, s13
	v_mov_b32_e32 v1, 0
	s_waitcnt vmcnt(0)
	global_load_dword v2, v1, s[12:13] sc1
	global_load_dword v3, v1, s[12:13] offset:4 sc1
	global_load_dword v4, v1, s[12:13] offset:8 sc1
	;; [unrolled: 1-line block ×3, first 2 shown]
	s_waitcnt vmcnt(2)
	global_store_dwordx2 v1, v[2:3], s[8:9]
	s_waitcnt vmcnt(2)
	global_store_byte v1, v4, s[8:9] offset:8
.LBB1185_10:
	s_or_b64 exec, exec, s[2:3]
.LBB1185_11:
	v_cmp_eq_u32_e32 vcc, 0, v0
	s_and_saveexec_b64 s[2:3], vcc
	s_cbranch_execz .LBB1185_13
; %bb.12:
	s_load_dwordx2 s[8:9], s[0:1], 0x48
	v_mov_b32_e32 v1, 0
	s_waitcnt lgkmcnt(0)
	global_store_dword v1, v1, s[8:9]
.LBB1185_13:
	s_or_b64 exec, exec, s[2:3]
	v_cmp_gt_u32_e32 vcc, s6, v0
	s_and_saveexec_b64 s[2:3], vcc
	s_cbranch_execz .LBB1185_15
; %bb.14:
	v_add_u32_e32 v1, 64, v0
	v_mov_b32_e32 v2, 0
	global_store_byte v1, v2, s[4:5]
.LBB1185_15:
	s_or_b64 exec, exec, s[2:3]
	v_cmp_gt_u32_e32 vcc, 64, v0
	v_mov_b32_e32 v1, 0
	s_and_saveexec_b64 s[2:3], vcc
	s_cbranch_execz .LBB1185_17
; %bb.16:
	v_lshl_add_u64 v[2:3], s[4:5], 0, v[0:1]
	v_mov_b32_e32 v4, 0xff
	global_store_byte v[2:3], v4, off
.LBB1185_17:
	s_or_b64 exec, exec, s[2:3]
	s_load_dwordx2 s[2:3], s[0:1], 0x38
	s_waitcnt lgkmcnt(0)
	v_cmp_gt_u64_e32 vcc, s[2:3], v[0:1]
	s_and_saveexec_b64 s[4:5], vcc
	s_cbranch_execz .LBB1185_20
; %bb.18:
	s_load_dword s12, s[0:1], 0x40
	s_load_dwordx2 s[6:7], s[0:1], 0x30
	s_mov_b32 s5, 0
	s_mov_b32 s1, s5
	s_mul_i32 s0, s20, s21
	s_waitcnt lgkmcnt(0)
	s_add_i32 s4, s12, -1
	s_lshl_b64 s[4:5], s[4:5], 2
	s_add_u32 s4, s10, s4
	v_mad_u64_u32 v[2:3], s[8:9], s12, v0, 0
	s_addc_u32 s5, s11, s5
	v_lshl_add_u64 v[2:3], v[2:3], 2, s[4:5]
	s_mul_hi_u32 s5, s12, s0
	s_mul_i32 s4, s12, s0
	s_lshl_b64 s[4:5], s[4:5], 2
	s_waitcnt vmcnt(2)
	v_lshl_add_u64 v[4:5], v[0:1], 2, s[6:7]
	s_lshl_b64 s[6:7], s[0:1], 2
	s_mov_b64 s[8:9], 0
.LBB1185_19:                            ; =>This Inner Loop Header: Depth=1
	global_load_dword v6, v[2:3], off
	v_lshl_add_u64 v[0:1], v[0:1], 0, s[0:1]
	v_cmp_le_u64_e32 vcc, s[2:3], v[0:1]
	v_lshl_add_u64 v[2:3], v[2:3], 0, s[4:5]
	s_or_b64 s[8:9], vcc, s[8:9]
	s_waitcnt vmcnt(0)
	global_store_dword v[4:5], v6, off
	v_lshl_add_u64 v[4:5], v[4:5], 0, s[6:7]
	s_andn2_b64 exec, exec, s[8:9]
	s_cbranch_execnz .LBB1185_19
.LBB1185_20:
	s_endpgm
	.section	.rodata,"a",@progbits
	.p2align	6, 0x0
	.amdhsa_kernel _ZN7rocprim17ROCPRIM_400000_NS6detail30init_device_scan_by_key_kernelINS1_19lookback_scan_stateINS0_5tupleIJybEEELb1ELb0EEEN6thrust23THRUST_200600_302600_NS6detail15normal_iteratorINS8_10device_ptrIiEEEEjNS1_16block_id_wrapperIjLb1EEEEEvT_jjPNSG_10value_typeET0_PNSt15iterator_traitsISJ_E10value_typeEmT1_T2_
		.amdhsa_group_segment_fixed_size 0
		.amdhsa_private_segment_fixed_size 0
		.amdhsa_kernarg_size 336
		.amdhsa_user_sgpr_count 2
		.amdhsa_user_sgpr_dispatch_ptr 0
		.amdhsa_user_sgpr_queue_ptr 0
		.amdhsa_user_sgpr_kernarg_segment_ptr 1
		.amdhsa_user_sgpr_dispatch_id 0
		.amdhsa_user_sgpr_kernarg_preload_length 0
		.amdhsa_user_sgpr_kernarg_preload_offset 0
		.amdhsa_user_sgpr_private_segment_size 0
		.amdhsa_uses_dynamic_stack 0
		.amdhsa_enable_private_segment 0
		.amdhsa_system_sgpr_workgroup_id_x 1
		.amdhsa_system_sgpr_workgroup_id_y 0
		.amdhsa_system_sgpr_workgroup_id_z 0
		.amdhsa_system_sgpr_workgroup_info 0
		.amdhsa_system_vgpr_workitem_id 0
		.amdhsa_next_free_vgpr 7
		.amdhsa_next_free_sgpr 24
		.amdhsa_accum_offset 8
		.amdhsa_reserve_vcc 1
		.amdhsa_float_round_mode_32 0
		.amdhsa_float_round_mode_16_64 0
		.amdhsa_float_denorm_mode_32 3
		.amdhsa_float_denorm_mode_16_64 3
		.amdhsa_dx10_clamp 1
		.amdhsa_ieee_mode 1
		.amdhsa_fp16_overflow 0
		.amdhsa_tg_split 0
		.amdhsa_exception_fp_ieee_invalid_op 0
		.amdhsa_exception_fp_denorm_src 0
		.amdhsa_exception_fp_ieee_div_zero 0
		.amdhsa_exception_fp_ieee_overflow 0
		.amdhsa_exception_fp_ieee_underflow 0
		.amdhsa_exception_fp_ieee_inexact 0
		.amdhsa_exception_int_div_zero 0
	.end_amdhsa_kernel
	.section	.text._ZN7rocprim17ROCPRIM_400000_NS6detail30init_device_scan_by_key_kernelINS1_19lookback_scan_stateINS0_5tupleIJybEEELb1ELb0EEEN6thrust23THRUST_200600_302600_NS6detail15normal_iteratorINS8_10device_ptrIiEEEEjNS1_16block_id_wrapperIjLb1EEEEEvT_jjPNSG_10value_typeET0_PNSt15iterator_traitsISJ_E10value_typeEmT1_T2_,"axG",@progbits,_ZN7rocprim17ROCPRIM_400000_NS6detail30init_device_scan_by_key_kernelINS1_19lookback_scan_stateINS0_5tupleIJybEEELb1ELb0EEEN6thrust23THRUST_200600_302600_NS6detail15normal_iteratorINS8_10device_ptrIiEEEEjNS1_16block_id_wrapperIjLb1EEEEEvT_jjPNSG_10value_typeET0_PNSt15iterator_traitsISJ_E10value_typeEmT1_T2_,comdat
.Lfunc_end1185:
	.size	_ZN7rocprim17ROCPRIM_400000_NS6detail30init_device_scan_by_key_kernelINS1_19lookback_scan_stateINS0_5tupleIJybEEELb1ELb0EEEN6thrust23THRUST_200600_302600_NS6detail15normal_iteratorINS8_10device_ptrIiEEEEjNS1_16block_id_wrapperIjLb1EEEEEvT_jjPNSG_10value_typeET0_PNSt15iterator_traitsISJ_E10value_typeEmT1_T2_, .Lfunc_end1185-_ZN7rocprim17ROCPRIM_400000_NS6detail30init_device_scan_by_key_kernelINS1_19lookback_scan_stateINS0_5tupleIJybEEELb1ELb0EEEN6thrust23THRUST_200600_302600_NS6detail15normal_iteratorINS8_10device_ptrIiEEEEjNS1_16block_id_wrapperIjLb1EEEEEvT_jjPNSG_10value_typeET0_PNSt15iterator_traitsISJ_E10value_typeEmT1_T2_
                                        ; -- End function
	.section	.AMDGPU.csdata,"",@progbits
; Kernel info:
; codeLenInByte = 608
; NumSgprs: 30
; NumVgprs: 7
; NumAgprs: 0
; TotalNumVgprs: 7
; ScratchSize: 0
; MemoryBound: 0
; FloatMode: 240
; IeeeMode: 1
; LDSByteSize: 0 bytes/workgroup (compile time only)
; SGPRBlocks: 3
; VGPRBlocks: 0
; NumSGPRsForWavesPerEU: 30
; NumVGPRsForWavesPerEU: 7
; AccumOffset: 8
; Occupancy: 8
; WaveLimiterHint : 0
; COMPUTE_PGM_RSRC2:SCRATCH_EN: 0
; COMPUTE_PGM_RSRC2:USER_SGPR: 2
; COMPUTE_PGM_RSRC2:TRAP_HANDLER: 0
; COMPUTE_PGM_RSRC2:TGID_X_EN: 1
; COMPUTE_PGM_RSRC2:TGID_Y_EN: 0
; COMPUTE_PGM_RSRC2:TGID_Z_EN: 0
; COMPUTE_PGM_RSRC2:TIDIG_COMP_CNT: 0
; COMPUTE_PGM_RSRC3_GFX90A:ACCUM_OFFSET: 1
; COMPUTE_PGM_RSRC3_GFX90A:TG_SPLIT: 0
	.section	.text._ZN7rocprim17ROCPRIM_400000_NS6detail30init_device_scan_by_key_kernelINS1_19lookback_scan_stateINS0_5tupleIJybEEELb1ELb0EEENS1_16block_id_wrapperIjLb1EEEEEvT_jjPNS9_10value_typeET0_,"axG",@progbits,_ZN7rocprim17ROCPRIM_400000_NS6detail30init_device_scan_by_key_kernelINS1_19lookback_scan_stateINS0_5tupleIJybEEELb1ELb0EEENS1_16block_id_wrapperIjLb1EEEEEvT_jjPNS9_10value_typeET0_,comdat
	.protected	_ZN7rocprim17ROCPRIM_400000_NS6detail30init_device_scan_by_key_kernelINS1_19lookback_scan_stateINS0_5tupleIJybEEELb1ELb0EEENS1_16block_id_wrapperIjLb1EEEEEvT_jjPNS9_10value_typeET0_ ; -- Begin function _ZN7rocprim17ROCPRIM_400000_NS6detail30init_device_scan_by_key_kernelINS1_19lookback_scan_stateINS0_5tupleIJybEEELb1ELb0EEENS1_16block_id_wrapperIjLb1EEEEEvT_jjPNS9_10value_typeET0_
	.globl	_ZN7rocprim17ROCPRIM_400000_NS6detail30init_device_scan_by_key_kernelINS1_19lookback_scan_stateINS0_5tupleIJybEEELb1ELb0EEENS1_16block_id_wrapperIjLb1EEEEEvT_jjPNS9_10value_typeET0_
	.p2align	8
	.type	_ZN7rocprim17ROCPRIM_400000_NS6detail30init_device_scan_by_key_kernelINS1_19lookback_scan_stateINS0_5tupleIJybEEELb1ELb0EEENS1_16block_id_wrapperIjLb1EEEEEvT_jjPNS9_10value_typeET0_,@function
_ZN7rocprim17ROCPRIM_400000_NS6detail30init_device_scan_by_key_kernelINS1_19lookback_scan_stateINS0_5tupleIJybEEELb1ELb0EEENS1_16block_id_wrapperIjLb1EEEEEvT_jjPNS9_10value_typeET0_: ; @_ZN7rocprim17ROCPRIM_400000_NS6detail30init_device_scan_by_key_kernelINS1_19lookback_scan_stateINS0_5tupleIJybEEELb1ELb0EEENS1_16block_id_wrapperIjLb1EEEEEvT_jjPNS9_10value_typeET0_
; %bb.0:
	s_load_dword s3, s[0:1], 0x3c
	s_load_dwordx8 s[4:11], s[0:1], 0x10
	s_waitcnt lgkmcnt(0)
	s_and_b32 s3, s3, 0xffff
	s_mul_i32 s2, s2, s3
	s_cmp_eq_u64 s[8:9], 0
	v_add_u32_e32 v0, s2, v0
	s_cbranch_scc1 .LBB1186_11
; %bb.1:
	s_cmp_lt_u32 s7, s6
	s_cselect_b32 s2, s7, 0
	s_mov_b32 s15, 0
	v_cmp_eq_u32_e32 vcc, s2, v0
	s_and_saveexec_b64 s[12:13], vcc
	s_cbranch_execz .LBB1186_10
; %bb.2:
	s_add_i32 s14, s7, 64
	v_mov_b32_e32 v1, s14
	global_load_ubyte v1, v1, s[4:5] sc1
	s_load_dwordx4 s[0:3], s[0:1], 0x0
	s_add_u32 s16, s4, s14
	s_addc_u32 s17, s5, 0
	s_waitcnt vmcnt(0)
	v_cmp_ne_u16_e32 vcc, 0, v1
	v_readfirstlane_b32 s7, v1
	s_cbranch_vccz .LBB1186_4
; %bb.3:
	s_and_b32 s7, 0xffff, s7
	s_branch .LBB1186_9
.LBB1186_4:
	s_mov_b32 s7, 1
	v_mov_b32_e32 v1, 0
.LBB1186_5:                             ; =>This Loop Header: Depth=1
                                        ;     Child Loop BB1186_6 Depth 2
	s_max_u32 s18, s7, 1
.LBB1186_6:                             ;   Parent Loop BB1186_5 Depth=1
                                        ; =>  This Inner Loop Header: Depth=2
	s_add_i32 s18, s18, -1
	s_cmp_eq_u32 s18, 0
	s_sleep 1
	s_cbranch_scc0 .LBB1186_6
; %bb.7:                                ;   in Loop: Header=BB1186_5 Depth=1
	global_load_ubyte v2, v1, s[16:17] sc1
	s_cmp_lt_u32 s7, 32
	s_cselect_b64 s[18:19], -1, 0
	s_cmp_lg_u64 s[18:19], 0
	s_addc_u32 s7, s7, 0
	s_waitcnt vmcnt(0)
	v_cmp_ne_u16_e32 vcc, 0, v2
	v_readfirstlane_b32 s18, v2
	s_cbranch_vccz .LBB1186_5
; %bb.8:
	s_and_b32 s7, 0xffff, s18
.LBB1186_9:
	s_cmp_eq_u32 s7, 1
	s_waitcnt lgkmcnt(0)
	s_cselect_b32 s3, s1, s3
	s_cselect_b32 s2, s0, s2
	s_lshl_b64 s[0:1], s[14:15], 4
	s_add_u32 s0, s2, s0
	s_addc_u32 s1, s3, s1
	v_mov_b32_e32 v1, 0
	s_waitcnt vmcnt(0)
	global_load_dword v2, v1, s[0:1] sc1
	global_load_dword v3, v1, s[0:1] offset:4 sc1
	global_load_dword v4, v1, s[0:1] offset:8 sc1
	;; [unrolled: 1-line block ×3, first 2 shown]
	s_waitcnt vmcnt(2)
	global_store_dwordx2 v1, v[2:3], s[8:9]
	s_waitcnt vmcnt(2)
	global_store_byte v1, v4, s[8:9] offset:8
.LBB1186_10:
	s_or_b64 exec, exec, s[12:13]
.LBB1186_11:
	v_cmp_eq_u32_e32 vcc, 0, v0
	s_and_saveexec_b64 s[0:1], vcc
	s_cbranch_execnz .LBB1186_15
; %bb.12:
	s_or_b64 exec, exec, s[0:1]
	v_cmp_gt_u32_e32 vcc, s6, v0
	s_and_saveexec_b64 s[0:1], vcc
	s_cbranch_execnz .LBB1186_16
.LBB1186_13:
	s_or_b64 exec, exec, s[0:1]
	v_cmp_gt_u32_e32 vcc, 64, v0
	s_and_saveexec_b64 s[0:1], vcc
	s_cbranch_execnz .LBB1186_17
.LBB1186_14:
	s_endpgm
.LBB1186_15:
	v_mov_b32_e32 v1, 0
	global_store_dword v1, v1, s[10:11]
	s_or_b64 exec, exec, s[0:1]
	v_cmp_gt_u32_e32 vcc, s6, v0
	s_and_saveexec_b64 s[0:1], vcc
	s_cbranch_execz .LBB1186_13
.LBB1186_16:
	v_add_u32_e32 v1, 64, v0
	v_mov_b32_e32 v2, 0
	global_store_byte v1, v2, s[4:5]
	s_or_b64 exec, exec, s[0:1]
	v_cmp_gt_u32_e32 vcc, 64, v0
	s_and_saveexec_b64 s[0:1], vcc
	s_cbranch_execz .LBB1186_14
.LBB1186_17:
	v_mov_b32_e32 v1, 0xff
	global_store_byte v0, v1, s[4:5]
	s_endpgm
	.section	.rodata,"a",@progbits
	.p2align	6, 0x0
	.amdhsa_kernel _ZN7rocprim17ROCPRIM_400000_NS6detail30init_device_scan_by_key_kernelINS1_19lookback_scan_stateINS0_5tupleIJybEEELb1ELb0EEENS1_16block_id_wrapperIjLb1EEEEEvT_jjPNS9_10value_typeET0_
		.amdhsa_group_segment_fixed_size 0
		.amdhsa_private_segment_fixed_size 0
		.amdhsa_kernarg_size 304
		.amdhsa_user_sgpr_count 2
		.amdhsa_user_sgpr_dispatch_ptr 0
		.amdhsa_user_sgpr_queue_ptr 0
		.amdhsa_user_sgpr_kernarg_segment_ptr 1
		.amdhsa_user_sgpr_dispatch_id 0
		.amdhsa_user_sgpr_kernarg_preload_length 0
		.amdhsa_user_sgpr_kernarg_preload_offset 0
		.amdhsa_user_sgpr_private_segment_size 0
		.amdhsa_uses_dynamic_stack 0
		.amdhsa_enable_private_segment 0
		.amdhsa_system_sgpr_workgroup_id_x 1
		.amdhsa_system_sgpr_workgroup_id_y 0
		.amdhsa_system_sgpr_workgroup_id_z 0
		.amdhsa_system_sgpr_workgroup_info 0
		.amdhsa_system_vgpr_workitem_id 0
		.amdhsa_next_free_vgpr 6
		.amdhsa_next_free_sgpr 20
		.amdhsa_accum_offset 8
		.amdhsa_reserve_vcc 1
		.amdhsa_float_round_mode_32 0
		.amdhsa_float_round_mode_16_64 0
		.amdhsa_float_denorm_mode_32 3
		.amdhsa_float_denorm_mode_16_64 3
		.amdhsa_dx10_clamp 1
		.amdhsa_ieee_mode 1
		.amdhsa_fp16_overflow 0
		.amdhsa_tg_split 0
		.amdhsa_exception_fp_ieee_invalid_op 0
		.amdhsa_exception_fp_denorm_src 0
		.amdhsa_exception_fp_ieee_div_zero 0
		.amdhsa_exception_fp_ieee_overflow 0
		.amdhsa_exception_fp_ieee_underflow 0
		.amdhsa_exception_fp_ieee_inexact 0
		.amdhsa_exception_int_div_zero 0
	.end_amdhsa_kernel
	.section	.text._ZN7rocprim17ROCPRIM_400000_NS6detail30init_device_scan_by_key_kernelINS1_19lookback_scan_stateINS0_5tupleIJybEEELb1ELb0EEENS1_16block_id_wrapperIjLb1EEEEEvT_jjPNS9_10value_typeET0_,"axG",@progbits,_ZN7rocprim17ROCPRIM_400000_NS6detail30init_device_scan_by_key_kernelINS1_19lookback_scan_stateINS0_5tupleIJybEEELb1ELb0EEENS1_16block_id_wrapperIjLb1EEEEEvT_jjPNS9_10value_typeET0_,comdat
.Lfunc_end1186:
	.size	_ZN7rocprim17ROCPRIM_400000_NS6detail30init_device_scan_by_key_kernelINS1_19lookback_scan_stateINS0_5tupleIJybEEELb1ELb0EEENS1_16block_id_wrapperIjLb1EEEEEvT_jjPNS9_10value_typeET0_, .Lfunc_end1186-_ZN7rocprim17ROCPRIM_400000_NS6detail30init_device_scan_by_key_kernelINS1_19lookback_scan_stateINS0_5tupleIJybEEELb1ELb0EEENS1_16block_id_wrapperIjLb1EEEEEvT_jjPNS9_10value_typeET0_
                                        ; -- End function
	.section	.AMDGPU.csdata,"",@progbits
; Kernel info:
; codeLenInByte = 428
; NumSgprs: 26
; NumVgprs: 6
; NumAgprs: 0
; TotalNumVgprs: 6
; ScratchSize: 0
; MemoryBound: 0
; FloatMode: 240
; IeeeMode: 1
; LDSByteSize: 0 bytes/workgroup (compile time only)
; SGPRBlocks: 3
; VGPRBlocks: 0
; NumSGPRsForWavesPerEU: 26
; NumVGPRsForWavesPerEU: 6
; AccumOffset: 8
; Occupancy: 8
; WaveLimiterHint : 0
; COMPUTE_PGM_RSRC2:SCRATCH_EN: 0
; COMPUTE_PGM_RSRC2:USER_SGPR: 2
; COMPUTE_PGM_RSRC2:TRAP_HANDLER: 0
; COMPUTE_PGM_RSRC2:TGID_X_EN: 1
; COMPUTE_PGM_RSRC2:TGID_Y_EN: 0
; COMPUTE_PGM_RSRC2:TGID_Z_EN: 0
; COMPUTE_PGM_RSRC2:TIDIG_COMP_CNT: 0
; COMPUTE_PGM_RSRC3_GFX90A:ACCUM_OFFSET: 1
; COMPUTE_PGM_RSRC3_GFX90A:TG_SPLIT: 0
	.section	.text._ZN7rocprim17ROCPRIM_400000_NS6detail17trampoline_kernelINS0_14default_configENS1_27scan_by_key_config_selectorIiyEEZZNS1_16scan_by_key_implILNS1_25lookback_scan_determinismE0ELb0ES3_N6thrust23THRUST_200600_302600_NS6detail15normal_iteratorINS9_10device_ptrIiEEEENSB_INSC_IyEEEESG_yNS9_4plusIvEENS9_8equal_toIvEEyEE10hipError_tPvRmT2_T3_T4_T5_mT6_T7_P12ihipStream_tbENKUlT_T0_E_clISt17integral_constantIbLb1EES11_EEDaSW_SX_EUlSW_E_NS1_11comp_targetILNS1_3genE0ELNS1_11target_archE4294967295ELNS1_3gpuE0ELNS1_3repE0EEENS1_30default_config_static_selectorELNS0_4arch9wavefront6targetE1EEEvT1_,"axG",@progbits,_ZN7rocprim17ROCPRIM_400000_NS6detail17trampoline_kernelINS0_14default_configENS1_27scan_by_key_config_selectorIiyEEZZNS1_16scan_by_key_implILNS1_25lookback_scan_determinismE0ELb0ES3_N6thrust23THRUST_200600_302600_NS6detail15normal_iteratorINS9_10device_ptrIiEEEENSB_INSC_IyEEEESG_yNS9_4plusIvEENS9_8equal_toIvEEyEE10hipError_tPvRmT2_T3_T4_T5_mT6_T7_P12ihipStream_tbENKUlT_T0_E_clISt17integral_constantIbLb1EES11_EEDaSW_SX_EUlSW_E_NS1_11comp_targetILNS1_3genE0ELNS1_11target_archE4294967295ELNS1_3gpuE0ELNS1_3repE0EEENS1_30default_config_static_selectorELNS0_4arch9wavefront6targetE1EEEvT1_,comdat
	.protected	_ZN7rocprim17ROCPRIM_400000_NS6detail17trampoline_kernelINS0_14default_configENS1_27scan_by_key_config_selectorIiyEEZZNS1_16scan_by_key_implILNS1_25lookback_scan_determinismE0ELb0ES3_N6thrust23THRUST_200600_302600_NS6detail15normal_iteratorINS9_10device_ptrIiEEEENSB_INSC_IyEEEESG_yNS9_4plusIvEENS9_8equal_toIvEEyEE10hipError_tPvRmT2_T3_T4_T5_mT6_T7_P12ihipStream_tbENKUlT_T0_E_clISt17integral_constantIbLb1EES11_EEDaSW_SX_EUlSW_E_NS1_11comp_targetILNS1_3genE0ELNS1_11target_archE4294967295ELNS1_3gpuE0ELNS1_3repE0EEENS1_30default_config_static_selectorELNS0_4arch9wavefront6targetE1EEEvT1_ ; -- Begin function _ZN7rocprim17ROCPRIM_400000_NS6detail17trampoline_kernelINS0_14default_configENS1_27scan_by_key_config_selectorIiyEEZZNS1_16scan_by_key_implILNS1_25lookback_scan_determinismE0ELb0ES3_N6thrust23THRUST_200600_302600_NS6detail15normal_iteratorINS9_10device_ptrIiEEEENSB_INSC_IyEEEESG_yNS9_4plusIvEENS9_8equal_toIvEEyEE10hipError_tPvRmT2_T3_T4_T5_mT6_T7_P12ihipStream_tbENKUlT_T0_E_clISt17integral_constantIbLb1EES11_EEDaSW_SX_EUlSW_E_NS1_11comp_targetILNS1_3genE0ELNS1_11target_archE4294967295ELNS1_3gpuE0ELNS1_3repE0EEENS1_30default_config_static_selectorELNS0_4arch9wavefront6targetE1EEEvT1_
	.globl	_ZN7rocprim17ROCPRIM_400000_NS6detail17trampoline_kernelINS0_14default_configENS1_27scan_by_key_config_selectorIiyEEZZNS1_16scan_by_key_implILNS1_25lookback_scan_determinismE0ELb0ES3_N6thrust23THRUST_200600_302600_NS6detail15normal_iteratorINS9_10device_ptrIiEEEENSB_INSC_IyEEEESG_yNS9_4plusIvEENS9_8equal_toIvEEyEE10hipError_tPvRmT2_T3_T4_T5_mT6_T7_P12ihipStream_tbENKUlT_T0_E_clISt17integral_constantIbLb1EES11_EEDaSW_SX_EUlSW_E_NS1_11comp_targetILNS1_3genE0ELNS1_11target_archE4294967295ELNS1_3gpuE0ELNS1_3repE0EEENS1_30default_config_static_selectorELNS0_4arch9wavefront6targetE1EEEvT1_
	.p2align	8
	.type	_ZN7rocprim17ROCPRIM_400000_NS6detail17trampoline_kernelINS0_14default_configENS1_27scan_by_key_config_selectorIiyEEZZNS1_16scan_by_key_implILNS1_25lookback_scan_determinismE0ELb0ES3_N6thrust23THRUST_200600_302600_NS6detail15normal_iteratorINS9_10device_ptrIiEEEENSB_INSC_IyEEEESG_yNS9_4plusIvEENS9_8equal_toIvEEyEE10hipError_tPvRmT2_T3_T4_T5_mT6_T7_P12ihipStream_tbENKUlT_T0_E_clISt17integral_constantIbLb1EES11_EEDaSW_SX_EUlSW_E_NS1_11comp_targetILNS1_3genE0ELNS1_11target_archE4294967295ELNS1_3gpuE0ELNS1_3repE0EEENS1_30default_config_static_selectorELNS0_4arch9wavefront6targetE1EEEvT1_,@function
_ZN7rocprim17ROCPRIM_400000_NS6detail17trampoline_kernelINS0_14default_configENS1_27scan_by_key_config_selectorIiyEEZZNS1_16scan_by_key_implILNS1_25lookback_scan_determinismE0ELb0ES3_N6thrust23THRUST_200600_302600_NS6detail15normal_iteratorINS9_10device_ptrIiEEEENSB_INSC_IyEEEESG_yNS9_4plusIvEENS9_8equal_toIvEEyEE10hipError_tPvRmT2_T3_T4_T5_mT6_T7_P12ihipStream_tbENKUlT_T0_E_clISt17integral_constantIbLb1EES11_EEDaSW_SX_EUlSW_E_NS1_11comp_targetILNS1_3genE0ELNS1_11target_archE4294967295ELNS1_3gpuE0ELNS1_3repE0EEENS1_30default_config_static_selectorELNS0_4arch9wavefront6targetE1EEEvT1_: ; @_ZN7rocprim17ROCPRIM_400000_NS6detail17trampoline_kernelINS0_14default_configENS1_27scan_by_key_config_selectorIiyEEZZNS1_16scan_by_key_implILNS1_25lookback_scan_determinismE0ELb0ES3_N6thrust23THRUST_200600_302600_NS6detail15normal_iteratorINS9_10device_ptrIiEEEENSB_INSC_IyEEEESG_yNS9_4plusIvEENS9_8equal_toIvEEyEE10hipError_tPvRmT2_T3_T4_T5_mT6_T7_P12ihipStream_tbENKUlT_T0_E_clISt17integral_constantIbLb1EES11_EEDaSW_SX_EUlSW_E_NS1_11comp_targetILNS1_3genE0ELNS1_11target_archE4294967295ELNS1_3gpuE0ELNS1_3repE0EEENS1_30default_config_static_selectorELNS0_4arch9wavefront6targetE1EEEvT1_
; %bb.0:
	.section	.rodata,"a",@progbits
	.p2align	6, 0x0
	.amdhsa_kernel _ZN7rocprim17ROCPRIM_400000_NS6detail17trampoline_kernelINS0_14default_configENS1_27scan_by_key_config_selectorIiyEEZZNS1_16scan_by_key_implILNS1_25lookback_scan_determinismE0ELb0ES3_N6thrust23THRUST_200600_302600_NS6detail15normal_iteratorINS9_10device_ptrIiEEEENSB_INSC_IyEEEESG_yNS9_4plusIvEENS9_8equal_toIvEEyEE10hipError_tPvRmT2_T3_T4_T5_mT6_T7_P12ihipStream_tbENKUlT_T0_E_clISt17integral_constantIbLb1EES11_EEDaSW_SX_EUlSW_E_NS1_11comp_targetILNS1_3genE0ELNS1_11target_archE4294967295ELNS1_3gpuE0ELNS1_3repE0EEENS1_30default_config_static_selectorELNS0_4arch9wavefront6targetE1EEEvT1_
		.amdhsa_group_segment_fixed_size 0
		.amdhsa_private_segment_fixed_size 0
		.amdhsa_kernarg_size 136
		.amdhsa_user_sgpr_count 2
		.amdhsa_user_sgpr_dispatch_ptr 0
		.amdhsa_user_sgpr_queue_ptr 0
		.amdhsa_user_sgpr_kernarg_segment_ptr 1
		.amdhsa_user_sgpr_dispatch_id 0
		.amdhsa_user_sgpr_kernarg_preload_length 0
		.amdhsa_user_sgpr_kernarg_preload_offset 0
		.amdhsa_user_sgpr_private_segment_size 0
		.amdhsa_uses_dynamic_stack 0
		.amdhsa_enable_private_segment 0
		.amdhsa_system_sgpr_workgroup_id_x 1
		.amdhsa_system_sgpr_workgroup_id_y 0
		.amdhsa_system_sgpr_workgroup_id_z 0
		.amdhsa_system_sgpr_workgroup_info 0
		.amdhsa_system_vgpr_workitem_id 0
		.amdhsa_next_free_vgpr 1
		.amdhsa_next_free_sgpr 0
		.amdhsa_accum_offset 4
		.amdhsa_reserve_vcc 0
		.amdhsa_float_round_mode_32 0
		.amdhsa_float_round_mode_16_64 0
		.amdhsa_float_denorm_mode_32 3
		.amdhsa_float_denorm_mode_16_64 3
		.amdhsa_dx10_clamp 1
		.amdhsa_ieee_mode 1
		.amdhsa_fp16_overflow 0
		.amdhsa_tg_split 0
		.amdhsa_exception_fp_ieee_invalid_op 0
		.amdhsa_exception_fp_denorm_src 0
		.amdhsa_exception_fp_ieee_div_zero 0
		.amdhsa_exception_fp_ieee_overflow 0
		.amdhsa_exception_fp_ieee_underflow 0
		.amdhsa_exception_fp_ieee_inexact 0
		.amdhsa_exception_int_div_zero 0
	.end_amdhsa_kernel
	.section	.text._ZN7rocprim17ROCPRIM_400000_NS6detail17trampoline_kernelINS0_14default_configENS1_27scan_by_key_config_selectorIiyEEZZNS1_16scan_by_key_implILNS1_25lookback_scan_determinismE0ELb0ES3_N6thrust23THRUST_200600_302600_NS6detail15normal_iteratorINS9_10device_ptrIiEEEENSB_INSC_IyEEEESG_yNS9_4plusIvEENS9_8equal_toIvEEyEE10hipError_tPvRmT2_T3_T4_T5_mT6_T7_P12ihipStream_tbENKUlT_T0_E_clISt17integral_constantIbLb1EES11_EEDaSW_SX_EUlSW_E_NS1_11comp_targetILNS1_3genE0ELNS1_11target_archE4294967295ELNS1_3gpuE0ELNS1_3repE0EEENS1_30default_config_static_selectorELNS0_4arch9wavefront6targetE1EEEvT1_,"axG",@progbits,_ZN7rocprim17ROCPRIM_400000_NS6detail17trampoline_kernelINS0_14default_configENS1_27scan_by_key_config_selectorIiyEEZZNS1_16scan_by_key_implILNS1_25lookback_scan_determinismE0ELb0ES3_N6thrust23THRUST_200600_302600_NS6detail15normal_iteratorINS9_10device_ptrIiEEEENSB_INSC_IyEEEESG_yNS9_4plusIvEENS9_8equal_toIvEEyEE10hipError_tPvRmT2_T3_T4_T5_mT6_T7_P12ihipStream_tbENKUlT_T0_E_clISt17integral_constantIbLb1EES11_EEDaSW_SX_EUlSW_E_NS1_11comp_targetILNS1_3genE0ELNS1_11target_archE4294967295ELNS1_3gpuE0ELNS1_3repE0EEENS1_30default_config_static_selectorELNS0_4arch9wavefront6targetE1EEEvT1_,comdat
.Lfunc_end1187:
	.size	_ZN7rocprim17ROCPRIM_400000_NS6detail17trampoline_kernelINS0_14default_configENS1_27scan_by_key_config_selectorIiyEEZZNS1_16scan_by_key_implILNS1_25lookback_scan_determinismE0ELb0ES3_N6thrust23THRUST_200600_302600_NS6detail15normal_iteratorINS9_10device_ptrIiEEEENSB_INSC_IyEEEESG_yNS9_4plusIvEENS9_8equal_toIvEEyEE10hipError_tPvRmT2_T3_T4_T5_mT6_T7_P12ihipStream_tbENKUlT_T0_E_clISt17integral_constantIbLb1EES11_EEDaSW_SX_EUlSW_E_NS1_11comp_targetILNS1_3genE0ELNS1_11target_archE4294967295ELNS1_3gpuE0ELNS1_3repE0EEENS1_30default_config_static_selectorELNS0_4arch9wavefront6targetE1EEEvT1_, .Lfunc_end1187-_ZN7rocprim17ROCPRIM_400000_NS6detail17trampoline_kernelINS0_14default_configENS1_27scan_by_key_config_selectorIiyEEZZNS1_16scan_by_key_implILNS1_25lookback_scan_determinismE0ELb0ES3_N6thrust23THRUST_200600_302600_NS6detail15normal_iteratorINS9_10device_ptrIiEEEENSB_INSC_IyEEEESG_yNS9_4plusIvEENS9_8equal_toIvEEyEE10hipError_tPvRmT2_T3_T4_T5_mT6_T7_P12ihipStream_tbENKUlT_T0_E_clISt17integral_constantIbLb1EES11_EEDaSW_SX_EUlSW_E_NS1_11comp_targetILNS1_3genE0ELNS1_11target_archE4294967295ELNS1_3gpuE0ELNS1_3repE0EEENS1_30default_config_static_selectorELNS0_4arch9wavefront6targetE1EEEvT1_
                                        ; -- End function
	.section	.AMDGPU.csdata,"",@progbits
; Kernel info:
; codeLenInByte = 0
; NumSgprs: 6
; NumVgprs: 0
; NumAgprs: 0
; TotalNumVgprs: 0
; ScratchSize: 0
; MemoryBound: 0
; FloatMode: 240
; IeeeMode: 1
; LDSByteSize: 0 bytes/workgroup (compile time only)
; SGPRBlocks: 0
; VGPRBlocks: 0
; NumSGPRsForWavesPerEU: 6
; NumVGPRsForWavesPerEU: 1
; AccumOffset: 4
; Occupancy: 8
; WaveLimiterHint : 0
; COMPUTE_PGM_RSRC2:SCRATCH_EN: 0
; COMPUTE_PGM_RSRC2:USER_SGPR: 2
; COMPUTE_PGM_RSRC2:TRAP_HANDLER: 0
; COMPUTE_PGM_RSRC2:TGID_X_EN: 1
; COMPUTE_PGM_RSRC2:TGID_Y_EN: 0
; COMPUTE_PGM_RSRC2:TGID_Z_EN: 0
; COMPUTE_PGM_RSRC2:TIDIG_COMP_CNT: 0
; COMPUTE_PGM_RSRC3_GFX90A:ACCUM_OFFSET: 0
; COMPUTE_PGM_RSRC3_GFX90A:TG_SPLIT: 0
	.section	.text._ZN7rocprim17ROCPRIM_400000_NS6detail17trampoline_kernelINS0_14default_configENS1_27scan_by_key_config_selectorIiyEEZZNS1_16scan_by_key_implILNS1_25lookback_scan_determinismE0ELb0ES3_N6thrust23THRUST_200600_302600_NS6detail15normal_iteratorINS9_10device_ptrIiEEEENSB_INSC_IyEEEESG_yNS9_4plusIvEENS9_8equal_toIvEEyEE10hipError_tPvRmT2_T3_T4_T5_mT6_T7_P12ihipStream_tbENKUlT_T0_E_clISt17integral_constantIbLb1EES11_EEDaSW_SX_EUlSW_E_NS1_11comp_targetILNS1_3genE10ELNS1_11target_archE1201ELNS1_3gpuE5ELNS1_3repE0EEENS1_30default_config_static_selectorELNS0_4arch9wavefront6targetE1EEEvT1_,"axG",@progbits,_ZN7rocprim17ROCPRIM_400000_NS6detail17trampoline_kernelINS0_14default_configENS1_27scan_by_key_config_selectorIiyEEZZNS1_16scan_by_key_implILNS1_25lookback_scan_determinismE0ELb0ES3_N6thrust23THRUST_200600_302600_NS6detail15normal_iteratorINS9_10device_ptrIiEEEENSB_INSC_IyEEEESG_yNS9_4plusIvEENS9_8equal_toIvEEyEE10hipError_tPvRmT2_T3_T4_T5_mT6_T7_P12ihipStream_tbENKUlT_T0_E_clISt17integral_constantIbLb1EES11_EEDaSW_SX_EUlSW_E_NS1_11comp_targetILNS1_3genE10ELNS1_11target_archE1201ELNS1_3gpuE5ELNS1_3repE0EEENS1_30default_config_static_selectorELNS0_4arch9wavefront6targetE1EEEvT1_,comdat
	.protected	_ZN7rocprim17ROCPRIM_400000_NS6detail17trampoline_kernelINS0_14default_configENS1_27scan_by_key_config_selectorIiyEEZZNS1_16scan_by_key_implILNS1_25lookback_scan_determinismE0ELb0ES3_N6thrust23THRUST_200600_302600_NS6detail15normal_iteratorINS9_10device_ptrIiEEEENSB_INSC_IyEEEESG_yNS9_4plusIvEENS9_8equal_toIvEEyEE10hipError_tPvRmT2_T3_T4_T5_mT6_T7_P12ihipStream_tbENKUlT_T0_E_clISt17integral_constantIbLb1EES11_EEDaSW_SX_EUlSW_E_NS1_11comp_targetILNS1_3genE10ELNS1_11target_archE1201ELNS1_3gpuE5ELNS1_3repE0EEENS1_30default_config_static_selectorELNS0_4arch9wavefront6targetE1EEEvT1_ ; -- Begin function _ZN7rocprim17ROCPRIM_400000_NS6detail17trampoline_kernelINS0_14default_configENS1_27scan_by_key_config_selectorIiyEEZZNS1_16scan_by_key_implILNS1_25lookback_scan_determinismE0ELb0ES3_N6thrust23THRUST_200600_302600_NS6detail15normal_iteratorINS9_10device_ptrIiEEEENSB_INSC_IyEEEESG_yNS9_4plusIvEENS9_8equal_toIvEEyEE10hipError_tPvRmT2_T3_T4_T5_mT6_T7_P12ihipStream_tbENKUlT_T0_E_clISt17integral_constantIbLb1EES11_EEDaSW_SX_EUlSW_E_NS1_11comp_targetILNS1_3genE10ELNS1_11target_archE1201ELNS1_3gpuE5ELNS1_3repE0EEENS1_30default_config_static_selectorELNS0_4arch9wavefront6targetE1EEEvT1_
	.globl	_ZN7rocprim17ROCPRIM_400000_NS6detail17trampoline_kernelINS0_14default_configENS1_27scan_by_key_config_selectorIiyEEZZNS1_16scan_by_key_implILNS1_25lookback_scan_determinismE0ELb0ES3_N6thrust23THRUST_200600_302600_NS6detail15normal_iteratorINS9_10device_ptrIiEEEENSB_INSC_IyEEEESG_yNS9_4plusIvEENS9_8equal_toIvEEyEE10hipError_tPvRmT2_T3_T4_T5_mT6_T7_P12ihipStream_tbENKUlT_T0_E_clISt17integral_constantIbLb1EES11_EEDaSW_SX_EUlSW_E_NS1_11comp_targetILNS1_3genE10ELNS1_11target_archE1201ELNS1_3gpuE5ELNS1_3repE0EEENS1_30default_config_static_selectorELNS0_4arch9wavefront6targetE1EEEvT1_
	.p2align	8
	.type	_ZN7rocprim17ROCPRIM_400000_NS6detail17trampoline_kernelINS0_14default_configENS1_27scan_by_key_config_selectorIiyEEZZNS1_16scan_by_key_implILNS1_25lookback_scan_determinismE0ELb0ES3_N6thrust23THRUST_200600_302600_NS6detail15normal_iteratorINS9_10device_ptrIiEEEENSB_INSC_IyEEEESG_yNS9_4plusIvEENS9_8equal_toIvEEyEE10hipError_tPvRmT2_T3_T4_T5_mT6_T7_P12ihipStream_tbENKUlT_T0_E_clISt17integral_constantIbLb1EES11_EEDaSW_SX_EUlSW_E_NS1_11comp_targetILNS1_3genE10ELNS1_11target_archE1201ELNS1_3gpuE5ELNS1_3repE0EEENS1_30default_config_static_selectorELNS0_4arch9wavefront6targetE1EEEvT1_,@function
_ZN7rocprim17ROCPRIM_400000_NS6detail17trampoline_kernelINS0_14default_configENS1_27scan_by_key_config_selectorIiyEEZZNS1_16scan_by_key_implILNS1_25lookback_scan_determinismE0ELb0ES3_N6thrust23THRUST_200600_302600_NS6detail15normal_iteratorINS9_10device_ptrIiEEEENSB_INSC_IyEEEESG_yNS9_4plusIvEENS9_8equal_toIvEEyEE10hipError_tPvRmT2_T3_T4_T5_mT6_T7_P12ihipStream_tbENKUlT_T0_E_clISt17integral_constantIbLb1EES11_EEDaSW_SX_EUlSW_E_NS1_11comp_targetILNS1_3genE10ELNS1_11target_archE1201ELNS1_3gpuE5ELNS1_3repE0EEENS1_30default_config_static_selectorELNS0_4arch9wavefront6targetE1EEEvT1_: ; @_ZN7rocprim17ROCPRIM_400000_NS6detail17trampoline_kernelINS0_14default_configENS1_27scan_by_key_config_selectorIiyEEZZNS1_16scan_by_key_implILNS1_25lookback_scan_determinismE0ELb0ES3_N6thrust23THRUST_200600_302600_NS6detail15normal_iteratorINS9_10device_ptrIiEEEENSB_INSC_IyEEEESG_yNS9_4plusIvEENS9_8equal_toIvEEyEE10hipError_tPvRmT2_T3_T4_T5_mT6_T7_P12ihipStream_tbENKUlT_T0_E_clISt17integral_constantIbLb1EES11_EEDaSW_SX_EUlSW_E_NS1_11comp_targetILNS1_3genE10ELNS1_11target_archE1201ELNS1_3gpuE5ELNS1_3repE0EEENS1_30default_config_static_selectorELNS0_4arch9wavefront6targetE1EEEvT1_
; %bb.0:
	.section	.rodata,"a",@progbits
	.p2align	6, 0x0
	.amdhsa_kernel _ZN7rocprim17ROCPRIM_400000_NS6detail17trampoline_kernelINS0_14default_configENS1_27scan_by_key_config_selectorIiyEEZZNS1_16scan_by_key_implILNS1_25lookback_scan_determinismE0ELb0ES3_N6thrust23THRUST_200600_302600_NS6detail15normal_iteratorINS9_10device_ptrIiEEEENSB_INSC_IyEEEESG_yNS9_4plusIvEENS9_8equal_toIvEEyEE10hipError_tPvRmT2_T3_T4_T5_mT6_T7_P12ihipStream_tbENKUlT_T0_E_clISt17integral_constantIbLb1EES11_EEDaSW_SX_EUlSW_E_NS1_11comp_targetILNS1_3genE10ELNS1_11target_archE1201ELNS1_3gpuE5ELNS1_3repE0EEENS1_30default_config_static_selectorELNS0_4arch9wavefront6targetE1EEEvT1_
		.amdhsa_group_segment_fixed_size 0
		.amdhsa_private_segment_fixed_size 0
		.amdhsa_kernarg_size 136
		.amdhsa_user_sgpr_count 2
		.amdhsa_user_sgpr_dispatch_ptr 0
		.amdhsa_user_sgpr_queue_ptr 0
		.amdhsa_user_sgpr_kernarg_segment_ptr 1
		.amdhsa_user_sgpr_dispatch_id 0
		.amdhsa_user_sgpr_kernarg_preload_length 0
		.amdhsa_user_sgpr_kernarg_preload_offset 0
		.amdhsa_user_sgpr_private_segment_size 0
		.amdhsa_uses_dynamic_stack 0
		.amdhsa_enable_private_segment 0
		.amdhsa_system_sgpr_workgroup_id_x 1
		.amdhsa_system_sgpr_workgroup_id_y 0
		.amdhsa_system_sgpr_workgroup_id_z 0
		.amdhsa_system_sgpr_workgroup_info 0
		.amdhsa_system_vgpr_workitem_id 0
		.amdhsa_next_free_vgpr 1
		.amdhsa_next_free_sgpr 0
		.amdhsa_accum_offset 4
		.amdhsa_reserve_vcc 0
		.amdhsa_float_round_mode_32 0
		.amdhsa_float_round_mode_16_64 0
		.amdhsa_float_denorm_mode_32 3
		.amdhsa_float_denorm_mode_16_64 3
		.amdhsa_dx10_clamp 1
		.amdhsa_ieee_mode 1
		.amdhsa_fp16_overflow 0
		.amdhsa_tg_split 0
		.amdhsa_exception_fp_ieee_invalid_op 0
		.amdhsa_exception_fp_denorm_src 0
		.amdhsa_exception_fp_ieee_div_zero 0
		.amdhsa_exception_fp_ieee_overflow 0
		.amdhsa_exception_fp_ieee_underflow 0
		.amdhsa_exception_fp_ieee_inexact 0
		.amdhsa_exception_int_div_zero 0
	.end_amdhsa_kernel
	.section	.text._ZN7rocprim17ROCPRIM_400000_NS6detail17trampoline_kernelINS0_14default_configENS1_27scan_by_key_config_selectorIiyEEZZNS1_16scan_by_key_implILNS1_25lookback_scan_determinismE0ELb0ES3_N6thrust23THRUST_200600_302600_NS6detail15normal_iteratorINS9_10device_ptrIiEEEENSB_INSC_IyEEEESG_yNS9_4plusIvEENS9_8equal_toIvEEyEE10hipError_tPvRmT2_T3_T4_T5_mT6_T7_P12ihipStream_tbENKUlT_T0_E_clISt17integral_constantIbLb1EES11_EEDaSW_SX_EUlSW_E_NS1_11comp_targetILNS1_3genE10ELNS1_11target_archE1201ELNS1_3gpuE5ELNS1_3repE0EEENS1_30default_config_static_selectorELNS0_4arch9wavefront6targetE1EEEvT1_,"axG",@progbits,_ZN7rocprim17ROCPRIM_400000_NS6detail17trampoline_kernelINS0_14default_configENS1_27scan_by_key_config_selectorIiyEEZZNS1_16scan_by_key_implILNS1_25lookback_scan_determinismE0ELb0ES3_N6thrust23THRUST_200600_302600_NS6detail15normal_iteratorINS9_10device_ptrIiEEEENSB_INSC_IyEEEESG_yNS9_4plusIvEENS9_8equal_toIvEEyEE10hipError_tPvRmT2_T3_T4_T5_mT6_T7_P12ihipStream_tbENKUlT_T0_E_clISt17integral_constantIbLb1EES11_EEDaSW_SX_EUlSW_E_NS1_11comp_targetILNS1_3genE10ELNS1_11target_archE1201ELNS1_3gpuE5ELNS1_3repE0EEENS1_30default_config_static_selectorELNS0_4arch9wavefront6targetE1EEEvT1_,comdat
.Lfunc_end1188:
	.size	_ZN7rocprim17ROCPRIM_400000_NS6detail17trampoline_kernelINS0_14default_configENS1_27scan_by_key_config_selectorIiyEEZZNS1_16scan_by_key_implILNS1_25lookback_scan_determinismE0ELb0ES3_N6thrust23THRUST_200600_302600_NS6detail15normal_iteratorINS9_10device_ptrIiEEEENSB_INSC_IyEEEESG_yNS9_4plusIvEENS9_8equal_toIvEEyEE10hipError_tPvRmT2_T3_T4_T5_mT6_T7_P12ihipStream_tbENKUlT_T0_E_clISt17integral_constantIbLb1EES11_EEDaSW_SX_EUlSW_E_NS1_11comp_targetILNS1_3genE10ELNS1_11target_archE1201ELNS1_3gpuE5ELNS1_3repE0EEENS1_30default_config_static_selectorELNS0_4arch9wavefront6targetE1EEEvT1_, .Lfunc_end1188-_ZN7rocprim17ROCPRIM_400000_NS6detail17trampoline_kernelINS0_14default_configENS1_27scan_by_key_config_selectorIiyEEZZNS1_16scan_by_key_implILNS1_25lookback_scan_determinismE0ELb0ES3_N6thrust23THRUST_200600_302600_NS6detail15normal_iteratorINS9_10device_ptrIiEEEENSB_INSC_IyEEEESG_yNS9_4plusIvEENS9_8equal_toIvEEyEE10hipError_tPvRmT2_T3_T4_T5_mT6_T7_P12ihipStream_tbENKUlT_T0_E_clISt17integral_constantIbLb1EES11_EEDaSW_SX_EUlSW_E_NS1_11comp_targetILNS1_3genE10ELNS1_11target_archE1201ELNS1_3gpuE5ELNS1_3repE0EEENS1_30default_config_static_selectorELNS0_4arch9wavefront6targetE1EEEvT1_
                                        ; -- End function
	.section	.AMDGPU.csdata,"",@progbits
; Kernel info:
; codeLenInByte = 0
; NumSgprs: 6
; NumVgprs: 0
; NumAgprs: 0
; TotalNumVgprs: 0
; ScratchSize: 0
; MemoryBound: 0
; FloatMode: 240
; IeeeMode: 1
; LDSByteSize: 0 bytes/workgroup (compile time only)
; SGPRBlocks: 0
; VGPRBlocks: 0
; NumSGPRsForWavesPerEU: 6
; NumVGPRsForWavesPerEU: 1
; AccumOffset: 4
; Occupancy: 8
; WaveLimiterHint : 0
; COMPUTE_PGM_RSRC2:SCRATCH_EN: 0
; COMPUTE_PGM_RSRC2:USER_SGPR: 2
; COMPUTE_PGM_RSRC2:TRAP_HANDLER: 0
; COMPUTE_PGM_RSRC2:TGID_X_EN: 1
; COMPUTE_PGM_RSRC2:TGID_Y_EN: 0
; COMPUTE_PGM_RSRC2:TGID_Z_EN: 0
; COMPUTE_PGM_RSRC2:TIDIG_COMP_CNT: 0
; COMPUTE_PGM_RSRC3_GFX90A:ACCUM_OFFSET: 0
; COMPUTE_PGM_RSRC3_GFX90A:TG_SPLIT: 0
	.section	.text._ZN7rocprim17ROCPRIM_400000_NS6detail17trampoline_kernelINS0_14default_configENS1_27scan_by_key_config_selectorIiyEEZZNS1_16scan_by_key_implILNS1_25lookback_scan_determinismE0ELb0ES3_N6thrust23THRUST_200600_302600_NS6detail15normal_iteratorINS9_10device_ptrIiEEEENSB_INSC_IyEEEESG_yNS9_4plusIvEENS9_8equal_toIvEEyEE10hipError_tPvRmT2_T3_T4_T5_mT6_T7_P12ihipStream_tbENKUlT_T0_E_clISt17integral_constantIbLb1EES11_EEDaSW_SX_EUlSW_E_NS1_11comp_targetILNS1_3genE5ELNS1_11target_archE942ELNS1_3gpuE9ELNS1_3repE0EEENS1_30default_config_static_selectorELNS0_4arch9wavefront6targetE1EEEvT1_,"axG",@progbits,_ZN7rocprim17ROCPRIM_400000_NS6detail17trampoline_kernelINS0_14default_configENS1_27scan_by_key_config_selectorIiyEEZZNS1_16scan_by_key_implILNS1_25lookback_scan_determinismE0ELb0ES3_N6thrust23THRUST_200600_302600_NS6detail15normal_iteratorINS9_10device_ptrIiEEEENSB_INSC_IyEEEESG_yNS9_4plusIvEENS9_8equal_toIvEEyEE10hipError_tPvRmT2_T3_T4_T5_mT6_T7_P12ihipStream_tbENKUlT_T0_E_clISt17integral_constantIbLb1EES11_EEDaSW_SX_EUlSW_E_NS1_11comp_targetILNS1_3genE5ELNS1_11target_archE942ELNS1_3gpuE9ELNS1_3repE0EEENS1_30default_config_static_selectorELNS0_4arch9wavefront6targetE1EEEvT1_,comdat
	.protected	_ZN7rocprim17ROCPRIM_400000_NS6detail17trampoline_kernelINS0_14default_configENS1_27scan_by_key_config_selectorIiyEEZZNS1_16scan_by_key_implILNS1_25lookback_scan_determinismE0ELb0ES3_N6thrust23THRUST_200600_302600_NS6detail15normal_iteratorINS9_10device_ptrIiEEEENSB_INSC_IyEEEESG_yNS9_4plusIvEENS9_8equal_toIvEEyEE10hipError_tPvRmT2_T3_T4_T5_mT6_T7_P12ihipStream_tbENKUlT_T0_E_clISt17integral_constantIbLb1EES11_EEDaSW_SX_EUlSW_E_NS1_11comp_targetILNS1_3genE5ELNS1_11target_archE942ELNS1_3gpuE9ELNS1_3repE0EEENS1_30default_config_static_selectorELNS0_4arch9wavefront6targetE1EEEvT1_ ; -- Begin function _ZN7rocprim17ROCPRIM_400000_NS6detail17trampoline_kernelINS0_14default_configENS1_27scan_by_key_config_selectorIiyEEZZNS1_16scan_by_key_implILNS1_25lookback_scan_determinismE0ELb0ES3_N6thrust23THRUST_200600_302600_NS6detail15normal_iteratorINS9_10device_ptrIiEEEENSB_INSC_IyEEEESG_yNS9_4plusIvEENS9_8equal_toIvEEyEE10hipError_tPvRmT2_T3_T4_T5_mT6_T7_P12ihipStream_tbENKUlT_T0_E_clISt17integral_constantIbLb1EES11_EEDaSW_SX_EUlSW_E_NS1_11comp_targetILNS1_3genE5ELNS1_11target_archE942ELNS1_3gpuE9ELNS1_3repE0EEENS1_30default_config_static_selectorELNS0_4arch9wavefront6targetE1EEEvT1_
	.globl	_ZN7rocprim17ROCPRIM_400000_NS6detail17trampoline_kernelINS0_14default_configENS1_27scan_by_key_config_selectorIiyEEZZNS1_16scan_by_key_implILNS1_25lookback_scan_determinismE0ELb0ES3_N6thrust23THRUST_200600_302600_NS6detail15normal_iteratorINS9_10device_ptrIiEEEENSB_INSC_IyEEEESG_yNS9_4plusIvEENS9_8equal_toIvEEyEE10hipError_tPvRmT2_T3_T4_T5_mT6_T7_P12ihipStream_tbENKUlT_T0_E_clISt17integral_constantIbLb1EES11_EEDaSW_SX_EUlSW_E_NS1_11comp_targetILNS1_3genE5ELNS1_11target_archE942ELNS1_3gpuE9ELNS1_3repE0EEENS1_30default_config_static_selectorELNS0_4arch9wavefront6targetE1EEEvT1_
	.p2align	8
	.type	_ZN7rocprim17ROCPRIM_400000_NS6detail17trampoline_kernelINS0_14default_configENS1_27scan_by_key_config_selectorIiyEEZZNS1_16scan_by_key_implILNS1_25lookback_scan_determinismE0ELb0ES3_N6thrust23THRUST_200600_302600_NS6detail15normal_iteratorINS9_10device_ptrIiEEEENSB_INSC_IyEEEESG_yNS9_4plusIvEENS9_8equal_toIvEEyEE10hipError_tPvRmT2_T3_T4_T5_mT6_T7_P12ihipStream_tbENKUlT_T0_E_clISt17integral_constantIbLb1EES11_EEDaSW_SX_EUlSW_E_NS1_11comp_targetILNS1_3genE5ELNS1_11target_archE942ELNS1_3gpuE9ELNS1_3repE0EEENS1_30default_config_static_selectorELNS0_4arch9wavefront6targetE1EEEvT1_,@function
_ZN7rocprim17ROCPRIM_400000_NS6detail17trampoline_kernelINS0_14default_configENS1_27scan_by_key_config_selectorIiyEEZZNS1_16scan_by_key_implILNS1_25lookback_scan_determinismE0ELb0ES3_N6thrust23THRUST_200600_302600_NS6detail15normal_iteratorINS9_10device_ptrIiEEEENSB_INSC_IyEEEESG_yNS9_4plusIvEENS9_8equal_toIvEEyEE10hipError_tPvRmT2_T3_T4_T5_mT6_T7_P12ihipStream_tbENKUlT_T0_E_clISt17integral_constantIbLb1EES11_EEDaSW_SX_EUlSW_E_NS1_11comp_targetILNS1_3genE5ELNS1_11target_archE942ELNS1_3gpuE9ELNS1_3repE0EEENS1_30default_config_static_selectorELNS0_4arch9wavefront6targetE1EEEvT1_: ; @_ZN7rocprim17ROCPRIM_400000_NS6detail17trampoline_kernelINS0_14default_configENS1_27scan_by_key_config_selectorIiyEEZZNS1_16scan_by_key_implILNS1_25lookback_scan_determinismE0ELb0ES3_N6thrust23THRUST_200600_302600_NS6detail15normal_iteratorINS9_10device_ptrIiEEEENSB_INSC_IyEEEESG_yNS9_4plusIvEENS9_8equal_toIvEEyEE10hipError_tPvRmT2_T3_T4_T5_mT6_T7_P12ihipStream_tbENKUlT_T0_E_clISt17integral_constantIbLb1EES11_EEDaSW_SX_EUlSW_E_NS1_11comp_targetILNS1_3genE5ELNS1_11target_archE942ELNS1_3gpuE9ELNS1_3repE0EEENS1_30default_config_static_selectorELNS0_4arch9wavefront6targetE1EEEvT1_
; %bb.0:
	s_load_dwordx8 s[4:11], s[0:1], 0x30
                                        ; implicit-def: $vgpr131 : SGPR spill to VGPR lane
	s_load_dwordx2 s[14:15], s[0:1], 0x50
	v_cmp_eq_u32_e64 s[68:69], 0, v0
	s_waitcnt lgkmcnt(0)
	v_writelane_b32 v131, s4, 0
	s_nop 1
	v_writelane_b32 v131, s5, 1
	v_writelane_b32 v131, s6, 2
	;; [unrolled: 1-line block ×7, first 2 shown]
	v_cmp_ne_u32_e64 s[4:5], 0, v0
	s_and_saveexec_b64 s[2:3], s[68:69]
	s_cbranch_execz .LBB1189_4
; %bb.1:
	s_mov_b64 s[8:9], exec
	v_mbcnt_lo_u32_b32 v1, s8, 0
	v_mbcnt_hi_u32_b32 v1, s9, v1
	v_cmp_eq_u32_e32 vcc, 0, v1
                                        ; implicit-def: $vgpr2
	s_and_saveexec_b64 s[6:7], vcc
	s_cbranch_execz .LBB1189_3
; %bb.2:
	s_load_dwordx2 s[10:11], s[0:1], 0x80
	s_bcnt1_i32_b64 s8, s[8:9]
	v_mov_b32_e32 v2, 0
	v_mov_b32_e32 v3, s8
	s_waitcnt lgkmcnt(0)
	global_atomic_add v2, v2, v3, s[10:11] sc0
.LBB1189_3:
	s_or_b64 exec, exec, s[6:7]
	s_waitcnt vmcnt(0)
	v_readfirstlane_b32 s6, v2
	v_mov_b32_e32 v2, 0
	s_nop 0
	v_add_u32_e32 v1, s6, v1
	ds_write_b32 v2, v1
.LBB1189_4:
	s_or_b64 exec, exec, s[2:3]
	s_load_dwordx8 s[72:79], s[0:1], 0x0
	s_load_dword s2, s[0:1], 0x58
	s_load_dwordx8 s[60:67], s[0:1], 0x60
	v_mov_b32_e32 v1, 0
	s_waitcnt lgkmcnt(0)
	s_barrier
	ds_read_b32 v1, v1
	s_lshl_b64 s[0:1], s[74:75], 2
	s_add_u32 s8, s72, s0
	s_addc_u32 s9, s73, s1
	s_lshl_b64 s[88:89], s[74:75], 3
	s_add_u32 s10, s76, s88
	s_mul_i32 s0, s15, s2
	s_mul_hi_u32 s1, s14, s2
	s_addc_u32 s11, s77, s89
	s_add_i32 s12, s1, s0
	s_waitcnt lgkmcnt(0)
	v_readfirstlane_b32 s92, v1
	s_cmp_lg_u64 s[64:65], 0
	s_mov_b32 s1, 0
	s_mul_i32 s0, s92, 0x1500
	v_writelane_b32 v131, s14, 8
	s_mul_i32 s13, s14, s2
	s_cselect_b64 s[54:55], -1, 0
	s_lshl_b64 s[2:3], s[0:1], 2
	s_add_u32 s52, s8, s2
	s_addc_u32 s53, s9, s3
	s_lshl_b64 s[2:3], s[0:1], 3
	s_add_u32 s50, s10, s2
	s_addc_u32 s51, s11, s3
	s_add_u32 s56, s13, s92
	s_addc_u32 s57, s12, 0
	s_add_u32 s0, s60, -1
	s_addc_u32 s1, s61, -1
	v_mov_b64_e32 v[2:3], s[0:1]
	v_cmp_ge_u64_e64 s[60:61], s[56:57], v[2:3]
	s_mov_b64 s[6:7], 0
	s_mov_b64 s[10:11], -1
	s_and_b64 vcc, exec, s[60:61]
	s_mul_i32 s33, s0, 0xffffeb00
	v_writelane_b32 v131, s15, 9
	s_barrier
	s_barrier
	s_cbranch_vccz .LBB1189_116
; %bb.5:
	v_mov_b64_e32 v[2:3], s[52:53]
	flat_load_dword v2, v[2:3]
	v_readlane_b32 s8, v131, 0
	v_readlane_b32 s14, v131, 6
	s_add_i32 s65, s33, s14
	v_cmp_gt_u32_e64 s[6:7], s65, v0
	v_readlane_b32 s9, v131, 1
	v_readlane_b32 s10, v131, 2
	;; [unrolled: 1-line block ×6, first 2 shown]
	s_waitcnt vmcnt(0) lgkmcnt(0)
	v_mov_b32_e32 v4, v2
	s_and_saveexec_b64 s[0:1], s[6:7]
	s_cbranch_execz .LBB1189_7
; %bb.6:
	v_lshlrev_b32_e32 v4, 2, v0
	v_mov_b32_e32 v5, 0
	v_lshl_add_u64 v[4:5], s[52:53], 0, v[4:5]
	flat_load_dword v4, v[4:5]
.LBB1189_7:
	s_or_b64 exec, exec, s[0:1]
	v_or_b32_e32 v1, 0x100, v0
	v_cmp_gt_u32_e64 s[8:9], s65, v1
	v_mov_b32_e32 v5, v2
	s_and_saveexec_b64 s[0:1], s[8:9]
	s_cbranch_execz .LBB1189_9
; %bb.8:
	v_lshlrev_b32_e32 v6, 2, v0
	v_mov_b32_e32 v7, 0
	v_lshl_add_u64 v[6:7], s[52:53], 0, v[6:7]
	flat_load_dword v5, v[6:7] offset:1024
.LBB1189_9:
	s_or_b64 exec, exec, s[0:1]
	v_or_b32_e32 v1, 0x200, v0
	v_cmp_gt_u32_e64 s[10:11], s65, v1
	v_mov_b32_e32 v6, v2
	s_and_saveexec_b64 s[0:1], s[10:11]
	s_cbranch_execz .LBB1189_11
; %bb.10:
	v_lshlrev_b32_e32 v6, 2, v0
	v_mov_b32_e32 v7, 0
	v_lshl_add_u64 v[6:7], s[52:53], 0, v[6:7]
	flat_load_dword v6, v[6:7] offset:2048
.LBB1189_11:
	;; [unrolled: 12-line block ×3, first 2 shown]
	s_or_b64 exec, exec, s[0:1]
	v_or_b32_e32 v18, 0x400, v0
	v_cmp_gt_u32_e64 s[14:15], s65, v18
	v_mov_b32_e32 v8, v2
	s_and_saveexec_b64 s[0:1], s[14:15]
	s_cbranch_execz .LBB1189_15
; %bb.14:
	v_lshlrev_b32_e32 v8, 2, v18
	v_mov_b32_e32 v9, 0
	v_lshl_add_u64 v[8:9], s[52:53], 0, v[8:9]
	flat_load_dword v8, v[8:9]
.LBB1189_15:
	s_or_b64 exec, exec, s[0:1]
	v_or_b32_e32 v22, 0x500, v0
	v_cmp_gt_u32_e64 s[16:17], s65, v22
	v_mov_b32_e32 v9, v2
	s_and_saveexec_b64 s[0:1], s[16:17]
	s_cbranch_execz .LBB1189_17
; %bb.16:
	v_lshlrev_b32_e32 v10, 2, v22
	v_mov_b32_e32 v11, 0
	v_lshl_add_u64 v[10:11], s[52:53], 0, v[10:11]
	flat_load_dword v9, v[10:11]
.LBB1189_17:
	;; [unrolled: 12-line block ×16, first 2 shown]
	s_or_b64 exec, exec, s[0:1]
	v_or_b32_e32 v65, 0x1400, v0
	v_cmp_gt_u32_e64 s[48:49], s65, v65
	v_mov_b32_e32 v3, 0
	s_and_saveexec_b64 s[0:1], s[48:49]
	s_cbranch_execz .LBB1189_47
; %bb.46:
	v_lshlrev_b32_e32 v2, 2, v65
	v_lshl_add_u64 v[2:3], s[52:53], 0, v[2:3]
	flat_load_dword v2, v[2:3]
.LBB1189_47:
	s_or_b64 exec, exec, s[0:1]
	v_lshlrev_b32_e32 v3, 2, v0
	s_movk_i32 s0, 0x50
	s_waitcnt vmcnt(0) lgkmcnt(0)
	ds_write2st64_b32 v3, v4, v5 offset1:4
	ds_write2st64_b32 v3, v6, v7 offset0:8 offset1:12
	ds_write2st64_b32 v3, v8, v9 offset0:16 offset1:20
	;; [unrolled: 1-line block ×9, first 2 shown]
	ds_write_b32 v3, v2 offset:20480
	v_mad_u32_u24 v2, v0, s0, v3
	s_waitcnt lgkmcnt(0)
	s_barrier
	ds_read2_b32 v[40:41], v2 offset0:7 offset1:8
	ds_read2_b32 v[44:45], v2 offset0:5 offset1:6
	;; [unrolled: 1-line block ×3, first 2 shown]
	ds_read2_b32 v[36:37], v2 offset1:1
	ds_read2_b32 v[32:33], v2 offset0:4 offset1:9
	ds_read2_b32 v[8:9], v2 offset0:15 offset1:16
	ds_read_b32 v64, v2 offset:56
	ds_read2_b32 v[20:21], v2 offset0:12 offset1:13
	ds_read2_b32 v[24:25], v2 offset0:10 offset1:11
	;; [unrolled: 1-line block ×4, first 2 shown]
	s_cmp_eq_u64 s[56:57], 0
	s_mov_b64 s[0:1], s[52:53]
	s_cbranch_scc1 .LBB1189_51
; %bb.48:
	s_andn2_b64 vcc, exec, s[54:55]
	s_cbranch_vccnz .LBB1189_295
; %bb.49:
	s_lshl_b64 s[0:1], s[56:57], 2
	s_add_u32 s0, s66, s0
	s_addc_u32 s1, s67, s1
	s_add_u32 s0, s0, -4
	s_addc_u32 s1, s1, -1
	s_cbranch_execnz .LBB1189_51
.LBB1189_50:
	s_add_u32 s0, s52, -4
	s_addc_u32 s1, s53, -1
.LBB1189_51:
	v_mov_b64_e32 v[6:7], s[0:1]
	flat_load_dword v68, v[6:7]
	s_movk_i32 s0, 0xffb0
	v_mad_i32_i24 v66, v0, s0, v2
	s_waitcnt lgkmcnt(0)
	ds_write_b32 v66, v5 offset:21504
	s_waitcnt lgkmcnt(0)
	s_barrier
	s_and_saveexec_b64 s[0:1], s[4:5]
	s_cbranch_execz .LBB1189_53
; %bb.52:
	s_waitcnt vmcnt(0)
	ds_read_b32 v68, v66 offset:21500
.LBB1189_53:
	s_or_b64 exec, exec, s[0:1]
	v_mov_b32_e32 v7, 0
	s_waitcnt lgkmcnt(0)
	s_barrier
	s_waitcnt lgkmcnt(0)
                                        ; implicit-def: $vgpr2_vgpr3
	s_and_saveexec_b64 s[0:1], s[6:7]
	s_cbranch_execnz .LBB1189_275
; %bb.54:
	s_or_b64 exec, exec, s[0:1]
                                        ; implicit-def: $vgpr6_vgpr7
	s_and_saveexec_b64 s[0:1], s[8:9]
	s_cbranch_execnz .LBB1189_276
.LBB1189_55:
	s_or_b64 exec, exec, s[0:1]
                                        ; implicit-def: $vgpr10_vgpr11
	s_and_saveexec_b64 s[0:1], s[10:11]
	s_cbranch_execnz .LBB1189_277
.LBB1189_56:
	s_or_b64 exec, exec, s[0:1]
                                        ; implicit-def: $vgpr14_vgpr15
	s_and_saveexec_b64 s[0:1], s[12:13]
	s_cbranch_execnz .LBB1189_278
.LBB1189_57:
	s_or_b64 exec, exec, s[0:1]
                                        ; implicit-def: $vgpr16_vgpr17
	s_and_saveexec_b64 s[0:1], s[14:15]
	s_cbranch_execnz .LBB1189_279
.LBB1189_58:
	s_or_b64 exec, exec, s[0:1]
                                        ; implicit-def: $vgpr18_vgpr19
	s_and_saveexec_b64 s[0:1], s[16:17]
	s_cbranch_execnz .LBB1189_280
.LBB1189_59:
	s_or_b64 exec, exec, s[0:1]
                                        ; implicit-def: $vgpr22_vgpr23
	s_and_saveexec_b64 s[0:1], s[18:19]
	s_cbranch_execnz .LBB1189_281
.LBB1189_60:
	s_or_b64 exec, exec, s[0:1]
                                        ; implicit-def: $vgpr26_vgpr27
	s_and_saveexec_b64 s[0:1], s[20:21]
	s_cbranch_execnz .LBB1189_282
.LBB1189_61:
	s_or_b64 exec, exec, s[0:1]
                                        ; implicit-def: $vgpr30_vgpr31
	s_and_saveexec_b64 s[0:1], s[22:23]
	s_cbranch_execnz .LBB1189_283
.LBB1189_62:
	s_or_b64 exec, exec, s[0:1]
                                        ; implicit-def: $vgpr34_vgpr35
	s_and_saveexec_b64 s[0:1], s[24:25]
	s_cbranch_execnz .LBB1189_284
.LBB1189_63:
	s_or_b64 exec, exec, s[0:1]
                                        ; implicit-def: $vgpr38_vgpr39
	s_and_saveexec_b64 s[0:1], s[26:27]
	s_cbranch_execnz .LBB1189_285
.LBB1189_64:
	s_or_b64 exec, exec, s[0:1]
                                        ; implicit-def: $vgpr42_vgpr43
	s_and_saveexec_b64 s[0:1], s[28:29]
	s_cbranch_execnz .LBB1189_286
.LBB1189_65:
	s_or_b64 exec, exec, s[0:1]
                                        ; implicit-def: $vgpr46_vgpr47
	s_and_saveexec_b64 s[0:1], s[30:31]
	s_cbranch_execnz .LBB1189_287
.LBB1189_66:
	s_or_b64 exec, exec, s[0:1]
                                        ; implicit-def: $vgpr48_vgpr49
	s_and_saveexec_b64 s[0:1], s[34:35]
	s_cbranch_execnz .LBB1189_288
.LBB1189_67:
	s_or_b64 exec, exec, s[0:1]
                                        ; implicit-def: $vgpr50_vgpr51
	s_and_saveexec_b64 s[0:1], s[36:37]
	s_cbranch_execnz .LBB1189_289
.LBB1189_68:
	s_or_b64 exec, exec, s[0:1]
                                        ; implicit-def: $vgpr52_vgpr53
	s_and_saveexec_b64 s[0:1], s[38:39]
	s_cbranch_execnz .LBB1189_290
.LBB1189_69:
	s_or_b64 exec, exec, s[0:1]
                                        ; implicit-def: $vgpr54_vgpr55
	s_and_saveexec_b64 s[0:1], s[40:41]
	s_cbranch_execnz .LBB1189_291
.LBB1189_70:
	s_or_b64 exec, exec, s[0:1]
                                        ; implicit-def: $vgpr56_vgpr57
	s_and_saveexec_b64 s[0:1], s[42:43]
	s_cbranch_execnz .LBB1189_292
.LBB1189_71:
	s_or_b64 exec, exec, s[0:1]
                                        ; implicit-def: $vgpr58_vgpr59
	s_and_saveexec_b64 s[0:1], s[44:45]
	s_cbranch_execnz .LBB1189_293
.LBB1189_72:
	s_or_b64 exec, exec, s[0:1]
                                        ; implicit-def: $vgpr60_vgpr61
	s_and_saveexec_b64 s[0:1], s[46:47]
	s_cbranch_execnz .LBB1189_294
.LBB1189_73:
	s_or_b64 exec, exec, s[0:1]
                                        ; implicit-def: $vgpr62_vgpr63
	s_and_saveexec_b64 s[0:1], s[48:49]
	s_cbranch_execz .LBB1189_75
.LBB1189_74:
	v_lshlrev_b32_e32 v62, 3, v65
	v_mov_b32_e32 v63, 0
	v_lshl_add_u64 v[62:63], s[50:51], 0, v[62:63]
	flat_load_dwordx2 v[62:63], v[62:63]
.LBB1189_75:
	s_or_b64 exec, exec, s[0:1]
	v_lshl_add_u32 v69, v0, 2, v66
	v_mul_u32_u24_e32 v65, 21, v0
	s_waitcnt vmcnt(0) lgkmcnt(0)
	ds_write2st64_b64 v69, v[2:3], v[6:7] offset1:4
	ds_write2st64_b64 v69, v[10:11], v[14:15] offset0:8 offset1:12
	ds_write2st64_b64 v69, v[16:17], v[18:19] offset0:16 offset1:20
	;; [unrolled: 1-line block ×9, first 2 shown]
	ds_write_b64 v69, v[62:63] offset:40960
	v_mov_b64_e32 v[10:11], 0
	v_cmp_gt_u32_e32 vcc, s65, v65
	s_mov_b64 s[6:7], 0
	s_mov_b64 s[10:11], 0
	s_mov_b32 s64, 0
	v_mov_b32_e32 v128, 0
	v_mov_b32_e32 v122, 0
	;; [unrolled: 1-line block ×5, first 2 shown]
	v_mov_b64_e32 v[70:71], v[10:11]
	v_mov_b64_e32 v[78:79], v[10:11]
	;; [unrolled: 1-line block ×8, first 2 shown]
	v_mov_b32_e32 v124, 0
	v_mov_b64_e32 v[38:39], v[10:11]
	v_mov_b64_e32 v[50:51], v[10:11]
	;; [unrolled: 1-line block ×5, first 2 shown]
	v_mov_b32_e32 v123, 0
	v_mov_b64_e32 v[34:35], v[10:11]
	v_mov_b64_e32 v[18:19], v[10:11]
	;; [unrolled: 1-line block ×5, first 2 shown]
	v_mov_b32_e32 v1, 0
	v_mov_b64_e32 v[2:3], v[10:11]
	s_waitcnt lgkmcnt(0)
	s_barrier
	s_waitcnt lgkmcnt(0)
                                        ; implicit-def: $sgpr0_sgpr1
                                        ; implicit-def: $vgpr83
                                        ; implicit-def: $vgpr82
                                        ; implicit-def: $vgpr84
                                        ; implicit-def: $vgpr85
	s_and_saveexec_b64 s[12:13], vcc
	s_cbranch_execz .LBB1189_115
; %bb.76:
	s_movk_i32 s0, 0xa0
	v_mad_u32_u24 v2, v0, s0, v69
	ds_read_b64 v[2:3], v2
	v_cmp_ne_u32_e32 vcc, v68, v36
	v_add_u32_e32 v6, 1, v65
	v_mov_b64_e32 v[10:11], 0
	v_cndmask_b32_e64 v1, 0, 1, vcc
	v_cmp_gt_u32_e32 vcc, s65, v6
	s_mov_b64 s[18:19], 0
	v_mov_b32_e32 v128, 0
	v_mov_b32_e32 v122, 0
	;; [unrolled: 1-line block ×5, first 2 shown]
	v_mov_b64_e32 v[70:71], v[10:11]
	v_mov_b64_e32 v[78:79], v[10:11]
	;; [unrolled: 1-line block ×8, first 2 shown]
	v_mov_b32_e32 v124, 0
	v_mov_b64_e32 v[38:39], v[10:11]
	v_mov_b64_e32 v[50:51], v[10:11]
	;; [unrolled: 1-line block ×5, first 2 shown]
	v_mov_b32_e32 v123, 0
	v_mov_b64_e32 v[34:35], v[10:11]
	v_mov_b64_e32 v[18:19], v[10:11]
	;; [unrolled: 1-line block ×5, first 2 shown]
                                        ; implicit-def: $sgpr0_sgpr1
                                        ; implicit-def: $vgpr83
                                        ; implicit-def: $vgpr82
                                        ; implicit-def: $vgpr84
                                        ; implicit-def: $vgpr85
	s_and_saveexec_b64 s[14:15], vcc
	s_cbranch_execz .LBB1189_114
; %bb.77:
	v_mul_u32_u24_e32 v6, 0xa0, v0
	v_add_u32_e32 v48, v69, v6
	ds_read2_b64 v[14:17], v48 offset0:1 offset1:2
	v_cmp_ne_u32_e64 s[0:1], v36, v37
	v_add_u32_e32 v6, 2, v65
	v_mov_b64_e32 v[10:11], 0
	v_cmp_ne_u32_e32 vcc, v28, v29
	v_cmp_ne_u32_e64 s[6:7], v29, v32
	v_cmp_ne_u32_e64 s[8:9], v37, v28
	v_cndmask_b32_e64 v128, 0, 1, s[0:1]
	v_cmp_gt_u32_e64 s[0:1], s65, v6
	s_mov_b64 s[20:21], 0
	v_mov_b32_e32 v127, 0
	v_mov_b32_e32 v122, 0
	;; [unrolled: 1-line block ×4, first 2 shown]
	v_mov_b64_e32 v[70:71], v[10:11]
	v_mov_b64_e32 v[78:79], v[10:11]
	;; [unrolled: 1-line block ×8, first 2 shown]
	v_mov_b32_e32 v124, 0
	v_mov_b64_e32 v[38:39], v[10:11]
	v_mov_b64_e32 v[50:51], v[10:11]
	;; [unrolled: 1-line block ×5, first 2 shown]
	v_mov_b32_e32 v123, 0
	v_mov_b64_e32 v[34:35], v[10:11]
	v_mov_b64_e32 v[18:19], v[10:11]
	;; [unrolled: 1-line block ×4, first 2 shown]
                                        ; implicit-def: $sgpr22_sgpr23
                                        ; implicit-def: $vgpr83
                                        ; implicit-def: $vgpr82
                                        ; implicit-def: $vgpr84
                                        ; implicit-def: $vgpr85
	s_and_saveexec_b64 s[16:17], s[0:1]
	s_cbranch_execz .LBB1189_113
; %bb.78:
	v_cndmask_b32_e64 v6, 0, 1, s[8:9]
	v_cndmask_b32_e64 v7, 0, 1, s[6:7]
	v_lshlrev_b16_e32 v6, 8, v6
	v_lshlrev_b16_e32 v7, 8, v7
	v_cndmask_b32_e64 v10, 0, 1, vcc
	v_or_b32_e32 v6, v128, v6
	v_or_b32_sdwa v7, v10, v7 dst_sel:WORD_1 dst_unused:UNUSED_PAD src0_sel:DWORD src1_sel:DWORD
	v_add_u32_e32 v10, 3, v65
	v_or_b32_sdwa v83, v6, v7 dst_sel:DWORD dst_unused:UNUSED_PAD src0_sel:WORD_0 src1_sel:DWORD
	v_cmp_gt_u32_e32 vcc, s65, v10
	v_mov_b64_e32 v[10:11], 0
	v_and_b32_e32 v128, 0xffff, v83
	s_waitcnt lgkmcnt(0)
	v_mov_b32_e32 v6, v16
	v_mov_b32_e32 v7, v17
	s_mov_b64 s[0:1], 0
	v_mov_b32_e32 v127, 0
	v_mov_b32_e32 v122, 0
	;; [unrolled: 1-line block ×4, first 2 shown]
	v_mov_b64_e32 v[70:71], v[10:11]
	v_mov_b64_e32 v[78:79], v[10:11]
	;; [unrolled: 1-line block ×8, first 2 shown]
	v_mov_b32_e32 v124, 0
	v_mov_b64_e32 v[38:39], v[10:11]
	v_mov_b64_e32 v[50:51], v[10:11]
	;; [unrolled: 1-line block ×5, first 2 shown]
	v_mov_b32_e32 v123, 0
	v_mov_b64_e32 v[34:35], v[10:11]
	v_mov_b64_e32 v[18:19], v[10:11]
	v_mov_b64_e32 v[26:27], v[10:11]
                                        ; implicit-def: $sgpr6_sgpr7
                                        ; implicit-def: $vgpr82
                                        ; implicit-def: $vgpr84
                                        ; implicit-def: $vgpr85
	s_and_saveexec_b64 s[18:19], vcc
	s_cbranch_execz .LBB1189_112
; %bb.79:
	ds_read2_b64 v[26:29], v48 offset0:3 offset1:4
	v_add_u32_e32 v10, 4, v65
	v_cmp_gt_u32_e32 vcc, s65, v10
	v_mov_b64_e32 v[10:11], 0
	v_and_b32_e32 v128, 0xffffff, v83
	s_mov_b64 s[6:7], 0
	v_mov_b32_e32 v127, 0
	v_mov_b32_e32 v122, 0
	;; [unrolled: 1-line block ×4, first 2 shown]
	v_mov_b64_e32 v[70:71], v[10:11]
	v_mov_b64_e32 v[78:79], v[10:11]
	;; [unrolled: 1-line block ×8, first 2 shown]
	v_mov_b32_e32 v124, 0
	v_mov_b64_e32 v[38:39], v[10:11]
	v_mov_b64_e32 v[50:51], v[10:11]
	;; [unrolled: 1-line block ×5, first 2 shown]
	v_mov_b32_e32 v123, 0
	v_mov_b64_e32 v[34:35], v[10:11]
	v_mov_b64_e32 v[18:19], v[10:11]
                                        ; implicit-def: $sgpr8_sgpr9
                                        ; implicit-def: $vgpr82
                                        ; implicit-def: $vgpr84
                                        ; implicit-def: $vgpr85
	s_and_saveexec_b64 s[20:21], vcc
	s_cbranch_execz .LBB1189_111
; %bb.80:
	v_add_u32_e32 v10, 5, v65
	v_cmp_gt_u32_e32 vcc, s65, v10
	v_mov_b64_e32 v[10:11], 0
	s_waitcnt lgkmcnt(0)
	v_mov_b32_e32 v18, v28
	v_mov_b32_e32 v19, v29
	v_mov_b32_e32 v127, 0
	v_mov_b32_e32 v122, 0
	v_mov_b32_e32 v126, 0
	v_mov_b32_e32 v125, 0
	v_mov_b64_e32 v[70:71], v[10:11]
	v_mov_b64_e32 v[78:79], v[10:11]
	;; [unrolled: 1-line block ×8, first 2 shown]
	v_mov_b32_e32 v124, 0
	v_mov_b64_e32 v[38:39], v[10:11]
	v_mov_b64_e32 v[50:51], v[10:11]
	;; [unrolled: 1-line block ×5, first 2 shown]
	v_mov_b32_e32 v123, 0
	v_mov_b64_e32 v[34:35], v[10:11]
                                        ; implicit-def: $sgpr8_sgpr9
                                        ; implicit-def: $vgpr82
                                        ; implicit-def: $vgpr84
                                        ; implicit-def: $vgpr85
	s_and_saveexec_b64 s[22:23], vcc
	s_cbranch_execz .LBB1189_110
; %bb.81:
	ds_read2_b64 v[34:37], v48 offset0:5 offset1:6
	v_cmp_ne_u32_e32 vcc, v32, v44
	v_add_u32_e32 v10, 6, v65
	s_mov_b64 s[28:29], 0
	v_cndmask_b32_e64 v123, 0, 1, vcc
	v_cmp_gt_u32_e32 vcc, s65, v10
	v_mov_b64_e32 v[10:11], 0
	v_mov_b32_e32 v127, 0
	v_mov_b32_e32 v122, 0
	;; [unrolled: 1-line block ×4, first 2 shown]
	v_mov_b64_e32 v[70:71], v[10:11]
	v_mov_b64_e32 v[78:79], v[10:11]
	;; [unrolled: 1-line block ×8, first 2 shown]
	v_mov_b32_e32 v124, 0
	v_mov_b64_e32 v[38:39], v[10:11]
	v_mov_b64_e32 v[50:51], v[10:11]
	v_mov_b64_e32 v[30:31], v[10:11]
	v_mov_b64_e32 v[42:43], v[10:11]
	v_mov_b64_e32 v[22:23], v[10:11]
                                        ; implicit-def: $sgpr6_sgpr7
                                        ; implicit-def: $vgpr82
                                        ; implicit-def: $vgpr84
                                        ; implicit-def: $vgpr85
	s_and_saveexec_b64 s[24:25], vcc
	s_cbranch_execz .LBB1189_109
; %bb.82:
	v_cmp_ne_u32_e64 s[0:1], v44, v45
	v_add_u32_e32 v10, 7, v65
	s_waitcnt lgkmcnt(0)
	v_mov_b32_e32 v22, v36
	v_cndmask_b32_e64 v127, 0, 1, s[0:1]
	v_cmp_gt_u32_e64 s[0:1], s65, v10
	v_mov_b64_e32 v[10:11], 0
	v_mov_b32_e32 v23, v37
	v_cmp_ne_u32_e32 vcc, v40, v41
	v_cmp_ne_u32_e64 s[6:7], v41, v33
	v_cmp_ne_u32_e64 s[8:9], v45, v40
	s_mov_b64 s[30:31], 0
	v_mov_b32_e32 v126, 0
	v_mov_b32_e32 v122, 0
	v_mov_b32_e32 v125, 0
	v_mov_b64_e32 v[70:71], v[10:11]
	v_mov_b64_e32 v[78:79], v[10:11]
	;; [unrolled: 1-line block ×8, first 2 shown]
	v_mov_b32_e32 v124, 0
	v_mov_b64_e32 v[38:39], v[10:11]
	v_mov_b64_e32 v[50:51], v[10:11]
	;; [unrolled: 1-line block ×4, first 2 shown]
                                        ; implicit-def: $sgpr34_sgpr35
                                        ; implicit-def: $vgpr82
                                        ; implicit-def: $vgpr84
                                        ; implicit-def: $vgpr85
	s_and_saveexec_b64 s[26:27], s[0:1]
	s_cbranch_execz .LBB1189_108
; %bb.83:
	v_cndmask_b32_e64 v10, 0, 1, s[8:9]
	v_cndmask_b32_e64 v11, 0, 1, s[6:7]
	v_lshlrev_b16_e32 v10, 8, v10
	v_lshlrev_b16_e32 v11, 8, v11
	v_cndmask_b32_e64 v16, 0, 1, vcc
	ds_read2_b64 v[42:45], v48 offset0:7 offset1:8
	v_or_b32_e32 v10, v127, v10
	v_or_b32_sdwa v11, v16, v11 dst_sel:WORD_1 dst_unused:UNUSED_PAD src0_sel:DWORD src1_sel:DWORD
	s_mov_b64 s[0:1], 0
	v_or_b32_sdwa v82, v10, v11 dst_sel:DWORD dst_unused:UNUSED_PAD src0_sel:WORD_0 src1_sel:DWORD
	v_add_u32_e32 v10, 8, v65
	v_cmp_gt_u32_e32 vcc, s65, v10
	v_mov_b64_e32 v[10:11], 0
	v_and_b32_e32 v127, 0xffff, v82
	v_mov_b32_e32 v126, 0
	v_mov_b32_e32 v122, 0
	v_mov_b32_e32 v125, 0
	v_mov_b64_e32 v[70:71], v[10:11]
	v_mov_b64_e32 v[78:79], v[10:11]
	;; [unrolled: 1-line block ×8, first 2 shown]
	v_mov_b32_e32 v124, 0
	v_mov_b64_e32 v[38:39], v[10:11]
	v_mov_b64_e32 v[50:51], v[10:11]
	;; [unrolled: 1-line block ×3, first 2 shown]
                                        ; implicit-def: $sgpr6_sgpr7
                                        ; implicit-def: $vgpr84
                                        ; implicit-def: $vgpr85
	s_and_saveexec_b64 s[28:29], vcc
	s_cbranch_execz .LBB1189_107
; %bb.84:
	v_add_u32_e32 v10, 9, v65
	v_cmp_gt_u32_e32 vcc, s65, v10
	v_mov_b64_e32 v[10:11], 0
	s_waitcnt lgkmcnt(0)
	v_mov_b32_e32 v30, v44
	v_mov_b32_e32 v31, v45
	v_and_b32_e32 v127, 0xffffff, v82
	s_mov_b64 s[6:7], 0
	v_mov_b32_e32 v126, 0
	v_mov_b32_e32 v122, 0
	;; [unrolled: 1-line block ×3, first 2 shown]
	v_mov_b64_e32 v[70:71], v[10:11]
	v_mov_b64_e32 v[78:79], v[10:11]
	;; [unrolled: 1-line block ×8, first 2 shown]
	v_mov_b32_e32 v124, 0
	v_mov_b64_e32 v[38:39], v[10:11]
	v_mov_b64_e32 v[50:51], v[10:11]
                                        ; implicit-def: $sgpr8_sgpr9
                                        ; implicit-def: $vgpr84
                                        ; implicit-def: $vgpr85
	s_and_saveexec_b64 s[30:31], vcc
	s_cbranch_execz .LBB1189_106
; %bb.85:
	ds_read2_b64 v[50:53], v48 offset0:9 offset1:10
	v_add_u32_e32 v10, 10, v65
	v_cmp_gt_u32_e32 vcc, s65, v10
	v_mov_b64_e32 v[10:11], 0
	v_mov_b32_e32 v126, 0
	v_mov_b32_e32 v122, 0
	;; [unrolled: 1-line block ×3, first 2 shown]
	v_mov_b64_e32 v[70:71], v[10:11]
	v_mov_b64_e32 v[78:79], v[10:11]
	;; [unrolled: 1-line block ×8, first 2 shown]
	v_mov_b32_e32 v124, 0
	v_mov_b64_e32 v[38:39], v[10:11]
                                        ; implicit-def: $sgpr8_sgpr9
                                        ; implicit-def: $vgpr84
                                        ; implicit-def: $vgpr85
	s_and_saveexec_b64 s[34:35], vcc
	s_cbranch_execz .LBB1189_105
; %bb.86:
	v_cmp_ne_u32_e32 vcc, v33, v24
	v_add_u32_e32 v10, 11, v65
	s_waitcnt lgkmcnt(0)
	v_mov_b32_e32 v38, v52
	v_cndmask_b32_e64 v124, 0, 1, vcc
	v_cmp_gt_u32_e32 vcc, s65, v10
	v_mov_b64_e32 v[10:11], 0
	v_mov_b32_e32 v39, v53
	s_mov_b64 s[40:41], 0
	v_mov_b32_e32 v126, 0
	v_mov_b32_e32 v122, 0
	;; [unrolled: 1-line block ×3, first 2 shown]
	v_mov_b64_e32 v[70:71], v[10:11]
	v_mov_b64_e32 v[78:79], v[10:11]
	;; [unrolled: 1-line block ×8, first 2 shown]
                                        ; implicit-def: $sgpr6_sgpr7
                                        ; implicit-def: $vgpr84
                                        ; implicit-def: $vgpr85
	s_and_saveexec_b64 s[36:37], vcc
	s_cbranch_execz .LBB1189_104
; %bb.87:
	ds_read2_b64 v[58:61], v48 offset0:11 offset1:12
	v_cmp_ne_u32_e64 s[0:1], v24, v25
	v_add_u32_e32 v10, 12, v65
	v_cmp_ne_u32_e32 vcc, v20, v21
	v_cndmask_b32_e64 v126, 0, 1, s[0:1]
	v_cmp_gt_u32_e64 s[0:1], s65, v10
	v_mov_b64_e32 v[10:11], 0
	v_cmp_ne_u32_e64 s[6:7], v21, v64
	v_cmp_ne_u32_e64 s[8:9], v25, v20
	s_mov_b64 s[42:43], 0
	v_mov_b32_e32 v125, 0
	v_mov_b32_e32 v122, 0
	v_mov_b64_e32 v[70:71], v[10:11]
	v_mov_b64_e32 v[78:79], v[10:11]
	;; [unrolled: 1-line block ×7, first 2 shown]
                                        ; implicit-def: $sgpr44_sgpr45
                                        ; implicit-def: $vgpr84
                                        ; implicit-def: $vgpr85
	s_and_saveexec_b64 s[38:39], s[0:1]
	s_cbranch_execz .LBB1189_103
; %bb.88:
	v_cndmask_b32_e64 v10, 0, 1, s[8:9]
	v_cndmask_b32_e64 v11, 0, 1, s[6:7]
	v_lshlrev_b16_e32 v10, 8, v10
	v_lshlrev_b16_e32 v11, 8, v11
	v_cndmask_b32_e64 v16, 0, 1, vcc
	v_or_b32_e32 v10, v126, v10
	v_or_b32_sdwa v11, v16, v11 dst_sel:WORD_1 dst_unused:UNUSED_PAD src0_sel:DWORD src1_sel:DWORD
	s_mov_b64 s[72:73], s[60:61]
	v_or_b32_sdwa v84, v10, v11 dst_sel:DWORD dst_unused:UNUSED_PAD src0_sel:WORD_0 src1_sel:DWORD
	v_add_u32_e32 v10, 13, v65
	v_cmp_gt_u32_e32 vcc, s65, v10
	v_mov_b64_e32 v[10:11], 0
	s_mov_b64 s[70:71], s[66:67]
	s_mov_b64 s[66:67], s[62:63]
	v_and_b32_e32 v126, 0xffff, v84
	s_waitcnt lgkmcnt(0)
	v_mov_b32_e32 v46, v60
	v_mov_b32_e32 v47, v61
	s_mov_b64 s[0:1], 0
	v_mov_b32_e32 v125, 0
	v_mov_b32_e32 v122, 0
	v_mov_b64_e32 v[70:71], v[10:11]
	v_mov_b64_e32 v[78:79], v[10:11]
	;; [unrolled: 1-line block ×6, first 2 shown]
                                        ; implicit-def: $sgpr6_sgpr7
                                        ; implicit-def: $vgpr85
	s_and_saveexec_b64 s[40:41], vcc
	s_cbranch_execz .LBB1189_102
; %bb.89:
	ds_read2_b64 v[66:69], v48 offset0:13 offset1:14
	v_add_u32_e32 v10, 14, v65
	v_cmp_gt_u32_e32 vcc, s65, v10
	v_mov_b64_e32 v[10:11], 0
	v_and_b32_e32 v126, 0xffffff, v84
	s_mov_b64 s[6:7], 0
	v_mov_b32_e32 v125, 0
	v_mov_b32_e32 v122, 0
	v_mov_b64_e32 v[70:71], v[10:11]
	v_mov_b64_e32 v[78:79], v[10:11]
	;; [unrolled: 1-line block ×5, first 2 shown]
                                        ; implicit-def: $sgpr8_sgpr9
                                        ; implicit-def: $vgpr85
	s_and_saveexec_b64 s[42:43], vcc
	s_cbranch_execz .LBB1189_101
; %bb.90:
	v_add_u32_e32 v10, 15, v65
	v_cmp_gt_u32_e32 vcc, s65, v10
	v_mov_b64_e32 v[10:11], 0
	s_waitcnt lgkmcnt(0)
	v_mov_b32_e32 v54, v68
	v_mov_b32_e32 v55, v69
	;; [unrolled: 1-line block ×4, first 2 shown]
	v_mov_b64_e32 v[70:71], v[10:11]
	v_mov_b64_e32 v[78:79], v[10:11]
	;; [unrolled: 1-line block ×4, first 2 shown]
                                        ; implicit-def: $sgpr8_sgpr9
                                        ; implicit-def: $vgpr85
	s_and_saveexec_b64 s[44:45], vcc
	s_cbranch_execz .LBB1189_100
; %bb.91:
	ds_read2_b64 v[74:77], v48 offset0:15 offset1:16
	v_cmp_ne_u32_e32 vcc, v64, v8
	v_add_u32_e32 v10, 16, v65
	s_mov_b64 s[58:59], 0
	v_cndmask_b32_e64 v122, 0, 1, vcc
	v_cmp_gt_u32_e32 vcc, s65, v10
	v_mov_b64_e32 v[10:11], 0
	v_mov_b32_e32 v125, 0
	v_mov_b64_e32 v[70:71], v[10:11]
	v_mov_b64_e32 v[78:79], v[10:11]
	;; [unrolled: 1-line block ×3, first 2 shown]
                                        ; implicit-def: $sgpr6_sgpr7
                                        ; implicit-def: $vgpr85
	s_and_saveexec_b64 s[46:47], vcc
	s_cbranch_execz .LBB1189_99
; %bb.92:
	v_cmp_ne_u32_e64 s[0:1], v8, v9
	v_add_u32_e32 v8, 17, v65
	v_mov_b64_e32 v[10:11], 0
	s_waitcnt lgkmcnt(0)
	v_mov_b32_e32 v62, v76
	v_mov_b32_e32 v63, v77
	v_cmp_ne_u32_e32 vcc, v12, v13
	v_cmp_ne_u32_e64 s[6:7], v13, v4
	v_cmp_ne_u32_e64 s[8:9], v9, v12
	v_cndmask_b32_e64 v125, 0, 1, s[0:1]
	v_cmp_gt_u32_e64 s[0:1], s65, v8
	s_mov_b64 s[60:61], 0
	v_mov_b64_e32 v[70:71], v[10:11]
	v_mov_b64_e32 v[78:79], v[10:11]
                                        ; implicit-def: $sgpr62_sgpr63
                                        ; implicit-def: $vgpr85
	s_and_saveexec_b64 s[48:49], s[0:1]
	s_cbranch_execz .LBB1189_98
; %bb.93:
	v_cndmask_b32_e64 v8, 0, 1, s[8:9]
	v_cndmask_b32_e64 v9, 0, 1, s[6:7]
	ds_read2_b64 v[78:81], v48 offset0:17 offset1:18
	v_lshlrev_b16_e32 v8, 8, v8
	v_lshlrev_b16_e32 v9, 8, v9
	v_cndmask_b32_e64 v10, 0, 1, vcc
	v_or_b32_e32 v8, v125, v8
	v_or_b32_sdwa v9, v10, v9 dst_sel:WORD_1 dst_unused:UNUSED_PAD src0_sel:DWORD src1_sel:DWORD
	v_mov_b64_e32 v[10:11], 0
	v_or_b32_sdwa v85, v8, v9 dst_sel:DWORD dst_unused:UNUSED_PAD src0_sel:WORD_0 src1_sel:DWORD
	v_add_u32_e32 v8, 18, v65
	v_and_b32_e32 v125, 0xffff, v85
	v_cmp_gt_u32_e32 vcc, s65, v8
	s_mov_b64 s[0:1], 0
	v_mov_b64_e32 v[70:71], v[10:11]
                                        ; implicit-def: $sgpr8_sgpr9
	s_and_saveexec_b64 s[6:7], vcc
	s_cbranch_execz .LBB1189_97
; %bb.94:
	v_add_u32_e32 v8, 19, v65
	s_waitcnt lgkmcnt(0)
	v_mov_b32_e32 v70, v80
	v_mov_b32_e32 v71, v81
	v_cmp_gt_u32_e32 vcc, s65, v8
	v_and_b32_e32 v125, 0xffffff, v85
	v_mov_b64_e32 v[10:11], 0
                                        ; implicit-def: $sgpr8_sgpr9
	s_and_saveexec_b64 s[58:59], vcc
	s_xor_b64 s[58:59], exec, s[58:59]
	s_cbranch_execz .LBB1189_96
; %bb.95:
	ds_read2_b64 v[10:13], v48 offset0:19 offset1:20
	v_cmp_ne_u32_e32 vcc, v4, v5
	v_add_u32_e32 v4, 20, v65
	v_cmp_gt_u32_e64 s[0:1], s65, v4
	s_and_b64 s[8:9], vcc, exec
	s_and_b64 s[0:1], s[0:1], exec
	s_waitcnt lgkmcnt(0)
	v_mov_b64_e32 v[72:73], v[10:11]
	v_mov_b32_e32 v125, v85
.LBB1189_96:
	s_or_b64 exec, exec, s[58:59]
	s_and_b64 s[8:9], s[8:9], exec
	s_and_b64 s[60:61], s[0:1], exec
.LBB1189_97:
	s_or_b64 exec, exec, s[6:7]
	s_and_b64 s[62:63], s[8:9], exec
	s_and_b64 s[58:59], s[60:61], exec
	s_waitcnt lgkmcnt(0)
	v_mov_b64_e32 v[64:65], v[78:79]
	v_mov_b64_e32 v[56:57], v[74:75]
	;; [unrolled: 1-line block ×9, first 2 shown]
.LBB1189_98:
	s_or_b64 exec, exec, s[48:49]
	s_and_b64 s[6:7], s[62:63], exec
	s_and_b64 s[0:1], s[58:59], exec
.LBB1189_99:
	s_or_b64 exec, exec, s[46:47]
	s_and_b64 s[8:9], s[6:7], exec
	s_and_b64 s[6:7], s[0:1], exec
.LBB1189_100:
	s_or_b64 exec, exec, s[44:45]
	s_and_b64 s[8:9], s[8:9], exec
	s_and_b64 s[0:1], s[6:7], exec
	v_mov_b32_e32 v126, v84
.LBB1189_101:
	s_or_b64 exec, exec, s[42:43]
	s_and_b64 s[6:7], s[8:9], exec
	s_and_b64 s[42:43], s[0:1], exec
.LBB1189_102:
	s_or_b64 exec, exec, s[40:41]
	s_and_b64 s[44:45], s[6:7], exec
	s_and_b64 s[40:41], s[42:43], exec
	s_mov_b64 s[62:63], s[66:67]
	s_mov_b64 s[66:67], s[70:71]
	;; [unrolled: 1-line block ×3, first 2 shown]
.LBB1189_103:
	s_or_b64 exec, exec, s[38:39]
	s_and_b64 s[6:7], s[44:45], exec
	s_and_b64 s[0:1], s[40:41], exec
.LBB1189_104:
	s_or_b64 exec, exec, s[36:37]
	s_and_b64 s[8:9], s[6:7], exec
	s_and_b64 s[6:7], s[0:1], exec
.LBB1189_105:
	s_or_b64 exec, exec, s[34:35]
	s_and_b64 s[8:9], s[8:9], exec
	s_and_b64 s[0:1], s[6:7], exec
	v_mov_b32_e32 v127, v82
.LBB1189_106:
	s_or_b64 exec, exec, s[30:31]
	s_and_b64 s[6:7], s[8:9], exec
	s_and_b64 s[30:31], s[0:1], exec
.LBB1189_107:
	s_or_b64 exec, exec, s[28:29]
	s_and_b64 s[34:35], s[6:7], exec
	s_and_b64 s[28:29], s[30:31], exec
.LBB1189_108:
	s_or_b64 exec, exec, s[26:27]
	s_and_b64 s[6:7], s[34:35], exec
	s_and_b64 s[0:1], s[28:29], exec
.LBB1189_109:
	s_or_b64 exec, exec, s[24:25]
	s_and_b64 s[8:9], s[6:7], exec
	s_and_b64 s[6:7], s[0:1], exec
.LBB1189_110:
	s_or_b64 exec, exec, s[22:23]
	s_and_b64 s[8:9], s[8:9], exec
	s_and_b64 s[0:1], s[6:7], exec
	v_mov_b32_e32 v128, v83
.LBB1189_111:
	s_or_b64 exec, exec, s[20:21]
	s_and_b64 s[6:7], s[8:9], exec
	s_and_b64 s[20:21], s[0:1], exec
.LBB1189_112:
	s_or_b64 exec, exec, s[18:19]
	s_and_b64 s[22:23], s[6:7], exec
	s_and_b64 s[18:19], s[20:21], exec
.LBB1189_113:
	s_or_b64 exec, exec, s[16:17]
	s_and_b64 s[0:1], s[22:23], exec
	s_and_b64 s[6:7], s[18:19], exec
.LBB1189_114:
	s_or_b64 exec, exec, s[14:15]
	s_and_b64 s[0:1], s[0:1], exec
	s_and_b64 s[6:7], s[6:7], exec
.LBB1189_115:
	s_or_b64 exec, exec, s[12:13]
	s_mov_b64 s[8:9], 0
	s_and_b64 vcc, exec, s[10:11]
	s_cbranch_vccnz .LBB1189_117
	s_branch .LBB1189_125
.LBB1189_116:
                                        ; implicit-def: $sgpr0_sgpr1
                                        ; implicit-def: $vgpr83
                                        ; implicit-def: $vgpr82
                                        ; implicit-def: $vgpr84
                                        ; implicit-def: $vgpr85
                                        ; implicit-def: $vgpr12_vgpr13
                                        ; implicit-def: $vgpr72_vgpr73
                                        ; implicit-def: $vgpr64_vgpr65
                                        ; implicit-def: $vgpr122
                                        ; implicit-def: $vgpr56_vgpr57
                                        ; implicit-def: $vgpr48_vgpr49
                                        ; implicit-def: $vgpr40_vgpr41
                                        ; implicit-def: $vgpr124
                                        ; implicit-def: $vgpr32_vgpr33
                                        ; implicit-def: $vgpr24_vgpr25
                                        ; implicit-def: $vgpr123
                                        ; implicit-def: $vgpr20_vgpr21
                                        ; implicit-def: $vgpr8_vgpr9
                                        ; implicit-def: $vgpr4_vgpr5
                                        ; implicit-def: $vgpr1
                                        ; implicit-def: $vgpr128
                                        ; implicit-def: $vgpr127
                                        ; implicit-def: $vgpr126
                                        ; implicit-def: $vgpr125
                                        ; implicit-def: $sgpr64
                                        ; implicit-def: $sgpr8_sgpr9
                                        ; implicit-def: $vgpr78_vgpr79
                                        ; implicit-def: $vgpr74_vgpr75
                                        ; implicit-def: $vgpr66_vgpr67
                                        ; implicit-def: $vgpr58_vgpr59
                                        ; implicit-def: $vgpr50_vgpr51
                                        ; implicit-def: $vgpr42_vgpr43
                                        ; implicit-def: $vgpr34_vgpr35
                                        ; implicit-def: $vgpr26_vgpr27
                                        ; implicit-def: $vgpr14_vgpr15
	s_and_b64 vcc, exec, s[10:11]
	s_cbranch_vccz .LBB1189_125
.LBB1189_117:
	s_waitcnt lgkmcnt(0)
	v_mov_b32_e32 v3, 0
	v_lshlrev_b32_e32 v2, 2, v0
	v_lshl_add_u64 v[4:5], s[52:53], 0, v[2:3]
	v_add_co_u32_e32 v6, vcc, 0x1000, v4
	s_movk_i32 s0, 0x50
	s_nop 0
	v_addc_co_u32_e32 v7, vcc, 0, v5, vcc
	flat_load_dword v1, v[4:5]
	flat_load_dword v3, v[4:5] offset:1024
	flat_load_dword v10, v[4:5] offset:2048
	;; [unrolled: 1-line block ×3, first 2 shown]
	flat_load_dword v12, v[6:7]
	flat_load_dword v13, v[6:7] offset:1024
	flat_load_dword v14, v[6:7] offset:2048
	;; [unrolled: 1-line block ×3, first 2 shown]
	v_add_co_u32_e32 v6, vcc, 0x2000, v4
	v_mad_u32_u24 v23, v0, s0, v2
	s_nop 0
	v_addc_co_u32_e32 v7, vcc, 0, v5, vcc
	v_add_co_u32_e32 v8, vcc, 0x3000, v4
	s_cmp_eq_u64 s[56:57], 0
	s_nop 0
	v_addc_co_u32_e32 v9, vcc, 0, v5, vcc
	flat_load_dword v16, v[6:7]
	flat_load_dword v17, v[6:7] offset:1024
	flat_load_dword v18, v[6:7] offset:2048
	;; [unrolled: 1-line block ×3, first 2 shown]
	flat_load_dword v20, v[8:9]
	flat_load_dword v21, v[8:9] offset:1024
	flat_load_dword v22, v[8:9] offset:2048
	;; [unrolled: 1-line block ×3, first 2 shown]
	v_add_co_u32_e32 v6, vcc, 0x4000, v4
	s_nop 1
	v_addc_co_u32_e32 v7, vcc, 0, v5, vcc
	v_add_co_u32_e32 v4, vcc, 0x5000, v4
	s_nop 1
	v_addc_co_u32_e32 v5, vcc, 0, v5, vcc
	flat_load_dword v8, v[6:7]
	flat_load_dword v9, v[6:7] offset:1024
	flat_load_dword v25, v[6:7] offset:2048
	;; [unrolled: 1-line block ×3, first 2 shown]
	flat_load_dword v27, v[4:5]
	s_waitcnt vmcnt(0) lgkmcnt(0)
	ds_write2st64_b32 v2, v1, v3 offset1:4
	ds_write2st64_b32 v2, v10, v11 offset0:8 offset1:12
	ds_write2st64_b32 v2, v12, v13 offset0:16 offset1:20
	;; [unrolled: 1-line block ×9, first 2 shown]
	ds_write_b32 v2, v27 offset:20480
	s_waitcnt lgkmcnt(0)
	s_barrier
	ds_read2_b32 v[8:9], v23 offset0:7 offset1:8
	ds_read2_b32 v[6:7], v23 offset0:5 offset1:6
	;; [unrolled: 1-line block ×3, first 2 shown]
	ds_read2_b32 v[10:11], v23 offset1:1
	ds_read2_b32 v[4:5], v23 offset0:4 offset1:9
	ds_read2_b32 v[16:17], v23 offset0:15 offset1:16
	ds_read_b32 v22, v23 offset:56
	ds_read2_b32 v[14:15], v23 offset0:12 offset1:13
	ds_read2_b32 v[12:13], v23 offset0:10 offset1:11
	;; [unrolled: 1-line block ×4, first 2 shown]
	s_cbranch_scc1 .LBB1189_122
; %bb.118:
	s_andn2_b64 vcc, exec, s[54:55]
	s_cbranch_vccnz .LBB1189_296
; %bb.119:
	s_lshl_b64 s[0:1], s[56:57], 2
	s_add_u32 s0, s66, s0
	s_addc_u32 s1, s67, s1
	s_add_u32 s0, s0, -4
	s_addc_u32 s1, s1, -1
	s_cbranch_execnz .LBB1189_121
.LBB1189_120:
	s_add_u32 s0, s52, -4
	s_addc_u32 s1, s53, -1
.LBB1189_121:
	s_mov_b64 s[52:53], s[0:1]
.LBB1189_122:
	v_mov_b64_e32 v[24:25], s[52:53]
	flat_load_dword v1, v[24:25]
	s_movk_i32 s0, 0xffb0
	v_mad_i32_i24 v23, v0, s0, v23
	s_waitcnt lgkmcnt(0)
	ds_write_b32 v23, v21 offset:21504
	s_waitcnt lgkmcnt(0)
	s_barrier
	s_and_saveexec_b64 s[0:1], s[4:5]
	s_cbranch_execz .LBB1189_124
; %bb.123:
	s_waitcnt vmcnt(0)
	ds_read_b32 v1, v23 offset:21500
.LBB1189_124:
	s_or_b64 exec, exec, s[0:1]
	v_lshlrev_b32_e32 v24, 3, v0
	v_mov_b32_e32 v25, 0
	v_lshl_add_u64 v[24:25], s[50:51], 0, v[24:25]
	s_movk_i32 s0, 0x1000
	v_add_co_u32_e32 v26, vcc, s0, v24
	s_movk_i32 s0, 0x2000
	s_nop 0
	v_addc_co_u32_e32 v27, vcc, 0, v25, vcc
	s_waitcnt lgkmcnt(0)
	s_barrier
	flat_load_dwordx2 v[28:29], v[24:25]
	flat_load_dwordx2 v[30:31], v[24:25] offset:2048
	flat_load_dwordx2 v[32:33], v[26:27]
	flat_load_dwordx2 v[34:35], v[26:27] offset:2048
	v_add_co_u32_e32 v26, vcc, s0, v24
	s_movk_i32 s0, 0x3000
	s_nop 0
	v_addc_co_u32_e32 v27, vcc, 0, v25, vcc
	v_add_co_u32_e32 v36, vcc, s0, v24
	s_movk_i32 s0, 0x4000
	s_nop 0
	v_addc_co_u32_e32 v37, vcc, 0, v25, vcc
	flat_load_dwordx2 v[38:39], v[26:27]
	flat_load_dwordx2 v[40:41], v[26:27] offset:2048
	flat_load_dwordx2 v[42:43], v[36:37]
	flat_load_dwordx2 v[44:45], v[36:37] offset:2048
	v_add_co_u32_e32 v26, vcc, s0, v24
	s_movk_i32 s0, 0x5000
	s_nop 0
	v_addc_co_u32_e32 v27, vcc, 0, v25, vcc
	v_add_co_u32_e32 v36, vcc, s0, v24
	s_movk_i32 s0, 0x6000
	s_nop 0
	v_addc_co_u32_e32 v37, vcc, 0, v25, vcc
	flat_load_dwordx2 v[46:47], v[26:27]
	flat_load_dwordx2 v[48:49], v[26:27] offset:2048
	flat_load_dwordx2 v[50:51], v[36:37]
	flat_load_dwordx2 v[52:53], v[36:37] offset:2048
	v_add_co_u32_e32 v26, vcc, s0, v24
	s_movk_i32 s0, 0x7000
	s_nop 0
	v_addc_co_u32_e32 v27, vcc, 0, v25, vcc
	v_add_co_u32_e32 v36, vcc, s0, v24
	s_mov_b32 s0, 0x8000
	s_nop 0
	v_addc_co_u32_e32 v37, vcc, 0, v25, vcc
	flat_load_dwordx2 v[54:55], v[26:27]
	flat_load_dwordx2 v[56:57], v[26:27] offset:2048
	flat_load_dwordx2 v[58:59], v[36:37]
	flat_load_dwordx2 v[60:61], v[36:37] offset:2048
	v_add_co_u32_e32 v26, vcc, s0, v24
	s_mov_b32 s0, 0x9000
	s_nop 0
	v_addc_co_u32_e32 v27, vcc, 0, v25, vcc
	v_add_co_u32_e32 v36, vcc, s0, v24
	s_mov_b32 s0, 0xa000
	s_nop 0
	v_addc_co_u32_e32 v37, vcc, 0, v25, vcc
	flat_load_dwordx2 v[62:63], v[26:27]
	flat_load_dwordx2 v[64:65], v[26:27] offset:2048
	flat_load_dwordx2 v[66:67], v[36:37]
	flat_load_dwordx2 v[68:69], v[36:37] offset:2048
	v_add_co_u32_e32 v24, vcc, s0, v24
	v_cmp_ne_u32_e64 s[0:1], v20, v21
	s_nop 0
	v_addc_co_u32_e32 v25, vcc, 0, v25, vcc
	flat_load_dwordx2 v[24:25], v[24:25]
	v_cmp_ne_u32_e32 vcc, v17, v18
	s_movk_i32 s6, 0xa0
                                        ; implicit-def: $vgpr128
                                        ; implicit-def: $vgpr127
                                        ; implicit-def: $vgpr126
                                        ; implicit-def: $vgpr125
                                        ; implicit-def: $sgpr64
                                        ; implicit-def: $sgpr8_sgpr9
                                        ; implicit-def: $vgpr78_vgpr79
                                        ; implicit-def: $vgpr74_vgpr75
                                        ; implicit-def: $vgpr26_vgpr27
	s_nop 0
	v_cndmask_b32_e64 v21, 0, 1, vcc
	v_cmp_ne_u32_e32 vcc, v16, v17
	v_lshlrev_b16_e32 v21, 8, v21
	s_nop 0
	v_cndmask_b32_e64 v17, 0, 1, vcc
	v_cmp_ne_u32_e32 vcc, v19, v20
	v_or_b32_e32 v17, v17, v21
	s_nop 0
	v_cndmask_b32_e64 v20, 0, 1, vcc
	v_cmp_ne_u32_e32 vcc, v18, v19
	v_lshlrev_b16_e32 v20, 8, v20
	s_nop 0
	v_cndmask_b32_e64 v18, 0, 1, vcc
	v_cmp_ne_u32_e32 vcc, v22, v16
	v_or_b32_sdwa v18, v18, v20 dst_sel:WORD_1 dst_unused:UNUSED_PAD src0_sel:DWORD src1_sel:DWORD
	s_nop 0
	v_cndmask_b32_e64 v122, 0, 1, vcc
	v_cmp_ne_u32_e32 vcc, v13, v14
	v_or_b32_sdwa v85, v17, v18 dst_sel:DWORD dst_unused:UNUSED_PAD src0_sel:WORD_0 src1_sel:DWORD
	s_nop 0
	v_cndmask_b32_e64 v16, 0, 1, vcc
	v_cmp_ne_u32_e32 vcc, v12, v13
	v_lshlrev_b16_e32 v16, 8, v16
	s_nop 0
	v_cndmask_b32_e64 v13, 0, 1, vcc
	v_cmp_ne_u32_e32 vcc, v15, v22
	v_or_b32_e32 v13, v13, v16
	s_nop 0
	v_cndmask_b32_e64 v16, 0, 1, vcc
	v_cmp_ne_u32_e32 vcc, v14, v15
	v_lshlrev_b16_e32 v16, 8, v16
	s_nop 0
	v_cndmask_b32_e64 v14, 0, 1, vcc
	v_cmp_ne_u32_e32 vcc, v5, v12
	v_or_b32_sdwa v14, v14, v16 dst_sel:WORD_1 dst_unused:UNUSED_PAD src0_sel:DWORD src1_sel:DWORD
	s_nop 0
	v_cndmask_b32_e64 v124, 0, 1, vcc
	v_cmp_ne_u32_e32 vcc, v7, v8
	v_or_b32_sdwa v84, v13, v14 dst_sel:DWORD dst_unused:UNUSED_PAD src0_sel:WORD_0 src1_sel:DWORD
	;; [unrolled: 20-line block ×3, first 2 shown]
	s_nop 0
	v_cndmask_b32_e64 v5, 0, 1, vcc
	v_cmp_ne_u32_e32 vcc, v10, v11
	v_lshlrev_b16_e32 v5, 8, v5
	s_nop 0
	v_cndmask_b32_e64 v6, 0, 1, vcc
	v_cmp_ne_u32_e32 vcc, v3, v4
	v_or_b32_e32 v11, v6, v5
	s_nop 0
	v_cndmask_b32_e64 v4, 0, 1, vcc
	v_cmp_ne_u32_e32 vcc, v2, v3
	v_lshlrev_b16_e32 v4, 8, v4
	s_nop 0
	v_cndmask_b32_e64 v2, 0, 1, vcc
	v_or_b32_sdwa v14, v2, v4 dst_sel:WORD_1 dst_unused:UNUSED_PAD src0_sel:DWORD src1_sel:DWORD
	v_lshl_add_u32 v2, v0, 2, v23
	v_mad_u32_u24 v12, v0, s6, v2
	s_waitcnt vmcnt(0) lgkmcnt(0)
	ds_write2st64_b64 v2, v[28:29], v[30:31] offset1:4
	ds_write2st64_b64 v2, v[32:33], v[34:35] offset0:8 offset1:12
	ds_write2st64_b64 v2, v[38:39], v[40:41] offset0:16 offset1:20
	ds_write2st64_b64 v2, v[42:43], v[44:45] offset0:24 offset1:28
	ds_write2st64_b64 v2, v[46:47], v[48:49] offset0:32 offset1:36
	ds_write2st64_b64 v2, v[50:51], v[52:53] offset0:40 offset1:44
	ds_write2st64_b64 v2, v[54:55], v[56:57] offset0:48 offset1:52
	ds_write2st64_b64 v2, v[58:59], v[60:61] offset0:56 offset1:60
	ds_write2st64_b64 v2, v[62:63], v[64:65] offset0:64 offset1:68
	ds_write2st64_b64 v2, v[66:67], v[68:69] offset0:72 offset1:76
	ds_write_b64 v2, v[24:25] offset:40960
	s_waitcnt lgkmcnt(0)
	s_barrier
	ds_read2_b64 v[2:5], v12 offset1:1
	ds_read2_b64 v[6:9], v12 offset0:2 offset1:3
	ds_read2_b64 v[18:21], v12 offset0:4 offset1:5
	;; [unrolled: 1-line block ×9, first 2 shown]
	ds_read_b64 v[12:13], v12 offset:160
	v_cmp_ne_u32_e32 vcc, v1, v10
	v_or_b32_sdwa v83, v11, v14 dst_sel:DWORD dst_unused:UNUSED_PAD src0_sel:WORD_0 src1_sel:DWORD
	s_mov_b64 s[6:7], -1
	v_cndmask_b32_e64 v1, 0, 1, vcc
                                        ; implicit-def: $vgpr66_vgpr67
                                        ; implicit-def: $vgpr58_vgpr59
                                        ; implicit-def: $vgpr50_vgpr51
                                        ; implicit-def: $vgpr42_vgpr43
                                        ; implicit-def: $vgpr34_vgpr35
                                        ; implicit-def: $vgpr14_vgpr15
.LBB1189_125:
	s_mov_b64 s[90:91], s[62:63]
	s_waitcnt lgkmcnt(0)
	v_mov_b64_e32 v[16:17], s[8:9]
	v_mov_b32_e32 v28, s64
	s_and_saveexec_b64 s[8:9], s[6:7]
	s_cbranch_execz .LBB1189_127
; %bb.126:
	v_cndmask_b32_e64 v28, 0, 1, s[0:1]
	v_mov_b64_e32 v[14:15], v[4:5]
	v_mov_b64_e32 v[26:27], v[8:9]
	;; [unrolled: 1-line block ×11, first 2 shown]
	v_mov_b32_e32 v125, v85
	v_mov_b32_e32 v126, v84
	;; [unrolled: 1-line block ×4, first 2 shown]
.LBB1189_127:
	s_or_b64 exec, exec, s[8:9]
	v_and_b32_e32 v129, 1, v123
	v_and_b32_e32 v37, 1, v124
	;; [unrolled: 1-line block ×4, first 2 shown]
	s_cmp_lg_u32 s92, 0
	v_lshrrev_b32_e32 v130, 8, v128
	v_cmp_eq_u32_e32 vcc, 1, v129
	v_lshrrev_b32_e32 v41, 8, v127
	v_cmp_eq_u32_e64 s[48:49], 1, v37
	v_lshrrev_b32_e32 v40, 8, v126
	v_cmp_eq_u32_e64 s[50:51], 1, v33
	;; [unrolled: 2-line block ×3, first 2 shown]
	v_mbcnt_lo_u32_b32 v29, -1, 0
	s_barrier
	s_cbranch_scc0 .LBB1189_198
; %bb.128:
	v_mov_b32_e32 v8, 0
	v_cmp_eq_u16_sdwa s[6:7], v128, v8 src0_sel:BYTE_0 src1_sel:DWORD
	v_and_b32_e32 v9, 1, v128
	s_movk_i32 s42, 0xff
	v_cndmask_b32_e64 v5, 0, v3, s[6:7]
	v_cndmask_b32_e64 v4, 0, v2, s[6:7]
	v_cmp_eq_u32_e64 s[52:53], 1, v9
	v_and_b32_e32 v9, 0x100, v128
	v_lshl_add_u64 v[4:5], v[4:5], 0, v[14:15]
	v_cmp_eq_u16_sdwa s[8:9], v130, v8 src0_sel:BYTE_0 src1_sel:DWORD
	v_cmp_ne_u32_e64 s[56:57], 0, v9
	v_and_b32_sdwa v9, v128, s42 dst_sel:DWORD dst_unused:UNUSED_PAD src0_sel:WORD_1 src1_sel:DWORD
	v_cndmask_b32_e64 v5, 0, v5, s[8:9]
	v_cndmask_b32_e64 v4, 0, v4, s[8:9]
	v_cmp_eq_u16_e64 s[10:11], 0, v9
	v_and_b32_e32 v9, 0x10000, v128
	v_lshl_add_u64 v[4:5], v[4:5], 0, v[6:7]
	v_cmp_ne_u32_e64 s[58:59], 0, v9
	v_and_b32_e32 v9, 0x1000000, v128
	s_mov_b64 s[86:87], s[4:5]
	s_mov_b64 s[4:5], s[60:61]
	v_cndmask_b32_e64 v5, 0, v5, s[10:11]
	v_cndmask_b32_e64 v4, 0, v4, s[10:11]
	v_cmp_ne_u32_e64 s[60:61], 0, v9
	v_and_b32_e32 v9, 1, v127
	v_lshl_add_u64 v[4:5], v[4:5], 0, v[26:27]
	v_cmp_eq_u16_sdwa s[12:13], v128, v8 src0_sel:BYTE_3 src1_sel:DWORD
	v_cmp_eq_u32_e64 s[62:63], 1, v9
	v_and_b32_e32 v9, 0x100, v127
	v_cndmask_b32_e64 v5, 0, v5, s[12:13]
	v_cndmask_b32_e64 v4, 0, v4, s[12:13]
	v_cmp_ne_u32_e64 s[64:65], 0, v9
	v_and_b32_sdwa v9, v127, s42 dst_sel:DWORD dst_unused:UNUSED_PAD src0_sel:WORD_1 src1_sel:DWORD
	v_lshl_add_u64 v[4:5], v[4:5], 0, v[18:19]
	v_cmp_eq_u16_sdwa s[14:15], v123, v8 src0_sel:BYTE_0 src1_sel:DWORD
	v_cmp_eq_u16_e64 s[20:21], 0, v9
	v_and_b32_e32 v9, 0x10000, v127
	v_cndmask_b32_e64 v5, 0, v5, s[14:15]
	v_cndmask_b32_e64 v4, 0, v4, s[14:15]
	v_cmp_ne_u32_e64 s[66:67], 0, v9
	v_and_b32_e32 v9, 0x1000000, v127
	v_lshl_add_u64 v[4:5], v[4:5], 0, v[34:35]
	v_cmp_eq_u16_sdwa s[16:17], v127, v8 src0_sel:BYTE_0 src1_sel:DWORD
	v_cmp_ne_u32_e64 s[0:1], 0, v9
	v_and_b32_e32 v9, 1, v126
	v_cndmask_b32_e64 v5, 0, v5, s[16:17]
	v_cndmask_b32_e64 v4, 0, v4, s[16:17]
	v_cmp_eq_u32_e64 s[70:71], 1, v9
	v_and_b32_e32 v9, 0x100, v126
	v_lshl_add_u64 v[4:5], v[4:5], 0, v[22:23]
	v_cmp_eq_u16_sdwa s[18:19], v41, v8 src0_sel:BYTE_0 src1_sel:DWORD
	v_cmp_ne_u32_e64 s[72:73], 0, v9
	v_and_b32_sdwa v9, v126, s42 dst_sel:DWORD dst_unused:UNUSED_PAD src0_sel:WORD_1 src1_sel:DWORD
	v_cndmask_b32_e64 v5, 0, v5, s[18:19]
	v_cndmask_b32_e64 v4, 0, v4, s[18:19]
	v_cmp_eq_u16_e64 s[30:31], 0, v9
	v_and_b32_e32 v9, 0x10000, v126
	v_lshl_add_u64 v[4:5], v[4:5], 0, v[42:43]
	v_cmp_ne_u32_e64 s[74:75], 0, v9
	v_and_b32_e32 v9, 0x1000000, v126
	v_cndmask_b32_e64 v5, 0, v5, s[20:21]
	v_cndmask_b32_e64 v4, 0, v4, s[20:21]
	v_cmp_ne_u32_e64 s[76:77], 0, v9
	v_and_b32_e32 v9, 1, v125
	s_mov_b64 s[98:99], s[78:79]
	v_lshl_add_u64 v[4:5], v[4:5], 0, v[30:31]
	v_cmp_eq_u16_sdwa s[22:23], v127, v8 src0_sel:BYTE_3 src1_sel:DWORD
	v_cmp_eq_u32_e64 s[78:79], 1, v9
	v_and_b32_e32 v9, 0x100, v125
	v_cndmask_b32_e64 v5, 0, v5, s[22:23]
	v_cndmask_b32_e64 v4, 0, v4, s[22:23]
	v_cmp_ne_u32_e64 s[80:81], 0, v9
	v_and_b32_sdwa v9, v125, s42 dst_sel:DWORD dst_unused:UNUSED_PAD src0_sel:WORD_1 src1_sel:DWORD
	v_lshl_add_u64 v[4:5], v[4:5], 0, v[50:51]
	v_cmp_eq_u16_sdwa s[24:25], v124, v8 src0_sel:BYTE_0 src1_sel:DWORD
	v_cmp_eq_u16_e64 s[42:43], 0, v9
	v_and_b32_e32 v9, 0x10000, v125
	v_cndmask_b32_e64 v5, 0, v5, s[24:25]
	v_cndmask_b32_e64 v4, 0, v4, s[24:25]
	v_cmp_ne_u32_e64 s[82:83], 0, v9
	v_and_b32_e32 v9, 0x1000000, v125
	v_lshl_add_u64 v[4:5], v[4:5], 0, v[38:39]
	v_cmp_eq_u16_sdwa s[26:27], v126, v8 src0_sel:BYTE_0 src1_sel:DWORD
	v_cmp_ne_u32_e64 s[84:85], 0, v9
	s_or_b64 s[54:55], s[54:55], s[84:85]
	v_cndmask_b32_e64 v5, 0, v5, s[26:27]
	v_cndmask_b32_e64 v4, 0, v4, s[26:27]
	v_lshl_add_u64 v[4:5], v[4:5], 0, v[58:59]
	v_cmp_eq_u16_sdwa s[28:29], v40, v8 src0_sel:BYTE_0 src1_sel:DWORD
	s_or_b64 s[54:55], s[54:55], s[82:83]
	s_or_b64 s[54:55], s[54:55], s[80:81]
	v_cndmask_b32_e64 v5, 0, v5, s[28:29]
	v_cndmask_b32_e64 v4, 0, v4, s[28:29]
	v_lshl_add_u64 v[4:5], v[4:5], 0, v[46:47]
	s_or_b64 s[54:55], s[54:55], s[78:79]
	v_cndmask_b32_e64 v5, 0, v5, s[30:31]
	v_cndmask_b32_e64 v4, 0, v4, s[30:31]
	s_or_b64 s[50:51], s[54:55], s[50:51]
	v_lshl_add_u64 v[4:5], v[4:5], 0, v[66:67]
	v_cmp_eq_u16_sdwa s[34:35], v126, v8 src0_sel:BYTE_3 src1_sel:DWORD
	s_or_b64 s[50:51], s[50:51], s[76:77]
	s_or_b64 s[50:51], s[50:51], s[74:75]
	v_cndmask_b32_e64 v5, 0, v5, s[34:35]
	v_cndmask_b32_e64 v4, 0, v4, s[34:35]
	v_lshl_add_u64 v[4:5], v[4:5], 0, v[54:55]
	v_cmp_eq_u16_sdwa s[36:37], v122, v8 src0_sel:BYTE_0 src1_sel:DWORD
	s_or_b64 s[50:51], s[50:51], s[72:73]
	s_or_b64 s[50:51], s[50:51], s[70:71]
	v_cndmask_b32_e64 v5, 0, v5, s[36:37]
	v_cndmask_b32_e64 v4, 0, v4, s[36:37]
	v_lshl_add_u64 v[4:5], v[4:5], 0, v[74:75]
	v_cmp_eq_u16_sdwa s[38:39], v125, v8 src0_sel:BYTE_0 src1_sel:DWORD
	;; [unrolled: 6-line block ×3, first 2 shown]
	s_or_b64 s[0:1], s[0:1], s[66:67]
	s_or_b64 s[0:1], s[0:1], s[64:65]
	v_cndmask_b32_e64 v5, 0, v5, s[40:41]
	v_cndmask_b32_e64 v4, 0, v4, s[40:41]
	v_lshl_add_u64 v[4:5], v[4:5], 0, v[78:79]
	s_or_b64 s[0:1], s[0:1], s[62:63]
	v_cndmask_b32_e64 v5, 0, v5, s[42:43]
	v_cndmask_b32_e64 v4, 0, v4, s[42:43]
	s_or_b64 s[0:1], s[0:1], vcc
	v_lshl_add_u64 v[4:5], v[4:5], 0, v[70:71]
	v_cmp_eq_u16_sdwa s[44:45], v125, v8 src0_sel:BYTE_3 src1_sel:DWORD
	s_or_b64 s[0:1], s[0:1], s[60:61]
	s_or_b64 s[0:1], s[0:1], s[58:59]
	v_cndmask_b32_e64 v5, 0, v5, s[44:45]
	v_cndmask_b32_e64 v4, 0, v4, s[44:45]
	v_lshl_add_u64 v[4:5], v[4:5], 0, v[10:11]
	v_cmp_eq_u16_sdwa s[46:47], v28, v8 src0_sel:BYTE_0 src1_sel:DWORD
	s_or_b64 s[0:1], s[0:1], s[56:57]
	v_and_b32_e32 v12, 0xff, v1
	v_cndmask_b32_e64 v5, 0, v5, s[46:47]
	v_cndmask_b32_e64 v4, 0, v4, s[46:47]
	s_or_b64 s[0:1], s[0:1], s[52:53]
	v_mbcnt_hi_u32_b32 v52, -1, v29
	v_lshl_add_u64 v[8:9], v[4:5], 0, v[16:17]
	v_cndmask_b32_e64 v12, v12, 1, s[0:1]
	v_and_b32_e32 v4, 15, v52
	v_mov_b32_dpp v13, v8 row_shr:1 row_mask:0xf bank_mask:0xf
	v_mov_b32_dpp v20, v9 row_shr:1 row_mask:0xf bank_mask:0xf
	;; [unrolled: 1-line block ×3, first 2 shown]
	v_cmp_ne_u32_e32 vcc, 0, v4
	s_and_saveexec_b64 s[0:1], vcc
; %bb.129:
	v_cmp_eq_u32_e32 vcc, 0, v12
	v_and_or_b32 v12, v5, 1, v12
	s_nop 0
	v_cndmask_b32_e32 v21, 0, v20, vcc
	v_cndmask_b32_e32 v20, 0, v13, vcc
	v_lshl_add_u64 v[8:9], v[20:21], 0, v[8:9]
; %bb.130:
	s_or_b64 exec, exec, s[0:1]
	s_nop 0
	v_mov_b32_dpp v13, v8 row_shr:2 row_mask:0xf bank_mask:0xf
	v_mov_b32_dpp v20, v9 row_shr:2 row_mask:0xf bank_mask:0xf
	;; [unrolled: 1-line block ×3, first 2 shown]
	v_cmp_lt_u32_e32 vcc, 1, v4
	s_and_saveexec_b64 s[0:1], vcc
; %bb.131:
	v_cmp_eq_u32_e32 vcc, 0, v12
	v_or_b32_e32 v5, v5, v12
	v_and_b32_e32 v12, 1, v5
	v_cndmask_b32_e32 v21, 0, v20, vcc
	v_cndmask_b32_e32 v20, 0, v13, vcc
	v_lshl_add_u64 v[8:9], v[20:21], 0, v[8:9]
; %bb.132:
	s_or_b64 exec, exec, s[0:1]
	s_nop 0
	v_mov_b32_dpp v13, v8 row_shr:4 row_mask:0xf bank_mask:0xf
	v_mov_b32_dpp v20, v9 row_shr:4 row_mask:0xf bank_mask:0xf
	;; [unrolled: 1-line block ×3, first 2 shown]
	v_cmp_lt_u32_e32 vcc, 3, v4
	s_and_saveexec_b64 s[0:1], vcc
	s_mov_b64 s[58:59], s[90:91]
	s_mov_b64 s[60:61], s[4:5]
	;; [unrolled: 1-line block ×4, first 2 shown]
; %bb.133:
	v_cmp_eq_u32_e32 vcc, 0, v12
	v_or_b32_e32 v5, v5, v12
	v_and_b32_e32 v12, 1, v5
	v_cndmask_b32_e32 v21, 0, v20, vcc
	v_cndmask_b32_e32 v20, 0, v13, vcc
	v_lshl_add_u64 v[8:9], v[20:21], 0, v[8:9]
; %bb.134:
	s_or_b64 exec, exec, s[0:1]
	s_nop 0
	v_mov_b32_dpp v13, v8 row_shr:8 row_mask:0xf bank_mask:0xf
	v_mov_b32_dpp v20, v9 row_shr:8 row_mask:0xf bank_mask:0xf
	;; [unrolled: 1-line block ×3, first 2 shown]
	v_cmp_lt_u32_e32 vcc, 7, v4
	s_and_saveexec_b64 s[0:1], vcc
; %bb.135:
	v_cmp_eq_u32_e32 vcc, 0, v12
	v_or_b32_e32 v4, v5, v12
	v_and_b32_e32 v12, 1, v4
	v_cndmask_b32_e32 v21, 0, v20, vcc
	v_cndmask_b32_e32 v20, 0, v13, vcc
	v_lshl_add_u64 v[8:9], v[20:21], 0, v[8:9]
; %bb.136:
	s_or_b64 exec, exec, s[0:1]
	v_and_b32_e32 v20, 16, v52
	v_mov_b32_dpp v5, v8 row_bcast:15 row_mask:0xf bank_mask:0xf
	v_mov_b32_dpp v13, v9 row_bcast:15 row_mask:0xf bank_mask:0xf
	;; [unrolled: 1-line block ×3, first 2 shown]
	v_cmp_ne_u32_e32 vcc, 0, v20
	s_and_saveexec_b64 s[0:1], vcc
; %bb.137:
	v_cmp_eq_u32_e32 vcc, 0, v12
	v_or_b32_e32 v4, v4, v12
	v_and_b32_e32 v12, 1, v4
	v_cndmask_b32_e32 v21, 0, v13, vcc
	v_cndmask_b32_e32 v20, 0, v5, vcc
	v_lshl_add_u64 v[8:9], v[20:21], 0, v[8:9]
; %bb.138:
	s_or_b64 exec, exec, s[0:1]
	s_nop 0
	v_mov_b32_dpp v13, v8 row_bcast:31 row_mask:0xf bank_mask:0xf
	v_mov_b32_dpp v20, v9 row_bcast:31 row_mask:0xf bank_mask:0xf
	;; [unrolled: 1-line block ×3, first 2 shown]
	v_cmp_lt_u32_e32 vcc, 31, v52
	v_mov_b32_e32 v4, v12
	s_and_saveexec_b64 s[0:1], vcc
; %bb.139:
	v_cmp_eq_u32_e32 vcc, 0, v12
	v_or_b32_e32 v5, v5, v12
	v_and_b32_e32 v4, 1, v5
	v_cndmask_b32_e32 v21, 0, v20, vcc
	v_cndmask_b32_e32 v20, 0, v13, vcc
	v_lshl_add_u64 v[8:9], v[20:21], 0, v[8:9]
	v_and_b32_e32 v12, 1, v5
; %bb.140:
	s_or_b64 exec, exec, s[0:1]
	v_or_b32_e32 v5, 63, v0
	v_lshrrev_b32_e32 v13, 6, v0
	v_cmp_eq_u32_e32 vcc, v5, v0
	s_and_saveexec_b64 s[0:1], vcc
	s_cbranch_execz .LBB1189_142
; %bb.141:
	v_lshlrev_b32_e32 v5, 4, v13
	ds_write_b64 v5, v[8:9]
	ds_write_b8 v5, v4 offset:8
.LBB1189_142:
	s_or_b64 exec, exec, s[0:1]
	v_cmp_gt_u32_e32 vcc, 4, v0
	s_waitcnt lgkmcnt(0)
	s_barrier
	s_and_saveexec_b64 s[48:49], vcc
	s_cbranch_execz .LBB1189_148
; %bb.143:
	v_lshlrev_b32_e32 v20, 4, v0
	ds_read_b64 v[4:5], v20
	ds_read_b32 v21, v20 offset:8
	v_and_b32_e32 v24, 3, v52
	v_cmp_ne_u32_e32 vcc, 0, v24
	s_waitcnt lgkmcnt(1)
	v_mov_b32_dpp v48, v4 row_shr:1 row_mask:0xf bank_mask:0xf
	v_mov_b32_dpp v49, v5 row_shr:1 row_mask:0xf bank_mask:0xf
	s_waitcnt lgkmcnt(0)
	v_mov_b32_dpp v45, v21 row_shr:1 row_mask:0xf bank_mask:0xf
	v_mov_b32_e32 v25, v21
	v_mov_b32_e32 v44, v21
	s_and_saveexec_b64 s[0:1], vcc
; %bb.144:
	v_mov_b32_e32 v25, 0
	v_cmp_eq_u16_sdwa vcc, v21, v25 src0_sel:BYTE_0 src1_sel:DWORD
	v_or_b32_e32 v44, v45, v21
	v_and_b32_e32 v25, 1, v44
	v_cndmask_b32_e32 v49, 0, v49, vcc
	v_cndmask_b32_e32 v48, 0, v48, vcc
	v_and_b32_e32 v44, 1, v44
	s_movk_i32 s50, 0xff00
	v_lshl_add_u64 v[4:5], v[48:49], 0, v[4:5]
	v_and_or_b32 v21, v21, s50, v44
; %bb.145:
	s_or_b64 exec, exec, s[0:1]
	v_mov_b32_dpp v45, v4 row_shr:2 row_mask:0xf bank_mask:0xf
	v_mov_b32_dpp v48, v5 row_shr:2 row_mask:0xf bank_mask:0xf
	;; [unrolled: 1-line block ×3, first 2 shown]
	v_cmp_lt_u32_e32 vcc, 1, v24
	s_and_saveexec_b64 s[50:51], vcc
; %bb.146:
	v_mov_b32_e32 v24, 0
	v_cmp_eq_u16_sdwa vcc, v44, v24 src0_sel:BYTE_0 src1_sel:DWORD
	v_and_b32_e32 v21, 1, v21
	v_cmp_eq_u32_e64 s[0:1], 1, v21
	v_cndmask_b32_e32 v25, 0, v48, vcc
	v_cndmask_b32_e32 v24, 0, v45, vcc
	v_lshl_add_u64 v[4:5], v[24:25], 0, v[4:5]
	v_and_b32_e32 v24, 1, v44
	v_cmp_eq_u32_e32 vcc, 1, v24
	s_or_b64 s[0:1], vcc, s[0:1]
	v_cndmask_b32_e64 v25, 0, 1, s[0:1]
; %bb.147:
	s_or_b64 exec, exec, s[50:51]
	ds_write_b64 v20, v[4:5]
	ds_write_b8 v20, v25 offset:8
.LBB1189_148:
	s_or_b64 exec, exec, s[48:49]
	v_cmp_gt_u32_e32 vcc, 64, v0
	v_cmp_lt_u32_e64 s[0:1], 63, v0
	v_mov_b32_e32 v44, 0
	v_mov_b64_e32 v[4:5], 0
	s_waitcnt lgkmcnt(0)
	s_barrier
	s_and_saveexec_b64 s[48:49], s[0:1]
	s_cbranch_execz .LBB1189_150
; %bb.149:
	v_lshl_add_u32 v13, v13, 4, -16
	ds_read_b64 v[4:5], v13
	ds_read_u8 v44, v13 offset:8
	v_and_b32_e32 v20, 1, v12
	v_cmp_eq_u32_e64 s[0:1], 0, v12
	s_waitcnt lgkmcnt(1)
	s_nop 0
	v_cndmask_b32_e64 v13, 0, v5, s[0:1]
	v_cndmask_b32_e64 v12, 0, v4, s[0:1]
	v_cmp_eq_u32_e64 s[0:1], 1, v20
	v_lshl_add_u64 v[8:9], v[12:13], 0, v[8:9]
	s_waitcnt lgkmcnt(0)
	v_cndmask_b32_e64 v12, v44, 1, s[0:1]
.LBB1189_150:
	s_or_b64 exec, exec, s[48:49]
	v_add_u32_e32 v13, -1, v52
	v_and_b32_e32 v20, 64, v52
	v_cmp_lt_i32_e64 s[0:1], v13, v20
	v_cmp_eq_u32_e64 s[48:49], 0, v52
	s_nop 0
	v_cndmask_b32_e64 v13, v13, v52, s[0:1]
	v_lshlrev_b32_e32 v13, 2, v13
	ds_bpermute_b32 v45, v13, v8
	ds_bpermute_b32 v48, v13, v9
	ds_bpermute_b32 v49, v13, v12
	s_and_saveexec_b64 s[50:51], vcc
	s_cbranch_execz .LBB1189_197
; %bb.151:
	v_mov_b32_e32 v13, 0
	ds_read2_b64 v[80:83], v13 offset0:6 offset1:7
	s_and_saveexec_b64 s[0:1], s[48:49]
	s_cbranch_execz .LBB1189_153
; %bb.152:
	s_add_i32 s52, s92, 64
	s_mov_b32 s53, 0
	s_lshl_b64 s[54:55], s[52:53], 4
	v_readlane_b32 s80, v131, 0
	v_readlane_b32 s81, v131, 1
	s_add_u32 s54, s80, s54
	v_readlane_b32 s84, v131, 4
	v_readlane_b32 s85, v131, 5
	s_addc_u32 s55, s81, s55
	v_mov_b32_e32 v8, s52
	v_mov_b32_e32 v9, 1
	v_readlane_b32 s82, v131, 2
	v_readlane_b32 s83, v131, 3
	;; [unrolled: 1-line block ×4, first 2 shown]
	s_waitcnt lgkmcnt(0)
	global_store_dword v13, v80, s[54:55] sc1
	global_store_dword v13, v81, s[54:55] offset:4 sc1
	global_store_dword v13, v82, s[54:55] offset:8 sc1
	;; [unrolled: 1-line block ×3, first 2 shown]
	s_waitcnt vmcnt(0)
	global_store_byte v8, v9, s[84:85] sc1
.LBB1189_153:
	s_or_b64 exec, exec, s[0:1]
	v_xad_u32 v8, v52, -1, s92
	v_readlane_b32 s80, v131, 0
	v_add_u32_e32 v12, 64, v8
	v_readlane_b32 s84, v131, 4
	v_readlane_b32 s85, v131, 5
	;; [unrolled: 1-line block ×7, first 2 shown]
	global_load_ubyte v53, v12, s[84:85] sc1
	s_waitcnt vmcnt(0)
	v_cmp_eq_u16_e32 vcc, 0, v53
	s_and_saveexec_b64 s[0:1], vcc
	s_cbranch_execz .LBB1189_159
; %bb.154:
	v_readlane_b32 s80, v131, 0
	v_readlane_b32 s84, v131, 4
	;; [unrolled: 1-line block ×3, first 2 shown]
	s_mov_b32 s54, 1
	s_mov_b64 s[52:53], 0
	v_lshl_add_u64 v[20:21], s[84:85], 0, v[12:13]
	v_readlane_b32 s81, v131, 1
	v_readlane_b32 s82, v131, 2
	;; [unrolled: 1-line block ×5, first 2 shown]
.LBB1189_155:                           ; =>This Loop Header: Depth=1
                                        ;     Child Loop BB1189_156 Depth 2
	s_max_u32 s55, s54, 1
.LBB1189_156:                           ;   Parent Loop BB1189_155 Depth=1
                                        ; =>  This Inner Loop Header: Depth=2
	s_add_i32 s55, s55, -1
	s_cmp_eq_u32 s55, 0
	s_sleep 1
	s_cbranch_scc0 .LBB1189_156
; %bb.157:                              ;   in Loop: Header=BB1189_155 Depth=1
	global_load_ubyte v53, v[20:21], off sc1
	s_cmp_lt_u32 s54, 32
	s_cselect_b64 s[56:57], -1, 0
	s_cmp_lg_u64 s[56:57], 0
	s_addc_u32 s54, s54, 0
	s_waitcnt vmcnt(0)
	v_cmp_ne_u16_e32 vcc, 0, v53
	s_or_b64 s[52:53], vcc, s[52:53]
	s_andn2_b64 exec, exec, s[52:53]
	s_cbranch_execnz .LBB1189_155
; %bb.158:
	s_or_b64 exec, exec, s[52:53]
.LBB1189_159:
	s_or_b64 exec, exec, s[0:1]
	v_readlane_b32 s80, v131, 0
	v_readlane_b32 s81, v131, 1
	;; [unrolled: 1-line block ×4, first 2 shown]
	v_mov_b32_e32 v20, s81
	v_mov_b32_e32 v9, s83
	v_cmp_eq_u16_e32 vcc, 1, v53
	s_waitcnt vmcnt(0) lgkmcnt(0)
	s_nop 0
	v_cndmask_b32_e32 v21, v9, v20, vcc
	v_mov_b32_e32 v9, s82
	v_mov_b32_e32 v20, s80
	v_cndmask_b32_e32 v20, v9, v20, vcc
	v_lshl_add_u64 v[12:13], v[12:13], 4, v[20:21]
	global_load_dword v24, v[12:13], off sc1
	global_load_dword v25, v[12:13], off offset:4 sc1
	global_load_dword v84, v[12:13], off offset:8 sc1
	;; [unrolled: 1-line block ×3, first 2 shown]
	v_cmp_eq_u16_e32 vcc, 2, v53
	v_lshlrev_b64 v[12:13], v52, -1
	v_and_b32_e32 v56, 63, v52
	s_waitcnt vmcnt(0)
	v_and_b32_e32 v9, vcc_hi, v13
	v_and_b32_e32 v64, vcc_lo, v12
	v_cmp_ne_u32_e32 vcc, 63, v56
	v_or_b32_e32 v9, 0x80000000, v9
	v_ffbl_b32_e32 v9, v9
	v_addc_co_u32_e32 v20, vcc, 0, v52, vcc
	v_lshlrev_b32_e32 v57, 2, v20
	v_add_u32_e32 v9, 32, v9
	v_ffbl_b32_e32 v64, v64
	v_min_u32_e32 v9, v64, v9
	v_cmp_lt_u32_e32 vcc, v56, v9
	v_readlane_b32 s84, v131, 4
	v_readlane_b32 s85, v131, 5
	;; [unrolled: 1-line block ×4, first 2 shown]
	ds_bpermute_b32 v60, v57, v24
	ds_bpermute_b32 v61, v57, v25
	v_and_b32_e32 v20, 0xff, v84
	ds_bpermute_b32 v21, v57, v20
	s_and_saveexec_b64 s[0:1], vcc
	s_cbranch_execz .LBB1189_161
; %bb.160:
	v_mov_b32_e32 v20, 0
	v_cmp_eq_u16_sdwa vcc, v84, v20 src0_sel:BYTE_0 src1_sel:DWORD
	s_waitcnt lgkmcnt(0)
	v_or_b32_e32 v20, v21, v84
	v_and_b32_e32 v84, 1, v20
	v_cndmask_b32_e32 v61, 0, v61, vcc
	v_cndmask_b32_e32 v60, 0, v60, vcc
	v_lshl_add_u64 v[24:25], v[60:61], 0, v[24:25]
	v_and_b32_e32 v20, 1, v20
.LBB1189_161:
	s_or_b64 exec, exec, s[0:1]
	v_cmp_gt_u32_e32 vcc, 62, v56
	s_waitcnt lgkmcnt(1)
	v_add_u32_e32 v61, 2, v56
	s_waitcnt lgkmcnt(0)
	v_cndmask_b32_e64 v21, 0, 1, vcc
	v_lshlrev_b32_e32 v21, 1, v21
	v_add_lshl_u32 v60, v21, v52, 2
	ds_bpermute_b32 v64, v60, v24
	ds_bpermute_b32 v65, v60, v25
	ds_bpermute_b32 v21, v60, v20
	v_cmp_le_u32_e32 vcc, v61, v9
	s_and_saveexec_b64 s[52:53], vcc
	s_cbranch_execz .LBB1189_163
; %bb.162:
	v_mov_b32_e32 v20, 0
	v_cmp_eq_u16_sdwa vcc, v84, v20 src0_sel:BYTE_0 src1_sel:DWORD
	v_and_b32_e32 v20, 1, v84
	s_waitcnt lgkmcnt(1)
	v_cndmask_b32_e32 v65, 0, v65, vcc
	v_cndmask_b32_e32 v64, 0, v64, vcc
	v_cmp_eq_u32_e32 vcc, 1, v20
	s_waitcnt lgkmcnt(0)
	v_and_b32_e32 v20, 1, v21
	v_cmp_eq_u32_e64 s[0:1], 1, v20
	s_or_b64 s[0:1], vcc, s[0:1]
	v_lshl_add_u64 v[24:25], v[64:65], 0, v[24:25]
	v_cndmask_b32_e64 v84, 0, 1, s[0:1]
	v_cndmask_b32_e64 v20, 0, 1, s[0:1]
.LBB1189_163:
	s_or_b64 exec, exec, s[52:53]
	v_cmp_gt_u32_e32 vcc, 60, v56
	s_waitcnt lgkmcnt(1)
	v_add_u32_e32 v65, 4, v56
	s_waitcnt lgkmcnt(0)
	v_cndmask_b32_e64 v21, 0, 1, vcc
	v_lshlrev_b32_e32 v21, 2, v21
	v_add_lshl_u32 v64, v21, v52, 2
	ds_bpermute_b32 v68, v64, v24
	ds_bpermute_b32 v69, v64, v25
	ds_bpermute_b32 v21, v64, v20
	v_cmp_le_u32_e32 vcc, v65, v9
	s_and_saveexec_b64 s[52:53], vcc
	s_cbranch_execz .LBB1189_165
; %bb.164:
	v_mov_b32_e32 v20, 0
	v_cmp_eq_u16_sdwa vcc, v84, v20 src0_sel:BYTE_0 src1_sel:DWORD
	v_and_b32_e32 v20, 1, v84
	s_waitcnt lgkmcnt(1)
	v_cndmask_b32_e32 v69, 0, v69, vcc
	v_cndmask_b32_e32 v68, 0, v68, vcc
	v_cmp_eq_u32_e32 vcc, 1, v20
	s_waitcnt lgkmcnt(0)
	v_and_b32_e32 v20, 1, v21
	v_cmp_eq_u32_e64 s[0:1], 1, v20
	s_or_b64 s[0:1], vcc, s[0:1]
	v_lshl_add_u64 v[24:25], v[68:69], 0, v[24:25]
	v_cndmask_b32_e64 v84, 0, 1, s[0:1]
	v_cndmask_b32_e64 v20, 0, 1, s[0:1]
.LBB1189_165:
	;; [unrolled: 30-line block ×4, first 2 shown]
	s_or_b64 exec, exec, s[52:53]
	v_cmp_gt_u32_e32 vcc, 32, v56
	s_waitcnt lgkmcnt(1)
	v_add_u32_e32 v77, 32, v56
	s_waitcnt lgkmcnt(0)
	v_cndmask_b32_e64 v21, 0, 1, vcc
	v_lshlrev_b32_e32 v21, 5, v21
	v_add_lshl_u32 v76, v21, v52, 2
	ds_bpermute_b32 v21, v76, v24
	ds_bpermute_b32 v52, v76, v25
	;; [unrolled: 1-line block ×3, first 2 shown]
	v_cmp_le_u32_e32 vcc, v77, v9
	s_and_saveexec_b64 s[52:53], vcc
	s_cbranch_execz .LBB1189_171
; %bb.170:
	v_mov_b32_e32 v9, 0
	v_cmp_eq_u16_sdwa vcc, v84, v9 src0_sel:BYTE_0 src1_sel:DWORD
	v_and_b32_e32 v9, 1, v84
	s_waitcnt lgkmcnt(1)
	v_cndmask_b32_e32 v87, 0, v52, vcc
	v_cndmask_b32_e32 v86, 0, v21, vcc
	v_cmp_eq_u32_e32 vcc, 1, v9
	s_waitcnt lgkmcnt(0)
	v_and_b32_e32 v9, 1, v20
	v_cmp_eq_u32_e64 s[0:1], 1, v9
	s_or_b64 s[0:1], vcc, s[0:1]
	v_lshl_add_u64 v[24:25], v[86:87], 0, v[24:25]
	v_cndmask_b32_e64 v84, 0, 1, s[0:1]
.LBB1189_171:
	s_or_b64 exec, exec, s[52:53]
	v_mov_b32_e32 v9, 0
	v_mov_b32_e32 v83, 2
	s_branch .LBB1189_173
.LBB1189_172:                           ;   in Loop: Header=BB1189_173 Depth=1
	s_or_b64 exec, exec, s[54:55]
	v_cmp_eq_u16_sdwa vcc, v52, v9 src0_sel:BYTE_0 src1_sel:DWORD
	v_and_b32_e32 v84, 1, v52
	v_subrev_u32_e32 v8, 64, v8
	v_cndmask_b32_e32 v25, 0, v25, vcc
	v_cndmask_b32_e32 v24, 0, v24, vcc
	v_cmp_eq_u32_e32 vcc, 1, v84
	s_or_b64 s[0:1], vcc, s[52:53]
	v_lshl_add_u64 v[24:25], v[24:25], 0, v[20:21]
	v_cndmask_b32_e64 v84, 0, 1, s[0:1]
.LBB1189_173:                           ; =>This Loop Header: Depth=1
                                        ;     Child Loop BB1189_176 Depth 2
                                        ;       Child Loop BB1189_177 Depth 3
	v_cmp_ne_u16_sdwa s[0:1], v53, v83 src0_sel:BYTE_0 src1_sel:DWORD
	s_waitcnt lgkmcnt(1)
	v_mov_b32_e32 v52, v84
	s_waitcnt lgkmcnt(0)
	v_cndmask_b32_e64 v20, 0, 1, s[0:1]
	;;#ASMSTART
	;;#ASMEND
	s_nop 0
	v_cmp_ne_u32_e32 vcc, 0, v20
	s_cmp_lg_u64 vcc, exec
	v_mov_b64_e32 v[20:21], v[24:25]
	s_cbranch_scc1 .LBB1189_192
; %bb.174:                              ;   in Loop: Header=BB1189_173 Depth=1
	v_readlane_b32 s80, v131, 0
	v_readlane_b32 s84, v131, 4
	;; [unrolled: 1-line block ×8, first 2 shown]
	global_load_ubyte v53, v8, s[84:85] sc1
	s_waitcnt vmcnt(0)
	v_cmp_eq_u16_e32 vcc, 0, v53
	s_and_saveexec_b64 s[0:1], vcc
	s_cbranch_execz .LBB1189_180
; %bb.175:                              ;   in Loop: Header=BB1189_173 Depth=1
	v_readlane_b32 s80, v131, 0
	v_readlane_b32 s84, v131, 4
	;; [unrolled: 1-line block ×3, first 2 shown]
	s_mov_b32 s54, 1
	s_mov_b64 s[52:53], 0
	v_lshl_add_u64 v[24:25], s[84:85], 0, v[8:9]
	v_readlane_b32 s81, v131, 1
	v_readlane_b32 s82, v131, 2
	;; [unrolled: 1-line block ×5, first 2 shown]
.LBB1189_176:                           ;   Parent Loop BB1189_173 Depth=1
                                        ; =>  This Loop Header: Depth=2
                                        ;       Child Loop BB1189_177 Depth 3
	s_max_u32 s55, s54, 1
.LBB1189_177:                           ;   Parent Loop BB1189_173 Depth=1
                                        ;     Parent Loop BB1189_176 Depth=2
                                        ; =>    This Inner Loop Header: Depth=3
	s_add_i32 s55, s55, -1
	s_cmp_eq_u32 s55, 0
	s_sleep 1
	s_cbranch_scc0 .LBB1189_177
; %bb.178:                              ;   in Loop: Header=BB1189_176 Depth=2
	global_load_ubyte v53, v[24:25], off sc1
	s_cmp_lt_u32 s54, 32
	s_cselect_b64 s[56:57], -1, 0
	s_cmp_lg_u64 s[56:57], 0
	s_addc_u32 s54, s54, 0
	s_waitcnt vmcnt(0)
	v_cmp_ne_u16_e32 vcc, 0, v53
	s_or_b64 s[52:53], vcc, s[52:53]
	s_andn2_b64 exec, exec, s[52:53]
	s_cbranch_execnz .LBB1189_176
; %bb.179:                              ;   in Loop: Header=BB1189_173 Depth=1
	s_or_b64 exec, exec, s[52:53]
.LBB1189_180:                           ;   in Loop: Header=BB1189_173 Depth=1
	s_or_b64 exec, exec, s[0:1]
	v_readlane_b32 s80, v131, 0
	v_readlane_b32 s81, v131, 1
	;; [unrolled: 1-line block ×4, first 2 shown]
	v_mov_b32_e32 v25, s81
	v_mov_b32_e32 v24, s83
	v_cmp_eq_u16_e32 vcc, 1, v53
	v_mov_b32_e32 v84, s80
	s_waitcnt vmcnt(0)
	v_cndmask_b32_e32 v25, v24, v25, vcc
	v_mov_b32_e32 v24, s82
	v_cndmask_b32_e32 v24, v24, v84, vcc
	v_lshl_add_u64 v[86:87], v[8:9], 4, v[24:25]
	global_load_dword v24, v[86:87], off sc1
	global_load_dword v25, v[86:87], off offset:4 sc1
	global_load_dword v84, v[86:87], off offset:8 sc1
	;; [unrolled: 1-line block ×3, first 2 shown]
	v_cmp_eq_u16_e32 vcc, 2, v53
	v_readlane_b32 s84, v131, 4
	v_readlane_b32 s85, v131, 5
	s_waitcnt vmcnt(0)
	v_and_b32_e32 v85, vcc_hi, v13
	v_or_b32_e32 v85, 0x80000000, v85
	v_and_b32_e32 v90, vcc_lo, v12
	v_ffbl_b32_e32 v85, v85
	v_add_u32_e32 v85, 32, v85
	v_ffbl_b32_e32 v90, v90
	v_min_u32_e32 v85, v90, v85
	v_cmp_lt_u32_e32 vcc, v56, v85
	v_readlane_b32 s86, v131, 6
	v_readlane_b32 s87, v131, 7
	ds_bpermute_b32 v88, v57, v24
	ds_bpermute_b32 v89, v57, v25
	v_and_b32_e32 v86, 0xff, v84
	ds_bpermute_b32 v87, v57, v86
	s_and_saveexec_b64 s[0:1], vcc
	s_cbranch_execz .LBB1189_182
; %bb.181:                              ;   in Loop: Header=BB1189_173 Depth=1
	v_cmp_eq_u16_sdwa vcc, v84, v9 src0_sel:BYTE_0 src1_sel:DWORD
	s_waitcnt lgkmcnt(0)
	v_or_b32_e32 v86, v87, v84
	v_and_b32_e32 v84, 1, v86
	v_cndmask_b32_e32 v89, 0, v89, vcc
	v_cndmask_b32_e32 v88, 0, v88, vcc
	v_lshl_add_u64 v[24:25], v[88:89], 0, v[24:25]
	v_and_b32_e32 v86, 1, v86
.LBB1189_182:                           ;   in Loop: Header=BB1189_173 Depth=1
	s_or_b64 exec, exec, s[0:1]
	s_waitcnt lgkmcnt(2)
	ds_bpermute_b32 v88, v60, v24
	s_waitcnt lgkmcnt(2)
	ds_bpermute_b32 v89, v60, v25
	;; [unrolled: 2-line block ×3, first 2 shown]
	v_and_b32_e32 v90, 1, v84
	v_cmp_le_u32_e32 vcc, v61, v85
	v_cmp_eq_u32_e64 s[52:53], 1, v90
	s_and_saveexec_b64 s[0:1], vcc
	s_cbranch_execz .LBB1189_184
; %bb.183:                              ;   in Loop: Header=BB1189_173 Depth=1
	v_cmp_eq_u16_sdwa vcc, v84, v9 src0_sel:BYTE_0 src1_sel:DWORD
	s_waitcnt lgkmcnt(0)
	v_and_b32_e32 v84, 1, v87
	v_cndmask_b32_e32 v89, 0, v89, vcc
	v_cndmask_b32_e32 v88, 0, v88, vcc
	v_cmp_eq_u32_e32 vcc, 1, v84
	s_or_b64 s[54:55], s[52:53], vcc
	v_cndmask_b32_e64 v84, 0, 1, s[54:55]
	v_cndmask_b32_e64 v86, 0, 1, s[54:55]
	s_andn2_b64 s[52:53], s[52:53], exec
	s_and_b64 s[54:55], s[54:55], exec
	v_lshl_add_u64 v[24:25], v[88:89], 0, v[24:25]
	s_or_b64 s[52:53], s[52:53], s[54:55]
.LBB1189_184:                           ;   in Loop: Header=BB1189_173 Depth=1
	s_or_b64 exec, exec, s[0:1]
	s_waitcnt lgkmcnt(2)
	ds_bpermute_b32 v88, v64, v24
	s_waitcnt lgkmcnt(2)
	ds_bpermute_b32 v89, v64, v25
	s_waitcnt lgkmcnt(2)
	ds_bpermute_b32 v87, v64, v86
	v_cmp_le_u32_e32 vcc, v65, v85
	s_and_saveexec_b64 s[54:55], vcc
	s_cbranch_execz .LBB1189_186
; %bb.185:                              ;   in Loop: Header=BB1189_173 Depth=1
	v_cmp_eq_u16_sdwa vcc, v84, v9 src0_sel:BYTE_0 src1_sel:DWORD
	v_and_b32_e32 v84, 1, v84
	s_andn2_b64 s[52:53], s[52:53], exec
	s_waitcnt lgkmcnt(1)
	v_cndmask_b32_e32 v89, 0, v89, vcc
	v_cndmask_b32_e32 v88, 0, v88, vcc
	v_cmp_eq_u32_e32 vcc, 1, v84
	s_waitcnt lgkmcnt(0)
	v_and_b32_e32 v84, 1, v87
	v_cmp_eq_u32_e64 s[0:1], 1, v84
	s_or_b64 s[0:1], vcc, s[0:1]
	v_lshl_add_u64 v[24:25], v[88:89], 0, v[24:25]
	v_cndmask_b32_e64 v84, 0, 1, s[0:1]
	v_cndmask_b32_e64 v86, 0, 1, s[0:1]
	s_and_b64 s[0:1], s[0:1], exec
	s_or_b64 s[52:53], s[52:53], s[0:1]
.LBB1189_186:                           ;   in Loop: Header=BB1189_173 Depth=1
	s_or_b64 exec, exec, s[54:55]
	s_waitcnt lgkmcnt(2)
	ds_bpermute_b32 v88, v68, v24
	s_waitcnt lgkmcnt(2)
	ds_bpermute_b32 v89, v68, v25
	s_waitcnt lgkmcnt(2)
	ds_bpermute_b32 v87, v68, v86
	v_cmp_le_u32_e32 vcc, v69, v85
	s_and_saveexec_b64 s[54:55], vcc
	s_cbranch_execz .LBB1189_188
; %bb.187:                              ;   in Loop: Header=BB1189_173 Depth=1
	v_cmp_eq_u16_sdwa vcc, v84, v9 src0_sel:BYTE_0 src1_sel:DWORD
	v_and_b32_e32 v84, 1, v84
	s_andn2_b64 s[52:53], s[52:53], exec
	s_waitcnt lgkmcnt(1)
	v_cndmask_b32_e32 v89, 0, v89, vcc
	v_cndmask_b32_e32 v88, 0, v88, vcc
	v_cmp_eq_u32_e32 vcc, 1, v84
	s_waitcnt lgkmcnt(0)
	v_and_b32_e32 v84, 1, v87
	v_cmp_eq_u32_e64 s[0:1], 1, v84
	s_or_b64 s[0:1], vcc, s[0:1]
	v_lshl_add_u64 v[24:25], v[88:89], 0, v[24:25]
	v_cndmask_b32_e64 v84, 0, 1, s[0:1]
	v_cndmask_b32_e64 v86, 0, 1, s[0:1]
	s_and_b64 s[0:1], s[0:1], exec
	s_or_b64 s[52:53], s[52:53], s[0:1]
.LBB1189_188:                           ;   in Loop: Header=BB1189_173 Depth=1
	;; [unrolled: 28-line block ×3, first 2 shown]
	s_or_b64 exec, exec, s[54:55]
	s_waitcnt lgkmcnt(0)
	ds_bpermute_b32 v87, v76, v24
	ds_bpermute_b32 v88, v76, v25
	;; [unrolled: 1-line block ×3, first 2 shown]
	v_cmp_le_u32_e32 vcc, v77, v85
	s_and_saveexec_b64 s[54:55], vcc
	s_cbranch_execz .LBB1189_172
; %bb.191:                              ;   in Loop: Header=BB1189_173 Depth=1
	v_cmp_eq_u16_sdwa vcc, v84, v9 src0_sel:BYTE_0 src1_sel:DWORD
	v_and_b32_e32 v84, 1, v84
	s_andn2_b64 s[52:53], s[52:53], exec
	s_waitcnt lgkmcnt(1)
	v_cndmask_b32_e32 v89, 0, v88, vcc
	v_cndmask_b32_e32 v88, 0, v87, vcc
	v_cmp_eq_u32_e32 vcc, 1, v84
	s_waitcnt lgkmcnt(0)
	v_and_b32_e32 v84, 1, v86
	v_cmp_eq_u32_e64 s[0:1], 1, v84
	s_or_b64 s[0:1], vcc, s[0:1]
	s_and_b64 s[0:1], s[0:1], exec
	v_lshl_add_u64 v[24:25], v[88:89], 0, v[24:25]
	s_or_b64 s[52:53], s[52:53], s[0:1]
	s_branch .LBB1189_172
.LBB1189_192:                           ;   in Loop: Header=BB1189_173 Depth=1
                                        ; implicit-def: $vgpr84
                                        ; implicit-def: $vgpr24_vgpr25
                                        ; implicit-def: $vgpr53
	s_cbranch_execz .LBB1189_173
; %bb.193:
	s_and_saveexec_b64 s[0:1], s[48:49]
	s_cbranch_execz .LBB1189_195
; %bb.194:
	v_readlane_b32 s80, v131, 0
	s_mov_b32 s53, 0
	v_mov_b32_e32 v12, 0
	s_add_i32 s52, s92, 64
	v_readlane_b32 s82, v131, 2
	v_readlane_b32 s83, v131, 3
	v_cmp_eq_u32_sdwa vcc, v82, v12 src0_sel:BYTE_0 src1_sel:DWORD
	s_lshl_b64 s[54:55], s[52:53], 4
	s_mov_b64 s[62:63], s[82:83]
	v_cndmask_b32_e32 v9, 0, v21, vcc
	v_cndmask_b32_e32 v8, 0, v20, vcc
	v_and_b32_e32 v13, 1, v82
	s_add_u32 s54, s62, s54
	v_lshl_add_u64 v[8:9], v[8:9], 0, v[80:81]
	v_and_b32_e32 v24, 1, v52
	v_cmp_eq_u32_e32 vcc, 1, v13
	v_readlane_b32 s84, v131, 4
	v_readlane_b32 s85, v131, 5
	s_addc_u32 s55, s63, s55
	v_cndmask_b32_e64 v13, v24, 1, vcc
	v_readlane_b32 s86, v131, 6
	s_mov_b64 s[64:65], s[84:85]
	global_store_dword v12, v8, s[54:55] sc1
	global_store_dword v12, v9, s[54:55] offset:4 sc1
	global_store_dword v12, v13, s[54:55] offset:8 sc1
	;; [unrolled: 1-line block ×3, first 2 shown]
	v_mov_b32_e32 v8, s52
	v_mov_b32_e32 v9, 2
	v_readlane_b32 s81, v131, 1
	v_readlane_b32 s87, v131, 7
	s_mov_b32 s66, s86
	s_waitcnt vmcnt(0) lgkmcnt(0)
	global_store_byte v8, v9, s[64:65] sc1
.LBB1189_195:
	s_or_b64 exec, exec, s[0:1]
	s_and_b64 exec, exec, s[68:69]
	s_cbranch_execz .LBB1189_197
; %bb.196:
	v_mov_b32_e32 v8, 0
	ds_write_b64 v8, v[20:21] offset:48
	ds_write_b8 v8, v52 offset:56
.LBB1189_197:
	s_or_b64 exec, exec, s[50:51]
	s_waitcnt lgkmcnt(0)
	v_cndmask_b32_e64 v8, v49, v44, s[48:49]
	v_mov_b32_e32 v13, 0
	v_cndmask_b32_e64 v9, v48, v5, s[48:49]
	v_cndmask_b32_e64 v12, v45, v4, s[48:49]
	v_cmp_eq_u16_sdwa vcc, v1, v13 src0_sel:BYTE_0 src1_sel:DWORD
	v_and_b32_e32 v20, 1, v1
	v_and_b32_e32 v8, 1, v8
	s_barrier
	ds_read_b64 v[4:5], v13 offset:48
	v_cndmask_b32_e32 v12, 0, v12, vcc
	v_cndmask_b32_e32 v9, 0, v9, vcc
	v_cmp_eq_u32_e32 vcc, 1, v20
	v_cmp_eq_u32_e64 s[0:1], 1, v8
	s_or_b64 s[0:1], vcc, s[0:1]
	v_cndmask_b32_e64 v9, v9, 0, s[68:69]
	v_cndmask_b32_e64 v8, 0, 1, s[0:1]
	;; [unrolled: 1-line block ×4, first 2 shown]
	v_cmp_eq_u16_sdwa vcc, v20, v13 src0_sel:BYTE_0 src1_sel:DWORD
	v_lshl_add_u64 v[8:9], v[8:9], 0, v[2:3]
	s_waitcnt lgkmcnt(0)
	v_cndmask_b32_e32 v5, 0, v5, vcc
	v_cndmask_b32_e32 v4, 0, v4, vcc
	v_lshl_add_u64 v[114:115], v[8:9], 0, v[4:5]
	v_cndmask_b32_e64 v5, 0, v115, s[6:7]
	v_cndmask_b32_e64 v4, 0, v114, s[6:7]
	v_lshl_add_u64 v[44:45], v[4:5], 0, v[14:15]
	v_cndmask_b32_e64 v5, 0, v45, s[8:9]
	v_cndmask_b32_e64 v4, 0, v44, s[8:9]
	v_lshl_add_u64 v[80:81], v[4:5], 0, v[6:7]
	v_cndmask_b32_e64 v5, 0, v81, s[10:11]
	v_cndmask_b32_e64 v4, 0, v80, s[10:11]
	v_lshl_add_u64 v[48:49], v[4:5], 0, v[26:27]
	v_cndmask_b32_e64 v5, 0, v49, s[12:13]
	v_cndmask_b32_e64 v4, 0, v48, s[12:13]
	v_lshl_add_u64 v[84:85], v[4:5], 0, v[18:19]
	v_cndmask_b32_e64 v5, 0, v85, s[14:15]
	v_cndmask_b32_e64 v4, 0, v84, s[14:15]
	v_lshl_add_u64 v[52:53], v[4:5], 0, v[34:35]
	v_cndmask_b32_e64 v5, 0, v53, s[16:17]
	v_cndmask_b32_e64 v4, 0, v52, s[16:17]
	v_lshl_add_u64 v[88:89], v[4:5], 0, v[22:23]
	v_cndmask_b32_e64 v5, 0, v89, s[18:19]
	v_cndmask_b32_e64 v4, 0, v88, s[18:19]
	v_lshl_add_u64 v[56:57], v[4:5], 0, v[42:43]
	v_cndmask_b32_e64 v5, 0, v57, s[20:21]
	v_cndmask_b32_e64 v4, 0, v56, s[20:21]
	v_lshl_add_u64 v[92:93], v[4:5], 0, v[30:31]
	v_cndmask_b32_e64 v5, 0, v93, s[22:23]
	v_cndmask_b32_e64 v4, 0, v92, s[22:23]
	v_lshl_add_u64 v[60:61], v[4:5], 0, v[50:51]
	v_cndmask_b32_e64 v5, 0, v61, s[24:25]
	v_cndmask_b32_e64 v4, 0, v60, s[24:25]
	v_lshl_add_u64 v[96:97], v[4:5], 0, v[38:39]
	v_cndmask_b32_e64 v5, 0, v97, s[26:27]
	v_cndmask_b32_e64 v4, 0, v96, s[26:27]
	v_lshl_add_u64 v[64:65], v[4:5], 0, v[58:59]
	v_cndmask_b32_e64 v5, 0, v65, s[28:29]
	v_cndmask_b32_e64 v4, 0, v64, s[28:29]
	v_lshl_add_u64 v[100:101], v[4:5], 0, v[46:47]
	v_cndmask_b32_e64 v5, 0, v101, s[30:31]
	v_cndmask_b32_e64 v4, 0, v100, s[30:31]
	v_lshl_add_u64 v[68:69], v[4:5], 0, v[66:67]
	v_cndmask_b32_e64 v5, 0, v69, s[34:35]
	v_cndmask_b32_e64 v4, 0, v68, s[34:35]
	v_lshl_add_u64 v[104:105], v[4:5], 0, v[54:55]
	v_cndmask_b32_e64 v5, 0, v105, s[36:37]
	v_cndmask_b32_e64 v4, 0, v104, s[36:37]
	v_lshl_add_u64 v[72:73], v[4:5], 0, v[74:75]
	v_cndmask_b32_e64 v5, 0, v73, s[38:39]
	v_cndmask_b32_e64 v4, 0, v72, s[38:39]
	v_lshl_add_u64 v[108:109], v[4:5], 0, v[62:63]
	v_cndmask_b32_e64 v5, 0, v109, s[40:41]
	v_cndmask_b32_e64 v4, 0, v108, s[40:41]
	v_lshl_add_u64 v[76:77], v[4:5], 0, v[78:79]
	v_cndmask_b32_e64 v5, 0, v77, s[42:43]
	v_cndmask_b32_e64 v4, 0, v76, s[42:43]
	v_lshl_add_u64 v[112:113], v[4:5], 0, v[70:71]
	v_cndmask_b32_e64 v5, 0, v113, s[44:45]
	v_cndmask_b32_e64 v4, 0, v112, s[44:45]
	v_lshl_add_u64 v[118:119], v[4:5], 0, v[10:11]
	v_cndmask_b32_e64 v5, 0, v119, s[46:47]
	v_cndmask_b32_e64 v4, 0, v118, s[46:47]
	v_lshl_add_u64 v[120:121], v[4:5], 0, v[16:17]
	s_branch .LBB1189_228
.LBB1189_198:
                                        ; implicit-def: $vgpr112_vgpr113_vgpr114_vgpr115
                                        ; implicit-def: $vgpr120_vgpr121
                                        ; implicit-def: $vgpr118_vgpr119
                                        ; implicit-def: $vgpr76_vgpr77
                                        ; implicit-def: $vgpr72_vgpr73
                                        ; implicit-def: $vgpr68_vgpr69
                                        ; implicit-def: $vgpr64_vgpr65
                                        ; implicit-def: $vgpr60_vgpr61
                                        ; implicit-def: $vgpr56_vgpr57
                                        ; implicit-def: $vgpr52_vgpr53
                                        ; implicit-def: $vgpr48_vgpr49
                                        ; implicit-def: $vgpr44_vgpr45
                                        ; implicit-def: $vgpr108_vgpr109_vgpr110_vgpr111
                                        ; implicit-def: $vgpr104_vgpr105_vgpr106_vgpr107
                                        ; implicit-def: $vgpr100_vgpr101_vgpr102_vgpr103
                                        ; implicit-def: $vgpr96_vgpr97_vgpr98_vgpr99
                                        ; implicit-def: $vgpr92_vgpr93_vgpr94_vgpr95
                                        ; implicit-def: $vgpr88_vgpr89_vgpr90_vgpr91
                                        ; implicit-def: $vgpr84_vgpr85_vgpr86_vgpr87
                                        ; implicit-def: $vgpr80_vgpr81_vgpr82_vgpr83
                                        ; implicit-def: $vgpr114_vgpr115_vgpr116_vgpr117
	s_mov_b64 s[58:59], s[90:91]
	s_cbranch_execz .LBB1189_228
; %bb.199:
	v_readlane_b32 s0, v131, 8
	v_readlane_b32 s1, v131, 9
	s_cmp_lg_u64 s[0:1], 0
	s_cselect_b32 s7, s59, 0
	s_cselect_b32 s6, s58, 0
	s_cmp_lg_u64 s[6:7], 0
	s_cselect_b64 s[0:1], -1, 0
	s_and_b64 s[8:9], s[68:69], s[0:1]
	s_and_saveexec_b64 s[0:1], s[8:9]
	s_cbranch_execz .LBB1189_201
; %bb.200:
	v_mov_b32_e32 v8, 0
	global_load_dwordx2 v[4:5], v8, s[6:7]
	global_load_ubyte v9, v8, s[6:7] offset:8
	v_cmp_eq_u16_sdwa vcc, v1, v8 src0_sel:BYTE_0 src1_sel:DWORD
	s_waitcnt vmcnt(0)
	v_or_b32_e32 v1, v1, v9
	v_cndmask_b32_e32 v5, 0, v5, vcc
	v_cndmask_b32_e32 v4, 0, v4, vcc
	v_lshl_add_u64 v[2:3], v[4:5], 0, v[2:3]
	v_and_b32_e32 v1, 1, v1
.LBB1189_201:
	s_or_b64 exec, exec, s[0:1]
	v_mov_b32_e32 v9, 0
	v_cmp_eq_u16_sdwa vcc, v128, v9 src0_sel:BYTE_0 src1_sel:DWORD
	v_cmp_eq_u16_sdwa s[6:7], v130, v9 src0_sel:BYTE_0 src1_sel:DWORD
	s_movk_i32 s40, 0xff
	v_cndmask_b32_e32 v5, 0, v3, vcc
	v_cndmask_b32_e32 v4, 0, v2, vcc
	v_lshl_add_u64 v[44:45], v[4:5], 0, v[14:15]
	v_cndmask_b32_e64 v5, 0, v45, s[6:7]
	v_cndmask_b32_e64 v4, 0, v44, s[6:7]
	v_lshl_add_u64 v[80:81], v[4:5], 0, v[6:7]
	v_and_b32_sdwa v4, v128, s40 dst_sel:DWORD dst_unused:UNUSED_PAD src0_sel:WORD_1 src1_sel:DWORD
	v_cmp_eq_u16_e64 s[8:9], 0, v4
	v_cmp_eq_u16_sdwa s[10:11], v128, v9 src0_sel:BYTE_3 src1_sel:DWORD
	v_cmp_eq_u16_sdwa s[12:13], v123, v9 src0_sel:BYTE_0 src1_sel:DWORD
	v_cndmask_b32_e64 v5, 0, v81, s[8:9]
	v_cndmask_b32_e64 v4, 0, v80, s[8:9]
	v_lshl_add_u64 v[48:49], v[4:5], 0, v[26:27]
	v_cndmask_b32_e64 v5, 0, v49, s[10:11]
	v_cndmask_b32_e64 v4, 0, v48, s[10:11]
	v_lshl_add_u64 v[84:85], v[4:5], 0, v[18:19]
	;; [unrolled: 3-line block ×3, first 2 shown]
	v_cmp_eq_u16_sdwa s[14:15], v127, v9 src0_sel:BYTE_0 src1_sel:DWORD
	v_cmp_eq_u16_sdwa s[16:17], v41, v9 src0_sel:BYTE_0 src1_sel:DWORD
	v_cmp_eq_u16_sdwa s[20:21], v127, v9 src0_sel:BYTE_3 src1_sel:DWORD
	v_cndmask_b32_e64 v5, 0, v53, s[14:15]
	v_cndmask_b32_e64 v4, 0, v52, s[14:15]
	v_lshl_add_u64 v[88:89], v[4:5], 0, v[22:23]
	v_cndmask_b32_e64 v5, 0, v89, s[16:17]
	v_cndmask_b32_e64 v4, 0, v88, s[16:17]
	v_lshl_add_u64 v[56:57], v[4:5], 0, v[42:43]
	v_and_b32_sdwa v4, v127, s40 dst_sel:DWORD dst_unused:UNUSED_PAD src0_sel:WORD_1 src1_sel:DWORD
	v_cmp_eq_u16_e64 s[18:19], 0, v4
	v_cmp_eq_u16_sdwa s[22:23], v124, v9 src0_sel:BYTE_0 src1_sel:DWORD
	v_cmp_eq_u16_sdwa s[24:25], v126, v9 src0_sel:BYTE_0 src1_sel:DWORD
	v_cndmask_b32_e64 v5, 0, v57, s[18:19]
	v_cndmask_b32_e64 v4, 0, v56, s[18:19]
	v_lshl_add_u64 v[92:93], v[4:5], 0, v[30:31]
	v_cndmask_b32_e64 v5, 0, v93, s[20:21]
	v_cndmask_b32_e64 v4, 0, v92, s[20:21]
	v_lshl_add_u64 v[60:61], v[4:5], 0, v[50:51]
	;; [unrolled: 3-line block ×4, first 2 shown]
	v_cmp_eq_u16_sdwa s[26:27], v40, v9 src0_sel:BYTE_0 src1_sel:DWORD
	v_cmp_eq_u16_sdwa s[30:31], v126, v9 src0_sel:BYTE_3 src1_sel:DWORD
	v_cmp_eq_u16_sdwa s[34:35], v122, v9 src0_sel:BYTE_0 src1_sel:DWORD
	v_cndmask_b32_e64 v5, 0, v65, s[26:27]
	v_cndmask_b32_e64 v4, 0, v64, s[26:27]
	v_lshl_add_u64 v[100:101], v[4:5], 0, v[46:47]
	v_and_b32_sdwa v4, v126, s40 dst_sel:DWORD dst_unused:UNUSED_PAD src0_sel:WORD_1 src1_sel:DWORD
	v_cmp_eq_u16_e64 s[28:29], 0, v4
	v_cmp_eq_u16_sdwa s[36:37], v125, v9 src0_sel:BYTE_0 src1_sel:DWORD
	v_cmp_eq_u16_sdwa s[38:39], v36, v9 src0_sel:BYTE_0 src1_sel:DWORD
	v_cndmask_b32_e64 v5, 0, v101, s[28:29]
	v_cndmask_b32_e64 v4, 0, v100, s[28:29]
	v_lshl_add_u64 v[68:69], v[4:5], 0, v[66:67]
	v_cndmask_b32_e64 v5, 0, v69, s[30:31]
	v_cndmask_b32_e64 v4, 0, v68, s[30:31]
	v_lshl_add_u64 v[104:105], v[4:5], 0, v[54:55]
	;; [unrolled: 3-line block ×5, first 2 shown]
	v_and_b32_sdwa v4, v125, s40 dst_sel:DWORD dst_unused:UNUSED_PAD src0_sel:WORD_1 src1_sel:DWORD
	v_cmp_eq_u16_e64 s[40:41], 0, v4
	v_cmp_eq_u16_sdwa s[42:43], v125, v9 src0_sel:BYTE_3 src1_sel:DWORD
	v_cmp_eq_u16_sdwa s[44:45], v28, v9 src0_sel:BYTE_0 src1_sel:DWORD
	v_cndmask_b32_e64 v5, 0, v77, s[40:41]
	v_cndmask_b32_e64 v4, 0, v76, s[40:41]
	v_lshl_add_u64 v[112:113], v[4:5], 0, v[70:71]
	v_cndmask_b32_e64 v5, 0, v113, s[42:43]
	v_cndmask_b32_e64 v4, 0, v112, s[42:43]
	v_lshl_add_u64 v[118:119], v[4:5], 0, v[10:11]
	v_cndmask_b32_e64 v5, 0, v119, s[44:45]
	v_cndmask_b32_e64 v4, 0, v118, s[44:45]
	v_lshl_add_u64 v[120:121], v[4:5], 0, v[16:17]
	v_or_b32_e32 v4, v125, v126
	v_or3_b32 v4, v4, v127, v128
	v_lshrrev_b16_e32 v9, 7, v4
	v_and_b32_e32 v5, 1, v4
	v_and_b32_e32 v9, 2, v9
	v_or_b32_e32 v5, v5, v9
	v_lshrrev_b32_e32 v9, 23, v4
	v_mov_b32_e32 v12, 1
	v_and_b32_e32 v9, 2, v9
	v_and_b32_sdwa v4, v4, v12 dst_sel:DWORD dst_unused:UNUSED_PAD src0_sel:WORD_1 src1_sel:DWORD
	v_or_b32_e32 v4, v4, v9
	v_lshlrev_b16_e32 v4, 2, v4
	v_or_b32_e32 v4, v5, v4
	v_cmp_eq_u32_e64 s[50:51], 1, v32
	v_cmp_ne_u16_e64 s[52:53], 0, v4
	v_cmp_eq_u32_e64 s[48:49], 1, v33
	s_or_b64 s[50:51], s[52:53], s[50:51]
	v_cmp_eq_u32_e64 s[0:1], 1, v37
	s_or_b64 s[48:49], s[50:51], s[48:49]
	;; [unrolled: 2-line block ×3, first 2 shown]
	v_and_b32_e32 v8, 0xff, v1
	s_or_b64 s[0:1], s[0:1], s[46:47]
	v_mbcnt_hi_u32_b32 v12, -1, v29
	v_cndmask_b32_e64 v13, v8, 1, s[0:1]
	v_and_b32_e32 v20, 15, v12
	v_mov_b32_dpp v24, v120 row_shr:1 row_mask:0xf bank_mask:0xf
	v_mov_b32_dpp v25, v121 row_shr:1 row_mask:0xf bank_mask:0xf
	;; [unrolled: 1-line block ×3, first 2 shown]
	v_cmp_ne_u32_e64 s[0:1], 0, v20
	v_mov_b64_e32 v[4:5], v[120:121]
	v_mov_b32_e32 v9, v121
	v_mov_b32_e32 v8, v120
	s_and_saveexec_b64 s[46:47], s[0:1]
; %bb.202:
	v_cmp_eq_u32_e64 s[0:1], 0, v13
	v_and_or_b32 v13, v21, 1, v13
	s_nop 0
	v_cndmask_b32_e64 v5, 0, v25, s[0:1]
	v_cndmask_b32_e64 v4, 0, v24, s[0:1]
	v_lshl_add_u64 v[4:5], v[120:121], 0, v[4:5]
	v_mov_b32_e32 v9, v5
	v_mov_b32_e32 v8, v4
; %bb.203:
	s_or_b64 exec, exec, s[46:47]
	s_nop 0
	v_mov_b32_dpp v24, v8 row_shr:2 row_mask:0xf bank_mask:0xf
	v_mov_b32_dpp v25, v9 row_shr:2 row_mask:0xf bank_mask:0xf
	v_mov_b32_dpp v21, v13 row_shr:2 row_mask:0xf bank_mask:0xf
	v_cmp_lt_u32_e64 s[0:1], 1, v20
	s_and_saveexec_b64 s[46:47], s[0:1]
; %bb.204:
	v_cmp_eq_u32_e64 s[0:1], 0, v13
	s_nop 1
	v_cndmask_b32_e64 v9, 0, v25, s[0:1]
	v_cndmask_b32_e64 v8, 0, v24, s[0:1]
	v_lshl_add_u64 v[8:9], v[8:9], 0, v[4:5]
	v_or_b32_e32 v4, v21, v13
	v_and_b32_e32 v13, 1, v4
	v_mov_b64_e32 v[4:5], v[8:9]
; %bb.205:
	s_or_b64 exec, exec, s[46:47]
	v_mov_b32_dpp v24, v8 row_shr:4 row_mask:0xf bank_mask:0xf
	v_mov_b32_dpp v25, v9 row_shr:4 row_mask:0xf bank_mask:0xf
	v_mov_b32_dpp v21, v13 row_shr:4 row_mask:0xf bank_mask:0xf
	v_cmp_lt_u32_e64 s[0:1], 3, v20
	s_and_saveexec_b64 s[46:47], s[0:1]
; %bb.206:
	v_cmp_eq_u32_e64 s[0:1], 0, v13
	s_nop 1
	v_cndmask_b32_e64 v9, 0, v25, s[0:1]
	v_cndmask_b32_e64 v8, 0, v24, s[0:1]
	v_lshl_add_u64 v[8:9], v[8:9], 0, v[4:5]
	v_or_b32_e32 v4, v21, v13
	v_and_b32_e32 v13, 1, v4
	v_mov_b64_e32 v[4:5], v[8:9]
; %bb.207:
	s_or_b64 exec, exec, s[46:47]
	;; [unrolled: 16-line block ×3, first 2 shown]
	v_and_b32_e32 v25, 16, v12
	v_mov_b32_dpp v21, v8 row_bcast:15 row_mask:0xf bank_mask:0xf
	v_mov_b32_dpp v24, v9 row_bcast:15 row_mask:0xf bank_mask:0xf
	;; [unrolled: 1-line block ×3, first 2 shown]
	v_cmp_ne_u32_e64 s[0:1], 0, v25
	s_and_saveexec_b64 s[46:47], s[0:1]
; %bb.210:
	v_cmp_eq_u32_e64 s[0:1], 0, v13
	s_nop 1
	v_cndmask_b32_e64 v9, 0, v24, s[0:1]
	v_cndmask_b32_e64 v8, 0, v21, s[0:1]
	v_lshl_add_u64 v[4:5], v[8:9], 0, v[4:5]
	v_or_b32_e32 v8, v20, v13
	v_and_b32_e32 v13, 1, v8
	v_mov_b32_e32 v9, v5
	v_mov_b32_e32 v8, v4
; %bb.211:
	s_or_b64 exec, exec, s[46:47]
	s_nop 0
	v_mov_b32_dpp v20, v8 row_bcast:31 row_mask:0xf bank_mask:0xf
	v_mov_b32_dpp v21, v9 row_bcast:31 row_mask:0xf bank_mask:0xf
	;; [unrolled: 1-line block ×3, first 2 shown]
	v_cmp_lt_u32_e64 s[0:1], 31, v12
	v_mov_b32_e32 v8, v13
	s_and_saveexec_b64 s[46:47], s[0:1]
; %bb.212:
	v_cmp_eq_u32_e64 s[0:1], 0, v13
	v_or_b32_e32 v9, v9, v13
	v_and_b32_e32 v8, 1, v9
	v_cndmask_b32_e64 v21, 0, v21, s[0:1]
	v_cndmask_b32_e64 v20, 0, v20, s[0:1]
	v_lshl_add_u64 v[4:5], v[20:21], 0, v[4:5]
	v_and_b32_e32 v13, 1, v9
; %bb.213:
	s_or_b64 exec, exec, s[46:47]
	v_or_b32_e32 v9, 63, v0
	v_lshrrev_b32_e32 v20, 6, v0
	v_cmp_eq_u32_e64 s[0:1], v9, v0
	s_and_saveexec_b64 s[46:47], s[0:1]
	s_cbranch_execz .LBB1189_215
; %bb.214:
	v_lshlrev_b32_e32 v9, 4, v20
	ds_write_b64 v9, v[4:5]
	ds_write_b8 v9, v8 offset:8
.LBB1189_215:
	s_or_b64 exec, exec, s[46:47]
	v_cmp_gt_u32_e64 s[0:1], 4, v0
	s_waitcnt lgkmcnt(0)
	s_barrier
	s_and_saveexec_b64 s[48:49], s[0:1]
	s_cbranch_execz .LBB1189_221
; %bb.216:
	v_lshlrev_b32_e32 v21, 4, v0
	ds_read_b64 v[8:9], v21
	ds_read_b32 v24, v21 offset:8
	v_and_b32_e32 v25, 3, v12
	v_cmp_ne_u32_e64 s[0:1], 0, v25
	s_waitcnt lgkmcnt(1)
	v_mov_b32_dpp v33, v8 row_shr:1 row_mask:0xf bank_mask:0xf
	v_mov_b32_dpp v36, v9 row_shr:1 row_mask:0xf bank_mask:0xf
	s_waitcnt lgkmcnt(0)
	v_mov_b32_dpp v32, v24 row_shr:1 row_mask:0xf bank_mask:0xf
	v_mov_b32_e32 v28, v24
	v_mov_b32_e32 v29, v24
	s_and_saveexec_b64 s[46:47], s[0:1]
; %bb.217:
	v_mov_b32_e32 v28, 0
	v_cmp_eq_u16_sdwa s[0:1], v24, v28 src0_sel:BYTE_0 src1_sel:DWORD
	s_nop 1
	v_cndmask_b32_e64 v29, 0, v36, s[0:1]
	v_cndmask_b32_e64 v28, 0, v33, s[0:1]
	v_lshl_add_u64 v[8:9], v[28:29], 0, v[8:9]
	v_or_b32_e32 v29, v32, v24
	v_and_b32_e32 v28, 1, v29
	v_and_b32_e32 v29, 1, v29
	s_movk_i32 s0, 0xff00
	v_and_or_b32 v24, v24, s0, v29
; %bb.218:
	s_or_b64 exec, exec, s[46:47]
	v_mov_b32_dpp v32, v8 row_shr:2 row_mask:0xf bank_mask:0xf
	v_mov_b32_dpp v33, v9 row_shr:2 row_mask:0xf bank_mask:0xf
	;; [unrolled: 1-line block ×3, first 2 shown]
	v_cmp_lt_u32_e64 s[0:1], 1, v25
	s_and_saveexec_b64 s[50:51], s[0:1]
; %bb.219:
	v_mov_b32_e32 v25, 0
	v_cmp_eq_u16_sdwa s[0:1], v29, v25 src0_sel:BYTE_0 src1_sel:DWORD
	v_and_b32_e32 v25, 1, v29
	v_and_b32_e32 v24, 1, v24
	v_cndmask_b32_e64 v33, 0, v33, s[0:1]
	v_cndmask_b32_e64 v32, 0, v32, s[0:1]
	v_cmp_eq_u32_e64 s[0:1], 1, v25
	v_cmp_eq_u32_e64 s[46:47], 1, v24
	s_or_b64 s[0:1], s[0:1], s[46:47]
	v_lshl_add_u64 v[8:9], v[32:33], 0, v[8:9]
	v_cndmask_b32_e64 v28, 0, 1, s[0:1]
; %bb.220:
	s_or_b64 exec, exec, s[50:51]
	ds_write_b64 v21, v[8:9]
	ds_write_b8 v21, v28 offset:8
.LBB1189_221:
	s_or_b64 exec, exec, s[48:49]
	v_cmp_lt_u32_e64 s[0:1], 63, v0
	v_mov_b64_e32 v[8:9], 0
	s_waitcnt lgkmcnt(0)
	s_barrier
	s_and_saveexec_b64 s[46:47], s[0:1]
	s_cbranch_execz .LBB1189_223
; %bb.222:
	v_lshl_add_u32 v8, v20, 4, -16
	ds_read_b64 v[8:9], v8
	v_cmp_eq_u32_e64 s[0:1], 0, v13
	s_waitcnt lgkmcnt(0)
	s_nop 0
	v_cndmask_b32_e64 v21, 0, v9, s[0:1]
	v_cndmask_b32_e64 v20, 0, v8, s[0:1]
	v_lshl_add_u64 v[4:5], v[20:21], 0, v[4:5]
.LBB1189_223:
	s_or_b64 exec, exec, s[46:47]
	v_add_u32_e32 v13, -1, v12
	v_and_b32_e32 v20, 64, v12
	v_cmp_lt_i32_e64 s[0:1], v13, v20
	s_nop 1
	v_cndmask_b32_e64 v13, v13, v12, s[0:1]
	v_lshlrev_b32_e32 v13, 2, v13
	ds_bpermute_b32 v4, v13, v4
	ds_bpermute_b32 v5, v13, v5
	s_and_saveexec_b64 s[46:47], s[4:5]
	s_cbranch_execz .LBB1189_225
; %bb.224:
	v_cmp_eq_u32_e64 s[0:1], 0, v12
	;;#ASMSTART
	;;#ASMEND
	s_waitcnt lgkmcnt(1)
	s_nop 0
	v_cndmask_b32_e64 v4, v4, v8, s[0:1]
	v_mov_b32_e32 v8, 0
	s_waitcnt lgkmcnt(0)
	v_cndmask_b32_e64 v5, v5, v9, s[0:1]
	v_cmp_eq_u16_sdwa s[0:1], v1, v8 src0_sel:BYTE_0 src1_sel:DWORD
	s_nop 1
	v_cndmask_b32_e64 v5, 0, v5, s[0:1]
	v_cndmask_b32_e64 v4, 0, v4, s[0:1]
	v_lshl_add_u64 v[2:3], v[4:5], 0, v[2:3]
	v_cndmask_b32_e32 v5, 0, v3, vcc
	v_cndmask_b32_e32 v4, 0, v2, vcc
	v_lshl_add_u64 v[44:45], v[4:5], 0, v[14:15]
	v_cndmask_b32_e64 v5, 0, v45, s[6:7]
	v_cndmask_b32_e64 v4, 0, v44, s[6:7]
	v_lshl_add_u64 v[80:81], v[4:5], 0, v[6:7]
	v_cndmask_b32_e64 v5, 0, v81, s[8:9]
	v_cndmask_b32_e64 v4, 0, v80, s[8:9]
	;; [unrolled: 3-line block ×19, first 2 shown]
	v_lshl_add_u64 v[120:121], v[4:5], 0, v[16:17]
.LBB1189_225:
	s_or_b64 exec, exec, s[46:47]
	s_and_saveexec_b64 s[0:1], s[68:69]
	s_cbranch_execz .LBB1189_227
; %bb.226:
	v_mov_b32_e32 v1, 0
	s_waitcnt lgkmcnt(0)
	ds_read_b64 v[4:5], v1 offset:48
	ds_read_u8 v6, v1 offset:56
	v_readlane_b32 s4, v131, 0
	v_readlane_b32 s6, v131, 2
	;; [unrolled: 1-line block ×5, first 2 shown]
	s_waitcnt lgkmcnt(1)
	s_nop 1
	global_store_dword v1, v4, s[6:7] offset:1024 sc1
	global_store_dword v1, v5, s[6:7] offset:1028 sc1
	s_waitcnt lgkmcnt(0)
	global_store_dword v1, v6, s[6:7] offset:1032 sc1
	global_store_dword v1, v1, s[6:7] offset:1036 sc1
	v_mov_b32_e32 v4, 2
	v_readlane_b32 s5, v131, 1
	v_readlane_b32 s10, v131, 6
	;; [unrolled: 1-line block ×3, first 2 shown]
	s_waitcnt vmcnt(0)
	global_store_byte v1, v4, s[8:9] offset:64 sc1
.LBB1189_227:
	s_or_b64 exec, exec, s[0:1]
	v_mov_b64_e32 v[114:115], v[2:3]
.LBB1189_228:
	s_add_u32 s0, s78, s88
	s_addc_u32 s1, s79, s89
	s_add_u32 s0, s0, s2
	s_addc_u32 s1, s1, s3
	s_and_b64 vcc, exec, s[60:61]
	v_lshlrev_b32_e32 v42, 3, v0
	s_cbranch_vccz .LBB1189_270
; %bb.229:
	s_movk_i32 s2, 0xa8
	v_mul_i32_i24_e32 v50, 0xffffff60, v0
	v_mul_u32_u24_e32 v1, 0xa8, v0
	v_mad_u32_u24 v2, v0, s2, v50
	s_waitcnt lgkmcnt(0)
	s_barrier
	ds_write2_b64 v1, v[114:115], v[44:45] offset1:1
	ds_write2_b64 v1, v[80:81], v[48:49] offset0:2 offset1:3
	ds_write2_b64 v1, v[84:85], v[52:53] offset0:4 offset1:5
	;; [unrolled: 1-line block ×9, first 2 shown]
	ds_write_b64 v1, v[120:121] offset:160
	s_waitcnt lgkmcnt(0)
	s_barrier
	ds_read2st64_b64 v[38:41], v2 offset0:4 offset1:8
	ds_read2st64_b64 v[34:37], v2 offset0:12 offset1:16
	ds_read2st64_b64 v[30:33], v2 offset0:20 offset1:24
	ds_read2st64_b64 v[26:29], v2 offset0:28 offset1:32
	ds_read2st64_b64 v[22:25], v2 offset0:36 offset1:40
	ds_read2st64_b64 v[18:21], v2 offset0:44 offset1:48
	ds_read2st64_b64 v[14:17], v2 offset0:52 offset1:56
	ds_read2st64_b64 v[10:13], v2 offset0:60 offset1:64
	ds_read2st64_b64 v[6:9], v2 offset0:68 offset1:72
	ds_read2st64_b64 v[2:5], v2 offset0:76 offset1:80
	v_readlane_b32 s4, v131, 0
	v_readlane_b32 s10, v131, 6
	s_add_i32 s33, s33, s10
	v_mov_b32_e32 v43, 0
	v_lshl_add_u64 v[46:47], s[0:1], 0, v[42:43]
	v_cmp_gt_u32_e32 vcc, s33, v0
	v_readlane_b32 s5, v131, 1
	v_readlane_b32 s6, v131, 2
	;; [unrolled: 1-line block ×6, first 2 shown]
	s_and_saveexec_b64 s[2:3], vcc
	s_cbranch_execz .LBB1189_231
; %bb.230:
	v_add_u32_e32 v1, v1, v50
	ds_read_b64 v[50:51], v1
	s_waitcnt lgkmcnt(0)
	flat_store_dwordx2 v[46:47], v[50:51]
.LBB1189_231:
	s_or_b64 exec, exec, s[2:3]
	v_or_b32_e32 v1, 0x100, v0
	v_cmp_gt_u32_e32 vcc, s33, v1
	s_and_saveexec_b64 s[2:3], vcc
	s_cbranch_execz .LBB1189_233
; %bb.232:
	s_waitcnt lgkmcnt(0)
	flat_store_dwordx2 v[46:47], v[38:39] offset:2048
.LBB1189_233:
	s_or_b64 exec, exec, s[2:3]
	v_or_b32_e32 v1, 0x200, v0
	v_cmp_gt_u32_e32 vcc, s33, v1
	s_and_saveexec_b64 s[2:3], vcc
	s_cbranch_execz .LBB1189_235
; %bb.234:
	s_waitcnt lgkmcnt(0)
	v_add_co_u32_e32 v38, vcc, 0x1000, v46
	s_nop 1
	v_addc_co_u32_e32 v39, vcc, 0, v47, vcc
	flat_store_dwordx2 v[38:39], v[40:41]
.LBB1189_235:
	s_or_b64 exec, exec, s[2:3]
	v_or_b32_e32 v1, 0x300, v0
	v_cmp_gt_u32_e32 vcc, s33, v1
	s_and_saveexec_b64 s[2:3], vcc
	s_cbranch_execz .LBB1189_237
; %bb.236:
	s_waitcnt lgkmcnt(0)
	v_add_co_u32_e32 v38, vcc, 0x1000, v46
	s_nop 1
	v_addc_co_u32_e32 v39, vcc, 0, v47, vcc
	flat_store_dwordx2 v[38:39], v[34:35] offset:2048
.LBB1189_237:
	s_or_b64 exec, exec, s[2:3]
	v_or_b32_e32 v1, 0x400, v0
	v_cmp_gt_u32_e32 vcc, s33, v1
	s_and_saveexec_b64 s[2:3], vcc
	s_cbranch_execz .LBB1189_239
; %bb.238:
	s_waitcnt lgkmcnt(0)
	v_add_co_u32_e32 v34, vcc, 0x2000, v46
	s_nop 1
	v_addc_co_u32_e32 v35, vcc, 0, v47, vcc
	flat_store_dwordx2 v[34:35], v[36:37]
.LBB1189_239:
	s_or_b64 exec, exec, s[2:3]
	v_or_b32_e32 v1, 0x500, v0
	v_cmp_gt_u32_e32 vcc, s33, v1
	s_and_saveexec_b64 s[2:3], vcc
	s_cbranch_execz .LBB1189_241
; %bb.240:
	s_waitcnt lgkmcnt(0)
	v_add_co_u32_e32 v34, vcc, 0x2000, v46
	s_nop 1
	v_addc_co_u32_e32 v35, vcc, 0, v47, vcc
	flat_store_dwordx2 v[34:35], v[30:31] offset:2048
.LBB1189_241:
	;; [unrolled: 24-line block ×9, first 2 shown]
	s_or_b64 exec, exec, s[2:3]
	s_waitcnt lgkmcnt(0)
	v_or_b32_e32 v2, 0x1400, v0
	v_mov_b32_e32 v1, v43
	v_cmp_gt_u32_e64 s[2:3], s33, v2
	s_branch .LBB1189_272
.LBB1189_270:
	s_mov_b64 s[2:3], 0
                                        ; implicit-def: $vgpr4_vgpr5
	s_cbranch_execz .LBB1189_272
; %bb.271:
	v_mul_u32_u24_e32 v1, 0xa8, v0
	s_waitcnt lgkmcnt(0)
	s_barrier
	s_movk_i32 s4, 0xa8
	ds_write2_b64 v1, v[114:115], v[44:45] offset1:1
	ds_write2_b64 v1, v[80:81], v[48:49] offset0:2 offset1:3
	ds_write2_b64 v1, v[84:85], v[52:53] offset0:4 offset1:5
	;; [unrolled: 1-line block ×9, first 2 shown]
	ds_write_b64 v1, v[120:121] offset:160
	v_mov_b32_e32 v1, 0
	v_mul_i32_i24_e32 v2, 0xffffff60, v0
	v_mad_u32_u24 v2, v0, s4, v2
	v_mov_b32_e32 v43, v1
	s_waitcnt lgkmcnt(0)
	s_barrier
	ds_read2st64_b64 v[6:9], v2 offset1:4
	ds_read2st64_b64 v[10:13], v2 offset0:8 offset1:12
	ds_read2st64_b64 v[14:17], v2 offset0:16 offset1:20
	;; [unrolled: 1-line block ×9, first 2 shown]
	ds_read_b64 v[4:5], v2 offset:40960
	v_lshl_add_u64 v[2:3], s[0:1], 0, v[42:43]
	s_movk_i32 s4, 0x1000
	s_waitcnt lgkmcnt(0)
	flat_store_dwordx2 v[2:3], v[6:7]
	flat_store_dwordx2 v[2:3], v[8:9] offset:2048
	v_add_co_u32_e32 v6, vcc, s4, v2
	s_movk_i32 s4, 0x2000
	s_nop 0
	v_addc_co_u32_e32 v7, vcc, 0, v3, vcc
	flat_store_dwordx2 v[6:7], v[10:11]
	flat_store_dwordx2 v[6:7], v[12:13] offset:2048
	v_add_co_u32_e32 v6, vcc, s4, v2
	s_movk_i32 s4, 0x3000
	s_nop 0
	v_addc_co_u32_e32 v7, vcc, 0, v3, vcc
	;; [unrolled: 6-line block ×6, first 2 shown]
	flat_store_dwordx2 v[6:7], v[30:31]
	flat_store_dwordx2 v[6:7], v[32:33] offset:2048
	v_add_co_u32_e32 v6, vcc, s4, v2
	s_or_b64 s[2:3], s[2:3], exec
	s_nop 0
	v_addc_co_u32_e32 v7, vcc, 0, v3, vcc
	flat_store_dwordx2 v[6:7], v[34:35]
	flat_store_dwordx2 v[6:7], v[36:37] offset:2048
	v_add_co_u32_e32 v6, vcc, 0x8000, v2
	s_nop 1
	v_addc_co_u32_e32 v7, vcc, 0, v3, vcc
	v_add_co_u32_e32 v2, vcc, 0x9000, v2
	flat_store_dwordx2 v[6:7], v[38:39]
	flat_store_dwordx2 v[6:7], v[40:41] offset:2048
	v_addc_co_u32_e32 v3, vcc, 0, v3, vcc
	flat_store_dwordx2 v[2:3], v[44:45]
	flat_store_dwordx2 v[2:3], v[46:47] offset:2048
.LBB1189_272:
	s_and_saveexec_b64 s[4:5], s[2:3]
	s_cbranch_execnz .LBB1189_274
; %bb.273:
	s_endpgm
.LBB1189_274:
	v_lshl_add_u64 v[0:1], v[0:1], 3, s[0:1]
	v_add_co_u32_e32 v0, vcc, 0xa000, v0
	s_nop 1
	v_addc_co_u32_e32 v1, vcc, 0, v1, vcc
	s_waitcnt lgkmcnt(0)
	flat_store_dwordx2 v[0:1], v[4:5]
	s_endpgm
.LBB1189_275:
	v_lshlrev_b32_e32 v6, 3, v0
	v_lshl_add_u64 v[2:3], s[50:51], 0, v[6:7]
	flat_load_dwordx2 v[2:3], v[2:3]
	s_or_b64 exec, exec, s[0:1]
                                        ; implicit-def: $vgpr6_vgpr7
	s_and_saveexec_b64 s[0:1], s[8:9]
	s_cbranch_execz .LBB1189_55
.LBB1189_276:
	v_lshlrev_b32_e32 v6, 3, v0
	v_mov_b32_e32 v7, 0
	v_lshl_add_u64 v[6:7], s[50:51], 0, v[6:7]
	flat_load_dwordx2 v[6:7], v[6:7] offset:2048
	s_or_b64 exec, exec, s[0:1]
                                        ; implicit-def: $vgpr10_vgpr11
	s_and_saveexec_b64 s[0:1], s[10:11]
	s_cbranch_execz .LBB1189_56
.LBB1189_277:
	v_lshlrev_b32_e32 v10, 3, v1
	v_mov_b32_e32 v11, 0
	v_lshl_add_u64 v[10:11], s[50:51], 0, v[10:11]
	flat_load_dwordx2 v[10:11], v[10:11]
	s_or_b64 exec, exec, s[0:1]
                                        ; implicit-def: $vgpr14_vgpr15
	s_and_saveexec_b64 s[0:1], s[12:13]
	s_cbranch_execz .LBB1189_57
.LBB1189_278:
	v_lshlrev_b32_e32 v14, 3, v16
	v_mov_b32_e32 v15, 0
	v_lshl_add_u64 v[14:15], s[50:51], 0, v[14:15]
	flat_load_dwordx2 v[14:15], v[14:15]
	s_or_b64 exec, exec, s[0:1]
                                        ; implicit-def: $vgpr16_vgpr17
	s_and_saveexec_b64 s[0:1], s[14:15]
	s_cbranch_execz .LBB1189_58
.LBB1189_279:
	v_lshlrev_b32_e32 v16, 3, v18
	v_mov_b32_e32 v17, 0
	v_lshl_add_u64 v[16:17], s[50:51], 0, v[16:17]
	flat_load_dwordx2 v[16:17], v[16:17]
	s_or_b64 exec, exec, s[0:1]
                                        ; implicit-def: $vgpr18_vgpr19
	s_and_saveexec_b64 s[0:1], s[16:17]
	s_cbranch_execz .LBB1189_59
.LBB1189_280:
	v_lshlrev_b32_e32 v18, 3, v22
	v_mov_b32_e32 v19, 0
	v_lshl_add_u64 v[18:19], s[50:51], 0, v[18:19]
	flat_load_dwordx2 v[18:19], v[18:19]
	s_or_b64 exec, exec, s[0:1]
                                        ; implicit-def: $vgpr22_vgpr23
	s_and_saveexec_b64 s[0:1], s[18:19]
	s_cbranch_execz .LBB1189_60
.LBB1189_281:
	v_lshlrev_b32_e32 v22, 3, v26
	v_mov_b32_e32 v23, 0
	v_lshl_add_u64 v[22:23], s[50:51], 0, v[22:23]
	flat_load_dwordx2 v[22:23], v[22:23]
	s_or_b64 exec, exec, s[0:1]
                                        ; implicit-def: $vgpr26_vgpr27
	s_and_saveexec_b64 s[0:1], s[20:21]
	s_cbranch_execz .LBB1189_61
.LBB1189_282:
	v_lshlrev_b32_e32 v26, 3, v30
	v_mov_b32_e32 v27, 0
	v_lshl_add_u64 v[26:27], s[50:51], 0, v[26:27]
	flat_load_dwordx2 v[26:27], v[26:27]
	s_or_b64 exec, exec, s[0:1]
                                        ; implicit-def: $vgpr30_vgpr31
	s_and_saveexec_b64 s[0:1], s[22:23]
	s_cbranch_execz .LBB1189_62
.LBB1189_283:
	v_lshlrev_b32_e32 v30, 3, v34
	v_mov_b32_e32 v31, 0
	v_lshl_add_u64 v[30:31], s[50:51], 0, v[30:31]
	flat_load_dwordx2 v[30:31], v[30:31]
	s_or_b64 exec, exec, s[0:1]
                                        ; implicit-def: $vgpr34_vgpr35
	s_and_saveexec_b64 s[0:1], s[24:25]
	s_cbranch_execz .LBB1189_63
.LBB1189_284:
	v_lshlrev_b32_e32 v34, 3, v38
	v_mov_b32_e32 v35, 0
	v_lshl_add_u64 v[34:35], s[50:51], 0, v[34:35]
	flat_load_dwordx2 v[34:35], v[34:35]
	s_or_b64 exec, exec, s[0:1]
                                        ; implicit-def: $vgpr38_vgpr39
	s_and_saveexec_b64 s[0:1], s[26:27]
	s_cbranch_execz .LBB1189_64
.LBB1189_285:
	v_lshlrev_b32_e32 v38, 3, v42
	v_mov_b32_e32 v39, 0
	v_lshl_add_u64 v[38:39], s[50:51], 0, v[38:39]
	flat_load_dwordx2 v[38:39], v[38:39]
	s_or_b64 exec, exec, s[0:1]
                                        ; implicit-def: $vgpr42_vgpr43
	s_and_saveexec_b64 s[0:1], s[28:29]
	s_cbranch_execz .LBB1189_65
.LBB1189_286:
	v_lshlrev_b32_e32 v42, 3, v46
	v_mov_b32_e32 v43, 0
	v_lshl_add_u64 v[42:43], s[50:51], 0, v[42:43]
	flat_load_dwordx2 v[42:43], v[42:43]
	s_or_b64 exec, exec, s[0:1]
                                        ; implicit-def: $vgpr46_vgpr47
	s_and_saveexec_b64 s[0:1], s[30:31]
	s_cbranch_execz .LBB1189_66
.LBB1189_287:
	v_lshlrev_b32_e32 v46, 3, v48
	v_mov_b32_e32 v47, 0
	v_lshl_add_u64 v[46:47], s[50:51], 0, v[46:47]
	flat_load_dwordx2 v[46:47], v[46:47]
	s_or_b64 exec, exec, s[0:1]
                                        ; implicit-def: $vgpr48_vgpr49
	s_and_saveexec_b64 s[0:1], s[34:35]
	s_cbranch_execz .LBB1189_67
.LBB1189_288:
	v_lshlrev_b32_e32 v48, 3, v50
	v_mov_b32_e32 v49, 0
	v_lshl_add_u64 v[48:49], s[50:51], 0, v[48:49]
	flat_load_dwordx2 v[48:49], v[48:49]
	s_or_b64 exec, exec, s[0:1]
                                        ; implicit-def: $vgpr50_vgpr51
	s_and_saveexec_b64 s[0:1], s[36:37]
	s_cbranch_execz .LBB1189_68
.LBB1189_289:
	v_lshlrev_b32_e32 v50, 3, v52
	v_mov_b32_e32 v51, 0
	v_lshl_add_u64 v[50:51], s[50:51], 0, v[50:51]
	flat_load_dwordx2 v[50:51], v[50:51]
	s_or_b64 exec, exec, s[0:1]
                                        ; implicit-def: $vgpr52_vgpr53
	s_and_saveexec_b64 s[0:1], s[38:39]
	s_cbranch_execz .LBB1189_69
.LBB1189_290:
	v_lshlrev_b32_e32 v52, 3, v54
	v_mov_b32_e32 v53, 0
	v_lshl_add_u64 v[52:53], s[50:51], 0, v[52:53]
	flat_load_dwordx2 v[52:53], v[52:53]
	s_or_b64 exec, exec, s[0:1]
                                        ; implicit-def: $vgpr54_vgpr55
	s_and_saveexec_b64 s[0:1], s[40:41]
	s_cbranch_execz .LBB1189_70
.LBB1189_291:
	v_lshlrev_b32_e32 v54, 3, v56
	v_mov_b32_e32 v55, 0
	v_lshl_add_u64 v[54:55], s[50:51], 0, v[54:55]
	flat_load_dwordx2 v[54:55], v[54:55]
	s_or_b64 exec, exec, s[0:1]
                                        ; implicit-def: $vgpr56_vgpr57
	s_and_saveexec_b64 s[0:1], s[42:43]
	s_cbranch_execz .LBB1189_71
.LBB1189_292:
	v_lshlrev_b32_e32 v56, 3, v58
	v_mov_b32_e32 v57, 0
	v_lshl_add_u64 v[56:57], s[50:51], 0, v[56:57]
	flat_load_dwordx2 v[56:57], v[56:57]
	s_or_b64 exec, exec, s[0:1]
                                        ; implicit-def: $vgpr58_vgpr59
	s_and_saveexec_b64 s[0:1], s[44:45]
	s_cbranch_execz .LBB1189_72
.LBB1189_293:
	v_lshlrev_b32_e32 v58, 3, v60
	v_mov_b32_e32 v59, 0
	v_lshl_add_u64 v[58:59], s[50:51], 0, v[58:59]
	flat_load_dwordx2 v[58:59], v[58:59]
	s_or_b64 exec, exec, s[0:1]
                                        ; implicit-def: $vgpr60_vgpr61
	s_and_saveexec_b64 s[0:1], s[46:47]
	s_cbranch_execz .LBB1189_73
.LBB1189_294:
	v_lshlrev_b32_e32 v60, 3, v62
	v_mov_b32_e32 v61, 0
	v_lshl_add_u64 v[60:61], s[50:51], 0, v[60:61]
	flat_load_dwordx2 v[60:61], v[60:61]
	s_or_b64 exec, exec, s[0:1]
                                        ; implicit-def: $vgpr62_vgpr63
	s_and_saveexec_b64 s[0:1], s[48:49]
	s_cbranch_execnz .LBB1189_74
	s_branch .LBB1189_75
.LBB1189_295:
                                        ; implicit-def: $sgpr0_sgpr1
	s_branch .LBB1189_50
.LBB1189_296:
                                        ; implicit-def: $sgpr0_sgpr1
	s_branch .LBB1189_120
	.section	.rodata,"a",@progbits
	.p2align	6, 0x0
	.amdhsa_kernel _ZN7rocprim17ROCPRIM_400000_NS6detail17trampoline_kernelINS0_14default_configENS1_27scan_by_key_config_selectorIiyEEZZNS1_16scan_by_key_implILNS1_25lookback_scan_determinismE0ELb0ES3_N6thrust23THRUST_200600_302600_NS6detail15normal_iteratorINS9_10device_ptrIiEEEENSB_INSC_IyEEEESG_yNS9_4plusIvEENS9_8equal_toIvEEyEE10hipError_tPvRmT2_T3_T4_T5_mT6_T7_P12ihipStream_tbENKUlT_T0_E_clISt17integral_constantIbLb1EES11_EEDaSW_SX_EUlSW_E_NS1_11comp_targetILNS1_3genE5ELNS1_11target_archE942ELNS1_3gpuE9ELNS1_3repE0EEENS1_30default_config_static_selectorELNS0_4arch9wavefront6targetE1EEEvT1_
		.amdhsa_group_segment_fixed_size 43008
		.amdhsa_private_segment_fixed_size 0
		.amdhsa_kernarg_size 136
		.amdhsa_user_sgpr_count 2
		.amdhsa_user_sgpr_dispatch_ptr 0
		.amdhsa_user_sgpr_queue_ptr 0
		.amdhsa_user_sgpr_kernarg_segment_ptr 1
		.amdhsa_user_sgpr_dispatch_id 0
		.amdhsa_user_sgpr_kernarg_preload_length 0
		.amdhsa_user_sgpr_kernarg_preload_offset 0
		.amdhsa_user_sgpr_private_segment_size 0
		.amdhsa_uses_dynamic_stack 0
		.amdhsa_enable_private_segment 0
		.amdhsa_system_sgpr_workgroup_id_x 1
		.amdhsa_system_sgpr_workgroup_id_y 0
		.amdhsa_system_sgpr_workgroup_id_z 0
		.amdhsa_system_sgpr_workgroup_info 0
		.amdhsa_system_vgpr_workitem_id 0
		.amdhsa_next_free_vgpr 132
		.amdhsa_next_free_sgpr 100
		.amdhsa_accum_offset 132
		.amdhsa_reserve_vcc 1
		.amdhsa_float_round_mode_32 0
		.amdhsa_float_round_mode_16_64 0
		.amdhsa_float_denorm_mode_32 3
		.amdhsa_float_denorm_mode_16_64 3
		.amdhsa_dx10_clamp 1
		.amdhsa_ieee_mode 1
		.amdhsa_fp16_overflow 0
		.amdhsa_tg_split 0
		.amdhsa_exception_fp_ieee_invalid_op 0
		.amdhsa_exception_fp_denorm_src 0
		.amdhsa_exception_fp_ieee_div_zero 0
		.amdhsa_exception_fp_ieee_overflow 0
		.amdhsa_exception_fp_ieee_underflow 0
		.amdhsa_exception_fp_ieee_inexact 0
		.amdhsa_exception_int_div_zero 0
	.end_amdhsa_kernel
	.section	.text._ZN7rocprim17ROCPRIM_400000_NS6detail17trampoline_kernelINS0_14default_configENS1_27scan_by_key_config_selectorIiyEEZZNS1_16scan_by_key_implILNS1_25lookback_scan_determinismE0ELb0ES3_N6thrust23THRUST_200600_302600_NS6detail15normal_iteratorINS9_10device_ptrIiEEEENSB_INSC_IyEEEESG_yNS9_4plusIvEENS9_8equal_toIvEEyEE10hipError_tPvRmT2_T3_T4_T5_mT6_T7_P12ihipStream_tbENKUlT_T0_E_clISt17integral_constantIbLb1EES11_EEDaSW_SX_EUlSW_E_NS1_11comp_targetILNS1_3genE5ELNS1_11target_archE942ELNS1_3gpuE9ELNS1_3repE0EEENS1_30default_config_static_selectorELNS0_4arch9wavefront6targetE1EEEvT1_,"axG",@progbits,_ZN7rocprim17ROCPRIM_400000_NS6detail17trampoline_kernelINS0_14default_configENS1_27scan_by_key_config_selectorIiyEEZZNS1_16scan_by_key_implILNS1_25lookback_scan_determinismE0ELb0ES3_N6thrust23THRUST_200600_302600_NS6detail15normal_iteratorINS9_10device_ptrIiEEEENSB_INSC_IyEEEESG_yNS9_4plusIvEENS9_8equal_toIvEEyEE10hipError_tPvRmT2_T3_T4_T5_mT6_T7_P12ihipStream_tbENKUlT_T0_E_clISt17integral_constantIbLb1EES11_EEDaSW_SX_EUlSW_E_NS1_11comp_targetILNS1_3genE5ELNS1_11target_archE942ELNS1_3gpuE9ELNS1_3repE0EEENS1_30default_config_static_selectorELNS0_4arch9wavefront6targetE1EEEvT1_,comdat
.Lfunc_end1189:
	.size	_ZN7rocprim17ROCPRIM_400000_NS6detail17trampoline_kernelINS0_14default_configENS1_27scan_by_key_config_selectorIiyEEZZNS1_16scan_by_key_implILNS1_25lookback_scan_determinismE0ELb0ES3_N6thrust23THRUST_200600_302600_NS6detail15normal_iteratorINS9_10device_ptrIiEEEENSB_INSC_IyEEEESG_yNS9_4plusIvEENS9_8equal_toIvEEyEE10hipError_tPvRmT2_T3_T4_T5_mT6_T7_P12ihipStream_tbENKUlT_T0_E_clISt17integral_constantIbLb1EES11_EEDaSW_SX_EUlSW_E_NS1_11comp_targetILNS1_3genE5ELNS1_11target_archE942ELNS1_3gpuE9ELNS1_3repE0EEENS1_30default_config_static_selectorELNS0_4arch9wavefront6targetE1EEEvT1_, .Lfunc_end1189-_ZN7rocprim17ROCPRIM_400000_NS6detail17trampoline_kernelINS0_14default_configENS1_27scan_by_key_config_selectorIiyEEZZNS1_16scan_by_key_implILNS1_25lookback_scan_determinismE0ELb0ES3_N6thrust23THRUST_200600_302600_NS6detail15normal_iteratorINS9_10device_ptrIiEEEENSB_INSC_IyEEEESG_yNS9_4plusIvEENS9_8equal_toIvEEyEE10hipError_tPvRmT2_T3_T4_T5_mT6_T7_P12ihipStream_tbENKUlT_T0_E_clISt17integral_constantIbLb1EES11_EEDaSW_SX_EUlSW_E_NS1_11comp_targetILNS1_3genE5ELNS1_11target_archE942ELNS1_3gpuE9ELNS1_3repE0EEENS1_30default_config_static_selectorELNS0_4arch9wavefront6targetE1EEEvT1_
                                        ; -- End function
	.section	.AMDGPU.csdata,"",@progbits
; Kernel info:
; codeLenInByte = 17748
; NumSgprs: 106
; NumVgprs: 132
; NumAgprs: 0
; TotalNumVgprs: 132
; ScratchSize: 0
; MemoryBound: 0
; FloatMode: 240
; IeeeMode: 1
; LDSByteSize: 43008 bytes/workgroup (compile time only)
; SGPRBlocks: 13
; VGPRBlocks: 16
; NumSGPRsForWavesPerEU: 106
; NumVGPRsForWavesPerEU: 132
; AccumOffset: 132
; Occupancy: 1
; WaveLimiterHint : 1
; COMPUTE_PGM_RSRC2:SCRATCH_EN: 0
; COMPUTE_PGM_RSRC2:USER_SGPR: 2
; COMPUTE_PGM_RSRC2:TRAP_HANDLER: 0
; COMPUTE_PGM_RSRC2:TGID_X_EN: 1
; COMPUTE_PGM_RSRC2:TGID_Y_EN: 0
; COMPUTE_PGM_RSRC2:TGID_Z_EN: 0
; COMPUTE_PGM_RSRC2:TIDIG_COMP_CNT: 0
; COMPUTE_PGM_RSRC3_GFX90A:ACCUM_OFFSET: 32
; COMPUTE_PGM_RSRC3_GFX90A:TG_SPLIT: 0
	.section	.text._ZN7rocprim17ROCPRIM_400000_NS6detail17trampoline_kernelINS0_14default_configENS1_27scan_by_key_config_selectorIiyEEZZNS1_16scan_by_key_implILNS1_25lookback_scan_determinismE0ELb0ES3_N6thrust23THRUST_200600_302600_NS6detail15normal_iteratorINS9_10device_ptrIiEEEENSB_INSC_IyEEEESG_yNS9_4plusIvEENS9_8equal_toIvEEyEE10hipError_tPvRmT2_T3_T4_T5_mT6_T7_P12ihipStream_tbENKUlT_T0_E_clISt17integral_constantIbLb1EES11_EEDaSW_SX_EUlSW_E_NS1_11comp_targetILNS1_3genE4ELNS1_11target_archE910ELNS1_3gpuE8ELNS1_3repE0EEENS1_30default_config_static_selectorELNS0_4arch9wavefront6targetE1EEEvT1_,"axG",@progbits,_ZN7rocprim17ROCPRIM_400000_NS6detail17trampoline_kernelINS0_14default_configENS1_27scan_by_key_config_selectorIiyEEZZNS1_16scan_by_key_implILNS1_25lookback_scan_determinismE0ELb0ES3_N6thrust23THRUST_200600_302600_NS6detail15normal_iteratorINS9_10device_ptrIiEEEENSB_INSC_IyEEEESG_yNS9_4plusIvEENS9_8equal_toIvEEyEE10hipError_tPvRmT2_T3_T4_T5_mT6_T7_P12ihipStream_tbENKUlT_T0_E_clISt17integral_constantIbLb1EES11_EEDaSW_SX_EUlSW_E_NS1_11comp_targetILNS1_3genE4ELNS1_11target_archE910ELNS1_3gpuE8ELNS1_3repE0EEENS1_30default_config_static_selectorELNS0_4arch9wavefront6targetE1EEEvT1_,comdat
	.protected	_ZN7rocprim17ROCPRIM_400000_NS6detail17trampoline_kernelINS0_14default_configENS1_27scan_by_key_config_selectorIiyEEZZNS1_16scan_by_key_implILNS1_25lookback_scan_determinismE0ELb0ES3_N6thrust23THRUST_200600_302600_NS6detail15normal_iteratorINS9_10device_ptrIiEEEENSB_INSC_IyEEEESG_yNS9_4plusIvEENS9_8equal_toIvEEyEE10hipError_tPvRmT2_T3_T4_T5_mT6_T7_P12ihipStream_tbENKUlT_T0_E_clISt17integral_constantIbLb1EES11_EEDaSW_SX_EUlSW_E_NS1_11comp_targetILNS1_3genE4ELNS1_11target_archE910ELNS1_3gpuE8ELNS1_3repE0EEENS1_30default_config_static_selectorELNS0_4arch9wavefront6targetE1EEEvT1_ ; -- Begin function _ZN7rocprim17ROCPRIM_400000_NS6detail17trampoline_kernelINS0_14default_configENS1_27scan_by_key_config_selectorIiyEEZZNS1_16scan_by_key_implILNS1_25lookback_scan_determinismE0ELb0ES3_N6thrust23THRUST_200600_302600_NS6detail15normal_iteratorINS9_10device_ptrIiEEEENSB_INSC_IyEEEESG_yNS9_4plusIvEENS9_8equal_toIvEEyEE10hipError_tPvRmT2_T3_T4_T5_mT6_T7_P12ihipStream_tbENKUlT_T0_E_clISt17integral_constantIbLb1EES11_EEDaSW_SX_EUlSW_E_NS1_11comp_targetILNS1_3genE4ELNS1_11target_archE910ELNS1_3gpuE8ELNS1_3repE0EEENS1_30default_config_static_selectorELNS0_4arch9wavefront6targetE1EEEvT1_
	.globl	_ZN7rocprim17ROCPRIM_400000_NS6detail17trampoline_kernelINS0_14default_configENS1_27scan_by_key_config_selectorIiyEEZZNS1_16scan_by_key_implILNS1_25lookback_scan_determinismE0ELb0ES3_N6thrust23THRUST_200600_302600_NS6detail15normal_iteratorINS9_10device_ptrIiEEEENSB_INSC_IyEEEESG_yNS9_4plusIvEENS9_8equal_toIvEEyEE10hipError_tPvRmT2_T3_T4_T5_mT6_T7_P12ihipStream_tbENKUlT_T0_E_clISt17integral_constantIbLb1EES11_EEDaSW_SX_EUlSW_E_NS1_11comp_targetILNS1_3genE4ELNS1_11target_archE910ELNS1_3gpuE8ELNS1_3repE0EEENS1_30default_config_static_selectorELNS0_4arch9wavefront6targetE1EEEvT1_
	.p2align	8
	.type	_ZN7rocprim17ROCPRIM_400000_NS6detail17trampoline_kernelINS0_14default_configENS1_27scan_by_key_config_selectorIiyEEZZNS1_16scan_by_key_implILNS1_25lookback_scan_determinismE0ELb0ES3_N6thrust23THRUST_200600_302600_NS6detail15normal_iteratorINS9_10device_ptrIiEEEENSB_INSC_IyEEEESG_yNS9_4plusIvEENS9_8equal_toIvEEyEE10hipError_tPvRmT2_T3_T4_T5_mT6_T7_P12ihipStream_tbENKUlT_T0_E_clISt17integral_constantIbLb1EES11_EEDaSW_SX_EUlSW_E_NS1_11comp_targetILNS1_3genE4ELNS1_11target_archE910ELNS1_3gpuE8ELNS1_3repE0EEENS1_30default_config_static_selectorELNS0_4arch9wavefront6targetE1EEEvT1_,@function
_ZN7rocprim17ROCPRIM_400000_NS6detail17trampoline_kernelINS0_14default_configENS1_27scan_by_key_config_selectorIiyEEZZNS1_16scan_by_key_implILNS1_25lookback_scan_determinismE0ELb0ES3_N6thrust23THRUST_200600_302600_NS6detail15normal_iteratorINS9_10device_ptrIiEEEENSB_INSC_IyEEEESG_yNS9_4plusIvEENS9_8equal_toIvEEyEE10hipError_tPvRmT2_T3_T4_T5_mT6_T7_P12ihipStream_tbENKUlT_T0_E_clISt17integral_constantIbLb1EES11_EEDaSW_SX_EUlSW_E_NS1_11comp_targetILNS1_3genE4ELNS1_11target_archE910ELNS1_3gpuE8ELNS1_3repE0EEENS1_30default_config_static_selectorELNS0_4arch9wavefront6targetE1EEEvT1_: ; @_ZN7rocprim17ROCPRIM_400000_NS6detail17trampoline_kernelINS0_14default_configENS1_27scan_by_key_config_selectorIiyEEZZNS1_16scan_by_key_implILNS1_25lookback_scan_determinismE0ELb0ES3_N6thrust23THRUST_200600_302600_NS6detail15normal_iteratorINS9_10device_ptrIiEEEENSB_INSC_IyEEEESG_yNS9_4plusIvEENS9_8equal_toIvEEyEE10hipError_tPvRmT2_T3_T4_T5_mT6_T7_P12ihipStream_tbENKUlT_T0_E_clISt17integral_constantIbLb1EES11_EEDaSW_SX_EUlSW_E_NS1_11comp_targetILNS1_3genE4ELNS1_11target_archE910ELNS1_3gpuE8ELNS1_3repE0EEENS1_30default_config_static_selectorELNS0_4arch9wavefront6targetE1EEEvT1_
; %bb.0:
	.section	.rodata,"a",@progbits
	.p2align	6, 0x0
	.amdhsa_kernel _ZN7rocprim17ROCPRIM_400000_NS6detail17trampoline_kernelINS0_14default_configENS1_27scan_by_key_config_selectorIiyEEZZNS1_16scan_by_key_implILNS1_25lookback_scan_determinismE0ELb0ES3_N6thrust23THRUST_200600_302600_NS6detail15normal_iteratorINS9_10device_ptrIiEEEENSB_INSC_IyEEEESG_yNS9_4plusIvEENS9_8equal_toIvEEyEE10hipError_tPvRmT2_T3_T4_T5_mT6_T7_P12ihipStream_tbENKUlT_T0_E_clISt17integral_constantIbLb1EES11_EEDaSW_SX_EUlSW_E_NS1_11comp_targetILNS1_3genE4ELNS1_11target_archE910ELNS1_3gpuE8ELNS1_3repE0EEENS1_30default_config_static_selectorELNS0_4arch9wavefront6targetE1EEEvT1_
		.amdhsa_group_segment_fixed_size 0
		.amdhsa_private_segment_fixed_size 0
		.amdhsa_kernarg_size 136
		.amdhsa_user_sgpr_count 2
		.amdhsa_user_sgpr_dispatch_ptr 0
		.amdhsa_user_sgpr_queue_ptr 0
		.amdhsa_user_sgpr_kernarg_segment_ptr 1
		.amdhsa_user_sgpr_dispatch_id 0
		.amdhsa_user_sgpr_kernarg_preload_length 0
		.amdhsa_user_sgpr_kernarg_preload_offset 0
		.amdhsa_user_sgpr_private_segment_size 0
		.amdhsa_uses_dynamic_stack 0
		.amdhsa_enable_private_segment 0
		.amdhsa_system_sgpr_workgroup_id_x 1
		.amdhsa_system_sgpr_workgroup_id_y 0
		.amdhsa_system_sgpr_workgroup_id_z 0
		.amdhsa_system_sgpr_workgroup_info 0
		.amdhsa_system_vgpr_workitem_id 0
		.amdhsa_next_free_vgpr 1
		.amdhsa_next_free_sgpr 0
		.amdhsa_accum_offset 4
		.amdhsa_reserve_vcc 0
		.amdhsa_float_round_mode_32 0
		.amdhsa_float_round_mode_16_64 0
		.amdhsa_float_denorm_mode_32 3
		.amdhsa_float_denorm_mode_16_64 3
		.amdhsa_dx10_clamp 1
		.amdhsa_ieee_mode 1
		.amdhsa_fp16_overflow 0
		.amdhsa_tg_split 0
		.amdhsa_exception_fp_ieee_invalid_op 0
		.amdhsa_exception_fp_denorm_src 0
		.amdhsa_exception_fp_ieee_div_zero 0
		.amdhsa_exception_fp_ieee_overflow 0
		.amdhsa_exception_fp_ieee_underflow 0
		.amdhsa_exception_fp_ieee_inexact 0
		.amdhsa_exception_int_div_zero 0
	.end_amdhsa_kernel
	.section	.text._ZN7rocprim17ROCPRIM_400000_NS6detail17trampoline_kernelINS0_14default_configENS1_27scan_by_key_config_selectorIiyEEZZNS1_16scan_by_key_implILNS1_25lookback_scan_determinismE0ELb0ES3_N6thrust23THRUST_200600_302600_NS6detail15normal_iteratorINS9_10device_ptrIiEEEENSB_INSC_IyEEEESG_yNS9_4plusIvEENS9_8equal_toIvEEyEE10hipError_tPvRmT2_T3_T4_T5_mT6_T7_P12ihipStream_tbENKUlT_T0_E_clISt17integral_constantIbLb1EES11_EEDaSW_SX_EUlSW_E_NS1_11comp_targetILNS1_3genE4ELNS1_11target_archE910ELNS1_3gpuE8ELNS1_3repE0EEENS1_30default_config_static_selectorELNS0_4arch9wavefront6targetE1EEEvT1_,"axG",@progbits,_ZN7rocprim17ROCPRIM_400000_NS6detail17trampoline_kernelINS0_14default_configENS1_27scan_by_key_config_selectorIiyEEZZNS1_16scan_by_key_implILNS1_25lookback_scan_determinismE0ELb0ES3_N6thrust23THRUST_200600_302600_NS6detail15normal_iteratorINS9_10device_ptrIiEEEENSB_INSC_IyEEEESG_yNS9_4plusIvEENS9_8equal_toIvEEyEE10hipError_tPvRmT2_T3_T4_T5_mT6_T7_P12ihipStream_tbENKUlT_T0_E_clISt17integral_constantIbLb1EES11_EEDaSW_SX_EUlSW_E_NS1_11comp_targetILNS1_3genE4ELNS1_11target_archE910ELNS1_3gpuE8ELNS1_3repE0EEENS1_30default_config_static_selectorELNS0_4arch9wavefront6targetE1EEEvT1_,comdat
.Lfunc_end1190:
	.size	_ZN7rocprim17ROCPRIM_400000_NS6detail17trampoline_kernelINS0_14default_configENS1_27scan_by_key_config_selectorIiyEEZZNS1_16scan_by_key_implILNS1_25lookback_scan_determinismE0ELb0ES3_N6thrust23THRUST_200600_302600_NS6detail15normal_iteratorINS9_10device_ptrIiEEEENSB_INSC_IyEEEESG_yNS9_4plusIvEENS9_8equal_toIvEEyEE10hipError_tPvRmT2_T3_T4_T5_mT6_T7_P12ihipStream_tbENKUlT_T0_E_clISt17integral_constantIbLb1EES11_EEDaSW_SX_EUlSW_E_NS1_11comp_targetILNS1_3genE4ELNS1_11target_archE910ELNS1_3gpuE8ELNS1_3repE0EEENS1_30default_config_static_selectorELNS0_4arch9wavefront6targetE1EEEvT1_, .Lfunc_end1190-_ZN7rocprim17ROCPRIM_400000_NS6detail17trampoline_kernelINS0_14default_configENS1_27scan_by_key_config_selectorIiyEEZZNS1_16scan_by_key_implILNS1_25lookback_scan_determinismE0ELb0ES3_N6thrust23THRUST_200600_302600_NS6detail15normal_iteratorINS9_10device_ptrIiEEEENSB_INSC_IyEEEESG_yNS9_4plusIvEENS9_8equal_toIvEEyEE10hipError_tPvRmT2_T3_T4_T5_mT6_T7_P12ihipStream_tbENKUlT_T0_E_clISt17integral_constantIbLb1EES11_EEDaSW_SX_EUlSW_E_NS1_11comp_targetILNS1_3genE4ELNS1_11target_archE910ELNS1_3gpuE8ELNS1_3repE0EEENS1_30default_config_static_selectorELNS0_4arch9wavefront6targetE1EEEvT1_
                                        ; -- End function
	.section	.AMDGPU.csdata,"",@progbits
; Kernel info:
; codeLenInByte = 0
; NumSgprs: 6
; NumVgprs: 0
; NumAgprs: 0
; TotalNumVgprs: 0
; ScratchSize: 0
; MemoryBound: 0
; FloatMode: 240
; IeeeMode: 1
; LDSByteSize: 0 bytes/workgroup (compile time only)
; SGPRBlocks: 0
; VGPRBlocks: 0
; NumSGPRsForWavesPerEU: 6
; NumVGPRsForWavesPerEU: 1
; AccumOffset: 4
; Occupancy: 8
; WaveLimiterHint : 0
; COMPUTE_PGM_RSRC2:SCRATCH_EN: 0
; COMPUTE_PGM_RSRC2:USER_SGPR: 2
; COMPUTE_PGM_RSRC2:TRAP_HANDLER: 0
; COMPUTE_PGM_RSRC2:TGID_X_EN: 1
; COMPUTE_PGM_RSRC2:TGID_Y_EN: 0
; COMPUTE_PGM_RSRC2:TGID_Z_EN: 0
; COMPUTE_PGM_RSRC2:TIDIG_COMP_CNT: 0
; COMPUTE_PGM_RSRC3_GFX90A:ACCUM_OFFSET: 0
; COMPUTE_PGM_RSRC3_GFX90A:TG_SPLIT: 0
	.section	.text._ZN7rocprim17ROCPRIM_400000_NS6detail17trampoline_kernelINS0_14default_configENS1_27scan_by_key_config_selectorIiyEEZZNS1_16scan_by_key_implILNS1_25lookback_scan_determinismE0ELb0ES3_N6thrust23THRUST_200600_302600_NS6detail15normal_iteratorINS9_10device_ptrIiEEEENSB_INSC_IyEEEESG_yNS9_4plusIvEENS9_8equal_toIvEEyEE10hipError_tPvRmT2_T3_T4_T5_mT6_T7_P12ihipStream_tbENKUlT_T0_E_clISt17integral_constantIbLb1EES11_EEDaSW_SX_EUlSW_E_NS1_11comp_targetILNS1_3genE3ELNS1_11target_archE908ELNS1_3gpuE7ELNS1_3repE0EEENS1_30default_config_static_selectorELNS0_4arch9wavefront6targetE1EEEvT1_,"axG",@progbits,_ZN7rocprim17ROCPRIM_400000_NS6detail17trampoline_kernelINS0_14default_configENS1_27scan_by_key_config_selectorIiyEEZZNS1_16scan_by_key_implILNS1_25lookback_scan_determinismE0ELb0ES3_N6thrust23THRUST_200600_302600_NS6detail15normal_iteratorINS9_10device_ptrIiEEEENSB_INSC_IyEEEESG_yNS9_4plusIvEENS9_8equal_toIvEEyEE10hipError_tPvRmT2_T3_T4_T5_mT6_T7_P12ihipStream_tbENKUlT_T0_E_clISt17integral_constantIbLb1EES11_EEDaSW_SX_EUlSW_E_NS1_11comp_targetILNS1_3genE3ELNS1_11target_archE908ELNS1_3gpuE7ELNS1_3repE0EEENS1_30default_config_static_selectorELNS0_4arch9wavefront6targetE1EEEvT1_,comdat
	.protected	_ZN7rocprim17ROCPRIM_400000_NS6detail17trampoline_kernelINS0_14default_configENS1_27scan_by_key_config_selectorIiyEEZZNS1_16scan_by_key_implILNS1_25lookback_scan_determinismE0ELb0ES3_N6thrust23THRUST_200600_302600_NS6detail15normal_iteratorINS9_10device_ptrIiEEEENSB_INSC_IyEEEESG_yNS9_4plusIvEENS9_8equal_toIvEEyEE10hipError_tPvRmT2_T3_T4_T5_mT6_T7_P12ihipStream_tbENKUlT_T0_E_clISt17integral_constantIbLb1EES11_EEDaSW_SX_EUlSW_E_NS1_11comp_targetILNS1_3genE3ELNS1_11target_archE908ELNS1_3gpuE7ELNS1_3repE0EEENS1_30default_config_static_selectorELNS0_4arch9wavefront6targetE1EEEvT1_ ; -- Begin function _ZN7rocprim17ROCPRIM_400000_NS6detail17trampoline_kernelINS0_14default_configENS1_27scan_by_key_config_selectorIiyEEZZNS1_16scan_by_key_implILNS1_25lookback_scan_determinismE0ELb0ES3_N6thrust23THRUST_200600_302600_NS6detail15normal_iteratorINS9_10device_ptrIiEEEENSB_INSC_IyEEEESG_yNS9_4plusIvEENS9_8equal_toIvEEyEE10hipError_tPvRmT2_T3_T4_T5_mT6_T7_P12ihipStream_tbENKUlT_T0_E_clISt17integral_constantIbLb1EES11_EEDaSW_SX_EUlSW_E_NS1_11comp_targetILNS1_3genE3ELNS1_11target_archE908ELNS1_3gpuE7ELNS1_3repE0EEENS1_30default_config_static_selectorELNS0_4arch9wavefront6targetE1EEEvT1_
	.globl	_ZN7rocprim17ROCPRIM_400000_NS6detail17trampoline_kernelINS0_14default_configENS1_27scan_by_key_config_selectorIiyEEZZNS1_16scan_by_key_implILNS1_25lookback_scan_determinismE0ELb0ES3_N6thrust23THRUST_200600_302600_NS6detail15normal_iteratorINS9_10device_ptrIiEEEENSB_INSC_IyEEEESG_yNS9_4plusIvEENS9_8equal_toIvEEyEE10hipError_tPvRmT2_T3_T4_T5_mT6_T7_P12ihipStream_tbENKUlT_T0_E_clISt17integral_constantIbLb1EES11_EEDaSW_SX_EUlSW_E_NS1_11comp_targetILNS1_3genE3ELNS1_11target_archE908ELNS1_3gpuE7ELNS1_3repE0EEENS1_30default_config_static_selectorELNS0_4arch9wavefront6targetE1EEEvT1_
	.p2align	8
	.type	_ZN7rocprim17ROCPRIM_400000_NS6detail17trampoline_kernelINS0_14default_configENS1_27scan_by_key_config_selectorIiyEEZZNS1_16scan_by_key_implILNS1_25lookback_scan_determinismE0ELb0ES3_N6thrust23THRUST_200600_302600_NS6detail15normal_iteratorINS9_10device_ptrIiEEEENSB_INSC_IyEEEESG_yNS9_4plusIvEENS9_8equal_toIvEEyEE10hipError_tPvRmT2_T3_T4_T5_mT6_T7_P12ihipStream_tbENKUlT_T0_E_clISt17integral_constantIbLb1EES11_EEDaSW_SX_EUlSW_E_NS1_11comp_targetILNS1_3genE3ELNS1_11target_archE908ELNS1_3gpuE7ELNS1_3repE0EEENS1_30default_config_static_selectorELNS0_4arch9wavefront6targetE1EEEvT1_,@function
_ZN7rocprim17ROCPRIM_400000_NS6detail17trampoline_kernelINS0_14default_configENS1_27scan_by_key_config_selectorIiyEEZZNS1_16scan_by_key_implILNS1_25lookback_scan_determinismE0ELb0ES3_N6thrust23THRUST_200600_302600_NS6detail15normal_iteratorINS9_10device_ptrIiEEEENSB_INSC_IyEEEESG_yNS9_4plusIvEENS9_8equal_toIvEEyEE10hipError_tPvRmT2_T3_T4_T5_mT6_T7_P12ihipStream_tbENKUlT_T0_E_clISt17integral_constantIbLb1EES11_EEDaSW_SX_EUlSW_E_NS1_11comp_targetILNS1_3genE3ELNS1_11target_archE908ELNS1_3gpuE7ELNS1_3repE0EEENS1_30default_config_static_selectorELNS0_4arch9wavefront6targetE1EEEvT1_: ; @_ZN7rocprim17ROCPRIM_400000_NS6detail17trampoline_kernelINS0_14default_configENS1_27scan_by_key_config_selectorIiyEEZZNS1_16scan_by_key_implILNS1_25lookback_scan_determinismE0ELb0ES3_N6thrust23THRUST_200600_302600_NS6detail15normal_iteratorINS9_10device_ptrIiEEEENSB_INSC_IyEEEESG_yNS9_4plusIvEENS9_8equal_toIvEEyEE10hipError_tPvRmT2_T3_T4_T5_mT6_T7_P12ihipStream_tbENKUlT_T0_E_clISt17integral_constantIbLb1EES11_EEDaSW_SX_EUlSW_E_NS1_11comp_targetILNS1_3genE3ELNS1_11target_archE908ELNS1_3gpuE7ELNS1_3repE0EEENS1_30default_config_static_selectorELNS0_4arch9wavefront6targetE1EEEvT1_
; %bb.0:
	.section	.rodata,"a",@progbits
	.p2align	6, 0x0
	.amdhsa_kernel _ZN7rocprim17ROCPRIM_400000_NS6detail17trampoline_kernelINS0_14default_configENS1_27scan_by_key_config_selectorIiyEEZZNS1_16scan_by_key_implILNS1_25lookback_scan_determinismE0ELb0ES3_N6thrust23THRUST_200600_302600_NS6detail15normal_iteratorINS9_10device_ptrIiEEEENSB_INSC_IyEEEESG_yNS9_4plusIvEENS9_8equal_toIvEEyEE10hipError_tPvRmT2_T3_T4_T5_mT6_T7_P12ihipStream_tbENKUlT_T0_E_clISt17integral_constantIbLb1EES11_EEDaSW_SX_EUlSW_E_NS1_11comp_targetILNS1_3genE3ELNS1_11target_archE908ELNS1_3gpuE7ELNS1_3repE0EEENS1_30default_config_static_selectorELNS0_4arch9wavefront6targetE1EEEvT1_
		.amdhsa_group_segment_fixed_size 0
		.amdhsa_private_segment_fixed_size 0
		.amdhsa_kernarg_size 136
		.amdhsa_user_sgpr_count 2
		.amdhsa_user_sgpr_dispatch_ptr 0
		.amdhsa_user_sgpr_queue_ptr 0
		.amdhsa_user_sgpr_kernarg_segment_ptr 1
		.amdhsa_user_sgpr_dispatch_id 0
		.amdhsa_user_sgpr_kernarg_preload_length 0
		.amdhsa_user_sgpr_kernarg_preload_offset 0
		.amdhsa_user_sgpr_private_segment_size 0
		.amdhsa_uses_dynamic_stack 0
		.amdhsa_enable_private_segment 0
		.amdhsa_system_sgpr_workgroup_id_x 1
		.amdhsa_system_sgpr_workgroup_id_y 0
		.amdhsa_system_sgpr_workgroup_id_z 0
		.amdhsa_system_sgpr_workgroup_info 0
		.amdhsa_system_vgpr_workitem_id 0
		.amdhsa_next_free_vgpr 1
		.amdhsa_next_free_sgpr 0
		.amdhsa_accum_offset 4
		.amdhsa_reserve_vcc 0
		.amdhsa_float_round_mode_32 0
		.amdhsa_float_round_mode_16_64 0
		.amdhsa_float_denorm_mode_32 3
		.amdhsa_float_denorm_mode_16_64 3
		.amdhsa_dx10_clamp 1
		.amdhsa_ieee_mode 1
		.amdhsa_fp16_overflow 0
		.amdhsa_tg_split 0
		.amdhsa_exception_fp_ieee_invalid_op 0
		.amdhsa_exception_fp_denorm_src 0
		.amdhsa_exception_fp_ieee_div_zero 0
		.amdhsa_exception_fp_ieee_overflow 0
		.amdhsa_exception_fp_ieee_underflow 0
		.amdhsa_exception_fp_ieee_inexact 0
		.amdhsa_exception_int_div_zero 0
	.end_amdhsa_kernel
	.section	.text._ZN7rocprim17ROCPRIM_400000_NS6detail17trampoline_kernelINS0_14default_configENS1_27scan_by_key_config_selectorIiyEEZZNS1_16scan_by_key_implILNS1_25lookback_scan_determinismE0ELb0ES3_N6thrust23THRUST_200600_302600_NS6detail15normal_iteratorINS9_10device_ptrIiEEEENSB_INSC_IyEEEESG_yNS9_4plusIvEENS9_8equal_toIvEEyEE10hipError_tPvRmT2_T3_T4_T5_mT6_T7_P12ihipStream_tbENKUlT_T0_E_clISt17integral_constantIbLb1EES11_EEDaSW_SX_EUlSW_E_NS1_11comp_targetILNS1_3genE3ELNS1_11target_archE908ELNS1_3gpuE7ELNS1_3repE0EEENS1_30default_config_static_selectorELNS0_4arch9wavefront6targetE1EEEvT1_,"axG",@progbits,_ZN7rocprim17ROCPRIM_400000_NS6detail17trampoline_kernelINS0_14default_configENS1_27scan_by_key_config_selectorIiyEEZZNS1_16scan_by_key_implILNS1_25lookback_scan_determinismE0ELb0ES3_N6thrust23THRUST_200600_302600_NS6detail15normal_iteratorINS9_10device_ptrIiEEEENSB_INSC_IyEEEESG_yNS9_4plusIvEENS9_8equal_toIvEEyEE10hipError_tPvRmT2_T3_T4_T5_mT6_T7_P12ihipStream_tbENKUlT_T0_E_clISt17integral_constantIbLb1EES11_EEDaSW_SX_EUlSW_E_NS1_11comp_targetILNS1_3genE3ELNS1_11target_archE908ELNS1_3gpuE7ELNS1_3repE0EEENS1_30default_config_static_selectorELNS0_4arch9wavefront6targetE1EEEvT1_,comdat
.Lfunc_end1191:
	.size	_ZN7rocprim17ROCPRIM_400000_NS6detail17trampoline_kernelINS0_14default_configENS1_27scan_by_key_config_selectorIiyEEZZNS1_16scan_by_key_implILNS1_25lookback_scan_determinismE0ELb0ES3_N6thrust23THRUST_200600_302600_NS6detail15normal_iteratorINS9_10device_ptrIiEEEENSB_INSC_IyEEEESG_yNS9_4plusIvEENS9_8equal_toIvEEyEE10hipError_tPvRmT2_T3_T4_T5_mT6_T7_P12ihipStream_tbENKUlT_T0_E_clISt17integral_constantIbLb1EES11_EEDaSW_SX_EUlSW_E_NS1_11comp_targetILNS1_3genE3ELNS1_11target_archE908ELNS1_3gpuE7ELNS1_3repE0EEENS1_30default_config_static_selectorELNS0_4arch9wavefront6targetE1EEEvT1_, .Lfunc_end1191-_ZN7rocprim17ROCPRIM_400000_NS6detail17trampoline_kernelINS0_14default_configENS1_27scan_by_key_config_selectorIiyEEZZNS1_16scan_by_key_implILNS1_25lookback_scan_determinismE0ELb0ES3_N6thrust23THRUST_200600_302600_NS6detail15normal_iteratorINS9_10device_ptrIiEEEENSB_INSC_IyEEEESG_yNS9_4plusIvEENS9_8equal_toIvEEyEE10hipError_tPvRmT2_T3_T4_T5_mT6_T7_P12ihipStream_tbENKUlT_T0_E_clISt17integral_constantIbLb1EES11_EEDaSW_SX_EUlSW_E_NS1_11comp_targetILNS1_3genE3ELNS1_11target_archE908ELNS1_3gpuE7ELNS1_3repE0EEENS1_30default_config_static_selectorELNS0_4arch9wavefront6targetE1EEEvT1_
                                        ; -- End function
	.section	.AMDGPU.csdata,"",@progbits
; Kernel info:
; codeLenInByte = 0
; NumSgprs: 6
; NumVgprs: 0
; NumAgprs: 0
; TotalNumVgprs: 0
; ScratchSize: 0
; MemoryBound: 0
; FloatMode: 240
; IeeeMode: 1
; LDSByteSize: 0 bytes/workgroup (compile time only)
; SGPRBlocks: 0
; VGPRBlocks: 0
; NumSGPRsForWavesPerEU: 6
; NumVGPRsForWavesPerEU: 1
; AccumOffset: 4
; Occupancy: 8
; WaveLimiterHint : 0
; COMPUTE_PGM_RSRC2:SCRATCH_EN: 0
; COMPUTE_PGM_RSRC2:USER_SGPR: 2
; COMPUTE_PGM_RSRC2:TRAP_HANDLER: 0
; COMPUTE_PGM_RSRC2:TGID_X_EN: 1
; COMPUTE_PGM_RSRC2:TGID_Y_EN: 0
; COMPUTE_PGM_RSRC2:TGID_Z_EN: 0
; COMPUTE_PGM_RSRC2:TIDIG_COMP_CNT: 0
; COMPUTE_PGM_RSRC3_GFX90A:ACCUM_OFFSET: 0
; COMPUTE_PGM_RSRC3_GFX90A:TG_SPLIT: 0
	.section	.text._ZN7rocprim17ROCPRIM_400000_NS6detail17trampoline_kernelINS0_14default_configENS1_27scan_by_key_config_selectorIiyEEZZNS1_16scan_by_key_implILNS1_25lookback_scan_determinismE0ELb0ES3_N6thrust23THRUST_200600_302600_NS6detail15normal_iteratorINS9_10device_ptrIiEEEENSB_INSC_IyEEEESG_yNS9_4plusIvEENS9_8equal_toIvEEyEE10hipError_tPvRmT2_T3_T4_T5_mT6_T7_P12ihipStream_tbENKUlT_T0_E_clISt17integral_constantIbLb1EES11_EEDaSW_SX_EUlSW_E_NS1_11comp_targetILNS1_3genE2ELNS1_11target_archE906ELNS1_3gpuE6ELNS1_3repE0EEENS1_30default_config_static_selectorELNS0_4arch9wavefront6targetE1EEEvT1_,"axG",@progbits,_ZN7rocprim17ROCPRIM_400000_NS6detail17trampoline_kernelINS0_14default_configENS1_27scan_by_key_config_selectorIiyEEZZNS1_16scan_by_key_implILNS1_25lookback_scan_determinismE0ELb0ES3_N6thrust23THRUST_200600_302600_NS6detail15normal_iteratorINS9_10device_ptrIiEEEENSB_INSC_IyEEEESG_yNS9_4plusIvEENS9_8equal_toIvEEyEE10hipError_tPvRmT2_T3_T4_T5_mT6_T7_P12ihipStream_tbENKUlT_T0_E_clISt17integral_constantIbLb1EES11_EEDaSW_SX_EUlSW_E_NS1_11comp_targetILNS1_3genE2ELNS1_11target_archE906ELNS1_3gpuE6ELNS1_3repE0EEENS1_30default_config_static_selectorELNS0_4arch9wavefront6targetE1EEEvT1_,comdat
	.protected	_ZN7rocprim17ROCPRIM_400000_NS6detail17trampoline_kernelINS0_14default_configENS1_27scan_by_key_config_selectorIiyEEZZNS1_16scan_by_key_implILNS1_25lookback_scan_determinismE0ELb0ES3_N6thrust23THRUST_200600_302600_NS6detail15normal_iteratorINS9_10device_ptrIiEEEENSB_INSC_IyEEEESG_yNS9_4plusIvEENS9_8equal_toIvEEyEE10hipError_tPvRmT2_T3_T4_T5_mT6_T7_P12ihipStream_tbENKUlT_T0_E_clISt17integral_constantIbLb1EES11_EEDaSW_SX_EUlSW_E_NS1_11comp_targetILNS1_3genE2ELNS1_11target_archE906ELNS1_3gpuE6ELNS1_3repE0EEENS1_30default_config_static_selectorELNS0_4arch9wavefront6targetE1EEEvT1_ ; -- Begin function _ZN7rocprim17ROCPRIM_400000_NS6detail17trampoline_kernelINS0_14default_configENS1_27scan_by_key_config_selectorIiyEEZZNS1_16scan_by_key_implILNS1_25lookback_scan_determinismE0ELb0ES3_N6thrust23THRUST_200600_302600_NS6detail15normal_iteratorINS9_10device_ptrIiEEEENSB_INSC_IyEEEESG_yNS9_4plusIvEENS9_8equal_toIvEEyEE10hipError_tPvRmT2_T3_T4_T5_mT6_T7_P12ihipStream_tbENKUlT_T0_E_clISt17integral_constantIbLb1EES11_EEDaSW_SX_EUlSW_E_NS1_11comp_targetILNS1_3genE2ELNS1_11target_archE906ELNS1_3gpuE6ELNS1_3repE0EEENS1_30default_config_static_selectorELNS0_4arch9wavefront6targetE1EEEvT1_
	.globl	_ZN7rocprim17ROCPRIM_400000_NS6detail17trampoline_kernelINS0_14default_configENS1_27scan_by_key_config_selectorIiyEEZZNS1_16scan_by_key_implILNS1_25lookback_scan_determinismE0ELb0ES3_N6thrust23THRUST_200600_302600_NS6detail15normal_iteratorINS9_10device_ptrIiEEEENSB_INSC_IyEEEESG_yNS9_4plusIvEENS9_8equal_toIvEEyEE10hipError_tPvRmT2_T3_T4_T5_mT6_T7_P12ihipStream_tbENKUlT_T0_E_clISt17integral_constantIbLb1EES11_EEDaSW_SX_EUlSW_E_NS1_11comp_targetILNS1_3genE2ELNS1_11target_archE906ELNS1_3gpuE6ELNS1_3repE0EEENS1_30default_config_static_selectorELNS0_4arch9wavefront6targetE1EEEvT1_
	.p2align	8
	.type	_ZN7rocprim17ROCPRIM_400000_NS6detail17trampoline_kernelINS0_14default_configENS1_27scan_by_key_config_selectorIiyEEZZNS1_16scan_by_key_implILNS1_25lookback_scan_determinismE0ELb0ES3_N6thrust23THRUST_200600_302600_NS6detail15normal_iteratorINS9_10device_ptrIiEEEENSB_INSC_IyEEEESG_yNS9_4plusIvEENS9_8equal_toIvEEyEE10hipError_tPvRmT2_T3_T4_T5_mT6_T7_P12ihipStream_tbENKUlT_T0_E_clISt17integral_constantIbLb1EES11_EEDaSW_SX_EUlSW_E_NS1_11comp_targetILNS1_3genE2ELNS1_11target_archE906ELNS1_3gpuE6ELNS1_3repE0EEENS1_30default_config_static_selectorELNS0_4arch9wavefront6targetE1EEEvT1_,@function
_ZN7rocprim17ROCPRIM_400000_NS6detail17trampoline_kernelINS0_14default_configENS1_27scan_by_key_config_selectorIiyEEZZNS1_16scan_by_key_implILNS1_25lookback_scan_determinismE0ELb0ES3_N6thrust23THRUST_200600_302600_NS6detail15normal_iteratorINS9_10device_ptrIiEEEENSB_INSC_IyEEEESG_yNS9_4plusIvEENS9_8equal_toIvEEyEE10hipError_tPvRmT2_T3_T4_T5_mT6_T7_P12ihipStream_tbENKUlT_T0_E_clISt17integral_constantIbLb1EES11_EEDaSW_SX_EUlSW_E_NS1_11comp_targetILNS1_3genE2ELNS1_11target_archE906ELNS1_3gpuE6ELNS1_3repE0EEENS1_30default_config_static_selectorELNS0_4arch9wavefront6targetE1EEEvT1_: ; @_ZN7rocprim17ROCPRIM_400000_NS6detail17trampoline_kernelINS0_14default_configENS1_27scan_by_key_config_selectorIiyEEZZNS1_16scan_by_key_implILNS1_25lookback_scan_determinismE0ELb0ES3_N6thrust23THRUST_200600_302600_NS6detail15normal_iteratorINS9_10device_ptrIiEEEENSB_INSC_IyEEEESG_yNS9_4plusIvEENS9_8equal_toIvEEyEE10hipError_tPvRmT2_T3_T4_T5_mT6_T7_P12ihipStream_tbENKUlT_T0_E_clISt17integral_constantIbLb1EES11_EEDaSW_SX_EUlSW_E_NS1_11comp_targetILNS1_3genE2ELNS1_11target_archE906ELNS1_3gpuE6ELNS1_3repE0EEENS1_30default_config_static_selectorELNS0_4arch9wavefront6targetE1EEEvT1_
; %bb.0:
	.section	.rodata,"a",@progbits
	.p2align	6, 0x0
	.amdhsa_kernel _ZN7rocprim17ROCPRIM_400000_NS6detail17trampoline_kernelINS0_14default_configENS1_27scan_by_key_config_selectorIiyEEZZNS1_16scan_by_key_implILNS1_25lookback_scan_determinismE0ELb0ES3_N6thrust23THRUST_200600_302600_NS6detail15normal_iteratorINS9_10device_ptrIiEEEENSB_INSC_IyEEEESG_yNS9_4plusIvEENS9_8equal_toIvEEyEE10hipError_tPvRmT2_T3_T4_T5_mT6_T7_P12ihipStream_tbENKUlT_T0_E_clISt17integral_constantIbLb1EES11_EEDaSW_SX_EUlSW_E_NS1_11comp_targetILNS1_3genE2ELNS1_11target_archE906ELNS1_3gpuE6ELNS1_3repE0EEENS1_30default_config_static_selectorELNS0_4arch9wavefront6targetE1EEEvT1_
		.amdhsa_group_segment_fixed_size 0
		.amdhsa_private_segment_fixed_size 0
		.amdhsa_kernarg_size 136
		.amdhsa_user_sgpr_count 2
		.amdhsa_user_sgpr_dispatch_ptr 0
		.amdhsa_user_sgpr_queue_ptr 0
		.amdhsa_user_sgpr_kernarg_segment_ptr 1
		.amdhsa_user_sgpr_dispatch_id 0
		.amdhsa_user_sgpr_kernarg_preload_length 0
		.amdhsa_user_sgpr_kernarg_preload_offset 0
		.amdhsa_user_sgpr_private_segment_size 0
		.amdhsa_uses_dynamic_stack 0
		.amdhsa_enable_private_segment 0
		.amdhsa_system_sgpr_workgroup_id_x 1
		.amdhsa_system_sgpr_workgroup_id_y 0
		.amdhsa_system_sgpr_workgroup_id_z 0
		.amdhsa_system_sgpr_workgroup_info 0
		.amdhsa_system_vgpr_workitem_id 0
		.amdhsa_next_free_vgpr 1
		.amdhsa_next_free_sgpr 0
		.amdhsa_accum_offset 4
		.amdhsa_reserve_vcc 0
		.amdhsa_float_round_mode_32 0
		.amdhsa_float_round_mode_16_64 0
		.amdhsa_float_denorm_mode_32 3
		.amdhsa_float_denorm_mode_16_64 3
		.amdhsa_dx10_clamp 1
		.amdhsa_ieee_mode 1
		.amdhsa_fp16_overflow 0
		.amdhsa_tg_split 0
		.amdhsa_exception_fp_ieee_invalid_op 0
		.amdhsa_exception_fp_denorm_src 0
		.amdhsa_exception_fp_ieee_div_zero 0
		.amdhsa_exception_fp_ieee_overflow 0
		.amdhsa_exception_fp_ieee_underflow 0
		.amdhsa_exception_fp_ieee_inexact 0
		.amdhsa_exception_int_div_zero 0
	.end_amdhsa_kernel
	.section	.text._ZN7rocprim17ROCPRIM_400000_NS6detail17trampoline_kernelINS0_14default_configENS1_27scan_by_key_config_selectorIiyEEZZNS1_16scan_by_key_implILNS1_25lookback_scan_determinismE0ELb0ES3_N6thrust23THRUST_200600_302600_NS6detail15normal_iteratorINS9_10device_ptrIiEEEENSB_INSC_IyEEEESG_yNS9_4plusIvEENS9_8equal_toIvEEyEE10hipError_tPvRmT2_T3_T4_T5_mT6_T7_P12ihipStream_tbENKUlT_T0_E_clISt17integral_constantIbLb1EES11_EEDaSW_SX_EUlSW_E_NS1_11comp_targetILNS1_3genE2ELNS1_11target_archE906ELNS1_3gpuE6ELNS1_3repE0EEENS1_30default_config_static_selectorELNS0_4arch9wavefront6targetE1EEEvT1_,"axG",@progbits,_ZN7rocprim17ROCPRIM_400000_NS6detail17trampoline_kernelINS0_14default_configENS1_27scan_by_key_config_selectorIiyEEZZNS1_16scan_by_key_implILNS1_25lookback_scan_determinismE0ELb0ES3_N6thrust23THRUST_200600_302600_NS6detail15normal_iteratorINS9_10device_ptrIiEEEENSB_INSC_IyEEEESG_yNS9_4plusIvEENS9_8equal_toIvEEyEE10hipError_tPvRmT2_T3_T4_T5_mT6_T7_P12ihipStream_tbENKUlT_T0_E_clISt17integral_constantIbLb1EES11_EEDaSW_SX_EUlSW_E_NS1_11comp_targetILNS1_3genE2ELNS1_11target_archE906ELNS1_3gpuE6ELNS1_3repE0EEENS1_30default_config_static_selectorELNS0_4arch9wavefront6targetE1EEEvT1_,comdat
.Lfunc_end1192:
	.size	_ZN7rocprim17ROCPRIM_400000_NS6detail17trampoline_kernelINS0_14default_configENS1_27scan_by_key_config_selectorIiyEEZZNS1_16scan_by_key_implILNS1_25lookback_scan_determinismE0ELb0ES3_N6thrust23THRUST_200600_302600_NS6detail15normal_iteratorINS9_10device_ptrIiEEEENSB_INSC_IyEEEESG_yNS9_4plusIvEENS9_8equal_toIvEEyEE10hipError_tPvRmT2_T3_T4_T5_mT6_T7_P12ihipStream_tbENKUlT_T0_E_clISt17integral_constantIbLb1EES11_EEDaSW_SX_EUlSW_E_NS1_11comp_targetILNS1_3genE2ELNS1_11target_archE906ELNS1_3gpuE6ELNS1_3repE0EEENS1_30default_config_static_selectorELNS0_4arch9wavefront6targetE1EEEvT1_, .Lfunc_end1192-_ZN7rocprim17ROCPRIM_400000_NS6detail17trampoline_kernelINS0_14default_configENS1_27scan_by_key_config_selectorIiyEEZZNS1_16scan_by_key_implILNS1_25lookback_scan_determinismE0ELb0ES3_N6thrust23THRUST_200600_302600_NS6detail15normal_iteratorINS9_10device_ptrIiEEEENSB_INSC_IyEEEESG_yNS9_4plusIvEENS9_8equal_toIvEEyEE10hipError_tPvRmT2_T3_T4_T5_mT6_T7_P12ihipStream_tbENKUlT_T0_E_clISt17integral_constantIbLb1EES11_EEDaSW_SX_EUlSW_E_NS1_11comp_targetILNS1_3genE2ELNS1_11target_archE906ELNS1_3gpuE6ELNS1_3repE0EEENS1_30default_config_static_selectorELNS0_4arch9wavefront6targetE1EEEvT1_
                                        ; -- End function
	.section	.AMDGPU.csdata,"",@progbits
; Kernel info:
; codeLenInByte = 0
; NumSgprs: 6
; NumVgprs: 0
; NumAgprs: 0
; TotalNumVgprs: 0
; ScratchSize: 0
; MemoryBound: 0
; FloatMode: 240
; IeeeMode: 1
; LDSByteSize: 0 bytes/workgroup (compile time only)
; SGPRBlocks: 0
; VGPRBlocks: 0
; NumSGPRsForWavesPerEU: 6
; NumVGPRsForWavesPerEU: 1
; AccumOffset: 4
; Occupancy: 8
; WaveLimiterHint : 0
; COMPUTE_PGM_RSRC2:SCRATCH_EN: 0
; COMPUTE_PGM_RSRC2:USER_SGPR: 2
; COMPUTE_PGM_RSRC2:TRAP_HANDLER: 0
; COMPUTE_PGM_RSRC2:TGID_X_EN: 1
; COMPUTE_PGM_RSRC2:TGID_Y_EN: 0
; COMPUTE_PGM_RSRC2:TGID_Z_EN: 0
; COMPUTE_PGM_RSRC2:TIDIG_COMP_CNT: 0
; COMPUTE_PGM_RSRC3_GFX90A:ACCUM_OFFSET: 0
; COMPUTE_PGM_RSRC3_GFX90A:TG_SPLIT: 0
	.section	.text._ZN7rocprim17ROCPRIM_400000_NS6detail17trampoline_kernelINS0_14default_configENS1_27scan_by_key_config_selectorIiyEEZZNS1_16scan_by_key_implILNS1_25lookback_scan_determinismE0ELb0ES3_N6thrust23THRUST_200600_302600_NS6detail15normal_iteratorINS9_10device_ptrIiEEEENSB_INSC_IyEEEESG_yNS9_4plusIvEENS9_8equal_toIvEEyEE10hipError_tPvRmT2_T3_T4_T5_mT6_T7_P12ihipStream_tbENKUlT_T0_E_clISt17integral_constantIbLb1EES11_EEDaSW_SX_EUlSW_E_NS1_11comp_targetILNS1_3genE10ELNS1_11target_archE1200ELNS1_3gpuE4ELNS1_3repE0EEENS1_30default_config_static_selectorELNS0_4arch9wavefront6targetE1EEEvT1_,"axG",@progbits,_ZN7rocprim17ROCPRIM_400000_NS6detail17trampoline_kernelINS0_14default_configENS1_27scan_by_key_config_selectorIiyEEZZNS1_16scan_by_key_implILNS1_25lookback_scan_determinismE0ELb0ES3_N6thrust23THRUST_200600_302600_NS6detail15normal_iteratorINS9_10device_ptrIiEEEENSB_INSC_IyEEEESG_yNS9_4plusIvEENS9_8equal_toIvEEyEE10hipError_tPvRmT2_T3_T4_T5_mT6_T7_P12ihipStream_tbENKUlT_T0_E_clISt17integral_constantIbLb1EES11_EEDaSW_SX_EUlSW_E_NS1_11comp_targetILNS1_3genE10ELNS1_11target_archE1200ELNS1_3gpuE4ELNS1_3repE0EEENS1_30default_config_static_selectorELNS0_4arch9wavefront6targetE1EEEvT1_,comdat
	.protected	_ZN7rocprim17ROCPRIM_400000_NS6detail17trampoline_kernelINS0_14default_configENS1_27scan_by_key_config_selectorIiyEEZZNS1_16scan_by_key_implILNS1_25lookback_scan_determinismE0ELb0ES3_N6thrust23THRUST_200600_302600_NS6detail15normal_iteratorINS9_10device_ptrIiEEEENSB_INSC_IyEEEESG_yNS9_4plusIvEENS9_8equal_toIvEEyEE10hipError_tPvRmT2_T3_T4_T5_mT6_T7_P12ihipStream_tbENKUlT_T0_E_clISt17integral_constantIbLb1EES11_EEDaSW_SX_EUlSW_E_NS1_11comp_targetILNS1_3genE10ELNS1_11target_archE1200ELNS1_3gpuE4ELNS1_3repE0EEENS1_30default_config_static_selectorELNS0_4arch9wavefront6targetE1EEEvT1_ ; -- Begin function _ZN7rocprim17ROCPRIM_400000_NS6detail17trampoline_kernelINS0_14default_configENS1_27scan_by_key_config_selectorIiyEEZZNS1_16scan_by_key_implILNS1_25lookback_scan_determinismE0ELb0ES3_N6thrust23THRUST_200600_302600_NS6detail15normal_iteratorINS9_10device_ptrIiEEEENSB_INSC_IyEEEESG_yNS9_4plusIvEENS9_8equal_toIvEEyEE10hipError_tPvRmT2_T3_T4_T5_mT6_T7_P12ihipStream_tbENKUlT_T0_E_clISt17integral_constantIbLb1EES11_EEDaSW_SX_EUlSW_E_NS1_11comp_targetILNS1_3genE10ELNS1_11target_archE1200ELNS1_3gpuE4ELNS1_3repE0EEENS1_30default_config_static_selectorELNS0_4arch9wavefront6targetE1EEEvT1_
	.globl	_ZN7rocprim17ROCPRIM_400000_NS6detail17trampoline_kernelINS0_14default_configENS1_27scan_by_key_config_selectorIiyEEZZNS1_16scan_by_key_implILNS1_25lookback_scan_determinismE0ELb0ES3_N6thrust23THRUST_200600_302600_NS6detail15normal_iteratorINS9_10device_ptrIiEEEENSB_INSC_IyEEEESG_yNS9_4plusIvEENS9_8equal_toIvEEyEE10hipError_tPvRmT2_T3_T4_T5_mT6_T7_P12ihipStream_tbENKUlT_T0_E_clISt17integral_constantIbLb1EES11_EEDaSW_SX_EUlSW_E_NS1_11comp_targetILNS1_3genE10ELNS1_11target_archE1200ELNS1_3gpuE4ELNS1_3repE0EEENS1_30default_config_static_selectorELNS0_4arch9wavefront6targetE1EEEvT1_
	.p2align	8
	.type	_ZN7rocprim17ROCPRIM_400000_NS6detail17trampoline_kernelINS0_14default_configENS1_27scan_by_key_config_selectorIiyEEZZNS1_16scan_by_key_implILNS1_25lookback_scan_determinismE0ELb0ES3_N6thrust23THRUST_200600_302600_NS6detail15normal_iteratorINS9_10device_ptrIiEEEENSB_INSC_IyEEEESG_yNS9_4plusIvEENS9_8equal_toIvEEyEE10hipError_tPvRmT2_T3_T4_T5_mT6_T7_P12ihipStream_tbENKUlT_T0_E_clISt17integral_constantIbLb1EES11_EEDaSW_SX_EUlSW_E_NS1_11comp_targetILNS1_3genE10ELNS1_11target_archE1200ELNS1_3gpuE4ELNS1_3repE0EEENS1_30default_config_static_selectorELNS0_4arch9wavefront6targetE1EEEvT1_,@function
_ZN7rocprim17ROCPRIM_400000_NS6detail17trampoline_kernelINS0_14default_configENS1_27scan_by_key_config_selectorIiyEEZZNS1_16scan_by_key_implILNS1_25lookback_scan_determinismE0ELb0ES3_N6thrust23THRUST_200600_302600_NS6detail15normal_iteratorINS9_10device_ptrIiEEEENSB_INSC_IyEEEESG_yNS9_4plusIvEENS9_8equal_toIvEEyEE10hipError_tPvRmT2_T3_T4_T5_mT6_T7_P12ihipStream_tbENKUlT_T0_E_clISt17integral_constantIbLb1EES11_EEDaSW_SX_EUlSW_E_NS1_11comp_targetILNS1_3genE10ELNS1_11target_archE1200ELNS1_3gpuE4ELNS1_3repE0EEENS1_30default_config_static_selectorELNS0_4arch9wavefront6targetE1EEEvT1_: ; @_ZN7rocprim17ROCPRIM_400000_NS6detail17trampoline_kernelINS0_14default_configENS1_27scan_by_key_config_selectorIiyEEZZNS1_16scan_by_key_implILNS1_25lookback_scan_determinismE0ELb0ES3_N6thrust23THRUST_200600_302600_NS6detail15normal_iteratorINS9_10device_ptrIiEEEENSB_INSC_IyEEEESG_yNS9_4plusIvEENS9_8equal_toIvEEyEE10hipError_tPvRmT2_T3_T4_T5_mT6_T7_P12ihipStream_tbENKUlT_T0_E_clISt17integral_constantIbLb1EES11_EEDaSW_SX_EUlSW_E_NS1_11comp_targetILNS1_3genE10ELNS1_11target_archE1200ELNS1_3gpuE4ELNS1_3repE0EEENS1_30default_config_static_selectorELNS0_4arch9wavefront6targetE1EEEvT1_
; %bb.0:
	.section	.rodata,"a",@progbits
	.p2align	6, 0x0
	.amdhsa_kernel _ZN7rocprim17ROCPRIM_400000_NS6detail17trampoline_kernelINS0_14default_configENS1_27scan_by_key_config_selectorIiyEEZZNS1_16scan_by_key_implILNS1_25lookback_scan_determinismE0ELb0ES3_N6thrust23THRUST_200600_302600_NS6detail15normal_iteratorINS9_10device_ptrIiEEEENSB_INSC_IyEEEESG_yNS9_4plusIvEENS9_8equal_toIvEEyEE10hipError_tPvRmT2_T3_T4_T5_mT6_T7_P12ihipStream_tbENKUlT_T0_E_clISt17integral_constantIbLb1EES11_EEDaSW_SX_EUlSW_E_NS1_11comp_targetILNS1_3genE10ELNS1_11target_archE1200ELNS1_3gpuE4ELNS1_3repE0EEENS1_30default_config_static_selectorELNS0_4arch9wavefront6targetE1EEEvT1_
		.amdhsa_group_segment_fixed_size 0
		.amdhsa_private_segment_fixed_size 0
		.amdhsa_kernarg_size 136
		.amdhsa_user_sgpr_count 2
		.amdhsa_user_sgpr_dispatch_ptr 0
		.amdhsa_user_sgpr_queue_ptr 0
		.amdhsa_user_sgpr_kernarg_segment_ptr 1
		.amdhsa_user_sgpr_dispatch_id 0
		.amdhsa_user_sgpr_kernarg_preload_length 0
		.amdhsa_user_sgpr_kernarg_preload_offset 0
		.amdhsa_user_sgpr_private_segment_size 0
		.amdhsa_uses_dynamic_stack 0
		.amdhsa_enable_private_segment 0
		.amdhsa_system_sgpr_workgroup_id_x 1
		.amdhsa_system_sgpr_workgroup_id_y 0
		.amdhsa_system_sgpr_workgroup_id_z 0
		.amdhsa_system_sgpr_workgroup_info 0
		.amdhsa_system_vgpr_workitem_id 0
		.amdhsa_next_free_vgpr 1
		.amdhsa_next_free_sgpr 0
		.amdhsa_accum_offset 4
		.amdhsa_reserve_vcc 0
		.amdhsa_float_round_mode_32 0
		.amdhsa_float_round_mode_16_64 0
		.amdhsa_float_denorm_mode_32 3
		.amdhsa_float_denorm_mode_16_64 3
		.amdhsa_dx10_clamp 1
		.amdhsa_ieee_mode 1
		.amdhsa_fp16_overflow 0
		.amdhsa_tg_split 0
		.amdhsa_exception_fp_ieee_invalid_op 0
		.amdhsa_exception_fp_denorm_src 0
		.amdhsa_exception_fp_ieee_div_zero 0
		.amdhsa_exception_fp_ieee_overflow 0
		.amdhsa_exception_fp_ieee_underflow 0
		.amdhsa_exception_fp_ieee_inexact 0
		.amdhsa_exception_int_div_zero 0
	.end_amdhsa_kernel
	.section	.text._ZN7rocprim17ROCPRIM_400000_NS6detail17trampoline_kernelINS0_14default_configENS1_27scan_by_key_config_selectorIiyEEZZNS1_16scan_by_key_implILNS1_25lookback_scan_determinismE0ELb0ES3_N6thrust23THRUST_200600_302600_NS6detail15normal_iteratorINS9_10device_ptrIiEEEENSB_INSC_IyEEEESG_yNS9_4plusIvEENS9_8equal_toIvEEyEE10hipError_tPvRmT2_T3_T4_T5_mT6_T7_P12ihipStream_tbENKUlT_T0_E_clISt17integral_constantIbLb1EES11_EEDaSW_SX_EUlSW_E_NS1_11comp_targetILNS1_3genE10ELNS1_11target_archE1200ELNS1_3gpuE4ELNS1_3repE0EEENS1_30default_config_static_selectorELNS0_4arch9wavefront6targetE1EEEvT1_,"axG",@progbits,_ZN7rocprim17ROCPRIM_400000_NS6detail17trampoline_kernelINS0_14default_configENS1_27scan_by_key_config_selectorIiyEEZZNS1_16scan_by_key_implILNS1_25lookback_scan_determinismE0ELb0ES3_N6thrust23THRUST_200600_302600_NS6detail15normal_iteratorINS9_10device_ptrIiEEEENSB_INSC_IyEEEESG_yNS9_4plusIvEENS9_8equal_toIvEEyEE10hipError_tPvRmT2_T3_T4_T5_mT6_T7_P12ihipStream_tbENKUlT_T0_E_clISt17integral_constantIbLb1EES11_EEDaSW_SX_EUlSW_E_NS1_11comp_targetILNS1_3genE10ELNS1_11target_archE1200ELNS1_3gpuE4ELNS1_3repE0EEENS1_30default_config_static_selectorELNS0_4arch9wavefront6targetE1EEEvT1_,comdat
.Lfunc_end1193:
	.size	_ZN7rocprim17ROCPRIM_400000_NS6detail17trampoline_kernelINS0_14default_configENS1_27scan_by_key_config_selectorIiyEEZZNS1_16scan_by_key_implILNS1_25lookback_scan_determinismE0ELb0ES3_N6thrust23THRUST_200600_302600_NS6detail15normal_iteratorINS9_10device_ptrIiEEEENSB_INSC_IyEEEESG_yNS9_4plusIvEENS9_8equal_toIvEEyEE10hipError_tPvRmT2_T3_T4_T5_mT6_T7_P12ihipStream_tbENKUlT_T0_E_clISt17integral_constantIbLb1EES11_EEDaSW_SX_EUlSW_E_NS1_11comp_targetILNS1_3genE10ELNS1_11target_archE1200ELNS1_3gpuE4ELNS1_3repE0EEENS1_30default_config_static_selectorELNS0_4arch9wavefront6targetE1EEEvT1_, .Lfunc_end1193-_ZN7rocprim17ROCPRIM_400000_NS6detail17trampoline_kernelINS0_14default_configENS1_27scan_by_key_config_selectorIiyEEZZNS1_16scan_by_key_implILNS1_25lookback_scan_determinismE0ELb0ES3_N6thrust23THRUST_200600_302600_NS6detail15normal_iteratorINS9_10device_ptrIiEEEENSB_INSC_IyEEEESG_yNS9_4plusIvEENS9_8equal_toIvEEyEE10hipError_tPvRmT2_T3_T4_T5_mT6_T7_P12ihipStream_tbENKUlT_T0_E_clISt17integral_constantIbLb1EES11_EEDaSW_SX_EUlSW_E_NS1_11comp_targetILNS1_3genE10ELNS1_11target_archE1200ELNS1_3gpuE4ELNS1_3repE0EEENS1_30default_config_static_selectorELNS0_4arch9wavefront6targetE1EEEvT1_
                                        ; -- End function
	.section	.AMDGPU.csdata,"",@progbits
; Kernel info:
; codeLenInByte = 0
; NumSgprs: 6
; NumVgprs: 0
; NumAgprs: 0
; TotalNumVgprs: 0
; ScratchSize: 0
; MemoryBound: 0
; FloatMode: 240
; IeeeMode: 1
; LDSByteSize: 0 bytes/workgroup (compile time only)
; SGPRBlocks: 0
; VGPRBlocks: 0
; NumSGPRsForWavesPerEU: 6
; NumVGPRsForWavesPerEU: 1
; AccumOffset: 4
; Occupancy: 8
; WaveLimiterHint : 0
; COMPUTE_PGM_RSRC2:SCRATCH_EN: 0
; COMPUTE_PGM_RSRC2:USER_SGPR: 2
; COMPUTE_PGM_RSRC2:TRAP_HANDLER: 0
; COMPUTE_PGM_RSRC2:TGID_X_EN: 1
; COMPUTE_PGM_RSRC2:TGID_Y_EN: 0
; COMPUTE_PGM_RSRC2:TGID_Z_EN: 0
; COMPUTE_PGM_RSRC2:TIDIG_COMP_CNT: 0
; COMPUTE_PGM_RSRC3_GFX90A:ACCUM_OFFSET: 0
; COMPUTE_PGM_RSRC3_GFX90A:TG_SPLIT: 0
	.section	.text._ZN7rocprim17ROCPRIM_400000_NS6detail17trampoline_kernelINS0_14default_configENS1_27scan_by_key_config_selectorIiyEEZZNS1_16scan_by_key_implILNS1_25lookback_scan_determinismE0ELb0ES3_N6thrust23THRUST_200600_302600_NS6detail15normal_iteratorINS9_10device_ptrIiEEEENSB_INSC_IyEEEESG_yNS9_4plusIvEENS9_8equal_toIvEEyEE10hipError_tPvRmT2_T3_T4_T5_mT6_T7_P12ihipStream_tbENKUlT_T0_E_clISt17integral_constantIbLb1EES11_EEDaSW_SX_EUlSW_E_NS1_11comp_targetILNS1_3genE9ELNS1_11target_archE1100ELNS1_3gpuE3ELNS1_3repE0EEENS1_30default_config_static_selectorELNS0_4arch9wavefront6targetE1EEEvT1_,"axG",@progbits,_ZN7rocprim17ROCPRIM_400000_NS6detail17trampoline_kernelINS0_14default_configENS1_27scan_by_key_config_selectorIiyEEZZNS1_16scan_by_key_implILNS1_25lookback_scan_determinismE0ELb0ES3_N6thrust23THRUST_200600_302600_NS6detail15normal_iteratorINS9_10device_ptrIiEEEENSB_INSC_IyEEEESG_yNS9_4plusIvEENS9_8equal_toIvEEyEE10hipError_tPvRmT2_T3_T4_T5_mT6_T7_P12ihipStream_tbENKUlT_T0_E_clISt17integral_constantIbLb1EES11_EEDaSW_SX_EUlSW_E_NS1_11comp_targetILNS1_3genE9ELNS1_11target_archE1100ELNS1_3gpuE3ELNS1_3repE0EEENS1_30default_config_static_selectorELNS0_4arch9wavefront6targetE1EEEvT1_,comdat
	.protected	_ZN7rocprim17ROCPRIM_400000_NS6detail17trampoline_kernelINS0_14default_configENS1_27scan_by_key_config_selectorIiyEEZZNS1_16scan_by_key_implILNS1_25lookback_scan_determinismE0ELb0ES3_N6thrust23THRUST_200600_302600_NS6detail15normal_iteratorINS9_10device_ptrIiEEEENSB_INSC_IyEEEESG_yNS9_4plusIvEENS9_8equal_toIvEEyEE10hipError_tPvRmT2_T3_T4_T5_mT6_T7_P12ihipStream_tbENKUlT_T0_E_clISt17integral_constantIbLb1EES11_EEDaSW_SX_EUlSW_E_NS1_11comp_targetILNS1_3genE9ELNS1_11target_archE1100ELNS1_3gpuE3ELNS1_3repE0EEENS1_30default_config_static_selectorELNS0_4arch9wavefront6targetE1EEEvT1_ ; -- Begin function _ZN7rocprim17ROCPRIM_400000_NS6detail17trampoline_kernelINS0_14default_configENS1_27scan_by_key_config_selectorIiyEEZZNS1_16scan_by_key_implILNS1_25lookback_scan_determinismE0ELb0ES3_N6thrust23THRUST_200600_302600_NS6detail15normal_iteratorINS9_10device_ptrIiEEEENSB_INSC_IyEEEESG_yNS9_4plusIvEENS9_8equal_toIvEEyEE10hipError_tPvRmT2_T3_T4_T5_mT6_T7_P12ihipStream_tbENKUlT_T0_E_clISt17integral_constantIbLb1EES11_EEDaSW_SX_EUlSW_E_NS1_11comp_targetILNS1_3genE9ELNS1_11target_archE1100ELNS1_3gpuE3ELNS1_3repE0EEENS1_30default_config_static_selectorELNS0_4arch9wavefront6targetE1EEEvT1_
	.globl	_ZN7rocprim17ROCPRIM_400000_NS6detail17trampoline_kernelINS0_14default_configENS1_27scan_by_key_config_selectorIiyEEZZNS1_16scan_by_key_implILNS1_25lookback_scan_determinismE0ELb0ES3_N6thrust23THRUST_200600_302600_NS6detail15normal_iteratorINS9_10device_ptrIiEEEENSB_INSC_IyEEEESG_yNS9_4plusIvEENS9_8equal_toIvEEyEE10hipError_tPvRmT2_T3_T4_T5_mT6_T7_P12ihipStream_tbENKUlT_T0_E_clISt17integral_constantIbLb1EES11_EEDaSW_SX_EUlSW_E_NS1_11comp_targetILNS1_3genE9ELNS1_11target_archE1100ELNS1_3gpuE3ELNS1_3repE0EEENS1_30default_config_static_selectorELNS0_4arch9wavefront6targetE1EEEvT1_
	.p2align	8
	.type	_ZN7rocprim17ROCPRIM_400000_NS6detail17trampoline_kernelINS0_14default_configENS1_27scan_by_key_config_selectorIiyEEZZNS1_16scan_by_key_implILNS1_25lookback_scan_determinismE0ELb0ES3_N6thrust23THRUST_200600_302600_NS6detail15normal_iteratorINS9_10device_ptrIiEEEENSB_INSC_IyEEEESG_yNS9_4plusIvEENS9_8equal_toIvEEyEE10hipError_tPvRmT2_T3_T4_T5_mT6_T7_P12ihipStream_tbENKUlT_T0_E_clISt17integral_constantIbLb1EES11_EEDaSW_SX_EUlSW_E_NS1_11comp_targetILNS1_3genE9ELNS1_11target_archE1100ELNS1_3gpuE3ELNS1_3repE0EEENS1_30default_config_static_selectorELNS0_4arch9wavefront6targetE1EEEvT1_,@function
_ZN7rocprim17ROCPRIM_400000_NS6detail17trampoline_kernelINS0_14default_configENS1_27scan_by_key_config_selectorIiyEEZZNS1_16scan_by_key_implILNS1_25lookback_scan_determinismE0ELb0ES3_N6thrust23THRUST_200600_302600_NS6detail15normal_iteratorINS9_10device_ptrIiEEEENSB_INSC_IyEEEESG_yNS9_4plusIvEENS9_8equal_toIvEEyEE10hipError_tPvRmT2_T3_T4_T5_mT6_T7_P12ihipStream_tbENKUlT_T0_E_clISt17integral_constantIbLb1EES11_EEDaSW_SX_EUlSW_E_NS1_11comp_targetILNS1_3genE9ELNS1_11target_archE1100ELNS1_3gpuE3ELNS1_3repE0EEENS1_30default_config_static_selectorELNS0_4arch9wavefront6targetE1EEEvT1_: ; @_ZN7rocprim17ROCPRIM_400000_NS6detail17trampoline_kernelINS0_14default_configENS1_27scan_by_key_config_selectorIiyEEZZNS1_16scan_by_key_implILNS1_25lookback_scan_determinismE0ELb0ES3_N6thrust23THRUST_200600_302600_NS6detail15normal_iteratorINS9_10device_ptrIiEEEENSB_INSC_IyEEEESG_yNS9_4plusIvEENS9_8equal_toIvEEyEE10hipError_tPvRmT2_T3_T4_T5_mT6_T7_P12ihipStream_tbENKUlT_T0_E_clISt17integral_constantIbLb1EES11_EEDaSW_SX_EUlSW_E_NS1_11comp_targetILNS1_3genE9ELNS1_11target_archE1100ELNS1_3gpuE3ELNS1_3repE0EEENS1_30default_config_static_selectorELNS0_4arch9wavefront6targetE1EEEvT1_
; %bb.0:
	.section	.rodata,"a",@progbits
	.p2align	6, 0x0
	.amdhsa_kernel _ZN7rocprim17ROCPRIM_400000_NS6detail17trampoline_kernelINS0_14default_configENS1_27scan_by_key_config_selectorIiyEEZZNS1_16scan_by_key_implILNS1_25lookback_scan_determinismE0ELb0ES3_N6thrust23THRUST_200600_302600_NS6detail15normal_iteratorINS9_10device_ptrIiEEEENSB_INSC_IyEEEESG_yNS9_4plusIvEENS9_8equal_toIvEEyEE10hipError_tPvRmT2_T3_T4_T5_mT6_T7_P12ihipStream_tbENKUlT_T0_E_clISt17integral_constantIbLb1EES11_EEDaSW_SX_EUlSW_E_NS1_11comp_targetILNS1_3genE9ELNS1_11target_archE1100ELNS1_3gpuE3ELNS1_3repE0EEENS1_30default_config_static_selectorELNS0_4arch9wavefront6targetE1EEEvT1_
		.amdhsa_group_segment_fixed_size 0
		.amdhsa_private_segment_fixed_size 0
		.amdhsa_kernarg_size 136
		.amdhsa_user_sgpr_count 2
		.amdhsa_user_sgpr_dispatch_ptr 0
		.amdhsa_user_sgpr_queue_ptr 0
		.amdhsa_user_sgpr_kernarg_segment_ptr 1
		.amdhsa_user_sgpr_dispatch_id 0
		.amdhsa_user_sgpr_kernarg_preload_length 0
		.amdhsa_user_sgpr_kernarg_preload_offset 0
		.amdhsa_user_sgpr_private_segment_size 0
		.amdhsa_uses_dynamic_stack 0
		.amdhsa_enable_private_segment 0
		.amdhsa_system_sgpr_workgroup_id_x 1
		.amdhsa_system_sgpr_workgroup_id_y 0
		.amdhsa_system_sgpr_workgroup_id_z 0
		.amdhsa_system_sgpr_workgroup_info 0
		.amdhsa_system_vgpr_workitem_id 0
		.amdhsa_next_free_vgpr 1
		.amdhsa_next_free_sgpr 0
		.amdhsa_accum_offset 4
		.amdhsa_reserve_vcc 0
		.amdhsa_float_round_mode_32 0
		.amdhsa_float_round_mode_16_64 0
		.amdhsa_float_denorm_mode_32 3
		.amdhsa_float_denorm_mode_16_64 3
		.amdhsa_dx10_clamp 1
		.amdhsa_ieee_mode 1
		.amdhsa_fp16_overflow 0
		.amdhsa_tg_split 0
		.amdhsa_exception_fp_ieee_invalid_op 0
		.amdhsa_exception_fp_denorm_src 0
		.amdhsa_exception_fp_ieee_div_zero 0
		.amdhsa_exception_fp_ieee_overflow 0
		.amdhsa_exception_fp_ieee_underflow 0
		.amdhsa_exception_fp_ieee_inexact 0
		.amdhsa_exception_int_div_zero 0
	.end_amdhsa_kernel
	.section	.text._ZN7rocprim17ROCPRIM_400000_NS6detail17trampoline_kernelINS0_14default_configENS1_27scan_by_key_config_selectorIiyEEZZNS1_16scan_by_key_implILNS1_25lookback_scan_determinismE0ELb0ES3_N6thrust23THRUST_200600_302600_NS6detail15normal_iteratorINS9_10device_ptrIiEEEENSB_INSC_IyEEEESG_yNS9_4plusIvEENS9_8equal_toIvEEyEE10hipError_tPvRmT2_T3_T4_T5_mT6_T7_P12ihipStream_tbENKUlT_T0_E_clISt17integral_constantIbLb1EES11_EEDaSW_SX_EUlSW_E_NS1_11comp_targetILNS1_3genE9ELNS1_11target_archE1100ELNS1_3gpuE3ELNS1_3repE0EEENS1_30default_config_static_selectorELNS0_4arch9wavefront6targetE1EEEvT1_,"axG",@progbits,_ZN7rocprim17ROCPRIM_400000_NS6detail17trampoline_kernelINS0_14default_configENS1_27scan_by_key_config_selectorIiyEEZZNS1_16scan_by_key_implILNS1_25lookback_scan_determinismE0ELb0ES3_N6thrust23THRUST_200600_302600_NS6detail15normal_iteratorINS9_10device_ptrIiEEEENSB_INSC_IyEEEESG_yNS9_4plusIvEENS9_8equal_toIvEEyEE10hipError_tPvRmT2_T3_T4_T5_mT6_T7_P12ihipStream_tbENKUlT_T0_E_clISt17integral_constantIbLb1EES11_EEDaSW_SX_EUlSW_E_NS1_11comp_targetILNS1_3genE9ELNS1_11target_archE1100ELNS1_3gpuE3ELNS1_3repE0EEENS1_30default_config_static_selectorELNS0_4arch9wavefront6targetE1EEEvT1_,comdat
.Lfunc_end1194:
	.size	_ZN7rocprim17ROCPRIM_400000_NS6detail17trampoline_kernelINS0_14default_configENS1_27scan_by_key_config_selectorIiyEEZZNS1_16scan_by_key_implILNS1_25lookback_scan_determinismE0ELb0ES3_N6thrust23THRUST_200600_302600_NS6detail15normal_iteratorINS9_10device_ptrIiEEEENSB_INSC_IyEEEESG_yNS9_4plusIvEENS9_8equal_toIvEEyEE10hipError_tPvRmT2_T3_T4_T5_mT6_T7_P12ihipStream_tbENKUlT_T0_E_clISt17integral_constantIbLb1EES11_EEDaSW_SX_EUlSW_E_NS1_11comp_targetILNS1_3genE9ELNS1_11target_archE1100ELNS1_3gpuE3ELNS1_3repE0EEENS1_30default_config_static_selectorELNS0_4arch9wavefront6targetE1EEEvT1_, .Lfunc_end1194-_ZN7rocprim17ROCPRIM_400000_NS6detail17trampoline_kernelINS0_14default_configENS1_27scan_by_key_config_selectorIiyEEZZNS1_16scan_by_key_implILNS1_25lookback_scan_determinismE0ELb0ES3_N6thrust23THRUST_200600_302600_NS6detail15normal_iteratorINS9_10device_ptrIiEEEENSB_INSC_IyEEEESG_yNS9_4plusIvEENS9_8equal_toIvEEyEE10hipError_tPvRmT2_T3_T4_T5_mT6_T7_P12ihipStream_tbENKUlT_T0_E_clISt17integral_constantIbLb1EES11_EEDaSW_SX_EUlSW_E_NS1_11comp_targetILNS1_3genE9ELNS1_11target_archE1100ELNS1_3gpuE3ELNS1_3repE0EEENS1_30default_config_static_selectorELNS0_4arch9wavefront6targetE1EEEvT1_
                                        ; -- End function
	.section	.AMDGPU.csdata,"",@progbits
; Kernel info:
; codeLenInByte = 0
; NumSgprs: 6
; NumVgprs: 0
; NumAgprs: 0
; TotalNumVgprs: 0
; ScratchSize: 0
; MemoryBound: 0
; FloatMode: 240
; IeeeMode: 1
; LDSByteSize: 0 bytes/workgroup (compile time only)
; SGPRBlocks: 0
; VGPRBlocks: 0
; NumSGPRsForWavesPerEU: 6
; NumVGPRsForWavesPerEU: 1
; AccumOffset: 4
; Occupancy: 8
; WaveLimiterHint : 0
; COMPUTE_PGM_RSRC2:SCRATCH_EN: 0
; COMPUTE_PGM_RSRC2:USER_SGPR: 2
; COMPUTE_PGM_RSRC2:TRAP_HANDLER: 0
; COMPUTE_PGM_RSRC2:TGID_X_EN: 1
; COMPUTE_PGM_RSRC2:TGID_Y_EN: 0
; COMPUTE_PGM_RSRC2:TGID_Z_EN: 0
; COMPUTE_PGM_RSRC2:TIDIG_COMP_CNT: 0
; COMPUTE_PGM_RSRC3_GFX90A:ACCUM_OFFSET: 0
; COMPUTE_PGM_RSRC3_GFX90A:TG_SPLIT: 0
	.section	.text._ZN7rocprim17ROCPRIM_400000_NS6detail17trampoline_kernelINS0_14default_configENS1_27scan_by_key_config_selectorIiyEEZZNS1_16scan_by_key_implILNS1_25lookback_scan_determinismE0ELb0ES3_N6thrust23THRUST_200600_302600_NS6detail15normal_iteratorINS9_10device_ptrIiEEEENSB_INSC_IyEEEESG_yNS9_4plusIvEENS9_8equal_toIvEEyEE10hipError_tPvRmT2_T3_T4_T5_mT6_T7_P12ihipStream_tbENKUlT_T0_E_clISt17integral_constantIbLb1EES11_EEDaSW_SX_EUlSW_E_NS1_11comp_targetILNS1_3genE8ELNS1_11target_archE1030ELNS1_3gpuE2ELNS1_3repE0EEENS1_30default_config_static_selectorELNS0_4arch9wavefront6targetE1EEEvT1_,"axG",@progbits,_ZN7rocprim17ROCPRIM_400000_NS6detail17trampoline_kernelINS0_14default_configENS1_27scan_by_key_config_selectorIiyEEZZNS1_16scan_by_key_implILNS1_25lookback_scan_determinismE0ELb0ES3_N6thrust23THRUST_200600_302600_NS6detail15normal_iteratorINS9_10device_ptrIiEEEENSB_INSC_IyEEEESG_yNS9_4plusIvEENS9_8equal_toIvEEyEE10hipError_tPvRmT2_T3_T4_T5_mT6_T7_P12ihipStream_tbENKUlT_T0_E_clISt17integral_constantIbLb1EES11_EEDaSW_SX_EUlSW_E_NS1_11comp_targetILNS1_3genE8ELNS1_11target_archE1030ELNS1_3gpuE2ELNS1_3repE0EEENS1_30default_config_static_selectorELNS0_4arch9wavefront6targetE1EEEvT1_,comdat
	.protected	_ZN7rocprim17ROCPRIM_400000_NS6detail17trampoline_kernelINS0_14default_configENS1_27scan_by_key_config_selectorIiyEEZZNS1_16scan_by_key_implILNS1_25lookback_scan_determinismE0ELb0ES3_N6thrust23THRUST_200600_302600_NS6detail15normal_iteratorINS9_10device_ptrIiEEEENSB_INSC_IyEEEESG_yNS9_4plusIvEENS9_8equal_toIvEEyEE10hipError_tPvRmT2_T3_T4_T5_mT6_T7_P12ihipStream_tbENKUlT_T0_E_clISt17integral_constantIbLb1EES11_EEDaSW_SX_EUlSW_E_NS1_11comp_targetILNS1_3genE8ELNS1_11target_archE1030ELNS1_3gpuE2ELNS1_3repE0EEENS1_30default_config_static_selectorELNS0_4arch9wavefront6targetE1EEEvT1_ ; -- Begin function _ZN7rocprim17ROCPRIM_400000_NS6detail17trampoline_kernelINS0_14default_configENS1_27scan_by_key_config_selectorIiyEEZZNS1_16scan_by_key_implILNS1_25lookback_scan_determinismE0ELb0ES3_N6thrust23THRUST_200600_302600_NS6detail15normal_iteratorINS9_10device_ptrIiEEEENSB_INSC_IyEEEESG_yNS9_4plusIvEENS9_8equal_toIvEEyEE10hipError_tPvRmT2_T3_T4_T5_mT6_T7_P12ihipStream_tbENKUlT_T0_E_clISt17integral_constantIbLb1EES11_EEDaSW_SX_EUlSW_E_NS1_11comp_targetILNS1_3genE8ELNS1_11target_archE1030ELNS1_3gpuE2ELNS1_3repE0EEENS1_30default_config_static_selectorELNS0_4arch9wavefront6targetE1EEEvT1_
	.globl	_ZN7rocprim17ROCPRIM_400000_NS6detail17trampoline_kernelINS0_14default_configENS1_27scan_by_key_config_selectorIiyEEZZNS1_16scan_by_key_implILNS1_25lookback_scan_determinismE0ELb0ES3_N6thrust23THRUST_200600_302600_NS6detail15normal_iteratorINS9_10device_ptrIiEEEENSB_INSC_IyEEEESG_yNS9_4plusIvEENS9_8equal_toIvEEyEE10hipError_tPvRmT2_T3_T4_T5_mT6_T7_P12ihipStream_tbENKUlT_T0_E_clISt17integral_constantIbLb1EES11_EEDaSW_SX_EUlSW_E_NS1_11comp_targetILNS1_3genE8ELNS1_11target_archE1030ELNS1_3gpuE2ELNS1_3repE0EEENS1_30default_config_static_selectorELNS0_4arch9wavefront6targetE1EEEvT1_
	.p2align	8
	.type	_ZN7rocprim17ROCPRIM_400000_NS6detail17trampoline_kernelINS0_14default_configENS1_27scan_by_key_config_selectorIiyEEZZNS1_16scan_by_key_implILNS1_25lookback_scan_determinismE0ELb0ES3_N6thrust23THRUST_200600_302600_NS6detail15normal_iteratorINS9_10device_ptrIiEEEENSB_INSC_IyEEEESG_yNS9_4plusIvEENS9_8equal_toIvEEyEE10hipError_tPvRmT2_T3_T4_T5_mT6_T7_P12ihipStream_tbENKUlT_T0_E_clISt17integral_constantIbLb1EES11_EEDaSW_SX_EUlSW_E_NS1_11comp_targetILNS1_3genE8ELNS1_11target_archE1030ELNS1_3gpuE2ELNS1_3repE0EEENS1_30default_config_static_selectorELNS0_4arch9wavefront6targetE1EEEvT1_,@function
_ZN7rocprim17ROCPRIM_400000_NS6detail17trampoline_kernelINS0_14default_configENS1_27scan_by_key_config_selectorIiyEEZZNS1_16scan_by_key_implILNS1_25lookback_scan_determinismE0ELb0ES3_N6thrust23THRUST_200600_302600_NS6detail15normal_iteratorINS9_10device_ptrIiEEEENSB_INSC_IyEEEESG_yNS9_4plusIvEENS9_8equal_toIvEEyEE10hipError_tPvRmT2_T3_T4_T5_mT6_T7_P12ihipStream_tbENKUlT_T0_E_clISt17integral_constantIbLb1EES11_EEDaSW_SX_EUlSW_E_NS1_11comp_targetILNS1_3genE8ELNS1_11target_archE1030ELNS1_3gpuE2ELNS1_3repE0EEENS1_30default_config_static_selectorELNS0_4arch9wavefront6targetE1EEEvT1_: ; @_ZN7rocprim17ROCPRIM_400000_NS6detail17trampoline_kernelINS0_14default_configENS1_27scan_by_key_config_selectorIiyEEZZNS1_16scan_by_key_implILNS1_25lookback_scan_determinismE0ELb0ES3_N6thrust23THRUST_200600_302600_NS6detail15normal_iteratorINS9_10device_ptrIiEEEENSB_INSC_IyEEEESG_yNS9_4plusIvEENS9_8equal_toIvEEyEE10hipError_tPvRmT2_T3_T4_T5_mT6_T7_P12ihipStream_tbENKUlT_T0_E_clISt17integral_constantIbLb1EES11_EEDaSW_SX_EUlSW_E_NS1_11comp_targetILNS1_3genE8ELNS1_11target_archE1030ELNS1_3gpuE2ELNS1_3repE0EEENS1_30default_config_static_selectorELNS0_4arch9wavefront6targetE1EEEvT1_
; %bb.0:
	.section	.rodata,"a",@progbits
	.p2align	6, 0x0
	.amdhsa_kernel _ZN7rocprim17ROCPRIM_400000_NS6detail17trampoline_kernelINS0_14default_configENS1_27scan_by_key_config_selectorIiyEEZZNS1_16scan_by_key_implILNS1_25lookback_scan_determinismE0ELb0ES3_N6thrust23THRUST_200600_302600_NS6detail15normal_iteratorINS9_10device_ptrIiEEEENSB_INSC_IyEEEESG_yNS9_4plusIvEENS9_8equal_toIvEEyEE10hipError_tPvRmT2_T3_T4_T5_mT6_T7_P12ihipStream_tbENKUlT_T0_E_clISt17integral_constantIbLb1EES11_EEDaSW_SX_EUlSW_E_NS1_11comp_targetILNS1_3genE8ELNS1_11target_archE1030ELNS1_3gpuE2ELNS1_3repE0EEENS1_30default_config_static_selectorELNS0_4arch9wavefront6targetE1EEEvT1_
		.amdhsa_group_segment_fixed_size 0
		.amdhsa_private_segment_fixed_size 0
		.amdhsa_kernarg_size 136
		.amdhsa_user_sgpr_count 2
		.amdhsa_user_sgpr_dispatch_ptr 0
		.amdhsa_user_sgpr_queue_ptr 0
		.amdhsa_user_sgpr_kernarg_segment_ptr 1
		.amdhsa_user_sgpr_dispatch_id 0
		.amdhsa_user_sgpr_kernarg_preload_length 0
		.amdhsa_user_sgpr_kernarg_preload_offset 0
		.amdhsa_user_sgpr_private_segment_size 0
		.amdhsa_uses_dynamic_stack 0
		.amdhsa_enable_private_segment 0
		.amdhsa_system_sgpr_workgroup_id_x 1
		.amdhsa_system_sgpr_workgroup_id_y 0
		.amdhsa_system_sgpr_workgroup_id_z 0
		.amdhsa_system_sgpr_workgroup_info 0
		.amdhsa_system_vgpr_workitem_id 0
		.amdhsa_next_free_vgpr 1
		.amdhsa_next_free_sgpr 0
		.amdhsa_accum_offset 4
		.amdhsa_reserve_vcc 0
		.amdhsa_float_round_mode_32 0
		.amdhsa_float_round_mode_16_64 0
		.amdhsa_float_denorm_mode_32 3
		.amdhsa_float_denorm_mode_16_64 3
		.amdhsa_dx10_clamp 1
		.amdhsa_ieee_mode 1
		.amdhsa_fp16_overflow 0
		.amdhsa_tg_split 0
		.amdhsa_exception_fp_ieee_invalid_op 0
		.amdhsa_exception_fp_denorm_src 0
		.amdhsa_exception_fp_ieee_div_zero 0
		.amdhsa_exception_fp_ieee_overflow 0
		.amdhsa_exception_fp_ieee_underflow 0
		.amdhsa_exception_fp_ieee_inexact 0
		.amdhsa_exception_int_div_zero 0
	.end_amdhsa_kernel
	.section	.text._ZN7rocprim17ROCPRIM_400000_NS6detail17trampoline_kernelINS0_14default_configENS1_27scan_by_key_config_selectorIiyEEZZNS1_16scan_by_key_implILNS1_25lookback_scan_determinismE0ELb0ES3_N6thrust23THRUST_200600_302600_NS6detail15normal_iteratorINS9_10device_ptrIiEEEENSB_INSC_IyEEEESG_yNS9_4plusIvEENS9_8equal_toIvEEyEE10hipError_tPvRmT2_T3_T4_T5_mT6_T7_P12ihipStream_tbENKUlT_T0_E_clISt17integral_constantIbLb1EES11_EEDaSW_SX_EUlSW_E_NS1_11comp_targetILNS1_3genE8ELNS1_11target_archE1030ELNS1_3gpuE2ELNS1_3repE0EEENS1_30default_config_static_selectorELNS0_4arch9wavefront6targetE1EEEvT1_,"axG",@progbits,_ZN7rocprim17ROCPRIM_400000_NS6detail17trampoline_kernelINS0_14default_configENS1_27scan_by_key_config_selectorIiyEEZZNS1_16scan_by_key_implILNS1_25lookback_scan_determinismE0ELb0ES3_N6thrust23THRUST_200600_302600_NS6detail15normal_iteratorINS9_10device_ptrIiEEEENSB_INSC_IyEEEESG_yNS9_4plusIvEENS9_8equal_toIvEEyEE10hipError_tPvRmT2_T3_T4_T5_mT6_T7_P12ihipStream_tbENKUlT_T0_E_clISt17integral_constantIbLb1EES11_EEDaSW_SX_EUlSW_E_NS1_11comp_targetILNS1_3genE8ELNS1_11target_archE1030ELNS1_3gpuE2ELNS1_3repE0EEENS1_30default_config_static_selectorELNS0_4arch9wavefront6targetE1EEEvT1_,comdat
.Lfunc_end1195:
	.size	_ZN7rocprim17ROCPRIM_400000_NS6detail17trampoline_kernelINS0_14default_configENS1_27scan_by_key_config_selectorIiyEEZZNS1_16scan_by_key_implILNS1_25lookback_scan_determinismE0ELb0ES3_N6thrust23THRUST_200600_302600_NS6detail15normal_iteratorINS9_10device_ptrIiEEEENSB_INSC_IyEEEESG_yNS9_4plusIvEENS9_8equal_toIvEEyEE10hipError_tPvRmT2_T3_T4_T5_mT6_T7_P12ihipStream_tbENKUlT_T0_E_clISt17integral_constantIbLb1EES11_EEDaSW_SX_EUlSW_E_NS1_11comp_targetILNS1_3genE8ELNS1_11target_archE1030ELNS1_3gpuE2ELNS1_3repE0EEENS1_30default_config_static_selectorELNS0_4arch9wavefront6targetE1EEEvT1_, .Lfunc_end1195-_ZN7rocprim17ROCPRIM_400000_NS6detail17trampoline_kernelINS0_14default_configENS1_27scan_by_key_config_selectorIiyEEZZNS1_16scan_by_key_implILNS1_25lookback_scan_determinismE0ELb0ES3_N6thrust23THRUST_200600_302600_NS6detail15normal_iteratorINS9_10device_ptrIiEEEENSB_INSC_IyEEEESG_yNS9_4plusIvEENS9_8equal_toIvEEyEE10hipError_tPvRmT2_T3_T4_T5_mT6_T7_P12ihipStream_tbENKUlT_T0_E_clISt17integral_constantIbLb1EES11_EEDaSW_SX_EUlSW_E_NS1_11comp_targetILNS1_3genE8ELNS1_11target_archE1030ELNS1_3gpuE2ELNS1_3repE0EEENS1_30default_config_static_selectorELNS0_4arch9wavefront6targetE1EEEvT1_
                                        ; -- End function
	.section	.AMDGPU.csdata,"",@progbits
; Kernel info:
; codeLenInByte = 0
; NumSgprs: 6
; NumVgprs: 0
; NumAgprs: 0
; TotalNumVgprs: 0
; ScratchSize: 0
; MemoryBound: 0
; FloatMode: 240
; IeeeMode: 1
; LDSByteSize: 0 bytes/workgroup (compile time only)
; SGPRBlocks: 0
; VGPRBlocks: 0
; NumSGPRsForWavesPerEU: 6
; NumVGPRsForWavesPerEU: 1
; AccumOffset: 4
; Occupancy: 8
; WaveLimiterHint : 0
; COMPUTE_PGM_RSRC2:SCRATCH_EN: 0
; COMPUTE_PGM_RSRC2:USER_SGPR: 2
; COMPUTE_PGM_RSRC2:TRAP_HANDLER: 0
; COMPUTE_PGM_RSRC2:TGID_X_EN: 1
; COMPUTE_PGM_RSRC2:TGID_Y_EN: 0
; COMPUTE_PGM_RSRC2:TGID_Z_EN: 0
; COMPUTE_PGM_RSRC2:TIDIG_COMP_CNT: 0
; COMPUTE_PGM_RSRC3_GFX90A:ACCUM_OFFSET: 0
; COMPUTE_PGM_RSRC3_GFX90A:TG_SPLIT: 0
	.section	.text._ZN7rocprim17ROCPRIM_400000_NS6detail30init_device_scan_by_key_kernelINS1_19lookback_scan_stateINS0_5tupleIJybEEELb1ELb0EEEN6thrust23THRUST_200600_302600_NS6detail15normal_iteratorINS8_10device_ptrIiEEEEjNS1_16block_id_wrapperIjLb0EEEEEvT_jjPNSG_10value_typeET0_PNSt15iterator_traitsISJ_E10value_typeEmT1_T2_,"axG",@progbits,_ZN7rocprim17ROCPRIM_400000_NS6detail30init_device_scan_by_key_kernelINS1_19lookback_scan_stateINS0_5tupleIJybEEELb1ELb0EEEN6thrust23THRUST_200600_302600_NS6detail15normal_iteratorINS8_10device_ptrIiEEEEjNS1_16block_id_wrapperIjLb0EEEEEvT_jjPNSG_10value_typeET0_PNSt15iterator_traitsISJ_E10value_typeEmT1_T2_,comdat
	.protected	_ZN7rocprim17ROCPRIM_400000_NS6detail30init_device_scan_by_key_kernelINS1_19lookback_scan_stateINS0_5tupleIJybEEELb1ELb0EEEN6thrust23THRUST_200600_302600_NS6detail15normal_iteratorINS8_10device_ptrIiEEEEjNS1_16block_id_wrapperIjLb0EEEEEvT_jjPNSG_10value_typeET0_PNSt15iterator_traitsISJ_E10value_typeEmT1_T2_ ; -- Begin function _ZN7rocprim17ROCPRIM_400000_NS6detail30init_device_scan_by_key_kernelINS1_19lookback_scan_stateINS0_5tupleIJybEEELb1ELb0EEEN6thrust23THRUST_200600_302600_NS6detail15normal_iteratorINS8_10device_ptrIiEEEEjNS1_16block_id_wrapperIjLb0EEEEEvT_jjPNSG_10value_typeET0_PNSt15iterator_traitsISJ_E10value_typeEmT1_T2_
	.globl	_ZN7rocprim17ROCPRIM_400000_NS6detail30init_device_scan_by_key_kernelINS1_19lookback_scan_stateINS0_5tupleIJybEEELb1ELb0EEEN6thrust23THRUST_200600_302600_NS6detail15normal_iteratorINS8_10device_ptrIiEEEEjNS1_16block_id_wrapperIjLb0EEEEEvT_jjPNSG_10value_typeET0_PNSt15iterator_traitsISJ_E10value_typeEmT1_T2_
	.p2align	8
	.type	_ZN7rocprim17ROCPRIM_400000_NS6detail30init_device_scan_by_key_kernelINS1_19lookback_scan_stateINS0_5tupleIJybEEELb1ELb0EEEN6thrust23THRUST_200600_302600_NS6detail15normal_iteratorINS8_10device_ptrIiEEEEjNS1_16block_id_wrapperIjLb0EEEEEvT_jjPNSG_10value_typeET0_PNSt15iterator_traitsISJ_E10value_typeEmT1_T2_,@function
_ZN7rocprim17ROCPRIM_400000_NS6detail30init_device_scan_by_key_kernelINS1_19lookback_scan_stateINS0_5tupleIJybEEELb1ELb0EEEN6thrust23THRUST_200600_302600_NS6detail15normal_iteratorINS8_10device_ptrIiEEEEjNS1_16block_id_wrapperIjLb0EEEEEvT_jjPNSG_10value_typeET0_PNSt15iterator_traitsISJ_E10value_typeEmT1_T2_: ; @_ZN7rocprim17ROCPRIM_400000_NS6detail30init_device_scan_by_key_kernelINS1_19lookback_scan_stateINS0_5tupleIJybEEELb1ELb0EEEN6thrust23THRUST_200600_302600_NS6detail15normal_iteratorINS8_10device_ptrIiEEEEjNS1_16block_id_wrapperIjLb0EEEEEvT_jjPNSG_10value_typeET0_PNSt15iterator_traitsISJ_E10value_typeEmT1_T2_
; %bb.0:
	s_load_dword s3, s[0:1], 0x54
	s_load_dwordx8 s[4:11], s[0:1], 0x10
	s_load_dword s20, s[0:1], 0x48
	s_waitcnt lgkmcnt(0)
	s_and_b32 s21, s3, 0xffff
	s_mul_i32 s2, s2, s21
	s_cmp_eq_u64 s[8:9], 0
	v_add_u32_e32 v0, s2, v0
	s_cbranch_scc1 .LBB1196_11
; %bb.1:
	s_cmp_lt_u32 s7, s6
	s_cselect_b32 s2, s7, 0
	s_mov_b32 s17, 0
	v_cmp_eq_u32_e32 vcc, s2, v0
	s_and_saveexec_b64 s[2:3], vcc
	s_cbranch_execz .LBB1196_10
; %bb.2:
	s_add_i32 s16, s7, 64
	v_mov_b32_e32 v1, s16
	global_load_ubyte v1, v1, s[4:5] sc1
	s_load_dwordx4 s[12:15], s[0:1], 0x0
	s_add_u32 s18, s4, s16
	s_addc_u32 s19, s5, 0
	s_waitcnt vmcnt(0)
	v_cmp_ne_u16_e32 vcc, 0, v1
	v_readfirstlane_b32 s7, v1
	s_cbranch_vccz .LBB1196_4
; %bb.3:
	s_and_b32 s7, 0xffff, s7
	s_branch .LBB1196_9
.LBB1196_4:
	s_mov_b32 s7, 1
	v_mov_b32_e32 v1, 0
.LBB1196_5:                             ; =>This Loop Header: Depth=1
                                        ;     Child Loop BB1196_6 Depth 2
	s_max_u32 s22, s7, 1
.LBB1196_6:                             ;   Parent Loop BB1196_5 Depth=1
                                        ; =>  This Inner Loop Header: Depth=2
	s_add_i32 s22, s22, -1
	s_cmp_eq_u32 s22, 0
	s_sleep 1
	s_cbranch_scc0 .LBB1196_6
; %bb.7:                                ;   in Loop: Header=BB1196_5 Depth=1
	global_load_ubyte v2, v1, s[18:19] sc1
	s_cmp_lt_u32 s7, 32
	s_cselect_b64 s[22:23], -1, 0
	s_cmp_lg_u64 s[22:23], 0
	s_addc_u32 s7, s7, 0
	s_waitcnt vmcnt(0)
	v_cmp_ne_u16_e32 vcc, 0, v2
	v_readfirstlane_b32 s22, v2
	s_cbranch_vccz .LBB1196_5
; %bb.8:
	s_and_b32 s7, 0xffff, s22
.LBB1196_9:
	s_cmp_eq_u32 s7, 1
	s_waitcnt lgkmcnt(0)
	s_cselect_b32 s7, s13, s15
	s_cselect_b32 s14, s12, s14
	s_lshl_b64 s[12:13], s[16:17], 4
	s_add_u32 s12, s14, s12
	s_addc_u32 s13, s7, s13
	v_mov_b32_e32 v1, 0
	s_waitcnt vmcnt(0)
	global_load_dword v2, v1, s[12:13] sc1
	global_load_dword v3, v1, s[12:13] offset:4 sc1
	global_load_dword v4, v1, s[12:13] offset:8 sc1
	;; [unrolled: 1-line block ×3, first 2 shown]
	s_waitcnt vmcnt(2)
	global_store_dwordx2 v1, v[2:3], s[8:9]
	s_waitcnt vmcnt(2)
	global_store_byte v1, v4, s[8:9] offset:8
.LBB1196_10:
	s_or_b64 exec, exec, s[2:3]
.LBB1196_11:
	v_cmp_gt_u32_e32 vcc, s6, v0
	s_and_saveexec_b64 s[2:3], vcc
	s_cbranch_execz .LBB1196_13
; %bb.12:
	v_add_u32_e32 v1, 64, v0
	v_mov_b32_e32 v2, 0
	global_store_byte v1, v2, s[4:5]
.LBB1196_13:
	s_or_b64 exec, exec, s[2:3]
	v_cmp_gt_u32_e32 vcc, 64, v0
	v_mov_b32_e32 v1, 0
	s_and_saveexec_b64 s[2:3], vcc
	s_cbranch_execz .LBB1196_15
; %bb.14:
	v_lshl_add_u64 v[2:3], s[4:5], 0, v[0:1]
	v_mov_b32_e32 v4, 0xff
	global_store_byte v[2:3], v4, off
.LBB1196_15:
	s_or_b64 exec, exec, s[2:3]
	s_load_dwordx2 s[2:3], s[0:1], 0x38
	s_waitcnt lgkmcnt(0)
	v_cmp_gt_u64_e32 vcc, s[2:3], v[0:1]
	s_and_saveexec_b64 s[4:5], vcc
	s_cbranch_execz .LBB1196_18
; %bb.16:
	s_load_dword s12, s[0:1], 0x40
	s_load_dwordx2 s[6:7], s[0:1], 0x30
	s_mov_b32 s5, 0
	s_mov_b32 s1, s5
	s_mul_i32 s0, s20, s21
	s_waitcnt lgkmcnt(0)
	s_add_i32 s4, s12, -1
	s_lshl_b64 s[4:5], s[4:5], 2
	s_add_u32 s4, s10, s4
	v_mad_u64_u32 v[2:3], s[8:9], s12, v0, 0
	s_addc_u32 s5, s11, s5
	v_lshl_add_u64 v[2:3], v[2:3], 2, s[4:5]
	s_mul_hi_u32 s5, s12, s0
	s_mul_i32 s4, s12, s0
	s_lshl_b64 s[4:5], s[4:5], 2
	s_waitcnt vmcnt(2)
	v_lshl_add_u64 v[4:5], v[0:1], 2, s[6:7]
	s_lshl_b64 s[6:7], s[0:1], 2
	s_mov_b64 s[8:9], 0
.LBB1196_17:                            ; =>This Inner Loop Header: Depth=1
	global_load_dword v6, v[2:3], off
	v_lshl_add_u64 v[0:1], v[0:1], 0, s[0:1]
	v_cmp_le_u64_e32 vcc, s[2:3], v[0:1]
	v_lshl_add_u64 v[2:3], v[2:3], 0, s[4:5]
	s_or_b64 s[8:9], vcc, s[8:9]
	s_waitcnt vmcnt(0)
	global_store_dword v[4:5], v6, off
	v_lshl_add_u64 v[4:5], v[4:5], 0, s[6:7]
	s_andn2_b64 exec, exec, s[8:9]
	s_cbranch_execnz .LBB1196_17
.LBB1196_18:
	s_endpgm
	.section	.rodata,"a",@progbits
	.p2align	6, 0x0
	.amdhsa_kernel _ZN7rocprim17ROCPRIM_400000_NS6detail30init_device_scan_by_key_kernelINS1_19lookback_scan_stateINS0_5tupleIJybEEELb1ELb0EEEN6thrust23THRUST_200600_302600_NS6detail15normal_iteratorINS8_10device_ptrIiEEEEjNS1_16block_id_wrapperIjLb0EEEEEvT_jjPNSG_10value_typeET0_PNSt15iterator_traitsISJ_E10value_typeEmT1_T2_
		.amdhsa_group_segment_fixed_size 0
		.amdhsa_private_segment_fixed_size 0
		.amdhsa_kernarg_size 328
		.amdhsa_user_sgpr_count 2
		.amdhsa_user_sgpr_dispatch_ptr 0
		.amdhsa_user_sgpr_queue_ptr 0
		.amdhsa_user_sgpr_kernarg_segment_ptr 1
		.amdhsa_user_sgpr_dispatch_id 0
		.amdhsa_user_sgpr_kernarg_preload_length 0
		.amdhsa_user_sgpr_kernarg_preload_offset 0
		.amdhsa_user_sgpr_private_segment_size 0
		.amdhsa_uses_dynamic_stack 0
		.amdhsa_enable_private_segment 0
		.amdhsa_system_sgpr_workgroup_id_x 1
		.amdhsa_system_sgpr_workgroup_id_y 0
		.amdhsa_system_sgpr_workgroup_id_z 0
		.amdhsa_system_sgpr_workgroup_info 0
		.amdhsa_system_vgpr_workitem_id 0
		.amdhsa_next_free_vgpr 7
		.amdhsa_next_free_sgpr 24
		.amdhsa_accum_offset 8
		.amdhsa_reserve_vcc 1
		.amdhsa_float_round_mode_32 0
		.amdhsa_float_round_mode_16_64 0
		.amdhsa_float_denorm_mode_32 3
		.amdhsa_float_denorm_mode_16_64 3
		.amdhsa_dx10_clamp 1
		.amdhsa_ieee_mode 1
		.amdhsa_fp16_overflow 0
		.amdhsa_tg_split 0
		.amdhsa_exception_fp_ieee_invalid_op 0
		.amdhsa_exception_fp_denorm_src 0
		.amdhsa_exception_fp_ieee_div_zero 0
		.amdhsa_exception_fp_ieee_overflow 0
		.amdhsa_exception_fp_ieee_underflow 0
		.amdhsa_exception_fp_ieee_inexact 0
		.amdhsa_exception_int_div_zero 0
	.end_amdhsa_kernel
	.section	.text._ZN7rocprim17ROCPRIM_400000_NS6detail30init_device_scan_by_key_kernelINS1_19lookback_scan_stateINS0_5tupleIJybEEELb1ELb0EEEN6thrust23THRUST_200600_302600_NS6detail15normal_iteratorINS8_10device_ptrIiEEEEjNS1_16block_id_wrapperIjLb0EEEEEvT_jjPNSG_10value_typeET0_PNSt15iterator_traitsISJ_E10value_typeEmT1_T2_,"axG",@progbits,_ZN7rocprim17ROCPRIM_400000_NS6detail30init_device_scan_by_key_kernelINS1_19lookback_scan_stateINS0_5tupleIJybEEELb1ELb0EEEN6thrust23THRUST_200600_302600_NS6detail15normal_iteratorINS8_10device_ptrIiEEEEjNS1_16block_id_wrapperIjLb0EEEEEvT_jjPNSG_10value_typeET0_PNSt15iterator_traitsISJ_E10value_typeEmT1_T2_,comdat
.Lfunc_end1196:
	.size	_ZN7rocprim17ROCPRIM_400000_NS6detail30init_device_scan_by_key_kernelINS1_19lookback_scan_stateINS0_5tupleIJybEEELb1ELb0EEEN6thrust23THRUST_200600_302600_NS6detail15normal_iteratorINS8_10device_ptrIiEEEEjNS1_16block_id_wrapperIjLb0EEEEEvT_jjPNSG_10value_typeET0_PNSt15iterator_traitsISJ_E10value_typeEmT1_T2_, .Lfunc_end1196-_ZN7rocprim17ROCPRIM_400000_NS6detail30init_device_scan_by_key_kernelINS1_19lookback_scan_stateINS0_5tupleIJybEEELb1ELb0EEEN6thrust23THRUST_200600_302600_NS6detail15normal_iteratorINS8_10device_ptrIiEEEEjNS1_16block_id_wrapperIjLb0EEEEEvT_jjPNSG_10value_typeET0_PNSt15iterator_traitsISJ_E10value_typeEmT1_T2_
                                        ; -- End function
	.section	.AMDGPU.csdata,"",@progbits
; Kernel info:
; codeLenInByte = 568
; NumSgprs: 30
; NumVgprs: 7
; NumAgprs: 0
; TotalNumVgprs: 7
; ScratchSize: 0
; MemoryBound: 0
; FloatMode: 240
; IeeeMode: 1
; LDSByteSize: 0 bytes/workgroup (compile time only)
; SGPRBlocks: 3
; VGPRBlocks: 0
; NumSGPRsForWavesPerEU: 30
; NumVGPRsForWavesPerEU: 7
; AccumOffset: 8
; Occupancy: 8
; WaveLimiterHint : 0
; COMPUTE_PGM_RSRC2:SCRATCH_EN: 0
; COMPUTE_PGM_RSRC2:USER_SGPR: 2
; COMPUTE_PGM_RSRC2:TRAP_HANDLER: 0
; COMPUTE_PGM_RSRC2:TGID_X_EN: 1
; COMPUTE_PGM_RSRC2:TGID_Y_EN: 0
; COMPUTE_PGM_RSRC2:TGID_Z_EN: 0
; COMPUTE_PGM_RSRC2:TIDIG_COMP_CNT: 0
; COMPUTE_PGM_RSRC3_GFX90A:ACCUM_OFFSET: 1
; COMPUTE_PGM_RSRC3_GFX90A:TG_SPLIT: 0
	.section	.text._ZN7rocprim17ROCPRIM_400000_NS6detail30init_device_scan_by_key_kernelINS1_19lookback_scan_stateINS0_5tupleIJybEEELb1ELb0EEENS1_16block_id_wrapperIjLb0EEEEEvT_jjPNS9_10value_typeET0_,"axG",@progbits,_ZN7rocprim17ROCPRIM_400000_NS6detail30init_device_scan_by_key_kernelINS1_19lookback_scan_stateINS0_5tupleIJybEEELb1ELb0EEENS1_16block_id_wrapperIjLb0EEEEEvT_jjPNS9_10value_typeET0_,comdat
	.protected	_ZN7rocprim17ROCPRIM_400000_NS6detail30init_device_scan_by_key_kernelINS1_19lookback_scan_stateINS0_5tupleIJybEEELb1ELb0EEENS1_16block_id_wrapperIjLb0EEEEEvT_jjPNS9_10value_typeET0_ ; -- Begin function _ZN7rocprim17ROCPRIM_400000_NS6detail30init_device_scan_by_key_kernelINS1_19lookback_scan_stateINS0_5tupleIJybEEELb1ELb0EEENS1_16block_id_wrapperIjLb0EEEEEvT_jjPNS9_10value_typeET0_
	.globl	_ZN7rocprim17ROCPRIM_400000_NS6detail30init_device_scan_by_key_kernelINS1_19lookback_scan_stateINS0_5tupleIJybEEELb1ELb0EEENS1_16block_id_wrapperIjLb0EEEEEvT_jjPNS9_10value_typeET0_
	.p2align	8
	.type	_ZN7rocprim17ROCPRIM_400000_NS6detail30init_device_scan_by_key_kernelINS1_19lookback_scan_stateINS0_5tupleIJybEEELb1ELb0EEENS1_16block_id_wrapperIjLb0EEEEEvT_jjPNS9_10value_typeET0_,@function
_ZN7rocprim17ROCPRIM_400000_NS6detail30init_device_scan_by_key_kernelINS1_19lookback_scan_stateINS0_5tupleIJybEEELb1ELb0EEENS1_16block_id_wrapperIjLb0EEEEEvT_jjPNS9_10value_typeET0_: ; @_ZN7rocprim17ROCPRIM_400000_NS6detail30init_device_scan_by_key_kernelINS1_19lookback_scan_stateINS0_5tupleIJybEEELb1ELb0EEENS1_16block_id_wrapperIjLb0EEEEEvT_jjPNS9_10value_typeET0_
; %bb.0:
	s_load_dword s3, s[0:1], 0x3c
	s_load_dwordx2 s[8:9], s[0:1], 0x20
	s_load_dwordx4 s[4:7], s[0:1], 0x10
	s_waitcnt lgkmcnt(0)
	s_and_b32 s3, s3, 0xffff
	s_mul_i32 s2, s2, s3
	s_cmp_eq_u64 s[8:9], 0
	v_add_u32_e32 v0, s2, v0
	s_cbranch_scc1 .LBB1197_11
; %bb.1:
	s_cmp_lt_u32 s7, s6
	s_cselect_b32 s2, s7, 0
	s_mov_b32 s13, 0
	v_cmp_eq_u32_e32 vcc, s2, v0
	s_and_saveexec_b64 s[10:11], vcc
	s_cbranch_execz .LBB1197_10
; %bb.2:
	s_add_i32 s12, s7, 64
	v_mov_b32_e32 v1, s12
	global_load_ubyte v1, v1, s[4:5] sc1
	s_load_dwordx4 s[0:3], s[0:1], 0x0
	s_add_u32 s14, s4, s12
	s_addc_u32 s15, s5, 0
	s_waitcnt vmcnt(0)
	v_cmp_ne_u16_e32 vcc, 0, v1
	v_readfirstlane_b32 s7, v1
	s_cbranch_vccz .LBB1197_4
; %bb.3:
	s_and_b32 s7, 0xffff, s7
	s_branch .LBB1197_9
.LBB1197_4:
	s_mov_b32 s7, 1
	v_mov_b32_e32 v1, 0
.LBB1197_5:                             ; =>This Loop Header: Depth=1
                                        ;     Child Loop BB1197_6 Depth 2
	s_max_u32 s16, s7, 1
.LBB1197_6:                             ;   Parent Loop BB1197_5 Depth=1
                                        ; =>  This Inner Loop Header: Depth=2
	s_add_i32 s16, s16, -1
	s_cmp_eq_u32 s16, 0
	s_sleep 1
	s_cbranch_scc0 .LBB1197_6
; %bb.7:                                ;   in Loop: Header=BB1197_5 Depth=1
	global_load_ubyte v2, v1, s[14:15] sc1
	s_cmp_lt_u32 s7, 32
	s_cselect_b64 s[16:17], -1, 0
	s_cmp_lg_u64 s[16:17], 0
	s_addc_u32 s7, s7, 0
	s_waitcnt vmcnt(0)
	v_cmp_ne_u16_e32 vcc, 0, v2
	v_readfirstlane_b32 s16, v2
	s_cbranch_vccz .LBB1197_5
; %bb.8:
	s_and_b32 s7, 0xffff, s16
.LBB1197_9:
	s_cmp_eq_u32 s7, 1
	s_waitcnt lgkmcnt(0)
	s_cselect_b32 s3, s1, s3
	s_cselect_b32 s2, s0, s2
	s_lshl_b64 s[0:1], s[12:13], 4
	s_add_u32 s0, s2, s0
	s_addc_u32 s1, s3, s1
	v_mov_b32_e32 v1, 0
	s_waitcnt vmcnt(0)
	global_load_dword v2, v1, s[0:1] sc1
	global_load_dword v3, v1, s[0:1] offset:4 sc1
	global_load_dword v4, v1, s[0:1] offset:8 sc1
	global_load_dword v5, v1, s[0:1] offset:12 sc1
	s_waitcnt vmcnt(2)
	global_store_dwordx2 v1, v[2:3], s[8:9]
	s_waitcnt vmcnt(2)
	global_store_byte v1, v4, s[8:9] offset:8
.LBB1197_10:
	s_or_b64 exec, exec, s[10:11]
.LBB1197_11:
	v_cmp_gt_u32_e32 vcc, s6, v0
	s_and_saveexec_b64 s[0:1], vcc
	s_cbranch_execnz .LBB1197_14
; %bb.12:
	s_or_b64 exec, exec, s[0:1]
	v_cmp_gt_u32_e32 vcc, 64, v0
	s_and_saveexec_b64 s[0:1], vcc
	s_cbranch_execnz .LBB1197_15
.LBB1197_13:
	s_endpgm
.LBB1197_14:
	v_add_u32_e32 v1, 64, v0
	v_mov_b32_e32 v2, 0
	global_store_byte v1, v2, s[4:5]
	s_or_b64 exec, exec, s[0:1]
	v_cmp_gt_u32_e32 vcc, 64, v0
	s_and_saveexec_b64 s[0:1], vcc
	s_cbranch_execz .LBB1197_13
.LBB1197_15:
	v_mov_b32_e32 v1, 0xff
	global_store_byte v0, v1, s[4:5]
	s_endpgm
	.section	.rodata,"a",@progbits
	.p2align	6, 0x0
	.amdhsa_kernel _ZN7rocprim17ROCPRIM_400000_NS6detail30init_device_scan_by_key_kernelINS1_19lookback_scan_stateINS0_5tupleIJybEEELb1ELb0EEENS1_16block_id_wrapperIjLb0EEEEEvT_jjPNS9_10value_typeET0_
		.amdhsa_group_segment_fixed_size 0
		.amdhsa_private_segment_fixed_size 0
		.amdhsa_kernarg_size 304
		.amdhsa_user_sgpr_count 2
		.amdhsa_user_sgpr_dispatch_ptr 0
		.amdhsa_user_sgpr_queue_ptr 0
		.amdhsa_user_sgpr_kernarg_segment_ptr 1
		.amdhsa_user_sgpr_dispatch_id 0
		.amdhsa_user_sgpr_kernarg_preload_length 0
		.amdhsa_user_sgpr_kernarg_preload_offset 0
		.amdhsa_user_sgpr_private_segment_size 0
		.amdhsa_uses_dynamic_stack 0
		.amdhsa_enable_private_segment 0
		.amdhsa_system_sgpr_workgroup_id_x 1
		.amdhsa_system_sgpr_workgroup_id_y 0
		.amdhsa_system_sgpr_workgroup_id_z 0
		.amdhsa_system_sgpr_workgroup_info 0
		.amdhsa_system_vgpr_workitem_id 0
		.amdhsa_next_free_vgpr 6
		.amdhsa_next_free_sgpr 18
		.amdhsa_accum_offset 8
		.amdhsa_reserve_vcc 1
		.amdhsa_float_round_mode_32 0
		.amdhsa_float_round_mode_16_64 0
		.amdhsa_float_denorm_mode_32 3
		.amdhsa_float_denorm_mode_16_64 3
		.amdhsa_dx10_clamp 1
		.amdhsa_ieee_mode 1
		.amdhsa_fp16_overflow 0
		.amdhsa_tg_split 0
		.amdhsa_exception_fp_ieee_invalid_op 0
		.amdhsa_exception_fp_denorm_src 0
		.amdhsa_exception_fp_ieee_div_zero 0
		.amdhsa_exception_fp_ieee_overflow 0
		.amdhsa_exception_fp_ieee_underflow 0
		.amdhsa_exception_fp_ieee_inexact 0
		.amdhsa_exception_int_div_zero 0
	.end_amdhsa_kernel
	.section	.text._ZN7rocprim17ROCPRIM_400000_NS6detail30init_device_scan_by_key_kernelINS1_19lookback_scan_stateINS0_5tupleIJybEEELb1ELb0EEENS1_16block_id_wrapperIjLb0EEEEEvT_jjPNS9_10value_typeET0_,"axG",@progbits,_ZN7rocprim17ROCPRIM_400000_NS6detail30init_device_scan_by_key_kernelINS1_19lookback_scan_stateINS0_5tupleIJybEEELb1ELb0EEENS1_16block_id_wrapperIjLb0EEEEEvT_jjPNS9_10value_typeET0_,comdat
.Lfunc_end1197:
	.size	_ZN7rocprim17ROCPRIM_400000_NS6detail30init_device_scan_by_key_kernelINS1_19lookback_scan_stateINS0_5tupleIJybEEELb1ELb0EEENS1_16block_id_wrapperIjLb0EEEEEvT_jjPNS9_10value_typeET0_, .Lfunc_end1197-_ZN7rocprim17ROCPRIM_400000_NS6detail30init_device_scan_by_key_kernelINS1_19lookback_scan_stateINS0_5tupleIJybEEELb1ELb0EEENS1_16block_id_wrapperIjLb0EEEEEvT_jjPNS9_10value_typeET0_
                                        ; -- End function
	.section	.AMDGPU.csdata,"",@progbits
; Kernel info:
; codeLenInByte = 392
; NumSgprs: 24
; NumVgprs: 6
; NumAgprs: 0
; TotalNumVgprs: 6
; ScratchSize: 0
; MemoryBound: 0
; FloatMode: 240
; IeeeMode: 1
; LDSByteSize: 0 bytes/workgroup (compile time only)
; SGPRBlocks: 2
; VGPRBlocks: 0
; NumSGPRsForWavesPerEU: 24
; NumVGPRsForWavesPerEU: 6
; AccumOffset: 8
; Occupancy: 8
; WaveLimiterHint : 0
; COMPUTE_PGM_RSRC2:SCRATCH_EN: 0
; COMPUTE_PGM_RSRC2:USER_SGPR: 2
; COMPUTE_PGM_RSRC2:TRAP_HANDLER: 0
; COMPUTE_PGM_RSRC2:TGID_X_EN: 1
; COMPUTE_PGM_RSRC2:TGID_Y_EN: 0
; COMPUTE_PGM_RSRC2:TGID_Z_EN: 0
; COMPUTE_PGM_RSRC2:TIDIG_COMP_CNT: 0
; COMPUTE_PGM_RSRC3_GFX90A:ACCUM_OFFSET: 1
; COMPUTE_PGM_RSRC3_GFX90A:TG_SPLIT: 0
	.section	.text._ZN7rocprim17ROCPRIM_400000_NS6detail17trampoline_kernelINS0_14default_configENS1_27scan_by_key_config_selectorIiyEEZZNS1_16scan_by_key_implILNS1_25lookback_scan_determinismE0ELb0ES3_N6thrust23THRUST_200600_302600_NS6detail15normal_iteratorINS9_10device_ptrIiEEEENSB_INSC_IyEEEESG_yNS9_4plusIvEENS9_8equal_toIvEEyEE10hipError_tPvRmT2_T3_T4_T5_mT6_T7_P12ihipStream_tbENKUlT_T0_E_clISt17integral_constantIbLb1EES10_IbLb0EEEEDaSW_SX_EUlSW_E_NS1_11comp_targetILNS1_3genE0ELNS1_11target_archE4294967295ELNS1_3gpuE0ELNS1_3repE0EEENS1_30default_config_static_selectorELNS0_4arch9wavefront6targetE1EEEvT1_,"axG",@progbits,_ZN7rocprim17ROCPRIM_400000_NS6detail17trampoline_kernelINS0_14default_configENS1_27scan_by_key_config_selectorIiyEEZZNS1_16scan_by_key_implILNS1_25lookback_scan_determinismE0ELb0ES3_N6thrust23THRUST_200600_302600_NS6detail15normal_iteratorINS9_10device_ptrIiEEEENSB_INSC_IyEEEESG_yNS9_4plusIvEENS9_8equal_toIvEEyEE10hipError_tPvRmT2_T3_T4_T5_mT6_T7_P12ihipStream_tbENKUlT_T0_E_clISt17integral_constantIbLb1EES10_IbLb0EEEEDaSW_SX_EUlSW_E_NS1_11comp_targetILNS1_3genE0ELNS1_11target_archE4294967295ELNS1_3gpuE0ELNS1_3repE0EEENS1_30default_config_static_selectorELNS0_4arch9wavefront6targetE1EEEvT1_,comdat
	.protected	_ZN7rocprim17ROCPRIM_400000_NS6detail17trampoline_kernelINS0_14default_configENS1_27scan_by_key_config_selectorIiyEEZZNS1_16scan_by_key_implILNS1_25lookback_scan_determinismE0ELb0ES3_N6thrust23THRUST_200600_302600_NS6detail15normal_iteratorINS9_10device_ptrIiEEEENSB_INSC_IyEEEESG_yNS9_4plusIvEENS9_8equal_toIvEEyEE10hipError_tPvRmT2_T3_T4_T5_mT6_T7_P12ihipStream_tbENKUlT_T0_E_clISt17integral_constantIbLb1EES10_IbLb0EEEEDaSW_SX_EUlSW_E_NS1_11comp_targetILNS1_3genE0ELNS1_11target_archE4294967295ELNS1_3gpuE0ELNS1_3repE0EEENS1_30default_config_static_selectorELNS0_4arch9wavefront6targetE1EEEvT1_ ; -- Begin function _ZN7rocprim17ROCPRIM_400000_NS6detail17trampoline_kernelINS0_14default_configENS1_27scan_by_key_config_selectorIiyEEZZNS1_16scan_by_key_implILNS1_25lookback_scan_determinismE0ELb0ES3_N6thrust23THRUST_200600_302600_NS6detail15normal_iteratorINS9_10device_ptrIiEEEENSB_INSC_IyEEEESG_yNS9_4plusIvEENS9_8equal_toIvEEyEE10hipError_tPvRmT2_T3_T4_T5_mT6_T7_P12ihipStream_tbENKUlT_T0_E_clISt17integral_constantIbLb1EES10_IbLb0EEEEDaSW_SX_EUlSW_E_NS1_11comp_targetILNS1_3genE0ELNS1_11target_archE4294967295ELNS1_3gpuE0ELNS1_3repE0EEENS1_30default_config_static_selectorELNS0_4arch9wavefront6targetE1EEEvT1_
	.globl	_ZN7rocprim17ROCPRIM_400000_NS6detail17trampoline_kernelINS0_14default_configENS1_27scan_by_key_config_selectorIiyEEZZNS1_16scan_by_key_implILNS1_25lookback_scan_determinismE0ELb0ES3_N6thrust23THRUST_200600_302600_NS6detail15normal_iteratorINS9_10device_ptrIiEEEENSB_INSC_IyEEEESG_yNS9_4plusIvEENS9_8equal_toIvEEyEE10hipError_tPvRmT2_T3_T4_T5_mT6_T7_P12ihipStream_tbENKUlT_T0_E_clISt17integral_constantIbLb1EES10_IbLb0EEEEDaSW_SX_EUlSW_E_NS1_11comp_targetILNS1_3genE0ELNS1_11target_archE4294967295ELNS1_3gpuE0ELNS1_3repE0EEENS1_30default_config_static_selectorELNS0_4arch9wavefront6targetE1EEEvT1_
	.p2align	8
	.type	_ZN7rocprim17ROCPRIM_400000_NS6detail17trampoline_kernelINS0_14default_configENS1_27scan_by_key_config_selectorIiyEEZZNS1_16scan_by_key_implILNS1_25lookback_scan_determinismE0ELb0ES3_N6thrust23THRUST_200600_302600_NS6detail15normal_iteratorINS9_10device_ptrIiEEEENSB_INSC_IyEEEESG_yNS9_4plusIvEENS9_8equal_toIvEEyEE10hipError_tPvRmT2_T3_T4_T5_mT6_T7_P12ihipStream_tbENKUlT_T0_E_clISt17integral_constantIbLb1EES10_IbLb0EEEEDaSW_SX_EUlSW_E_NS1_11comp_targetILNS1_3genE0ELNS1_11target_archE4294967295ELNS1_3gpuE0ELNS1_3repE0EEENS1_30default_config_static_selectorELNS0_4arch9wavefront6targetE1EEEvT1_,@function
_ZN7rocprim17ROCPRIM_400000_NS6detail17trampoline_kernelINS0_14default_configENS1_27scan_by_key_config_selectorIiyEEZZNS1_16scan_by_key_implILNS1_25lookback_scan_determinismE0ELb0ES3_N6thrust23THRUST_200600_302600_NS6detail15normal_iteratorINS9_10device_ptrIiEEEENSB_INSC_IyEEEESG_yNS9_4plusIvEENS9_8equal_toIvEEyEE10hipError_tPvRmT2_T3_T4_T5_mT6_T7_P12ihipStream_tbENKUlT_T0_E_clISt17integral_constantIbLb1EES10_IbLb0EEEEDaSW_SX_EUlSW_E_NS1_11comp_targetILNS1_3genE0ELNS1_11target_archE4294967295ELNS1_3gpuE0ELNS1_3repE0EEENS1_30default_config_static_selectorELNS0_4arch9wavefront6targetE1EEEvT1_: ; @_ZN7rocprim17ROCPRIM_400000_NS6detail17trampoline_kernelINS0_14default_configENS1_27scan_by_key_config_selectorIiyEEZZNS1_16scan_by_key_implILNS1_25lookback_scan_determinismE0ELb0ES3_N6thrust23THRUST_200600_302600_NS6detail15normal_iteratorINS9_10device_ptrIiEEEENSB_INSC_IyEEEESG_yNS9_4plusIvEENS9_8equal_toIvEEyEE10hipError_tPvRmT2_T3_T4_T5_mT6_T7_P12ihipStream_tbENKUlT_T0_E_clISt17integral_constantIbLb1EES10_IbLb0EEEEDaSW_SX_EUlSW_E_NS1_11comp_targetILNS1_3genE0ELNS1_11target_archE4294967295ELNS1_3gpuE0ELNS1_3repE0EEENS1_30default_config_static_selectorELNS0_4arch9wavefront6targetE1EEEvT1_
; %bb.0:
	.section	.rodata,"a",@progbits
	.p2align	6, 0x0
	.amdhsa_kernel _ZN7rocprim17ROCPRIM_400000_NS6detail17trampoline_kernelINS0_14default_configENS1_27scan_by_key_config_selectorIiyEEZZNS1_16scan_by_key_implILNS1_25lookback_scan_determinismE0ELb0ES3_N6thrust23THRUST_200600_302600_NS6detail15normal_iteratorINS9_10device_ptrIiEEEENSB_INSC_IyEEEESG_yNS9_4plusIvEENS9_8equal_toIvEEyEE10hipError_tPvRmT2_T3_T4_T5_mT6_T7_P12ihipStream_tbENKUlT_T0_E_clISt17integral_constantIbLb1EES10_IbLb0EEEEDaSW_SX_EUlSW_E_NS1_11comp_targetILNS1_3genE0ELNS1_11target_archE4294967295ELNS1_3gpuE0ELNS1_3repE0EEENS1_30default_config_static_selectorELNS0_4arch9wavefront6targetE1EEEvT1_
		.amdhsa_group_segment_fixed_size 0
		.amdhsa_private_segment_fixed_size 0
		.amdhsa_kernarg_size 136
		.amdhsa_user_sgpr_count 2
		.amdhsa_user_sgpr_dispatch_ptr 0
		.amdhsa_user_sgpr_queue_ptr 0
		.amdhsa_user_sgpr_kernarg_segment_ptr 1
		.amdhsa_user_sgpr_dispatch_id 0
		.amdhsa_user_sgpr_kernarg_preload_length 0
		.amdhsa_user_sgpr_kernarg_preload_offset 0
		.amdhsa_user_sgpr_private_segment_size 0
		.amdhsa_uses_dynamic_stack 0
		.amdhsa_enable_private_segment 0
		.amdhsa_system_sgpr_workgroup_id_x 1
		.amdhsa_system_sgpr_workgroup_id_y 0
		.amdhsa_system_sgpr_workgroup_id_z 0
		.amdhsa_system_sgpr_workgroup_info 0
		.amdhsa_system_vgpr_workitem_id 0
		.amdhsa_next_free_vgpr 1
		.amdhsa_next_free_sgpr 0
		.amdhsa_accum_offset 4
		.amdhsa_reserve_vcc 0
		.amdhsa_float_round_mode_32 0
		.amdhsa_float_round_mode_16_64 0
		.amdhsa_float_denorm_mode_32 3
		.amdhsa_float_denorm_mode_16_64 3
		.amdhsa_dx10_clamp 1
		.amdhsa_ieee_mode 1
		.amdhsa_fp16_overflow 0
		.amdhsa_tg_split 0
		.amdhsa_exception_fp_ieee_invalid_op 0
		.amdhsa_exception_fp_denorm_src 0
		.amdhsa_exception_fp_ieee_div_zero 0
		.amdhsa_exception_fp_ieee_overflow 0
		.amdhsa_exception_fp_ieee_underflow 0
		.amdhsa_exception_fp_ieee_inexact 0
		.amdhsa_exception_int_div_zero 0
	.end_amdhsa_kernel
	.section	.text._ZN7rocprim17ROCPRIM_400000_NS6detail17trampoline_kernelINS0_14default_configENS1_27scan_by_key_config_selectorIiyEEZZNS1_16scan_by_key_implILNS1_25lookback_scan_determinismE0ELb0ES3_N6thrust23THRUST_200600_302600_NS6detail15normal_iteratorINS9_10device_ptrIiEEEENSB_INSC_IyEEEESG_yNS9_4plusIvEENS9_8equal_toIvEEyEE10hipError_tPvRmT2_T3_T4_T5_mT6_T7_P12ihipStream_tbENKUlT_T0_E_clISt17integral_constantIbLb1EES10_IbLb0EEEEDaSW_SX_EUlSW_E_NS1_11comp_targetILNS1_3genE0ELNS1_11target_archE4294967295ELNS1_3gpuE0ELNS1_3repE0EEENS1_30default_config_static_selectorELNS0_4arch9wavefront6targetE1EEEvT1_,"axG",@progbits,_ZN7rocprim17ROCPRIM_400000_NS6detail17trampoline_kernelINS0_14default_configENS1_27scan_by_key_config_selectorIiyEEZZNS1_16scan_by_key_implILNS1_25lookback_scan_determinismE0ELb0ES3_N6thrust23THRUST_200600_302600_NS6detail15normal_iteratorINS9_10device_ptrIiEEEENSB_INSC_IyEEEESG_yNS9_4plusIvEENS9_8equal_toIvEEyEE10hipError_tPvRmT2_T3_T4_T5_mT6_T7_P12ihipStream_tbENKUlT_T0_E_clISt17integral_constantIbLb1EES10_IbLb0EEEEDaSW_SX_EUlSW_E_NS1_11comp_targetILNS1_3genE0ELNS1_11target_archE4294967295ELNS1_3gpuE0ELNS1_3repE0EEENS1_30default_config_static_selectorELNS0_4arch9wavefront6targetE1EEEvT1_,comdat
.Lfunc_end1198:
	.size	_ZN7rocprim17ROCPRIM_400000_NS6detail17trampoline_kernelINS0_14default_configENS1_27scan_by_key_config_selectorIiyEEZZNS1_16scan_by_key_implILNS1_25lookback_scan_determinismE0ELb0ES3_N6thrust23THRUST_200600_302600_NS6detail15normal_iteratorINS9_10device_ptrIiEEEENSB_INSC_IyEEEESG_yNS9_4plusIvEENS9_8equal_toIvEEyEE10hipError_tPvRmT2_T3_T4_T5_mT6_T7_P12ihipStream_tbENKUlT_T0_E_clISt17integral_constantIbLb1EES10_IbLb0EEEEDaSW_SX_EUlSW_E_NS1_11comp_targetILNS1_3genE0ELNS1_11target_archE4294967295ELNS1_3gpuE0ELNS1_3repE0EEENS1_30default_config_static_selectorELNS0_4arch9wavefront6targetE1EEEvT1_, .Lfunc_end1198-_ZN7rocprim17ROCPRIM_400000_NS6detail17trampoline_kernelINS0_14default_configENS1_27scan_by_key_config_selectorIiyEEZZNS1_16scan_by_key_implILNS1_25lookback_scan_determinismE0ELb0ES3_N6thrust23THRUST_200600_302600_NS6detail15normal_iteratorINS9_10device_ptrIiEEEENSB_INSC_IyEEEESG_yNS9_4plusIvEENS9_8equal_toIvEEyEE10hipError_tPvRmT2_T3_T4_T5_mT6_T7_P12ihipStream_tbENKUlT_T0_E_clISt17integral_constantIbLb1EES10_IbLb0EEEEDaSW_SX_EUlSW_E_NS1_11comp_targetILNS1_3genE0ELNS1_11target_archE4294967295ELNS1_3gpuE0ELNS1_3repE0EEENS1_30default_config_static_selectorELNS0_4arch9wavefront6targetE1EEEvT1_
                                        ; -- End function
	.section	.AMDGPU.csdata,"",@progbits
; Kernel info:
; codeLenInByte = 0
; NumSgprs: 6
; NumVgprs: 0
; NumAgprs: 0
; TotalNumVgprs: 0
; ScratchSize: 0
; MemoryBound: 0
; FloatMode: 240
; IeeeMode: 1
; LDSByteSize: 0 bytes/workgroup (compile time only)
; SGPRBlocks: 0
; VGPRBlocks: 0
; NumSGPRsForWavesPerEU: 6
; NumVGPRsForWavesPerEU: 1
; AccumOffset: 4
; Occupancy: 8
; WaveLimiterHint : 0
; COMPUTE_PGM_RSRC2:SCRATCH_EN: 0
; COMPUTE_PGM_RSRC2:USER_SGPR: 2
; COMPUTE_PGM_RSRC2:TRAP_HANDLER: 0
; COMPUTE_PGM_RSRC2:TGID_X_EN: 1
; COMPUTE_PGM_RSRC2:TGID_Y_EN: 0
; COMPUTE_PGM_RSRC2:TGID_Z_EN: 0
; COMPUTE_PGM_RSRC2:TIDIG_COMP_CNT: 0
; COMPUTE_PGM_RSRC3_GFX90A:ACCUM_OFFSET: 0
; COMPUTE_PGM_RSRC3_GFX90A:TG_SPLIT: 0
	.section	.text._ZN7rocprim17ROCPRIM_400000_NS6detail17trampoline_kernelINS0_14default_configENS1_27scan_by_key_config_selectorIiyEEZZNS1_16scan_by_key_implILNS1_25lookback_scan_determinismE0ELb0ES3_N6thrust23THRUST_200600_302600_NS6detail15normal_iteratorINS9_10device_ptrIiEEEENSB_INSC_IyEEEESG_yNS9_4plusIvEENS9_8equal_toIvEEyEE10hipError_tPvRmT2_T3_T4_T5_mT6_T7_P12ihipStream_tbENKUlT_T0_E_clISt17integral_constantIbLb1EES10_IbLb0EEEEDaSW_SX_EUlSW_E_NS1_11comp_targetILNS1_3genE10ELNS1_11target_archE1201ELNS1_3gpuE5ELNS1_3repE0EEENS1_30default_config_static_selectorELNS0_4arch9wavefront6targetE1EEEvT1_,"axG",@progbits,_ZN7rocprim17ROCPRIM_400000_NS6detail17trampoline_kernelINS0_14default_configENS1_27scan_by_key_config_selectorIiyEEZZNS1_16scan_by_key_implILNS1_25lookback_scan_determinismE0ELb0ES3_N6thrust23THRUST_200600_302600_NS6detail15normal_iteratorINS9_10device_ptrIiEEEENSB_INSC_IyEEEESG_yNS9_4plusIvEENS9_8equal_toIvEEyEE10hipError_tPvRmT2_T3_T4_T5_mT6_T7_P12ihipStream_tbENKUlT_T0_E_clISt17integral_constantIbLb1EES10_IbLb0EEEEDaSW_SX_EUlSW_E_NS1_11comp_targetILNS1_3genE10ELNS1_11target_archE1201ELNS1_3gpuE5ELNS1_3repE0EEENS1_30default_config_static_selectorELNS0_4arch9wavefront6targetE1EEEvT1_,comdat
	.protected	_ZN7rocprim17ROCPRIM_400000_NS6detail17trampoline_kernelINS0_14default_configENS1_27scan_by_key_config_selectorIiyEEZZNS1_16scan_by_key_implILNS1_25lookback_scan_determinismE0ELb0ES3_N6thrust23THRUST_200600_302600_NS6detail15normal_iteratorINS9_10device_ptrIiEEEENSB_INSC_IyEEEESG_yNS9_4plusIvEENS9_8equal_toIvEEyEE10hipError_tPvRmT2_T3_T4_T5_mT6_T7_P12ihipStream_tbENKUlT_T0_E_clISt17integral_constantIbLb1EES10_IbLb0EEEEDaSW_SX_EUlSW_E_NS1_11comp_targetILNS1_3genE10ELNS1_11target_archE1201ELNS1_3gpuE5ELNS1_3repE0EEENS1_30default_config_static_selectorELNS0_4arch9wavefront6targetE1EEEvT1_ ; -- Begin function _ZN7rocprim17ROCPRIM_400000_NS6detail17trampoline_kernelINS0_14default_configENS1_27scan_by_key_config_selectorIiyEEZZNS1_16scan_by_key_implILNS1_25lookback_scan_determinismE0ELb0ES3_N6thrust23THRUST_200600_302600_NS6detail15normal_iteratorINS9_10device_ptrIiEEEENSB_INSC_IyEEEESG_yNS9_4plusIvEENS9_8equal_toIvEEyEE10hipError_tPvRmT2_T3_T4_T5_mT6_T7_P12ihipStream_tbENKUlT_T0_E_clISt17integral_constantIbLb1EES10_IbLb0EEEEDaSW_SX_EUlSW_E_NS1_11comp_targetILNS1_3genE10ELNS1_11target_archE1201ELNS1_3gpuE5ELNS1_3repE0EEENS1_30default_config_static_selectorELNS0_4arch9wavefront6targetE1EEEvT1_
	.globl	_ZN7rocprim17ROCPRIM_400000_NS6detail17trampoline_kernelINS0_14default_configENS1_27scan_by_key_config_selectorIiyEEZZNS1_16scan_by_key_implILNS1_25lookback_scan_determinismE0ELb0ES3_N6thrust23THRUST_200600_302600_NS6detail15normal_iteratorINS9_10device_ptrIiEEEENSB_INSC_IyEEEESG_yNS9_4plusIvEENS9_8equal_toIvEEyEE10hipError_tPvRmT2_T3_T4_T5_mT6_T7_P12ihipStream_tbENKUlT_T0_E_clISt17integral_constantIbLb1EES10_IbLb0EEEEDaSW_SX_EUlSW_E_NS1_11comp_targetILNS1_3genE10ELNS1_11target_archE1201ELNS1_3gpuE5ELNS1_3repE0EEENS1_30default_config_static_selectorELNS0_4arch9wavefront6targetE1EEEvT1_
	.p2align	8
	.type	_ZN7rocprim17ROCPRIM_400000_NS6detail17trampoline_kernelINS0_14default_configENS1_27scan_by_key_config_selectorIiyEEZZNS1_16scan_by_key_implILNS1_25lookback_scan_determinismE0ELb0ES3_N6thrust23THRUST_200600_302600_NS6detail15normal_iteratorINS9_10device_ptrIiEEEENSB_INSC_IyEEEESG_yNS9_4plusIvEENS9_8equal_toIvEEyEE10hipError_tPvRmT2_T3_T4_T5_mT6_T7_P12ihipStream_tbENKUlT_T0_E_clISt17integral_constantIbLb1EES10_IbLb0EEEEDaSW_SX_EUlSW_E_NS1_11comp_targetILNS1_3genE10ELNS1_11target_archE1201ELNS1_3gpuE5ELNS1_3repE0EEENS1_30default_config_static_selectorELNS0_4arch9wavefront6targetE1EEEvT1_,@function
_ZN7rocprim17ROCPRIM_400000_NS6detail17trampoline_kernelINS0_14default_configENS1_27scan_by_key_config_selectorIiyEEZZNS1_16scan_by_key_implILNS1_25lookback_scan_determinismE0ELb0ES3_N6thrust23THRUST_200600_302600_NS6detail15normal_iteratorINS9_10device_ptrIiEEEENSB_INSC_IyEEEESG_yNS9_4plusIvEENS9_8equal_toIvEEyEE10hipError_tPvRmT2_T3_T4_T5_mT6_T7_P12ihipStream_tbENKUlT_T0_E_clISt17integral_constantIbLb1EES10_IbLb0EEEEDaSW_SX_EUlSW_E_NS1_11comp_targetILNS1_3genE10ELNS1_11target_archE1201ELNS1_3gpuE5ELNS1_3repE0EEENS1_30default_config_static_selectorELNS0_4arch9wavefront6targetE1EEEvT1_: ; @_ZN7rocprim17ROCPRIM_400000_NS6detail17trampoline_kernelINS0_14default_configENS1_27scan_by_key_config_selectorIiyEEZZNS1_16scan_by_key_implILNS1_25lookback_scan_determinismE0ELb0ES3_N6thrust23THRUST_200600_302600_NS6detail15normal_iteratorINS9_10device_ptrIiEEEENSB_INSC_IyEEEESG_yNS9_4plusIvEENS9_8equal_toIvEEyEE10hipError_tPvRmT2_T3_T4_T5_mT6_T7_P12ihipStream_tbENKUlT_T0_E_clISt17integral_constantIbLb1EES10_IbLb0EEEEDaSW_SX_EUlSW_E_NS1_11comp_targetILNS1_3genE10ELNS1_11target_archE1201ELNS1_3gpuE5ELNS1_3repE0EEENS1_30default_config_static_selectorELNS0_4arch9wavefront6targetE1EEEvT1_
; %bb.0:
	.section	.rodata,"a",@progbits
	.p2align	6, 0x0
	.amdhsa_kernel _ZN7rocprim17ROCPRIM_400000_NS6detail17trampoline_kernelINS0_14default_configENS1_27scan_by_key_config_selectorIiyEEZZNS1_16scan_by_key_implILNS1_25lookback_scan_determinismE0ELb0ES3_N6thrust23THRUST_200600_302600_NS6detail15normal_iteratorINS9_10device_ptrIiEEEENSB_INSC_IyEEEESG_yNS9_4plusIvEENS9_8equal_toIvEEyEE10hipError_tPvRmT2_T3_T4_T5_mT6_T7_P12ihipStream_tbENKUlT_T0_E_clISt17integral_constantIbLb1EES10_IbLb0EEEEDaSW_SX_EUlSW_E_NS1_11comp_targetILNS1_3genE10ELNS1_11target_archE1201ELNS1_3gpuE5ELNS1_3repE0EEENS1_30default_config_static_selectorELNS0_4arch9wavefront6targetE1EEEvT1_
		.amdhsa_group_segment_fixed_size 0
		.amdhsa_private_segment_fixed_size 0
		.amdhsa_kernarg_size 136
		.amdhsa_user_sgpr_count 2
		.amdhsa_user_sgpr_dispatch_ptr 0
		.amdhsa_user_sgpr_queue_ptr 0
		.amdhsa_user_sgpr_kernarg_segment_ptr 1
		.amdhsa_user_sgpr_dispatch_id 0
		.amdhsa_user_sgpr_kernarg_preload_length 0
		.amdhsa_user_sgpr_kernarg_preload_offset 0
		.amdhsa_user_sgpr_private_segment_size 0
		.amdhsa_uses_dynamic_stack 0
		.amdhsa_enable_private_segment 0
		.amdhsa_system_sgpr_workgroup_id_x 1
		.amdhsa_system_sgpr_workgroup_id_y 0
		.amdhsa_system_sgpr_workgroup_id_z 0
		.amdhsa_system_sgpr_workgroup_info 0
		.amdhsa_system_vgpr_workitem_id 0
		.amdhsa_next_free_vgpr 1
		.amdhsa_next_free_sgpr 0
		.amdhsa_accum_offset 4
		.amdhsa_reserve_vcc 0
		.amdhsa_float_round_mode_32 0
		.amdhsa_float_round_mode_16_64 0
		.amdhsa_float_denorm_mode_32 3
		.amdhsa_float_denorm_mode_16_64 3
		.amdhsa_dx10_clamp 1
		.amdhsa_ieee_mode 1
		.amdhsa_fp16_overflow 0
		.amdhsa_tg_split 0
		.amdhsa_exception_fp_ieee_invalid_op 0
		.amdhsa_exception_fp_denorm_src 0
		.amdhsa_exception_fp_ieee_div_zero 0
		.amdhsa_exception_fp_ieee_overflow 0
		.amdhsa_exception_fp_ieee_underflow 0
		.amdhsa_exception_fp_ieee_inexact 0
		.amdhsa_exception_int_div_zero 0
	.end_amdhsa_kernel
	.section	.text._ZN7rocprim17ROCPRIM_400000_NS6detail17trampoline_kernelINS0_14default_configENS1_27scan_by_key_config_selectorIiyEEZZNS1_16scan_by_key_implILNS1_25lookback_scan_determinismE0ELb0ES3_N6thrust23THRUST_200600_302600_NS6detail15normal_iteratorINS9_10device_ptrIiEEEENSB_INSC_IyEEEESG_yNS9_4plusIvEENS9_8equal_toIvEEyEE10hipError_tPvRmT2_T3_T4_T5_mT6_T7_P12ihipStream_tbENKUlT_T0_E_clISt17integral_constantIbLb1EES10_IbLb0EEEEDaSW_SX_EUlSW_E_NS1_11comp_targetILNS1_3genE10ELNS1_11target_archE1201ELNS1_3gpuE5ELNS1_3repE0EEENS1_30default_config_static_selectorELNS0_4arch9wavefront6targetE1EEEvT1_,"axG",@progbits,_ZN7rocprim17ROCPRIM_400000_NS6detail17trampoline_kernelINS0_14default_configENS1_27scan_by_key_config_selectorIiyEEZZNS1_16scan_by_key_implILNS1_25lookback_scan_determinismE0ELb0ES3_N6thrust23THRUST_200600_302600_NS6detail15normal_iteratorINS9_10device_ptrIiEEEENSB_INSC_IyEEEESG_yNS9_4plusIvEENS9_8equal_toIvEEyEE10hipError_tPvRmT2_T3_T4_T5_mT6_T7_P12ihipStream_tbENKUlT_T0_E_clISt17integral_constantIbLb1EES10_IbLb0EEEEDaSW_SX_EUlSW_E_NS1_11comp_targetILNS1_3genE10ELNS1_11target_archE1201ELNS1_3gpuE5ELNS1_3repE0EEENS1_30default_config_static_selectorELNS0_4arch9wavefront6targetE1EEEvT1_,comdat
.Lfunc_end1199:
	.size	_ZN7rocprim17ROCPRIM_400000_NS6detail17trampoline_kernelINS0_14default_configENS1_27scan_by_key_config_selectorIiyEEZZNS1_16scan_by_key_implILNS1_25lookback_scan_determinismE0ELb0ES3_N6thrust23THRUST_200600_302600_NS6detail15normal_iteratorINS9_10device_ptrIiEEEENSB_INSC_IyEEEESG_yNS9_4plusIvEENS9_8equal_toIvEEyEE10hipError_tPvRmT2_T3_T4_T5_mT6_T7_P12ihipStream_tbENKUlT_T0_E_clISt17integral_constantIbLb1EES10_IbLb0EEEEDaSW_SX_EUlSW_E_NS1_11comp_targetILNS1_3genE10ELNS1_11target_archE1201ELNS1_3gpuE5ELNS1_3repE0EEENS1_30default_config_static_selectorELNS0_4arch9wavefront6targetE1EEEvT1_, .Lfunc_end1199-_ZN7rocprim17ROCPRIM_400000_NS6detail17trampoline_kernelINS0_14default_configENS1_27scan_by_key_config_selectorIiyEEZZNS1_16scan_by_key_implILNS1_25lookback_scan_determinismE0ELb0ES3_N6thrust23THRUST_200600_302600_NS6detail15normal_iteratorINS9_10device_ptrIiEEEENSB_INSC_IyEEEESG_yNS9_4plusIvEENS9_8equal_toIvEEyEE10hipError_tPvRmT2_T3_T4_T5_mT6_T7_P12ihipStream_tbENKUlT_T0_E_clISt17integral_constantIbLb1EES10_IbLb0EEEEDaSW_SX_EUlSW_E_NS1_11comp_targetILNS1_3genE10ELNS1_11target_archE1201ELNS1_3gpuE5ELNS1_3repE0EEENS1_30default_config_static_selectorELNS0_4arch9wavefront6targetE1EEEvT1_
                                        ; -- End function
	.section	.AMDGPU.csdata,"",@progbits
; Kernel info:
; codeLenInByte = 0
; NumSgprs: 6
; NumVgprs: 0
; NumAgprs: 0
; TotalNumVgprs: 0
; ScratchSize: 0
; MemoryBound: 0
; FloatMode: 240
; IeeeMode: 1
; LDSByteSize: 0 bytes/workgroup (compile time only)
; SGPRBlocks: 0
; VGPRBlocks: 0
; NumSGPRsForWavesPerEU: 6
; NumVGPRsForWavesPerEU: 1
; AccumOffset: 4
; Occupancy: 8
; WaveLimiterHint : 0
; COMPUTE_PGM_RSRC2:SCRATCH_EN: 0
; COMPUTE_PGM_RSRC2:USER_SGPR: 2
; COMPUTE_PGM_RSRC2:TRAP_HANDLER: 0
; COMPUTE_PGM_RSRC2:TGID_X_EN: 1
; COMPUTE_PGM_RSRC2:TGID_Y_EN: 0
; COMPUTE_PGM_RSRC2:TGID_Z_EN: 0
; COMPUTE_PGM_RSRC2:TIDIG_COMP_CNT: 0
; COMPUTE_PGM_RSRC3_GFX90A:ACCUM_OFFSET: 0
; COMPUTE_PGM_RSRC3_GFX90A:TG_SPLIT: 0
	.section	.text._ZN7rocprim17ROCPRIM_400000_NS6detail17trampoline_kernelINS0_14default_configENS1_27scan_by_key_config_selectorIiyEEZZNS1_16scan_by_key_implILNS1_25lookback_scan_determinismE0ELb0ES3_N6thrust23THRUST_200600_302600_NS6detail15normal_iteratorINS9_10device_ptrIiEEEENSB_INSC_IyEEEESG_yNS9_4plusIvEENS9_8equal_toIvEEyEE10hipError_tPvRmT2_T3_T4_T5_mT6_T7_P12ihipStream_tbENKUlT_T0_E_clISt17integral_constantIbLb1EES10_IbLb0EEEEDaSW_SX_EUlSW_E_NS1_11comp_targetILNS1_3genE5ELNS1_11target_archE942ELNS1_3gpuE9ELNS1_3repE0EEENS1_30default_config_static_selectorELNS0_4arch9wavefront6targetE1EEEvT1_,"axG",@progbits,_ZN7rocprim17ROCPRIM_400000_NS6detail17trampoline_kernelINS0_14default_configENS1_27scan_by_key_config_selectorIiyEEZZNS1_16scan_by_key_implILNS1_25lookback_scan_determinismE0ELb0ES3_N6thrust23THRUST_200600_302600_NS6detail15normal_iteratorINS9_10device_ptrIiEEEENSB_INSC_IyEEEESG_yNS9_4plusIvEENS9_8equal_toIvEEyEE10hipError_tPvRmT2_T3_T4_T5_mT6_T7_P12ihipStream_tbENKUlT_T0_E_clISt17integral_constantIbLb1EES10_IbLb0EEEEDaSW_SX_EUlSW_E_NS1_11comp_targetILNS1_3genE5ELNS1_11target_archE942ELNS1_3gpuE9ELNS1_3repE0EEENS1_30default_config_static_selectorELNS0_4arch9wavefront6targetE1EEEvT1_,comdat
	.protected	_ZN7rocprim17ROCPRIM_400000_NS6detail17trampoline_kernelINS0_14default_configENS1_27scan_by_key_config_selectorIiyEEZZNS1_16scan_by_key_implILNS1_25lookback_scan_determinismE0ELb0ES3_N6thrust23THRUST_200600_302600_NS6detail15normal_iteratorINS9_10device_ptrIiEEEENSB_INSC_IyEEEESG_yNS9_4plusIvEENS9_8equal_toIvEEyEE10hipError_tPvRmT2_T3_T4_T5_mT6_T7_P12ihipStream_tbENKUlT_T0_E_clISt17integral_constantIbLb1EES10_IbLb0EEEEDaSW_SX_EUlSW_E_NS1_11comp_targetILNS1_3genE5ELNS1_11target_archE942ELNS1_3gpuE9ELNS1_3repE0EEENS1_30default_config_static_selectorELNS0_4arch9wavefront6targetE1EEEvT1_ ; -- Begin function _ZN7rocprim17ROCPRIM_400000_NS6detail17trampoline_kernelINS0_14default_configENS1_27scan_by_key_config_selectorIiyEEZZNS1_16scan_by_key_implILNS1_25lookback_scan_determinismE0ELb0ES3_N6thrust23THRUST_200600_302600_NS6detail15normal_iteratorINS9_10device_ptrIiEEEENSB_INSC_IyEEEESG_yNS9_4plusIvEENS9_8equal_toIvEEyEE10hipError_tPvRmT2_T3_T4_T5_mT6_T7_P12ihipStream_tbENKUlT_T0_E_clISt17integral_constantIbLb1EES10_IbLb0EEEEDaSW_SX_EUlSW_E_NS1_11comp_targetILNS1_3genE5ELNS1_11target_archE942ELNS1_3gpuE9ELNS1_3repE0EEENS1_30default_config_static_selectorELNS0_4arch9wavefront6targetE1EEEvT1_
	.globl	_ZN7rocprim17ROCPRIM_400000_NS6detail17trampoline_kernelINS0_14default_configENS1_27scan_by_key_config_selectorIiyEEZZNS1_16scan_by_key_implILNS1_25lookback_scan_determinismE0ELb0ES3_N6thrust23THRUST_200600_302600_NS6detail15normal_iteratorINS9_10device_ptrIiEEEENSB_INSC_IyEEEESG_yNS9_4plusIvEENS9_8equal_toIvEEyEE10hipError_tPvRmT2_T3_T4_T5_mT6_T7_P12ihipStream_tbENKUlT_T0_E_clISt17integral_constantIbLb1EES10_IbLb0EEEEDaSW_SX_EUlSW_E_NS1_11comp_targetILNS1_3genE5ELNS1_11target_archE942ELNS1_3gpuE9ELNS1_3repE0EEENS1_30default_config_static_selectorELNS0_4arch9wavefront6targetE1EEEvT1_
	.p2align	8
	.type	_ZN7rocprim17ROCPRIM_400000_NS6detail17trampoline_kernelINS0_14default_configENS1_27scan_by_key_config_selectorIiyEEZZNS1_16scan_by_key_implILNS1_25lookback_scan_determinismE0ELb0ES3_N6thrust23THRUST_200600_302600_NS6detail15normal_iteratorINS9_10device_ptrIiEEEENSB_INSC_IyEEEESG_yNS9_4plusIvEENS9_8equal_toIvEEyEE10hipError_tPvRmT2_T3_T4_T5_mT6_T7_P12ihipStream_tbENKUlT_T0_E_clISt17integral_constantIbLb1EES10_IbLb0EEEEDaSW_SX_EUlSW_E_NS1_11comp_targetILNS1_3genE5ELNS1_11target_archE942ELNS1_3gpuE9ELNS1_3repE0EEENS1_30default_config_static_selectorELNS0_4arch9wavefront6targetE1EEEvT1_,@function
_ZN7rocprim17ROCPRIM_400000_NS6detail17trampoline_kernelINS0_14default_configENS1_27scan_by_key_config_selectorIiyEEZZNS1_16scan_by_key_implILNS1_25lookback_scan_determinismE0ELb0ES3_N6thrust23THRUST_200600_302600_NS6detail15normal_iteratorINS9_10device_ptrIiEEEENSB_INSC_IyEEEESG_yNS9_4plusIvEENS9_8equal_toIvEEyEE10hipError_tPvRmT2_T3_T4_T5_mT6_T7_P12ihipStream_tbENKUlT_T0_E_clISt17integral_constantIbLb1EES10_IbLb0EEEEDaSW_SX_EUlSW_E_NS1_11comp_targetILNS1_3genE5ELNS1_11target_archE942ELNS1_3gpuE9ELNS1_3repE0EEENS1_30default_config_static_selectorELNS0_4arch9wavefront6targetE1EEEvT1_: ; @_ZN7rocprim17ROCPRIM_400000_NS6detail17trampoline_kernelINS0_14default_configENS1_27scan_by_key_config_selectorIiyEEZZNS1_16scan_by_key_implILNS1_25lookback_scan_determinismE0ELb0ES3_N6thrust23THRUST_200600_302600_NS6detail15normal_iteratorINS9_10device_ptrIiEEEENSB_INSC_IyEEEESG_yNS9_4plusIvEENS9_8equal_toIvEEyEE10hipError_tPvRmT2_T3_T4_T5_mT6_T7_P12ihipStream_tbENKUlT_T0_E_clISt17integral_constantIbLb1EES10_IbLb0EEEEDaSW_SX_EUlSW_E_NS1_11comp_targetILNS1_3genE5ELNS1_11target_archE942ELNS1_3gpuE9ELNS1_3repE0EEENS1_30default_config_static_selectorELNS0_4arch9wavefront6targetE1EEEvT1_
; %bb.0:
	s_load_dwordx8 s[92:99], s[0:1], 0x0
	s_load_dwordx8 s[84:91], s[0:1], 0x30
	s_load_dwordx2 s[4:5], s[0:1], 0x50
	s_load_dword s3, s[0:1], 0x58
	s_load_dwordx8 s[16:23], s[0:1], 0x60
	s_waitcnt lgkmcnt(0)
	s_lshl_b64 s[0:1], s[94:95], 2
	s_add_u32 s8, s92, s0
	s_addc_u32 s9, s93, s1
	s_lshl_b64 s[92:93], s[94:95], 3
	s_add_u32 s10, s96, s92
	s_addc_u32 s11, s97, s93
	s_mov_b64 s[96:97], s[4:5]
	s_mul_i32 s0, s97, s3
	s_mul_hi_u32 s1, s96, s3
	s_add_i32 s12, s1, s0
	s_cmp_lg_u64 s[20:21], 0
	s_mul_i32 s0, s2, 0x1500
	s_mov_b32 s1, 0
	s_cselect_b64 s[52:53], -1, 0
	s_lshl_b64 s[4:5], s[0:1], 2
	s_add_u32 s50, s8, s4
	s_addc_u32 s51, s9, s5
	s_lshl_b64 s[94:95], s[0:1], 3
	s_add_u32 s48, s10, s94
	s_mul_i32 s3, s96, s3
	s_addc_u32 s49, s11, s95
	s_add_u32 s54, s3, s2
	s_addc_u32 s55, s12, 0
	s_mov_b64 s[14:15], s[18:19]
	s_mov_b64 s[18:19], s[22:23]
                                        ; implicit-def: $vgpr131 : SGPR spill to VGPR lane
	s_add_u32 s4, s16, -1
	v_writelane_b32 v131, s12, 0
	s_addc_u32 s5, s17, -1
	v_mov_b64_e32 v[2:3], s[4:5]
	v_writelane_b32 v131, s13, 1
	v_writelane_b32 v131, s14, 2
	v_writelane_b32 v131, s15, 3
	v_writelane_b32 v131, s16, 4
	v_writelane_b32 v131, s17, 5
	v_cmp_ge_u64_e64 s[0:1], s[54:55], v[2:3]
	s_mov_b64 s[6:7], 0
	s_mov_b64 s[10:11], -1
	v_writelane_b32 v131, s18, 6
	s_and_b64 vcc, exec, s[0:1]
	s_mul_i32 s33, s4, 0xffffeb00
	s_barrier
	v_writelane_b32 v131, s19, 7
	s_cbranch_vccz .LBB1200_112
; %bb.1:
	v_mov_b64_e32 v[2:3], s[50:51]
	flat_load_dword v2, v[2:3]
	s_add_i32 s64, s33, s90
	v_cmp_gt_u32_e64 s[46:47], s64, v0
	s_waitcnt vmcnt(0) lgkmcnt(0)
	v_mov_b32_e32 v4, v2
	s_and_saveexec_b64 s[4:5], s[46:47]
	s_cbranch_execz .LBB1200_3
; %bb.2:
	v_lshlrev_b32_e32 v4, 2, v0
	v_mov_b32_e32 v5, 0
	v_lshl_add_u64 v[4:5], s[50:51], 0, v[4:5]
	flat_load_dword v4, v[4:5]
.LBB1200_3:
	s_or_b64 exec, exec, s[4:5]
	v_or_b32_e32 v1, 0x100, v0
	v_cmp_gt_u32_e64 s[4:5], s64, v1
	v_mov_b32_e32 v5, v2
	s_and_saveexec_b64 s[6:7], s[4:5]
	s_cbranch_execz .LBB1200_5
; %bb.4:
	v_lshlrev_b32_e32 v6, 2, v0
	v_mov_b32_e32 v7, 0
	v_lshl_add_u64 v[6:7], s[50:51], 0, v[6:7]
	flat_load_dword v5, v[6:7] offset:1024
.LBB1200_5:
	s_or_b64 exec, exec, s[6:7]
	v_or_b32_e32 v1, 0x200, v0
	v_cmp_gt_u32_e64 s[6:7], s64, v1
	v_mov_b32_e32 v6, v2
	s_and_saveexec_b64 s[8:9], s[6:7]
	s_cbranch_execz .LBB1200_7
; %bb.6:
	v_lshlrev_b32_e32 v6, 2, v0
	v_mov_b32_e32 v7, 0
	v_lshl_add_u64 v[6:7], s[50:51], 0, v[6:7]
	flat_load_dword v6, v[6:7] offset:2048
.LBB1200_7:
	;; [unrolled: 12-line block ×3, first 2 shown]
	s_or_b64 exec, exec, s[10:11]
	v_or_b32_e32 v18, 0x400, v0
	v_cmp_gt_u32_e64 s[10:11], s64, v18
	v_mov_b32_e32 v8, v2
	s_and_saveexec_b64 s[12:13], s[10:11]
	s_cbranch_execz .LBB1200_11
; %bb.10:
	v_lshlrev_b32_e32 v8, 2, v18
	v_mov_b32_e32 v9, 0
	v_lshl_add_u64 v[8:9], s[50:51], 0, v[8:9]
	flat_load_dword v8, v[8:9]
.LBB1200_11:
	s_or_b64 exec, exec, s[12:13]
	v_or_b32_e32 v22, 0x500, v0
	v_cmp_gt_u32_e64 s[12:13], s64, v22
	v_mov_b32_e32 v9, v2
	s_and_saveexec_b64 s[14:15], s[12:13]
	s_cbranch_execz .LBB1200_13
; %bb.12:
	v_lshlrev_b32_e32 v10, 2, v22
	v_mov_b32_e32 v11, 0
	v_lshl_add_u64 v[10:11], s[50:51], 0, v[10:11]
	flat_load_dword v9, v[10:11]
.LBB1200_13:
	;; [unrolled: 12-line block ×16, first 2 shown]
	s_or_b64 exec, exec, s[44:45]
	v_or_b32_e32 v65, 0x1400, v0
	v_cmp_gt_u32_e64 s[44:45], s64, v65
	v_mov_b32_e32 v3, 0
	s_and_saveexec_b64 s[56:57], s[44:45]
	s_cbranch_execz .LBB1200_43
; %bb.42:
	v_lshlrev_b32_e32 v2, 2, v65
	v_lshl_add_u64 v[2:3], s[50:51], 0, v[2:3]
	flat_load_dword v2, v[2:3]
.LBB1200_43:
	s_or_b64 exec, exec, s[56:57]
	v_lshlrev_b32_e32 v3, 2, v0
	s_movk_i32 s3, 0x50
	s_waitcnt vmcnt(0) lgkmcnt(0)
	ds_write2st64_b32 v3, v4, v5 offset1:4
	ds_write2st64_b32 v3, v6, v7 offset0:8 offset1:12
	ds_write2st64_b32 v3, v8, v9 offset0:16 offset1:20
	;; [unrolled: 1-line block ×9, first 2 shown]
	ds_write_b32 v3, v2 offset:20480
	v_mad_u32_u24 v2, v0, s3, v3
	s_waitcnt lgkmcnt(0)
	s_barrier
	ds_read2_b32 v[40:41], v2 offset0:7 offset1:8
	ds_read2_b32 v[44:45], v2 offset0:5 offset1:6
	ds_read2_b32 v[28:29], v2 offset0:2 offset1:3
	ds_read2_b32 v[36:37], v2 offset1:1
	ds_read2_b32 v[32:33], v2 offset0:4 offset1:9
	ds_read2_b32 v[8:9], v2 offset0:15 offset1:16
	ds_read_b32 v64, v2 offset:56
	ds_read2_b32 v[20:21], v2 offset0:12 offset1:13
	ds_read2_b32 v[24:25], v2 offset0:10 offset1:11
	ds_read2_b32 v[12:13], v2 offset0:17 offset1:18
	ds_read2_b32 v[4:5], v2 offset0:19 offset1:20
	s_cmp_eq_u64 s[54:55], 0
	s_mov_b64 s[56:57], s[50:51]
	s_cbranch_scc1 .LBB1200_47
; %bb.44:
	s_andn2_b64 vcc, exec, s[52:53]
	s_cbranch_vccnz .LBB1200_291
; %bb.45:
	v_readlane_b32 s68, v131, 0
	v_readlane_b32 s74, v131, 6
	;; [unrolled: 1-line block ×3, first 2 shown]
	s_lshl_b64 s[56:57], s[54:55], 2
	s_mov_b64 s[62:63], s[74:75]
	s_add_u32 s3, s62, s56
	s_addc_u32 s57, s63, s57
	s_add_u32 s56, s3, -4
	s_addc_u32 s57, s57, -1
	v_readlane_b32 s69, v131, 1
	v_readlane_b32 s70, v131, 2
	;; [unrolled: 1-line block ×5, first 2 shown]
	s_cbranch_execnz .LBB1200_47
.LBB1200_46:
	s_add_u32 s56, s50, -4
	s_addc_u32 s57, s51, -1
.LBB1200_47:
	v_mov_b64_e32 v[6:7], s[56:57]
	flat_load_dword v68, v[6:7]
	s_movk_i32 s3, 0xffb0
	v_mad_i32_i24 v66, v0, s3, v2
	v_cmp_ne_u32_e32 vcc, 0, v0
	s_waitcnt lgkmcnt(0)
	ds_write_b32 v66, v5 offset:21504
	s_waitcnt lgkmcnt(0)
	s_barrier
	s_and_saveexec_b64 s[56:57], vcc
	s_cbranch_execz .LBB1200_49
; %bb.48:
	s_waitcnt vmcnt(0)
	ds_read_b32 v68, v66 offset:21500
.LBB1200_49:
	s_or_b64 exec, exec, s[56:57]
	v_mov_b32_e32 v7, 0
	s_waitcnt lgkmcnt(0)
	s_barrier
	s_waitcnt lgkmcnt(0)
                                        ; implicit-def: $vgpr2_vgpr3
	s_and_saveexec_b64 s[56:57], s[46:47]
	s_cbranch_execnz .LBB1200_271
; %bb.50:
	s_or_b64 exec, exec, s[56:57]
                                        ; implicit-def: $vgpr6_vgpr7
	s_and_saveexec_b64 s[46:47], s[4:5]
	s_cbranch_execnz .LBB1200_272
.LBB1200_51:
	s_or_b64 exec, exec, s[46:47]
                                        ; implicit-def: $vgpr10_vgpr11
	s_and_saveexec_b64 s[4:5], s[6:7]
	s_cbranch_execnz .LBB1200_273
.LBB1200_52:
	s_or_b64 exec, exec, s[4:5]
                                        ; implicit-def: $vgpr14_vgpr15
	s_and_saveexec_b64 s[4:5], s[8:9]
	s_cbranch_execnz .LBB1200_274
.LBB1200_53:
	s_or_b64 exec, exec, s[4:5]
                                        ; implicit-def: $vgpr16_vgpr17
	s_and_saveexec_b64 s[4:5], s[10:11]
	s_cbranch_execnz .LBB1200_275
.LBB1200_54:
	s_or_b64 exec, exec, s[4:5]
                                        ; implicit-def: $vgpr18_vgpr19
	s_and_saveexec_b64 s[4:5], s[12:13]
	s_cbranch_execnz .LBB1200_276
.LBB1200_55:
	s_or_b64 exec, exec, s[4:5]
                                        ; implicit-def: $vgpr22_vgpr23
	s_and_saveexec_b64 s[4:5], s[14:15]
	s_cbranch_execnz .LBB1200_277
.LBB1200_56:
	s_or_b64 exec, exec, s[4:5]
                                        ; implicit-def: $vgpr26_vgpr27
	s_and_saveexec_b64 s[4:5], s[16:17]
	s_cbranch_execnz .LBB1200_278
.LBB1200_57:
	s_or_b64 exec, exec, s[4:5]
                                        ; implicit-def: $vgpr30_vgpr31
	s_and_saveexec_b64 s[4:5], s[18:19]
	s_cbranch_execnz .LBB1200_279
.LBB1200_58:
	s_or_b64 exec, exec, s[4:5]
                                        ; implicit-def: $vgpr34_vgpr35
	s_and_saveexec_b64 s[4:5], s[20:21]
	s_cbranch_execnz .LBB1200_280
.LBB1200_59:
	s_or_b64 exec, exec, s[4:5]
                                        ; implicit-def: $vgpr38_vgpr39
	s_and_saveexec_b64 s[4:5], s[22:23]
	s_cbranch_execnz .LBB1200_281
.LBB1200_60:
	s_or_b64 exec, exec, s[4:5]
                                        ; implicit-def: $vgpr42_vgpr43
	s_and_saveexec_b64 s[4:5], s[24:25]
	s_cbranch_execnz .LBB1200_282
.LBB1200_61:
	s_or_b64 exec, exec, s[4:5]
                                        ; implicit-def: $vgpr46_vgpr47
	s_and_saveexec_b64 s[4:5], s[26:27]
	s_cbranch_execnz .LBB1200_283
.LBB1200_62:
	s_or_b64 exec, exec, s[4:5]
                                        ; implicit-def: $vgpr48_vgpr49
	s_and_saveexec_b64 s[4:5], s[28:29]
	s_cbranch_execnz .LBB1200_284
.LBB1200_63:
	s_or_b64 exec, exec, s[4:5]
                                        ; implicit-def: $vgpr50_vgpr51
	s_and_saveexec_b64 s[4:5], s[30:31]
	s_cbranch_execnz .LBB1200_285
.LBB1200_64:
	s_or_b64 exec, exec, s[4:5]
                                        ; implicit-def: $vgpr52_vgpr53
	s_and_saveexec_b64 s[4:5], s[34:35]
	s_cbranch_execnz .LBB1200_286
.LBB1200_65:
	s_or_b64 exec, exec, s[4:5]
                                        ; implicit-def: $vgpr54_vgpr55
	s_and_saveexec_b64 s[4:5], s[36:37]
	s_cbranch_execnz .LBB1200_287
.LBB1200_66:
	s_or_b64 exec, exec, s[4:5]
                                        ; implicit-def: $vgpr56_vgpr57
	s_and_saveexec_b64 s[4:5], s[38:39]
	s_cbranch_execnz .LBB1200_288
.LBB1200_67:
	s_or_b64 exec, exec, s[4:5]
                                        ; implicit-def: $vgpr58_vgpr59
	s_and_saveexec_b64 s[4:5], s[40:41]
	s_cbranch_execnz .LBB1200_289
.LBB1200_68:
	s_or_b64 exec, exec, s[4:5]
                                        ; implicit-def: $vgpr60_vgpr61
	s_and_saveexec_b64 s[4:5], s[42:43]
	s_cbranch_execnz .LBB1200_290
.LBB1200_69:
	s_or_b64 exec, exec, s[4:5]
                                        ; implicit-def: $vgpr62_vgpr63
	s_and_saveexec_b64 s[4:5], s[44:45]
	s_cbranch_execz .LBB1200_71
.LBB1200_70:
	v_lshlrev_b32_e32 v62, 3, v65
	v_mov_b32_e32 v63, 0
	v_lshl_add_u64 v[62:63], s[48:49], 0, v[62:63]
	flat_load_dwordx2 v[62:63], v[62:63]
.LBB1200_71:
	s_or_b64 exec, exec, s[4:5]
	v_lshl_add_u32 v69, v0, 2, v66
	v_mul_u32_u24_e32 v65, 21, v0
	s_waitcnt vmcnt(0) lgkmcnt(0)
	ds_write2st64_b64 v69, v[2:3], v[6:7] offset1:4
	ds_write2st64_b64 v69, v[10:11], v[14:15] offset0:8 offset1:12
	ds_write2st64_b64 v69, v[16:17], v[18:19] offset0:16 offset1:20
	;; [unrolled: 1-line block ×9, first 2 shown]
	ds_write_b64 v69, v[62:63] offset:40960
	v_mov_b64_e32 v[10:11], 0
	v_cmp_gt_u32_e32 vcc, s64, v65
	s_mov_b64 s[6:7], 0
	s_mov_b64 s[10:11], 0
	s_mov_b32 s3, 0
	v_mov_b32_e32 v128, 0
	v_mov_b32_e32 v122, 0
	;; [unrolled: 1-line block ×5, first 2 shown]
	v_mov_b64_e32 v[70:71], v[10:11]
	v_mov_b64_e32 v[78:79], v[10:11]
	;; [unrolled: 1-line block ×8, first 2 shown]
	v_mov_b32_e32 v124, 0
	v_mov_b64_e32 v[38:39], v[10:11]
	v_mov_b64_e32 v[50:51], v[10:11]
	v_mov_b64_e32 v[30:31], v[10:11]
	v_mov_b64_e32 v[42:43], v[10:11]
	v_mov_b64_e32 v[22:23], v[10:11]
	v_mov_b32_e32 v123, 0
	v_mov_b64_e32 v[34:35], v[10:11]
	v_mov_b64_e32 v[18:19], v[10:11]
	;; [unrolled: 1-line block ×5, first 2 shown]
	v_mov_b32_e32 v1, 0
	v_mov_b64_e32 v[2:3], v[10:11]
	s_waitcnt lgkmcnt(0)
	s_barrier
	s_waitcnt lgkmcnt(0)
                                        ; implicit-def: $sgpr4_sgpr5
                                        ; implicit-def: $vgpr83
                                        ; implicit-def: $vgpr82
                                        ; implicit-def: $vgpr84
                                        ; implicit-def: $vgpr85
	s_and_saveexec_b64 s[12:13], vcc
	s_cbranch_execz .LBB1200_111
; %bb.72:
	s_movk_i32 s4, 0xa0
	v_mad_u32_u24 v2, v0, s4, v69
	ds_read_b64 v[2:3], v2
	v_cmp_ne_u32_e32 vcc, v68, v36
	v_add_u32_e32 v6, 1, v65
	v_mov_b64_e32 v[10:11], 0
	v_cndmask_b32_e64 v1, 0, 1, vcc
	v_cmp_gt_u32_e32 vcc, s64, v6
	s_mov_b64 s[18:19], 0
	v_mov_b32_e32 v128, 0
	v_mov_b32_e32 v122, 0
	;; [unrolled: 1-line block ×5, first 2 shown]
	v_mov_b64_e32 v[70:71], v[10:11]
	v_mov_b64_e32 v[78:79], v[10:11]
	;; [unrolled: 1-line block ×8, first 2 shown]
	v_mov_b32_e32 v124, 0
	v_mov_b64_e32 v[38:39], v[10:11]
	v_mov_b64_e32 v[50:51], v[10:11]
	;; [unrolled: 1-line block ×5, first 2 shown]
	v_mov_b32_e32 v123, 0
	v_mov_b64_e32 v[34:35], v[10:11]
	v_mov_b64_e32 v[18:19], v[10:11]
	;; [unrolled: 1-line block ×5, first 2 shown]
                                        ; implicit-def: $sgpr4_sgpr5
                                        ; implicit-def: $vgpr83
                                        ; implicit-def: $vgpr82
                                        ; implicit-def: $vgpr84
                                        ; implicit-def: $vgpr85
	s_and_saveexec_b64 s[14:15], vcc
	s_cbranch_execz .LBB1200_110
; %bb.73:
	v_mul_u32_u24_e32 v6, 0xa0, v0
	v_add_u32_e32 v48, v69, v6
	ds_read2_b64 v[14:17], v48 offset0:1 offset1:2
	v_cmp_ne_u32_e64 s[8:9], v36, v37
	v_add_u32_e32 v6, 2, v65
	v_mov_b64_e32 v[10:11], 0
	v_cmp_ne_u32_e32 vcc, v28, v29
	v_cmp_ne_u32_e64 s[6:7], v29, v32
	v_cmp_ne_u32_e64 s[4:5], v37, v28
	v_cndmask_b32_e64 v128, 0, 1, s[8:9]
	v_cmp_gt_u32_e64 s[8:9], s64, v6
	s_mov_b64 s[20:21], 0
	v_mov_b32_e32 v127, 0
	v_mov_b32_e32 v122, 0
	;; [unrolled: 1-line block ×4, first 2 shown]
	v_mov_b64_e32 v[70:71], v[10:11]
	v_mov_b64_e32 v[78:79], v[10:11]
	;; [unrolled: 1-line block ×8, first 2 shown]
	v_mov_b32_e32 v124, 0
	v_mov_b64_e32 v[38:39], v[10:11]
	v_mov_b64_e32 v[50:51], v[10:11]
	;; [unrolled: 1-line block ×5, first 2 shown]
	v_mov_b32_e32 v123, 0
	v_mov_b64_e32 v[34:35], v[10:11]
	v_mov_b64_e32 v[18:19], v[10:11]
	;; [unrolled: 1-line block ×4, first 2 shown]
                                        ; implicit-def: $sgpr22_sgpr23
                                        ; implicit-def: $vgpr83
                                        ; implicit-def: $vgpr82
                                        ; implicit-def: $vgpr84
                                        ; implicit-def: $vgpr85
	s_and_saveexec_b64 s[16:17], s[8:9]
	s_cbranch_execz .LBB1200_109
; %bb.74:
	v_cndmask_b32_e64 v6, 0, 1, s[4:5]
	v_cndmask_b32_e64 v7, 0, 1, s[6:7]
	v_lshlrev_b16_e32 v6, 8, v6
	v_lshlrev_b16_e32 v7, 8, v7
	v_cndmask_b32_e64 v10, 0, 1, vcc
	v_or_b32_e32 v6, v128, v6
	v_or_b32_sdwa v7, v10, v7 dst_sel:WORD_1 dst_unused:UNUSED_PAD src0_sel:DWORD src1_sel:DWORD
	v_add_u32_e32 v10, 3, v65
	v_or_b32_sdwa v83, v6, v7 dst_sel:DWORD dst_unused:UNUSED_PAD src0_sel:WORD_0 src1_sel:DWORD
	v_cmp_gt_u32_e32 vcc, s64, v10
	v_mov_b64_e32 v[10:11], 0
	v_and_b32_e32 v128, 0xffff, v83
	s_waitcnt lgkmcnt(0)
	v_mov_b32_e32 v6, v16
	v_mov_b32_e32 v7, v17
	s_mov_b64 s[4:5], 0
	v_mov_b32_e32 v127, 0
	v_mov_b32_e32 v122, 0
	;; [unrolled: 1-line block ×4, first 2 shown]
	v_mov_b64_e32 v[70:71], v[10:11]
	v_mov_b64_e32 v[78:79], v[10:11]
	;; [unrolled: 1-line block ×8, first 2 shown]
	v_mov_b32_e32 v124, 0
	v_mov_b64_e32 v[38:39], v[10:11]
	v_mov_b64_e32 v[50:51], v[10:11]
	v_mov_b64_e32 v[30:31], v[10:11]
	v_mov_b64_e32 v[42:43], v[10:11]
	v_mov_b64_e32 v[22:23], v[10:11]
	v_mov_b32_e32 v123, 0
	v_mov_b64_e32 v[34:35], v[10:11]
	v_mov_b64_e32 v[18:19], v[10:11]
	;; [unrolled: 1-line block ×3, first 2 shown]
                                        ; implicit-def: $sgpr6_sgpr7
                                        ; implicit-def: $vgpr82
                                        ; implicit-def: $vgpr84
                                        ; implicit-def: $vgpr85
	s_and_saveexec_b64 s[18:19], vcc
	s_cbranch_execz .LBB1200_108
; %bb.75:
	ds_read2_b64 v[26:29], v48 offset0:3 offset1:4
	v_add_u32_e32 v10, 4, v65
	v_cmp_gt_u32_e32 vcc, s64, v10
	v_mov_b64_e32 v[10:11], 0
	v_and_b32_e32 v128, 0xffffff, v83
	s_mov_b64 s[6:7], 0
	v_mov_b32_e32 v127, 0
	v_mov_b32_e32 v122, 0
	;; [unrolled: 1-line block ×4, first 2 shown]
	v_mov_b64_e32 v[70:71], v[10:11]
	v_mov_b64_e32 v[78:79], v[10:11]
	;; [unrolled: 1-line block ×8, first 2 shown]
	v_mov_b32_e32 v124, 0
	v_mov_b64_e32 v[38:39], v[10:11]
	v_mov_b64_e32 v[50:51], v[10:11]
	;; [unrolled: 1-line block ×5, first 2 shown]
	v_mov_b32_e32 v123, 0
	v_mov_b64_e32 v[34:35], v[10:11]
	v_mov_b64_e32 v[18:19], v[10:11]
                                        ; implicit-def: $sgpr8_sgpr9
                                        ; implicit-def: $vgpr82
                                        ; implicit-def: $vgpr84
                                        ; implicit-def: $vgpr85
	s_and_saveexec_b64 s[20:21], vcc
	s_cbranch_execz .LBB1200_107
; %bb.76:
	v_add_u32_e32 v10, 5, v65
	v_cmp_gt_u32_e32 vcc, s64, v10
	v_mov_b64_e32 v[10:11], 0
	s_waitcnt lgkmcnt(0)
	v_mov_b32_e32 v18, v28
	v_mov_b32_e32 v19, v29
	;; [unrolled: 1-line block ×6, first 2 shown]
	v_mov_b64_e32 v[70:71], v[10:11]
	v_mov_b64_e32 v[78:79], v[10:11]
	;; [unrolled: 1-line block ×8, first 2 shown]
	v_mov_b32_e32 v124, 0
	v_mov_b64_e32 v[38:39], v[10:11]
	v_mov_b64_e32 v[50:51], v[10:11]
	;; [unrolled: 1-line block ×5, first 2 shown]
	v_mov_b32_e32 v123, 0
	v_mov_b64_e32 v[34:35], v[10:11]
                                        ; implicit-def: $sgpr8_sgpr9
                                        ; implicit-def: $vgpr82
                                        ; implicit-def: $vgpr84
                                        ; implicit-def: $vgpr85
	s_and_saveexec_b64 s[22:23], vcc
	s_cbranch_execz .LBB1200_106
; %bb.77:
	ds_read2_b64 v[34:37], v48 offset0:5 offset1:6
	v_cmp_ne_u32_e32 vcc, v32, v44
	v_add_u32_e32 v10, 6, v65
	s_mov_b64 s[28:29], 0
	v_cndmask_b32_e64 v123, 0, 1, vcc
	v_cmp_gt_u32_e32 vcc, s64, v10
	v_mov_b64_e32 v[10:11], 0
	v_mov_b32_e32 v127, 0
	v_mov_b32_e32 v122, 0
	;; [unrolled: 1-line block ×4, first 2 shown]
	v_mov_b64_e32 v[70:71], v[10:11]
	v_mov_b64_e32 v[78:79], v[10:11]
	;; [unrolled: 1-line block ×8, first 2 shown]
	v_mov_b32_e32 v124, 0
	v_mov_b64_e32 v[38:39], v[10:11]
	v_mov_b64_e32 v[50:51], v[10:11]
	;; [unrolled: 1-line block ×5, first 2 shown]
                                        ; implicit-def: $sgpr6_sgpr7
                                        ; implicit-def: $vgpr82
                                        ; implicit-def: $vgpr84
                                        ; implicit-def: $vgpr85
	s_and_saveexec_b64 s[24:25], vcc
	s_cbranch_execz .LBB1200_105
; %bb.78:
	v_cmp_ne_u32_e64 s[8:9], v44, v45
	v_add_u32_e32 v10, 7, v65
	s_waitcnt lgkmcnt(0)
	v_mov_b32_e32 v22, v36
	v_cndmask_b32_e64 v127, 0, 1, s[8:9]
	v_cmp_gt_u32_e64 s[8:9], s64, v10
	v_mov_b64_e32 v[10:11], 0
	v_mov_b32_e32 v23, v37
	v_cmp_ne_u32_e32 vcc, v40, v41
	v_cmp_ne_u32_e64 s[6:7], v41, v33
	v_cmp_ne_u32_e64 s[4:5], v45, v40
	s_mov_b64 s[30:31], 0
	v_mov_b32_e32 v126, 0
	v_mov_b32_e32 v122, 0
	;; [unrolled: 1-line block ×3, first 2 shown]
	v_mov_b64_e32 v[70:71], v[10:11]
	v_mov_b64_e32 v[78:79], v[10:11]
	;; [unrolled: 1-line block ×8, first 2 shown]
	v_mov_b32_e32 v124, 0
	v_mov_b64_e32 v[38:39], v[10:11]
	v_mov_b64_e32 v[50:51], v[10:11]
	;; [unrolled: 1-line block ×4, first 2 shown]
                                        ; implicit-def: $sgpr34_sgpr35
                                        ; implicit-def: $vgpr82
                                        ; implicit-def: $vgpr84
                                        ; implicit-def: $vgpr85
	s_and_saveexec_b64 s[26:27], s[8:9]
	s_cbranch_execz .LBB1200_104
; %bb.79:
	v_cndmask_b32_e64 v10, 0, 1, s[4:5]
	v_cndmask_b32_e64 v11, 0, 1, s[6:7]
	v_lshlrev_b16_e32 v10, 8, v10
	v_lshlrev_b16_e32 v11, 8, v11
	v_cndmask_b32_e64 v16, 0, 1, vcc
	ds_read2_b64 v[42:45], v48 offset0:7 offset1:8
	v_or_b32_e32 v10, v127, v10
	v_or_b32_sdwa v11, v16, v11 dst_sel:WORD_1 dst_unused:UNUSED_PAD src0_sel:DWORD src1_sel:DWORD
	s_mov_b64 s[4:5], 0
	v_or_b32_sdwa v82, v10, v11 dst_sel:DWORD dst_unused:UNUSED_PAD src0_sel:WORD_0 src1_sel:DWORD
	v_add_u32_e32 v10, 8, v65
	v_cmp_gt_u32_e32 vcc, s64, v10
	v_mov_b64_e32 v[10:11], 0
	v_and_b32_e32 v127, 0xffff, v82
	v_mov_b32_e32 v126, 0
	v_mov_b32_e32 v122, 0
	;; [unrolled: 1-line block ×3, first 2 shown]
	v_mov_b64_e32 v[70:71], v[10:11]
	v_mov_b64_e32 v[78:79], v[10:11]
	;; [unrolled: 1-line block ×8, first 2 shown]
	v_mov_b32_e32 v124, 0
	v_mov_b64_e32 v[38:39], v[10:11]
	v_mov_b64_e32 v[50:51], v[10:11]
	;; [unrolled: 1-line block ×3, first 2 shown]
                                        ; implicit-def: $sgpr6_sgpr7
                                        ; implicit-def: $vgpr84
                                        ; implicit-def: $vgpr85
	s_and_saveexec_b64 s[28:29], vcc
	s_cbranch_execz .LBB1200_103
; %bb.80:
	v_add_u32_e32 v10, 9, v65
	v_cmp_gt_u32_e32 vcc, s64, v10
	v_mov_b64_e32 v[10:11], 0
	s_waitcnt lgkmcnt(0)
	v_mov_b32_e32 v30, v44
	v_mov_b32_e32 v31, v45
	v_and_b32_e32 v127, 0xffffff, v82
	s_mov_b64 s[6:7], 0
	v_mov_b32_e32 v126, 0
	v_mov_b32_e32 v122, 0
	;; [unrolled: 1-line block ×3, first 2 shown]
	v_mov_b64_e32 v[70:71], v[10:11]
	v_mov_b64_e32 v[78:79], v[10:11]
	;; [unrolled: 1-line block ×8, first 2 shown]
	v_mov_b32_e32 v124, 0
	v_mov_b64_e32 v[38:39], v[10:11]
	v_mov_b64_e32 v[50:51], v[10:11]
                                        ; implicit-def: $sgpr8_sgpr9
                                        ; implicit-def: $vgpr84
                                        ; implicit-def: $vgpr85
	s_and_saveexec_b64 s[30:31], vcc
	s_cbranch_execz .LBB1200_102
; %bb.81:
	ds_read2_b64 v[50:53], v48 offset0:9 offset1:10
	v_add_u32_e32 v10, 10, v65
	v_cmp_gt_u32_e32 vcc, s64, v10
	v_mov_b64_e32 v[10:11], 0
	v_mov_b32_e32 v126, 0
	v_mov_b32_e32 v122, 0
	;; [unrolled: 1-line block ×3, first 2 shown]
	v_mov_b64_e32 v[70:71], v[10:11]
	v_mov_b64_e32 v[78:79], v[10:11]
	;; [unrolled: 1-line block ×8, first 2 shown]
	v_mov_b32_e32 v124, 0
	v_mov_b64_e32 v[38:39], v[10:11]
                                        ; implicit-def: $sgpr8_sgpr9
                                        ; implicit-def: $vgpr84
                                        ; implicit-def: $vgpr85
	s_and_saveexec_b64 s[34:35], vcc
	s_cbranch_execz .LBB1200_101
; %bb.82:
	v_cmp_ne_u32_e32 vcc, v33, v24
	v_add_u32_e32 v10, 11, v65
	s_waitcnt lgkmcnt(0)
	v_mov_b32_e32 v38, v52
	v_cndmask_b32_e64 v124, 0, 1, vcc
	v_cmp_gt_u32_e32 vcc, s64, v10
	v_mov_b64_e32 v[10:11], 0
	v_mov_b32_e32 v39, v53
	s_mov_b64 s[40:41], 0
	v_mov_b32_e32 v126, 0
	v_mov_b32_e32 v122, 0
	;; [unrolled: 1-line block ×3, first 2 shown]
	v_mov_b64_e32 v[70:71], v[10:11]
	v_mov_b64_e32 v[78:79], v[10:11]
	;; [unrolled: 1-line block ×8, first 2 shown]
                                        ; implicit-def: $sgpr6_sgpr7
                                        ; implicit-def: $vgpr84
                                        ; implicit-def: $vgpr85
	s_and_saveexec_b64 s[36:37], vcc
	s_cbranch_execz .LBB1200_100
; %bb.83:
	ds_read2_b64 v[58:61], v48 offset0:11 offset1:12
	v_cmp_ne_u32_e64 s[8:9], v24, v25
	v_add_u32_e32 v10, 12, v65
	v_cmp_ne_u32_e32 vcc, v20, v21
	v_cndmask_b32_e64 v126, 0, 1, s[8:9]
	v_cmp_gt_u32_e64 s[8:9], s64, v10
	v_mov_b64_e32 v[10:11], 0
	v_cmp_ne_u32_e64 s[6:7], v21, v64
	v_cmp_ne_u32_e64 s[4:5], v25, v20
	s_mov_b64 s[42:43], 0
	v_mov_b32_e32 v125, 0
	v_mov_b32_e32 v122, 0
	v_mov_b64_e32 v[70:71], v[10:11]
	v_mov_b64_e32 v[78:79], v[10:11]
	;; [unrolled: 1-line block ×7, first 2 shown]
                                        ; implicit-def: $sgpr44_sgpr45
                                        ; implicit-def: $vgpr84
                                        ; implicit-def: $vgpr85
	s_and_saveexec_b64 s[38:39], s[8:9]
	s_cbranch_execz .LBB1200_99
; %bb.84:
	v_cndmask_b32_e64 v10, 0, 1, s[4:5]
	v_cndmask_b32_e64 v11, 0, 1, s[6:7]
	v_lshlrev_b16_e32 v10, 8, v10
	v_lshlrev_b16_e32 v11, 8, v11
	v_cndmask_b32_e64 v16, 0, 1, vcc
	v_or_b32_e32 v10, v126, v10
	v_or_b32_sdwa v11, v16, v11 dst_sel:WORD_1 dst_unused:UNUSED_PAD src0_sel:DWORD src1_sel:DWORD
	s_waitcnt lgkmcnt(0)
	v_mov_b32_e32 v46, v60
	v_or_b32_sdwa v84, v10, v11 dst_sel:DWORD dst_unused:UNUSED_PAD src0_sel:WORD_0 src1_sel:DWORD
	v_add_u32_e32 v10, 13, v65
	v_cmp_gt_u32_e32 vcc, s64, v10
	v_mov_b64_e32 v[10:11], 0
	v_and_b32_e32 v126, 0xffff, v84
	v_mov_b32_e32 v47, v61
	s_mov_b64 s[4:5], 0
	v_mov_b32_e32 v125, 0
	v_mov_b32_e32 v122, 0
	v_mov_b64_e32 v[70:71], v[10:11]
	v_mov_b64_e32 v[78:79], v[10:11]
	;; [unrolled: 1-line block ×6, first 2 shown]
                                        ; implicit-def: $sgpr6_sgpr7
                                        ; implicit-def: $vgpr85
	s_and_saveexec_b64 s[40:41], vcc
	s_cbranch_execz .LBB1200_98
; %bb.85:
	ds_read2_b64 v[66:69], v48 offset0:13 offset1:14
	v_add_u32_e32 v10, 14, v65
	v_cmp_gt_u32_e32 vcc, s64, v10
	v_mov_b64_e32 v[10:11], 0
	v_and_b32_e32 v126, 0xffffff, v84
	s_mov_b64 s[6:7], 0
	v_mov_b32_e32 v125, 0
	v_mov_b32_e32 v122, 0
	v_mov_b64_e32 v[70:71], v[10:11]
	v_mov_b64_e32 v[78:79], v[10:11]
	;; [unrolled: 1-line block ×5, first 2 shown]
                                        ; implicit-def: $sgpr8_sgpr9
                                        ; implicit-def: $vgpr85
	s_and_saveexec_b64 s[42:43], vcc
	s_cbranch_execz .LBB1200_97
; %bb.86:
	v_add_u32_e32 v10, 15, v65
	v_cmp_gt_u32_e32 vcc, s64, v10
	v_mov_b64_e32 v[10:11], 0
	s_waitcnt lgkmcnt(0)
	v_mov_b32_e32 v54, v68
	v_mov_b32_e32 v55, v69
	v_mov_b32_e32 v125, 0
	v_mov_b32_e32 v122, 0
	v_mov_b64_e32 v[70:71], v[10:11]
	v_mov_b64_e32 v[78:79], v[10:11]
	;; [unrolled: 1-line block ×4, first 2 shown]
                                        ; implicit-def: $sgpr8_sgpr9
                                        ; implicit-def: $vgpr85
	s_and_saveexec_b64 s[44:45], vcc
	s_cbranch_execz .LBB1200_96
; %bb.87:
	ds_read2_b64 v[74:77], v48 offset0:15 offset1:16
	v_cmp_ne_u32_e32 vcc, v64, v8
	v_add_u32_e32 v10, 16, v65
	s_mov_b64 s[58:59], 0
	v_cndmask_b32_e64 v122, 0, 1, vcc
	v_cmp_gt_u32_e32 vcc, s64, v10
	v_mov_b64_e32 v[10:11], 0
	v_mov_b32_e32 v125, 0
	v_mov_b64_e32 v[70:71], v[10:11]
	v_mov_b64_e32 v[78:79], v[10:11]
	;; [unrolled: 1-line block ×3, first 2 shown]
                                        ; implicit-def: $sgpr6_sgpr7
                                        ; implicit-def: $vgpr85
	s_and_saveexec_b64 s[46:47], vcc
	s_cbranch_execz .LBB1200_95
; %bb.88:
	v_cmp_ne_u32_e64 s[8:9], v8, v9
	v_add_u32_e32 v8, 17, v65
	v_mov_b64_e32 v[10:11], 0
	s_waitcnt lgkmcnt(0)
	v_mov_b32_e32 v62, v76
	v_mov_b32_e32 v63, v77
	v_cmp_ne_u32_e32 vcc, v12, v13
	v_cmp_ne_u32_e64 s[6:7], v13, v4
	v_cmp_ne_u32_e64 s[4:5], v9, v12
	v_cndmask_b32_e64 v125, 0, 1, s[8:9]
	v_cmp_gt_u32_e64 s[8:9], s64, v8
	s_mov_b64 s[60:61], 0
	v_mov_b64_e32 v[70:71], v[10:11]
	v_mov_b64_e32 v[78:79], v[10:11]
                                        ; implicit-def: $sgpr62_sgpr63
                                        ; implicit-def: $vgpr85
	s_and_saveexec_b64 s[56:57], s[8:9]
	s_cbranch_execz .LBB1200_94
; %bb.89:
	v_cndmask_b32_e64 v8, 0, 1, s[4:5]
	v_cndmask_b32_e64 v9, 0, 1, s[6:7]
	ds_read2_b64 v[78:81], v48 offset0:17 offset1:18
	v_lshlrev_b16_e32 v8, 8, v8
	v_lshlrev_b16_e32 v9, 8, v9
	v_cndmask_b32_e64 v10, 0, 1, vcc
	v_or_b32_e32 v8, v125, v8
	v_or_b32_sdwa v9, v10, v9 dst_sel:WORD_1 dst_unused:UNUSED_PAD src0_sel:DWORD src1_sel:DWORD
	v_mov_b64_e32 v[10:11], 0
	v_or_b32_sdwa v85, v8, v9 dst_sel:DWORD dst_unused:UNUSED_PAD src0_sel:WORD_0 src1_sel:DWORD
	v_add_u32_e32 v8, 18, v65
	v_and_b32_e32 v125, 0xffff, v85
	v_cmp_gt_u32_e32 vcc, s64, v8
	s_mov_b64 s[4:5], 0
	v_mov_b64_e32 v[70:71], v[10:11]
                                        ; implicit-def: $sgpr8_sgpr9
	s_and_saveexec_b64 s[6:7], vcc
	s_cbranch_execz .LBB1200_93
; %bb.90:
	v_add_u32_e32 v8, 19, v65
	s_waitcnt lgkmcnt(0)
	v_mov_b32_e32 v70, v80
	v_mov_b32_e32 v71, v81
	v_cmp_gt_u32_e32 vcc, s64, v8
	v_and_b32_e32 v125, 0xffffff, v85
	v_mov_b64_e32 v[10:11], 0
                                        ; implicit-def: $sgpr8_sgpr9
	s_and_saveexec_b64 s[58:59], vcc
	s_xor_b64 s[58:59], exec, s[58:59]
	s_cbranch_execz .LBB1200_92
; %bb.91:
	ds_read2_b64 v[10:13], v48 offset0:19 offset1:20
	v_cmp_ne_u32_e32 vcc, v4, v5
	v_add_u32_e32 v4, 20, v65
	v_cmp_gt_u32_e64 s[4:5], s64, v4
	s_and_b64 s[8:9], vcc, exec
	s_and_b64 s[4:5], s[4:5], exec
	s_waitcnt lgkmcnt(0)
	v_mov_b64_e32 v[72:73], v[10:11]
	v_mov_b32_e32 v125, v85
.LBB1200_92:
	s_or_b64 exec, exec, s[58:59]
	s_and_b64 s[8:9], s[8:9], exec
	s_and_b64 s[60:61], s[4:5], exec
.LBB1200_93:
	s_or_b64 exec, exec, s[6:7]
	s_and_b64 s[62:63], s[8:9], exec
	s_and_b64 s[58:59], s[60:61], exec
	s_waitcnt lgkmcnt(0)
	v_mov_b64_e32 v[64:65], v[78:79]
	v_mov_b64_e32 v[56:57], v[74:75]
	;; [unrolled: 1-line block ×9, first 2 shown]
.LBB1200_94:
	s_or_b64 exec, exec, s[56:57]
	s_and_b64 s[6:7], s[62:63], exec
	s_and_b64 s[4:5], s[58:59], exec
.LBB1200_95:
	s_or_b64 exec, exec, s[46:47]
	s_and_b64 s[8:9], s[6:7], exec
	s_and_b64 s[6:7], s[4:5], exec
.LBB1200_96:
	s_or_b64 exec, exec, s[44:45]
	s_and_b64 s[8:9], s[8:9], exec
	s_and_b64 s[4:5], s[6:7], exec
	v_mov_b32_e32 v126, v84
.LBB1200_97:
	s_or_b64 exec, exec, s[42:43]
	s_and_b64 s[6:7], s[8:9], exec
	s_and_b64 s[42:43], s[4:5], exec
.LBB1200_98:
	s_or_b64 exec, exec, s[40:41]
	s_and_b64 s[44:45], s[6:7], exec
	s_and_b64 s[40:41], s[42:43], exec
.LBB1200_99:
	s_or_b64 exec, exec, s[38:39]
	s_and_b64 s[6:7], s[44:45], exec
	s_and_b64 s[4:5], s[40:41], exec
.LBB1200_100:
	s_or_b64 exec, exec, s[36:37]
	s_and_b64 s[8:9], s[6:7], exec
	s_and_b64 s[6:7], s[4:5], exec
.LBB1200_101:
	s_or_b64 exec, exec, s[34:35]
	s_and_b64 s[8:9], s[8:9], exec
	s_and_b64 s[4:5], s[6:7], exec
	v_mov_b32_e32 v127, v82
.LBB1200_102:
	s_or_b64 exec, exec, s[30:31]
	s_and_b64 s[6:7], s[8:9], exec
	s_and_b64 s[30:31], s[4:5], exec
.LBB1200_103:
	s_or_b64 exec, exec, s[28:29]
	s_and_b64 s[34:35], s[6:7], exec
	s_and_b64 s[28:29], s[30:31], exec
.LBB1200_104:
	s_or_b64 exec, exec, s[26:27]
	s_and_b64 s[6:7], s[34:35], exec
	s_and_b64 s[4:5], s[28:29], exec
.LBB1200_105:
	s_or_b64 exec, exec, s[24:25]
	s_and_b64 s[8:9], s[6:7], exec
	s_and_b64 s[6:7], s[4:5], exec
.LBB1200_106:
	s_or_b64 exec, exec, s[22:23]
	s_and_b64 s[8:9], s[8:9], exec
	s_and_b64 s[4:5], s[6:7], exec
	v_mov_b32_e32 v128, v83
.LBB1200_107:
	s_or_b64 exec, exec, s[20:21]
	s_and_b64 s[6:7], s[8:9], exec
	s_and_b64 s[20:21], s[4:5], exec
.LBB1200_108:
	s_or_b64 exec, exec, s[18:19]
	s_and_b64 s[22:23], s[6:7], exec
	s_and_b64 s[18:19], s[20:21], exec
.LBB1200_109:
	s_or_b64 exec, exec, s[16:17]
	s_and_b64 s[4:5], s[22:23], exec
	s_and_b64 s[6:7], s[18:19], exec
.LBB1200_110:
	s_or_b64 exec, exec, s[14:15]
	s_and_b64 s[4:5], s[4:5], exec
	s_and_b64 s[6:7], s[6:7], exec
.LBB1200_111:
	s_or_b64 exec, exec, s[12:13]
	s_mov_b64 s[8:9], 0
	s_and_b64 vcc, exec, s[10:11]
	s_cbranch_vccnz .LBB1200_113
	s_branch .LBB1200_121
.LBB1200_112:
                                        ; implicit-def: $sgpr4_sgpr5
                                        ; implicit-def: $vgpr83
                                        ; implicit-def: $vgpr82
                                        ; implicit-def: $vgpr84
                                        ; implicit-def: $vgpr85
                                        ; implicit-def: $vgpr12_vgpr13
                                        ; implicit-def: $vgpr72_vgpr73
                                        ; implicit-def: $vgpr64_vgpr65
                                        ; implicit-def: $vgpr122
                                        ; implicit-def: $vgpr56_vgpr57
                                        ; implicit-def: $vgpr48_vgpr49
                                        ; implicit-def: $vgpr40_vgpr41
                                        ; implicit-def: $vgpr124
                                        ; implicit-def: $vgpr32_vgpr33
                                        ; implicit-def: $vgpr24_vgpr25
                                        ; implicit-def: $vgpr123
                                        ; implicit-def: $vgpr20_vgpr21
                                        ; implicit-def: $vgpr8_vgpr9
                                        ; implicit-def: $vgpr4_vgpr5
                                        ; implicit-def: $vgpr1
                                        ; implicit-def: $vgpr128
                                        ; implicit-def: $vgpr127
                                        ; implicit-def: $vgpr126
                                        ; implicit-def: $vgpr125
                                        ; implicit-def: $sgpr3
                                        ; implicit-def: $sgpr8_sgpr9
                                        ; implicit-def: $vgpr78_vgpr79
                                        ; implicit-def: $vgpr74_vgpr75
                                        ; implicit-def: $vgpr66_vgpr67
                                        ; implicit-def: $vgpr58_vgpr59
                                        ; implicit-def: $vgpr50_vgpr51
                                        ; implicit-def: $vgpr42_vgpr43
                                        ; implicit-def: $vgpr34_vgpr35
                                        ; implicit-def: $vgpr26_vgpr27
                                        ; implicit-def: $vgpr14_vgpr15
	s_and_b64 vcc, exec, s[10:11]
	s_cbranch_vccz .LBB1200_121
.LBB1200_113:
	s_waitcnt lgkmcnt(0)
	v_mov_b32_e32 v3, 0
	v_lshlrev_b32_e32 v2, 2, v0
	v_lshl_add_u64 v[4:5], s[50:51], 0, v[2:3]
	v_add_co_u32_e32 v6, vcc, 0x1000, v4
	s_movk_i32 s3, 0x50
	s_nop 0
	v_addc_co_u32_e32 v7, vcc, 0, v5, vcc
	flat_load_dword v1, v[4:5]
	flat_load_dword v3, v[4:5] offset:1024
	flat_load_dword v10, v[4:5] offset:2048
	;; [unrolled: 1-line block ×3, first 2 shown]
	flat_load_dword v12, v[6:7]
	flat_load_dword v13, v[6:7] offset:1024
	flat_load_dword v14, v[6:7] offset:2048
	;; [unrolled: 1-line block ×3, first 2 shown]
	v_add_co_u32_e32 v6, vcc, 0x2000, v4
	v_mad_u32_u24 v23, v0, s3, v2
	s_nop 0
	v_addc_co_u32_e32 v7, vcc, 0, v5, vcc
	v_add_co_u32_e32 v8, vcc, 0x3000, v4
	s_cmp_eq_u64 s[54:55], 0
	s_nop 0
	v_addc_co_u32_e32 v9, vcc, 0, v5, vcc
	flat_load_dword v16, v[6:7]
	flat_load_dword v17, v[6:7] offset:1024
	flat_load_dword v18, v[6:7] offset:2048
	;; [unrolled: 1-line block ×3, first 2 shown]
	flat_load_dword v20, v[8:9]
	flat_load_dword v21, v[8:9] offset:1024
	flat_load_dword v22, v[8:9] offset:2048
	;; [unrolled: 1-line block ×3, first 2 shown]
	v_add_co_u32_e32 v6, vcc, 0x4000, v4
	s_nop 1
	v_addc_co_u32_e32 v7, vcc, 0, v5, vcc
	v_add_co_u32_e32 v4, vcc, 0x5000, v4
	s_nop 1
	v_addc_co_u32_e32 v5, vcc, 0, v5, vcc
	flat_load_dword v8, v[6:7]
	flat_load_dword v9, v[6:7] offset:1024
	flat_load_dword v25, v[6:7] offset:2048
	;; [unrolled: 1-line block ×3, first 2 shown]
	flat_load_dword v27, v[4:5]
	s_waitcnt vmcnt(0) lgkmcnt(0)
	ds_write2st64_b32 v2, v1, v3 offset1:4
	ds_write2st64_b32 v2, v10, v11 offset0:8 offset1:12
	ds_write2st64_b32 v2, v12, v13 offset0:16 offset1:20
	;; [unrolled: 1-line block ×9, first 2 shown]
	ds_write_b32 v2, v27 offset:20480
	s_waitcnt lgkmcnt(0)
	s_barrier
	ds_read2_b32 v[8:9], v23 offset0:7 offset1:8
	ds_read2_b32 v[6:7], v23 offset0:5 offset1:6
	;; [unrolled: 1-line block ×3, first 2 shown]
	ds_read2_b32 v[10:11], v23 offset1:1
	ds_read2_b32 v[4:5], v23 offset0:4 offset1:9
	ds_read2_b32 v[16:17], v23 offset0:15 offset1:16
	ds_read_b32 v22, v23 offset:56
	ds_read2_b32 v[14:15], v23 offset0:12 offset1:13
	ds_read2_b32 v[12:13], v23 offset0:10 offset1:11
	;; [unrolled: 1-line block ×4, first 2 shown]
	s_cbranch_scc1 .LBB1200_118
; %bb.114:
	s_andn2_b64 vcc, exec, s[52:53]
	s_cbranch_vccnz .LBB1200_292
; %bb.115:
	v_readlane_b32 s8, v131, 0
	v_readlane_b32 s10, v131, 2
	;; [unrolled: 1-line block ×5, first 2 shown]
	s_lshl_b64 s[4:5], s[54:55], 2
	s_mov_b64 s[10:11], s[14:15]
	s_add_u32 s3, s10, s4
	s_addc_u32 s5, s11, s5
	s_add_u32 s4, s3, -4
	s_addc_u32 s5, s5, -1
	v_readlane_b32 s9, v131, 1
	v_readlane_b32 s12, v131, 4
	;; [unrolled: 1-line block ×3, first 2 shown]
	s_cbranch_execnz .LBB1200_117
.LBB1200_116:
	s_add_u32 s4, s50, -4
	s_addc_u32 s5, s51, -1
.LBB1200_117:
	s_mov_b64 s[50:51], s[4:5]
.LBB1200_118:
	v_mov_b64_e32 v[24:25], s[50:51]
	flat_load_dword v1, v[24:25]
	s_movk_i32 s3, 0xffb0
	v_mad_i32_i24 v23, v0, s3, v23
	v_cmp_ne_u32_e32 vcc, 0, v0
	s_waitcnt lgkmcnt(0)
	ds_write_b32 v23, v21 offset:21504
	s_waitcnt lgkmcnt(0)
	s_barrier
	s_and_saveexec_b64 s[4:5], vcc
	s_cbranch_execz .LBB1200_120
; %bb.119:
	s_waitcnt vmcnt(0)
	ds_read_b32 v1, v23 offset:21500
.LBB1200_120:
	s_or_b64 exec, exec, s[4:5]
	v_lshlrev_b32_e32 v24, 3, v0
	v_mov_b32_e32 v25, 0
	v_lshl_add_u64 v[24:25], s[48:49], 0, v[24:25]
	s_movk_i32 s3, 0x1000
	v_add_co_u32_e32 v26, vcc, s3, v24
	s_movk_i32 s3, 0x2000
	s_nop 0
	v_addc_co_u32_e32 v27, vcc, 0, v25, vcc
	s_waitcnt lgkmcnt(0)
	s_barrier
	flat_load_dwordx2 v[28:29], v[24:25]
	flat_load_dwordx2 v[30:31], v[24:25] offset:2048
	flat_load_dwordx2 v[32:33], v[26:27]
	flat_load_dwordx2 v[34:35], v[26:27] offset:2048
	v_add_co_u32_e32 v26, vcc, s3, v24
	s_movk_i32 s3, 0x3000
	s_nop 0
	v_addc_co_u32_e32 v27, vcc, 0, v25, vcc
	v_add_co_u32_e32 v36, vcc, s3, v24
	s_movk_i32 s3, 0x4000
	s_nop 0
	v_addc_co_u32_e32 v37, vcc, 0, v25, vcc
	flat_load_dwordx2 v[38:39], v[26:27]
	flat_load_dwordx2 v[40:41], v[26:27] offset:2048
	flat_load_dwordx2 v[42:43], v[36:37]
	flat_load_dwordx2 v[44:45], v[36:37] offset:2048
	v_add_co_u32_e32 v26, vcc, s3, v24
	s_movk_i32 s3, 0x5000
	s_nop 0
	v_addc_co_u32_e32 v27, vcc, 0, v25, vcc
	v_add_co_u32_e32 v36, vcc, s3, v24
	s_movk_i32 s3, 0x6000
	s_nop 0
	v_addc_co_u32_e32 v37, vcc, 0, v25, vcc
	flat_load_dwordx2 v[46:47], v[26:27]
	flat_load_dwordx2 v[48:49], v[26:27] offset:2048
	flat_load_dwordx2 v[50:51], v[36:37]
	flat_load_dwordx2 v[52:53], v[36:37] offset:2048
	v_add_co_u32_e32 v26, vcc, s3, v24
	s_movk_i32 s3, 0x7000
	s_nop 0
	v_addc_co_u32_e32 v27, vcc, 0, v25, vcc
	v_add_co_u32_e32 v36, vcc, s3, v24
	s_mov_b32 s3, 0x8000
	s_nop 0
	v_addc_co_u32_e32 v37, vcc, 0, v25, vcc
	flat_load_dwordx2 v[54:55], v[26:27]
	flat_load_dwordx2 v[56:57], v[26:27] offset:2048
	flat_load_dwordx2 v[58:59], v[36:37]
	flat_load_dwordx2 v[60:61], v[36:37] offset:2048
	v_add_co_u32_e32 v26, vcc, s3, v24
	s_mov_b32 s3, 0x9000
	s_nop 0
	v_addc_co_u32_e32 v27, vcc, 0, v25, vcc
	v_add_co_u32_e32 v36, vcc, s3, v24
	s_mov_b32 s3, 0xa000
	s_nop 0
	v_addc_co_u32_e32 v37, vcc, 0, v25, vcc
	flat_load_dwordx2 v[62:63], v[26:27]
	flat_load_dwordx2 v[64:65], v[26:27] offset:2048
	flat_load_dwordx2 v[66:67], v[36:37]
	flat_load_dwordx2 v[68:69], v[36:37] offset:2048
	v_add_co_u32_e32 v24, vcc, s3, v24
	v_cmp_ne_u32_e64 s[4:5], v20, v21
	s_nop 0
	v_addc_co_u32_e32 v25, vcc, 0, v25, vcc
	flat_load_dwordx2 v[24:25], v[24:25]
	v_cmp_ne_u32_e32 vcc, v17, v18
	s_movk_i32 s3, 0xa0
	s_mov_b64 s[6:7], -1
	v_cndmask_b32_e64 v21, 0, 1, vcc
	v_cmp_ne_u32_e32 vcc, v16, v17
	v_lshlrev_b16_e32 v21, 8, v21
                                        ; implicit-def: $vgpr128
                                        ; implicit-def: $vgpr127
                                        ; implicit-def: $vgpr126
                                        ; implicit-def: $vgpr125
                                        ; implicit-def: $sgpr8_sgpr9
                                        ; implicit-def: $vgpr78_vgpr79
                                        ; implicit-def: $vgpr74_vgpr75
                                        ; implicit-def: $vgpr26_vgpr27
	s_nop 0
	v_cndmask_b32_e64 v17, 0, 1, vcc
	v_cmp_ne_u32_e32 vcc, v19, v20
	v_or_b32_e32 v17, v17, v21
	s_nop 0
	v_cndmask_b32_e64 v20, 0, 1, vcc
	v_cmp_ne_u32_e32 vcc, v18, v19
	v_lshlrev_b16_e32 v20, 8, v20
	s_nop 0
	v_cndmask_b32_e64 v18, 0, 1, vcc
	v_cmp_ne_u32_e32 vcc, v22, v16
	v_or_b32_sdwa v18, v18, v20 dst_sel:WORD_1 dst_unused:UNUSED_PAD src0_sel:DWORD src1_sel:DWORD
	s_nop 0
	v_cndmask_b32_e64 v122, 0, 1, vcc
	v_cmp_ne_u32_e32 vcc, v13, v14
	v_or_b32_sdwa v85, v17, v18 dst_sel:DWORD dst_unused:UNUSED_PAD src0_sel:WORD_0 src1_sel:DWORD
	s_nop 0
	v_cndmask_b32_e64 v16, 0, 1, vcc
	v_cmp_ne_u32_e32 vcc, v12, v13
	v_lshlrev_b16_e32 v16, 8, v16
	s_nop 0
	v_cndmask_b32_e64 v13, 0, 1, vcc
	v_cmp_ne_u32_e32 vcc, v15, v22
	v_or_b32_e32 v13, v13, v16
	s_nop 0
	v_cndmask_b32_e64 v16, 0, 1, vcc
	v_cmp_ne_u32_e32 vcc, v14, v15
	v_lshlrev_b16_e32 v16, 8, v16
	s_nop 0
	v_cndmask_b32_e64 v14, 0, 1, vcc
	v_cmp_ne_u32_e32 vcc, v5, v12
	v_or_b32_sdwa v14, v14, v16 dst_sel:WORD_1 dst_unused:UNUSED_PAD src0_sel:DWORD src1_sel:DWORD
	s_nop 0
	v_cndmask_b32_e64 v124, 0, 1, vcc
	v_cmp_ne_u32_e32 vcc, v7, v8
	v_or_b32_sdwa v84, v13, v14 dst_sel:DWORD dst_unused:UNUSED_PAD src0_sel:WORD_0 src1_sel:DWORD
	s_nop 0
	v_cndmask_b32_e64 v12, 0, 1, vcc
	v_cmp_ne_u32_e32 vcc, v6, v7
	v_lshlrev_b16_e32 v12, 8, v12
	;; [unrolled: 20-line block ×3, first 2 shown]
	s_nop 0
	v_cndmask_b32_e64 v6, 0, 1, vcc
	v_cmp_ne_u32_e32 vcc, v3, v4
	v_or_b32_e32 v11, v6, v5
	s_nop 0
	v_cndmask_b32_e64 v4, 0, 1, vcc
	v_cmp_ne_u32_e32 vcc, v2, v3
	v_lshlrev_b16_e32 v4, 8, v4
	s_nop 0
	v_cndmask_b32_e64 v2, 0, 1, vcc
	v_or_b32_sdwa v14, v2, v4 dst_sel:WORD_1 dst_unused:UNUSED_PAD src0_sel:DWORD src1_sel:DWORD
	v_lshl_add_u32 v2, v0, 2, v23
	v_mad_u32_u24 v12, v0, s3, v2
	s_waitcnt vmcnt(0) lgkmcnt(0)
	ds_write2st64_b64 v2, v[28:29], v[30:31] offset1:4
	ds_write2st64_b64 v2, v[32:33], v[34:35] offset0:8 offset1:12
	ds_write2st64_b64 v2, v[38:39], v[40:41] offset0:16 offset1:20
	ds_write2st64_b64 v2, v[42:43], v[44:45] offset0:24 offset1:28
	ds_write2st64_b64 v2, v[46:47], v[48:49] offset0:32 offset1:36
	ds_write2st64_b64 v2, v[50:51], v[52:53] offset0:40 offset1:44
	ds_write2st64_b64 v2, v[54:55], v[56:57] offset0:48 offset1:52
	ds_write2st64_b64 v2, v[58:59], v[60:61] offset0:56 offset1:60
	ds_write2st64_b64 v2, v[62:63], v[64:65] offset0:64 offset1:68
	ds_write2st64_b64 v2, v[66:67], v[68:69] offset0:72 offset1:76
	ds_write_b64 v2, v[24:25] offset:40960
	s_waitcnt lgkmcnt(0)
	s_barrier
	ds_read2_b64 v[2:5], v12 offset1:1
	ds_read2_b64 v[6:9], v12 offset0:2 offset1:3
	ds_read2_b64 v[18:21], v12 offset0:4 offset1:5
	;; [unrolled: 1-line block ×9, first 2 shown]
	ds_read_b64 v[12:13], v12 offset:160
	v_cmp_ne_u32_e32 vcc, v1, v10
	v_or_b32_sdwa v83, v11, v14 dst_sel:DWORD dst_unused:UNUSED_PAD src0_sel:WORD_0 src1_sel:DWORD
                                        ; implicit-def: $sgpr3
                                        ; implicit-def: $vgpr66_vgpr67
                                        ; implicit-def: $vgpr58_vgpr59
                                        ; implicit-def: $vgpr50_vgpr51
                                        ; implicit-def: $vgpr42_vgpr43
                                        ; implicit-def: $vgpr34_vgpr35
                                        ; implicit-def: $vgpr14_vgpr15
	s_nop 0
	v_cndmask_b32_e64 v1, 0, 1, vcc
.LBB1200_121:
	s_waitcnt lgkmcnt(0)
	v_mov_b64_e32 v[16:17], s[8:9]
	v_mov_b32_e32 v28, s3
	s_and_saveexec_b64 s[8:9], s[6:7]
	s_cbranch_execz .LBB1200_123
; %bb.122:
	v_cndmask_b32_e64 v28, 0, 1, s[4:5]
	v_mov_b64_e32 v[14:15], v[4:5]
	v_mov_b64_e32 v[26:27], v[8:9]
	;; [unrolled: 1-line block ×11, first 2 shown]
	v_mov_b32_e32 v125, v85
	v_mov_b32_e32 v126, v84
	;; [unrolled: 1-line block ×4, first 2 shown]
.LBB1200_123:
	s_or_b64 exec, exec, s[8:9]
	v_and_b32_e32 v129, 1, v123
	v_and_b32_e32 v37, 1, v124
	;; [unrolled: 1-line block ×4, first 2 shown]
	s_cmp_lg_u32 s2, 0
	v_lshrrev_b32_e32 v130, 8, v128
	v_cmp_eq_u32_e32 vcc, 1, v129
	v_lshrrev_b32_e32 v41, 8, v127
	v_cmp_eq_u32_e64 s[44:45], 1, v37
	v_lshrrev_b32_e32 v40, 8, v126
	v_cmp_eq_u32_e64 s[46:47], 1, v33
	;; [unrolled: 2-line block ×3, first 2 shown]
	v_mbcnt_lo_u32_b32 v29, -1, 0
	s_barrier
	s_cbranch_scc0 .LBB1200_194
; %bb.124:
	v_mov_b32_e32 v8, 0
	v_cmp_eq_u16_sdwa s[64:65], v128, v8 src0_sel:BYTE_0 src1_sel:DWORD
	v_and_b32_e32 v9, 1, v128
	s_movk_i32 s3, 0xff
	v_cndmask_b32_e64 v5, 0, v3, s[64:65]
	v_cndmask_b32_e64 v4, 0, v2, s[64:65]
	v_cmp_eq_u32_e64 s[48:49], 1, v9
	v_and_b32_e32 v9, 0x100, v128
	v_lshl_add_u64 v[4:5], v[4:5], 0, v[14:15]
	v_cmp_eq_u16_sdwa s[4:5], v130, v8 src0_sel:BYTE_0 src1_sel:DWORD
	v_cmp_ne_u32_e64 s[52:53], 0, v9
	v_and_b32_sdwa v9, v128, s3 dst_sel:DWORD dst_unused:UNUSED_PAD src0_sel:WORD_1 src1_sel:DWORD
	v_cndmask_b32_e64 v5, 0, v5, s[4:5]
	v_cndmask_b32_e64 v4, 0, v4, s[4:5]
	v_cmp_eq_u16_e64 s[6:7], 0, v9
	v_and_b32_e32 v9, 0x10000, v128
	v_lshl_add_u64 v[4:5], v[4:5], 0, v[6:7]
	v_cmp_ne_u32_e64 s[54:55], 0, v9
	v_and_b32_e32 v9, 0x1000000, v128
	v_cndmask_b32_e64 v5, 0, v5, s[6:7]
	v_cndmask_b32_e64 v4, 0, v4, s[6:7]
	v_cmp_ne_u32_e64 s[56:57], 0, v9
	v_and_b32_e32 v9, 1, v127
	v_lshl_add_u64 v[4:5], v[4:5], 0, v[26:27]
	v_cmp_eq_u16_sdwa s[8:9], v128, v8 src0_sel:BYTE_3 src1_sel:DWORD
	v_cmp_eq_u32_e64 s[58:59], 1, v9
	v_and_b32_e32 v9, 0x100, v127
	v_cndmask_b32_e64 v5, 0, v5, s[8:9]
	v_cndmask_b32_e64 v4, 0, v4, s[8:9]
	v_cmp_ne_u32_e64 s[60:61], 0, v9
	v_and_b32_sdwa v9, v127, s3 dst_sel:DWORD dst_unused:UNUSED_PAD src0_sel:WORD_1 src1_sel:DWORD
	v_lshl_add_u64 v[4:5], v[4:5], 0, v[18:19]
	v_cmp_eq_u16_sdwa s[10:11], v123, v8 src0_sel:BYTE_0 src1_sel:DWORD
	v_cmp_eq_u16_e64 s[16:17], 0, v9
	v_and_b32_e32 v9, 0x10000, v127
	v_cndmask_b32_e64 v5, 0, v5, s[10:11]
	v_cndmask_b32_e64 v4, 0, v4, s[10:11]
	v_cmp_ne_u32_e64 s[62:63], 0, v9
	v_and_b32_e32 v9, 0x1000000, v127
	v_lshl_add_u64 v[4:5], v[4:5], 0, v[34:35]
	v_cmp_eq_u16_sdwa s[12:13], v127, v8 src0_sel:BYTE_0 src1_sel:DWORD
	v_cmp_ne_u32_e64 s[66:67], 0, v9
	v_and_b32_e32 v9, 1, v126
	v_cndmask_b32_e64 v5, 0, v5, s[12:13]
	v_cndmask_b32_e64 v4, 0, v4, s[12:13]
	v_cmp_eq_u32_e64 s[68:69], 1, v9
	v_and_b32_e32 v9, 0x100, v126
	v_lshl_add_u64 v[4:5], v[4:5], 0, v[22:23]
	v_cmp_eq_u16_sdwa s[14:15], v41, v8 src0_sel:BYTE_0 src1_sel:DWORD
	v_cmp_ne_u32_e64 s[70:71], 0, v9
	v_and_b32_sdwa v9, v126, s3 dst_sel:DWORD dst_unused:UNUSED_PAD src0_sel:WORD_1 src1_sel:DWORD
	v_cndmask_b32_e64 v5, 0, v5, s[14:15]
	v_cndmask_b32_e64 v4, 0, v4, s[14:15]
	v_cmp_eq_u16_e64 s[26:27], 0, v9
	v_and_b32_e32 v9, 0x10000, v126
	v_lshl_add_u64 v[4:5], v[4:5], 0, v[42:43]
	v_cmp_ne_u32_e64 s[72:73], 0, v9
	v_and_b32_e32 v9, 0x1000000, v126
	v_cndmask_b32_e64 v5, 0, v5, s[16:17]
	v_cndmask_b32_e64 v4, 0, v4, s[16:17]
	v_cmp_ne_u32_e64 s[74:75], 0, v9
	v_and_b32_e32 v9, 1, v125
	v_lshl_add_u64 v[4:5], v[4:5], 0, v[30:31]
	v_cmp_eq_u16_sdwa s[18:19], v127, v8 src0_sel:BYTE_3 src1_sel:DWORD
	v_cmp_eq_u32_e64 s[76:77], 1, v9
	v_and_b32_e32 v9, 0x100, v125
	v_cndmask_b32_e64 v5, 0, v5, s[18:19]
	v_cndmask_b32_e64 v4, 0, v4, s[18:19]
	v_cmp_ne_u32_e64 s[78:79], 0, v9
	v_and_b32_sdwa v9, v125, s3 dst_sel:DWORD dst_unused:UNUSED_PAD src0_sel:WORD_1 src1_sel:DWORD
	v_lshl_add_u64 v[4:5], v[4:5], 0, v[50:51]
	v_cmp_eq_u16_sdwa s[20:21], v124, v8 src0_sel:BYTE_0 src1_sel:DWORD
	v_cmp_eq_u16_e64 s[38:39], 0, v9
	v_and_b32_e32 v9, 0x10000, v125
	v_cndmask_b32_e64 v5, 0, v5, s[20:21]
	v_cndmask_b32_e64 v4, 0, v4, s[20:21]
	v_cmp_ne_u32_e64 s[80:81], 0, v9
	v_and_b32_e32 v9, 0x1000000, v125
	v_lshl_add_u64 v[4:5], v[4:5], 0, v[38:39]
	v_cmp_eq_u16_sdwa s[22:23], v126, v8 src0_sel:BYTE_0 src1_sel:DWORD
	v_cmp_ne_u32_e64 s[82:83], 0, v9
	s_or_b64 s[50:51], s[50:51], s[82:83]
	v_cndmask_b32_e64 v5, 0, v5, s[22:23]
	v_cndmask_b32_e64 v4, 0, v4, s[22:23]
	v_lshl_add_u64 v[4:5], v[4:5], 0, v[58:59]
	v_cmp_eq_u16_sdwa s[24:25], v40, v8 src0_sel:BYTE_0 src1_sel:DWORD
	s_or_b64 s[50:51], s[50:51], s[80:81]
	s_or_b64 s[50:51], s[50:51], s[78:79]
	v_cndmask_b32_e64 v5, 0, v5, s[24:25]
	v_cndmask_b32_e64 v4, 0, v4, s[24:25]
	v_lshl_add_u64 v[4:5], v[4:5], 0, v[46:47]
	s_or_b64 s[50:51], s[50:51], s[76:77]
	v_cndmask_b32_e64 v5, 0, v5, s[26:27]
	v_cndmask_b32_e64 v4, 0, v4, s[26:27]
	s_or_b64 s[46:47], s[50:51], s[46:47]
	v_lshl_add_u64 v[4:5], v[4:5], 0, v[66:67]
	v_cmp_eq_u16_sdwa s[28:29], v126, v8 src0_sel:BYTE_3 src1_sel:DWORD
	s_or_b64 s[46:47], s[46:47], s[74:75]
	s_or_b64 s[46:47], s[46:47], s[72:73]
	v_cndmask_b32_e64 v5, 0, v5, s[28:29]
	v_cndmask_b32_e64 v4, 0, v4, s[28:29]
	v_lshl_add_u64 v[4:5], v[4:5], 0, v[54:55]
	v_cmp_eq_u16_sdwa s[30:31], v122, v8 src0_sel:BYTE_0 src1_sel:DWORD
	s_or_b64 s[46:47], s[46:47], s[70:71]
	s_or_b64 s[46:47], s[46:47], s[68:69]
	v_cndmask_b32_e64 v5, 0, v5, s[30:31]
	v_cndmask_b32_e64 v4, 0, v4, s[30:31]
	v_lshl_add_u64 v[4:5], v[4:5], 0, v[74:75]
	v_cmp_eq_u16_sdwa s[34:35], v125, v8 src0_sel:BYTE_0 src1_sel:DWORD
	;; [unrolled: 6-line block ×3, first 2 shown]
	s_or_b64 s[44:45], s[44:45], s[62:63]
	s_or_b64 s[44:45], s[44:45], s[60:61]
	v_cndmask_b32_e64 v5, 0, v5, s[36:37]
	v_cndmask_b32_e64 v4, 0, v4, s[36:37]
	v_lshl_add_u64 v[4:5], v[4:5], 0, v[78:79]
	s_or_b64 s[44:45], s[44:45], s[58:59]
	v_cndmask_b32_e64 v5, 0, v5, s[38:39]
	v_cndmask_b32_e64 v4, 0, v4, s[38:39]
	s_or_b64 s[44:45], s[44:45], vcc
	v_lshl_add_u64 v[4:5], v[4:5], 0, v[70:71]
	v_cmp_eq_u16_sdwa s[40:41], v125, v8 src0_sel:BYTE_3 src1_sel:DWORD
	s_or_b64 s[44:45], s[44:45], s[56:57]
	s_or_b64 s[44:45], s[44:45], s[54:55]
	v_cndmask_b32_e64 v5, 0, v5, s[40:41]
	v_cndmask_b32_e64 v4, 0, v4, s[40:41]
	v_lshl_add_u64 v[4:5], v[4:5], 0, v[10:11]
	v_cmp_eq_u16_sdwa s[42:43], v28, v8 src0_sel:BYTE_0 src1_sel:DWORD
	s_or_b64 s[44:45], s[44:45], s[52:53]
	v_and_b32_e32 v12, 0xff, v1
	v_cndmask_b32_e64 v5, 0, v5, s[42:43]
	v_cndmask_b32_e64 v4, 0, v4, s[42:43]
	s_or_b64 s[44:45], s[44:45], s[48:49]
	v_mbcnt_hi_u32_b32 v52, -1, v29
	v_lshl_add_u64 v[8:9], v[4:5], 0, v[16:17]
	v_cndmask_b32_e64 v12, v12, 1, s[44:45]
	v_and_b32_e32 v4, 15, v52
	v_mov_b32_dpp v13, v8 row_shr:1 row_mask:0xf bank_mask:0xf
	v_mov_b32_dpp v20, v9 row_shr:1 row_mask:0xf bank_mask:0xf
	;; [unrolled: 1-line block ×3, first 2 shown]
	v_cmp_ne_u32_e32 vcc, 0, v4
	s_and_saveexec_b64 s[44:45], vcc
; %bb.125:
	v_cmp_eq_u32_e32 vcc, 0, v12
	v_and_or_b32 v12, v5, 1, v12
	s_nop 0
	v_cndmask_b32_e32 v21, 0, v20, vcc
	v_cndmask_b32_e32 v20, 0, v13, vcc
	v_lshl_add_u64 v[8:9], v[20:21], 0, v[8:9]
; %bb.126:
	s_or_b64 exec, exec, s[44:45]
	s_nop 0
	v_mov_b32_dpp v13, v8 row_shr:2 row_mask:0xf bank_mask:0xf
	v_mov_b32_dpp v20, v9 row_shr:2 row_mask:0xf bank_mask:0xf
	v_mov_b32_dpp v5, v12 row_shr:2 row_mask:0xf bank_mask:0xf
	v_cmp_lt_u32_e32 vcc, 1, v4
	s_and_saveexec_b64 s[44:45], vcc
; %bb.127:
	v_cmp_eq_u32_e32 vcc, 0, v12
	v_or_b32_e32 v5, v5, v12
	v_and_b32_e32 v12, 1, v5
	v_cndmask_b32_e32 v21, 0, v20, vcc
	v_cndmask_b32_e32 v20, 0, v13, vcc
	v_lshl_add_u64 v[8:9], v[20:21], 0, v[8:9]
; %bb.128:
	s_or_b64 exec, exec, s[44:45]
	s_nop 0
	v_mov_b32_dpp v13, v8 row_shr:4 row_mask:0xf bank_mask:0xf
	v_mov_b32_dpp v20, v9 row_shr:4 row_mask:0xf bank_mask:0xf
	v_mov_b32_dpp v5, v12 row_shr:4 row_mask:0xf bank_mask:0xf
	v_cmp_lt_u32_e32 vcc, 3, v4
	s_and_saveexec_b64 s[44:45], vcc
; %bb.129:
	v_cmp_eq_u32_e32 vcc, 0, v12
	v_or_b32_e32 v5, v5, v12
	v_and_b32_e32 v12, 1, v5
	v_cndmask_b32_e32 v21, 0, v20, vcc
	v_cndmask_b32_e32 v20, 0, v13, vcc
	v_lshl_add_u64 v[8:9], v[20:21], 0, v[8:9]
; %bb.130:
	s_or_b64 exec, exec, s[44:45]
	s_nop 0
	v_mov_b32_dpp v13, v8 row_shr:8 row_mask:0xf bank_mask:0xf
	v_mov_b32_dpp v20, v9 row_shr:8 row_mask:0xf bank_mask:0xf
	v_mov_b32_dpp v5, v12 row_shr:8 row_mask:0xf bank_mask:0xf
	v_cmp_lt_u32_e32 vcc, 7, v4
	s_and_saveexec_b64 s[44:45], vcc
; %bb.131:
	v_cmp_eq_u32_e32 vcc, 0, v12
	v_or_b32_e32 v4, v5, v12
	v_and_b32_e32 v12, 1, v4
	v_cndmask_b32_e32 v21, 0, v20, vcc
	v_cndmask_b32_e32 v20, 0, v13, vcc
	v_lshl_add_u64 v[8:9], v[20:21], 0, v[8:9]
; %bb.132:
	s_or_b64 exec, exec, s[44:45]
	v_and_b32_e32 v20, 16, v52
	v_mov_b32_dpp v5, v8 row_bcast:15 row_mask:0xf bank_mask:0xf
	v_mov_b32_dpp v13, v9 row_bcast:15 row_mask:0xf bank_mask:0xf
	;; [unrolled: 1-line block ×3, first 2 shown]
	v_cmp_ne_u32_e32 vcc, 0, v20
	s_and_saveexec_b64 s[44:45], vcc
; %bb.133:
	v_cmp_eq_u32_e32 vcc, 0, v12
	v_or_b32_e32 v4, v4, v12
	v_and_b32_e32 v12, 1, v4
	v_cndmask_b32_e32 v21, 0, v13, vcc
	v_cndmask_b32_e32 v20, 0, v5, vcc
	v_lshl_add_u64 v[8:9], v[20:21], 0, v[8:9]
; %bb.134:
	s_or_b64 exec, exec, s[44:45]
	s_nop 0
	v_mov_b32_dpp v13, v8 row_bcast:31 row_mask:0xf bank_mask:0xf
	v_mov_b32_dpp v20, v9 row_bcast:31 row_mask:0xf bank_mask:0xf
	;; [unrolled: 1-line block ×3, first 2 shown]
	v_cmp_lt_u32_e32 vcc, 31, v52
	v_mov_b32_e32 v4, v12
	s_and_saveexec_b64 s[44:45], vcc
; %bb.135:
	v_cmp_eq_u32_e32 vcc, 0, v12
	v_or_b32_e32 v5, v5, v12
	v_and_b32_e32 v4, 1, v5
	v_cndmask_b32_e32 v21, 0, v20, vcc
	v_cndmask_b32_e32 v20, 0, v13, vcc
	v_lshl_add_u64 v[8:9], v[20:21], 0, v[8:9]
	v_and_b32_e32 v12, 1, v5
; %bb.136:
	s_or_b64 exec, exec, s[44:45]
	v_or_b32_e32 v5, 63, v0
	v_lshrrev_b32_e32 v13, 6, v0
	v_cmp_eq_u32_e32 vcc, v5, v0
	s_and_saveexec_b64 s[44:45], vcc
	s_cbranch_execz .LBB1200_138
; %bb.137:
	v_lshlrev_b32_e32 v5, 4, v13
	ds_write_b64 v5, v[8:9]
	ds_write_b8 v5, v4 offset:8
.LBB1200_138:
	s_or_b64 exec, exec, s[44:45]
	v_cmp_gt_u32_e32 vcc, 4, v0
	s_waitcnt lgkmcnt(0)
	s_barrier
	s_and_saveexec_b64 s[46:47], vcc
	s_cbranch_execz .LBB1200_144
; %bb.139:
	v_lshlrev_b32_e32 v20, 4, v0
	ds_read_b64 v[4:5], v20
	ds_read_b32 v21, v20 offset:8
	v_and_b32_e32 v24, 3, v52
	v_cmp_ne_u32_e32 vcc, 0, v24
	s_waitcnt lgkmcnt(1)
	v_mov_b32_dpp v48, v4 row_shr:1 row_mask:0xf bank_mask:0xf
	v_mov_b32_dpp v49, v5 row_shr:1 row_mask:0xf bank_mask:0xf
	s_waitcnt lgkmcnt(0)
	v_mov_b32_dpp v45, v21 row_shr:1 row_mask:0xf bank_mask:0xf
	v_mov_b32_e32 v25, v21
	v_mov_b32_e32 v44, v21
	s_and_saveexec_b64 s[44:45], vcc
; %bb.140:
	v_mov_b32_e32 v25, 0
	v_cmp_eq_u16_sdwa vcc, v21, v25 src0_sel:BYTE_0 src1_sel:DWORD
	v_or_b32_e32 v44, v45, v21
	v_and_b32_e32 v25, 1, v44
	v_cndmask_b32_e32 v49, 0, v49, vcc
	v_cndmask_b32_e32 v48, 0, v48, vcc
	v_and_b32_e32 v44, 1, v44
	s_movk_i32 s3, 0xff00
	v_lshl_add_u64 v[4:5], v[48:49], 0, v[4:5]
	v_and_or_b32 v21, v21, s3, v44
; %bb.141:
	s_or_b64 exec, exec, s[44:45]
	v_mov_b32_dpp v45, v4 row_shr:2 row_mask:0xf bank_mask:0xf
	v_mov_b32_dpp v48, v5 row_shr:2 row_mask:0xf bank_mask:0xf
	;; [unrolled: 1-line block ×3, first 2 shown]
	v_cmp_lt_u32_e32 vcc, 1, v24
	s_and_saveexec_b64 s[48:49], vcc
; %bb.142:
	v_mov_b32_e32 v24, 0
	v_cmp_eq_u16_sdwa vcc, v44, v24 src0_sel:BYTE_0 src1_sel:DWORD
	v_and_b32_e32 v21, 1, v21
	v_cmp_eq_u32_e64 s[44:45], 1, v21
	v_cndmask_b32_e32 v25, 0, v48, vcc
	v_cndmask_b32_e32 v24, 0, v45, vcc
	v_lshl_add_u64 v[4:5], v[24:25], 0, v[4:5]
	v_and_b32_e32 v24, 1, v44
	v_cmp_eq_u32_e32 vcc, 1, v24
	s_or_b64 s[44:45], vcc, s[44:45]
	v_cndmask_b32_e64 v25, 0, 1, s[44:45]
; %bb.143:
	s_or_b64 exec, exec, s[48:49]
	ds_write_b64 v20, v[4:5]
	ds_write_b8 v20, v25 offset:8
.LBB1200_144:
	s_or_b64 exec, exec, s[46:47]
	v_cmp_gt_u32_e32 vcc, 64, v0
	v_cmp_lt_u32_e64 s[44:45], 63, v0
	v_mov_b32_e32 v44, 0
	v_mov_b64_e32 v[4:5], 0
	s_waitcnt lgkmcnt(0)
	s_barrier
	s_and_saveexec_b64 s[46:47], s[44:45]
	s_cbranch_execz .LBB1200_146
; %bb.145:
	v_lshl_add_u32 v13, v13, 4, -16
	ds_read_b64 v[4:5], v13
	ds_read_u8 v44, v13 offset:8
	v_and_b32_e32 v20, 1, v12
	v_cmp_eq_u32_e64 s[44:45], 0, v12
	s_waitcnt lgkmcnt(1)
	s_nop 0
	v_cndmask_b32_e64 v13, 0, v5, s[44:45]
	v_cndmask_b32_e64 v12, 0, v4, s[44:45]
	v_cmp_eq_u32_e64 s[44:45], 1, v20
	v_lshl_add_u64 v[8:9], v[12:13], 0, v[8:9]
	s_waitcnt lgkmcnt(0)
	v_cndmask_b32_e64 v12, v44, 1, s[44:45]
.LBB1200_146:
	s_or_b64 exec, exec, s[46:47]
	v_add_u32_e32 v13, -1, v52
	v_and_b32_e32 v20, 64, v52
	v_cmp_lt_i32_e64 s[44:45], v13, v20
	s_nop 1
	v_cndmask_b32_e64 v13, v13, v52, s[44:45]
	v_lshlrev_b32_e32 v13, 2, v13
	ds_bpermute_b32 v45, v13, v8
	ds_bpermute_b32 v48, v13, v9
	;; [unrolled: 1-line block ×3, first 2 shown]
	v_cmp_eq_u32_e64 s[44:45], 0, v52
	s_and_saveexec_b64 s[48:49], vcc
	s_cbranch_execz .LBB1200_193
; %bb.147:
	v_mov_b32_e32 v13, 0
	ds_read2_b64 v[80:83], v13 offset0:6 offset1:7
	s_and_saveexec_b64 s[46:47], s[44:45]
	s_cbranch_execz .LBB1200_149
; %bb.148:
	s_add_i32 s50, s2, 64
	s_mov_b32 s51, 0
	s_lshl_b64 s[52:53], s[50:51], 4
	s_add_u32 s52, s84, s52
	s_addc_u32 s53, s85, s53
	v_mov_b32_e32 v8, s50
	v_mov_b32_e32 v9, 1
	s_waitcnt lgkmcnt(0)
	global_store_dword v13, v80, s[52:53] sc1
	global_store_dword v13, v81, s[52:53] offset:4 sc1
	global_store_dword v13, v82, s[52:53] offset:8 sc1
	;; [unrolled: 1-line block ×3, first 2 shown]
	s_waitcnt vmcnt(0)
	global_store_byte v8, v9, s[88:89] sc1
.LBB1200_149:
	s_or_b64 exec, exec, s[46:47]
	v_xad_u32 v8, v52, -1, s2
	v_add_u32_e32 v12, 64, v8
	global_load_ubyte v53, v12, s[88:89] sc1
	s_waitcnt vmcnt(0)
	v_cmp_eq_u16_e32 vcc, 0, v53
	s_and_saveexec_b64 s[46:47], vcc
	s_cbranch_execz .LBB1200_155
; %bb.150:
	v_lshl_add_u64 v[20:21], s[88:89], 0, v[12:13]
	s_mov_b32 s3, 1
	s_mov_b64 s[50:51], 0
.LBB1200_151:                           ; =>This Loop Header: Depth=1
                                        ;     Child Loop BB1200_152 Depth 2
	s_max_u32 s52, s3, 1
.LBB1200_152:                           ;   Parent Loop BB1200_151 Depth=1
                                        ; =>  This Inner Loop Header: Depth=2
	s_add_i32 s52, s52, -1
	s_cmp_eq_u32 s52, 0
	s_sleep 1
	s_cbranch_scc0 .LBB1200_152
; %bb.153:                              ;   in Loop: Header=BB1200_151 Depth=1
	global_load_ubyte v53, v[20:21], off sc1
	s_cmp_lt_u32 s3, 32
	s_cselect_b64 s[52:53], -1, 0
	s_cmp_lg_u64 s[52:53], 0
	s_addc_u32 s3, s3, 0
	s_waitcnt vmcnt(0)
	v_cmp_ne_u16_e32 vcc, 0, v53
	s_or_b64 s[50:51], vcc, s[50:51]
	s_andn2_b64 exec, exec, s[50:51]
	s_cbranch_execnz .LBB1200_151
; %bb.154:
	s_or_b64 exec, exec, s[50:51]
.LBB1200_155:
	s_or_b64 exec, exec, s[46:47]
	v_mov_b32_e32 v9, s87
	v_mov_b32_e32 v20, s85
	v_cmp_eq_u16_e32 vcc, 1, v53
	s_waitcnt vmcnt(0) lgkmcnt(0)
	s_nop 0
	v_cndmask_b32_e32 v21, v9, v20, vcc
	v_mov_b32_e32 v9, s86
	v_mov_b32_e32 v20, s84
	v_cndmask_b32_e32 v20, v9, v20, vcc
	v_lshl_add_u64 v[12:13], v[12:13], 4, v[20:21]
	global_load_dword v24, v[12:13], off sc1
	global_load_dword v25, v[12:13], off offset:4 sc1
	global_load_dword v84, v[12:13], off offset:8 sc1
	;; [unrolled: 1-line block ×3, first 2 shown]
	v_cmp_eq_u16_e32 vcc, 2, v53
	v_lshlrev_b64 v[12:13], v52, -1
	v_and_b32_e32 v56, 63, v52
	s_waitcnt vmcnt(0)
	v_and_b32_e32 v9, vcc_hi, v13
	v_and_b32_e32 v64, vcc_lo, v12
	v_cmp_ne_u32_e32 vcc, 63, v56
	v_or_b32_e32 v9, 0x80000000, v9
	v_ffbl_b32_e32 v9, v9
	v_addc_co_u32_e32 v20, vcc, 0, v52, vcc
	v_lshlrev_b32_e32 v57, 2, v20
	v_add_u32_e32 v9, 32, v9
	v_ffbl_b32_e32 v64, v64
	v_min_u32_e32 v9, v64, v9
	v_cmp_lt_u32_e32 vcc, v56, v9
	ds_bpermute_b32 v60, v57, v24
	ds_bpermute_b32 v61, v57, v25
	v_and_b32_e32 v20, 0xff, v84
	ds_bpermute_b32 v21, v57, v20
	s_and_saveexec_b64 s[46:47], vcc
	s_cbranch_execz .LBB1200_157
; %bb.156:
	v_mov_b32_e32 v20, 0
	v_cmp_eq_u16_sdwa vcc, v84, v20 src0_sel:BYTE_0 src1_sel:DWORD
	s_waitcnt lgkmcnt(0)
	v_or_b32_e32 v20, v21, v84
	v_and_b32_e32 v84, 1, v20
	v_cndmask_b32_e32 v61, 0, v61, vcc
	v_cndmask_b32_e32 v60, 0, v60, vcc
	v_lshl_add_u64 v[24:25], v[60:61], 0, v[24:25]
	v_and_b32_e32 v20, 1, v20
.LBB1200_157:
	s_or_b64 exec, exec, s[46:47]
	v_cmp_gt_u32_e32 vcc, 62, v56
	s_waitcnt lgkmcnt(1)
	v_add_u32_e32 v61, 2, v56
	s_waitcnt lgkmcnt(0)
	v_cndmask_b32_e64 v21, 0, 1, vcc
	v_lshlrev_b32_e32 v21, 1, v21
	v_add_lshl_u32 v60, v21, v52, 2
	ds_bpermute_b32 v64, v60, v24
	ds_bpermute_b32 v65, v60, v25
	ds_bpermute_b32 v21, v60, v20
	v_cmp_le_u32_e32 vcc, v61, v9
	s_and_saveexec_b64 s[50:51], vcc
	s_cbranch_execz .LBB1200_159
; %bb.158:
	v_mov_b32_e32 v20, 0
	v_cmp_eq_u16_sdwa vcc, v84, v20 src0_sel:BYTE_0 src1_sel:DWORD
	v_and_b32_e32 v20, 1, v84
	s_waitcnt lgkmcnt(1)
	v_cndmask_b32_e32 v65, 0, v65, vcc
	v_cndmask_b32_e32 v64, 0, v64, vcc
	v_cmp_eq_u32_e32 vcc, 1, v20
	s_waitcnt lgkmcnt(0)
	v_and_b32_e32 v20, 1, v21
	v_cmp_eq_u32_e64 s[46:47], 1, v20
	s_or_b64 s[46:47], vcc, s[46:47]
	v_lshl_add_u64 v[24:25], v[64:65], 0, v[24:25]
	v_cndmask_b32_e64 v84, 0, 1, s[46:47]
	v_cndmask_b32_e64 v20, 0, 1, s[46:47]
.LBB1200_159:
	s_or_b64 exec, exec, s[50:51]
	v_cmp_gt_u32_e32 vcc, 60, v56
	s_waitcnt lgkmcnt(1)
	v_add_u32_e32 v65, 4, v56
	s_waitcnt lgkmcnt(0)
	v_cndmask_b32_e64 v21, 0, 1, vcc
	v_lshlrev_b32_e32 v21, 2, v21
	v_add_lshl_u32 v64, v21, v52, 2
	ds_bpermute_b32 v68, v64, v24
	ds_bpermute_b32 v69, v64, v25
	ds_bpermute_b32 v21, v64, v20
	v_cmp_le_u32_e32 vcc, v65, v9
	s_and_saveexec_b64 s[50:51], vcc
	s_cbranch_execz .LBB1200_161
; %bb.160:
	v_mov_b32_e32 v20, 0
	v_cmp_eq_u16_sdwa vcc, v84, v20 src0_sel:BYTE_0 src1_sel:DWORD
	v_and_b32_e32 v20, 1, v84
	s_waitcnt lgkmcnt(1)
	v_cndmask_b32_e32 v69, 0, v69, vcc
	v_cndmask_b32_e32 v68, 0, v68, vcc
	v_cmp_eq_u32_e32 vcc, 1, v20
	s_waitcnt lgkmcnt(0)
	v_and_b32_e32 v20, 1, v21
	v_cmp_eq_u32_e64 s[46:47], 1, v20
	s_or_b64 s[46:47], vcc, s[46:47]
	v_lshl_add_u64 v[24:25], v[68:69], 0, v[24:25]
	v_cndmask_b32_e64 v84, 0, 1, s[46:47]
	v_cndmask_b32_e64 v20, 0, 1, s[46:47]
.LBB1200_161:
	;; [unrolled: 30-line block ×4, first 2 shown]
	s_or_b64 exec, exec, s[50:51]
	v_cmp_gt_u32_e32 vcc, 32, v56
	s_waitcnt lgkmcnt(1)
	v_add_u32_e32 v77, 32, v56
	s_waitcnt lgkmcnt(0)
	v_cndmask_b32_e64 v21, 0, 1, vcc
	v_lshlrev_b32_e32 v21, 5, v21
	v_add_lshl_u32 v76, v21, v52, 2
	ds_bpermute_b32 v21, v76, v24
	ds_bpermute_b32 v52, v76, v25
	;; [unrolled: 1-line block ×3, first 2 shown]
	v_cmp_le_u32_e32 vcc, v77, v9
	s_and_saveexec_b64 s[50:51], vcc
	s_cbranch_execz .LBB1200_167
; %bb.166:
	v_mov_b32_e32 v9, 0
	v_cmp_eq_u16_sdwa vcc, v84, v9 src0_sel:BYTE_0 src1_sel:DWORD
	v_and_b32_e32 v9, 1, v84
	s_waitcnt lgkmcnt(1)
	v_cndmask_b32_e32 v87, 0, v52, vcc
	v_cndmask_b32_e32 v86, 0, v21, vcc
	v_cmp_eq_u32_e32 vcc, 1, v9
	s_waitcnt lgkmcnt(0)
	v_and_b32_e32 v9, 1, v20
	v_cmp_eq_u32_e64 s[46:47], 1, v9
	s_or_b64 s[46:47], vcc, s[46:47]
	v_lshl_add_u64 v[24:25], v[86:87], 0, v[24:25]
	v_cndmask_b32_e64 v84, 0, 1, s[46:47]
.LBB1200_167:
	s_or_b64 exec, exec, s[50:51]
	v_mov_b32_e32 v9, 0
	v_mov_b32_e32 v83, 2
	s_branch .LBB1200_169
.LBB1200_168:                           ;   in Loop: Header=BB1200_169 Depth=1
	s_or_b64 exec, exec, s[52:53]
	v_cmp_eq_u16_sdwa vcc, v52, v9 src0_sel:BYTE_0 src1_sel:DWORD
	v_and_b32_e32 v84, 1, v52
	v_subrev_u32_e32 v8, 64, v8
	v_cndmask_b32_e32 v25, 0, v25, vcc
	v_cndmask_b32_e32 v24, 0, v24, vcc
	v_cmp_eq_u32_e32 vcc, 1, v84
	s_or_b64 s[46:47], vcc, s[50:51]
	v_lshl_add_u64 v[24:25], v[24:25], 0, v[20:21]
	v_cndmask_b32_e64 v84, 0, 1, s[46:47]
.LBB1200_169:                           ; =>This Loop Header: Depth=1
                                        ;     Child Loop BB1200_172 Depth 2
                                        ;       Child Loop BB1200_173 Depth 3
	v_cmp_ne_u16_sdwa s[46:47], v53, v83 src0_sel:BYTE_0 src1_sel:DWORD
	s_waitcnt lgkmcnt(1)
	v_mov_b32_e32 v52, v84
	s_waitcnt lgkmcnt(0)
	v_cndmask_b32_e64 v20, 0, 1, s[46:47]
	;;#ASMSTART
	;;#ASMEND
	s_nop 0
	v_cmp_ne_u32_e32 vcc, 0, v20
	s_cmp_lg_u64 vcc, exec
	v_mov_b64_e32 v[20:21], v[24:25]
	s_cbranch_scc1 .LBB1200_188
; %bb.170:                              ;   in Loop: Header=BB1200_169 Depth=1
	global_load_ubyte v53, v8, s[88:89] sc1
	s_waitcnt vmcnt(0)
	v_cmp_eq_u16_e32 vcc, 0, v53
	s_and_saveexec_b64 s[46:47], vcc
	s_cbranch_execz .LBB1200_176
; %bb.171:                              ;   in Loop: Header=BB1200_169 Depth=1
	v_lshl_add_u64 v[24:25], s[88:89], 0, v[8:9]
	s_mov_b32 s3, 1
	s_mov_b64 s[50:51], 0
.LBB1200_172:                           ;   Parent Loop BB1200_169 Depth=1
                                        ; =>  This Loop Header: Depth=2
                                        ;       Child Loop BB1200_173 Depth 3
	s_max_u32 s52, s3, 1
.LBB1200_173:                           ;   Parent Loop BB1200_169 Depth=1
                                        ;     Parent Loop BB1200_172 Depth=2
                                        ; =>    This Inner Loop Header: Depth=3
	s_add_i32 s52, s52, -1
	s_cmp_eq_u32 s52, 0
	s_sleep 1
	s_cbranch_scc0 .LBB1200_173
; %bb.174:                              ;   in Loop: Header=BB1200_172 Depth=2
	global_load_ubyte v53, v[24:25], off sc1
	s_cmp_lt_u32 s3, 32
	s_cselect_b64 s[52:53], -1, 0
	s_cmp_lg_u64 s[52:53], 0
	s_addc_u32 s3, s3, 0
	s_waitcnt vmcnt(0)
	v_cmp_ne_u16_e32 vcc, 0, v53
	s_or_b64 s[50:51], vcc, s[50:51]
	s_andn2_b64 exec, exec, s[50:51]
	s_cbranch_execnz .LBB1200_172
; %bb.175:                              ;   in Loop: Header=BB1200_169 Depth=1
	s_or_b64 exec, exec, s[50:51]
.LBB1200_176:                           ;   in Loop: Header=BB1200_169 Depth=1
	s_or_b64 exec, exec, s[46:47]
	v_mov_b32_e32 v24, s87
	v_mov_b32_e32 v25, s85
	v_cmp_eq_u16_e32 vcc, 1, v53
	v_mov_b32_e32 v84, s84
	s_waitcnt vmcnt(0)
	v_cndmask_b32_e32 v25, v24, v25, vcc
	v_mov_b32_e32 v24, s86
	v_cndmask_b32_e32 v24, v24, v84, vcc
	v_lshl_add_u64 v[86:87], v[8:9], 4, v[24:25]
	global_load_dword v24, v[86:87], off sc1
	global_load_dword v25, v[86:87], off offset:4 sc1
	global_load_dword v84, v[86:87], off offset:8 sc1
	global_load_dword v85, v[86:87], off offset:12 sc1
	v_cmp_eq_u16_e32 vcc, 2, v53
	s_waitcnt vmcnt(3)
	ds_bpermute_b32 v88, v57, v24
	s_waitcnt vmcnt(0)
	v_and_b32_e32 v85, vcc_hi, v13
	v_and_b32_e32 v86, 0xff, v84
	v_or_b32_e32 v85, 0x80000000, v85
	ds_bpermute_b32 v89, v57, v25
	ds_bpermute_b32 v87, v57, v86
	v_and_b32_e32 v90, vcc_lo, v12
	v_ffbl_b32_e32 v85, v85
	v_add_u32_e32 v85, 32, v85
	v_ffbl_b32_e32 v90, v90
	v_min_u32_e32 v85, v90, v85
	v_cmp_lt_u32_e32 vcc, v56, v85
	s_and_saveexec_b64 s[46:47], vcc
	s_cbranch_execz .LBB1200_178
; %bb.177:                              ;   in Loop: Header=BB1200_169 Depth=1
	v_cmp_eq_u16_sdwa vcc, v84, v9 src0_sel:BYTE_0 src1_sel:DWORD
	s_waitcnt lgkmcnt(0)
	v_or_b32_e32 v86, v87, v84
	v_and_b32_e32 v84, 1, v86
	v_cndmask_b32_e32 v89, 0, v89, vcc
	v_cndmask_b32_e32 v88, 0, v88, vcc
	v_lshl_add_u64 v[24:25], v[88:89], 0, v[24:25]
	v_and_b32_e32 v86, 1, v86
.LBB1200_178:                           ;   in Loop: Header=BB1200_169 Depth=1
	s_or_b64 exec, exec, s[46:47]
	s_waitcnt lgkmcnt(2)
	ds_bpermute_b32 v88, v60, v24
	s_waitcnt lgkmcnt(2)
	ds_bpermute_b32 v89, v60, v25
	;; [unrolled: 2-line block ×3, first 2 shown]
	v_and_b32_e32 v90, 1, v84
	v_cmp_le_u32_e32 vcc, v61, v85
	v_cmp_eq_u32_e64 s[50:51], 1, v90
	s_and_saveexec_b64 s[46:47], vcc
	s_cbranch_execz .LBB1200_180
; %bb.179:                              ;   in Loop: Header=BB1200_169 Depth=1
	v_cmp_eq_u16_sdwa vcc, v84, v9 src0_sel:BYTE_0 src1_sel:DWORD
	s_waitcnt lgkmcnt(0)
	v_and_b32_e32 v84, 1, v87
	v_cndmask_b32_e32 v89, 0, v89, vcc
	v_cndmask_b32_e32 v88, 0, v88, vcc
	v_cmp_eq_u32_e32 vcc, 1, v84
	s_or_b64 s[52:53], s[50:51], vcc
	v_cndmask_b32_e64 v84, 0, 1, s[52:53]
	v_cndmask_b32_e64 v86, 0, 1, s[52:53]
	s_andn2_b64 s[50:51], s[50:51], exec
	s_and_b64 s[52:53], s[52:53], exec
	v_lshl_add_u64 v[24:25], v[88:89], 0, v[24:25]
	s_or_b64 s[50:51], s[50:51], s[52:53]
.LBB1200_180:                           ;   in Loop: Header=BB1200_169 Depth=1
	s_or_b64 exec, exec, s[46:47]
	s_waitcnt lgkmcnt(2)
	ds_bpermute_b32 v88, v64, v24
	s_waitcnt lgkmcnt(2)
	ds_bpermute_b32 v89, v64, v25
	s_waitcnt lgkmcnt(2)
	ds_bpermute_b32 v87, v64, v86
	v_cmp_le_u32_e32 vcc, v65, v85
	s_and_saveexec_b64 s[52:53], vcc
	s_cbranch_execz .LBB1200_182
; %bb.181:                              ;   in Loop: Header=BB1200_169 Depth=1
	v_cmp_eq_u16_sdwa vcc, v84, v9 src0_sel:BYTE_0 src1_sel:DWORD
	v_and_b32_e32 v84, 1, v84
	s_andn2_b64 s[50:51], s[50:51], exec
	s_waitcnt lgkmcnt(1)
	v_cndmask_b32_e32 v89, 0, v89, vcc
	v_cndmask_b32_e32 v88, 0, v88, vcc
	v_cmp_eq_u32_e32 vcc, 1, v84
	s_waitcnt lgkmcnt(0)
	v_and_b32_e32 v84, 1, v87
	v_cmp_eq_u32_e64 s[46:47], 1, v84
	s_or_b64 s[46:47], vcc, s[46:47]
	v_lshl_add_u64 v[24:25], v[88:89], 0, v[24:25]
	v_cndmask_b32_e64 v84, 0, 1, s[46:47]
	v_cndmask_b32_e64 v86, 0, 1, s[46:47]
	s_and_b64 s[46:47], s[46:47], exec
	s_or_b64 s[50:51], s[50:51], s[46:47]
.LBB1200_182:                           ;   in Loop: Header=BB1200_169 Depth=1
	s_or_b64 exec, exec, s[52:53]
	s_waitcnt lgkmcnt(2)
	ds_bpermute_b32 v88, v68, v24
	s_waitcnt lgkmcnt(2)
	ds_bpermute_b32 v89, v68, v25
	s_waitcnt lgkmcnt(2)
	ds_bpermute_b32 v87, v68, v86
	v_cmp_le_u32_e32 vcc, v69, v85
	s_and_saveexec_b64 s[52:53], vcc
	s_cbranch_execz .LBB1200_184
; %bb.183:                              ;   in Loop: Header=BB1200_169 Depth=1
	v_cmp_eq_u16_sdwa vcc, v84, v9 src0_sel:BYTE_0 src1_sel:DWORD
	v_and_b32_e32 v84, 1, v84
	s_andn2_b64 s[50:51], s[50:51], exec
	s_waitcnt lgkmcnt(1)
	v_cndmask_b32_e32 v89, 0, v89, vcc
	v_cndmask_b32_e32 v88, 0, v88, vcc
	v_cmp_eq_u32_e32 vcc, 1, v84
	s_waitcnt lgkmcnt(0)
	v_and_b32_e32 v84, 1, v87
	v_cmp_eq_u32_e64 s[46:47], 1, v84
	s_or_b64 s[46:47], vcc, s[46:47]
	v_lshl_add_u64 v[24:25], v[88:89], 0, v[24:25]
	v_cndmask_b32_e64 v84, 0, 1, s[46:47]
	v_cndmask_b32_e64 v86, 0, 1, s[46:47]
	s_and_b64 s[46:47], s[46:47], exec
	s_or_b64 s[50:51], s[50:51], s[46:47]
.LBB1200_184:                           ;   in Loop: Header=BB1200_169 Depth=1
	;; [unrolled: 28-line block ×3, first 2 shown]
	s_or_b64 exec, exec, s[52:53]
	s_waitcnt lgkmcnt(0)
	ds_bpermute_b32 v87, v76, v24
	ds_bpermute_b32 v88, v76, v25
	;; [unrolled: 1-line block ×3, first 2 shown]
	v_cmp_le_u32_e32 vcc, v77, v85
	s_and_saveexec_b64 s[52:53], vcc
	s_cbranch_execz .LBB1200_168
; %bb.187:                              ;   in Loop: Header=BB1200_169 Depth=1
	v_cmp_eq_u16_sdwa vcc, v84, v9 src0_sel:BYTE_0 src1_sel:DWORD
	v_and_b32_e32 v84, 1, v84
	s_andn2_b64 s[50:51], s[50:51], exec
	s_waitcnt lgkmcnt(1)
	v_cndmask_b32_e32 v89, 0, v88, vcc
	v_cndmask_b32_e32 v88, 0, v87, vcc
	v_cmp_eq_u32_e32 vcc, 1, v84
	s_waitcnt lgkmcnt(0)
	v_and_b32_e32 v84, 1, v86
	v_cmp_eq_u32_e64 s[46:47], 1, v84
	s_or_b64 s[46:47], vcc, s[46:47]
	s_and_b64 s[46:47], s[46:47], exec
	v_lshl_add_u64 v[24:25], v[88:89], 0, v[24:25]
	s_or_b64 s[50:51], s[50:51], s[46:47]
	s_branch .LBB1200_168
.LBB1200_188:                           ;   in Loop: Header=BB1200_169 Depth=1
                                        ; implicit-def: $vgpr84
                                        ; implicit-def: $vgpr24_vgpr25
                                        ; implicit-def: $vgpr53
	s_cbranch_execz .LBB1200_169
; %bb.189:
	s_and_saveexec_b64 s[46:47], s[44:45]
	s_cbranch_execz .LBB1200_191
; %bb.190:
	s_mov_b32 s3, 0
	v_mov_b32_e32 v12, 0
	s_add_i32 s2, s2, 64
	v_cmp_eq_u32_sdwa vcc, v82, v12 src0_sel:BYTE_0 src1_sel:DWORD
	s_lshl_b64 s[50:51], s[2:3], 4
	v_and_b32_e32 v13, 1, v82
	v_cndmask_b32_e32 v9, 0, v21, vcc
	v_cndmask_b32_e32 v8, 0, v20, vcc
	s_add_u32 s50, s86, s50
	v_lshl_add_u64 v[8:9], v[8:9], 0, v[80:81]
	v_and_b32_e32 v24, 1, v52
	v_cmp_eq_u32_e32 vcc, 1, v13
	s_addc_u32 s51, s87, s51
	s_nop 0
	v_cndmask_b32_e64 v13, v24, 1, vcc
	global_store_dword v12, v8, s[50:51] sc1
	global_store_dword v12, v9, s[50:51] offset:4 sc1
	global_store_dword v12, v13, s[50:51] offset:8 sc1
	;; [unrolled: 1-line block ×3, first 2 shown]
	v_mov_b32_e32 v8, s2
	v_mov_b32_e32 v9, 2
	s_waitcnt vmcnt(0) lgkmcnt(0)
	global_store_byte v8, v9, s[88:89] sc1
.LBB1200_191:
	s_or_b64 exec, exec, s[46:47]
	v_cmp_eq_u32_e32 vcc, 0, v0
	s_and_b64 exec, exec, vcc
	s_cbranch_execz .LBB1200_193
; %bb.192:
	v_mov_b32_e32 v8, 0
	ds_write_b64 v8, v[20:21] offset:48
	ds_write_b8 v8, v52 offset:56
.LBB1200_193:
	s_or_b64 exec, exec, s[48:49]
	s_waitcnt lgkmcnt(0)
	v_cndmask_b32_e64 v8, v49, v44, s[44:45]
	v_mov_b32_e32 v13, 0
	v_cndmask_b32_e64 v9, v48, v5, s[44:45]
	v_cndmask_b32_e64 v12, v45, v4, s[44:45]
	v_cmp_eq_u16_sdwa vcc, v1, v13 src0_sel:BYTE_0 src1_sel:DWORD
	v_and_b32_e32 v20, 1, v1
	v_and_b32_e32 v8, 1, v8
	s_barrier
	ds_read_b64 v[4:5], v13 offset:48
	v_cndmask_b32_e32 v12, 0, v12, vcc
	v_cndmask_b32_e32 v9, 0, v9, vcc
	v_cmp_eq_u32_e32 vcc, 1, v20
	v_cmp_eq_u32_e64 s[2:3], 1, v8
	s_or_b64 s[2:3], vcc, s[2:3]
	v_cmp_eq_u32_e32 vcc, 0, v0
	v_cndmask_b32_e64 v8, 0, 1, s[2:3]
	s_nop 0
	v_cndmask_b32_e32 v20, v8, v1, vcc
	v_cndmask_b32_e64 v9, v9, 0, vcc
	v_cndmask_b32_e64 v8, v12, 0, vcc
	v_cmp_eq_u16_sdwa vcc, v20, v13 src0_sel:BYTE_0 src1_sel:DWORD
	v_lshl_add_u64 v[8:9], v[8:9], 0, v[2:3]
	s_waitcnt lgkmcnt(0)
	v_cndmask_b32_e32 v5, 0, v5, vcc
	v_cndmask_b32_e32 v4, 0, v4, vcc
	v_lshl_add_u64 v[114:115], v[8:9], 0, v[4:5]
	v_cndmask_b32_e64 v5, 0, v115, s[64:65]
	v_cndmask_b32_e64 v4, 0, v114, s[64:65]
	v_lshl_add_u64 v[44:45], v[4:5], 0, v[14:15]
	v_cndmask_b32_e64 v5, 0, v45, s[4:5]
	v_cndmask_b32_e64 v4, 0, v44, s[4:5]
	;; [unrolled: 3-line block ×20, first 2 shown]
	v_lshl_add_u64 v[120:121], v[4:5], 0, v[16:17]
	s_branch .LBB1200_224
.LBB1200_194:
                                        ; implicit-def: $vgpr112_vgpr113_vgpr114_vgpr115
                                        ; implicit-def: $vgpr120_vgpr121
                                        ; implicit-def: $vgpr118_vgpr119
                                        ; implicit-def: $vgpr76_vgpr77
                                        ; implicit-def: $vgpr72_vgpr73
                                        ; implicit-def: $vgpr68_vgpr69
                                        ; implicit-def: $vgpr64_vgpr65
                                        ; implicit-def: $vgpr60_vgpr61
                                        ; implicit-def: $vgpr56_vgpr57
                                        ; implicit-def: $vgpr52_vgpr53
                                        ; implicit-def: $vgpr48_vgpr49
                                        ; implicit-def: $vgpr44_vgpr45
                                        ; implicit-def: $vgpr108_vgpr109_vgpr110_vgpr111
                                        ; implicit-def: $vgpr104_vgpr105_vgpr106_vgpr107
                                        ; implicit-def: $vgpr100_vgpr101_vgpr102_vgpr103
                                        ; implicit-def: $vgpr96_vgpr97_vgpr98_vgpr99
                                        ; implicit-def: $vgpr92_vgpr93_vgpr94_vgpr95
                                        ; implicit-def: $vgpr88_vgpr89_vgpr90_vgpr91
                                        ; implicit-def: $vgpr84_vgpr85_vgpr86_vgpr87
                                        ; implicit-def: $vgpr80_vgpr81_vgpr82_vgpr83
                                        ; implicit-def: $vgpr114_vgpr115_vgpr116_vgpr117
	s_cbranch_execz .LBB1200_224
; %bb.195:
	v_readlane_b32 s4, v131, 0
	v_readlane_b32 s6, v131, 2
	;; [unrolled: 1-line block ×3, first 2 shown]
	s_cmp_lg_u64 s[96:97], 0
	v_readlane_b32 s5, v131, 1
	s_mov_b64 s[2:3], s[6:7]
	s_cselect_b32 s5, s3, 0
	s_cselect_b32 s4, s2, 0
	s_cmp_lg_u64 s[4:5], 0
	v_readlane_b32 s8, v131, 4
	v_readlane_b32 s9, v131, 5
	s_cselect_b64 s[6:7], -1, 0
	v_cmp_eq_u32_e32 vcc, 0, v0
	v_cmp_ne_u32_e64 s[2:3], 0, v0
	s_and_b64 s[8:9], vcc, s[6:7]
	v_readlane_b32 s10, v131, 6
	v_readlane_b32 s11, v131, 7
	s_and_saveexec_b64 s[6:7], s[8:9]
	s_cbranch_execz .LBB1200_197
; %bb.196:
	v_mov_b32_e32 v8, 0
	global_load_dwordx2 v[4:5], v8, s[4:5]
	global_load_ubyte v9, v8, s[4:5] offset:8
	v_cmp_eq_u16_sdwa s[4:5], v1, v8 src0_sel:BYTE_0 src1_sel:DWORD
	s_waitcnt vmcnt(0)
	v_or_b32_e32 v1, v1, v9
	v_cndmask_b32_e64 v5, 0, v5, s[4:5]
	v_cndmask_b32_e64 v4, 0, v4, s[4:5]
	v_lshl_add_u64 v[2:3], v[4:5], 0, v[2:3]
	v_and_b32_e32 v1, 1, v1
.LBB1200_197:
	s_or_b64 exec, exec, s[6:7]
	v_mov_b32_e32 v9, 0
	v_cmp_eq_u16_sdwa s[4:5], v128, v9 src0_sel:BYTE_0 src1_sel:DWORD
	v_cmp_eq_u16_sdwa s[6:7], v130, v9 src0_sel:BYTE_0 src1_sel:DWORD
	s_movk_i32 s40, 0xff
	v_cndmask_b32_e64 v5, 0, v3, s[4:5]
	v_cndmask_b32_e64 v4, 0, v2, s[4:5]
	v_lshl_add_u64 v[44:45], v[4:5], 0, v[14:15]
	v_cndmask_b32_e64 v5, 0, v45, s[6:7]
	v_cndmask_b32_e64 v4, 0, v44, s[6:7]
	v_lshl_add_u64 v[80:81], v[4:5], 0, v[6:7]
	v_and_b32_sdwa v4, v128, s40 dst_sel:DWORD dst_unused:UNUSED_PAD src0_sel:WORD_1 src1_sel:DWORD
	v_cmp_eq_u16_e64 s[8:9], 0, v4
	v_cmp_eq_u16_sdwa s[10:11], v128, v9 src0_sel:BYTE_3 src1_sel:DWORD
	v_cmp_eq_u16_sdwa s[12:13], v123, v9 src0_sel:BYTE_0 src1_sel:DWORD
	v_cndmask_b32_e64 v5, 0, v81, s[8:9]
	v_cndmask_b32_e64 v4, 0, v80, s[8:9]
	v_lshl_add_u64 v[48:49], v[4:5], 0, v[26:27]
	v_cndmask_b32_e64 v5, 0, v49, s[10:11]
	v_cndmask_b32_e64 v4, 0, v48, s[10:11]
	v_lshl_add_u64 v[84:85], v[4:5], 0, v[18:19]
	;; [unrolled: 3-line block ×3, first 2 shown]
	v_cmp_eq_u16_sdwa s[14:15], v127, v9 src0_sel:BYTE_0 src1_sel:DWORD
	v_cmp_eq_u16_sdwa s[16:17], v41, v9 src0_sel:BYTE_0 src1_sel:DWORD
	v_cmp_eq_u16_sdwa s[20:21], v127, v9 src0_sel:BYTE_3 src1_sel:DWORD
	v_cndmask_b32_e64 v5, 0, v53, s[14:15]
	v_cndmask_b32_e64 v4, 0, v52, s[14:15]
	v_lshl_add_u64 v[88:89], v[4:5], 0, v[22:23]
	v_cndmask_b32_e64 v5, 0, v89, s[16:17]
	v_cndmask_b32_e64 v4, 0, v88, s[16:17]
	v_lshl_add_u64 v[56:57], v[4:5], 0, v[42:43]
	v_and_b32_sdwa v4, v127, s40 dst_sel:DWORD dst_unused:UNUSED_PAD src0_sel:WORD_1 src1_sel:DWORD
	v_cmp_eq_u16_e64 s[18:19], 0, v4
	v_cmp_eq_u16_sdwa s[22:23], v124, v9 src0_sel:BYTE_0 src1_sel:DWORD
	v_cmp_eq_u16_sdwa s[24:25], v126, v9 src0_sel:BYTE_0 src1_sel:DWORD
	v_cndmask_b32_e64 v5, 0, v57, s[18:19]
	v_cndmask_b32_e64 v4, 0, v56, s[18:19]
	v_lshl_add_u64 v[92:93], v[4:5], 0, v[30:31]
	v_cndmask_b32_e64 v5, 0, v93, s[20:21]
	v_cndmask_b32_e64 v4, 0, v92, s[20:21]
	v_lshl_add_u64 v[60:61], v[4:5], 0, v[50:51]
	;; [unrolled: 3-line block ×4, first 2 shown]
	v_cmp_eq_u16_sdwa s[26:27], v40, v9 src0_sel:BYTE_0 src1_sel:DWORD
	v_cmp_eq_u16_sdwa s[30:31], v126, v9 src0_sel:BYTE_3 src1_sel:DWORD
	v_cmp_eq_u16_sdwa s[34:35], v122, v9 src0_sel:BYTE_0 src1_sel:DWORD
	v_cndmask_b32_e64 v5, 0, v65, s[26:27]
	v_cndmask_b32_e64 v4, 0, v64, s[26:27]
	v_lshl_add_u64 v[100:101], v[4:5], 0, v[46:47]
	v_and_b32_sdwa v4, v126, s40 dst_sel:DWORD dst_unused:UNUSED_PAD src0_sel:WORD_1 src1_sel:DWORD
	v_cmp_eq_u16_e64 s[28:29], 0, v4
	v_cmp_eq_u16_sdwa s[36:37], v125, v9 src0_sel:BYTE_0 src1_sel:DWORD
	v_cmp_eq_u16_sdwa s[38:39], v36, v9 src0_sel:BYTE_0 src1_sel:DWORD
	v_cndmask_b32_e64 v5, 0, v101, s[28:29]
	v_cndmask_b32_e64 v4, 0, v100, s[28:29]
	v_lshl_add_u64 v[68:69], v[4:5], 0, v[66:67]
	v_cndmask_b32_e64 v5, 0, v69, s[30:31]
	v_cndmask_b32_e64 v4, 0, v68, s[30:31]
	v_lshl_add_u64 v[104:105], v[4:5], 0, v[54:55]
	;; [unrolled: 3-line block ×5, first 2 shown]
	v_and_b32_sdwa v4, v125, s40 dst_sel:DWORD dst_unused:UNUSED_PAD src0_sel:WORD_1 src1_sel:DWORD
	v_cmp_eq_u16_e64 s[40:41], 0, v4
	v_cmp_eq_u16_sdwa s[42:43], v125, v9 src0_sel:BYTE_3 src1_sel:DWORD
	v_cmp_eq_u16_sdwa s[44:45], v28, v9 src0_sel:BYTE_0 src1_sel:DWORD
	v_cndmask_b32_e64 v5, 0, v77, s[40:41]
	v_cndmask_b32_e64 v4, 0, v76, s[40:41]
	v_lshl_add_u64 v[112:113], v[4:5], 0, v[70:71]
	v_cndmask_b32_e64 v5, 0, v113, s[42:43]
	v_cndmask_b32_e64 v4, 0, v112, s[42:43]
	v_lshl_add_u64 v[118:119], v[4:5], 0, v[10:11]
	;; [unrolled: 3-line block ×3, first 2 shown]
	v_or_b32_e32 v4, v125, v126
	v_or3_b32 v4, v4, v127, v128
	v_lshrrev_b16_e32 v9, 7, v4
	v_and_b32_e32 v5, 1, v4
	v_and_b32_e32 v9, 2, v9
	v_or_b32_e32 v5, v5, v9
	v_lshrrev_b32_e32 v9, 23, v4
	v_mov_b32_e32 v12, 1
	v_and_b32_e32 v9, 2, v9
	v_and_b32_sdwa v4, v4, v12 dst_sel:DWORD dst_unused:UNUSED_PAD src0_sel:WORD_1 src1_sel:DWORD
	v_or_b32_e32 v4, v4, v9
	v_lshlrev_b16_e32 v4, 2, v4
	v_or_b32_e32 v4, v5, v4
	v_cmp_eq_u32_e64 s[52:53], 1, v32
	v_cmp_ne_u16_e64 s[54:55], 0, v4
	v_cmp_eq_u32_e64 s[50:51], 1, v33
	s_or_b64 s[52:53], s[54:55], s[52:53]
	v_cmp_eq_u32_e64 s[48:49], 1, v37
	s_or_b64 s[50:51], s[52:53], s[50:51]
	;; [unrolled: 2-line block ×3, first 2 shown]
	v_and_b32_e32 v8, 0xff, v1
	s_or_b64 s[46:47], s[48:49], s[46:47]
	v_mbcnt_hi_u32_b32 v12, -1, v29
	v_cndmask_b32_e64 v13, v8, 1, s[46:47]
	v_and_b32_e32 v20, 15, v12
	v_mov_b32_dpp v24, v120 row_shr:1 row_mask:0xf bank_mask:0xf
	v_mov_b32_dpp v25, v121 row_shr:1 row_mask:0xf bank_mask:0xf
	;; [unrolled: 1-line block ×3, first 2 shown]
	v_cmp_ne_u32_e64 s[46:47], 0, v20
	v_mov_b64_e32 v[4:5], v[120:121]
	v_mov_b32_e32 v9, v121
	v_mov_b32_e32 v8, v120
	s_and_saveexec_b64 s[48:49], s[46:47]
; %bb.198:
	v_cmp_eq_u32_e64 s[46:47], 0, v13
	v_and_or_b32 v13, v21, 1, v13
	s_nop 0
	v_cndmask_b32_e64 v5, 0, v25, s[46:47]
	v_cndmask_b32_e64 v4, 0, v24, s[46:47]
	v_lshl_add_u64 v[4:5], v[120:121], 0, v[4:5]
	v_mov_b32_e32 v9, v5
	v_mov_b32_e32 v8, v4
; %bb.199:
	s_or_b64 exec, exec, s[48:49]
	s_nop 0
	v_mov_b32_dpp v24, v8 row_shr:2 row_mask:0xf bank_mask:0xf
	v_mov_b32_dpp v25, v9 row_shr:2 row_mask:0xf bank_mask:0xf
	v_mov_b32_dpp v21, v13 row_shr:2 row_mask:0xf bank_mask:0xf
	v_cmp_lt_u32_e64 s[46:47], 1, v20
	s_and_saveexec_b64 s[48:49], s[46:47]
; %bb.200:
	v_cmp_eq_u32_e64 s[46:47], 0, v13
	s_nop 1
	v_cndmask_b32_e64 v9, 0, v25, s[46:47]
	v_cndmask_b32_e64 v8, 0, v24, s[46:47]
	v_lshl_add_u64 v[8:9], v[8:9], 0, v[4:5]
	v_or_b32_e32 v4, v21, v13
	v_and_b32_e32 v13, 1, v4
	v_mov_b64_e32 v[4:5], v[8:9]
; %bb.201:
	s_or_b64 exec, exec, s[48:49]
	v_mov_b32_dpp v24, v8 row_shr:4 row_mask:0xf bank_mask:0xf
	v_mov_b32_dpp v25, v9 row_shr:4 row_mask:0xf bank_mask:0xf
	v_mov_b32_dpp v21, v13 row_shr:4 row_mask:0xf bank_mask:0xf
	v_cmp_lt_u32_e64 s[46:47], 3, v20
	s_and_saveexec_b64 s[48:49], s[46:47]
; %bb.202:
	v_cmp_eq_u32_e64 s[46:47], 0, v13
	s_nop 1
	v_cndmask_b32_e64 v9, 0, v25, s[46:47]
	v_cndmask_b32_e64 v8, 0, v24, s[46:47]
	v_lshl_add_u64 v[8:9], v[8:9], 0, v[4:5]
	v_or_b32_e32 v4, v21, v13
	v_and_b32_e32 v13, 1, v4
	v_mov_b64_e32 v[4:5], v[8:9]
; %bb.203:
	s_or_b64 exec, exec, s[48:49]
	v_mov_b32_dpp v24, v8 row_shr:8 row_mask:0xf bank_mask:0xf
	v_mov_b32_dpp v25, v9 row_shr:8 row_mask:0xf bank_mask:0xf
	v_mov_b32_dpp v21, v13 row_shr:8 row_mask:0xf bank_mask:0xf
	v_cmp_lt_u32_e64 s[46:47], 7, v20
	s_and_saveexec_b64 s[48:49], s[46:47]
; %bb.204:
	v_cmp_eq_u32_e64 s[46:47], 0, v13
	s_nop 1
	v_cndmask_b32_e64 v9, 0, v25, s[46:47]
	v_cndmask_b32_e64 v8, 0, v24, s[46:47]
	v_lshl_add_u64 v[8:9], v[8:9], 0, v[4:5]
	v_or_b32_e32 v4, v21, v13
	v_and_b32_e32 v13, 1, v4
	v_mov_b64_e32 v[4:5], v[8:9]
; %bb.205:
	s_or_b64 exec, exec, s[48:49]
	v_and_b32_e32 v25, 16, v12
	v_mov_b32_dpp v21, v8 row_bcast:15 row_mask:0xf bank_mask:0xf
	v_mov_b32_dpp v24, v9 row_bcast:15 row_mask:0xf bank_mask:0xf
	v_mov_b32_dpp v20, v13 row_bcast:15 row_mask:0xf bank_mask:0xf
	v_cmp_ne_u32_e64 s[46:47], 0, v25
	s_and_saveexec_b64 s[48:49], s[46:47]
; %bb.206:
	v_cmp_eq_u32_e64 s[46:47], 0, v13
	s_nop 1
	v_cndmask_b32_e64 v9, 0, v24, s[46:47]
	v_cndmask_b32_e64 v8, 0, v21, s[46:47]
	v_lshl_add_u64 v[4:5], v[8:9], 0, v[4:5]
	v_or_b32_e32 v8, v20, v13
	v_and_b32_e32 v13, 1, v8
	v_mov_b32_e32 v9, v5
	v_mov_b32_e32 v8, v4
; %bb.207:
	s_or_b64 exec, exec, s[48:49]
	s_nop 0
	v_mov_b32_dpp v20, v8 row_bcast:31 row_mask:0xf bank_mask:0xf
	v_mov_b32_dpp v21, v9 row_bcast:31 row_mask:0xf bank_mask:0xf
	;; [unrolled: 1-line block ×3, first 2 shown]
	v_cmp_lt_u32_e64 s[46:47], 31, v12
	v_mov_b32_e32 v8, v13
	s_and_saveexec_b64 s[48:49], s[46:47]
; %bb.208:
	v_cmp_eq_u32_e64 s[46:47], 0, v13
	v_or_b32_e32 v9, v9, v13
	v_and_b32_e32 v8, 1, v9
	v_cndmask_b32_e64 v21, 0, v21, s[46:47]
	v_cndmask_b32_e64 v20, 0, v20, s[46:47]
	v_lshl_add_u64 v[4:5], v[20:21], 0, v[4:5]
	v_and_b32_e32 v13, 1, v9
; %bb.209:
	s_or_b64 exec, exec, s[48:49]
	v_or_b32_e32 v9, 63, v0
	v_lshrrev_b32_e32 v20, 6, v0
	v_cmp_eq_u32_e64 s[46:47], v9, v0
	s_and_saveexec_b64 s[48:49], s[46:47]
	s_cbranch_execz .LBB1200_211
; %bb.210:
	v_lshlrev_b32_e32 v9, 4, v20
	ds_write_b64 v9, v[4:5]
	ds_write_b8 v9, v8 offset:8
.LBB1200_211:
	s_or_b64 exec, exec, s[48:49]
	v_cmp_gt_u32_e64 s[46:47], 4, v0
	s_waitcnt lgkmcnt(0)
	s_barrier
	s_and_saveexec_b64 s[50:51], s[46:47]
	s_cbranch_execz .LBB1200_217
; %bb.212:
	v_lshlrev_b32_e32 v21, 4, v0
	ds_read_b64 v[8:9], v21
	ds_read_b32 v24, v21 offset:8
	v_and_b32_e32 v25, 3, v12
	v_cmp_ne_u32_e64 s[46:47], 0, v25
	s_waitcnt lgkmcnt(1)
	v_mov_b32_dpp v33, v8 row_shr:1 row_mask:0xf bank_mask:0xf
	v_mov_b32_dpp v36, v9 row_shr:1 row_mask:0xf bank_mask:0xf
	s_waitcnt lgkmcnt(0)
	v_mov_b32_dpp v32, v24 row_shr:1 row_mask:0xf bank_mask:0xf
	v_mov_b32_e32 v28, v24
	v_mov_b32_e32 v29, v24
	s_and_saveexec_b64 s[48:49], s[46:47]
; %bb.213:
	v_mov_b32_e32 v28, 0
	v_cmp_eq_u16_sdwa s[46:47], v24, v28 src0_sel:BYTE_0 src1_sel:DWORD
	s_nop 1
	v_cndmask_b32_e64 v29, 0, v36, s[46:47]
	v_cndmask_b32_e64 v28, 0, v33, s[46:47]
	v_lshl_add_u64 v[8:9], v[28:29], 0, v[8:9]
	v_or_b32_e32 v29, v32, v24
	v_and_b32_e32 v28, 1, v29
	v_and_b32_e32 v29, 1, v29
	s_movk_i32 s46, 0xff00
	v_and_or_b32 v24, v24, s46, v29
; %bb.214:
	s_or_b64 exec, exec, s[48:49]
	v_mov_b32_dpp v32, v8 row_shr:2 row_mask:0xf bank_mask:0xf
	v_mov_b32_dpp v33, v9 row_shr:2 row_mask:0xf bank_mask:0xf
	;; [unrolled: 1-line block ×3, first 2 shown]
	v_cmp_lt_u32_e64 s[46:47], 1, v25
	s_and_saveexec_b64 s[52:53], s[46:47]
; %bb.215:
	v_mov_b32_e32 v25, 0
	v_cmp_eq_u16_sdwa s[46:47], v29, v25 src0_sel:BYTE_0 src1_sel:DWORD
	v_and_b32_e32 v25, 1, v29
	v_and_b32_e32 v24, 1, v24
	v_cndmask_b32_e64 v33, 0, v33, s[46:47]
	v_cndmask_b32_e64 v32, 0, v32, s[46:47]
	v_cmp_eq_u32_e64 s[46:47], 1, v25
	v_cmp_eq_u32_e64 s[48:49], 1, v24
	s_or_b64 s[46:47], s[46:47], s[48:49]
	v_lshl_add_u64 v[8:9], v[32:33], 0, v[8:9]
	v_cndmask_b32_e64 v28, 0, 1, s[46:47]
; %bb.216:
	s_or_b64 exec, exec, s[52:53]
	ds_write_b64 v21, v[8:9]
	ds_write_b8 v21, v28 offset:8
.LBB1200_217:
	s_or_b64 exec, exec, s[50:51]
	v_cmp_lt_u32_e64 s[46:47], 63, v0
	v_mov_b64_e32 v[8:9], 0
	s_waitcnt lgkmcnt(0)
	s_barrier
	s_and_saveexec_b64 s[48:49], s[46:47]
	s_cbranch_execz .LBB1200_219
; %bb.218:
	v_lshl_add_u32 v8, v20, 4, -16
	ds_read_b64 v[8:9], v8
	v_cmp_eq_u32_e64 s[46:47], 0, v13
	s_waitcnt lgkmcnt(0)
	s_nop 0
	v_cndmask_b32_e64 v21, 0, v9, s[46:47]
	v_cndmask_b32_e64 v20, 0, v8, s[46:47]
	v_lshl_add_u64 v[4:5], v[20:21], 0, v[4:5]
.LBB1200_219:
	s_or_b64 exec, exec, s[48:49]
	v_add_u32_e32 v13, -1, v12
	v_and_b32_e32 v20, 64, v12
	v_cmp_lt_i32_e64 s[46:47], v13, v20
	s_nop 1
	v_cndmask_b32_e64 v13, v13, v12, s[46:47]
	v_lshlrev_b32_e32 v13, 2, v13
	ds_bpermute_b32 v4, v13, v4
	ds_bpermute_b32 v5, v13, v5
	s_and_saveexec_b64 s[46:47], s[2:3]
	s_cbranch_execz .LBB1200_221
; %bb.220:
	v_cmp_eq_u32_e64 s[2:3], 0, v12
	;;#ASMSTART
	;;#ASMEND
	s_waitcnt lgkmcnt(1)
	s_nop 0
	v_cndmask_b32_e64 v4, v4, v8, s[2:3]
	v_mov_b32_e32 v8, 0
	s_waitcnt lgkmcnt(0)
	v_cndmask_b32_e64 v5, v5, v9, s[2:3]
	v_cmp_eq_u16_sdwa s[2:3], v1, v8 src0_sel:BYTE_0 src1_sel:DWORD
	s_nop 1
	v_cndmask_b32_e64 v5, 0, v5, s[2:3]
	v_cndmask_b32_e64 v4, 0, v4, s[2:3]
	v_lshl_add_u64 v[2:3], v[4:5], 0, v[2:3]
	v_cndmask_b32_e64 v5, 0, v3, s[4:5]
	v_cndmask_b32_e64 v4, 0, v2, s[4:5]
	v_lshl_add_u64 v[44:45], v[4:5], 0, v[14:15]
	;; [unrolled: 3-line block ×21, first 2 shown]
.LBB1200_221:
	s_or_b64 exec, exec, s[46:47]
	s_and_saveexec_b64 s[2:3], vcc
	s_cbranch_execz .LBB1200_223
; %bb.222:
	v_mov_b32_e32 v1, 0
	s_waitcnt lgkmcnt(0)
	ds_read_b64 v[4:5], v1 offset:48
	ds_read_u8 v6, v1 offset:56
	s_waitcnt lgkmcnt(1)
	global_store_dword v1, v4, s[86:87] offset:1024 sc1
	global_store_dword v1, v5, s[86:87] offset:1028 sc1
	s_waitcnt lgkmcnt(0)
	global_store_dword v1, v6, s[86:87] offset:1032 sc1
	global_store_dword v1, v1, s[86:87] offset:1036 sc1
	v_mov_b32_e32 v4, 2
	s_waitcnt vmcnt(0)
	global_store_byte v1, v4, s[88:89] offset:64 sc1
.LBB1200_223:
	s_or_b64 exec, exec, s[2:3]
	v_mov_b64_e32 v[114:115], v[2:3]
.LBB1200_224:
	s_add_u32 s2, s98, s92
	s_addc_u32 s3, s99, s93
	s_add_u32 s2, s2, s94
	s_addc_u32 s3, s3, s95
	s_and_b64 vcc, exec, s[0:1]
	v_lshlrev_b32_e32 v42, 3, v0
	s_cbranch_vccz .LBB1200_266
; %bb.225:
	s_movk_i32 s0, 0xa8
	v_mul_i32_i24_e32 v50, 0xffffff60, v0
	v_mul_u32_u24_e32 v1, 0xa8, v0
	v_mad_u32_u24 v2, v0, s0, v50
	s_waitcnt lgkmcnt(0)
	s_barrier
	ds_write2_b64 v1, v[114:115], v[44:45] offset1:1
	ds_write2_b64 v1, v[80:81], v[48:49] offset0:2 offset1:3
	ds_write2_b64 v1, v[84:85], v[52:53] offset0:4 offset1:5
	;; [unrolled: 1-line block ×9, first 2 shown]
	ds_write_b64 v1, v[120:121] offset:160
	s_waitcnt lgkmcnt(0)
	s_barrier
	ds_read2st64_b64 v[38:41], v2 offset0:4 offset1:8
	ds_read2st64_b64 v[34:37], v2 offset0:12 offset1:16
	;; [unrolled: 1-line block ×10, first 2 shown]
	s_add_i32 s33, s33, s90
	v_mov_b32_e32 v43, 0
	v_lshl_add_u64 v[46:47], s[2:3], 0, v[42:43]
	v_cmp_gt_u32_e32 vcc, s33, v0
	s_and_saveexec_b64 s[0:1], vcc
	s_cbranch_execz .LBB1200_227
; %bb.226:
	v_add_u32_e32 v1, v1, v50
	ds_read_b64 v[50:51], v1
	s_waitcnt lgkmcnt(0)
	flat_store_dwordx2 v[46:47], v[50:51]
.LBB1200_227:
	s_or_b64 exec, exec, s[0:1]
	v_or_b32_e32 v1, 0x100, v0
	v_cmp_gt_u32_e32 vcc, s33, v1
	s_and_saveexec_b64 s[0:1], vcc
	s_cbranch_execz .LBB1200_229
; %bb.228:
	s_waitcnt lgkmcnt(0)
	flat_store_dwordx2 v[46:47], v[38:39] offset:2048
.LBB1200_229:
	s_or_b64 exec, exec, s[0:1]
	v_or_b32_e32 v1, 0x200, v0
	v_cmp_gt_u32_e32 vcc, s33, v1
	s_and_saveexec_b64 s[0:1], vcc
	s_cbranch_execz .LBB1200_231
; %bb.230:
	s_waitcnt lgkmcnt(0)
	v_add_co_u32_e32 v38, vcc, 0x1000, v46
	s_nop 1
	v_addc_co_u32_e32 v39, vcc, 0, v47, vcc
	flat_store_dwordx2 v[38:39], v[40:41]
.LBB1200_231:
	s_or_b64 exec, exec, s[0:1]
	v_or_b32_e32 v1, 0x300, v0
	v_cmp_gt_u32_e32 vcc, s33, v1
	s_and_saveexec_b64 s[0:1], vcc
	s_cbranch_execz .LBB1200_233
; %bb.232:
	s_waitcnt lgkmcnt(0)
	v_add_co_u32_e32 v38, vcc, 0x1000, v46
	s_nop 1
	v_addc_co_u32_e32 v39, vcc, 0, v47, vcc
	flat_store_dwordx2 v[38:39], v[34:35] offset:2048
.LBB1200_233:
	s_or_b64 exec, exec, s[0:1]
	v_or_b32_e32 v1, 0x400, v0
	v_cmp_gt_u32_e32 vcc, s33, v1
	s_and_saveexec_b64 s[0:1], vcc
	s_cbranch_execz .LBB1200_235
; %bb.234:
	s_waitcnt lgkmcnt(0)
	v_add_co_u32_e32 v34, vcc, 0x2000, v46
	s_nop 1
	v_addc_co_u32_e32 v35, vcc, 0, v47, vcc
	flat_store_dwordx2 v[34:35], v[36:37]
.LBB1200_235:
	s_or_b64 exec, exec, s[0:1]
	v_or_b32_e32 v1, 0x500, v0
	v_cmp_gt_u32_e32 vcc, s33, v1
	s_and_saveexec_b64 s[0:1], vcc
	s_cbranch_execz .LBB1200_237
; %bb.236:
	s_waitcnt lgkmcnt(0)
	v_add_co_u32_e32 v34, vcc, 0x2000, v46
	s_nop 1
	v_addc_co_u32_e32 v35, vcc, 0, v47, vcc
	flat_store_dwordx2 v[34:35], v[30:31] offset:2048
.LBB1200_237:
	;; [unrolled: 24-line block ×9, first 2 shown]
	s_or_b64 exec, exec, s[0:1]
	s_waitcnt lgkmcnt(0)
	v_or_b32_e32 v2, 0x1400, v0
	v_mov_b32_e32 v1, v43
	v_cmp_gt_u32_e64 s[0:1], s33, v2
	s_branch .LBB1200_268
.LBB1200_266:
	s_mov_b64 s[0:1], 0
                                        ; implicit-def: $vgpr4_vgpr5
	s_cbranch_execz .LBB1200_268
; %bb.267:
	v_mul_u32_u24_e32 v1, 0xa8, v0
	s_waitcnt lgkmcnt(0)
	s_barrier
	s_movk_i32 s4, 0xa8
	ds_write2_b64 v1, v[114:115], v[44:45] offset1:1
	ds_write2_b64 v1, v[80:81], v[48:49] offset0:2 offset1:3
	ds_write2_b64 v1, v[84:85], v[52:53] offset0:4 offset1:5
	;; [unrolled: 1-line block ×9, first 2 shown]
	ds_write_b64 v1, v[120:121] offset:160
	v_mov_b32_e32 v1, 0
	v_mul_i32_i24_e32 v2, 0xffffff60, v0
	v_mad_u32_u24 v2, v0, s4, v2
	v_mov_b32_e32 v43, v1
	s_waitcnt lgkmcnt(0)
	s_barrier
	ds_read2st64_b64 v[6:9], v2 offset1:4
	ds_read2st64_b64 v[10:13], v2 offset0:8 offset1:12
	ds_read2st64_b64 v[14:17], v2 offset0:16 offset1:20
	;; [unrolled: 1-line block ×9, first 2 shown]
	ds_read_b64 v[4:5], v2 offset:40960
	v_lshl_add_u64 v[2:3], s[2:3], 0, v[42:43]
	s_movk_i32 s4, 0x1000
	s_waitcnt lgkmcnt(0)
	flat_store_dwordx2 v[2:3], v[6:7]
	flat_store_dwordx2 v[2:3], v[8:9] offset:2048
	v_add_co_u32_e32 v6, vcc, s4, v2
	s_movk_i32 s4, 0x2000
	s_nop 0
	v_addc_co_u32_e32 v7, vcc, 0, v3, vcc
	flat_store_dwordx2 v[6:7], v[10:11]
	flat_store_dwordx2 v[6:7], v[12:13] offset:2048
	v_add_co_u32_e32 v6, vcc, s4, v2
	s_movk_i32 s4, 0x3000
	s_nop 0
	v_addc_co_u32_e32 v7, vcc, 0, v3, vcc
	;; [unrolled: 6-line block ×6, first 2 shown]
	flat_store_dwordx2 v[6:7], v[30:31]
	flat_store_dwordx2 v[6:7], v[32:33] offset:2048
	v_add_co_u32_e32 v6, vcc, s4, v2
	s_or_b64 s[0:1], s[0:1], exec
	s_nop 0
	v_addc_co_u32_e32 v7, vcc, 0, v3, vcc
	flat_store_dwordx2 v[6:7], v[34:35]
	flat_store_dwordx2 v[6:7], v[36:37] offset:2048
	v_add_co_u32_e32 v6, vcc, 0x8000, v2
	s_nop 1
	v_addc_co_u32_e32 v7, vcc, 0, v3, vcc
	v_add_co_u32_e32 v2, vcc, 0x9000, v2
	flat_store_dwordx2 v[6:7], v[38:39]
	flat_store_dwordx2 v[6:7], v[40:41] offset:2048
	v_addc_co_u32_e32 v3, vcc, 0, v3, vcc
	flat_store_dwordx2 v[2:3], v[44:45]
	flat_store_dwordx2 v[2:3], v[46:47] offset:2048
.LBB1200_268:
	s_and_saveexec_b64 s[4:5], s[0:1]
	s_cbranch_execnz .LBB1200_270
; %bb.269:
	s_endpgm
.LBB1200_270:
	v_lshl_add_u64 v[0:1], v[0:1], 3, s[2:3]
	v_add_co_u32_e32 v0, vcc, 0xa000, v0
	s_nop 1
	v_addc_co_u32_e32 v1, vcc, 0, v1, vcc
	s_waitcnt lgkmcnt(0)
	flat_store_dwordx2 v[0:1], v[4:5]
	s_endpgm
.LBB1200_271:
	v_lshlrev_b32_e32 v6, 3, v0
	v_lshl_add_u64 v[2:3], s[48:49], 0, v[6:7]
	flat_load_dwordx2 v[2:3], v[2:3]
	s_or_b64 exec, exec, s[56:57]
                                        ; implicit-def: $vgpr6_vgpr7
	s_and_saveexec_b64 s[46:47], s[4:5]
	s_cbranch_execz .LBB1200_51
.LBB1200_272:
	v_lshlrev_b32_e32 v6, 3, v0
	v_mov_b32_e32 v7, 0
	v_lshl_add_u64 v[6:7], s[48:49], 0, v[6:7]
	flat_load_dwordx2 v[6:7], v[6:7] offset:2048
	s_or_b64 exec, exec, s[46:47]
                                        ; implicit-def: $vgpr10_vgpr11
	s_and_saveexec_b64 s[4:5], s[6:7]
	s_cbranch_execz .LBB1200_52
.LBB1200_273:
	v_lshlrev_b32_e32 v10, 3, v1
	v_mov_b32_e32 v11, 0
	v_lshl_add_u64 v[10:11], s[48:49], 0, v[10:11]
	flat_load_dwordx2 v[10:11], v[10:11]
	s_or_b64 exec, exec, s[4:5]
                                        ; implicit-def: $vgpr14_vgpr15
	s_and_saveexec_b64 s[4:5], s[8:9]
	s_cbranch_execz .LBB1200_53
.LBB1200_274:
	v_lshlrev_b32_e32 v14, 3, v16
	v_mov_b32_e32 v15, 0
	v_lshl_add_u64 v[14:15], s[48:49], 0, v[14:15]
	flat_load_dwordx2 v[14:15], v[14:15]
	s_or_b64 exec, exec, s[4:5]
                                        ; implicit-def: $vgpr16_vgpr17
	s_and_saveexec_b64 s[4:5], s[10:11]
	s_cbranch_execz .LBB1200_54
.LBB1200_275:
	v_lshlrev_b32_e32 v16, 3, v18
	v_mov_b32_e32 v17, 0
	v_lshl_add_u64 v[16:17], s[48:49], 0, v[16:17]
	flat_load_dwordx2 v[16:17], v[16:17]
	s_or_b64 exec, exec, s[4:5]
                                        ; implicit-def: $vgpr18_vgpr19
	s_and_saveexec_b64 s[4:5], s[12:13]
	s_cbranch_execz .LBB1200_55
.LBB1200_276:
	v_lshlrev_b32_e32 v18, 3, v22
	v_mov_b32_e32 v19, 0
	v_lshl_add_u64 v[18:19], s[48:49], 0, v[18:19]
	flat_load_dwordx2 v[18:19], v[18:19]
	s_or_b64 exec, exec, s[4:5]
                                        ; implicit-def: $vgpr22_vgpr23
	s_and_saveexec_b64 s[4:5], s[14:15]
	s_cbranch_execz .LBB1200_56
.LBB1200_277:
	v_lshlrev_b32_e32 v22, 3, v26
	v_mov_b32_e32 v23, 0
	v_lshl_add_u64 v[22:23], s[48:49], 0, v[22:23]
	flat_load_dwordx2 v[22:23], v[22:23]
	s_or_b64 exec, exec, s[4:5]
                                        ; implicit-def: $vgpr26_vgpr27
	s_and_saveexec_b64 s[4:5], s[16:17]
	s_cbranch_execz .LBB1200_57
.LBB1200_278:
	v_lshlrev_b32_e32 v26, 3, v30
	v_mov_b32_e32 v27, 0
	v_lshl_add_u64 v[26:27], s[48:49], 0, v[26:27]
	flat_load_dwordx2 v[26:27], v[26:27]
	s_or_b64 exec, exec, s[4:5]
                                        ; implicit-def: $vgpr30_vgpr31
	s_and_saveexec_b64 s[4:5], s[18:19]
	s_cbranch_execz .LBB1200_58
.LBB1200_279:
	v_lshlrev_b32_e32 v30, 3, v34
	v_mov_b32_e32 v31, 0
	v_lshl_add_u64 v[30:31], s[48:49], 0, v[30:31]
	flat_load_dwordx2 v[30:31], v[30:31]
	s_or_b64 exec, exec, s[4:5]
                                        ; implicit-def: $vgpr34_vgpr35
	s_and_saveexec_b64 s[4:5], s[20:21]
	s_cbranch_execz .LBB1200_59
.LBB1200_280:
	v_lshlrev_b32_e32 v34, 3, v38
	v_mov_b32_e32 v35, 0
	v_lshl_add_u64 v[34:35], s[48:49], 0, v[34:35]
	flat_load_dwordx2 v[34:35], v[34:35]
	s_or_b64 exec, exec, s[4:5]
                                        ; implicit-def: $vgpr38_vgpr39
	s_and_saveexec_b64 s[4:5], s[22:23]
	s_cbranch_execz .LBB1200_60
.LBB1200_281:
	v_lshlrev_b32_e32 v38, 3, v42
	v_mov_b32_e32 v39, 0
	v_lshl_add_u64 v[38:39], s[48:49], 0, v[38:39]
	flat_load_dwordx2 v[38:39], v[38:39]
	s_or_b64 exec, exec, s[4:5]
                                        ; implicit-def: $vgpr42_vgpr43
	s_and_saveexec_b64 s[4:5], s[24:25]
	s_cbranch_execz .LBB1200_61
.LBB1200_282:
	v_lshlrev_b32_e32 v42, 3, v46
	v_mov_b32_e32 v43, 0
	v_lshl_add_u64 v[42:43], s[48:49], 0, v[42:43]
	flat_load_dwordx2 v[42:43], v[42:43]
	s_or_b64 exec, exec, s[4:5]
                                        ; implicit-def: $vgpr46_vgpr47
	s_and_saveexec_b64 s[4:5], s[26:27]
	s_cbranch_execz .LBB1200_62
.LBB1200_283:
	v_lshlrev_b32_e32 v46, 3, v48
	v_mov_b32_e32 v47, 0
	v_lshl_add_u64 v[46:47], s[48:49], 0, v[46:47]
	flat_load_dwordx2 v[46:47], v[46:47]
	s_or_b64 exec, exec, s[4:5]
                                        ; implicit-def: $vgpr48_vgpr49
	s_and_saveexec_b64 s[4:5], s[28:29]
	s_cbranch_execz .LBB1200_63
.LBB1200_284:
	v_lshlrev_b32_e32 v48, 3, v50
	v_mov_b32_e32 v49, 0
	v_lshl_add_u64 v[48:49], s[48:49], 0, v[48:49]
	flat_load_dwordx2 v[48:49], v[48:49]
	s_or_b64 exec, exec, s[4:5]
                                        ; implicit-def: $vgpr50_vgpr51
	s_and_saveexec_b64 s[4:5], s[30:31]
	s_cbranch_execz .LBB1200_64
.LBB1200_285:
	v_lshlrev_b32_e32 v50, 3, v52
	v_mov_b32_e32 v51, 0
	v_lshl_add_u64 v[50:51], s[48:49], 0, v[50:51]
	flat_load_dwordx2 v[50:51], v[50:51]
	s_or_b64 exec, exec, s[4:5]
                                        ; implicit-def: $vgpr52_vgpr53
	s_and_saveexec_b64 s[4:5], s[34:35]
	s_cbranch_execz .LBB1200_65
.LBB1200_286:
	v_lshlrev_b32_e32 v52, 3, v54
	v_mov_b32_e32 v53, 0
	v_lshl_add_u64 v[52:53], s[48:49], 0, v[52:53]
	flat_load_dwordx2 v[52:53], v[52:53]
	s_or_b64 exec, exec, s[4:5]
                                        ; implicit-def: $vgpr54_vgpr55
	s_and_saveexec_b64 s[4:5], s[36:37]
	s_cbranch_execz .LBB1200_66
.LBB1200_287:
	v_lshlrev_b32_e32 v54, 3, v56
	v_mov_b32_e32 v55, 0
	v_lshl_add_u64 v[54:55], s[48:49], 0, v[54:55]
	flat_load_dwordx2 v[54:55], v[54:55]
	s_or_b64 exec, exec, s[4:5]
                                        ; implicit-def: $vgpr56_vgpr57
	s_and_saveexec_b64 s[4:5], s[38:39]
	s_cbranch_execz .LBB1200_67
.LBB1200_288:
	v_lshlrev_b32_e32 v56, 3, v58
	v_mov_b32_e32 v57, 0
	v_lshl_add_u64 v[56:57], s[48:49], 0, v[56:57]
	flat_load_dwordx2 v[56:57], v[56:57]
	s_or_b64 exec, exec, s[4:5]
                                        ; implicit-def: $vgpr58_vgpr59
	s_and_saveexec_b64 s[4:5], s[40:41]
	s_cbranch_execz .LBB1200_68
.LBB1200_289:
	v_lshlrev_b32_e32 v58, 3, v60
	v_mov_b32_e32 v59, 0
	v_lshl_add_u64 v[58:59], s[48:49], 0, v[58:59]
	flat_load_dwordx2 v[58:59], v[58:59]
	s_or_b64 exec, exec, s[4:5]
                                        ; implicit-def: $vgpr60_vgpr61
	s_and_saveexec_b64 s[4:5], s[42:43]
	s_cbranch_execz .LBB1200_69
.LBB1200_290:
	v_lshlrev_b32_e32 v60, 3, v62
	v_mov_b32_e32 v61, 0
	v_lshl_add_u64 v[60:61], s[48:49], 0, v[60:61]
	flat_load_dwordx2 v[60:61], v[60:61]
	s_or_b64 exec, exec, s[4:5]
                                        ; implicit-def: $vgpr62_vgpr63
	s_and_saveexec_b64 s[4:5], s[44:45]
	s_cbranch_execnz .LBB1200_70
	s_branch .LBB1200_71
.LBB1200_291:
                                        ; implicit-def: $sgpr56_sgpr57
	s_branch .LBB1200_46
.LBB1200_292:
                                        ; implicit-def: $sgpr4_sgpr5
	s_branch .LBB1200_116
	.section	.rodata,"a",@progbits
	.p2align	6, 0x0
	.amdhsa_kernel _ZN7rocprim17ROCPRIM_400000_NS6detail17trampoline_kernelINS0_14default_configENS1_27scan_by_key_config_selectorIiyEEZZNS1_16scan_by_key_implILNS1_25lookback_scan_determinismE0ELb0ES3_N6thrust23THRUST_200600_302600_NS6detail15normal_iteratorINS9_10device_ptrIiEEEENSB_INSC_IyEEEESG_yNS9_4plusIvEENS9_8equal_toIvEEyEE10hipError_tPvRmT2_T3_T4_T5_mT6_T7_P12ihipStream_tbENKUlT_T0_E_clISt17integral_constantIbLb1EES10_IbLb0EEEEDaSW_SX_EUlSW_E_NS1_11comp_targetILNS1_3genE5ELNS1_11target_archE942ELNS1_3gpuE9ELNS1_3repE0EEENS1_30default_config_static_selectorELNS0_4arch9wavefront6targetE1EEEvT1_
		.amdhsa_group_segment_fixed_size 43008
		.amdhsa_private_segment_fixed_size 0
		.amdhsa_kernarg_size 136
		.amdhsa_user_sgpr_count 2
		.amdhsa_user_sgpr_dispatch_ptr 0
		.amdhsa_user_sgpr_queue_ptr 0
		.amdhsa_user_sgpr_kernarg_segment_ptr 1
		.amdhsa_user_sgpr_dispatch_id 0
		.amdhsa_user_sgpr_kernarg_preload_length 0
		.amdhsa_user_sgpr_kernarg_preload_offset 0
		.amdhsa_user_sgpr_private_segment_size 0
		.amdhsa_uses_dynamic_stack 0
		.amdhsa_enable_private_segment 0
		.amdhsa_system_sgpr_workgroup_id_x 1
		.amdhsa_system_sgpr_workgroup_id_y 0
		.amdhsa_system_sgpr_workgroup_id_z 0
		.amdhsa_system_sgpr_workgroup_info 0
		.amdhsa_system_vgpr_workitem_id 0
		.amdhsa_next_free_vgpr 132
		.amdhsa_next_free_sgpr 100
		.amdhsa_accum_offset 132
		.amdhsa_reserve_vcc 1
		.amdhsa_float_round_mode_32 0
		.amdhsa_float_round_mode_16_64 0
		.amdhsa_float_denorm_mode_32 3
		.amdhsa_float_denorm_mode_16_64 3
		.amdhsa_dx10_clamp 1
		.amdhsa_ieee_mode 1
		.amdhsa_fp16_overflow 0
		.amdhsa_tg_split 0
		.amdhsa_exception_fp_ieee_invalid_op 0
		.amdhsa_exception_fp_denorm_src 0
		.amdhsa_exception_fp_ieee_div_zero 0
		.amdhsa_exception_fp_ieee_overflow 0
		.amdhsa_exception_fp_ieee_underflow 0
		.amdhsa_exception_fp_ieee_inexact 0
		.amdhsa_exception_int_div_zero 0
	.end_amdhsa_kernel
	.section	.text._ZN7rocprim17ROCPRIM_400000_NS6detail17trampoline_kernelINS0_14default_configENS1_27scan_by_key_config_selectorIiyEEZZNS1_16scan_by_key_implILNS1_25lookback_scan_determinismE0ELb0ES3_N6thrust23THRUST_200600_302600_NS6detail15normal_iteratorINS9_10device_ptrIiEEEENSB_INSC_IyEEEESG_yNS9_4plusIvEENS9_8equal_toIvEEyEE10hipError_tPvRmT2_T3_T4_T5_mT6_T7_P12ihipStream_tbENKUlT_T0_E_clISt17integral_constantIbLb1EES10_IbLb0EEEEDaSW_SX_EUlSW_E_NS1_11comp_targetILNS1_3genE5ELNS1_11target_archE942ELNS1_3gpuE9ELNS1_3repE0EEENS1_30default_config_static_selectorELNS0_4arch9wavefront6targetE1EEEvT1_,"axG",@progbits,_ZN7rocprim17ROCPRIM_400000_NS6detail17trampoline_kernelINS0_14default_configENS1_27scan_by_key_config_selectorIiyEEZZNS1_16scan_by_key_implILNS1_25lookback_scan_determinismE0ELb0ES3_N6thrust23THRUST_200600_302600_NS6detail15normal_iteratorINS9_10device_ptrIiEEEENSB_INSC_IyEEEESG_yNS9_4plusIvEENS9_8equal_toIvEEyEE10hipError_tPvRmT2_T3_T4_T5_mT6_T7_P12ihipStream_tbENKUlT_T0_E_clISt17integral_constantIbLb1EES10_IbLb0EEEEDaSW_SX_EUlSW_E_NS1_11comp_targetILNS1_3genE5ELNS1_11target_archE942ELNS1_3gpuE9ELNS1_3repE0EEENS1_30default_config_static_selectorELNS0_4arch9wavefront6targetE1EEEvT1_,comdat
.Lfunc_end1200:
	.size	_ZN7rocprim17ROCPRIM_400000_NS6detail17trampoline_kernelINS0_14default_configENS1_27scan_by_key_config_selectorIiyEEZZNS1_16scan_by_key_implILNS1_25lookback_scan_determinismE0ELb0ES3_N6thrust23THRUST_200600_302600_NS6detail15normal_iteratorINS9_10device_ptrIiEEEENSB_INSC_IyEEEESG_yNS9_4plusIvEENS9_8equal_toIvEEyEE10hipError_tPvRmT2_T3_T4_T5_mT6_T7_P12ihipStream_tbENKUlT_T0_E_clISt17integral_constantIbLb1EES10_IbLb0EEEEDaSW_SX_EUlSW_E_NS1_11comp_targetILNS1_3genE5ELNS1_11target_archE942ELNS1_3gpuE9ELNS1_3repE0EEENS1_30default_config_static_selectorELNS0_4arch9wavefront6targetE1EEEvT1_, .Lfunc_end1200-_ZN7rocprim17ROCPRIM_400000_NS6detail17trampoline_kernelINS0_14default_configENS1_27scan_by_key_config_selectorIiyEEZZNS1_16scan_by_key_implILNS1_25lookback_scan_determinismE0ELb0ES3_N6thrust23THRUST_200600_302600_NS6detail15normal_iteratorINS9_10device_ptrIiEEEENSB_INSC_IyEEEESG_yNS9_4plusIvEENS9_8equal_toIvEEyEE10hipError_tPvRmT2_T3_T4_T5_mT6_T7_P12ihipStream_tbENKUlT_T0_E_clISt17integral_constantIbLb1EES10_IbLb0EEEEDaSW_SX_EUlSW_E_NS1_11comp_targetILNS1_3genE5ELNS1_11target_archE942ELNS1_3gpuE9ELNS1_3repE0EEENS1_30default_config_static_selectorELNS0_4arch9wavefront6targetE1EEEvT1_
                                        ; -- End function
	.section	.AMDGPU.csdata,"",@progbits
; Kernel info:
; codeLenInByte = 17052
; NumSgprs: 106
; NumVgprs: 132
; NumAgprs: 0
; TotalNumVgprs: 132
; ScratchSize: 0
; MemoryBound: 0
; FloatMode: 240
; IeeeMode: 1
; LDSByteSize: 43008 bytes/workgroup (compile time only)
; SGPRBlocks: 13
; VGPRBlocks: 16
; NumSGPRsForWavesPerEU: 106
; NumVGPRsForWavesPerEU: 132
; AccumOffset: 132
; Occupancy: 1
; WaveLimiterHint : 1
; COMPUTE_PGM_RSRC2:SCRATCH_EN: 0
; COMPUTE_PGM_RSRC2:USER_SGPR: 2
; COMPUTE_PGM_RSRC2:TRAP_HANDLER: 0
; COMPUTE_PGM_RSRC2:TGID_X_EN: 1
; COMPUTE_PGM_RSRC2:TGID_Y_EN: 0
; COMPUTE_PGM_RSRC2:TGID_Z_EN: 0
; COMPUTE_PGM_RSRC2:TIDIG_COMP_CNT: 0
; COMPUTE_PGM_RSRC3_GFX90A:ACCUM_OFFSET: 32
; COMPUTE_PGM_RSRC3_GFX90A:TG_SPLIT: 0
	.section	.text._ZN7rocprim17ROCPRIM_400000_NS6detail17trampoline_kernelINS0_14default_configENS1_27scan_by_key_config_selectorIiyEEZZNS1_16scan_by_key_implILNS1_25lookback_scan_determinismE0ELb0ES3_N6thrust23THRUST_200600_302600_NS6detail15normal_iteratorINS9_10device_ptrIiEEEENSB_INSC_IyEEEESG_yNS9_4plusIvEENS9_8equal_toIvEEyEE10hipError_tPvRmT2_T3_T4_T5_mT6_T7_P12ihipStream_tbENKUlT_T0_E_clISt17integral_constantIbLb1EES10_IbLb0EEEEDaSW_SX_EUlSW_E_NS1_11comp_targetILNS1_3genE4ELNS1_11target_archE910ELNS1_3gpuE8ELNS1_3repE0EEENS1_30default_config_static_selectorELNS0_4arch9wavefront6targetE1EEEvT1_,"axG",@progbits,_ZN7rocprim17ROCPRIM_400000_NS6detail17trampoline_kernelINS0_14default_configENS1_27scan_by_key_config_selectorIiyEEZZNS1_16scan_by_key_implILNS1_25lookback_scan_determinismE0ELb0ES3_N6thrust23THRUST_200600_302600_NS6detail15normal_iteratorINS9_10device_ptrIiEEEENSB_INSC_IyEEEESG_yNS9_4plusIvEENS9_8equal_toIvEEyEE10hipError_tPvRmT2_T3_T4_T5_mT6_T7_P12ihipStream_tbENKUlT_T0_E_clISt17integral_constantIbLb1EES10_IbLb0EEEEDaSW_SX_EUlSW_E_NS1_11comp_targetILNS1_3genE4ELNS1_11target_archE910ELNS1_3gpuE8ELNS1_3repE0EEENS1_30default_config_static_selectorELNS0_4arch9wavefront6targetE1EEEvT1_,comdat
	.protected	_ZN7rocprim17ROCPRIM_400000_NS6detail17trampoline_kernelINS0_14default_configENS1_27scan_by_key_config_selectorIiyEEZZNS1_16scan_by_key_implILNS1_25lookback_scan_determinismE0ELb0ES3_N6thrust23THRUST_200600_302600_NS6detail15normal_iteratorINS9_10device_ptrIiEEEENSB_INSC_IyEEEESG_yNS9_4plusIvEENS9_8equal_toIvEEyEE10hipError_tPvRmT2_T3_T4_T5_mT6_T7_P12ihipStream_tbENKUlT_T0_E_clISt17integral_constantIbLb1EES10_IbLb0EEEEDaSW_SX_EUlSW_E_NS1_11comp_targetILNS1_3genE4ELNS1_11target_archE910ELNS1_3gpuE8ELNS1_3repE0EEENS1_30default_config_static_selectorELNS0_4arch9wavefront6targetE1EEEvT1_ ; -- Begin function _ZN7rocprim17ROCPRIM_400000_NS6detail17trampoline_kernelINS0_14default_configENS1_27scan_by_key_config_selectorIiyEEZZNS1_16scan_by_key_implILNS1_25lookback_scan_determinismE0ELb0ES3_N6thrust23THRUST_200600_302600_NS6detail15normal_iteratorINS9_10device_ptrIiEEEENSB_INSC_IyEEEESG_yNS9_4plusIvEENS9_8equal_toIvEEyEE10hipError_tPvRmT2_T3_T4_T5_mT6_T7_P12ihipStream_tbENKUlT_T0_E_clISt17integral_constantIbLb1EES10_IbLb0EEEEDaSW_SX_EUlSW_E_NS1_11comp_targetILNS1_3genE4ELNS1_11target_archE910ELNS1_3gpuE8ELNS1_3repE0EEENS1_30default_config_static_selectorELNS0_4arch9wavefront6targetE1EEEvT1_
	.globl	_ZN7rocprim17ROCPRIM_400000_NS6detail17trampoline_kernelINS0_14default_configENS1_27scan_by_key_config_selectorIiyEEZZNS1_16scan_by_key_implILNS1_25lookback_scan_determinismE0ELb0ES3_N6thrust23THRUST_200600_302600_NS6detail15normal_iteratorINS9_10device_ptrIiEEEENSB_INSC_IyEEEESG_yNS9_4plusIvEENS9_8equal_toIvEEyEE10hipError_tPvRmT2_T3_T4_T5_mT6_T7_P12ihipStream_tbENKUlT_T0_E_clISt17integral_constantIbLb1EES10_IbLb0EEEEDaSW_SX_EUlSW_E_NS1_11comp_targetILNS1_3genE4ELNS1_11target_archE910ELNS1_3gpuE8ELNS1_3repE0EEENS1_30default_config_static_selectorELNS0_4arch9wavefront6targetE1EEEvT1_
	.p2align	8
	.type	_ZN7rocprim17ROCPRIM_400000_NS6detail17trampoline_kernelINS0_14default_configENS1_27scan_by_key_config_selectorIiyEEZZNS1_16scan_by_key_implILNS1_25lookback_scan_determinismE0ELb0ES3_N6thrust23THRUST_200600_302600_NS6detail15normal_iteratorINS9_10device_ptrIiEEEENSB_INSC_IyEEEESG_yNS9_4plusIvEENS9_8equal_toIvEEyEE10hipError_tPvRmT2_T3_T4_T5_mT6_T7_P12ihipStream_tbENKUlT_T0_E_clISt17integral_constantIbLb1EES10_IbLb0EEEEDaSW_SX_EUlSW_E_NS1_11comp_targetILNS1_3genE4ELNS1_11target_archE910ELNS1_3gpuE8ELNS1_3repE0EEENS1_30default_config_static_selectorELNS0_4arch9wavefront6targetE1EEEvT1_,@function
_ZN7rocprim17ROCPRIM_400000_NS6detail17trampoline_kernelINS0_14default_configENS1_27scan_by_key_config_selectorIiyEEZZNS1_16scan_by_key_implILNS1_25lookback_scan_determinismE0ELb0ES3_N6thrust23THRUST_200600_302600_NS6detail15normal_iteratorINS9_10device_ptrIiEEEENSB_INSC_IyEEEESG_yNS9_4plusIvEENS9_8equal_toIvEEyEE10hipError_tPvRmT2_T3_T4_T5_mT6_T7_P12ihipStream_tbENKUlT_T0_E_clISt17integral_constantIbLb1EES10_IbLb0EEEEDaSW_SX_EUlSW_E_NS1_11comp_targetILNS1_3genE4ELNS1_11target_archE910ELNS1_3gpuE8ELNS1_3repE0EEENS1_30default_config_static_selectorELNS0_4arch9wavefront6targetE1EEEvT1_: ; @_ZN7rocprim17ROCPRIM_400000_NS6detail17trampoline_kernelINS0_14default_configENS1_27scan_by_key_config_selectorIiyEEZZNS1_16scan_by_key_implILNS1_25lookback_scan_determinismE0ELb0ES3_N6thrust23THRUST_200600_302600_NS6detail15normal_iteratorINS9_10device_ptrIiEEEENSB_INSC_IyEEEESG_yNS9_4plusIvEENS9_8equal_toIvEEyEE10hipError_tPvRmT2_T3_T4_T5_mT6_T7_P12ihipStream_tbENKUlT_T0_E_clISt17integral_constantIbLb1EES10_IbLb0EEEEDaSW_SX_EUlSW_E_NS1_11comp_targetILNS1_3genE4ELNS1_11target_archE910ELNS1_3gpuE8ELNS1_3repE0EEENS1_30default_config_static_selectorELNS0_4arch9wavefront6targetE1EEEvT1_
; %bb.0:
	.section	.rodata,"a",@progbits
	.p2align	6, 0x0
	.amdhsa_kernel _ZN7rocprim17ROCPRIM_400000_NS6detail17trampoline_kernelINS0_14default_configENS1_27scan_by_key_config_selectorIiyEEZZNS1_16scan_by_key_implILNS1_25lookback_scan_determinismE0ELb0ES3_N6thrust23THRUST_200600_302600_NS6detail15normal_iteratorINS9_10device_ptrIiEEEENSB_INSC_IyEEEESG_yNS9_4plusIvEENS9_8equal_toIvEEyEE10hipError_tPvRmT2_T3_T4_T5_mT6_T7_P12ihipStream_tbENKUlT_T0_E_clISt17integral_constantIbLb1EES10_IbLb0EEEEDaSW_SX_EUlSW_E_NS1_11comp_targetILNS1_3genE4ELNS1_11target_archE910ELNS1_3gpuE8ELNS1_3repE0EEENS1_30default_config_static_selectorELNS0_4arch9wavefront6targetE1EEEvT1_
		.amdhsa_group_segment_fixed_size 0
		.amdhsa_private_segment_fixed_size 0
		.amdhsa_kernarg_size 136
		.amdhsa_user_sgpr_count 2
		.amdhsa_user_sgpr_dispatch_ptr 0
		.amdhsa_user_sgpr_queue_ptr 0
		.amdhsa_user_sgpr_kernarg_segment_ptr 1
		.amdhsa_user_sgpr_dispatch_id 0
		.amdhsa_user_sgpr_kernarg_preload_length 0
		.amdhsa_user_sgpr_kernarg_preload_offset 0
		.amdhsa_user_sgpr_private_segment_size 0
		.amdhsa_uses_dynamic_stack 0
		.amdhsa_enable_private_segment 0
		.amdhsa_system_sgpr_workgroup_id_x 1
		.amdhsa_system_sgpr_workgroup_id_y 0
		.amdhsa_system_sgpr_workgroup_id_z 0
		.amdhsa_system_sgpr_workgroup_info 0
		.amdhsa_system_vgpr_workitem_id 0
		.amdhsa_next_free_vgpr 1
		.amdhsa_next_free_sgpr 0
		.amdhsa_accum_offset 4
		.amdhsa_reserve_vcc 0
		.amdhsa_float_round_mode_32 0
		.amdhsa_float_round_mode_16_64 0
		.amdhsa_float_denorm_mode_32 3
		.amdhsa_float_denorm_mode_16_64 3
		.amdhsa_dx10_clamp 1
		.amdhsa_ieee_mode 1
		.amdhsa_fp16_overflow 0
		.amdhsa_tg_split 0
		.amdhsa_exception_fp_ieee_invalid_op 0
		.amdhsa_exception_fp_denorm_src 0
		.amdhsa_exception_fp_ieee_div_zero 0
		.amdhsa_exception_fp_ieee_overflow 0
		.amdhsa_exception_fp_ieee_underflow 0
		.amdhsa_exception_fp_ieee_inexact 0
		.amdhsa_exception_int_div_zero 0
	.end_amdhsa_kernel
	.section	.text._ZN7rocprim17ROCPRIM_400000_NS6detail17trampoline_kernelINS0_14default_configENS1_27scan_by_key_config_selectorIiyEEZZNS1_16scan_by_key_implILNS1_25lookback_scan_determinismE0ELb0ES3_N6thrust23THRUST_200600_302600_NS6detail15normal_iteratorINS9_10device_ptrIiEEEENSB_INSC_IyEEEESG_yNS9_4plusIvEENS9_8equal_toIvEEyEE10hipError_tPvRmT2_T3_T4_T5_mT6_T7_P12ihipStream_tbENKUlT_T0_E_clISt17integral_constantIbLb1EES10_IbLb0EEEEDaSW_SX_EUlSW_E_NS1_11comp_targetILNS1_3genE4ELNS1_11target_archE910ELNS1_3gpuE8ELNS1_3repE0EEENS1_30default_config_static_selectorELNS0_4arch9wavefront6targetE1EEEvT1_,"axG",@progbits,_ZN7rocprim17ROCPRIM_400000_NS6detail17trampoline_kernelINS0_14default_configENS1_27scan_by_key_config_selectorIiyEEZZNS1_16scan_by_key_implILNS1_25lookback_scan_determinismE0ELb0ES3_N6thrust23THRUST_200600_302600_NS6detail15normal_iteratorINS9_10device_ptrIiEEEENSB_INSC_IyEEEESG_yNS9_4plusIvEENS9_8equal_toIvEEyEE10hipError_tPvRmT2_T3_T4_T5_mT6_T7_P12ihipStream_tbENKUlT_T0_E_clISt17integral_constantIbLb1EES10_IbLb0EEEEDaSW_SX_EUlSW_E_NS1_11comp_targetILNS1_3genE4ELNS1_11target_archE910ELNS1_3gpuE8ELNS1_3repE0EEENS1_30default_config_static_selectorELNS0_4arch9wavefront6targetE1EEEvT1_,comdat
.Lfunc_end1201:
	.size	_ZN7rocprim17ROCPRIM_400000_NS6detail17trampoline_kernelINS0_14default_configENS1_27scan_by_key_config_selectorIiyEEZZNS1_16scan_by_key_implILNS1_25lookback_scan_determinismE0ELb0ES3_N6thrust23THRUST_200600_302600_NS6detail15normal_iteratorINS9_10device_ptrIiEEEENSB_INSC_IyEEEESG_yNS9_4plusIvEENS9_8equal_toIvEEyEE10hipError_tPvRmT2_T3_T4_T5_mT6_T7_P12ihipStream_tbENKUlT_T0_E_clISt17integral_constantIbLb1EES10_IbLb0EEEEDaSW_SX_EUlSW_E_NS1_11comp_targetILNS1_3genE4ELNS1_11target_archE910ELNS1_3gpuE8ELNS1_3repE0EEENS1_30default_config_static_selectorELNS0_4arch9wavefront6targetE1EEEvT1_, .Lfunc_end1201-_ZN7rocprim17ROCPRIM_400000_NS6detail17trampoline_kernelINS0_14default_configENS1_27scan_by_key_config_selectorIiyEEZZNS1_16scan_by_key_implILNS1_25lookback_scan_determinismE0ELb0ES3_N6thrust23THRUST_200600_302600_NS6detail15normal_iteratorINS9_10device_ptrIiEEEENSB_INSC_IyEEEESG_yNS9_4plusIvEENS9_8equal_toIvEEyEE10hipError_tPvRmT2_T3_T4_T5_mT6_T7_P12ihipStream_tbENKUlT_T0_E_clISt17integral_constantIbLb1EES10_IbLb0EEEEDaSW_SX_EUlSW_E_NS1_11comp_targetILNS1_3genE4ELNS1_11target_archE910ELNS1_3gpuE8ELNS1_3repE0EEENS1_30default_config_static_selectorELNS0_4arch9wavefront6targetE1EEEvT1_
                                        ; -- End function
	.section	.AMDGPU.csdata,"",@progbits
; Kernel info:
; codeLenInByte = 0
; NumSgprs: 6
; NumVgprs: 0
; NumAgprs: 0
; TotalNumVgprs: 0
; ScratchSize: 0
; MemoryBound: 0
; FloatMode: 240
; IeeeMode: 1
; LDSByteSize: 0 bytes/workgroup (compile time only)
; SGPRBlocks: 0
; VGPRBlocks: 0
; NumSGPRsForWavesPerEU: 6
; NumVGPRsForWavesPerEU: 1
; AccumOffset: 4
; Occupancy: 8
; WaveLimiterHint : 0
; COMPUTE_PGM_RSRC2:SCRATCH_EN: 0
; COMPUTE_PGM_RSRC2:USER_SGPR: 2
; COMPUTE_PGM_RSRC2:TRAP_HANDLER: 0
; COMPUTE_PGM_RSRC2:TGID_X_EN: 1
; COMPUTE_PGM_RSRC2:TGID_Y_EN: 0
; COMPUTE_PGM_RSRC2:TGID_Z_EN: 0
; COMPUTE_PGM_RSRC2:TIDIG_COMP_CNT: 0
; COMPUTE_PGM_RSRC3_GFX90A:ACCUM_OFFSET: 0
; COMPUTE_PGM_RSRC3_GFX90A:TG_SPLIT: 0
	.section	.text._ZN7rocprim17ROCPRIM_400000_NS6detail17trampoline_kernelINS0_14default_configENS1_27scan_by_key_config_selectorIiyEEZZNS1_16scan_by_key_implILNS1_25lookback_scan_determinismE0ELb0ES3_N6thrust23THRUST_200600_302600_NS6detail15normal_iteratorINS9_10device_ptrIiEEEENSB_INSC_IyEEEESG_yNS9_4plusIvEENS9_8equal_toIvEEyEE10hipError_tPvRmT2_T3_T4_T5_mT6_T7_P12ihipStream_tbENKUlT_T0_E_clISt17integral_constantIbLb1EES10_IbLb0EEEEDaSW_SX_EUlSW_E_NS1_11comp_targetILNS1_3genE3ELNS1_11target_archE908ELNS1_3gpuE7ELNS1_3repE0EEENS1_30default_config_static_selectorELNS0_4arch9wavefront6targetE1EEEvT1_,"axG",@progbits,_ZN7rocprim17ROCPRIM_400000_NS6detail17trampoline_kernelINS0_14default_configENS1_27scan_by_key_config_selectorIiyEEZZNS1_16scan_by_key_implILNS1_25lookback_scan_determinismE0ELb0ES3_N6thrust23THRUST_200600_302600_NS6detail15normal_iteratorINS9_10device_ptrIiEEEENSB_INSC_IyEEEESG_yNS9_4plusIvEENS9_8equal_toIvEEyEE10hipError_tPvRmT2_T3_T4_T5_mT6_T7_P12ihipStream_tbENKUlT_T0_E_clISt17integral_constantIbLb1EES10_IbLb0EEEEDaSW_SX_EUlSW_E_NS1_11comp_targetILNS1_3genE3ELNS1_11target_archE908ELNS1_3gpuE7ELNS1_3repE0EEENS1_30default_config_static_selectorELNS0_4arch9wavefront6targetE1EEEvT1_,comdat
	.protected	_ZN7rocprim17ROCPRIM_400000_NS6detail17trampoline_kernelINS0_14default_configENS1_27scan_by_key_config_selectorIiyEEZZNS1_16scan_by_key_implILNS1_25lookback_scan_determinismE0ELb0ES3_N6thrust23THRUST_200600_302600_NS6detail15normal_iteratorINS9_10device_ptrIiEEEENSB_INSC_IyEEEESG_yNS9_4plusIvEENS9_8equal_toIvEEyEE10hipError_tPvRmT2_T3_T4_T5_mT6_T7_P12ihipStream_tbENKUlT_T0_E_clISt17integral_constantIbLb1EES10_IbLb0EEEEDaSW_SX_EUlSW_E_NS1_11comp_targetILNS1_3genE3ELNS1_11target_archE908ELNS1_3gpuE7ELNS1_3repE0EEENS1_30default_config_static_selectorELNS0_4arch9wavefront6targetE1EEEvT1_ ; -- Begin function _ZN7rocprim17ROCPRIM_400000_NS6detail17trampoline_kernelINS0_14default_configENS1_27scan_by_key_config_selectorIiyEEZZNS1_16scan_by_key_implILNS1_25lookback_scan_determinismE0ELb0ES3_N6thrust23THRUST_200600_302600_NS6detail15normal_iteratorINS9_10device_ptrIiEEEENSB_INSC_IyEEEESG_yNS9_4plusIvEENS9_8equal_toIvEEyEE10hipError_tPvRmT2_T3_T4_T5_mT6_T7_P12ihipStream_tbENKUlT_T0_E_clISt17integral_constantIbLb1EES10_IbLb0EEEEDaSW_SX_EUlSW_E_NS1_11comp_targetILNS1_3genE3ELNS1_11target_archE908ELNS1_3gpuE7ELNS1_3repE0EEENS1_30default_config_static_selectorELNS0_4arch9wavefront6targetE1EEEvT1_
	.globl	_ZN7rocprim17ROCPRIM_400000_NS6detail17trampoline_kernelINS0_14default_configENS1_27scan_by_key_config_selectorIiyEEZZNS1_16scan_by_key_implILNS1_25lookback_scan_determinismE0ELb0ES3_N6thrust23THRUST_200600_302600_NS6detail15normal_iteratorINS9_10device_ptrIiEEEENSB_INSC_IyEEEESG_yNS9_4plusIvEENS9_8equal_toIvEEyEE10hipError_tPvRmT2_T3_T4_T5_mT6_T7_P12ihipStream_tbENKUlT_T0_E_clISt17integral_constantIbLb1EES10_IbLb0EEEEDaSW_SX_EUlSW_E_NS1_11comp_targetILNS1_3genE3ELNS1_11target_archE908ELNS1_3gpuE7ELNS1_3repE0EEENS1_30default_config_static_selectorELNS0_4arch9wavefront6targetE1EEEvT1_
	.p2align	8
	.type	_ZN7rocprim17ROCPRIM_400000_NS6detail17trampoline_kernelINS0_14default_configENS1_27scan_by_key_config_selectorIiyEEZZNS1_16scan_by_key_implILNS1_25lookback_scan_determinismE0ELb0ES3_N6thrust23THRUST_200600_302600_NS6detail15normal_iteratorINS9_10device_ptrIiEEEENSB_INSC_IyEEEESG_yNS9_4plusIvEENS9_8equal_toIvEEyEE10hipError_tPvRmT2_T3_T4_T5_mT6_T7_P12ihipStream_tbENKUlT_T0_E_clISt17integral_constantIbLb1EES10_IbLb0EEEEDaSW_SX_EUlSW_E_NS1_11comp_targetILNS1_3genE3ELNS1_11target_archE908ELNS1_3gpuE7ELNS1_3repE0EEENS1_30default_config_static_selectorELNS0_4arch9wavefront6targetE1EEEvT1_,@function
_ZN7rocprim17ROCPRIM_400000_NS6detail17trampoline_kernelINS0_14default_configENS1_27scan_by_key_config_selectorIiyEEZZNS1_16scan_by_key_implILNS1_25lookback_scan_determinismE0ELb0ES3_N6thrust23THRUST_200600_302600_NS6detail15normal_iteratorINS9_10device_ptrIiEEEENSB_INSC_IyEEEESG_yNS9_4plusIvEENS9_8equal_toIvEEyEE10hipError_tPvRmT2_T3_T4_T5_mT6_T7_P12ihipStream_tbENKUlT_T0_E_clISt17integral_constantIbLb1EES10_IbLb0EEEEDaSW_SX_EUlSW_E_NS1_11comp_targetILNS1_3genE3ELNS1_11target_archE908ELNS1_3gpuE7ELNS1_3repE0EEENS1_30default_config_static_selectorELNS0_4arch9wavefront6targetE1EEEvT1_: ; @_ZN7rocprim17ROCPRIM_400000_NS6detail17trampoline_kernelINS0_14default_configENS1_27scan_by_key_config_selectorIiyEEZZNS1_16scan_by_key_implILNS1_25lookback_scan_determinismE0ELb0ES3_N6thrust23THRUST_200600_302600_NS6detail15normal_iteratorINS9_10device_ptrIiEEEENSB_INSC_IyEEEESG_yNS9_4plusIvEENS9_8equal_toIvEEyEE10hipError_tPvRmT2_T3_T4_T5_mT6_T7_P12ihipStream_tbENKUlT_T0_E_clISt17integral_constantIbLb1EES10_IbLb0EEEEDaSW_SX_EUlSW_E_NS1_11comp_targetILNS1_3genE3ELNS1_11target_archE908ELNS1_3gpuE7ELNS1_3repE0EEENS1_30default_config_static_selectorELNS0_4arch9wavefront6targetE1EEEvT1_
; %bb.0:
	.section	.rodata,"a",@progbits
	.p2align	6, 0x0
	.amdhsa_kernel _ZN7rocprim17ROCPRIM_400000_NS6detail17trampoline_kernelINS0_14default_configENS1_27scan_by_key_config_selectorIiyEEZZNS1_16scan_by_key_implILNS1_25lookback_scan_determinismE0ELb0ES3_N6thrust23THRUST_200600_302600_NS6detail15normal_iteratorINS9_10device_ptrIiEEEENSB_INSC_IyEEEESG_yNS9_4plusIvEENS9_8equal_toIvEEyEE10hipError_tPvRmT2_T3_T4_T5_mT6_T7_P12ihipStream_tbENKUlT_T0_E_clISt17integral_constantIbLb1EES10_IbLb0EEEEDaSW_SX_EUlSW_E_NS1_11comp_targetILNS1_3genE3ELNS1_11target_archE908ELNS1_3gpuE7ELNS1_3repE0EEENS1_30default_config_static_selectorELNS0_4arch9wavefront6targetE1EEEvT1_
		.amdhsa_group_segment_fixed_size 0
		.amdhsa_private_segment_fixed_size 0
		.amdhsa_kernarg_size 136
		.amdhsa_user_sgpr_count 2
		.amdhsa_user_sgpr_dispatch_ptr 0
		.amdhsa_user_sgpr_queue_ptr 0
		.amdhsa_user_sgpr_kernarg_segment_ptr 1
		.amdhsa_user_sgpr_dispatch_id 0
		.amdhsa_user_sgpr_kernarg_preload_length 0
		.amdhsa_user_sgpr_kernarg_preload_offset 0
		.amdhsa_user_sgpr_private_segment_size 0
		.amdhsa_uses_dynamic_stack 0
		.amdhsa_enable_private_segment 0
		.amdhsa_system_sgpr_workgroup_id_x 1
		.amdhsa_system_sgpr_workgroup_id_y 0
		.amdhsa_system_sgpr_workgroup_id_z 0
		.amdhsa_system_sgpr_workgroup_info 0
		.amdhsa_system_vgpr_workitem_id 0
		.amdhsa_next_free_vgpr 1
		.amdhsa_next_free_sgpr 0
		.amdhsa_accum_offset 4
		.amdhsa_reserve_vcc 0
		.amdhsa_float_round_mode_32 0
		.amdhsa_float_round_mode_16_64 0
		.amdhsa_float_denorm_mode_32 3
		.amdhsa_float_denorm_mode_16_64 3
		.amdhsa_dx10_clamp 1
		.amdhsa_ieee_mode 1
		.amdhsa_fp16_overflow 0
		.amdhsa_tg_split 0
		.amdhsa_exception_fp_ieee_invalid_op 0
		.amdhsa_exception_fp_denorm_src 0
		.amdhsa_exception_fp_ieee_div_zero 0
		.amdhsa_exception_fp_ieee_overflow 0
		.amdhsa_exception_fp_ieee_underflow 0
		.amdhsa_exception_fp_ieee_inexact 0
		.amdhsa_exception_int_div_zero 0
	.end_amdhsa_kernel
	.section	.text._ZN7rocprim17ROCPRIM_400000_NS6detail17trampoline_kernelINS0_14default_configENS1_27scan_by_key_config_selectorIiyEEZZNS1_16scan_by_key_implILNS1_25lookback_scan_determinismE0ELb0ES3_N6thrust23THRUST_200600_302600_NS6detail15normal_iteratorINS9_10device_ptrIiEEEENSB_INSC_IyEEEESG_yNS9_4plusIvEENS9_8equal_toIvEEyEE10hipError_tPvRmT2_T3_T4_T5_mT6_T7_P12ihipStream_tbENKUlT_T0_E_clISt17integral_constantIbLb1EES10_IbLb0EEEEDaSW_SX_EUlSW_E_NS1_11comp_targetILNS1_3genE3ELNS1_11target_archE908ELNS1_3gpuE7ELNS1_3repE0EEENS1_30default_config_static_selectorELNS0_4arch9wavefront6targetE1EEEvT1_,"axG",@progbits,_ZN7rocprim17ROCPRIM_400000_NS6detail17trampoline_kernelINS0_14default_configENS1_27scan_by_key_config_selectorIiyEEZZNS1_16scan_by_key_implILNS1_25lookback_scan_determinismE0ELb0ES3_N6thrust23THRUST_200600_302600_NS6detail15normal_iteratorINS9_10device_ptrIiEEEENSB_INSC_IyEEEESG_yNS9_4plusIvEENS9_8equal_toIvEEyEE10hipError_tPvRmT2_T3_T4_T5_mT6_T7_P12ihipStream_tbENKUlT_T0_E_clISt17integral_constantIbLb1EES10_IbLb0EEEEDaSW_SX_EUlSW_E_NS1_11comp_targetILNS1_3genE3ELNS1_11target_archE908ELNS1_3gpuE7ELNS1_3repE0EEENS1_30default_config_static_selectorELNS0_4arch9wavefront6targetE1EEEvT1_,comdat
.Lfunc_end1202:
	.size	_ZN7rocprim17ROCPRIM_400000_NS6detail17trampoline_kernelINS0_14default_configENS1_27scan_by_key_config_selectorIiyEEZZNS1_16scan_by_key_implILNS1_25lookback_scan_determinismE0ELb0ES3_N6thrust23THRUST_200600_302600_NS6detail15normal_iteratorINS9_10device_ptrIiEEEENSB_INSC_IyEEEESG_yNS9_4plusIvEENS9_8equal_toIvEEyEE10hipError_tPvRmT2_T3_T4_T5_mT6_T7_P12ihipStream_tbENKUlT_T0_E_clISt17integral_constantIbLb1EES10_IbLb0EEEEDaSW_SX_EUlSW_E_NS1_11comp_targetILNS1_3genE3ELNS1_11target_archE908ELNS1_3gpuE7ELNS1_3repE0EEENS1_30default_config_static_selectorELNS0_4arch9wavefront6targetE1EEEvT1_, .Lfunc_end1202-_ZN7rocprim17ROCPRIM_400000_NS6detail17trampoline_kernelINS0_14default_configENS1_27scan_by_key_config_selectorIiyEEZZNS1_16scan_by_key_implILNS1_25lookback_scan_determinismE0ELb0ES3_N6thrust23THRUST_200600_302600_NS6detail15normal_iteratorINS9_10device_ptrIiEEEENSB_INSC_IyEEEESG_yNS9_4plusIvEENS9_8equal_toIvEEyEE10hipError_tPvRmT2_T3_T4_T5_mT6_T7_P12ihipStream_tbENKUlT_T0_E_clISt17integral_constantIbLb1EES10_IbLb0EEEEDaSW_SX_EUlSW_E_NS1_11comp_targetILNS1_3genE3ELNS1_11target_archE908ELNS1_3gpuE7ELNS1_3repE0EEENS1_30default_config_static_selectorELNS0_4arch9wavefront6targetE1EEEvT1_
                                        ; -- End function
	.section	.AMDGPU.csdata,"",@progbits
; Kernel info:
; codeLenInByte = 0
; NumSgprs: 6
; NumVgprs: 0
; NumAgprs: 0
; TotalNumVgprs: 0
; ScratchSize: 0
; MemoryBound: 0
; FloatMode: 240
; IeeeMode: 1
; LDSByteSize: 0 bytes/workgroup (compile time only)
; SGPRBlocks: 0
; VGPRBlocks: 0
; NumSGPRsForWavesPerEU: 6
; NumVGPRsForWavesPerEU: 1
; AccumOffset: 4
; Occupancy: 8
; WaveLimiterHint : 0
; COMPUTE_PGM_RSRC2:SCRATCH_EN: 0
; COMPUTE_PGM_RSRC2:USER_SGPR: 2
; COMPUTE_PGM_RSRC2:TRAP_HANDLER: 0
; COMPUTE_PGM_RSRC2:TGID_X_EN: 1
; COMPUTE_PGM_RSRC2:TGID_Y_EN: 0
; COMPUTE_PGM_RSRC2:TGID_Z_EN: 0
; COMPUTE_PGM_RSRC2:TIDIG_COMP_CNT: 0
; COMPUTE_PGM_RSRC3_GFX90A:ACCUM_OFFSET: 0
; COMPUTE_PGM_RSRC3_GFX90A:TG_SPLIT: 0
	.section	.text._ZN7rocprim17ROCPRIM_400000_NS6detail17trampoline_kernelINS0_14default_configENS1_27scan_by_key_config_selectorIiyEEZZNS1_16scan_by_key_implILNS1_25lookback_scan_determinismE0ELb0ES3_N6thrust23THRUST_200600_302600_NS6detail15normal_iteratorINS9_10device_ptrIiEEEENSB_INSC_IyEEEESG_yNS9_4plusIvEENS9_8equal_toIvEEyEE10hipError_tPvRmT2_T3_T4_T5_mT6_T7_P12ihipStream_tbENKUlT_T0_E_clISt17integral_constantIbLb1EES10_IbLb0EEEEDaSW_SX_EUlSW_E_NS1_11comp_targetILNS1_3genE2ELNS1_11target_archE906ELNS1_3gpuE6ELNS1_3repE0EEENS1_30default_config_static_selectorELNS0_4arch9wavefront6targetE1EEEvT1_,"axG",@progbits,_ZN7rocprim17ROCPRIM_400000_NS6detail17trampoline_kernelINS0_14default_configENS1_27scan_by_key_config_selectorIiyEEZZNS1_16scan_by_key_implILNS1_25lookback_scan_determinismE0ELb0ES3_N6thrust23THRUST_200600_302600_NS6detail15normal_iteratorINS9_10device_ptrIiEEEENSB_INSC_IyEEEESG_yNS9_4plusIvEENS9_8equal_toIvEEyEE10hipError_tPvRmT2_T3_T4_T5_mT6_T7_P12ihipStream_tbENKUlT_T0_E_clISt17integral_constantIbLb1EES10_IbLb0EEEEDaSW_SX_EUlSW_E_NS1_11comp_targetILNS1_3genE2ELNS1_11target_archE906ELNS1_3gpuE6ELNS1_3repE0EEENS1_30default_config_static_selectorELNS0_4arch9wavefront6targetE1EEEvT1_,comdat
	.protected	_ZN7rocprim17ROCPRIM_400000_NS6detail17trampoline_kernelINS0_14default_configENS1_27scan_by_key_config_selectorIiyEEZZNS1_16scan_by_key_implILNS1_25lookback_scan_determinismE0ELb0ES3_N6thrust23THRUST_200600_302600_NS6detail15normal_iteratorINS9_10device_ptrIiEEEENSB_INSC_IyEEEESG_yNS9_4plusIvEENS9_8equal_toIvEEyEE10hipError_tPvRmT2_T3_T4_T5_mT6_T7_P12ihipStream_tbENKUlT_T0_E_clISt17integral_constantIbLb1EES10_IbLb0EEEEDaSW_SX_EUlSW_E_NS1_11comp_targetILNS1_3genE2ELNS1_11target_archE906ELNS1_3gpuE6ELNS1_3repE0EEENS1_30default_config_static_selectorELNS0_4arch9wavefront6targetE1EEEvT1_ ; -- Begin function _ZN7rocprim17ROCPRIM_400000_NS6detail17trampoline_kernelINS0_14default_configENS1_27scan_by_key_config_selectorIiyEEZZNS1_16scan_by_key_implILNS1_25lookback_scan_determinismE0ELb0ES3_N6thrust23THRUST_200600_302600_NS6detail15normal_iteratorINS9_10device_ptrIiEEEENSB_INSC_IyEEEESG_yNS9_4plusIvEENS9_8equal_toIvEEyEE10hipError_tPvRmT2_T3_T4_T5_mT6_T7_P12ihipStream_tbENKUlT_T0_E_clISt17integral_constantIbLb1EES10_IbLb0EEEEDaSW_SX_EUlSW_E_NS1_11comp_targetILNS1_3genE2ELNS1_11target_archE906ELNS1_3gpuE6ELNS1_3repE0EEENS1_30default_config_static_selectorELNS0_4arch9wavefront6targetE1EEEvT1_
	.globl	_ZN7rocprim17ROCPRIM_400000_NS6detail17trampoline_kernelINS0_14default_configENS1_27scan_by_key_config_selectorIiyEEZZNS1_16scan_by_key_implILNS1_25lookback_scan_determinismE0ELb0ES3_N6thrust23THRUST_200600_302600_NS6detail15normal_iteratorINS9_10device_ptrIiEEEENSB_INSC_IyEEEESG_yNS9_4plusIvEENS9_8equal_toIvEEyEE10hipError_tPvRmT2_T3_T4_T5_mT6_T7_P12ihipStream_tbENKUlT_T0_E_clISt17integral_constantIbLb1EES10_IbLb0EEEEDaSW_SX_EUlSW_E_NS1_11comp_targetILNS1_3genE2ELNS1_11target_archE906ELNS1_3gpuE6ELNS1_3repE0EEENS1_30default_config_static_selectorELNS0_4arch9wavefront6targetE1EEEvT1_
	.p2align	8
	.type	_ZN7rocprim17ROCPRIM_400000_NS6detail17trampoline_kernelINS0_14default_configENS1_27scan_by_key_config_selectorIiyEEZZNS1_16scan_by_key_implILNS1_25lookback_scan_determinismE0ELb0ES3_N6thrust23THRUST_200600_302600_NS6detail15normal_iteratorINS9_10device_ptrIiEEEENSB_INSC_IyEEEESG_yNS9_4plusIvEENS9_8equal_toIvEEyEE10hipError_tPvRmT2_T3_T4_T5_mT6_T7_P12ihipStream_tbENKUlT_T0_E_clISt17integral_constantIbLb1EES10_IbLb0EEEEDaSW_SX_EUlSW_E_NS1_11comp_targetILNS1_3genE2ELNS1_11target_archE906ELNS1_3gpuE6ELNS1_3repE0EEENS1_30default_config_static_selectorELNS0_4arch9wavefront6targetE1EEEvT1_,@function
_ZN7rocprim17ROCPRIM_400000_NS6detail17trampoline_kernelINS0_14default_configENS1_27scan_by_key_config_selectorIiyEEZZNS1_16scan_by_key_implILNS1_25lookback_scan_determinismE0ELb0ES3_N6thrust23THRUST_200600_302600_NS6detail15normal_iteratorINS9_10device_ptrIiEEEENSB_INSC_IyEEEESG_yNS9_4plusIvEENS9_8equal_toIvEEyEE10hipError_tPvRmT2_T3_T4_T5_mT6_T7_P12ihipStream_tbENKUlT_T0_E_clISt17integral_constantIbLb1EES10_IbLb0EEEEDaSW_SX_EUlSW_E_NS1_11comp_targetILNS1_3genE2ELNS1_11target_archE906ELNS1_3gpuE6ELNS1_3repE0EEENS1_30default_config_static_selectorELNS0_4arch9wavefront6targetE1EEEvT1_: ; @_ZN7rocprim17ROCPRIM_400000_NS6detail17trampoline_kernelINS0_14default_configENS1_27scan_by_key_config_selectorIiyEEZZNS1_16scan_by_key_implILNS1_25lookback_scan_determinismE0ELb0ES3_N6thrust23THRUST_200600_302600_NS6detail15normal_iteratorINS9_10device_ptrIiEEEENSB_INSC_IyEEEESG_yNS9_4plusIvEENS9_8equal_toIvEEyEE10hipError_tPvRmT2_T3_T4_T5_mT6_T7_P12ihipStream_tbENKUlT_T0_E_clISt17integral_constantIbLb1EES10_IbLb0EEEEDaSW_SX_EUlSW_E_NS1_11comp_targetILNS1_3genE2ELNS1_11target_archE906ELNS1_3gpuE6ELNS1_3repE0EEENS1_30default_config_static_selectorELNS0_4arch9wavefront6targetE1EEEvT1_
; %bb.0:
	.section	.rodata,"a",@progbits
	.p2align	6, 0x0
	.amdhsa_kernel _ZN7rocprim17ROCPRIM_400000_NS6detail17trampoline_kernelINS0_14default_configENS1_27scan_by_key_config_selectorIiyEEZZNS1_16scan_by_key_implILNS1_25lookback_scan_determinismE0ELb0ES3_N6thrust23THRUST_200600_302600_NS6detail15normal_iteratorINS9_10device_ptrIiEEEENSB_INSC_IyEEEESG_yNS9_4plusIvEENS9_8equal_toIvEEyEE10hipError_tPvRmT2_T3_T4_T5_mT6_T7_P12ihipStream_tbENKUlT_T0_E_clISt17integral_constantIbLb1EES10_IbLb0EEEEDaSW_SX_EUlSW_E_NS1_11comp_targetILNS1_3genE2ELNS1_11target_archE906ELNS1_3gpuE6ELNS1_3repE0EEENS1_30default_config_static_selectorELNS0_4arch9wavefront6targetE1EEEvT1_
		.amdhsa_group_segment_fixed_size 0
		.amdhsa_private_segment_fixed_size 0
		.amdhsa_kernarg_size 136
		.amdhsa_user_sgpr_count 2
		.amdhsa_user_sgpr_dispatch_ptr 0
		.amdhsa_user_sgpr_queue_ptr 0
		.amdhsa_user_sgpr_kernarg_segment_ptr 1
		.amdhsa_user_sgpr_dispatch_id 0
		.amdhsa_user_sgpr_kernarg_preload_length 0
		.amdhsa_user_sgpr_kernarg_preload_offset 0
		.amdhsa_user_sgpr_private_segment_size 0
		.amdhsa_uses_dynamic_stack 0
		.amdhsa_enable_private_segment 0
		.amdhsa_system_sgpr_workgroup_id_x 1
		.amdhsa_system_sgpr_workgroup_id_y 0
		.amdhsa_system_sgpr_workgroup_id_z 0
		.amdhsa_system_sgpr_workgroup_info 0
		.amdhsa_system_vgpr_workitem_id 0
		.amdhsa_next_free_vgpr 1
		.amdhsa_next_free_sgpr 0
		.amdhsa_accum_offset 4
		.amdhsa_reserve_vcc 0
		.amdhsa_float_round_mode_32 0
		.amdhsa_float_round_mode_16_64 0
		.amdhsa_float_denorm_mode_32 3
		.amdhsa_float_denorm_mode_16_64 3
		.amdhsa_dx10_clamp 1
		.amdhsa_ieee_mode 1
		.amdhsa_fp16_overflow 0
		.amdhsa_tg_split 0
		.amdhsa_exception_fp_ieee_invalid_op 0
		.amdhsa_exception_fp_denorm_src 0
		.amdhsa_exception_fp_ieee_div_zero 0
		.amdhsa_exception_fp_ieee_overflow 0
		.amdhsa_exception_fp_ieee_underflow 0
		.amdhsa_exception_fp_ieee_inexact 0
		.amdhsa_exception_int_div_zero 0
	.end_amdhsa_kernel
	.section	.text._ZN7rocprim17ROCPRIM_400000_NS6detail17trampoline_kernelINS0_14default_configENS1_27scan_by_key_config_selectorIiyEEZZNS1_16scan_by_key_implILNS1_25lookback_scan_determinismE0ELb0ES3_N6thrust23THRUST_200600_302600_NS6detail15normal_iteratorINS9_10device_ptrIiEEEENSB_INSC_IyEEEESG_yNS9_4plusIvEENS9_8equal_toIvEEyEE10hipError_tPvRmT2_T3_T4_T5_mT6_T7_P12ihipStream_tbENKUlT_T0_E_clISt17integral_constantIbLb1EES10_IbLb0EEEEDaSW_SX_EUlSW_E_NS1_11comp_targetILNS1_3genE2ELNS1_11target_archE906ELNS1_3gpuE6ELNS1_3repE0EEENS1_30default_config_static_selectorELNS0_4arch9wavefront6targetE1EEEvT1_,"axG",@progbits,_ZN7rocprim17ROCPRIM_400000_NS6detail17trampoline_kernelINS0_14default_configENS1_27scan_by_key_config_selectorIiyEEZZNS1_16scan_by_key_implILNS1_25lookback_scan_determinismE0ELb0ES3_N6thrust23THRUST_200600_302600_NS6detail15normal_iteratorINS9_10device_ptrIiEEEENSB_INSC_IyEEEESG_yNS9_4plusIvEENS9_8equal_toIvEEyEE10hipError_tPvRmT2_T3_T4_T5_mT6_T7_P12ihipStream_tbENKUlT_T0_E_clISt17integral_constantIbLb1EES10_IbLb0EEEEDaSW_SX_EUlSW_E_NS1_11comp_targetILNS1_3genE2ELNS1_11target_archE906ELNS1_3gpuE6ELNS1_3repE0EEENS1_30default_config_static_selectorELNS0_4arch9wavefront6targetE1EEEvT1_,comdat
.Lfunc_end1203:
	.size	_ZN7rocprim17ROCPRIM_400000_NS6detail17trampoline_kernelINS0_14default_configENS1_27scan_by_key_config_selectorIiyEEZZNS1_16scan_by_key_implILNS1_25lookback_scan_determinismE0ELb0ES3_N6thrust23THRUST_200600_302600_NS6detail15normal_iteratorINS9_10device_ptrIiEEEENSB_INSC_IyEEEESG_yNS9_4plusIvEENS9_8equal_toIvEEyEE10hipError_tPvRmT2_T3_T4_T5_mT6_T7_P12ihipStream_tbENKUlT_T0_E_clISt17integral_constantIbLb1EES10_IbLb0EEEEDaSW_SX_EUlSW_E_NS1_11comp_targetILNS1_3genE2ELNS1_11target_archE906ELNS1_3gpuE6ELNS1_3repE0EEENS1_30default_config_static_selectorELNS0_4arch9wavefront6targetE1EEEvT1_, .Lfunc_end1203-_ZN7rocprim17ROCPRIM_400000_NS6detail17trampoline_kernelINS0_14default_configENS1_27scan_by_key_config_selectorIiyEEZZNS1_16scan_by_key_implILNS1_25lookback_scan_determinismE0ELb0ES3_N6thrust23THRUST_200600_302600_NS6detail15normal_iteratorINS9_10device_ptrIiEEEENSB_INSC_IyEEEESG_yNS9_4plusIvEENS9_8equal_toIvEEyEE10hipError_tPvRmT2_T3_T4_T5_mT6_T7_P12ihipStream_tbENKUlT_T0_E_clISt17integral_constantIbLb1EES10_IbLb0EEEEDaSW_SX_EUlSW_E_NS1_11comp_targetILNS1_3genE2ELNS1_11target_archE906ELNS1_3gpuE6ELNS1_3repE0EEENS1_30default_config_static_selectorELNS0_4arch9wavefront6targetE1EEEvT1_
                                        ; -- End function
	.section	.AMDGPU.csdata,"",@progbits
; Kernel info:
; codeLenInByte = 0
; NumSgprs: 6
; NumVgprs: 0
; NumAgprs: 0
; TotalNumVgprs: 0
; ScratchSize: 0
; MemoryBound: 0
; FloatMode: 240
; IeeeMode: 1
; LDSByteSize: 0 bytes/workgroup (compile time only)
; SGPRBlocks: 0
; VGPRBlocks: 0
; NumSGPRsForWavesPerEU: 6
; NumVGPRsForWavesPerEU: 1
; AccumOffset: 4
; Occupancy: 8
; WaveLimiterHint : 0
; COMPUTE_PGM_RSRC2:SCRATCH_EN: 0
; COMPUTE_PGM_RSRC2:USER_SGPR: 2
; COMPUTE_PGM_RSRC2:TRAP_HANDLER: 0
; COMPUTE_PGM_RSRC2:TGID_X_EN: 1
; COMPUTE_PGM_RSRC2:TGID_Y_EN: 0
; COMPUTE_PGM_RSRC2:TGID_Z_EN: 0
; COMPUTE_PGM_RSRC2:TIDIG_COMP_CNT: 0
; COMPUTE_PGM_RSRC3_GFX90A:ACCUM_OFFSET: 0
; COMPUTE_PGM_RSRC3_GFX90A:TG_SPLIT: 0
	.section	.text._ZN7rocprim17ROCPRIM_400000_NS6detail17trampoline_kernelINS0_14default_configENS1_27scan_by_key_config_selectorIiyEEZZNS1_16scan_by_key_implILNS1_25lookback_scan_determinismE0ELb0ES3_N6thrust23THRUST_200600_302600_NS6detail15normal_iteratorINS9_10device_ptrIiEEEENSB_INSC_IyEEEESG_yNS9_4plusIvEENS9_8equal_toIvEEyEE10hipError_tPvRmT2_T3_T4_T5_mT6_T7_P12ihipStream_tbENKUlT_T0_E_clISt17integral_constantIbLb1EES10_IbLb0EEEEDaSW_SX_EUlSW_E_NS1_11comp_targetILNS1_3genE10ELNS1_11target_archE1200ELNS1_3gpuE4ELNS1_3repE0EEENS1_30default_config_static_selectorELNS0_4arch9wavefront6targetE1EEEvT1_,"axG",@progbits,_ZN7rocprim17ROCPRIM_400000_NS6detail17trampoline_kernelINS0_14default_configENS1_27scan_by_key_config_selectorIiyEEZZNS1_16scan_by_key_implILNS1_25lookback_scan_determinismE0ELb0ES3_N6thrust23THRUST_200600_302600_NS6detail15normal_iteratorINS9_10device_ptrIiEEEENSB_INSC_IyEEEESG_yNS9_4plusIvEENS9_8equal_toIvEEyEE10hipError_tPvRmT2_T3_T4_T5_mT6_T7_P12ihipStream_tbENKUlT_T0_E_clISt17integral_constantIbLb1EES10_IbLb0EEEEDaSW_SX_EUlSW_E_NS1_11comp_targetILNS1_3genE10ELNS1_11target_archE1200ELNS1_3gpuE4ELNS1_3repE0EEENS1_30default_config_static_selectorELNS0_4arch9wavefront6targetE1EEEvT1_,comdat
	.protected	_ZN7rocprim17ROCPRIM_400000_NS6detail17trampoline_kernelINS0_14default_configENS1_27scan_by_key_config_selectorIiyEEZZNS1_16scan_by_key_implILNS1_25lookback_scan_determinismE0ELb0ES3_N6thrust23THRUST_200600_302600_NS6detail15normal_iteratorINS9_10device_ptrIiEEEENSB_INSC_IyEEEESG_yNS9_4plusIvEENS9_8equal_toIvEEyEE10hipError_tPvRmT2_T3_T4_T5_mT6_T7_P12ihipStream_tbENKUlT_T0_E_clISt17integral_constantIbLb1EES10_IbLb0EEEEDaSW_SX_EUlSW_E_NS1_11comp_targetILNS1_3genE10ELNS1_11target_archE1200ELNS1_3gpuE4ELNS1_3repE0EEENS1_30default_config_static_selectorELNS0_4arch9wavefront6targetE1EEEvT1_ ; -- Begin function _ZN7rocprim17ROCPRIM_400000_NS6detail17trampoline_kernelINS0_14default_configENS1_27scan_by_key_config_selectorIiyEEZZNS1_16scan_by_key_implILNS1_25lookback_scan_determinismE0ELb0ES3_N6thrust23THRUST_200600_302600_NS6detail15normal_iteratorINS9_10device_ptrIiEEEENSB_INSC_IyEEEESG_yNS9_4plusIvEENS9_8equal_toIvEEyEE10hipError_tPvRmT2_T3_T4_T5_mT6_T7_P12ihipStream_tbENKUlT_T0_E_clISt17integral_constantIbLb1EES10_IbLb0EEEEDaSW_SX_EUlSW_E_NS1_11comp_targetILNS1_3genE10ELNS1_11target_archE1200ELNS1_3gpuE4ELNS1_3repE0EEENS1_30default_config_static_selectorELNS0_4arch9wavefront6targetE1EEEvT1_
	.globl	_ZN7rocprim17ROCPRIM_400000_NS6detail17trampoline_kernelINS0_14default_configENS1_27scan_by_key_config_selectorIiyEEZZNS1_16scan_by_key_implILNS1_25lookback_scan_determinismE0ELb0ES3_N6thrust23THRUST_200600_302600_NS6detail15normal_iteratorINS9_10device_ptrIiEEEENSB_INSC_IyEEEESG_yNS9_4plusIvEENS9_8equal_toIvEEyEE10hipError_tPvRmT2_T3_T4_T5_mT6_T7_P12ihipStream_tbENKUlT_T0_E_clISt17integral_constantIbLb1EES10_IbLb0EEEEDaSW_SX_EUlSW_E_NS1_11comp_targetILNS1_3genE10ELNS1_11target_archE1200ELNS1_3gpuE4ELNS1_3repE0EEENS1_30default_config_static_selectorELNS0_4arch9wavefront6targetE1EEEvT1_
	.p2align	8
	.type	_ZN7rocprim17ROCPRIM_400000_NS6detail17trampoline_kernelINS0_14default_configENS1_27scan_by_key_config_selectorIiyEEZZNS1_16scan_by_key_implILNS1_25lookback_scan_determinismE0ELb0ES3_N6thrust23THRUST_200600_302600_NS6detail15normal_iteratorINS9_10device_ptrIiEEEENSB_INSC_IyEEEESG_yNS9_4plusIvEENS9_8equal_toIvEEyEE10hipError_tPvRmT2_T3_T4_T5_mT6_T7_P12ihipStream_tbENKUlT_T0_E_clISt17integral_constantIbLb1EES10_IbLb0EEEEDaSW_SX_EUlSW_E_NS1_11comp_targetILNS1_3genE10ELNS1_11target_archE1200ELNS1_3gpuE4ELNS1_3repE0EEENS1_30default_config_static_selectorELNS0_4arch9wavefront6targetE1EEEvT1_,@function
_ZN7rocprim17ROCPRIM_400000_NS6detail17trampoline_kernelINS0_14default_configENS1_27scan_by_key_config_selectorIiyEEZZNS1_16scan_by_key_implILNS1_25lookback_scan_determinismE0ELb0ES3_N6thrust23THRUST_200600_302600_NS6detail15normal_iteratorINS9_10device_ptrIiEEEENSB_INSC_IyEEEESG_yNS9_4plusIvEENS9_8equal_toIvEEyEE10hipError_tPvRmT2_T3_T4_T5_mT6_T7_P12ihipStream_tbENKUlT_T0_E_clISt17integral_constantIbLb1EES10_IbLb0EEEEDaSW_SX_EUlSW_E_NS1_11comp_targetILNS1_3genE10ELNS1_11target_archE1200ELNS1_3gpuE4ELNS1_3repE0EEENS1_30default_config_static_selectorELNS0_4arch9wavefront6targetE1EEEvT1_: ; @_ZN7rocprim17ROCPRIM_400000_NS6detail17trampoline_kernelINS0_14default_configENS1_27scan_by_key_config_selectorIiyEEZZNS1_16scan_by_key_implILNS1_25lookback_scan_determinismE0ELb0ES3_N6thrust23THRUST_200600_302600_NS6detail15normal_iteratorINS9_10device_ptrIiEEEENSB_INSC_IyEEEESG_yNS9_4plusIvEENS9_8equal_toIvEEyEE10hipError_tPvRmT2_T3_T4_T5_mT6_T7_P12ihipStream_tbENKUlT_T0_E_clISt17integral_constantIbLb1EES10_IbLb0EEEEDaSW_SX_EUlSW_E_NS1_11comp_targetILNS1_3genE10ELNS1_11target_archE1200ELNS1_3gpuE4ELNS1_3repE0EEENS1_30default_config_static_selectorELNS0_4arch9wavefront6targetE1EEEvT1_
; %bb.0:
	.section	.rodata,"a",@progbits
	.p2align	6, 0x0
	.amdhsa_kernel _ZN7rocprim17ROCPRIM_400000_NS6detail17trampoline_kernelINS0_14default_configENS1_27scan_by_key_config_selectorIiyEEZZNS1_16scan_by_key_implILNS1_25lookback_scan_determinismE0ELb0ES3_N6thrust23THRUST_200600_302600_NS6detail15normal_iteratorINS9_10device_ptrIiEEEENSB_INSC_IyEEEESG_yNS9_4plusIvEENS9_8equal_toIvEEyEE10hipError_tPvRmT2_T3_T4_T5_mT6_T7_P12ihipStream_tbENKUlT_T0_E_clISt17integral_constantIbLb1EES10_IbLb0EEEEDaSW_SX_EUlSW_E_NS1_11comp_targetILNS1_3genE10ELNS1_11target_archE1200ELNS1_3gpuE4ELNS1_3repE0EEENS1_30default_config_static_selectorELNS0_4arch9wavefront6targetE1EEEvT1_
		.amdhsa_group_segment_fixed_size 0
		.amdhsa_private_segment_fixed_size 0
		.amdhsa_kernarg_size 136
		.amdhsa_user_sgpr_count 2
		.amdhsa_user_sgpr_dispatch_ptr 0
		.amdhsa_user_sgpr_queue_ptr 0
		.amdhsa_user_sgpr_kernarg_segment_ptr 1
		.amdhsa_user_sgpr_dispatch_id 0
		.amdhsa_user_sgpr_kernarg_preload_length 0
		.amdhsa_user_sgpr_kernarg_preload_offset 0
		.amdhsa_user_sgpr_private_segment_size 0
		.amdhsa_uses_dynamic_stack 0
		.amdhsa_enable_private_segment 0
		.amdhsa_system_sgpr_workgroup_id_x 1
		.amdhsa_system_sgpr_workgroup_id_y 0
		.amdhsa_system_sgpr_workgroup_id_z 0
		.amdhsa_system_sgpr_workgroup_info 0
		.amdhsa_system_vgpr_workitem_id 0
		.amdhsa_next_free_vgpr 1
		.amdhsa_next_free_sgpr 0
		.amdhsa_accum_offset 4
		.amdhsa_reserve_vcc 0
		.amdhsa_float_round_mode_32 0
		.amdhsa_float_round_mode_16_64 0
		.amdhsa_float_denorm_mode_32 3
		.amdhsa_float_denorm_mode_16_64 3
		.amdhsa_dx10_clamp 1
		.amdhsa_ieee_mode 1
		.amdhsa_fp16_overflow 0
		.amdhsa_tg_split 0
		.amdhsa_exception_fp_ieee_invalid_op 0
		.amdhsa_exception_fp_denorm_src 0
		.amdhsa_exception_fp_ieee_div_zero 0
		.amdhsa_exception_fp_ieee_overflow 0
		.amdhsa_exception_fp_ieee_underflow 0
		.amdhsa_exception_fp_ieee_inexact 0
		.amdhsa_exception_int_div_zero 0
	.end_amdhsa_kernel
	.section	.text._ZN7rocprim17ROCPRIM_400000_NS6detail17trampoline_kernelINS0_14default_configENS1_27scan_by_key_config_selectorIiyEEZZNS1_16scan_by_key_implILNS1_25lookback_scan_determinismE0ELb0ES3_N6thrust23THRUST_200600_302600_NS6detail15normal_iteratorINS9_10device_ptrIiEEEENSB_INSC_IyEEEESG_yNS9_4plusIvEENS9_8equal_toIvEEyEE10hipError_tPvRmT2_T3_T4_T5_mT6_T7_P12ihipStream_tbENKUlT_T0_E_clISt17integral_constantIbLb1EES10_IbLb0EEEEDaSW_SX_EUlSW_E_NS1_11comp_targetILNS1_3genE10ELNS1_11target_archE1200ELNS1_3gpuE4ELNS1_3repE0EEENS1_30default_config_static_selectorELNS0_4arch9wavefront6targetE1EEEvT1_,"axG",@progbits,_ZN7rocprim17ROCPRIM_400000_NS6detail17trampoline_kernelINS0_14default_configENS1_27scan_by_key_config_selectorIiyEEZZNS1_16scan_by_key_implILNS1_25lookback_scan_determinismE0ELb0ES3_N6thrust23THRUST_200600_302600_NS6detail15normal_iteratorINS9_10device_ptrIiEEEENSB_INSC_IyEEEESG_yNS9_4plusIvEENS9_8equal_toIvEEyEE10hipError_tPvRmT2_T3_T4_T5_mT6_T7_P12ihipStream_tbENKUlT_T0_E_clISt17integral_constantIbLb1EES10_IbLb0EEEEDaSW_SX_EUlSW_E_NS1_11comp_targetILNS1_3genE10ELNS1_11target_archE1200ELNS1_3gpuE4ELNS1_3repE0EEENS1_30default_config_static_selectorELNS0_4arch9wavefront6targetE1EEEvT1_,comdat
.Lfunc_end1204:
	.size	_ZN7rocprim17ROCPRIM_400000_NS6detail17trampoline_kernelINS0_14default_configENS1_27scan_by_key_config_selectorIiyEEZZNS1_16scan_by_key_implILNS1_25lookback_scan_determinismE0ELb0ES3_N6thrust23THRUST_200600_302600_NS6detail15normal_iteratorINS9_10device_ptrIiEEEENSB_INSC_IyEEEESG_yNS9_4plusIvEENS9_8equal_toIvEEyEE10hipError_tPvRmT2_T3_T4_T5_mT6_T7_P12ihipStream_tbENKUlT_T0_E_clISt17integral_constantIbLb1EES10_IbLb0EEEEDaSW_SX_EUlSW_E_NS1_11comp_targetILNS1_3genE10ELNS1_11target_archE1200ELNS1_3gpuE4ELNS1_3repE0EEENS1_30default_config_static_selectorELNS0_4arch9wavefront6targetE1EEEvT1_, .Lfunc_end1204-_ZN7rocprim17ROCPRIM_400000_NS6detail17trampoline_kernelINS0_14default_configENS1_27scan_by_key_config_selectorIiyEEZZNS1_16scan_by_key_implILNS1_25lookback_scan_determinismE0ELb0ES3_N6thrust23THRUST_200600_302600_NS6detail15normal_iteratorINS9_10device_ptrIiEEEENSB_INSC_IyEEEESG_yNS9_4plusIvEENS9_8equal_toIvEEyEE10hipError_tPvRmT2_T3_T4_T5_mT6_T7_P12ihipStream_tbENKUlT_T0_E_clISt17integral_constantIbLb1EES10_IbLb0EEEEDaSW_SX_EUlSW_E_NS1_11comp_targetILNS1_3genE10ELNS1_11target_archE1200ELNS1_3gpuE4ELNS1_3repE0EEENS1_30default_config_static_selectorELNS0_4arch9wavefront6targetE1EEEvT1_
                                        ; -- End function
	.section	.AMDGPU.csdata,"",@progbits
; Kernel info:
; codeLenInByte = 0
; NumSgprs: 6
; NumVgprs: 0
; NumAgprs: 0
; TotalNumVgprs: 0
; ScratchSize: 0
; MemoryBound: 0
; FloatMode: 240
; IeeeMode: 1
; LDSByteSize: 0 bytes/workgroup (compile time only)
; SGPRBlocks: 0
; VGPRBlocks: 0
; NumSGPRsForWavesPerEU: 6
; NumVGPRsForWavesPerEU: 1
; AccumOffset: 4
; Occupancy: 8
; WaveLimiterHint : 0
; COMPUTE_PGM_RSRC2:SCRATCH_EN: 0
; COMPUTE_PGM_RSRC2:USER_SGPR: 2
; COMPUTE_PGM_RSRC2:TRAP_HANDLER: 0
; COMPUTE_PGM_RSRC2:TGID_X_EN: 1
; COMPUTE_PGM_RSRC2:TGID_Y_EN: 0
; COMPUTE_PGM_RSRC2:TGID_Z_EN: 0
; COMPUTE_PGM_RSRC2:TIDIG_COMP_CNT: 0
; COMPUTE_PGM_RSRC3_GFX90A:ACCUM_OFFSET: 0
; COMPUTE_PGM_RSRC3_GFX90A:TG_SPLIT: 0
	.section	.text._ZN7rocprim17ROCPRIM_400000_NS6detail17trampoline_kernelINS0_14default_configENS1_27scan_by_key_config_selectorIiyEEZZNS1_16scan_by_key_implILNS1_25lookback_scan_determinismE0ELb0ES3_N6thrust23THRUST_200600_302600_NS6detail15normal_iteratorINS9_10device_ptrIiEEEENSB_INSC_IyEEEESG_yNS9_4plusIvEENS9_8equal_toIvEEyEE10hipError_tPvRmT2_T3_T4_T5_mT6_T7_P12ihipStream_tbENKUlT_T0_E_clISt17integral_constantIbLb1EES10_IbLb0EEEEDaSW_SX_EUlSW_E_NS1_11comp_targetILNS1_3genE9ELNS1_11target_archE1100ELNS1_3gpuE3ELNS1_3repE0EEENS1_30default_config_static_selectorELNS0_4arch9wavefront6targetE1EEEvT1_,"axG",@progbits,_ZN7rocprim17ROCPRIM_400000_NS6detail17trampoline_kernelINS0_14default_configENS1_27scan_by_key_config_selectorIiyEEZZNS1_16scan_by_key_implILNS1_25lookback_scan_determinismE0ELb0ES3_N6thrust23THRUST_200600_302600_NS6detail15normal_iteratorINS9_10device_ptrIiEEEENSB_INSC_IyEEEESG_yNS9_4plusIvEENS9_8equal_toIvEEyEE10hipError_tPvRmT2_T3_T4_T5_mT6_T7_P12ihipStream_tbENKUlT_T0_E_clISt17integral_constantIbLb1EES10_IbLb0EEEEDaSW_SX_EUlSW_E_NS1_11comp_targetILNS1_3genE9ELNS1_11target_archE1100ELNS1_3gpuE3ELNS1_3repE0EEENS1_30default_config_static_selectorELNS0_4arch9wavefront6targetE1EEEvT1_,comdat
	.protected	_ZN7rocprim17ROCPRIM_400000_NS6detail17trampoline_kernelINS0_14default_configENS1_27scan_by_key_config_selectorIiyEEZZNS1_16scan_by_key_implILNS1_25lookback_scan_determinismE0ELb0ES3_N6thrust23THRUST_200600_302600_NS6detail15normal_iteratorINS9_10device_ptrIiEEEENSB_INSC_IyEEEESG_yNS9_4plusIvEENS9_8equal_toIvEEyEE10hipError_tPvRmT2_T3_T4_T5_mT6_T7_P12ihipStream_tbENKUlT_T0_E_clISt17integral_constantIbLb1EES10_IbLb0EEEEDaSW_SX_EUlSW_E_NS1_11comp_targetILNS1_3genE9ELNS1_11target_archE1100ELNS1_3gpuE3ELNS1_3repE0EEENS1_30default_config_static_selectorELNS0_4arch9wavefront6targetE1EEEvT1_ ; -- Begin function _ZN7rocprim17ROCPRIM_400000_NS6detail17trampoline_kernelINS0_14default_configENS1_27scan_by_key_config_selectorIiyEEZZNS1_16scan_by_key_implILNS1_25lookback_scan_determinismE0ELb0ES3_N6thrust23THRUST_200600_302600_NS6detail15normal_iteratorINS9_10device_ptrIiEEEENSB_INSC_IyEEEESG_yNS9_4plusIvEENS9_8equal_toIvEEyEE10hipError_tPvRmT2_T3_T4_T5_mT6_T7_P12ihipStream_tbENKUlT_T0_E_clISt17integral_constantIbLb1EES10_IbLb0EEEEDaSW_SX_EUlSW_E_NS1_11comp_targetILNS1_3genE9ELNS1_11target_archE1100ELNS1_3gpuE3ELNS1_3repE0EEENS1_30default_config_static_selectorELNS0_4arch9wavefront6targetE1EEEvT1_
	.globl	_ZN7rocprim17ROCPRIM_400000_NS6detail17trampoline_kernelINS0_14default_configENS1_27scan_by_key_config_selectorIiyEEZZNS1_16scan_by_key_implILNS1_25lookback_scan_determinismE0ELb0ES3_N6thrust23THRUST_200600_302600_NS6detail15normal_iteratorINS9_10device_ptrIiEEEENSB_INSC_IyEEEESG_yNS9_4plusIvEENS9_8equal_toIvEEyEE10hipError_tPvRmT2_T3_T4_T5_mT6_T7_P12ihipStream_tbENKUlT_T0_E_clISt17integral_constantIbLb1EES10_IbLb0EEEEDaSW_SX_EUlSW_E_NS1_11comp_targetILNS1_3genE9ELNS1_11target_archE1100ELNS1_3gpuE3ELNS1_3repE0EEENS1_30default_config_static_selectorELNS0_4arch9wavefront6targetE1EEEvT1_
	.p2align	8
	.type	_ZN7rocprim17ROCPRIM_400000_NS6detail17trampoline_kernelINS0_14default_configENS1_27scan_by_key_config_selectorIiyEEZZNS1_16scan_by_key_implILNS1_25lookback_scan_determinismE0ELb0ES3_N6thrust23THRUST_200600_302600_NS6detail15normal_iteratorINS9_10device_ptrIiEEEENSB_INSC_IyEEEESG_yNS9_4plusIvEENS9_8equal_toIvEEyEE10hipError_tPvRmT2_T3_T4_T5_mT6_T7_P12ihipStream_tbENKUlT_T0_E_clISt17integral_constantIbLb1EES10_IbLb0EEEEDaSW_SX_EUlSW_E_NS1_11comp_targetILNS1_3genE9ELNS1_11target_archE1100ELNS1_3gpuE3ELNS1_3repE0EEENS1_30default_config_static_selectorELNS0_4arch9wavefront6targetE1EEEvT1_,@function
_ZN7rocprim17ROCPRIM_400000_NS6detail17trampoline_kernelINS0_14default_configENS1_27scan_by_key_config_selectorIiyEEZZNS1_16scan_by_key_implILNS1_25lookback_scan_determinismE0ELb0ES3_N6thrust23THRUST_200600_302600_NS6detail15normal_iteratorINS9_10device_ptrIiEEEENSB_INSC_IyEEEESG_yNS9_4plusIvEENS9_8equal_toIvEEyEE10hipError_tPvRmT2_T3_T4_T5_mT6_T7_P12ihipStream_tbENKUlT_T0_E_clISt17integral_constantIbLb1EES10_IbLb0EEEEDaSW_SX_EUlSW_E_NS1_11comp_targetILNS1_3genE9ELNS1_11target_archE1100ELNS1_3gpuE3ELNS1_3repE0EEENS1_30default_config_static_selectorELNS0_4arch9wavefront6targetE1EEEvT1_: ; @_ZN7rocprim17ROCPRIM_400000_NS6detail17trampoline_kernelINS0_14default_configENS1_27scan_by_key_config_selectorIiyEEZZNS1_16scan_by_key_implILNS1_25lookback_scan_determinismE0ELb0ES3_N6thrust23THRUST_200600_302600_NS6detail15normal_iteratorINS9_10device_ptrIiEEEENSB_INSC_IyEEEESG_yNS9_4plusIvEENS9_8equal_toIvEEyEE10hipError_tPvRmT2_T3_T4_T5_mT6_T7_P12ihipStream_tbENKUlT_T0_E_clISt17integral_constantIbLb1EES10_IbLb0EEEEDaSW_SX_EUlSW_E_NS1_11comp_targetILNS1_3genE9ELNS1_11target_archE1100ELNS1_3gpuE3ELNS1_3repE0EEENS1_30default_config_static_selectorELNS0_4arch9wavefront6targetE1EEEvT1_
; %bb.0:
	.section	.rodata,"a",@progbits
	.p2align	6, 0x0
	.amdhsa_kernel _ZN7rocprim17ROCPRIM_400000_NS6detail17trampoline_kernelINS0_14default_configENS1_27scan_by_key_config_selectorIiyEEZZNS1_16scan_by_key_implILNS1_25lookback_scan_determinismE0ELb0ES3_N6thrust23THRUST_200600_302600_NS6detail15normal_iteratorINS9_10device_ptrIiEEEENSB_INSC_IyEEEESG_yNS9_4plusIvEENS9_8equal_toIvEEyEE10hipError_tPvRmT2_T3_T4_T5_mT6_T7_P12ihipStream_tbENKUlT_T0_E_clISt17integral_constantIbLb1EES10_IbLb0EEEEDaSW_SX_EUlSW_E_NS1_11comp_targetILNS1_3genE9ELNS1_11target_archE1100ELNS1_3gpuE3ELNS1_3repE0EEENS1_30default_config_static_selectorELNS0_4arch9wavefront6targetE1EEEvT1_
		.amdhsa_group_segment_fixed_size 0
		.amdhsa_private_segment_fixed_size 0
		.amdhsa_kernarg_size 136
		.amdhsa_user_sgpr_count 2
		.amdhsa_user_sgpr_dispatch_ptr 0
		.amdhsa_user_sgpr_queue_ptr 0
		.amdhsa_user_sgpr_kernarg_segment_ptr 1
		.amdhsa_user_sgpr_dispatch_id 0
		.amdhsa_user_sgpr_kernarg_preload_length 0
		.amdhsa_user_sgpr_kernarg_preload_offset 0
		.amdhsa_user_sgpr_private_segment_size 0
		.amdhsa_uses_dynamic_stack 0
		.amdhsa_enable_private_segment 0
		.amdhsa_system_sgpr_workgroup_id_x 1
		.amdhsa_system_sgpr_workgroup_id_y 0
		.amdhsa_system_sgpr_workgroup_id_z 0
		.amdhsa_system_sgpr_workgroup_info 0
		.amdhsa_system_vgpr_workitem_id 0
		.amdhsa_next_free_vgpr 1
		.amdhsa_next_free_sgpr 0
		.amdhsa_accum_offset 4
		.amdhsa_reserve_vcc 0
		.amdhsa_float_round_mode_32 0
		.amdhsa_float_round_mode_16_64 0
		.amdhsa_float_denorm_mode_32 3
		.amdhsa_float_denorm_mode_16_64 3
		.amdhsa_dx10_clamp 1
		.amdhsa_ieee_mode 1
		.amdhsa_fp16_overflow 0
		.amdhsa_tg_split 0
		.amdhsa_exception_fp_ieee_invalid_op 0
		.amdhsa_exception_fp_denorm_src 0
		.amdhsa_exception_fp_ieee_div_zero 0
		.amdhsa_exception_fp_ieee_overflow 0
		.amdhsa_exception_fp_ieee_underflow 0
		.amdhsa_exception_fp_ieee_inexact 0
		.amdhsa_exception_int_div_zero 0
	.end_amdhsa_kernel
	.section	.text._ZN7rocprim17ROCPRIM_400000_NS6detail17trampoline_kernelINS0_14default_configENS1_27scan_by_key_config_selectorIiyEEZZNS1_16scan_by_key_implILNS1_25lookback_scan_determinismE0ELb0ES3_N6thrust23THRUST_200600_302600_NS6detail15normal_iteratorINS9_10device_ptrIiEEEENSB_INSC_IyEEEESG_yNS9_4plusIvEENS9_8equal_toIvEEyEE10hipError_tPvRmT2_T3_T4_T5_mT6_T7_P12ihipStream_tbENKUlT_T0_E_clISt17integral_constantIbLb1EES10_IbLb0EEEEDaSW_SX_EUlSW_E_NS1_11comp_targetILNS1_3genE9ELNS1_11target_archE1100ELNS1_3gpuE3ELNS1_3repE0EEENS1_30default_config_static_selectorELNS0_4arch9wavefront6targetE1EEEvT1_,"axG",@progbits,_ZN7rocprim17ROCPRIM_400000_NS6detail17trampoline_kernelINS0_14default_configENS1_27scan_by_key_config_selectorIiyEEZZNS1_16scan_by_key_implILNS1_25lookback_scan_determinismE0ELb0ES3_N6thrust23THRUST_200600_302600_NS6detail15normal_iteratorINS9_10device_ptrIiEEEENSB_INSC_IyEEEESG_yNS9_4plusIvEENS9_8equal_toIvEEyEE10hipError_tPvRmT2_T3_T4_T5_mT6_T7_P12ihipStream_tbENKUlT_T0_E_clISt17integral_constantIbLb1EES10_IbLb0EEEEDaSW_SX_EUlSW_E_NS1_11comp_targetILNS1_3genE9ELNS1_11target_archE1100ELNS1_3gpuE3ELNS1_3repE0EEENS1_30default_config_static_selectorELNS0_4arch9wavefront6targetE1EEEvT1_,comdat
.Lfunc_end1205:
	.size	_ZN7rocprim17ROCPRIM_400000_NS6detail17trampoline_kernelINS0_14default_configENS1_27scan_by_key_config_selectorIiyEEZZNS1_16scan_by_key_implILNS1_25lookback_scan_determinismE0ELb0ES3_N6thrust23THRUST_200600_302600_NS6detail15normal_iteratorINS9_10device_ptrIiEEEENSB_INSC_IyEEEESG_yNS9_4plusIvEENS9_8equal_toIvEEyEE10hipError_tPvRmT2_T3_T4_T5_mT6_T7_P12ihipStream_tbENKUlT_T0_E_clISt17integral_constantIbLb1EES10_IbLb0EEEEDaSW_SX_EUlSW_E_NS1_11comp_targetILNS1_3genE9ELNS1_11target_archE1100ELNS1_3gpuE3ELNS1_3repE0EEENS1_30default_config_static_selectorELNS0_4arch9wavefront6targetE1EEEvT1_, .Lfunc_end1205-_ZN7rocprim17ROCPRIM_400000_NS6detail17trampoline_kernelINS0_14default_configENS1_27scan_by_key_config_selectorIiyEEZZNS1_16scan_by_key_implILNS1_25lookback_scan_determinismE0ELb0ES3_N6thrust23THRUST_200600_302600_NS6detail15normal_iteratorINS9_10device_ptrIiEEEENSB_INSC_IyEEEESG_yNS9_4plusIvEENS9_8equal_toIvEEyEE10hipError_tPvRmT2_T3_T4_T5_mT6_T7_P12ihipStream_tbENKUlT_T0_E_clISt17integral_constantIbLb1EES10_IbLb0EEEEDaSW_SX_EUlSW_E_NS1_11comp_targetILNS1_3genE9ELNS1_11target_archE1100ELNS1_3gpuE3ELNS1_3repE0EEENS1_30default_config_static_selectorELNS0_4arch9wavefront6targetE1EEEvT1_
                                        ; -- End function
	.section	.AMDGPU.csdata,"",@progbits
; Kernel info:
; codeLenInByte = 0
; NumSgprs: 6
; NumVgprs: 0
; NumAgprs: 0
; TotalNumVgprs: 0
; ScratchSize: 0
; MemoryBound: 0
; FloatMode: 240
; IeeeMode: 1
; LDSByteSize: 0 bytes/workgroup (compile time only)
; SGPRBlocks: 0
; VGPRBlocks: 0
; NumSGPRsForWavesPerEU: 6
; NumVGPRsForWavesPerEU: 1
; AccumOffset: 4
; Occupancy: 8
; WaveLimiterHint : 0
; COMPUTE_PGM_RSRC2:SCRATCH_EN: 0
; COMPUTE_PGM_RSRC2:USER_SGPR: 2
; COMPUTE_PGM_RSRC2:TRAP_HANDLER: 0
; COMPUTE_PGM_RSRC2:TGID_X_EN: 1
; COMPUTE_PGM_RSRC2:TGID_Y_EN: 0
; COMPUTE_PGM_RSRC2:TGID_Z_EN: 0
; COMPUTE_PGM_RSRC2:TIDIG_COMP_CNT: 0
; COMPUTE_PGM_RSRC3_GFX90A:ACCUM_OFFSET: 0
; COMPUTE_PGM_RSRC3_GFX90A:TG_SPLIT: 0
	.section	.text._ZN7rocprim17ROCPRIM_400000_NS6detail17trampoline_kernelINS0_14default_configENS1_27scan_by_key_config_selectorIiyEEZZNS1_16scan_by_key_implILNS1_25lookback_scan_determinismE0ELb0ES3_N6thrust23THRUST_200600_302600_NS6detail15normal_iteratorINS9_10device_ptrIiEEEENSB_INSC_IyEEEESG_yNS9_4plusIvEENS9_8equal_toIvEEyEE10hipError_tPvRmT2_T3_T4_T5_mT6_T7_P12ihipStream_tbENKUlT_T0_E_clISt17integral_constantIbLb1EES10_IbLb0EEEEDaSW_SX_EUlSW_E_NS1_11comp_targetILNS1_3genE8ELNS1_11target_archE1030ELNS1_3gpuE2ELNS1_3repE0EEENS1_30default_config_static_selectorELNS0_4arch9wavefront6targetE1EEEvT1_,"axG",@progbits,_ZN7rocprim17ROCPRIM_400000_NS6detail17trampoline_kernelINS0_14default_configENS1_27scan_by_key_config_selectorIiyEEZZNS1_16scan_by_key_implILNS1_25lookback_scan_determinismE0ELb0ES3_N6thrust23THRUST_200600_302600_NS6detail15normal_iteratorINS9_10device_ptrIiEEEENSB_INSC_IyEEEESG_yNS9_4plusIvEENS9_8equal_toIvEEyEE10hipError_tPvRmT2_T3_T4_T5_mT6_T7_P12ihipStream_tbENKUlT_T0_E_clISt17integral_constantIbLb1EES10_IbLb0EEEEDaSW_SX_EUlSW_E_NS1_11comp_targetILNS1_3genE8ELNS1_11target_archE1030ELNS1_3gpuE2ELNS1_3repE0EEENS1_30default_config_static_selectorELNS0_4arch9wavefront6targetE1EEEvT1_,comdat
	.protected	_ZN7rocprim17ROCPRIM_400000_NS6detail17trampoline_kernelINS0_14default_configENS1_27scan_by_key_config_selectorIiyEEZZNS1_16scan_by_key_implILNS1_25lookback_scan_determinismE0ELb0ES3_N6thrust23THRUST_200600_302600_NS6detail15normal_iteratorINS9_10device_ptrIiEEEENSB_INSC_IyEEEESG_yNS9_4plusIvEENS9_8equal_toIvEEyEE10hipError_tPvRmT2_T3_T4_T5_mT6_T7_P12ihipStream_tbENKUlT_T0_E_clISt17integral_constantIbLb1EES10_IbLb0EEEEDaSW_SX_EUlSW_E_NS1_11comp_targetILNS1_3genE8ELNS1_11target_archE1030ELNS1_3gpuE2ELNS1_3repE0EEENS1_30default_config_static_selectorELNS0_4arch9wavefront6targetE1EEEvT1_ ; -- Begin function _ZN7rocprim17ROCPRIM_400000_NS6detail17trampoline_kernelINS0_14default_configENS1_27scan_by_key_config_selectorIiyEEZZNS1_16scan_by_key_implILNS1_25lookback_scan_determinismE0ELb0ES3_N6thrust23THRUST_200600_302600_NS6detail15normal_iteratorINS9_10device_ptrIiEEEENSB_INSC_IyEEEESG_yNS9_4plusIvEENS9_8equal_toIvEEyEE10hipError_tPvRmT2_T3_T4_T5_mT6_T7_P12ihipStream_tbENKUlT_T0_E_clISt17integral_constantIbLb1EES10_IbLb0EEEEDaSW_SX_EUlSW_E_NS1_11comp_targetILNS1_3genE8ELNS1_11target_archE1030ELNS1_3gpuE2ELNS1_3repE0EEENS1_30default_config_static_selectorELNS0_4arch9wavefront6targetE1EEEvT1_
	.globl	_ZN7rocprim17ROCPRIM_400000_NS6detail17trampoline_kernelINS0_14default_configENS1_27scan_by_key_config_selectorIiyEEZZNS1_16scan_by_key_implILNS1_25lookback_scan_determinismE0ELb0ES3_N6thrust23THRUST_200600_302600_NS6detail15normal_iteratorINS9_10device_ptrIiEEEENSB_INSC_IyEEEESG_yNS9_4plusIvEENS9_8equal_toIvEEyEE10hipError_tPvRmT2_T3_T4_T5_mT6_T7_P12ihipStream_tbENKUlT_T0_E_clISt17integral_constantIbLb1EES10_IbLb0EEEEDaSW_SX_EUlSW_E_NS1_11comp_targetILNS1_3genE8ELNS1_11target_archE1030ELNS1_3gpuE2ELNS1_3repE0EEENS1_30default_config_static_selectorELNS0_4arch9wavefront6targetE1EEEvT1_
	.p2align	8
	.type	_ZN7rocprim17ROCPRIM_400000_NS6detail17trampoline_kernelINS0_14default_configENS1_27scan_by_key_config_selectorIiyEEZZNS1_16scan_by_key_implILNS1_25lookback_scan_determinismE0ELb0ES3_N6thrust23THRUST_200600_302600_NS6detail15normal_iteratorINS9_10device_ptrIiEEEENSB_INSC_IyEEEESG_yNS9_4plusIvEENS9_8equal_toIvEEyEE10hipError_tPvRmT2_T3_T4_T5_mT6_T7_P12ihipStream_tbENKUlT_T0_E_clISt17integral_constantIbLb1EES10_IbLb0EEEEDaSW_SX_EUlSW_E_NS1_11comp_targetILNS1_3genE8ELNS1_11target_archE1030ELNS1_3gpuE2ELNS1_3repE0EEENS1_30default_config_static_selectorELNS0_4arch9wavefront6targetE1EEEvT1_,@function
_ZN7rocprim17ROCPRIM_400000_NS6detail17trampoline_kernelINS0_14default_configENS1_27scan_by_key_config_selectorIiyEEZZNS1_16scan_by_key_implILNS1_25lookback_scan_determinismE0ELb0ES3_N6thrust23THRUST_200600_302600_NS6detail15normal_iteratorINS9_10device_ptrIiEEEENSB_INSC_IyEEEESG_yNS9_4plusIvEENS9_8equal_toIvEEyEE10hipError_tPvRmT2_T3_T4_T5_mT6_T7_P12ihipStream_tbENKUlT_T0_E_clISt17integral_constantIbLb1EES10_IbLb0EEEEDaSW_SX_EUlSW_E_NS1_11comp_targetILNS1_3genE8ELNS1_11target_archE1030ELNS1_3gpuE2ELNS1_3repE0EEENS1_30default_config_static_selectorELNS0_4arch9wavefront6targetE1EEEvT1_: ; @_ZN7rocprim17ROCPRIM_400000_NS6detail17trampoline_kernelINS0_14default_configENS1_27scan_by_key_config_selectorIiyEEZZNS1_16scan_by_key_implILNS1_25lookback_scan_determinismE0ELb0ES3_N6thrust23THRUST_200600_302600_NS6detail15normal_iteratorINS9_10device_ptrIiEEEENSB_INSC_IyEEEESG_yNS9_4plusIvEENS9_8equal_toIvEEyEE10hipError_tPvRmT2_T3_T4_T5_mT6_T7_P12ihipStream_tbENKUlT_T0_E_clISt17integral_constantIbLb1EES10_IbLb0EEEEDaSW_SX_EUlSW_E_NS1_11comp_targetILNS1_3genE8ELNS1_11target_archE1030ELNS1_3gpuE2ELNS1_3repE0EEENS1_30default_config_static_selectorELNS0_4arch9wavefront6targetE1EEEvT1_
; %bb.0:
	.section	.rodata,"a",@progbits
	.p2align	6, 0x0
	.amdhsa_kernel _ZN7rocprim17ROCPRIM_400000_NS6detail17trampoline_kernelINS0_14default_configENS1_27scan_by_key_config_selectorIiyEEZZNS1_16scan_by_key_implILNS1_25lookback_scan_determinismE0ELb0ES3_N6thrust23THRUST_200600_302600_NS6detail15normal_iteratorINS9_10device_ptrIiEEEENSB_INSC_IyEEEESG_yNS9_4plusIvEENS9_8equal_toIvEEyEE10hipError_tPvRmT2_T3_T4_T5_mT6_T7_P12ihipStream_tbENKUlT_T0_E_clISt17integral_constantIbLb1EES10_IbLb0EEEEDaSW_SX_EUlSW_E_NS1_11comp_targetILNS1_3genE8ELNS1_11target_archE1030ELNS1_3gpuE2ELNS1_3repE0EEENS1_30default_config_static_selectorELNS0_4arch9wavefront6targetE1EEEvT1_
		.amdhsa_group_segment_fixed_size 0
		.amdhsa_private_segment_fixed_size 0
		.amdhsa_kernarg_size 136
		.amdhsa_user_sgpr_count 2
		.amdhsa_user_sgpr_dispatch_ptr 0
		.amdhsa_user_sgpr_queue_ptr 0
		.amdhsa_user_sgpr_kernarg_segment_ptr 1
		.amdhsa_user_sgpr_dispatch_id 0
		.amdhsa_user_sgpr_kernarg_preload_length 0
		.amdhsa_user_sgpr_kernarg_preload_offset 0
		.amdhsa_user_sgpr_private_segment_size 0
		.amdhsa_uses_dynamic_stack 0
		.amdhsa_enable_private_segment 0
		.amdhsa_system_sgpr_workgroup_id_x 1
		.amdhsa_system_sgpr_workgroup_id_y 0
		.amdhsa_system_sgpr_workgroup_id_z 0
		.amdhsa_system_sgpr_workgroup_info 0
		.amdhsa_system_vgpr_workitem_id 0
		.amdhsa_next_free_vgpr 1
		.amdhsa_next_free_sgpr 0
		.amdhsa_accum_offset 4
		.amdhsa_reserve_vcc 0
		.amdhsa_float_round_mode_32 0
		.amdhsa_float_round_mode_16_64 0
		.amdhsa_float_denorm_mode_32 3
		.amdhsa_float_denorm_mode_16_64 3
		.amdhsa_dx10_clamp 1
		.amdhsa_ieee_mode 1
		.amdhsa_fp16_overflow 0
		.amdhsa_tg_split 0
		.amdhsa_exception_fp_ieee_invalid_op 0
		.amdhsa_exception_fp_denorm_src 0
		.amdhsa_exception_fp_ieee_div_zero 0
		.amdhsa_exception_fp_ieee_overflow 0
		.amdhsa_exception_fp_ieee_underflow 0
		.amdhsa_exception_fp_ieee_inexact 0
		.amdhsa_exception_int_div_zero 0
	.end_amdhsa_kernel
	.section	.text._ZN7rocprim17ROCPRIM_400000_NS6detail17trampoline_kernelINS0_14default_configENS1_27scan_by_key_config_selectorIiyEEZZNS1_16scan_by_key_implILNS1_25lookback_scan_determinismE0ELb0ES3_N6thrust23THRUST_200600_302600_NS6detail15normal_iteratorINS9_10device_ptrIiEEEENSB_INSC_IyEEEESG_yNS9_4plusIvEENS9_8equal_toIvEEyEE10hipError_tPvRmT2_T3_T4_T5_mT6_T7_P12ihipStream_tbENKUlT_T0_E_clISt17integral_constantIbLb1EES10_IbLb0EEEEDaSW_SX_EUlSW_E_NS1_11comp_targetILNS1_3genE8ELNS1_11target_archE1030ELNS1_3gpuE2ELNS1_3repE0EEENS1_30default_config_static_selectorELNS0_4arch9wavefront6targetE1EEEvT1_,"axG",@progbits,_ZN7rocprim17ROCPRIM_400000_NS6detail17trampoline_kernelINS0_14default_configENS1_27scan_by_key_config_selectorIiyEEZZNS1_16scan_by_key_implILNS1_25lookback_scan_determinismE0ELb0ES3_N6thrust23THRUST_200600_302600_NS6detail15normal_iteratorINS9_10device_ptrIiEEEENSB_INSC_IyEEEESG_yNS9_4plusIvEENS9_8equal_toIvEEyEE10hipError_tPvRmT2_T3_T4_T5_mT6_T7_P12ihipStream_tbENKUlT_T0_E_clISt17integral_constantIbLb1EES10_IbLb0EEEEDaSW_SX_EUlSW_E_NS1_11comp_targetILNS1_3genE8ELNS1_11target_archE1030ELNS1_3gpuE2ELNS1_3repE0EEENS1_30default_config_static_selectorELNS0_4arch9wavefront6targetE1EEEvT1_,comdat
.Lfunc_end1206:
	.size	_ZN7rocprim17ROCPRIM_400000_NS6detail17trampoline_kernelINS0_14default_configENS1_27scan_by_key_config_selectorIiyEEZZNS1_16scan_by_key_implILNS1_25lookback_scan_determinismE0ELb0ES3_N6thrust23THRUST_200600_302600_NS6detail15normal_iteratorINS9_10device_ptrIiEEEENSB_INSC_IyEEEESG_yNS9_4plusIvEENS9_8equal_toIvEEyEE10hipError_tPvRmT2_T3_T4_T5_mT6_T7_P12ihipStream_tbENKUlT_T0_E_clISt17integral_constantIbLb1EES10_IbLb0EEEEDaSW_SX_EUlSW_E_NS1_11comp_targetILNS1_3genE8ELNS1_11target_archE1030ELNS1_3gpuE2ELNS1_3repE0EEENS1_30default_config_static_selectorELNS0_4arch9wavefront6targetE1EEEvT1_, .Lfunc_end1206-_ZN7rocprim17ROCPRIM_400000_NS6detail17trampoline_kernelINS0_14default_configENS1_27scan_by_key_config_selectorIiyEEZZNS1_16scan_by_key_implILNS1_25lookback_scan_determinismE0ELb0ES3_N6thrust23THRUST_200600_302600_NS6detail15normal_iteratorINS9_10device_ptrIiEEEENSB_INSC_IyEEEESG_yNS9_4plusIvEENS9_8equal_toIvEEyEE10hipError_tPvRmT2_T3_T4_T5_mT6_T7_P12ihipStream_tbENKUlT_T0_E_clISt17integral_constantIbLb1EES10_IbLb0EEEEDaSW_SX_EUlSW_E_NS1_11comp_targetILNS1_3genE8ELNS1_11target_archE1030ELNS1_3gpuE2ELNS1_3repE0EEENS1_30default_config_static_selectorELNS0_4arch9wavefront6targetE1EEEvT1_
                                        ; -- End function
	.section	.AMDGPU.csdata,"",@progbits
; Kernel info:
; codeLenInByte = 0
; NumSgprs: 6
; NumVgprs: 0
; NumAgprs: 0
; TotalNumVgprs: 0
; ScratchSize: 0
; MemoryBound: 0
; FloatMode: 240
; IeeeMode: 1
; LDSByteSize: 0 bytes/workgroup (compile time only)
; SGPRBlocks: 0
; VGPRBlocks: 0
; NumSGPRsForWavesPerEU: 6
; NumVGPRsForWavesPerEU: 1
; AccumOffset: 4
; Occupancy: 8
; WaveLimiterHint : 0
; COMPUTE_PGM_RSRC2:SCRATCH_EN: 0
; COMPUTE_PGM_RSRC2:USER_SGPR: 2
; COMPUTE_PGM_RSRC2:TRAP_HANDLER: 0
; COMPUTE_PGM_RSRC2:TGID_X_EN: 1
; COMPUTE_PGM_RSRC2:TGID_Y_EN: 0
; COMPUTE_PGM_RSRC2:TGID_Z_EN: 0
; COMPUTE_PGM_RSRC2:TIDIG_COMP_CNT: 0
; COMPUTE_PGM_RSRC3_GFX90A:ACCUM_OFFSET: 0
; COMPUTE_PGM_RSRC3_GFX90A:TG_SPLIT: 0
	.section	.text._ZN7rocprim17ROCPRIM_400000_NS6detail30init_device_scan_by_key_kernelINS1_19lookback_scan_stateINS0_5tupleIJybEEELb0ELb0EEEN6thrust23THRUST_200600_302600_NS6detail15normal_iteratorINS8_10device_ptrIiEEEEjNS1_16block_id_wrapperIjLb1EEEEEvT_jjPNSG_10value_typeET0_PNSt15iterator_traitsISJ_E10value_typeEmT1_T2_,"axG",@progbits,_ZN7rocprim17ROCPRIM_400000_NS6detail30init_device_scan_by_key_kernelINS1_19lookback_scan_stateINS0_5tupleIJybEEELb0ELb0EEEN6thrust23THRUST_200600_302600_NS6detail15normal_iteratorINS8_10device_ptrIiEEEEjNS1_16block_id_wrapperIjLb1EEEEEvT_jjPNSG_10value_typeET0_PNSt15iterator_traitsISJ_E10value_typeEmT1_T2_,comdat
	.protected	_ZN7rocprim17ROCPRIM_400000_NS6detail30init_device_scan_by_key_kernelINS1_19lookback_scan_stateINS0_5tupleIJybEEELb0ELb0EEEN6thrust23THRUST_200600_302600_NS6detail15normal_iteratorINS8_10device_ptrIiEEEEjNS1_16block_id_wrapperIjLb1EEEEEvT_jjPNSG_10value_typeET0_PNSt15iterator_traitsISJ_E10value_typeEmT1_T2_ ; -- Begin function _ZN7rocprim17ROCPRIM_400000_NS6detail30init_device_scan_by_key_kernelINS1_19lookback_scan_stateINS0_5tupleIJybEEELb0ELb0EEEN6thrust23THRUST_200600_302600_NS6detail15normal_iteratorINS8_10device_ptrIiEEEEjNS1_16block_id_wrapperIjLb1EEEEEvT_jjPNSG_10value_typeET0_PNSt15iterator_traitsISJ_E10value_typeEmT1_T2_
	.globl	_ZN7rocprim17ROCPRIM_400000_NS6detail30init_device_scan_by_key_kernelINS1_19lookback_scan_stateINS0_5tupleIJybEEELb0ELb0EEEN6thrust23THRUST_200600_302600_NS6detail15normal_iteratorINS8_10device_ptrIiEEEEjNS1_16block_id_wrapperIjLb1EEEEEvT_jjPNSG_10value_typeET0_PNSt15iterator_traitsISJ_E10value_typeEmT1_T2_
	.p2align	8
	.type	_ZN7rocprim17ROCPRIM_400000_NS6detail30init_device_scan_by_key_kernelINS1_19lookback_scan_stateINS0_5tupleIJybEEELb0ELb0EEEN6thrust23THRUST_200600_302600_NS6detail15normal_iteratorINS8_10device_ptrIiEEEEjNS1_16block_id_wrapperIjLb1EEEEEvT_jjPNSG_10value_typeET0_PNSt15iterator_traitsISJ_E10value_typeEmT1_T2_,@function
_ZN7rocprim17ROCPRIM_400000_NS6detail30init_device_scan_by_key_kernelINS1_19lookback_scan_stateINS0_5tupleIJybEEELb0ELb0EEEN6thrust23THRUST_200600_302600_NS6detail15normal_iteratorINS8_10device_ptrIiEEEEjNS1_16block_id_wrapperIjLb1EEEEEvT_jjPNSG_10value_typeET0_PNSt15iterator_traitsISJ_E10value_typeEmT1_T2_: ; @_ZN7rocprim17ROCPRIM_400000_NS6detail30init_device_scan_by_key_kernelINS1_19lookback_scan_stateINS0_5tupleIJybEEELb0ELb0EEEN6thrust23THRUST_200600_302600_NS6detail15normal_iteratorINS8_10device_ptrIiEEEEjNS1_16block_id_wrapperIjLb1EEEEEvT_jjPNSG_10value_typeET0_PNSt15iterator_traitsISJ_E10value_typeEmT1_T2_
; %bb.0:
	s_load_dword s3, s[0:1], 0x5c
	s_load_dwordx8 s[4:11], s[0:1], 0x10
	s_load_dword s20, s[0:1], 0x50
	s_waitcnt lgkmcnt(0)
	s_and_b32 s21, s3, 0xffff
	s_mul_i32 s2, s2, s21
	s_cmp_eq_u64 s[8:9], 0
	v_add_u32_e32 v0, s2, v0
	s_cbranch_scc1 .LBB1207_7
; %bb.1:
	s_cmp_lt_u32 s7, s6
	s_cselect_b32 s2, s7, 0
	s_mov_b32 s17, 0
	v_cmp_eq_u32_e32 vcc, s2, v0
	s_and_saveexec_b64 s[2:3], vcc
	s_cbranch_execz .LBB1207_6
; %bb.2:
	s_add_i32 s16, s7, 64
	v_mov_b32_e32 v1, s16
	global_load_ubyte v1, v1, s[4:5] sc1
	s_load_dwordx4 s[12:15], s[0:1], 0x0
	s_add_u32 s18, s4, s16
	s_addc_u32 s19, s5, 0
	s_waitcnt vmcnt(0)
	v_cmp_ne_u16_e32 vcc, 0, v1
	v_readfirstlane_b32 s7, v1
	s_cbranch_vccnz .LBB1207_5
; %bb.3:
	v_mov_b32_e32 v1, 0
.LBB1207_4:                             ; =>This Inner Loop Header: Depth=1
	global_load_ubyte v2, v1, s[18:19] sc1
	s_waitcnt vmcnt(0)
	v_cmp_eq_u16_e32 vcc, 0, v2
	v_readfirstlane_b32 s7, v2
	s_cbranch_vccnz .LBB1207_4
.LBB1207_5:
	s_and_b32 s7, 0xffff, s7
	s_cmp_eq_u32 s7, 1
	s_waitcnt lgkmcnt(0)
	s_cselect_b32 s7, s13, s15
	s_cselect_b32 s14, s12, s14
	s_lshl_b64 s[12:13], s[16:17], 4
	s_add_u32 s12, s14, s12
	s_addc_u32 s13, s7, s13
	v_mov_b32_e32 v1, 0
	s_waitcnt vmcnt(0)
	global_load_dword v2, v1, s[12:13] sc1
	global_load_dword v3, v1, s[12:13] offset:4 sc1
	global_load_dword v4, v1, s[12:13] offset:8 sc1
	;; [unrolled: 1-line block ×3, first 2 shown]
	s_waitcnt vmcnt(2)
	global_store_dwordx2 v1, v[2:3], s[8:9]
	s_waitcnt vmcnt(2)
	global_store_byte v1, v4, s[8:9] offset:8
.LBB1207_6:
	s_or_b64 exec, exec, s[2:3]
.LBB1207_7:
	v_cmp_eq_u32_e32 vcc, 0, v0
	s_and_saveexec_b64 s[2:3], vcc
	s_cbranch_execz .LBB1207_9
; %bb.8:
	s_load_dwordx2 s[8:9], s[0:1], 0x48
	v_mov_b32_e32 v1, 0
	s_waitcnt lgkmcnt(0)
	global_store_dword v1, v1, s[8:9]
.LBB1207_9:
	s_or_b64 exec, exec, s[2:3]
	v_cmp_gt_u32_e32 vcc, s6, v0
	s_and_saveexec_b64 s[2:3], vcc
	s_cbranch_execz .LBB1207_11
; %bb.10:
	v_add_u32_e32 v1, 64, v0
	v_mov_b32_e32 v2, 0
	global_store_byte v1, v2, s[4:5]
.LBB1207_11:
	s_or_b64 exec, exec, s[2:3]
	v_cmp_gt_u32_e32 vcc, 64, v0
	v_mov_b32_e32 v1, 0
	s_and_saveexec_b64 s[2:3], vcc
	s_cbranch_execz .LBB1207_13
; %bb.12:
	v_lshl_add_u64 v[2:3], s[4:5], 0, v[0:1]
	v_mov_b32_e32 v4, 0xff
	global_store_byte v[2:3], v4, off
.LBB1207_13:
	s_or_b64 exec, exec, s[2:3]
	s_load_dwordx2 s[2:3], s[0:1], 0x38
	s_waitcnt lgkmcnt(0)
	v_cmp_gt_u64_e32 vcc, s[2:3], v[0:1]
	s_and_saveexec_b64 s[4:5], vcc
	s_cbranch_execz .LBB1207_16
; %bb.14:
	s_load_dword s12, s[0:1], 0x40
	s_load_dwordx2 s[6:7], s[0:1], 0x30
	s_mov_b32 s5, 0
	s_mov_b32 s1, s5
	s_mul_i32 s0, s20, s21
	s_waitcnt lgkmcnt(0)
	s_add_i32 s4, s12, -1
	s_lshl_b64 s[4:5], s[4:5], 2
	s_add_u32 s4, s10, s4
	v_mad_u64_u32 v[2:3], s[8:9], s12, v0, 0
	s_addc_u32 s5, s11, s5
	v_lshl_add_u64 v[2:3], v[2:3], 2, s[4:5]
	s_mul_hi_u32 s5, s12, s0
	s_mul_i32 s4, s12, s0
	s_lshl_b64 s[4:5], s[4:5], 2
	s_waitcnt vmcnt(2)
	v_lshl_add_u64 v[4:5], v[0:1], 2, s[6:7]
	s_lshl_b64 s[6:7], s[0:1], 2
	s_mov_b64 s[8:9], 0
.LBB1207_15:                            ; =>This Inner Loop Header: Depth=1
	global_load_dword v6, v[2:3], off
	v_lshl_add_u64 v[0:1], v[0:1], 0, s[0:1]
	v_cmp_le_u64_e32 vcc, s[2:3], v[0:1]
	v_lshl_add_u64 v[2:3], v[2:3], 0, s[4:5]
	s_or_b64 s[8:9], vcc, s[8:9]
	s_waitcnt vmcnt(0)
	global_store_dword v[4:5], v6, off
	v_lshl_add_u64 v[4:5], v[4:5], 0, s[6:7]
	s_andn2_b64 exec, exec, s[8:9]
	s_cbranch_execnz .LBB1207_15
.LBB1207_16:
	s_endpgm
	.section	.rodata,"a",@progbits
	.p2align	6, 0x0
	.amdhsa_kernel _ZN7rocprim17ROCPRIM_400000_NS6detail30init_device_scan_by_key_kernelINS1_19lookback_scan_stateINS0_5tupleIJybEEELb0ELb0EEEN6thrust23THRUST_200600_302600_NS6detail15normal_iteratorINS8_10device_ptrIiEEEEjNS1_16block_id_wrapperIjLb1EEEEEvT_jjPNSG_10value_typeET0_PNSt15iterator_traitsISJ_E10value_typeEmT1_T2_
		.amdhsa_group_segment_fixed_size 0
		.amdhsa_private_segment_fixed_size 0
		.amdhsa_kernarg_size 336
		.amdhsa_user_sgpr_count 2
		.amdhsa_user_sgpr_dispatch_ptr 0
		.amdhsa_user_sgpr_queue_ptr 0
		.amdhsa_user_sgpr_kernarg_segment_ptr 1
		.amdhsa_user_sgpr_dispatch_id 0
		.amdhsa_user_sgpr_kernarg_preload_length 0
		.amdhsa_user_sgpr_kernarg_preload_offset 0
		.amdhsa_user_sgpr_private_segment_size 0
		.amdhsa_uses_dynamic_stack 0
		.amdhsa_enable_private_segment 0
		.amdhsa_system_sgpr_workgroup_id_x 1
		.amdhsa_system_sgpr_workgroup_id_y 0
		.amdhsa_system_sgpr_workgroup_id_z 0
		.amdhsa_system_sgpr_workgroup_info 0
		.amdhsa_system_vgpr_workitem_id 0
		.amdhsa_next_free_vgpr 7
		.amdhsa_next_free_sgpr 22
		.amdhsa_accum_offset 8
		.amdhsa_reserve_vcc 1
		.amdhsa_float_round_mode_32 0
		.amdhsa_float_round_mode_16_64 0
		.amdhsa_float_denorm_mode_32 3
		.amdhsa_float_denorm_mode_16_64 3
		.amdhsa_dx10_clamp 1
		.amdhsa_ieee_mode 1
		.amdhsa_fp16_overflow 0
		.amdhsa_tg_split 0
		.amdhsa_exception_fp_ieee_invalid_op 0
		.amdhsa_exception_fp_denorm_src 0
		.amdhsa_exception_fp_ieee_div_zero 0
		.amdhsa_exception_fp_ieee_overflow 0
		.amdhsa_exception_fp_ieee_underflow 0
		.amdhsa_exception_fp_ieee_inexact 0
		.amdhsa_exception_int_div_zero 0
	.end_amdhsa_kernel
	.section	.text._ZN7rocprim17ROCPRIM_400000_NS6detail30init_device_scan_by_key_kernelINS1_19lookback_scan_stateINS0_5tupleIJybEEELb0ELb0EEEN6thrust23THRUST_200600_302600_NS6detail15normal_iteratorINS8_10device_ptrIiEEEEjNS1_16block_id_wrapperIjLb1EEEEEvT_jjPNSG_10value_typeET0_PNSt15iterator_traitsISJ_E10value_typeEmT1_T2_,"axG",@progbits,_ZN7rocprim17ROCPRIM_400000_NS6detail30init_device_scan_by_key_kernelINS1_19lookback_scan_stateINS0_5tupleIJybEEELb0ELb0EEEN6thrust23THRUST_200600_302600_NS6detail15normal_iteratorINS8_10device_ptrIiEEEEjNS1_16block_id_wrapperIjLb1EEEEEvT_jjPNSG_10value_typeET0_PNSt15iterator_traitsISJ_E10value_typeEmT1_T2_,comdat
.Lfunc_end1207:
	.size	_ZN7rocprim17ROCPRIM_400000_NS6detail30init_device_scan_by_key_kernelINS1_19lookback_scan_stateINS0_5tupleIJybEEELb0ELb0EEEN6thrust23THRUST_200600_302600_NS6detail15normal_iteratorINS8_10device_ptrIiEEEEjNS1_16block_id_wrapperIjLb1EEEEEvT_jjPNSG_10value_typeET0_PNSt15iterator_traitsISJ_E10value_typeEmT1_T2_, .Lfunc_end1207-_ZN7rocprim17ROCPRIM_400000_NS6detail30init_device_scan_by_key_kernelINS1_19lookback_scan_stateINS0_5tupleIJybEEELb0ELb0EEEN6thrust23THRUST_200600_302600_NS6detail15normal_iteratorINS8_10device_ptrIiEEEEjNS1_16block_id_wrapperIjLb1EEEEEvT_jjPNSG_10value_typeET0_PNSt15iterator_traitsISJ_E10value_typeEmT1_T2_
                                        ; -- End function
	.section	.AMDGPU.csdata,"",@progbits
; Kernel info:
; codeLenInByte = 556
; NumSgprs: 28
; NumVgprs: 7
; NumAgprs: 0
; TotalNumVgprs: 7
; ScratchSize: 0
; MemoryBound: 0
; FloatMode: 240
; IeeeMode: 1
; LDSByteSize: 0 bytes/workgroup (compile time only)
; SGPRBlocks: 3
; VGPRBlocks: 0
; NumSGPRsForWavesPerEU: 28
; NumVGPRsForWavesPerEU: 7
; AccumOffset: 8
; Occupancy: 8
; WaveLimiterHint : 0
; COMPUTE_PGM_RSRC2:SCRATCH_EN: 0
; COMPUTE_PGM_RSRC2:USER_SGPR: 2
; COMPUTE_PGM_RSRC2:TRAP_HANDLER: 0
; COMPUTE_PGM_RSRC2:TGID_X_EN: 1
; COMPUTE_PGM_RSRC2:TGID_Y_EN: 0
; COMPUTE_PGM_RSRC2:TGID_Z_EN: 0
; COMPUTE_PGM_RSRC2:TIDIG_COMP_CNT: 0
; COMPUTE_PGM_RSRC3_GFX90A:ACCUM_OFFSET: 1
; COMPUTE_PGM_RSRC3_GFX90A:TG_SPLIT: 0
	.section	.text._ZN7rocprim17ROCPRIM_400000_NS6detail30init_device_scan_by_key_kernelINS1_19lookback_scan_stateINS0_5tupleIJybEEELb0ELb0EEENS1_16block_id_wrapperIjLb1EEEEEvT_jjPNS9_10value_typeET0_,"axG",@progbits,_ZN7rocprim17ROCPRIM_400000_NS6detail30init_device_scan_by_key_kernelINS1_19lookback_scan_stateINS0_5tupleIJybEEELb0ELb0EEENS1_16block_id_wrapperIjLb1EEEEEvT_jjPNS9_10value_typeET0_,comdat
	.protected	_ZN7rocprim17ROCPRIM_400000_NS6detail30init_device_scan_by_key_kernelINS1_19lookback_scan_stateINS0_5tupleIJybEEELb0ELb0EEENS1_16block_id_wrapperIjLb1EEEEEvT_jjPNS9_10value_typeET0_ ; -- Begin function _ZN7rocprim17ROCPRIM_400000_NS6detail30init_device_scan_by_key_kernelINS1_19lookback_scan_stateINS0_5tupleIJybEEELb0ELb0EEENS1_16block_id_wrapperIjLb1EEEEEvT_jjPNS9_10value_typeET0_
	.globl	_ZN7rocprim17ROCPRIM_400000_NS6detail30init_device_scan_by_key_kernelINS1_19lookback_scan_stateINS0_5tupleIJybEEELb0ELb0EEENS1_16block_id_wrapperIjLb1EEEEEvT_jjPNS9_10value_typeET0_
	.p2align	8
	.type	_ZN7rocprim17ROCPRIM_400000_NS6detail30init_device_scan_by_key_kernelINS1_19lookback_scan_stateINS0_5tupleIJybEEELb0ELb0EEENS1_16block_id_wrapperIjLb1EEEEEvT_jjPNS9_10value_typeET0_,@function
_ZN7rocprim17ROCPRIM_400000_NS6detail30init_device_scan_by_key_kernelINS1_19lookback_scan_stateINS0_5tupleIJybEEELb0ELb0EEENS1_16block_id_wrapperIjLb1EEEEEvT_jjPNS9_10value_typeET0_: ; @_ZN7rocprim17ROCPRIM_400000_NS6detail30init_device_scan_by_key_kernelINS1_19lookback_scan_stateINS0_5tupleIJybEEELb0ELb0EEENS1_16block_id_wrapperIjLb1EEEEEvT_jjPNS9_10value_typeET0_
; %bb.0:
	s_load_dword s3, s[0:1], 0x3c
	s_load_dwordx8 s[4:11], s[0:1], 0x10
	s_waitcnt lgkmcnt(0)
	s_and_b32 s3, s3, 0xffff
	s_mul_i32 s2, s2, s3
	s_cmp_eq_u64 s[8:9], 0
	v_add_u32_e32 v0, s2, v0
	s_cbranch_scc1 .LBB1208_7
; %bb.1:
	s_cmp_lt_u32 s7, s6
	s_cselect_b32 s2, s7, 0
	s_mov_b32 s15, 0
	v_cmp_eq_u32_e32 vcc, s2, v0
	s_and_saveexec_b64 s[12:13], vcc
	s_cbranch_execz .LBB1208_6
; %bb.2:
	s_add_i32 s14, s7, 64
	v_mov_b32_e32 v1, s14
	global_load_ubyte v1, v1, s[4:5] sc1
	s_load_dwordx4 s[0:3], s[0:1], 0x0
	s_add_u32 s16, s4, s14
	s_addc_u32 s17, s5, 0
	s_waitcnt vmcnt(0)
	v_cmp_ne_u16_e32 vcc, 0, v1
	v_readfirstlane_b32 s7, v1
	s_cbranch_vccnz .LBB1208_5
; %bb.3:
	v_mov_b32_e32 v1, 0
.LBB1208_4:                             ; =>This Inner Loop Header: Depth=1
	global_load_ubyte v2, v1, s[16:17] sc1
	s_waitcnt vmcnt(0)
	v_cmp_eq_u16_e32 vcc, 0, v2
	v_readfirstlane_b32 s7, v2
	s_cbranch_vccnz .LBB1208_4
.LBB1208_5:
	s_and_b32 s7, 0xffff, s7
	s_cmp_eq_u32 s7, 1
	s_waitcnt lgkmcnt(0)
	s_cselect_b32 s3, s1, s3
	s_cselect_b32 s2, s0, s2
	s_lshl_b64 s[0:1], s[14:15], 4
	s_add_u32 s0, s2, s0
	s_addc_u32 s1, s3, s1
	v_mov_b32_e32 v1, 0
	s_waitcnt vmcnt(0)
	global_load_dword v2, v1, s[0:1] sc1
	global_load_dword v3, v1, s[0:1] offset:4 sc1
	global_load_dword v4, v1, s[0:1] offset:8 sc1
	;; [unrolled: 1-line block ×3, first 2 shown]
	s_waitcnt vmcnt(2)
	global_store_dwordx2 v1, v[2:3], s[8:9]
	s_waitcnt vmcnt(2)
	global_store_byte v1, v4, s[8:9] offset:8
.LBB1208_6:
	s_or_b64 exec, exec, s[12:13]
.LBB1208_7:
	v_cmp_eq_u32_e32 vcc, 0, v0
	s_and_saveexec_b64 s[0:1], vcc
	s_cbranch_execnz .LBB1208_11
; %bb.8:
	s_or_b64 exec, exec, s[0:1]
	v_cmp_gt_u32_e32 vcc, s6, v0
	s_and_saveexec_b64 s[0:1], vcc
	s_cbranch_execnz .LBB1208_12
.LBB1208_9:
	s_or_b64 exec, exec, s[0:1]
	v_cmp_gt_u32_e32 vcc, 64, v0
	s_and_saveexec_b64 s[0:1], vcc
	s_cbranch_execnz .LBB1208_13
.LBB1208_10:
	s_endpgm
.LBB1208_11:
	v_mov_b32_e32 v1, 0
	global_store_dword v1, v1, s[10:11]
	s_or_b64 exec, exec, s[0:1]
	v_cmp_gt_u32_e32 vcc, s6, v0
	s_and_saveexec_b64 s[0:1], vcc
	s_cbranch_execz .LBB1208_9
.LBB1208_12:
	v_add_u32_e32 v1, 64, v0
	v_mov_b32_e32 v2, 0
	global_store_byte v1, v2, s[4:5]
	s_or_b64 exec, exec, s[0:1]
	v_cmp_gt_u32_e32 vcc, 64, v0
	s_and_saveexec_b64 s[0:1], vcc
	s_cbranch_execz .LBB1208_10
.LBB1208_13:
	v_mov_b32_e32 v1, 0xff
	global_store_byte v0, v1, s[4:5]
	s_endpgm
	.section	.rodata,"a",@progbits
	.p2align	6, 0x0
	.amdhsa_kernel _ZN7rocprim17ROCPRIM_400000_NS6detail30init_device_scan_by_key_kernelINS1_19lookback_scan_stateINS0_5tupleIJybEEELb0ELb0EEENS1_16block_id_wrapperIjLb1EEEEEvT_jjPNS9_10value_typeET0_
		.amdhsa_group_segment_fixed_size 0
		.amdhsa_private_segment_fixed_size 0
		.amdhsa_kernarg_size 304
		.amdhsa_user_sgpr_count 2
		.amdhsa_user_sgpr_dispatch_ptr 0
		.amdhsa_user_sgpr_queue_ptr 0
		.amdhsa_user_sgpr_kernarg_segment_ptr 1
		.amdhsa_user_sgpr_dispatch_id 0
		.amdhsa_user_sgpr_kernarg_preload_length 0
		.amdhsa_user_sgpr_kernarg_preload_offset 0
		.amdhsa_user_sgpr_private_segment_size 0
		.amdhsa_uses_dynamic_stack 0
		.amdhsa_enable_private_segment 0
		.amdhsa_system_sgpr_workgroup_id_x 1
		.amdhsa_system_sgpr_workgroup_id_y 0
		.amdhsa_system_sgpr_workgroup_id_z 0
		.amdhsa_system_sgpr_workgroup_info 0
		.amdhsa_system_vgpr_workitem_id 0
		.amdhsa_next_free_vgpr 6
		.amdhsa_next_free_sgpr 18
		.amdhsa_accum_offset 8
		.amdhsa_reserve_vcc 1
		.amdhsa_float_round_mode_32 0
		.amdhsa_float_round_mode_16_64 0
		.amdhsa_float_denorm_mode_32 3
		.amdhsa_float_denorm_mode_16_64 3
		.amdhsa_dx10_clamp 1
		.amdhsa_ieee_mode 1
		.amdhsa_fp16_overflow 0
		.amdhsa_tg_split 0
		.amdhsa_exception_fp_ieee_invalid_op 0
		.amdhsa_exception_fp_denorm_src 0
		.amdhsa_exception_fp_ieee_div_zero 0
		.amdhsa_exception_fp_ieee_overflow 0
		.amdhsa_exception_fp_ieee_underflow 0
		.amdhsa_exception_fp_ieee_inexact 0
		.amdhsa_exception_int_div_zero 0
	.end_amdhsa_kernel
	.section	.text._ZN7rocprim17ROCPRIM_400000_NS6detail30init_device_scan_by_key_kernelINS1_19lookback_scan_stateINS0_5tupleIJybEEELb0ELb0EEENS1_16block_id_wrapperIjLb1EEEEEvT_jjPNS9_10value_typeET0_,"axG",@progbits,_ZN7rocprim17ROCPRIM_400000_NS6detail30init_device_scan_by_key_kernelINS1_19lookback_scan_stateINS0_5tupleIJybEEELb0ELb0EEENS1_16block_id_wrapperIjLb1EEEEEvT_jjPNS9_10value_typeET0_,comdat
.Lfunc_end1208:
	.size	_ZN7rocprim17ROCPRIM_400000_NS6detail30init_device_scan_by_key_kernelINS1_19lookback_scan_stateINS0_5tupleIJybEEELb0ELb0EEENS1_16block_id_wrapperIjLb1EEEEEvT_jjPNS9_10value_typeET0_, .Lfunc_end1208-_ZN7rocprim17ROCPRIM_400000_NS6detail30init_device_scan_by_key_kernelINS1_19lookback_scan_stateINS0_5tupleIJybEEELb0ELb0EEENS1_16block_id_wrapperIjLb1EEEEEvT_jjPNS9_10value_typeET0_
                                        ; -- End function
	.section	.AMDGPU.csdata,"",@progbits
; Kernel info:
; codeLenInByte = 376
; NumSgprs: 24
; NumVgprs: 6
; NumAgprs: 0
; TotalNumVgprs: 6
; ScratchSize: 0
; MemoryBound: 0
; FloatMode: 240
; IeeeMode: 1
; LDSByteSize: 0 bytes/workgroup (compile time only)
; SGPRBlocks: 2
; VGPRBlocks: 0
; NumSGPRsForWavesPerEU: 24
; NumVGPRsForWavesPerEU: 6
; AccumOffset: 8
; Occupancy: 8
; WaveLimiterHint : 0
; COMPUTE_PGM_RSRC2:SCRATCH_EN: 0
; COMPUTE_PGM_RSRC2:USER_SGPR: 2
; COMPUTE_PGM_RSRC2:TRAP_HANDLER: 0
; COMPUTE_PGM_RSRC2:TGID_X_EN: 1
; COMPUTE_PGM_RSRC2:TGID_Y_EN: 0
; COMPUTE_PGM_RSRC2:TGID_Z_EN: 0
; COMPUTE_PGM_RSRC2:TIDIG_COMP_CNT: 0
; COMPUTE_PGM_RSRC3_GFX90A:ACCUM_OFFSET: 1
; COMPUTE_PGM_RSRC3_GFX90A:TG_SPLIT: 0
	.section	.text._ZN7rocprim17ROCPRIM_400000_NS6detail17trampoline_kernelINS0_14default_configENS1_27scan_by_key_config_selectorIiyEEZZNS1_16scan_by_key_implILNS1_25lookback_scan_determinismE0ELb0ES3_N6thrust23THRUST_200600_302600_NS6detail15normal_iteratorINS9_10device_ptrIiEEEENSB_INSC_IyEEEESG_yNS9_4plusIvEENS9_8equal_toIvEEyEE10hipError_tPvRmT2_T3_T4_T5_mT6_T7_P12ihipStream_tbENKUlT_T0_E_clISt17integral_constantIbLb0EES10_IbLb1EEEEDaSW_SX_EUlSW_E_NS1_11comp_targetILNS1_3genE0ELNS1_11target_archE4294967295ELNS1_3gpuE0ELNS1_3repE0EEENS1_30default_config_static_selectorELNS0_4arch9wavefront6targetE1EEEvT1_,"axG",@progbits,_ZN7rocprim17ROCPRIM_400000_NS6detail17trampoline_kernelINS0_14default_configENS1_27scan_by_key_config_selectorIiyEEZZNS1_16scan_by_key_implILNS1_25lookback_scan_determinismE0ELb0ES3_N6thrust23THRUST_200600_302600_NS6detail15normal_iteratorINS9_10device_ptrIiEEEENSB_INSC_IyEEEESG_yNS9_4plusIvEENS9_8equal_toIvEEyEE10hipError_tPvRmT2_T3_T4_T5_mT6_T7_P12ihipStream_tbENKUlT_T0_E_clISt17integral_constantIbLb0EES10_IbLb1EEEEDaSW_SX_EUlSW_E_NS1_11comp_targetILNS1_3genE0ELNS1_11target_archE4294967295ELNS1_3gpuE0ELNS1_3repE0EEENS1_30default_config_static_selectorELNS0_4arch9wavefront6targetE1EEEvT1_,comdat
	.protected	_ZN7rocprim17ROCPRIM_400000_NS6detail17trampoline_kernelINS0_14default_configENS1_27scan_by_key_config_selectorIiyEEZZNS1_16scan_by_key_implILNS1_25lookback_scan_determinismE0ELb0ES3_N6thrust23THRUST_200600_302600_NS6detail15normal_iteratorINS9_10device_ptrIiEEEENSB_INSC_IyEEEESG_yNS9_4plusIvEENS9_8equal_toIvEEyEE10hipError_tPvRmT2_T3_T4_T5_mT6_T7_P12ihipStream_tbENKUlT_T0_E_clISt17integral_constantIbLb0EES10_IbLb1EEEEDaSW_SX_EUlSW_E_NS1_11comp_targetILNS1_3genE0ELNS1_11target_archE4294967295ELNS1_3gpuE0ELNS1_3repE0EEENS1_30default_config_static_selectorELNS0_4arch9wavefront6targetE1EEEvT1_ ; -- Begin function _ZN7rocprim17ROCPRIM_400000_NS6detail17trampoline_kernelINS0_14default_configENS1_27scan_by_key_config_selectorIiyEEZZNS1_16scan_by_key_implILNS1_25lookback_scan_determinismE0ELb0ES3_N6thrust23THRUST_200600_302600_NS6detail15normal_iteratorINS9_10device_ptrIiEEEENSB_INSC_IyEEEESG_yNS9_4plusIvEENS9_8equal_toIvEEyEE10hipError_tPvRmT2_T3_T4_T5_mT6_T7_P12ihipStream_tbENKUlT_T0_E_clISt17integral_constantIbLb0EES10_IbLb1EEEEDaSW_SX_EUlSW_E_NS1_11comp_targetILNS1_3genE0ELNS1_11target_archE4294967295ELNS1_3gpuE0ELNS1_3repE0EEENS1_30default_config_static_selectorELNS0_4arch9wavefront6targetE1EEEvT1_
	.globl	_ZN7rocprim17ROCPRIM_400000_NS6detail17trampoline_kernelINS0_14default_configENS1_27scan_by_key_config_selectorIiyEEZZNS1_16scan_by_key_implILNS1_25lookback_scan_determinismE0ELb0ES3_N6thrust23THRUST_200600_302600_NS6detail15normal_iteratorINS9_10device_ptrIiEEEENSB_INSC_IyEEEESG_yNS9_4plusIvEENS9_8equal_toIvEEyEE10hipError_tPvRmT2_T3_T4_T5_mT6_T7_P12ihipStream_tbENKUlT_T0_E_clISt17integral_constantIbLb0EES10_IbLb1EEEEDaSW_SX_EUlSW_E_NS1_11comp_targetILNS1_3genE0ELNS1_11target_archE4294967295ELNS1_3gpuE0ELNS1_3repE0EEENS1_30default_config_static_selectorELNS0_4arch9wavefront6targetE1EEEvT1_
	.p2align	8
	.type	_ZN7rocprim17ROCPRIM_400000_NS6detail17trampoline_kernelINS0_14default_configENS1_27scan_by_key_config_selectorIiyEEZZNS1_16scan_by_key_implILNS1_25lookback_scan_determinismE0ELb0ES3_N6thrust23THRUST_200600_302600_NS6detail15normal_iteratorINS9_10device_ptrIiEEEENSB_INSC_IyEEEESG_yNS9_4plusIvEENS9_8equal_toIvEEyEE10hipError_tPvRmT2_T3_T4_T5_mT6_T7_P12ihipStream_tbENKUlT_T0_E_clISt17integral_constantIbLb0EES10_IbLb1EEEEDaSW_SX_EUlSW_E_NS1_11comp_targetILNS1_3genE0ELNS1_11target_archE4294967295ELNS1_3gpuE0ELNS1_3repE0EEENS1_30default_config_static_selectorELNS0_4arch9wavefront6targetE1EEEvT1_,@function
_ZN7rocprim17ROCPRIM_400000_NS6detail17trampoline_kernelINS0_14default_configENS1_27scan_by_key_config_selectorIiyEEZZNS1_16scan_by_key_implILNS1_25lookback_scan_determinismE0ELb0ES3_N6thrust23THRUST_200600_302600_NS6detail15normal_iteratorINS9_10device_ptrIiEEEENSB_INSC_IyEEEESG_yNS9_4plusIvEENS9_8equal_toIvEEyEE10hipError_tPvRmT2_T3_T4_T5_mT6_T7_P12ihipStream_tbENKUlT_T0_E_clISt17integral_constantIbLb0EES10_IbLb1EEEEDaSW_SX_EUlSW_E_NS1_11comp_targetILNS1_3genE0ELNS1_11target_archE4294967295ELNS1_3gpuE0ELNS1_3repE0EEENS1_30default_config_static_selectorELNS0_4arch9wavefront6targetE1EEEvT1_: ; @_ZN7rocprim17ROCPRIM_400000_NS6detail17trampoline_kernelINS0_14default_configENS1_27scan_by_key_config_selectorIiyEEZZNS1_16scan_by_key_implILNS1_25lookback_scan_determinismE0ELb0ES3_N6thrust23THRUST_200600_302600_NS6detail15normal_iteratorINS9_10device_ptrIiEEEENSB_INSC_IyEEEESG_yNS9_4plusIvEENS9_8equal_toIvEEyEE10hipError_tPvRmT2_T3_T4_T5_mT6_T7_P12ihipStream_tbENKUlT_T0_E_clISt17integral_constantIbLb0EES10_IbLb1EEEEDaSW_SX_EUlSW_E_NS1_11comp_targetILNS1_3genE0ELNS1_11target_archE4294967295ELNS1_3gpuE0ELNS1_3repE0EEENS1_30default_config_static_selectorELNS0_4arch9wavefront6targetE1EEEvT1_
; %bb.0:
	.section	.rodata,"a",@progbits
	.p2align	6, 0x0
	.amdhsa_kernel _ZN7rocprim17ROCPRIM_400000_NS6detail17trampoline_kernelINS0_14default_configENS1_27scan_by_key_config_selectorIiyEEZZNS1_16scan_by_key_implILNS1_25lookback_scan_determinismE0ELb0ES3_N6thrust23THRUST_200600_302600_NS6detail15normal_iteratorINS9_10device_ptrIiEEEENSB_INSC_IyEEEESG_yNS9_4plusIvEENS9_8equal_toIvEEyEE10hipError_tPvRmT2_T3_T4_T5_mT6_T7_P12ihipStream_tbENKUlT_T0_E_clISt17integral_constantIbLb0EES10_IbLb1EEEEDaSW_SX_EUlSW_E_NS1_11comp_targetILNS1_3genE0ELNS1_11target_archE4294967295ELNS1_3gpuE0ELNS1_3repE0EEENS1_30default_config_static_selectorELNS0_4arch9wavefront6targetE1EEEvT1_
		.amdhsa_group_segment_fixed_size 0
		.amdhsa_private_segment_fixed_size 0
		.amdhsa_kernarg_size 136
		.amdhsa_user_sgpr_count 2
		.amdhsa_user_sgpr_dispatch_ptr 0
		.amdhsa_user_sgpr_queue_ptr 0
		.amdhsa_user_sgpr_kernarg_segment_ptr 1
		.amdhsa_user_sgpr_dispatch_id 0
		.amdhsa_user_sgpr_kernarg_preload_length 0
		.amdhsa_user_sgpr_kernarg_preload_offset 0
		.amdhsa_user_sgpr_private_segment_size 0
		.amdhsa_uses_dynamic_stack 0
		.amdhsa_enable_private_segment 0
		.amdhsa_system_sgpr_workgroup_id_x 1
		.amdhsa_system_sgpr_workgroup_id_y 0
		.amdhsa_system_sgpr_workgroup_id_z 0
		.amdhsa_system_sgpr_workgroup_info 0
		.amdhsa_system_vgpr_workitem_id 0
		.amdhsa_next_free_vgpr 1
		.amdhsa_next_free_sgpr 0
		.amdhsa_accum_offset 4
		.amdhsa_reserve_vcc 0
		.amdhsa_float_round_mode_32 0
		.amdhsa_float_round_mode_16_64 0
		.amdhsa_float_denorm_mode_32 3
		.amdhsa_float_denorm_mode_16_64 3
		.amdhsa_dx10_clamp 1
		.amdhsa_ieee_mode 1
		.amdhsa_fp16_overflow 0
		.amdhsa_tg_split 0
		.amdhsa_exception_fp_ieee_invalid_op 0
		.amdhsa_exception_fp_denorm_src 0
		.amdhsa_exception_fp_ieee_div_zero 0
		.amdhsa_exception_fp_ieee_overflow 0
		.amdhsa_exception_fp_ieee_underflow 0
		.amdhsa_exception_fp_ieee_inexact 0
		.amdhsa_exception_int_div_zero 0
	.end_amdhsa_kernel
	.section	.text._ZN7rocprim17ROCPRIM_400000_NS6detail17trampoline_kernelINS0_14default_configENS1_27scan_by_key_config_selectorIiyEEZZNS1_16scan_by_key_implILNS1_25lookback_scan_determinismE0ELb0ES3_N6thrust23THRUST_200600_302600_NS6detail15normal_iteratorINS9_10device_ptrIiEEEENSB_INSC_IyEEEESG_yNS9_4plusIvEENS9_8equal_toIvEEyEE10hipError_tPvRmT2_T3_T4_T5_mT6_T7_P12ihipStream_tbENKUlT_T0_E_clISt17integral_constantIbLb0EES10_IbLb1EEEEDaSW_SX_EUlSW_E_NS1_11comp_targetILNS1_3genE0ELNS1_11target_archE4294967295ELNS1_3gpuE0ELNS1_3repE0EEENS1_30default_config_static_selectorELNS0_4arch9wavefront6targetE1EEEvT1_,"axG",@progbits,_ZN7rocprim17ROCPRIM_400000_NS6detail17trampoline_kernelINS0_14default_configENS1_27scan_by_key_config_selectorIiyEEZZNS1_16scan_by_key_implILNS1_25lookback_scan_determinismE0ELb0ES3_N6thrust23THRUST_200600_302600_NS6detail15normal_iteratorINS9_10device_ptrIiEEEENSB_INSC_IyEEEESG_yNS9_4plusIvEENS9_8equal_toIvEEyEE10hipError_tPvRmT2_T3_T4_T5_mT6_T7_P12ihipStream_tbENKUlT_T0_E_clISt17integral_constantIbLb0EES10_IbLb1EEEEDaSW_SX_EUlSW_E_NS1_11comp_targetILNS1_3genE0ELNS1_11target_archE4294967295ELNS1_3gpuE0ELNS1_3repE0EEENS1_30default_config_static_selectorELNS0_4arch9wavefront6targetE1EEEvT1_,comdat
.Lfunc_end1209:
	.size	_ZN7rocprim17ROCPRIM_400000_NS6detail17trampoline_kernelINS0_14default_configENS1_27scan_by_key_config_selectorIiyEEZZNS1_16scan_by_key_implILNS1_25lookback_scan_determinismE0ELb0ES3_N6thrust23THRUST_200600_302600_NS6detail15normal_iteratorINS9_10device_ptrIiEEEENSB_INSC_IyEEEESG_yNS9_4plusIvEENS9_8equal_toIvEEyEE10hipError_tPvRmT2_T3_T4_T5_mT6_T7_P12ihipStream_tbENKUlT_T0_E_clISt17integral_constantIbLb0EES10_IbLb1EEEEDaSW_SX_EUlSW_E_NS1_11comp_targetILNS1_3genE0ELNS1_11target_archE4294967295ELNS1_3gpuE0ELNS1_3repE0EEENS1_30default_config_static_selectorELNS0_4arch9wavefront6targetE1EEEvT1_, .Lfunc_end1209-_ZN7rocprim17ROCPRIM_400000_NS6detail17trampoline_kernelINS0_14default_configENS1_27scan_by_key_config_selectorIiyEEZZNS1_16scan_by_key_implILNS1_25lookback_scan_determinismE0ELb0ES3_N6thrust23THRUST_200600_302600_NS6detail15normal_iteratorINS9_10device_ptrIiEEEENSB_INSC_IyEEEESG_yNS9_4plusIvEENS9_8equal_toIvEEyEE10hipError_tPvRmT2_T3_T4_T5_mT6_T7_P12ihipStream_tbENKUlT_T0_E_clISt17integral_constantIbLb0EES10_IbLb1EEEEDaSW_SX_EUlSW_E_NS1_11comp_targetILNS1_3genE0ELNS1_11target_archE4294967295ELNS1_3gpuE0ELNS1_3repE0EEENS1_30default_config_static_selectorELNS0_4arch9wavefront6targetE1EEEvT1_
                                        ; -- End function
	.section	.AMDGPU.csdata,"",@progbits
; Kernel info:
; codeLenInByte = 0
; NumSgprs: 6
; NumVgprs: 0
; NumAgprs: 0
; TotalNumVgprs: 0
; ScratchSize: 0
; MemoryBound: 0
; FloatMode: 240
; IeeeMode: 1
; LDSByteSize: 0 bytes/workgroup (compile time only)
; SGPRBlocks: 0
; VGPRBlocks: 0
; NumSGPRsForWavesPerEU: 6
; NumVGPRsForWavesPerEU: 1
; AccumOffset: 4
; Occupancy: 8
; WaveLimiterHint : 0
; COMPUTE_PGM_RSRC2:SCRATCH_EN: 0
; COMPUTE_PGM_RSRC2:USER_SGPR: 2
; COMPUTE_PGM_RSRC2:TRAP_HANDLER: 0
; COMPUTE_PGM_RSRC2:TGID_X_EN: 1
; COMPUTE_PGM_RSRC2:TGID_Y_EN: 0
; COMPUTE_PGM_RSRC2:TGID_Z_EN: 0
; COMPUTE_PGM_RSRC2:TIDIG_COMP_CNT: 0
; COMPUTE_PGM_RSRC3_GFX90A:ACCUM_OFFSET: 0
; COMPUTE_PGM_RSRC3_GFX90A:TG_SPLIT: 0
	.section	.text._ZN7rocprim17ROCPRIM_400000_NS6detail17trampoline_kernelINS0_14default_configENS1_27scan_by_key_config_selectorIiyEEZZNS1_16scan_by_key_implILNS1_25lookback_scan_determinismE0ELb0ES3_N6thrust23THRUST_200600_302600_NS6detail15normal_iteratorINS9_10device_ptrIiEEEENSB_INSC_IyEEEESG_yNS9_4plusIvEENS9_8equal_toIvEEyEE10hipError_tPvRmT2_T3_T4_T5_mT6_T7_P12ihipStream_tbENKUlT_T0_E_clISt17integral_constantIbLb0EES10_IbLb1EEEEDaSW_SX_EUlSW_E_NS1_11comp_targetILNS1_3genE10ELNS1_11target_archE1201ELNS1_3gpuE5ELNS1_3repE0EEENS1_30default_config_static_selectorELNS0_4arch9wavefront6targetE1EEEvT1_,"axG",@progbits,_ZN7rocprim17ROCPRIM_400000_NS6detail17trampoline_kernelINS0_14default_configENS1_27scan_by_key_config_selectorIiyEEZZNS1_16scan_by_key_implILNS1_25lookback_scan_determinismE0ELb0ES3_N6thrust23THRUST_200600_302600_NS6detail15normal_iteratorINS9_10device_ptrIiEEEENSB_INSC_IyEEEESG_yNS9_4plusIvEENS9_8equal_toIvEEyEE10hipError_tPvRmT2_T3_T4_T5_mT6_T7_P12ihipStream_tbENKUlT_T0_E_clISt17integral_constantIbLb0EES10_IbLb1EEEEDaSW_SX_EUlSW_E_NS1_11comp_targetILNS1_3genE10ELNS1_11target_archE1201ELNS1_3gpuE5ELNS1_3repE0EEENS1_30default_config_static_selectorELNS0_4arch9wavefront6targetE1EEEvT1_,comdat
	.protected	_ZN7rocprim17ROCPRIM_400000_NS6detail17trampoline_kernelINS0_14default_configENS1_27scan_by_key_config_selectorIiyEEZZNS1_16scan_by_key_implILNS1_25lookback_scan_determinismE0ELb0ES3_N6thrust23THRUST_200600_302600_NS6detail15normal_iteratorINS9_10device_ptrIiEEEENSB_INSC_IyEEEESG_yNS9_4plusIvEENS9_8equal_toIvEEyEE10hipError_tPvRmT2_T3_T4_T5_mT6_T7_P12ihipStream_tbENKUlT_T0_E_clISt17integral_constantIbLb0EES10_IbLb1EEEEDaSW_SX_EUlSW_E_NS1_11comp_targetILNS1_3genE10ELNS1_11target_archE1201ELNS1_3gpuE5ELNS1_3repE0EEENS1_30default_config_static_selectorELNS0_4arch9wavefront6targetE1EEEvT1_ ; -- Begin function _ZN7rocprim17ROCPRIM_400000_NS6detail17trampoline_kernelINS0_14default_configENS1_27scan_by_key_config_selectorIiyEEZZNS1_16scan_by_key_implILNS1_25lookback_scan_determinismE0ELb0ES3_N6thrust23THRUST_200600_302600_NS6detail15normal_iteratorINS9_10device_ptrIiEEEENSB_INSC_IyEEEESG_yNS9_4plusIvEENS9_8equal_toIvEEyEE10hipError_tPvRmT2_T3_T4_T5_mT6_T7_P12ihipStream_tbENKUlT_T0_E_clISt17integral_constantIbLb0EES10_IbLb1EEEEDaSW_SX_EUlSW_E_NS1_11comp_targetILNS1_3genE10ELNS1_11target_archE1201ELNS1_3gpuE5ELNS1_3repE0EEENS1_30default_config_static_selectorELNS0_4arch9wavefront6targetE1EEEvT1_
	.globl	_ZN7rocprim17ROCPRIM_400000_NS6detail17trampoline_kernelINS0_14default_configENS1_27scan_by_key_config_selectorIiyEEZZNS1_16scan_by_key_implILNS1_25lookback_scan_determinismE0ELb0ES3_N6thrust23THRUST_200600_302600_NS6detail15normal_iteratorINS9_10device_ptrIiEEEENSB_INSC_IyEEEESG_yNS9_4plusIvEENS9_8equal_toIvEEyEE10hipError_tPvRmT2_T3_T4_T5_mT6_T7_P12ihipStream_tbENKUlT_T0_E_clISt17integral_constantIbLb0EES10_IbLb1EEEEDaSW_SX_EUlSW_E_NS1_11comp_targetILNS1_3genE10ELNS1_11target_archE1201ELNS1_3gpuE5ELNS1_3repE0EEENS1_30default_config_static_selectorELNS0_4arch9wavefront6targetE1EEEvT1_
	.p2align	8
	.type	_ZN7rocprim17ROCPRIM_400000_NS6detail17trampoline_kernelINS0_14default_configENS1_27scan_by_key_config_selectorIiyEEZZNS1_16scan_by_key_implILNS1_25lookback_scan_determinismE0ELb0ES3_N6thrust23THRUST_200600_302600_NS6detail15normal_iteratorINS9_10device_ptrIiEEEENSB_INSC_IyEEEESG_yNS9_4plusIvEENS9_8equal_toIvEEyEE10hipError_tPvRmT2_T3_T4_T5_mT6_T7_P12ihipStream_tbENKUlT_T0_E_clISt17integral_constantIbLb0EES10_IbLb1EEEEDaSW_SX_EUlSW_E_NS1_11comp_targetILNS1_3genE10ELNS1_11target_archE1201ELNS1_3gpuE5ELNS1_3repE0EEENS1_30default_config_static_selectorELNS0_4arch9wavefront6targetE1EEEvT1_,@function
_ZN7rocprim17ROCPRIM_400000_NS6detail17trampoline_kernelINS0_14default_configENS1_27scan_by_key_config_selectorIiyEEZZNS1_16scan_by_key_implILNS1_25lookback_scan_determinismE0ELb0ES3_N6thrust23THRUST_200600_302600_NS6detail15normal_iteratorINS9_10device_ptrIiEEEENSB_INSC_IyEEEESG_yNS9_4plusIvEENS9_8equal_toIvEEyEE10hipError_tPvRmT2_T3_T4_T5_mT6_T7_P12ihipStream_tbENKUlT_T0_E_clISt17integral_constantIbLb0EES10_IbLb1EEEEDaSW_SX_EUlSW_E_NS1_11comp_targetILNS1_3genE10ELNS1_11target_archE1201ELNS1_3gpuE5ELNS1_3repE0EEENS1_30default_config_static_selectorELNS0_4arch9wavefront6targetE1EEEvT1_: ; @_ZN7rocprim17ROCPRIM_400000_NS6detail17trampoline_kernelINS0_14default_configENS1_27scan_by_key_config_selectorIiyEEZZNS1_16scan_by_key_implILNS1_25lookback_scan_determinismE0ELb0ES3_N6thrust23THRUST_200600_302600_NS6detail15normal_iteratorINS9_10device_ptrIiEEEENSB_INSC_IyEEEESG_yNS9_4plusIvEENS9_8equal_toIvEEyEE10hipError_tPvRmT2_T3_T4_T5_mT6_T7_P12ihipStream_tbENKUlT_T0_E_clISt17integral_constantIbLb0EES10_IbLb1EEEEDaSW_SX_EUlSW_E_NS1_11comp_targetILNS1_3genE10ELNS1_11target_archE1201ELNS1_3gpuE5ELNS1_3repE0EEENS1_30default_config_static_selectorELNS0_4arch9wavefront6targetE1EEEvT1_
; %bb.0:
	.section	.rodata,"a",@progbits
	.p2align	6, 0x0
	.amdhsa_kernel _ZN7rocprim17ROCPRIM_400000_NS6detail17trampoline_kernelINS0_14default_configENS1_27scan_by_key_config_selectorIiyEEZZNS1_16scan_by_key_implILNS1_25lookback_scan_determinismE0ELb0ES3_N6thrust23THRUST_200600_302600_NS6detail15normal_iteratorINS9_10device_ptrIiEEEENSB_INSC_IyEEEESG_yNS9_4plusIvEENS9_8equal_toIvEEyEE10hipError_tPvRmT2_T3_T4_T5_mT6_T7_P12ihipStream_tbENKUlT_T0_E_clISt17integral_constantIbLb0EES10_IbLb1EEEEDaSW_SX_EUlSW_E_NS1_11comp_targetILNS1_3genE10ELNS1_11target_archE1201ELNS1_3gpuE5ELNS1_3repE0EEENS1_30default_config_static_selectorELNS0_4arch9wavefront6targetE1EEEvT1_
		.amdhsa_group_segment_fixed_size 0
		.amdhsa_private_segment_fixed_size 0
		.amdhsa_kernarg_size 136
		.amdhsa_user_sgpr_count 2
		.amdhsa_user_sgpr_dispatch_ptr 0
		.amdhsa_user_sgpr_queue_ptr 0
		.amdhsa_user_sgpr_kernarg_segment_ptr 1
		.amdhsa_user_sgpr_dispatch_id 0
		.amdhsa_user_sgpr_kernarg_preload_length 0
		.amdhsa_user_sgpr_kernarg_preload_offset 0
		.amdhsa_user_sgpr_private_segment_size 0
		.amdhsa_uses_dynamic_stack 0
		.amdhsa_enable_private_segment 0
		.amdhsa_system_sgpr_workgroup_id_x 1
		.amdhsa_system_sgpr_workgroup_id_y 0
		.amdhsa_system_sgpr_workgroup_id_z 0
		.amdhsa_system_sgpr_workgroup_info 0
		.amdhsa_system_vgpr_workitem_id 0
		.amdhsa_next_free_vgpr 1
		.amdhsa_next_free_sgpr 0
		.amdhsa_accum_offset 4
		.amdhsa_reserve_vcc 0
		.amdhsa_float_round_mode_32 0
		.amdhsa_float_round_mode_16_64 0
		.amdhsa_float_denorm_mode_32 3
		.amdhsa_float_denorm_mode_16_64 3
		.amdhsa_dx10_clamp 1
		.amdhsa_ieee_mode 1
		.amdhsa_fp16_overflow 0
		.amdhsa_tg_split 0
		.amdhsa_exception_fp_ieee_invalid_op 0
		.amdhsa_exception_fp_denorm_src 0
		.amdhsa_exception_fp_ieee_div_zero 0
		.amdhsa_exception_fp_ieee_overflow 0
		.amdhsa_exception_fp_ieee_underflow 0
		.amdhsa_exception_fp_ieee_inexact 0
		.amdhsa_exception_int_div_zero 0
	.end_amdhsa_kernel
	.section	.text._ZN7rocprim17ROCPRIM_400000_NS6detail17trampoline_kernelINS0_14default_configENS1_27scan_by_key_config_selectorIiyEEZZNS1_16scan_by_key_implILNS1_25lookback_scan_determinismE0ELb0ES3_N6thrust23THRUST_200600_302600_NS6detail15normal_iteratorINS9_10device_ptrIiEEEENSB_INSC_IyEEEESG_yNS9_4plusIvEENS9_8equal_toIvEEyEE10hipError_tPvRmT2_T3_T4_T5_mT6_T7_P12ihipStream_tbENKUlT_T0_E_clISt17integral_constantIbLb0EES10_IbLb1EEEEDaSW_SX_EUlSW_E_NS1_11comp_targetILNS1_3genE10ELNS1_11target_archE1201ELNS1_3gpuE5ELNS1_3repE0EEENS1_30default_config_static_selectorELNS0_4arch9wavefront6targetE1EEEvT1_,"axG",@progbits,_ZN7rocprim17ROCPRIM_400000_NS6detail17trampoline_kernelINS0_14default_configENS1_27scan_by_key_config_selectorIiyEEZZNS1_16scan_by_key_implILNS1_25lookback_scan_determinismE0ELb0ES3_N6thrust23THRUST_200600_302600_NS6detail15normal_iteratorINS9_10device_ptrIiEEEENSB_INSC_IyEEEESG_yNS9_4plusIvEENS9_8equal_toIvEEyEE10hipError_tPvRmT2_T3_T4_T5_mT6_T7_P12ihipStream_tbENKUlT_T0_E_clISt17integral_constantIbLb0EES10_IbLb1EEEEDaSW_SX_EUlSW_E_NS1_11comp_targetILNS1_3genE10ELNS1_11target_archE1201ELNS1_3gpuE5ELNS1_3repE0EEENS1_30default_config_static_selectorELNS0_4arch9wavefront6targetE1EEEvT1_,comdat
.Lfunc_end1210:
	.size	_ZN7rocprim17ROCPRIM_400000_NS6detail17trampoline_kernelINS0_14default_configENS1_27scan_by_key_config_selectorIiyEEZZNS1_16scan_by_key_implILNS1_25lookback_scan_determinismE0ELb0ES3_N6thrust23THRUST_200600_302600_NS6detail15normal_iteratorINS9_10device_ptrIiEEEENSB_INSC_IyEEEESG_yNS9_4plusIvEENS9_8equal_toIvEEyEE10hipError_tPvRmT2_T3_T4_T5_mT6_T7_P12ihipStream_tbENKUlT_T0_E_clISt17integral_constantIbLb0EES10_IbLb1EEEEDaSW_SX_EUlSW_E_NS1_11comp_targetILNS1_3genE10ELNS1_11target_archE1201ELNS1_3gpuE5ELNS1_3repE0EEENS1_30default_config_static_selectorELNS0_4arch9wavefront6targetE1EEEvT1_, .Lfunc_end1210-_ZN7rocprim17ROCPRIM_400000_NS6detail17trampoline_kernelINS0_14default_configENS1_27scan_by_key_config_selectorIiyEEZZNS1_16scan_by_key_implILNS1_25lookback_scan_determinismE0ELb0ES3_N6thrust23THRUST_200600_302600_NS6detail15normal_iteratorINS9_10device_ptrIiEEEENSB_INSC_IyEEEESG_yNS9_4plusIvEENS9_8equal_toIvEEyEE10hipError_tPvRmT2_T3_T4_T5_mT6_T7_P12ihipStream_tbENKUlT_T0_E_clISt17integral_constantIbLb0EES10_IbLb1EEEEDaSW_SX_EUlSW_E_NS1_11comp_targetILNS1_3genE10ELNS1_11target_archE1201ELNS1_3gpuE5ELNS1_3repE0EEENS1_30default_config_static_selectorELNS0_4arch9wavefront6targetE1EEEvT1_
                                        ; -- End function
	.section	.AMDGPU.csdata,"",@progbits
; Kernel info:
; codeLenInByte = 0
; NumSgprs: 6
; NumVgprs: 0
; NumAgprs: 0
; TotalNumVgprs: 0
; ScratchSize: 0
; MemoryBound: 0
; FloatMode: 240
; IeeeMode: 1
; LDSByteSize: 0 bytes/workgroup (compile time only)
; SGPRBlocks: 0
; VGPRBlocks: 0
; NumSGPRsForWavesPerEU: 6
; NumVGPRsForWavesPerEU: 1
; AccumOffset: 4
; Occupancy: 8
; WaveLimiterHint : 0
; COMPUTE_PGM_RSRC2:SCRATCH_EN: 0
; COMPUTE_PGM_RSRC2:USER_SGPR: 2
; COMPUTE_PGM_RSRC2:TRAP_HANDLER: 0
; COMPUTE_PGM_RSRC2:TGID_X_EN: 1
; COMPUTE_PGM_RSRC2:TGID_Y_EN: 0
; COMPUTE_PGM_RSRC2:TGID_Z_EN: 0
; COMPUTE_PGM_RSRC2:TIDIG_COMP_CNT: 0
; COMPUTE_PGM_RSRC3_GFX90A:ACCUM_OFFSET: 0
; COMPUTE_PGM_RSRC3_GFX90A:TG_SPLIT: 0
	.section	.text._ZN7rocprim17ROCPRIM_400000_NS6detail17trampoline_kernelINS0_14default_configENS1_27scan_by_key_config_selectorIiyEEZZNS1_16scan_by_key_implILNS1_25lookback_scan_determinismE0ELb0ES3_N6thrust23THRUST_200600_302600_NS6detail15normal_iteratorINS9_10device_ptrIiEEEENSB_INSC_IyEEEESG_yNS9_4plusIvEENS9_8equal_toIvEEyEE10hipError_tPvRmT2_T3_T4_T5_mT6_T7_P12ihipStream_tbENKUlT_T0_E_clISt17integral_constantIbLb0EES10_IbLb1EEEEDaSW_SX_EUlSW_E_NS1_11comp_targetILNS1_3genE5ELNS1_11target_archE942ELNS1_3gpuE9ELNS1_3repE0EEENS1_30default_config_static_selectorELNS0_4arch9wavefront6targetE1EEEvT1_,"axG",@progbits,_ZN7rocprim17ROCPRIM_400000_NS6detail17trampoline_kernelINS0_14default_configENS1_27scan_by_key_config_selectorIiyEEZZNS1_16scan_by_key_implILNS1_25lookback_scan_determinismE0ELb0ES3_N6thrust23THRUST_200600_302600_NS6detail15normal_iteratorINS9_10device_ptrIiEEEENSB_INSC_IyEEEESG_yNS9_4plusIvEENS9_8equal_toIvEEyEE10hipError_tPvRmT2_T3_T4_T5_mT6_T7_P12ihipStream_tbENKUlT_T0_E_clISt17integral_constantIbLb0EES10_IbLb1EEEEDaSW_SX_EUlSW_E_NS1_11comp_targetILNS1_3genE5ELNS1_11target_archE942ELNS1_3gpuE9ELNS1_3repE0EEENS1_30default_config_static_selectorELNS0_4arch9wavefront6targetE1EEEvT1_,comdat
	.protected	_ZN7rocprim17ROCPRIM_400000_NS6detail17trampoline_kernelINS0_14default_configENS1_27scan_by_key_config_selectorIiyEEZZNS1_16scan_by_key_implILNS1_25lookback_scan_determinismE0ELb0ES3_N6thrust23THRUST_200600_302600_NS6detail15normal_iteratorINS9_10device_ptrIiEEEENSB_INSC_IyEEEESG_yNS9_4plusIvEENS9_8equal_toIvEEyEE10hipError_tPvRmT2_T3_T4_T5_mT6_T7_P12ihipStream_tbENKUlT_T0_E_clISt17integral_constantIbLb0EES10_IbLb1EEEEDaSW_SX_EUlSW_E_NS1_11comp_targetILNS1_3genE5ELNS1_11target_archE942ELNS1_3gpuE9ELNS1_3repE0EEENS1_30default_config_static_selectorELNS0_4arch9wavefront6targetE1EEEvT1_ ; -- Begin function _ZN7rocprim17ROCPRIM_400000_NS6detail17trampoline_kernelINS0_14default_configENS1_27scan_by_key_config_selectorIiyEEZZNS1_16scan_by_key_implILNS1_25lookback_scan_determinismE0ELb0ES3_N6thrust23THRUST_200600_302600_NS6detail15normal_iteratorINS9_10device_ptrIiEEEENSB_INSC_IyEEEESG_yNS9_4plusIvEENS9_8equal_toIvEEyEE10hipError_tPvRmT2_T3_T4_T5_mT6_T7_P12ihipStream_tbENKUlT_T0_E_clISt17integral_constantIbLb0EES10_IbLb1EEEEDaSW_SX_EUlSW_E_NS1_11comp_targetILNS1_3genE5ELNS1_11target_archE942ELNS1_3gpuE9ELNS1_3repE0EEENS1_30default_config_static_selectorELNS0_4arch9wavefront6targetE1EEEvT1_
	.globl	_ZN7rocprim17ROCPRIM_400000_NS6detail17trampoline_kernelINS0_14default_configENS1_27scan_by_key_config_selectorIiyEEZZNS1_16scan_by_key_implILNS1_25lookback_scan_determinismE0ELb0ES3_N6thrust23THRUST_200600_302600_NS6detail15normal_iteratorINS9_10device_ptrIiEEEENSB_INSC_IyEEEESG_yNS9_4plusIvEENS9_8equal_toIvEEyEE10hipError_tPvRmT2_T3_T4_T5_mT6_T7_P12ihipStream_tbENKUlT_T0_E_clISt17integral_constantIbLb0EES10_IbLb1EEEEDaSW_SX_EUlSW_E_NS1_11comp_targetILNS1_3genE5ELNS1_11target_archE942ELNS1_3gpuE9ELNS1_3repE0EEENS1_30default_config_static_selectorELNS0_4arch9wavefront6targetE1EEEvT1_
	.p2align	8
	.type	_ZN7rocprim17ROCPRIM_400000_NS6detail17trampoline_kernelINS0_14default_configENS1_27scan_by_key_config_selectorIiyEEZZNS1_16scan_by_key_implILNS1_25lookback_scan_determinismE0ELb0ES3_N6thrust23THRUST_200600_302600_NS6detail15normal_iteratorINS9_10device_ptrIiEEEENSB_INSC_IyEEEESG_yNS9_4plusIvEENS9_8equal_toIvEEyEE10hipError_tPvRmT2_T3_T4_T5_mT6_T7_P12ihipStream_tbENKUlT_T0_E_clISt17integral_constantIbLb0EES10_IbLb1EEEEDaSW_SX_EUlSW_E_NS1_11comp_targetILNS1_3genE5ELNS1_11target_archE942ELNS1_3gpuE9ELNS1_3repE0EEENS1_30default_config_static_selectorELNS0_4arch9wavefront6targetE1EEEvT1_,@function
_ZN7rocprim17ROCPRIM_400000_NS6detail17trampoline_kernelINS0_14default_configENS1_27scan_by_key_config_selectorIiyEEZZNS1_16scan_by_key_implILNS1_25lookback_scan_determinismE0ELb0ES3_N6thrust23THRUST_200600_302600_NS6detail15normal_iteratorINS9_10device_ptrIiEEEENSB_INSC_IyEEEESG_yNS9_4plusIvEENS9_8equal_toIvEEyEE10hipError_tPvRmT2_T3_T4_T5_mT6_T7_P12ihipStream_tbENKUlT_T0_E_clISt17integral_constantIbLb0EES10_IbLb1EEEEDaSW_SX_EUlSW_E_NS1_11comp_targetILNS1_3genE5ELNS1_11target_archE942ELNS1_3gpuE9ELNS1_3repE0EEENS1_30default_config_static_selectorELNS0_4arch9wavefront6targetE1EEEvT1_: ; @_ZN7rocprim17ROCPRIM_400000_NS6detail17trampoline_kernelINS0_14default_configENS1_27scan_by_key_config_selectorIiyEEZZNS1_16scan_by_key_implILNS1_25lookback_scan_determinismE0ELb0ES3_N6thrust23THRUST_200600_302600_NS6detail15normal_iteratorINS9_10device_ptrIiEEEENSB_INSC_IyEEEESG_yNS9_4plusIvEENS9_8equal_toIvEEyEE10hipError_tPvRmT2_T3_T4_T5_mT6_T7_P12ihipStream_tbENKUlT_T0_E_clISt17integral_constantIbLb0EES10_IbLb1EEEEDaSW_SX_EUlSW_E_NS1_11comp_targetILNS1_3genE5ELNS1_11target_archE942ELNS1_3gpuE9ELNS1_3repE0EEENS1_30default_config_static_selectorELNS0_4arch9wavefront6targetE1EEEvT1_
; %bb.0:
	s_load_dwordx8 s[4:11], s[0:1], 0x30
                                        ; implicit-def: $vgpr131 : SGPR spill to VGPR lane
	s_load_dwordx2 s[14:15], s[0:1], 0x50
	v_cmp_eq_u32_e64 s[68:69], 0, v0
	s_waitcnt lgkmcnt(0)
	v_writelane_b32 v131, s4, 0
	s_nop 1
	v_writelane_b32 v131, s5, 1
	v_writelane_b32 v131, s6, 2
	;; [unrolled: 1-line block ×7, first 2 shown]
	v_cmp_ne_u32_e64 s[4:5], 0, v0
	s_and_saveexec_b64 s[2:3], s[68:69]
	s_cbranch_execz .LBB1211_4
; %bb.1:
	s_mov_b64 s[8:9], exec
	v_mbcnt_lo_u32_b32 v1, s8, 0
	v_mbcnt_hi_u32_b32 v1, s9, v1
	v_cmp_eq_u32_e32 vcc, 0, v1
                                        ; implicit-def: $vgpr2
	s_and_saveexec_b64 s[6:7], vcc
	s_cbranch_execz .LBB1211_3
; %bb.2:
	s_load_dwordx2 s[10:11], s[0:1], 0x80
	s_bcnt1_i32_b64 s8, s[8:9]
	v_mov_b32_e32 v2, 0
	v_mov_b32_e32 v3, s8
	s_waitcnt lgkmcnt(0)
	global_atomic_add v2, v2, v3, s[10:11] sc0
.LBB1211_3:
	s_or_b64 exec, exec, s[6:7]
	s_waitcnt vmcnt(0)
	v_readfirstlane_b32 s6, v2
	v_mov_b32_e32 v2, 0
	s_nop 0
	v_add_u32_e32 v1, s6, v1
	ds_write_b32 v2, v1
.LBB1211_4:
	s_or_b64 exec, exec, s[2:3]
	s_load_dwordx8 s[72:79], s[0:1], 0x0
	s_load_dword s2, s[0:1], 0x58
	s_load_dwordx8 s[60:67], s[0:1], 0x60
	v_mov_b32_e32 v1, 0
	s_waitcnt lgkmcnt(0)
	s_barrier
	ds_read_b32 v1, v1
	s_lshl_b64 s[0:1], s[74:75], 2
	s_add_u32 s8, s72, s0
	s_addc_u32 s9, s73, s1
	s_lshl_b64 s[88:89], s[74:75], 3
	s_add_u32 s10, s76, s88
	s_mul_i32 s0, s15, s2
	s_mul_hi_u32 s1, s14, s2
	s_addc_u32 s11, s77, s89
	s_add_i32 s12, s1, s0
	s_waitcnt lgkmcnt(0)
	v_readfirstlane_b32 s92, v1
	s_cmp_lg_u64 s[64:65], 0
	s_mov_b32 s1, 0
	s_mul_i32 s0, s92, 0x1500
	v_writelane_b32 v131, s14, 8
	s_mul_i32 s13, s14, s2
	s_cselect_b64 s[54:55], -1, 0
	s_lshl_b64 s[2:3], s[0:1], 2
	s_add_u32 s52, s8, s2
	s_addc_u32 s53, s9, s3
	s_lshl_b64 s[2:3], s[0:1], 3
	s_add_u32 s50, s10, s2
	s_addc_u32 s51, s11, s3
	s_add_u32 s56, s13, s92
	s_addc_u32 s57, s12, 0
	s_add_u32 s0, s60, -1
	s_addc_u32 s1, s61, -1
	v_mov_b64_e32 v[2:3], s[0:1]
	v_cmp_ge_u64_e64 s[60:61], s[56:57], v[2:3]
	s_mov_b64 s[6:7], 0
	s_mov_b64 s[10:11], -1
	s_and_b64 vcc, exec, s[60:61]
	s_mul_i32 s33, s0, 0xffffeb00
	v_writelane_b32 v131, s15, 9
	s_barrier
	s_barrier
	s_cbranch_vccz .LBB1211_116
; %bb.5:
	v_mov_b64_e32 v[2:3], s[52:53]
	flat_load_dword v2, v[2:3]
	v_readlane_b32 s8, v131, 0
	v_readlane_b32 s14, v131, 6
	s_add_i32 s65, s33, s14
	v_cmp_gt_u32_e64 s[6:7], s65, v0
	v_readlane_b32 s9, v131, 1
	v_readlane_b32 s10, v131, 2
	;; [unrolled: 1-line block ×6, first 2 shown]
	s_waitcnt vmcnt(0) lgkmcnt(0)
	v_mov_b32_e32 v4, v2
	s_and_saveexec_b64 s[0:1], s[6:7]
	s_cbranch_execz .LBB1211_7
; %bb.6:
	v_lshlrev_b32_e32 v4, 2, v0
	v_mov_b32_e32 v5, 0
	v_lshl_add_u64 v[4:5], s[52:53], 0, v[4:5]
	flat_load_dword v4, v[4:5]
.LBB1211_7:
	s_or_b64 exec, exec, s[0:1]
	v_or_b32_e32 v1, 0x100, v0
	v_cmp_gt_u32_e64 s[8:9], s65, v1
	v_mov_b32_e32 v5, v2
	s_and_saveexec_b64 s[0:1], s[8:9]
	s_cbranch_execz .LBB1211_9
; %bb.8:
	v_lshlrev_b32_e32 v6, 2, v0
	v_mov_b32_e32 v7, 0
	v_lshl_add_u64 v[6:7], s[52:53], 0, v[6:7]
	flat_load_dword v5, v[6:7] offset:1024
.LBB1211_9:
	s_or_b64 exec, exec, s[0:1]
	v_or_b32_e32 v1, 0x200, v0
	v_cmp_gt_u32_e64 s[10:11], s65, v1
	v_mov_b32_e32 v6, v2
	s_and_saveexec_b64 s[0:1], s[10:11]
	s_cbranch_execz .LBB1211_11
; %bb.10:
	v_lshlrev_b32_e32 v6, 2, v0
	v_mov_b32_e32 v7, 0
	v_lshl_add_u64 v[6:7], s[52:53], 0, v[6:7]
	flat_load_dword v6, v[6:7] offset:2048
.LBB1211_11:
	;; [unrolled: 12-line block ×3, first 2 shown]
	s_or_b64 exec, exec, s[0:1]
	v_or_b32_e32 v18, 0x400, v0
	v_cmp_gt_u32_e64 s[14:15], s65, v18
	v_mov_b32_e32 v8, v2
	s_and_saveexec_b64 s[0:1], s[14:15]
	s_cbranch_execz .LBB1211_15
; %bb.14:
	v_lshlrev_b32_e32 v8, 2, v18
	v_mov_b32_e32 v9, 0
	v_lshl_add_u64 v[8:9], s[52:53], 0, v[8:9]
	flat_load_dword v8, v[8:9]
.LBB1211_15:
	s_or_b64 exec, exec, s[0:1]
	v_or_b32_e32 v22, 0x500, v0
	v_cmp_gt_u32_e64 s[16:17], s65, v22
	v_mov_b32_e32 v9, v2
	s_and_saveexec_b64 s[0:1], s[16:17]
	s_cbranch_execz .LBB1211_17
; %bb.16:
	v_lshlrev_b32_e32 v10, 2, v22
	v_mov_b32_e32 v11, 0
	v_lshl_add_u64 v[10:11], s[52:53], 0, v[10:11]
	flat_load_dword v9, v[10:11]
.LBB1211_17:
	;; [unrolled: 12-line block ×16, first 2 shown]
	s_or_b64 exec, exec, s[0:1]
	v_or_b32_e32 v65, 0x1400, v0
	v_cmp_gt_u32_e64 s[48:49], s65, v65
	v_mov_b32_e32 v3, 0
	s_and_saveexec_b64 s[0:1], s[48:49]
	s_cbranch_execz .LBB1211_47
; %bb.46:
	v_lshlrev_b32_e32 v2, 2, v65
	v_lshl_add_u64 v[2:3], s[52:53], 0, v[2:3]
	flat_load_dword v2, v[2:3]
.LBB1211_47:
	s_or_b64 exec, exec, s[0:1]
	v_lshlrev_b32_e32 v3, 2, v0
	s_movk_i32 s0, 0x50
	s_waitcnt vmcnt(0) lgkmcnt(0)
	ds_write2st64_b32 v3, v4, v5 offset1:4
	ds_write2st64_b32 v3, v6, v7 offset0:8 offset1:12
	ds_write2st64_b32 v3, v8, v9 offset0:16 offset1:20
	;; [unrolled: 1-line block ×9, first 2 shown]
	ds_write_b32 v3, v2 offset:20480
	v_mad_u32_u24 v2, v0, s0, v3
	s_waitcnt lgkmcnt(0)
	s_barrier
	ds_read2_b32 v[40:41], v2 offset0:7 offset1:8
	ds_read2_b32 v[44:45], v2 offset0:5 offset1:6
	ds_read2_b32 v[28:29], v2 offset0:2 offset1:3
	ds_read2_b32 v[36:37], v2 offset1:1
	ds_read2_b32 v[32:33], v2 offset0:4 offset1:9
	ds_read2_b32 v[8:9], v2 offset0:15 offset1:16
	ds_read_b32 v64, v2 offset:56
	ds_read2_b32 v[20:21], v2 offset0:12 offset1:13
	ds_read2_b32 v[24:25], v2 offset0:10 offset1:11
	;; [unrolled: 1-line block ×4, first 2 shown]
	s_cmp_eq_u64 s[56:57], 0
	s_mov_b64 s[0:1], s[52:53]
	s_cbranch_scc1 .LBB1211_51
; %bb.48:
	s_andn2_b64 vcc, exec, s[54:55]
	s_cbranch_vccnz .LBB1211_291
; %bb.49:
	s_lshl_b64 s[0:1], s[56:57], 2
	s_add_u32 s0, s66, s0
	s_addc_u32 s1, s67, s1
	s_add_u32 s0, s0, -4
	s_addc_u32 s1, s1, -1
	s_cbranch_execnz .LBB1211_51
.LBB1211_50:
	s_add_u32 s0, s52, -4
	s_addc_u32 s1, s53, -1
.LBB1211_51:
	v_mov_b64_e32 v[6:7], s[0:1]
	flat_load_dword v68, v[6:7]
	s_movk_i32 s0, 0xffb0
	v_mad_i32_i24 v66, v0, s0, v2
	s_waitcnt lgkmcnt(0)
	ds_write_b32 v66, v5 offset:21504
	s_waitcnt lgkmcnt(0)
	s_barrier
	s_and_saveexec_b64 s[0:1], s[4:5]
	s_cbranch_execz .LBB1211_53
; %bb.52:
	s_waitcnt vmcnt(0)
	ds_read_b32 v68, v66 offset:21500
.LBB1211_53:
	s_or_b64 exec, exec, s[0:1]
	v_mov_b32_e32 v7, 0
	s_waitcnt lgkmcnt(0)
	s_barrier
	s_waitcnt lgkmcnt(0)
                                        ; implicit-def: $vgpr2_vgpr3
	s_and_saveexec_b64 s[0:1], s[6:7]
	s_cbranch_execnz .LBB1211_271
; %bb.54:
	s_or_b64 exec, exec, s[0:1]
                                        ; implicit-def: $vgpr6_vgpr7
	s_and_saveexec_b64 s[0:1], s[8:9]
	s_cbranch_execnz .LBB1211_272
.LBB1211_55:
	s_or_b64 exec, exec, s[0:1]
                                        ; implicit-def: $vgpr10_vgpr11
	s_and_saveexec_b64 s[0:1], s[10:11]
	s_cbranch_execnz .LBB1211_273
.LBB1211_56:
	s_or_b64 exec, exec, s[0:1]
                                        ; implicit-def: $vgpr14_vgpr15
	s_and_saveexec_b64 s[0:1], s[12:13]
	s_cbranch_execnz .LBB1211_274
.LBB1211_57:
	s_or_b64 exec, exec, s[0:1]
                                        ; implicit-def: $vgpr16_vgpr17
	s_and_saveexec_b64 s[0:1], s[14:15]
	s_cbranch_execnz .LBB1211_275
.LBB1211_58:
	s_or_b64 exec, exec, s[0:1]
                                        ; implicit-def: $vgpr18_vgpr19
	s_and_saveexec_b64 s[0:1], s[16:17]
	s_cbranch_execnz .LBB1211_276
.LBB1211_59:
	s_or_b64 exec, exec, s[0:1]
                                        ; implicit-def: $vgpr22_vgpr23
	s_and_saveexec_b64 s[0:1], s[18:19]
	s_cbranch_execnz .LBB1211_277
.LBB1211_60:
	s_or_b64 exec, exec, s[0:1]
                                        ; implicit-def: $vgpr26_vgpr27
	s_and_saveexec_b64 s[0:1], s[20:21]
	s_cbranch_execnz .LBB1211_278
.LBB1211_61:
	s_or_b64 exec, exec, s[0:1]
                                        ; implicit-def: $vgpr30_vgpr31
	s_and_saveexec_b64 s[0:1], s[22:23]
	s_cbranch_execnz .LBB1211_279
.LBB1211_62:
	s_or_b64 exec, exec, s[0:1]
                                        ; implicit-def: $vgpr34_vgpr35
	s_and_saveexec_b64 s[0:1], s[24:25]
	s_cbranch_execnz .LBB1211_280
.LBB1211_63:
	s_or_b64 exec, exec, s[0:1]
                                        ; implicit-def: $vgpr38_vgpr39
	s_and_saveexec_b64 s[0:1], s[26:27]
	s_cbranch_execnz .LBB1211_281
.LBB1211_64:
	s_or_b64 exec, exec, s[0:1]
                                        ; implicit-def: $vgpr42_vgpr43
	s_and_saveexec_b64 s[0:1], s[28:29]
	s_cbranch_execnz .LBB1211_282
.LBB1211_65:
	s_or_b64 exec, exec, s[0:1]
                                        ; implicit-def: $vgpr46_vgpr47
	s_and_saveexec_b64 s[0:1], s[30:31]
	s_cbranch_execnz .LBB1211_283
.LBB1211_66:
	s_or_b64 exec, exec, s[0:1]
                                        ; implicit-def: $vgpr48_vgpr49
	s_and_saveexec_b64 s[0:1], s[34:35]
	s_cbranch_execnz .LBB1211_284
.LBB1211_67:
	s_or_b64 exec, exec, s[0:1]
                                        ; implicit-def: $vgpr50_vgpr51
	s_and_saveexec_b64 s[0:1], s[36:37]
	s_cbranch_execnz .LBB1211_285
.LBB1211_68:
	s_or_b64 exec, exec, s[0:1]
                                        ; implicit-def: $vgpr52_vgpr53
	s_and_saveexec_b64 s[0:1], s[38:39]
	s_cbranch_execnz .LBB1211_286
.LBB1211_69:
	s_or_b64 exec, exec, s[0:1]
                                        ; implicit-def: $vgpr54_vgpr55
	s_and_saveexec_b64 s[0:1], s[40:41]
	s_cbranch_execnz .LBB1211_287
.LBB1211_70:
	s_or_b64 exec, exec, s[0:1]
                                        ; implicit-def: $vgpr56_vgpr57
	s_and_saveexec_b64 s[0:1], s[42:43]
	s_cbranch_execnz .LBB1211_288
.LBB1211_71:
	s_or_b64 exec, exec, s[0:1]
                                        ; implicit-def: $vgpr58_vgpr59
	s_and_saveexec_b64 s[0:1], s[44:45]
	s_cbranch_execnz .LBB1211_289
.LBB1211_72:
	s_or_b64 exec, exec, s[0:1]
                                        ; implicit-def: $vgpr60_vgpr61
	s_and_saveexec_b64 s[0:1], s[46:47]
	s_cbranch_execnz .LBB1211_290
.LBB1211_73:
	s_or_b64 exec, exec, s[0:1]
                                        ; implicit-def: $vgpr62_vgpr63
	s_and_saveexec_b64 s[0:1], s[48:49]
	s_cbranch_execz .LBB1211_75
.LBB1211_74:
	v_lshlrev_b32_e32 v62, 3, v65
	v_mov_b32_e32 v63, 0
	v_lshl_add_u64 v[62:63], s[50:51], 0, v[62:63]
	flat_load_dwordx2 v[62:63], v[62:63]
.LBB1211_75:
	s_or_b64 exec, exec, s[0:1]
	v_lshl_add_u32 v69, v0, 2, v66
	v_mul_u32_u24_e32 v65, 21, v0
	s_waitcnt vmcnt(0) lgkmcnt(0)
	ds_write2st64_b64 v69, v[2:3], v[6:7] offset1:4
	ds_write2st64_b64 v69, v[10:11], v[14:15] offset0:8 offset1:12
	ds_write2st64_b64 v69, v[16:17], v[18:19] offset0:16 offset1:20
	;; [unrolled: 1-line block ×9, first 2 shown]
	ds_write_b64 v69, v[62:63] offset:40960
	v_mov_b64_e32 v[10:11], 0
	v_cmp_gt_u32_e32 vcc, s65, v65
	s_mov_b64 s[6:7], 0
	s_mov_b64 s[10:11], 0
	s_mov_b32 s64, 0
	v_mov_b32_e32 v128, 0
	v_mov_b32_e32 v122, 0
	;; [unrolled: 1-line block ×5, first 2 shown]
	v_mov_b64_e32 v[70:71], v[10:11]
	v_mov_b64_e32 v[78:79], v[10:11]
	v_mov_b64_e32 v[62:63], v[10:11]
	v_mov_b64_e32 v[74:75], v[10:11]
	v_mov_b64_e32 v[54:55], v[10:11]
	v_mov_b64_e32 v[66:67], v[10:11]
	v_mov_b64_e32 v[46:47], v[10:11]
	v_mov_b64_e32 v[58:59], v[10:11]
	v_mov_b32_e32 v124, 0
	v_mov_b64_e32 v[38:39], v[10:11]
	v_mov_b64_e32 v[50:51], v[10:11]
	;; [unrolled: 1-line block ×5, first 2 shown]
	v_mov_b32_e32 v123, 0
	v_mov_b64_e32 v[34:35], v[10:11]
	v_mov_b64_e32 v[18:19], v[10:11]
	;; [unrolled: 1-line block ×5, first 2 shown]
	v_mov_b32_e32 v1, 0
	v_mov_b64_e32 v[2:3], v[10:11]
	s_waitcnt lgkmcnt(0)
	s_barrier
	s_waitcnt lgkmcnt(0)
                                        ; implicit-def: $sgpr0_sgpr1
                                        ; implicit-def: $vgpr83
                                        ; implicit-def: $vgpr82
                                        ; implicit-def: $vgpr84
                                        ; implicit-def: $vgpr85
	s_and_saveexec_b64 s[12:13], vcc
	s_cbranch_execz .LBB1211_115
; %bb.76:
	s_movk_i32 s0, 0xa0
	v_mad_u32_u24 v2, v0, s0, v69
	ds_read_b64 v[2:3], v2
	v_cmp_ne_u32_e32 vcc, v68, v36
	v_add_u32_e32 v6, 1, v65
	v_mov_b64_e32 v[10:11], 0
	v_cndmask_b32_e64 v1, 0, 1, vcc
	v_cmp_gt_u32_e32 vcc, s65, v6
	s_mov_b64 s[18:19], 0
	v_mov_b32_e32 v128, 0
	v_mov_b32_e32 v122, 0
	;; [unrolled: 1-line block ×5, first 2 shown]
	v_mov_b64_e32 v[70:71], v[10:11]
	v_mov_b64_e32 v[78:79], v[10:11]
	;; [unrolled: 1-line block ×8, first 2 shown]
	v_mov_b32_e32 v124, 0
	v_mov_b64_e32 v[38:39], v[10:11]
	v_mov_b64_e32 v[50:51], v[10:11]
	v_mov_b64_e32 v[30:31], v[10:11]
	v_mov_b64_e32 v[42:43], v[10:11]
	v_mov_b64_e32 v[22:23], v[10:11]
	v_mov_b32_e32 v123, 0
	v_mov_b64_e32 v[34:35], v[10:11]
	v_mov_b64_e32 v[18:19], v[10:11]
	;; [unrolled: 1-line block ×5, first 2 shown]
                                        ; implicit-def: $sgpr0_sgpr1
                                        ; implicit-def: $vgpr83
                                        ; implicit-def: $vgpr82
                                        ; implicit-def: $vgpr84
                                        ; implicit-def: $vgpr85
	s_and_saveexec_b64 s[14:15], vcc
	s_cbranch_execz .LBB1211_114
; %bb.77:
	v_mul_u32_u24_e32 v6, 0xa0, v0
	v_add_u32_e32 v48, v69, v6
	ds_read2_b64 v[14:17], v48 offset0:1 offset1:2
	v_cmp_ne_u32_e64 s[0:1], v36, v37
	v_add_u32_e32 v6, 2, v65
	v_mov_b64_e32 v[10:11], 0
	v_cmp_ne_u32_e32 vcc, v28, v29
	v_cmp_ne_u32_e64 s[6:7], v29, v32
	v_cmp_ne_u32_e64 s[8:9], v37, v28
	v_cndmask_b32_e64 v128, 0, 1, s[0:1]
	v_cmp_gt_u32_e64 s[0:1], s65, v6
	s_mov_b64 s[20:21], 0
	v_mov_b32_e32 v127, 0
	v_mov_b32_e32 v122, 0
	v_mov_b32_e32 v126, 0
	v_mov_b32_e32 v125, 0
	v_mov_b64_e32 v[70:71], v[10:11]
	v_mov_b64_e32 v[78:79], v[10:11]
	;; [unrolled: 1-line block ×8, first 2 shown]
	v_mov_b32_e32 v124, 0
	v_mov_b64_e32 v[38:39], v[10:11]
	v_mov_b64_e32 v[50:51], v[10:11]
	;; [unrolled: 1-line block ×5, first 2 shown]
	v_mov_b32_e32 v123, 0
	v_mov_b64_e32 v[34:35], v[10:11]
	v_mov_b64_e32 v[18:19], v[10:11]
	;; [unrolled: 1-line block ×4, first 2 shown]
                                        ; implicit-def: $sgpr22_sgpr23
                                        ; implicit-def: $vgpr83
                                        ; implicit-def: $vgpr82
                                        ; implicit-def: $vgpr84
                                        ; implicit-def: $vgpr85
	s_and_saveexec_b64 s[16:17], s[0:1]
	s_cbranch_execz .LBB1211_113
; %bb.78:
	v_cndmask_b32_e64 v6, 0, 1, s[8:9]
	v_cndmask_b32_e64 v7, 0, 1, s[6:7]
	v_lshlrev_b16_e32 v6, 8, v6
	v_lshlrev_b16_e32 v7, 8, v7
	v_cndmask_b32_e64 v10, 0, 1, vcc
	v_or_b32_e32 v6, v128, v6
	v_or_b32_sdwa v7, v10, v7 dst_sel:WORD_1 dst_unused:UNUSED_PAD src0_sel:DWORD src1_sel:DWORD
	v_add_u32_e32 v10, 3, v65
	v_or_b32_sdwa v83, v6, v7 dst_sel:DWORD dst_unused:UNUSED_PAD src0_sel:WORD_0 src1_sel:DWORD
	v_cmp_gt_u32_e32 vcc, s65, v10
	v_mov_b64_e32 v[10:11], 0
	v_and_b32_e32 v128, 0xffff, v83
	s_waitcnt lgkmcnt(0)
	v_mov_b32_e32 v6, v16
	v_mov_b32_e32 v7, v17
	s_mov_b64 s[0:1], 0
	v_mov_b32_e32 v127, 0
	v_mov_b32_e32 v122, 0
	;; [unrolled: 1-line block ×4, first 2 shown]
	v_mov_b64_e32 v[70:71], v[10:11]
	v_mov_b64_e32 v[78:79], v[10:11]
	;; [unrolled: 1-line block ×8, first 2 shown]
	v_mov_b32_e32 v124, 0
	v_mov_b64_e32 v[38:39], v[10:11]
	v_mov_b64_e32 v[50:51], v[10:11]
	;; [unrolled: 1-line block ×5, first 2 shown]
	v_mov_b32_e32 v123, 0
	v_mov_b64_e32 v[34:35], v[10:11]
	v_mov_b64_e32 v[18:19], v[10:11]
	;; [unrolled: 1-line block ×3, first 2 shown]
                                        ; implicit-def: $sgpr6_sgpr7
                                        ; implicit-def: $vgpr82
                                        ; implicit-def: $vgpr84
                                        ; implicit-def: $vgpr85
	s_and_saveexec_b64 s[18:19], vcc
	s_cbranch_execz .LBB1211_112
; %bb.79:
	ds_read2_b64 v[26:29], v48 offset0:3 offset1:4
	v_add_u32_e32 v10, 4, v65
	v_cmp_gt_u32_e32 vcc, s65, v10
	v_mov_b64_e32 v[10:11], 0
	v_and_b32_e32 v128, 0xffffff, v83
	s_mov_b64 s[6:7], 0
	v_mov_b32_e32 v127, 0
	v_mov_b32_e32 v122, 0
	;; [unrolled: 1-line block ×4, first 2 shown]
	v_mov_b64_e32 v[70:71], v[10:11]
	v_mov_b64_e32 v[78:79], v[10:11]
	;; [unrolled: 1-line block ×8, first 2 shown]
	v_mov_b32_e32 v124, 0
	v_mov_b64_e32 v[38:39], v[10:11]
	v_mov_b64_e32 v[50:51], v[10:11]
	v_mov_b64_e32 v[30:31], v[10:11]
	v_mov_b64_e32 v[42:43], v[10:11]
	v_mov_b64_e32 v[22:23], v[10:11]
	v_mov_b32_e32 v123, 0
	v_mov_b64_e32 v[34:35], v[10:11]
	v_mov_b64_e32 v[18:19], v[10:11]
                                        ; implicit-def: $sgpr8_sgpr9
                                        ; implicit-def: $vgpr82
                                        ; implicit-def: $vgpr84
                                        ; implicit-def: $vgpr85
	s_and_saveexec_b64 s[20:21], vcc
	s_cbranch_execz .LBB1211_111
; %bb.80:
	v_add_u32_e32 v10, 5, v65
	v_cmp_gt_u32_e32 vcc, s65, v10
	v_mov_b64_e32 v[10:11], 0
	s_waitcnt lgkmcnt(0)
	v_mov_b32_e32 v18, v28
	v_mov_b32_e32 v19, v29
	;; [unrolled: 1-line block ×6, first 2 shown]
	v_mov_b64_e32 v[70:71], v[10:11]
	v_mov_b64_e32 v[78:79], v[10:11]
	;; [unrolled: 1-line block ×8, first 2 shown]
	v_mov_b32_e32 v124, 0
	v_mov_b64_e32 v[38:39], v[10:11]
	v_mov_b64_e32 v[50:51], v[10:11]
	;; [unrolled: 1-line block ×5, first 2 shown]
	v_mov_b32_e32 v123, 0
	v_mov_b64_e32 v[34:35], v[10:11]
                                        ; implicit-def: $sgpr8_sgpr9
                                        ; implicit-def: $vgpr82
                                        ; implicit-def: $vgpr84
                                        ; implicit-def: $vgpr85
	s_and_saveexec_b64 s[22:23], vcc
	s_cbranch_execz .LBB1211_110
; %bb.81:
	ds_read2_b64 v[34:37], v48 offset0:5 offset1:6
	v_cmp_ne_u32_e32 vcc, v32, v44
	v_add_u32_e32 v10, 6, v65
	s_mov_b64 s[28:29], 0
	v_cndmask_b32_e64 v123, 0, 1, vcc
	v_cmp_gt_u32_e32 vcc, s65, v10
	v_mov_b64_e32 v[10:11], 0
	v_mov_b32_e32 v127, 0
	v_mov_b32_e32 v122, 0
	v_mov_b32_e32 v126, 0
	v_mov_b32_e32 v125, 0
	v_mov_b64_e32 v[70:71], v[10:11]
	v_mov_b64_e32 v[78:79], v[10:11]
	;; [unrolled: 1-line block ×8, first 2 shown]
	v_mov_b32_e32 v124, 0
	v_mov_b64_e32 v[38:39], v[10:11]
	v_mov_b64_e32 v[50:51], v[10:11]
	;; [unrolled: 1-line block ×5, first 2 shown]
                                        ; implicit-def: $sgpr6_sgpr7
                                        ; implicit-def: $vgpr82
                                        ; implicit-def: $vgpr84
                                        ; implicit-def: $vgpr85
	s_and_saveexec_b64 s[24:25], vcc
	s_cbranch_execz .LBB1211_109
; %bb.82:
	v_cmp_ne_u32_e64 s[0:1], v44, v45
	v_add_u32_e32 v10, 7, v65
	s_waitcnt lgkmcnt(0)
	v_mov_b32_e32 v22, v36
	v_cndmask_b32_e64 v127, 0, 1, s[0:1]
	v_cmp_gt_u32_e64 s[0:1], s65, v10
	v_mov_b64_e32 v[10:11], 0
	v_mov_b32_e32 v23, v37
	v_cmp_ne_u32_e32 vcc, v40, v41
	v_cmp_ne_u32_e64 s[6:7], v41, v33
	v_cmp_ne_u32_e64 s[8:9], v45, v40
	s_mov_b64 s[30:31], 0
	v_mov_b32_e32 v126, 0
	v_mov_b32_e32 v122, 0
	v_mov_b32_e32 v125, 0
	v_mov_b64_e32 v[70:71], v[10:11]
	v_mov_b64_e32 v[78:79], v[10:11]
	;; [unrolled: 1-line block ×8, first 2 shown]
	v_mov_b32_e32 v124, 0
	v_mov_b64_e32 v[38:39], v[10:11]
	v_mov_b64_e32 v[50:51], v[10:11]
	;; [unrolled: 1-line block ×4, first 2 shown]
                                        ; implicit-def: $sgpr34_sgpr35
                                        ; implicit-def: $vgpr82
                                        ; implicit-def: $vgpr84
                                        ; implicit-def: $vgpr85
	s_and_saveexec_b64 s[26:27], s[0:1]
	s_cbranch_execz .LBB1211_108
; %bb.83:
	v_cndmask_b32_e64 v10, 0, 1, s[8:9]
	v_cndmask_b32_e64 v11, 0, 1, s[6:7]
	v_lshlrev_b16_e32 v10, 8, v10
	v_lshlrev_b16_e32 v11, 8, v11
	v_cndmask_b32_e64 v16, 0, 1, vcc
	ds_read2_b64 v[42:45], v48 offset0:7 offset1:8
	v_or_b32_e32 v10, v127, v10
	v_or_b32_sdwa v11, v16, v11 dst_sel:WORD_1 dst_unused:UNUSED_PAD src0_sel:DWORD src1_sel:DWORD
	s_mov_b64 s[0:1], 0
	v_or_b32_sdwa v82, v10, v11 dst_sel:DWORD dst_unused:UNUSED_PAD src0_sel:WORD_0 src1_sel:DWORD
	v_add_u32_e32 v10, 8, v65
	v_cmp_gt_u32_e32 vcc, s65, v10
	v_mov_b64_e32 v[10:11], 0
	v_and_b32_e32 v127, 0xffff, v82
	v_mov_b32_e32 v126, 0
	v_mov_b32_e32 v122, 0
	;; [unrolled: 1-line block ×3, first 2 shown]
	v_mov_b64_e32 v[70:71], v[10:11]
	v_mov_b64_e32 v[78:79], v[10:11]
	;; [unrolled: 1-line block ×8, first 2 shown]
	v_mov_b32_e32 v124, 0
	v_mov_b64_e32 v[38:39], v[10:11]
	v_mov_b64_e32 v[50:51], v[10:11]
	;; [unrolled: 1-line block ×3, first 2 shown]
                                        ; implicit-def: $sgpr6_sgpr7
                                        ; implicit-def: $vgpr84
                                        ; implicit-def: $vgpr85
	s_and_saveexec_b64 s[28:29], vcc
	s_cbranch_execz .LBB1211_107
; %bb.84:
	v_add_u32_e32 v10, 9, v65
	v_cmp_gt_u32_e32 vcc, s65, v10
	v_mov_b64_e32 v[10:11], 0
	s_waitcnt lgkmcnt(0)
	v_mov_b32_e32 v30, v44
	v_mov_b32_e32 v31, v45
	v_and_b32_e32 v127, 0xffffff, v82
	s_mov_b64 s[6:7], 0
	v_mov_b32_e32 v126, 0
	v_mov_b32_e32 v122, 0
	;; [unrolled: 1-line block ×3, first 2 shown]
	v_mov_b64_e32 v[70:71], v[10:11]
	v_mov_b64_e32 v[78:79], v[10:11]
	;; [unrolled: 1-line block ×8, first 2 shown]
	v_mov_b32_e32 v124, 0
	v_mov_b64_e32 v[38:39], v[10:11]
	v_mov_b64_e32 v[50:51], v[10:11]
                                        ; implicit-def: $sgpr8_sgpr9
                                        ; implicit-def: $vgpr84
                                        ; implicit-def: $vgpr85
	s_and_saveexec_b64 s[30:31], vcc
	s_cbranch_execz .LBB1211_106
; %bb.85:
	ds_read2_b64 v[50:53], v48 offset0:9 offset1:10
	v_add_u32_e32 v10, 10, v65
	v_cmp_gt_u32_e32 vcc, s65, v10
	v_mov_b64_e32 v[10:11], 0
	v_mov_b32_e32 v126, 0
	v_mov_b32_e32 v122, 0
	;; [unrolled: 1-line block ×3, first 2 shown]
	v_mov_b64_e32 v[70:71], v[10:11]
	v_mov_b64_e32 v[78:79], v[10:11]
	;; [unrolled: 1-line block ×8, first 2 shown]
	v_mov_b32_e32 v124, 0
	v_mov_b64_e32 v[38:39], v[10:11]
                                        ; implicit-def: $sgpr8_sgpr9
                                        ; implicit-def: $vgpr84
                                        ; implicit-def: $vgpr85
	s_and_saveexec_b64 s[34:35], vcc
	s_cbranch_execz .LBB1211_105
; %bb.86:
	v_cmp_ne_u32_e32 vcc, v33, v24
	v_add_u32_e32 v10, 11, v65
	s_waitcnt lgkmcnt(0)
	v_mov_b32_e32 v38, v52
	v_cndmask_b32_e64 v124, 0, 1, vcc
	v_cmp_gt_u32_e32 vcc, s65, v10
	v_mov_b64_e32 v[10:11], 0
	v_mov_b32_e32 v39, v53
	s_mov_b64 s[40:41], 0
	v_mov_b32_e32 v126, 0
	v_mov_b32_e32 v122, 0
	;; [unrolled: 1-line block ×3, first 2 shown]
	v_mov_b64_e32 v[70:71], v[10:11]
	v_mov_b64_e32 v[78:79], v[10:11]
	;; [unrolled: 1-line block ×8, first 2 shown]
                                        ; implicit-def: $sgpr6_sgpr7
                                        ; implicit-def: $vgpr84
                                        ; implicit-def: $vgpr85
	s_and_saveexec_b64 s[36:37], vcc
	s_cbranch_execz .LBB1211_104
; %bb.87:
	ds_read2_b64 v[58:61], v48 offset0:11 offset1:12
	v_cmp_ne_u32_e64 s[0:1], v24, v25
	v_add_u32_e32 v10, 12, v65
	v_cmp_ne_u32_e32 vcc, v20, v21
	v_cndmask_b32_e64 v126, 0, 1, s[0:1]
	v_cmp_gt_u32_e64 s[0:1], s65, v10
	v_mov_b64_e32 v[10:11], 0
	v_cmp_ne_u32_e64 s[6:7], v21, v64
	v_cmp_ne_u32_e64 s[8:9], v25, v20
	s_mov_b64 s[42:43], 0
	v_mov_b32_e32 v125, 0
	v_mov_b32_e32 v122, 0
	v_mov_b64_e32 v[70:71], v[10:11]
	v_mov_b64_e32 v[78:79], v[10:11]
	;; [unrolled: 1-line block ×7, first 2 shown]
                                        ; implicit-def: $sgpr44_sgpr45
                                        ; implicit-def: $vgpr84
                                        ; implicit-def: $vgpr85
	s_and_saveexec_b64 s[38:39], s[0:1]
	s_cbranch_execz .LBB1211_103
; %bb.88:
	v_cndmask_b32_e64 v10, 0, 1, s[8:9]
	v_cndmask_b32_e64 v11, 0, 1, s[6:7]
	v_lshlrev_b16_e32 v10, 8, v10
	v_lshlrev_b16_e32 v11, 8, v11
	v_cndmask_b32_e64 v16, 0, 1, vcc
	v_or_b32_e32 v10, v126, v10
	v_or_b32_sdwa v11, v16, v11 dst_sel:WORD_1 dst_unused:UNUSED_PAD src0_sel:DWORD src1_sel:DWORD
	s_waitcnt lgkmcnt(0)
	v_mov_b32_e32 v46, v60
	v_or_b32_sdwa v84, v10, v11 dst_sel:DWORD dst_unused:UNUSED_PAD src0_sel:WORD_0 src1_sel:DWORD
	v_add_u32_e32 v10, 13, v65
	v_cmp_gt_u32_e32 vcc, s65, v10
	v_mov_b64_e32 v[10:11], 0
	v_and_b32_e32 v126, 0xffff, v84
	v_mov_b32_e32 v47, v61
	s_mov_b64 s[0:1], 0
	v_mov_b32_e32 v125, 0
	v_mov_b32_e32 v122, 0
	v_mov_b64_e32 v[70:71], v[10:11]
	v_mov_b64_e32 v[78:79], v[10:11]
	v_mov_b64_e32 v[62:63], v[10:11]
	v_mov_b64_e32 v[74:75], v[10:11]
	v_mov_b64_e32 v[54:55], v[10:11]
	v_mov_b64_e32 v[66:67], v[10:11]
                                        ; implicit-def: $sgpr6_sgpr7
                                        ; implicit-def: $vgpr85
	s_and_saveexec_b64 s[40:41], vcc
	s_cbranch_execz .LBB1211_102
; %bb.89:
	ds_read2_b64 v[66:69], v48 offset0:13 offset1:14
	v_add_u32_e32 v10, 14, v65
	v_cmp_gt_u32_e32 vcc, s65, v10
	v_mov_b64_e32 v[10:11], 0
	s_mov_b64 s[72:73], s[60:61]
	s_mov_b64 s[70:71], s[66:67]
	;; [unrolled: 1-line block ×3, first 2 shown]
	v_and_b32_e32 v126, 0xffffff, v84
	s_mov_b64 s[6:7], 0
	v_mov_b32_e32 v125, 0
	v_mov_b32_e32 v122, 0
	v_mov_b64_e32 v[70:71], v[10:11]
	v_mov_b64_e32 v[78:79], v[10:11]
	;; [unrolled: 1-line block ×5, first 2 shown]
                                        ; implicit-def: $sgpr8_sgpr9
                                        ; implicit-def: $vgpr85
	s_and_saveexec_b64 s[42:43], vcc
	s_cbranch_execz .LBB1211_101
; %bb.90:
	v_add_u32_e32 v10, 15, v65
	v_cmp_gt_u32_e32 vcc, s65, v10
	v_mov_b64_e32 v[10:11], 0
	s_waitcnt lgkmcnt(0)
	v_mov_b32_e32 v54, v68
	v_mov_b32_e32 v55, v69
	;; [unrolled: 1-line block ×4, first 2 shown]
	v_mov_b64_e32 v[70:71], v[10:11]
	v_mov_b64_e32 v[78:79], v[10:11]
	;; [unrolled: 1-line block ×4, first 2 shown]
                                        ; implicit-def: $sgpr8_sgpr9
                                        ; implicit-def: $vgpr85
	s_and_saveexec_b64 s[44:45], vcc
	s_cbranch_execz .LBB1211_100
; %bb.91:
	ds_read2_b64 v[74:77], v48 offset0:15 offset1:16
	v_cmp_ne_u32_e32 vcc, v64, v8
	v_add_u32_e32 v10, 16, v65
	s_mov_b64 s[58:59], 0
	v_cndmask_b32_e64 v122, 0, 1, vcc
	v_cmp_gt_u32_e32 vcc, s65, v10
	v_mov_b64_e32 v[10:11], 0
	v_mov_b32_e32 v125, 0
	v_mov_b64_e32 v[70:71], v[10:11]
	v_mov_b64_e32 v[78:79], v[10:11]
	;; [unrolled: 1-line block ×3, first 2 shown]
                                        ; implicit-def: $sgpr6_sgpr7
                                        ; implicit-def: $vgpr85
	s_and_saveexec_b64 s[46:47], vcc
	s_cbranch_execz .LBB1211_99
; %bb.92:
	v_cmp_ne_u32_e64 s[0:1], v8, v9
	v_add_u32_e32 v8, 17, v65
	v_mov_b64_e32 v[10:11], 0
	s_waitcnt lgkmcnt(0)
	v_mov_b32_e32 v62, v76
	v_mov_b32_e32 v63, v77
	v_cmp_ne_u32_e32 vcc, v12, v13
	v_cmp_ne_u32_e64 s[6:7], v13, v4
	v_cmp_ne_u32_e64 s[8:9], v9, v12
	v_cndmask_b32_e64 v125, 0, 1, s[0:1]
	v_cmp_gt_u32_e64 s[0:1], s65, v8
	s_mov_b64 s[60:61], 0
	v_mov_b64_e32 v[70:71], v[10:11]
	v_mov_b64_e32 v[78:79], v[10:11]
                                        ; implicit-def: $sgpr62_sgpr63
                                        ; implicit-def: $vgpr85
	s_and_saveexec_b64 s[48:49], s[0:1]
	s_cbranch_execz .LBB1211_98
; %bb.93:
	v_cndmask_b32_e64 v8, 0, 1, s[8:9]
	v_cndmask_b32_e64 v9, 0, 1, s[6:7]
	ds_read2_b64 v[78:81], v48 offset0:17 offset1:18
	v_lshlrev_b16_e32 v8, 8, v8
	v_lshlrev_b16_e32 v9, 8, v9
	v_cndmask_b32_e64 v10, 0, 1, vcc
	v_or_b32_e32 v8, v125, v8
	v_or_b32_sdwa v9, v10, v9 dst_sel:WORD_1 dst_unused:UNUSED_PAD src0_sel:DWORD src1_sel:DWORD
	v_mov_b64_e32 v[10:11], 0
	v_or_b32_sdwa v85, v8, v9 dst_sel:DWORD dst_unused:UNUSED_PAD src0_sel:WORD_0 src1_sel:DWORD
	v_add_u32_e32 v8, 18, v65
	v_and_b32_e32 v125, 0xffff, v85
	v_cmp_gt_u32_e32 vcc, s65, v8
	s_mov_b64 s[0:1], 0
	v_mov_b64_e32 v[70:71], v[10:11]
                                        ; implicit-def: $sgpr8_sgpr9
	s_and_saveexec_b64 s[6:7], vcc
	s_cbranch_execz .LBB1211_97
; %bb.94:
	v_add_u32_e32 v8, 19, v65
	s_waitcnt lgkmcnt(0)
	v_mov_b32_e32 v70, v80
	v_mov_b32_e32 v71, v81
	v_cmp_gt_u32_e32 vcc, s65, v8
	v_and_b32_e32 v125, 0xffffff, v85
	v_mov_b64_e32 v[10:11], 0
                                        ; implicit-def: $sgpr8_sgpr9
	s_and_saveexec_b64 s[58:59], vcc
	s_xor_b64 s[58:59], exec, s[58:59]
	s_cbranch_execz .LBB1211_96
; %bb.95:
	ds_read2_b64 v[10:13], v48 offset0:19 offset1:20
	v_cmp_ne_u32_e32 vcc, v4, v5
	v_add_u32_e32 v4, 20, v65
	v_cmp_gt_u32_e64 s[0:1], s65, v4
	s_and_b64 s[8:9], vcc, exec
	s_and_b64 s[0:1], s[0:1], exec
	s_waitcnt lgkmcnt(0)
	v_mov_b64_e32 v[72:73], v[10:11]
	v_mov_b32_e32 v125, v85
.LBB1211_96:
	s_or_b64 exec, exec, s[58:59]
	s_and_b64 s[8:9], s[8:9], exec
	s_and_b64 s[60:61], s[0:1], exec
.LBB1211_97:
	s_or_b64 exec, exec, s[6:7]
	s_and_b64 s[62:63], s[8:9], exec
	s_and_b64 s[58:59], s[60:61], exec
	s_waitcnt lgkmcnt(0)
	v_mov_b64_e32 v[64:65], v[78:79]
	v_mov_b64_e32 v[56:57], v[74:75]
	;; [unrolled: 1-line block ×9, first 2 shown]
.LBB1211_98:
	s_or_b64 exec, exec, s[48:49]
	s_and_b64 s[6:7], s[62:63], exec
	s_and_b64 s[0:1], s[58:59], exec
.LBB1211_99:
	s_or_b64 exec, exec, s[46:47]
	s_and_b64 s[8:9], s[6:7], exec
	s_and_b64 s[6:7], s[0:1], exec
.LBB1211_100:
	s_or_b64 exec, exec, s[44:45]
	s_and_b64 s[8:9], s[8:9], exec
	s_and_b64 s[0:1], s[6:7], exec
	v_mov_b32_e32 v126, v84
.LBB1211_101:
	s_or_b64 exec, exec, s[42:43]
	s_and_b64 s[6:7], s[8:9], exec
	s_and_b64 s[42:43], s[0:1], exec
	s_mov_b64 s[62:63], s[66:67]
	s_mov_b64 s[66:67], s[70:71]
	;; [unrolled: 1-line block ×3, first 2 shown]
.LBB1211_102:
	s_or_b64 exec, exec, s[40:41]
	s_and_b64 s[44:45], s[6:7], exec
	s_and_b64 s[40:41], s[42:43], exec
.LBB1211_103:
	s_or_b64 exec, exec, s[38:39]
	s_and_b64 s[6:7], s[44:45], exec
	s_and_b64 s[0:1], s[40:41], exec
.LBB1211_104:
	s_or_b64 exec, exec, s[36:37]
	s_and_b64 s[8:9], s[6:7], exec
	s_and_b64 s[6:7], s[0:1], exec
.LBB1211_105:
	s_or_b64 exec, exec, s[34:35]
	s_and_b64 s[8:9], s[8:9], exec
	s_and_b64 s[0:1], s[6:7], exec
	v_mov_b32_e32 v127, v82
.LBB1211_106:
	s_or_b64 exec, exec, s[30:31]
	s_and_b64 s[6:7], s[8:9], exec
	s_and_b64 s[30:31], s[0:1], exec
.LBB1211_107:
	s_or_b64 exec, exec, s[28:29]
	s_and_b64 s[34:35], s[6:7], exec
	s_and_b64 s[28:29], s[30:31], exec
.LBB1211_108:
	s_or_b64 exec, exec, s[26:27]
	s_and_b64 s[6:7], s[34:35], exec
	s_and_b64 s[0:1], s[28:29], exec
.LBB1211_109:
	s_or_b64 exec, exec, s[24:25]
	s_and_b64 s[8:9], s[6:7], exec
	s_and_b64 s[6:7], s[0:1], exec
.LBB1211_110:
	s_or_b64 exec, exec, s[22:23]
	s_and_b64 s[8:9], s[8:9], exec
	s_and_b64 s[0:1], s[6:7], exec
	v_mov_b32_e32 v128, v83
.LBB1211_111:
	s_or_b64 exec, exec, s[20:21]
	s_and_b64 s[6:7], s[8:9], exec
	s_and_b64 s[20:21], s[0:1], exec
.LBB1211_112:
	s_or_b64 exec, exec, s[18:19]
	s_and_b64 s[22:23], s[6:7], exec
	s_and_b64 s[18:19], s[20:21], exec
.LBB1211_113:
	s_or_b64 exec, exec, s[16:17]
	s_and_b64 s[0:1], s[22:23], exec
	s_and_b64 s[6:7], s[18:19], exec
.LBB1211_114:
	s_or_b64 exec, exec, s[14:15]
	s_and_b64 s[0:1], s[0:1], exec
	s_and_b64 s[6:7], s[6:7], exec
.LBB1211_115:
	s_or_b64 exec, exec, s[12:13]
	s_mov_b64 s[8:9], 0
	s_and_b64 vcc, exec, s[10:11]
	s_cbranch_vccnz .LBB1211_117
	s_branch .LBB1211_125
.LBB1211_116:
                                        ; implicit-def: $sgpr0_sgpr1
                                        ; implicit-def: $vgpr83
                                        ; implicit-def: $vgpr82
                                        ; implicit-def: $vgpr84
                                        ; implicit-def: $vgpr85
                                        ; implicit-def: $vgpr12_vgpr13
                                        ; implicit-def: $vgpr72_vgpr73
                                        ; implicit-def: $vgpr64_vgpr65
                                        ; implicit-def: $vgpr122
                                        ; implicit-def: $vgpr56_vgpr57
                                        ; implicit-def: $vgpr48_vgpr49
                                        ; implicit-def: $vgpr40_vgpr41
                                        ; implicit-def: $vgpr124
                                        ; implicit-def: $vgpr32_vgpr33
                                        ; implicit-def: $vgpr24_vgpr25
                                        ; implicit-def: $vgpr123
                                        ; implicit-def: $vgpr20_vgpr21
                                        ; implicit-def: $vgpr8_vgpr9
                                        ; implicit-def: $vgpr4_vgpr5
                                        ; implicit-def: $vgpr1
                                        ; implicit-def: $vgpr128
                                        ; implicit-def: $vgpr127
                                        ; implicit-def: $vgpr126
                                        ; implicit-def: $vgpr125
                                        ; implicit-def: $sgpr64
                                        ; implicit-def: $sgpr8_sgpr9
                                        ; implicit-def: $vgpr78_vgpr79
                                        ; implicit-def: $vgpr74_vgpr75
                                        ; implicit-def: $vgpr66_vgpr67
                                        ; implicit-def: $vgpr58_vgpr59
                                        ; implicit-def: $vgpr50_vgpr51
                                        ; implicit-def: $vgpr42_vgpr43
                                        ; implicit-def: $vgpr34_vgpr35
                                        ; implicit-def: $vgpr26_vgpr27
                                        ; implicit-def: $vgpr14_vgpr15
	s_and_b64 vcc, exec, s[10:11]
	s_cbranch_vccz .LBB1211_125
.LBB1211_117:
	s_waitcnt lgkmcnt(0)
	v_mov_b32_e32 v3, 0
	v_lshlrev_b32_e32 v2, 2, v0
	v_lshl_add_u64 v[4:5], s[52:53], 0, v[2:3]
	v_add_co_u32_e32 v6, vcc, 0x1000, v4
	s_movk_i32 s0, 0x50
	s_nop 0
	v_addc_co_u32_e32 v7, vcc, 0, v5, vcc
	flat_load_dword v1, v[4:5]
	flat_load_dword v3, v[4:5] offset:1024
	flat_load_dword v10, v[4:5] offset:2048
	;; [unrolled: 1-line block ×3, first 2 shown]
	flat_load_dword v12, v[6:7]
	flat_load_dword v13, v[6:7] offset:1024
	flat_load_dword v14, v[6:7] offset:2048
	;; [unrolled: 1-line block ×3, first 2 shown]
	v_add_co_u32_e32 v6, vcc, 0x2000, v4
	v_mad_u32_u24 v23, v0, s0, v2
	s_nop 0
	v_addc_co_u32_e32 v7, vcc, 0, v5, vcc
	v_add_co_u32_e32 v8, vcc, 0x3000, v4
	s_cmp_eq_u64 s[56:57], 0
	s_nop 0
	v_addc_co_u32_e32 v9, vcc, 0, v5, vcc
	flat_load_dword v16, v[6:7]
	flat_load_dword v17, v[6:7] offset:1024
	flat_load_dword v18, v[6:7] offset:2048
	;; [unrolled: 1-line block ×3, first 2 shown]
	flat_load_dword v20, v[8:9]
	flat_load_dword v21, v[8:9] offset:1024
	flat_load_dword v22, v[8:9] offset:2048
	;; [unrolled: 1-line block ×3, first 2 shown]
	v_add_co_u32_e32 v6, vcc, 0x4000, v4
	s_nop 1
	v_addc_co_u32_e32 v7, vcc, 0, v5, vcc
	v_add_co_u32_e32 v4, vcc, 0x5000, v4
	s_nop 1
	v_addc_co_u32_e32 v5, vcc, 0, v5, vcc
	flat_load_dword v8, v[6:7]
	flat_load_dword v9, v[6:7] offset:1024
	flat_load_dword v25, v[6:7] offset:2048
	;; [unrolled: 1-line block ×3, first 2 shown]
	flat_load_dword v27, v[4:5]
	s_waitcnt vmcnt(0) lgkmcnt(0)
	ds_write2st64_b32 v2, v1, v3 offset1:4
	ds_write2st64_b32 v2, v10, v11 offset0:8 offset1:12
	ds_write2st64_b32 v2, v12, v13 offset0:16 offset1:20
	;; [unrolled: 1-line block ×9, first 2 shown]
	ds_write_b32 v2, v27 offset:20480
	s_waitcnt lgkmcnt(0)
	s_barrier
	ds_read2_b32 v[8:9], v23 offset0:7 offset1:8
	ds_read2_b32 v[6:7], v23 offset0:5 offset1:6
	;; [unrolled: 1-line block ×3, first 2 shown]
	ds_read2_b32 v[10:11], v23 offset1:1
	ds_read2_b32 v[4:5], v23 offset0:4 offset1:9
	ds_read2_b32 v[16:17], v23 offset0:15 offset1:16
	ds_read_b32 v22, v23 offset:56
	ds_read2_b32 v[14:15], v23 offset0:12 offset1:13
	ds_read2_b32 v[12:13], v23 offset0:10 offset1:11
	;; [unrolled: 1-line block ×4, first 2 shown]
	s_cbranch_scc1 .LBB1211_122
; %bb.118:
	s_andn2_b64 vcc, exec, s[54:55]
	s_cbranch_vccnz .LBB1211_292
; %bb.119:
	s_lshl_b64 s[0:1], s[56:57], 2
	s_add_u32 s0, s66, s0
	s_addc_u32 s1, s67, s1
	s_add_u32 s0, s0, -4
	s_addc_u32 s1, s1, -1
	s_cbranch_execnz .LBB1211_121
.LBB1211_120:
	s_add_u32 s0, s52, -4
	s_addc_u32 s1, s53, -1
.LBB1211_121:
	s_mov_b64 s[52:53], s[0:1]
.LBB1211_122:
	v_mov_b64_e32 v[24:25], s[52:53]
	flat_load_dword v1, v[24:25]
	s_movk_i32 s0, 0xffb0
	v_mad_i32_i24 v23, v0, s0, v23
	s_waitcnt lgkmcnt(0)
	ds_write_b32 v23, v21 offset:21504
	s_waitcnt lgkmcnt(0)
	s_barrier
	s_and_saveexec_b64 s[0:1], s[4:5]
	s_cbranch_execz .LBB1211_124
; %bb.123:
	s_waitcnt vmcnt(0)
	ds_read_b32 v1, v23 offset:21500
.LBB1211_124:
	s_or_b64 exec, exec, s[0:1]
	v_lshlrev_b32_e32 v24, 3, v0
	v_mov_b32_e32 v25, 0
	v_lshl_add_u64 v[24:25], s[50:51], 0, v[24:25]
	s_movk_i32 s0, 0x1000
	v_add_co_u32_e32 v26, vcc, s0, v24
	s_movk_i32 s0, 0x2000
	s_nop 0
	v_addc_co_u32_e32 v27, vcc, 0, v25, vcc
	s_waitcnt lgkmcnt(0)
	s_barrier
	flat_load_dwordx2 v[28:29], v[24:25]
	flat_load_dwordx2 v[30:31], v[24:25] offset:2048
	flat_load_dwordx2 v[32:33], v[26:27]
	flat_load_dwordx2 v[34:35], v[26:27] offset:2048
	v_add_co_u32_e32 v26, vcc, s0, v24
	s_movk_i32 s0, 0x3000
	s_nop 0
	v_addc_co_u32_e32 v27, vcc, 0, v25, vcc
	v_add_co_u32_e32 v36, vcc, s0, v24
	s_movk_i32 s0, 0x4000
	s_nop 0
	v_addc_co_u32_e32 v37, vcc, 0, v25, vcc
	flat_load_dwordx2 v[38:39], v[26:27]
	flat_load_dwordx2 v[40:41], v[26:27] offset:2048
	flat_load_dwordx2 v[42:43], v[36:37]
	flat_load_dwordx2 v[44:45], v[36:37] offset:2048
	v_add_co_u32_e32 v26, vcc, s0, v24
	s_movk_i32 s0, 0x5000
	s_nop 0
	v_addc_co_u32_e32 v27, vcc, 0, v25, vcc
	v_add_co_u32_e32 v36, vcc, s0, v24
	s_movk_i32 s0, 0x6000
	s_nop 0
	v_addc_co_u32_e32 v37, vcc, 0, v25, vcc
	flat_load_dwordx2 v[46:47], v[26:27]
	flat_load_dwordx2 v[48:49], v[26:27] offset:2048
	flat_load_dwordx2 v[50:51], v[36:37]
	flat_load_dwordx2 v[52:53], v[36:37] offset:2048
	v_add_co_u32_e32 v26, vcc, s0, v24
	s_movk_i32 s0, 0x7000
	s_nop 0
	v_addc_co_u32_e32 v27, vcc, 0, v25, vcc
	v_add_co_u32_e32 v36, vcc, s0, v24
	s_mov_b32 s0, 0x8000
	s_nop 0
	v_addc_co_u32_e32 v37, vcc, 0, v25, vcc
	flat_load_dwordx2 v[54:55], v[26:27]
	flat_load_dwordx2 v[56:57], v[26:27] offset:2048
	flat_load_dwordx2 v[58:59], v[36:37]
	flat_load_dwordx2 v[60:61], v[36:37] offset:2048
	v_add_co_u32_e32 v26, vcc, s0, v24
	s_mov_b32 s0, 0x9000
	s_nop 0
	v_addc_co_u32_e32 v27, vcc, 0, v25, vcc
	v_add_co_u32_e32 v36, vcc, s0, v24
	s_mov_b32 s0, 0xa000
	s_nop 0
	v_addc_co_u32_e32 v37, vcc, 0, v25, vcc
	flat_load_dwordx2 v[62:63], v[26:27]
	flat_load_dwordx2 v[64:65], v[26:27] offset:2048
	flat_load_dwordx2 v[66:67], v[36:37]
	flat_load_dwordx2 v[68:69], v[36:37] offset:2048
	v_add_co_u32_e32 v24, vcc, s0, v24
	v_cmp_ne_u32_e64 s[0:1], v20, v21
	s_nop 0
	v_addc_co_u32_e32 v25, vcc, 0, v25, vcc
	flat_load_dwordx2 v[24:25], v[24:25]
	v_cmp_ne_u32_e32 vcc, v17, v18
	s_movk_i32 s6, 0xa0
                                        ; implicit-def: $vgpr128
                                        ; implicit-def: $vgpr127
                                        ; implicit-def: $vgpr126
                                        ; implicit-def: $vgpr125
                                        ; implicit-def: $sgpr64
                                        ; implicit-def: $sgpr8_sgpr9
                                        ; implicit-def: $vgpr78_vgpr79
                                        ; implicit-def: $vgpr74_vgpr75
                                        ; implicit-def: $vgpr26_vgpr27
	s_nop 0
	v_cndmask_b32_e64 v21, 0, 1, vcc
	v_cmp_ne_u32_e32 vcc, v16, v17
	v_lshlrev_b16_e32 v21, 8, v21
	s_nop 0
	v_cndmask_b32_e64 v17, 0, 1, vcc
	v_cmp_ne_u32_e32 vcc, v19, v20
	v_or_b32_e32 v17, v17, v21
	s_nop 0
	v_cndmask_b32_e64 v20, 0, 1, vcc
	v_cmp_ne_u32_e32 vcc, v18, v19
	v_lshlrev_b16_e32 v20, 8, v20
	s_nop 0
	v_cndmask_b32_e64 v18, 0, 1, vcc
	v_cmp_ne_u32_e32 vcc, v22, v16
	v_or_b32_sdwa v18, v18, v20 dst_sel:WORD_1 dst_unused:UNUSED_PAD src0_sel:DWORD src1_sel:DWORD
	s_nop 0
	v_cndmask_b32_e64 v122, 0, 1, vcc
	v_cmp_ne_u32_e32 vcc, v13, v14
	v_or_b32_sdwa v85, v17, v18 dst_sel:DWORD dst_unused:UNUSED_PAD src0_sel:WORD_0 src1_sel:DWORD
	s_nop 0
	v_cndmask_b32_e64 v16, 0, 1, vcc
	v_cmp_ne_u32_e32 vcc, v12, v13
	v_lshlrev_b16_e32 v16, 8, v16
	s_nop 0
	v_cndmask_b32_e64 v13, 0, 1, vcc
	v_cmp_ne_u32_e32 vcc, v15, v22
	v_or_b32_e32 v13, v13, v16
	s_nop 0
	v_cndmask_b32_e64 v16, 0, 1, vcc
	v_cmp_ne_u32_e32 vcc, v14, v15
	v_lshlrev_b16_e32 v16, 8, v16
	s_nop 0
	v_cndmask_b32_e64 v14, 0, 1, vcc
	v_cmp_ne_u32_e32 vcc, v5, v12
	v_or_b32_sdwa v14, v14, v16 dst_sel:WORD_1 dst_unused:UNUSED_PAD src0_sel:DWORD src1_sel:DWORD
	s_nop 0
	v_cndmask_b32_e64 v124, 0, 1, vcc
	v_cmp_ne_u32_e32 vcc, v7, v8
	v_or_b32_sdwa v84, v13, v14 dst_sel:DWORD dst_unused:UNUSED_PAD src0_sel:WORD_0 src1_sel:DWORD
	s_nop 0
	v_cndmask_b32_e64 v12, 0, 1, vcc
	v_cmp_ne_u32_e32 vcc, v6, v7
	v_lshlrev_b16_e32 v12, 8, v12
	s_nop 0
	v_cndmask_b32_e64 v7, 0, 1, vcc
	v_cmp_ne_u32_e32 vcc, v9, v5
	v_or_b32_e32 v7, v7, v12
	s_nop 0
	v_cndmask_b32_e64 v5, 0, 1, vcc
	v_cmp_ne_u32_e32 vcc, v8, v9
	v_lshlrev_b16_e32 v5, 8, v5
	s_nop 0
	v_cndmask_b32_e64 v8, 0, 1, vcc
	v_cmp_ne_u32_e32 vcc, v4, v6
	v_or_b32_sdwa v5, v8, v5 dst_sel:WORD_1 dst_unused:UNUSED_PAD src0_sel:DWORD src1_sel:DWORD
	s_nop 0
	v_cndmask_b32_e64 v123, 0, 1, vcc
	v_cmp_ne_u32_e32 vcc, v11, v2
	v_or_b32_sdwa v82, v7, v5 dst_sel:DWORD dst_unused:UNUSED_PAD src0_sel:WORD_0 src1_sel:DWORD
	s_nop 0
	v_cndmask_b32_e64 v5, 0, 1, vcc
	v_cmp_ne_u32_e32 vcc, v10, v11
	v_lshlrev_b16_e32 v5, 8, v5
	s_nop 0
	v_cndmask_b32_e64 v6, 0, 1, vcc
	v_cmp_ne_u32_e32 vcc, v3, v4
	v_or_b32_e32 v11, v6, v5
	s_nop 0
	v_cndmask_b32_e64 v4, 0, 1, vcc
	v_cmp_ne_u32_e32 vcc, v2, v3
	v_lshlrev_b16_e32 v4, 8, v4
	s_nop 0
	v_cndmask_b32_e64 v2, 0, 1, vcc
	v_or_b32_sdwa v14, v2, v4 dst_sel:WORD_1 dst_unused:UNUSED_PAD src0_sel:DWORD src1_sel:DWORD
	v_lshl_add_u32 v2, v0, 2, v23
	v_mad_u32_u24 v12, v0, s6, v2
	s_waitcnt vmcnt(0) lgkmcnt(0)
	ds_write2st64_b64 v2, v[28:29], v[30:31] offset1:4
	ds_write2st64_b64 v2, v[32:33], v[34:35] offset0:8 offset1:12
	ds_write2st64_b64 v2, v[38:39], v[40:41] offset0:16 offset1:20
	;; [unrolled: 1-line block ×9, first 2 shown]
	ds_write_b64 v2, v[24:25] offset:40960
	s_waitcnt lgkmcnt(0)
	s_barrier
	ds_read2_b64 v[2:5], v12 offset1:1
	ds_read2_b64 v[6:9], v12 offset0:2 offset1:3
	ds_read2_b64 v[18:21], v12 offset0:4 offset1:5
	;; [unrolled: 1-line block ×9, first 2 shown]
	ds_read_b64 v[12:13], v12 offset:160
	v_cmp_ne_u32_e32 vcc, v1, v10
	v_or_b32_sdwa v83, v11, v14 dst_sel:DWORD dst_unused:UNUSED_PAD src0_sel:WORD_0 src1_sel:DWORD
	s_mov_b64 s[6:7], -1
	v_cndmask_b32_e64 v1, 0, 1, vcc
                                        ; implicit-def: $vgpr66_vgpr67
                                        ; implicit-def: $vgpr58_vgpr59
                                        ; implicit-def: $vgpr50_vgpr51
                                        ; implicit-def: $vgpr42_vgpr43
                                        ; implicit-def: $vgpr34_vgpr35
                                        ; implicit-def: $vgpr14_vgpr15
.LBB1211_125:
	s_mov_b64 s[90:91], s[62:63]
	s_waitcnt lgkmcnt(0)
	v_mov_b64_e32 v[16:17], s[8:9]
	v_mov_b32_e32 v28, s64
	s_and_saveexec_b64 s[8:9], s[6:7]
	s_cbranch_execz .LBB1211_127
; %bb.126:
	v_cndmask_b32_e64 v28, 0, 1, s[0:1]
	v_mov_b64_e32 v[14:15], v[4:5]
	v_mov_b64_e32 v[26:27], v[8:9]
	;; [unrolled: 1-line block ×11, first 2 shown]
	v_mov_b32_e32 v125, v85
	v_mov_b32_e32 v126, v84
	v_mov_b32_e32 v127, v82
	v_mov_b32_e32 v128, v83
.LBB1211_127:
	s_or_b64 exec, exec, s[8:9]
	v_and_b32_e32 v129, 1, v123
	v_and_b32_e32 v37, 1, v124
	;; [unrolled: 1-line block ×4, first 2 shown]
	s_cmp_lg_u32 s92, 0
	v_lshrrev_b32_e32 v130, 8, v128
	v_cmp_eq_u32_e32 vcc, 1, v129
	v_lshrrev_b32_e32 v41, 8, v127
	v_cmp_eq_u32_e64 s[48:49], 1, v37
	v_lshrrev_b32_e32 v40, 8, v126
	v_cmp_eq_u32_e64 s[50:51], 1, v33
	;; [unrolled: 2-line block ×3, first 2 shown]
	v_mbcnt_lo_u32_b32 v29, -1, 0
	s_barrier
	s_cbranch_scc0 .LBB1211_194
; %bb.128:
	v_mov_b32_e32 v8, 0
	v_cmp_eq_u16_sdwa s[6:7], v128, v8 src0_sel:BYTE_0 src1_sel:DWORD
	v_and_b32_e32 v9, 1, v128
	s_movk_i32 s42, 0xff
	v_cndmask_b32_e64 v5, 0, v3, s[6:7]
	v_cndmask_b32_e64 v4, 0, v2, s[6:7]
	v_cmp_eq_u32_e64 s[52:53], 1, v9
	v_and_b32_e32 v9, 0x100, v128
	v_lshl_add_u64 v[4:5], v[4:5], 0, v[14:15]
	v_cmp_eq_u16_sdwa s[8:9], v130, v8 src0_sel:BYTE_0 src1_sel:DWORD
	v_cmp_ne_u32_e64 s[56:57], 0, v9
	v_and_b32_sdwa v9, v128, s42 dst_sel:DWORD dst_unused:UNUSED_PAD src0_sel:WORD_1 src1_sel:DWORD
	v_cndmask_b32_e64 v5, 0, v5, s[8:9]
	v_cndmask_b32_e64 v4, 0, v4, s[8:9]
	v_cmp_eq_u16_e64 s[10:11], 0, v9
	v_and_b32_e32 v9, 0x10000, v128
	v_lshl_add_u64 v[4:5], v[4:5], 0, v[6:7]
	v_cmp_ne_u32_e64 s[58:59], 0, v9
	v_and_b32_e32 v9, 0x1000000, v128
	s_mov_b64 s[86:87], s[4:5]
	s_mov_b64 s[4:5], s[60:61]
	v_cndmask_b32_e64 v5, 0, v5, s[10:11]
	v_cndmask_b32_e64 v4, 0, v4, s[10:11]
	v_cmp_ne_u32_e64 s[60:61], 0, v9
	v_and_b32_e32 v9, 1, v127
	v_lshl_add_u64 v[4:5], v[4:5], 0, v[26:27]
	v_cmp_eq_u16_sdwa s[12:13], v128, v8 src0_sel:BYTE_3 src1_sel:DWORD
	v_cmp_eq_u32_e64 s[62:63], 1, v9
	v_and_b32_e32 v9, 0x100, v127
	v_cndmask_b32_e64 v5, 0, v5, s[12:13]
	v_cndmask_b32_e64 v4, 0, v4, s[12:13]
	v_cmp_ne_u32_e64 s[64:65], 0, v9
	v_and_b32_sdwa v9, v127, s42 dst_sel:DWORD dst_unused:UNUSED_PAD src0_sel:WORD_1 src1_sel:DWORD
	v_lshl_add_u64 v[4:5], v[4:5], 0, v[18:19]
	v_cmp_eq_u16_sdwa s[14:15], v123, v8 src0_sel:BYTE_0 src1_sel:DWORD
	v_cmp_eq_u16_e64 s[20:21], 0, v9
	v_and_b32_e32 v9, 0x10000, v127
	v_cndmask_b32_e64 v5, 0, v5, s[14:15]
	v_cndmask_b32_e64 v4, 0, v4, s[14:15]
	v_cmp_ne_u32_e64 s[66:67], 0, v9
	v_and_b32_e32 v9, 0x1000000, v127
	v_lshl_add_u64 v[4:5], v[4:5], 0, v[34:35]
	v_cmp_eq_u16_sdwa s[16:17], v127, v8 src0_sel:BYTE_0 src1_sel:DWORD
	v_cmp_ne_u32_e64 s[0:1], 0, v9
	v_and_b32_e32 v9, 1, v126
	v_cndmask_b32_e64 v5, 0, v5, s[16:17]
	v_cndmask_b32_e64 v4, 0, v4, s[16:17]
	v_cmp_eq_u32_e64 s[70:71], 1, v9
	v_and_b32_e32 v9, 0x100, v126
	v_lshl_add_u64 v[4:5], v[4:5], 0, v[22:23]
	v_cmp_eq_u16_sdwa s[18:19], v41, v8 src0_sel:BYTE_0 src1_sel:DWORD
	v_cmp_ne_u32_e64 s[72:73], 0, v9
	v_and_b32_sdwa v9, v126, s42 dst_sel:DWORD dst_unused:UNUSED_PAD src0_sel:WORD_1 src1_sel:DWORD
	v_cndmask_b32_e64 v5, 0, v5, s[18:19]
	v_cndmask_b32_e64 v4, 0, v4, s[18:19]
	v_cmp_eq_u16_e64 s[30:31], 0, v9
	v_and_b32_e32 v9, 0x10000, v126
	v_lshl_add_u64 v[4:5], v[4:5], 0, v[42:43]
	v_cmp_ne_u32_e64 s[74:75], 0, v9
	v_and_b32_e32 v9, 0x1000000, v126
	v_cndmask_b32_e64 v5, 0, v5, s[20:21]
	v_cndmask_b32_e64 v4, 0, v4, s[20:21]
	v_cmp_ne_u32_e64 s[76:77], 0, v9
	v_and_b32_e32 v9, 1, v125
	s_mov_b64 s[98:99], s[78:79]
	v_lshl_add_u64 v[4:5], v[4:5], 0, v[30:31]
	v_cmp_eq_u16_sdwa s[22:23], v127, v8 src0_sel:BYTE_3 src1_sel:DWORD
	v_cmp_eq_u32_e64 s[78:79], 1, v9
	v_and_b32_e32 v9, 0x100, v125
	v_cndmask_b32_e64 v5, 0, v5, s[22:23]
	v_cndmask_b32_e64 v4, 0, v4, s[22:23]
	v_cmp_ne_u32_e64 s[80:81], 0, v9
	v_and_b32_sdwa v9, v125, s42 dst_sel:DWORD dst_unused:UNUSED_PAD src0_sel:WORD_1 src1_sel:DWORD
	v_lshl_add_u64 v[4:5], v[4:5], 0, v[50:51]
	v_cmp_eq_u16_sdwa s[24:25], v124, v8 src0_sel:BYTE_0 src1_sel:DWORD
	v_cmp_eq_u16_e64 s[42:43], 0, v9
	v_and_b32_e32 v9, 0x10000, v125
	v_cndmask_b32_e64 v5, 0, v5, s[24:25]
	v_cndmask_b32_e64 v4, 0, v4, s[24:25]
	v_cmp_ne_u32_e64 s[82:83], 0, v9
	v_and_b32_e32 v9, 0x1000000, v125
	v_lshl_add_u64 v[4:5], v[4:5], 0, v[38:39]
	v_cmp_eq_u16_sdwa s[26:27], v126, v8 src0_sel:BYTE_0 src1_sel:DWORD
	v_cmp_ne_u32_e64 s[84:85], 0, v9
	s_or_b64 s[54:55], s[54:55], s[84:85]
	v_cndmask_b32_e64 v5, 0, v5, s[26:27]
	v_cndmask_b32_e64 v4, 0, v4, s[26:27]
	v_lshl_add_u64 v[4:5], v[4:5], 0, v[58:59]
	v_cmp_eq_u16_sdwa s[28:29], v40, v8 src0_sel:BYTE_0 src1_sel:DWORD
	s_or_b64 s[54:55], s[54:55], s[82:83]
	s_or_b64 s[54:55], s[54:55], s[80:81]
	v_cndmask_b32_e64 v5, 0, v5, s[28:29]
	v_cndmask_b32_e64 v4, 0, v4, s[28:29]
	v_lshl_add_u64 v[4:5], v[4:5], 0, v[46:47]
	s_or_b64 s[54:55], s[54:55], s[78:79]
	v_cndmask_b32_e64 v5, 0, v5, s[30:31]
	v_cndmask_b32_e64 v4, 0, v4, s[30:31]
	s_or_b64 s[50:51], s[54:55], s[50:51]
	v_lshl_add_u64 v[4:5], v[4:5], 0, v[66:67]
	v_cmp_eq_u16_sdwa s[34:35], v126, v8 src0_sel:BYTE_3 src1_sel:DWORD
	s_or_b64 s[50:51], s[50:51], s[76:77]
	s_or_b64 s[50:51], s[50:51], s[74:75]
	v_cndmask_b32_e64 v5, 0, v5, s[34:35]
	v_cndmask_b32_e64 v4, 0, v4, s[34:35]
	v_lshl_add_u64 v[4:5], v[4:5], 0, v[54:55]
	v_cmp_eq_u16_sdwa s[36:37], v122, v8 src0_sel:BYTE_0 src1_sel:DWORD
	s_or_b64 s[50:51], s[50:51], s[72:73]
	s_or_b64 s[50:51], s[50:51], s[70:71]
	v_cndmask_b32_e64 v5, 0, v5, s[36:37]
	v_cndmask_b32_e64 v4, 0, v4, s[36:37]
	v_lshl_add_u64 v[4:5], v[4:5], 0, v[74:75]
	v_cmp_eq_u16_sdwa s[38:39], v125, v8 src0_sel:BYTE_0 src1_sel:DWORD
	;; [unrolled: 6-line block ×3, first 2 shown]
	s_or_b64 s[0:1], s[0:1], s[66:67]
	s_or_b64 s[0:1], s[0:1], s[64:65]
	v_cndmask_b32_e64 v5, 0, v5, s[40:41]
	v_cndmask_b32_e64 v4, 0, v4, s[40:41]
	v_lshl_add_u64 v[4:5], v[4:5], 0, v[78:79]
	s_or_b64 s[0:1], s[0:1], s[62:63]
	v_cndmask_b32_e64 v5, 0, v5, s[42:43]
	v_cndmask_b32_e64 v4, 0, v4, s[42:43]
	s_or_b64 s[0:1], s[0:1], vcc
	v_lshl_add_u64 v[4:5], v[4:5], 0, v[70:71]
	v_cmp_eq_u16_sdwa s[44:45], v125, v8 src0_sel:BYTE_3 src1_sel:DWORD
	s_or_b64 s[0:1], s[0:1], s[60:61]
	s_or_b64 s[0:1], s[0:1], s[58:59]
	v_cndmask_b32_e64 v5, 0, v5, s[44:45]
	v_cndmask_b32_e64 v4, 0, v4, s[44:45]
	v_lshl_add_u64 v[4:5], v[4:5], 0, v[10:11]
	v_cmp_eq_u16_sdwa s[46:47], v28, v8 src0_sel:BYTE_0 src1_sel:DWORD
	s_or_b64 s[0:1], s[0:1], s[56:57]
	v_and_b32_e32 v12, 0xff, v1
	v_cndmask_b32_e64 v5, 0, v5, s[46:47]
	v_cndmask_b32_e64 v4, 0, v4, s[46:47]
	s_or_b64 s[0:1], s[0:1], s[52:53]
	v_mbcnt_hi_u32_b32 v52, -1, v29
	v_lshl_add_u64 v[8:9], v[4:5], 0, v[16:17]
	v_cndmask_b32_e64 v12, v12, 1, s[0:1]
	v_and_b32_e32 v4, 15, v52
	v_mov_b32_dpp v13, v8 row_shr:1 row_mask:0xf bank_mask:0xf
	v_mov_b32_dpp v20, v9 row_shr:1 row_mask:0xf bank_mask:0xf
	v_mov_b32_dpp v5, v12 row_shr:1 row_mask:0xf bank_mask:0xf
	v_cmp_ne_u32_e32 vcc, 0, v4
	s_and_saveexec_b64 s[0:1], vcc
; %bb.129:
	v_cmp_eq_u32_e32 vcc, 0, v12
	v_and_or_b32 v12, v5, 1, v12
	s_nop 0
	v_cndmask_b32_e32 v21, 0, v20, vcc
	v_cndmask_b32_e32 v20, 0, v13, vcc
	v_lshl_add_u64 v[8:9], v[20:21], 0, v[8:9]
; %bb.130:
	s_or_b64 exec, exec, s[0:1]
	s_nop 0
	v_mov_b32_dpp v13, v8 row_shr:2 row_mask:0xf bank_mask:0xf
	v_mov_b32_dpp v20, v9 row_shr:2 row_mask:0xf bank_mask:0xf
	;; [unrolled: 1-line block ×3, first 2 shown]
	v_cmp_lt_u32_e32 vcc, 1, v4
	s_and_saveexec_b64 s[0:1], vcc
; %bb.131:
	v_cmp_eq_u32_e32 vcc, 0, v12
	v_or_b32_e32 v5, v5, v12
	v_and_b32_e32 v12, 1, v5
	v_cndmask_b32_e32 v21, 0, v20, vcc
	v_cndmask_b32_e32 v20, 0, v13, vcc
	v_lshl_add_u64 v[8:9], v[20:21], 0, v[8:9]
; %bb.132:
	s_or_b64 exec, exec, s[0:1]
	s_nop 0
	v_mov_b32_dpp v13, v8 row_shr:4 row_mask:0xf bank_mask:0xf
	v_mov_b32_dpp v20, v9 row_shr:4 row_mask:0xf bank_mask:0xf
	;; [unrolled: 1-line block ×3, first 2 shown]
	v_cmp_lt_u32_e32 vcc, 3, v4
	s_and_saveexec_b64 s[0:1], vcc
	s_mov_b64 s[58:59], s[90:91]
	s_mov_b64 s[60:61], s[4:5]
	;; [unrolled: 1-line block ×4, first 2 shown]
; %bb.133:
	v_cmp_eq_u32_e32 vcc, 0, v12
	v_or_b32_e32 v5, v5, v12
	v_and_b32_e32 v12, 1, v5
	v_cndmask_b32_e32 v21, 0, v20, vcc
	v_cndmask_b32_e32 v20, 0, v13, vcc
	v_lshl_add_u64 v[8:9], v[20:21], 0, v[8:9]
; %bb.134:
	s_or_b64 exec, exec, s[0:1]
	s_nop 0
	v_mov_b32_dpp v13, v8 row_shr:8 row_mask:0xf bank_mask:0xf
	v_mov_b32_dpp v20, v9 row_shr:8 row_mask:0xf bank_mask:0xf
	v_mov_b32_dpp v5, v12 row_shr:8 row_mask:0xf bank_mask:0xf
	v_cmp_lt_u32_e32 vcc, 7, v4
	s_and_saveexec_b64 s[0:1], vcc
; %bb.135:
	v_cmp_eq_u32_e32 vcc, 0, v12
	v_or_b32_e32 v4, v5, v12
	v_and_b32_e32 v12, 1, v4
	v_cndmask_b32_e32 v21, 0, v20, vcc
	v_cndmask_b32_e32 v20, 0, v13, vcc
	v_lshl_add_u64 v[8:9], v[20:21], 0, v[8:9]
; %bb.136:
	s_or_b64 exec, exec, s[0:1]
	v_and_b32_e32 v20, 16, v52
	v_mov_b32_dpp v5, v8 row_bcast:15 row_mask:0xf bank_mask:0xf
	v_mov_b32_dpp v13, v9 row_bcast:15 row_mask:0xf bank_mask:0xf
	;; [unrolled: 1-line block ×3, first 2 shown]
	v_cmp_ne_u32_e32 vcc, 0, v20
	s_and_saveexec_b64 s[0:1], vcc
; %bb.137:
	v_cmp_eq_u32_e32 vcc, 0, v12
	v_or_b32_e32 v4, v4, v12
	v_and_b32_e32 v12, 1, v4
	v_cndmask_b32_e32 v21, 0, v13, vcc
	v_cndmask_b32_e32 v20, 0, v5, vcc
	v_lshl_add_u64 v[8:9], v[20:21], 0, v[8:9]
; %bb.138:
	s_or_b64 exec, exec, s[0:1]
	s_nop 0
	v_mov_b32_dpp v13, v8 row_bcast:31 row_mask:0xf bank_mask:0xf
	v_mov_b32_dpp v20, v9 row_bcast:31 row_mask:0xf bank_mask:0xf
	;; [unrolled: 1-line block ×3, first 2 shown]
	v_cmp_lt_u32_e32 vcc, 31, v52
	v_mov_b32_e32 v4, v12
	s_and_saveexec_b64 s[0:1], vcc
; %bb.139:
	v_cmp_eq_u32_e32 vcc, 0, v12
	v_or_b32_e32 v5, v5, v12
	v_and_b32_e32 v4, 1, v5
	v_cndmask_b32_e32 v21, 0, v20, vcc
	v_cndmask_b32_e32 v20, 0, v13, vcc
	v_lshl_add_u64 v[8:9], v[20:21], 0, v[8:9]
	v_and_b32_e32 v12, 1, v5
; %bb.140:
	s_or_b64 exec, exec, s[0:1]
	v_or_b32_e32 v5, 63, v0
	v_lshrrev_b32_e32 v13, 6, v0
	v_cmp_eq_u32_e32 vcc, v5, v0
	s_and_saveexec_b64 s[0:1], vcc
	s_cbranch_execz .LBB1211_142
; %bb.141:
	v_lshlrev_b32_e32 v5, 4, v13
	ds_write_b64 v5, v[8:9]
	ds_write_b8 v5, v4 offset:8
.LBB1211_142:
	s_or_b64 exec, exec, s[0:1]
	v_cmp_gt_u32_e32 vcc, 4, v0
	s_waitcnt lgkmcnt(0)
	s_barrier
	s_and_saveexec_b64 s[48:49], vcc
	s_cbranch_execz .LBB1211_148
; %bb.143:
	v_lshlrev_b32_e32 v20, 4, v0
	ds_read_b64 v[4:5], v20
	ds_read_b32 v21, v20 offset:8
	v_and_b32_e32 v24, 3, v52
	v_cmp_ne_u32_e32 vcc, 0, v24
	s_waitcnt lgkmcnt(1)
	v_mov_b32_dpp v48, v4 row_shr:1 row_mask:0xf bank_mask:0xf
	v_mov_b32_dpp v49, v5 row_shr:1 row_mask:0xf bank_mask:0xf
	s_waitcnt lgkmcnt(0)
	v_mov_b32_dpp v45, v21 row_shr:1 row_mask:0xf bank_mask:0xf
	v_mov_b32_e32 v25, v21
	v_mov_b32_e32 v44, v21
	s_and_saveexec_b64 s[0:1], vcc
; %bb.144:
	v_mov_b32_e32 v25, 0
	v_cmp_eq_u16_sdwa vcc, v21, v25 src0_sel:BYTE_0 src1_sel:DWORD
	v_or_b32_e32 v44, v45, v21
	v_and_b32_e32 v25, 1, v44
	v_cndmask_b32_e32 v49, 0, v49, vcc
	v_cndmask_b32_e32 v48, 0, v48, vcc
	v_and_b32_e32 v44, 1, v44
	s_movk_i32 s50, 0xff00
	v_lshl_add_u64 v[4:5], v[48:49], 0, v[4:5]
	v_and_or_b32 v21, v21, s50, v44
; %bb.145:
	s_or_b64 exec, exec, s[0:1]
	v_mov_b32_dpp v45, v4 row_shr:2 row_mask:0xf bank_mask:0xf
	v_mov_b32_dpp v48, v5 row_shr:2 row_mask:0xf bank_mask:0xf
	;; [unrolled: 1-line block ×3, first 2 shown]
	v_cmp_lt_u32_e32 vcc, 1, v24
	s_and_saveexec_b64 s[50:51], vcc
; %bb.146:
	v_mov_b32_e32 v24, 0
	v_cmp_eq_u16_sdwa vcc, v44, v24 src0_sel:BYTE_0 src1_sel:DWORD
	v_and_b32_e32 v21, 1, v21
	v_cmp_eq_u32_e64 s[0:1], 1, v21
	v_cndmask_b32_e32 v25, 0, v48, vcc
	v_cndmask_b32_e32 v24, 0, v45, vcc
	v_lshl_add_u64 v[4:5], v[24:25], 0, v[4:5]
	v_and_b32_e32 v24, 1, v44
	v_cmp_eq_u32_e32 vcc, 1, v24
	s_or_b64 s[0:1], vcc, s[0:1]
	v_cndmask_b32_e64 v25, 0, 1, s[0:1]
; %bb.147:
	s_or_b64 exec, exec, s[50:51]
	ds_write_b64 v20, v[4:5]
	ds_write_b8 v20, v25 offset:8
.LBB1211_148:
	s_or_b64 exec, exec, s[48:49]
	v_cmp_gt_u32_e32 vcc, 64, v0
	v_cmp_lt_u32_e64 s[0:1], 63, v0
	v_mov_b32_e32 v44, 0
	v_mov_b64_e32 v[4:5], 0
	s_waitcnt lgkmcnt(0)
	s_barrier
	s_and_saveexec_b64 s[48:49], s[0:1]
	s_cbranch_execz .LBB1211_150
; %bb.149:
	v_lshl_add_u32 v13, v13, 4, -16
	ds_read_b64 v[4:5], v13
	ds_read_u8 v44, v13 offset:8
	v_and_b32_e32 v20, 1, v12
	v_cmp_eq_u32_e64 s[0:1], 0, v12
	s_waitcnt lgkmcnt(1)
	s_nop 0
	v_cndmask_b32_e64 v13, 0, v5, s[0:1]
	v_cndmask_b32_e64 v12, 0, v4, s[0:1]
	v_cmp_eq_u32_e64 s[0:1], 1, v20
	v_lshl_add_u64 v[8:9], v[12:13], 0, v[8:9]
	s_waitcnt lgkmcnt(0)
	v_cndmask_b32_e64 v12, v44, 1, s[0:1]
.LBB1211_150:
	s_or_b64 exec, exec, s[48:49]
	v_add_u32_e32 v13, -1, v52
	v_and_b32_e32 v20, 64, v52
	v_cmp_lt_i32_e64 s[0:1], v13, v20
	v_cmp_eq_u32_e64 s[48:49], 0, v52
	s_nop 0
	v_cndmask_b32_e64 v13, v13, v52, s[0:1]
	v_lshlrev_b32_e32 v13, 2, v13
	ds_bpermute_b32 v45, v13, v8
	ds_bpermute_b32 v48, v13, v9
	;; [unrolled: 1-line block ×3, first 2 shown]
	s_and_saveexec_b64 s[50:51], vcc
	s_cbranch_execz .LBB1211_193
; %bb.151:
	v_mov_b32_e32 v13, 0
	ds_read2_b64 v[80:83], v13 offset0:6 offset1:7
	s_and_saveexec_b64 s[0:1], s[48:49]
	s_cbranch_execz .LBB1211_153
; %bb.152:
	s_add_i32 s52, s92, 64
	s_mov_b32 s53, 0
	s_lshl_b64 s[54:55], s[52:53], 4
	v_readlane_b32 s80, v131, 0
	v_readlane_b32 s81, v131, 1
	s_add_u32 s54, s80, s54
	v_readlane_b32 s84, v131, 4
	v_readlane_b32 s85, v131, 5
	s_addc_u32 s55, s81, s55
	v_mov_b32_e32 v8, s52
	v_mov_b32_e32 v9, 1
	v_readlane_b32 s82, v131, 2
	v_readlane_b32 s83, v131, 3
	;; [unrolled: 1-line block ×4, first 2 shown]
	s_waitcnt lgkmcnt(0)
	global_store_dword v13, v80, s[54:55] sc1
	global_store_dword v13, v81, s[54:55] offset:4 sc1
	global_store_dword v13, v82, s[54:55] offset:8 sc1
	global_store_dword v13, v83, s[54:55] offset:12 sc1
	s_waitcnt vmcnt(0)
	global_store_byte v8, v9, s[84:85] sc1
.LBB1211_153:
	s_or_b64 exec, exec, s[0:1]
	v_xad_u32 v8, v52, -1, s92
	v_readlane_b32 s80, v131, 0
	v_add_u32_e32 v12, 64, v8
	v_readlane_b32 s84, v131, 4
	v_readlane_b32 s85, v131, 5
	;; [unrolled: 1-line block ×7, first 2 shown]
	global_load_ubyte v53, v12, s[84:85] sc1
	s_waitcnt vmcnt(0)
	v_cmp_eq_u16_e32 vcc, 0, v53
	s_and_saveexec_b64 s[0:1], vcc
	s_cbranch_execz .LBB1211_157
; %bb.154:
	v_readlane_b32 s80, v131, 0
	v_readlane_b32 s84, v131, 4
	v_readlane_b32 s85, v131, 5
	s_mov_b64 s[52:53], 0
	v_readlane_b32 s81, v131, 1
	v_lshl_add_u64 v[20:21], s[84:85], 0, v[12:13]
	v_readlane_b32 s82, v131, 2
	v_readlane_b32 s83, v131, 3
	;; [unrolled: 1-line block ×4, first 2 shown]
.LBB1211_155:                           ; =>This Inner Loop Header: Depth=1
	global_load_ubyte v53, v[20:21], off sc1
	s_waitcnt vmcnt(0)
	v_cmp_ne_u16_e32 vcc, 0, v53
	s_or_b64 s[52:53], vcc, s[52:53]
	s_andn2_b64 exec, exec, s[52:53]
	s_cbranch_execnz .LBB1211_155
; %bb.156:
	s_or_b64 exec, exec, s[52:53]
.LBB1211_157:
	s_or_b64 exec, exec, s[0:1]
	v_readlane_b32 s80, v131, 0
	v_readlane_b32 s81, v131, 1
	;; [unrolled: 1-line block ×4, first 2 shown]
	v_mov_b32_e32 v20, s81
	v_mov_b32_e32 v9, s83
	v_cmp_eq_u16_e32 vcc, 1, v53
	s_waitcnt vmcnt(0) lgkmcnt(0)
	s_nop 0
	v_cndmask_b32_e32 v21, v9, v20, vcc
	v_mov_b32_e32 v9, s82
	v_mov_b32_e32 v20, s80
	v_cndmask_b32_e32 v20, v9, v20, vcc
	v_lshl_add_u64 v[12:13], v[12:13], 4, v[20:21]
	global_load_dword v24, v[12:13], off sc1
	global_load_dword v25, v[12:13], off offset:4 sc1
	global_load_dword v84, v[12:13], off offset:8 sc1
	;; [unrolled: 1-line block ×3, first 2 shown]
	v_cmp_eq_u16_e32 vcc, 2, v53
	v_lshlrev_b64 v[12:13], v52, -1
	v_and_b32_e32 v56, 63, v52
	s_waitcnt vmcnt(0)
	v_and_b32_e32 v9, vcc_hi, v13
	v_and_b32_e32 v64, vcc_lo, v12
	v_cmp_ne_u32_e32 vcc, 63, v56
	v_or_b32_e32 v9, 0x80000000, v9
	v_ffbl_b32_e32 v9, v9
	v_addc_co_u32_e32 v20, vcc, 0, v52, vcc
	v_lshlrev_b32_e32 v57, 2, v20
	v_add_u32_e32 v9, 32, v9
	v_ffbl_b32_e32 v64, v64
	v_min_u32_e32 v9, v64, v9
	v_cmp_lt_u32_e32 vcc, v56, v9
	v_readlane_b32 s84, v131, 4
	v_readlane_b32 s85, v131, 5
	;; [unrolled: 1-line block ×4, first 2 shown]
	ds_bpermute_b32 v60, v57, v24
	ds_bpermute_b32 v61, v57, v25
	v_and_b32_e32 v20, 0xff, v84
	ds_bpermute_b32 v21, v57, v20
	s_and_saveexec_b64 s[0:1], vcc
	s_cbranch_execz .LBB1211_159
; %bb.158:
	v_mov_b32_e32 v20, 0
	v_cmp_eq_u16_sdwa vcc, v84, v20 src0_sel:BYTE_0 src1_sel:DWORD
	s_waitcnt lgkmcnt(0)
	v_or_b32_e32 v20, v21, v84
	v_and_b32_e32 v84, 1, v20
	v_cndmask_b32_e32 v61, 0, v61, vcc
	v_cndmask_b32_e32 v60, 0, v60, vcc
	v_lshl_add_u64 v[24:25], v[60:61], 0, v[24:25]
	v_and_b32_e32 v20, 1, v20
.LBB1211_159:
	s_or_b64 exec, exec, s[0:1]
	v_cmp_gt_u32_e32 vcc, 62, v56
	s_waitcnt lgkmcnt(1)
	v_add_u32_e32 v61, 2, v56
	s_waitcnt lgkmcnt(0)
	v_cndmask_b32_e64 v21, 0, 1, vcc
	v_lshlrev_b32_e32 v21, 1, v21
	v_add_lshl_u32 v60, v21, v52, 2
	ds_bpermute_b32 v64, v60, v24
	ds_bpermute_b32 v65, v60, v25
	ds_bpermute_b32 v21, v60, v20
	v_cmp_le_u32_e32 vcc, v61, v9
	s_and_saveexec_b64 s[52:53], vcc
	s_cbranch_execz .LBB1211_161
; %bb.160:
	v_mov_b32_e32 v20, 0
	v_cmp_eq_u16_sdwa vcc, v84, v20 src0_sel:BYTE_0 src1_sel:DWORD
	v_and_b32_e32 v20, 1, v84
	s_waitcnt lgkmcnt(1)
	v_cndmask_b32_e32 v65, 0, v65, vcc
	v_cndmask_b32_e32 v64, 0, v64, vcc
	v_cmp_eq_u32_e32 vcc, 1, v20
	s_waitcnt lgkmcnt(0)
	v_and_b32_e32 v20, 1, v21
	v_cmp_eq_u32_e64 s[0:1], 1, v20
	s_or_b64 s[0:1], vcc, s[0:1]
	v_lshl_add_u64 v[24:25], v[64:65], 0, v[24:25]
	v_cndmask_b32_e64 v84, 0, 1, s[0:1]
	v_cndmask_b32_e64 v20, 0, 1, s[0:1]
.LBB1211_161:
	s_or_b64 exec, exec, s[52:53]
	v_cmp_gt_u32_e32 vcc, 60, v56
	s_waitcnt lgkmcnt(1)
	v_add_u32_e32 v65, 4, v56
	s_waitcnt lgkmcnt(0)
	v_cndmask_b32_e64 v21, 0, 1, vcc
	v_lshlrev_b32_e32 v21, 2, v21
	v_add_lshl_u32 v64, v21, v52, 2
	ds_bpermute_b32 v68, v64, v24
	ds_bpermute_b32 v69, v64, v25
	ds_bpermute_b32 v21, v64, v20
	v_cmp_le_u32_e32 vcc, v65, v9
	s_and_saveexec_b64 s[52:53], vcc
	s_cbranch_execz .LBB1211_163
; %bb.162:
	v_mov_b32_e32 v20, 0
	v_cmp_eq_u16_sdwa vcc, v84, v20 src0_sel:BYTE_0 src1_sel:DWORD
	v_and_b32_e32 v20, 1, v84
	s_waitcnt lgkmcnt(1)
	v_cndmask_b32_e32 v69, 0, v69, vcc
	v_cndmask_b32_e32 v68, 0, v68, vcc
	v_cmp_eq_u32_e32 vcc, 1, v20
	s_waitcnt lgkmcnt(0)
	v_and_b32_e32 v20, 1, v21
	v_cmp_eq_u32_e64 s[0:1], 1, v20
	s_or_b64 s[0:1], vcc, s[0:1]
	v_lshl_add_u64 v[24:25], v[68:69], 0, v[24:25]
	v_cndmask_b32_e64 v84, 0, 1, s[0:1]
	v_cndmask_b32_e64 v20, 0, 1, s[0:1]
.LBB1211_163:
	;; [unrolled: 30-line block ×4, first 2 shown]
	s_or_b64 exec, exec, s[52:53]
	v_cmp_gt_u32_e32 vcc, 32, v56
	s_waitcnt lgkmcnt(1)
	v_add_u32_e32 v77, 32, v56
	s_waitcnt lgkmcnt(0)
	v_cndmask_b32_e64 v21, 0, 1, vcc
	v_lshlrev_b32_e32 v21, 5, v21
	v_add_lshl_u32 v76, v21, v52, 2
	ds_bpermute_b32 v21, v76, v24
	ds_bpermute_b32 v52, v76, v25
	;; [unrolled: 1-line block ×3, first 2 shown]
	v_cmp_le_u32_e32 vcc, v77, v9
	s_and_saveexec_b64 s[52:53], vcc
	s_cbranch_execz .LBB1211_169
; %bb.168:
	v_mov_b32_e32 v9, 0
	v_cmp_eq_u16_sdwa vcc, v84, v9 src0_sel:BYTE_0 src1_sel:DWORD
	v_and_b32_e32 v9, 1, v84
	s_waitcnt lgkmcnt(1)
	v_cndmask_b32_e32 v87, 0, v52, vcc
	v_cndmask_b32_e32 v86, 0, v21, vcc
	v_cmp_eq_u32_e32 vcc, 1, v9
	s_waitcnt lgkmcnt(0)
	v_and_b32_e32 v9, 1, v20
	v_cmp_eq_u32_e64 s[0:1], 1, v9
	s_or_b64 s[0:1], vcc, s[0:1]
	v_lshl_add_u64 v[24:25], v[86:87], 0, v[24:25]
	v_cndmask_b32_e64 v84, 0, 1, s[0:1]
.LBB1211_169:
	s_or_b64 exec, exec, s[52:53]
	v_mov_b32_e32 v9, 0
	v_mov_b32_e32 v83, 2
	s_branch .LBB1211_171
.LBB1211_170:                           ;   in Loop: Header=BB1211_171 Depth=1
	s_or_b64 exec, exec, s[54:55]
	v_cmp_eq_u16_sdwa vcc, v52, v9 src0_sel:BYTE_0 src1_sel:DWORD
	v_and_b32_e32 v84, 1, v52
	v_subrev_u32_e32 v8, 64, v8
	v_cndmask_b32_e32 v25, 0, v25, vcc
	v_cndmask_b32_e32 v24, 0, v24, vcc
	v_cmp_eq_u32_e32 vcc, 1, v84
	s_or_b64 s[0:1], vcc, s[52:53]
	v_lshl_add_u64 v[24:25], v[24:25], 0, v[20:21]
	v_cndmask_b32_e64 v84, 0, 1, s[0:1]
.LBB1211_171:                           ; =>This Loop Header: Depth=1
                                        ;     Child Loop BB1211_174 Depth 2
	v_cmp_ne_u16_sdwa s[0:1], v53, v83 src0_sel:BYTE_0 src1_sel:DWORD
	s_waitcnt lgkmcnt(1)
	v_mov_b32_e32 v52, v84
	s_waitcnt lgkmcnt(0)
	v_cndmask_b32_e64 v20, 0, 1, s[0:1]
	;;#ASMSTART
	;;#ASMEND
	s_nop 0
	v_cmp_ne_u32_e32 vcc, 0, v20
	s_cmp_lg_u64 vcc, exec
	v_mov_b64_e32 v[20:21], v[24:25]
	s_cbranch_scc1 .LBB1211_188
; %bb.172:                              ;   in Loop: Header=BB1211_171 Depth=1
	v_readlane_b32 s80, v131, 0
	v_readlane_b32 s84, v131, 4
	;; [unrolled: 1-line block ×8, first 2 shown]
	global_load_ubyte v53, v8, s[84:85] sc1
	s_waitcnt vmcnt(0)
	v_cmp_eq_u16_e32 vcc, 0, v53
	s_and_saveexec_b64 s[0:1], vcc
	s_cbranch_execz .LBB1211_176
; %bb.173:                              ;   in Loop: Header=BB1211_171 Depth=1
	v_readlane_b32 s80, v131, 0
	v_readlane_b32 s84, v131, 4
	;; [unrolled: 1-line block ×3, first 2 shown]
	s_mov_b64 s[52:53], 0
	v_readlane_b32 s81, v131, 1
	v_lshl_add_u64 v[24:25], s[84:85], 0, v[8:9]
	v_readlane_b32 s82, v131, 2
	v_readlane_b32 s83, v131, 3
	;; [unrolled: 1-line block ×4, first 2 shown]
.LBB1211_174:                           ;   Parent Loop BB1211_171 Depth=1
                                        ; =>  This Inner Loop Header: Depth=2
	global_load_ubyte v53, v[24:25], off sc1
	s_waitcnt vmcnt(0)
	v_cmp_ne_u16_e32 vcc, 0, v53
	s_or_b64 s[52:53], vcc, s[52:53]
	s_andn2_b64 exec, exec, s[52:53]
	s_cbranch_execnz .LBB1211_174
; %bb.175:                              ;   in Loop: Header=BB1211_171 Depth=1
	s_or_b64 exec, exec, s[52:53]
.LBB1211_176:                           ;   in Loop: Header=BB1211_171 Depth=1
	s_or_b64 exec, exec, s[0:1]
	v_readlane_b32 s80, v131, 0
	v_readlane_b32 s81, v131, 1
	;; [unrolled: 1-line block ×4, first 2 shown]
	v_mov_b32_e32 v25, s81
	v_mov_b32_e32 v24, s83
	v_cmp_eq_u16_e32 vcc, 1, v53
	v_mov_b32_e32 v84, s80
	s_waitcnt vmcnt(0)
	v_cndmask_b32_e32 v25, v24, v25, vcc
	v_mov_b32_e32 v24, s82
	v_cndmask_b32_e32 v24, v24, v84, vcc
	v_lshl_add_u64 v[86:87], v[8:9], 4, v[24:25]
	global_load_dword v24, v[86:87], off sc1
	global_load_dword v25, v[86:87], off offset:4 sc1
	global_load_dword v84, v[86:87], off offset:8 sc1
	;; [unrolled: 1-line block ×3, first 2 shown]
	v_cmp_eq_u16_e32 vcc, 2, v53
	v_readlane_b32 s84, v131, 4
	v_readlane_b32 s85, v131, 5
	s_waitcnt vmcnt(0)
	v_and_b32_e32 v85, vcc_hi, v13
	v_or_b32_e32 v85, 0x80000000, v85
	v_and_b32_e32 v90, vcc_lo, v12
	v_ffbl_b32_e32 v85, v85
	v_add_u32_e32 v85, 32, v85
	v_ffbl_b32_e32 v90, v90
	v_min_u32_e32 v85, v90, v85
	v_cmp_lt_u32_e32 vcc, v56, v85
	v_readlane_b32 s86, v131, 6
	v_readlane_b32 s87, v131, 7
	ds_bpermute_b32 v88, v57, v24
	ds_bpermute_b32 v89, v57, v25
	v_and_b32_e32 v86, 0xff, v84
	ds_bpermute_b32 v87, v57, v86
	s_and_saveexec_b64 s[0:1], vcc
	s_cbranch_execz .LBB1211_178
; %bb.177:                              ;   in Loop: Header=BB1211_171 Depth=1
	v_cmp_eq_u16_sdwa vcc, v84, v9 src0_sel:BYTE_0 src1_sel:DWORD
	s_waitcnt lgkmcnt(0)
	v_or_b32_e32 v86, v87, v84
	v_and_b32_e32 v84, 1, v86
	v_cndmask_b32_e32 v89, 0, v89, vcc
	v_cndmask_b32_e32 v88, 0, v88, vcc
	v_lshl_add_u64 v[24:25], v[88:89], 0, v[24:25]
	v_and_b32_e32 v86, 1, v86
.LBB1211_178:                           ;   in Loop: Header=BB1211_171 Depth=1
	s_or_b64 exec, exec, s[0:1]
	s_waitcnt lgkmcnt(2)
	ds_bpermute_b32 v88, v60, v24
	s_waitcnt lgkmcnt(2)
	ds_bpermute_b32 v89, v60, v25
	s_waitcnt lgkmcnt(2)
	ds_bpermute_b32 v87, v60, v86
	v_and_b32_e32 v90, 1, v84
	v_cmp_le_u32_e32 vcc, v61, v85
	v_cmp_eq_u32_e64 s[52:53], 1, v90
	s_and_saveexec_b64 s[0:1], vcc
	s_cbranch_execz .LBB1211_180
; %bb.179:                              ;   in Loop: Header=BB1211_171 Depth=1
	v_cmp_eq_u16_sdwa vcc, v84, v9 src0_sel:BYTE_0 src1_sel:DWORD
	s_waitcnt lgkmcnt(0)
	v_and_b32_e32 v84, 1, v87
	v_cndmask_b32_e32 v89, 0, v89, vcc
	v_cndmask_b32_e32 v88, 0, v88, vcc
	v_cmp_eq_u32_e32 vcc, 1, v84
	s_or_b64 s[54:55], s[52:53], vcc
	v_cndmask_b32_e64 v84, 0, 1, s[54:55]
	v_cndmask_b32_e64 v86, 0, 1, s[54:55]
	s_andn2_b64 s[52:53], s[52:53], exec
	s_and_b64 s[54:55], s[54:55], exec
	v_lshl_add_u64 v[24:25], v[88:89], 0, v[24:25]
	s_or_b64 s[52:53], s[52:53], s[54:55]
.LBB1211_180:                           ;   in Loop: Header=BB1211_171 Depth=1
	s_or_b64 exec, exec, s[0:1]
	s_waitcnt lgkmcnt(2)
	ds_bpermute_b32 v88, v64, v24
	s_waitcnt lgkmcnt(2)
	ds_bpermute_b32 v89, v64, v25
	s_waitcnt lgkmcnt(2)
	ds_bpermute_b32 v87, v64, v86
	v_cmp_le_u32_e32 vcc, v65, v85
	s_and_saveexec_b64 s[54:55], vcc
	s_cbranch_execz .LBB1211_182
; %bb.181:                              ;   in Loop: Header=BB1211_171 Depth=1
	v_cmp_eq_u16_sdwa vcc, v84, v9 src0_sel:BYTE_0 src1_sel:DWORD
	v_and_b32_e32 v84, 1, v84
	s_andn2_b64 s[52:53], s[52:53], exec
	s_waitcnt lgkmcnt(1)
	v_cndmask_b32_e32 v89, 0, v89, vcc
	v_cndmask_b32_e32 v88, 0, v88, vcc
	v_cmp_eq_u32_e32 vcc, 1, v84
	s_waitcnt lgkmcnt(0)
	v_and_b32_e32 v84, 1, v87
	v_cmp_eq_u32_e64 s[0:1], 1, v84
	s_or_b64 s[0:1], vcc, s[0:1]
	v_lshl_add_u64 v[24:25], v[88:89], 0, v[24:25]
	v_cndmask_b32_e64 v84, 0, 1, s[0:1]
	v_cndmask_b32_e64 v86, 0, 1, s[0:1]
	s_and_b64 s[0:1], s[0:1], exec
	s_or_b64 s[52:53], s[52:53], s[0:1]
.LBB1211_182:                           ;   in Loop: Header=BB1211_171 Depth=1
	s_or_b64 exec, exec, s[54:55]
	s_waitcnt lgkmcnt(2)
	ds_bpermute_b32 v88, v68, v24
	s_waitcnt lgkmcnt(2)
	ds_bpermute_b32 v89, v68, v25
	s_waitcnt lgkmcnt(2)
	ds_bpermute_b32 v87, v68, v86
	v_cmp_le_u32_e32 vcc, v69, v85
	s_and_saveexec_b64 s[54:55], vcc
	s_cbranch_execz .LBB1211_184
; %bb.183:                              ;   in Loop: Header=BB1211_171 Depth=1
	v_cmp_eq_u16_sdwa vcc, v84, v9 src0_sel:BYTE_0 src1_sel:DWORD
	v_and_b32_e32 v84, 1, v84
	s_andn2_b64 s[52:53], s[52:53], exec
	s_waitcnt lgkmcnt(1)
	v_cndmask_b32_e32 v89, 0, v89, vcc
	v_cndmask_b32_e32 v88, 0, v88, vcc
	v_cmp_eq_u32_e32 vcc, 1, v84
	s_waitcnt lgkmcnt(0)
	v_and_b32_e32 v84, 1, v87
	v_cmp_eq_u32_e64 s[0:1], 1, v84
	s_or_b64 s[0:1], vcc, s[0:1]
	v_lshl_add_u64 v[24:25], v[88:89], 0, v[24:25]
	v_cndmask_b32_e64 v84, 0, 1, s[0:1]
	v_cndmask_b32_e64 v86, 0, 1, s[0:1]
	s_and_b64 s[0:1], s[0:1], exec
	s_or_b64 s[52:53], s[52:53], s[0:1]
.LBB1211_184:                           ;   in Loop: Header=BB1211_171 Depth=1
	;; [unrolled: 28-line block ×3, first 2 shown]
	s_or_b64 exec, exec, s[54:55]
	s_waitcnt lgkmcnt(0)
	ds_bpermute_b32 v87, v76, v24
	ds_bpermute_b32 v88, v76, v25
	;; [unrolled: 1-line block ×3, first 2 shown]
	v_cmp_le_u32_e32 vcc, v77, v85
	s_and_saveexec_b64 s[54:55], vcc
	s_cbranch_execz .LBB1211_170
; %bb.187:                              ;   in Loop: Header=BB1211_171 Depth=1
	v_cmp_eq_u16_sdwa vcc, v84, v9 src0_sel:BYTE_0 src1_sel:DWORD
	v_and_b32_e32 v84, 1, v84
	s_andn2_b64 s[52:53], s[52:53], exec
	s_waitcnt lgkmcnt(1)
	v_cndmask_b32_e32 v89, 0, v88, vcc
	v_cndmask_b32_e32 v88, 0, v87, vcc
	v_cmp_eq_u32_e32 vcc, 1, v84
	s_waitcnt lgkmcnt(0)
	v_and_b32_e32 v84, 1, v86
	v_cmp_eq_u32_e64 s[0:1], 1, v84
	s_or_b64 s[0:1], vcc, s[0:1]
	s_and_b64 s[0:1], s[0:1], exec
	v_lshl_add_u64 v[24:25], v[88:89], 0, v[24:25]
	s_or_b64 s[52:53], s[52:53], s[0:1]
	s_branch .LBB1211_170
.LBB1211_188:                           ;   in Loop: Header=BB1211_171 Depth=1
                                        ; implicit-def: $vgpr84
                                        ; implicit-def: $vgpr24_vgpr25
                                        ; implicit-def: $vgpr53
	s_cbranch_execz .LBB1211_171
; %bb.189:
	s_and_saveexec_b64 s[0:1], s[48:49]
	s_cbranch_execz .LBB1211_191
; %bb.190:
	v_readlane_b32 s80, v131, 0
	s_mov_b32 s53, 0
	v_mov_b32_e32 v12, 0
	s_add_i32 s52, s92, 64
	v_readlane_b32 s82, v131, 2
	v_readlane_b32 s83, v131, 3
	v_cmp_eq_u32_sdwa vcc, v82, v12 src0_sel:BYTE_0 src1_sel:DWORD
	s_lshl_b64 s[54:55], s[52:53], 4
	s_mov_b64 s[62:63], s[82:83]
	v_cndmask_b32_e32 v9, 0, v21, vcc
	v_cndmask_b32_e32 v8, 0, v20, vcc
	v_and_b32_e32 v13, 1, v82
	s_add_u32 s54, s62, s54
	v_lshl_add_u64 v[8:9], v[8:9], 0, v[80:81]
	v_and_b32_e32 v24, 1, v52
	v_cmp_eq_u32_e32 vcc, 1, v13
	v_readlane_b32 s84, v131, 4
	v_readlane_b32 s85, v131, 5
	s_addc_u32 s55, s63, s55
	v_cndmask_b32_e64 v13, v24, 1, vcc
	v_readlane_b32 s86, v131, 6
	s_mov_b64 s[64:65], s[84:85]
	global_store_dword v12, v8, s[54:55] sc1
	global_store_dword v12, v9, s[54:55] offset:4 sc1
	global_store_dword v12, v13, s[54:55] offset:8 sc1
	;; [unrolled: 1-line block ×3, first 2 shown]
	v_mov_b32_e32 v8, s52
	v_mov_b32_e32 v9, 2
	v_readlane_b32 s81, v131, 1
	v_readlane_b32 s87, v131, 7
	s_mov_b32 s66, s86
	s_waitcnt vmcnt(0) lgkmcnt(0)
	global_store_byte v8, v9, s[64:65] sc1
.LBB1211_191:
	s_or_b64 exec, exec, s[0:1]
	s_and_b64 exec, exec, s[68:69]
	s_cbranch_execz .LBB1211_193
; %bb.192:
	v_mov_b32_e32 v8, 0
	ds_write_b64 v8, v[20:21] offset:48
	ds_write_b8 v8, v52 offset:56
.LBB1211_193:
	s_or_b64 exec, exec, s[50:51]
	s_waitcnt lgkmcnt(0)
	v_cndmask_b32_e64 v8, v49, v44, s[48:49]
	v_mov_b32_e32 v13, 0
	v_cndmask_b32_e64 v9, v48, v5, s[48:49]
	v_cndmask_b32_e64 v12, v45, v4, s[48:49]
	v_cmp_eq_u16_sdwa vcc, v1, v13 src0_sel:BYTE_0 src1_sel:DWORD
	v_and_b32_e32 v20, 1, v1
	v_and_b32_e32 v8, 1, v8
	s_barrier
	ds_read_b64 v[4:5], v13 offset:48
	v_cndmask_b32_e32 v12, 0, v12, vcc
	v_cndmask_b32_e32 v9, 0, v9, vcc
	v_cmp_eq_u32_e32 vcc, 1, v20
	v_cmp_eq_u32_e64 s[0:1], 1, v8
	s_or_b64 s[0:1], vcc, s[0:1]
	v_cndmask_b32_e64 v9, v9, 0, s[68:69]
	v_cndmask_b32_e64 v8, 0, 1, s[0:1]
	v_cndmask_b32_e64 v20, v8, v1, s[68:69]
	v_cndmask_b32_e64 v8, v12, 0, s[68:69]
	v_cmp_eq_u16_sdwa vcc, v20, v13 src0_sel:BYTE_0 src1_sel:DWORD
	v_lshl_add_u64 v[8:9], v[8:9], 0, v[2:3]
	s_waitcnt lgkmcnt(0)
	v_cndmask_b32_e32 v5, 0, v5, vcc
	v_cndmask_b32_e32 v4, 0, v4, vcc
	v_lshl_add_u64 v[114:115], v[8:9], 0, v[4:5]
	v_cndmask_b32_e64 v5, 0, v115, s[6:7]
	v_cndmask_b32_e64 v4, 0, v114, s[6:7]
	v_lshl_add_u64 v[44:45], v[4:5], 0, v[14:15]
	v_cndmask_b32_e64 v5, 0, v45, s[8:9]
	v_cndmask_b32_e64 v4, 0, v44, s[8:9]
	;; [unrolled: 3-line block ×20, first 2 shown]
	v_lshl_add_u64 v[120:121], v[4:5], 0, v[16:17]
	s_branch .LBB1211_224
.LBB1211_194:
                                        ; implicit-def: $vgpr112_vgpr113_vgpr114_vgpr115
                                        ; implicit-def: $vgpr120_vgpr121
                                        ; implicit-def: $vgpr118_vgpr119
                                        ; implicit-def: $vgpr76_vgpr77
                                        ; implicit-def: $vgpr72_vgpr73
                                        ; implicit-def: $vgpr68_vgpr69
                                        ; implicit-def: $vgpr64_vgpr65
                                        ; implicit-def: $vgpr60_vgpr61
                                        ; implicit-def: $vgpr56_vgpr57
                                        ; implicit-def: $vgpr52_vgpr53
                                        ; implicit-def: $vgpr48_vgpr49
                                        ; implicit-def: $vgpr44_vgpr45
                                        ; implicit-def: $vgpr108_vgpr109_vgpr110_vgpr111
                                        ; implicit-def: $vgpr104_vgpr105_vgpr106_vgpr107
                                        ; implicit-def: $vgpr100_vgpr101_vgpr102_vgpr103
                                        ; implicit-def: $vgpr96_vgpr97_vgpr98_vgpr99
                                        ; implicit-def: $vgpr92_vgpr93_vgpr94_vgpr95
                                        ; implicit-def: $vgpr88_vgpr89_vgpr90_vgpr91
                                        ; implicit-def: $vgpr84_vgpr85_vgpr86_vgpr87
                                        ; implicit-def: $vgpr80_vgpr81_vgpr82_vgpr83
                                        ; implicit-def: $vgpr114_vgpr115_vgpr116_vgpr117
	s_mov_b64 s[58:59], s[90:91]
	s_cbranch_execz .LBB1211_224
; %bb.195:
	v_readlane_b32 s0, v131, 8
	v_readlane_b32 s1, v131, 9
	s_cmp_lg_u64 s[0:1], 0
	s_cselect_b32 s7, s59, 0
	s_cselect_b32 s6, s58, 0
	s_cmp_lg_u64 s[6:7], 0
	s_cselect_b64 s[0:1], -1, 0
	s_and_b64 s[8:9], s[68:69], s[0:1]
	s_and_saveexec_b64 s[0:1], s[8:9]
	s_cbranch_execz .LBB1211_197
; %bb.196:
	v_mov_b32_e32 v8, 0
	global_load_dwordx2 v[4:5], v8, s[6:7]
	global_load_ubyte v9, v8, s[6:7] offset:8
	v_cmp_eq_u16_sdwa vcc, v1, v8 src0_sel:BYTE_0 src1_sel:DWORD
	s_waitcnt vmcnt(0)
	v_or_b32_e32 v1, v1, v9
	v_cndmask_b32_e32 v5, 0, v5, vcc
	v_cndmask_b32_e32 v4, 0, v4, vcc
	v_lshl_add_u64 v[2:3], v[4:5], 0, v[2:3]
	v_and_b32_e32 v1, 1, v1
.LBB1211_197:
	s_or_b64 exec, exec, s[0:1]
	v_mov_b32_e32 v9, 0
	v_cmp_eq_u16_sdwa vcc, v128, v9 src0_sel:BYTE_0 src1_sel:DWORD
	v_cmp_eq_u16_sdwa s[6:7], v130, v9 src0_sel:BYTE_0 src1_sel:DWORD
	s_movk_i32 s40, 0xff
	v_cndmask_b32_e32 v5, 0, v3, vcc
	v_cndmask_b32_e32 v4, 0, v2, vcc
	v_lshl_add_u64 v[44:45], v[4:5], 0, v[14:15]
	v_cndmask_b32_e64 v5, 0, v45, s[6:7]
	v_cndmask_b32_e64 v4, 0, v44, s[6:7]
	v_lshl_add_u64 v[80:81], v[4:5], 0, v[6:7]
	v_and_b32_sdwa v4, v128, s40 dst_sel:DWORD dst_unused:UNUSED_PAD src0_sel:WORD_1 src1_sel:DWORD
	v_cmp_eq_u16_e64 s[8:9], 0, v4
	v_cmp_eq_u16_sdwa s[10:11], v128, v9 src0_sel:BYTE_3 src1_sel:DWORD
	v_cmp_eq_u16_sdwa s[12:13], v123, v9 src0_sel:BYTE_0 src1_sel:DWORD
	v_cndmask_b32_e64 v5, 0, v81, s[8:9]
	v_cndmask_b32_e64 v4, 0, v80, s[8:9]
	v_lshl_add_u64 v[48:49], v[4:5], 0, v[26:27]
	v_cndmask_b32_e64 v5, 0, v49, s[10:11]
	v_cndmask_b32_e64 v4, 0, v48, s[10:11]
	v_lshl_add_u64 v[84:85], v[4:5], 0, v[18:19]
	;; [unrolled: 3-line block ×3, first 2 shown]
	v_cmp_eq_u16_sdwa s[14:15], v127, v9 src0_sel:BYTE_0 src1_sel:DWORD
	v_cmp_eq_u16_sdwa s[16:17], v41, v9 src0_sel:BYTE_0 src1_sel:DWORD
	v_cmp_eq_u16_sdwa s[20:21], v127, v9 src0_sel:BYTE_3 src1_sel:DWORD
	v_cndmask_b32_e64 v5, 0, v53, s[14:15]
	v_cndmask_b32_e64 v4, 0, v52, s[14:15]
	v_lshl_add_u64 v[88:89], v[4:5], 0, v[22:23]
	v_cndmask_b32_e64 v5, 0, v89, s[16:17]
	v_cndmask_b32_e64 v4, 0, v88, s[16:17]
	v_lshl_add_u64 v[56:57], v[4:5], 0, v[42:43]
	v_and_b32_sdwa v4, v127, s40 dst_sel:DWORD dst_unused:UNUSED_PAD src0_sel:WORD_1 src1_sel:DWORD
	v_cmp_eq_u16_e64 s[18:19], 0, v4
	v_cmp_eq_u16_sdwa s[22:23], v124, v9 src0_sel:BYTE_0 src1_sel:DWORD
	v_cmp_eq_u16_sdwa s[24:25], v126, v9 src0_sel:BYTE_0 src1_sel:DWORD
	v_cndmask_b32_e64 v5, 0, v57, s[18:19]
	v_cndmask_b32_e64 v4, 0, v56, s[18:19]
	v_lshl_add_u64 v[92:93], v[4:5], 0, v[30:31]
	v_cndmask_b32_e64 v5, 0, v93, s[20:21]
	v_cndmask_b32_e64 v4, 0, v92, s[20:21]
	v_lshl_add_u64 v[60:61], v[4:5], 0, v[50:51]
	;; [unrolled: 3-line block ×4, first 2 shown]
	v_cmp_eq_u16_sdwa s[26:27], v40, v9 src0_sel:BYTE_0 src1_sel:DWORD
	v_cmp_eq_u16_sdwa s[30:31], v126, v9 src0_sel:BYTE_3 src1_sel:DWORD
	v_cmp_eq_u16_sdwa s[34:35], v122, v9 src0_sel:BYTE_0 src1_sel:DWORD
	v_cndmask_b32_e64 v5, 0, v65, s[26:27]
	v_cndmask_b32_e64 v4, 0, v64, s[26:27]
	v_lshl_add_u64 v[100:101], v[4:5], 0, v[46:47]
	v_and_b32_sdwa v4, v126, s40 dst_sel:DWORD dst_unused:UNUSED_PAD src0_sel:WORD_1 src1_sel:DWORD
	v_cmp_eq_u16_e64 s[28:29], 0, v4
	v_cmp_eq_u16_sdwa s[36:37], v125, v9 src0_sel:BYTE_0 src1_sel:DWORD
	v_cmp_eq_u16_sdwa s[38:39], v36, v9 src0_sel:BYTE_0 src1_sel:DWORD
	v_cndmask_b32_e64 v5, 0, v101, s[28:29]
	v_cndmask_b32_e64 v4, 0, v100, s[28:29]
	v_lshl_add_u64 v[68:69], v[4:5], 0, v[66:67]
	v_cndmask_b32_e64 v5, 0, v69, s[30:31]
	v_cndmask_b32_e64 v4, 0, v68, s[30:31]
	v_lshl_add_u64 v[104:105], v[4:5], 0, v[54:55]
	;; [unrolled: 3-line block ×5, first 2 shown]
	v_and_b32_sdwa v4, v125, s40 dst_sel:DWORD dst_unused:UNUSED_PAD src0_sel:WORD_1 src1_sel:DWORD
	v_cmp_eq_u16_e64 s[40:41], 0, v4
	v_cmp_eq_u16_sdwa s[42:43], v125, v9 src0_sel:BYTE_3 src1_sel:DWORD
	v_cmp_eq_u16_sdwa s[44:45], v28, v9 src0_sel:BYTE_0 src1_sel:DWORD
	v_cndmask_b32_e64 v5, 0, v77, s[40:41]
	v_cndmask_b32_e64 v4, 0, v76, s[40:41]
	v_lshl_add_u64 v[112:113], v[4:5], 0, v[70:71]
	v_cndmask_b32_e64 v5, 0, v113, s[42:43]
	v_cndmask_b32_e64 v4, 0, v112, s[42:43]
	v_lshl_add_u64 v[118:119], v[4:5], 0, v[10:11]
	;; [unrolled: 3-line block ×3, first 2 shown]
	v_or_b32_e32 v4, v125, v126
	v_or3_b32 v4, v4, v127, v128
	v_lshrrev_b16_e32 v9, 7, v4
	v_and_b32_e32 v5, 1, v4
	v_and_b32_e32 v9, 2, v9
	v_or_b32_e32 v5, v5, v9
	v_lshrrev_b32_e32 v9, 23, v4
	v_mov_b32_e32 v12, 1
	v_and_b32_e32 v9, 2, v9
	v_and_b32_sdwa v4, v4, v12 dst_sel:DWORD dst_unused:UNUSED_PAD src0_sel:WORD_1 src1_sel:DWORD
	v_or_b32_e32 v4, v4, v9
	v_lshlrev_b16_e32 v4, 2, v4
	v_or_b32_e32 v4, v5, v4
	v_cmp_eq_u32_e64 s[50:51], 1, v32
	v_cmp_ne_u16_e64 s[52:53], 0, v4
	v_cmp_eq_u32_e64 s[48:49], 1, v33
	s_or_b64 s[50:51], s[52:53], s[50:51]
	v_cmp_eq_u32_e64 s[0:1], 1, v37
	s_or_b64 s[48:49], s[50:51], s[48:49]
	;; [unrolled: 2-line block ×3, first 2 shown]
	v_and_b32_e32 v8, 0xff, v1
	s_or_b64 s[0:1], s[0:1], s[46:47]
	v_mbcnt_hi_u32_b32 v12, -1, v29
	v_cndmask_b32_e64 v13, v8, 1, s[0:1]
	v_and_b32_e32 v20, 15, v12
	v_mov_b32_dpp v24, v120 row_shr:1 row_mask:0xf bank_mask:0xf
	v_mov_b32_dpp v25, v121 row_shr:1 row_mask:0xf bank_mask:0xf
	;; [unrolled: 1-line block ×3, first 2 shown]
	v_cmp_ne_u32_e64 s[0:1], 0, v20
	v_mov_b64_e32 v[4:5], v[120:121]
	v_mov_b32_e32 v9, v121
	v_mov_b32_e32 v8, v120
	s_and_saveexec_b64 s[46:47], s[0:1]
; %bb.198:
	v_cmp_eq_u32_e64 s[0:1], 0, v13
	v_and_or_b32 v13, v21, 1, v13
	s_nop 0
	v_cndmask_b32_e64 v5, 0, v25, s[0:1]
	v_cndmask_b32_e64 v4, 0, v24, s[0:1]
	v_lshl_add_u64 v[4:5], v[120:121], 0, v[4:5]
	v_mov_b32_e32 v9, v5
	v_mov_b32_e32 v8, v4
; %bb.199:
	s_or_b64 exec, exec, s[46:47]
	s_nop 0
	v_mov_b32_dpp v24, v8 row_shr:2 row_mask:0xf bank_mask:0xf
	v_mov_b32_dpp v25, v9 row_shr:2 row_mask:0xf bank_mask:0xf
	v_mov_b32_dpp v21, v13 row_shr:2 row_mask:0xf bank_mask:0xf
	v_cmp_lt_u32_e64 s[0:1], 1, v20
	s_and_saveexec_b64 s[46:47], s[0:1]
; %bb.200:
	v_cmp_eq_u32_e64 s[0:1], 0, v13
	s_nop 1
	v_cndmask_b32_e64 v9, 0, v25, s[0:1]
	v_cndmask_b32_e64 v8, 0, v24, s[0:1]
	v_lshl_add_u64 v[8:9], v[8:9], 0, v[4:5]
	v_or_b32_e32 v4, v21, v13
	v_and_b32_e32 v13, 1, v4
	v_mov_b64_e32 v[4:5], v[8:9]
; %bb.201:
	s_or_b64 exec, exec, s[46:47]
	v_mov_b32_dpp v24, v8 row_shr:4 row_mask:0xf bank_mask:0xf
	v_mov_b32_dpp v25, v9 row_shr:4 row_mask:0xf bank_mask:0xf
	v_mov_b32_dpp v21, v13 row_shr:4 row_mask:0xf bank_mask:0xf
	v_cmp_lt_u32_e64 s[0:1], 3, v20
	s_and_saveexec_b64 s[46:47], s[0:1]
; %bb.202:
	v_cmp_eq_u32_e64 s[0:1], 0, v13
	s_nop 1
	v_cndmask_b32_e64 v9, 0, v25, s[0:1]
	v_cndmask_b32_e64 v8, 0, v24, s[0:1]
	v_lshl_add_u64 v[8:9], v[8:9], 0, v[4:5]
	v_or_b32_e32 v4, v21, v13
	v_and_b32_e32 v13, 1, v4
	v_mov_b64_e32 v[4:5], v[8:9]
; %bb.203:
	s_or_b64 exec, exec, s[46:47]
	v_mov_b32_dpp v24, v8 row_shr:8 row_mask:0xf bank_mask:0xf
	v_mov_b32_dpp v25, v9 row_shr:8 row_mask:0xf bank_mask:0xf
	v_mov_b32_dpp v21, v13 row_shr:8 row_mask:0xf bank_mask:0xf
	v_cmp_lt_u32_e64 s[0:1], 7, v20
	s_and_saveexec_b64 s[46:47], s[0:1]
; %bb.204:
	v_cmp_eq_u32_e64 s[0:1], 0, v13
	s_nop 1
	v_cndmask_b32_e64 v9, 0, v25, s[0:1]
	v_cndmask_b32_e64 v8, 0, v24, s[0:1]
	v_lshl_add_u64 v[8:9], v[8:9], 0, v[4:5]
	v_or_b32_e32 v4, v21, v13
	v_and_b32_e32 v13, 1, v4
	v_mov_b64_e32 v[4:5], v[8:9]
; %bb.205:
	s_or_b64 exec, exec, s[46:47]
	v_and_b32_e32 v25, 16, v12
	v_mov_b32_dpp v21, v8 row_bcast:15 row_mask:0xf bank_mask:0xf
	v_mov_b32_dpp v24, v9 row_bcast:15 row_mask:0xf bank_mask:0xf
	;; [unrolled: 1-line block ×3, first 2 shown]
	v_cmp_ne_u32_e64 s[0:1], 0, v25
	s_and_saveexec_b64 s[46:47], s[0:1]
; %bb.206:
	v_cmp_eq_u32_e64 s[0:1], 0, v13
	s_nop 1
	v_cndmask_b32_e64 v9, 0, v24, s[0:1]
	v_cndmask_b32_e64 v8, 0, v21, s[0:1]
	v_lshl_add_u64 v[4:5], v[8:9], 0, v[4:5]
	v_or_b32_e32 v8, v20, v13
	v_and_b32_e32 v13, 1, v8
	v_mov_b32_e32 v9, v5
	v_mov_b32_e32 v8, v4
; %bb.207:
	s_or_b64 exec, exec, s[46:47]
	s_nop 0
	v_mov_b32_dpp v20, v8 row_bcast:31 row_mask:0xf bank_mask:0xf
	v_mov_b32_dpp v21, v9 row_bcast:31 row_mask:0xf bank_mask:0xf
	;; [unrolled: 1-line block ×3, first 2 shown]
	v_cmp_lt_u32_e64 s[0:1], 31, v12
	v_mov_b32_e32 v8, v13
	s_and_saveexec_b64 s[46:47], s[0:1]
; %bb.208:
	v_cmp_eq_u32_e64 s[0:1], 0, v13
	v_or_b32_e32 v9, v9, v13
	v_and_b32_e32 v8, 1, v9
	v_cndmask_b32_e64 v21, 0, v21, s[0:1]
	v_cndmask_b32_e64 v20, 0, v20, s[0:1]
	v_lshl_add_u64 v[4:5], v[20:21], 0, v[4:5]
	v_and_b32_e32 v13, 1, v9
; %bb.209:
	s_or_b64 exec, exec, s[46:47]
	v_or_b32_e32 v9, 63, v0
	v_lshrrev_b32_e32 v20, 6, v0
	v_cmp_eq_u32_e64 s[0:1], v9, v0
	s_and_saveexec_b64 s[46:47], s[0:1]
	s_cbranch_execz .LBB1211_211
; %bb.210:
	v_lshlrev_b32_e32 v9, 4, v20
	ds_write_b64 v9, v[4:5]
	ds_write_b8 v9, v8 offset:8
.LBB1211_211:
	s_or_b64 exec, exec, s[46:47]
	v_cmp_gt_u32_e64 s[0:1], 4, v0
	s_waitcnt lgkmcnt(0)
	s_barrier
	s_and_saveexec_b64 s[48:49], s[0:1]
	s_cbranch_execz .LBB1211_217
; %bb.212:
	v_lshlrev_b32_e32 v21, 4, v0
	ds_read_b64 v[8:9], v21
	ds_read_b32 v24, v21 offset:8
	v_and_b32_e32 v25, 3, v12
	v_cmp_ne_u32_e64 s[0:1], 0, v25
	s_waitcnt lgkmcnt(1)
	v_mov_b32_dpp v33, v8 row_shr:1 row_mask:0xf bank_mask:0xf
	v_mov_b32_dpp v36, v9 row_shr:1 row_mask:0xf bank_mask:0xf
	s_waitcnt lgkmcnt(0)
	v_mov_b32_dpp v32, v24 row_shr:1 row_mask:0xf bank_mask:0xf
	v_mov_b32_e32 v28, v24
	v_mov_b32_e32 v29, v24
	s_and_saveexec_b64 s[46:47], s[0:1]
; %bb.213:
	v_mov_b32_e32 v28, 0
	v_cmp_eq_u16_sdwa s[0:1], v24, v28 src0_sel:BYTE_0 src1_sel:DWORD
	s_nop 1
	v_cndmask_b32_e64 v29, 0, v36, s[0:1]
	v_cndmask_b32_e64 v28, 0, v33, s[0:1]
	v_lshl_add_u64 v[8:9], v[28:29], 0, v[8:9]
	v_or_b32_e32 v29, v32, v24
	v_and_b32_e32 v28, 1, v29
	v_and_b32_e32 v29, 1, v29
	s_movk_i32 s0, 0xff00
	v_and_or_b32 v24, v24, s0, v29
; %bb.214:
	s_or_b64 exec, exec, s[46:47]
	v_mov_b32_dpp v32, v8 row_shr:2 row_mask:0xf bank_mask:0xf
	v_mov_b32_dpp v33, v9 row_shr:2 row_mask:0xf bank_mask:0xf
	;; [unrolled: 1-line block ×3, first 2 shown]
	v_cmp_lt_u32_e64 s[0:1], 1, v25
	s_and_saveexec_b64 s[50:51], s[0:1]
; %bb.215:
	v_mov_b32_e32 v25, 0
	v_cmp_eq_u16_sdwa s[0:1], v29, v25 src0_sel:BYTE_0 src1_sel:DWORD
	v_and_b32_e32 v25, 1, v29
	v_and_b32_e32 v24, 1, v24
	v_cndmask_b32_e64 v33, 0, v33, s[0:1]
	v_cndmask_b32_e64 v32, 0, v32, s[0:1]
	v_cmp_eq_u32_e64 s[0:1], 1, v25
	v_cmp_eq_u32_e64 s[46:47], 1, v24
	s_or_b64 s[0:1], s[0:1], s[46:47]
	v_lshl_add_u64 v[8:9], v[32:33], 0, v[8:9]
	v_cndmask_b32_e64 v28, 0, 1, s[0:1]
; %bb.216:
	s_or_b64 exec, exec, s[50:51]
	ds_write_b64 v21, v[8:9]
	ds_write_b8 v21, v28 offset:8
.LBB1211_217:
	s_or_b64 exec, exec, s[48:49]
	v_cmp_lt_u32_e64 s[0:1], 63, v0
	v_mov_b64_e32 v[8:9], 0
	s_waitcnt lgkmcnt(0)
	s_barrier
	s_and_saveexec_b64 s[46:47], s[0:1]
	s_cbranch_execz .LBB1211_219
; %bb.218:
	v_lshl_add_u32 v8, v20, 4, -16
	ds_read_b64 v[8:9], v8
	v_cmp_eq_u32_e64 s[0:1], 0, v13
	s_waitcnt lgkmcnt(0)
	s_nop 0
	v_cndmask_b32_e64 v21, 0, v9, s[0:1]
	v_cndmask_b32_e64 v20, 0, v8, s[0:1]
	v_lshl_add_u64 v[4:5], v[20:21], 0, v[4:5]
.LBB1211_219:
	s_or_b64 exec, exec, s[46:47]
	v_add_u32_e32 v13, -1, v12
	v_and_b32_e32 v20, 64, v12
	v_cmp_lt_i32_e64 s[0:1], v13, v20
	s_nop 1
	v_cndmask_b32_e64 v13, v13, v12, s[0:1]
	v_lshlrev_b32_e32 v13, 2, v13
	ds_bpermute_b32 v4, v13, v4
	ds_bpermute_b32 v5, v13, v5
	s_and_saveexec_b64 s[46:47], s[4:5]
	s_cbranch_execz .LBB1211_221
; %bb.220:
	v_cmp_eq_u32_e64 s[0:1], 0, v12
	;;#ASMSTART
	;;#ASMEND
	s_waitcnt lgkmcnt(1)
	s_nop 0
	v_cndmask_b32_e64 v4, v4, v8, s[0:1]
	v_mov_b32_e32 v8, 0
	s_waitcnt lgkmcnt(0)
	v_cndmask_b32_e64 v5, v5, v9, s[0:1]
	v_cmp_eq_u16_sdwa s[0:1], v1, v8 src0_sel:BYTE_0 src1_sel:DWORD
	s_nop 1
	v_cndmask_b32_e64 v5, 0, v5, s[0:1]
	v_cndmask_b32_e64 v4, 0, v4, s[0:1]
	v_lshl_add_u64 v[2:3], v[4:5], 0, v[2:3]
	v_cndmask_b32_e32 v5, 0, v3, vcc
	v_cndmask_b32_e32 v4, 0, v2, vcc
	v_lshl_add_u64 v[44:45], v[4:5], 0, v[14:15]
	v_cndmask_b32_e64 v5, 0, v45, s[6:7]
	v_cndmask_b32_e64 v4, 0, v44, s[6:7]
	v_lshl_add_u64 v[80:81], v[4:5], 0, v[6:7]
	v_cndmask_b32_e64 v5, 0, v81, s[8:9]
	v_cndmask_b32_e64 v4, 0, v80, s[8:9]
	;; [unrolled: 3-line block ×19, first 2 shown]
	v_lshl_add_u64 v[120:121], v[4:5], 0, v[16:17]
.LBB1211_221:
	s_or_b64 exec, exec, s[46:47]
	s_and_saveexec_b64 s[0:1], s[68:69]
	s_cbranch_execz .LBB1211_223
; %bb.222:
	v_mov_b32_e32 v1, 0
	s_waitcnt lgkmcnt(0)
	ds_read_b64 v[4:5], v1 offset:48
	ds_read_u8 v6, v1 offset:56
	v_readlane_b32 s4, v131, 0
	v_readlane_b32 s6, v131, 2
	;; [unrolled: 1-line block ×5, first 2 shown]
	s_waitcnt lgkmcnt(1)
	s_nop 1
	global_store_dword v1, v4, s[6:7] offset:1024 sc1
	global_store_dword v1, v5, s[6:7] offset:1028 sc1
	s_waitcnt lgkmcnt(0)
	global_store_dword v1, v6, s[6:7] offset:1032 sc1
	global_store_dword v1, v1, s[6:7] offset:1036 sc1
	v_mov_b32_e32 v4, 2
	v_readlane_b32 s5, v131, 1
	v_readlane_b32 s10, v131, 6
	;; [unrolled: 1-line block ×3, first 2 shown]
	s_waitcnt vmcnt(0)
	global_store_byte v1, v4, s[8:9] offset:64 sc1
.LBB1211_223:
	s_or_b64 exec, exec, s[0:1]
	v_mov_b64_e32 v[114:115], v[2:3]
.LBB1211_224:
	s_add_u32 s0, s78, s88
	s_addc_u32 s1, s79, s89
	s_add_u32 s0, s0, s2
	s_addc_u32 s1, s1, s3
	s_and_b64 vcc, exec, s[60:61]
	v_lshlrev_b32_e32 v42, 3, v0
	s_cbranch_vccz .LBB1211_266
; %bb.225:
	s_movk_i32 s2, 0xa8
	v_mul_i32_i24_e32 v50, 0xffffff60, v0
	v_mul_u32_u24_e32 v1, 0xa8, v0
	v_mad_u32_u24 v2, v0, s2, v50
	s_waitcnt lgkmcnt(0)
	s_barrier
	ds_write2_b64 v1, v[114:115], v[44:45] offset1:1
	ds_write2_b64 v1, v[80:81], v[48:49] offset0:2 offset1:3
	ds_write2_b64 v1, v[84:85], v[52:53] offset0:4 offset1:5
	;; [unrolled: 1-line block ×9, first 2 shown]
	ds_write_b64 v1, v[120:121] offset:160
	s_waitcnt lgkmcnt(0)
	s_barrier
	ds_read2st64_b64 v[38:41], v2 offset0:4 offset1:8
	ds_read2st64_b64 v[34:37], v2 offset0:12 offset1:16
	;; [unrolled: 1-line block ×10, first 2 shown]
	v_readlane_b32 s4, v131, 0
	v_readlane_b32 s10, v131, 6
	s_add_i32 s33, s33, s10
	v_mov_b32_e32 v43, 0
	v_lshl_add_u64 v[46:47], s[0:1], 0, v[42:43]
	v_cmp_gt_u32_e32 vcc, s33, v0
	v_readlane_b32 s5, v131, 1
	v_readlane_b32 s6, v131, 2
	;; [unrolled: 1-line block ×6, first 2 shown]
	s_and_saveexec_b64 s[2:3], vcc
	s_cbranch_execz .LBB1211_227
; %bb.226:
	v_add_u32_e32 v1, v1, v50
	ds_read_b64 v[50:51], v1
	s_waitcnt lgkmcnt(0)
	flat_store_dwordx2 v[46:47], v[50:51]
.LBB1211_227:
	s_or_b64 exec, exec, s[2:3]
	v_or_b32_e32 v1, 0x100, v0
	v_cmp_gt_u32_e32 vcc, s33, v1
	s_and_saveexec_b64 s[2:3], vcc
	s_cbranch_execz .LBB1211_229
; %bb.228:
	s_waitcnt lgkmcnt(0)
	flat_store_dwordx2 v[46:47], v[38:39] offset:2048
.LBB1211_229:
	s_or_b64 exec, exec, s[2:3]
	v_or_b32_e32 v1, 0x200, v0
	v_cmp_gt_u32_e32 vcc, s33, v1
	s_and_saveexec_b64 s[2:3], vcc
	s_cbranch_execz .LBB1211_231
; %bb.230:
	s_waitcnt lgkmcnt(0)
	v_add_co_u32_e32 v38, vcc, 0x1000, v46
	s_nop 1
	v_addc_co_u32_e32 v39, vcc, 0, v47, vcc
	flat_store_dwordx2 v[38:39], v[40:41]
.LBB1211_231:
	s_or_b64 exec, exec, s[2:3]
	v_or_b32_e32 v1, 0x300, v0
	v_cmp_gt_u32_e32 vcc, s33, v1
	s_and_saveexec_b64 s[2:3], vcc
	s_cbranch_execz .LBB1211_233
; %bb.232:
	s_waitcnt lgkmcnt(0)
	v_add_co_u32_e32 v38, vcc, 0x1000, v46
	s_nop 1
	v_addc_co_u32_e32 v39, vcc, 0, v47, vcc
	flat_store_dwordx2 v[38:39], v[34:35] offset:2048
.LBB1211_233:
	s_or_b64 exec, exec, s[2:3]
	v_or_b32_e32 v1, 0x400, v0
	v_cmp_gt_u32_e32 vcc, s33, v1
	s_and_saveexec_b64 s[2:3], vcc
	s_cbranch_execz .LBB1211_235
; %bb.234:
	s_waitcnt lgkmcnt(0)
	v_add_co_u32_e32 v34, vcc, 0x2000, v46
	s_nop 1
	v_addc_co_u32_e32 v35, vcc, 0, v47, vcc
	flat_store_dwordx2 v[34:35], v[36:37]
.LBB1211_235:
	s_or_b64 exec, exec, s[2:3]
	v_or_b32_e32 v1, 0x500, v0
	v_cmp_gt_u32_e32 vcc, s33, v1
	s_and_saveexec_b64 s[2:3], vcc
	s_cbranch_execz .LBB1211_237
; %bb.236:
	s_waitcnt lgkmcnt(0)
	v_add_co_u32_e32 v34, vcc, 0x2000, v46
	s_nop 1
	v_addc_co_u32_e32 v35, vcc, 0, v47, vcc
	flat_store_dwordx2 v[34:35], v[30:31] offset:2048
.LBB1211_237:
	;; [unrolled: 24-line block ×9, first 2 shown]
	s_or_b64 exec, exec, s[2:3]
	s_waitcnt lgkmcnt(0)
	v_or_b32_e32 v2, 0x1400, v0
	v_mov_b32_e32 v1, v43
	v_cmp_gt_u32_e64 s[2:3], s33, v2
	s_branch .LBB1211_268
.LBB1211_266:
	s_mov_b64 s[2:3], 0
                                        ; implicit-def: $vgpr4_vgpr5
	s_cbranch_execz .LBB1211_268
; %bb.267:
	v_mul_u32_u24_e32 v1, 0xa8, v0
	s_waitcnt lgkmcnt(0)
	s_barrier
	s_movk_i32 s4, 0xa8
	ds_write2_b64 v1, v[114:115], v[44:45] offset1:1
	ds_write2_b64 v1, v[80:81], v[48:49] offset0:2 offset1:3
	ds_write2_b64 v1, v[84:85], v[52:53] offset0:4 offset1:5
	;; [unrolled: 1-line block ×9, first 2 shown]
	ds_write_b64 v1, v[120:121] offset:160
	v_mov_b32_e32 v1, 0
	v_mul_i32_i24_e32 v2, 0xffffff60, v0
	v_mad_u32_u24 v2, v0, s4, v2
	v_mov_b32_e32 v43, v1
	s_waitcnt lgkmcnt(0)
	s_barrier
	ds_read2st64_b64 v[6:9], v2 offset1:4
	ds_read2st64_b64 v[10:13], v2 offset0:8 offset1:12
	ds_read2st64_b64 v[14:17], v2 offset0:16 offset1:20
	ds_read2st64_b64 v[18:21], v2 offset0:24 offset1:28
	ds_read2st64_b64 v[22:25], v2 offset0:32 offset1:36
	ds_read2st64_b64 v[26:29], v2 offset0:40 offset1:44
	ds_read2st64_b64 v[30:33], v2 offset0:48 offset1:52
	ds_read2st64_b64 v[34:37], v2 offset0:56 offset1:60
	ds_read2st64_b64 v[38:41], v2 offset0:64 offset1:68
	ds_read2st64_b64 v[44:47], v2 offset0:72 offset1:76
	ds_read_b64 v[4:5], v2 offset:40960
	v_lshl_add_u64 v[2:3], s[0:1], 0, v[42:43]
	s_movk_i32 s4, 0x1000
	s_waitcnt lgkmcnt(0)
	flat_store_dwordx2 v[2:3], v[6:7]
	flat_store_dwordx2 v[2:3], v[8:9] offset:2048
	v_add_co_u32_e32 v6, vcc, s4, v2
	s_movk_i32 s4, 0x2000
	s_nop 0
	v_addc_co_u32_e32 v7, vcc, 0, v3, vcc
	flat_store_dwordx2 v[6:7], v[10:11]
	flat_store_dwordx2 v[6:7], v[12:13] offset:2048
	v_add_co_u32_e32 v6, vcc, s4, v2
	s_movk_i32 s4, 0x3000
	s_nop 0
	v_addc_co_u32_e32 v7, vcc, 0, v3, vcc
	;; [unrolled: 6-line block ×6, first 2 shown]
	flat_store_dwordx2 v[6:7], v[30:31]
	flat_store_dwordx2 v[6:7], v[32:33] offset:2048
	v_add_co_u32_e32 v6, vcc, s4, v2
	s_or_b64 s[2:3], s[2:3], exec
	s_nop 0
	v_addc_co_u32_e32 v7, vcc, 0, v3, vcc
	flat_store_dwordx2 v[6:7], v[34:35]
	flat_store_dwordx2 v[6:7], v[36:37] offset:2048
	v_add_co_u32_e32 v6, vcc, 0x8000, v2
	s_nop 1
	v_addc_co_u32_e32 v7, vcc, 0, v3, vcc
	v_add_co_u32_e32 v2, vcc, 0x9000, v2
	flat_store_dwordx2 v[6:7], v[38:39]
	flat_store_dwordx2 v[6:7], v[40:41] offset:2048
	v_addc_co_u32_e32 v3, vcc, 0, v3, vcc
	flat_store_dwordx2 v[2:3], v[44:45]
	flat_store_dwordx2 v[2:3], v[46:47] offset:2048
.LBB1211_268:
	s_and_saveexec_b64 s[4:5], s[2:3]
	s_cbranch_execnz .LBB1211_270
; %bb.269:
	s_endpgm
.LBB1211_270:
	v_lshl_add_u64 v[0:1], v[0:1], 3, s[0:1]
	v_add_co_u32_e32 v0, vcc, 0xa000, v0
	s_nop 1
	v_addc_co_u32_e32 v1, vcc, 0, v1, vcc
	s_waitcnt lgkmcnt(0)
	flat_store_dwordx2 v[0:1], v[4:5]
	s_endpgm
.LBB1211_271:
	v_lshlrev_b32_e32 v6, 3, v0
	v_lshl_add_u64 v[2:3], s[50:51], 0, v[6:7]
	flat_load_dwordx2 v[2:3], v[2:3]
	s_or_b64 exec, exec, s[0:1]
                                        ; implicit-def: $vgpr6_vgpr7
	s_and_saveexec_b64 s[0:1], s[8:9]
	s_cbranch_execz .LBB1211_55
.LBB1211_272:
	v_lshlrev_b32_e32 v6, 3, v0
	v_mov_b32_e32 v7, 0
	v_lshl_add_u64 v[6:7], s[50:51], 0, v[6:7]
	flat_load_dwordx2 v[6:7], v[6:7] offset:2048
	s_or_b64 exec, exec, s[0:1]
                                        ; implicit-def: $vgpr10_vgpr11
	s_and_saveexec_b64 s[0:1], s[10:11]
	s_cbranch_execz .LBB1211_56
.LBB1211_273:
	v_lshlrev_b32_e32 v10, 3, v1
	v_mov_b32_e32 v11, 0
	v_lshl_add_u64 v[10:11], s[50:51], 0, v[10:11]
	flat_load_dwordx2 v[10:11], v[10:11]
	s_or_b64 exec, exec, s[0:1]
                                        ; implicit-def: $vgpr14_vgpr15
	s_and_saveexec_b64 s[0:1], s[12:13]
	s_cbranch_execz .LBB1211_57
.LBB1211_274:
	v_lshlrev_b32_e32 v14, 3, v16
	v_mov_b32_e32 v15, 0
	v_lshl_add_u64 v[14:15], s[50:51], 0, v[14:15]
	flat_load_dwordx2 v[14:15], v[14:15]
	s_or_b64 exec, exec, s[0:1]
                                        ; implicit-def: $vgpr16_vgpr17
	s_and_saveexec_b64 s[0:1], s[14:15]
	s_cbranch_execz .LBB1211_58
.LBB1211_275:
	v_lshlrev_b32_e32 v16, 3, v18
	v_mov_b32_e32 v17, 0
	v_lshl_add_u64 v[16:17], s[50:51], 0, v[16:17]
	flat_load_dwordx2 v[16:17], v[16:17]
	s_or_b64 exec, exec, s[0:1]
                                        ; implicit-def: $vgpr18_vgpr19
	s_and_saveexec_b64 s[0:1], s[16:17]
	s_cbranch_execz .LBB1211_59
.LBB1211_276:
	v_lshlrev_b32_e32 v18, 3, v22
	v_mov_b32_e32 v19, 0
	v_lshl_add_u64 v[18:19], s[50:51], 0, v[18:19]
	flat_load_dwordx2 v[18:19], v[18:19]
	s_or_b64 exec, exec, s[0:1]
                                        ; implicit-def: $vgpr22_vgpr23
	s_and_saveexec_b64 s[0:1], s[18:19]
	s_cbranch_execz .LBB1211_60
.LBB1211_277:
	v_lshlrev_b32_e32 v22, 3, v26
	v_mov_b32_e32 v23, 0
	v_lshl_add_u64 v[22:23], s[50:51], 0, v[22:23]
	flat_load_dwordx2 v[22:23], v[22:23]
	s_or_b64 exec, exec, s[0:1]
                                        ; implicit-def: $vgpr26_vgpr27
	s_and_saveexec_b64 s[0:1], s[20:21]
	s_cbranch_execz .LBB1211_61
.LBB1211_278:
	v_lshlrev_b32_e32 v26, 3, v30
	v_mov_b32_e32 v27, 0
	v_lshl_add_u64 v[26:27], s[50:51], 0, v[26:27]
	flat_load_dwordx2 v[26:27], v[26:27]
	s_or_b64 exec, exec, s[0:1]
                                        ; implicit-def: $vgpr30_vgpr31
	s_and_saveexec_b64 s[0:1], s[22:23]
	s_cbranch_execz .LBB1211_62
.LBB1211_279:
	v_lshlrev_b32_e32 v30, 3, v34
	v_mov_b32_e32 v31, 0
	v_lshl_add_u64 v[30:31], s[50:51], 0, v[30:31]
	flat_load_dwordx2 v[30:31], v[30:31]
	s_or_b64 exec, exec, s[0:1]
                                        ; implicit-def: $vgpr34_vgpr35
	s_and_saveexec_b64 s[0:1], s[24:25]
	s_cbranch_execz .LBB1211_63
.LBB1211_280:
	v_lshlrev_b32_e32 v34, 3, v38
	v_mov_b32_e32 v35, 0
	v_lshl_add_u64 v[34:35], s[50:51], 0, v[34:35]
	flat_load_dwordx2 v[34:35], v[34:35]
	s_or_b64 exec, exec, s[0:1]
                                        ; implicit-def: $vgpr38_vgpr39
	s_and_saveexec_b64 s[0:1], s[26:27]
	s_cbranch_execz .LBB1211_64
.LBB1211_281:
	v_lshlrev_b32_e32 v38, 3, v42
	v_mov_b32_e32 v39, 0
	v_lshl_add_u64 v[38:39], s[50:51], 0, v[38:39]
	flat_load_dwordx2 v[38:39], v[38:39]
	s_or_b64 exec, exec, s[0:1]
                                        ; implicit-def: $vgpr42_vgpr43
	s_and_saveexec_b64 s[0:1], s[28:29]
	s_cbranch_execz .LBB1211_65
.LBB1211_282:
	v_lshlrev_b32_e32 v42, 3, v46
	v_mov_b32_e32 v43, 0
	v_lshl_add_u64 v[42:43], s[50:51], 0, v[42:43]
	flat_load_dwordx2 v[42:43], v[42:43]
	s_or_b64 exec, exec, s[0:1]
                                        ; implicit-def: $vgpr46_vgpr47
	s_and_saveexec_b64 s[0:1], s[30:31]
	s_cbranch_execz .LBB1211_66
.LBB1211_283:
	v_lshlrev_b32_e32 v46, 3, v48
	v_mov_b32_e32 v47, 0
	v_lshl_add_u64 v[46:47], s[50:51], 0, v[46:47]
	flat_load_dwordx2 v[46:47], v[46:47]
	s_or_b64 exec, exec, s[0:1]
                                        ; implicit-def: $vgpr48_vgpr49
	s_and_saveexec_b64 s[0:1], s[34:35]
	s_cbranch_execz .LBB1211_67
.LBB1211_284:
	v_lshlrev_b32_e32 v48, 3, v50
	v_mov_b32_e32 v49, 0
	v_lshl_add_u64 v[48:49], s[50:51], 0, v[48:49]
	flat_load_dwordx2 v[48:49], v[48:49]
	s_or_b64 exec, exec, s[0:1]
                                        ; implicit-def: $vgpr50_vgpr51
	s_and_saveexec_b64 s[0:1], s[36:37]
	s_cbranch_execz .LBB1211_68
.LBB1211_285:
	v_lshlrev_b32_e32 v50, 3, v52
	v_mov_b32_e32 v51, 0
	v_lshl_add_u64 v[50:51], s[50:51], 0, v[50:51]
	flat_load_dwordx2 v[50:51], v[50:51]
	s_or_b64 exec, exec, s[0:1]
                                        ; implicit-def: $vgpr52_vgpr53
	s_and_saveexec_b64 s[0:1], s[38:39]
	s_cbranch_execz .LBB1211_69
.LBB1211_286:
	v_lshlrev_b32_e32 v52, 3, v54
	v_mov_b32_e32 v53, 0
	v_lshl_add_u64 v[52:53], s[50:51], 0, v[52:53]
	flat_load_dwordx2 v[52:53], v[52:53]
	s_or_b64 exec, exec, s[0:1]
                                        ; implicit-def: $vgpr54_vgpr55
	s_and_saveexec_b64 s[0:1], s[40:41]
	s_cbranch_execz .LBB1211_70
.LBB1211_287:
	v_lshlrev_b32_e32 v54, 3, v56
	v_mov_b32_e32 v55, 0
	v_lshl_add_u64 v[54:55], s[50:51], 0, v[54:55]
	flat_load_dwordx2 v[54:55], v[54:55]
	s_or_b64 exec, exec, s[0:1]
                                        ; implicit-def: $vgpr56_vgpr57
	s_and_saveexec_b64 s[0:1], s[42:43]
	s_cbranch_execz .LBB1211_71
.LBB1211_288:
	v_lshlrev_b32_e32 v56, 3, v58
	v_mov_b32_e32 v57, 0
	v_lshl_add_u64 v[56:57], s[50:51], 0, v[56:57]
	flat_load_dwordx2 v[56:57], v[56:57]
	s_or_b64 exec, exec, s[0:1]
                                        ; implicit-def: $vgpr58_vgpr59
	s_and_saveexec_b64 s[0:1], s[44:45]
	s_cbranch_execz .LBB1211_72
.LBB1211_289:
	v_lshlrev_b32_e32 v58, 3, v60
	v_mov_b32_e32 v59, 0
	v_lshl_add_u64 v[58:59], s[50:51], 0, v[58:59]
	flat_load_dwordx2 v[58:59], v[58:59]
	s_or_b64 exec, exec, s[0:1]
                                        ; implicit-def: $vgpr60_vgpr61
	s_and_saveexec_b64 s[0:1], s[46:47]
	s_cbranch_execz .LBB1211_73
.LBB1211_290:
	v_lshlrev_b32_e32 v60, 3, v62
	v_mov_b32_e32 v61, 0
	v_lshl_add_u64 v[60:61], s[50:51], 0, v[60:61]
	flat_load_dwordx2 v[60:61], v[60:61]
	s_or_b64 exec, exec, s[0:1]
                                        ; implicit-def: $vgpr62_vgpr63
	s_and_saveexec_b64 s[0:1], s[48:49]
	s_cbranch_execnz .LBB1211_74
	s_branch .LBB1211_75
.LBB1211_291:
                                        ; implicit-def: $sgpr0_sgpr1
	s_branch .LBB1211_50
.LBB1211_292:
                                        ; implicit-def: $sgpr0_sgpr1
	s_branch .LBB1211_120
	.section	.rodata,"a",@progbits
	.p2align	6, 0x0
	.amdhsa_kernel _ZN7rocprim17ROCPRIM_400000_NS6detail17trampoline_kernelINS0_14default_configENS1_27scan_by_key_config_selectorIiyEEZZNS1_16scan_by_key_implILNS1_25lookback_scan_determinismE0ELb0ES3_N6thrust23THRUST_200600_302600_NS6detail15normal_iteratorINS9_10device_ptrIiEEEENSB_INSC_IyEEEESG_yNS9_4plusIvEENS9_8equal_toIvEEyEE10hipError_tPvRmT2_T3_T4_T5_mT6_T7_P12ihipStream_tbENKUlT_T0_E_clISt17integral_constantIbLb0EES10_IbLb1EEEEDaSW_SX_EUlSW_E_NS1_11comp_targetILNS1_3genE5ELNS1_11target_archE942ELNS1_3gpuE9ELNS1_3repE0EEENS1_30default_config_static_selectorELNS0_4arch9wavefront6targetE1EEEvT1_
		.amdhsa_group_segment_fixed_size 43008
		.amdhsa_private_segment_fixed_size 0
		.amdhsa_kernarg_size 136
		.amdhsa_user_sgpr_count 2
		.amdhsa_user_sgpr_dispatch_ptr 0
		.amdhsa_user_sgpr_queue_ptr 0
		.amdhsa_user_sgpr_kernarg_segment_ptr 1
		.amdhsa_user_sgpr_dispatch_id 0
		.amdhsa_user_sgpr_kernarg_preload_length 0
		.amdhsa_user_sgpr_kernarg_preload_offset 0
		.amdhsa_user_sgpr_private_segment_size 0
		.amdhsa_uses_dynamic_stack 0
		.amdhsa_enable_private_segment 0
		.amdhsa_system_sgpr_workgroup_id_x 1
		.amdhsa_system_sgpr_workgroup_id_y 0
		.amdhsa_system_sgpr_workgroup_id_z 0
		.amdhsa_system_sgpr_workgroup_info 0
		.amdhsa_system_vgpr_workitem_id 0
		.amdhsa_next_free_vgpr 132
		.amdhsa_next_free_sgpr 100
		.amdhsa_accum_offset 132
		.amdhsa_reserve_vcc 1
		.amdhsa_float_round_mode_32 0
		.amdhsa_float_round_mode_16_64 0
		.amdhsa_float_denorm_mode_32 3
		.amdhsa_float_denorm_mode_16_64 3
		.amdhsa_dx10_clamp 1
		.amdhsa_ieee_mode 1
		.amdhsa_fp16_overflow 0
		.amdhsa_tg_split 0
		.amdhsa_exception_fp_ieee_invalid_op 0
		.amdhsa_exception_fp_denorm_src 0
		.amdhsa_exception_fp_ieee_div_zero 0
		.amdhsa_exception_fp_ieee_overflow 0
		.amdhsa_exception_fp_ieee_underflow 0
		.amdhsa_exception_fp_ieee_inexact 0
		.amdhsa_exception_int_div_zero 0
	.end_amdhsa_kernel
	.section	.text._ZN7rocprim17ROCPRIM_400000_NS6detail17trampoline_kernelINS0_14default_configENS1_27scan_by_key_config_selectorIiyEEZZNS1_16scan_by_key_implILNS1_25lookback_scan_determinismE0ELb0ES3_N6thrust23THRUST_200600_302600_NS6detail15normal_iteratorINS9_10device_ptrIiEEEENSB_INSC_IyEEEESG_yNS9_4plusIvEENS9_8equal_toIvEEyEE10hipError_tPvRmT2_T3_T4_T5_mT6_T7_P12ihipStream_tbENKUlT_T0_E_clISt17integral_constantIbLb0EES10_IbLb1EEEEDaSW_SX_EUlSW_E_NS1_11comp_targetILNS1_3genE5ELNS1_11target_archE942ELNS1_3gpuE9ELNS1_3repE0EEENS1_30default_config_static_selectorELNS0_4arch9wavefront6targetE1EEEvT1_,"axG",@progbits,_ZN7rocprim17ROCPRIM_400000_NS6detail17trampoline_kernelINS0_14default_configENS1_27scan_by_key_config_selectorIiyEEZZNS1_16scan_by_key_implILNS1_25lookback_scan_determinismE0ELb0ES3_N6thrust23THRUST_200600_302600_NS6detail15normal_iteratorINS9_10device_ptrIiEEEENSB_INSC_IyEEEESG_yNS9_4plusIvEENS9_8equal_toIvEEyEE10hipError_tPvRmT2_T3_T4_T5_mT6_T7_P12ihipStream_tbENKUlT_T0_E_clISt17integral_constantIbLb0EES10_IbLb1EEEEDaSW_SX_EUlSW_E_NS1_11comp_targetILNS1_3genE5ELNS1_11target_archE942ELNS1_3gpuE9ELNS1_3repE0EEENS1_30default_config_static_selectorELNS0_4arch9wavefront6targetE1EEEvT1_,comdat
.Lfunc_end1211:
	.size	_ZN7rocprim17ROCPRIM_400000_NS6detail17trampoline_kernelINS0_14default_configENS1_27scan_by_key_config_selectorIiyEEZZNS1_16scan_by_key_implILNS1_25lookback_scan_determinismE0ELb0ES3_N6thrust23THRUST_200600_302600_NS6detail15normal_iteratorINS9_10device_ptrIiEEEENSB_INSC_IyEEEESG_yNS9_4plusIvEENS9_8equal_toIvEEyEE10hipError_tPvRmT2_T3_T4_T5_mT6_T7_P12ihipStream_tbENKUlT_T0_E_clISt17integral_constantIbLb0EES10_IbLb1EEEEDaSW_SX_EUlSW_E_NS1_11comp_targetILNS1_3genE5ELNS1_11target_archE942ELNS1_3gpuE9ELNS1_3repE0EEENS1_30default_config_static_selectorELNS0_4arch9wavefront6targetE1EEEvT1_, .Lfunc_end1211-_ZN7rocprim17ROCPRIM_400000_NS6detail17trampoline_kernelINS0_14default_configENS1_27scan_by_key_config_selectorIiyEEZZNS1_16scan_by_key_implILNS1_25lookback_scan_determinismE0ELb0ES3_N6thrust23THRUST_200600_302600_NS6detail15normal_iteratorINS9_10device_ptrIiEEEENSB_INSC_IyEEEESG_yNS9_4plusIvEENS9_8equal_toIvEEyEE10hipError_tPvRmT2_T3_T4_T5_mT6_T7_P12ihipStream_tbENKUlT_T0_E_clISt17integral_constantIbLb0EES10_IbLb1EEEEDaSW_SX_EUlSW_E_NS1_11comp_targetILNS1_3genE5ELNS1_11target_archE942ELNS1_3gpuE9ELNS1_3repE0EEENS1_30default_config_static_selectorELNS0_4arch9wavefront6targetE1EEEvT1_
                                        ; -- End function
	.section	.AMDGPU.csdata,"",@progbits
; Kernel info:
; codeLenInByte = 17668
; NumSgprs: 106
; NumVgprs: 132
; NumAgprs: 0
; TotalNumVgprs: 132
; ScratchSize: 0
; MemoryBound: 0
; FloatMode: 240
; IeeeMode: 1
; LDSByteSize: 43008 bytes/workgroup (compile time only)
; SGPRBlocks: 13
; VGPRBlocks: 16
; NumSGPRsForWavesPerEU: 106
; NumVGPRsForWavesPerEU: 132
; AccumOffset: 132
; Occupancy: 1
; WaveLimiterHint : 1
; COMPUTE_PGM_RSRC2:SCRATCH_EN: 0
; COMPUTE_PGM_RSRC2:USER_SGPR: 2
; COMPUTE_PGM_RSRC2:TRAP_HANDLER: 0
; COMPUTE_PGM_RSRC2:TGID_X_EN: 1
; COMPUTE_PGM_RSRC2:TGID_Y_EN: 0
; COMPUTE_PGM_RSRC2:TGID_Z_EN: 0
; COMPUTE_PGM_RSRC2:TIDIG_COMP_CNT: 0
; COMPUTE_PGM_RSRC3_GFX90A:ACCUM_OFFSET: 32
; COMPUTE_PGM_RSRC3_GFX90A:TG_SPLIT: 0
	.section	.text._ZN7rocprim17ROCPRIM_400000_NS6detail17trampoline_kernelINS0_14default_configENS1_27scan_by_key_config_selectorIiyEEZZNS1_16scan_by_key_implILNS1_25lookback_scan_determinismE0ELb0ES3_N6thrust23THRUST_200600_302600_NS6detail15normal_iteratorINS9_10device_ptrIiEEEENSB_INSC_IyEEEESG_yNS9_4plusIvEENS9_8equal_toIvEEyEE10hipError_tPvRmT2_T3_T4_T5_mT6_T7_P12ihipStream_tbENKUlT_T0_E_clISt17integral_constantIbLb0EES10_IbLb1EEEEDaSW_SX_EUlSW_E_NS1_11comp_targetILNS1_3genE4ELNS1_11target_archE910ELNS1_3gpuE8ELNS1_3repE0EEENS1_30default_config_static_selectorELNS0_4arch9wavefront6targetE1EEEvT1_,"axG",@progbits,_ZN7rocprim17ROCPRIM_400000_NS6detail17trampoline_kernelINS0_14default_configENS1_27scan_by_key_config_selectorIiyEEZZNS1_16scan_by_key_implILNS1_25lookback_scan_determinismE0ELb0ES3_N6thrust23THRUST_200600_302600_NS6detail15normal_iteratorINS9_10device_ptrIiEEEENSB_INSC_IyEEEESG_yNS9_4plusIvEENS9_8equal_toIvEEyEE10hipError_tPvRmT2_T3_T4_T5_mT6_T7_P12ihipStream_tbENKUlT_T0_E_clISt17integral_constantIbLb0EES10_IbLb1EEEEDaSW_SX_EUlSW_E_NS1_11comp_targetILNS1_3genE4ELNS1_11target_archE910ELNS1_3gpuE8ELNS1_3repE0EEENS1_30default_config_static_selectorELNS0_4arch9wavefront6targetE1EEEvT1_,comdat
	.protected	_ZN7rocprim17ROCPRIM_400000_NS6detail17trampoline_kernelINS0_14default_configENS1_27scan_by_key_config_selectorIiyEEZZNS1_16scan_by_key_implILNS1_25lookback_scan_determinismE0ELb0ES3_N6thrust23THRUST_200600_302600_NS6detail15normal_iteratorINS9_10device_ptrIiEEEENSB_INSC_IyEEEESG_yNS9_4plusIvEENS9_8equal_toIvEEyEE10hipError_tPvRmT2_T3_T4_T5_mT6_T7_P12ihipStream_tbENKUlT_T0_E_clISt17integral_constantIbLb0EES10_IbLb1EEEEDaSW_SX_EUlSW_E_NS1_11comp_targetILNS1_3genE4ELNS1_11target_archE910ELNS1_3gpuE8ELNS1_3repE0EEENS1_30default_config_static_selectorELNS0_4arch9wavefront6targetE1EEEvT1_ ; -- Begin function _ZN7rocprim17ROCPRIM_400000_NS6detail17trampoline_kernelINS0_14default_configENS1_27scan_by_key_config_selectorIiyEEZZNS1_16scan_by_key_implILNS1_25lookback_scan_determinismE0ELb0ES3_N6thrust23THRUST_200600_302600_NS6detail15normal_iteratorINS9_10device_ptrIiEEEENSB_INSC_IyEEEESG_yNS9_4plusIvEENS9_8equal_toIvEEyEE10hipError_tPvRmT2_T3_T4_T5_mT6_T7_P12ihipStream_tbENKUlT_T0_E_clISt17integral_constantIbLb0EES10_IbLb1EEEEDaSW_SX_EUlSW_E_NS1_11comp_targetILNS1_3genE4ELNS1_11target_archE910ELNS1_3gpuE8ELNS1_3repE0EEENS1_30default_config_static_selectorELNS0_4arch9wavefront6targetE1EEEvT1_
	.globl	_ZN7rocprim17ROCPRIM_400000_NS6detail17trampoline_kernelINS0_14default_configENS1_27scan_by_key_config_selectorIiyEEZZNS1_16scan_by_key_implILNS1_25lookback_scan_determinismE0ELb0ES3_N6thrust23THRUST_200600_302600_NS6detail15normal_iteratorINS9_10device_ptrIiEEEENSB_INSC_IyEEEESG_yNS9_4plusIvEENS9_8equal_toIvEEyEE10hipError_tPvRmT2_T3_T4_T5_mT6_T7_P12ihipStream_tbENKUlT_T0_E_clISt17integral_constantIbLb0EES10_IbLb1EEEEDaSW_SX_EUlSW_E_NS1_11comp_targetILNS1_3genE4ELNS1_11target_archE910ELNS1_3gpuE8ELNS1_3repE0EEENS1_30default_config_static_selectorELNS0_4arch9wavefront6targetE1EEEvT1_
	.p2align	8
	.type	_ZN7rocprim17ROCPRIM_400000_NS6detail17trampoline_kernelINS0_14default_configENS1_27scan_by_key_config_selectorIiyEEZZNS1_16scan_by_key_implILNS1_25lookback_scan_determinismE0ELb0ES3_N6thrust23THRUST_200600_302600_NS6detail15normal_iteratorINS9_10device_ptrIiEEEENSB_INSC_IyEEEESG_yNS9_4plusIvEENS9_8equal_toIvEEyEE10hipError_tPvRmT2_T3_T4_T5_mT6_T7_P12ihipStream_tbENKUlT_T0_E_clISt17integral_constantIbLb0EES10_IbLb1EEEEDaSW_SX_EUlSW_E_NS1_11comp_targetILNS1_3genE4ELNS1_11target_archE910ELNS1_3gpuE8ELNS1_3repE0EEENS1_30default_config_static_selectorELNS0_4arch9wavefront6targetE1EEEvT1_,@function
_ZN7rocprim17ROCPRIM_400000_NS6detail17trampoline_kernelINS0_14default_configENS1_27scan_by_key_config_selectorIiyEEZZNS1_16scan_by_key_implILNS1_25lookback_scan_determinismE0ELb0ES3_N6thrust23THRUST_200600_302600_NS6detail15normal_iteratorINS9_10device_ptrIiEEEENSB_INSC_IyEEEESG_yNS9_4plusIvEENS9_8equal_toIvEEyEE10hipError_tPvRmT2_T3_T4_T5_mT6_T7_P12ihipStream_tbENKUlT_T0_E_clISt17integral_constantIbLb0EES10_IbLb1EEEEDaSW_SX_EUlSW_E_NS1_11comp_targetILNS1_3genE4ELNS1_11target_archE910ELNS1_3gpuE8ELNS1_3repE0EEENS1_30default_config_static_selectorELNS0_4arch9wavefront6targetE1EEEvT1_: ; @_ZN7rocprim17ROCPRIM_400000_NS6detail17trampoline_kernelINS0_14default_configENS1_27scan_by_key_config_selectorIiyEEZZNS1_16scan_by_key_implILNS1_25lookback_scan_determinismE0ELb0ES3_N6thrust23THRUST_200600_302600_NS6detail15normal_iteratorINS9_10device_ptrIiEEEENSB_INSC_IyEEEESG_yNS9_4plusIvEENS9_8equal_toIvEEyEE10hipError_tPvRmT2_T3_T4_T5_mT6_T7_P12ihipStream_tbENKUlT_T0_E_clISt17integral_constantIbLb0EES10_IbLb1EEEEDaSW_SX_EUlSW_E_NS1_11comp_targetILNS1_3genE4ELNS1_11target_archE910ELNS1_3gpuE8ELNS1_3repE0EEENS1_30default_config_static_selectorELNS0_4arch9wavefront6targetE1EEEvT1_
; %bb.0:
	.section	.rodata,"a",@progbits
	.p2align	6, 0x0
	.amdhsa_kernel _ZN7rocprim17ROCPRIM_400000_NS6detail17trampoline_kernelINS0_14default_configENS1_27scan_by_key_config_selectorIiyEEZZNS1_16scan_by_key_implILNS1_25lookback_scan_determinismE0ELb0ES3_N6thrust23THRUST_200600_302600_NS6detail15normal_iteratorINS9_10device_ptrIiEEEENSB_INSC_IyEEEESG_yNS9_4plusIvEENS9_8equal_toIvEEyEE10hipError_tPvRmT2_T3_T4_T5_mT6_T7_P12ihipStream_tbENKUlT_T0_E_clISt17integral_constantIbLb0EES10_IbLb1EEEEDaSW_SX_EUlSW_E_NS1_11comp_targetILNS1_3genE4ELNS1_11target_archE910ELNS1_3gpuE8ELNS1_3repE0EEENS1_30default_config_static_selectorELNS0_4arch9wavefront6targetE1EEEvT1_
		.amdhsa_group_segment_fixed_size 0
		.amdhsa_private_segment_fixed_size 0
		.amdhsa_kernarg_size 136
		.amdhsa_user_sgpr_count 2
		.amdhsa_user_sgpr_dispatch_ptr 0
		.amdhsa_user_sgpr_queue_ptr 0
		.amdhsa_user_sgpr_kernarg_segment_ptr 1
		.amdhsa_user_sgpr_dispatch_id 0
		.amdhsa_user_sgpr_kernarg_preload_length 0
		.amdhsa_user_sgpr_kernarg_preload_offset 0
		.amdhsa_user_sgpr_private_segment_size 0
		.amdhsa_uses_dynamic_stack 0
		.amdhsa_enable_private_segment 0
		.amdhsa_system_sgpr_workgroup_id_x 1
		.amdhsa_system_sgpr_workgroup_id_y 0
		.amdhsa_system_sgpr_workgroup_id_z 0
		.amdhsa_system_sgpr_workgroup_info 0
		.amdhsa_system_vgpr_workitem_id 0
		.amdhsa_next_free_vgpr 1
		.amdhsa_next_free_sgpr 0
		.amdhsa_accum_offset 4
		.amdhsa_reserve_vcc 0
		.amdhsa_float_round_mode_32 0
		.amdhsa_float_round_mode_16_64 0
		.amdhsa_float_denorm_mode_32 3
		.amdhsa_float_denorm_mode_16_64 3
		.amdhsa_dx10_clamp 1
		.amdhsa_ieee_mode 1
		.amdhsa_fp16_overflow 0
		.amdhsa_tg_split 0
		.amdhsa_exception_fp_ieee_invalid_op 0
		.amdhsa_exception_fp_denorm_src 0
		.amdhsa_exception_fp_ieee_div_zero 0
		.amdhsa_exception_fp_ieee_overflow 0
		.amdhsa_exception_fp_ieee_underflow 0
		.amdhsa_exception_fp_ieee_inexact 0
		.amdhsa_exception_int_div_zero 0
	.end_amdhsa_kernel
	.section	.text._ZN7rocprim17ROCPRIM_400000_NS6detail17trampoline_kernelINS0_14default_configENS1_27scan_by_key_config_selectorIiyEEZZNS1_16scan_by_key_implILNS1_25lookback_scan_determinismE0ELb0ES3_N6thrust23THRUST_200600_302600_NS6detail15normal_iteratorINS9_10device_ptrIiEEEENSB_INSC_IyEEEESG_yNS9_4plusIvEENS9_8equal_toIvEEyEE10hipError_tPvRmT2_T3_T4_T5_mT6_T7_P12ihipStream_tbENKUlT_T0_E_clISt17integral_constantIbLb0EES10_IbLb1EEEEDaSW_SX_EUlSW_E_NS1_11comp_targetILNS1_3genE4ELNS1_11target_archE910ELNS1_3gpuE8ELNS1_3repE0EEENS1_30default_config_static_selectorELNS0_4arch9wavefront6targetE1EEEvT1_,"axG",@progbits,_ZN7rocprim17ROCPRIM_400000_NS6detail17trampoline_kernelINS0_14default_configENS1_27scan_by_key_config_selectorIiyEEZZNS1_16scan_by_key_implILNS1_25lookback_scan_determinismE0ELb0ES3_N6thrust23THRUST_200600_302600_NS6detail15normal_iteratorINS9_10device_ptrIiEEEENSB_INSC_IyEEEESG_yNS9_4plusIvEENS9_8equal_toIvEEyEE10hipError_tPvRmT2_T3_T4_T5_mT6_T7_P12ihipStream_tbENKUlT_T0_E_clISt17integral_constantIbLb0EES10_IbLb1EEEEDaSW_SX_EUlSW_E_NS1_11comp_targetILNS1_3genE4ELNS1_11target_archE910ELNS1_3gpuE8ELNS1_3repE0EEENS1_30default_config_static_selectorELNS0_4arch9wavefront6targetE1EEEvT1_,comdat
.Lfunc_end1212:
	.size	_ZN7rocprim17ROCPRIM_400000_NS6detail17trampoline_kernelINS0_14default_configENS1_27scan_by_key_config_selectorIiyEEZZNS1_16scan_by_key_implILNS1_25lookback_scan_determinismE0ELb0ES3_N6thrust23THRUST_200600_302600_NS6detail15normal_iteratorINS9_10device_ptrIiEEEENSB_INSC_IyEEEESG_yNS9_4plusIvEENS9_8equal_toIvEEyEE10hipError_tPvRmT2_T3_T4_T5_mT6_T7_P12ihipStream_tbENKUlT_T0_E_clISt17integral_constantIbLb0EES10_IbLb1EEEEDaSW_SX_EUlSW_E_NS1_11comp_targetILNS1_3genE4ELNS1_11target_archE910ELNS1_3gpuE8ELNS1_3repE0EEENS1_30default_config_static_selectorELNS0_4arch9wavefront6targetE1EEEvT1_, .Lfunc_end1212-_ZN7rocprim17ROCPRIM_400000_NS6detail17trampoline_kernelINS0_14default_configENS1_27scan_by_key_config_selectorIiyEEZZNS1_16scan_by_key_implILNS1_25lookback_scan_determinismE0ELb0ES3_N6thrust23THRUST_200600_302600_NS6detail15normal_iteratorINS9_10device_ptrIiEEEENSB_INSC_IyEEEESG_yNS9_4plusIvEENS9_8equal_toIvEEyEE10hipError_tPvRmT2_T3_T4_T5_mT6_T7_P12ihipStream_tbENKUlT_T0_E_clISt17integral_constantIbLb0EES10_IbLb1EEEEDaSW_SX_EUlSW_E_NS1_11comp_targetILNS1_3genE4ELNS1_11target_archE910ELNS1_3gpuE8ELNS1_3repE0EEENS1_30default_config_static_selectorELNS0_4arch9wavefront6targetE1EEEvT1_
                                        ; -- End function
	.section	.AMDGPU.csdata,"",@progbits
; Kernel info:
; codeLenInByte = 0
; NumSgprs: 6
; NumVgprs: 0
; NumAgprs: 0
; TotalNumVgprs: 0
; ScratchSize: 0
; MemoryBound: 0
; FloatMode: 240
; IeeeMode: 1
; LDSByteSize: 0 bytes/workgroup (compile time only)
; SGPRBlocks: 0
; VGPRBlocks: 0
; NumSGPRsForWavesPerEU: 6
; NumVGPRsForWavesPerEU: 1
; AccumOffset: 4
; Occupancy: 8
; WaveLimiterHint : 0
; COMPUTE_PGM_RSRC2:SCRATCH_EN: 0
; COMPUTE_PGM_RSRC2:USER_SGPR: 2
; COMPUTE_PGM_RSRC2:TRAP_HANDLER: 0
; COMPUTE_PGM_RSRC2:TGID_X_EN: 1
; COMPUTE_PGM_RSRC2:TGID_Y_EN: 0
; COMPUTE_PGM_RSRC2:TGID_Z_EN: 0
; COMPUTE_PGM_RSRC2:TIDIG_COMP_CNT: 0
; COMPUTE_PGM_RSRC3_GFX90A:ACCUM_OFFSET: 0
; COMPUTE_PGM_RSRC3_GFX90A:TG_SPLIT: 0
	.section	.text._ZN7rocprim17ROCPRIM_400000_NS6detail17trampoline_kernelINS0_14default_configENS1_27scan_by_key_config_selectorIiyEEZZNS1_16scan_by_key_implILNS1_25lookback_scan_determinismE0ELb0ES3_N6thrust23THRUST_200600_302600_NS6detail15normal_iteratorINS9_10device_ptrIiEEEENSB_INSC_IyEEEESG_yNS9_4plusIvEENS9_8equal_toIvEEyEE10hipError_tPvRmT2_T3_T4_T5_mT6_T7_P12ihipStream_tbENKUlT_T0_E_clISt17integral_constantIbLb0EES10_IbLb1EEEEDaSW_SX_EUlSW_E_NS1_11comp_targetILNS1_3genE3ELNS1_11target_archE908ELNS1_3gpuE7ELNS1_3repE0EEENS1_30default_config_static_selectorELNS0_4arch9wavefront6targetE1EEEvT1_,"axG",@progbits,_ZN7rocprim17ROCPRIM_400000_NS6detail17trampoline_kernelINS0_14default_configENS1_27scan_by_key_config_selectorIiyEEZZNS1_16scan_by_key_implILNS1_25lookback_scan_determinismE0ELb0ES3_N6thrust23THRUST_200600_302600_NS6detail15normal_iteratorINS9_10device_ptrIiEEEENSB_INSC_IyEEEESG_yNS9_4plusIvEENS9_8equal_toIvEEyEE10hipError_tPvRmT2_T3_T4_T5_mT6_T7_P12ihipStream_tbENKUlT_T0_E_clISt17integral_constantIbLb0EES10_IbLb1EEEEDaSW_SX_EUlSW_E_NS1_11comp_targetILNS1_3genE3ELNS1_11target_archE908ELNS1_3gpuE7ELNS1_3repE0EEENS1_30default_config_static_selectorELNS0_4arch9wavefront6targetE1EEEvT1_,comdat
	.protected	_ZN7rocprim17ROCPRIM_400000_NS6detail17trampoline_kernelINS0_14default_configENS1_27scan_by_key_config_selectorIiyEEZZNS1_16scan_by_key_implILNS1_25lookback_scan_determinismE0ELb0ES3_N6thrust23THRUST_200600_302600_NS6detail15normal_iteratorINS9_10device_ptrIiEEEENSB_INSC_IyEEEESG_yNS9_4plusIvEENS9_8equal_toIvEEyEE10hipError_tPvRmT2_T3_T4_T5_mT6_T7_P12ihipStream_tbENKUlT_T0_E_clISt17integral_constantIbLb0EES10_IbLb1EEEEDaSW_SX_EUlSW_E_NS1_11comp_targetILNS1_3genE3ELNS1_11target_archE908ELNS1_3gpuE7ELNS1_3repE0EEENS1_30default_config_static_selectorELNS0_4arch9wavefront6targetE1EEEvT1_ ; -- Begin function _ZN7rocprim17ROCPRIM_400000_NS6detail17trampoline_kernelINS0_14default_configENS1_27scan_by_key_config_selectorIiyEEZZNS1_16scan_by_key_implILNS1_25lookback_scan_determinismE0ELb0ES3_N6thrust23THRUST_200600_302600_NS6detail15normal_iteratorINS9_10device_ptrIiEEEENSB_INSC_IyEEEESG_yNS9_4plusIvEENS9_8equal_toIvEEyEE10hipError_tPvRmT2_T3_T4_T5_mT6_T7_P12ihipStream_tbENKUlT_T0_E_clISt17integral_constantIbLb0EES10_IbLb1EEEEDaSW_SX_EUlSW_E_NS1_11comp_targetILNS1_3genE3ELNS1_11target_archE908ELNS1_3gpuE7ELNS1_3repE0EEENS1_30default_config_static_selectorELNS0_4arch9wavefront6targetE1EEEvT1_
	.globl	_ZN7rocprim17ROCPRIM_400000_NS6detail17trampoline_kernelINS0_14default_configENS1_27scan_by_key_config_selectorIiyEEZZNS1_16scan_by_key_implILNS1_25lookback_scan_determinismE0ELb0ES3_N6thrust23THRUST_200600_302600_NS6detail15normal_iteratorINS9_10device_ptrIiEEEENSB_INSC_IyEEEESG_yNS9_4plusIvEENS9_8equal_toIvEEyEE10hipError_tPvRmT2_T3_T4_T5_mT6_T7_P12ihipStream_tbENKUlT_T0_E_clISt17integral_constantIbLb0EES10_IbLb1EEEEDaSW_SX_EUlSW_E_NS1_11comp_targetILNS1_3genE3ELNS1_11target_archE908ELNS1_3gpuE7ELNS1_3repE0EEENS1_30default_config_static_selectorELNS0_4arch9wavefront6targetE1EEEvT1_
	.p2align	8
	.type	_ZN7rocprim17ROCPRIM_400000_NS6detail17trampoline_kernelINS0_14default_configENS1_27scan_by_key_config_selectorIiyEEZZNS1_16scan_by_key_implILNS1_25lookback_scan_determinismE0ELb0ES3_N6thrust23THRUST_200600_302600_NS6detail15normal_iteratorINS9_10device_ptrIiEEEENSB_INSC_IyEEEESG_yNS9_4plusIvEENS9_8equal_toIvEEyEE10hipError_tPvRmT2_T3_T4_T5_mT6_T7_P12ihipStream_tbENKUlT_T0_E_clISt17integral_constantIbLb0EES10_IbLb1EEEEDaSW_SX_EUlSW_E_NS1_11comp_targetILNS1_3genE3ELNS1_11target_archE908ELNS1_3gpuE7ELNS1_3repE0EEENS1_30default_config_static_selectorELNS0_4arch9wavefront6targetE1EEEvT1_,@function
_ZN7rocprim17ROCPRIM_400000_NS6detail17trampoline_kernelINS0_14default_configENS1_27scan_by_key_config_selectorIiyEEZZNS1_16scan_by_key_implILNS1_25lookback_scan_determinismE0ELb0ES3_N6thrust23THRUST_200600_302600_NS6detail15normal_iteratorINS9_10device_ptrIiEEEENSB_INSC_IyEEEESG_yNS9_4plusIvEENS9_8equal_toIvEEyEE10hipError_tPvRmT2_T3_T4_T5_mT6_T7_P12ihipStream_tbENKUlT_T0_E_clISt17integral_constantIbLb0EES10_IbLb1EEEEDaSW_SX_EUlSW_E_NS1_11comp_targetILNS1_3genE3ELNS1_11target_archE908ELNS1_3gpuE7ELNS1_3repE0EEENS1_30default_config_static_selectorELNS0_4arch9wavefront6targetE1EEEvT1_: ; @_ZN7rocprim17ROCPRIM_400000_NS6detail17trampoline_kernelINS0_14default_configENS1_27scan_by_key_config_selectorIiyEEZZNS1_16scan_by_key_implILNS1_25lookback_scan_determinismE0ELb0ES3_N6thrust23THRUST_200600_302600_NS6detail15normal_iteratorINS9_10device_ptrIiEEEENSB_INSC_IyEEEESG_yNS9_4plusIvEENS9_8equal_toIvEEyEE10hipError_tPvRmT2_T3_T4_T5_mT6_T7_P12ihipStream_tbENKUlT_T0_E_clISt17integral_constantIbLb0EES10_IbLb1EEEEDaSW_SX_EUlSW_E_NS1_11comp_targetILNS1_3genE3ELNS1_11target_archE908ELNS1_3gpuE7ELNS1_3repE0EEENS1_30default_config_static_selectorELNS0_4arch9wavefront6targetE1EEEvT1_
; %bb.0:
	.section	.rodata,"a",@progbits
	.p2align	6, 0x0
	.amdhsa_kernel _ZN7rocprim17ROCPRIM_400000_NS6detail17trampoline_kernelINS0_14default_configENS1_27scan_by_key_config_selectorIiyEEZZNS1_16scan_by_key_implILNS1_25lookback_scan_determinismE0ELb0ES3_N6thrust23THRUST_200600_302600_NS6detail15normal_iteratorINS9_10device_ptrIiEEEENSB_INSC_IyEEEESG_yNS9_4plusIvEENS9_8equal_toIvEEyEE10hipError_tPvRmT2_T3_T4_T5_mT6_T7_P12ihipStream_tbENKUlT_T0_E_clISt17integral_constantIbLb0EES10_IbLb1EEEEDaSW_SX_EUlSW_E_NS1_11comp_targetILNS1_3genE3ELNS1_11target_archE908ELNS1_3gpuE7ELNS1_3repE0EEENS1_30default_config_static_selectorELNS0_4arch9wavefront6targetE1EEEvT1_
		.amdhsa_group_segment_fixed_size 0
		.amdhsa_private_segment_fixed_size 0
		.amdhsa_kernarg_size 136
		.amdhsa_user_sgpr_count 2
		.amdhsa_user_sgpr_dispatch_ptr 0
		.amdhsa_user_sgpr_queue_ptr 0
		.amdhsa_user_sgpr_kernarg_segment_ptr 1
		.amdhsa_user_sgpr_dispatch_id 0
		.amdhsa_user_sgpr_kernarg_preload_length 0
		.amdhsa_user_sgpr_kernarg_preload_offset 0
		.amdhsa_user_sgpr_private_segment_size 0
		.amdhsa_uses_dynamic_stack 0
		.amdhsa_enable_private_segment 0
		.amdhsa_system_sgpr_workgroup_id_x 1
		.amdhsa_system_sgpr_workgroup_id_y 0
		.amdhsa_system_sgpr_workgroup_id_z 0
		.amdhsa_system_sgpr_workgroup_info 0
		.amdhsa_system_vgpr_workitem_id 0
		.amdhsa_next_free_vgpr 1
		.amdhsa_next_free_sgpr 0
		.amdhsa_accum_offset 4
		.amdhsa_reserve_vcc 0
		.amdhsa_float_round_mode_32 0
		.amdhsa_float_round_mode_16_64 0
		.amdhsa_float_denorm_mode_32 3
		.amdhsa_float_denorm_mode_16_64 3
		.amdhsa_dx10_clamp 1
		.amdhsa_ieee_mode 1
		.amdhsa_fp16_overflow 0
		.amdhsa_tg_split 0
		.amdhsa_exception_fp_ieee_invalid_op 0
		.amdhsa_exception_fp_denorm_src 0
		.amdhsa_exception_fp_ieee_div_zero 0
		.amdhsa_exception_fp_ieee_overflow 0
		.amdhsa_exception_fp_ieee_underflow 0
		.amdhsa_exception_fp_ieee_inexact 0
		.amdhsa_exception_int_div_zero 0
	.end_amdhsa_kernel
	.section	.text._ZN7rocprim17ROCPRIM_400000_NS6detail17trampoline_kernelINS0_14default_configENS1_27scan_by_key_config_selectorIiyEEZZNS1_16scan_by_key_implILNS1_25lookback_scan_determinismE0ELb0ES3_N6thrust23THRUST_200600_302600_NS6detail15normal_iteratorINS9_10device_ptrIiEEEENSB_INSC_IyEEEESG_yNS9_4plusIvEENS9_8equal_toIvEEyEE10hipError_tPvRmT2_T3_T4_T5_mT6_T7_P12ihipStream_tbENKUlT_T0_E_clISt17integral_constantIbLb0EES10_IbLb1EEEEDaSW_SX_EUlSW_E_NS1_11comp_targetILNS1_3genE3ELNS1_11target_archE908ELNS1_3gpuE7ELNS1_3repE0EEENS1_30default_config_static_selectorELNS0_4arch9wavefront6targetE1EEEvT1_,"axG",@progbits,_ZN7rocprim17ROCPRIM_400000_NS6detail17trampoline_kernelINS0_14default_configENS1_27scan_by_key_config_selectorIiyEEZZNS1_16scan_by_key_implILNS1_25lookback_scan_determinismE0ELb0ES3_N6thrust23THRUST_200600_302600_NS6detail15normal_iteratorINS9_10device_ptrIiEEEENSB_INSC_IyEEEESG_yNS9_4plusIvEENS9_8equal_toIvEEyEE10hipError_tPvRmT2_T3_T4_T5_mT6_T7_P12ihipStream_tbENKUlT_T0_E_clISt17integral_constantIbLb0EES10_IbLb1EEEEDaSW_SX_EUlSW_E_NS1_11comp_targetILNS1_3genE3ELNS1_11target_archE908ELNS1_3gpuE7ELNS1_3repE0EEENS1_30default_config_static_selectorELNS0_4arch9wavefront6targetE1EEEvT1_,comdat
.Lfunc_end1213:
	.size	_ZN7rocprim17ROCPRIM_400000_NS6detail17trampoline_kernelINS0_14default_configENS1_27scan_by_key_config_selectorIiyEEZZNS1_16scan_by_key_implILNS1_25lookback_scan_determinismE0ELb0ES3_N6thrust23THRUST_200600_302600_NS6detail15normal_iteratorINS9_10device_ptrIiEEEENSB_INSC_IyEEEESG_yNS9_4plusIvEENS9_8equal_toIvEEyEE10hipError_tPvRmT2_T3_T4_T5_mT6_T7_P12ihipStream_tbENKUlT_T0_E_clISt17integral_constantIbLb0EES10_IbLb1EEEEDaSW_SX_EUlSW_E_NS1_11comp_targetILNS1_3genE3ELNS1_11target_archE908ELNS1_3gpuE7ELNS1_3repE0EEENS1_30default_config_static_selectorELNS0_4arch9wavefront6targetE1EEEvT1_, .Lfunc_end1213-_ZN7rocprim17ROCPRIM_400000_NS6detail17trampoline_kernelINS0_14default_configENS1_27scan_by_key_config_selectorIiyEEZZNS1_16scan_by_key_implILNS1_25lookback_scan_determinismE0ELb0ES3_N6thrust23THRUST_200600_302600_NS6detail15normal_iteratorINS9_10device_ptrIiEEEENSB_INSC_IyEEEESG_yNS9_4plusIvEENS9_8equal_toIvEEyEE10hipError_tPvRmT2_T3_T4_T5_mT6_T7_P12ihipStream_tbENKUlT_T0_E_clISt17integral_constantIbLb0EES10_IbLb1EEEEDaSW_SX_EUlSW_E_NS1_11comp_targetILNS1_3genE3ELNS1_11target_archE908ELNS1_3gpuE7ELNS1_3repE0EEENS1_30default_config_static_selectorELNS0_4arch9wavefront6targetE1EEEvT1_
                                        ; -- End function
	.section	.AMDGPU.csdata,"",@progbits
; Kernel info:
; codeLenInByte = 0
; NumSgprs: 6
; NumVgprs: 0
; NumAgprs: 0
; TotalNumVgprs: 0
; ScratchSize: 0
; MemoryBound: 0
; FloatMode: 240
; IeeeMode: 1
; LDSByteSize: 0 bytes/workgroup (compile time only)
; SGPRBlocks: 0
; VGPRBlocks: 0
; NumSGPRsForWavesPerEU: 6
; NumVGPRsForWavesPerEU: 1
; AccumOffset: 4
; Occupancy: 8
; WaveLimiterHint : 0
; COMPUTE_PGM_RSRC2:SCRATCH_EN: 0
; COMPUTE_PGM_RSRC2:USER_SGPR: 2
; COMPUTE_PGM_RSRC2:TRAP_HANDLER: 0
; COMPUTE_PGM_RSRC2:TGID_X_EN: 1
; COMPUTE_PGM_RSRC2:TGID_Y_EN: 0
; COMPUTE_PGM_RSRC2:TGID_Z_EN: 0
; COMPUTE_PGM_RSRC2:TIDIG_COMP_CNT: 0
; COMPUTE_PGM_RSRC3_GFX90A:ACCUM_OFFSET: 0
; COMPUTE_PGM_RSRC3_GFX90A:TG_SPLIT: 0
	.section	.text._ZN7rocprim17ROCPRIM_400000_NS6detail17trampoline_kernelINS0_14default_configENS1_27scan_by_key_config_selectorIiyEEZZNS1_16scan_by_key_implILNS1_25lookback_scan_determinismE0ELb0ES3_N6thrust23THRUST_200600_302600_NS6detail15normal_iteratorINS9_10device_ptrIiEEEENSB_INSC_IyEEEESG_yNS9_4plusIvEENS9_8equal_toIvEEyEE10hipError_tPvRmT2_T3_T4_T5_mT6_T7_P12ihipStream_tbENKUlT_T0_E_clISt17integral_constantIbLb0EES10_IbLb1EEEEDaSW_SX_EUlSW_E_NS1_11comp_targetILNS1_3genE2ELNS1_11target_archE906ELNS1_3gpuE6ELNS1_3repE0EEENS1_30default_config_static_selectorELNS0_4arch9wavefront6targetE1EEEvT1_,"axG",@progbits,_ZN7rocprim17ROCPRIM_400000_NS6detail17trampoline_kernelINS0_14default_configENS1_27scan_by_key_config_selectorIiyEEZZNS1_16scan_by_key_implILNS1_25lookback_scan_determinismE0ELb0ES3_N6thrust23THRUST_200600_302600_NS6detail15normal_iteratorINS9_10device_ptrIiEEEENSB_INSC_IyEEEESG_yNS9_4plusIvEENS9_8equal_toIvEEyEE10hipError_tPvRmT2_T3_T4_T5_mT6_T7_P12ihipStream_tbENKUlT_T0_E_clISt17integral_constantIbLb0EES10_IbLb1EEEEDaSW_SX_EUlSW_E_NS1_11comp_targetILNS1_3genE2ELNS1_11target_archE906ELNS1_3gpuE6ELNS1_3repE0EEENS1_30default_config_static_selectorELNS0_4arch9wavefront6targetE1EEEvT1_,comdat
	.protected	_ZN7rocprim17ROCPRIM_400000_NS6detail17trampoline_kernelINS0_14default_configENS1_27scan_by_key_config_selectorIiyEEZZNS1_16scan_by_key_implILNS1_25lookback_scan_determinismE0ELb0ES3_N6thrust23THRUST_200600_302600_NS6detail15normal_iteratorINS9_10device_ptrIiEEEENSB_INSC_IyEEEESG_yNS9_4plusIvEENS9_8equal_toIvEEyEE10hipError_tPvRmT2_T3_T4_T5_mT6_T7_P12ihipStream_tbENKUlT_T0_E_clISt17integral_constantIbLb0EES10_IbLb1EEEEDaSW_SX_EUlSW_E_NS1_11comp_targetILNS1_3genE2ELNS1_11target_archE906ELNS1_3gpuE6ELNS1_3repE0EEENS1_30default_config_static_selectorELNS0_4arch9wavefront6targetE1EEEvT1_ ; -- Begin function _ZN7rocprim17ROCPRIM_400000_NS6detail17trampoline_kernelINS0_14default_configENS1_27scan_by_key_config_selectorIiyEEZZNS1_16scan_by_key_implILNS1_25lookback_scan_determinismE0ELb0ES3_N6thrust23THRUST_200600_302600_NS6detail15normal_iteratorINS9_10device_ptrIiEEEENSB_INSC_IyEEEESG_yNS9_4plusIvEENS9_8equal_toIvEEyEE10hipError_tPvRmT2_T3_T4_T5_mT6_T7_P12ihipStream_tbENKUlT_T0_E_clISt17integral_constantIbLb0EES10_IbLb1EEEEDaSW_SX_EUlSW_E_NS1_11comp_targetILNS1_3genE2ELNS1_11target_archE906ELNS1_3gpuE6ELNS1_3repE0EEENS1_30default_config_static_selectorELNS0_4arch9wavefront6targetE1EEEvT1_
	.globl	_ZN7rocprim17ROCPRIM_400000_NS6detail17trampoline_kernelINS0_14default_configENS1_27scan_by_key_config_selectorIiyEEZZNS1_16scan_by_key_implILNS1_25lookback_scan_determinismE0ELb0ES3_N6thrust23THRUST_200600_302600_NS6detail15normal_iteratorINS9_10device_ptrIiEEEENSB_INSC_IyEEEESG_yNS9_4plusIvEENS9_8equal_toIvEEyEE10hipError_tPvRmT2_T3_T4_T5_mT6_T7_P12ihipStream_tbENKUlT_T0_E_clISt17integral_constantIbLb0EES10_IbLb1EEEEDaSW_SX_EUlSW_E_NS1_11comp_targetILNS1_3genE2ELNS1_11target_archE906ELNS1_3gpuE6ELNS1_3repE0EEENS1_30default_config_static_selectorELNS0_4arch9wavefront6targetE1EEEvT1_
	.p2align	8
	.type	_ZN7rocprim17ROCPRIM_400000_NS6detail17trampoline_kernelINS0_14default_configENS1_27scan_by_key_config_selectorIiyEEZZNS1_16scan_by_key_implILNS1_25lookback_scan_determinismE0ELb0ES3_N6thrust23THRUST_200600_302600_NS6detail15normal_iteratorINS9_10device_ptrIiEEEENSB_INSC_IyEEEESG_yNS9_4plusIvEENS9_8equal_toIvEEyEE10hipError_tPvRmT2_T3_T4_T5_mT6_T7_P12ihipStream_tbENKUlT_T0_E_clISt17integral_constantIbLb0EES10_IbLb1EEEEDaSW_SX_EUlSW_E_NS1_11comp_targetILNS1_3genE2ELNS1_11target_archE906ELNS1_3gpuE6ELNS1_3repE0EEENS1_30default_config_static_selectorELNS0_4arch9wavefront6targetE1EEEvT1_,@function
_ZN7rocprim17ROCPRIM_400000_NS6detail17trampoline_kernelINS0_14default_configENS1_27scan_by_key_config_selectorIiyEEZZNS1_16scan_by_key_implILNS1_25lookback_scan_determinismE0ELb0ES3_N6thrust23THRUST_200600_302600_NS6detail15normal_iteratorINS9_10device_ptrIiEEEENSB_INSC_IyEEEESG_yNS9_4plusIvEENS9_8equal_toIvEEyEE10hipError_tPvRmT2_T3_T4_T5_mT6_T7_P12ihipStream_tbENKUlT_T0_E_clISt17integral_constantIbLb0EES10_IbLb1EEEEDaSW_SX_EUlSW_E_NS1_11comp_targetILNS1_3genE2ELNS1_11target_archE906ELNS1_3gpuE6ELNS1_3repE0EEENS1_30default_config_static_selectorELNS0_4arch9wavefront6targetE1EEEvT1_: ; @_ZN7rocprim17ROCPRIM_400000_NS6detail17trampoline_kernelINS0_14default_configENS1_27scan_by_key_config_selectorIiyEEZZNS1_16scan_by_key_implILNS1_25lookback_scan_determinismE0ELb0ES3_N6thrust23THRUST_200600_302600_NS6detail15normal_iteratorINS9_10device_ptrIiEEEENSB_INSC_IyEEEESG_yNS9_4plusIvEENS9_8equal_toIvEEyEE10hipError_tPvRmT2_T3_T4_T5_mT6_T7_P12ihipStream_tbENKUlT_T0_E_clISt17integral_constantIbLb0EES10_IbLb1EEEEDaSW_SX_EUlSW_E_NS1_11comp_targetILNS1_3genE2ELNS1_11target_archE906ELNS1_3gpuE6ELNS1_3repE0EEENS1_30default_config_static_selectorELNS0_4arch9wavefront6targetE1EEEvT1_
; %bb.0:
	.section	.rodata,"a",@progbits
	.p2align	6, 0x0
	.amdhsa_kernel _ZN7rocprim17ROCPRIM_400000_NS6detail17trampoline_kernelINS0_14default_configENS1_27scan_by_key_config_selectorIiyEEZZNS1_16scan_by_key_implILNS1_25lookback_scan_determinismE0ELb0ES3_N6thrust23THRUST_200600_302600_NS6detail15normal_iteratorINS9_10device_ptrIiEEEENSB_INSC_IyEEEESG_yNS9_4plusIvEENS9_8equal_toIvEEyEE10hipError_tPvRmT2_T3_T4_T5_mT6_T7_P12ihipStream_tbENKUlT_T0_E_clISt17integral_constantIbLb0EES10_IbLb1EEEEDaSW_SX_EUlSW_E_NS1_11comp_targetILNS1_3genE2ELNS1_11target_archE906ELNS1_3gpuE6ELNS1_3repE0EEENS1_30default_config_static_selectorELNS0_4arch9wavefront6targetE1EEEvT1_
		.amdhsa_group_segment_fixed_size 0
		.amdhsa_private_segment_fixed_size 0
		.amdhsa_kernarg_size 136
		.amdhsa_user_sgpr_count 2
		.amdhsa_user_sgpr_dispatch_ptr 0
		.amdhsa_user_sgpr_queue_ptr 0
		.amdhsa_user_sgpr_kernarg_segment_ptr 1
		.amdhsa_user_sgpr_dispatch_id 0
		.amdhsa_user_sgpr_kernarg_preload_length 0
		.amdhsa_user_sgpr_kernarg_preload_offset 0
		.amdhsa_user_sgpr_private_segment_size 0
		.amdhsa_uses_dynamic_stack 0
		.amdhsa_enable_private_segment 0
		.amdhsa_system_sgpr_workgroup_id_x 1
		.amdhsa_system_sgpr_workgroup_id_y 0
		.amdhsa_system_sgpr_workgroup_id_z 0
		.amdhsa_system_sgpr_workgroup_info 0
		.amdhsa_system_vgpr_workitem_id 0
		.amdhsa_next_free_vgpr 1
		.amdhsa_next_free_sgpr 0
		.amdhsa_accum_offset 4
		.amdhsa_reserve_vcc 0
		.amdhsa_float_round_mode_32 0
		.amdhsa_float_round_mode_16_64 0
		.amdhsa_float_denorm_mode_32 3
		.amdhsa_float_denorm_mode_16_64 3
		.amdhsa_dx10_clamp 1
		.amdhsa_ieee_mode 1
		.amdhsa_fp16_overflow 0
		.amdhsa_tg_split 0
		.amdhsa_exception_fp_ieee_invalid_op 0
		.amdhsa_exception_fp_denorm_src 0
		.amdhsa_exception_fp_ieee_div_zero 0
		.amdhsa_exception_fp_ieee_overflow 0
		.amdhsa_exception_fp_ieee_underflow 0
		.amdhsa_exception_fp_ieee_inexact 0
		.amdhsa_exception_int_div_zero 0
	.end_amdhsa_kernel
	.section	.text._ZN7rocprim17ROCPRIM_400000_NS6detail17trampoline_kernelINS0_14default_configENS1_27scan_by_key_config_selectorIiyEEZZNS1_16scan_by_key_implILNS1_25lookback_scan_determinismE0ELb0ES3_N6thrust23THRUST_200600_302600_NS6detail15normal_iteratorINS9_10device_ptrIiEEEENSB_INSC_IyEEEESG_yNS9_4plusIvEENS9_8equal_toIvEEyEE10hipError_tPvRmT2_T3_T4_T5_mT6_T7_P12ihipStream_tbENKUlT_T0_E_clISt17integral_constantIbLb0EES10_IbLb1EEEEDaSW_SX_EUlSW_E_NS1_11comp_targetILNS1_3genE2ELNS1_11target_archE906ELNS1_3gpuE6ELNS1_3repE0EEENS1_30default_config_static_selectorELNS0_4arch9wavefront6targetE1EEEvT1_,"axG",@progbits,_ZN7rocprim17ROCPRIM_400000_NS6detail17trampoline_kernelINS0_14default_configENS1_27scan_by_key_config_selectorIiyEEZZNS1_16scan_by_key_implILNS1_25lookback_scan_determinismE0ELb0ES3_N6thrust23THRUST_200600_302600_NS6detail15normal_iteratorINS9_10device_ptrIiEEEENSB_INSC_IyEEEESG_yNS9_4plusIvEENS9_8equal_toIvEEyEE10hipError_tPvRmT2_T3_T4_T5_mT6_T7_P12ihipStream_tbENKUlT_T0_E_clISt17integral_constantIbLb0EES10_IbLb1EEEEDaSW_SX_EUlSW_E_NS1_11comp_targetILNS1_3genE2ELNS1_11target_archE906ELNS1_3gpuE6ELNS1_3repE0EEENS1_30default_config_static_selectorELNS0_4arch9wavefront6targetE1EEEvT1_,comdat
.Lfunc_end1214:
	.size	_ZN7rocprim17ROCPRIM_400000_NS6detail17trampoline_kernelINS0_14default_configENS1_27scan_by_key_config_selectorIiyEEZZNS1_16scan_by_key_implILNS1_25lookback_scan_determinismE0ELb0ES3_N6thrust23THRUST_200600_302600_NS6detail15normal_iteratorINS9_10device_ptrIiEEEENSB_INSC_IyEEEESG_yNS9_4plusIvEENS9_8equal_toIvEEyEE10hipError_tPvRmT2_T3_T4_T5_mT6_T7_P12ihipStream_tbENKUlT_T0_E_clISt17integral_constantIbLb0EES10_IbLb1EEEEDaSW_SX_EUlSW_E_NS1_11comp_targetILNS1_3genE2ELNS1_11target_archE906ELNS1_3gpuE6ELNS1_3repE0EEENS1_30default_config_static_selectorELNS0_4arch9wavefront6targetE1EEEvT1_, .Lfunc_end1214-_ZN7rocprim17ROCPRIM_400000_NS6detail17trampoline_kernelINS0_14default_configENS1_27scan_by_key_config_selectorIiyEEZZNS1_16scan_by_key_implILNS1_25lookback_scan_determinismE0ELb0ES3_N6thrust23THRUST_200600_302600_NS6detail15normal_iteratorINS9_10device_ptrIiEEEENSB_INSC_IyEEEESG_yNS9_4plusIvEENS9_8equal_toIvEEyEE10hipError_tPvRmT2_T3_T4_T5_mT6_T7_P12ihipStream_tbENKUlT_T0_E_clISt17integral_constantIbLb0EES10_IbLb1EEEEDaSW_SX_EUlSW_E_NS1_11comp_targetILNS1_3genE2ELNS1_11target_archE906ELNS1_3gpuE6ELNS1_3repE0EEENS1_30default_config_static_selectorELNS0_4arch9wavefront6targetE1EEEvT1_
                                        ; -- End function
	.section	.AMDGPU.csdata,"",@progbits
; Kernel info:
; codeLenInByte = 0
; NumSgprs: 6
; NumVgprs: 0
; NumAgprs: 0
; TotalNumVgprs: 0
; ScratchSize: 0
; MemoryBound: 0
; FloatMode: 240
; IeeeMode: 1
; LDSByteSize: 0 bytes/workgroup (compile time only)
; SGPRBlocks: 0
; VGPRBlocks: 0
; NumSGPRsForWavesPerEU: 6
; NumVGPRsForWavesPerEU: 1
; AccumOffset: 4
; Occupancy: 8
; WaveLimiterHint : 0
; COMPUTE_PGM_RSRC2:SCRATCH_EN: 0
; COMPUTE_PGM_RSRC2:USER_SGPR: 2
; COMPUTE_PGM_RSRC2:TRAP_HANDLER: 0
; COMPUTE_PGM_RSRC2:TGID_X_EN: 1
; COMPUTE_PGM_RSRC2:TGID_Y_EN: 0
; COMPUTE_PGM_RSRC2:TGID_Z_EN: 0
; COMPUTE_PGM_RSRC2:TIDIG_COMP_CNT: 0
; COMPUTE_PGM_RSRC3_GFX90A:ACCUM_OFFSET: 0
; COMPUTE_PGM_RSRC3_GFX90A:TG_SPLIT: 0
	.section	.text._ZN7rocprim17ROCPRIM_400000_NS6detail17trampoline_kernelINS0_14default_configENS1_27scan_by_key_config_selectorIiyEEZZNS1_16scan_by_key_implILNS1_25lookback_scan_determinismE0ELb0ES3_N6thrust23THRUST_200600_302600_NS6detail15normal_iteratorINS9_10device_ptrIiEEEENSB_INSC_IyEEEESG_yNS9_4plusIvEENS9_8equal_toIvEEyEE10hipError_tPvRmT2_T3_T4_T5_mT6_T7_P12ihipStream_tbENKUlT_T0_E_clISt17integral_constantIbLb0EES10_IbLb1EEEEDaSW_SX_EUlSW_E_NS1_11comp_targetILNS1_3genE10ELNS1_11target_archE1200ELNS1_3gpuE4ELNS1_3repE0EEENS1_30default_config_static_selectorELNS0_4arch9wavefront6targetE1EEEvT1_,"axG",@progbits,_ZN7rocprim17ROCPRIM_400000_NS6detail17trampoline_kernelINS0_14default_configENS1_27scan_by_key_config_selectorIiyEEZZNS1_16scan_by_key_implILNS1_25lookback_scan_determinismE0ELb0ES3_N6thrust23THRUST_200600_302600_NS6detail15normal_iteratorINS9_10device_ptrIiEEEENSB_INSC_IyEEEESG_yNS9_4plusIvEENS9_8equal_toIvEEyEE10hipError_tPvRmT2_T3_T4_T5_mT6_T7_P12ihipStream_tbENKUlT_T0_E_clISt17integral_constantIbLb0EES10_IbLb1EEEEDaSW_SX_EUlSW_E_NS1_11comp_targetILNS1_3genE10ELNS1_11target_archE1200ELNS1_3gpuE4ELNS1_3repE0EEENS1_30default_config_static_selectorELNS0_4arch9wavefront6targetE1EEEvT1_,comdat
	.protected	_ZN7rocprim17ROCPRIM_400000_NS6detail17trampoline_kernelINS0_14default_configENS1_27scan_by_key_config_selectorIiyEEZZNS1_16scan_by_key_implILNS1_25lookback_scan_determinismE0ELb0ES3_N6thrust23THRUST_200600_302600_NS6detail15normal_iteratorINS9_10device_ptrIiEEEENSB_INSC_IyEEEESG_yNS9_4plusIvEENS9_8equal_toIvEEyEE10hipError_tPvRmT2_T3_T4_T5_mT6_T7_P12ihipStream_tbENKUlT_T0_E_clISt17integral_constantIbLb0EES10_IbLb1EEEEDaSW_SX_EUlSW_E_NS1_11comp_targetILNS1_3genE10ELNS1_11target_archE1200ELNS1_3gpuE4ELNS1_3repE0EEENS1_30default_config_static_selectorELNS0_4arch9wavefront6targetE1EEEvT1_ ; -- Begin function _ZN7rocprim17ROCPRIM_400000_NS6detail17trampoline_kernelINS0_14default_configENS1_27scan_by_key_config_selectorIiyEEZZNS1_16scan_by_key_implILNS1_25lookback_scan_determinismE0ELb0ES3_N6thrust23THRUST_200600_302600_NS6detail15normal_iteratorINS9_10device_ptrIiEEEENSB_INSC_IyEEEESG_yNS9_4plusIvEENS9_8equal_toIvEEyEE10hipError_tPvRmT2_T3_T4_T5_mT6_T7_P12ihipStream_tbENKUlT_T0_E_clISt17integral_constantIbLb0EES10_IbLb1EEEEDaSW_SX_EUlSW_E_NS1_11comp_targetILNS1_3genE10ELNS1_11target_archE1200ELNS1_3gpuE4ELNS1_3repE0EEENS1_30default_config_static_selectorELNS0_4arch9wavefront6targetE1EEEvT1_
	.globl	_ZN7rocprim17ROCPRIM_400000_NS6detail17trampoline_kernelINS0_14default_configENS1_27scan_by_key_config_selectorIiyEEZZNS1_16scan_by_key_implILNS1_25lookback_scan_determinismE0ELb0ES3_N6thrust23THRUST_200600_302600_NS6detail15normal_iteratorINS9_10device_ptrIiEEEENSB_INSC_IyEEEESG_yNS9_4plusIvEENS9_8equal_toIvEEyEE10hipError_tPvRmT2_T3_T4_T5_mT6_T7_P12ihipStream_tbENKUlT_T0_E_clISt17integral_constantIbLb0EES10_IbLb1EEEEDaSW_SX_EUlSW_E_NS1_11comp_targetILNS1_3genE10ELNS1_11target_archE1200ELNS1_3gpuE4ELNS1_3repE0EEENS1_30default_config_static_selectorELNS0_4arch9wavefront6targetE1EEEvT1_
	.p2align	8
	.type	_ZN7rocprim17ROCPRIM_400000_NS6detail17trampoline_kernelINS0_14default_configENS1_27scan_by_key_config_selectorIiyEEZZNS1_16scan_by_key_implILNS1_25lookback_scan_determinismE0ELb0ES3_N6thrust23THRUST_200600_302600_NS6detail15normal_iteratorINS9_10device_ptrIiEEEENSB_INSC_IyEEEESG_yNS9_4plusIvEENS9_8equal_toIvEEyEE10hipError_tPvRmT2_T3_T4_T5_mT6_T7_P12ihipStream_tbENKUlT_T0_E_clISt17integral_constantIbLb0EES10_IbLb1EEEEDaSW_SX_EUlSW_E_NS1_11comp_targetILNS1_3genE10ELNS1_11target_archE1200ELNS1_3gpuE4ELNS1_3repE0EEENS1_30default_config_static_selectorELNS0_4arch9wavefront6targetE1EEEvT1_,@function
_ZN7rocprim17ROCPRIM_400000_NS6detail17trampoline_kernelINS0_14default_configENS1_27scan_by_key_config_selectorIiyEEZZNS1_16scan_by_key_implILNS1_25lookback_scan_determinismE0ELb0ES3_N6thrust23THRUST_200600_302600_NS6detail15normal_iteratorINS9_10device_ptrIiEEEENSB_INSC_IyEEEESG_yNS9_4plusIvEENS9_8equal_toIvEEyEE10hipError_tPvRmT2_T3_T4_T5_mT6_T7_P12ihipStream_tbENKUlT_T0_E_clISt17integral_constantIbLb0EES10_IbLb1EEEEDaSW_SX_EUlSW_E_NS1_11comp_targetILNS1_3genE10ELNS1_11target_archE1200ELNS1_3gpuE4ELNS1_3repE0EEENS1_30default_config_static_selectorELNS0_4arch9wavefront6targetE1EEEvT1_: ; @_ZN7rocprim17ROCPRIM_400000_NS6detail17trampoline_kernelINS0_14default_configENS1_27scan_by_key_config_selectorIiyEEZZNS1_16scan_by_key_implILNS1_25lookback_scan_determinismE0ELb0ES3_N6thrust23THRUST_200600_302600_NS6detail15normal_iteratorINS9_10device_ptrIiEEEENSB_INSC_IyEEEESG_yNS9_4plusIvEENS9_8equal_toIvEEyEE10hipError_tPvRmT2_T3_T4_T5_mT6_T7_P12ihipStream_tbENKUlT_T0_E_clISt17integral_constantIbLb0EES10_IbLb1EEEEDaSW_SX_EUlSW_E_NS1_11comp_targetILNS1_3genE10ELNS1_11target_archE1200ELNS1_3gpuE4ELNS1_3repE0EEENS1_30default_config_static_selectorELNS0_4arch9wavefront6targetE1EEEvT1_
; %bb.0:
	.section	.rodata,"a",@progbits
	.p2align	6, 0x0
	.amdhsa_kernel _ZN7rocprim17ROCPRIM_400000_NS6detail17trampoline_kernelINS0_14default_configENS1_27scan_by_key_config_selectorIiyEEZZNS1_16scan_by_key_implILNS1_25lookback_scan_determinismE0ELb0ES3_N6thrust23THRUST_200600_302600_NS6detail15normal_iteratorINS9_10device_ptrIiEEEENSB_INSC_IyEEEESG_yNS9_4plusIvEENS9_8equal_toIvEEyEE10hipError_tPvRmT2_T3_T4_T5_mT6_T7_P12ihipStream_tbENKUlT_T0_E_clISt17integral_constantIbLb0EES10_IbLb1EEEEDaSW_SX_EUlSW_E_NS1_11comp_targetILNS1_3genE10ELNS1_11target_archE1200ELNS1_3gpuE4ELNS1_3repE0EEENS1_30default_config_static_selectorELNS0_4arch9wavefront6targetE1EEEvT1_
		.amdhsa_group_segment_fixed_size 0
		.amdhsa_private_segment_fixed_size 0
		.amdhsa_kernarg_size 136
		.amdhsa_user_sgpr_count 2
		.amdhsa_user_sgpr_dispatch_ptr 0
		.amdhsa_user_sgpr_queue_ptr 0
		.amdhsa_user_sgpr_kernarg_segment_ptr 1
		.amdhsa_user_sgpr_dispatch_id 0
		.amdhsa_user_sgpr_kernarg_preload_length 0
		.amdhsa_user_sgpr_kernarg_preload_offset 0
		.amdhsa_user_sgpr_private_segment_size 0
		.amdhsa_uses_dynamic_stack 0
		.amdhsa_enable_private_segment 0
		.amdhsa_system_sgpr_workgroup_id_x 1
		.amdhsa_system_sgpr_workgroup_id_y 0
		.amdhsa_system_sgpr_workgroup_id_z 0
		.amdhsa_system_sgpr_workgroup_info 0
		.amdhsa_system_vgpr_workitem_id 0
		.amdhsa_next_free_vgpr 1
		.amdhsa_next_free_sgpr 0
		.amdhsa_accum_offset 4
		.amdhsa_reserve_vcc 0
		.amdhsa_float_round_mode_32 0
		.amdhsa_float_round_mode_16_64 0
		.amdhsa_float_denorm_mode_32 3
		.amdhsa_float_denorm_mode_16_64 3
		.amdhsa_dx10_clamp 1
		.amdhsa_ieee_mode 1
		.amdhsa_fp16_overflow 0
		.amdhsa_tg_split 0
		.amdhsa_exception_fp_ieee_invalid_op 0
		.amdhsa_exception_fp_denorm_src 0
		.amdhsa_exception_fp_ieee_div_zero 0
		.amdhsa_exception_fp_ieee_overflow 0
		.amdhsa_exception_fp_ieee_underflow 0
		.amdhsa_exception_fp_ieee_inexact 0
		.amdhsa_exception_int_div_zero 0
	.end_amdhsa_kernel
	.section	.text._ZN7rocprim17ROCPRIM_400000_NS6detail17trampoline_kernelINS0_14default_configENS1_27scan_by_key_config_selectorIiyEEZZNS1_16scan_by_key_implILNS1_25lookback_scan_determinismE0ELb0ES3_N6thrust23THRUST_200600_302600_NS6detail15normal_iteratorINS9_10device_ptrIiEEEENSB_INSC_IyEEEESG_yNS9_4plusIvEENS9_8equal_toIvEEyEE10hipError_tPvRmT2_T3_T4_T5_mT6_T7_P12ihipStream_tbENKUlT_T0_E_clISt17integral_constantIbLb0EES10_IbLb1EEEEDaSW_SX_EUlSW_E_NS1_11comp_targetILNS1_3genE10ELNS1_11target_archE1200ELNS1_3gpuE4ELNS1_3repE0EEENS1_30default_config_static_selectorELNS0_4arch9wavefront6targetE1EEEvT1_,"axG",@progbits,_ZN7rocprim17ROCPRIM_400000_NS6detail17trampoline_kernelINS0_14default_configENS1_27scan_by_key_config_selectorIiyEEZZNS1_16scan_by_key_implILNS1_25lookback_scan_determinismE0ELb0ES3_N6thrust23THRUST_200600_302600_NS6detail15normal_iteratorINS9_10device_ptrIiEEEENSB_INSC_IyEEEESG_yNS9_4plusIvEENS9_8equal_toIvEEyEE10hipError_tPvRmT2_T3_T4_T5_mT6_T7_P12ihipStream_tbENKUlT_T0_E_clISt17integral_constantIbLb0EES10_IbLb1EEEEDaSW_SX_EUlSW_E_NS1_11comp_targetILNS1_3genE10ELNS1_11target_archE1200ELNS1_3gpuE4ELNS1_3repE0EEENS1_30default_config_static_selectorELNS0_4arch9wavefront6targetE1EEEvT1_,comdat
.Lfunc_end1215:
	.size	_ZN7rocprim17ROCPRIM_400000_NS6detail17trampoline_kernelINS0_14default_configENS1_27scan_by_key_config_selectorIiyEEZZNS1_16scan_by_key_implILNS1_25lookback_scan_determinismE0ELb0ES3_N6thrust23THRUST_200600_302600_NS6detail15normal_iteratorINS9_10device_ptrIiEEEENSB_INSC_IyEEEESG_yNS9_4plusIvEENS9_8equal_toIvEEyEE10hipError_tPvRmT2_T3_T4_T5_mT6_T7_P12ihipStream_tbENKUlT_T0_E_clISt17integral_constantIbLb0EES10_IbLb1EEEEDaSW_SX_EUlSW_E_NS1_11comp_targetILNS1_3genE10ELNS1_11target_archE1200ELNS1_3gpuE4ELNS1_3repE0EEENS1_30default_config_static_selectorELNS0_4arch9wavefront6targetE1EEEvT1_, .Lfunc_end1215-_ZN7rocprim17ROCPRIM_400000_NS6detail17trampoline_kernelINS0_14default_configENS1_27scan_by_key_config_selectorIiyEEZZNS1_16scan_by_key_implILNS1_25lookback_scan_determinismE0ELb0ES3_N6thrust23THRUST_200600_302600_NS6detail15normal_iteratorINS9_10device_ptrIiEEEENSB_INSC_IyEEEESG_yNS9_4plusIvEENS9_8equal_toIvEEyEE10hipError_tPvRmT2_T3_T4_T5_mT6_T7_P12ihipStream_tbENKUlT_T0_E_clISt17integral_constantIbLb0EES10_IbLb1EEEEDaSW_SX_EUlSW_E_NS1_11comp_targetILNS1_3genE10ELNS1_11target_archE1200ELNS1_3gpuE4ELNS1_3repE0EEENS1_30default_config_static_selectorELNS0_4arch9wavefront6targetE1EEEvT1_
                                        ; -- End function
	.section	.AMDGPU.csdata,"",@progbits
; Kernel info:
; codeLenInByte = 0
; NumSgprs: 6
; NumVgprs: 0
; NumAgprs: 0
; TotalNumVgprs: 0
; ScratchSize: 0
; MemoryBound: 0
; FloatMode: 240
; IeeeMode: 1
; LDSByteSize: 0 bytes/workgroup (compile time only)
; SGPRBlocks: 0
; VGPRBlocks: 0
; NumSGPRsForWavesPerEU: 6
; NumVGPRsForWavesPerEU: 1
; AccumOffset: 4
; Occupancy: 8
; WaveLimiterHint : 0
; COMPUTE_PGM_RSRC2:SCRATCH_EN: 0
; COMPUTE_PGM_RSRC2:USER_SGPR: 2
; COMPUTE_PGM_RSRC2:TRAP_HANDLER: 0
; COMPUTE_PGM_RSRC2:TGID_X_EN: 1
; COMPUTE_PGM_RSRC2:TGID_Y_EN: 0
; COMPUTE_PGM_RSRC2:TGID_Z_EN: 0
; COMPUTE_PGM_RSRC2:TIDIG_COMP_CNT: 0
; COMPUTE_PGM_RSRC3_GFX90A:ACCUM_OFFSET: 0
; COMPUTE_PGM_RSRC3_GFX90A:TG_SPLIT: 0
	.section	.text._ZN7rocprim17ROCPRIM_400000_NS6detail17trampoline_kernelINS0_14default_configENS1_27scan_by_key_config_selectorIiyEEZZNS1_16scan_by_key_implILNS1_25lookback_scan_determinismE0ELb0ES3_N6thrust23THRUST_200600_302600_NS6detail15normal_iteratorINS9_10device_ptrIiEEEENSB_INSC_IyEEEESG_yNS9_4plusIvEENS9_8equal_toIvEEyEE10hipError_tPvRmT2_T3_T4_T5_mT6_T7_P12ihipStream_tbENKUlT_T0_E_clISt17integral_constantIbLb0EES10_IbLb1EEEEDaSW_SX_EUlSW_E_NS1_11comp_targetILNS1_3genE9ELNS1_11target_archE1100ELNS1_3gpuE3ELNS1_3repE0EEENS1_30default_config_static_selectorELNS0_4arch9wavefront6targetE1EEEvT1_,"axG",@progbits,_ZN7rocprim17ROCPRIM_400000_NS6detail17trampoline_kernelINS0_14default_configENS1_27scan_by_key_config_selectorIiyEEZZNS1_16scan_by_key_implILNS1_25lookback_scan_determinismE0ELb0ES3_N6thrust23THRUST_200600_302600_NS6detail15normal_iteratorINS9_10device_ptrIiEEEENSB_INSC_IyEEEESG_yNS9_4plusIvEENS9_8equal_toIvEEyEE10hipError_tPvRmT2_T3_T4_T5_mT6_T7_P12ihipStream_tbENKUlT_T0_E_clISt17integral_constantIbLb0EES10_IbLb1EEEEDaSW_SX_EUlSW_E_NS1_11comp_targetILNS1_3genE9ELNS1_11target_archE1100ELNS1_3gpuE3ELNS1_3repE0EEENS1_30default_config_static_selectorELNS0_4arch9wavefront6targetE1EEEvT1_,comdat
	.protected	_ZN7rocprim17ROCPRIM_400000_NS6detail17trampoline_kernelINS0_14default_configENS1_27scan_by_key_config_selectorIiyEEZZNS1_16scan_by_key_implILNS1_25lookback_scan_determinismE0ELb0ES3_N6thrust23THRUST_200600_302600_NS6detail15normal_iteratorINS9_10device_ptrIiEEEENSB_INSC_IyEEEESG_yNS9_4plusIvEENS9_8equal_toIvEEyEE10hipError_tPvRmT2_T3_T4_T5_mT6_T7_P12ihipStream_tbENKUlT_T0_E_clISt17integral_constantIbLb0EES10_IbLb1EEEEDaSW_SX_EUlSW_E_NS1_11comp_targetILNS1_3genE9ELNS1_11target_archE1100ELNS1_3gpuE3ELNS1_3repE0EEENS1_30default_config_static_selectorELNS0_4arch9wavefront6targetE1EEEvT1_ ; -- Begin function _ZN7rocprim17ROCPRIM_400000_NS6detail17trampoline_kernelINS0_14default_configENS1_27scan_by_key_config_selectorIiyEEZZNS1_16scan_by_key_implILNS1_25lookback_scan_determinismE0ELb0ES3_N6thrust23THRUST_200600_302600_NS6detail15normal_iteratorINS9_10device_ptrIiEEEENSB_INSC_IyEEEESG_yNS9_4plusIvEENS9_8equal_toIvEEyEE10hipError_tPvRmT2_T3_T4_T5_mT6_T7_P12ihipStream_tbENKUlT_T0_E_clISt17integral_constantIbLb0EES10_IbLb1EEEEDaSW_SX_EUlSW_E_NS1_11comp_targetILNS1_3genE9ELNS1_11target_archE1100ELNS1_3gpuE3ELNS1_3repE0EEENS1_30default_config_static_selectorELNS0_4arch9wavefront6targetE1EEEvT1_
	.globl	_ZN7rocprim17ROCPRIM_400000_NS6detail17trampoline_kernelINS0_14default_configENS1_27scan_by_key_config_selectorIiyEEZZNS1_16scan_by_key_implILNS1_25lookback_scan_determinismE0ELb0ES3_N6thrust23THRUST_200600_302600_NS6detail15normal_iteratorINS9_10device_ptrIiEEEENSB_INSC_IyEEEESG_yNS9_4plusIvEENS9_8equal_toIvEEyEE10hipError_tPvRmT2_T3_T4_T5_mT6_T7_P12ihipStream_tbENKUlT_T0_E_clISt17integral_constantIbLb0EES10_IbLb1EEEEDaSW_SX_EUlSW_E_NS1_11comp_targetILNS1_3genE9ELNS1_11target_archE1100ELNS1_3gpuE3ELNS1_3repE0EEENS1_30default_config_static_selectorELNS0_4arch9wavefront6targetE1EEEvT1_
	.p2align	8
	.type	_ZN7rocprim17ROCPRIM_400000_NS6detail17trampoline_kernelINS0_14default_configENS1_27scan_by_key_config_selectorIiyEEZZNS1_16scan_by_key_implILNS1_25lookback_scan_determinismE0ELb0ES3_N6thrust23THRUST_200600_302600_NS6detail15normal_iteratorINS9_10device_ptrIiEEEENSB_INSC_IyEEEESG_yNS9_4plusIvEENS9_8equal_toIvEEyEE10hipError_tPvRmT2_T3_T4_T5_mT6_T7_P12ihipStream_tbENKUlT_T0_E_clISt17integral_constantIbLb0EES10_IbLb1EEEEDaSW_SX_EUlSW_E_NS1_11comp_targetILNS1_3genE9ELNS1_11target_archE1100ELNS1_3gpuE3ELNS1_3repE0EEENS1_30default_config_static_selectorELNS0_4arch9wavefront6targetE1EEEvT1_,@function
_ZN7rocprim17ROCPRIM_400000_NS6detail17trampoline_kernelINS0_14default_configENS1_27scan_by_key_config_selectorIiyEEZZNS1_16scan_by_key_implILNS1_25lookback_scan_determinismE0ELb0ES3_N6thrust23THRUST_200600_302600_NS6detail15normal_iteratorINS9_10device_ptrIiEEEENSB_INSC_IyEEEESG_yNS9_4plusIvEENS9_8equal_toIvEEyEE10hipError_tPvRmT2_T3_T4_T5_mT6_T7_P12ihipStream_tbENKUlT_T0_E_clISt17integral_constantIbLb0EES10_IbLb1EEEEDaSW_SX_EUlSW_E_NS1_11comp_targetILNS1_3genE9ELNS1_11target_archE1100ELNS1_3gpuE3ELNS1_3repE0EEENS1_30default_config_static_selectorELNS0_4arch9wavefront6targetE1EEEvT1_: ; @_ZN7rocprim17ROCPRIM_400000_NS6detail17trampoline_kernelINS0_14default_configENS1_27scan_by_key_config_selectorIiyEEZZNS1_16scan_by_key_implILNS1_25lookback_scan_determinismE0ELb0ES3_N6thrust23THRUST_200600_302600_NS6detail15normal_iteratorINS9_10device_ptrIiEEEENSB_INSC_IyEEEESG_yNS9_4plusIvEENS9_8equal_toIvEEyEE10hipError_tPvRmT2_T3_T4_T5_mT6_T7_P12ihipStream_tbENKUlT_T0_E_clISt17integral_constantIbLb0EES10_IbLb1EEEEDaSW_SX_EUlSW_E_NS1_11comp_targetILNS1_3genE9ELNS1_11target_archE1100ELNS1_3gpuE3ELNS1_3repE0EEENS1_30default_config_static_selectorELNS0_4arch9wavefront6targetE1EEEvT1_
; %bb.0:
	.section	.rodata,"a",@progbits
	.p2align	6, 0x0
	.amdhsa_kernel _ZN7rocprim17ROCPRIM_400000_NS6detail17trampoline_kernelINS0_14default_configENS1_27scan_by_key_config_selectorIiyEEZZNS1_16scan_by_key_implILNS1_25lookback_scan_determinismE0ELb0ES3_N6thrust23THRUST_200600_302600_NS6detail15normal_iteratorINS9_10device_ptrIiEEEENSB_INSC_IyEEEESG_yNS9_4plusIvEENS9_8equal_toIvEEyEE10hipError_tPvRmT2_T3_T4_T5_mT6_T7_P12ihipStream_tbENKUlT_T0_E_clISt17integral_constantIbLb0EES10_IbLb1EEEEDaSW_SX_EUlSW_E_NS1_11comp_targetILNS1_3genE9ELNS1_11target_archE1100ELNS1_3gpuE3ELNS1_3repE0EEENS1_30default_config_static_selectorELNS0_4arch9wavefront6targetE1EEEvT1_
		.amdhsa_group_segment_fixed_size 0
		.amdhsa_private_segment_fixed_size 0
		.amdhsa_kernarg_size 136
		.amdhsa_user_sgpr_count 2
		.amdhsa_user_sgpr_dispatch_ptr 0
		.amdhsa_user_sgpr_queue_ptr 0
		.amdhsa_user_sgpr_kernarg_segment_ptr 1
		.amdhsa_user_sgpr_dispatch_id 0
		.amdhsa_user_sgpr_kernarg_preload_length 0
		.amdhsa_user_sgpr_kernarg_preload_offset 0
		.amdhsa_user_sgpr_private_segment_size 0
		.amdhsa_uses_dynamic_stack 0
		.amdhsa_enable_private_segment 0
		.amdhsa_system_sgpr_workgroup_id_x 1
		.amdhsa_system_sgpr_workgroup_id_y 0
		.amdhsa_system_sgpr_workgroup_id_z 0
		.amdhsa_system_sgpr_workgroup_info 0
		.amdhsa_system_vgpr_workitem_id 0
		.amdhsa_next_free_vgpr 1
		.amdhsa_next_free_sgpr 0
		.amdhsa_accum_offset 4
		.amdhsa_reserve_vcc 0
		.amdhsa_float_round_mode_32 0
		.amdhsa_float_round_mode_16_64 0
		.amdhsa_float_denorm_mode_32 3
		.amdhsa_float_denorm_mode_16_64 3
		.amdhsa_dx10_clamp 1
		.amdhsa_ieee_mode 1
		.amdhsa_fp16_overflow 0
		.amdhsa_tg_split 0
		.amdhsa_exception_fp_ieee_invalid_op 0
		.amdhsa_exception_fp_denorm_src 0
		.amdhsa_exception_fp_ieee_div_zero 0
		.amdhsa_exception_fp_ieee_overflow 0
		.amdhsa_exception_fp_ieee_underflow 0
		.amdhsa_exception_fp_ieee_inexact 0
		.amdhsa_exception_int_div_zero 0
	.end_amdhsa_kernel
	.section	.text._ZN7rocprim17ROCPRIM_400000_NS6detail17trampoline_kernelINS0_14default_configENS1_27scan_by_key_config_selectorIiyEEZZNS1_16scan_by_key_implILNS1_25lookback_scan_determinismE0ELb0ES3_N6thrust23THRUST_200600_302600_NS6detail15normal_iteratorINS9_10device_ptrIiEEEENSB_INSC_IyEEEESG_yNS9_4plusIvEENS9_8equal_toIvEEyEE10hipError_tPvRmT2_T3_T4_T5_mT6_T7_P12ihipStream_tbENKUlT_T0_E_clISt17integral_constantIbLb0EES10_IbLb1EEEEDaSW_SX_EUlSW_E_NS1_11comp_targetILNS1_3genE9ELNS1_11target_archE1100ELNS1_3gpuE3ELNS1_3repE0EEENS1_30default_config_static_selectorELNS0_4arch9wavefront6targetE1EEEvT1_,"axG",@progbits,_ZN7rocprim17ROCPRIM_400000_NS6detail17trampoline_kernelINS0_14default_configENS1_27scan_by_key_config_selectorIiyEEZZNS1_16scan_by_key_implILNS1_25lookback_scan_determinismE0ELb0ES3_N6thrust23THRUST_200600_302600_NS6detail15normal_iteratorINS9_10device_ptrIiEEEENSB_INSC_IyEEEESG_yNS9_4plusIvEENS9_8equal_toIvEEyEE10hipError_tPvRmT2_T3_T4_T5_mT6_T7_P12ihipStream_tbENKUlT_T0_E_clISt17integral_constantIbLb0EES10_IbLb1EEEEDaSW_SX_EUlSW_E_NS1_11comp_targetILNS1_3genE9ELNS1_11target_archE1100ELNS1_3gpuE3ELNS1_3repE0EEENS1_30default_config_static_selectorELNS0_4arch9wavefront6targetE1EEEvT1_,comdat
.Lfunc_end1216:
	.size	_ZN7rocprim17ROCPRIM_400000_NS6detail17trampoline_kernelINS0_14default_configENS1_27scan_by_key_config_selectorIiyEEZZNS1_16scan_by_key_implILNS1_25lookback_scan_determinismE0ELb0ES3_N6thrust23THRUST_200600_302600_NS6detail15normal_iteratorINS9_10device_ptrIiEEEENSB_INSC_IyEEEESG_yNS9_4plusIvEENS9_8equal_toIvEEyEE10hipError_tPvRmT2_T3_T4_T5_mT6_T7_P12ihipStream_tbENKUlT_T0_E_clISt17integral_constantIbLb0EES10_IbLb1EEEEDaSW_SX_EUlSW_E_NS1_11comp_targetILNS1_3genE9ELNS1_11target_archE1100ELNS1_3gpuE3ELNS1_3repE0EEENS1_30default_config_static_selectorELNS0_4arch9wavefront6targetE1EEEvT1_, .Lfunc_end1216-_ZN7rocprim17ROCPRIM_400000_NS6detail17trampoline_kernelINS0_14default_configENS1_27scan_by_key_config_selectorIiyEEZZNS1_16scan_by_key_implILNS1_25lookback_scan_determinismE0ELb0ES3_N6thrust23THRUST_200600_302600_NS6detail15normal_iteratorINS9_10device_ptrIiEEEENSB_INSC_IyEEEESG_yNS9_4plusIvEENS9_8equal_toIvEEyEE10hipError_tPvRmT2_T3_T4_T5_mT6_T7_P12ihipStream_tbENKUlT_T0_E_clISt17integral_constantIbLb0EES10_IbLb1EEEEDaSW_SX_EUlSW_E_NS1_11comp_targetILNS1_3genE9ELNS1_11target_archE1100ELNS1_3gpuE3ELNS1_3repE0EEENS1_30default_config_static_selectorELNS0_4arch9wavefront6targetE1EEEvT1_
                                        ; -- End function
	.section	.AMDGPU.csdata,"",@progbits
; Kernel info:
; codeLenInByte = 0
; NumSgprs: 6
; NumVgprs: 0
; NumAgprs: 0
; TotalNumVgprs: 0
; ScratchSize: 0
; MemoryBound: 0
; FloatMode: 240
; IeeeMode: 1
; LDSByteSize: 0 bytes/workgroup (compile time only)
; SGPRBlocks: 0
; VGPRBlocks: 0
; NumSGPRsForWavesPerEU: 6
; NumVGPRsForWavesPerEU: 1
; AccumOffset: 4
; Occupancy: 8
; WaveLimiterHint : 0
; COMPUTE_PGM_RSRC2:SCRATCH_EN: 0
; COMPUTE_PGM_RSRC2:USER_SGPR: 2
; COMPUTE_PGM_RSRC2:TRAP_HANDLER: 0
; COMPUTE_PGM_RSRC2:TGID_X_EN: 1
; COMPUTE_PGM_RSRC2:TGID_Y_EN: 0
; COMPUTE_PGM_RSRC2:TGID_Z_EN: 0
; COMPUTE_PGM_RSRC2:TIDIG_COMP_CNT: 0
; COMPUTE_PGM_RSRC3_GFX90A:ACCUM_OFFSET: 0
; COMPUTE_PGM_RSRC3_GFX90A:TG_SPLIT: 0
	.section	.text._ZN7rocprim17ROCPRIM_400000_NS6detail17trampoline_kernelINS0_14default_configENS1_27scan_by_key_config_selectorIiyEEZZNS1_16scan_by_key_implILNS1_25lookback_scan_determinismE0ELb0ES3_N6thrust23THRUST_200600_302600_NS6detail15normal_iteratorINS9_10device_ptrIiEEEENSB_INSC_IyEEEESG_yNS9_4plusIvEENS9_8equal_toIvEEyEE10hipError_tPvRmT2_T3_T4_T5_mT6_T7_P12ihipStream_tbENKUlT_T0_E_clISt17integral_constantIbLb0EES10_IbLb1EEEEDaSW_SX_EUlSW_E_NS1_11comp_targetILNS1_3genE8ELNS1_11target_archE1030ELNS1_3gpuE2ELNS1_3repE0EEENS1_30default_config_static_selectorELNS0_4arch9wavefront6targetE1EEEvT1_,"axG",@progbits,_ZN7rocprim17ROCPRIM_400000_NS6detail17trampoline_kernelINS0_14default_configENS1_27scan_by_key_config_selectorIiyEEZZNS1_16scan_by_key_implILNS1_25lookback_scan_determinismE0ELb0ES3_N6thrust23THRUST_200600_302600_NS6detail15normal_iteratorINS9_10device_ptrIiEEEENSB_INSC_IyEEEESG_yNS9_4plusIvEENS9_8equal_toIvEEyEE10hipError_tPvRmT2_T3_T4_T5_mT6_T7_P12ihipStream_tbENKUlT_T0_E_clISt17integral_constantIbLb0EES10_IbLb1EEEEDaSW_SX_EUlSW_E_NS1_11comp_targetILNS1_3genE8ELNS1_11target_archE1030ELNS1_3gpuE2ELNS1_3repE0EEENS1_30default_config_static_selectorELNS0_4arch9wavefront6targetE1EEEvT1_,comdat
	.protected	_ZN7rocprim17ROCPRIM_400000_NS6detail17trampoline_kernelINS0_14default_configENS1_27scan_by_key_config_selectorIiyEEZZNS1_16scan_by_key_implILNS1_25lookback_scan_determinismE0ELb0ES3_N6thrust23THRUST_200600_302600_NS6detail15normal_iteratorINS9_10device_ptrIiEEEENSB_INSC_IyEEEESG_yNS9_4plusIvEENS9_8equal_toIvEEyEE10hipError_tPvRmT2_T3_T4_T5_mT6_T7_P12ihipStream_tbENKUlT_T0_E_clISt17integral_constantIbLb0EES10_IbLb1EEEEDaSW_SX_EUlSW_E_NS1_11comp_targetILNS1_3genE8ELNS1_11target_archE1030ELNS1_3gpuE2ELNS1_3repE0EEENS1_30default_config_static_selectorELNS0_4arch9wavefront6targetE1EEEvT1_ ; -- Begin function _ZN7rocprim17ROCPRIM_400000_NS6detail17trampoline_kernelINS0_14default_configENS1_27scan_by_key_config_selectorIiyEEZZNS1_16scan_by_key_implILNS1_25lookback_scan_determinismE0ELb0ES3_N6thrust23THRUST_200600_302600_NS6detail15normal_iteratorINS9_10device_ptrIiEEEENSB_INSC_IyEEEESG_yNS9_4plusIvEENS9_8equal_toIvEEyEE10hipError_tPvRmT2_T3_T4_T5_mT6_T7_P12ihipStream_tbENKUlT_T0_E_clISt17integral_constantIbLb0EES10_IbLb1EEEEDaSW_SX_EUlSW_E_NS1_11comp_targetILNS1_3genE8ELNS1_11target_archE1030ELNS1_3gpuE2ELNS1_3repE0EEENS1_30default_config_static_selectorELNS0_4arch9wavefront6targetE1EEEvT1_
	.globl	_ZN7rocprim17ROCPRIM_400000_NS6detail17trampoline_kernelINS0_14default_configENS1_27scan_by_key_config_selectorIiyEEZZNS1_16scan_by_key_implILNS1_25lookback_scan_determinismE0ELb0ES3_N6thrust23THRUST_200600_302600_NS6detail15normal_iteratorINS9_10device_ptrIiEEEENSB_INSC_IyEEEESG_yNS9_4plusIvEENS9_8equal_toIvEEyEE10hipError_tPvRmT2_T3_T4_T5_mT6_T7_P12ihipStream_tbENKUlT_T0_E_clISt17integral_constantIbLb0EES10_IbLb1EEEEDaSW_SX_EUlSW_E_NS1_11comp_targetILNS1_3genE8ELNS1_11target_archE1030ELNS1_3gpuE2ELNS1_3repE0EEENS1_30default_config_static_selectorELNS0_4arch9wavefront6targetE1EEEvT1_
	.p2align	8
	.type	_ZN7rocprim17ROCPRIM_400000_NS6detail17trampoline_kernelINS0_14default_configENS1_27scan_by_key_config_selectorIiyEEZZNS1_16scan_by_key_implILNS1_25lookback_scan_determinismE0ELb0ES3_N6thrust23THRUST_200600_302600_NS6detail15normal_iteratorINS9_10device_ptrIiEEEENSB_INSC_IyEEEESG_yNS9_4plusIvEENS9_8equal_toIvEEyEE10hipError_tPvRmT2_T3_T4_T5_mT6_T7_P12ihipStream_tbENKUlT_T0_E_clISt17integral_constantIbLb0EES10_IbLb1EEEEDaSW_SX_EUlSW_E_NS1_11comp_targetILNS1_3genE8ELNS1_11target_archE1030ELNS1_3gpuE2ELNS1_3repE0EEENS1_30default_config_static_selectorELNS0_4arch9wavefront6targetE1EEEvT1_,@function
_ZN7rocprim17ROCPRIM_400000_NS6detail17trampoline_kernelINS0_14default_configENS1_27scan_by_key_config_selectorIiyEEZZNS1_16scan_by_key_implILNS1_25lookback_scan_determinismE0ELb0ES3_N6thrust23THRUST_200600_302600_NS6detail15normal_iteratorINS9_10device_ptrIiEEEENSB_INSC_IyEEEESG_yNS9_4plusIvEENS9_8equal_toIvEEyEE10hipError_tPvRmT2_T3_T4_T5_mT6_T7_P12ihipStream_tbENKUlT_T0_E_clISt17integral_constantIbLb0EES10_IbLb1EEEEDaSW_SX_EUlSW_E_NS1_11comp_targetILNS1_3genE8ELNS1_11target_archE1030ELNS1_3gpuE2ELNS1_3repE0EEENS1_30default_config_static_selectorELNS0_4arch9wavefront6targetE1EEEvT1_: ; @_ZN7rocprim17ROCPRIM_400000_NS6detail17trampoline_kernelINS0_14default_configENS1_27scan_by_key_config_selectorIiyEEZZNS1_16scan_by_key_implILNS1_25lookback_scan_determinismE0ELb0ES3_N6thrust23THRUST_200600_302600_NS6detail15normal_iteratorINS9_10device_ptrIiEEEENSB_INSC_IyEEEESG_yNS9_4plusIvEENS9_8equal_toIvEEyEE10hipError_tPvRmT2_T3_T4_T5_mT6_T7_P12ihipStream_tbENKUlT_T0_E_clISt17integral_constantIbLb0EES10_IbLb1EEEEDaSW_SX_EUlSW_E_NS1_11comp_targetILNS1_3genE8ELNS1_11target_archE1030ELNS1_3gpuE2ELNS1_3repE0EEENS1_30default_config_static_selectorELNS0_4arch9wavefront6targetE1EEEvT1_
; %bb.0:
	.section	.rodata,"a",@progbits
	.p2align	6, 0x0
	.amdhsa_kernel _ZN7rocprim17ROCPRIM_400000_NS6detail17trampoline_kernelINS0_14default_configENS1_27scan_by_key_config_selectorIiyEEZZNS1_16scan_by_key_implILNS1_25lookback_scan_determinismE0ELb0ES3_N6thrust23THRUST_200600_302600_NS6detail15normal_iteratorINS9_10device_ptrIiEEEENSB_INSC_IyEEEESG_yNS9_4plusIvEENS9_8equal_toIvEEyEE10hipError_tPvRmT2_T3_T4_T5_mT6_T7_P12ihipStream_tbENKUlT_T0_E_clISt17integral_constantIbLb0EES10_IbLb1EEEEDaSW_SX_EUlSW_E_NS1_11comp_targetILNS1_3genE8ELNS1_11target_archE1030ELNS1_3gpuE2ELNS1_3repE0EEENS1_30default_config_static_selectorELNS0_4arch9wavefront6targetE1EEEvT1_
		.amdhsa_group_segment_fixed_size 0
		.amdhsa_private_segment_fixed_size 0
		.amdhsa_kernarg_size 136
		.amdhsa_user_sgpr_count 2
		.amdhsa_user_sgpr_dispatch_ptr 0
		.amdhsa_user_sgpr_queue_ptr 0
		.amdhsa_user_sgpr_kernarg_segment_ptr 1
		.amdhsa_user_sgpr_dispatch_id 0
		.amdhsa_user_sgpr_kernarg_preload_length 0
		.amdhsa_user_sgpr_kernarg_preload_offset 0
		.amdhsa_user_sgpr_private_segment_size 0
		.amdhsa_uses_dynamic_stack 0
		.amdhsa_enable_private_segment 0
		.amdhsa_system_sgpr_workgroup_id_x 1
		.amdhsa_system_sgpr_workgroup_id_y 0
		.amdhsa_system_sgpr_workgroup_id_z 0
		.amdhsa_system_sgpr_workgroup_info 0
		.amdhsa_system_vgpr_workitem_id 0
		.amdhsa_next_free_vgpr 1
		.amdhsa_next_free_sgpr 0
		.amdhsa_accum_offset 4
		.amdhsa_reserve_vcc 0
		.amdhsa_float_round_mode_32 0
		.amdhsa_float_round_mode_16_64 0
		.amdhsa_float_denorm_mode_32 3
		.amdhsa_float_denorm_mode_16_64 3
		.amdhsa_dx10_clamp 1
		.amdhsa_ieee_mode 1
		.amdhsa_fp16_overflow 0
		.amdhsa_tg_split 0
		.amdhsa_exception_fp_ieee_invalid_op 0
		.amdhsa_exception_fp_denorm_src 0
		.amdhsa_exception_fp_ieee_div_zero 0
		.amdhsa_exception_fp_ieee_overflow 0
		.amdhsa_exception_fp_ieee_underflow 0
		.amdhsa_exception_fp_ieee_inexact 0
		.amdhsa_exception_int_div_zero 0
	.end_amdhsa_kernel
	.section	.text._ZN7rocprim17ROCPRIM_400000_NS6detail17trampoline_kernelINS0_14default_configENS1_27scan_by_key_config_selectorIiyEEZZNS1_16scan_by_key_implILNS1_25lookback_scan_determinismE0ELb0ES3_N6thrust23THRUST_200600_302600_NS6detail15normal_iteratorINS9_10device_ptrIiEEEENSB_INSC_IyEEEESG_yNS9_4plusIvEENS9_8equal_toIvEEyEE10hipError_tPvRmT2_T3_T4_T5_mT6_T7_P12ihipStream_tbENKUlT_T0_E_clISt17integral_constantIbLb0EES10_IbLb1EEEEDaSW_SX_EUlSW_E_NS1_11comp_targetILNS1_3genE8ELNS1_11target_archE1030ELNS1_3gpuE2ELNS1_3repE0EEENS1_30default_config_static_selectorELNS0_4arch9wavefront6targetE1EEEvT1_,"axG",@progbits,_ZN7rocprim17ROCPRIM_400000_NS6detail17trampoline_kernelINS0_14default_configENS1_27scan_by_key_config_selectorIiyEEZZNS1_16scan_by_key_implILNS1_25lookback_scan_determinismE0ELb0ES3_N6thrust23THRUST_200600_302600_NS6detail15normal_iteratorINS9_10device_ptrIiEEEENSB_INSC_IyEEEESG_yNS9_4plusIvEENS9_8equal_toIvEEyEE10hipError_tPvRmT2_T3_T4_T5_mT6_T7_P12ihipStream_tbENKUlT_T0_E_clISt17integral_constantIbLb0EES10_IbLb1EEEEDaSW_SX_EUlSW_E_NS1_11comp_targetILNS1_3genE8ELNS1_11target_archE1030ELNS1_3gpuE2ELNS1_3repE0EEENS1_30default_config_static_selectorELNS0_4arch9wavefront6targetE1EEEvT1_,comdat
.Lfunc_end1217:
	.size	_ZN7rocprim17ROCPRIM_400000_NS6detail17trampoline_kernelINS0_14default_configENS1_27scan_by_key_config_selectorIiyEEZZNS1_16scan_by_key_implILNS1_25lookback_scan_determinismE0ELb0ES3_N6thrust23THRUST_200600_302600_NS6detail15normal_iteratorINS9_10device_ptrIiEEEENSB_INSC_IyEEEESG_yNS9_4plusIvEENS9_8equal_toIvEEyEE10hipError_tPvRmT2_T3_T4_T5_mT6_T7_P12ihipStream_tbENKUlT_T0_E_clISt17integral_constantIbLb0EES10_IbLb1EEEEDaSW_SX_EUlSW_E_NS1_11comp_targetILNS1_3genE8ELNS1_11target_archE1030ELNS1_3gpuE2ELNS1_3repE0EEENS1_30default_config_static_selectorELNS0_4arch9wavefront6targetE1EEEvT1_, .Lfunc_end1217-_ZN7rocprim17ROCPRIM_400000_NS6detail17trampoline_kernelINS0_14default_configENS1_27scan_by_key_config_selectorIiyEEZZNS1_16scan_by_key_implILNS1_25lookback_scan_determinismE0ELb0ES3_N6thrust23THRUST_200600_302600_NS6detail15normal_iteratorINS9_10device_ptrIiEEEENSB_INSC_IyEEEESG_yNS9_4plusIvEENS9_8equal_toIvEEyEE10hipError_tPvRmT2_T3_T4_T5_mT6_T7_P12ihipStream_tbENKUlT_T0_E_clISt17integral_constantIbLb0EES10_IbLb1EEEEDaSW_SX_EUlSW_E_NS1_11comp_targetILNS1_3genE8ELNS1_11target_archE1030ELNS1_3gpuE2ELNS1_3repE0EEENS1_30default_config_static_selectorELNS0_4arch9wavefront6targetE1EEEvT1_
                                        ; -- End function
	.section	.AMDGPU.csdata,"",@progbits
; Kernel info:
; codeLenInByte = 0
; NumSgprs: 6
; NumVgprs: 0
; NumAgprs: 0
; TotalNumVgprs: 0
; ScratchSize: 0
; MemoryBound: 0
; FloatMode: 240
; IeeeMode: 1
; LDSByteSize: 0 bytes/workgroup (compile time only)
; SGPRBlocks: 0
; VGPRBlocks: 0
; NumSGPRsForWavesPerEU: 6
; NumVGPRsForWavesPerEU: 1
; AccumOffset: 4
; Occupancy: 8
; WaveLimiterHint : 0
; COMPUTE_PGM_RSRC2:SCRATCH_EN: 0
; COMPUTE_PGM_RSRC2:USER_SGPR: 2
; COMPUTE_PGM_RSRC2:TRAP_HANDLER: 0
; COMPUTE_PGM_RSRC2:TGID_X_EN: 1
; COMPUTE_PGM_RSRC2:TGID_Y_EN: 0
; COMPUTE_PGM_RSRC2:TGID_Z_EN: 0
; COMPUTE_PGM_RSRC2:TIDIG_COMP_CNT: 0
; COMPUTE_PGM_RSRC3_GFX90A:ACCUM_OFFSET: 0
; COMPUTE_PGM_RSRC3_GFX90A:TG_SPLIT: 0
	.section	.text._ZN6thrust23THRUST_200600_302600_NS11hip_rocprim14__parallel_for6kernelILj256ENS1_20__uninitialized_fill7functorINS0_10device_ptrIjEEjEEmLj1EEEvT0_T1_SA_,"axG",@progbits,_ZN6thrust23THRUST_200600_302600_NS11hip_rocprim14__parallel_for6kernelILj256ENS1_20__uninitialized_fill7functorINS0_10device_ptrIjEEjEEmLj1EEEvT0_T1_SA_,comdat
	.protected	_ZN6thrust23THRUST_200600_302600_NS11hip_rocprim14__parallel_for6kernelILj256ENS1_20__uninitialized_fill7functorINS0_10device_ptrIjEEjEEmLj1EEEvT0_T1_SA_ ; -- Begin function _ZN6thrust23THRUST_200600_302600_NS11hip_rocprim14__parallel_for6kernelILj256ENS1_20__uninitialized_fill7functorINS0_10device_ptrIjEEjEEmLj1EEEvT0_T1_SA_
	.globl	_ZN6thrust23THRUST_200600_302600_NS11hip_rocprim14__parallel_for6kernelILj256ENS1_20__uninitialized_fill7functorINS0_10device_ptrIjEEjEEmLj1EEEvT0_T1_SA_
	.p2align	8
	.type	_ZN6thrust23THRUST_200600_302600_NS11hip_rocprim14__parallel_for6kernelILj256ENS1_20__uninitialized_fill7functorINS0_10device_ptrIjEEjEEmLj1EEEvT0_T1_SA_,@function
_ZN6thrust23THRUST_200600_302600_NS11hip_rocprim14__parallel_for6kernelILj256ENS1_20__uninitialized_fill7functorINS0_10device_ptrIjEEjEEmLj1EEEvT0_T1_SA_: ; @_ZN6thrust23THRUST_200600_302600_NS11hip_rocprim14__parallel_for6kernelILj256ENS1_20__uninitialized_fill7functorINS0_10device_ptrIjEEjEEmLj1EEEvT0_T1_SA_
; %bb.0:
	s_load_dwordx4 s[4:7], s[0:1], 0x10
	s_lshl_b32 s2, s2, 8
	v_mov_b64_e32 v[2:3], 0x100
	s_waitcnt lgkmcnt(0)
	s_add_u32 s2, s2, s6
	s_addc_u32 s3, 0, s7
	s_sub_u32 s4, s4, s2
	s_subb_u32 s5, s5, s3
	v_cmp_lt_u64_e32 vcc, s[4:5], v[2:3]
	s_cbranch_vccz .LBB1218_2
; %bb.1:
	v_cmp_gt_u32_e32 vcc, s4, v0
	s_and_b64 s[4:5], vcc, exec
	s_cbranch_execz .LBB1218_3
	s_branch .LBB1218_4
.LBB1218_2:
	s_mov_b64 s[4:5], 0
.LBB1218_3:
	s_or_b64 s[4:5], s[4:5], exec
.LBB1218_4:
	s_and_saveexec_b64 s[6:7], s[4:5]
	s_cbranch_execnz .LBB1218_6
; %bb.5:
	s_endpgm
.LBB1218_6:
	s_load_dwordx2 s[4:5], s[0:1], 0x0
	s_load_dword s6, s[0:1], 0x8
	s_lshl_b64 s[0:1], s[2:3], 2
	v_mov_b32_e32 v1, 0
	s_waitcnt lgkmcnt(0)
	s_add_u32 s0, s4, s0
	s_addc_u32 s1, s5, s1
	v_lshl_add_u64 v[0:1], v[0:1], 2, s[0:1]
	v_mov_b32_e32 v2, s6
	flat_store_dword v[0:1], v2
	s_endpgm
	.section	.rodata,"a",@progbits
	.p2align	6, 0x0
	.amdhsa_kernel _ZN6thrust23THRUST_200600_302600_NS11hip_rocprim14__parallel_for6kernelILj256ENS1_20__uninitialized_fill7functorINS0_10device_ptrIjEEjEEmLj1EEEvT0_T1_SA_
		.amdhsa_group_segment_fixed_size 0
		.amdhsa_private_segment_fixed_size 0
		.amdhsa_kernarg_size 32
		.amdhsa_user_sgpr_count 2
		.amdhsa_user_sgpr_dispatch_ptr 0
		.amdhsa_user_sgpr_queue_ptr 0
		.amdhsa_user_sgpr_kernarg_segment_ptr 1
		.amdhsa_user_sgpr_dispatch_id 0
		.amdhsa_user_sgpr_kernarg_preload_length 0
		.amdhsa_user_sgpr_kernarg_preload_offset 0
		.amdhsa_user_sgpr_private_segment_size 0
		.amdhsa_uses_dynamic_stack 0
		.amdhsa_enable_private_segment 0
		.amdhsa_system_sgpr_workgroup_id_x 1
		.amdhsa_system_sgpr_workgroup_id_y 0
		.amdhsa_system_sgpr_workgroup_id_z 0
		.amdhsa_system_sgpr_workgroup_info 0
		.amdhsa_system_vgpr_workitem_id 0
		.amdhsa_next_free_vgpr 4
		.amdhsa_next_free_sgpr 8
		.amdhsa_accum_offset 4
		.amdhsa_reserve_vcc 1
		.amdhsa_float_round_mode_32 0
		.amdhsa_float_round_mode_16_64 0
		.amdhsa_float_denorm_mode_32 3
		.amdhsa_float_denorm_mode_16_64 3
		.amdhsa_dx10_clamp 1
		.amdhsa_ieee_mode 1
		.amdhsa_fp16_overflow 0
		.amdhsa_tg_split 0
		.amdhsa_exception_fp_ieee_invalid_op 0
		.amdhsa_exception_fp_denorm_src 0
		.amdhsa_exception_fp_ieee_div_zero 0
		.amdhsa_exception_fp_ieee_overflow 0
		.amdhsa_exception_fp_ieee_underflow 0
		.amdhsa_exception_fp_ieee_inexact 0
		.amdhsa_exception_int_div_zero 0
	.end_amdhsa_kernel
	.section	.text._ZN6thrust23THRUST_200600_302600_NS11hip_rocprim14__parallel_for6kernelILj256ENS1_20__uninitialized_fill7functorINS0_10device_ptrIjEEjEEmLj1EEEvT0_T1_SA_,"axG",@progbits,_ZN6thrust23THRUST_200600_302600_NS11hip_rocprim14__parallel_for6kernelILj256ENS1_20__uninitialized_fill7functorINS0_10device_ptrIjEEjEEmLj1EEEvT0_T1_SA_,comdat
.Lfunc_end1218:
	.size	_ZN6thrust23THRUST_200600_302600_NS11hip_rocprim14__parallel_for6kernelILj256ENS1_20__uninitialized_fill7functorINS0_10device_ptrIjEEjEEmLj1EEEvT0_T1_SA_, .Lfunc_end1218-_ZN6thrust23THRUST_200600_302600_NS11hip_rocprim14__parallel_for6kernelILj256ENS1_20__uninitialized_fill7functorINS0_10device_ptrIjEEjEEmLj1EEEvT0_T1_SA_
                                        ; -- End function
	.section	.AMDGPU.csdata,"",@progbits
; Kernel info:
; codeLenInByte = 144
; NumSgprs: 14
; NumVgprs: 4
; NumAgprs: 0
; TotalNumVgprs: 4
; ScratchSize: 0
; MemoryBound: 0
; FloatMode: 240
; IeeeMode: 1
; LDSByteSize: 0 bytes/workgroup (compile time only)
; SGPRBlocks: 1
; VGPRBlocks: 0
; NumSGPRsForWavesPerEU: 14
; NumVGPRsForWavesPerEU: 4
; AccumOffset: 4
; Occupancy: 8
; WaveLimiterHint : 0
; COMPUTE_PGM_RSRC2:SCRATCH_EN: 0
; COMPUTE_PGM_RSRC2:USER_SGPR: 2
; COMPUTE_PGM_RSRC2:TRAP_HANDLER: 0
; COMPUTE_PGM_RSRC2:TGID_X_EN: 1
; COMPUTE_PGM_RSRC2:TGID_Y_EN: 0
; COMPUTE_PGM_RSRC2:TGID_Z_EN: 0
; COMPUTE_PGM_RSRC2:TIDIG_COMP_CNT: 0
; COMPUTE_PGM_RSRC3_GFX90A:ACCUM_OFFSET: 0
; COMPUTE_PGM_RSRC3_GFX90A:TG_SPLIT: 0
	.section	.text._ZN7rocprim17ROCPRIM_400000_NS6detail30init_device_scan_by_key_kernelINS1_19lookback_scan_stateINS0_5tupleIJjbEEELb0ELb1EEEN6thrust23THRUST_200600_302600_NS6detail15normal_iteratorINS8_10device_ptrIiEEEEjNS1_16block_id_wrapperIjLb0EEEEEvT_jjPNSG_10value_typeET0_PNSt15iterator_traitsISJ_E10value_typeEmT1_T2_,"axG",@progbits,_ZN7rocprim17ROCPRIM_400000_NS6detail30init_device_scan_by_key_kernelINS1_19lookback_scan_stateINS0_5tupleIJjbEEELb0ELb1EEEN6thrust23THRUST_200600_302600_NS6detail15normal_iteratorINS8_10device_ptrIiEEEEjNS1_16block_id_wrapperIjLb0EEEEEvT_jjPNSG_10value_typeET0_PNSt15iterator_traitsISJ_E10value_typeEmT1_T2_,comdat
	.protected	_ZN7rocprim17ROCPRIM_400000_NS6detail30init_device_scan_by_key_kernelINS1_19lookback_scan_stateINS0_5tupleIJjbEEELb0ELb1EEEN6thrust23THRUST_200600_302600_NS6detail15normal_iteratorINS8_10device_ptrIiEEEEjNS1_16block_id_wrapperIjLb0EEEEEvT_jjPNSG_10value_typeET0_PNSt15iterator_traitsISJ_E10value_typeEmT1_T2_ ; -- Begin function _ZN7rocprim17ROCPRIM_400000_NS6detail30init_device_scan_by_key_kernelINS1_19lookback_scan_stateINS0_5tupleIJjbEEELb0ELb1EEEN6thrust23THRUST_200600_302600_NS6detail15normal_iteratorINS8_10device_ptrIiEEEEjNS1_16block_id_wrapperIjLb0EEEEEvT_jjPNSG_10value_typeET0_PNSt15iterator_traitsISJ_E10value_typeEmT1_T2_
	.globl	_ZN7rocprim17ROCPRIM_400000_NS6detail30init_device_scan_by_key_kernelINS1_19lookback_scan_stateINS0_5tupleIJjbEEELb0ELb1EEEN6thrust23THRUST_200600_302600_NS6detail15normal_iteratorINS8_10device_ptrIiEEEEjNS1_16block_id_wrapperIjLb0EEEEEvT_jjPNSG_10value_typeET0_PNSt15iterator_traitsISJ_E10value_typeEmT1_T2_
	.p2align	8
	.type	_ZN7rocprim17ROCPRIM_400000_NS6detail30init_device_scan_by_key_kernelINS1_19lookback_scan_stateINS0_5tupleIJjbEEELb0ELb1EEEN6thrust23THRUST_200600_302600_NS6detail15normal_iteratorINS8_10device_ptrIiEEEEjNS1_16block_id_wrapperIjLb0EEEEEvT_jjPNSG_10value_typeET0_PNSt15iterator_traitsISJ_E10value_typeEmT1_T2_,@function
_ZN7rocprim17ROCPRIM_400000_NS6detail30init_device_scan_by_key_kernelINS1_19lookback_scan_stateINS0_5tupleIJjbEEELb0ELb1EEEN6thrust23THRUST_200600_302600_NS6detail15normal_iteratorINS8_10device_ptrIiEEEEjNS1_16block_id_wrapperIjLb0EEEEEvT_jjPNSG_10value_typeET0_PNSt15iterator_traitsISJ_E10value_typeEmT1_T2_: ; @_ZN7rocprim17ROCPRIM_400000_NS6detail30init_device_scan_by_key_kernelINS1_19lookback_scan_stateINS0_5tupleIJjbEEELb0ELb1EEEN6thrust23THRUST_200600_302600_NS6detail15normal_iteratorINS8_10device_ptrIiEEEEjNS1_16block_id_wrapperIjLb0EEEEEvT_jjPNSG_10value_typeET0_PNSt15iterator_traitsISJ_E10value_typeEmT1_T2_
; %bb.0:
	s_load_dword s3, s[0:1], 0x44
	s_load_dwordx8 s[4:11], s[0:1], 0x0
	s_load_dword s18, s[0:1], 0x38
	s_waitcnt lgkmcnt(0)
	s_and_b32 s19, s3, 0xffff
	s_mul_i32 s2, s2, s19
	s_cmp_eq_u64 s[8:9], 0
	v_add_u32_e32 v4, s2, v0
	s_cbranch_scc1 .LBB1219_8
; %bb.1:
	s_cmp_lt_u32 s7, s6
	s_cselect_b32 s2, s7, 0
	s_mov_b32 s13, 0
	v_cmp_eq_u32_e32 vcc, s2, v4
	s_and_saveexec_b64 s[2:3], vcc
	s_cbranch_execz .LBB1219_7
; %bb.2:
	s_add_i32 s12, s7, 64
	s_lshl_b64 s[12:13], s[12:13], 4
	s_add_u32 s16, s4, s12
	s_addc_u32 s17, s5, s13
	v_mov_b64_e32 v[0:1], s[16:17]
	;;#ASMSTART
	global_load_dwordx4 v[0:3], v[0:1] off sc1	
s_waitcnt vmcnt(0)
	;;#ASMEND
	v_mov_b32_e32 v7, 0
	v_and_b32_e32 v6, 0xff, v2
	s_mov_b64 s[14:15], 0
	v_cmp_eq_u64_e32 vcc, 0, v[6:7]
	s_and_saveexec_b64 s[12:13], vcc
	s_cbranch_execz .LBB1219_6
; %bb.3:
	v_mov_b64_e32 v[8:9], s[16:17]
.LBB1219_4:                             ; =>This Inner Loop Header: Depth=1
	;;#ASMSTART
	global_load_dwordx4 v[0:3], v[8:9] off sc1	
s_waitcnt vmcnt(0)
	;;#ASMEND
	s_nop 0
	v_and_b32_e32 v6, 0xff, v2
	v_cmp_ne_u64_e32 vcc, 0, v[6:7]
	s_or_b64 s[14:15], vcc, s[14:15]
	s_andn2_b64 exec, exec, s[14:15]
	s_cbranch_execnz .LBB1219_4
; %bb.5:
	s_or_b64 exec, exec, s[14:15]
.LBB1219_6:
	s_or_b64 exec, exec, s[12:13]
	v_mov_b32_e32 v2, 0
	global_store_dword v2, v0, s[8:9]
	global_store_byte v2, v1, s[8:9] offset:4
.LBB1219_7:
	s_or_b64 exec, exec, s[2:3]
.LBB1219_8:
	v_cmp_gt_u32_e32 vcc, s6, v4
	s_and_saveexec_b64 s[2:3], vcc
	s_cbranch_execz .LBB1219_10
; %bb.9:
	v_add_u32_e32 v0, 64, v4
	v_mov_b32_e32 v1, 0
	v_lshl_add_u64 v[6:7], v[0:1], 4, s[4:5]
	v_mov_b32_e32 v0, v1
	v_mov_b32_e32 v2, v1
	v_mov_b32_e32 v3, v1
	global_store_dwordx4 v[6:7], v[0:3], off
.LBB1219_10:
	s_or_b64 exec, exec, s[2:3]
	v_cmp_gt_u32_e32 vcc, 64, v4
	v_mov_b32_e32 v5, 0
	s_and_saveexec_b64 s[2:3], vcc
	s_cbranch_execz .LBB1219_12
; %bb.11:
	v_lshl_add_u64 v[6:7], v[4:5], 4, s[4:5]
	v_mov_b32_e32 v2, 0xff
	v_mov_b32_e32 v0, v5
	;; [unrolled: 1-line block ×4, first 2 shown]
	global_store_dwordx4 v[6:7], v[0:3], off
.LBB1219_12:
	s_or_b64 exec, exec, s[2:3]
	s_load_dwordx2 s[2:3], s[0:1], 0x28
	s_waitcnt lgkmcnt(0)
	v_cmp_gt_u64_e32 vcc, s[2:3], v[4:5]
	s_and_saveexec_b64 s[4:5], vcc
	s_cbranch_execz .LBB1219_15
; %bb.13:
	s_load_dword s12, s[0:1], 0x30
	s_load_dwordx2 s[6:7], s[0:1], 0x20
	s_mov_b32 s5, 0
	s_mov_b32 s1, s5
	s_mul_i32 s0, s18, s19
	s_waitcnt lgkmcnt(0)
	s_add_i32 s4, s12, -1
	s_lshl_b64 s[4:5], s[4:5], 2
	s_add_u32 s4, s10, s4
	v_mad_u64_u32 v[0:1], s[8:9], s12, v4, 0
	s_addc_u32 s5, s11, s5
	v_lshl_add_u64 v[0:1], v[0:1], 2, s[4:5]
	s_mul_hi_u32 s5, s12, s0
	s_mul_i32 s4, s12, s0
	s_lshl_b64 s[4:5], s[4:5], 2
	v_lshl_add_u64 v[2:3], v[4:5], 2, s[6:7]
	s_lshl_b64 s[6:7], s[0:1], 2
	s_mov_b64 s[8:9], 0
.LBB1219_14:                            ; =>This Inner Loop Header: Depth=1
	global_load_dword v6, v[0:1], off
	v_lshl_add_u64 v[4:5], v[4:5], 0, s[0:1]
	v_cmp_le_u64_e32 vcc, s[2:3], v[4:5]
	v_lshl_add_u64 v[0:1], v[0:1], 0, s[4:5]
	s_or_b64 s[8:9], vcc, s[8:9]
	s_waitcnt vmcnt(0)
	global_store_dword v[2:3], v6, off
	v_lshl_add_u64 v[2:3], v[2:3], 0, s[6:7]
	s_andn2_b64 exec, exec, s[8:9]
	s_cbranch_execnz .LBB1219_14
.LBB1219_15:
	s_endpgm
	.section	.rodata,"a",@progbits
	.p2align	6, 0x0
	.amdhsa_kernel _ZN7rocprim17ROCPRIM_400000_NS6detail30init_device_scan_by_key_kernelINS1_19lookback_scan_stateINS0_5tupleIJjbEEELb0ELb1EEEN6thrust23THRUST_200600_302600_NS6detail15normal_iteratorINS8_10device_ptrIiEEEEjNS1_16block_id_wrapperIjLb0EEEEEvT_jjPNSG_10value_typeET0_PNSt15iterator_traitsISJ_E10value_typeEmT1_T2_
		.amdhsa_group_segment_fixed_size 0
		.amdhsa_private_segment_fixed_size 0
		.amdhsa_kernarg_size 312
		.amdhsa_user_sgpr_count 2
		.amdhsa_user_sgpr_dispatch_ptr 0
		.amdhsa_user_sgpr_queue_ptr 0
		.amdhsa_user_sgpr_kernarg_segment_ptr 1
		.amdhsa_user_sgpr_dispatch_id 0
		.amdhsa_user_sgpr_kernarg_preload_length 0
		.amdhsa_user_sgpr_kernarg_preload_offset 0
		.amdhsa_user_sgpr_private_segment_size 0
		.amdhsa_uses_dynamic_stack 0
		.amdhsa_enable_private_segment 0
		.amdhsa_system_sgpr_workgroup_id_x 1
		.amdhsa_system_sgpr_workgroup_id_y 0
		.amdhsa_system_sgpr_workgroup_id_z 0
		.amdhsa_system_sgpr_workgroup_info 0
		.amdhsa_system_vgpr_workitem_id 0
		.amdhsa_next_free_vgpr 10
		.amdhsa_next_free_sgpr 20
		.amdhsa_accum_offset 12
		.amdhsa_reserve_vcc 1
		.amdhsa_float_round_mode_32 0
		.amdhsa_float_round_mode_16_64 0
		.amdhsa_float_denorm_mode_32 3
		.amdhsa_float_denorm_mode_16_64 3
		.amdhsa_dx10_clamp 1
		.amdhsa_ieee_mode 1
		.amdhsa_fp16_overflow 0
		.amdhsa_tg_split 0
		.amdhsa_exception_fp_ieee_invalid_op 0
		.amdhsa_exception_fp_denorm_src 0
		.amdhsa_exception_fp_ieee_div_zero 0
		.amdhsa_exception_fp_ieee_overflow 0
		.amdhsa_exception_fp_ieee_underflow 0
		.amdhsa_exception_fp_ieee_inexact 0
		.amdhsa_exception_int_div_zero 0
	.end_amdhsa_kernel
	.section	.text._ZN7rocprim17ROCPRIM_400000_NS6detail30init_device_scan_by_key_kernelINS1_19lookback_scan_stateINS0_5tupleIJjbEEELb0ELb1EEEN6thrust23THRUST_200600_302600_NS6detail15normal_iteratorINS8_10device_ptrIiEEEEjNS1_16block_id_wrapperIjLb0EEEEEvT_jjPNSG_10value_typeET0_PNSt15iterator_traitsISJ_E10value_typeEmT1_T2_,"axG",@progbits,_ZN7rocprim17ROCPRIM_400000_NS6detail30init_device_scan_by_key_kernelINS1_19lookback_scan_stateINS0_5tupleIJjbEEELb0ELb1EEEN6thrust23THRUST_200600_302600_NS6detail15normal_iteratorINS8_10device_ptrIiEEEEjNS1_16block_id_wrapperIjLb0EEEEEvT_jjPNSG_10value_typeET0_PNSt15iterator_traitsISJ_E10value_typeEmT1_T2_,comdat
.Lfunc_end1219:
	.size	_ZN7rocprim17ROCPRIM_400000_NS6detail30init_device_scan_by_key_kernelINS1_19lookback_scan_stateINS0_5tupleIJjbEEELb0ELb1EEEN6thrust23THRUST_200600_302600_NS6detail15normal_iteratorINS8_10device_ptrIiEEEEjNS1_16block_id_wrapperIjLb0EEEEEvT_jjPNSG_10value_typeET0_PNSt15iterator_traitsISJ_E10value_typeEmT1_T2_, .Lfunc_end1219-_ZN7rocprim17ROCPRIM_400000_NS6detail30init_device_scan_by_key_kernelINS1_19lookback_scan_stateINS0_5tupleIJjbEEELb0ELb1EEEN6thrust23THRUST_200600_302600_NS6detail15normal_iteratorINS8_10device_ptrIiEEEEjNS1_16block_id_wrapperIjLb0EEEEEvT_jjPNSG_10value_typeET0_PNSt15iterator_traitsISJ_E10value_typeEmT1_T2_
                                        ; -- End function
	.section	.AMDGPU.csdata,"",@progbits
; Kernel info:
; codeLenInByte = 508
; NumSgprs: 26
; NumVgprs: 10
; NumAgprs: 0
; TotalNumVgprs: 10
; ScratchSize: 0
; MemoryBound: 0
; FloatMode: 240
; IeeeMode: 1
; LDSByteSize: 0 bytes/workgroup (compile time only)
; SGPRBlocks: 3
; VGPRBlocks: 1
; NumSGPRsForWavesPerEU: 26
; NumVGPRsForWavesPerEU: 10
; AccumOffset: 12
; Occupancy: 8
; WaveLimiterHint : 0
; COMPUTE_PGM_RSRC2:SCRATCH_EN: 0
; COMPUTE_PGM_RSRC2:USER_SGPR: 2
; COMPUTE_PGM_RSRC2:TRAP_HANDLER: 0
; COMPUTE_PGM_RSRC2:TGID_X_EN: 1
; COMPUTE_PGM_RSRC2:TGID_Y_EN: 0
; COMPUTE_PGM_RSRC2:TGID_Z_EN: 0
; COMPUTE_PGM_RSRC2:TIDIG_COMP_CNT: 0
; COMPUTE_PGM_RSRC3_GFX90A:ACCUM_OFFSET: 2
; COMPUTE_PGM_RSRC3_GFX90A:TG_SPLIT: 0
	.section	.text._ZN7rocprim17ROCPRIM_400000_NS6detail30init_device_scan_by_key_kernelINS1_19lookback_scan_stateINS0_5tupleIJjbEEELb0ELb1EEENS1_16block_id_wrapperIjLb0EEEEEvT_jjPNS9_10value_typeET0_,"axG",@progbits,_ZN7rocprim17ROCPRIM_400000_NS6detail30init_device_scan_by_key_kernelINS1_19lookback_scan_stateINS0_5tupleIJjbEEELb0ELb1EEENS1_16block_id_wrapperIjLb0EEEEEvT_jjPNS9_10value_typeET0_,comdat
	.protected	_ZN7rocprim17ROCPRIM_400000_NS6detail30init_device_scan_by_key_kernelINS1_19lookback_scan_stateINS0_5tupleIJjbEEELb0ELb1EEENS1_16block_id_wrapperIjLb0EEEEEvT_jjPNS9_10value_typeET0_ ; -- Begin function _ZN7rocprim17ROCPRIM_400000_NS6detail30init_device_scan_by_key_kernelINS1_19lookback_scan_stateINS0_5tupleIJjbEEELb0ELb1EEENS1_16block_id_wrapperIjLb0EEEEEvT_jjPNS9_10value_typeET0_
	.globl	_ZN7rocprim17ROCPRIM_400000_NS6detail30init_device_scan_by_key_kernelINS1_19lookback_scan_stateINS0_5tupleIJjbEEELb0ELb1EEENS1_16block_id_wrapperIjLb0EEEEEvT_jjPNS9_10value_typeET0_
	.p2align	8
	.type	_ZN7rocprim17ROCPRIM_400000_NS6detail30init_device_scan_by_key_kernelINS1_19lookback_scan_stateINS0_5tupleIJjbEEELb0ELb1EEENS1_16block_id_wrapperIjLb0EEEEEvT_jjPNS9_10value_typeET0_,@function
_ZN7rocprim17ROCPRIM_400000_NS6detail30init_device_scan_by_key_kernelINS1_19lookback_scan_stateINS0_5tupleIJjbEEELb0ELb1EEENS1_16block_id_wrapperIjLb0EEEEEvT_jjPNS9_10value_typeET0_: ; @_ZN7rocprim17ROCPRIM_400000_NS6detail30init_device_scan_by_key_kernelINS1_19lookback_scan_stateINS0_5tupleIJjbEEELb0ELb1EEENS1_16block_id_wrapperIjLb0EEEEEvT_jjPNS9_10value_typeET0_
; %bb.0:
	s_load_dword s3, s[0:1], 0x2c
	s_load_dwordx2 s[8:9], s[0:1], 0x10
	s_load_dwordx4 s[4:7], s[0:1], 0x0
	s_waitcnt lgkmcnt(0)
	s_and_b32 s0, s3, 0xffff
	s_mul_i32 s2, s2, s0
	s_cmp_eq_u64 s[8:9], 0
	v_add_u32_e32 v0, s2, v0
	s_cbranch_scc1 .LBB1220_8
; %bb.1:
	s_cmp_lt_u32 s7, s6
	s_cselect_b32 s0, s7, 0
	s_mov_b32 s3, 0
	v_cmp_eq_u32_e32 vcc, s0, v0
	s_and_saveexec_b64 s[0:1], vcc
	s_cbranch_execz .LBB1220_7
; %bb.2:
	s_add_i32 s2, s7, 64
	s_lshl_b64 s[2:3], s[2:3], 4
	s_add_u32 s12, s4, s2
	s_addc_u32 s13, s5, s3
	v_mov_b64_e32 v[2:3], s[12:13]
	;;#ASMSTART
	global_load_dwordx4 v[2:5], v[2:3] off sc1	
s_waitcnt vmcnt(0)
	;;#ASMEND
	v_mov_b32_e32 v7, 0
	v_and_b32_e32 v6, 0xff, v4
	s_mov_b64 s[10:11], 0
	v_cmp_eq_u64_e32 vcc, 0, v[6:7]
	s_and_saveexec_b64 s[2:3], vcc
	s_cbranch_execz .LBB1220_6
; %bb.3:
	v_mov_b64_e32 v[8:9], s[12:13]
.LBB1220_4:                             ; =>This Inner Loop Header: Depth=1
	;;#ASMSTART
	global_load_dwordx4 v[2:5], v[8:9] off sc1	
s_waitcnt vmcnt(0)
	;;#ASMEND
	s_nop 0
	v_and_b32_e32 v6, 0xff, v4
	v_cmp_ne_u64_e32 vcc, 0, v[6:7]
	s_or_b64 s[10:11], vcc, s[10:11]
	s_andn2_b64 exec, exec, s[10:11]
	s_cbranch_execnz .LBB1220_4
; %bb.5:
	s_or_b64 exec, exec, s[10:11]
.LBB1220_6:
	s_or_b64 exec, exec, s[2:3]
	v_mov_b32_e32 v1, 0
	global_store_dword v1, v2, s[8:9]
	global_store_byte v1, v3, s[8:9] offset:4
.LBB1220_7:
	s_or_b64 exec, exec, s[0:1]
.LBB1220_8:
	v_cmp_gt_u32_e32 vcc, s6, v0
	s_and_saveexec_b64 s[0:1], vcc
	s_cbranch_execnz .LBB1220_11
; %bb.9:
	s_or_b64 exec, exec, s[0:1]
	v_cmp_gt_u32_e32 vcc, 64, v0
	s_and_saveexec_b64 s[0:1], vcc
	s_cbranch_execnz .LBB1220_12
.LBB1220_10:
	s_endpgm
.LBB1220_11:
	v_add_u32_e32 v2, 64, v0
	v_mov_b32_e32 v3, 0
	v_lshl_add_u64 v[6:7], v[2:3], 4, s[4:5]
	v_mov_b32_e32 v2, v3
	v_mov_b32_e32 v4, v3
	v_mov_b32_e32 v5, v3
	global_store_dwordx4 v[6:7], v[2:5], off
	s_or_b64 exec, exec, s[0:1]
	v_cmp_gt_u32_e32 vcc, 64, v0
	s_and_saveexec_b64 s[0:1], vcc
	s_cbranch_execz .LBB1220_10
.LBB1220_12:
	v_mov_b32_e32 v1, 0
	v_lshl_add_u64 v[4:5], v[0:1], 4, s[4:5]
	v_mov_b32_e32 v2, 0xff
	v_mov_b32_e32 v0, v1
	v_mov_b32_e32 v3, v1
	global_store_dwordx4 v[4:5], v[0:3], off
	s_endpgm
	.section	.rodata,"a",@progbits
	.p2align	6, 0x0
	.amdhsa_kernel _ZN7rocprim17ROCPRIM_400000_NS6detail30init_device_scan_by_key_kernelINS1_19lookback_scan_stateINS0_5tupleIJjbEEELb0ELb1EEENS1_16block_id_wrapperIjLb0EEEEEvT_jjPNS9_10value_typeET0_
		.amdhsa_group_segment_fixed_size 0
		.amdhsa_private_segment_fixed_size 0
		.amdhsa_kernarg_size 288
		.amdhsa_user_sgpr_count 2
		.amdhsa_user_sgpr_dispatch_ptr 0
		.amdhsa_user_sgpr_queue_ptr 0
		.amdhsa_user_sgpr_kernarg_segment_ptr 1
		.amdhsa_user_sgpr_dispatch_id 0
		.amdhsa_user_sgpr_kernarg_preload_length 0
		.amdhsa_user_sgpr_kernarg_preload_offset 0
		.amdhsa_user_sgpr_private_segment_size 0
		.amdhsa_uses_dynamic_stack 0
		.amdhsa_enable_private_segment 0
		.amdhsa_system_sgpr_workgroup_id_x 1
		.amdhsa_system_sgpr_workgroup_id_y 0
		.amdhsa_system_sgpr_workgroup_id_z 0
		.amdhsa_system_sgpr_workgroup_info 0
		.amdhsa_system_vgpr_workitem_id 0
		.amdhsa_next_free_vgpr 10
		.amdhsa_next_free_sgpr 14
		.amdhsa_accum_offset 12
		.amdhsa_reserve_vcc 1
		.amdhsa_float_round_mode_32 0
		.amdhsa_float_round_mode_16_64 0
		.amdhsa_float_denorm_mode_32 3
		.amdhsa_float_denorm_mode_16_64 3
		.amdhsa_dx10_clamp 1
		.amdhsa_ieee_mode 1
		.amdhsa_fp16_overflow 0
		.amdhsa_tg_split 0
		.amdhsa_exception_fp_ieee_invalid_op 0
		.amdhsa_exception_fp_denorm_src 0
		.amdhsa_exception_fp_ieee_div_zero 0
		.amdhsa_exception_fp_ieee_overflow 0
		.amdhsa_exception_fp_ieee_underflow 0
		.amdhsa_exception_fp_ieee_inexact 0
		.amdhsa_exception_int_div_zero 0
	.end_amdhsa_kernel
	.section	.text._ZN7rocprim17ROCPRIM_400000_NS6detail30init_device_scan_by_key_kernelINS1_19lookback_scan_stateINS0_5tupleIJjbEEELb0ELb1EEENS1_16block_id_wrapperIjLb0EEEEEvT_jjPNS9_10value_typeET0_,"axG",@progbits,_ZN7rocprim17ROCPRIM_400000_NS6detail30init_device_scan_by_key_kernelINS1_19lookback_scan_stateINS0_5tupleIJjbEEELb0ELb1EEENS1_16block_id_wrapperIjLb0EEEEEvT_jjPNS9_10value_typeET0_,comdat
.Lfunc_end1220:
	.size	_ZN7rocprim17ROCPRIM_400000_NS6detail30init_device_scan_by_key_kernelINS1_19lookback_scan_stateINS0_5tupleIJjbEEELb0ELb1EEENS1_16block_id_wrapperIjLb0EEEEEvT_jjPNS9_10value_typeET0_, .Lfunc_end1220-_ZN7rocprim17ROCPRIM_400000_NS6detail30init_device_scan_by_key_kernelINS1_19lookback_scan_stateINS0_5tupleIJjbEEELb0ELb1EEENS1_16block_id_wrapperIjLb0EEEEEvT_jjPNS9_10value_typeET0_
                                        ; -- End function
	.section	.AMDGPU.csdata,"",@progbits
; Kernel info:
; codeLenInByte = 344
; NumSgprs: 20
; NumVgprs: 10
; NumAgprs: 0
; TotalNumVgprs: 10
; ScratchSize: 0
; MemoryBound: 0
; FloatMode: 240
; IeeeMode: 1
; LDSByteSize: 0 bytes/workgroup (compile time only)
; SGPRBlocks: 2
; VGPRBlocks: 1
; NumSGPRsForWavesPerEU: 20
; NumVGPRsForWavesPerEU: 10
; AccumOffset: 12
; Occupancy: 8
; WaveLimiterHint : 0
; COMPUTE_PGM_RSRC2:SCRATCH_EN: 0
; COMPUTE_PGM_RSRC2:USER_SGPR: 2
; COMPUTE_PGM_RSRC2:TRAP_HANDLER: 0
; COMPUTE_PGM_RSRC2:TGID_X_EN: 1
; COMPUTE_PGM_RSRC2:TGID_Y_EN: 0
; COMPUTE_PGM_RSRC2:TGID_Z_EN: 0
; COMPUTE_PGM_RSRC2:TIDIG_COMP_CNT: 0
; COMPUTE_PGM_RSRC3_GFX90A:ACCUM_OFFSET: 2
; COMPUTE_PGM_RSRC3_GFX90A:TG_SPLIT: 0
	.section	.text._ZN7rocprim17ROCPRIM_400000_NS6detail17trampoline_kernelINS0_14default_configENS1_27scan_by_key_config_selectorIijEEZZNS1_16scan_by_key_implILNS1_25lookback_scan_determinismE0ELb0ES3_N6thrust23THRUST_200600_302600_NS6detail15normal_iteratorINS9_10device_ptrIiEEEENSB_INSC_IjEEEESG_jNS9_4plusIvEENS9_8equal_toIvEEjEE10hipError_tPvRmT2_T3_T4_T5_mT6_T7_P12ihipStream_tbENKUlT_T0_E_clISt17integral_constantIbLb0EES11_EEDaSW_SX_EUlSW_E_NS1_11comp_targetILNS1_3genE0ELNS1_11target_archE4294967295ELNS1_3gpuE0ELNS1_3repE0EEENS1_30default_config_static_selectorELNS0_4arch9wavefront6targetE1EEEvT1_,"axG",@progbits,_ZN7rocprim17ROCPRIM_400000_NS6detail17trampoline_kernelINS0_14default_configENS1_27scan_by_key_config_selectorIijEEZZNS1_16scan_by_key_implILNS1_25lookback_scan_determinismE0ELb0ES3_N6thrust23THRUST_200600_302600_NS6detail15normal_iteratorINS9_10device_ptrIiEEEENSB_INSC_IjEEEESG_jNS9_4plusIvEENS9_8equal_toIvEEjEE10hipError_tPvRmT2_T3_T4_T5_mT6_T7_P12ihipStream_tbENKUlT_T0_E_clISt17integral_constantIbLb0EES11_EEDaSW_SX_EUlSW_E_NS1_11comp_targetILNS1_3genE0ELNS1_11target_archE4294967295ELNS1_3gpuE0ELNS1_3repE0EEENS1_30default_config_static_selectorELNS0_4arch9wavefront6targetE1EEEvT1_,comdat
	.protected	_ZN7rocprim17ROCPRIM_400000_NS6detail17trampoline_kernelINS0_14default_configENS1_27scan_by_key_config_selectorIijEEZZNS1_16scan_by_key_implILNS1_25lookback_scan_determinismE0ELb0ES3_N6thrust23THRUST_200600_302600_NS6detail15normal_iteratorINS9_10device_ptrIiEEEENSB_INSC_IjEEEESG_jNS9_4plusIvEENS9_8equal_toIvEEjEE10hipError_tPvRmT2_T3_T4_T5_mT6_T7_P12ihipStream_tbENKUlT_T0_E_clISt17integral_constantIbLb0EES11_EEDaSW_SX_EUlSW_E_NS1_11comp_targetILNS1_3genE0ELNS1_11target_archE4294967295ELNS1_3gpuE0ELNS1_3repE0EEENS1_30default_config_static_selectorELNS0_4arch9wavefront6targetE1EEEvT1_ ; -- Begin function _ZN7rocprim17ROCPRIM_400000_NS6detail17trampoline_kernelINS0_14default_configENS1_27scan_by_key_config_selectorIijEEZZNS1_16scan_by_key_implILNS1_25lookback_scan_determinismE0ELb0ES3_N6thrust23THRUST_200600_302600_NS6detail15normal_iteratorINS9_10device_ptrIiEEEENSB_INSC_IjEEEESG_jNS9_4plusIvEENS9_8equal_toIvEEjEE10hipError_tPvRmT2_T3_T4_T5_mT6_T7_P12ihipStream_tbENKUlT_T0_E_clISt17integral_constantIbLb0EES11_EEDaSW_SX_EUlSW_E_NS1_11comp_targetILNS1_3genE0ELNS1_11target_archE4294967295ELNS1_3gpuE0ELNS1_3repE0EEENS1_30default_config_static_selectorELNS0_4arch9wavefront6targetE1EEEvT1_
	.globl	_ZN7rocprim17ROCPRIM_400000_NS6detail17trampoline_kernelINS0_14default_configENS1_27scan_by_key_config_selectorIijEEZZNS1_16scan_by_key_implILNS1_25lookback_scan_determinismE0ELb0ES3_N6thrust23THRUST_200600_302600_NS6detail15normal_iteratorINS9_10device_ptrIiEEEENSB_INSC_IjEEEESG_jNS9_4plusIvEENS9_8equal_toIvEEjEE10hipError_tPvRmT2_T3_T4_T5_mT6_T7_P12ihipStream_tbENKUlT_T0_E_clISt17integral_constantIbLb0EES11_EEDaSW_SX_EUlSW_E_NS1_11comp_targetILNS1_3genE0ELNS1_11target_archE4294967295ELNS1_3gpuE0ELNS1_3repE0EEENS1_30default_config_static_selectorELNS0_4arch9wavefront6targetE1EEEvT1_
	.p2align	8
	.type	_ZN7rocprim17ROCPRIM_400000_NS6detail17trampoline_kernelINS0_14default_configENS1_27scan_by_key_config_selectorIijEEZZNS1_16scan_by_key_implILNS1_25lookback_scan_determinismE0ELb0ES3_N6thrust23THRUST_200600_302600_NS6detail15normal_iteratorINS9_10device_ptrIiEEEENSB_INSC_IjEEEESG_jNS9_4plusIvEENS9_8equal_toIvEEjEE10hipError_tPvRmT2_T3_T4_T5_mT6_T7_P12ihipStream_tbENKUlT_T0_E_clISt17integral_constantIbLb0EES11_EEDaSW_SX_EUlSW_E_NS1_11comp_targetILNS1_3genE0ELNS1_11target_archE4294967295ELNS1_3gpuE0ELNS1_3repE0EEENS1_30default_config_static_selectorELNS0_4arch9wavefront6targetE1EEEvT1_,@function
_ZN7rocprim17ROCPRIM_400000_NS6detail17trampoline_kernelINS0_14default_configENS1_27scan_by_key_config_selectorIijEEZZNS1_16scan_by_key_implILNS1_25lookback_scan_determinismE0ELb0ES3_N6thrust23THRUST_200600_302600_NS6detail15normal_iteratorINS9_10device_ptrIiEEEENSB_INSC_IjEEEESG_jNS9_4plusIvEENS9_8equal_toIvEEjEE10hipError_tPvRmT2_T3_T4_T5_mT6_T7_P12ihipStream_tbENKUlT_T0_E_clISt17integral_constantIbLb0EES11_EEDaSW_SX_EUlSW_E_NS1_11comp_targetILNS1_3genE0ELNS1_11target_archE4294967295ELNS1_3gpuE0ELNS1_3repE0EEENS1_30default_config_static_selectorELNS0_4arch9wavefront6targetE1EEEvT1_: ; @_ZN7rocprim17ROCPRIM_400000_NS6detail17trampoline_kernelINS0_14default_configENS1_27scan_by_key_config_selectorIijEEZZNS1_16scan_by_key_implILNS1_25lookback_scan_determinismE0ELb0ES3_N6thrust23THRUST_200600_302600_NS6detail15normal_iteratorINS9_10device_ptrIiEEEENSB_INSC_IjEEEESG_jNS9_4plusIvEENS9_8equal_toIvEEjEE10hipError_tPvRmT2_T3_T4_T5_mT6_T7_P12ihipStream_tbENKUlT_T0_E_clISt17integral_constantIbLb0EES11_EEDaSW_SX_EUlSW_E_NS1_11comp_targetILNS1_3genE0ELNS1_11target_archE4294967295ELNS1_3gpuE0ELNS1_3repE0EEENS1_30default_config_static_selectorELNS0_4arch9wavefront6targetE1EEEvT1_
; %bb.0:
	.section	.rodata,"a",@progbits
	.p2align	6, 0x0
	.amdhsa_kernel _ZN7rocprim17ROCPRIM_400000_NS6detail17trampoline_kernelINS0_14default_configENS1_27scan_by_key_config_selectorIijEEZZNS1_16scan_by_key_implILNS1_25lookback_scan_determinismE0ELb0ES3_N6thrust23THRUST_200600_302600_NS6detail15normal_iteratorINS9_10device_ptrIiEEEENSB_INSC_IjEEEESG_jNS9_4plusIvEENS9_8equal_toIvEEjEE10hipError_tPvRmT2_T3_T4_T5_mT6_T7_P12ihipStream_tbENKUlT_T0_E_clISt17integral_constantIbLb0EES11_EEDaSW_SX_EUlSW_E_NS1_11comp_targetILNS1_3genE0ELNS1_11target_archE4294967295ELNS1_3gpuE0ELNS1_3repE0EEENS1_30default_config_static_selectorELNS0_4arch9wavefront6targetE1EEEvT1_
		.amdhsa_group_segment_fixed_size 0
		.amdhsa_private_segment_fixed_size 0
		.amdhsa_kernarg_size 112
		.amdhsa_user_sgpr_count 2
		.amdhsa_user_sgpr_dispatch_ptr 0
		.amdhsa_user_sgpr_queue_ptr 0
		.amdhsa_user_sgpr_kernarg_segment_ptr 1
		.amdhsa_user_sgpr_dispatch_id 0
		.amdhsa_user_sgpr_kernarg_preload_length 0
		.amdhsa_user_sgpr_kernarg_preload_offset 0
		.amdhsa_user_sgpr_private_segment_size 0
		.amdhsa_uses_dynamic_stack 0
		.amdhsa_enable_private_segment 0
		.amdhsa_system_sgpr_workgroup_id_x 1
		.amdhsa_system_sgpr_workgroup_id_y 0
		.amdhsa_system_sgpr_workgroup_id_z 0
		.amdhsa_system_sgpr_workgroup_info 0
		.amdhsa_system_vgpr_workitem_id 0
		.amdhsa_next_free_vgpr 1
		.amdhsa_next_free_sgpr 0
		.amdhsa_accum_offset 4
		.amdhsa_reserve_vcc 0
		.amdhsa_float_round_mode_32 0
		.amdhsa_float_round_mode_16_64 0
		.amdhsa_float_denorm_mode_32 3
		.amdhsa_float_denorm_mode_16_64 3
		.amdhsa_dx10_clamp 1
		.amdhsa_ieee_mode 1
		.amdhsa_fp16_overflow 0
		.amdhsa_tg_split 0
		.amdhsa_exception_fp_ieee_invalid_op 0
		.amdhsa_exception_fp_denorm_src 0
		.amdhsa_exception_fp_ieee_div_zero 0
		.amdhsa_exception_fp_ieee_overflow 0
		.amdhsa_exception_fp_ieee_underflow 0
		.amdhsa_exception_fp_ieee_inexact 0
		.amdhsa_exception_int_div_zero 0
	.end_amdhsa_kernel
	.section	.text._ZN7rocprim17ROCPRIM_400000_NS6detail17trampoline_kernelINS0_14default_configENS1_27scan_by_key_config_selectorIijEEZZNS1_16scan_by_key_implILNS1_25lookback_scan_determinismE0ELb0ES3_N6thrust23THRUST_200600_302600_NS6detail15normal_iteratorINS9_10device_ptrIiEEEENSB_INSC_IjEEEESG_jNS9_4plusIvEENS9_8equal_toIvEEjEE10hipError_tPvRmT2_T3_T4_T5_mT6_T7_P12ihipStream_tbENKUlT_T0_E_clISt17integral_constantIbLb0EES11_EEDaSW_SX_EUlSW_E_NS1_11comp_targetILNS1_3genE0ELNS1_11target_archE4294967295ELNS1_3gpuE0ELNS1_3repE0EEENS1_30default_config_static_selectorELNS0_4arch9wavefront6targetE1EEEvT1_,"axG",@progbits,_ZN7rocprim17ROCPRIM_400000_NS6detail17trampoline_kernelINS0_14default_configENS1_27scan_by_key_config_selectorIijEEZZNS1_16scan_by_key_implILNS1_25lookback_scan_determinismE0ELb0ES3_N6thrust23THRUST_200600_302600_NS6detail15normal_iteratorINS9_10device_ptrIiEEEENSB_INSC_IjEEEESG_jNS9_4plusIvEENS9_8equal_toIvEEjEE10hipError_tPvRmT2_T3_T4_T5_mT6_T7_P12ihipStream_tbENKUlT_T0_E_clISt17integral_constantIbLb0EES11_EEDaSW_SX_EUlSW_E_NS1_11comp_targetILNS1_3genE0ELNS1_11target_archE4294967295ELNS1_3gpuE0ELNS1_3repE0EEENS1_30default_config_static_selectorELNS0_4arch9wavefront6targetE1EEEvT1_,comdat
.Lfunc_end1221:
	.size	_ZN7rocprim17ROCPRIM_400000_NS6detail17trampoline_kernelINS0_14default_configENS1_27scan_by_key_config_selectorIijEEZZNS1_16scan_by_key_implILNS1_25lookback_scan_determinismE0ELb0ES3_N6thrust23THRUST_200600_302600_NS6detail15normal_iteratorINS9_10device_ptrIiEEEENSB_INSC_IjEEEESG_jNS9_4plusIvEENS9_8equal_toIvEEjEE10hipError_tPvRmT2_T3_T4_T5_mT6_T7_P12ihipStream_tbENKUlT_T0_E_clISt17integral_constantIbLb0EES11_EEDaSW_SX_EUlSW_E_NS1_11comp_targetILNS1_3genE0ELNS1_11target_archE4294967295ELNS1_3gpuE0ELNS1_3repE0EEENS1_30default_config_static_selectorELNS0_4arch9wavefront6targetE1EEEvT1_, .Lfunc_end1221-_ZN7rocprim17ROCPRIM_400000_NS6detail17trampoline_kernelINS0_14default_configENS1_27scan_by_key_config_selectorIijEEZZNS1_16scan_by_key_implILNS1_25lookback_scan_determinismE0ELb0ES3_N6thrust23THRUST_200600_302600_NS6detail15normal_iteratorINS9_10device_ptrIiEEEENSB_INSC_IjEEEESG_jNS9_4plusIvEENS9_8equal_toIvEEjEE10hipError_tPvRmT2_T3_T4_T5_mT6_T7_P12ihipStream_tbENKUlT_T0_E_clISt17integral_constantIbLb0EES11_EEDaSW_SX_EUlSW_E_NS1_11comp_targetILNS1_3genE0ELNS1_11target_archE4294967295ELNS1_3gpuE0ELNS1_3repE0EEENS1_30default_config_static_selectorELNS0_4arch9wavefront6targetE1EEEvT1_
                                        ; -- End function
	.section	.AMDGPU.csdata,"",@progbits
; Kernel info:
; codeLenInByte = 0
; NumSgprs: 6
; NumVgprs: 0
; NumAgprs: 0
; TotalNumVgprs: 0
; ScratchSize: 0
; MemoryBound: 0
; FloatMode: 240
; IeeeMode: 1
; LDSByteSize: 0 bytes/workgroup (compile time only)
; SGPRBlocks: 0
; VGPRBlocks: 0
; NumSGPRsForWavesPerEU: 6
; NumVGPRsForWavesPerEU: 1
; AccumOffset: 4
; Occupancy: 8
; WaveLimiterHint : 0
; COMPUTE_PGM_RSRC2:SCRATCH_EN: 0
; COMPUTE_PGM_RSRC2:USER_SGPR: 2
; COMPUTE_PGM_RSRC2:TRAP_HANDLER: 0
; COMPUTE_PGM_RSRC2:TGID_X_EN: 1
; COMPUTE_PGM_RSRC2:TGID_Y_EN: 0
; COMPUTE_PGM_RSRC2:TGID_Z_EN: 0
; COMPUTE_PGM_RSRC2:TIDIG_COMP_CNT: 0
; COMPUTE_PGM_RSRC3_GFX90A:ACCUM_OFFSET: 0
; COMPUTE_PGM_RSRC3_GFX90A:TG_SPLIT: 0
	.section	.text._ZN7rocprim17ROCPRIM_400000_NS6detail17trampoline_kernelINS0_14default_configENS1_27scan_by_key_config_selectorIijEEZZNS1_16scan_by_key_implILNS1_25lookback_scan_determinismE0ELb0ES3_N6thrust23THRUST_200600_302600_NS6detail15normal_iteratorINS9_10device_ptrIiEEEENSB_INSC_IjEEEESG_jNS9_4plusIvEENS9_8equal_toIvEEjEE10hipError_tPvRmT2_T3_T4_T5_mT6_T7_P12ihipStream_tbENKUlT_T0_E_clISt17integral_constantIbLb0EES11_EEDaSW_SX_EUlSW_E_NS1_11comp_targetILNS1_3genE10ELNS1_11target_archE1201ELNS1_3gpuE5ELNS1_3repE0EEENS1_30default_config_static_selectorELNS0_4arch9wavefront6targetE1EEEvT1_,"axG",@progbits,_ZN7rocprim17ROCPRIM_400000_NS6detail17trampoline_kernelINS0_14default_configENS1_27scan_by_key_config_selectorIijEEZZNS1_16scan_by_key_implILNS1_25lookback_scan_determinismE0ELb0ES3_N6thrust23THRUST_200600_302600_NS6detail15normal_iteratorINS9_10device_ptrIiEEEENSB_INSC_IjEEEESG_jNS9_4plusIvEENS9_8equal_toIvEEjEE10hipError_tPvRmT2_T3_T4_T5_mT6_T7_P12ihipStream_tbENKUlT_T0_E_clISt17integral_constantIbLb0EES11_EEDaSW_SX_EUlSW_E_NS1_11comp_targetILNS1_3genE10ELNS1_11target_archE1201ELNS1_3gpuE5ELNS1_3repE0EEENS1_30default_config_static_selectorELNS0_4arch9wavefront6targetE1EEEvT1_,comdat
	.protected	_ZN7rocprim17ROCPRIM_400000_NS6detail17trampoline_kernelINS0_14default_configENS1_27scan_by_key_config_selectorIijEEZZNS1_16scan_by_key_implILNS1_25lookback_scan_determinismE0ELb0ES3_N6thrust23THRUST_200600_302600_NS6detail15normal_iteratorINS9_10device_ptrIiEEEENSB_INSC_IjEEEESG_jNS9_4plusIvEENS9_8equal_toIvEEjEE10hipError_tPvRmT2_T3_T4_T5_mT6_T7_P12ihipStream_tbENKUlT_T0_E_clISt17integral_constantIbLb0EES11_EEDaSW_SX_EUlSW_E_NS1_11comp_targetILNS1_3genE10ELNS1_11target_archE1201ELNS1_3gpuE5ELNS1_3repE0EEENS1_30default_config_static_selectorELNS0_4arch9wavefront6targetE1EEEvT1_ ; -- Begin function _ZN7rocprim17ROCPRIM_400000_NS6detail17trampoline_kernelINS0_14default_configENS1_27scan_by_key_config_selectorIijEEZZNS1_16scan_by_key_implILNS1_25lookback_scan_determinismE0ELb0ES3_N6thrust23THRUST_200600_302600_NS6detail15normal_iteratorINS9_10device_ptrIiEEEENSB_INSC_IjEEEESG_jNS9_4plusIvEENS9_8equal_toIvEEjEE10hipError_tPvRmT2_T3_T4_T5_mT6_T7_P12ihipStream_tbENKUlT_T0_E_clISt17integral_constantIbLb0EES11_EEDaSW_SX_EUlSW_E_NS1_11comp_targetILNS1_3genE10ELNS1_11target_archE1201ELNS1_3gpuE5ELNS1_3repE0EEENS1_30default_config_static_selectorELNS0_4arch9wavefront6targetE1EEEvT1_
	.globl	_ZN7rocprim17ROCPRIM_400000_NS6detail17trampoline_kernelINS0_14default_configENS1_27scan_by_key_config_selectorIijEEZZNS1_16scan_by_key_implILNS1_25lookback_scan_determinismE0ELb0ES3_N6thrust23THRUST_200600_302600_NS6detail15normal_iteratorINS9_10device_ptrIiEEEENSB_INSC_IjEEEESG_jNS9_4plusIvEENS9_8equal_toIvEEjEE10hipError_tPvRmT2_T3_T4_T5_mT6_T7_P12ihipStream_tbENKUlT_T0_E_clISt17integral_constantIbLb0EES11_EEDaSW_SX_EUlSW_E_NS1_11comp_targetILNS1_3genE10ELNS1_11target_archE1201ELNS1_3gpuE5ELNS1_3repE0EEENS1_30default_config_static_selectorELNS0_4arch9wavefront6targetE1EEEvT1_
	.p2align	8
	.type	_ZN7rocprim17ROCPRIM_400000_NS6detail17trampoline_kernelINS0_14default_configENS1_27scan_by_key_config_selectorIijEEZZNS1_16scan_by_key_implILNS1_25lookback_scan_determinismE0ELb0ES3_N6thrust23THRUST_200600_302600_NS6detail15normal_iteratorINS9_10device_ptrIiEEEENSB_INSC_IjEEEESG_jNS9_4plusIvEENS9_8equal_toIvEEjEE10hipError_tPvRmT2_T3_T4_T5_mT6_T7_P12ihipStream_tbENKUlT_T0_E_clISt17integral_constantIbLb0EES11_EEDaSW_SX_EUlSW_E_NS1_11comp_targetILNS1_3genE10ELNS1_11target_archE1201ELNS1_3gpuE5ELNS1_3repE0EEENS1_30default_config_static_selectorELNS0_4arch9wavefront6targetE1EEEvT1_,@function
_ZN7rocprim17ROCPRIM_400000_NS6detail17trampoline_kernelINS0_14default_configENS1_27scan_by_key_config_selectorIijEEZZNS1_16scan_by_key_implILNS1_25lookback_scan_determinismE0ELb0ES3_N6thrust23THRUST_200600_302600_NS6detail15normal_iteratorINS9_10device_ptrIiEEEENSB_INSC_IjEEEESG_jNS9_4plusIvEENS9_8equal_toIvEEjEE10hipError_tPvRmT2_T3_T4_T5_mT6_T7_P12ihipStream_tbENKUlT_T0_E_clISt17integral_constantIbLb0EES11_EEDaSW_SX_EUlSW_E_NS1_11comp_targetILNS1_3genE10ELNS1_11target_archE1201ELNS1_3gpuE5ELNS1_3repE0EEENS1_30default_config_static_selectorELNS0_4arch9wavefront6targetE1EEEvT1_: ; @_ZN7rocprim17ROCPRIM_400000_NS6detail17trampoline_kernelINS0_14default_configENS1_27scan_by_key_config_selectorIijEEZZNS1_16scan_by_key_implILNS1_25lookback_scan_determinismE0ELb0ES3_N6thrust23THRUST_200600_302600_NS6detail15normal_iteratorINS9_10device_ptrIiEEEENSB_INSC_IjEEEESG_jNS9_4plusIvEENS9_8equal_toIvEEjEE10hipError_tPvRmT2_T3_T4_T5_mT6_T7_P12ihipStream_tbENKUlT_T0_E_clISt17integral_constantIbLb0EES11_EEDaSW_SX_EUlSW_E_NS1_11comp_targetILNS1_3genE10ELNS1_11target_archE1201ELNS1_3gpuE5ELNS1_3repE0EEENS1_30default_config_static_selectorELNS0_4arch9wavefront6targetE1EEEvT1_
; %bb.0:
	.section	.rodata,"a",@progbits
	.p2align	6, 0x0
	.amdhsa_kernel _ZN7rocprim17ROCPRIM_400000_NS6detail17trampoline_kernelINS0_14default_configENS1_27scan_by_key_config_selectorIijEEZZNS1_16scan_by_key_implILNS1_25lookback_scan_determinismE0ELb0ES3_N6thrust23THRUST_200600_302600_NS6detail15normal_iteratorINS9_10device_ptrIiEEEENSB_INSC_IjEEEESG_jNS9_4plusIvEENS9_8equal_toIvEEjEE10hipError_tPvRmT2_T3_T4_T5_mT6_T7_P12ihipStream_tbENKUlT_T0_E_clISt17integral_constantIbLb0EES11_EEDaSW_SX_EUlSW_E_NS1_11comp_targetILNS1_3genE10ELNS1_11target_archE1201ELNS1_3gpuE5ELNS1_3repE0EEENS1_30default_config_static_selectorELNS0_4arch9wavefront6targetE1EEEvT1_
		.amdhsa_group_segment_fixed_size 0
		.amdhsa_private_segment_fixed_size 0
		.amdhsa_kernarg_size 112
		.amdhsa_user_sgpr_count 2
		.amdhsa_user_sgpr_dispatch_ptr 0
		.amdhsa_user_sgpr_queue_ptr 0
		.amdhsa_user_sgpr_kernarg_segment_ptr 1
		.amdhsa_user_sgpr_dispatch_id 0
		.amdhsa_user_sgpr_kernarg_preload_length 0
		.amdhsa_user_sgpr_kernarg_preload_offset 0
		.amdhsa_user_sgpr_private_segment_size 0
		.amdhsa_uses_dynamic_stack 0
		.amdhsa_enable_private_segment 0
		.amdhsa_system_sgpr_workgroup_id_x 1
		.amdhsa_system_sgpr_workgroup_id_y 0
		.amdhsa_system_sgpr_workgroup_id_z 0
		.amdhsa_system_sgpr_workgroup_info 0
		.amdhsa_system_vgpr_workitem_id 0
		.amdhsa_next_free_vgpr 1
		.amdhsa_next_free_sgpr 0
		.amdhsa_accum_offset 4
		.amdhsa_reserve_vcc 0
		.amdhsa_float_round_mode_32 0
		.amdhsa_float_round_mode_16_64 0
		.amdhsa_float_denorm_mode_32 3
		.amdhsa_float_denorm_mode_16_64 3
		.amdhsa_dx10_clamp 1
		.amdhsa_ieee_mode 1
		.amdhsa_fp16_overflow 0
		.amdhsa_tg_split 0
		.amdhsa_exception_fp_ieee_invalid_op 0
		.amdhsa_exception_fp_denorm_src 0
		.amdhsa_exception_fp_ieee_div_zero 0
		.amdhsa_exception_fp_ieee_overflow 0
		.amdhsa_exception_fp_ieee_underflow 0
		.amdhsa_exception_fp_ieee_inexact 0
		.amdhsa_exception_int_div_zero 0
	.end_amdhsa_kernel
	.section	.text._ZN7rocprim17ROCPRIM_400000_NS6detail17trampoline_kernelINS0_14default_configENS1_27scan_by_key_config_selectorIijEEZZNS1_16scan_by_key_implILNS1_25lookback_scan_determinismE0ELb0ES3_N6thrust23THRUST_200600_302600_NS6detail15normal_iteratorINS9_10device_ptrIiEEEENSB_INSC_IjEEEESG_jNS9_4plusIvEENS9_8equal_toIvEEjEE10hipError_tPvRmT2_T3_T4_T5_mT6_T7_P12ihipStream_tbENKUlT_T0_E_clISt17integral_constantIbLb0EES11_EEDaSW_SX_EUlSW_E_NS1_11comp_targetILNS1_3genE10ELNS1_11target_archE1201ELNS1_3gpuE5ELNS1_3repE0EEENS1_30default_config_static_selectorELNS0_4arch9wavefront6targetE1EEEvT1_,"axG",@progbits,_ZN7rocprim17ROCPRIM_400000_NS6detail17trampoline_kernelINS0_14default_configENS1_27scan_by_key_config_selectorIijEEZZNS1_16scan_by_key_implILNS1_25lookback_scan_determinismE0ELb0ES3_N6thrust23THRUST_200600_302600_NS6detail15normal_iteratorINS9_10device_ptrIiEEEENSB_INSC_IjEEEESG_jNS9_4plusIvEENS9_8equal_toIvEEjEE10hipError_tPvRmT2_T3_T4_T5_mT6_T7_P12ihipStream_tbENKUlT_T0_E_clISt17integral_constantIbLb0EES11_EEDaSW_SX_EUlSW_E_NS1_11comp_targetILNS1_3genE10ELNS1_11target_archE1201ELNS1_3gpuE5ELNS1_3repE0EEENS1_30default_config_static_selectorELNS0_4arch9wavefront6targetE1EEEvT1_,comdat
.Lfunc_end1222:
	.size	_ZN7rocprim17ROCPRIM_400000_NS6detail17trampoline_kernelINS0_14default_configENS1_27scan_by_key_config_selectorIijEEZZNS1_16scan_by_key_implILNS1_25lookback_scan_determinismE0ELb0ES3_N6thrust23THRUST_200600_302600_NS6detail15normal_iteratorINS9_10device_ptrIiEEEENSB_INSC_IjEEEESG_jNS9_4plusIvEENS9_8equal_toIvEEjEE10hipError_tPvRmT2_T3_T4_T5_mT6_T7_P12ihipStream_tbENKUlT_T0_E_clISt17integral_constantIbLb0EES11_EEDaSW_SX_EUlSW_E_NS1_11comp_targetILNS1_3genE10ELNS1_11target_archE1201ELNS1_3gpuE5ELNS1_3repE0EEENS1_30default_config_static_selectorELNS0_4arch9wavefront6targetE1EEEvT1_, .Lfunc_end1222-_ZN7rocprim17ROCPRIM_400000_NS6detail17trampoline_kernelINS0_14default_configENS1_27scan_by_key_config_selectorIijEEZZNS1_16scan_by_key_implILNS1_25lookback_scan_determinismE0ELb0ES3_N6thrust23THRUST_200600_302600_NS6detail15normal_iteratorINS9_10device_ptrIiEEEENSB_INSC_IjEEEESG_jNS9_4plusIvEENS9_8equal_toIvEEjEE10hipError_tPvRmT2_T3_T4_T5_mT6_T7_P12ihipStream_tbENKUlT_T0_E_clISt17integral_constantIbLb0EES11_EEDaSW_SX_EUlSW_E_NS1_11comp_targetILNS1_3genE10ELNS1_11target_archE1201ELNS1_3gpuE5ELNS1_3repE0EEENS1_30default_config_static_selectorELNS0_4arch9wavefront6targetE1EEEvT1_
                                        ; -- End function
	.section	.AMDGPU.csdata,"",@progbits
; Kernel info:
; codeLenInByte = 0
; NumSgprs: 6
; NumVgprs: 0
; NumAgprs: 0
; TotalNumVgprs: 0
; ScratchSize: 0
; MemoryBound: 0
; FloatMode: 240
; IeeeMode: 1
; LDSByteSize: 0 bytes/workgroup (compile time only)
; SGPRBlocks: 0
; VGPRBlocks: 0
; NumSGPRsForWavesPerEU: 6
; NumVGPRsForWavesPerEU: 1
; AccumOffset: 4
; Occupancy: 8
; WaveLimiterHint : 0
; COMPUTE_PGM_RSRC2:SCRATCH_EN: 0
; COMPUTE_PGM_RSRC2:USER_SGPR: 2
; COMPUTE_PGM_RSRC2:TRAP_HANDLER: 0
; COMPUTE_PGM_RSRC2:TGID_X_EN: 1
; COMPUTE_PGM_RSRC2:TGID_Y_EN: 0
; COMPUTE_PGM_RSRC2:TGID_Z_EN: 0
; COMPUTE_PGM_RSRC2:TIDIG_COMP_CNT: 0
; COMPUTE_PGM_RSRC3_GFX90A:ACCUM_OFFSET: 0
; COMPUTE_PGM_RSRC3_GFX90A:TG_SPLIT: 0
	.section	.text._ZN7rocprim17ROCPRIM_400000_NS6detail17trampoline_kernelINS0_14default_configENS1_27scan_by_key_config_selectorIijEEZZNS1_16scan_by_key_implILNS1_25lookback_scan_determinismE0ELb0ES3_N6thrust23THRUST_200600_302600_NS6detail15normal_iteratorINS9_10device_ptrIiEEEENSB_INSC_IjEEEESG_jNS9_4plusIvEENS9_8equal_toIvEEjEE10hipError_tPvRmT2_T3_T4_T5_mT6_T7_P12ihipStream_tbENKUlT_T0_E_clISt17integral_constantIbLb0EES11_EEDaSW_SX_EUlSW_E_NS1_11comp_targetILNS1_3genE5ELNS1_11target_archE942ELNS1_3gpuE9ELNS1_3repE0EEENS1_30default_config_static_selectorELNS0_4arch9wavefront6targetE1EEEvT1_,"axG",@progbits,_ZN7rocprim17ROCPRIM_400000_NS6detail17trampoline_kernelINS0_14default_configENS1_27scan_by_key_config_selectorIijEEZZNS1_16scan_by_key_implILNS1_25lookback_scan_determinismE0ELb0ES3_N6thrust23THRUST_200600_302600_NS6detail15normal_iteratorINS9_10device_ptrIiEEEENSB_INSC_IjEEEESG_jNS9_4plusIvEENS9_8equal_toIvEEjEE10hipError_tPvRmT2_T3_T4_T5_mT6_T7_P12ihipStream_tbENKUlT_T0_E_clISt17integral_constantIbLb0EES11_EEDaSW_SX_EUlSW_E_NS1_11comp_targetILNS1_3genE5ELNS1_11target_archE942ELNS1_3gpuE9ELNS1_3repE0EEENS1_30default_config_static_selectorELNS0_4arch9wavefront6targetE1EEEvT1_,comdat
	.protected	_ZN7rocprim17ROCPRIM_400000_NS6detail17trampoline_kernelINS0_14default_configENS1_27scan_by_key_config_selectorIijEEZZNS1_16scan_by_key_implILNS1_25lookback_scan_determinismE0ELb0ES3_N6thrust23THRUST_200600_302600_NS6detail15normal_iteratorINS9_10device_ptrIiEEEENSB_INSC_IjEEEESG_jNS9_4plusIvEENS9_8equal_toIvEEjEE10hipError_tPvRmT2_T3_T4_T5_mT6_T7_P12ihipStream_tbENKUlT_T0_E_clISt17integral_constantIbLb0EES11_EEDaSW_SX_EUlSW_E_NS1_11comp_targetILNS1_3genE5ELNS1_11target_archE942ELNS1_3gpuE9ELNS1_3repE0EEENS1_30default_config_static_selectorELNS0_4arch9wavefront6targetE1EEEvT1_ ; -- Begin function _ZN7rocprim17ROCPRIM_400000_NS6detail17trampoline_kernelINS0_14default_configENS1_27scan_by_key_config_selectorIijEEZZNS1_16scan_by_key_implILNS1_25lookback_scan_determinismE0ELb0ES3_N6thrust23THRUST_200600_302600_NS6detail15normal_iteratorINS9_10device_ptrIiEEEENSB_INSC_IjEEEESG_jNS9_4plusIvEENS9_8equal_toIvEEjEE10hipError_tPvRmT2_T3_T4_T5_mT6_T7_P12ihipStream_tbENKUlT_T0_E_clISt17integral_constantIbLb0EES11_EEDaSW_SX_EUlSW_E_NS1_11comp_targetILNS1_3genE5ELNS1_11target_archE942ELNS1_3gpuE9ELNS1_3repE0EEENS1_30default_config_static_selectorELNS0_4arch9wavefront6targetE1EEEvT1_
	.globl	_ZN7rocprim17ROCPRIM_400000_NS6detail17trampoline_kernelINS0_14default_configENS1_27scan_by_key_config_selectorIijEEZZNS1_16scan_by_key_implILNS1_25lookback_scan_determinismE0ELb0ES3_N6thrust23THRUST_200600_302600_NS6detail15normal_iteratorINS9_10device_ptrIiEEEENSB_INSC_IjEEEESG_jNS9_4plusIvEENS9_8equal_toIvEEjEE10hipError_tPvRmT2_T3_T4_T5_mT6_T7_P12ihipStream_tbENKUlT_T0_E_clISt17integral_constantIbLb0EES11_EEDaSW_SX_EUlSW_E_NS1_11comp_targetILNS1_3genE5ELNS1_11target_archE942ELNS1_3gpuE9ELNS1_3repE0EEENS1_30default_config_static_selectorELNS0_4arch9wavefront6targetE1EEEvT1_
	.p2align	8
	.type	_ZN7rocprim17ROCPRIM_400000_NS6detail17trampoline_kernelINS0_14default_configENS1_27scan_by_key_config_selectorIijEEZZNS1_16scan_by_key_implILNS1_25lookback_scan_determinismE0ELb0ES3_N6thrust23THRUST_200600_302600_NS6detail15normal_iteratorINS9_10device_ptrIiEEEENSB_INSC_IjEEEESG_jNS9_4plusIvEENS9_8equal_toIvEEjEE10hipError_tPvRmT2_T3_T4_T5_mT6_T7_P12ihipStream_tbENKUlT_T0_E_clISt17integral_constantIbLb0EES11_EEDaSW_SX_EUlSW_E_NS1_11comp_targetILNS1_3genE5ELNS1_11target_archE942ELNS1_3gpuE9ELNS1_3repE0EEENS1_30default_config_static_selectorELNS0_4arch9wavefront6targetE1EEEvT1_,@function
_ZN7rocprim17ROCPRIM_400000_NS6detail17trampoline_kernelINS0_14default_configENS1_27scan_by_key_config_selectorIijEEZZNS1_16scan_by_key_implILNS1_25lookback_scan_determinismE0ELb0ES3_N6thrust23THRUST_200600_302600_NS6detail15normal_iteratorINS9_10device_ptrIiEEEENSB_INSC_IjEEEESG_jNS9_4plusIvEENS9_8equal_toIvEEjEE10hipError_tPvRmT2_T3_T4_T5_mT6_T7_P12ihipStream_tbENKUlT_T0_E_clISt17integral_constantIbLb0EES11_EEDaSW_SX_EUlSW_E_NS1_11comp_targetILNS1_3genE5ELNS1_11target_archE942ELNS1_3gpuE9ELNS1_3repE0EEENS1_30default_config_static_selectorELNS0_4arch9wavefront6targetE1EEEvT1_: ; @_ZN7rocprim17ROCPRIM_400000_NS6detail17trampoline_kernelINS0_14default_configENS1_27scan_by_key_config_selectorIijEEZZNS1_16scan_by_key_implILNS1_25lookback_scan_determinismE0ELb0ES3_N6thrust23THRUST_200600_302600_NS6detail15normal_iteratorINS9_10device_ptrIiEEEENSB_INSC_IjEEEESG_jNS9_4plusIvEENS9_8equal_toIvEEjEE10hipError_tPvRmT2_T3_T4_T5_mT6_T7_P12ihipStream_tbENKUlT_T0_E_clISt17integral_constantIbLb0EES11_EEDaSW_SX_EUlSW_E_NS1_11comp_targetILNS1_3genE5ELNS1_11target_archE942ELNS1_3gpuE9ELNS1_3repE0EEENS1_30default_config_static_selectorELNS0_4arch9wavefront6targetE1EEEvT1_
; %bb.0:
	s_load_dwordx8 s[52:59], s[0:1], 0x0
	s_load_dwordx4 s[68:71], s[0:1], 0x28
	s_load_dwordx2 s[74:75], s[0:1], 0x38
	s_load_dword s3, s[0:1], 0x40
	s_load_dwordx8 s[60:67], s[0:1], 0x48
	s_waitcnt lgkmcnt(0)
	s_lshl_b64 s[72:73], s[54:55], 2
	s_add_u32 s4, s52, s72
	s_addc_u32 s5, s53, s73
	s_add_u32 s6, s56, s72
	s_mul_i32 s0, s75, s3
	s_mul_hi_u32 s1, s74, s3
	s_addc_u32 s7, s57, s73
	s_add_i32 s8, s1, s0
	s_cmp_lg_u64 s[64:65], 0
	s_mul_i32 s0, s2, 0x1700
	s_mov_b32 s1, 0
	s_cselect_b64 s[64:65], -1, 0
	s_lshl_b64 s[56:57], s[0:1], 2
	s_add_u32 s54, s4, s56
	s_addc_u32 s55, s5, s57
	s_add_u32 s52, s6, s56
	s_mul_i32 s3, s74, s3
	s_addc_u32 s53, s7, s57
	s_add_u32 s76, s3, s2
	s_addc_u32 s77, s8, 0
	s_add_u32 s4, s60, -1
	s_addc_u32 s5, s61, -1
	v_mov_b64_e32 v[2:3], s[4:5]
	v_cmp_ge_u64_e64 s[0:1], s[76:77], v[2:3]
	s_mov_b64 s[10:11], 0
	s_mov_b64 s[6:7], -1
	s_and_b64 vcc, exec, s[0:1]
	s_mul_i32 s33, s4, 0xffffe900
	s_barrier
	s_cbranch_vccz .LBB1223_122
; %bb.1:
	v_mov_b64_e32 v[2:3], s[54:55]
	flat_load_dword v1, v[2:3]
	s_add_i32 s3, s33, s70
	v_cmp_gt_u32_e64 s[50:51], s3, v0
	s_waitcnt vmcnt(0) lgkmcnt(0)
	v_mov_b32_e32 v4, v1
	s_and_saveexec_b64 s[4:5], s[50:51]
	s_cbranch_execz .LBB1223_3
; %bb.2:
	v_lshlrev_b32_e32 v2, 2, v0
	v_mov_b32_e32 v3, 0
	v_lshl_add_u64 v[2:3], s[54:55], 0, v[2:3]
	flat_load_dword v4, v[2:3]
.LBB1223_3:
	s_or_b64 exec, exec, s[4:5]
	v_or_b32_e32 v2, 0x100, v0
	v_cmp_gt_u32_e64 s[4:5], s3, v2
	v_mov_b32_e32 v5, v1
	s_and_saveexec_b64 s[6:7], s[4:5]
	s_cbranch_execz .LBB1223_5
; %bb.4:
	v_lshlrev_b32_e32 v2, 2, v0
	v_mov_b32_e32 v3, 0
	v_lshl_add_u64 v[2:3], s[54:55], 0, v[2:3]
	flat_load_dword v5, v[2:3] offset:1024
.LBB1223_5:
	s_or_b64 exec, exec, s[6:7]
	v_or_b32_e32 v2, 0x200, v0
	v_cmp_gt_u32_e64 s[6:7], s3, v2
	v_mov_b32_e32 v6, v1
	s_and_saveexec_b64 s[8:9], s[6:7]
	s_cbranch_execz .LBB1223_7
; %bb.6:
	v_lshlrev_b32_e32 v2, 2, v0
	v_mov_b32_e32 v3, 0
	v_lshl_add_u64 v[2:3], s[54:55], 0, v[2:3]
	flat_load_dword v6, v[2:3] offset:2048
.LBB1223_7:
	;; [unrolled: 12-line block ×3, first 2 shown]
	s_or_b64 exec, exec, s[10:11]
	v_or_b32_e32 v2, 0x400, v0
	v_cmp_gt_u32_e64 s[10:11], s3, v2
	v_lshlrev_b32_e32 v2, 2, v2
	v_mov_b32_e32 v3, v1
	s_and_saveexec_b64 s[12:13], s[10:11]
	s_cbranch_execz .LBB1223_11
; %bb.10:
	v_mov_b32_e32 v3, 0
	v_lshl_add_u64 v[8:9], s[54:55], 0, v[2:3]
	flat_load_dword v3, v[8:9]
.LBB1223_11:
	s_or_b64 exec, exec, s[12:13]
	v_or_b32_e32 v8, 0x500, v0
	v_cmp_gt_u32_e64 s[12:13], s3, v8
	v_lshlrev_b32_e32 v10, 2, v8
	v_mov_b32_e32 v8, v1
	s_and_saveexec_b64 s[14:15], s[12:13]
	s_cbranch_execz .LBB1223_13
; %bb.12:
	v_mov_b32_e32 v11, 0
	v_lshl_add_u64 v[8:9], s[54:55], 0, v[10:11]
	flat_load_dword v8, v[8:9]
.LBB1223_13:
	;; [unrolled: 12-line block ×18, first 2 shown]
	s_or_b64 exec, exec, s[48:49]
	v_or_b32_e32 v41, 0x1600, v0
	v_cmp_gt_u32_e64 s[48:49], s3, v41
	v_lshlrev_b32_e32 v46, 2, v41
	s_and_saveexec_b64 s[60:61], s[48:49]
	s_cbranch_execz .LBB1223_47
; %bb.46:
	v_mov_b32_e32 v47, 0
	v_lshl_add_u64 v[44:45], s[54:55], 0, v[46:47]
	flat_load_dword v1, v[44:45]
.LBB1223_47:
	s_or_b64 exec, exec, s[60:61]
	v_lshlrev_b32_e32 v44, 2, v0
	s_movk_i32 s60, 0x58
	s_waitcnt vmcnt(0) lgkmcnt(0)
	ds_write2st64_b32 v44, v4, v5 offset1:4
	ds_write2st64_b32 v44, v6, v7 offset0:8 offset1:12
	ds_write2st64_b32 v44, v3, v8 offset0:16 offset1:20
	;; [unrolled: 1-line block ×10, first 2 shown]
	ds_write_b32 v44, v1 offset:22528
	v_mad_u32_u24 v1, v0, s60, v44
	s_waitcnt lgkmcnt(0)
	s_barrier
	ds_read2_b32 v[68:69], v1 offset1:1
	ds_read2_b32 v[66:67], v1 offset0:2 offset1:3
	ds_read2_b32 v[64:65], v1 offset0:4 offset1:5
	;; [unrolled: 1-line block ×10, first 2 shown]
	ds_read_b32 v72, v1 offset:88
	s_cmp_eq_u64 s[76:77], 0
	s_mov_b64 s[60:61], s[54:55]
	s_cbranch_scc1 .LBB1223_51
; %bb.48:
	s_andn2_b64 vcc, exec, s[64:65]
	s_cbranch_vccnz .LBB1223_263
; %bb.49:
	s_lshl_b64 s[60:61], s[76:77], 2
	s_add_u32 s60, s66, s60
	s_addc_u32 s61, s67, s61
	s_add_u32 s60, s60, -4
	s_addc_u32 s61, s61, -1
	s_cbranch_execnz .LBB1223_51
.LBB1223_50:
	s_add_u32 s60, s54, -4
	s_addc_u32 s61, s55, -1
.LBB1223_51:
	v_mov_b64_e32 v[48:49], s[60:61]
	flat_load_dword v70, v[48:49]
	s_movk_i32 s60, 0xffa8
	v_mad_i32_i24 v3, v0, s60, v1
	v_cmp_ne_u32_e32 vcc, 0, v0
	s_waitcnt lgkmcnt(0)
	ds_write_b32 v3, v72 offset:23552
	s_waitcnt lgkmcnt(0)
	s_barrier
	s_and_saveexec_b64 s[60:61], vcc
	s_cbranch_execz .LBB1223_53
; %bb.52:
	v_mul_i32_i24_e32 v3, 0xffffffa8, v0
	v_add_u32_e32 v3, v1, v3
	s_waitcnt vmcnt(0)
	ds_read_b32 v70, v3 offset:23548
.LBB1223_53:
	s_or_b64 exec, exec, s[60:61]
	v_mov_b32_e32 v45, 0
	s_waitcnt lgkmcnt(0)
	s_barrier
	s_waitcnt lgkmcnt(0)
                                        ; implicit-def: $vgpr48
	s_and_saveexec_b64 s[60:61], s[50:51]
	s_cbranch_execnz .LBB1223_239
; %bb.54:
	s_or_b64 exec, exec, s[60:61]
                                        ; implicit-def: $vgpr49
	s_and_saveexec_b64 s[50:51], s[4:5]
	s_cbranch_execnz .LBB1223_240
.LBB1223_55:
	s_or_b64 exec, exec, s[50:51]
                                        ; implicit-def: $vgpr50
	s_and_saveexec_b64 s[4:5], s[6:7]
	s_cbranch_execnz .LBB1223_241
.LBB1223_56:
	s_or_b64 exec, exec, s[4:5]
                                        ; implicit-def: $vgpr45
	s_and_saveexec_b64 s[4:5], s[8:9]
	s_cbranch_execnz .LBB1223_242
.LBB1223_57:
	s_or_b64 exec, exec, s[4:5]
                                        ; implicit-def: $vgpr3
	s_and_saveexec_b64 s[4:5], s[10:11]
	s_cbranch_execnz .LBB1223_243
.LBB1223_58:
	s_or_b64 exec, exec, s[4:5]
                                        ; implicit-def: $vgpr2
	s_and_saveexec_b64 s[4:5], s[12:13]
	s_cbranch_execnz .LBB1223_244
.LBB1223_59:
	s_or_b64 exec, exec, s[4:5]
                                        ; implicit-def: $vgpr10
	s_and_saveexec_b64 s[4:5], s[14:15]
	s_cbranch_execnz .LBB1223_245
.LBB1223_60:
	s_or_b64 exec, exec, s[4:5]
                                        ; implicit-def: $vgpr11
	s_and_saveexec_b64 s[4:5], s[16:17]
	s_cbranch_execnz .LBB1223_246
.LBB1223_61:
	s_or_b64 exec, exec, s[4:5]
                                        ; implicit-def: $vgpr12
	s_and_saveexec_b64 s[4:5], s[18:19]
	s_cbranch_execnz .LBB1223_247
.LBB1223_62:
	s_or_b64 exec, exec, s[4:5]
                                        ; implicit-def: $vgpr13
	s_and_saveexec_b64 s[4:5], s[20:21]
	s_cbranch_execnz .LBB1223_248
.LBB1223_63:
	s_or_b64 exec, exec, s[4:5]
                                        ; implicit-def: $vgpr14
	s_and_saveexec_b64 s[4:5], s[22:23]
	s_cbranch_execnz .LBB1223_249
.LBB1223_64:
	s_or_b64 exec, exec, s[4:5]
                                        ; implicit-def: $vgpr15
	s_and_saveexec_b64 s[4:5], s[24:25]
	s_cbranch_execnz .LBB1223_250
.LBB1223_65:
	s_or_b64 exec, exec, s[4:5]
                                        ; implicit-def: $vgpr16
	s_and_saveexec_b64 s[4:5], s[26:27]
	s_cbranch_execnz .LBB1223_251
.LBB1223_66:
	s_or_b64 exec, exec, s[4:5]
                                        ; implicit-def: $vgpr17
	s_and_saveexec_b64 s[4:5], s[28:29]
	s_cbranch_execnz .LBB1223_252
.LBB1223_67:
	s_or_b64 exec, exec, s[4:5]
                                        ; implicit-def: $vgpr18
	s_and_saveexec_b64 s[4:5], s[30:31]
	s_cbranch_execnz .LBB1223_253
.LBB1223_68:
	s_or_b64 exec, exec, s[4:5]
                                        ; implicit-def: $vgpr19
	s_and_saveexec_b64 s[4:5], s[34:35]
	s_cbranch_execnz .LBB1223_254
.LBB1223_69:
	s_or_b64 exec, exec, s[4:5]
                                        ; implicit-def: $vgpr20
	s_and_saveexec_b64 s[4:5], s[36:37]
	s_cbranch_execnz .LBB1223_255
.LBB1223_70:
	s_or_b64 exec, exec, s[4:5]
                                        ; implicit-def: $vgpr21
	s_and_saveexec_b64 s[4:5], s[38:39]
	s_cbranch_execnz .LBB1223_256
.LBB1223_71:
	s_or_b64 exec, exec, s[4:5]
                                        ; implicit-def: $vgpr22
	s_and_saveexec_b64 s[4:5], s[40:41]
	s_cbranch_execnz .LBB1223_257
.LBB1223_72:
	s_or_b64 exec, exec, s[4:5]
                                        ; implicit-def: $vgpr23
	s_and_saveexec_b64 s[4:5], s[42:43]
	s_cbranch_execnz .LBB1223_258
.LBB1223_73:
	s_or_b64 exec, exec, s[4:5]
                                        ; implicit-def: $vgpr24
	s_and_saveexec_b64 s[4:5], s[44:45]
	s_cbranch_execnz .LBB1223_259
.LBB1223_74:
	s_or_b64 exec, exec, s[4:5]
                                        ; implicit-def: $vgpr25
	s_and_saveexec_b64 s[4:5], s[46:47]
	s_cbranch_execnz .LBB1223_260
.LBB1223_75:
	s_or_b64 exec, exec, s[4:5]
                                        ; implicit-def: $vgpr26
	s_and_saveexec_b64 s[4:5], s[48:49]
	s_cbranch_execz .LBB1223_77
.LBB1223_76:
	v_mov_b32_e32 v47, 0
	v_lshl_add_u64 v[26:27], s[52:53], 0, v[46:47]
	flat_load_dword v26, v[26:27]
.LBB1223_77:
	s_or_b64 exec, exec, s[4:5]
	v_mul_u32_u24_e32 v73, 23, v0
	s_waitcnt vmcnt(0) lgkmcnt(0)
	ds_write2st64_b32 v44, v48, v49 offset1:4
	ds_write2st64_b32 v44, v50, v45 offset0:8 offset1:12
	ds_write2st64_b32 v44, v3, v2 offset0:16 offset1:20
	;; [unrolled: 1-line block ×10, first 2 shown]
	ds_write_b32 v44, v26 offset:22528
	v_mov_b64_e32 v[10:11], 0
	v_cmp_gt_u32_e32 vcc, s3, v73
	s_mov_b64 s[10:11], 0
	s_mov_b64 s[6:7], 0
	v_mov_b64_e32 v[12:13], v[10:11]
	v_mov_b64_e32 v[14:15], v[10:11]
	;; [unrolled: 1-line block ×21, first 2 shown]
	s_waitcnt lgkmcnt(0)
	s_barrier
	s_waitcnt lgkmcnt(0)
                                        ; implicit-def: $sgpr4_sgpr5
                                        ; implicit-def: $vgpr3
	s_and_saveexec_b64 s[8:9], vcc
	s_cbranch_execz .LBB1223_121
; %bb.78:
	ds_read_b32 v10, v1
	v_add_u32_e32 v2, 1, v73
	v_cmp_ne_u32_e32 vcc, v70, v68
	v_mov_b64_e32 v[12:13], 0
	s_mov_b64 s[12:13], 0
	v_cndmask_b32_e64 v11, 0, 1, vcc
	v_cmp_gt_u32_e32 vcc, s3, v2
	s_mov_b64 s[4:5], 0
	v_mov_b64_e32 v[14:15], v[12:13]
	v_mov_b64_e32 v[16:17], v[12:13]
	;; [unrolled: 1-line block ×20, first 2 shown]
                                        ; implicit-def: $sgpr14_sgpr15
                                        ; implicit-def: $vgpr3
	s_and_saveexec_b64 s[10:11], vcc
	s_cbranch_execz .LBB1223_120
; %bb.79:
	ds_read2_b32 v[70:71], v1 offset0:1 offset1:2
	v_add_u32_e32 v2, 2, v73
	v_cmp_ne_u32_e32 vcc, v68, v69
	v_mov_b64_e32 v[14:15], 0
	s_mov_b64 s[16:17], 0
	v_cndmask_b32_e64 v13, 0, 1, vcc
	v_cmp_gt_u32_e32 vcc, s3, v2
	s_waitcnt lgkmcnt(0)
	v_mov_b32_e32 v12, v70
	v_mov_b64_e32 v[16:17], v[14:15]
	v_mov_b64_e32 v[18:19], v[14:15]
	;; [unrolled: 1-line block ×19, first 2 shown]
                                        ; implicit-def: $sgpr14_sgpr15
                                        ; implicit-def: $vgpr3
	s_and_saveexec_b64 s[12:13], vcc
	s_cbranch_execz .LBB1223_119
; %bb.80:
	v_add_u32_e32 v2, 3, v73
	v_cmp_ne_u32_e32 vcc, v69, v66
	v_mov_b64_e32 v[16:17], 0
	v_mov_b32_e32 v14, v71
	v_cndmask_b32_e64 v15, 0, 1, vcc
	v_cmp_gt_u32_e32 vcc, s3, v2
	v_mov_b64_e32 v[18:19], v[16:17]
	v_mov_b64_e32 v[20:21], v[16:17]
	;; [unrolled: 1-line block ×18, first 2 shown]
                                        ; implicit-def: $sgpr18_sgpr19
                                        ; implicit-def: $vgpr3
	s_and_saveexec_b64 s[14:15], vcc
	s_cbranch_execz .LBB1223_118
; %bb.81:
	ds_read2_b32 v[68:69], v1 offset0:3 offset1:4
	v_add_u32_e32 v2, 4, v73
	v_cmp_ne_u32_e32 vcc, v66, v67
	v_mov_b64_e32 v[18:19], 0
	s_mov_b64 s[20:21], 0
	v_cndmask_b32_e64 v17, 0, 1, vcc
	v_cmp_gt_u32_e32 vcc, s3, v2
	s_waitcnt lgkmcnt(0)
	v_mov_b32_e32 v16, v68
	v_mov_b64_e32 v[20:21], v[18:19]
	v_mov_b64_e32 v[22:23], v[18:19]
	v_mov_b64_e32 v[24:25], v[18:19]
	v_mov_b64_e32 v[26:27], v[18:19]
	v_mov_b64_e32 v[28:29], v[18:19]
	v_mov_b64_e32 v[30:31], v[18:19]
	v_mov_b64_e32 v[32:33], v[18:19]
	v_mov_b64_e32 v[34:35], v[18:19]
	v_mov_b64_e32 v[36:37], v[18:19]
	v_mov_b64_e32 v[38:39], v[18:19]
	v_mov_b64_e32 v[40:41], v[18:19]
	v_mov_b64_e32 v[42:43], v[18:19]
	v_mov_b64_e32 v[44:45], v[18:19]
	v_mov_b64_e32 v[46:47], v[18:19]
	v_mov_b64_e32 v[48:49], v[18:19]
	v_mov_b64_e32 v[50:51], v[18:19]
	v_mov_b64_e32 v[52:53], v[18:19]
                                        ; implicit-def: $sgpr18_sgpr19
                                        ; implicit-def: $vgpr3
	s_and_saveexec_b64 s[16:17], vcc
	s_cbranch_execz .LBB1223_117
; %bb.82:
	v_add_u32_e32 v2, 5, v73
	v_cmp_ne_u32_e32 vcc, v67, v64
	v_mov_b64_e32 v[20:21], 0
	v_mov_b32_e32 v18, v69
	v_cndmask_b32_e64 v19, 0, 1, vcc
	v_cmp_gt_u32_e32 vcc, s3, v2
	v_mov_b64_e32 v[22:23], v[20:21]
	v_mov_b64_e32 v[24:25], v[20:21]
	;; [unrolled: 1-line block ×16, first 2 shown]
                                        ; implicit-def: $sgpr22_sgpr23
                                        ; implicit-def: $vgpr3
	s_and_saveexec_b64 s[18:19], vcc
	s_cbranch_execz .LBB1223_116
; %bb.83:
	ds_read2_b32 v[66:67], v1 offset0:5 offset1:6
	v_add_u32_e32 v2, 6, v73
	v_cmp_ne_u32_e32 vcc, v64, v65
	v_mov_b64_e32 v[22:23], 0
	s_mov_b64 s[24:25], 0
	v_cndmask_b32_e64 v21, 0, 1, vcc
	v_cmp_gt_u32_e32 vcc, s3, v2
	s_waitcnt lgkmcnt(0)
	v_mov_b32_e32 v20, v66
	v_mov_b64_e32 v[24:25], v[22:23]
	v_mov_b64_e32 v[26:27], v[22:23]
	;; [unrolled: 1-line block ×15, first 2 shown]
                                        ; implicit-def: $sgpr22_sgpr23
                                        ; implicit-def: $vgpr3
	s_and_saveexec_b64 s[20:21], vcc
	s_cbranch_execz .LBB1223_115
; %bb.84:
	v_add_u32_e32 v2, 7, v73
	v_cmp_ne_u32_e32 vcc, v65, v62
	v_mov_b64_e32 v[24:25], 0
	v_mov_b32_e32 v22, v67
	v_cndmask_b32_e64 v23, 0, 1, vcc
	v_cmp_gt_u32_e32 vcc, s3, v2
	v_mov_b64_e32 v[26:27], v[24:25]
	v_mov_b64_e32 v[28:29], v[24:25]
	;; [unrolled: 1-line block ×14, first 2 shown]
                                        ; implicit-def: $sgpr26_sgpr27
                                        ; implicit-def: $vgpr3
	s_and_saveexec_b64 s[22:23], vcc
	s_cbranch_execz .LBB1223_114
; %bb.85:
	ds_read2_b32 v[64:65], v1 offset0:7 offset1:8
	v_add_u32_e32 v2, 8, v73
	v_cmp_ne_u32_e32 vcc, v62, v63
	v_mov_b64_e32 v[26:27], 0
	s_mov_b64 s[28:29], 0
	v_cndmask_b32_e64 v25, 0, 1, vcc
	v_cmp_gt_u32_e32 vcc, s3, v2
	s_waitcnt lgkmcnt(0)
	v_mov_b32_e32 v24, v64
	v_mov_b64_e32 v[28:29], v[26:27]
	v_mov_b64_e32 v[30:31], v[26:27]
	;; [unrolled: 1-line block ×13, first 2 shown]
                                        ; implicit-def: $sgpr26_sgpr27
                                        ; implicit-def: $vgpr3
	s_and_saveexec_b64 s[24:25], vcc
	s_cbranch_execz .LBB1223_113
; %bb.86:
	v_add_u32_e32 v2, 9, v73
	v_cmp_ne_u32_e32 vcc, v63, v60
	v_mov_b64_e32 v[28:29], 0
	v_mov_b32_e32 v26, v65
	v_cndmask_b32_e64 v27, 0, 1, vcc
	v_cmp_gt_u32_e32 vcc, s3, v2
	v_mov_b64_e32 v[30:31], v[28:29]
	v_mov_b64_e32 v[32:33], v[28:29]
	;; [unrolled: 1-line block ×12, first 2 shown]
                                        ; implicit-def: $sgpr30_sgpr31
                                        ; implicit-def: $vgpr3
	s_and_saveexec_b64 s[26:27], vcc
	s_cbranch_execz .LBB1223_112
; %bb.87:
	ds_read2_b32 v[62:63], v1 offset0:9 offset1:10
	v_add_u32_e32 v2, 10, v73
	v_cmp_ne_u32_e32 vcc, v60, v61
	v_mov_b64_e32 v[30:31], 0
	s_mov_b64 s[34:35], 0
	v_cndmask_b32_e64 v29, 0, 1, vcc
	v_cmp_gt_u32_e32 vcc, s3, v2
	s_waitcnt lgkmcnt(0)
	v_mov_b32_e32 v28, v62
	v_mov_b64_e32 v[32:33], v[30:31]
	v_mov_b64_e32 v[34:35], v[30:31]
	;; [unrolled: 1-line block ×11, first 2 shown]
                                        ; implicit-def: $sgpr30_sgpr31
                                        ; implicit-def: $vgpr3
	s_and_saveexec_b64 s[28:29], vcc
	s_cbranch_execz .LBB1223_111
; %bb.88:
	v_add_u32_e32 v2, 11, v73
	v_cmp_ne_u32_e32 vcc, v61, v58
	v_mov_b64_e32 v[32:33], 0
	v_mov_b32_e32 v30, v63
	v_cndmask_b32_e64 v31, 0, 1, vcc
	v_cmp_gt_u32_e32 vcc, s3, v2
	v_mov_b64_e32 v[34:35], v[32:33]
	v_mov_b64_e32 v[36:37], v[32:33]
	v_mov_b64_e32 v[38:39], v[32:33]
	v_mov_b64_e32 v[40:41], v[32:33]
	v_mov_b64_e32 v[42:43], v[32:33]
	v_mov_b64_e32 v[44:45], v[32:33]
	v_mov_b64_e32 v[46:47], v[32:33]
	v_mov_b64_e32 v[48:49], v[32:33]
	v_mov_b64_e32 v[50:51], v[32:33]
	v_mov_b64_e32 v[52:53], v[32:33]
                                        ; implicit-def: $sgpr36_sgpr37
                                        ; implicit-def: $vgpr3
	s_and_saveexec_b64 s[30:31], vcc
	s_cbranch_execz .LBB1223_110
; %bb.89:
	ds_read2_b32 v[60:61], v1 offset0:11 offset1:12
	v_add_u32_e32 v2, 12, v73
	v_cmp_ne_u32_e32 vcc, v58, v59
	v_mov_b64_e32 v[34:35], 0
	s_mov_b64 s[38:39], 0
	v_cndmask_b32_e64 v33, 0, 1, vcc
	v_cmp_gt_u32_e32 vcc, s3, v2
	s_waitcnt lgkmcnt(0)
	v_mov_b32_e32 v32, v60
	v_mov_b64_e32 v[36:37], v[34:35]
	v_mov_b64_e32 v[38:39], v[34:35]
	;; [unrolled: 1-line block ×9, first 2 shown]
                                        ; implicit-def: $sgpr36_sgpr37
                                        ; implicit-def: $vgpr3
	s_and_saveexec_b64 s[34:35], vcc
	s_cbranch_execz .LBB1223_109
; %bb.90:
	v_add_u32_e32 v2, 13, v73
	v_cmp_ne_u32_e32 vcc, v59, v56
	v_mov_b64_e32 v[36:37], 0
	v_mov_b32_e32 v34, v61
	v_cndmask_b32_e64 v35, 0, 1, vcc
	v_cmp_gt_u32_e32 vcc, s3, v2
	v_mov_b64_e32 v[38:39], v[36:37]
	v_mov_b64_e32 v[40:41], v[36:37]
	;; [unrolled: 1-line block ×8, first 2 shown]
                                        ; implicit-def: $sgpr40_sgpr41
                                        ; implicit-def: $vgpr3
	s_and_saveexec_b64 s[36:37], vcc
	s_cbranch_execz .LBB1223_108
; %bb.91:
	ds_read2_b32 v[58:59], v1 offset0:13 offset1:14
	v_add_u32_e32 v2, 14, v73
	v_cmp_ne_u32_e32 vcc, v56, v57
	v_mov_b64_e32 v[38:39], 0
	s_mov_b64 s[42:43], 0
	v_cndmask_b32_e64 v37, 0, 1, vcc
	v_cmp_gt_u32_e32 vcc, s3, v2
	s_waitcnt lgkmcnt(0)
	v_mov_b32_e32 v36, v58
	v_mov_b64_e32 v[40:41], v[38:39]
	v_mov_b64_e32 v[42:43], v[38:39]
	;; [unrolled: 1-line block ×7, first 2 shown]
                                        ; implicit-def: $sgpr40_sgpr41
                                        ; implicit-def: $vgpr3
	s_and_saveexec_b64 s[38:39], vcc
	s_cbranch_execz .LBB1223_107
; %bb.92:
	v_add_u32_e32 v2, 15, v73
	v_cmp_ne_u32_e32 vcc, v57, v54
	v_mov_b64_e32 v[40:41], 0
	v_mov_b32_e32 v38, v59
	v_cndmask_b32_e64 v39, 0, 1, vcc
	v_cmp_gt_u32_e32 vcc, s3, v2
	v_mov_b64_e32 v[42:43], v[40:41]
	v_mov_b64_e32 v[44:45], v[40:41]
	;; [unrolled: 1-line block ×6, first 2 shown]
                                        ; implicit-def: $sgpr44_sgpr45
                                        ; implicit-def: $vgpr3
	s_and_saveexec_b64 s[40:41], vcc
	s_cbranch_execz .LBB1223_106
; %bb.93:
	ds_read2_b32 v[56:57], v1 offset0:15 offset1:16
	v_add_u32_e32 v2, 16, v73
	v_cmp_ne_u32_e32 vcc, v54, v55
	v_mov_b64_e32 v[42:43], 0
	s_mov_b64 s[46:47], 0
	v_cndmask_b32_e64 v41, 0, 1, vcc
	v_cmp_gt_u32_e32 vcc, s3, v2
	s_waitcnt lgkmcnt(0)
	v_mov_b32_e32 v40, v56
	v_mov_b64_e32 v[44:45], v[42:43]
	v_mov_b64_e32 v[46:47], v[42:43]
	v_mov_b64_e32 v[48:49], v[42:43]
	v_mov_b64_e32 v[50:51], v[42:43]
	v_mov_b64_e32 v[52:53], v[42:43]
                                        ; implicit-def: $sgpr44_sgpr45
                                        ; implicit-def: $vgpr3
	s_and_saveexec_b64 s[42:43], vcc
	s_cbranch_execz .LBB1223_105
; %bb.94:
	v_add_u32_e32 v2, 17, v73
	v_cmp_ne_u32_e32 vcc, v55, v8
	v_mov_b64_e32 v[44:45], 0
	v_mov_b32_e32 v42, v57
	v_cndmask_b32_e64 v43, 0, 1, vcc
	v_cmp_gt_u32_e32 vcc, s3, v2
	v_mov_b64_e32 v[46:47], v[44:45]
	v_mov_b64_e32 v[48:49], v[44:45]
	;; [unrolled: 1-line block ×4, first 2 shown]
                                        ; implicit-def: $sgpr48_sgpr49
                                        ; implicit-def: $vgpr3
	s_and_saveexec_b64 s[44:45], vcc
	s_cbranch_execz .LBB1223_104
; %bb.95:
	ds_read2_b32 v[54:55], v1 offset0:17 offset1:18
	v_add_u32_e32 v2, 18, v73
	v_cmp_ne_u32_e32 vcc, v8, v9
	v_mov_b64_e32 v[46:47], 0
	s_mov_b64 s[50:51], 0
	v_cndmask_b32_e64 v45, 0, 1, vcc
	v_cmp_gt_u32_e32 vcc, s3, v2
	s_waitcnt lgkmcnt(0)
	v_mov_b32_e32 v44, v54
	v_mov_b64_e32 v[48:49], v[46:47]
	v_mov_b64_e32 v[50:51], v[46:47]
	;; [unrolled: 1-line block ×3, first 2 shown]
                                        ; implicit-def: $sgpr48_sgpr49
                                        ; implicit-def: $vgpr3
	s_and_saveexec_b64 s[46:47], vcc
	s_cbranch_execz .LBB1223_103
; %bb.96:
	v_add_u32_e32 v2, 19, v73
	v_cmp_ne_u32_e32 vcc, v9, v6
	v_mov_b64_e32 v[48:49], 0
	v_mov_b32_e32 v46, v55
	v_cndmask_b32_e64 v47, 0, 1, vcc
	v_cmp_gt_u32_e32 vcc, s3, v2
	v_mov_b64_e32 v[50:51], v[48:49]
	v_mov_b64_e32 v[52:53], v[48:49]
                                        ; implicit-def: $sgpr60_sgpr61
                                        ; implicit-def: $vgpr3
	s_and_saveexec_b64 s[48:49], vcc
	s_cbranch_execz .LBB1223_102
; %bb.97:
	ds_read2_b32 v[8:9], v1 offset0:19 offset1:20
	v_add_u32_e32 v2, 20, v73
	v_cmp_ne_u32_e32 vcc, v6, v7
	v_mov_b64_e32 v[50:51], 0
	s_mov_b64 s[60:61], 0
	v_cndmask_b32_e64 v49, 0, 1, vcc
	v_cmp_gt_u32_e32 vcc, s3, v2
	s_waitcnt lgkmcnt(0)
	v_mov_b32_e32 v48, v8
	v_mov_b64_e32 v[52:53], v[50:51]
                                        ; implicit-def: $sgpr78_sgpr79
                                        ; implicit-def: $vgpr3
	s_and_saveexec_b64 s[50:51], vcc
	s_cbranch_execz .LBB1223_101
; %bb.98:
	v_add_u32_e32 v2, 21, v73
	v_cmp_ne_u32_e32 vcc, v7, v4
	v_mov_b32_e32 v50, v9
	v_mov_b64_e32 v[52:53], 0
	v_cndmask_b32_e64 v51, 0, 1, vcc
	v_cmp_gt_u32_e32 vcc, s3, v2
                                        ; implicit-def: $sgpr78_sgpr79
                                        ; implicit-def: $vgpr3
	s_and_saveexec_b64 s[4:5], vcc
	s_xor_b64 s[80:81], exec, s[4:5]
	s_cbranch_execz .LBB1223_100
; %bb.99:
	ds_read2_b32 v[2:3], v1 offset0:21 offset1:22
	v_add_u32_e32 v1, 22, v73
	v_cmp_ne_u32_e64 s[4:5], v4, v5
	v_cmp_ne_u32_e32 vcc, v5, v72
	s_and_b64 s[78:79], vcc, exec
	v_cndmask_b32_e64 v53, 0, 1, s[4:5]
	v_cmp_gt_u32_e64 s[4:5], s3, v1
	s_waitcnt lgkmcnt(0)
	v_mov_b32_e32 v52, v2
	s_and_b64 s[60:61], s[4:5], exec
.LBB1223_100:
	s_or_b64 exec, exec, s[80:81]
	s_and_b64 s[78:79], s[78:79], exec
	s_and_b64 s[4:5], s[60:61], exec
.LBB1223_101:
	s_or_b64 exec, exec, s[50:51]
	s_and_b64 s[60:61], s[78:79], exec
	s_and_b64 s[50:51], s[4:5], exec
.LBB1223_102:
	s_or_b64 exec, exec, s[48:49]
	s_and_b64 s[48:49], s[60:61], exec
	s_and_b64 s[4:5], s[50:51], exec
.LBB1223_103:
	s_or_b64 exec, exec, s[46:47]
	s_and_b64 s[48:49], s[48:49], exec
	s_and_b64 s[46:47], s[4:5], exec
.LBB1223_104:
	s_or_b64 exec, exec, s[44:45]
	s_and_b64 s[44:45], s[48:49], exec
	s_and_b64 s[4:5], s[46:47], exec
.LBB1223_105:
	s_or_b64 exec, exec, s[42:43]
	s_and_b64 s[44:45], s[44:45], exec
	s_and_b64 s[42:43], s[4:5], exec
.LBB1223_106:
	s_or_b64 exec, exec, s[40:41]
	s_and_b64 s[40:41], s[44:45], exec
	s_and_b64 s[4:5], s[42:43], exec
.LBB1223_107:
	s_or_b64 exec, exec, s[38:39]
	s_and_b64 s[40:41], s[40:41], exec
	s_and_b64 s[38:39], s[4:5], exec
.LBB1223_108:
	s_or_b64 exec, exec, s[36:37]
	s_and_b64 s[36:37], s[40:41], exec
	s_and_b64 s[4:5], s[38:39], exec
.LBB1223_109:
	s_or_b64 exec, exec, s[34:35]
	s_and_b64 s[36:37], s[36:37], exec
	s_and_b64 s[34:35], s[4:5], exec
.LBB1223_110:
	s_or_b64 exec, exec, s[30:31]
	s_and_b64 s[30:31], s[36:37], exec
	s_and_b64 s[4:5], s[34:35], exec
.LBB1223_111:
	s_or_b64 exec, exec, s[28:29]
	s_and_b64 s[30:31], s[30:31], exec
	s_and_b64 s[28:29], s[4:5], exec
.LBB1223_112:
	s_or_b64 exec, exec, s[26:27]
	s_and_b64 s[26:27], s[30:31], exec
	s_and_b64 s[4:5], s[28:29], exec
.LBB1223_113:
	s_or_b64 exec, exec, s[24:25]
	s_and_b64 s[26:27], s[26:27], exec
	s_and_b64 s[24:25], s[4:5], exec
.LBB1223_114:
	s_or_b64 exec, exec, s[22:23]
	s_and_b64 s[22:23], s[26:27], exec
	s_and_b64 s[4:5], s[24:25], exec
.LBB1223_115:
	s_or_b64 exec, exec, s[20:21]
	s_and_b64 s[22:23], s[22:23], exec
	s_and_b64 s[20:21], s[4:5], exec
.LBB1223_116:
	s_or_b64 exec, exec, s[18:19]
	s_and_b64 s[18:19], s[22:23], exec
	s_and_b64 s[4:5], s[20:21], exec
.LBB1223_117:
	s_or_b64 exec, exec, s[16:17]
	s_and_b64 s[18:19], s[18:19], exec
	s_and_b64 s[16:17], s[4:5], exec
.LBB1223_118:
	s_or_b64 exec, exec, s[14:15]
	s_and_b64 s[14:15], s[18:19], exec
	s_and_b64 s[4:5], s[16:17], exec
.LBB1223_119:
	s_or_b64 exec, exec, s[12:13]
	s_and_b64 s[14:15], s[14:15], exec
	s_and_b64 s[12:13], s[4:5], exec
.LBB1223_120:
	s_or_b64 exec, exec, s[10:11]
	s_and_b64 s[4:5], s[14:15], exec
	s_and_b64 s[10:11], s[12:13], exec
.LBB1223_121:
	s_or_b64 exec, exec, s[8:9]
	s_mov_b64 s[8:9], 0
	s_and_b64 vcc, exec, s[6:7]
	v_lshlrev_b32_e32 v54, 2, v0
	s_cbranch_vccnz .LBB1223_123
	s_branch .LBB1223_131
.LBB1223_122:
                                        ; implicit-def: $sgpr4_sgpr5
                                        ; implicit-def: $vgpr3
                                        ; implicit-def: $vgpr10_vgpr11
                                        ; implicit-def: $vgpr12_vgpr13
                                        ; implicit-def: $vgpr14_vgpr15
                                        ; implicit-def: $vgpr16_vgpr17
                                        ; implicit-def: $vgpr18_vgpr19
                                        ; implicit-def: $vgpr20_vgpr21
                                        ; implicit-def: $vgpr22_vgpr23
                                        ; implicit-def: $vgpr24_vgpr25
                                        ; implicit-def: $vgpr26_vgpr27
                                        ; implicit-def: $vgpr28_vgpr29
                                        ; implicit-def: $vgpr30_vgpr31
                                        ; implicit-def: $vgpr32_vgpr33
                                        ; implicit-def: $vgpr34_vgpr35
                                        ; implicit-def: $vgpr36_vgpr37
                                        ; implicit-def: $vgpr38_vgpr39
                                        ; implicit-def: $vgpr40_vgpr41
                                        ; implicit-def: $vgpr42_vgpr43
                                        ; implicit-def: $vgpr44_vgpr45
                                        ; implicit-def: $vgpr46_vgpr47
                                        ; implicit-def: $vgpr48_vgpr49
                                        ; implicit-def: $vgpr50_vgpr51
                                        ; implicit-def: $vgpr52_vgpr53
                                        ; implicit-def: $sgpr8_sgpr9
	s_and_b64 vcc, exec, s[6:7]
	v_lshlrev_b32_e32 v54, 2, v0
	s_cbranch_vccz .LBB1223_131
.LBB1223_123:
	v_mov_b32_e32 v55, 0
	v_lshl_add_u64 v[2:3], s[54:55], 0, v[54:55]
	v_add_co_u32_e32 v4, vcc, 0x1000, v2
	s_movk_i32 s3, 0x58
	s_nop 0
	v_addc_co_u32_e32 v5, vcc, 0, v3, vcc
	flat_load_dword v8, v[2:3]
	flat_load_dword v9, v[2:3] offset:1024
	s_waitcnt lgkmcnt(0)
	flat_load_dword v10, v[2:3] offset:2048
	flat_load_dword v11, v[2:3] offset:3072
	flat_load_dword v12, v[4:5]
	flat_load_dword v13, v[4:5] offset:1024
	flat_load_dword v14, v[4:5] offset:2048
	;; [unrolled: 1-line block ×3, first 2 shown]
	v_add_co_u32_e32 v4, vcc, 0x2000, v2
	v_mad_u32_u24 v1, v0, s3, v54
	s_nop 0
	v_addc_co_u32_e32 v5, vcc, 0, v3, vcc
	v_add_co_u32_e32 v6, vcc, 0x3000, v2
	s_cmp_eq_u64 s[76:77], 0
	s_nop 0
	v_addc_co_u32_e32 v7, vcc, 0, v3, vcc
	flat_load_dword v16, v[4:5]
	flat_load_dword v17, v[4:5] offset:1024
	flat_load_dword v18, v[4:5] offset:2048
	;; [unrolled: 1-line block ×3, first 2 shown]
	flat_load_dword v20, v[6:7]
	flat_load_dword v21, v[6:7] offset:1024
	flat_load_dword v22, v[6:7] offset:2048
	;; [unrolled: 1-line block ×3, first 2 shown]
	v_add_co_u32_e32 v4, vcc, 0x4000, v2
	s_nop 1
	v_addc_co_u32_e32 v5, vcc, 0, v3, vcc
	v_add_co_u32_e32 v2, vcc, 0x5000, v2
	s_nop 1
	v_addc_co_u32_e32 v3, vcc, 0, v3, vcc
	flat_load_dword v6, v[4:5]
	flat_load_dword v7, v[4:5] offset:1024
	flat_load_dword v24, v[4:5] offset:2048
	;; [unrolled: 1-line block ×3, first 2 shown]
	flat_load_dword v26, v[2:3]
	flat_load_dword v27, v[2:3] offset:1024
	flat_load_dword v28, v[2:3] offset:2048
	s_waitcnt vmcnt(0)
	ds_write2st64_b32 v54, v8, v9 offset1:4
	s_waitcnt lgkmcnt(0)
	ds_write2st64_b32 v54, v10, v11 offset0:8 offset1:12
	ds_write2st64_b32 v54, v12, v13 offset0:16 offset1:20
	;; [unrolled: 1-line block ×10, first 2 shown]
	ds_write_b32 v54, v28 offset:22528
	s_waitcnt lgkmcnt(0)
	s_barrier
	ds_read2_b32 v[2:3], v1 offset1:1
	ds_read2_b32 v[18:19], v1 offset0:2 offset1:3
	ds_read2_b32 v[22:23], v1 offset0:4 offset1:5
	;; [unrolled: 1-line block ×10, first 2 shown]
	ds_read_b32 v10, v1 offset:88
	s_cbranch_scc1 .LBB1223_128
; %bb.124:
	s_andn2_b64 vcc, exec, s[64:65]
	s_cbranch_vccnz .LBB1223_264
; %bb.125:
	s_lshl_b64 s[4:5], s[76:77], 2
	s_add_u32 s3, s66, s4
	s_addc_u32 s5, s67, s5
	s_add_u32 s4, s3, -4
	s_addc_u32 s5, s5, -1
	s_cbranch_execnz .LBB1223_127
.LBB1223_126:
	s_add_u32 s4, s54, -4
	s_addc_u32 s5, s55, -1
.LBB1223_127:
	s_mov_b64 s[54:55], s[4:5]
.LBB1223_128:
	v_mov_b64_e32 v[12:13], s[54:55]
	flat_load_dword v11, v[12:13]
	s_movk_i32 s3, 0xffa8
	v_mad_i32_i24 v12, v0, s3, v1
	v_cmp_ne_u32_e32 vcc, 0, v0
	s_waitcnt lgkmcnt(0)
	ds_write_b32 v12, v10 offset:23552
	s_waitcnt lgkmcnt(0)
	s_barrier
	s_and_saveexec_b64 s[4:5], vcc
	s_cbranch_execz .LBB1223_130
; %bb.129:
	s_waitcnt vmcnt(0)
	v_mul_i32_i24_e32 v11, 0xffffffa8, v0
	v_add_u32_e32 v11, v1, v11
	ds_read_b32 v11, v11 offset:23548
.LBB1223_130:
	s_or_b64 exec, exec, s[4:5]
	v_mov_b32_e32 v55, 0
	v_lshl_add_u64 v[12:13], s[52:53], 0, v[54:55]
	s_movk_i32 s3, 0x1000
	v_add_co_u32_e32 v14, vcc, s3, v12
	s_movk_i32 s3, 0x2000
	s_nop 0
	v_addc_co_u32_e32 v15, vcc, 0, v13, vcc
	s_waitcnt lgkmcnt(0)
	s_barrier
	flat_load_dword v20, v[12:13]
	flat_load_dword v21, v[12:13] offset:1024
	flat_load_dword v24, v[12:13] offset:2048
	;; [unrolled: 1-line block ×3, first 2 shown]
	flat_load_dword v28, v[14:15]
	flat_load_dword v29, v[14:15] offset:1024
	flat_load_dword v32, v[14:15] offset:2048
	flat_load_dword v33, v[14:15] offset:3072
	v_add_co_u32_e32 v14, vcc, s3, v12
	s_movk_i32 s3, 0x3000
	s_nop 0
	v_addc_co_u32_e32 v15, vcc, 0, v13, vcc
	v_add_co_u32_e32 v16, vcc, s3, v12
	s_movk_i32 s3, 0x4000
	s_nop 0
	v_addc_co_u32_e32 v17, vcc, 0, v13, vcc
	flat_load_dword v36, v[14:15]
	flat_load_dword v37, v[14:15] offset:1024
	flat_load_dword v40, v[14:15] offset:2048
	;; [unrolled: 1-line block ×3, first 2 shown]
	flat_load_dword v44, v[16:17]
	flat_load_dword v45, v[16:17] offset:1024
	flat_load_dword v46, v[16:17] offset:2048
	;; [unrolled: 1-line block ×3, first 2 shown]
	v_add_co_u32_e32 v14, vcc, s3, v12
	s_movk_i32 s3, 0x5000
	s_nop 0
	v_addc_co_u32_e32 v15, vcc, 0, v13, vcc
	v_add_co_u32_e32 v12, vcc, s3, v12
	v_cmp_ne_u32_e64 s[4:5], v5, v10
	s_nop 0
	v_addc_co_u32_e32 v13, vcc, 0, v13, vcc
	flat_load_dword v16, v[14:15]
	flat_load_dword v17, v[14:15] offset:1024
	flat_load_dword v48, v[14:15] offset:2048
	;; [unrolled: 1-line block ×3, first 2 shown]
	flat_load_dword v50, v[12:13]
	flat_load_dword v51, v[12:13] offset:1024
	flat_load_dword v52, v[12:13] offset:2048
	s_waitcnt vmcnt(0)
	v_cmp_ne_u32_e32 vcc, v11, v2
	s_mov_b64 s[10:11], -1
                                        ; implicit-def: $sgpr8_sgpr9
	s_waitcnt lgkmcnt(0)
	ds_write2st64_b32 v54, v20, v21 offset1:4
	ds_write2st64_b32 v54, v24, v25 offset0:8 offset1:12
	ds_write2st64_b32 v54, v28, v29 offset0:16 offset1:20
	;; [unrolled: 1-line block ×10, first 2 shown]
	ds_write_b32 v54, v52 offset:22528
	v_cndmask_b32_e64 v11, 0, 1, vcc
	v_cmp_ne_u32_e32 vcc, v2, v3
	s_waitcnt lgkmcnt(0)
	s_barrier
	v_cndmask_b32_e64 v13, 0, 1, vcc
	v_cmp_ne_u32_e32 vcc, v3, v18
	ds_read2_b32 v[16:17], v1 offset1:1
	ds_read2_b32 v[20:21], v1 offset0:2 offset1:3
	ds_read2_b32 v[24:25], v1 offset0:4 offset1:5
	;; [unrolled: 1-line block ×10, first 2 shown]
	ds_read_b32 v3, v1 offset:88
	v_cndmask_b32_e64 v15, 0, 1, vcc
	v_cmp_ne_u32_e32 vcc, v18, v19
	s_waitcnt lgkmcnt(11)
	v_mov_b32_e32 v12, v17
	v_mov_b32_e32 v10, v16
	v_cndmask_b32_e64 v17, 0, 1, vcc
	v_cmp_ne_u32_e32 vcc, v19, v22
	s_waitcnt lgkmcnt(10)
	v_mov_b32_e32 v16, v21
	v_mov_b32_e32 v14, v20
	;; [unrolled: 5-line block ×5, first 2 shown]
	v_cndmask_b32_e64 v25, 0, 1, vcc
	v_cmp_ne_u32_e32 vcc, v27, v30
	s_waitcnt lgkmcnt(6)
	v_mov_b32_e32 v32, v37
	s_waitcnt lgkmcnt(2)
	v_mov_b32_e32 v48, v51
	v_cndmask_b32_e64 v27, 0, 1, vcc
	v_cmp_ne_u32_e32 vcc, v30, v31
	v_mov_b32_e32 v30, v36
	v_mov_b32_e32 v36, v41
	v_cndmask_b32_e64 v29, 0, 1, vcc
	v_cmp_ne_u32_e32 vcc, v31, v34
	s_waitcnt lgkmcnt(1)
	v_mov_b32_e32 v52, v57
	v_cndmask_b32_e64 v31, 0, 1, vcc
	v_cmp_ne_u32_e32 vcc, v34, v35
	v_mov_b32_e32 v34, v40
	v_mov_b32_e32 v40, v45
	v_cndmask_b32_e64 v33, 0, 1, vcc
	v_cmp_ne_u32_e32 vcc, v35, v38
	s_nop 1
	v_cndmask_b32_e64 v35, 0, 1, vcc
	v_cmp_ne_u32_e32 vcc, v38, v39
	v_mov_b32_e32 v38, v44
	v_mov_b32_e32 v44, v47
	v_cndmask_b32_e64 v37, 0, 1, vcc
	v_cmp_ne_u32_e32 vcc, v39, v42
	s_nop 1
	v_cndmask_b32_e64 v39, 0, 1, vcc
	v_cmp_ne_u32_e32 vcc, v42, v43
	v_mov_b32_e32 v42, v46
	v_mov_b32_e32 v46, v50
	v_cndmask_b32_e64 v41, 0, 1, vcc
	v_cmp_ne_u32_e32 vcc, v43, v8
	v_mov_b32_e32 v50, v56
	s_nop 0
	v_cndmask_b32_e64 v43, 0, 1, vcc
	v_cmp_ne_u32_e32 vcc, v8, v9
	s_nop 1
	v_cndmask_b32_e64 v45, 0, 1, vcc
	v_cmp_ne_u32_e32 vcc, v9, v6
	;; [unrolled: 3-line block ×5, first 2 shown]
	s_nop 1
	v_cndmask_b32_e64 v53, 0, 1, vcc
.LBB1223_131:
	v_mov_b64_e32 v[56:57], s[8:9]
	s_and_saveexec_b64 s[6:7], s[10:11]
	s_cbranch_execz .LBB1223_133
; %bb.132:
	v_cndmask_b32_e64 v57, 0, 1, s[4:5]
	s_waitcnt lgkmcnt(0)
	v_mov_b32_e32 v56, v3
.LBB1223_133:
	s_or_b64 exec, exec, s[6:7]
	s_mov_b32 s46, 0
	s_cmp_lg_u32 s2, 0
	v_or_b32_e32 v55, v57, v53
	v_lshrrev_b32_e32 v1, 5, v0
	v_cmp_gt_u32_e32 vcc, 64, v0
	s_waitcnt lgkmcnt(0)
	s_barrier
	s_cbranch_scc0 .LBB1223_168
; %bb.134:
	s_mov_b32 s47, 1
	v_cmp_gt_u64_e64 s[52:53], s[46:47], v[12:13]
	v_cmp_gt_u64_e64 s[4:5], s[46:47], v[14:15]
	v_cmp_gt_u64_e64 s[6:7], s[46:47], v[16:17]
	v_cndmask_b32_e64 v2, 0, v10, s[52:53]
	v_add_u32_e32 v2, v2, v12
	v_cndmask_b32_e64 v2, 0, v2, s[4:5]
	v_add_u32_e32 v2, v2, v14
	v_cndmask_b32_e64 v2, 0, v2, s[6:7]
	v_add_u32_e32 v2, v2, v16
	v_cmp_gt_u64_e64 s[8:9], s[46:47], v[18:19]
	v_cmp_gt_u64_e64 s[10:11], s[46:47], v[20:21]
	v_cmp_gt_u64_e64 s[12:13], s[46:47], v[22:23]
	v_cndmask_b32_e64 v2, 0, v2, s[8:9]
	v_add_u32_e32 v2, v2, v18
	v_cndmask_b32_e64 v2, 0, v2, s[10:11]
	v_add_u32_e32 v2, v2, v20
	v_cndmask_b32_e64 v2, 0, v2, s[12:13]
	v_add_u32_e32 v2, v2, v22
	;; [unrolled: 9-line block ×7, first 2 shown]
	v_cmp_gt_u64_e64 s[46:47], s[46:47], v[56:57]
	s_nop 1
	v_cndmask_b32_e64 v2, 0, v2, s[46:47]
	v_add_u32_e32 v62, v2, v56
	v_or3_b32 v2, v55, v51, v49
	v_or3_b32 v2, v2, v47, v45
	;; [unrolled: 1-line block ×10, first 2 shown]
	v_and_b32_e32 v2, 1, v2
	v_cmp_eq_u32_e64 s[48:49], 1, v2
	v_add_lshl_u32 v2, v1, v0, 3
	s_nop 0
	v_cndmask_b32_e64 v63, v11, 1, s[48:49]
	ds_write_b32 v2, v62
	ds_write_b8 v2, v63 offset:4
	s_waitcnt lgkmcnt(0)
	s_barrier
	s_and_saveexec_b64 s[50:51], vcc
	s_cbranch_execz .LBB1223_146
; %bb.135:
	v_lshrrev_b32_e32 v2, 3, v0
	v_add_lshl_u32 v4, v2, v54, 3
	ds_read2_b32 v[6:7], v4 offset0:2 offset1:4
	ds_read_b64 v[2:3], v4
	ds_read_u8 v8, v4 offset:12
	ds_read_u8 v9, v4 offset:20
	ds_read_b32 v58, v4 offset:24
	ds_read_u8 v59, v4 offset:28
	v_mov_b32_e32 v60, 0
	s_waitcnt lgkmcnt(3)
	v_cmp_eq_u16_sdwa s[48:49], v8, v60 src0_sel:BYTE_0 src1_sel:DWORD
	v_and_b32_e32 v5, 1, v3
	s_nop 0
	v_cndmask_b32_e64 v61, 0, v2, s[48:49]
	v_add_u32_e32 v6, v61, v6
	s_waitcnt lgkmcnt(2)
	v_cmp_eq_u16_sdwa s[48:49], v9, v60 src0_sel:BYTE_0 src1_sel:DWORD
	s_nop 1
	v_cndmask_b32_e64 v6, 0, v6, s[48:49]
	v_add_u32_e32 v6, v6, v7
	s_waitcnt lgkmcnt(0)
	v_cmp_eq_u16_e64 s[48:49], 0, v59
	s_nop 1
	v_cndmask_b32_e64 v6, 0, v6, s[48:49]
	v_add_u32_e32 v7, v6, v58
	v_or_b32_e32 v6, v59, v9
	v_or_b32_e32 v6, v6, v8
	v_and_b32_e32 v6, 1, v6
	v_cmp_eq_u32_e64 s[48:49], 1, v6
	v_mbcnt_lo_u32_b32 v8, -1, 0
	v_and_b32_e32 v6, 0xffffff00, v3
	v_cndmask_b32_e64 v9, v5, 1, s[48:49]
	v_mbcnt_hi_u32_b32 v8, -1, v8
	v_and_b32_e32 v59, 15, v8
	v_or_b32_sdwa v58, v6, v9 dst_sel:DWORD dst_unused:UNUSED_PAD src0_sel:DWORD src1_sel:WORD_0
	v_mov_b32_dpp v60, v7 row_shr:1 row_mask:0xf bank_mask:0xf
	v_cmp_ne_u32_e64 s[48:49], 0, v59
	v_mov_b32_dpp v61, v58 row_shr:1 row_mask:0xf bank_mask:0xf
	s_and_saveexec_b64 s[54:55], s[48:49]
; %bb.136:
	v_and_b32_e32 v58, 1, v9
	v_and_b32_e32 v61, 1, v61
	v_cmp_eq_u32_e64 s[48:49], 1, v58
	s_nop 1
	v_cndmask_b32_e64 v61, v61, 1, s[48:49]
	v_cmp_eq_u16_e64 s[48:49], 0, v9
	v_or_b32_sdwa v58, v6, v61 dst_sel:DWORD dst_unused:UNUSED_PAD src0_sel:DWORD src1_sel:WORD_0
	s_nop 0
	v_cndmask_b32_e64 v9, 0, v60, s[48:49]
	v_add_u32_e32 v7, v9, v7
	v_mov_b32_e32 v9, v61
; %bb.137:
	s_or_b64 exec, exec, s[54:55]
	v_mov_b32_dpp v60, v7 row_shr:2 row_mask:0xf bank_mask:0xf
	v_mov_b32_dpp v61, v58 row_shr:2 row_mask:0xf bank_mask:0xf
	v_cmp_lt_u32_e64 s[48:49], 1, v59
	s_and_saveexec_b64 s[54:55], s[48:49]
; %bb.138:
	v_and_b32_e32 v58, 1, v9
	v_and_b32_e32 v61, 1, v61
	v_cmp_eq_u32_e64 s[48:49], 1, v58
	s_nop 1
	v_cndmask_b32_e64 v61, v61, 1, s[48:49]
	v_cmp_eq_u16_e64 s[48:49], 0, v9
	v_or_b32_sdwa v58, v6, v61 dst_sel:DWORD dst_unused:UNUSED_PAD src0_sel:DWORD src1_sel:WORD_0
	s_nop 0
	v_cndmask_b32_e64 v9, 0, v60, s[48:49]
	v_add_u32_e32 v7, v9, v7
	v_mov_b32_e32 v9, v61
; %bb.139:
	s_or_b64 exec, exec, s[54:55]
	v_mov_b32_dpp v60, v7 row_shr:4 row_mask:0xf bank_mask:0xf
	v_mov_b32_dpp v61, v58 row_shr:4 row_mask:0xf bank_mask:0xf
	v_cmp_lt_u32_e64 s[48:49], 3, v59
	s_and_saveexec_b64 s[54:55], s[48:49]
; %bb.140:
	v_and_b32_e32 v58, 1, v9
	v_and_b32_e32 v61, 1, v61
	v_cmp_eq_u32_e64 s[48:49], 1, v58
	s_nop 1
	v_cndmask_b32_e64 v61, v61, 1, s[48:49]
	v_cmp_eq_u16_e64 s[48:49], 0, v9
	v_or_b32_sdwa v58, v6, v61 dst_sel:DWORD dst_unused:UNUSED_PAD src0_sel:DWORD src1_sel:WORD_0
	s_nop 0
	v_cndmask_b32_e64 v9, 0, v60, s[48:49]
	v_add_u32_e32 v7, v9, v7
	v_mov_b32_e32 v9, v61
; %bb.141:
	s_or_b64 exec, exec, s[54:55]
	v_mov_b32_dpp v60, v7 row_shr:8 row_mask:0xf bank_mask:0xf
	v_mov_b32_dpp v61, v58 row_shr:8 row_mask:0xf bank_mask:0xf
	v_cmp_lt_u32_e64 s[48:49], 7, v59
	s_and_saveexec_b64 s[54:55], s[48:49]
; %bb.142:
	v_and_b32_e32 v58, 1, v9
	v_and_b32_e32 v59, 1, v61
	v_cmp_eq_u32_e64 s[48:49], 1, v58
	s_nop 1
	v_cndmask_b32_e64 v59, v59, 1, s[48:49]
	v_cmp_eq_u16_e64 s[48:49], 0, v9
	v_or_b32_sdwa v58, v6, v59 dst_sel:DWORD dst_unused:UNUSED_PAD src0_sel:DWORD src1_sel:WORD_0
	s_nop 0
	v_cndmask_b32_e64 v9, 0, v60, s[48:49]
	v_add_u32_e32 v7, v9, v7
	v_mov_b32_e32 v9, v59
; %bb.143:
	s_or_b64 exec, exec, s[54:55]
	v_and_b32_e32 v61, 16, v8
	v_mov_b32_dpp v59, v7 row_bcast:15 row_mask:0xf bank_mask:0xf
	v_mov_b32_dpp v60, v58 row_bcast:15 row_mask:0xf bank_mask:0xf
	v_cmp_ne_u32_e64 s[48:49], 0, v61
	s_and_saveexec_b64 s[54:55], s[48:49]
; %bb.144:
	v_and_b32_e32 v58, 1, v9
	v_and_b32_e32 v60, 1, v60
	v_cmp_eq_u32_e64 s[48:49], 1, v58
	s_nop 1
	v_cndmask_b32_e64 v60, v60, 1, s[48:49]
	v_cmp_eq_u16_e64 s[48:49], 0, v9
	v_or_b32_sdwa v58, v6, v60 dst_sel:DWORD dst_unused:UNUSED_PAD src0_sel:DWORD src1_sel:WORD_0
	s_nop 0
	v_cndmask_b32_e64 v9, 0, v59, s[48:49]
	v_add_u32_e32 v7, v9, v7
	v_mov_b32_e32 v9, v60
; %bb.145:
	s_or_b64 exec, exec, s[54:55]
	v_mov_b32_dpp v58, v58 row_bcast:31 row_mask:0xf bank_mask:0xf
	v_and_b32_e32 v60, 1, v9
	v_and_b32_e32 v58, 1, v58
	v_cmp_eq_u32_e64 s[48:49], 1, v60
	v_mov_b32_e32 v60, 0
	v_cmp_eq_u16_sdwa s[54:55], v9, v60 src0_sel:BYTE_0 src1_sel:DWORD
	v_cndmask_b32_e64 v58, v58, 1, s[48:49]
	v_cmp_lt_u32_e64 s[48:49], 31, v8
	v_mov_b32_dpp v59, v7 row_bcast:31 row_mask:0xf bank_mask:0xf
	s_movk_i32 s3, 0xff
	v_cndmask_b32_e64 v9, v9, v58, s[48:49]
	s_and_b64 s[48:49], s[48:49], s[54:55]
	v_cndmask_b32_e64 v58, 0, v59, s[48:49]
	v_add_u32_e32 v7, v58, v7
	v_add_u32_e32 v58, -1, v8
	v_and_b32_e32 v59, 64, v8
	v_cmp_lt_i32_e64 s[48:49], v58, v59
	v_and_or_b32 v6, v9, s3, v6
	s_nop 0
	v_cndmask_b32_e64 v8, v58, v8, s[48:49]
	v_lshlrev_b32_e32 v8, 2, v8
	ds_bpermute_b32 v7, v8, v7
	ds_bpermute_b32 v6, v8, v6
	v_cmp_eq_u16_sdwa s[48:49], v3, v60 src0_sel:BYTE_0 src1_sel:DWORD
	; wave barrier
	s_waitcnt lgkmcnt(1)
	s_nop 0
	v_cndmask_b32_e64 v3, 0, v7, s[48:49]
	v_add_u32_e32 v2, v3, v2
	s_waitcnt lgkmcnt(0)
	v_and_b32_e32 v3, 1, v6
	v_cmp_eq_u32_e64 s[48:49], 1, v5
	s_nop 1
	v_cndmask_b32_e64 v3, v3, 1, s[48:49]
	v_cmp_eq_u32_e64 s[48:49], 0, v0
	s_nop 1
	v_cndmask_b32_e64 v5, v2, v62, s[48:49]
	v_cndmask_b32_e64 v6, v3, v63, s[48:49]
	ds_write_b32 v4, v5
	ds_write_b8 v4, v6 offset:4
	; wave barrier
	ds_read_u8 v7, v4 offset:12
	ds_read2_b32 v[2:3], v4 offset0:2 offset1:4
	ds_read_u8 v8, v4 offset:20
	ds_read_b32 v9, v4 offset:24
	ds_read_u8 v58, v4 offset:28
	s_waitcnt lgkmcnt(4)
	v_cmp_eq_u16_e64 s[48:49], 0, v7
	s_nop 1
	v_cndmask_b32_e64 v5, 0, v5, s[48:49]
	s_waitcnt lgkmcnt(3)
	v_add_u32_e32 v2, v5, v2
	v_and_b32_e32 v5, 1, v7
	v_cmp_eq_u32_e64 s[48:49], 1, v5
	s_nop 1
	v_cndmask_b32_e64 v5, v6, 1, s[48:49]
	s_waitcnt lgkmcnt(2)
	v_cmp_eq_u16_e64 s[48:49], 0, v8
	ds_write_b8 v4, v5 offset:12
	s_nop 0
	v_cndmask_b32_e64 v6, 0, v2, s[48:49]
	v_add_u32_e32 v3, v6, v3
	v_and_b32_e32 v6, 1, v8
	v_cmp_eq_u32_e64 s[48:49], 1, v6
	s_nop 1
	v_cndmask_b32_e64 v5, v5, 1, s[48:49]
	s_waitcnt lgkmcnt(1)
	v_cmp_eq_u16_e64 s[48:49], 0, v58
	ds_write2_b32 v4, v2, v3 offset0:2 offset1:4
	ds_write_b8 v4, v5 offset:20
	v_cndmask_b32_e64 v2, 0, v3, s[48:49]
	v_and_b32_e32 v3, 1, v58
	v_add_u32_e32 v2, v2, v9
	v_cmp_eq_u32_e64 s[48:49], 1, v3
	s_nop 1
	v_cndmask_b32_e64 v3, v5, 1, s[48:49]
	ds_write_b32 v4, v2 offset:24
	ds_write_b8 v4, v3 offset:28
.LBB1223_146:
	s_or_b64 exec, exec, s[50:51]
	v_cmp_eq_u32_e64 s[48:49], 0, v0
	v_cmp_ne_u32_e64 s[50:51], 0, v0
	s_waitcnt lgkmcnt(0)
	s_barrier
	s_and_saveexec_b64 s[54:55], s[50:51]
	s_cbranch_execz .LBB1223_148
; %bb.147:
	v_add_u32_e32 v2, -1, v0
	v_lshrrev_b32_e32 v3, 5, v2
	v_add_lshl_u32 v2, v3, v2, 3
	ds_read_b32 v62, v2
	ds_read_u8 v63, v2 offset:4
.LBB1223_148:
	s_or_b64 exec, exec, s[54:55]
	s_and_saveexec_b64 s[60:61], vcc
	s_cbranch_execz .LBB1223_167
; %bb.149:
	v_mov_b32_e32 v5, 0
	ds_read_b64 v[2:3], v5 offset:2096
	v_mbcnt_lo_u32_b32 v4, -1, 0
	v_mbcnt_hi_u32_b32 v73, -1, v4
	s_mov_b32 s65, 0
	v_cmp_eq_u32_e64 s[50:51], 0, v73
	s_waitcnt lgkmcnt(0)
	v_readfirstlane_b32 s3, v3
	s_and_saveexec_b64 s[54:55], s[50:51]
	s_cbranch_execz .LBB1223_151
; %bb.150:
	s_add_i32 s64, s2, 64
	s_lshl_b64 s[66:67], s[64:65], 4
	s_add_u32 s66, s68, s66
	s_addc_u32 s67, s69, s67
	s_and_b32 s77, s3, 0xff000000
	s_mov_b32 s76, s65
	s_and_b32 s79, s3, 0xff0000
	s_mov_b32 s78, s65
	s_or_b64 s[76:77], s[78:79], s[76:77]
	s_and_b32 s79, s3, 0xff00
	s_or_b64 s[76:77], s[76:77], s[78:79]
	s_and_b32 s79, s3, 0xff
	s_or_b64 s[64:65], s[76:77], s[78:79]
	v_mov_b32_e32 v3, s65
	v_mov_b32_e32 v4, 1
	v_mov_b64_e32 v[6:7], s[66:67]
	;;#ASMSTART
	global_store_dwordx4 v[6:7], v[2:5] off sc1	
s_waitcnt vmcnt(0)
	;;#ASMEND
.LBB1223_151:
	s_or_b64 exec, exec, s[54:55]
	v_xad_u32 v58, v73, -1, s2
	v_add_u32_e32 v4, 64, v58
	v_lshl_add_u64 v[60:61], v[4:5], 4, s[68:69]
	;;#ASMSTART
	global_load_dwordx4 v[6:9], v[60:61] off sc1	
s_waitcnt vmcnt(0)
	;;#ASMEND
	s_nop 0
	v_and_b32_e32 v3, 0xff0000, v6
	v_and_b32_e32 v4, 0xff000000, v6
	;; [unrolled: 1-line block ×3, first 2 shown]
	v_or_b32_sdwa v3, v6, v3 dst_sel:DWORD dst_unused:UNUSED_PAD src0_sel:WORD_0 src1_sel:DWORD
	v_or3_b32 v7, 0, 0, v7
	v_or3_b32 v6, v3, v4, 0
	v_cmp_eq_u16_sdwa s[64:65], v8, v5 src0_sel:BYTE_0 src1_sel:DWORD
	s_and_saveexec_b64 s[54:55], s[64:65]
	s_cbranch_execz .LBB1223_155
; %bb.152:
	s_mov_b64 s[64:65], 0
	v_mov_b32_e32 v3, 0
.LBB1223_153:                           ; =>This Inner Loop Header: Depth=1
	;;#ASMSTART
	global_load_dwordx4 v[6:9], v[60:61] off sc1	
s_waitcnt vmcnt(0)
	;;#ASMEND
	s_nop 0
	v_cmp_ne_u16_sdwa s[66:67], v8, v3 src0_sel:BYTE_0 src1_sel:DWORD
	s_or_b64 s[64:65], s[66:67], s[64:65]
	s_andn2_b64 exec, exec, s[64:65]
	s_cbranch_execnz .LBB1223_153
; %bb.154:
	s_or_b64 exec, exec, s[64:65]
	v_and_b32_e32 v7, 0xff, v7
.LBB1223_155:
	s_or_b64 exec, exec, s[54:55]
	v_mov_b32_e32 v3, 2
	v_cmp_eq_u16_sdwa s[54:55], v8, v3 src0_sel:BYTE_0 src1_sel:DWORD
	v_lshlrev_b64 v[4:5], v73, -1
	v_and_b32_e32 v64, 63, v73
	v_and_b32_e32 v9, s55, v5
	v_or_b32_e32 v9, 0x80000000, v9
	v_and_b32_e32 v59, s54, v4
	v_ffbl_b32_e32 v9, v9
	v_add_u32_e32 v9, 32, v9
	v_ffbl_b32_e32 v59, v59
	v_cmp_ne_u32_e32 vcc, 63, v64
	v_min_u32_e32 v9, v59, v9
	s_mov_b32 s64, 0
	v_addc_co_u32_e32 v59, vcc, 0, v73, vcc
	v_lshlrev_b32_e32 v65, 2, v59
	ds_bpermute_b32 v59, v65, v7
	ds_bpermute_b32 v60, v65, v6
	v_and_b32_e32 v61, 1, v7
	s_mov_b32 s65, 1
	v_cmp_eq_u32_e32 vcc, 1, v61
	s_waitcnt lgkmcnt(1)
	v_and_b32_e32 v59, 1, v59
	v_cmp_lt_u32_e64 s[54:55], v64, v9
	v_cndmask_b32_e64 v59, v59, 1, vcc
	v_cmp_gt_u64_e32 vcc, s[64:65], v[6:7]
	s_and_b64 vcc, s[54:55], vcc
	v_and_b32_e32 v61, 0xffff, v59
	v_cndmask_b32_e64 v68, v7, v59, s[54:55]
	s_waitcnt lgkmcnt(0)
	v_cndmask_b32_e32 v59, 0, v60, vcc
	v_cmp_gt_u32_e32 vcc, 62, v64
	v_cndmask_b32_e64 v7, v7, v61, s[54:55]
	v_add_u32_e32 v6, v59, v6
	v_cndmask_b32_e64 v60, 0, 1, vcc
	v_lshlrev_b32_e32 v60, 1, v60
	v_add_lshl_u32 v66, v60, v73, 2
	ds_bpermute_b32 v60, v66, v7
	ds_bpermute_b32 v61, v66, v6
	v_and_b32_e32 v59, 1, v68
	v_cmp_eq_u32_e32 vcc, 1, v59
	v_mov_b32_e32 v59, 0
	s_waitcnt lgkmcnt(1)
	v_and_b32_e32 v60, 1, v60
	v_add_u32_e32 v67, 2, v64
	v_cndmask_b32_e64 v60, v60, 1, vcc
	v_cmp_eq_u16_sdwa vcc, v68, v59 src0_sel:BYTE_0 src1_sel:DWORD
	v_and_b32_e32 v69, 0xffff, v60
	v_add_u32_e32 v77, 32, v64
	s_waitcnt lgkmcnt(0)
	v_cndmask_b32_e32 v61, 0, v61, vcc
	v_cmp_gt_u32_e32 vcc, v67, v9
	s_nop 1
	v_cndmask_b32_e32 v60, v60, v68, vcc
	v_cndmask_b32_e64 v61, v61, 0, vcc
	v_cndmask_b32_e32 v7, v69, v7, vcc
	v_cmp_gt_u32_e32 vcc, 60, v64
	v_add_u32_e32 v6, v61, v6
	v_and_b32_e32 v71, 1, v60
	v_cndmask_b32_e64 v68, 0, 1, vcc
	v_lshlrev_b32_e32 v68, 2, v68
	v_add_lshl_u32 v68, v68, v73, 2
	ds_bpermute_b32 v70, v68, v7
	ds_bpermute_b32 v61, v68, v6
	v_cmp_eq_u32_e32 vcc, 1, v71
	v_add_u32_e32 v69, 4, v64
	s_waitcnt lgkmcnt(1)
	v_and_b32_e32 v70, 1, v70
	v_cndmask_b32_e64 v70, v70, 1, vcc
	v_cmp_eq_u16_sdwa vcc, v60, v59 src0_sel:BYTE_0 src1_sel:DWORD
	v_and_b32_e32 v71, 0xffff, v70
	s_waitcnt lgkmcnt(0)
	v_cndmask_b32_e32 v61, 0, v61, vcc
	v_cmp_gt_u32_e32 vcc, v69, v9
	s_nop 1
	v_cndmask_b32_e32 v60, v70, v60, vcc
	v_cndmask_b32_e64 v61, v61, 0, vcc
	v_cndmask_b32_e32 v7, v71, v7, vcc
	v_cmp_gt_u32_e32 vcc, 56, v64
	v_add_u32_e32 v6, v61, v6
	v_and_b32_e32 v74, 1, v60
	v_cndmask_b32_e64 v70, 0, 1, vcc
	v_lshlrev_b32_e32 v70, 3, v70
	v_add_lshl_u32 v70, v70, v73, 2
	ds_bpermute_b32 v72, v70, v7
	ds_bpermute_b32 v61, v70, v6
	v_cmp_eq_u32_e32 vcc, 1, v74
	v_add_u32_e32 v71, 8, v64
	s_waitcnt lgkmcnt(1)
	v_and_b32_e32 v72, 1, v72
	v_cndmask_b32_e64 v72, v72, 1, vcc
	v_cmp_eq_u16_sdwa vcc, v60, v59 src0_sel:BYTE_0 src1_sel:DWORD
	v_and_b32_e32 v74, 0xffff, v72
	;; [unrolled: 22-line block ×3, first 2 shown]
	s_waitcnt lgkmcnt(0)
	v_cndmask_b32_e32 v61, 0, v61, vcc
	v_cmp_gt_u32_e32 vcc, v74, v9
	s_nop 1
	v_cndmask_b32_e32 v60, v75, v60, vcc
	v_cndmask_b32_e64 v61, v61, 0, vcc
	v_cndmask_b32_e32 v7, v76, v7, vcc
	v_cmp_gt_u32_e32 vcc, 32, v64
	v_add_u32_e32 v6, v61, v6
	s_nop 0
	v_cndmask_b32_e64 v75, 0, 1, vcc
	v_lshlrev_b32_e32 v75, 5, v75
	v_add_lshl_u32 v76, v75, v73, 2
	ds_bpermute_b32 v7, v76, v7
	ds_bpermute_b32 v61, v76, v6
	v_and_b32_e32 v73, 1, v60
	v_cmp_eq_u32_e32 vcc, 1, v73
	s_waitcnt lgkmcnt(1)
	v_and_b32_e32 v7, 1, v7
	v_cndmask_b32_e64 v7, v7, 1, vcc
	v_cmp_eq_u16_sdwa vcc, v60, v59 src0_sel:BYTE_0 src1_sel:DWORD
	s_waitcnt lgkmcnt(0)
	s_nop 0
	v_cndmask_b32_e32 v61, 0, v61, vcc
	v_cmp_gt_u32_e32 vcc, v77, v9
	s_nop 1
	v_cndmask_b32_e64 v9, v61, 0, vcc
	v_cndmask_b32_e32 v7, v7, v60, vcc
	v_add_u32_e32 v6, v9, v6
	s_branch .LBB1223_157
.LBB1223_156:                           ;   in Loop: Header=BB1223_157 Depth=1
	s_or_b64 exec, exec, s[54:55]
	v_cmp_eq_u16_sdwa s[54:55], v8, v3 src0_sel:BYTE_0 src1_sel:DWORD
	ds_bpermute_b32 v61, v65, v7
	v_and_b32_e32 v78, 1, v7
	v_and_b32_e32 v9, s55, v5
	v_or_b32_e32 v9, 0x80000000, v9
	v_and_b32_e32 v60, s54, v4
	v_ffbl_b32_e32 v9, v9
	v_add_u32_e32 v9, 32, v9
	v_ffbl_b32_e32 v60, v60
	v_min_u32_e32 v9, v60, v9
	ds_bpermute_b32 v60, v65, v6
	s_waitcnt lgkmcnt(1)
	v_and_b32_e32 v61, 1, v61
	v_cmp_eq_u32_e32 vcc, 1, v78
	v_cmp_lt_u32_e64 s[54:55], v64, v9
	v_subrev_u32_e32 v58, 64, v58
	v_cndmask_b32_e64 v61, v61, 1, vcc
	v_cmp_gt_u64_e32 vcc, s[64:65], v[6:7]
	v_and_b32_e32 v78, 0xffff, v61
	v_cndmask_b32_e64 v61, v7, v61, s[54:55]
	v_cndmask_b32_e64 v7, v7, v78, s[54:55]
	s_and_b64 vcc, s[54:55], vcc
	ds_bpermute_b32 v78, v66, v7
	s_waitcnt lgkmcnt(1)
	v_cndmask_b32_e32 v60, 0, v60, vcc
	v_add_u32_e32 v6, v60, v6
	ds_bpermute_b32 v60, v66, v6
	v_and_b32_e32 v79, 1, v61
	s_waitcnt lgkmcnt(1)
	v_and_b32_e32 v78, 1, v78
	v_cmp_eq_u32_e32 vcc, 1, v79
	s_nop 1
	v_cndmask_b32_e64 v78, v78, 1, vcc
	v_cmp_eq_u16_sdwa vcc, v61, v59 src0_sel:BYTE_0 src1_sel:DWORD
	v_and_b32_e32 v79, 0xffff, v78
	s_waitcnt lgkmcnt(0)
	v_cndmask_b32_e32 v60, 0, v60, vcc
	v_cmp_gt_u32_e32 vcc, v67, v9
	s_nop 1
	v_cndmask_b32_e32 v7, v79, v7, vcc
	v_cndmask_b32_e32 v61, v78, v61, vcc
	ds_bpermute_b32 v78, v68, v7
	v_cndmask_b32_e64 v60, v60, 0, vcc
	v_add_u32_e32 v6, v60, v6
	ds_bpermute_b32 v60, v68, v6
	v_and_b32_e32 v79, 1, v61
	s_waitcnt lgkmcnt(1)
	v_and_b32_e32 v78, 1, v78
	v_cmp_eq_u32_e32 vcc, 1, v79
	s_nop 1
	v_cndmask_b32_e64 v78, v78, 1, vcc
	v_cmp_eq_u16_sdwa vcc, v61, v59 src0_sel:BYTE_0 src1_sel:DWORD
	v_and_b32_e32 v79, 0xffff, v78
	s_waitcnt lgkmcnt(0)
	v_cndmask_b32_e32 v60, 0, v60, vcc
	v_cmp_gt_u32_e32 vcc, v69, v9
	s_nop 1
	v_cndmask_b32_e32 v7, v79, v7, vcc
	v_cndmask_b32_e32 v61, v78, v61, vcc
	ds_bpermute_b32 v78, v70, v7
	v_cndmask_b32_e64 v60, v60, 0, vcc
	;; [unrolled: 18-line block ×3, first 2 shown]
	v_add_u32_e32 v6, v60, v6
	ds_bpermute_b32 v60, v72, v6
	v_and_b32_e32 v79, 1, v61
	s_waitcnt lgkmcnt(1)
	v_and_b32_e32 v78, 1, v78
	v_cmp_eq_u32_e32 vcc, 1, v79
	s_nop 1
	v_cndmask_b32_e64 v78, v78, 1, vcc
	v_cmp_eq_u16_sdwa vcc, v61, v59 src0_sel:BYTE_0 src1_sel:DWORD
	v_and_b32_e32 v79, 0xffff, v78
	s_waitcnt lgkmcnt(0)
	v_cndmask_b32_e32 v60, 0, v60, vcc
	v_cmp_gt_u32_e32 vcc, v74, v9
	s_nop 1
	v_cndmask_b32_e64 v60, v60, 0, vcc
	v_cndmask_b32_e32 v7, v79, v7, vcc
	ds_bpermute_b32 v7, v76, v7
	v_add_u32_e32 v6, v60, v6
	ds_bpermute_b32 v60, v76, v6
	v_cndmask_b32_e32 v61, v78, v61, vcc
	v_and_b32_e32 v78, 1, v61
	v_cmp_eq_u32_e32 vcc, 1, v78
	s_waitcnt lgkmcnt(1)
	s_nop 0
	v_cndmask_b32_e64 v7, v7, 1, vcc
	v_cmp_eq_u16_sdwa vcc, v61, v59 src0_sel:BYTE_0 src1_sel:DWORD
	s_waitcnt lgkmcnt(0)
	s_nop 0
	v_cndmask_b32_e32 v60, 0, v60, vcc
	v_cmp_gt_u32_e32 vcc, v77, v9
	s_nop 1
	v_cndmask_b32_e64 v9, v60, 0, vcc
	v_cndmask_b32_e32 v7, v7, v61, vcc
	v_add_u32_e32 v6, v9, v6
	v_cmp_eq_u16_sdwa vcc, v73, v59 src0_sel:BYTE_0 src1_sel:DWORD
	v_and_b32_e32 v9, 1, v73
	v_and_b32_e32 v7, 1, v7
	v_cndmask_b32_e32 v6, 0, v6, vcc
	v_cmp_eq_u32_e32 vcc, 1, v9
	v_add_u32_e32 v6, v6, v75
	s_nop 0
	v_cndmask_b32_e64 v7, v7, 1, vcc
.LBB1223_157:                           ; =>This Loop Header: Depth=1
                                        ;     Child Loop BB1223_160 Depth 2
	v_cmp_ne_u16_sdwa s[54:55], v8, v3 src0_sel:BYTE_0 src1_sel:DWORD
	v_mov_b32_e32 v73, v7
	v_mov_b32_e32 v75, v6
	v_cndmask_b32_e64 v7, 0, 1, s[54:55]
	;;#ASMSTART
	;;#ASMEND
	s_nop 0
	v_cmp_ne_u32_e32 vcc, 0, v7
	s_cmp_lg_u64 vcc, exec
	s_cbranch_scc1 .LBB1223_162
; %bb.158:                              ;   in Loop: Header=BB1223_157 Depth=1
	v_lshl_add_u64 v[60:61], v[58:59], 4, s[68:69]
	;;#ASMSTART
	global_load_dwordx4 v[6:9], v[60:61] off sc1	
s_waitcnt vmcnt(0)
	;;#ASMEND
	s_nop 0
	v_and_b32_e32 v9, 0xff0000, v6
	v_and_b32_e32 v78, 0xff000000, v6
	;; [unrolled: 1-line block ×3, first 2 shown]
	v_or_b32_sdwa v6, v6, v9 dst_sel:DWORD dst_unused:UNUSED_PAD src0_sel:WORD_0 src1_sel:DWORD
	v_or3_b32 v7, 0, 0, v7
	v_or3_b32 v6, v6, v78, 0
	v_cmp_eq_u16_sdwa s[66:67], v8, v59 src0_sel:BYTE_0 src1_sel:DWORD
	s_and_saveexec_b64 s[54:55], s[66:67]
	s_cbranch_execz .LBB1223_156
; %bb.159:                              ;   in Loop: Header=BB1223_157 Depth=1
	s_mov_b64 s[66:67], 0
.LBB1223_160:                           ;   Parent Loop BB1223_157 Depth=1
                                        ; =>  This Inner Loop Header: Depth=2
	;;#ASMSTART
	global_load_dwordx4 v[6:9], v[60:61] off sc1	
s_waitcnt vmcnt(0)
	;;#ASMEND
	s_nop 0
	v_cmp_ne_u16_sdwa s[76:77], v8, v59 src0_sel:BYTE_0 src1_sel:DWORD
	s_or_b64 s[66:67], s[76:77], s[66:67]
	s_andn2_b64 exec, exec, s[66:67]
	s_cbranch_execnz .LBB1223_160
; %bb.161:                              ;   in Loop: Header=BB1223_157 Depth=1
	s_or_b64 exec, exec, s[66:67]
	v_and_b32_e32 v7, 0xff, v7
	s_branch .LBB1223_156
.LBB1223_162:                           ;   in Loop: Header=BB1223_157 Depth=1
                                        ; implicit-def: $vgpr7
                                        ; implicit-def: $vgpr6
                                        ; implicit-def: $vgpr8
	s_cbranch_execz .LBB1223_157
; %bb.163:
	s_and_saveexec_b64 s[54:55], s[50:51]
	s_cbranch_execz .LBB1223_165
; %bb.164:
	s_and_b32 s50, s3, 0xff
	s_cmp_eq_u32 s50, 0
	s_cselect_b64 vcc, -1, 0
	s_bitcmp1_b32 s3, 0
	s_mov_b32 s51, 0
	s_cselect_b64 s[64:65], -1, 0
	s_add_i32 s50, s2, 64
	s_lshl_b64 s[2:3], s[50:51], 4
	v_cndmask_b32_e32 v3, 0, v75, vcc
	s_add_u32 s2, s68, s2
	v_add_u32_e32 v2, v3, v2
	v_and_b32_e32 v3, 1, v73
	s_addc_u32 s3, s69, s3
	v_mov_b32_e32 v5, 0
	v_cndmask_b32_e64 v3, v3, 1, s[64:65]
	v_mov_b32_e32 v4, 2
	v_mov_b64_e32 v[6:7], s[2:3]
	;;#ASMSTART
	global_store_dwordx4 v[6:7], v[2:5] off sc1	
s_waitcnt vmcnt(0)
	;;#ASMEND
.LBB1223_165:
	s_or_b64 exec, exec, s[54:55]
	s_and_b64 exec, exec, s[48:49]
	s_cbranch_execz .LBB1223_167
; %bb.166:
	v_mov_b32_e32 v2, 0
	ds_write_b32 v2, v75
	ds_write_b8 v2, v73 offset:4
.LBB1223_167:
	s_or_b64 exec, exec, s[60:61]
	s_mov_b32 s2, 0
	v_mov_b32_e32 v2, 0
	s_mov_b32 s3, 1
	s_waitcnt lgkmcnt(0)
	s_barrier
	ds_read_b32 v3, v2
	v_cmp_gt_u64_e32 vcc, s[2:3], v[10:11]
	v_and_b32_e32 v5, 1, v11
	v_and_b32_e32 v6, 1, v63
	v_cndmask_b32_e32 v4, 0, v62, vcc
	v_cmp_eq_u32_e32 vcc, 1, v5
	v_cndmask_b32_e64 v4, v4, 0, s[48:49]
	s_nop 0
	v_cndmask_b32_e64 v5, v6, 1, vcc
	v_cndmask_b32_e64 v5, v5, v11, s[48:49]
	v_cmp_eq_u16_sdwa vcc, v5, v2 src0_sel:BYTE_0 src1_sel:DWORD
	s_waitcnt lgkmcnt(0)
	s_nop 0
	v_cndmask_b32_e32 v2, 0, v3, vcc
	v_add3_u32 v80, v4, v10, v2
	v_cndmask_b32_e64 v2, 0, v80, s[52:53]
	v_add_u32_e32 v58, v2, v12
	v_cndmask_b32_e64 v2, 0, v58, s[4:5]
	v_add_u32_e32 v59, v2, v14
	;; [unrolled: 2-line block ×22, first 2 shown]
	s_branch .LBB1223_188
.LBB1223_168:
                                        ; implicit-def: $vgpr78
                                        ; implicit-def: $vgpr77
                                        ; implicit-def: $vgpr76
                                        ; implicit-def: $vgpr75
                                        ; implicit-def: $vgpr74
                                        ; implicit-def: $vgpr73
                                        ; implicit-def: $vgpr72
                                        ; implicit-def: $vgpr71
                                        ; implicit-def: $vgpr70
                                        ; implicit-def: $vgpr69
                                        ; implicit-def: $vgpr68
                                        ; implicit-def: $vgpr67
                                        ; implicit-def: $vgpr66
                                        ; implicit-def: $vgpr65
                                        ; implicit-def: $vgpr64
                                        ; implicit-def: $vgpr63
                                        ; implicit-def: $vgpr62
                                        ; implicit-def: $vgpr61
                                        ; implicit-def: $vgpr60
                                        ; implicit-def: $vgpr59
                                        ; implicit-def: $vgpr58
                                        ; implicit-def: $vgpr80
                                        ; implicit-def: $vgpr79
	s_cbranch_execz .LBB1223_188
; %bb.169:
	s_cmp_lg_u64 s[74:75], 0
	s_cselect_b32 s5, s63, 0
	s_cselect_b32 s4, s62, 0
	s_cmp_lg_u64 s[4:5], 0
	s_cselect_b64 s[6:7], -1, 0
	v_cmp_eq_u32_e32 vcc, 0, v0
	s_mov_b32 s48, 0
	v_cmp_ne_u32_e64 s[2:3], 0, v0
	s_and_b64 s[8:9], vcc, s[6:7]
	s_and_saveexec_b64 s[6:7], s[8:9]
	s_cbranch_execz .LBB1223_171
; %bb.170:
	v_mov_b32_e32 v2, 0
	global_load_dword v4, v2, s[4:5]
	global_load_ubyte v5, v2, s[4:5] offset:4
	s_mov_b32 s49, 1
	v_and_b32_e32 v3, 1, v11
	v_cmp_gt_u64_e64 s[4:5], s[48:49], v[10:11]
	s_waitcnt vmcnt(0)
	v_and_b32_e32 v5, 1, v5
	v_cndmask_b32_e64 v4, 0, v4, s[4:5]
	v_cmp_eq_u64_e64 s[4:5], 0, v[2:3]
	v_add_u32_e32 v10, v4, v10
	s_nop 0
	v_cndmask_b32_e64 v11, 1, v5, s[4:5]
.LBB1223_171:
	s_or_b64 exec, exec, s[6:7]
	s_mov_b32 s49, 1
	v_cmp_gt_u64_e64 s[4:5], s[48:49], v[12:13]
	v_cmp_gt_u64_e64 s[6:7], s[48:49], v[14:15]
	v_cmp_gt_u64_e64 s[8:9], s[48:49], v[16:17]
	v_cndmask_b32_e64 v2, 0, v10, s[4:5]
	v_add_u32_e32 v58, v2, v12
	v_cndmask_b32_e64 v2, 0, v58, s[6:7]
	v_add_u32_e32 v59, v2, v14
	v_cndmask_b32_e64 v2, 0, v59, s[8:9]
	v_add_u32_e32 v60, v2, v16
	v_cmp_gt_u64_e64 s[10:11], s[48:49], v[18:19]
	v_cmp_gt_u64_e64 s[12:13], s[48:49], v[20:21]
	v_cmp_gt_u64_e64 s[14:15], s[48:49], v[22:23]
	v_cndmask_b32_e64 v2, 0, v60, s[10:11]
	v_add_u32_e32 v61, v2, v18
	v_cndmask_b32_e64 v2, 0, v61, s[12:13]
	v_add_u32_e32 v62, v2, v20
	v_cndmask_b32_e64 v2, 0, v62, s[14:15]
	v_add_u32_e32 v63, v2, v22
	v_cmp_gt_u64_e64 s[16:17], s[48:49], v[24:25]
	v_cmp_gt_u64_e64 s[18:19], s[48:49], v[26:27]
	v_cmp_gt_u64_e64 s[20:21], s[48:49], v[28:29]
	v_cndmask_b32_e64 v2, 0, v63, s[16:17]
	v_add_u32_e32 v64, v2, v24
	v_cndmask_b32_e64 v2, 0, v64, s[18:19]
	v_add_u32_e32 v65, v2, v26
	v_cndmask_b32_e64 v2, 0, v65, s[20:21]
	v_add_u32_e32 v66, v2, v28
	v_cmp_gt_u64_e64 s[22:23], s[48:49], v[30:31]
	v_cmp_gt_u64_e64 s[24:25], s[48:49], v[32:33]
	v_cmp_gt_u64_e64 s[26:27], s[48:49], v[34:35]
	v_cndmask_b32_e64 v2, 0, v66, s[22:23]
	v_add_u32_e32 v67, v2, v30
	v_cndmask_b32_e64 v2, 0, v67, s[24:25]
	v_add_u32_e32 v68, v2, v32
	v_cndmask_b32_e64 v2, 0, v68, s[26:27]
	v_add_u32_e32 v69, v2, v34
	v_cmp_gt_u64_e64 s[28:29], s[48:49], v[36:37]
	v_cmp_gt_u64_e64 s[30:31], s[48:49], v[38:39]
	v_cmp_gt_u64_e64 s[34:35], s[48:49], v[40:41]
	v_cndmask_b32_e64 v2, 0, v69, s[28:29]
	v_add_u32_e32 v70, v2, v36
	v_cndmask_b32_e64 v2, 0, v70, s[30:31]
	v_add_u32_e32 v71, v2, v38
	v_cndmask_b32_e64 v2, 0, v71, s[34:35]
	v_add_u32_e32 v72, v2, v40
	v_cmp_gt_u64_e64 s[36:37], s[48:49], v[42:43]
	v_cmp_gt_u64_e64 s[38:39], s[48:49], v[44:45]
	v_cmp_gt_u64_e64 s[40:41], s[48:49], v[46:47]
	v_cndmask_b32_e64 v2, 0, v72, s[36:37]
	v_add_u32_e32 v73, v2, v42
	v_cndmask_b32_e64 v2, 0, v73, s[38:39]
	v_add_u32_e32 v74, v2, v44
	v_cndmask_b32_e64 v2, 0, v74, s[40:41]
	v_add_u32_e32 v75, v2, v46
	v_cmp_gt_u64_e64 s[42:43], s[48:49], v[48:49]
	v_cmp_gt_u64_e64 s[44:45], s[48:49], v[50:51]
	v_cmp_gt_u64_e64 s[46:47], s[48:49], v[52:53]
	v_cndmask_b32_e64 v2, 0, v75, s[42:43]
	v_add_u32_e32 v76, v2, v48
	v_cndmask_b32_e64 v2, 0, v76, s[44:45]
	v_add_u32_e32 v77, v2, v50
	v_cndmask_b32_e64 v2, 0, v77, s[46:47]
	v_add_u32_e32 v78, v2, v52
	v_cmp_gt_u64_e64 s[48:49], s[48:49], v[56:57]
	v_add_lshl_u32 v1, v1, v0, 3
	s_nop 0
	v_cndmask_b32_e64 v2, 0, v78, s[48:49]
	v_add_u32_e32 v79, v2, v56
	v_or3_b32 v2, v55, v51, v49
	v_or3_b32 v2, v2, v47, v45
	;; [unrolled: 1-line block ×10, first 2 shown]
	v_and_b32_e32 v2, 1, v2
	v_cmp_eq_u32_e64 s[50:51], 1, v2
	s_nop 1
	v_cndmask_b32_e64 v4, v11, 1, s[50:51]
	v_cmp_gt_u32_e64 s[50:51], 64, v0
	ds_write_b32 v1, v79
	ds_write_b8 v1, v4 offset:4
	s_waitcnt lgkmcnt(0)
	s_barrier
	s_and_saveexec_b64 s[52:53], s[50:51]
	s_cbranch_execz .LBB1223_183
; %bb.172:
	v_lshrrev_b32_e32 v1, 3, v0
	v_add_lshl_u32 v1, v1, v54, 3
	ds_read2_b32 v[6:7], v1 offset0:2 offset1:4
	ds_read_b64 v[2:3], v1
	ds_read_u8 v8, v1 offset:12
	ds_read_u8 v9, v1 offset:20
	ds_read_b32 v13, v1 offset:24
	ds_read_u8 v15, v1 offset:28
	v_mov_b32_e32 v17, 0
	s_waitcnt lgkmcnt(3)
	v_cmp_eq_u16_sdwa s[50:51], v8, v17 src0_sel:BYTE_0 src1_sel:DWORD
	v_and_b32_e32 v5, 1, v3
	s_nop 0
	v_cndmask_b32_e64 v19, 0, v2, s[50:51]
	v_add_u32_e32 v6, v19, v6
	s_waitcnt lgkmcnt(2)
	v_cmp_eq_u16_sdwa s[50:51], v9, v17 src0_sel:BYTE_0 src1_sel:DWORD
	s_nop 1
	v_cndmask_b32_e64 v6, 0, v6, s[50:51]
	v_add_u32_e32 v6, v6, v7
	s_waitcnt lgkmcnt(0)
	v_cmp_eq_u16_e64 s[50:51], 0, v15
	s_nop 1
	v_cndmask_b32_e64 v6, 0, v6, s[50:51]
	v_add_u32_e32 v7, v6, v13
	v_or_b32_e32 v6, v15, v9
	v_or_b32_e32 v6, v6, v8
	v_and_b32_e32 v6, 1, v6
	v_cmp_eq_u32_e64 s[50:51], 1, v6
	v_mbcnt_lo_u32_b32 v8, -1, 0
	v_and_b32_e32 v6, 0xffffff00, v3
	v_cndmask_b32_e64 v9, v5, 1, s[50:51]
	v_mbcnt_hi_u32_b32 v8, -1, v8
	v_and_b32_e32 v15, 15, v8
	v_or_b32_sdwa v13, v6, v9 dst_sel:DWORD dst_unused:UNUSED_PAD src0_sel:DWORD src1_sel:WORD_0
	v_mov_b32_dpp v17, v7 row_shr:1 row_mask:0xf bank_mask:0xf
	v_cmp_ne_u32_e64 s[50:51], 0, v15
	v_mov_b32_dpp v19, v13 row_shr:1 row_mask:0xf bank_mask:0xf
	s_and_saveexec_b64 s[54:55], s[50:51]
; %bb.173:
	v_and_b32_e32 v13, 1, v9
	v_and_b32_e32 v19, 1, v19
	v_cmp_eq_u32_e64 s[50:51], 1, v13
	s_nop 1
	v_cndmask_b32_e64 v19, v19, 1, s[50:51]
	v_cmp_eq_u16_e64 s[50:51], 0, v9
	v_or_b32_sdwa v13, v6, v19 dst_sel:DWORD dst_unused:UNUSED_PAD src0_sel:DWORD src1_sel:WORD_0
	s_nop 0
	v_cndmask_b32_e64 v9, 0, v17, s[50:51]
	v_add_u32_e32 v7, v9, v7
	v_mov_b32_e32 v9, v19
; %bb.174:
	s_or_b64 exec, exec, s[54:55]
	v_mov_b32_dpp v17, v7 row_shr:2 row_mask:0xf bank_mask:0xf
	v_mov_b32_dpp v19, v13 row_shr:2 row_mask:0xf bank_mask:0xf
	v_cmp_lt_u32_e64 s[50:51], 1, v15
	s_and_saveexec_b64 s[54:55], s[50:51]
; %bb.175:
	v_and_b32_e32 v13, 1, v9
	v_and_b32_e32 v19, 1, v19
	v_cmp_eq_u32_e64 s[50:51], 1, v13
	s_nop 1
	v_cndmask_b32_e64 v19, v19, 1, s[50:51]
	v_cmp_eq_u16_e64 s[50:51], 0, v9
	v_or_b32_sdwa v13, v6, v19 dst_sel:DWORD dst_unused:UNUSED_PAD src0_sel:DWORD src1_sel:WORD_0
	s_nop 0
	v_cndmask_b32_e64 v9, 0, v17, s[50:51]
	v_add_u32_e32 v7, v9, v7
	v_mov_b32_e32 v9, v19
; %bb.176:
	s_or_b64 exec, exec, s[54:55]
	v_mov_b32_dpp v17, v7 row_shr:4 row_mask:0xf bank_mask:0xf
	v_mov_b32_dpp v19, v13 row_shr:4 row_mask:0xf bank_mask:0xf
	v_cmp_lt_u32_e64 s[50:51], 3, v15
	;; [unrolled: 18-line block ×3, first 2 shown]
	s_and_saveexec_b64 s[54:55], s[50:51]
; %bb.179:
	v_and_b32_e32 v13, 1, v9
	v_and_b32_e32 v15, 1, v19
	v_cmp_eq_u32_e64 s[50:51], 1, v13
	s_nop 1
	v_cndmask_b32_e64 v15, v15, 1, s[50:51]
	v_cmp_eq_u16_e64 s[50:51], 0, v9
	v_or_b32_sdwa v13, v6, v15 dst_sel:DWORD dst_unused:UNUSED_PAD src0_sel:DWORD src1_sel:WORD_0
	s_nop 0
	v_cndmask_b32_e64 v9, 0, v17, s[50:51]
	v_add_u32_e32 v7, v9, v7
	v_mov_b32_e32 v9, v15
; %bb.180:
	s_or_b64 exec, exec, s[54:55]
	v_and_b32_e32 v19, 16, v8
	v_mov_b32_dpp v15, v7 row_bcast:15 row_mask:0xf bank_mask:0xf
	v_mov_b32_dpp v17, v13 row_bcast:15 row_mask:0xf bank_mask:0xf
	v_cmp_ne_u32_e64 s[50:51], 0, v19
	s_and_saveexec_b64 s[54:55], s[50:51]
; %bb.181:
	v_and_b32_e32 v13, 1, v9
	v_and_b32_e32 v17, 1, v17
	v_cmp_eq_u32_e64 s[50:51], 1, v13
	s_nop 1
	v_cndmask_b32_e64 v17, v17, 1, s[50:51]
	v_cmp_eq_u16_e64 s[50:51], 0, v9
	v_or_b32_sdwa v13, v6, v17 dst_sel:DWORD dst_unused:UNUSED_PAD src0_sel:DWORD src1_sel:WORD_0
	s_nop 0
	v_cndmask_b32_e64 v9, 0, v15, s[50:51]
	v_add_u32_e32 v7, v9, v7
	v_mov_b32_e32 v9, v17
; %bb.182:
	s_or_b64 exec, exec, s[54:55]
	v_mov_b32_dpp v13, v13 row_bcast:31 row_mask:0xf bank_mask:0xf
	v_and_b32_e32 v17, 1, v9
	v_and_b32_e32 v13, 1, v13
	v_cmp_eq_u32_e64 s[50:51], 1, v17
	v_mov_b32_e32 v17, 0
	v_cmp_eq_u16_sdwa s[54:55], v9, v17 src0_sel:BYTE_0 src1_sel:DWORD
	v_cndmask_b32_e64 v13, v13, 1, s[50:51]
	v_cmp_lt_u32_e64 s[50:51], 31, v8
	v_mov_b32_dpp v15, v7 row_bcast:31 row_mask:0xf bank_mask:0xf
	s_movk_i32 s60, 0xff
	v_cndmask_b32_e64 v9, v9, v13, s[50:51]
	s_and_b64 s[50:51], s[50:51], s[54:55]
	v_cndmask_b32_e64 v13, 0, v15, s[50:51]
	v_add_u32_e32 v7, v13, v7
	v_add_u32_e32 v13, -1, v8
	v_and_b32_e32 v15, 64, v8
	v_cmp_lt_i32_e64 s[50:51], v13, v15
	v_and_or_b32 v6, v9, s60, v6
	s_nop 0
	v_cndmask_b32_e64 v8, v13, v8, s[50:51]
	v_lshlrev_b32_e32 v8, 2, v8
	ds_bpermute_b32 v7, v8, v7
	ds_bpermute_b32 v6, v8, v6
	v_cmp_eq_u16_sdwa s[50:51], v3, v17 src0_sel:BYTE_0 src1_sel:DWORD
	; wave barrier
	s_waitcnt lgkmcnt(1)
	s_nop 0
	v_cndmask_b32_e64 v3, 0, v7, s[50:51]
	v_add_u32_e32 v2, v3, v2
	s_waitcnt lgkmcnt(0)
	v_and_b32_e32 v3, 1, v6
	v_cmp_eq_u32_e64 s[50:51], 1, v5
	v_cndmask_b32_e32 v5, v2, v79, vcc
	s_nop 0
	v_cndmask_b32_e64 v3, v3, 1, s[50:51]
	v_cndmask_b32_e32 v4, v3, v4, vcc
	ds_write_b32 v1, v5
	ds_write_b8 v1, v4 offset:4
	; wave barrier
	ds_read_u8 v6, v1 offset:12
	ds_read2_b32 v[2:3], v1 offset0:2 offset1:4
	ds_read_u8 v7, v1 offset:20
	ds_read_b32 v8, v1 offset:24
	ds_read_u8 v9, v1 offset:28
	s_waitcnt lgkmcnt(4)
	v_cmp_eq_u16_e64 s[50:51], 0, v6
	s_nop 1
	v_cndmask_b32_e64 v5, 0, v5, s[50:51]
	s_waitcnt lgkmcnt(3)
	v_add_u32_e32 v2, v5, v2
	v_and_b32_e32 v5, 1, v6
	v_cmp_eq_u32_e64 s[50:51], 1, v5
	s_nop 1
	v_cndmask_b32_e64 v4, v4, 1, s[50:51]
	s_waitcnt lgkmcnt(2)
	v_cmp_eq_u16_e64 s[50:51], 0, v7
	ds_write_b8 v1, v4 offset:12
	s_nop 0
	v_cndmask_b32_e64 v5, 0, v2, s[50:51]
	v_add_u32_e32 v3, v5, v3
	v_and_b32_e32 v5, 1, v7
	v_cmp_eq_u32_e64 s[50:51], 1, v5
	s_nop 1
	v_cndmask_b32_e64 v4, v4, 1, s[50:51]
	s_waitcnt lgkmcnt(1)
	v_cmp_eq_u16_e64 s[50:51], 0, v9
	ds_write2_b32 v1, v2, v3 offset0:2 offset1:4
	ds_write_b8 v1, v4 offset:20
	v_cndmask_b32_e64 v2, 0, v3, s[50:51]
	v_and_b32_e32 v3, 1, v9
	v_add_u32_e32 v2, v2, v8
	v_cmp_eq_u32_e64 s[50:51], 1, v3
	s_nop 1
	v_cndmask_b32_e64 v3, v4, 1, s[50:51]
	ds_write_b32 v1, v2 offset:24
	ds_write_b8 v1, v3 offset:28
.LBB1223_183:
	s_or_b64 exec, exec, s[52:53]
	v_mov_b32_e32 v1, v79
	s_waitcnt lgkmcnt(0)
	s_barrier
	s_and_saveexec_b64 s[50:51], s[2:3]
	s_cbranch_execnz .LBB1223_261
; %bb.184:
	s_or_b64 exec, exec, s[50:51]
	s_and_saveexec_b64 s[50:51], s[2:3]
	s_cbranch_execnz .LBB1223_262
.LBB1223_185:
	s_or_b64 exec, exec, s[50:51]
	s_and_saveexec_b64 s[2:3], vcc
	s_cbranch_execz .LBB1223_187
.LBB1223_186:
	v_mov_b32_e32 v5, 0
	ds_read_b32 v2, v5 offset:2096
	ds_read_u8 v3, v5 offset:2100
	s_add_u32 s4, s68, 0x400
	s_addc_u32 s5, s69, 0
	v_mov_b32_e32 v4, 2
	v_mov_b64_e32 v[6:7], s[4:5]
	s_waitcnt lgkmcnt(0)
	;;#ASMSTART
	global_store_dwordx4 v[6:7], v[2:5] off sc1	
s_waitcnt vmcnt(0)
	;;#ASMEND
.LBB1223_187:
	s_or_b64 exec, exec, s[2:3]
	v_mov_b32_e32 v80, v10
.LBB1223_188:
	s_add_u32 s2, s58, s72
	s_addc_u32 s3, s59, s73
	s_add_u32 s2, s2, s56
	s_addc_u32 s3, s3, s57
	s_and_b64 vcc, exec, s[0:1]
	s_cbranch_vccz .LBB1223_234
; %bb.189:
	s_movk_i32 s0, 0x5c
	v_mul_i32_i24_e32 v26, 0xffffffa8, v0
	s_waitcnt lgkmcnt(0)
	v_mul_u32_u24_e32 v1, 0x5c, v0
	v_mad_u32_u24 v2, v0, s0, v26
	s_barrier
	ds_write2_b32 v1, v80, v58 offset1:1
	ds_write2_b32 v1, v59, v60 offset0:2 offset1:3
	ds_write2_b32 v1, v61, v62 offset0:4 offset1:5
	ds_write2_b32 v1, v63, v64 offset0:6 offset1:7
	ds_write2_b32 v1, v65, v66 offset0:8 offset1:9
	ds_write2_b32 v1, v67, v68 offset0:10 offset1:11
	ds_write2_b32 v1, v69, v70 offset0:12 offset1:13
	ds_write2_b32 v1, v71, v72 offset0:14 offset1:15
	ds_write2_b32 v1, v73, v74 offset0:16 offset1:17
	ds_write2_b32 v1, v75, v76 offset0:18 offset1:19
	ds_write2_b32 v1, v77, v78 offset0:20 offset1:21
	ds_write_b32 v1, v79 offset:88
	s_waitcnt lgkmcnt(0)
	s_barrier
	ds_read2st64_b32 v[24:25], v2 offset0:4 offset1:8
	ds_read2st64_b32 v[22:23], v2 offset0:12 offset1:16
	;; [unrolled: 1-line block ×11, first 2 shown]
	s_add_i32 s33, s33, s70
	v_mov_b32_e32 v55, 0
	v_lshl_add_u64 v[4:5], s[2:3], 0, v[54:55]
	v_cmp_gt_u32_e32 vcc, s33, v0
	s_and_saveexec_b64 s[0:1], vcc
	s_cbranch_execz .LBB1223_191
; %bb.190:
	v_add_u32_e32 v1, v1, v26
	ds_read_b32 v1, v1
	s_waitcnt lgkmcnt(0)
	flat_store_dword v[4:5], v1
.LBB1223_191:
	s_or_b64 exec, exec, s[0:1]
	v_or_b32_e32 v1, 0x100, v0
	v_cmp_gt_u32_e32 vcc, s33, v1
	s_and_saveexec_b64 s[0:1], vcc
	s_cbranch_execz .LBB1223_193
; %bb.192:
	s_waitcnt lgkmcnt(0)
	flat_store_dword v[4:5], v24 offset:1024
.LBB1223_193:
	s_or_b64 exec, exec, s[0:1]
	v_or_b32_e32 v1, 0x200, v0
	v_cmp_gt_u32_e32 vcc, s33, v1
	s_and_saveexec_b64 s[0:1], vcc
	s_cbranch_execz .LBB1223_195
; %bb.194:
	s_waitcnt lgkmcnt(0)
	flat_store_dword v[4:5], v25 offset:2048
.LBB1223_195:
	;; [unrolled: 9-line block ×3, first 2 shown]
	s_or_b64 exec, exec, s[0:1]
	v_or_b32_e32 v1, 0x400, v0
	v_cmp_gt_u32_e32 vcc, s33, v1
	s_and_saveexec_b64 s[0:1], vcc
	s_cbranch_execz .LBB1223_199
; %bb.198:
	s_waitcnt lgkmcnt(0)
	v_add_co_u32_e32 v24, vcc, 0x1000, v4
	s_nop 1
	v_addc_co_u32_e32 v25, vcc, 0, v5, vcc
	flat_store_dword v[24:25], v23
.LBB1223_199:
	s_or_b64 exec, exec, s[0:1]
	v_or_b32_e32 v1, 0x500, v0
	v_cmp_gt_u32_e32 vcc, s33, v1
	s_and_saveexec_b64 s[0:1], vcc
	s_cbranch_execz .LBB1223_201
; %bb.200:
	s_waitcnt lgkmcnt(0)
	v_add_co_u32_e32 v22, vcc, 0x1000, v4
	s_nop 1
	v_addc_co_u32_e32 v23, vcc, 0, v5, vcc
	flat_store_dword v[22:23], v20 offset:1024
.LBB1223_201:
	s_or_b64 exec, exec, s[0:1]
	v_or_b32_e32 v1, 0x600, v0
	v_cmp_gt_u32_e32 vcc, s33, v1
	s_and_saveexec_b64 s[0:1], vcc
	s_cbranch_execz .LBB1223_203
; %bb.202:
	s_waitcnt lgkmcnt(0)
	v_add_co_u32_e32 v22, vcc, 0x1000, v4
	s_nop 1
	v_addc_co_u32_e32 v23, vcc, 0, v5, vcc
	flat_store_dword v[22:23], v21 offset:2048
.LBB1223_203:
	s_or_b64 exec, exec, s[0:1]
	v_or_b32_e32 v1, 0x700, v0
	v_cmp_gt_u32_e32 vcc, s33, v1
	s_and_saveexec_b64 s[0:1], vcc
	s_cbranch_execz .LBB1223_205
; %bb.204:
	s_waitcnt lgkmcnt(0)
	v_add_co_u32_e32 v20, vcc, 0x1000, v4
	s_nop 1
	v_addc_co_u32_e32 v21, vcc, 0, v5, vcc
	flat_store_dword v[20:21], v18 offset:3072
.LBB1223_205:
	s_or_b64 exec, exec, s[0:1]
	v_or_b32_e32 v1, 0x800, v0
	v_cmp_gt_u32_e32 vcc, s33, v1
	s_and_saveexec_b64 s[0:1], vcc
	s_cbranch_execz .LBB1223_207
; %bb.206:
	s_waitcnt lgkmcnt(0)
	v_add_co_u32_e32 v20, vcc, 0x2000, v4
	s_nop 1
	v_addc_co_u32_e32 v21, vcc, 0, v5, vcc
	flat_store_dword v[20:21], v19
.LBB1223_207:
	s_or_b64 exec, exec, s[0:1]
	v_or_b32_e32 v1, 0x900, v0
	v_cmp_gt_u32_e32 vcc, s33, v1
	s_and_saveexec_b64 s[0:1], vcc
	s_cbranch_execz .LBB1223_209
; %bb.208:
	s_waitcnt lgkmcnt(0)
	v_add_co_u32_e32 v18, vcc, 0x2000, v4
	s_nop 1
	v_addc_co_u32_e32 v19, vcc, 0, v5, vcc
	flat_store_dword v[18:19], v16 offset:1024
.LBB1223_209:
	s_or_b64 exec, exec, s[0:1]
	v_or_b32_e32 v1, 0xa00, v0
	v_cmp_gt_u32_e32 vcc, s33, v1
	s_and_saveexec_b64 s[0:1], vcc
	s_cbranch_execz .LBB1223_211
; %bb.210:
	s_waitcnt lgkmcnt(0)
	v_add_co_u32_e32 v18, vcc, 0x2000, v4
	s_nop 1
	v_addc_co_u32_e32 v19, vcc, 0, v5, vcc
	flat_store_dword v[18:19], v17 offset:2048
.LBB1223_211:
	s_or_b64 exec, exec, s[0:1]
	v_or_b32_e32 v1, 0xb00, v0
	v_cmp_gt_u32_e32 vcc, s33, v1
	s_and_saveexec_b64 s[0:1], vcc
	s_cbranch_execz .LBB1223_213
; %bb.212:
	s_waitcnt lgkmcnt(0)
	v_add_co_u32_e32 v16, vcc, 0x2000, v4
	s_nop 1
	v_addc_co_u32_e32 v17, vcc, 0, v5, vcc
	flat_store_dword v[16:17], v14 offset:3072
.LBB1223_213:
	s_or_b64 exec, exec, s[0:1]
	v_or_b32_e32 v1, 0xc00, v0
	v_cmp_gt_u32_e32 vcc, s33, v1
	s_and_saveexec_b64 s[0:1], vcc
	s_cbranch_execz .LBB1223_215
; %bb.214:
	s_waitcnt lgkmcnt(0)
	v_add_co_u32_e32 v16, vcc, 0x3000, v4
	s_nop 1
	v_addc_co_u32_e32 v17, vcc, 0, v5, vcc
	flat_store_dword v[16:17], v15
.LBB1223_215:
	s_or_b64 exec, exec, s[0:1]
	v_or_b32_e32 v1, 0xd00, v0
	v_cmp_gt_u32_e32 vcc, s33, v1
	s_and_saveexec_b64 s[0:1], vcc
	s_cbranch_execz .LBB1223_217
; %bb.216:
	s_waitcnt lgkmcnt(0)
	v_add_co_u32_e32 v14, vcc, 0x3000, v4
	s_nop 1
	v_addc_co_u32_e32 v15, vcc, 0, v5, vcc
	flat_store_dword v[14:15], v12 offset:1024
.LBB1223_217:
	s_or_b64 exec, exec, s[0:1]
	v_or_b32_e32 v1, 0xe00, v0
	v_cmp_gt_u32_e32 vcc, s33, v1
	s_and_saveexec_b64 s[0:1], vcc
	s_cbranch_execz .LBB1223_219
; %bb.218:
	s_waitcnt lgkmcnt(0)
	v_add_co_u32_e32 v14, vcc, 0x3000, v4
	s_nop 1
	v_addc_co_u32_e32 v15, vcc, 0, v5, vcc
	flat_store_dword v[14:15], v13 offset:2048
.LBB1223_219:
	s_or_b64 exec, exec, s[0:1]
	v_or_b32_e32 v1, 0xf00, v0
	v_cmp_gt_u32_e32 vcc, s33, v1
	s_and_saveexec_b64 s[0:1], vcc
	s_cbranch_execz .LBB1223_221
; %bb.220:
	s_waitcnt lgkmcnt(0)
	v_add_co_u32_e32 v12, vcc, 0x3000, v4
	s_nop 1
	v_addc_co_u32_e32 v13, vcc, 0, v5, vcc
	flat_store_dword v[12:13], v10 offset:3072
.LBB1223_221:
	s_or_b64 exec, exec, s[0:1]
	v_or_b32_e32 v1, 0x1000, v0
	v_cmp_gt_u32_e32 vcc, s33, v1
	s_and_saveexec_b64 s[0:1], vcc
	s_cbranch_execz .LBB1223_223
; %bb.222:
	s_waitcnt lgkmcnt(0)
	v_add_co_u32_e32 v12, vcc, 0x4000, v4
	s_nop 1
	v_addc_co_u32_e32 v13, vcc, 0, v5, vcc
	flat_store_dword v[12:13], v11
.LBB1223_223:
	s_or_b64 exec, exec, s[0:1]
	v_or_b32_e32 v1, 0x1100, v0
	v_cmp_gt_u32_e32 vcc, s33, v1
	s_and_saveexec_b64 s[0:1], vcc
	s_cbranch_execz .LBB1223_225
; %bb.224:
	s_waitcnt lgkmcnt(0)
	v_add_co_u32_e32 v10, vcc, 0x4000, v4
	s_nop 1
	v_addc_co_u32_e32 v11, vcc, 0, v5, vcc
	flat_store_dword v[10:11], v8 offset:1024
.LBB1223_225:
	s_or_b64 exec, exec, s[0:1]
	v_or_b32_e32 v1, 0x1200, v0
	v_cmp_gt_u32_e32 vcc, s33, v1
	s_and_saveexec_b64 s[0:1], vcc
	s_cbranch_execz .LBB1223_227
; %bb.226:
	s_waitcnt lgkmcnt(0)
	v_add_co_u32_e32 v10, vcc, 0x4000, v4
	s_nop 1
	v_addc_co_u32_e32 v11, vcc, 0, v5, vcc
	flat_store_dword v[10:11], v9 offset:2048
.LBB1223_227:
	s_or_b64 exec, exec, s[0:1]
	v_or_b32_e32 v1, 0x1300, v0
	v_cmp_gt_u32_e32 vcc, s33, v1
	s_and_saveexec_b64 s[0:1], vcc
	s_cbranch_execz .LBB1223_229
; %bb.228:
	s_waitcnt lgkmcnt(0)
	v_add_co_u32_e32 v8, vcc, 0x4000, v4
	s_nop 1
	v_addc_co_u32_e32 v9, vcc, 0, v5, vcc
	flat_store_dword v[8:9], v6 offset:3072
.LBB1223_229:
	s_or_b64 exec, exec, s[0:1]
	v_or_b32_e32 v1, 0x1400, v0
	v_cmp_gt_u32_e32 vcc, s33, v1
	s_and_saveexec_b64 s[0:1], vcc
	s_cbranch_execz .LBB1223_231
; %bb.230:
	s_waitcnt lgkmcnt(0)
	v_add_co_u32_e32 v8, vcc, 0x5000, v4
	s_nop 1
	v_addc_co_u32_e32 v9, vcc, 0, v5, vcc
	flat_store_dword v[8:9], v7
.LBB1223_231:
	s_or_b64 exec, exec, s[0:1]
	v_or_b32_e32 v1, 0x1500, v0
	v_cmp_gt_u32_e32 vcc, s33, v1
	s_and_saveexec_b64 s[0:1], vcc
	s_cbranch_execz .LBB1223_233
; %bb.232:
	v_add_co_u32_e32 v4, vcc, 0x5000, v4
	s_nop 1
	v_addc_co_u32_e32 v5, vcc, 0, v5, vcc
	s_waitcnt lgkmcnt(0)
	flat_store_dword v[4:5], v2 offset:1024
.LBB1223_233:
	s_or_b64 exec, exec, s[0:1]
	s_waitcnt lgkmcnt(0)
	v_or_b32_e32 v2, 0x1600, v0
	v_mov_b32_e32 v1, v55
	v_cmp_gt_u32_e64 s[0:1], s33, v2
	s_branch .LBB1223_236
.LBB1223_234:
	s_mov_b64 s[0:1], 0
                                        ; implicit-def: $vgpr3
	s_cbranch_execz .LBB1223_236
; %bb.235:
	s_waitcnt lgkmcnt(0)
	v_mul_u32_u24_e32 v1, 0x5c, v0
	s_barrier
	s_movk_i32 s4, 0x5c
	ds_write2_b32 v1, v80, v58 offset1:1
	ds_write2_b32 v1, v59, v60 offset0:2 offset1:3
	ds_write2_b32 v1, v61, v62 offset0:4 offset1:5
	;; [unrolled: 1-line block ×10, first 2 shown]
	ds_write_b32 v1, v79 offset:88
	v_mov_b32_e32 v1, 0
	v_mul_i32_i24_e32 v2, 0xffffffa8, v0
	v_mad_u32_u24 v2, v0, s4, v2
	v_mov_b32_e32 v55, v1
	s_waitcnt lgkmcnt(0)
	s_barrier
	ds_read2st64_b32 v[4:5], v2 offset1:4
	ds_read2st64_b32 v[6:7], v2 offset0:8 offset1:12
	ds_read2st64_b32 v[8:9], v2 offset0:16 offset1:20
	;; [unrolled: 1-line block ×10, first 2 shown]
	ds_read_b32 v3, v2 offset:22528
	v_lshl_add_u64 v[26:27], s[2:3], 0, v[54:55]
	s_movk_i32 s4, 0x1000
	s_waitcnt lgkmcnt(0)
	flat_store_dword v[26:27], v4
	flat_store_dword v[26:27], v5 offset:1024
	flat_store_dword v[26:27], v6 offset:2048
	;; [unrolled: 1-line block ×3, first 2 shown]
	v_add_co_u32_e32 v4, vcc, s4, v26
	s_movk_i32 s4, 0x2000
	s_nop 0
	v_addc_co_u32_e32 v5, vcc, 0, v27, vcc
	flat_store_dword v[4:5], v8
	flat_store_dword v[4:5], v9 offset:1024
	flat_store_dword v[4:5], v10 offset:2048
	;; [unrolled: 1-line block ×3, first 2 shown]
	v_add_co_u32_e32 v4, vcc, s4, v26
	s_movk_i32 s4, 0x3000
	s_nop 0
	v_addc_co_u32_e32 v5, vcc, 0, v27, vcc
	flat_store_dword v[4:5], v12
	flat_store_dword v[4:5], v13 offset:1024
	flat_store_dword v[4:5], v14 offset:2048
	;; [unrolled: 1-line block ×3, first 2 shown]
	v_add_co_u32_e32 v4, vcc, s4, v26
	s_or_b64 s[0:1], s[0:1], exec
	s_nop 0
	v_addc_co_u32_e32 v5, vcc, 0, v27, vcc
	flat_store_dword v[4:5], v16
	flat_store_dword v[4:5], v17 offset:1024
	flat_store_dword v[4:5], v18 offset:2048
	;; [unrolled: 1-line block ×3, first 2 shown]
	v_add_co_u32_e32 v4, vcc, 0x4000, v26
	s_nop 1
	v_addc_co_u32_e32 v5, vcc, 0, v27, vcc
	flat_store_dword v[4:5], v20
	flat_store_dword v[4:5], v21 offset:1024
	flat_store_dword v[4:5], v22 offset:2048
	;; [unrolled: 1-line block ×3, first 2 shown]
	v_add_co_u32_e32 v4, vcc, 0x5000, v26
	s_nop 1
	v_addc_co_u32_e32 v5, vcc, 0, v27, vcc
	flat_store_dword v[4:5], v24
	flat_store_dword v[4:5], v25 offset:1024
.LBB1223_236:
	s_and_saveexec_b64 s[4:5], s[0:1]
	s_cbranch_execnz .LBB1223_238
; %bb.237:
	s_endpgm
.LBB1223_238:
	s_waitcnt lgkmcnt(0)
	v_lshl_add_u64 v[0:1], v[0:1], 2, s[2:3]
	v_add_co_u32_e32 v0, vcc, 0x5000, v0
	s_nop 1
	v_addc_co_u32_e32 v1, vcc, 0, v1, vcc
	flat_store_dword v[0:1], v3 offset:2048
	s_endpgm
.LBB1223_239:
	v_lshl_add_u64 v[48:49], s[52:53], 0, v[44:45]
	flat_load_dword v48, v[48:49]
	s_or_b64 exec, exec, s[60:61]
                                        ; implicit-def: $vgpr49
	s_and_saveexec_b64 s[50:51], s[4:5]
	s_cbranch_execz .LBB1223_55
.LBB1223_240:
	v_mov_b32_e32 v45, 0
	v_lshl_add_u64 v[50:51], s[52:53], 0, v[44:45]
	flat_load_dword v49, v[50:51] offset:1024
	s_or_b64 exec, exec, s[50:51]
                                        ; implicit-def: $vgpr50
	s_and_saveexec_b64 s[4:5], s[6:7]
	s_cbranch_execz .LBB1223_56
.LBB1223_241:
	v_mov_b32_e32 v45, 0
	v_lshl_add_u64 v[50:51], s[52:53], 0, v[44:45]
	flat_load_dword v50, v[50:51] offset:2048
	s_or_b64 exec, exec, s[4:5]
                                        ; implicit-def: $vgpr45
	s_and_saveexec_b64 s[4:5], s[8:9]
	s_cbranch_execz .LBB1223_57
.LBB1223_242:
	v_mov_b32_e32 v45, 0
	v_lshl_add_u64 v[52:53], s[52:53], 0, v[44:45]
	flat_load_dword v45, v[52:53] offset:3072
	s_or_b64 exec, exec, s[4:5]
                                        ; implicit-def: $vgpr3
	s_and_saveexec_b64 s[4:5], s[10:11]
	s_cbranch_execz .LBB1223_58
.LBB1223_243:
	v_mov_b32_e32 v3, 0
	v_lshl_add_u64 v[2:3], s[52:53], 0, v[2:3]
	flat_load_dword v3, v[2:3]
	s_or_b64 exec, exec, s[4:5]
                                        ; implicit-def: $vgpr2
	s_and_saveexec_b64 s[4:5], s[12:13]
	s_cbranch_execz .LBB1223_59
.LBB1223_244:
	v_mov_b32_e32 v11, 0
	v_lshl_add_u64 v[10:11], s[52:53], 0, v[10:11]
	flat_load_dword v2, v[10:11]
	s_or_b64 exec, exec, s[4:5]
                                        ; implicit-def: $vgpr10
	s_and_saveexec_b64 s[4:5], s[14:15]
	s_cbranch_execz .LBB1223_60
.LBB1223_245:
	v_mov_b32_e32 v13, 0
	v_lshl_add_u64 v[10:11], s[52:53], 0, v[12:13]
	flat_load_dword v10, v[10:11]
	s_or_b64 exec, exec, s[4:5]
                                        ; implicit-def: $vgpr11
	s_and_saveexec_b64 s[4:5], s[16:17]
	s_cbranch_execz .LBB1223_61
.LBB1223_246:
	v_mov_b32_e32 v15, 0
	v_lshl_add_u64 v[12:13], s[52:53], 0, v[14:15]
	flat_load_dword v11, v[12:13]
	s_or_b64 exec, exec, s[4:5]
                                        ; implicit-def: $vgpr12
	s_and_saveexec_b64 s[4:5], s[18:19]
	s_cbranch_execz .LBB1223_62
.LBB1223_247:
	v_mov_b32_e32 v17, 0
	v_lshl_add_u64 v[12:13], s[52:53], 0, v[16:17]
	flat_load_dword v12, v[12:13]
	s_or_b64 exec, exec, s[4:5]
                                        ; implicit-def: $vgpr13
	s_and_saveexec_b64 s[4:5], s[20:21]
	s_cbranch_execz .LBB1223_63
.LBB1223_248:
	v_mov_b32_e32 v19, 0
	v_lshl_add_u64 v[14:15], s[52:53], 0, v[18:19]
	flat_load_dword v13, v[14:15]
	s_or_b64 exec, exec, s[4:5]
                                        ; implicit-def: $vgpr14
	s_and_saveexec_b64 s[4:5], s[22:23]
	s_cbranch_execz .LBB1223_64
.LBB1223_249:
	v_mov_b32_e32 v21, 0
	v_lshl_add_u64 v[14:15], s[52:53], 0, v[20:21]
	flat_load_dword v14, v[14:15]
	s_or_b64 exec, exec, s[4:5]
                                        ; implicit-def: $vgpr15
	s_and_saveexec_b64 s[4:5], s[24:25]
	s_cbranch_execz .LBB1223_65
.LBB1223_250:
	v_mov_b32_e32 v23, 0
	v_lshl_add_u64 v[16:17], s[52:53], 0, v[22:23]
	flat_load_dword v15, v[16:17]
	s_or_b64 exec, exec, s[4:5]
                                        ; implicit-def: $vgpr16
	s_and_saveexec_b64 s[4:5], s[26:27]
	s_cbranch_execz .LBB1223_66
.LBB1223_251:
	v_mov_b32_e32 v25, 0
	v_lshl_add_u64 v[16:17], s[52:53], 0, v[24:25]
	flat_load_dword v16, v[16:17]
	s_or_b64 exec, exec, s[4:5]
                                        ; implicit-def: $vgpr17
	s_and_saveexec_b64 s[4:5], s[28:29]
	s_cbranch_execz .LBB1223_67
.LBB1223_252:
	v_mov_b32_e32 v27, 0
	v_lshl_add_u64 v[18:19], s[52:53], 0, v[26:27]
	flat_load_dword v17, v[18:19]
	s_or_b64 exec, exec, s[4:5]
                                        ; implicit-def: $vgpr18
	s_and_saveexec_b64 s[4:5], s[30:31]
	s_cbranch_execz .LBB1223_68
.LBB1223_253:
	v_mov_b32_e32 v29, 0
	v_lshl_add_u64 v[18:19], s[52:53], 0, v[28:29]
	flat_load_dword v18, v[18:19]
	s_or_b64 exec, exec, s[4:5]
                                        ; implicit-def: $vgpr19
	s_and_saveexec_b64 s[4:5], s[34:35]
	s_cbranch_execz .LBB1223_69
.LBB1223_254:
	v_mov_b32_e32 v31, 0
	v_lshl_add_u64 v[20:21], s[52:53], 0, v[30:31]
	flat_load_dword v19, v[20:21]
	s_or_b64 exec, exec, s[4:5]
                                        ; implicit-def: $vgpr20
	s_and_saveexec_b64 s[4:5], s[36:37]
	s_cbranch_execz .LBB1223_70
.LBB1223_255:
	v_mov_b32_e32 v33, 0
	v_lshl_add_u64 v[20:21], s[52:53], 0, v[32:33]
	flat_load_dword v20, v[20:21]
	s_or_b64 exec, exec, s[4:5]
                                        ; implicit-def: $vgpr21
	s_and_saveexec_b64 s[4:5], s[38:39]
	s_cbranch_execz .LBB1223_71
.LBB1223_256:
	v_mov_b32_e32 v35, 0
	v_lshl_add_u64 v[22:23], s[52:53], 0, v[34:35]
	flat_load_dword v21, v[22:23]
	s_or_b64 exec, exec, s[4:5]
                                        ; implicit-def: $vgpr22
	s_and_saveexec_b64 s[4:5], s[40:41]
	s_cbranch_execz .LBB1223_72
.LBB1223_257:
	v_mov_b32_e32 v37, 0
	v_lshl_add_u64 v[22:23], s[52:53], 0, v[36:37]
	flat_load_dword v22, v[22:23]
	s_or_b64 exec, exec, s[4:5]
                                        ; implicit-def: $vgpr23
	s_and_saveexec_b64 s[4:5], s[42:43]
	s_cbranch_execz .LBB1223_73
.LBB1223_258:
	v_mov_b32_e32 v39, 0
	v_lshl_add_u64 v[24:25], s[52:53], 0, v[38:39]
	flat_load_dword v23, v[24:25]
	s_or_b64 exec, exec, s[4:5]
                                        ; implicit-def: $vgpr24
	s_and_saveexec_b64 s[4:5], s[44:45]
	s_cbranch_execz .LBB1223_74
.LBB1223_259:
	v_mov_b32_e32 v41, 0
	v_lshl_add_u64 v[24:25], s[52:53], 0, v[40:41]
	flat_load_dword v24, v[24:25]
	s_or_b64 exec, exec, s[4:5]
                                        ; implicit-def: $vgpr25
	s_and_saveexec_b64 s[4:5], s[46:47]
	s_cbranch_execz .LBB1223_75
.LBB1223_260:
	v_mov_b32_e32 v43, 0
	v_lshl_add_u64 v[26:27], s[52:53], 0, v[42:43]
	flat_load_dword v25, v[26:27]
	s_or_b64 exec, exec, s[4:5]
                                        ; implicit-def: $vgpr26
	s_and_saveexec_b64 s[4:5], s[48:49]
	s_cbranch_execnz .LBB1223_76
	s_branch .LBB1223_77
.LBB1223_261:
	v_add_u32_e32 v1, -1, v0
	v_lshrrev_b32_e32 v2, 5, v1
	v_add_lshl_u32 v1, v2, v1, 3
	ds_read_b32 v1, v1
	s_or_b64 exec, exec, s[50:51]
	s_and_saveexec_b64 s[50:51], s[2:3]
	s_cbranch_execz .LBB1223_185
.LBB1223_262:
	v_and_b32_e32 v3, 0xff, v11
	v_mov_b32_e32 v2, 0
	v_cmp_eq_u64_e64 s[2:3], 0, v[2:3]
	;;#ASMSTART
	;;#ASMEND
	s_waitcnt lgkmcnt(0)
	s_nop 0
	v_cndmask_b32_e64 v1, 0, v1, s[2:3]
	v_add_u32_e32 v10, v1, v10
	v_cndmask_b32_e64 v1, 0, v10, s[4:5]
	v_add_u32_e32 v58, v1, v12
	;; [unrolled: 2-line block ×23, first 2 shown]
	s_or_b64 exec, exec, s[50:51]
	s_and_saveexec_b64 s[2:3], vcc
	s_cbranch_execnz .LBB1223_186
	s_branch .LBB1223_187
.LBB1223_263:
                                        ; implicit-def: $sgpr60_sgpr61
	s_branch .LBB1223_50
.LBB1223_264:
                                        ; implicit-def: $sgpr4_sgpr5
	s_branch .LBB1223_126
	.section	.rodata,"a",@progbits
	.p2align	6, 0x0
	.amdhsa_kernel _ZN7rocprim17ROCPRIM_400000_NS6detail17trampoline_kernelINS0_14default_configENS1_27scan_by_key_config_selectorIijEEZZNS1_16scan_by_key_implILNS1_25lookback_scan_determinismE0ELb0ES3_N6thrust23THRUST_200600_302600_NS6detail15normal_iteratorINS9_10device_ptrIiEEEENSB_INSC_IjEEEESG_jNS9_4plusIvEENS9_8equal_toIvEEjEE10hipError_tPvRmT2_T3_T4_T5_mT6_T7_P12ihipStream_tbENKUlT_T0_E_clISt17integral_constantIbLb0EES11_EEDaSW_SX_EUlSW_E_NS1_11comp_targetILNS1_3genE5ELNS1_11target_archE942ELNS1_3gpuE9ELNS1_3repE0EEENS1_30default_config_static_selectorELNS0_4arch9wavefront6targetE1EEEvT1_
		.amdhsa_group_segment_fixed_size 25600
		.amdhsa_private_segment_fixed_size 0
		.amdhsa_kernarg_size 112
		.amdhsa_user_sgpr_count 2
		.amdhsa_user_sgpr_dispatch_ptr 0
		.amdhsa_user_sgpr_queue_ptr 0
		.amdhsa_user_sgpr_kernarg_segment_ptr 1
		.amdhsa_user_sgpr_dispatch_id 0
		.amdhsa_user_sgpr_kernarg_preload_length 0
		.amdhsa_user_sgpr_kernarg_preload_offset 0
		.amdhsa_user_sgpr_private_segment_size 0
		.amdhsa_uses_dynamic_stack 0
		.amdhsa_enable_private_segment 0
		.amdhsa_system_sgpr_workgroup_id_x 1
		.amdhsa_system_sgpr_workgroup_id_y 0
		.amdhsa_system_sgpr_workgroup_id_z 0
		.amdhsa_system_sgpr_workgroup_info 0
		.amdhsa_system_vgpr_workitem_id 0
		.amdhsa_next_free_vgpr 81
		.amdhsa_next_free_sgpr 82
		.amdhsa_accum_offset 84
		.amdhsa_reserve_vcc 1
		.amdhsa_float_round_mode_32 0
		.amdhsa_float_round_mode_16_64 0
		.amdhsa_float_denorm_mode_32 3
		.amdhsa_float_denorm_mode_16_64 3
		.amdhsa_dx10_clamp 1
		.amdhsa_ieee_mode 1
		.amdhsa_fp16_overflow 0
		.amdhsa_tg_split 0
		.amdhsa_exception_fp_ieee_invalid_op 0
		.amdhsa_exception_fp_denorm_src 0
		.amdhsa_exception_fp_ieee_div_zero 0
		.amdhsa_exception_fp_ieee_overflow 0
		.amdhsa_exception_fp_ieee_underflow 0
		.amdhsa_exception_fp_ieee_inexact 0
		.amdhsa_exception_int_div_zero 0
	.end_amdhsa_kernel
	.section	.text._ZN7rocprim17ROCPRIM_400000_NS6detail17trampoline_kernelINS0_14default_configENS1_27scan_by_key_config_selectorIijEEZZNS1_16scan_by_key_implILNS1_25lookback_scan_determinismE0ELb0ES3_N6thrust23THRUST_200600_302600_NS6detail15normal_iteratorINS9_10device_ptrIiEEEENSB_INSC_IjEEEESG_jNS9_4plusIvEENS9_8equal_toIvEEjEE10hipError_tPvRmT2_T3_T4_T5_mT6_T7_P12ihipStream_tbENKUlT_T0_E_clISt17integral_constantIbLb0EES11_EEDaSW_SX_EUlSW_E_NS1_11comp_targetILNS1_3genE5ELNS1_11target_archE942ELNS1_3gpuE9ELNS1_3repE0EEENS1_30default_config_static_selectorELNS0_4arch9wavefront6targetE1EEEvT1_,"axG",@progbits,_ZN7rocprim17ROCPRIM_400000_NS6detail17trampoline_kernelINS0_14default_configENS1_27scan_by_key_config_selectorIijEEZZNS1_16scan_by_key_implILNS1_25lookback_scan_determinismE0ELb0ES3_N6thrust23THRUST_200600_302600_NS6detail15normal_iteratorINS9_10device_ptrIiEEEENSB_INSC_IjEEEESG_jNS9_4plusIvEENS9_8equal_toIvEEjEE10hipError_tPvRmT2_T3_T4_T5_mT6_T7_P12ihipStream_tbENKUlT_T0_E_clISt17integral_constantIbLb0EES11_EEDaSW_SX_EUlSW_E_NS1_11comp_targetILNS1_3genE5ELNS1_11target_archE942ELNS1_3gpuE9ELNS1_3repE0EEENS1_30default_config_static_selectorELNS0_4arch9wavefront6targetE1EEEvT1_,comdat
.Lfunc_end1223:
	.size	_ZN7rocprim17ROCPRIM_400000_NS6detail17trampoline_kernelINS0_14default_configENS1_27scan_by_key_config_selectorIijEEZZNS1_16scan_by_key_implILNS1_25lookback_scan_determinismE0ELb0ES3_N6thrust23THRUST_200600_302600_NS6detail15normal_iteratorINS9_10device_ptrIiEEEENSB_INSC_IjEEEESG_jNS9_4plusIvEENS9_8equal_toIvEEjEE10hipError_tPvRmT2_T3_T4_T5_mT6_T7_P12ihipStream_tbENKUlT_T0_E_clISt17integral_constantIbLb0EES11_EEDaSW_SX_EUlSW_E_NS1_11comp_targetILNS1_3genE5ELNS1_11target_archE942ELNS1_3gpuE9ELNS1_3repE0EEENS1_30default_config_static_selectorELNS0_4arch9wavefront6targetE1EEEvT1_, .Lfunc_end1223-_ZN7rocprim17ROCPRIM_400000_NS6detail17trampoline_kernelINS0_14default_configENS1_27scan_by_key_config_selectorIijEEZZNS1_16scan_by_key_implILNS1_25lookback_scan_determinismE0ELb0ES3_N6thrust23THRUST_200600_302600_NS6detail15normal_iteratorINS9_10device_ptrIiEEEENSB_INSC_IjEEEESG_jNS9_4plusIvEENS9_8equal_toIvEEjEE10hipError_tPvRmT2_T3_T4_T5_mT6_T7_P12ihipStream_tbENKUlT_T0_E_clISt17integral_constantIbLb0EES11_EEDaSW_SX_EUlSW_E_NS1_11comp_targetILNS1_3genE5ELNS1_11target_archE942ELNS1_3gpuE9ELNS1_3repE0EEENS1_30default_config_static_selectorELNS0_4arch9wavefront6targetE1EEEvT1_
                                        ; -- End function
	.section	.AMDGPU.csdata,"",@progbits
; Kernel info:
; codeLenInByte = 15432
; NumSgprs: 88
; NumVgprs: 81
; NumAgprs: 0
; TotalNumVgprs: 81
; ScratchSize: 0
; MemoryBound: 0
; FloatMode: 240
; IeeeMode: 1
; LDSByteSize: 25600 bytes/workgroup (compile time only)
; SGPRBlocks: 10
; VGPRBlocks: 10
; NumSGPRsForWavesPerEU: 88
; NumVGPRsForWavesPerEU: 81
; AccumOffset: 84
; Occupancy: 2
; WaveLimiterHint : 1
; COMPUTE_PGM_RSRC2:SCRATCH_EN: 0
; COMPUTE_PGM_RSRC2:USER_SGPR: 2
; COMPUTE_PGM_RSRC2:TRAP_HANDLER: 0
; COMPUTE_PGM_RSRC2:TGID_X_EN: 1
; COMPUTE_PGM_RSRC2:TGID_Y_EN: 0
; COMPUTE_PGM_RSRC2:TGID_Z_EN: 0
; COMPUTE_PGM_RSRC2:TIDIG_COMP_CNT: 0
; COMPUTE_PGM_RSRC3_GFX90A:ACCUM_OFFSET: 20
; COMPUTE_PGM_RSRC3_GFX90A:TG_SPLIT: 0
	.section	.text._ZN7rocprim17ROCPRIM_400000_NS6detail17trampoline_kernelINS0_14default_configENS1_27scan_by_key_config_selectorIijEEZZNS1_16scan_by_key_implILNS1_25lookback_scan_determinismE0ELb0ES3_N6thrust23THRUST_200600_302600_NS6detail15normal_iteratorINS9_10device_ptrIiEEEENSB_INSC_IjEEEESG_jNS9_4plusIvEENS9_8equal_toIvEEjEE10hipError_tPvRmT2_T3_T4_T5_mT6_T7_P12ihipStream_tbENKUlT_T0_E_clISt17integral_constantIbLb0EES11_EEDaSW_SX_EUlSW_E_NS1_11comp_targetILNS1_3genE4ELNS1_11target_archE910ELNS1_3gpuE8ELNS1_3repE0EEENS1_30default_config_static_selectorELNS0_4arch9wavefront6targetE1EEEvT1_,"axG",@progbits,_ZN7rocprim17ROCPRIM_400000_NS6detail17trampoline_kernelINS0_14default_configENS1_27scan_by_key_config_selectorIijEEZZNS1_16scan_by_key_implILNS1_25lookback_scan_determinismE0ELb0ES3_N6thrust23THRUST_200600_302600_NS6detail15normal_iteratorINS9_10device_ptrIiEEEENSB_INSC_IjEEEESG_jNS9_4plusIvEENS9_8equal_toIvEEjEE10hipError_tPvRmT2_T3_T4_T5_mT6_T7_P12ihipStream_tbENKUlT_T0_E_clISt17integral_constantIbLb0EES11_EEDaSW_SX_EUlSW_E_NS1_11comp_targetILNS1_3genE4ELNS1_11target_archE910ELNS1_3gpuE8ELNS1_3repE0EEENS1_30default_config_static_selectorELNS0_4arch9wavefront6targetE1EEEvT1_,comdat
	.protected	_ZN7rocprim17ROCPRIM_400000_NS6detail17trampoline_kernelINS0_14default_configENS1_27scan_by_key_config_selectorIijEEZZNS1_16scan_by_key_implILNS1_25lookback_scan_determinismE0ELb0ES3_N6thrust23THRUST_200600_302600_NS6detail15normal_iteratorINS9_10device_ptrIiEEEENSB_INSC_IjEEEESG_jNS9_4plusIvEENS9_8equal_toIvEEjEE10hipError_tPvRmT2_T3_T4_T5_mT6_T7_P12ihipStream_tbENKUlT_T0_E_clISt17integral_constantIbLb0EES11_EEDaSW_SX_EUlSW_E_NS1_11comp_targetILNS1_3genE4ELNS1_11target_archE910ELNS1_3gpuE8ELNS1_3repE0EEENS1_30default_config_static_selectorELNS0_4arch9wavefront6targetE1EEEvT1_ ; -- Begin function _ZN7rocprim17ROCPRIM_400000_NS6detail17trampoline_kernelINS0_14default_configENS1_27scan_by_key_config_selectorIijEEZZNS1_16scan_by_key_implILNS1_25lookback_scan_determinismE0ELb0ES3_N6thrust23THRUST_200600_302600_NS6detail15normal_iteratorINS9_10device_ptrIiEEEENSB_INSC_IjEEEESG_jNS9_4plusIvEENS9_8equal_toIvEEjEE10hipError_tPvRmT2_T3_T4_T5_mT6_T7_P12ihipStream_tbENKUlT_T0_E_clISt17integral_constantIbLb0EES11_EEDaSW_SX_EUlSW_E_NS1_11comp_targetILNS1_3genE4ELNS1_11target_archE910ELNS1_3gpuE8ELNS1_3repE0EEENS1_30default_config_static_selectorELNS0_4arch9wavefront6targetE1EEEvT1_
	.globl	_ZN7rocprim17ROCPRIM_400000_NS6detail17trampoline_kernelINS0_14default_configENS1_27scan_by_key_config_selectorIijEEZZNS1_16scan_by_key_implILNS1_25lookback_scan_determinismE0ELb0ES3_N6thrust23THRUST_200600_302600_NS6detail15normal_iteratorINS9_10device_ptrIiEEEENSB_INSC_IjEEEESG_jNS9_4plusIvEENS9_8equal_toIvEEjEE10hipError_tPvRmT2_T3_T4_T5_mT6_T7_P12ihipStream_tbENKUlT_T0_E_clISt17integral_constantIbLb0EES11_EEDaSW_SX_EUlSW_E_NS1_11comp_targetILNS1_3genE4ELNS1_11target_archE910ELNS1_3gpuE8ELNS1_3repE0EEENS1_30default_config_static_selectorELNS0_4arch9wavefront6targetE1EEEvT1_
	.p2align	8
	.type	_ZN7rocprim17ROCPRIM_400000_NS6detail17trampoline_kernelINS0_14default_configENS1_27scan_by_key_config_selectorIijEEZZNS1_16scan_by_key_implILNS1_25lookback_scan_determinismE0ELb0ES3_N6thrust23THRUST_200600_302600_NS6detail15normal_iteratorINS9_10device_ptrIiEEEENSB_INSC_IjEEEESG_jNS9_4plusIvEENS9_8equal_toIvEEjEE10hipError_tPvRmT2_T3_T4_T5_mT6_T7_P12ihipStream_tbENKUlT_T0_E_clISt17integral_constantIbLb0EES11_EEDaSW_SX_EUlSW_E_NS1_11comp_targetILNS1_3genE4ELNS1_11target_archE910ELNS1_3gpuE8ELNS1_3repE0EEENS1_30default_config_static_selectorELNS0_4arch9wavefront6targetE1EEEvT1_,@function
_ZN7rocprim17ROCPRIM_400000_NS6detail17trampoline_kernelINS0_14default_configENS1_27scan_by_key_config_selectorIijEEZZNS1_16scan_by_key_implILNS1_25lookback_scan_determinismE0ELb0ES3_N6thrust23THRUST_200600_302600_NS6detail15normal_iteratorINS9_10device_ptrIiEEEENSB_INSC_IjEEEESG_jNS9_4plusIvEENS9_8equal_toIvEEjEE10hipError_tPvRmT2_T3_T4_T5_mT6_T7_P12ihipStream_tbENKUlT_T0_E_clISt17integral_constantIbLb0EES11_EEDaSW_SX_EUlSW_E_NS1_11comp_targetILNS1_3genE4ELNS1_11target_archE910ELNS1_3gpuE8ELNS1_3repE0EEENS1_30default_config_static_selectorELNS0_4arch9wavefront6targetE1EEEvT1_: ; @_ZN7rocprim17ROCPRIM_400000_NS6detail17trampoline_kernelINS0_14default_configENS1_27scan_by_key_config_selectorIijEEZZNS1_16scan_by_key_implILNS1_25lookback_scan_determinismE0ELb0ES3_N6thrust23THRUST_200600_302600_NS6detail15normal_iteratorINS9_10device_ptrIiEEEENSB_INSC_IjEEEESG_jNS9_4plusIvEENS9_8equal_toIvEEjEE10hipError_tPvRmT2_T3_T4_T5_mT6_T7_P12ihipStream_tbENKUlT_T0_E_clISt17integral_constantIbLb0EES11_EEDaSW_SX_EUlSW_E_NS1_11comp_targetILNS1_3genE4ELNS1_11target_archE910ELNS1_3gpuE8ELNS1_3repE0EEENS1_30default_config_static_selectorELNS0_4arch9wavefront6targetE1EEEvT1_
; %bb.0:
	.section	.rodata,"a",@progbits
	.p2align	6, 0x0
	.amdhsa_kernel _ZN7rocprim17ROCPRIM_400000_NS6detail17trampoline_kernelINS0_14default_configENS1_27scan_by_key_config_selectorIijEEZZNS1_16scan_by_key_implILNS1_25lookback_scan_determinismE0ELb0ES3_N6thrust23THRUST_200600_302600_NS6detail15normal_iteratorINS9_10device_ptrIiEEEENSB_INSC_IjEEEESG_jNS9_4plusIvEENS9_8equal_toIvEEjEE10hipError_tPvRmT2_T3_T4_T5_mT6_T7_P12ihipStream_tbENKUlT_T0_E_clISt17integral_constantIbLb0EES11_EEDaSW_SX_EUlSW_E_NS1_11comp_targetILNS1_3genE4ELNS1_11target_archE910ELNS1_3gpuE8ELNS1_3repE0EEENS1_30default_config_static_selectorELNS0_4arch9wavefront6targetE1EEEvT1_
		.amdhsa_group_segment_fixed_size 0
		.amdhsa_private_segment_fixed_size 0
		.amdhsa_kernarg_size 112
		.amdhsa_user_sgpr_count 2
		.amdhsa_user_sgpr_dispatch_ptr 0
		.amdhsa_user_sgpr_queue_ptr 0
		.amdhsa_user_sgpr_kernarg_segment_ptr 1
		.amdhsa_user_sgpr_dispatch_id 0
		.amdhsa_user_sgpr_kernarg_preload_length 0
		.amdhsa_user_sgpr_kernarg_preload_offset 0
		.amdhsa_user_sgpr_private_segment_size 0
		.amdhsa_uses_dynamic_stack 0
		.amdhsa_enable_private_segment 0
		.amdhsa_system_sgpr_workgroup_id_x 1
		.amdhsa_system_sgpr_workgroup_id_y 0
		.amdhsa_system_sgpr_workgroup_id_z 0
		.amdhsa_system_sgpr_workgroup_info 0
		.amdhsa_system_vgpr_workitem_id 0
		.amdhsa_next_free_vgpr 1
		.amdhsa_next_free_sgpr 0
		.amdhsa_accum_offset 4
		.amdhsa_reserve_vcc 0
		.amdhsa_float_round_mode_32 0
		.amdhsa_float_round_mode_16_64 0
		.amdhsa_float_denorm_mode_32 3
		.amdhsa_float_denorm_mode_16_64 3
		.amdhsa_dx10_clamp 1
		.amdhsa_ieee_mode 1
		.amdhsa_fp16_overflow 0
		.amdhsa_tg_split 0
		.amdhsa_exception_fp_ieee_invalid_op 0
		.amdhsa_exception_fp_denorm_src 0
		.amdhsa_exception_fp_ieee_div_zero 0
		.amdhsa_exception_fp_ieee_overflow 0
		.amdhsa_exception_fp_ieee_underflow 0
		.amdhsa_exception_fp_ieee_inexact 0
		.amdhsa_exception_int_div_zero 0
	.end_amdhsa_kernel
	.section	.text._ZN7rocprim17ROCPRIM_400000_NS6detail17trampoline_kernelINS0_14default_configENS1_27scan_by_key_config_selectorIijEEZZNS1_16scan_by_key_implILNS1_25lookback_scan_determinismE0ELb0ES3_N6thrust23THRUST_200600_302600_NS6detail15normal_iteratorINS9_10device_ptrIiEEEENSB_INSC_IjEEEESG_jNS9_4plusIvEENS9_8equal_toIvEEjEE10hipError_tPvRmT2_T3_T4_T5_mT6_T7_P12ihipStream_tbENKUlT_T0_E_clISt17integral_constantIbLb0EES11_EEDaSW_SX_EUlSW_E_NS1_11comp_targetILNS1_3genE4ELNS1_11target_archE910ELNS1_3gpuE8ELNS1_3repE0EEENS1_30default_config_static_selectorELNS0_4arch9wavefront6targetE1EEEvT1_,"axG",@progbits,_ZN7rocprim17ROCPRIM_400000_NS6detail17trampoline_kernelINS0_14default_configENS1_27scan_by_key_config_selectorIijEEZZNS1_16scan_by_key_implILNS1_25lookback_scan_determinismE0ELb0ES3_N6thrust23THRUST_200600_302600_NS6detail15normal_iteratorINS9_10device_ptrIiEEEENSB_INSC_IjEEEESG_jNS9_4plusIvEENS9_8equal_toIvEEjEE10hipError_tPvRmT2_T3_T4_T5_mT6_T7_P12ihipStream_tbENKUlT_T0_E_clISt17integral_constantIbLb0EES11_EEDaSW_SX_EUlSW_E_NS1_11comp_targetILNS1_3genE4ELNS1_11target_archE910ELNS1_3gpuE8ELNS1_3repE0EEENS1_30default_config_static_selectorELNS0_4arch9wavefront6targetE1EEEvT1_,comdat
.Lfunc_end1224:
	.size	_ZN7rocprim17ROCPRIM_400000_NS6detail17trampoline_kernelINS0_14default_configENS1_27scan_by_key_config_selectorIijEEZZNS1_16scan_by_key_implILNS1_25lookback_scan_determinismE0ELb0ES3_N6thrust23THRUST_200600_302600_NS6detail15normal_iteratorINS9_10device_ptrIiEEEENSB_INSC_IjEEEESG_jNS9_4plusIvEENS9_8equal_toIvEEjEE10hipError_tPvRmT2_T3_T4_T5_mT6_T7_P12ihipStream_tbENKUlT_T0_E_clISt17integral_constantIbLb0EES11_EEDaSW_SX_EUlSW_E_NS1_11comp_targetILNS1_3genE4ELNS1_11target_archE910ELNS1_3gpuE8ELNS1_3repE0EEENS1_30default_config_static_selectorELNS0_4arch9wavefront6targetE1EEEvT1_, .Lfunc_end1224-_ZN7rocprim17ROCPRIM_400000_NS6detail17trampoline_kernelINS0_14default_configENS1_27scan_by_key_config_selectorIijEEZZNS1_16scan_by_key_implILNS1_25lookback_scan_determinismE0ELb0ES3_N6thrust23THRUST_200600_302600_NS6detail15normal_iteratorINS9_10device_ptrIiEEEENSB_INSC_IjEEEESG_jNS9_4plusIvEENS9_8equal_toIvEEjEE10hipError_tPvRmT2_T3_T4_T5_mT6_T7_P12ihipStream_tbENKUlT_T0_E_clISt17integral_constantIbLb0EES11_EEDaSW_SX_EUlSW_E_NS1_11comp_targetILNS1_3genE4ELNS1_11target_archE910ELNS1_3gpuE8ELNS1_3repE0EEENS1_30default_config_static_selectorELNS0_4arch9wavefront6targetE1EEEvT1_
                                        ; -- End function
	.section	.AMDGPU.csdata,"",@progbits
; Kernel info:
; codeLenInByte = 0
; NumSgprs: 6
; NumVgprs: 0
; NumAgprs: 0
; TotalNumVgprs: 0
; ScratchSize: 0
; MemoryBound: 0
; FloatMode: 240
; IeeeMode: 1
; LDSByteSize: 0 bytes/workgroup (compile time only)
; SGPRBlocks: 0
; VGPRBlocks: 0
; NumSGPRsForWavesPerEU: 6
; NumVGPRsForWavesPerEU: 1
; AccumOffset: 4
; Occupancy: 8
; WaveLimiterHint : 0
; COMPUTE_PGM_RSRC2:SCRATCH_EN: 0
; COMPUTE_PGM_RSRC2:USER_SGPR: 2
; COMPUTE_PGM_RSRC2:TRAP_HANDLER: 0
; COMPUTE_PGM_RSRC2:TGID_X_EN: 1
; COMPUTE_PGM_RSRC2:TGID_Y_EN: 0
; COMPUTE_PGM_RSRC2:TGID_Z_EN: 0
; COMPUTE_PGM_RSRC2:TIDIG_COMP_CNT: 0
; COMPUTE_PGM_RSRC3_GFX90A:ACCUM_OFFSET: 0
; COMPUTE_PGM_RSRC3_GFX90A:TG_SPLIT: 0
	.section	.text._ZN7rocprim17ROCPRIM_400000_NS6detail17trampoline_kernelINS0_14default_configENS1_27scan_by_key_config_selectorIijEEZZNS1_16scan_by_key_implILNS1_25lookback_scan_determinismE0ELb0ES3_N6thrust23THRUST_200600_302600_NS6detail15normal_iteratorINS9_10device_ptrIiEEEENSB_INSC_IjEEEESG_jNS9_4plusIvEENS9_8equal_toIvEEjEE10hipError_tPvRmT2_T3_T4_T5_mT6_T7_P12ihipStream_tbENKUlT_T0_E_clISt17integral_constantIbLb0EES11_EEDaSW_SX_EUlSW_E_NS1_11comp_targetILNS1_3genE3ELNS1_11target_archE908ELNS1_3gpuE7ELNS1_3repE0EEENS1_30default_config_static_selectorELNS0_4arch9wavefront6targetE1EEEvT1_,"axG",@progbits,_ZN7rocprim17ROCPRIM_400000_NS6detail17trampoline_kernelINS0_14default_configENS1_27scan_by_key_config_selectorIijEEZZNS1_16scan_by_key_implILNS1_25lookback_scan_determinismE0ELb0ES3_N6thrust23THRUST_200600_302600_NS6detail15normal_iteratorINS9_10device_ptrIiEEEENSB_INSC_IjEEEESG_jNS9_4plusIvEENS9_8equal_toIvEEjEE10hipError_tPvRmT2_T3_T4_T5_mT6_T7_P12ihipStream_tbENKUlT_T0_E_clISt17integral_constantIbLb0EES11_EEDaSW_SX_EUlSW_E_NS1_11comp_targetILNS1_3genE3ELNS1_11target_archE908ELNS1_3gpuE7ELNS1_3repE0EEENS1_30default_config_static_selectorELNS0_4arch9wavefront6targetE1EEEvT1_,comdat
	.protected	_ZN7rocprim17ROCPRIM_400000_NS6detail17trampoline_kernelINS0_14default_configENS1_27scan_by_key_config_selectorIijEEZZNS1_16scan_by_key_implILNS1_25lookback_scan_determinismE0ELb0ES3_N6thrust23THRUST_200600_302600_NS6detail15normal_iteratorINS9_10device_ptrIiEEEENSB_INSC_IjEEEESG_jNS9_4plusIvEENS9_8equal_toIvEEjEE10hipError_tPvRmT2_T3_T4_T5_mT6_T7_P12ihipStream_tbENKUlT_T0_E_clISt17integral_constantIbLb0EES11_EEDaSW_SX_EUlSW_E_NS1_11comp_targetILNS1_3genE3ELNS1_11target_archE908ELNS1_3gpuE7ELNS1_3repE0EEENS1_30default_config_static_selectorELNS0_4arch9wavefront6targetE1EEEvT1_ ; -- Begin function _ZN7rocprim17ROCPRIM_400000_NS6detail17trampoline_kernelINS0_14default_configENS1_27scan_by_key_config_selectorIijEEZZNS1_16scan_by_key_implILNS1_25lookback_scan_determinismE0ELb0ES3_N6thrust23THRUST_200600_302600_NS6detail15normal_iteratorINS9_10device_ptrIiEEEENSB_INSC_IjEEEESG_jNS9_4plusIvEENS9_8equal_toIvEEjEE10hipError_tPvRmT2_T3_T4_T5_mT6_T7_P12ihipStream_tbENKUlT_T0_E_clISt17integral_constantIbLb0EES11_EEDaSW_SX_EUlSW_E_NS1_11comp_targetILNS1_3genE3ELNS1_11target_archE908ELNS1_3gpuE7ELNS1_3repE0EEENS1_30default_config_static_selectorELNS0_4arch9wavefront6targetE1EEEvT1_
	.globl	_ZN7rocprim17ROCPRIM_400000_NS6detail17trampoline_kernelINS0_14default_configENS1_27scan_by_key_config_selectorIijEEZZNS1_16scan_by_key_implILNS1_25lookback_scan_determinismE0ELb0ES3_N6thrust23THRUST_200600_302600_NS6detail15normal_iteratorINS9_10device_ptrIiEEEENSB_INSC_IjEEEESG_jNS9_4plusIvEENS9_8equal_toIvEEjEE10hipError_tPvRmT2_T3_T4_T5_mT6_T7_P12ihipStream_tbENKUlT_T0_E_clISt17integral_constantIbLb0EES11_EEDaSW_SX_EUlSW_E_NS1_11comp_targetILNS1_3genE3ELNS1_11target_archE908ELNS1_3gpuE7ELNS1_3repE0EEENS1_30default_config_static_selectorELNS0_4arch9wavefront6targetE1EEEvT1_
	.p2align	8
	.type	_ZN7rocprim17ROCPRIM_400000_NS6detail17trampoline_kernelINS0_14default_configENS1_27scan_by_key_config_selectorIijEEZZNS1_16scan_by_key_implILNS1_25lookback_scan_determinismE0ELb0ES3_N6thrust23THRUST_200600_302600_NS6detail15normal_iteratorINS9_10device_ptrIiEEEENSB_INSC_IjEEEESG_jNS9_4plusIvEENS9_8equal_toIvEEjEE10hipError_tPvRmT2_T3_T4_T5_mT6_T7_P12ihipStream_tbENKUlT_T0_E_clISt17integral_constantIbLb0EES11_EEDaSW_SX_EUlSW_E_NS1_11comp_targetILNS1_3genE3ELNS1_11target_archE908ELNS1_3gpuE7ELNS1_3repE0EEENS1_30default_config_static_selectorELNS0_4arch9wavefront6targetE1EEEvT1_,@function
_ZN7rocprim17ROCPRIM_400000_NS6detail17trampoline_kernelINS0_14default_configENS1_27scan_by_key_config_selectorIijEEZZNS1_16scan_by_key_implILNS1_25lookback_scan_determinismE0ELb0ES3_N6thrust23THRUST_200600_302600_NS6detail15normal_iteratorINS9_10device_ptrIiEEEENSB_INSC_IjEEEESG_jNS9_4plusIvEENS9_8equal_toIvEEjEE10hipError_tPvRmT2_T3_T4_T5_mT6_T7_P12ihipStream_tbENKUlT_T0_E_clISt17integral_constantIbLb0EES11_EEDaSW_SX_EUlSW_E_NS1_11comp_targetILNS1_3genE3ELNS1_11target_archE908ELNS1_3gpuE7ELNS1_3repE0EEENS1_30default_config_static_selectorELNS0_4arch9wavefront6targetE1EEEvT1_: ; @_ZN7rocprim17ROCPRIM_400000_NS6detail17trampoline_kernelINS0_14default_configENS1_27scan_by_key_config_selectorIijEEZZNS1_16scan_by_key_implILNS1_25lookback_scan_determinismE0ELb0ES3_N6thrust23THRUST_200600_302600_NS6detail15normal_iteratorINS9_10device_ptrIiEEEENSB_INSC_IjEEEESG_jNS9_4plusIvEENS9_8equal_toIvEEjEE10hipError_tPvRmT2_T3_T4_T5_mT6_T7_P12ihipStream_tbENKUlT_T0_E_clISt17integral_constantIbLb0EES11_EEDaSW_SX_EUlSW_E_NS1_11comp_targetILNS1_3genE3ELNS1_11target_archE908ELNS1_3gpuE7ELNS1_3repE0EEENS1_30default_config_static_selectorELNS0_4arch9wavefront6targetE1EEEvT1_
; %bb.0:
	.section	.rodata,"a",@progbits
	.p2align	6, 0x0
	.amdhsa_kernel _ZN7rocprim17ROCPRIM_400000_NS6detail17trampoline_kernelINS0_14default_configENS1_27scan_by_key_config_selectorIijEEZZNS1_16scan_by_key_implILNS1_25lookback_scan_determinismE0ELb0ES3_N6thrust23THRUST_200600_302600_NS6detail15normal_iteratorINS9_10device_ptrIiEEEENSB_INSC_IjEEEESG_jNS9_4plusIvEENS9_8equal_toIvEEjEE10hipError_tPvRmT2_T3_T4_T5_mT6_T7_P12ihipStream_tbENKUlT_T0_E_clISt17integral_constantIbLb0EES11_EEDaSW_SX_EUlSW_E_NS1_11comp_targetILNS1_3genE3ELNS1_11target_archE908ELNS1_3gpuE7ELNS1_3repE0EEENS1_30default_config_static_selectorELNS0_4arch9wavefront6targetE1EEEvT1_
		.amdhsa_group_segment_fixed_size 0
		.amdhsa_private_segment_fixed_size 0
		.amdhsa_kernarg_size 112
		.amdhsa_user_sgpr_count 2
		.amdhsa_user_sgpr_dispatch_ptr 0
		.amdhsa_user_sgpr_queue_ptr 0
		.amdhsa_user_sgpr_kernarg_segment_ptr 1
		.amdhsa_user_sgpr_dispatch_id 0
		.amdhsa_user_sgpr_kernarg_preload_length 0
		.amdhsa_user_sgpr_kernarg_preload_offset 0
		.amdhsa_user_sgpr_private_segment_size 0
		.amdhsa_uses_dynamic_stack 0
		.amdhsa_enable_private_segment 0
		.amdhsa_system_sgpr_workgroup_id_x 1
		.amdhsa_system_sgpr_workgroup_id_y 0
		.amdhsa_system_sgpr_workgroup_id_z 0
		.amdhsa_system_sgpr_workgroup_info 0
		.amdhsa_system_vgpr_workitem_id 0
		.amdhsa_next_free_vgpr 1
		.amdhsa_next_free_sgpr 0
		.amdhsa_accum_offset 4
		.amdhsa_reserve_vcc 0
		.amdhsa_float_round_mode_32 0
		.amdhsa_float_round_mode_16_64 0
		.amdhsa_float_denorm_mode_32 3
		.amdhsa_float_denorm_mode_16_64 3
		.amdhsa_dx10_clamp 1
		.amdhsa_ieee_mode 1
		.amdhsa_fp16_overflow 0
		.amdhsa_tg_split 0
		.amdhsa_exception_fp_ieee_invalid_op 0
		.amdhsa_exception_fp_denorm_src 0
		.amdhsa_exception_fp_ieee_div_zero 0
		.amdhsa_exception_fp_ieee_overflow 0
		.amdhsa_exception_fp_ieee_underflow 0
		.amdhsa_exception_fp_ieee_inexact 0
		.amdhsa_exception_int_div_zero 0
	.end_amdhsa_kernel
	.section	.text._ZN7rocprim17ROCPRIM_400000_NS6detail17trampoline_kernelINS0_14default_configENS1_27scan_by_key_config_selectorIijEEZZNS1_16scan_by_key_implILNS1_25lookback_scan_determinismE0ELb0ES3_N6thrust23THRUST_200600_302600_NS6detail15normal_iteratorINS9_10device_ptrIiEEEENSB_INSC_IjEEEESG_jNS9_4plusIvEENS9_8equal_toIvEEjEE10hipError_tPvRmT2_T3_T4_T5_mT6_T7_P12ihipStream_tbENKUlT_T0_E_clISt17integral_constantIbLb0EES11_EEDaSW_SX_EUlSW_E_NS1_11comp_targetILNS1_3genE3ELNS1_11target_archE908ELNS1_3gpuE7ELNS1_3repE0EEENS1_30default_config_static_selectorELNS0_4arch9wavefront6targetE1EEEvT1_,"axG",@progbits,_ZN7rocprim17ROCPRIM_400000_NS6detail17trampoline_kernelINS0_14default_configENS1_27scan_by_key_config_selectorIijEEZZNS1_16scan_by_key_implILNS1_25lookback_scan_determinismE0ELb0ES3_N6thrust23THRUST_200600_302600_NS6detail15normal_iteratorINS9_10device_ptrIiEEEENSB_INSC_IjEEEESG_jNS9_4plusIvEENS9_8equal_toIvEEjEE10hipError_tPvRmT2_T3_T4_T5_mT6_T7_P12ihipStream_tbENKUlT_T0_E_clISt17integral_constantIbLb0EES11_EEDaSW_SX_EUlSW_E_NS1_11comp_targetILNS1_3genE3ELNS1_11target_archE908ELNS1_3gpuE7ELNS1_3repE0EEENS1_30default_config_static_selectorELNS0_4arch9wavefront6targetE1EEEvT1_,comdat
.Lfunc_end1225:
	.size	_ZN7rocprim17ROCPRIM_400000_NS6detail17trampoline_kernelINS0_14default_configENS1_27scan_by_key_config_selectorIijEEZZNS1_16scan_by_key_implILNS1_25lookback_scan_determinismE0ELb0ES3_N6thrust23THRUST_200600_302600_NS6detail15normal_iteratorINS9_10device_ptrIiEEEENSB_INSC_IjEEEESG_jNS9_4plusIvEENS9_8equal_toIvEEjEE10hipError_tPvRmT2_T3_T4_T5_mT6_T7_P12ihipStream_tbENKUlT_T0_E_clISt17integral_constantIbLb0EES11_EEDaSW_SX_EUlSW_E_NS1_11comp_targetILNS1_3genE3ELNS1_11target_archE908ELNS1_3gpuE7ELNS1_3repE0EEENS1_30default_config_static_selectorELNS0_4arch9wavefront6targetE1EEEvT1_, .Lfunc_end1225-_ZN7rocprim17ROCPRIM_400000_NS6detail17trampoline_kernelINS0_14default_configENS1_27scan_by_key_config_selectorIijEEZZNS1_16scan_by_key_implILNS1_25lookback_scan_determinismE0ELb0ES3_N6thrust23THRUST_200600_302600_NS6detail15normal_iteratorINS9_10device_ptrIiEEEENSB_INSC_IjEEEESG_jNS9_4plusIvEENS9_8equal_toIvEEjEE10hipError_tPvRmT2_T3_T4_T5_mT6_T7_P12ihipStream_tbENKUlT_T0_E_clISt17integral_constantIbLb0EES11_EEDaSW_SX_EUlSW_E_NS1_11comp_targetILNS1_3genE3ELNS1_11target_archE908ELNS1_3gpuE7ELNS1_3repE0EEENS1_30default_config_static_selectorELNS0_4arch9wavefront6targetE1EEEvT1_
                                        ; -- End function
	.section	.AMDGPU.csdata,"",@progbits
; Kernel info:
; codeLenInByte = 0
; NumSgprs: 6
; NumVgprs: 0
; NumAgprs: 0
; TotalNumVgprs: 0
; ScratchSize: 0
; MemoryBound: 0
; FloatMode: 240
; IeeeMode: 1
; LDSByteSize: 0 bytes/workgroup (compile time only)
; SGPRBlocks: 0
; VGPRBlocks: 0
; NumSGPRsForWavesPerEU: 6
; NumVGPRsForWavesPerEU: 1
; AccumOffset: 4
; Occupancy: 8
; WaveLimiterHint : 0
; COMPUTE_PGM_RSRC2:SCRATCH_EN: 0
; COMPUTE_PGM_RSRC2:USER_SGPR: 2
; COMPUTE_PGM_RSRC2:TRAP_HANDLER: 0
; COMPUTE_PGM_RSRC2:TGID_X_EN: 1
; COMPUTE_PGM_RSRC2:TGID_Y_EN: 0
; COMPUTE_PGM_RSRC2:TGID_Z_EN: 0
; COMPUTE_PGM_RSRC2:TIDIG_COMP_CNT: 0
; COMPUTE_PGM_RSRC3_GFX90A:ACCUM_OFFSET: 0
; COMPUTE_PGM_RSRC3_GFX90A:TG_SPLIT: 0
	.section	.text._ZN7rocprim17ROCPRIM_400000_NS6detail17trampoline_kernelINS0_14default_configENS1_27scan_by_key_config_selectorIijEEZZNS1_16scan_by_key_implILNS1_25lookback_scan_determinismE0ELb0ES3_N6thrust23THRUST_200600_302600_NS6detail15normal_iteratorINS9_10device_ptrIiEEEENSB_INSC_IjEEEESG_jNS9_4plusIvEENS9_8equal_toIvEEjEE10hipError_tPvRmT2_T3_T4_T5_mT6_T7_P12ihipStream_tbENKUlT_T0_E_clISt17integral_constantIbLb0EES11_EEDaSW_SX_EUlSW_E_NS1_11comp_targetILNS1_3genE2ELNS1_11target_archE906ELNS1_3gpuE6ELNS1_3repE0EEENS1_30default_config_static_selectorELNS0_4arch9wavefront6targetE1EEEvT1_,"axG",@progbits,_ZN7rocprim17ROCPRIM_400000_NS6detail17trampoline_kernelINS0_14default_configENS1_27scan_by_key_config_selectorIijEEZZNS1_16scan_by_key_implILNS1_25lookback_scan_determinismE0ELb0ES3_N6thrust23THRUST_200600_302600_NS6detail15normal_iteratorINS9_10device_ptrIiEEEENSB_INSC_IjEEEESG_jNS9_4plusIvEENS9_8equal_toIvEEjEE10hipError_tPvRmT2_T3_T4_T5_mT6_T7_P12ihipStream_tbENKUlT_T0_E_clISt17integral_constantIbLb0EES11_EEDaSW_SX_EUlSW_E_NS1_11comp_targetILNS1_3genE2ELNS1_11target_archE906ELNS1_3gpuE6ELNS1_3repE0EEENS1_30default_config_static_selectorELNS0_4arch9wavefront6targetE1EEEvT1_,comdat
	.protected	_ZN7rocprim17ROCPRIM_400000_NS6detail17trampoline_kernelINS0_14default_configENS1_27scan_by_key_config_selectorIijEEZZNS1_16scan_by_key_implILNS1_25lookback_scan_determinismE0ELb0ES3_N6thrust23THRUST_200600_302600_NS6detail15normal_iteratorINS9_10device_ptrIiEEEENSB_INSC_IjEEEESG_jNS9_4plusIvEENS9_8equal_toIvEEjEE10hipError_tPvRmT2_T3_T4_T5_mT6_T7_P12ihipStream_tbENKUlT_T0_E_clISt17integral_constantIbLb0EES11_EEDaSW_SX_EUlSW_E_NS1_11comp_targetILNS1_3genE2ELNS1_11target_archE906ELNS1_3gpuE6ELNS1_3repE0EEENS1_30default_config_static_selectorELNS0_4arch9wavefront6targetE1EEEvT1_ ; -- Begin function _ZN7rocprim17ROCPRIM_400000_NS6detail17trampoline_kernelINS0_14default_configENS1_27scan_by_key_config_selectorIijEEZZNS1_16scan_by_key_implILNS1_25lookback_scan_determinismE0ELb0ES3_N6thrust23THRUST_200600_302600_NS6detail15normal_iteratorINS9_10device_ptrIiEEEENSB_INSC_IjEEEESG_jNS9_4plusIvEENS9_8equal_toIvEEjEE10hipError_tPvRmT2_T3_T4_T5_mT6_T7_P12ihipStream_tbENKUlT_T0_E_clISt17integral_constantIbLb0EES11_EEDaSW_SX_EUlSW_E_NS1_11comp_targetILNS1_3genE2ELNS1_11target_archE906ELNS1_3gpuE6ELNS1_3repE0EEENS1_30default_config_static_selectorELNS0_4arch9wavefront6targetE1EEEvT1_
	.globl	_ZN7rocprim17ROCPRIM_400000_NS6detail17trampoline_kernelINS0_14default_configENS1_27scan_by_key_config_selectorIijEEZZNS1_16scan_by_key_implILNS1_25lookback_scan_determinismE0ELb0ES3_N6thrust23THRUST_200600_302600_NS6detail15normal_iteratorINS9_10device_ptrIiEEEENSB_INSC_IjEEEESG_jNS9_4plusIvEENS9_8equal_toIvEEjEE10hipError_tPvRmT2_T3_T4_T5_mT6_T7_P12ihipStream_tbENKUlT_T0_E_clISt17integral_constantIbLb0EES11_EEDaSW_SX_EUlSW_E_NS1_11comp_targetILNS1_3genE2ELNS1_11target_archE906ELNS1_3gpuE6ELNS1_3repE0EEENS1_30default_config_static_selectorELNS0_4arch9wavefront6targetE1EEEvT1_
	.p2align	8
	.type	_ZN7rocprim17ROCPRIM_400000_NS6detail17trampoline_kernelINS0_14default_configENS1_27scan_by_key_config_selectorIijEEZZNS1_16scan_by_key_implILNS1_25lookback_scan_determinismE0ELb0ES3_N6thrust23THRUST_200600_302600_NS6detail15normal_iteratorINS9_10device_ptrIiEEEENSB_INSC_IjEEEESG_jNS9_4plusIvEENS9_8equal_toIvEEjEE10hipError_tPvRmT2_T3_T4_T5_mT6_T7_P12ihipStream_tbENKUlT_T0_E_clISt17integral_constantIbLb0EES11_EEDaSW_SX_EUlSW_E_NS1_11comp_targetILNS1_3genE2ELNS1_11target_archE906ELNS1_3gpuE6ELNS1_3repE0EEENS1_30default_config_static_selectorELNS0_4arch9wavefront6targetE1EEEvT1_,@function
_ZN7rocprim17ROCPRIM_400000_NS6detail17trampoline_kernelINS0_14default_configENS1_27scan_by_key_config_selectorIijEEZZNS1_16scan_by_key_implILNS1_25lookback_scan_determinismE0ELb0ES3_N6thrust23THRUST_200600_302600_NS6detail15normal_iteratorINS9_10device_ptrIiEEEENSB_INSC_IjEEEESG_jNS9_4plusIvEENS9_8equal_toIvEEjEE10hipError_tPvRmT2_T3_T4_T5_mT6_T7_P12ihipStream_tbENKUlT_T0_E_clISt17integral_constantIbLb0EES11_EEDaSW_SX_EUlSW_E_NS1_11comp_targetILNS1_3genE2ELNS1_11target_archE906ELNS1_3gpuE6ELNS1_3repE0EEENS1_30default_config_static_selectorELNS0_4arch9wavefront6targetE1EEEvT1_: ; @_ZN7rocprim17ROCPRIM_400000_NS6detail17trampoline_kernelINS0_14default_configENS1_27scan_by_key_config_selectorIijEEZZNS1_16scan_by_key_implILNS1_25lookback_scan_determinismE0ELb0ES3_N6thrust23THRUST_200600_302600_NS6detail15normal_iteratorINS9_10device_ptrIiEEEENSB_INSC_IjEEEESG_jNS9_4plusIvEENS9_8equal_toIvEEjEE10hipError_tPvRmT2_T3_T4_T5_mT6_T7_P12ihipStream_tbENKUlT_T0_E_clISt17integral_constantIbLb0EES11_EEDaSW_SX_EUlSW_E_NS1_11comp_targetILNS1_3genE2ELNS1_11target_archE906ELNS1_3gpuE6ELNS1_3repE0EEENS1_30default_config_static_selectorELNS0_4arch9wavefront6targetE1EEEvT1_
; %bb.0:
	.section	.rodata,"a",@progbits
	.p2align	6, 0x0
	.amdhsa_kernel _ZN7rocprim17ROCPRIM_400000_NS6detail17trampoline_kernelINS0_14default_configENS1_27scan_by_key_config_selectorIijEEZZNS1_16scan_by_key_implILNS1_25lookback_scan_determinismE0ELb0ES3_N6thrust23THRUST_200600_302600_NS6detail15normal_iteratorINS9_10device_ptrIiEEEENSB_INSC_IjEEEESG_jNS9_4plusIvEENS9_8equal_toIvEEjEE10hipError_tPvRmT2_T3_T4_T5_mT6_T7_P12ihipStream_tbENKUlT_T0_E_clISt17integral_constantIbLb0EES11_EEDaSW_SX_EUlSW_E_NS1_11comp_targetILNS1_3genE2ELNS1_11target_archE906ELNS1_3gpuE6ELNS1_3repE0EEENS1_30default_config_static_selectorELNS0_4arch9wavefront6targetE1EEEvT1_
		.amdhsa_group_segment_fixed_size 0
		.amdhsa_private_segment_fixed_size 0
		.amdhsa_kernarg_size 112
		.amdhsa_user_sgpr_count 2
		.amdhsa_user_sgpr_dispatch_ptr 0
		.amdhsa_user_sgpr_queue_ptr 0
		.amdhsa_user_sgpr_kernarg_segment_ptr 1
		.amdhsa_user_sgpr_dispatch_id 0
		.amdhsa_user_sgpr_kernarg_preload_length 0
		.amdhsa_user_sgpr_kernarg_preload_offset 0
		.amdhsa_user_sgpr_private_segment_size 0
		.amdhsa_uses_dynamic_stack 0
		.amdhsa_enable_private_segment 0
		.amdhsa_system_sgpr_workgroup_id_x 1
		.amdhsa_system_sgpr_workgroup_id_y 0
		.amdhsa_system_sgpr_workgroup_id_z 0
		.amdhsa_system_sgpr_workgroup_info 0
		.amdhsa_system_vgpr_workitem_id 0
		.amdhsa_next_free_vgpr 1
		.amdhsa_next_free_sgpr 0
		.amdhsa_accum_offset 4
		.amdhsa_reserve_vcc 0
		.amdhsa_float_round_mode_32 0
		.amdhsa_float_round_mode_16_64 0
		.amdhsa_float_denorm_mode_32 3
		.amdhsa_float_denorm_mode_16_64 3
		.amdhsa_dx10_clamp 1
		.amdhsa_ieee_mode 1
		.amdhsa_fp16_overflow 0
		.amdhsa_tg_split 0
		.amdhsa_exception_fp_ieee_invalid_op 0
		.amdhsa_exception_fp_denorm_src 0
		.amdhsa_exception_fp_ieee_div_zero 0
		.amdhsa_exception_fp_ieee_overflow 0
		.amdhsa_exception_fp_ieee_underflow 0
		.amdhsa_exception_fp_ieee_inexact 0
		.amdhsa_exception_int_div_zero 0
	.end_amdhsa_kernel
	.section	.text._ZN7rocprim17ROCPRIM_400000_NS6detail17trampoline_kernelINS0_14default_configENS1_27scan_by_key_config_selectorIijEEZZNS1_16scan_by_key_implILNS1_25lookback_scan_determinismE0ELb0ES3_N6thrust23THRUST_200600_302600_NS6detail15normal_iteratorINS9_10device_ptrIiEEEENSB_INSC_IjEEEESG_jNS9_4plusIvEENS9_8equal_toIvEEjEE10hipError_tPvRmT2_T3_T4_T5_mT6_T7_P12ihipStream_tbENKUlT_T0_E_clISt17integral_constantIbLb0EES11_EEDaSW_SX_EUlSW_E_NS1_11comp_targetILNS1_3genE2ELNS1_11target_archE906ELNS1_3gpuE6ELNS1_3repE0EEENS1_30default_config_static_selectorELNS0_4arch9wavefront6targetE1EEEvT1_,"axG",@progbits,_ZN7rocprim17ROCPRIM_400000_NS6detail17trampoline_kernelINS0_14default_configENS1_27scan_by_key_config_selectorIijEEZZNS1_16scan_by_key_implILNS1_25lookback_scan_determinismE0ELb0ES3_N6thrust23THRUST_200600_302600_NS6detail15normal_iteratorINS9_10device_ptrIiEEEENSB_INSC_IjEEEESG_jNS9_4plusIvEENS9_8equal_toIvEEjEE10hipError_tPvRmT2_T3_T4_T5_mT6_T7_P12ihipStream_tbENKUlT_T0_E_clISt17integral_constantIbLb0EES11_EEDaSW_SX_EUlSW_E_NS1_11comp_targetILNS1_3genE2ELNS1_11target_archE906ELNS1_3gpuE6ELNS1_3repE0EEENS1_30default_config_static_selectorELNS0_4arch9wavefront6targetE1EEEvT1_,comdat
.Lfunc_end1226:
	.size	_ZN7rocprim17ROCPRIM_400000_NS6detail17trampoline_kernelINS0_14default_configENS1_27scan_by_key_config_selectorIijEEZZNS1_16scan_by_key_implILNS1_25lookback_scan_determinismE0ELb0ES3_N6thrust23THRUST_200600_302600_NS6detail15normal_iteratorINS9_10device_ptrIiEEEENSB_INSC_IjEEEESG_jNS9_4plusIvEENS9_8equal_toIvEEjEE10hipError_tPvRmT2_T3_T4_T5_mT6_T7_P12ihipStream_tbENKUlT_T0_E_clISt17integral_constantIbLb0EES11_EEDaSW_SX_EUlSW_E_NS1_11comp_targetILNS1_3genE2ELNS1_11target_archE906ELNS1_3gpuE6ELNS1_3repE0EEENS1_30default_config_static_selectorELNS0_4arch9wavefront6targetE1EEEvT1_, .Lfunc_end1226-_ZN7rocprim17ROCPRIM_400000_NS6detail17trampoline_kernelINS0_14default_configENS1_27scan_by_key_config_selectorIijEEZZNS1_16scan_by_key_implILNS1_25lookback_scan_determinismE0ELb0ES3_N6thrust23THRUST_200600_302600_NS6detail15normal_iteratorINS9_10device_ptrIiEEEENSB_INSC_IjEEEESG_jNS9_4plusIvEENS9_8equal_toIvEEjEE10hipError_tPvRmT2_T3_T4_T5_mT6_T7_P12ihipStream_tbENKUlT_T0_E_clISt17integral_constantIbLb0EES11_EEDaSW_SX_EUlSW_E_NS1_11comp_targetILNS1_3genE2ELNS1_11target_archE906ELNS1_3gpuE6ELNS1_3repE0EEENS1_30default_config_static_selectorELNS0_4arch9wavefront6targetE1EEEvT1_
                                        ; -- End function
	.section	.AMDGPU.csdata,"",@progbits
; Kernel info:
; codeLenInByte = 0
; NumSgprs: 6
; NumVgprs: 0
; NumAgprs: 0
; TotalNumVgprs: 0
; ScratchSize: 0
; MemoryBound: 0
; FloatMode: 240
; IeeeMode: 1
; LDSByteSize: 0 bytes/workgroup (compile time only)
; SGPRBlocks: 0
; VGPRBlocks: 0
; NumSGPRsForWavesPerEU: 6
; NumVGPRsForWavesPerEU: 1
; AccumOffset: 4
; Occupancy: 8
; WaveLimiterHint : 0
; COMPUTE_PGM_RSRC2:SCRATCH_EN: 0
; COMPUTE_PGM_RSRC2:USER_SGPR: 2
; COMPUTE_PGM_RSRC2:TRAP_HANDLER: 0
; COMPUTE_PGM_RSRC2:TGID_X_EN: 1
; COMPUTE_PGM_RSRC2:TGID_Y_EN: 0
; COMPUTE_PGM_RSRC2:TGID_Z_EN: 0
; COMPUTE_PGM_RSRC2:TIDIG_COMP_CNT: 0
; COMPUTE_PGM_RSRC3_GFX90A:ACCUM_OFFSET: 0
; COMPUTE_PGM_RSRC3_GFX90A:TG_SPLIT: 0
	.section	.text._ZN7rocprim17ROCPRIM_400000_NS6detail17trampoline_kernelINS0_14default_configENS1_27scan_by_key_config_selectorIijEEZZNS1_16scan_by_key_implILNS1_25lookback_scan_determinismE0ELb0ES3_N6thrust23THRUST_200600_302600_NS6detail15normal_iteratorINS9_10device_ptrIiEEEENSB_INSC_IjEEEESG_jNS9_4plusIvEENS9_8equal_toIvEEjEE10hipError_tPvRmT2_T3_T4_T5_mT6_T7_P12ihipStream_tbENKUlT_T0_E_clISt17integral_constantIbLb0EES11_EEDaSW_SX_EUlSW_E_NS1_11comp_targetILNS1_3genE10ELNS1_11target_archE1200ELNS1_3gpuE4ELNS1_3repE0EEENS1_30default_config_static_selectorELNS0_4arch9wavefront6targetE1EEEvT1_,"axG",@progbits,_ZN7rocprim17ROCPRIM_400000_NS6detail17trampoline_kernelINS0_14default_configENS1_27scan_by_key_config_selectorIijEEZZNS1_16scan_by_key_implILNS1_25lookback_scan_determinismE0ELb0ES3_N6thrust23THRUST_200600_302600_NS6detail15normal_iteratorINS9_10device_ptrIiEEEENSB_INSC_IjEEEESG_jNS9_4plusIvEENS9_8equal_toIvEEjEE10hipError_tPvRmT2_T3_T4_T5_mT6_T7_P12ihipStream_tbENKUlT_T0_E_clISt17integral_constantIbLb0EES11_EEDaSW_SX_EUlSW_E_NS1_11comp_targetILNS1_3genE10ELNS1_11target_archE1200ELNS1_3gpuE4ELNS1_3repE0EEENS1_30default_config_static_selectorELNS0_4arch9wavefront6targetE1EEEvT1_,comdat
	.protected	_ZN7rocprim17ROCPRIM_400000_NS6detail17trampoline_kernelINS0_14default_configENS1_27scan_by_key_config_selectorIijEEZZNS1_16scan_by_key_implILNS1_25lookback_scan_determinismE0ELb0ES3_N6thrust23THRUST_200600_302600_NS6detail15normal_iteratorINS9_10device_ptrIiEEEENSB_INSC_IjEEEESG_jNS9_4plusIvEENS9_8equal_toIvEEjEE10hipError_tPvRmT2_T3_T4_T5_mT6_T7_P12ihipStream_tbENKUlT_T0_E_clISt17integral_constantIbLb0EES11_EEDaSW_SX_EUlSW_E_NS1_11comp_targetILNS1_3genE10ELNS1_11target_archE1200ELNS1_3gpuE4ELNS1_3repE0EEENS1_30default_config_static_selectorELNS0_4arch9wavefront6targetE1EEEvT1_ ; -- Begin function _ZN7rocprim17ROCPRIM_400000_NS6detail17trampoline_kernelINS0_14default_configENS1_27scan_by_key_config_selectorIijEEZZNS1_16scan_by_key_implILNS1_25lookback_scan_determinismE0ELb0ES3_N6thrust23THRUST_200600_302600_NS6detail15normal_iteratorINS9_10device_ptrIiEEEENSB_INSC_IjEEEESG_jNS9_4plusIvEENS9_8equal_toIvEEjEE10hipError_tPvRmT2_T3_T4_T5_mT6_T7_P12ihipStream_tbENKUlT_T0_E_clISt17integral_constantIbLb0EES11_EEDaSW_SX_EUlSW_E_NS1_11comp_targetILNS1_3genE10ELNS1_11target_archE1200ELNS1_3gpuE4ELNS1_3repE0EEENS1_30default_config_static_selectorELNS0_4arch9wavefront6targetE1EEEvT1_
	.globl	_ZN7rocprim17ROCPRIM_400000_NS6detail17trampoline_kernelINS0_14default_configENS1_27scan_by_key_config_selectorIijEEZZNS1_16scan_by_key_implILNS1_25lookback_scan_determinismE0ELb0ES3_N6thrust23THRUST_200600_302600_NS6detail15normal_iteratorINS9_10device_ptrIiEEEENSB_INSC_IjEEEESG_jNS9_4plusIvEENS9_8equal_toIvEEjEE10hipError_tPvRmT2_T3_T4_T5_mT6_T7_P12ihipStream_tbENKUlT_T0_E_clISt17integral_constantIbLb0EES11_EEDaSW_SX_EUlSW_E_NS1_11comp_targetILNS1_3genE10ELNS1_11target_archE1200ELNS1_3gpuE4ELNS1_3repE0EEENS1_30default_config_static_selectorELNS0_4arch9wavefront6targetE1EEEvT1_
	.p2align	8
	.type	_ZN7rocprim17ROCPRIM_400000_NS6detail17trampoline_kernelINS0_14default_configENS1_27scan_by_key_config_selectorIijEEZZNS1_16scan_by_key_implILNS1_25lookback_scan_determinismE0ELb0ES3_N6thrust23THRUST_200600_302600_NS6detail15normal_iteratorINS9_10device_ptrIiEEEENSB_INSC_IjEEEESG_jNS9_4plusIvEENS9_8equal_toIvEEjEE10hipError_tPvRmT2_T3_T4_T5_mT6_T7_P12ihipStream_tbENKUlT_T0_E_clISt17integral_constantIbLb0EES11_EEDaSW_SX_EUlSW_E_NS1_11comp_targetILNS1_3genE10ELNS1_11target_archE1200ELNS1_3gpuE4ELNS1_3repE0EEENS1_30default_config_static_selectorELNS0_4arch9wavefront6targetE1EEEvT1_,@function
_ZN7rocprim17ROCPRIM_400000_NS6detail17trampoline_kernelINS0_14default_configENS1_27scan_by_key_config_selectorIijEEZZNS1_16scan_by_key_implILNS1_25lookback_scan_determinismE0ELb0ES3_N6thrust23THRUST_200600_302600_NS6detail15normal_iteratorINS9_10device_ptrIiEEEENSB_INSC_IjEEEESG_jNS9_4plusIvEENS9_8equal_toIvEEjEE10hipError_tPvRmT2_T3_T4_T5_mT6_T7_P12ihipStream_tbENKUlT_T0_E_clISt17integral_constantIbLb0EES11_EEDaSW_SX_EUlSW_E_NS1_11comp_targetILNS1_3genE10ELNS1_11target_archE1200ELNS1_3gpuE4ELNS1_3repE0EEENS1_30default_config_static_selectorELNS0_4arch9wavefront6targetE1EEEvT1_: ; @_ZN7rocprim17ROCPRIM_400000_NS6detail17trampoline_kernelINS0_14default_configENS1_27scan_by_key_config_selectorIijEEZZNS1_16scan_by_key_implILNS1_25lookback_scan_determinismE0ELb0ES3_N6thrust23THRUST_200600_302600_NS6detail15normal_iteratorINS9_10device_ptrIiEEEENSB_INSC_IjEEEESG_jNS9_4plusIvEENS9_8equal_toIvEEjEE10hipError_tPvRmT2_T3_T4_T5_mT6_T7_P12ihipStream_tbENKUlT_T0_E_clISt17integral_constantIbLb0EES11_EEDaSW_SX_EUlSW_E_NS1_11comp_targetILNS1_3genE10ELNS1_11target_archE1200ELNS1_3gpuE4ELNS1_3repE0EEENS1_30default_config_static_selectorELNS0_4arch9wavefront6targetE1EEEvT1_
; %bb.0:
	.section	.rodata,"a",@progbits
	.p2align	6, 0x0
	.amdhsa_kernel _ZN7rocprim17ROCPRIM_400000_NS6detail17trampoline_kernelINS0_14default_configENS1_27scan_by_key_config_selectorIijEEZZNS1_16scan_by_key_implILNS1_25lookback_scan_determinismE0ELb0ES3_N6thrust23THRUST_200600_302600_NS6detail15normal_iteratorINS9_10device_ptrIiEEEENSB_INSC_IjEEEESG_jNS9_4plusIvEENS9_8equal_toIvEEjEE10hipError_tPvRmT2_T3_T4_T5_mT6_T7_P12ihipStream_tbENKUlT_T0_E_clISt17integral_constantIbLb0EES11_EEDaSW_SX_EUlSW_E_NS1_11comp_targetILNS1_3genE10ELNS1_11target_archE1200ELNS1_3gpuE4ELNS1_3repE0EEENS1_30default_config_static_selectorELNS0_4arch9wavefront6targetE1EEEvT1_
		.amdhsa_group_segment_fixed_size 0
		.amdhsa_private_segment_fixed_size 0
		.amdhsa_kernarg_size 112
		.amdhsa_user_sgpr_count 2
		.amdhsa_user_sgpr_dispatch_ptr 0
		.amdhsa_user_sgpr_queue_ptr 0
		.amdhsa_user_sgpr_kernarg_segment_ptr 1
		.amdhsa_user_sgpr_dispatch_id 0
		.amdhsa_user_sgpr_kernarg_preload_length 0
		.amdhsa_user_sgpr_kernarg_preload_offset 0
		.amdhsa_user_sgpr_private_segment_size 0
		.amdhsa_uses_dynamic_stack 0
		.amdhsa_enable_private_segment 0
		.amdhsa_system_sgpr_workgroup_id_x 1
		.amdhsa_system_sgpr_workgroup_id_y 0
		.amdhsa_system_sgpr_workgroup_id_z 0
		.amdhsa_system_sgpr_workgroup_info 0
		.amdhsa_system_vgpr_workitem_id 0
		.amdhsa_next_free_vgpr 1
		.amdhsa_next_free_sgpr 0
		.amdhsa_accum_offset 4
		.amdhsa_reserve_vcc 0
		.amdhsa_float_round_mode_32 0
		.amdhsa_float_round_mode_16_64 0
		.amdhsa_float_denorm_mode_32 3
		.amdhsa_float_denorm_mode_16_64 3
		.amdhsa_dx10_clamp 1
		.amdhsa_ieee_mode 1
		.amdhsa_fp16_overflow 0
		.amdhsa_tg_split 0
		.amdhsa_exception_fp_ieee_invalid_op 0
		.amdhsa_exception_fp_denorm_src 0
		.amdhsa_exception_fp_ieee_div_zero 0
		.amdhsa_exception_fp_ieee_overflow 0
		.amdhsa_exception_fp_ieee_underflow 0
		.amdhsa_exception_fp_ieee_inexact 0
		.amdhsa_exception_int_div_zero 0
	.end_amdhsa_kernel
	.section	.text._ZN7rocprim17ROCPRIM_400000_NS6detail17trampoline_kernelINS0_14default_configENS1_27scan_by_key_config_selectorIijEEZZNS1_16scan_by_key_implILNS1_25lookback_scan_determinismE0ELb0ES3_N6thrust23THRUST_200600_302600_NS6detail15normal_iteratorINS9_10device_ptrIiEEEENSB_INSC_IjEEEESG_jNS9_4plusIvEENS9_8equal_toIvEEjEE10hipError_tPvRmT2_T3_T4_T5_mT6_T7_P12ihipStream_tbENKUlT_T0_E_clISt17integral_constantIbLb0EES11_EEDaSW_SX_EUlSW_E_NS1_11comp_targetILNS1_3genE10ELNS1_11target_archE1200ELNS1_3gpuE4ELNS1_3repE0EEENS1_30default_config_static_selectorELNS0_4arch9wavefront6targetE1EEEvT1_,"axG",@progbits,_ZN7rocprim17ROCPRIM_400000_NS6detail17trampoline_kernelINS0_14default_configENS1_27scan_by_key_config_selectorIijEEZZNS1_16scan_by_key_implILNS1_25lookback_scan_determinismE0ELb0ES3_N6thrust23THRUST_200600_302600_NS6detail15normal_iteratorINS9_10device_ptrIiEEEENSB_INSC_IjEEEESG_jNS9_4plusIvEENS9_8equal_toIvEEjEE10hipError_tPvRmT2_T3_T4_T5_mT6_T7_P12ihipStream_tbENKUlT_T0_E_clISt17integral_constantIbLb0EES11_EEDaSW_SX_EUlSW_E_NS1_11comp_targetILNS1_3genE10ELNS1_11target_archE1200ELNS1_3gpuE4ELNS1_3repE0EEENS1_30default_config_static_selectorELNS0_4arch9wavefront6targetE1EEEvT1_,comdat
.Lfunc_end1227:
	.size	_ZN7rocprim17ROCPRIM_400000_NS6detail17trampoline_kernelINS0_14default_configENS1_27scan_by_key_config_selectorIijEEZZNS1_16scan_by_key_implILNS1_25lookback_scan_determinismE0ELb0ES3_N6thrust23THRUST_200600_302600_NS6detail15normal_iteratorINS9_10device_ptrIiEEEENSB_INSC_IjEEEESG_jNS9_4plusIvEENS9_8equal_toIvEEjEE10hipError_tPvRmT2_T3_T4_T5_mT6_T7_P12ihipStream_tbENKUlT_T0_E_clISt17integral_constantIbLb0EES11_EEDaSW_SX_EUlSW_E_NS1_11comp_targetILNS1_3genE10ELNS1_11target_archE1200ELNS1_3gpuE4ELNS1_3repE0EEENS1_30default_config_static_selectorELNS0_4arch9wavefront6targetE1EEEvT1_, .Lfunc_end1227-_ZN7rocprim17ROCPRIM_400000_NS6detail17trampoline_kernelINS0_14default_configENS1_27scan_by_key_config_selectorIijEEZZNS1_16scan_by_key_implILNS1_25lookback_scan_determinismE0ELb0ES3_N6thrust23THRUST_200600_302600_NS6detail15normal_iteratorINS9_10device_ptrIiEEEENSB_INSC_IjEEEESG_jNS9_4plusIvEENS9_8equal_toIvEEjEE10hipError_tPvRmT2_T3_T4_T5_mT6_T7_P12ihipStream_tbENKUlT_T0_E_clISt17integral_constantIbLb0EES11_EEDaSW_SX_EUlSW_E_NS1_11comp_targetILNS1_3genE10ELNS1_11target_archE1200ELNS1_3gpuE4ELNS1_3repE0EEENS1_30default_config_static_selectorELNS0_4arch9wavefront6targetE1EEEvT1_
                                        ; -- End function
	.section	.AMDGPU.csdata,"",@progbits
; Kernel info:
; codeLenInByte = 0
; NumSgprs: 6
; NumVgprs: 0
; NumAgprs: 0
; TotalNumVgprs: 0
; ScratchSize: 0
; MemoryBound: 0
; FloatMode: 240
; IeeeMode: 1
; LDSByteSize: 0 bytes/workgroup (compile time only)
; SGPRBlocks: 0
; VGPRBlocks: 0
; NumSGPRsForWavesPerEU: 6
; NumVGPRsForWavesPerEU: 1
; AccumOffset: 4
; Occupancy: 8
; WaveLimiterHint : 0
; COMPUTE_PGM_RSRC2:SCRATCH_EN: 0
; COMPUTE_PGM_RSRC2:USER_SGPR: 2
; COMPUTE_PGM_RSRC2:TRAP_HANDLER: 0
; COMPUTE_PGM_RSRC2:TGID_X_EN: 1
; COMPUTE_PGM_RSRC2:TGID_Y_EN: 0
; COMPUTE_PGM_RSRC2:TGID_Z_EN: 0
; COMPUTE_PGM_RSRC2:TIDIG_COMP_CNT: 0
; COMPUTE_PGM_RSRC3_GFX90A:ACCUM_OFFSET: 0
; COMPUTE_PGM_RSRC3_GFX90A:TG_SPLIT: 0
	.section	.text._ZN7rocprim17ROCPRIM_400000_NS6detail17trampoline_kernelINS0_14default_configENS1_27scan_by_key_config_selectorIijEEZZNS1_16scan_by_key_implILNS1_25lookback_scan_determinismE0ELb0ES3_N6thrust23THRUST_200600_302600_NS6detail15normal_iteratorINS9_10device_ptrIiEEEENSB_INSC_IjEEEESG_jNS9_4plusIvEENS9_8equal_toIvEEjEE10hipError_tPvRmT2_T3_T4_T5_mT6_T7_P12ihipStream_tbENKUlT_T0_E_clISt17integral_constantIbLb0EES11_EEDaSW_SX_EUlSW_E_NS1_11comp_targetILNS1_3genE9ELNS1_11target_archE1100ELNS1_3gpuE3ELNS1_3repE0EEENS1_30default_config_static_selectorELNS0_4arch9wavefront6targetE1EEEvT1_,"axG",@progbits,_ZN7rocprim17ROCPRIM_400000_NS6detail17trampoline_kernelINS0_14default_configENS1_27scan_by_key_config_selectorIijEEZZNS1_16scan_by_key_implILNS1_25lookback_scan_determinismE0ELb0ES3_N6thrust23THRUST_200600_302600_NS6detail15normal_iteratorINS9_10device_ptrIiEEEENSB_INSC_IjEEEESG_jNS9_4plusIvEENS9_8equal_toIvEEjEE10hipError_tPvRmT2_T3_T4_T5_mT6_T7_P12ihipStream_tbENKUlT_T0_E_clISt17integral_constantIbLb0EES11_EEDaSW_SX_EUlSW_E_NS1_11comp_targetILNS1_3genE9ELNS1_11target_archE1100ELNS1_3gpuE3ELNS1_3repE0EEENS1_30default_config_static_selectorELNS0_4arch9wavefront6targetE1EEEvT1_,comdat
	.protected	_ZN7rocprim17ROCPRIM_400000_NS6detail17trampoline_kernelINS0_14default_configENS1_27scan_by_key_config_selectorIijEEZZNS1_16scan_by_key_implILNS1_25lookback_scan_determinismE0ELb0ES3_N6thrust23THRUST_200600_302600_NS6detail15normal_iteratorINS9_10device_ptrIiEEEENSB_INSC_IjEEEESG_jNS9_4plusIvEENS9_8equal_toIvEEjEE10hipError_tPvRmT2_T3_T4_T5_mT6_T7_P12ihipStream_tbENKUlT_T0_E_clISt17integral_constantIbLb0EES11_EEDaSW_SX_EUlSW_E_NS1_11comp_targetILNS1_3genE9ELNS1_11target_archE1100ELNS1_3gpuE3ELNS1_3repE0EEENS1_30default_config_static_selectorELNS0_4arch9wavefront6targetE1EEEvT1_ ; -- Begin function _ZN7rocprim17ROCPRIM_400000_NS6detail17trampoline_kernelINS0_14default_configENS1_27scan_by_key_config_selectorIijEEZZNS1_16scan_by_key_implILNS1_25lookback_scan_determinismE0ELb0ES3_N6thrust23THRUST_200600_302600_NS6detail15normal_iteratorINS9_10device_ptrIiEEEENSB_INSC_IjEEEESG_jNS9_4plusIvEENS9_8equal_toIvEEjEE10hipError_tPvRmT2_T3_T4_T5_mT6_T7_P12ihipStream_tbENKUlT_T0_E_clISt17integral_constantIbLb0EES11_EEDaSW_SX_EUlSW_E_NS1_11comp_targetILNS1_3genE9ELNS1_11target_archE1100ELNS1_3gpuE3ELNS1_3repE0EEENS1_30default_config_static_selectorELNS0_4arch9wavefront6targetE1EEEvT1_
	.globl	_ZN7rocprim17ROCPRIM_400000_NS6detail17trampoline_kernelINS0_14default_configENS1_27scan_by_key_config_selectorIijEEZZNS1_16scan_by_key_implILNS1_25lookback_scan_determinismE0ELb0ES3_N6thrust23THRUST_200600_302600_NS6detail15normal_iteratorINS9_10device_ptrIiEEEENSB_INSC_IjEEEESG_jNS9_4plusIvEENS9_8equal_toIvEEjEE10hipError_tPvRmT2_T3_T4_T5_mT6_T7_P12ihipStream_tbENKUlT_T0_E_clISt17integral_constantIbLb0EES11_EEDaSW_SX_EUlSW_E_NS1_11comp_targetILNS1_3genE9ELNS1_11target_archE1100ELNS1_3gpuE3ELNS1_3repE0EEENS1_30default_config_static_selectorELNS0_4arch9wavefront6targetE1EEEvT1_
	.p2align	8
	.type	_ZN7rocprim17ROCPRIM_400000_NS6detail17trampoline_kernelINS0_14default_configENS1_27scan_by_key_config_selectorIijEEZZNS1_16scan_by_key_implILNS1_25lookback_scan_determinismE0ELb0ES3_N6thrust23THRUST_200600_302600_NS6detail15normal_iteratorINS9_10device_ptrIiEEEENSB_INSC_IjEEEESG_jNS9_4plusIvEENS9_8equal_toIvEEjEE10hipError_tPvRmT2_T3_T4_T5_mT6_T7_P12ihipStream_tbENKUlT_T0_E_clISt17integral_constantIbLb0EES11_EEDaSW_SX_EUlSW_E_NS1_11comp_targetILNS1_3genE9ELNS1_11target_archE1100ELNS1_3gpuE3ELNS1_3repE0EEENS1_30default_config_static_selectorELNS0_4arch9wavefront6targetE1EEEvT1_,@function
_ZN7rocprim17ROCPRIM_400000_NS6detail17trampoline_kernelINS0_14default_configENS1_27scan_by_key_config_selectorIijEEZZNS1_16scan_by_key_implILNS1_25lookback_scan_determinismE0ELb0ES3_N6thrust23THRUST_200600_302600_NS6detail15normal_iteratorINS9_10device_ptrIiEEEENSB_INSC_IjEEEESG_jNS9_4plusIvEENS9_8equal_toIvEEjEE10hipError_tPvRmT2_T3_T4_T5_mT6_T7_P12ihipStream_tbENKUlT_T0_E_clISt17integral_constantIbLb0EES11_EEDaSW_SX_EUlSW_E_NS1_11comp_targetILNS1_3genE9ELNS1_11target_archE1100ELNS1_3gpuE3ELNS1_3repE0EEENS1_30default_config_static_selectorELNS0_4arch9wavefront6targetE1EEEvT1_: ; @_ZN7rocprim17ROCPRIM_400000_NS6detail17trampoline_kernelINS0_14default_configENS1_27scan_by_key_config_selectorIijEEZZNS1_16scan_by_key_implILNS1_25lookback_scan_determinismE0ELb0ES3_N6thrust23THRUST_200600_302600_NS6detail15normal_iteratorINS9_10device_ptrIiEEEENSB_INSC_IjEEEESG_jNS9_4plusIvEENS9_8equal_toIvEEjEE10hipError_tPvRmT2_T3_T4_T5_mT6_T7_P12ihipStream_tbENKUlT_T0_E_clISt17integral_constantIbLb0EES11_EEDaSW_SX_EUlSW_E_NS1_11comp_targetILNS1_3genE9ELNS1_11target_archE1100ELNS1_3gpuE3ELNS1_3repE0EEENS1_30default_config_static_selectorELNS0_4arch9wavefront6targetE1EEEvT1_
; %bb.0:
	.section	.rodata,"a",@progbits
	.p2align	6, 0x0
	.amdhsa_kernel _ZN7rocprim17ROCPRIM_400000_NS6detail17trampoline_kernelINS0_14default_configENS1_27scan_by_key_config_selectorIijEEZZNS1_16scan_by_key_implILNS1_25lookback_scan_determinismE0ELb0ES3_N6thrust23THRUST_200600_302600_NS6detail15normal_iteratorINS9_10device_ptrIiEEEENSB_INSC_IjEEEESG_jNS9_4plusIvEENS9_8equal_toIvEEjEE10hipError_tPvRmT2_T3_T4_T5_mT6_T7_P12ihipStream_tbENKUlT_T0_E_clISt17integral_constantIbLb0EES11_EEDaSW_SX_EUlSW_E_NS1_11comp_targetILNS1_3genE9ELNS1_11target_archE1100ELNS1_3gpuE3ELNS1_3repE0EEENS1_30default_config_static_selectorELNS0_4arch9wavefront6targetE1EEEvT1_
		.amdhsa_group_segment_fixed_size 0
		.amdhsa_private_segment_fixed_size 0
		.amdhsa_kernarg_size 112
		.amdhsa_user_sgpr_count 2
		.amdhsa_user_sgpr_dispatch_ptr 0
		.amdhsa_user_sgpr_queue_ptr 0
		.amdhsa_user_sgpr_kernarg_segment_ptr 1
		.amdhsa_user_sgpr_dispatch_id 0
		.amdhsa_user_sgpr_kernarg_preload_length 0
		.amdhsa_user_sgpr_kernarg_preload_offset 0
		.amdhsa_user_sgpr_private_segment_size 0
		.amdhsa_uses_dynamic_stack 0
		.amdhsa_enable_private_segment 0
		.amdhsa_system_sgpr_workgroup_id_x 1
		.amdhsa_system_sgpr_workgroup_id_y 0
		.amdhsa_system_sgpr_workgroup_id_z 0
		.amdhsa_system_sgpr_workgroup_info 0
		.amdhsa_system_vgpr_workitem_id 0
		.amdhsa_next_free_vgpr 1
		.amdhsa_next_free_sgpr 0
		.amdhsa_accum_offset 4
		.amdhsa_reserve_vcc 0
		.amdhsa_float_round_mode_32 0
		.amdhsa_float_round_mode_16_64 0
		.amdhsa_float_denorm_mode_32 3
		.amdhsa_float_denorm_mode_16_64 3
		.amdhsa_dx10_clamp 1
		.amdhsa_ieee_mode 1
		.amdhsa_fp16_overflow 0
		.amdhsa_tg_split 0
		.amdhsa_exception_fp_ieee_invalid_op 0
		.amdhsa_exception_fp_denorm_src 0
		.amdhsa_exception_fp_ieee_div_zero 0
		.amdhsa_exception_fp_ieee_overflow 0
		.amdhsa_exception_fp_ieee_underflow 0
		.amdhsa_exception_fp_ieee_inexact 0
		.amdhsa_exception_int_div_zero 0
	.end_amdhsa_kernel
	.section	.text._ZN7rocprim17ROCPRIM_400000_NS6detail17trampoline_kernelINS0_14default_configENS1_27scan_by_key_config_selectorIijEEZZNS1_16scan_by_key_implILNS1_25lookback_scan_determinismE0ELb0ES3_N6thrust23THRUST_200600_302600_NS6detail15normal_iteratorINS9_10device_ptrIiEEEENSB_INSC_IjEEEESG_jNS9_4plusIvEENS9_8equal_toIvEEjEE10hipError_tPvRmT2_T3_T4_T5_mT6_T7_P12ihipStream_tbENKUlT_T0_E_clISt17integral_constantIbLb0EES11_EEDaSW_SX_EUlSW_E_NS1_11comp_targetILNS1_3genE9ELNS1_11target_archE1100ELNS1_3gpuE3ELNS1_3repE0EEENS1_30default_config_static_selectorELNS0_4arch9wavefront6targetE1EEEvT1_,"axG",@progbits,_ZN7rocprim17ROCPRIM_400000_NS6detail17trampoline_kernelINS0_14default_configENS1_27scan_by_key_config_selectorIijEEZZNS1_16scan_by_key_implILNS1_25lookback_scan_determinismE0ELb0ES3_N6thrust23THRUST_200600_302600_NS6detail15normal_iteratorINS9_10device_ptrIiEEEENSB_INSC_IjEEEESG_jNS9_4plusIvEENS9_8equal_toIvEEjEE10hipError_tPvRmT2_T3_T4_T5_mT6_T7_P12ihipStream_tbENKUlT_T0_E_clISt17integral_constantIbLb0EES11_EEDaSW_SX_EUlSW_E_NS1_11comp_targetILNS1_3genE9ELNS1_11target_archE1100ELNS1_3gpuE3ELNS1_3repE0EEENS1_30default_config_static_selectorELNS0_4arch9wavefront6targetE1EEEvT1_,comdat
.Lfunc_end1228:
	.size	_ZN7rocprim17ROCPRIM_400000_NS6detail17trampoline_kernelINS0_14default_configENS1_27scan_by_key_config_selectorIijEEZZNS1_16scan_by_key_implILNS1_25lookback_scan_determinismE0ELb0ES3_N6thrust23THRUST_200600_302600_NS6detail15normal_iteratorINS9_10device_ptrIiEEEENSB_INSC_IjEEEESG_jNS9_4plusIvEENS9_8equal_toIvEEjEE10hipError_tPvRmT2_T3_T4_T5_mT6_T7_P12ihipStream_tbENKUlT_T0_E_clISt17integral_constantIbLb0EES11_EEDaSW_SX_EUlSW_E_NS1_11comp_targetILNS1_3genE9ELNS1_11target_archE1100ELNS1_3gpuE3ELNS1_3repE0EEENS1_30default_config_static_selectorELNS0_4arch9wavefront6targetE1EEEvT1_, .Lfunc_end1228-_ZN7rocprim17ROCPRIM_400000_NS6detail17trampoline_kernelINS0_14default_configENS1_27scan_by_key_config_selectorIijEEZZNS1_16scan_by_key_implILNS1_25lookback_scan_determinismE0ELb0ES3_N6thrust23THRUST_200600_302600_NS6detail15normal_iteratorINS9_10device_ptrIiEEEENSB_INSC_IjEEEESG_jNS9_4plusIvEENS9_8equal_toIvEEjEE10hipError_tPvRmT2_T3_T4_T5_mT6_T7_P12ihipStream_tbENKUlT_T0_E_clISt17integral_constantIbLb0EES11_EEDaSW_SX_EUlSW_E_NS1_11comp_targetILNS1_3genE9ELNS1_11target_archE1100ELNS1_3gpuE3ELNS1_3repE0EEENS1_30default_config_static_selectorELNS0_4arch9wavefront6targetE1EEEvT1_
                                        ; -- End function
	.section	.AMDGPU.csdata,"",@progbits
; Kernel info:
; codeLenInByte = 0
; NumSgprs: 6
; NumVgprs: 0
; NumAgprs: 0
; TotalNumVgprs: 0
; ScratchSize: 0
; MemoryBound: 0
; FloatMode: 240
; IeeeMode: 1
; LDSByteSize: 0 bytes/workgroup (compile time only)
; SGPRBlocks: 0
; VGPRBlocks: 0
; NumSGPRsForWavesPerEU: 6
; NumVGPRsForWavesPerEU: 1
; AccumOffset: 4
; Occupancy: 8
; WaveLimiterHint : 0
; COMPUTE_PGM_RSRC2:SCRATCH_EN: 0
; COMPUTE_PGM_RSRC2:USER_SGPR: 2
; COMPUTE_PGM_RSRC2:TRAP_HANDLER: 0
; COMPUTE_PGM_RSRC2:TGID_X_EN: 1
; COMPUTE_PGM_RSRC2:TGID_Y_EN: 0
; COMPUTE_PGM_RSRC2:TGID_Z_EN: 0
; COMPUTE_PGM_RSRC2:TIDIG_COMP_CNT: 0
; COMPUTE_PGM_RSRC3_GFX90A:ACCUM_OFFSET: 0
; COMPUTE_PGM_RSRC3_GFX90A:TG_SPLIT: 0
	.section	.text._ZN7rocprim17ROCPRIM_400000_NS6detail17trampoline_kernelINS0_14default_configENS1_27scan_by_key_config_selectorIijEEZZNS1_16scan_by_key_implILNS1_25lookback_scan_determinismE0ELb0ES3_N6thrust23THRUST_200600_302600_NS6detail15normal_iteratorINS9_10device_ptrIiEEEENSB_INSC_IjEEEESG_jNS9_4plusIvEENS9_8equal_toIvEEjEE10hipError_tPvRmT2_T3_T4_T5_mT6_T7_P12ihipStream_tbENKUlT_T0_E_clISt17integral_constantIbLb0EES11_EEDaSW_SX_EUlSW_E_NS1_11comp_targetILNS1_3genE8ELNS1_11target_archE1030ELNS1_3gpuE2ELNS1_3repE0EEENS1_30default_config_static_selectorELNS0_4arch9wavefront6targetE1EEEvT1_,"axG",@progbits,_ZN7rocprim17ROCPRIM_400000_NS6detail17trampoline_kernelINS0_14default_configENS1_27scan_by_key_config_selectorIijEEZZNS1_16scan_by_key_implILNS1_25lookback_scan_determinismE0ELb0ES3_N6thrust23THRUST_200600_302600_NS6detail15normal_iteratorINS9_10device_ptrIiEEEENSB_INSC_IjEEEESG_jNS9_4plusIvEENS9_8equal_toIvEEjEE10hipError_tPvRmT2_T3_T4_T5_mT6_T7_P12ihipStream_tbENKUlT_T0_E_clISt17integral_constantIbLb0EES11_EEDaSW_SX_EUlSW_E_NS1_11comp_targetILNS1_3genE8ELNS1_11target_archE1030ELNS1_3gpuE2ELNS1_3repE0EEENS1_30default_config_static_selectorELNS0_4arch9wavefront6targetE1EEEvT1_,comdat
	.protected	_ZN7rocprim17ROCPRIM_400000_NS6detail17trampoline_kernelINS0_14default_configENS1_27scan_by_key_config_selectorIijEEZZNS1_16scan_by_key_implILNS1_25lookback_scan_determinismE0ELb0ES3_N6thrust23THRUST_200600_302600_NS6detail15normal_iteratorINS9_10device_ptrIiEEEENSB_INSC_IjEEEESG_jNS9_4plusIvEENS9_8equal_toIvEEjEE10hipError_tPvRmT2_T3_T4_T5_mT6_T7_P12ihipStream_tbENKUlT_T0_E_clISt17integral_constantIbLb0EES11_EEDaSW_SX_EUlSW_E_NS1_11comp_targetILNS1_3genE8ELNS1_11target_archE1030ELNS1_3gpuE2ELNS1_3repE0EEENS1_30default_config_static_selectorELNS0_4arch9wavefront6targetE1EEEvT1_ ; -- Begin function _ZN7rocprim17ROCPRIM_400000_NS6detail17trampoline_kernelINS0_14default_configENS1_27scan_by_key_config_selectorIijEEZZNS1_16scan_by_key_implILNS1_25lookback_scan_determinismE0ELb0ES3_N6thrust23THRUST_200600_302600_NS6detail15normal_iteratorINS9_10device_ptrIiEEEENSB_INSC_IjEEEESG_jNS9_4plusIvEENS9_8equal_toIvEEjEE10hipError_tPvRmT2_T3_T4_T5_mT6_T7_P12ihipStream_tbENKUlT_T0_E_clISt17integral_constantIbLb0EES11_EEDaSW_SX_EUlSW_E_NS1_11comp_targetILNS1_3genE8ELNS1_11target_archE1030ELNS1_3gpuE2ELNS1_3repE0EEENS1_30default_config_static_selectorELNS0_4arch9wavefront6targetE1EEEvT1_
	.globl	_ZN7rocprim17ROCPRIM_400000_NS6detail17trampoline_kernelINS0_14default_configENS1_27scan_by_key_config_selectorIijEEZZNS1_16scan_by_key_implILNS1_25lookback_scan_determinismE0ELb0ES3_N6thrust23THRUST_200600_302600_NS6detail15normal_iteratorINS9_10device_ptrIiEEEENSB_INSC_IjEEEESG_jNS9_4plusIvEENS9_8equal_toIvEEjEE10hipError_tPvRmT2_T3_T4_T5_mT6_T7_P12ihipStream_tbENKUlT_T0_E_clISt17integral_constantIbLb0EES11_EEDaSW_SX_EUlSW_E_NS1_11comp_targetILNS1_3genE8ELNS1_11target_archE1030ELNS1_3gpuE2ELNS1_3repE0EEENS1_30default_config_static_selectorELNS0_4arch9wavefront6targetE1EEEvT1_
	.p2align	8
	.type	_ZN7rocprim17ROCPRIM_400000_NS6detail17trampoline_kernelINS0_14default_configENS1_27scan_by_key_config_selectorIijEEZZNS1_16scan_by_key_implILNS1_25lookback_scan_determinismE0ELb0ES3_N6thrust23THRUST_200600_302600_NS6detail15normal_iteratorINS9_10device_ptrIiEEEENSB_INSC_IjEEEESG_jNS9_4plusIvEENS9_8equal_toIvEEjEE10hipError_tPvRmT2_T3_T4_T5_mT6_T7_P12ihipStream_tbENKUlT_T0_E_clISt17integral_constantIbLb0EES11_EEDaSW_SX_EUlSW_E_NS1_11comp_targetILNS1_3genE8ELNS1_11target_archE1030ELNS1_3gpuE2ELNS1_3repE0EEENS1_30default_config_static_selectorELNS0_4arch9wavefront6targetE1EEEvT1_,@function
_ZN7rocprim17ROCPRIM_400000_NS6detail17trampoline_kernelINS0_14default_configENS1_27scan_by_key_config_selectorIijEEZZNS1_16scan_by_key_implILNS1_25lookback_scan_determinismE0ELb0ES3_N6thrust23THRUST_200600_302600_NS6detail15normal_iteratorINS9_10device_ptrIiEEEENSB_INSC_IjEEEESG_jNS9_4plusIvEENS9_8equal_toIvEEjEE10hipError_tPvRmT2_T3_T4_T5_mT6_T7_P12ihipStream_tbENKUlT_T0_E_clISt17integral_constantIbLb0EES11_EEDaSW_SX_EUlSW_E_NS1_11comp_targetILNS1_3genE8ELNS1_11target_archE1030ELNS1_3gpuE2ELNS1_3repE0EEENS1_30default_config_static_selectorELNS0_4arch9wavefront6targetE1EEEvT1_: ; @_ZN7rocprim17ROCPRIM_400000_NS6detail17trampoline_kernelINS0_14default_configENS1_27scan_by_key_config_selectorIijEEZZNS1_16scan_by_key_implILNS1_25lookback_scan_determinismE0ELb0ES3_N6thrust23THRUST_200600_302600_NS6detail15normal_iteratorINS9_10device_ptrIiEEEENSB_INSC_IjEEEESG_jNS9_4plusIvEENS9_8equal_toIvEEjEE10hipError_tPvRmT2_T3_T4_T5_mT6_T7_P12ihipStream_tbENKUlT_T0_E_clISt17integral_constantIbLb0EES11_EEDaSW_SX_EUlSW_E_NS1_11comp_targetILNS1_3genE8ELNS1_11target_archE1030ELNS1_3gpuE2ELNS1_3repE0EEENS1_30default_config_static_selectorELNS0_4arch9wavefront6targetE1EEEvT1_
; %bb.0:
	.section	.rodata,"a",@progbits
	.p2align	6, 0x0
	.amdhsa_kernel _ZN7rocprim17ROCPRIM_400000_NS6detail17trampoline_kernelINS0_14default_configENS1_27scan_by_key_config_selectorIijEEZZNS1_16scan_by_key_implILNS1_25lookback_scan_determinismE0ELb0ES3_N6thrust23THRUST_200600_302600_NS6detail15normal_iteratorINS9_10device_ptrIiEEEENSB_INSC_IjEEEESG_jNS9_4plusIvEENS9_8equal_toIvEEjEE10hipError_tPvRmT2_T3_T4_T5_mT6_T7_P12ihipStream_tbENKUlT_T0_E_clISt17integral_constantIbLb0EES11_EEDaSW_SX_EUlSW_E_NS1_11comp_targetILNS1_3genE8ELNS1_11target_archE1030ELNS1_3gpuE2ELNS1_3repE0EEENS1_30default_config_static_selectorELNS0_4arch9wavefront6targetE1EEEvT1_
		.amdhsa_group_segment_fixed_size 0
		.amdhsa_private_segment_fixed_size 0
		.amdhsa_kernarg_size 112
		.amdhsa_user_sgpr_count 2
		.amdhsa_user_sgpr_dispatch_ptr 0
		.amdhsa_user_sgpr_queue_ptr 0
		.amdhsa_user_sgpr_kernarg_segment_ptr 1
		.amdhsa_user_sgpr_dispatch_id 0
		.amdhsa_user_sgpr_kernarg_preload_length 0
		.amdhsa_user_sgpr_kernarg_preload_offset 0
		.amdhsa_user_sgpr_private_segment_size 0
		.amdhsa_uses_dynamic_stack 0
		.amdhsa_enable_private_segment 0
		.amdhsa_system_sgpr_workgroup_id_x 1
		.amdhsa_system_sgpr_workgroup_id_y 0
		.amdhsa_system_sgpr_workgroup_id_z 0
		.amdhsa_system_sgpr_workgroup_info 0
		.amdhsa_system_vgpr_workitem_id 0
		.amdhsa_next_free_vgpr 1
		.amdhsa_next_free_sgpr 0
		.amdhsa_accum_offset 4
		.amdhsa_reserve_vcc 0
		.amdhsa_float_round_mode_32 0
		.amdhsa_float_round_mode_16_64 0
		.amdhsa_float_denorm_mode_32 3
		.amdhsa_float_denorm_mode_16_64 3
		.amdhsa_dx10_clamp 1
		.amdhsa_ieee_mode 1
		.amdhsa_fp16_overflow 0
		.amdhsa_tg_split 0
		.amdhsa_exception_fp_ieee_invalid_op 0
		.amdhsa_exception_fp_denorm_src 0
		.amdhsa_exception_fp_ieee_div_zero 0
		.amdhsa_exception_fp_ieee_overflow 0
		.amdhsa_exception_fp_ieee_underflow 0
		.amdhsa_exception_fp_ieee_inexact 0
		.amdhsa_exception_int_div_zero 0
	.end_amdhsa_kernel
	.section	.text._ZN7rocprim17ROCPRIM_400000_NS6detail17trampoline_kernelINS0_14default_configENS1_27scan_by_key_config_selectorIijEEZZNS1_16scan_by_key_implILNS1_25lookback_scan_determinismE0ELb0ES3_N6thrust23THRUST_200600_302600_NS6detail15normal_iteratorINS9_10device_ptrIiEEEENSB_INSC_IjEEEESG_jNS9_4plusIvEENS9_8equal_toIvEEjEE10hipError_tPvRmT2_T3_T4_T5_mT6_T7_P12ihipStream_tbENKUlT_T0_E_clISt17integral_constantIbLb0EES11_EEDaSW_SX_EUlSW_E_NS1_11comp_targetILNS1_3genE8ELNS1_11target_archE1030ELNS1_3gpuE2ELNS1_3repE0EEENS1_30default_config_static_selectorELNS0_4arch9wavefront6targetE1EEEvT1_,"axG",@progbits,_ZN7rocprim17ROCPRIM_400000_NS6detail17trampoline_kernelINS0_14default_configENS1_27scan_by_key_config_selectorIijEEZZNS1_16scan_by_key_implILNS1_25lookback_scan_determinismE0ELb0ES3_N6thrust23THRUST_200600_302600_NS6detail15normal_iteratorINS9_10device_ptrIiEEEENSB_INSC_IjEEEESG_jNS9_4plusIvEENS9_8equal_toIvEEjEE10hipError_tPvRmT2_T3_T4_T5_mT6_T7_P12ihipStream_tbENKUlT_T0_E_clISt17integral_constantIbLb0EES11_EEDaSW_SX_EUlSW_E_NS1_11comp_targetILNS1_3genE8ELNS1_11target_archE1030ELNS1_3gpuE2ELNS1_3repE0EEENS1_30default_config_static_selectorELNS0_4arch9wavefront6targetE1EEEvT1_,comdat
.Lfunc_end1229:
	.size	_ZN7rocprim17ROCPRIM_400000_NS6detail17trampoline_kernelINS0_14default_configENS1_27scan_by_key_config_selectorIijEEZZNS1_16scan_by_key_implILNS1_25lookback_scan_determinismE0ELb0ES3_N6thrust23THRUST_200600_302600_NS6detail15normal_iteratorINS9_10device_ptrIiEEEENSB_INSC_IjEEEESG_jNS9_4plusIvEENS9_8equal_toIvEEjEE10hipError_tPvRmT2_T3_T4_T5_mT6_T7_P12ihipStream_tbENKUlT_T0_E_clISt17integral_constantIbLb0EES11_EEDaSW_SX_EUlSW_E_NS1_11comp_targetILNS1_3genE8ELNS1_11target_archE1030ELNS1_3gpuE2ELNS1_3repE0EEENS1_30default_config_static_selectorELNS0_4arch9wavefront6targetE1EEEvT1_, .Lfunc_end1229-_ZN7rocprim17ROCPRIM_400000_NS6detail17trampoline_kernelINS0_14default_configENS1_27scan_by_key_config_selectorIijEEZZNS1_16scan_by_key_implILNS1_25lookback_scan_determinismE0ELb0ES3_N6thrust23THRUST_200600_302600_NS6detail15normal_iteratorINS9_10device_ptrIiEEEENSB_INSC_IjEEEESG_jNS9_4plusIvEENS9_8equal_toIvEEjEE10hipError_tPvRmT2_T3_T4_T5_mT6_T7_P12ihipStream_tbENKUlT_T0_E_clISt17integral_constantIbLb0EES11_EEDaSW_SX_EUlSW_E_NS1_11comp_targetILNS1_3genE8ELNS1_11target_archE1030ELNS1_3gpuE2ELNS1_3repE0EEENS1_30default_config_static_selectorELNS0_4arch9wavefront6targetE1EEEvT1_
                                        ; -- End function
	.section	.AMDGPU.csdata,"",@progbits
; Kernel info:
; codeLenInByte = 0
; NumSgprs: 6
; NumVgprs: 0
; NumAgprs: 0
; TotalNumVgprs: 0
; ScratchSize: 0
; MemoryBound: 0
; FloatMode: 240
; IeeeMode: 1
; LDSByteSize: 0 bytes/workgroup (compile time only)
; SGPRBlocks: 0
; VGPRBlocks: 0
; NumSGPRsForWavesPerEU: 6
; NumVGPRsForWavesPerEU: 1
; AccumOffset: 4
; Occupancy: 8
; WaveLimiterHint : 0
; COMPUTE_PGM_RSRC2:SCRATCH_EN: 0
; COMPUTE_PGM_RSRC2:USER_SGPR: 2
; COMPUTE_PGM_RSRC2:TRAP_HANDLER: 0
; COMPUTE_PGM_RSRC2:TGID_X_EN: 1
; COMPUTE_PGM_RSRC2:TGID_Y_EN: 0
; COMPUTE_PGM_RSRC2:TGID_Z_EN: 0
; COMPUTE_PGM_RSRC2:TIDIG_COMP_CNT: 0
; COMPUTE_PGM_RSRC3_GFX90A:ACCUM_OFFSET: 0
; COMPUTE_PGM_RSRC3_GFX90A:TG_SPLIT: 0
	.section	.text._ZN7rocprim17ROCPRIM_400000_NS6detail30init_device_scan_by_key_kernelINS1_19lookback_scan_stateINS0_5tupleIJjbEEELb1ELb1EEEN6thrust23THRUST_200600_302600_NS6detail15normal_iteratorINS8_10device_ptrIiEEEEjNS1_16block_id_wrapperIjLb1EEEEEvT_jjPNSG_10value_typeET0_PNSt15iterator_traitsISJ_E10value_typeEmT1_T2_,"axG",@progbits,_ZN7rocprim17ROCPRIM_400000_NS6detail30init_device_scan_by_key_kernelINS1_19lookback_scan_stateINS0_5tupleIJjbEEELb1ELb1EEEN6thrust23THRUST_200600_302600_NS6detail15normal_iteratorINS8_10device_ptrIiEEEEjNS1_16block_id_wrapperIjLb1EEEEEvT_jjPNSG_10value_typeET0_PNSt15iterator_traitsISJ_E10value_typeEmT1_T2_,comdat
	.protected	_ZN7rocprim17ROCPRIM_400000_NS6detail30init_device_scan_by_key_kernelINS1_19lookback_scan_stateINS0_5tupleIJjbEEELb1ELb1EEEN6thrust23THRUST_200600_302600_NS6detail15normal_iteratorINS8_10device_ptrIiEEEEjNS1_16block_id_wrapperIjLb1EEEEEvT_jjPNSG_10value_typeET0_PNSt15iterator_traitsISJ_E10value_typeEmT1_T2_ ; -- Begin function _ZN7rocprim17ROCPRIM_400000_NS6detail30init_device_scan_by_key_kernelINS1_19lookback_scan_stateINS0_5tupleIJjbEEELb1ELb1EEEN6thrust23THRUST_200600_302600_NS6detail15normal_iteratorINS8_10device_ptrIiEEEEjNS1_16block_id_wrapperIjLb1EEEEEvT_jjPNSG_10value_typeET0_PNSt15iterator_traitsISJ_E10value_typeEmT1_T2_
	.globl	_ZN7rocprim17ROCPRIM_400000_NS6detail30init_device_scan_by_key_kernelINS1_19lookback_scan_stateINS0_5tupleIJjbEEELb1ELb1EEEN6thrust23THRUST_200600_302600_NS6detail15normal_iteratorINS8_10device_ptrIiEEEEjNS1_16block_id_wrapperIjLb1EEEEEvT_jjPNSG_10value_typeET0_PNSt15iterator_traitsISJ_E10value_typeEmT1_T2_
	.p2align	8
	.type	_ZN7rocprim17ROCPRIM_400000_NS6detail30init_device_scan_by_key_kernelINS1_19lookback_scan_stateINS0_5tupleIJjbEEELb1ELb1EEEN6thrust23THRUST_200600_302600_NS6detail15normal_iteratorINS8_10device_ptrIiEEEEjNS1_16block_id_wrapperIjLb1EEEEEvT_jjPNSG_10value_typeET0_PNSt15iterator_traitsISJ_E10value_typeEmT1_T2_,@function
_ZN7rocprim17ROCPRIM_400000_NS6detail30init_device_scan_by_key_kernelINS1_19lookback_scan_stateINS0_5tupleIJjbEEELb1ELb1EEEN6thrust23THRUST_200600_302600_NS6detail15normal_iteratorINS8_10device_ptrIiEEEEjNS1_16block_id_wrapperIjLb1EEEEEvT_jjPNSG_10value_typeET0_PNSt15iterator_traitsISJ_E10value_typeEmT1_T2_: ; @_ZN7rocprim17ROCPRIM_400000_NS6detail30init_device_scan_by_key_kernelINS1_19lookback_scan_stateINS0_5tupleIJjbEEELb1ELb1EEEN6thrust23THRUST_200600_302600_NS6detail15normal_iteratorINS8_10device_ptrIiEEEEjNS1_16block_id_wrapperIjLb1EEEEEvT_jjPNSG_10value_typeET0_PNSt15iterator_traitsISJ_E10value_typeEmT1_T2_
; %bb.0:
	s_load_dword s3, s[0:1], 0x4c
	s_load_dwordx8 s[4:11], s[0:1], 0x0
	s_load_dword s18, s[0:1], 0x40
	s_waitcnt lgkmcnt(0)
	s_and_b32 s19, s3, 0xffff
	s_mul_i32 s2, s2, s19
	s_cmp_eq_u64 s[8:9], 0
	v_add_u32_e32 v4, s2, v0
	s_cbranch_scc1 .LBB1230_10
; %bb.1:
	s_cmp_lt_u32 s7, s6
	s_cselect_b32 s2, s7, 0
	s_mov_b32 s13, 0
	v_cmp_eq_u32_e32 vcc, s2, v4
	s_and_saveexec_b64 s[2:3], vcc
	s_cbranch_execz .LBB1230_9
; %bb.2:
	s_add_i32 s12, s7, 64
	s_lshl_b64 s[12:13], s[12:13], 4
	s_add_u32 s16, s4, s12
	s_addc_u32 s17, s5, s13
	v_mov_b64_e32 v[0:1], s[16:17]
	;;#ASMSTART
	global_load_dwordx4 v[0:3], v[0:1] off sc1	
s_waitcnt vmcnt(0)
	;;#ASMEND
	v_mov_b32_e32 v7, 0
	v_and_b32_e32 v6, 0xff, v2
	s_mov_b64 s[14:15], 0
	v_cmp_eq_u64_e32 vcc, 0, v[6:7]
	s_and_saveexec_b64 s[12:13], vcc
	s_cbranch_execz .LBB1230_8
; %bb.3:
	s_mov_b32 s7, 1
	v_mov_b64_e32 v[8:9], s[16:17]
.LBB1230_4:                             ; =>This Loop Header: Depth=1
                                        ;     Child Loop BB1230_5 Depth 2
	s_max_u32 s16, s7, 1
.LBB1230_5:                             ;   Parent Loop BB1230_4 Depth=1
                                        ; =>  This Inner Loop Header: Depth=2
	s_add_i32 s16, s16, -1
	s_cmp_eq_u32 s16, 0
	s_sleep 1
	s_cbranch_scc0 .LBB1230_5
; %bb.6:                                ;   in Loop: Header=BB1230_4 Depth=1
	s_cmp_lt_u32 s7, 32
	s_cselect_b64 s[16:17], -1, 0
	s_cmp_lg_u64 s[16:17], 0
	;;#ASMSTART
	global_load_dwordx4 v[0:3], v[8:9] off sc1	
s_waitcnt vmcnt(0)
	;;#ASMEND
	s_addc_u32 s7, s7, 0
	v_and_b32_e32 v6, 0xff, v2
	v_cmp_ne_u64_e32 vcc, 0, v[6:7]
	s_or_b64 s[14:15], vcc, s[14:15]
	s_andn2_b64 exec, exec, s[14:15]
	s_cbranch_execnz .LBB1230_4
; %bb.7:
	s_or_b64 exec, exec, s[14:15]
.LBB1230_8:
	s_or_b64 exec, exec, s[12:13]
	v_mov_b32_e32 v2, 0
	global_store_dword v2, v0, s[8:9]
	global_store_byte v2, v1, s[8:9] offset:4
.LBB1230_9:
	s_or_b64 exec, exec, s[2:3]
.LBB1230_10:
	v_cmp_eq_u32_e32 vcc, 0, v4
	s_and_saveexec_b64 s[2:3], vcc
	s_cbranch_execz .LBB1230_12
; %bb.11:
	s_load_dwordx2 s[8:9], s[0:1], 0x38
	v_mov_b32_e32 v0, 0
	s_waitcnt lgkmcnt(0)
	global_store_dword v0, v0, s[8:9]
.LBB1230_12:
	s_or_b64 exec, exec, s[2:3]
	v_cmp_gt_u32_e32 vcc, s6, v4
	s_and_saveexec_b64 s[2:3], vcc
	s_cbranch_execz .LBB1230_14
; %bb.13:
	v_add_u32_e32 v0, 64, v4
	v_mov_b32_e32 v1, 0
	v_lshl_add_u64 v[6:7], v[0:1], 4, s[4:5]
	v_mov_b32_e32 v0, v1
	v_mov_b32_e32 v2, v1
	v_mov_b32_e32 v3, v1
	global_store_dwordx4 v[6:7], v[0:3], off
.LBB1230_14:
	s_or_b64 exec, exec, s[2:3]
	v_cmp_gt_u32_e32 vcc, 64, v4
	v_mov_b32_e32 v5, 0
	s_and_saveexec_b64 s[2:3], vcc
	s_cbranch_execz .LBB1230_16
; %bb.15:
	v_lshl_add_u64 v[6:7], v[4:5], 4, s[4:5]
	v_mov_b32_e32 v2, 0xff
	v_mov_b32_e32 v0, v5
	;; [unrolled: 1-line block ×4, first 2 shown]
	global_store_dwordx4 v[6:7], v[0:3], off
.LBB1230_16:
	s_or_b64 exec, exec, s[2:3]
	s_load_dwordx2 s[2:3], s[0:1], 0x28
	s_waitcnt lgkmcnt(0)
	v_cmp_gt_u64_e32 vcc, s[2:3], v[4:5]
	s_and_saveexec_b64 s[4:5], vcc
	s_cbranch_execz .LBB1230_19
; %bb.17:
	s_load_dword s12, s[0:1], 0x30
	s_load_dwordx2 s[6:7], s[0:1], 0x20
	s_mov_b32 s5, 0
	s_mov_b32 s1, s5
	s_mul_i32 s0, s18, s19
	s_waitcnt lgkmcnt(0)
	s_add_i32 s4, s12, -1
	s_lshl_b64 s[4:5], s[4:5], 2
	s_add_u32 s4, s10, s4
	v_mad_u64_u32 v[0:1], s[8:9], s12, v4, 0
	s_addc_u32 s5, s11, s5
	v_lshl_add_u64 v[0:1], v[0:1], 2, s[4:5]
	s_mul_hi_u32 s5, s12, s0
	s_mul_i32 s4, s12, s0
	s_lshl_b64 s[4:5], s[4:5], 2
	v_lshl_add_u64 v[2:3], v[4:5], 2, s[6:7]
	s_lshl_b64 s[6:7], s[0:1], 2
	s_mov_b64 s[8:9], 0
.LBB1230_18:                            ; =>This Inner Loop Header: Depth=1
	global_load_dword v6, v[0:1], off
	v_lshl_add_u64 v[4:5], v[4:5], 0, s[0:1]
	v_cmp_le_u64_e32 vcc, s[2:3], v[4:5]
	v_lshl_add_u64 v[0:1], v[0:1], 0, s[4:5]
	s_or_b64 s[8:9], vcc, s[8:9]
	s_waitcnt vmcnt(0)
	global_store_dword v[2:3], v6, off
	v_lshl_add_u64 v[2:3], v[2:3], 0, s[6:7]
	s_andn2_b64 exec, exec, s[8:9]
	s_cbranch_execnz .LBB1230_18
.LBB1230_19:
	s_endpgm
	.section	.rodata,"a",@progbits
	.p2align	6, 0x0
	.amdhsa_kernel _ZN7rocprim17ROCPRIM_400000_NS6detail30init_device_scan_by_key_kernelINS1_19lookback_scan_stateINS0_5tupleIJjbEEELb1ELb1EEEN6thrust23THRUST_200600_302600_NS6detail15normal_iteratorINS8_10device_ptrIiEEEEjNS1_16block_id_wrapperIjLb1EEEEEvT_jjPNSG_10value_typeET0_PNSt15iterator_traitsISJ_E10value_typeEmT1_T2_
		.amdhsa_group_segment_fixed_size 0
		.amdhsa_private_segment_fixed_size 0
		.amdhsa_kernarg_size 320
		.amdhsa_user_sgpr_count 2
		.amdhsa_user_sgpr_dispatch_ptr 0
		.amdhsa_user_sgpr_queue_ptr 0
		.amdhsa_user_sgpr_kernarg_segment_ptr 1
		.amdhsa_user_sgpr_dispatch_id 0
		.amdhsa_user_sgpr_kernarg_preload_length 0
		.amdhsa_user_sgpr_kernarg_preload_offset 0
		.amdhsa_user_sgpr_private_segment_size 0
		.amdhsa_uses_dynamic_stack 0
		.amdhsa_enable_private_segment 0
		.amdhsa_system_sgpr_workgroup_id_x 1
		.amdhsa_system_sgpr_workgroup_id_y 0
		.amdhsa_system_sgpr_workgroup_id_z 0
		.amdhsa_system_sgpr_workgroup_info 0
		.amdhsa_system_vgpr_workitem_id 0
		.amdhsa_next_free_vgpr 10
		.amdhsa_next_free_sgpr 20
		.amdhsa_accum_offset 12
		.amdhsa_reserve_vcc 1
		.amdhsa_float_round_mode_32 0
		.amdhsa_float_round_mode_16_64 0
		.amdhsa_float_denorm_mode_32 3
		.amdhsa_float_denorm_mode_16_64 3
		.amdhsa_dx10_clamp 1
		.amdhsa_ieee_mode 1
		.amdhsa_fp16_overflow 0
		.amdhsa_tg_split 0
		.amdhsa_exception_fp_ieee_invalid_op 0
		.amdhsa_exception_fp_denorm_src 0
		.amdhsa_exception_fp_ieee_div_zero 0
		.amdhsa_exception_fp_ieee_overflow 0
		.amdhsa_exception_fp_ieee_underflow 0
		.amdhsa_exception_fp_ieee_inexact 0
		.amdhsa_exception_int_div_zero 0
	.end_amdhsa_kernel
	.section	.text._ZN7rocprim17ROCPRIM_400000_NS6detail30init_device_scan_by_key_kernelINS1_19lookback_scan_stateINS0_5tupleIJjbEEELb1ELb1EEEN6thrust23THRUST_200600_302600_NS6detail15normal_iteratorINS8_10device_ptrIiEEEEjNS1_16block_id_wrapperIjLb1EEEEEvT_jjPNSG_10value_typeET0_PNSt15iterator_traitsISJ_E10value_typeEmT1_T2_,"axG",@progbits,_ZN7rocprim17ROCPRIM_400000_NS6detail30init_device_scan_by_key_kernelINS1_19lookback_scan_stateINS0_5tupleIJjbEEELb1ELb1EEEN6thrust23THRUST_200600_302600_NS6detail15normal_iteratorINS8_10device_ptrIiEEEEjNS1_16block_id_wrapperIjLb1EEEEEvT_jjPNSG_10value_typeET0_PNSt15iterator_traitsISJ_E10value_typeEmT1_T2_,comdat
.Lfunc_end1230:
	.size	_ZN7rocprim17ROCPRIM_400000_NS6detail30init_device_scan_by_key_kernelINS1_19lookback_scan_stateINS0_5tupleIJjbEEELb1ELb1EEEN6thrust23THRUST_200600_302600_NS6detail15normal_iteratorINS8_10device_ptrIiEEEEjNS1_16block_id_wrapperIjLb1EEEEEvT_jjPNSG_10value_typeET0_PNSt15iterator_traitsISJ_E10value_typeEmT1_T2_, .Lfunc_end1230-_ZN7rocprim17ROCPRIM_400000_NS6detail30init_device_scan_by_key_kernelINS1_19lookback_scan_stateINS0_5tupleIJjbEEELb1ELb1EEEN6thrust23THRUST_200600_302600_NS6detail15normal_iteratorINS8_10device_ptrIiEEEEjNS1_16block_id_wrapperIjLb1EEEEEvT_jjPNSG_10value_typeET0_PNSt15iterator_traitsISJ_E10value_typeEmT1_T2_
                                        ; -- End function
	.section	.AMDGPU.csdata,"",@progbits
; Kernel info:
; codeLenInByte = 584
; NumSgprs: 26
; NumVgprs: 10
; NumAgprs: 0
; TotalNumVgprs: 10
; ScratchSize: 0
; MemoryBound: 0
; FloatMode: 240
; IeeeMode: 1
; LDSByteSize: 0 bytes/workgroup (compile time only)
; SGPRBlocks: 3
; VGPRBlocks: 1
; NumSGPRsForWavesPerEU: 26
; NumVGPRsForWavesPerEU: 10
; AccumOffset: 12
; Occupancy: 8
; WaveLimiterHint : 0
; COMPUTE_PGM_RSRC2:SCRATCH_EN: 0
; COMPUTE_PGM_RSRC2:USER_SGPR: 2
; COMPUTE_PGM_RSRC2:TRAP_HANDLER: 0
; COMPUTE_PGM_RSRC2:TGID_X_EN: 1
; COMPUTE_PGM_RSRC2:TGID_Y_EN: 0
; COMPUTE_PGM_RSRC2:TGID_Z_EN: 0
; COMPUTE_PGM_RSRC2:TIDIG_COMP_CNT: 0
; COMPUTE_PGM_RSRC3_GFX90A:ACCUM_OFFSET: 2
; COMPUTE_PGM_RSRC3_GFX90A:TG_SPLIT: 0
	.section	.text._ZN7rocprim17ROCPRIM_400000_NS6detail30init_device_scan_by_key_kernelINS1_19lookback_scan_stateINS0_5tupleIJjbEEELb1ELb1EEENS1_16block_id_wrapperIjLb1EEEEEvT_jjPNS9_10value_typeET0_,"axG",@progbits,_ZN7rocprim17ROCPRIM_400000_NS6detail30init_device_scan_by_key_kernelINS1_19lookback_scan_stateINS0_5tupleIJjbEEELb1ELb1EEENS1_16block_id_wrapperIjLb1EEEEEvT_jjPNS9_10value_typeET0_,comdat
	.protected	_ZN7rocprim17ROCPRIM_400000_NS6detail30init_device_scan_by_key_kernelINS1_19lookback_scan_stateINS0_5tupleIJjbEEELb1ELb1EEENS1_16block_id_wrapperIjLb1EEEEEvT_jjPNS9_10value_typeET0_ ; -- Begin function _ZN7rocprim17ROCPRIM_400000_NS6detail30init_device_scan_by_key_kernelINS1_19lookback_scan_stateINS0_5tupleIJjbEEELb1ELb1EEENS1_16block_id_wrapperIjLb1EEEEEvT_jjPNS9_10value_typeET0_
	.globl	_ZN7rocprim17ROCPRIM_400000_NS6detail30init_device_scan_by_key_kernelINS1_19lookback_scan_stateINS0_5tupleIJjbEEELb1ELb1EEENS1_16block_id_wrapperIjLb1EEEEEvT_jjPNS9_10value_typeET0_
	.p2align	8
	.type	_ZN7rocprim17ROCPRIM_400000_NS6detail30init_device_scan_by_key_kernelINS1_19lookback_scan_stateINS0_5tupleIJjbEEELb1ELb1EEENS1_16block_id_wrapperIjLb1EEEEEvT_jjPNS9_10value_typeET0_,@function
_ZN7rocprim17ROCPRIM_400000_NS6detail30init_device_scan_by_key_kernelINS1_19lookback_scan_stateINS0_5tupleIJjbEEELb1ELb1EEENS1_16block_id_wrapperIjLb1EEEEEvT_jjPNS9_10value_typeET0_: ; @_ZN7rocprim17ROCPRIM_400000_NS6detail30init_device_scan_by_key_kernelINS1_19lookback_scan_stateINS0_5tupleIJjbEEELb1ELb1EEENS1_16block_id_wrapperIjLb1EEEEEvT_jjPNS9_10value_typeET0_
; %bb.0:
	s_load_dword s3, s[0:1], 0x2c
	s_load_dwordx8 s[4:11], s[0:1], 0x0
	s_waitcnt lgkmcnt(0)
	s_and_b32 s0, s3, 0xffff
	s_mul_i32 s2, s2, s0
	s_cmp_eq_u64 s[8:9], 0
	v_add_u32_e32 v0, s2, v0
	s_cbranch_scc1 .LBB1231_10
; %bb.1:
	s_cmp_lt_u32 s7, s6
	s_cselect_b32 s0, s7, 0
	s_mov_b32 s3, 0
	v_cmp_eq_u32_e32 vcc, s0, v0
	s_and_saveexec_b64 s[0:1], vcc
	s_cbranch_execz .LBB1231_9
; %bb.2:
	s_add_i32 s2, s7, 64
	s_lshl_b64 s[2:3], s[2:3], 4
	s_add_u32 s14, s4, s2
	s_addc_u32 s15, s5, s3
	v_mov_b64_e32 v[2:3], s[14:15]
	;;#ASMSTART
	global_load_dwordx4 v[2:5], v[2:3] off sc1	
s_waitcnt vmcnt(0)
	;;#ASMEND
	v_mov_b32_e32 v7, 0
	v_and_b32_e32 v6, 0xff, v4
	s_mov_b64 s[12:13], 0
	v_cmp_eq_u64_e32 vcc, 0, v[6:7]
	s_and_saveexec_b64 s[2:3], vcc
	s_cbranch_execz .LBB1231_8
; %bb.3:
	s_mov_b32 s7, 1
	v_mov_b64_e32 v[8:9], s[14:15]
.LBB1231_4:                             ; =>This Loop Header: Depth=1
                                        ;     Child Loop BB1231_5 Depth 2
	s_max_u32 s14, s7, 1
.LBB1231_5:                             ;   Parent Loop BB1231_4 Depth=1
                                        ; =>  This Inner Loop Header: Depth=2
	s_add_i32 s14, s14, -1
	s_cmp_eq_u32 s14, 0
	s_sleep 1
	s_cbranch_scc0 .LBB1231_5
; %bb.6:                                ;   in Loop: Header=BB1231_4 Depth=1
	s_cmp_lt_u32 s7, 32
	s_cselect_b64 s[14:15], -1, 0
	s_cmp_lg_u64 s[14:15], 0
	;;#ASMSTART
	global_load_dwordx4 v[2:5], v[8:9] off sc1	
s_waitcnt vmcnt(0)
	;;#ASMEND
	s_addc_u32 s7, s7, 0
	v_and_b32_e32 v6, 0xff, v4
	v_cmp_ne_u64_e32 vcc, 0, v[6:7]
	s_or_b64 s[12:13], vcc, s[12:13]
	s_andn2_b64 exec, exec, s[12:13]
	s_cbranch_execnz .LBB1231_4
; %bb.7:
	s_or_b64 exec, exec, s[12:13]
.LBB1231_8:
	s_or_b64 exec, exec, s[2:3]
	v_mov_b32_e32 v1, 0
	global_store_dword v1, v2, s[8:9]
	global_store_byte v1, v3, s[8:9] offset:4
.LBB1231_9:
	s_or_b64 exec, exec, s[0:1]
.LBB1231_10:
	v_cmp_eq_u32_e32 vcc, 0, v0
	s_and_saveexec_b64 s[0:1], vcc
	s_cbranch_execnz .LBB1231_14
; %bb.11:
	s_or_b64 exec, exec, s[0:1]
	v_cmp_gt_u32_e32 vcc, s6, v0
	s_and_saveexec_b64 s[0:1], vcc
	s_cbranch_execnz .LBB1231_15
.LBB1231_12:
	s_or_b64 exec, exec, s[0:1]
	v_cmp_gt_u32_e32 vcc, 64, v0
	s_and_saveexec_b64 s[0:1], vcc
	s_cbranch_execnz .LBB1231_16
.LBB1231_13:
	s_endpgm
.LBB1231_14:
	v_mov_b32_e32 v1, 0
	global_store_dword v1, v1, s[10:11]
	s_or_b64 exec, exec, s[0:1]
	v_cmp_gt_u32_e32 vcc, s6, v0
	s_and_saveexec_b64 s[0:1], vcc
	s_cbranch_execz .LBB1231_12
.LBB1231_15:
	v_add_u32_e32 v2, 64, v0
	v_mov_b32_e32 v3, 0
	v_lshl_add_u64 v[6:7], v[2:3], 4, s[4:5]
	v_mov_b32_e32 v2, v3
	v_mov_b32_e32 v4, v3
	;; [unrolled: 1-line block ×3, first 2 shown]
	global_store_dwordx4 v[6:7], v[2:5], off
	s_or_b64 exec, exec, s[0:1]
	v_cmp_gt_u32_e32 vcc, 64, v0
	s_and_saveexec_b64 s[0:1], vcc
	s_cbranch_execz .LBB1231_13
.LBB1231_16:
	v_mov_b32_e32 v1, 0
	v_lshl_add_u64 v[4:5], v[0:1], 4, s[4:5]
	v_mov_b32_e32 v2, 0xff
	v_mov_b32_e32 v0, v1
	;; [unrolled: 1-line block ×3, first 2 shown]
	global_store_dwordx4 v[4:5], v[0:3], off
	s_endpgm
	.section	.rodata,"a",@progbits
	.p2align	6, 0x0
	.amdhsa_kernel _ZN7rocprim17ROCPRIM_400000_NS6detail30init_device_scan_by_key_kernelINS1_19lookback_scan_stateINS0_5tupleIJjbEEELb1ELb1EEENS1_16block_id_wrapperIjLb1EEEEEvT_jjPNS9_10value_typeET0_
		.amdhsa_group_segment_fixed_size 0
		.amdhsa_private_segment_fixed_size 0
		.amdhsa_kernarg_size 288
		.amdhsa_user_sgpr_count 2
		.amdhsa_user_sgpr_dispatch_ptr 0
		.amdhsa_user_sgpr_queue_ptr 0
		.amdhsa_user_sgpr_kernarg_segment_ptr 1
		.amdhsa_user_sgpr_dispatch_id 0
		.amdhsa_user_sgpr_kernarg_preload_length 0
		.amdhsa_user_sgpr_kernarg_preload_offset 0
		.amdhsa_user_sgpr_private_segment_size 0
		.amdhsa_uses_dynamic_stack 0
		.amdhsa_enable_private_segment 0
		.amdhsa_system_sgpr_workgroup_id_x 1
		.amdhsa_system_sgpr_workgroup_id_y 0
		.amdhsa_system_sgpr_workgroup_id_z 0
		.amdhsa_system_sgpr_workgroup_info 0
		.amdhsa_system_vgpr_workitem_id 0
		.amdhsa_next_free_vgpr 10
		.amdhsa_next_free_sgpr 16
		.amdhsa_accum_offset 12
		.amdhsa_reserve_vcc 1
		.amdhsa_float_round_mode_32 0
		.amdhsa_float_round_mode_16_64 0
		.amdhsa_float_denorm_mode_32 3
		.amdhsa_float_denorm_mode_16_64 3
		.amdhsa_dx10_clamp 1
		.amdhsa_ieee_mode 1
		.amdhsa_fp16_overflow 0
		.amdhsa_tg_split 0
		.amdhsa_exception_fp_ieee_invalid_op 0
		.amdhsa_exception_fp_denorm_src 0
		.amdhsa_exception_fp_ieee_div_zero 0
		.amdhsa_exception_fp_ieee_overflow 0
		.amdhsa_exception_fp_ieee_underflow 0
		.amdhsa_exception_fp_ieee_inexact 0
		.amdhsa_exception_int_div_zero 0
	.end_amdhsa_kernel
	.section	.text._ZN7rocprim17ROCPRIM_400000_NS6detail30init_device_scan_by_key_kernelINS1_19lookback_scan_stateINS0_5tupleIJjbEEELb1ELb1EEENS1_16block_id_wrapperIjLb1EEEEEvT_jjPNS9_10value_typeET0_,"axG",@progbits,_ZN7rocprim17ROCPRIM_400000_NS6detail30init_device_scan_by_key_kernelINS1_19lookback_scan_stateINS0_5tupleIJjbEEELb1ELb1EEENS1_16block_id_wrapperIjLb1EEEEEvT_jjPNS9_10value_typeET0_,comdat
.Lfunc_end1231:
	.size	_ZN7rocprim17ROCPRIM_400000_NS6detail30init_device_scan_by_key_kernelINS1_19lookback_scan_stateINS0_5tupleIJjbEEELb1ELb1EEENS1_16block_id_wrapperIjLb1EEEEEvT_jjPNS9_10value_typeET0_, .Lfunc_end1231-_ZN7rocprim17ROCPRIM_400000_NS6detail30init_device_scan_by_key_kernelINS1_19lookback_scan_stateINS0_5tupleIJjbEEELb1ELb1EEENS1_16block_id_wrapperIjLb1EEEEEvT_jjPNS9_10value_typeET0_
                                        ; -- End function
	.section	.AMDGPU.csdata,"",@progbits
; Kernel info:
; codeLenInByte = 416
; NumSgprs: 22
; NumVgprs: 10
; NumAgprs: 0
; TotalNumVgprs: 10
; ScratchSize: 0
; MemoryBound: 0
; FloatMode: 240
; IeeeMode: 1
; LDSByteSize: 0 bytes/workgroup (compile time only)
; SGPRBlocks: 2
; VGPRBlocks: 1
; NumSGPRsForWavesPerEU: 22
; NumVGPRsForWavesPerEU: 10
; AccumOffset: 12
; Occupancy: 8
; WaveLimiterHint : 0
; COMPUTE_PGM_RSRC2:SCRATCH_EN: 0
; COMPUTE_PGM_RSRC2:USER_SGPR: 2
; COMPUTE_PGM_RSRC2:TRAP_HANDLER: 0
; COMPUTE_PGM_RSRC2:TGID_X_EN: 1
; COMPUTE_PGM_RSRC2:TGID_Y_EN: 0
; COMPUTE_PGM_RSRC2:TGID_Z_EN: 0
; COMPUTE_PGM_RSRC2:TIDIG_COMP_CNT: 0
; COMPUTE_PGM_RSRC3_GFX90A:ACCUM_OFFSET: 2
; COMPUTE_PGM_RSRC3_GFX90A:TG_SPLIT: 0
	.section	.text._ZN7rocprim17ROCPRIM_400000_NS6detail17trampoline_kernelINS0_14default_configENS1_27scan_by_key_config_selectorIijEEZZNS1_16scan_by_key_implILNS1_25lookback_scan_determinismE0ELb0ES3_N6thrust23THRUST_200600_302600_NS6detail15normal_iteratorINS9_10device_ptrIiEEEENSB_INSC_IjEEEESG_jNS9_4plusIvEENS9_8equal_toIvEEjEE10hipError_tPvRmT2_T3_T4_T5_mT6_T7_P12ihipStream_tbENKUlT_T0_E_clISt17integral_constantIbLb1EES11_EEDaSW_SX_EUlSW_E_NS1_11comp_targetILNS1_3genE0ELNS1_11target_archE4294967295ELNS1_3gpuE0ELNS1_3repE0EEENS1_30default_config_static_selectorELNS0_4arch9wavefront6targetE1EEEvT1_,"axG",@progbits,_ZN7rocprim17ROCPRIM_400000_NS6detail17trampoline_kernelINS0_14default_configENS1_27scan_by_key_config_selectorIijEEZZNS1_16scan_by_key_implILNS1_25lookback_scan_determinismE0ELb0ES3_N6thrust23THRUST_200600_302600_NS6detail15normal_iteratorINS9_10device_ptrIiEEEENSB_INSC_IjEEEESG_jNS9_4plusIvEENS9_8equal_toIvEEjEE10hipError_tPvRmT2_T3_T4_T5_mT6_T7_P12ihipStream_tbENKUlT_T0_E_clISt17integral_constantIbLb1EES11_EEDaSW_SX_EUlSW_E_NS1_11comp_targetILNS1_3genE0ELNS1_11target_archE4294967295ELNS1_3gpuE0ELNS1_3repE0EEENS1_30default_config_static_selectorELNS0_4arch9wavefront6targetE1EEEvT1_,comdat
	.protected	_ZN7rocprim17ROCPRIM_400000_NS6detail17trampoline_kernelINS0_14default_configENS1_27scan_by_key_config_selectorIijEEZZNS1_16scan_by_key_implILNS1_25lookback_scan_determinismE0ELb0ES3_N6thrust23THRUST_200600_302600_NS6detail15normal_iteratorINS9_10device_ptrIiEEEENSB_INSC_IjEEEESG_jNS9_4plusIvEENS9_8equal_toIvEEjEE10hipError_tPvRmT2_T3_T4_T5_mT6_T7_P12ihipStream_tbENKUlT_T0_E_clISt17integral_constantIbLb1EES11_EEDaSW_SX_EUlSW_E_NS1_11comp_targetILNS1_3genE0ELNS1_11target_archE4294967295ELNS1_3gpuE0ELNS1_3repE0EEENS1_30default_config_static_selectorELNS0_4arch9wavefront6targetE1EEEvT1_ ; -- Begin function _ZN7rocprim17ROCPRIM_400000_NS6detail17trampoline_kernelINS0_14default_configENS1_27scan_by_key_config_selectorIijEEZZNS1_16scan_by_key_implILNS1_25lookback_scan_determinismE0ELb0ES3_N6thrust23THRUST_200600_302600_NS6detail15normal_iteratorINS9_10device_ptrIiEEEENSB_INSC_IjEEEESG_jNS9_4plusIvEENS9_8equal_toIvEEjEE10hipError_tPvRmT2_T3_T4_T5_mT6_T7_P12ihipStream_tbENKUlT_T0_E_clISt17integral_constantIbLb1EES11_EEDaSW_SX_EUlSW_E_NS1_11comp_targetILNS1_3genE0ELNS1_11target_archE4294967295ELNS1_3gpuE0ELNS1_3repE0EEENS1_30default_config_static_selectorELNS0_4arch9wavefront6targetE1EEEvT1_
	.globl	_ZN7rocprim17ROCPRIM_400000_NS6detail17trampoline_kernelINS0_14default_configENS1_27scan_by_key_config_selectorIijEEZZNS1_16scan_by_key_implILNS1_25lookback_scan_determinismE0ELb0ES3_N6thrust23THRUST_200600_302600_NS6detail15normal_iteratorINS9_10device_ptrIiEEEENSB_INSC_IjEEEESG_jNS9_4plusIvEENS9_8equal_toIvEEjEE10hipError_tPvRmT2_T3_T4_T5_mT6_T7_P12ihipStream_tbENKUlT_T0_E_clISt17integral_constantIbLb1EES11_EEDaSW_SX_EUlSW_E_NS1_11comp_targetILNS1_3genE0ELNS1_11target_archE4294967295ELNS1_3gpuE0ELNS1_3repE0EEENS1_30default_config_static_selectorELNS0_4arch9wavefront6targetE1EEEvT1_
	.p2align	8
	.type	_ZN7rocprim17ROCPRIM_400000_NS6detail17trampoline_kernelINS0_14default_configENS1_27scan_by_key_config_selectorIijEEZZNS1_16scan_by_key_implILNS1_25lookback_scan_determinismE0ELb0ES3_N6thrust23THRUST_200600_302600_NS6detail15normal_iteratorINS9_10device_ptrIiEEEENSB_INSC_IjEEEESG_jNS9_4plusIvEENS9_8equal_toIvEEjEE10hipError_tPvRmT2_T3_T4_T5_mT6_T7_P12ihipStream_tbENKUlT_T0_E_clISt17integral_constantIbLb1EES11_EEDaSW_SX_EUlSW_E_NS1_11comp_targetILNS1_3genE0ELNS1_11target_archE4294967295ELNS1_3gpuE0ELNS1_3repE0EEENS1_30default_config_static_selectorELNS0_4arch9wavefront6targetE1EEEvT1_,@function
_ZN7rocprim17ROCPRIM_400000_NS6detail17trampoline_kernelINS0_14default_configENS1_27scan_by_key_config_selectorIijEEZZNS1_16scan_by_key_implILNS1_25lookback_scan_determinismE0ELb0ES3_N6thrust23THRUST_200600_302600_NS6detail15normal_iteratorINS9_10device_ptrIiEEEENSB_INSC_IjEEEESG_jNS9_4plusIvEENS9_8equal_toIvEEjEE10hipError_tPvRmT2_T3_T4_T5_mT6_T7_P12ihipStream_tbENKUlT_T0_E_clISt17integral_constantIbLb1EES11_EEDaSW_SX_EUlSW_E_NS1_11comp_targetILNS1_3genE0ELNS1_11target_archE4294967295ELNS1_3gpuE0ELNS1_3repE0EEENS1_30default_config_static_selectorELNS0_4arch9wavefront6targetE1EEEvT1_: ; @_ZN7rocprim17ROCPRIM_400000_NS6detail17trampoline_kernelINS0_14default_configENS1_27scan_by_key_config_selectorIijEEZZNS1_16scan_by_key_implILNS1_25lookback_scan_determinismE0ELb0ES3_N6thrust23THRUST_200600_302600_NS6detail15normal_iteratorINS9_10device_ptrIiEEEENSB_INSC_IjEEEESG_jNS9_4plusIvEENS9_8equal_toIvEEjEE10hipError_tPvRmT2_T3_T4_T5_mT6_T7_P12ihipStream_tbENKUlT_T0_E_clISt17integral_constantIbLb1EES11_EEDaSW_SX_EUlSW_E_NS1_11comp_targetILNS1_3genE0ELNS1_11target_archE4294967295ELNS1_3gpuE0ELNS1_3repE0EEENS1_30default_config_static_selectorELNS0_4arch9wavefront6targetE1EEEvT1_
; %bb.0:
	.section	.rodata,"a",@progbits
	.p2align	6, 0x0
	.amdhsa_kernel _ZN7rocprim17ROCPRIM_400000_NS6detail17trampoline_kernelINS0_14default_configENS1_27scan_by_key_config_selectorIijEEZZNS1_16scan_by_key_implILNS1_25lookback_scan_determinismE0ELb0ES3_N6thrust23THRUST_200600_302600_NS6detail15normal_iteratorINS9_10device_ptrIiEEEENSB_INSC_IjEEEESG_jNS9_4plusIvEENS9_8equal_toIvEEjEE10hipError_tPvRmT2_T3_T4_T5_mT6_T7_P12ihipStream_tbENKUlT_T0_E_clISt17integral_constantIbLb1EES11_EEDaSW_SX_EUlSW_E_NS1_11comp_targetILNS1_3genE0ELNS1_11target_archE4294967295ELNS1_3gpuE0ELNS1_3repE0EEENS1_30default_config_static_selectorELNS0_4arch9wavefront6targetE1EEEvT1_
		.amdhsa_group_segment_fixed_size 0
		.amdhsa_private_segment_fixed_size 0
		.amdhsa_kernarg_size 112
		.amdhsa_user_sgpr_count 2
		.amdhsa_user_sgpr_dispatch_ptr 0
		.amdhsa_user_sgpr_queue_ptr 0
		.amdhsa_user_sgpr_kernarg_segment_ptr 1
		.amdhsa_user_sgpr_dispatch_id 0
		.amdhsa_user_sgpr_kernarg_preload_length 0
		.amdhsa_user_sgpr_kernarg_preload_offset 0
		.amdhsa_user_sgpr_private_segment_size 0
		.amdhsa_uses_dynamic_stack 0
		.amdhsa_enable_private_segment 0
		.amdhsa_system_sgpr_workgroup_id_x 1
		.amdhsa_system_sgpr_workgroup_id_y 0
		.amdhsa_system_sgpr_workgroup_id_z 0
		.amdhsa_system_sgpr_workgroup_info 0
		.amdhsa_system_vgpr_workitem_id 0
		.amdhsa_next_free_vgpr 1
		.amdhsa_next_free_sgpr 0
		.amdhsa_accum_offset 4
		.amdhsa_reserve_vcc 0
		.amdhsa_float_round_mode_32 0
		.amdhsa_float_round_mode_16_64 0
		.amdhsa_float_denorm_mode_32 3
		.amdhsa_float_denorm_mode_16_64 3
		.amdhsa_dx10_clamp 1
		.amdhsa_ieee_mode 1
		.amdhsa_fp16_overflow 0
		.amdhsa_tg_split 0
		.amdhsa_exception_fp_ieee_invalid_op 0
		.amdhsa_exception_fp_denorm_src 0
		.amdhsa_exception_fp_ieee_div_zero 0
		.amdhsa_exception_fp_ieee_overflow 0
		.amdhsa_exception_fp_ieee_underflow 0
		.amdhsa_exception_fp_ieee_inexact 0
		.amdhsa_exception_int_div_zero 0
	.end_amdhsa_kernel
	.section	.text._ZN7rocprim17ROCPRIM_400000_NS6detail17trampoline_kernelINS0_14default_configENS1_27scan_by_key_config_selectorIijEEZZNS1_16scan_by_key_implILNS1_25lookback_scan_determinismE0ELb0ES3_N6thrust23THRUST_200600_302600_NS6detail15normal_iteratorINS9_10device_ptrIiEEEENSB_INSC_IjEEEESG_jNS9_4plusIvEENS9_8equal_toIvEEjEE10hipError_tPvRmT2_T3_T4_T5_mT6_T7_P12ihipStream_tbENKUlT_T0_E_clISt17integral_constantIbLb1EES11_EEDaSW_SX_EUlSW_E_NS1_11comp_targetILNS1_3genE0ELNS1_11target_archE4294967295ELNS1_3gpuE0ELNS1_3repE0EEENS1_30default_config_static_selectorELNS0_4arch9wavefront6targetE1EEEvT1_,"axG",@progbits,_ZN7rocprim17ROCPRIM_400000_NS6detail17trampoline_kernelINS0_14default_configENS1_27scan_by_key_config_selectorIijEEZZNS1_16scan_by_key_implILNS1_25lookback_scan_determinismE0ELb0ES3_N6thrust23THRUST_200600_302600_NS6detail15normal_iteratorINS9_10device_ptrIiEEEENSB_INSC_IjEEEESG_jNS9_4plusIvEENS9_8equal_toIvEEjEE10hipError_tPvRmT2_T3_T4_T5_mT6_T7_P12ihipStream_tbENKUlT_T0_E_clISt17integral_constantIbLb1EES11_EEDaSW_SX_EUlSW_E_NS1_11comp_targetILNS1_3genE0ELNS1_11target_archE4294967295ELNS1_3gpuE0ELNS1_3repE0EEENS1_30default_config_static_selectorELNS0_4arch9wavefront6targetE1EEEvT1_,comdat
.Lfunc_end1232:
	.size	_ZN7rocprim17ROCPRIM_400000_NS6detail17trampoline_kernelINS0_14default_configENS1_27scan_by_key_config_selectorIijEEZZNS1_16scan_by_key_implILNS1_25lookback_scan_determinismE0ELb0ES3_N6thrust23THRUST_200600_302600_NS6detail15normal_iteratorINS9_10device_ptrIiEEEENSB_INSC_IjEEEESG_jNS9_4plusIvEENS9_8equal_toIvEEjEE10hipError_tPvRmT2_T3_T4_T5_mT6_T7_P12ihipStream_tbENKUlT_T0_E_clISt17integral_constantIbLb1EES11_EEDaSW_SX_EUlSW_E_NS1_11comp_targetILNS1_3genE0ELNS1_11target_archE4294967295ELNS1_3gpuE0ELNS1_3repE0EEENS1_30default_config_static_selectorELNS0_4arch9wavefront6targetE1EEEvT1_, .Lfunc_end1232-_ZN7rocprim17ROCPRIM_400000_NS6detail17trampoline_kernelINS0_14default_configENS1_27scan_by_key_config_selectorIijEEZZNS1_16scan_by_key_implILNS1_25lookback_scan_determinismE0ELb0ES3_N6thrust23THRUST_200600_302600_NS6detail15normal_iteratorINS9_10device_ptrIiEEEENSB_INSC_IjEEEESG_jNS9_4plusIvEENS9_8equal_toIvEEjEE10hipError_tPvRmT2_T3_T4_T5_mT6_T7_P12ihipStream_tbENKUlT_T0_E_clISt17integral_constantIbLb1EES11_EEDaSW_SX_EUlSW_E_NS1_11comp_targetILNS1_3genE0ELNS1_11target_archE4294967295ELNS1_3gpuE0ELNS1_3repE0EEENS1_30default_config_static_selectorELNS0_4arch9wavefront6targetE1EEEvT1_
                                        ; -- End function
	.section	.AMDGPU.csdata,"",@progbits
; Kernel info:
; codeLenInByte = 0
; NumSgprs: 6
; NumVgprs: 0
; NumAgprs: 0
; TotalNumVgprs: 0
; ScratchSize: 0
; MemoryBound: 0
; FloatMode: 240
; IeeeMode: 1
; LDSByteSize: 0 bytes/workgroup (compile time only)
; SGPRBlocks: 0
; VGPRBlocks: 0
; NumSGPRsForWavesPerEU: 6
; NumVGPRsForWavesPerEU: 1
; AccumOffset: 4
; Occupancy: 8
; WaveLimiterHint : 0
; COMPUTE_PGM_RSRC2:SCRATCH_EN: 0
; COMPUTE_PGM_RSRC2:USER_SGPR: 2
; COMPUTE_PGM_RSRC2:TRAP_HANDLER: 0
; COMPUTE_PGM_RSRC2:TGID_X_EN: 1
; COMPUTE_PGM_RSRC2:TGID_Y_EN: 0
; COMPUTE_PGM_RSRC2:TGID_Z_EN: 0
; COMPUTE_PGM_RSRC2:TIDIG_COMP_CNT: 0
; COMPUTE_PGM_RSRC3_GFX90A:ACCUM_OFFSET: 0
; COMPUTE_PGM_RSRC3_GFX90A:TG_SPLIT: 0
	.section	.text._ZN7rocprim17ROCPRIM_400000_NS6detail17trampoline_kernelINS0_14default_configENS1_27scan_by_key_config_selectorIijEEZZNS1_16scan_by_key_implILNS1_25lookback_scan_determinismE0ELb0ES3_N6thrust23THRUST_200600_302600_NS6detail15normal_iteratorINS9_10device_ptrIiEEEENSB_INSC_IjEEEESG_jNS9_4plusIvEENS9_8equal_toIvEEjEE10hipError_tPvRmT2_T3_T4_T5_mT6_T7_P12ihipStream_tbENKUlT_T0_E_clISt17integral_constantIbLb1EES11_EEDaSW_SX_EUlSW_E_NS1_11comp_targetILNS1_3genE10ELNS1_11target_archE1201ELNS1_3gpuE5ELNS1_3repE0EEENS1_30default_config_static_selectorELNS0_4arch9wavefront6targetE1EEEvT1_,"axG",@progbits,_ZN7rocprim17ROCPRIM_400000_NS6detail17trampoline_kernelINS0_14default_configENS1_27scan_by_key_config_selectorIijEEZZNS1_16scan_by_key_implILNS1_25lookback_scan_determinismE0ELb0ES3_N6thrust23THRUST_200600_302600_NS6detail15normal_iteratorINS9_10device_ptrIiEEEENSB_INSC_IjEEEESG_jNS9_4plusIvEENS9_8equal_toIvEEjEE10hipError_tPvRmT2_T3_T4_T5_mT6_T7_P12ihipStream_tbENKUlT_T0_E_clISt17integral_constantIbLb1EES11_EEDaSW_SX_EUlSW_E_NS1_11comp_targetILNS1_3genE10ELNS1_11target_archE1201ELNS1_3gpuE5ELNS1_3repE0EEENS1_30default_config_static_selectorELNS0_4arch9wavefront6targetE1EEEvT1_,comdat
	.protected	_ZN7rocprim17ROCPRIM_400000_NS6detail17trampoline_kernelINS0_14default_configENS1_27scan_by_key_config_selectorIijEEZZNS1_16scan_by_key_implILNS1_25lookback_scan_determinismE0ELb0ES3_N6thrust23THRUST_200600_302600_NS6detail15normal_iteratorINS9_10device_ptrIiEEEENSB_INSC_IjEEEESG_jNS9_4plusIvEENS9_8equal_toIvEEjEE10hipError_tPvRmT2_T3_T4_T5_mT6_T7_P12ihipStream_tbENKUlT_T0_E_clISt17integral_constantIbLb1EES11_EEDaSW_SX_EUlSW_E_NS1_11comp_targetILNS1_3genE10ELNS1_11target_archE1201ELNS1_3gpuE5ELNS1_3repE0EEENS1_30default_config_static_selectorELNS0_4arch9wavefront6targetE1EEEvT1_ ; -- Begin function _ZN7rocprim17ROCPRIM_400000_NS6detail17trampoline_kernelINS0_14default_configENS1_27scan_by_key_config_selectorIijEEZZNS1_16scan_by_key_implILNS1_25lookback_scan_determinismE0ELb0ES3_N6thrust23THRUST_200600_302600_NS6detail15normal_iteratorINS9_10device_ptrIiEEEENSB_INSC_IjEEEESG_jNS9_4plusIvEENS9_8equal_toIvEEjEE10hipError_tPvRmT2_T3_T4_T5_mT6_T7_P12ihipStream_tbENKUlT_T0_E_clISt17integral_constantIbLb1EES11_EEDaSW_SX_EUlSW_E_NS1_11comp_targetILNS1_3genE10ELNS1_11target_archE1201ELNS1_3gpuE5ELNS1_3repE0EEENS1_30default_config_static_selectorELNS0_4arch9wavefront6targetE1EEEvT1_
	.globl	_ZN7rocprim17ROCPRIM_400000_NS6detail17trampoline_kernelINS0_14default_configENS1_27scan_by_key_config_selectorIijEEZZNS1_16scan_by_key_implILNS1_25lookback_scan_determinismE0ELb0ES3_N6thrust23THRUST_200600_302600_NS6detail15normal_iteratorINS9_10device_ptrIiEEEENSB_INSC_IjEEEESG_jNS9_4plusIvEENS9_8equal_toIvEEjEE10hipError_tPvRmT2_T3_T4_T5_mT6_T7_P12ihipStream_tbENKUlT_T0_E_clISt17integral_constantIbLb1EES11_EEDaSW_SX_EUlSW_E_NS1_11comp_targetILNS1_3genE10ELNS1_11target_archE1201ELNS1_3gpuE5ELNS1_3repE0EEENS1_30default_config_static_selectorELNS0_4arch9wavefront6targetE1EEEvT1_
	.p2align	8
	.type	_ZN7rocprim17ROCPRIM_400000_NS6detail17trampoline_kernelINS0_14default_configENS1_27scan_by_key_config_selectorIijEEZZNS1_16scan_by_key_implILNS1_25lookback_scan_determinismE0ELb0ES3_N6thrust23THRUST_200600_302600_NS6detail15normal_iteratorINS9_10device_ptrIiEEEENSB_INSC_IjEEEESG_jNS9_4plusIvEENS9_8equal_toIvEEjEE10hipError_tPvRmT2_T3_T4_T5_mT6_T7_P12ihipStream_tbENKUlT_T0_E_clISt17integral_constantIbLb1EES11_EEDaSW_SX_EUlSW_E_NS1_11comp_targetILNS1_3genE10ELNS1_11target_archE1201ELNS1_3gpuE5ELNS1_3repE0EEENS1_30default_config_static_selectorELNS0_4arch9wavefront6targetE1EEEvT1_,@function
_ZN7rocprim17ROCPRIM_400000_NS6detail17trampoline_kernelINS0_14default_configENS1_27scan_by_key_config_selectorIijEEZZNS1_16scan_by_key_implILNS1_25lookback_scan_determinismE0ELb0ES3_N6thrust23THRUST_200600_302600_NS6detail15normal_iteratorINS9_10device_ptrIiEEEENSB_INSC_IjEEEESG_jNS9_4plusIvEENS9_8equal_toIvEEjEE10hipError_tPvRmT2_T3_T4_T5_mT6_T7_P12ihipStream_tbENKUlT_T0_E_clISt17integral_constantIbLb1EES11_EEDaSW_SX_EUlSW_E_NS1_11comp_targetILNS1_3genE10ELNS1_11target_archE1201ELNS1_3gpuE5ELNS1_3repE0EEENS1_30default_config_static_selectorELNS0_4arch9wavefront6targetE1EEEvT1_: ; @_ZN7rocprim17ROCPRIM_400000_NS6detail17trampoline_kernelINS0_14default_configENS1_27scan_by_key_config_selectorIijEEZZNS1_16scan_by_key_implILNS1_25lookback_scan_determinismE0ELb0ES3_N6thrust23THRUST_200600_302600_NS6detail15normal_iteratorINS9_10device_ptrIiEEEENSB_INSC_IjEEEESG_jNS9_4plusIvEENS9_8equal_toIvEEjEE10hipError_tPvRmT2_T3_T4_T5_mT6_T7_P12ihipStream_tbENKUlT_T0_E_clISt17integral_constantIbLb1EES11_EEDaSW_SX_EUlSW_E_NS1_11comp_targetILNS1_3genE10ELNS1_11target_archE1201ELNS1_3gpuE5ELNS1_3repE0EEENS1_30default_config_static_selectorELNS0_4arch9wavefront6targetE1EEEvT1_
; %bb.0:
	.section	.rodata,"a",@progbits
	.p2align	6, 0x0
	.amdhsa_kernel _ZN7rocprim17ROCPRIM_400000_NS6detail17trampoline_kernelINS0_14default_configENS1_27scan_by_key_config_selectorIijEEZZNS1_16scan_by_key_implILNS1_25lookback_scan_determinismE0ELb0ES3_N6thrust23THRUST_200600_302600_NS6detail15normal_iteratorINS9_10device_ptrIiEEEENSB_INSC_IjEEEESG_jNS9_4plusIvEENS9_8equal_toIvEEjEE10hipError_tPvRmT2_T3_T4_T5_mT6_T7_P12ihipStream_tbENKUlT_T0_E_clISt17integral_constantIbLb1EES11_EEDaSW_SX_EUlSW_E_NS1_11comp_targetILNS1_3genE10ELNS1_11target_archE1201ELNS1_3gpuE5ELNS1_3repE0EEENS1_30default_config_static_selectorELNS0_4arch9wavefront6targetE1EEEvT1_
		.amdhsa_group_segment_fixed_size 0
		.amdhsa_private_segment_fixed_size 0
		.amdhsa_kernarg_size 112
		.amdhsa_user_sgpr_count 2
		.amdhsa_user_sgpr_dispatch_ptr 0
		.amdhsa_user_sgpr_queue_ptr 0
		.amdhsa_user_sgpr_kernarg_segment_ptr 1
		.amdhsa_user_sgpr_dispatch_id 0
		.amdhsa_user_sgpr_kernarg_preload_length 0
		.amdhsa_user_sgpr_kernarg_preload_offset 0
		.amdhsa_user_sgpr_private_segment_size 0
		.amdhsa_uses_dynamic_stack 0
		.amdhsa_enable_private_segment 0
		.amdhsa_system_sgpr_workgroup_id_x 1
		.amdhsa_system_sgpr_workgroup_id_y 0
		.amdhsa_system_sgpr_workgroup_id_z 0
		.amdhsa_system_sgpr_workgroup_info 0
		.amdhsa_system_vgpr_workitem_id 0
		.amdhsa_next_free_vgpr 1
		.amdhsa_next_free_sgpr 0
		.amdhsa_accum_offset 4
		.amdhsa_reserve_vcc 0
		.amdhsa_float_round_mode_32 0
		.amdhsa_float_round_mode_16_64 0
		.amdhsa_float_denorm_mode_32 3
		.amdhsa_float_denorm_mode_16_64 3
		.amdhsa_dx10_clamp 1
		.amdhsa_ieee_mode 1
		.amdhsa_fp16_overflow 0
		.amdhsa_tg_split 0
		.amdhsa_exception_fp_ieee_invalid_op 0
		.amdhsa_exception_fp_denorm_src 0
		.amdhsa_exception_fp_ieee_div_zero 0
		.amdhsa_exception_fp_ieee_overflow 0
		.amdhsa_exception_fp_ieee_underflow 0
		.amdhsa_exception_fp_ieee_inexact 0
		.amdhsa_exception_int_div_zero 0
	.end_amdhsa_kernel
	.section	.text._ZN7rocprim17ROCPRIM_400000_NS6detail17trampoline_kernelINS0_14default_configENS1_27scan_by_key_config_selectorIijEEZZNS1_16scan_by_key_implILNS1_25lookback_scan_determinismE0ELb0ES3_N6thrust23THRUST_200600_302600_NS6detail15normal_iteratorINS9_10device_ptrIiEEEENSB_INSC_IjEEEESG_jNS9_4plusIvEENS9_8equal_toIvEEjEE10hipError_tPvRmT2_T3_T4_T5_mT6_T7_P12ihipStream_tbENKUlT_T0_E_clISt17integral_constantIbLb1EES11_EEDaSW_SX_EUlSW_E_NS1_11comp_targetILNS1_3genE10ELNS1_11target_archE1201ELNS1_3gpuE5ELNS1_3repE0EEENS1_30default_config_static_selectorELNS0_4arch9wavefront6targetE1EEEvT1_,"axG",@progbits,_ZN7rocprim17ROCPRIM_400000_NS6detail17trampoline_kernelINS0_14default_configENS1_27scan_by_key_config_selectorIijEEZZNS1_16scan_by_key_implILNS1_25lookback_scan_determinismE0ELb0ES3_N6thrust23THRUST_200600_302600_NS6detail15normal_iteratorINS9_10device_ptrIiEEEENSB_INSC_IjEEEESG_jNS9_4plusIvEENS9_8equal_toIvEEjEE10hipError_tPvRmT2_T3_T4_T5_mT6_T7_P12ihipStream_tbENKUlT_T0_E_clISt17integral_constantIbLb1EES11_EEDaSW_SX_EUlSW_E_NS1_11comp_targetILNS1_3genE10ELNS1_11target_archE1201ELNS1_3gpuE5ELNS1_3repE0EEENS1_30default_config_static_selectorELNS0_4arch9wavefront6targetE1EEEvT1_,comdat
.Lfunc_end1233:
	.size	_ZN7rocprim17ROCPRIM_400000_NS6detail17trampoline_kernelINS0_14default_configENS1_27scan_by_key_config_selectorIijEEZZNS1_16scan_by_key_implILNS1_25lookback_scan_determinismE0ELb0ES3_N6thrust23THRUST_200600_302600_NS6detail15normal_iteratorINS9_10device_ptrIiEEEENSB_INSC_IjEEEESG_jNS9_4plusIvEENS9_8equal_toIvEEjEE10hipError_tPvRmT2_T3_T4_T5_mT6_T7_P12ihipStream_tbENKUlT_T0_E_clISt17integral_constantIbLb1EES11_EEDaSW_SX_EUlSW_E_NS1_11comp_targetILNS1_3genE10ELNS1_11target_archE1201ELNS1_3gpuE5ELNS1_3repE0EEENS1_30default_config_static_selectorELNS0_4arch9wavefront6targetE1EEEvT1_, .Lfunc_end1233-_ZN7rocprim17ROCPRIM_400000_NS6detail17trampoline_kernelINS0_14default_configENS1_27scan_by_key_config_selectorIijEEZZNS1_16scan_by_key_implILNS1_25lookback_scan_determinismE0ELb0ES3_N6thrust23THRUST_200600_302600_NS6detail15normal_iteratorINS9_10device_ptrIiEEEENSB_INSC_IjEEEESG_jNS9_4plusIvEENS9_8equal_toIvEEjEE10hipError_tPvRmT2_T3_T4_T5_mT6_T7_P12ihipStream_tbENKUlT_T0_E_clISt17integral_constantIbLb1EES11_EEDaSW_SX_EUlSW_E_NS1_11comp_targetILNS1_3genE10ELNS1_11target_archE1201ELNS1_3gpuE5ELNS1_3repE0EEENS1_30default_config_static_selectorELNS0_4arch9wavefront6targetE1EEEvT1_
                                        ; -- End function
	.section	.AMDGPU.csdata,"",@progbits
; Kernel info:
; codeLenInByte = 0
; NumSgprs: 6
; NumVgprs: 0
; NumAgprs: 0
; TotalNumVgprs: 0
; ScratchSize: 0
; MemoryBound: 0
; FloatMode: 240
; IeeeMode: 1
; LDSByteSize: 0 bytes/workgroup (compile time only)
; SGPRBlocks: 0
; VGPRBlocks: 0
; NumSGPRsForWavesPerEU: 6
; NumVGPRsForWavesPerEU: 1
; AccumOffset: 4
; Occupancy: 8
; WaveLimiterHint : 0
; COMPUTE_PGM_RSRC2:SCRATCH_EN: 0
; COMPUTE_PGM_RSRC2:USER_SGPR: 2
; COMPUTE_PGM_RSRC2:TRAP_HANDLER: 0
; COMPUTE_PGM_RSRC2:TGID_X_EN: 1
; COMPUTE_PGM_RSRC2:TGID_Y_EN: 0
; COMPUTE_PGM_RSRC2:TGID_Z_EN: 0
; COMPUTE_PGM_RSRC2:TIDIG_COMP_CNT: 0
; COMPUTE_PGM_RSRC3_GFX90A:ACCUM_OFFSET: 0
; COMPUTE_PGM_RSRC3_GFX90A:TG_SPLIT: 0
	.section	.text._ZN7rocprim17ROCPRIM_400000_NS6detail17trampoline_kernelINS0_14default_configENS1_27scan_by_key_config_selectorIijEEZZNS1_16scan_by_key_implILNS1_25lookback_scan_determinismE0ELb0ES3_N6thrust23THRUST_200600_302600_NS6detail15normal_iteratorINS9_10device_ptrIiEEEENSB_INSC_IjEEEESG_jNS9_4plusIvEENS9_8equal_toIvEEjEE10hipError_tPvRmT2_T3_T4_T5_mT6_T7_P12ihipStream_tbENKUlT_T0_E_clISt17integral_constantIbLb1EES11_EEDaSW_SX_EUlSW_E_NS1_11comp_targetILNS1_3genE5ELNS1_11target_archE942ELNS1_3gpuE9ELNS1_3repE0EEENS1_30default_config_static_selectorELNS0_4arch9wavefront6targetE1EEEvT1_,"axG",@progbits,_ZN7rocprim17ROCPRIM_400000_NS6detail17trampoline_kernelINS0_14default_configENS1_27scan_by_key_config_selectorIijEEZZNS1_16scan_by_key_implILNS1_25lookback_scan_determinismE0ELb0ES3_N6thrust23THRUST_200600_302600_NS6detail15normal_iteratorINS9_10device_ptrIiEEEENSB_INSC_IjEEEESG_jNS9_4plusIvEENS9_8equal_toIvEEjEE10hipError_tPvRmT2_T3_T4_T5_mT6_T7_P12ihipStream_tbENKUlT_T0_E_clISt17integral_constantIbLb1EES11_EEDaSW_SX_EUlSW_E_NS1_11comp_targetILNS1_3genE5ELNS1_11target_archE942ELNS1_3gpuE9ELNS1_3repE0EEENS1_30default_config_static_selectorELNS0_4arch9wavefront6targetE1EEEvT1_,comdat
	.protected	_ZN7rocprim17ROCPRIM_400000_NS6detail17trampoline_kernelINS0_14default_configENS1_27scan_by_key_config_selectorIijEEZZNS1_16scan_by_key_implILNS1_25lookback_scan_determinismE0ELb0ES3_N6thrust23THRUST_200600_302600_NS6detail15normal_iteratorINS9_10device_ptrIiEEEENSB_INSC_IjEEEESG_jNS9_4plusIvEENS9_8equal_toIvEEjEE10hipError_tPvRmT2_T3_T4_T5_mT6_T7_P12ihipStream_tbENKUlT_T0_E_clISt17integral_constantIbLb1EES11_EEDaSW_SX_EUlSW_E_NS1_11comp_targetILNS1_3genE5ELNS1_11target_archE942ELNS1_3gpuE9ELNS1_3repE0EEENS1_30default_config_static_selectorELNS0_4arch9wavefront6targetE1EEEvT1_ ; -- Begin function _ZN7rocprim17ROCPRIM_400000_NS6detail17trampoline_kernelINS0_14default_configENS1_27scan_by_key_config_selectorIijEEZZNS1_16scan_by_key_implILNS1_25lookback_scan_determinismE0ELb0ES3_N6thrust23THRUST_200600_302600_NS6detail15normal_iteratorINS9_10device_ptrIiEEEENSB_INSC_IjEEEESG_jNS9_4plusIvEENS9_8equal_toIvEEjEE10hipError_tPvRmT2_T3_T4_T5_mT6_T7_P12ihipStream_tbENKUlT_T0_E_clISt17integral_constantIbLb1EES11_EEDaSW_SX_EUlSW_E_NS1_11comp_targetILNS1_3genE5ELNS1_11target_archE942ELNS1_3gpuE9ELNS1_3repE0EEENS1_30default_config_static_selectorELNS0_4arch9wavefront6targetE1EEEvT1_
	.globl	_ZN7rocprim17ROCPRIM_400000_NS6detail17trampoline_kernelINS0_14default_configENS1_27scan_by_key_config_selectorIijEEZZNS1_16scan_by_key_implILNS1_25lookback_scan_determinismE0ELb0ES3_N6thrust23THRUST_200600_302600_NS6detail15normal_iteratorINS9_10device_ptrIiEEEENSB_INSC_IjEEEESG_jNS9_4plusIvEENS9_8equal_toIvEEjEE10hipError_tPvRmT2_T3_T4_T5_mT6_T7_P12ihipStream_tbENKUlT_T0_E_clISt17integral_constantIbLb1EES11_EEDaSW_SX_EUlSW_E_NS1_11comp_targetILNS1_3genE5ELNS1_11target_archE942ELNS1_3gpuE9ELNS1_3repE0EEENS1_30default_config_static_selectorELNS0_4arch9wavefront6targetE1EEEvT1_
	.p2align	8
	.type	_ZN7rocprim17ROCPRIM_400000_NS6detail17trampoline_kernelINS0_14default_configENS1_27scan_by_key_config_selectorIijEEZZNS1_16scan_by_key_implILNS1_25lookback_scan_determinismE0ELb0ES3_N6thrust23THRUST_200600_302600_NS6detail15normal_iteratorINS9_10device_ptrIiEEEENSB_INSC_IjEEEESG_jNS9_4plusIvEENS9_8equal_toIvEEjEE10hipError_tPvRmT2_T3_T4_T5_mT6_T7_P12ihipStream_tbENKUlT_T0_E_clISt17integral_constantIbLb1EES11_EEDaSW_SX_EUlSW_E_NS1_11comp_targetILNS1_3genE5ELNS1_11target_archE942ELNS1_3gpuE9ELNS1_3repE0EEENS1_30default_config_static_selectorELNS0_4arch9wavefront6targetE1EEEvT1_,@function
_ZN7rocprim17ROCPRIM_400000_NS6detail17trampoline_kernelINS0_14default_configENS1_27scan_by_key_config_selectorIijEEZZNS1_16scan_by_key_implILNS1_25lookback_scan_determinismE0ELb0ES3_N6thrust23THRUST_200600_302600_NS6detail15normal_iteratorINS9_10device_ptrIiEEEENSB_INSC_IjEEEESG_jNS9_4plusIvEENS9_8equal_toIvEEjEE10hipError_tPvRmT2_T3_T4_T5_mT6_T7_P12ihipStream_tbENKUlT_T0_E_clISt17integral_constantIbLb1EES11_EEDaSW_SX_EUlSW_E_NS1_11comp_targetILNS1_3genE5ELNS1_11target_archE942ELNS1_3gpuE9ELNS1_3repE0EEENS1_30default_config_static_selectorELNS0_4arch9wavefront6targetE1EEEvT1_: ; @_ZN7rocprim17ROCPRIM_400000_NS6detail17trampoline_kernelINS0_14default_configENS1_27scan_by_key_config_selectorIijEEZZNS1_16scan_by_key_implILNS1_25lookback_scan_determinismE0ELb0ES3_N6thrust23THRUST_200600_302600_NS6detail15normal_iteratorINS9_10device_ptrIiEEEENSB_INSC_IjEEEESG_jNS9_4plusIvEENS9_8equal_toIvEEjEE10hipError_tPvRmT2_T3_T4_T5_mT6_T7_P12ihipStream_tbENKUlT_T0_E_clISt17integral_constantIbLb1EES11_EEDaSW_SX_EUlSW_E_NS1_11comp_targetILNS1_3genE5ELNS1_11target_archE942ELNS1_3gpuE9ELNS1_3repE0EEENS1_30default_config_static_selectorELNS0_4arch9wavefront6targetE1EEEvT1_
; %bb.0:
	s_load_dwordx4 s[72:75], s[0:1], 0x28
	s_load_dwordx2 s[76:77], s[0:1], 0x38
	v_cmp_ne_u32_e64 s[4:5], 0, v0
	v_cmp_eq_u32_e64 s[54:55], 0, v0
	s_and_saveexec_b64 s[2:3], s[54:55]
	s_cbranch_execz .LBB1234_4
; %bb.1:
	s_mov_b64 s[8:9], exec
	v_mbcnt_lo_u32_b32 v1, s8, 0
	v_mbcnt_hi_u32_b32 v1, s9, v1
	v_cmp_eq_u32_e32 vcc, 0, v1
                                        ; implicit-def: $vgpr2
	s_and_saveexec_b64 s[6:7], vcc
	s_cbranch_execz .LBB1234_3
; %bb.2:
	s_load_dwordx2 s[10:11], s[0:1], 0x68
	s_bcnt1_i32_b64 s8, s[8:9]
	v_mov_b32_e32 v2, 0
	v_mov_b32_e32 v3, s8
	s_waitcnt lgkmcnt(0)
	global_atomic_add v2, v2, v3, s[10:11] sc0
.LBB1234_3:
	s_or_b64 exec, exec, s[6:7]
	s_waitcnt vmcnt(0)
	v_readfirstlane_b32 s6, v2
	v_mov_b32_e32 v2, 0
	s_nop 0
	v_add_u32_e32 v1, s6, v1
	ds_write_b32 v2, v1
.LBB1234_4:
	s_or_b64 exec, exec, s[2:3]
	s_load_dwordx8 s[56:63], s[0:1], 0x0
	s_load_dword s2, s[0:1], 0x40
	s_load_dwordx8 s[64:71], s[0:1], 0x48
	v_mov_b32_e32 v1, 0
	s_waitcnt lgkmcnt(0)
	s_barrier
	ds_read_b32 v1, v1
	s_lshl_b64 s[58:59], s[58:59], 2
	s_add_u32 s3, s56, s58
	s_addc_u32 s6, s57, s59
	s_add_u32 s7, s60, s58
	s_mul_i32 s0, s77, s2
	s_mul_hi_u32 s1, s76, s2
	s_addc_u32 s8, s61, s59
	s_add_i32 s9, s1, s0
	s_waitcnt lgkmcnt(0)
	v_readfirstlane_b32 s75, v1
	s_cmp_lg_u64 s[68:69], 0
	s_mov_b32 s1, 0
	s_mul_i32 s0, s75, 0x1700
	s_cselect_b64 s[78:79], -1, 0
	s_lshl_b64 s[56:57], s[0:1], 2
	s_add_u32 s68, s3, s56
	s_addc_u32 s69, s6, s57
	s_add_u32 s60, s7, s56
	s_mul_i32 s2, s76, s2
	s_addc_u32 s61, s8, s57
	s_add_u32 s80, s2, s75
	s_addc_u32 s81, s9, 0
	s_add_u32 s0, s64, -1
	s_addc_u32 s1, s65, -1
	v_mov_b64_e32 v[2:3], s[0:1]
	v_cmp_ge_u64_e64 s[2:3], s[80:81], v[2:3]
	s_mov_b64 s[10:11], 0
	s_mov_b64 s[6:7], -1
	s_and_b64 vcc, exec, s[2:3]
	s_mul_i32 s33, s0, 0xffffe900
	s_barrier
	s_barrier
	s_cbranch_vccz .LBB1234_126
; %bb.5:
	v_mov_b64_e32 v[2:3], s[68:69]
	flat_load_dword v1, v[2:3]
	s_add_i32 s84, s33, s74
	v_cmp_gt_u32_e64 s[6:7], s84, v0
	s_waitcnt vmcnt(0) lgkmcnt(0)
	v_mov_b32_e32 v3, v1
	s_and_saveexec_b64 s[0:1], s[6:7]
	s_cbranch_execz .LBB1234_7
; %bb.6:
	v_lshlrev_b32_e32 v2, 2, v0
	v_mov_b32_e32 v3, 0
	v_lshl_add_u64 v[2:3], s[68:69], 0, v[2:3]
	flat_load_dword v3, v[2:3]
.LBB1234_7:
	s_or_b64 exec, exec, s[0:1]
	v_or_b32_e32 v2, 0x100, v0
	v_cmp_gt_u32_e64 s[8:9], s84, v2
	v_mov_b32_e32 v4, v1
	s_and_saveexec_b64 s[0:1], s[8:9]
	s_cbranch_execz .LBB1234_9
; %bb.8:
	v_lshlrev_b32_e32 v4, 2, v0
	v_mov_b32_e32 v5, 0
	v_lshl_add_u64 v[4:5], s[68:69], 0, v[4:5]
	flat_load_dword v4, v[4:5] offset:1024
.LBB1234_9:
	s_or_b64 exec, exec, s[0:1]
	v_or_b32_e32 v2, 0x200, v0
	v_cmp_gt_u32_e64 s[10:11], s84, v2
	v_mov_b32_e32 v5, v1
	s_and_saveexec_b64 s[0:1], s[10:11]
	s_cbranch_execz .LBB1234_11
; %bb.10:
	v_lshlrev_b32_e32 v6, 2, v0
	v_mov_b32_e32 v7, 0
	v_lshl_add_u64 v[6:7], s[68:69], 0, v[6:7]
	flat_load_dword v5, v[6:7] offset:2048
.LBB1234_11:
	;; [unrolled: 12-line block ×3, first 2 shown]
	s_or_b64 exec, exec, s[0:1]
	v_or_b32_e32 v10, 0x400, v0
	v_cmp_gt_u32_e64 s[14:15], s84, v10
	v_mov_b32_e32 v7, v1
	s_and_saveexec_b64 s[0:1], s[14:15]
	s_cbranch_execz .LBB1234_15
; %bb.14:
	v_lshlrev_b32_e32 v8, 2, v10
	v_mov_b32_e32 v9, 0
	v_lshl_add_u64 v[8:9], s[68:69], 0, v[8:9]
	flat_load_dword v7, v[8:9]
.LBB1234_15:
	s_or_b64 exec, exec, s[0:1]
	v_or_b32_e32 v11, 0x500, v0
	v_cmp_gt_u32_e64 s[16:17], s84, v11
	v_mov_b32_e32 v8, v1
	s_and_saveexec_b64 s[0:1], s[16:17]
	s_cbranch_execz .LBB1234_17
; %bb.16:
	v_lshlrev_b32_e32 v8, 2, v11
	v_mov_b32_e32 v9, 0
	v_lshl_add_u64 v[8:9], s[68:69], 0, v[8:9]
	flat_load_dword v8, v[8:9]
.LBB1234_17:
	;; [unrolled: 12-line block ×18, first 2 shown]
	s_or_b64 exec, exec, s[0:1]
	v_or_b32_e32 v28, 0x1600, v0
	v_cmp_gt_u32_e64 s[52:53], s84, v28
	s_and_saveexec_b64 s[0:1], s[52:53]
	s_cbranch_execz .LBB1234_51
; %bb.50:
	v_lshlrev_b32_e32 v44, 2, v28
	v_mov_b32_e32 v45, 0
	v_lshl_add_u64 v[44:45], s[68:69], 0, v[44:45]
	flat_load_dword v1, v[44:45]
.LBB1234_51:
	s_or_b64 exec, exec, s[0:1]
	v_lshlrev_b32_e32 v2, 2, v0
	s_movk_i32 s0, 0x58
	s_waitcnt vmcnt(0) lgkmcnt(0)
	ds_write2st64_b32 v2, v3, v4 offset1:4
	ds_write2st64_b32 v2, v5, v6 offset0:8 offset1:12
	ds_write2st64_b32 v2, v7, v8 offset0:16 offset1:20
	;; [unrolled: 1-line block ×10, first 2 shown]
	ds_write_b32 v2, v1 offset:22528
	v_mad_u32_u24 v1, v0, s0, v2
	s_waitcnt lgkmcnt(0)
	s_barrier
	ds_read2_b32 v[68:69], v1 offset1:1
	ds_read2_b32 v[66:67], v1 offset0:2 offset1:3
	ds_read2_b32 v[64:65], v1 offset0:4 offset1:5
	ds_read2_b32 v[62:63], v1 offset0:6 offset1:7
	ds_read2_b32 v[60:61], v1 offset0:8 offset1:9
	ds_read2_b32 v[58:59], v1 offset0:10 offset1:11
	ds_read2_b32 v[56:57], v1 offset0:12 offset1:13
	ds_read2_b32 v[54:55], v1 offset0:14 offset1:15
	ds_read2_b32 v[8:9], v1 offset0:16 offset1:17
	ds_read2_b32 v[6:7], v1 offset0:18 offset1:19
	ds_read2_b32 v[4:5], v1 offset0:20 offset1:21
	ds_read_b32 v72, v1 offset:88
	s_cmp_eq_u64 s[80:81], 0
	s_mov_b64 s[0:1], s[68:69]
	s_cbranch_scc1 .LBB1234_55
; %bb.52:
	s_andn2_b64 vcc, exec, s[78:79]
	s_cbranch_vccnz .LBB1234_271
; %bb.53:
	s_lshl_b64 s[0:1], s[80:81], 2
	s_add_u32 s0, s70, s0
	s_addc_u32 s1, s71, s1
	s_add_u32 s0, s0, -4
	s_addc_u32 s1, s1, -1
	s_cbranch_execnz .LBB1234_55
.LBB1234_54:
	s_add_u32 s0, s68, -4
	s_addc_u32 s1, s69, -1
.LBB1234_55:
	v_mov_b64_e32 v[30:31], s[0:1]
	flat_load_dword v70, v[30:31]
	s_movk_i32 s0, 0xffa8
	v_mad_i32_i24 v3, v0, s0, v1
	s_waitcnt lgkmcnt(0)
	ds_write_b32 v3, v72 offset:23552
	s_waitcnt lgkmcnt(0)
	s_barrier
	s_and_saveexec_b64 s[0:1], s[4:5]
	s_cbranch_execz .LBB1234_57
; %bb.56:
	v_mul_i32_i24_e32 v3, 0xffffffa8, v0
	v_add_u32_e32 v3, v1, v3
	s_waitcnt vmcnt(0)
	ds_read_b32 v70, v3 offset:23548
.LBB1234_57:
	s_or_b64 exec, exec, s[0:1]
	v_mov_b32_e32 v3, 0
	s_waitcnt lgkmcnt(0)
	s_barrier
	s_waitcnt lgkmcnt(0)
                                        ; implicit-def: $vgpr29
	s_and_saveexec_b64 s[0:1], s[6:7]
	s_cbranch_execnz .LBB1234_247
; %bb.58:
	s_or_b64 exec, exec, s[0:1]
                                        ; implicit-def: $vgpr30
	s_and_saveexec_b64 s[0:1], s[8:9]
	s_cbranch_execnz .LBB1234_248
.LBB1234_59:
	s_or_b64 exec, exec, s[0:1]
                                        ; implicit-def: $vgpr31
	s_and_saveexec_b64 s[0:1], s[10:11]
	s_cbranch_execnz .LBB1234_249
.LBB1234_60:
	s_or_b64 exec, exec, s[0:1]
                                        ; implicit-def: $vgpr3
	s_and_saveexec_b64 s[0:1], s[12:13]
	s_cbranch_execnz .LBB1234_250
.LBB1234_61:
	s_or_b64 exec, exec, s[0:1]
                                        ; implicit-def: $vgpr32
	s_and_saveexec_b64 s[0:1], s[14:15]
	s_cbranch_execnz .LBB1234_251
.LBB1234_62:
	s_or_b64 exec, exec, s[0:1]
                                        ; implicit-def: $vgpr10
	s_and_saveexec_b64 s[0:1], s[16:17]
	s_cbranch_execnz .LBB1234_252
.LBB1234_63:
	s_or_b64 exec, exec, s[0:1]
                                        ; implicit-def: $vgpr11
	s_and_saveexec_b64 s[0:1], s[18:19]
	s_cbranch_execnz .LBB1234_253
.LBB1234_64:
	s_or_b64 exec, exec, s[0:1]
                                        ; implicit-def: $vgpr12
	s_and_saveexec_b64 s[0:1], s[20:21]
	s_cbranch_execnz .LBB1234_254
.LBB1234_65:
	s_or_b64 exec, exec, s[0:1]
                                        ; implicit-def: $vgpr13
	s_and_saveexec_b64 s[0:1], s[22:23]
	s_cbranch_execnz .LBB1234_255
.LBB1234_66:
	s_or_b64 exec, exec, s[0:1]
                                        ; implicit-def: $vgpr14
	s_and_saveexec_b64 s[0:1], s[24:25]
	s_cbranch_execnz .LBB1234_256
.LBB1234_67:
	s_or_b64 exec, exec, s[0:1]
                                        ; implicit-def: $vgpr15
	s_and_saveexec_b64 s[0:1], s[26:27]
	s_cbranch_execnz .LBB1234_257
.LBB1234_68:
	s_or_b64 exec, exec, s[0:1]
                                        ; implicit-def: $vgpr16
	s_and_saveexec_b64 s[0:1], s[28:29]
	s_cbranch_execnz .LBB1234_258
.LBB1234_69:
	s_or_b64 exec, exec, s[0:1]
                                        ; implicit-def: $vgpr17
	s_and_saveexec_b64 s[0:1], s[30:31]
	s_cbranch_execnz .LBB1234_259
.LBB1234_70:
	s_or_b64 exec, exec, s[0:1]
                                        ; implicit-def: $vgpr18
	s_and_saveexec_b64 s[0:1], s[34:35]
	s_cbranch_execnz .LBB1234_260
.LBB1234_71:
	s_or_b64 exec, exec, s[0:1]
                                        ; implicit-def: $vgpr19
	s_and_saveexec_b64 s[0:1], s[36:37]
	s_cbranch_execnz .LBB1234_261
.LBB1234_72:
	s_or_b64 exec, exec, s[0:1]
                                        ; implicit-def: $vgpr20
	s_and_saveexec_b64 s[0:1], s[38:39]
	s_cbranch_execnz .LBB1234_262
.LBB1234_73:
	s_or_b64 exec, exec, s[0:1]
                                        ; implicit-def: $vgpr21
	s_and_saveexec_b64 s[0:1], s[40:41]
	s_cbranch_execnz .LBB1234_263
.LBB1234_74:
	s_or_b64 exec, exec, s[0:1]
                                        ; implicit-def: $vgpr22
	s_and_saveexec_b64 s[0:1], s[42:43]
	s_cbranch_execnz .LBB1234_264
.LBB1234_75:
	s_or_b64 exec, exec, s[0:1]
                                        ; implicit-def: $vgpr23
	s_and_saveexec_b64 s[0:1], s[44:45]
	s_cbranch_execnz .LBB1234_265
.LBB1234_76:
	s_or_b64 exec, exec, s[0:1]
                                        ; implicit-def: $vgpr24
	s_and_saveexec_b64 s[0:1], s[46:47]
	s_cbranch_execnz .LBB1234_266
.LBB1234_77:
	s_or_b64 exec, exec, s[0:1]
                                        ; implicit-def: $vgpr25
	s_and_saveexec_b64 s[0:1], s[48:49]
	s_cbranch_execnz .LBB1234_267
.LBB1234_78:
	s_or_b64 exec, exec, s[0:1]
                                        ; implicit-def: $vgpr26
	s_and_saveexec_b64 s[0:1], s[50:51]
	s_cbranch_execnz .LBB1234_268
.LBB1234_79:
	s_or_b64 exec, exec, s[0:1]
                                        ; implicit-def: $vgpr27
	s_and_saveexec_b64 s[0:1], s[52:53]
	s_cbranch_execz .LBB1234_81
.LBB1234_80:
	v_lshlrev_b32_e32 v34, 2, v28
	v_mov_b32_e32 v35, 0
	v_lshl_add_u64 v[34:35], s[60:61], 0, v[34:35]
	flat_load_dword v27, v[34:35]
.LBB1234_81:
	s_or_b64 exec, exec, s[0:1]
	v_mul_u32_u24_e32 v73, 23, v0
	s_waitcnt vmcnt(0) lgkmcnt(0)
	ds_write2st64_b32 v2, v29, v30 offset1:4
	ds_write2st64_b32 v2, v31, v3 offset0:8 offset1:12
	ds_write2st64_b32 v2, v32, v10 offset0:16 offset1:20
	;; [unrolled: 1-line block ×10, first 2 shown]
	ds_write_b32 v2, v27 offset:22528
	v_mov_b64_e32 v[10:11], 0
	v_cmp_gt_u32_e32 vcc, s84, v73
	s_mov_b64 s[10:11], 0
	s_mov_b64 s[6:7], 0
	v_mov_b64_e32 v[12:13], v[10:11]
	v_mov_b64_e32 v[14:15], v[10:11]
	;; [unrolled: 1-line block ×21, first 2 shown]
	s_waitcnt lgkmcnt(0)
	s_barrier
	s_waitcnt lgkmcnt(0)
                                        ; implicit-def: $sgpr0_sgpr1
                                        ; implicit-def: $vgpr3
	s_and_saveexec_b64 s[8:9], vcc
	s_cbranch_execz .LBB1234_125
; %bb.82:
	ds_read_b32 v10, v1
	v_add_u32_e32 v2, 1, v73
	v_cmp_ne_u32_e32 vcc, v70, v68
	v_mov_b64_e32 v[12:13], 0
	s_mov_b64 s[12:13], 0
	v_cndmask_b32_e64 v11, 0, 1, vcc
	v_cmp_gt_u32_e32 vcc, s84, v2
	s_mov_b64 s[0:1], 0
	v_mov_b64_e32 v[14:15], v[12:13]
	v_mov_b64_e32 v[16:17], v[12:13]
	;; [unrolled: 1-line block ×20, first 2 shown]
                                        ; implicit-def: $sgpr14_sgpr15
                                        ; implicit-def: $vgpr3
	s_and_saveexec_b64 s[10:11], vcc
	s_cbranch_execz .LBB1234_124
; %bb.83:
	ds_read2_b32 v[70:71], v1 offset0:1 offset1:2
	v_add_u32_e32 v2, 2, v73
	v_cmp_ne_u32_e32 vcc, v68, v69
	v_mov_b64_e32 v[14:15], 0
	s_mov_b64 s[16:17], 0
	v_cndmask_b32_e64 v13, 0, 1, vcc
	v_cmp_gt_u32_e32 vcc, s84, v2
	s_waitcnt lgkmcnt(0)
	v_mov_b32_e32 v12, v70
	v_mov_b64_e32 v[16:17], v[14:15]
	v_mov_b64_e32 v[18:19], v[14:15]
	;; [unrolled: 1-line block ×19, first 2 shown]
                                        ; implicit-def: $sgpr14_sgpr15
                                        ; implicit-def: $vgpr3
	s_and_saveexec_b64 s[12:13], vcc
	s_cbranch_execz .LBB1234_123
; %bb.84:
	v_add_u32_e32 v2, 3, v73
	v_cmp_ne_u32_e32 vcc, v69, v66
	v_mov_b64_e32 v[16:17], 0
	v_mov_b32_e32 v14, v71
	v_cndmask_b32_e64 v15, 0, 1, vcc
	v_cmp_gt_u32_e32 vcc, s84, v2
	v_mov_b64_e32 v[18:19], v[16:17]
	v_mov_b64_e32 v[20:21], v[16:17]
	v_mov_b64_e32 v[22:23], v[16:17]
	v_mov_b64_e32 v[24:25], v[16:17]
	v_mov_b64_e32 v[26:27], v[16:17]
	v_mov_b64_e32 v[28:29], v[16:17]
	v_mov_b64_e32 v[30:31], v[16:17]
	v_mov_b64_e32 v[32:33], v[16:17]
	v_mov_b64_e32 v[34:35], v[16:17]
	v_mov_b64_e32 v[36:37], v[16:17]
	v_mov_b64_e32 v[38:39], v[16:17]
	v_mov_b64_e32 v[40:41], v[16:17]
	v_mov_b64_e32 v[42:43], v[16:17]
	v_mov_b64_e32 v[44:45], v[16:17]
	v_mov_b64_e32 v[46:47], v[16:17]
	v_mov_b64_e32 v[48:49], v[16:17]
	v_mov_b64_e32 v[50:51], v[16:17]
	v_mov_b64_e32 v[52:53], v[16:17]
                                        ; implicit-def: $sgpr18_sgpr19
                                        ; implicit-def: $vgpr3
	s_and_saveexec_b64 s[14:15], vcc
	s_cbranch_execz .LBB1234_122
; %bb.85:
	ds_read2_b32 v[68:69], v1 offset0:3 offset1:4
	v_add_u32_e32 v2, 4, v73
	v_cmp_ne_u32_e32 vcc, v66, v67
	v_mov_b64_e32 v[18:19], 0
	s_mov_b64 s[20:21], 0
	v_cndmask_b32_e64 v17, 0, 1, vcc
	v_cmp_gt_u32_e32 vcc, s84, v2
	s_waitcnt lgkmcnt(0)
	v_mov_b32_e32 v16, v68
	v_mov_b64_e32 v[20:21], v[18:19]
	v_mov_b64_e32 v[22:23], v[18:19]
	;; [unrolled: 1-line block ×17, first 2 shown]
                                        ; implicit-def: $sgpr18_sgpr19
                                        ; implicit-def: $vgpr3
	s_and_saveexec_b64 s[16:17], vcc
	s_cbranch_execz .LBB1234_121
; %bb.86:
	v_add_u32_e32 v2, 5, v73
	v_cmp_ne_u32_e32 vcc, v67, v64
	v_mov_b64_e32 v[20:21], 0
	v_mov_b32_e32 v18, v69
	v_cndmask_b32_e64 v19, 0, 1, vcc
	v_cmp_gt_u32_e32 vcc, s84, v2
	v_mov_b64_e32 v[22:23], v[20:21]
	v_mov_b64_e32 v[24:25], v[20:21]
	;; [unrolled: 1-line block ×16, first 2 shown]
                                        ; implicit-def: $sgpr22_sgpr23
                                        ; implicit-def: $vgpr3
	s_and_saveexec_b64 s[18:19], vcc
	s_cbranch_execz .LBB1234_120
; %bb.87:
	ds_read2_b32 v[66:67], v1 offset0:5 offset1:6
	v_add_u32_e32 v2, 6, v73
	v_cmp_ne_u32_e32 vcc, v64, v65
	v_mov_b64_e32 v[22:23], 0
	s_mov_b64 s[24:25], 0
	v_cndmask_b32_e64 v21, 0, 1, vcc
	v_cmp_gt_u32_e32 vcc, s84, v2
	s_waitcnt lgkmcnt(0)
	v_mov_b32_e32 v20, v66
	v_mov_b64_e32 v[24:25], v[22:23]
	v_mov_b64_e32 v[26:27], v[22:23]
	;; [unrolled: 1-line block ×15, first 2 shown]
                                        ; implicit-def: $sgpr22_sgpr23
                                        ; implicit-def: $vgpr3
	s_and_saveexec_b64 s[20:21], vcc
	s_cbranch_execz .LBB1234_119
; %bb.88:
	v_add_u32_e32 v2, 7, v73
	v_cmp_ne_u32_e32 vcc, v65, v62
	v_mov_b64_e32 v[24:25], 0
	v_mov_b32_e32 v22, v67
	v_cndmask_b32_e64 v23, 0, 1, vcc
	v_cmp_gt_u32_e32 vcc, s84, v2
	v_mov_b64_e32 v[26:27], v[24:25]
	v_mov_b64_e32 v[28:29], v[24:25]
	;; [unrolled: 1-line block ×14, first 2 shown]
                                        ; implicit-def: $sgpr26_sgpr27
                                        ; implicit-def: $vgpr3
	s_and_saveexec_b64 s[22:23], vcc
	s_cbranch_execz .LBB1234_118
; %bb.89:
	ds_read2_b32 v[64:65], v1 offset0:7 offset1:8
	v_add_u32_e32 v2, 8, v73
	v_cmp_ne_u32_e32 vcc, v62, v63
	v_mov_b64_e32 v[26:27], 0
	s_mov_b64 s[28:29], 0
	v_cndmask_b32_e64 v25, 0, 1, vcc
	v_cmp_gt_u32_e32 vcc, s84, v2
	s_waitcnt lgkmcnt(0)
	v_mov_b32_e32 v24, v64
	v_mov_b64_e32 v[28:29], v[26:27]
	v_mov_b64_e32 v[30:31], v[26:27]
	;; [unrolled: 1-line block ×13, first 2 shown]
                                        ; implicit-def: $sgpr26_sgpr27
                                        ; implicit-def: $vgpr3
	s_and_saveexec_b64 s[24:25], vcc
	s_cbranch_execz .LBB1234_117
; %bb.90:
	v_add_u32_e32 v2, 9, v73
	v_cmp_ne_u32_e32 vcc, v63, v60
	v_mov_b64_e32 v[28:29], 0
	v_mov_b32_e32 v26, v65
	v_cndmask_b32_e64 v27, 0, 1, vcc
	v_cmp_gt_u32_e32 vcc, s84, v2
	v_mov_b64_e32 v[30:31], v[28:29]
	v_mov_b64_e32 v[32:33], v[28:29]
	;; [unrolled: 1-line block ×12, first 2 shown]
                                        ; implicit-def: $sgpr30_sgpr31
                                        ; implicit-def: $vgpr3
	s_and_saveexec_b64 s[26:27], vcc
	s_cbranch_execz .LBB1234_116
; %bb.91:
	ds_read2_b32 v[62:63], v1 offset0:9 offset1:10
	v_add_u32_e32 v2, 10, v73
	v_cmp_ne_u32_e32 vcc, v60, v61
	v_mov_b64_e32 v[30:31], 0
	s_mov_b64 s[34:35], 0
	v_cndmask_b32_e64 v29, 0, 1, vcc
	v_cmp_gt_u32_e32 vcc, s84, v2
	s_waitcnt lgkmcnt(0)
	v_mov_b32_e32 v28, v62
	v_mov_b64_e32 v[32:33], v[30:31]
	v_mov_b64_e32 v[34:35], v[30:31]
	;; [unrolled: 1-line block ×11, first 2 shown]
                                        ; implicit-def: $sgpr30_sgpr31
                                        ; implicit-def: $vgpr3
	s_and_saveexec_b64 s[28:29], vcc
	s_cbranch_execz .LBB1234_115
; %bb.92:
	v_add_u32_e32 v2, 11, v73
	v_cmp_ne_u32_e32 vcc, v61, v58
	v_mov_b64_e32 v[32:33], 0
	v_mov_b32_e32 v30, v63
	v_cndmask_b32_e64 v31, 0, 1, vcc
	v_cmp_gt_u32_e32 vcc, s84, v2
	v_mov_b64_e32 v[34:35], v[32:33]
	v_mov_b64_e32 v[36:37], v[32:33]
	;; [unrolled: 1-line block ×10, first 2 shown]
                                        ; implicit-def: $sgpr36_sgpr37
                                        ; implicit-def: $vgpr3
	s_and_saveexec_b64 s[30:31], vcc
	s_cbranch_execz .LBB1234_114
; %bb.93:
	ds_read2_b32 v[60:61], v1 offset0:11 offset1:12
	v_add_u32_e32 v2, 12, v73
	v_cmp_ne_u32_e32 vcc, v58, v59
	v_mov_b64_e32 v[34:35], 0
	s_mov_b64 s[38:39], 0
	v_cndmask_b32_e64 v33, 0, 1, vcc
	v_cmp_gt_u32_e32 vcc, s84, v2
	s_waitcnt lgkmcnt(0)
	v_mov_b32_e32 v32, v60
	v_mov_b64_e32 v[36:37], v[34:35]
	v_mov_b64_e32 v[38:39], v[34:35]
	;; [unrolled: 1-line block ×9, first 2 shown]
                                        ; implicit-def: $sgpr36_sgpr37
                                        ; implicit-def: $vgpr3
	s_and_saveexec_b64 s[34:35], vcc
	s_cbranch_execz .LBB1234_113
; %bb.94:
	v_add_u32_e32 v2, 13, v73
	v_cmp_ne_u32_e32 vcc, v59, v56
	v_mov_b64_e32 v[36:37], 0
	v_mov_b32_e32 v34, v61
	v_cndmask_b32_e64 v35, 0, 1, vcc
	v_cmp_gt_u32_e32 vcc, s84, v2
	v_mov_b64_e32 v[38:39], v[36:37]
	v_mov_b64_e32 v[40:41], v[36:37]
	;; [unrolled: 1-line block ×8, first 2 shown]
                                        ; implicit-def: $sgpr40_sgpr41
                                        ; implicit-def: $vgpr3
	s_and_saveexec_b64 s[36:37], vcc
	s_cbranch_execz .LBB1234_112
; %bb.95:
	ds_read2_b32 v[58:59], v1 offset0:13 offset1:14
	v_add_u32_e32 v2, 14, v73
	v_cmp_ne_u32_e32 vcc, v56, v57
	v_mov_b64_e32 v[38:39], 0
	s_mov_b64 s[42:43], 0
	v_cndmask_b32_e64 v37, 0, 1, vcc
	v_cmp_gt_u32_e32 vcc, s84, v2
	s_waitcnt lgkmcnt(0)
	v_mov_b32_e32 v36, v58
	v_mov_b64_e32 v[40:41], v[38:39]
	v_mov_b64_e32 v[42:43], v[38:39]
	;; [unrolled: 1-line block ×7, first 2 shown]
                                        ; implicit-def: $sgpr40_sgpr41
                                        ; implicit-def: $vgpr3
	s_and_saveexec_b64 s[38:39], vcc
	s_cbranch_execz .LBB1234_111
; %bb.96:
	v_add_u32_e32 v2, 15, v73
	v_cmp_ne_u32_e32 vcc, v57, v54
	v_mov_b64_e32 v[40:41], 0
	v_mov_b32_e32 v38, v59
	v_cndmask_b32_e64 v39, 0, 1, vcc
	v_cmp_gt_u32_e32 vcc, s84, v2
	v_mov_b64_e32 v[42:43], v[40:41]
	v_mov_b64_e32 v[44:45], v[40:41]
	;; [unrolled: 1-line block ×6, first 2 shown]
                                        ; implicit-def: $sgpr44_sgpr45
                                        ; implicit-def: $vgpr3
	s_and_saveexec_b64 s[40:41], vcc
	s_cbranch_execz .LBB1234_110
; %bb.97:
	ds_read2_b32 v[56:57], v1 offset0:15 offset1:16
	v_add_u32_e32 v2, 16, v73
	v_cmp_ne_u32_e32 vcc, v54, v55
	v_mov_b64_e32 v[42:43], 0
	s_mov_b64 s[46:47], 0
	v_cndmask_b32_e64 v41, 0, 1, vcc
	v_cmp_gt_u32_e32 vcc, s84, v2
	s_waitcnt lgkmcnt(0)
	v_mov_b32_e32 v40, v56
	v_mov_b64_e32 v[44:45], v[42:43]
	v_mov_b64_e32 v[46:47], v[42:43]
	;; [unrolled: 1-line block ×5, first 2 shown]
                                        ; implicit-def: $sgpr44_sgpr45
                                        ; implicit-def: $vgpr3
	s_and_saveexec_b64 s[42:43], vcc
	s_cbranch_execz .LBB1234_109
; %bb.98:
	v_add_u32_e32 v2, 17, v73
	v_cmp_ne_u32_e32 vcc, v55, v8
	v_mov_b64_e32 v[44:45], 0
	v_mov_b32_e32 v42, v57
	v_cndmask_b32_e64 v43, 0, 1, vcc
	v_cmp_gt_u32_e32 vcc, s84, v2
	v_mov_b64_e32 v[46:47], v[44:45]
	v_mov_b64_e32 v[48:49], v[44:45]
	;; [unrolled: 1-line block ×4, first 2 shown]
                                        ; implicit-def: $sgpr48_sgpr49
                                        ; implicit-def: $vgpr3
	s_and_saveexec_b64 s[44:45], vcc
	s_cbranch_execz .LBB1234_108
; %bb.99:
	ds_read2_b32 v[54:55], v1 offset0:17 offset1:18
	v_add_u32_e32 v2, 18, v73
	v_cmp_ne_u32_e32 vcc, v8, v9
	v_mov_b64_e32 v[46:47], 0
	s_mov_b64 s[50:51], 0
	v_cndmask_b32_e64 v45, 0, 1, vcc
	v_cmp_gt_u32_e32 vcc, s84, v2
	s_waitcnt lgkmcnt(0)
	v_mov_b32_e32 v44, v54
	v_mov_b64_e32 v[48:49], v[46:47]
	v_mov_b64_e32 v[50:51], v[46:47]
	;; [unrolled: 1-line block ×3, first 2 shown]
                                        ; implicit-def: $sgpr48_sgpr49
                                        ; implicit-def: $vgpr3
	s_and_saveexec_b64 s[46:47], vcc
	s_cbranch_execz .LBB1234_107
; %bb.100:
	v_add_u32_e32 v2, 19, v73
	v_cmp_ne_u32_e32 vcc, v9, v6
	v_mov_b64_e32 v[48:49], 0
	v_mov_b32_e32 v46, v55
	v_cndmask_b32_e64 v47, 0, 1, vcc
	v_cmp_gt_u32_e32 vcc, s84, v2
	v_mov_b64_e32 v[50:51], v[48:49]
	v_mov_b64_e32 v[52:53], v[48:49]
                                        ; implicit-def: $sgpr52_sgpr53
                                        ; implicit-def: $vgpr3
	s_and_saveexec_b64 s[48:49], vcc
	s_cbranch_execz .LBB1234_106
; %bb.101:
	ds_read2_b32 v[8:9], v1 offset0:19 offset1:20
	v_add_u32_e32 v2, 20, v73
	v_cmp_ne_u32_e32 vcc, v6, v7
	v_mov_b64_e32 v[50:51], 0
	s_mov_b64 s[52:53], 0
	v_cndmask_b32_e64 v49, 0, 1, vcc
	v_cmp_gt_u32_e32 vcc, s84, v2
	s_waitcnt lgkmcnt(0)
	v_mov_b32_e32 v48, v8
	v_mov_b64_e32 v[52:53], v[50:51]
                                        ; implicit-def: $sgpr64_sgpr65
                                        ; implicit-def: $vgpr3
	s_and_saveexec_b64 s[50:51], vcc
	s_cbranch_execz .LBB1234_105
; %bb.102:
	v_add_u32_e32 v2, 21, v73
	v_cmp_ne_u32_e32 vcc, v7, v4
	v_mov_b32_e32 v50, v9
	v_mov_b64_e32 v[52:53], 0
	v_cndmask_b32_e64 v51, 0, 1, vcc
	v_cmp_gt_u32_e32 vcc, s84, v2
                                        ; implicit-def: $sgpr64_sgpr65
                                        ; implicit-def: $vgpr3
	s_and_saveexec_b64 s[0:1], vcc
	s_xor_b64 s[82:83], exec, s[0:1]
	s_cbranch_execz .LBB1234_104
; %bb.103:
	ds_read2_b32 v[2:3], v1 offset0:21 offset1:22
	v_add_u32_e32 v1, 22, v73
	v_cmp_ne_u32_e64 s[0:1], v4, v5
	v_cmp_ne_u32_e32 vcc, v5, v72
	s_and_b64 s[64:65], vcc, exec
	v_cndmask_b32_e64 v53, 0, 1, s[0:1]
	v_cmp_gt_u32_e64 s[0:1], s84, v1
	s_waitcnt lgkmcnt(0)
	v_mov_b32_e32 v52, v2
	s_and_b64 s[52:53], s[0:1], exec
.LBB1234_104:
	s_or_b64 exec, exec, s[82:83]
	s_and_b64 s[64:65], s[64:65], exec
	s_and_b64 s[0:1], s[52:53], exec
.LBB1234_105:
	s_or_b64 exec, exec, s[50:51]
	s_and_b64 s[52:53], s[64:65], exec
	s_and_b64 s[50:51], s[0:1], exec
.LBB1234_106:
	s_or_b64 exec, exec, s[48:49]
	s_and_b64 s[48:49], s[52:53], exec
	s_and_b64 s[0:1], s[50:51], exec
.LBB1234_107:
	s_or_b64 exec, exec, s[46:47]
	s_and_b64 s[48:49], s[48:49], exec
	s_and_b64 s[46:47], s[0:1], exec
.LBB1234_108:
	s_or_b64 exec, exec, s[44:45]
	s_and_b64 s[44:45], s[48:49], exec
	s_and_b64 s[0:1], s[46:47], exec
.LBB1234_109:
	s_or_b64 exec, exec, s[42:43]
	s_and_b64 s[44:45], s[44:45], exec
	s_and_b64 s[42:43], s[0:1], exec
.LBB1234_110:
	s_or_b64 exec, exec, s[40:41]
	s_and_b64 s[40:41], s[44:45], exec
	s_and_b64 s[0:1], s[42:43], exec
.LBB1234_111:
	s_or_b64 exec, exec, s[38:39]
	s_and_b64 s[40:41], s[40:41], exec
	s_and_b64 s[38:39], s[0:1], exec
.LBB1234_112:
	s_or_b64 exec, exec, s[36:37]
	s_and_b64 s[36:37], s[40:41], exec
	s_and_b64 s[0:1], s[38:39], exec
.LBB1234_113:
	s_or_b64 exec, exec, s[34:35]
	s_and_b64 s[36:37], s[36:37], exec
	s_and_b64 s[34:35], s[0:1], exec
.LBB1234_114:
	s_or_b64 exec, exec, s[30:31]
	s_and_b64 s[30:31], s[36:37], exec
	s_and_b64 s[0:1], s[34:35], exec
.LBB1234_115:
	s_or_b64 exec, exec, s[28:29]
	s_and_b64 s[30:31], s[30:31], exec
	s_and_b64 s[28:29], s[0:1], exec
.LBB1234_116:
	s_or_b64 exec, exec, s[26:27]
	s_and_b64 s[26:27], s[30:31], exec
	s_and_b64 s[0:1], s[28:29], exec
.LBB1234_117:
	s_or_b64 exec, exec, s[24:25]
	s_and_b64 s[26:27], s[26:27], exec
	s_and_b64 s[24:25], s[0:1], exec
.LBB1234_118:
	s_or_b64 exec, exec, s[22:23]
	s_and_b64 s[22:23], s[26:27], exec
	s_and_b64 s[0:1], s[24:25], exec
.LBB1234_119:
	s_or_b64 exec, exec, s[20:21]
	s_and_b64 s[22:23], s[22:23], exec
	s_and_b64 s[20:21], s[0:1], exec
.LBB1234_120:
	s_or_b64 exec, exec, s[18:19]
	s_and_b64 s[18:19], s[22:23], exec
	s_and_b64 s[0:1], s[20:21], exec
.LBB1234_121:
	s_or_b64 exec, exec, s[16:17]
	s_and_b64 s[18:19], s[18:19], exec
	s_and_b64 s[16:17], s[0:1], exec
.LBB1234_122:
	s_or_b64 exec, exec, s[14:15]
	s_and_b64 s[14:15], s[18:19], exec
	s_and_b64 s[0:1], s[16:17], exec
.LBB1234_123:
	s_or_b64 exec, exec, s[12:13]
	s_and_b64 s[14:15], s[14:15], exec
	s_and_b64 s[12:13], s[0:1], exec
.LBB1234_124:
	s_or_b64 exec, exec, s[10:11]
	s_and_b64 s[0:1], s[14:15], exec
	s_and_b64 s[10:11], s[12:13], exec
.LBB1234_125:
	s_or_b64 exec, exec, s[8:9]
	s_mov_b64 s[8:9], 0
	s_and_b64 vcc, exec, s[6:7]
	v_lshlrev_b32_e32 v54, 2, v0
	s_cbranch_vccnz .LBB1234_127
	s_branch .LBB1234_135
.LBB1234_126:
                                        ; implicit-def: $sgpr0_sgpr1
                                        ; implicit-def: $vgpr3
                                        ; implicit-def: $vgpr10_vgpr11
                                        ; implicit-def: $vgpr12_vgpr13
                                        ; implicit-def: $vgpr14_vgpr15
                                        ; implicit-def: $vgpr16_vgpr17
                                        ; implicit-def: $vgpr18_vgpr19
                                        ; implicit-def: $vgpr20_vgpr21
                                        ; implicit-def: $vgpr22_vgpr23
                                        ; implicit-def: $vgpr24_vgpr25
                                        ; implicit-def: $vgpr26_vgpr27
                                        ; implicit-def: $vgpr28_vgpr29
                                        ; implicit-def: $vgpr30_vgpr31
                                        ; implicit-def: $vgpr32_vgpr33
                                        ; implicit-def: $vgpr34_vgpr35
                                        ; implicit-def: $vgpr36_vgpr37
                                        ; implicit-def: $vgpr38_vgpr39
                                        ; implicit-def: $vgpr40_vgpr41
                                        ; implicit-def: $vgpr42_vgpr43
                                        ; implicit-def: $vgpr44_vgpr45
                                        ; implicit-def: $vgpr46_vgpr47
                                        ; implicit-def: $vgpr48_vgpr49
                                        ; implicit-def: $vgpr50_vgpr51
                                        ; implicit-def: $vgpr52_vgpr53
                                        ; implicit-def: $sgpr8_sgpr9
	s_and_b64 vcc, exec, s[6:7]
	v_lshlrev_b32_e32 v54, 2, v0
	s_cbranch_vccz .LBB1234_135
.LBB1234_127:
	v_mov_b32_e32 v55, 0
	v_lshl_add_u64 v[2:3], s[68:69], 0, v[54:55]
	v_add_co_u32_e32 v4, vcc, 0x1000, v2
	s_movk_i32 s0, 0x58
	s_nop 0
	v_addc_co_u32_e32 v5, vcc, 0, v3, vcc
	flat_load_dword v8, v[2:3]
	flat_load_dword v9, v[2:3] offset:1024
	s_waitcnt lgkmcnt(0)
	flat_load_dword v10, v[2:3] offset:2048
	flat_load_dword v11, v[2:3] offset:3072
	flat_load_dword v12, v[4:5]
	flat_load_dword v13, v[4:5] offset:1024
	flat_load_dword v14, v[4:5] offset:2048
	;; [unrolled: 1-line block ×3, first 2 shown]
	v_add_co_u32_e32 v4, vcc, 0x2000, v2
	v_mad_u32_u24 v1, v0, s0, v54
	s_nop 0
	v_addc_co_u32_e32 v5, vcc, 0, v3, vcc
	v_add_co_u32_e32 v6, vcc, 0x3000, v2
	s_cmp_eq_u64 s[80:81], 0
	s_nop 0
	v_addc_co_u32_e32 v7, vcc, 0, v3, vcc
	flat_load_dword v16, v[4:5]
	flat_load_dword v17, v[4:5] offset:1024
	flat_load_dword v18, v[4:5] offset:2048
	;; [unrolled: 1-line block ×3, first 2 shown]
	flat_load_dword v20, v[6:7]
	flat_load_dword v21, v[6:7] offset:1024
	flat_load_dword v22, v[6:7] offset:2048
	;; [unrolled: 1-line block ×3, first 2 shown]
	v_add_co_u32_e32 v4, vcc, 0x4000, v2
	s_nop 1
	v_addc_co_u32_e32 v5, vcc, 0, v3, vcc
	v_add_co_u32_e32 v2, vcc, 0x5000, v2
	s_nop 1
	v_addc_co_u32_e32 v3, vcc, 0, v3, vcc
	flat_load_dword v6, v[4:5]
	flat_load_dword v7, v[4:5] offset:1024
	flat_load_dword v24, v[4:5] offset:2048
	;; [unrolled: 1-line block ×3, first 2 shown]
	flat_load_dword v26, v[2:3]
	flat_load_dword v27, v[2:3] offset:1024
	flat_load_dword v28, v[2:3] offset:2048
	s_waitcnt vmcnt(0)
	ds_write2st64_b32 v54, v8, v9 offset1:4
	s_waitcnt lgkmcnt(0)
	ds_write2st64_b32 v54, v10, v11 offset0:8 offset1:12
	ds_write2st64_b32 v54, v12, v13 offset0:16 offset1:20
	;; [unrolled: 1-line block ×10, first 2 shown]
	ds_write_b32 v54, v28 offset:22528
	s_waitcnt lgkmcnt(0)
	s_barrier
	ds_read2_b32 v[2:3], v1 offset1:1
	ds_read2_b32 v[18:19], v1 offset0:2 offset1:3
	ds_read2_b32 v[22:23], v1 offset0:4 offset1:5
	;; [unrolled: 1-line block ×10, first 2 shown]
	ds_read_b32 v10, v1 offset:88
	s_cbranch_scc1 .LBB1234_132
; %bb.128:
	s_andn2_b64 vcc, exec, s[78:79]
	s_cbranch_vccnz .LBB1234_272
; %bb.129:
	s_lshl_b64 s[0:1], s[80:81], 2
	s_add_u32 s0, s70, s0
	s_addc_u32 s1, s71, s1
	s_add_u32 s0, s0, -4
	s_addc_u32 s1, s1, -1
	s_cbranch_execnz .LBB1234_131
.LBB1234_130:
	s_add_u32 s0, s68, -4
	s_addc_u32 s1, s69, -1
.LBB1234_131:
	s_mov_b64 s[68:69], s[0:1]
.LBB1234_132:
	v_mov_b64_e32 v[12:13], s[68:69]
	flat_load_dword v11, v[12:13]
	s_movk_i32 s0, 0xffa8
	v_mad_i32_i24 v12, v0, s0, v1
	s_waitcnt lgkmcnt(0)
	ds_write_b32 v12, v10 offset:23552
	s_waitcnt lgkmcnt(0)
	s_barrier
	s_and_saveexec_b64 s[0:1], s[4:5]
	s_cbranch_execz .LBB1234_134
; %bb.133:
	s_waitcnt vmcnt(0)
	v_mul_i32_i24_e32 v11, 0xffffffa8, v0
	v_add_u32_e32 v11, v1, v11
	ds_read_b32 v11, v11 offset:23548
.LBB1234_134:
	s_or_b64 exec, exec, s[0:1]
	v_mov_b32_e32 v55, 0
	v_lshl_add_u64 v[12:13], s[60:61], 0, v[54:55]
	s_movk_i32 s0, 0x1000
	v_add_co_u32_e32 v14, vcc, s0, v12
	s_movk_i32 s0, 0x2000
	s_nop 0
	v_addc_co_u32_e32 v15, vcc, 0, v13, vcc
	s_waitcnt lgkmcnt(0)
	s_barrier
	flat_load_dword v20, v[12:13]
	flat_load_dword v21, v[12:13] offset:1024
	flat_load_dword v24, v[12:13] offset:2048
	;; [unrolled: 1-line block ×3, first 2 shown]
	flat_load_dword v28, v[14:15]
	flat_load_dword v29, v[14:15] offset:1024
	flat_load_dword v32, v[14:15] offset:2048
	;; [unrolled: 1-line block ×3, first 2 shown]
	v_add_co_u32_e32 v14, vcc, s0, v12
	s_movk_i32 s0, 0x3000
	s_nop 0
	v_addc_co_u32_e32 v15, vcc, 0, v13, vcc
	v_add_co_u32_e32 v16, vcc, s0, v12
	s_movk_i32 s0, 0x4000
	s_nop 0
	v_addc_co_u32_e32 v17, vcc, 0, v13, vcc
	flat_load_dword v36, v[14:15]
	flat_load_dword v37, v[14:15] offset:1024
	flat_load_dword v40, v[14:15] offset:2048
	;; [unrolled: 1-line block ×3, first 2 shown]
	flat_load_dword v44, v[16:17]
	flat_load_dword v45, v[16:17] offset:1024
	flat_load_dword v46, v[16:17] offset:2048
	;; [unrolled: 1-line block ×3, first 2 shown]
	v_add_co_u32_e32 v14, vcc, s0, v12
	s_movk_i32 s0, 0x5000
	s_nop 0
	v_addc_co_u32_e32 v15, vcc, 0, v13, vcc
	v_add_co_u32_e32 v12, vcc, s0, v12
	v_cmp_ne_u32_e64 s[0:1], v5, v10
	s_nop 0
	v_addc_co_u32_e32 v13, vcc, 0, v13, vcc
	flat_load_dword v16, v[14:15]
	flat_load_dword v17, v[14:15] offset:1024
	flat_load_dword v48, v[14:15] offset:2048
	;; [unrolled: 1-line block ×3, first 2 shown]
	flat_load_dword v50, v[12:13]
	flat_load_dword v51, v[12:13] offset:1024
	flat_load_dword v52, v[12:13] offset:2048
	s_waitcnt vmcnt(0)
	v_cmp_ne_u32_e32 vcc, v11, v2
	s_mov_b64 s[10:11], -1
                                        ; implicit-def: $sgpr8_sgpr9
	s_waitcnt lgkmcnt(0)
	ds_write2st64_b32 v54, v20, v21 offset1:4
	ds_write2st64_b32 v54, v24, v25 offset0:8 offset1:12
	ds_write2st64_b32 v54, v28, v29 offset0:16 offset1:20
	;; [unrolled: 1-line block ×10, first 2 shown]
	ds_write_b32 v54, v52 offset:22528
	v_cndmask_b32_e64 v11, 0, 1, vcc
	v_cmp_ne_u32_e32 vcc, v2, v3
	s_waitcnt lgkmcnt(0)
	s_barrier
	v_cndmask_b32_e64 v13, 0, 1, vcc
	v_cmp_ne_u32_e32 vcc, v3, v18
	ds_read2_b32 v[16:17], v1 offset1:1
	ds_read2_b32 v[20:21], v1 offset0:2 offset1:3
	ds_read2_b32 v[24:25], v1 offset0:4 offset1:5
	;; [unrolled: 1-line block ×10, first 2 shown]
	ds_read_b32 v3, v1 offset:88
	v_cndmask_b32_e64 v15, 0, 1, vcc
	v_cmp_ne_u32_e32 vcc, v18, v19
	s_waitcnt lgkmcnt(11)
	v_mov_b32_e32 v12, v17
	v_mov_b32_e32 v10, v16
	v_cndmask_b32_e64 v17, 0, 1, vcc
	v_cmp_ne_u32_e32 vcc, v19, v22
	s_waitcnt lgkmcnt(10)
	v_mov_b32_e32 v16, v21
	v_mov_b32_e32 v14, v20
	;; [unrolled: 5-line block ×5, first 2 shown]
	v_cndmask_b32_e64 v25, 0, 1, vcc
	v_cmp_ne_u32_e32 vcc, v27, v30
	s_waitcnt lgkmcnt(6)
	v_mov_b32_e32 v32, v37
	s_waitcnt lgkmcnt(2)
	v_mov_b32_e32 v48, v51
	v_cndmask_b32_e64 v27, 0, 1, vcc
	v_cmp_ne_u32_e32 vcc, v30, v31
	v_mov_b32_e32 v30, v36
	v_mov_b32_e32 v36, v41
	v_cndmask_b32_e64 v29, 0, 1, vcc
	v_cmp_ne_u32_e32 vcc, v31, v34
	s_waitcnt lgkmcnt(1)
	v_mov_b32_e32 v52, v57
	v_cndmask_b32_e64 v31, 0, 1, vcc
	v_cmp_ne_u32_e32 vcc, v34, v35
	v_mov_b32_e32 v34, v40
	v_mov_b32_e32 v40, v45
	v_cndmask_b32_e64 v33, 0, 1, vcc
	v_cmp_ne_u32_e32 vcc, v35, v38
	s_nop 1
	v_cndmask_b32_e64 v35, 0, 1, vcc
	v_cmp_ne_u32_e32 vcc, v38, v39
	v_mov_b32_e32 v38, v44
	v_mov_b32_e32 v44, v47
	v_cndmask_b32_e64 v37, 0, 1, vcc
	v_cmp_ne_u32_e32 vcc, v39, v42
	s_nop 1
	v_cndmask_b32_e64 v39, 0, 1, vcc
	v_cmp_ne_u32_e32 vcc, v42, v43
	v_mov_b32_e32 v42, v46
	v_mov_b32_e32 v46, v50
	v_cndmask_b32_e64 v41, 0, 1, vcc
	v_cmp_ne_u32_e32 vcc, v43, v8
	v_mov_b32_e32 v50, v56
	s_nop 0
	v_cndmask_b32_e64 v43, 0, 1, vcc
	v_cmp_ne_u32_e32 vcc, v8, v9
	s_nop 1
	v_cndmask_b32_e64 v45, 0, 1, vcc
	v_cmp_ne_u32_e32 vcc, v9, v6
	;; [unrolled: 3-line block ×5, first 2 shown]
	s_nop 1
	v_cndmask_b32_e64 v53, 0, 1, vcc
.LBB1234_135:
	v_mov_b64_e32 v[56:57], s[8:9]
	s_and_saveexec_b64 s[6:7], s[10:11]
	s_cbranch_execz .LBB1234_137
; %bb.136:
	v_cndmask_b32_e64 v57, 0, 1, s[0:1]
	s_waitcnt lgkmcnt(0)
	v_mov_b32_e32 v56, v3
.LBB1234_137:
	s_or_b64 exec, exec, s[6:7]
	s_mov_b32 s0, 0
	s_cmp_lg_u32 s75, 0
	v_or_b32_e32 v55, v57, v53
	v_lshrrev_b32_e32 v1, 5, v0
	v_cmp_gt_u32_e32 vcc, 64, v0
	s_waitcnt lgkmcnt(0)
	s_barrier
	s_cbranch_scc0 .LBB1234_176
; %bb.138:
	s_mov_b32 s1, 1
	v_cmp_gt_u64_e64 s[6:7], s[0:1], v[12:13]
	v_cmp_gt_u64_e64 s[8:9], s[0:1], v[14:15]
	v_cmp_gt_u64_e64 s[10:11], s[0:1], v[16:17]
	v_cndmask_b32_e64 v2, 0, v10, s[6:7]
	v_add_u32_e32 v2, v2, v12
	v_cndmask_b32_e64 v2, 0, v2, s[8:9]
	v_add_u32_e32 v2, v2, v14
	v_cndmask_b32_e64 v2, 0, v2, s[10:11]
	v_add_u32_e32 v2, v2, v16
	v_cmp_gt_u64_e64 s[12:13], s[0:1], v[18:19]
	v_cmp_gt_u64_e64 s[14:15], s[0:1], v[20:21]
	v_cmp_gt_u64_e64 s[16:17], s[0:1], v[22:23]
	v_cndmask_b32_e64 v2, 0, v2, s[12:13]
	v_add_u32_e32 v2, v2, v18
	v_cndmask_b32_e64 v2, 0, v2, s[14:15]
	v_add_u32_e32 v2, v2, v20
	v_cndmask_b32_e64 v2, 0, v2, s[16:17]
	v_add_u32_e32 v2, v2, v22
	v_cmp_gt_u64_e64 s[18:19], s[0:1], v[24:25]
	v_cmp_gt_u64_e64 s[20:21], s[0:1], v[26:27]
	v_cmp_gt_u64_e64 s[22:23], s[0:1], v[28:29]
	v_cndmask_b32_e64 v2, 0, v2, s[18:19]
	v_add_u32_e32 v2, v2, v24
	v_cndmask_b32_e64 v2, 0, v2, s[20:21]
	v_add_u32_e32 v2, v2, v26
	v_cndmask_b32_e64 v2, 0, v2, s[22:23]
	v_add_u32_e32 v2, v2, v28
	v_cmp_gt_u64_e64 s[24:25], s[0:1], v[30:31]
	v_cmp_gt_u64_e64 s[26:27], s[0:1], v[32:33]
	v_cmp_gt_u64_e64 s[28:29], s[0:1], v[34:35]
	v_cndmask_b32_e64 v2, 0, v2, s[24:25]
	v_add_u32_e32 v2, v2, v30
	v_cndmask_b32_e64 v2, 0, v2, s[26:27]
	v_add_u32_e32 v2, v2, v32
	v_cndmask_b32_e64 v2, 0, v2, s[28:29]
	v_add_u32_e32 v2, v2, v34
	v_cmp_gt_u64_e64 s[30:31], s[0:1], v[36:37]
	v_cmp_gt_u64_e64 s[34:35], s[0:1], v[38:39]
	v_cmp_gt_u64_e64 s[36:37], s[0:1], v[40:41]
	v_cndmask_b32_e64 v2, 0, v2, s[30:31]
	v_add_u32_e32 v2, v2, v36
	v_cndmask_b32_e64 v2, 0, v2, s[34:35]
	v_add_u32_e32 v2, v2, v38
	v_cndmask_b32_e64 v2, 0, v2, s[36:37]
	v_add_u32_e32 v2, v2, v40
	v_cmp_gt_u64_e64 s[38:39], s[0:1], v[42:43]
	v_cmp_gt_u64_e64 s[40:41], s[0:1], v[44:45]
	v_cmp_gt_u64_e64 s[42:43], s[0:1], v[46:47]
	v_cndmask_b32_e64 v2, 0, v2, s[38:39]
	v_add_u32_e32 v2, v2, v42
	v_cndmask_b32_e64 v2, 0, v2, s[40:41]
	v_add_u32_e32 v2, v2, v44
	v_cndmask_b32_e64 v2, 0, v2, s[42:43]
	v_add_u32_e32 v2, v2, v46
	v_cmp_gt_u64_e64 s[44:45], s[0:1], v[48:49]
	v_cmp_gt_u64_e64 s[46:47], s[0:1], v[50:51]
	v_cmp_gt_u64_e64 s[48:49], s[0:1], v[52:53]
	v_cndmask_b32_e64 v2, 0, v2, s[44:45]
	v_add_u32_e32 v2, v2, v48
	v_cndmask_b32_e64 v2, 0, v2, s[46:47]
	v_add_u32_e32 v2, v2, v50
	v_cndmask_b32_e64 v2, 0, v2, s[48:49]
	v_add_u32_e32 v2, v2, v52
	v_cmp_gt_u64_e64 s[50:51], s[0:1], v[56:57]
	s_nop 1
	v_cndmask_b32_e64 v2, 0, v2, s[50:51]
	v_add_u32_e32 v62, v2, v56
	v_or3_b32 v2, v55, v51, v49
	v_or3_b32 v2, v2, v47, v45
	;; [unrolled: 1-line block ×10, first 2 shown]
	v_and_b32_e32 v2, 1, v2
	v_cmp_eq_u32_e64 s[0:1], 1, v2
	v_add_lshl_u32 v2, v1, v0, 3
	s_nop 0
	v_cndmask_b32_e64 v63, v11, 1, s[0:1]
	ds_write_b32 v2, v62
	ds_write_b8 v2, v63 offset:4
	s_waitcnt lgkmcnt(0)
	s_barrier
	s_and_saveexec_b64 s[52:53], vcc
	s_cbranch_execz .LBB1234_150
; %bb.139:
	v_lshrrev_b32_e32 v2, 3, v0
	v_add_lshl_u32 v4, v2, v54, 3
	ds_read2_b32 v[6:7], v4 offset0:2 offset1:4
	ds_read_b64 v[2:3], v4
	ds_read_u8 v8, v4 offset:12
	ds_read_u8 v9, v4 offset:20
	ds_read_b32 v58, v4 offset:24
	ds_read_u8 v59, v4 offset:28
	v_mov_b32_e32 v60, 0
	s_waitcnt lgkmcnt(3)
	v_cmp_eq_u16_sdwa s[0:1], v8, v60 src0_sel:BYTE_0 src1_sel:DWORD
	v_and_b32_e32 v5, 1, v3
	s_nop 0
	v_cndmask_b32_e64 v61, 0, v2, s[0:1]
	v_add_u32_e32 v6, v61, v6
	s_waitcnt lgkmcnt(2)
	v_cmp_eq_u16_sdwa s[0:1], v9, v60 src0_sel:BYTE_0 src1_sel:DWORD
	s_nop 1
	v_cndmask_b32_e64 v6, 0, v6, s[0:1]
	v_add_u32_e32 v6, v6, v7
	s_waitcnt lgkmcnt(0)
	v_cmp_eq_u16_e64 s[0:1], 0, v59
	s_nop 1
	v_cndmask_b32_e64 v6, 0, v6, s[0:1]
	v_add_u32_e32 v7, v6, v58
	v_or_b32_e32 v6, v59, v9
	v_or_b32_e32 v6, v6, v8
	v_and_b32_e32 v6, 1, v6
	v_cmp_eq_u32_e64 s[0:1], 1, v6
	v_mbcnt_lo_u32_b32 v8, -1, 0
	v_and_b32_e32 v6, 0xffffff00, v3
	v_cndmask_b32_e64 v9, v5, 1, s[0:1]
	v_mbcnt_hi_u32_b32 v8, -1, v8
	v_and_b32_e32 v59, 15, v8
	v_or_b32_sdwa v58, v6, v9 dst_sel:DWORD dst_unused:UNUSED_PAD src0_sel:DWORD src1_sel:WORD_0
	v_mov_b32_dpp v60, v7 row_shr:1 row_mask:0xf bank_mask:0xf
	v_cmp_ne_u32_e64 s[0:1], 0, v59
	v_mov_b32_dpp v61, v58 row_shr:1 row_mask:0xf bank_mask:0xf
	s_and_saveexec_b64 s[60:61], s[0:1]
; %bb.140:
	v_and_b32_e32 v58, 1, v9
	v_and_b32_e32 v61, 1, v61
	v_cmp_eq_u32_e64 s[0:1], 1, v58
	s_nop 1
	v_cndmask_b32_e64 v61, v61, 1, s[0:1]
	v_cmp_eq_u16_e64 s[0:1], 0, v9
	v_or_b32_sdwa v58, v6, v61 dst_sel:DWORD dst_unused:UNUSED_PAD src0_sel:DWORD src1_sel:WORD_0
	s_nop 0
	v_cndmask_b32_e64 v9, 0, v60, s[0:1]
	v_add_u32_e32 v7, v9, v7
	v_mov_b32_e32 v9, v61
; %bb.141:
	s_or_b64 exec, exec, s[60:61]
	v_mov_b32_dpp v60, v7 row_shr:2 row_mask:0xf bank_mask:0xf
	v_mov_b32_dpp v61, v58 row_shr:2 row_mask:0xf bank_mask:0xf
	v_cmp_lt_u32_e64 s[0:1], 1, v59
	s_and_saveexec_b64 s[60:61], s[0:1]
; %bb.142:
	v_and_b32_e32 v58, 1, v9
	v_and_b32_e32 v61, 1, v61
	v_cmp_eq_u32_e64 s[0:1], 1, v58
	s_nop 1
	v_cndmask_b32_e64 v61, v61, 1, s[0:1]
	v_cmp_eq_u16_e64 s[0:1], 0, v9
	v_or_b32_sdwa v58, v6, v61 dst_sel:DWORD dst_unused:UNUSED_PAD src0_sel:DWORD src1_sel:WORD_0
	s_nop 0
	v_cndmask_b32_e64 v9, 0, v60, s[0:1]
	v_add_u32_e32 v7, v9, v7
	v_mov_b32_e32 v9, v61
; %bb.143:
	s_or_b64 exec, exec, s[60:61]
	v_mov_b32_dpp v60, v7 row_shr:4 row_mask:0xf bank_mask:0xf
	v_mov_b32_dpp v61, v58 row_shr:4 row_mask:0xf bank_mask:0xf
	v_cmp_lt_u32_e64 s[0:1], 3, v59
	;; [unrolled: 18-line block ×3, first 2 shown]
	s_and_saveexec_b64 s[60:61], s[0:1]
; %bb.146:
	v_and_b32_e32 v58, 1, v9
	v_and_b32_e32 v59, 1, v61
	v_cmp_eq_u32_e64 s[0:1], 1, v58
	s_nop 1
	v_cndmask_b32_e64 v59, v59, 1, s[0:1]
	v_cmp_eq_u16_e64 s[0:1], 0, v9
	v_or_b32_sdwa v58, v6, v59 dst_sel:DWORD dst_unused:UNUSED_PAD src0_sel:DWORD src1_sel:WORD_0
	s_nop 0
	v_cndmask_b32_e64 v9, 0, v60, s[0:1]
	v_add_u32_e32 v7, v9, v7
	v_mov_b32_e32 v9, v59
; %bb.147:
	s_or_b64 exec, exec, s[60:61]
	v_and_b32_e32 v61, 16, v8
	v_mov_b32_dpp v59, v7 row_bcast:15 row_mask:0xf bank_mask:0xf
	v_mov_b32_dpp v60, v58 row_bcast:15 row_mask:0xf bank_mask:0xf
	v_cmp_ne_u32_e64 s[0:1], 0, v61
	s_and_saveexec_b64 s[60:61], s[0:1]
; %bb.148:
	v_and_b32_e32 v58, 1, v9
	v_and_b32_e32 v60, 1, v60
	v_cmp_eq_u32_e64 s[0:1], 1, v58
	s_nop 1
	v_cndmask_b32_e64 v60, v60, 1, s[0:1]
	v_cmp_eq_u16_e64 s[0:1], 0, v9
	v_or_b32_sdwa v58, v6, v60 dst_sel:DWORD dst_unused:UNUSED_PAD src0_sel:DWORD src1_sel:WORD_0
	s_nop 0
	v_cndmask_b32_e64 v9, 0, v59, s[0:1]
	v_add_u32_e32 v7, v9, v7
	v_mov_b32_e32 v9, v60
; %bb.149:
	s_or_b64 exec, exec, s[60:61]
	v_mov_b32_dpp v58, v58 row_bcast:31 row_mask:0xf bank_mask:0xf
	v_and_b32_e32 v60, 1, v9
	v_and_b32_e32 v58, 1, v58
	v_cmp_eq_u32_e64 s[0:1], 1, v60
	v_mov_b32_e32 v60, 0
	v_cmp_eq_u16_sdwa s[60:61], v9, v60 src0_sel:BYTE_0 src1_sel:DWORD
	v_cndmask_b32_e64 v58, v58, 1, s[0:1]
	v_cmp_lt_u32_e64 s[0:1], 31, v8
	v_mov_b32_dpp v59, v7 row_bcast:31 row_mask:0xf bank_mask:0xf
	s_movk_i32 s64, 0xff
	v_cndmask_b32_e64 v9, v9, v58, s[0:1]
	s_and_b64 s[0:1], s[0:1], s[60:61]
	v_cndmask_b32_e64 v58, 0, v59, s[0:1]
	v_add_u32_e32 v7, v58, v7
	v_add_u32_e32 v58, -1, v8
	v_and_b32_e32 v59, 64, v8
	v_cmp_lt_i32_e64 s[0:1], v58, v59
	v_and_or_b32 v6, v9, s64, v6
	s_nop 0
	v_cndmask_b32_e64 v8, v58, v8, s[0:1]
	v_lshlrev_b32_e32 v8, 2, v8
	ds_bpermute_b32 v7, v8, v7
	ds_bpermute_b32 v6, v8, v6
	v_cmp_eq_u16_sdwa s[0:1], v3, v60 src0_sel:BYTE_0 src1_sel:DWORD
	; wave barrier
	s_waitcnt lgkmcnt(1)
	s_nop 0
	v_cndmask_b32_e64 v3, 0, v7, s[0:1]
	v_add_u32_e32 v2, v3, v2
	s_waitcnt lgkmcnt(0)
	v_and_b32_e32 v3, 1, v6
	v_cmp_eq_u32_e64 s[0:1], 1, v5
	v_cndmask_b32_e64 v5, v2, v62, s[54:55]
	s_nop 0
	v_cndmask_b32_e64 v3, v3, 1, s[0:1]
	v_cndmask_b32_e64 v6, v3, v63, s[54:55]
	ds_write_b32 v4, v5
	ds_write_b8 v4, v6 offset:4
	; wave barrier
	ds_read_u8 v7, v4 offset:12
	ds_read2_b32 v[2:3], v4 offset0:2 offset1:4
	ds_read_u8 v8, v4 offset:20
	ds_read_b32 v9, v4 offset:24
	ds_read_u8 v58, v4 offset:28
	s_waitcnt lgkmcnt(4)
	v_cmp_eq_u16_e64 s[0:1], 0, v7
	s_nop 1
	v_cndmask_b32_e64 v5, 0, v5, s[0:1]
	s_waitcnt lgkmcnt(3)
	v_add_u32_e32 v2, v5, v2
	v_and_b32_e32 v5, 1, v7
	v_cmp_eq_u32_e64 s[0:1], 1, v5
	s_nop 1
	v_cndmask_b32_e64 v5, v6, 1, s[0:1]
	s_waitcnt lgkmcnt(2)
	v_cmp_eq_u16_e64 s[0:1], 0, v8
	ds_write_b8 v4, v5 offset:12
	s_nop 0
	v_cndmask_b32_e64 v6, 0, v2, s[0:1]
	v_add_u32_e32 v3, v6, v3
	v_and_b32_e32 v6, 1, v8
	v_cmp_eq_u32_e64 s[0:1], 1, v6
	s_nop 1
	v_cndmask_b32_e64 v5, v5, 1, s[0:1]
	s_waitcnt lgkmcnt(1)
	v_cmp_eq_u16_e64 s[0:1], 0, v58
	ds_write2_b32 v4, v2, v3 offset0:2 offset1:4
	ds_write_b8 v4, v5 offset:20
	v_cndmask_b32_e64 v2, 0, v3, s[0:1]
	v_and_b32_e32 v3, 1, v58
	v_add_u32_e32 v2, v2, v9
	v_cmp_eq_u32_e64 s[0:1], 1, v3
	s_nop 1
	v_cndmask_b32_e64 v3, v5, 1, s[0:1]
	ds_write_b32 v4, v2 offset:24
	ds_write_b8 v4, v3 offset:28
.LBB1234_150:
	s_or_b64 exec, exec, s[52:53]
	s_waitcnt lgkmcnt(0)
	s_barrier
	s_and_saveexec_b64 s[0:1], s[4:5]
	s_cbranch_execz .LBB1234_152
; %bb.151:
	v_add_u32_e32 v2, -1, v0
	v_lshrrev_b32_e32 v3, 5, v2
	v_add_lshl_u32 v2, v3, v2, 3
	ds_read_b32 v62, v2
	ds_read_u8 v63, v2 offset:4
.LBB1234_152:
	s_or_b64 exec, exec, s[0:1]
	s_and_saveexec_b64 s[60:61], vcc
	s_cbranch_execz .LBB1234_175
; %bb.153:
	v_mov_b32_e32 v5, 0
	ds_read_b64 v[2:3], v5 offset:2096
	v_mbcnt_lo_u32_b32 v4, -1, 0
	v_mbcnt_hi_u32_b32 v73, -1, v4
	s_mov_b32 s65, 0
	v_cmp_eq_u32_e64 s[52:53], 0, v73
	s_waitcnt lgkmcnt(0)
	v_readfirstlane_b32 s70, v3
	s_and_saveexec_b64 s[0:1], s[52:53]
	s_cbranch_execz .LBB1234_155
; %bb.154:
	s_add_i32 s64, s75, 64
	s_lshl_b64 s[68:69], s[64:65], 4
	s_add_u32 s68, s72, s68
	s_addc_u32 s69, s73, s69
	s_and_b32 s79, s70, 0xff000000
	s_mov_b32 s78, s65
	s_and_b32 s81, s70, 0xff0000
	s_mov_b32 s80, s65
	s_or_b64 s[78:79], s[80:81], s[78:79]
	s_and_b32 s81, s70, 0xff00
	s_or_b64 s[78:79], s[78:79], s[80:81]
	s_and_b32 s81, s70, 0xff
	s_or_b64 s[64:65], s[78:79], s[80:81]
	v_mov_b32_e32 v3, s65
	v_mov_b32_e32 v4, 1
	v_mov_b64_e32 v[6:7], s[68:69]
	;;#ASMSTART
	global_store_dwordx4 v[6:7], v[2:5] off sc1	
s_waitcnt vmcnt(0)
	;;#ASMEND
.LBB1234_155:
	s_or_b64 exec, exec, s[0:1]
	v_xad_u32 v58, v73, -1, s75
	v_add_u32_e32 v4, 64, v58
	v_lshl_add_u64 v[60:61], v[4:5], 4, s[72:73]
	;;#ASMSTART
	global_load_dwordx4 v[6:9], v[60:61] off sc1	
s_waitcnt vmcnt(0)
	;;#ASMEND
	s_nop 0
	v_and_b32_e32 v3, 0xff0000, v6
	v_and_b32_e32 v4, 0xff000000, v6
	;; [unrolled: 1-line block ×3, first 2 shown]
	v_or_b32_sdwa v3, v6, v3 dst_sel:DWORD dst_unused:UNUSED_PAD src0_sel:WORD_0 src1_sel:DWORD
	v_or3_b32 v7, 0, 0, v7
	v_or3_b32 v6, v3, v4, 0
	v_cmp_eq_u16_sdwa s[64:65], v8, v5 src0_sel:BYTE_0 src1_sel:DWORD
	s_and_saveexec_b64 s[0:1], s[64:65]
	s_cbranch_execz .LBB1234_161
; %bb.156:
	s_mov_b32 s68, 1
	s_mov_b64 s[64:65], 0
	v_mov_b32_e32 v3, 0
.LBB1234_157:                           ; =>This Loop Header: Depth=1
                                        ;     Child Loop BB1234_158 Depth 2
	s_max_u32 s69, s68, 1
.LBB1234_158:                           ;   Parent Loop BB1234_157 Depth=1
                                        ; =>  This Inner Loop Header: Depth=2
	s_add_i32 s69, s69, -1
	s_cmp_eq_u32 s69, 0
	s_sleep 1
	s_cbranch_scc0 .LBB1234_158
; %bb.159:                              ;   in Loop: Header=BB1234_157 Depth=1
	s_cmp_lt_u32 s68, 32
	s_cselect_b64 s[78:79], -1, 0
	s_cmp_lg_u64 s[78:79], 0
	s_addc_u32 s68, s68, 0
	;;#ASMSTART
	global_load_dwordx4 v[6:9], v[60:61] off sc1	
s_waitcnt vmcnt(0)
	;;#ASMEND
	s_nop 0
	v_cmp_ne_u16_sdwa s[78:79], v8, v3 src0_sel:BYTE_0 src1_sel:DWORD
	s_or_b64 s[64:65], s[78:79], s[64:65]
	s_andn2_b64 exec, exec, s[64:65]
	s_cbranch_execnz .LBB1234_157
; %bb.160:
	s_or_b64 exec, exec, s[64:65]
	v_and_b32_e32 v7, 0xff, v7
.LBB1234_161:
	s_or_b64 exec, exec, s[0:1]
	v_mov_b32_e32 v3, 2
	v_cmp_eq_u16_sdwa s[0:1], v8, v3 src0_sel:BYTE_0 src1_sel:DWORD
	v_lshlrev_b64 v[4:5], v73, -1
	v_and_b32_e32 v64, 63, v73
	v_and_b32_e32 v9, s1, v5
	v_or_b32_e32 v9, 0x80000000, v9
	v_and_b32_e32 v59, s0, v4
	v_ffbl_b32_e32 v9, v9
	v_add_u32_e32 v9, 32, v9
	v_ffbl_b32_e32 v59, v59
	v_cmp_ne_u32_e32 vcc, 63, v64
	v_min_u32_e32 v9, v59, v9
	s_mov_b32 s64, 0
	v_addc_co_u32_e32 v59, vcc, 0, v73, vcc
	v_lshlrev_b32_e32 v65, 2, v59
	ds_bpermute_b32 v59, v65, v7
	ds_bpermute_b32 v60, v65, v6
	v_and_b32_e32 v61, 1, v7
	s_mov_b32 s65, 1
	v_cmp_eq_u32_e32 vcc, 1, v61
	s_waitcnt lgkmcnt(1)
	v_and_b32_e32 v59, 1, v59
	v_cmp_lt_u32_e64 s[0:1], v64, v9
	v_cndmask_b32_e64 v59, v59, 1, vcc
	v_cmp_gt_u64_e32 vcc, s[64:65], v[6:7]
	s_and_b64 vcc, s[0:1], vcc
	v_and_b32_e32 v61, 0xffff, v59
	v_cndmask_b32_e64 v68, v7, v59, s[0:1]
	s_waitcnt lgkmcnt(0)
	v_cndmask_b32_e32 v59, 0, v60, vcc
	v_cmp_gt_u32_e32 vcc, 62, v64
	v_cndmask_b32_e64 v7, v7, v61, s[0:1]
	v_add_u32_e32 v6, v59, v6
	v_cndmask_b32_e64 v60, 0, 1, vcc
	v_lshlrev_b32_e32 v60, 1, v60
	v_add_lshl_u32 v66, v60, v73, 2
	ds_bpermute_b32 v60, v66, v7
	ds_bpermute_b32 v61, v66, v6
	v_and_b32_e32 v59, 1, v68
	v_cmp_eq_u32_e32 vcc, 1, v59
	v_mov_b32_e32 v59, 0
	s_waitcnt lgkmcnt(1)
	v_and_b32_e32 v60, 1, v60
	v_add_u32_e32 v67, 2, v64
	v_cndmask_b32_e64 v60, v60, 1, vcc
	v_cmp_eq_u16_sdwa vcc, v68, v59 src0_sel:BYTE_0 src1_sel:DWORD
	v_and_b32_e32 v69, 0xffff, v60
	v_add_u32_e32 v77, 32, v64
	s_waitcnt lgkmcnt(0)
	v_cndmask_b32_e32 v61, 0, v61, vcc
	v_cmp_gt_u32_e32 vcc, v67, v9
	s_nop 1
	v_cndmask_b32_e32 v60, v60, v68, vcc
	v_cndmask_b32_e64 v61, v61, 0, vcc
	v_cndmask_b32_e32 v7, v69, v7, vcc
	v_cmp_gt_u32_e32 vcc, 60, v64
	v_add_u32_e32 v6, v61, v6
	v_and_b32_e32 v71, 1, v60
	v_cndmask_b32_e64 v68, 0, 1, vcc
	v_lshlrev_b32_e32 v68, 2, v68
	v_add_lshl_u32 v68, v68, v73, 2
	ds_bpermute_b32 v70, v68, v7
	ds_bpermute_b32 v61, v68, v6
	v_cmp_eq_u32_e32 vcc, 1, v71
	v_add_u32_e32 v69, 4, v64
	s_waitcnt lgkmcnt(1)
	v_and_b32_e32 v70, 1, v70
	v_cndmask_b32_e64 v70, v70, 1, vcc
	v_cmp_eq_u16_sdwa vcc, v60, v59 src0_sel:BYTE_0 src1_sel:DWORD
	v_and_b32_e32 v71, 0xffff, v70
	s_waitcnt lgkmcnt(0)
	v_cndmask_b32_e32 v61, 0, v61, vcc
	v_cmp_gt_u32_e32 vcc, v69, v9
	s_nop 1
	v_cndmask_b32_e32 v60, v70, v60, vcc
	v_cndmask_b32_e64 v61, v61, 0, vcc
	v_cndmask_b32_e32 v7, v71, v7, vcc
	v_cmp_gt_u32_e32 vcc, 56, v64
	v_add_u32_e32 v6, v61, v6
	v_and_b32_e32 v74, 1, v60
	v_cndmask_b32_e64 v70, 0, 1, vcc
	v_lshlrev_b32_e32 v70, 3, v70
	v_add_lshl_u32 v70, v70, v73, 2
	ds_bpermute_b32 v72, v70, v7
	ds_bpermute_b32 v61, v70, v6
	v_cmp_eq_u32_e32 vcc, 1, v74
	v_add_u32_e32 v71, 8, v64
	s_waitcnt lgkmcnt(1)
	v_and_b32_e32 v72, 1, v72
	v_cndmask_b32_e64 v72, v72, 1, vcc
	v_cmp_eq_u16_sdwa vcc, v60, v59 src0_sel:BYTE_0 src1_sel:DWORD
	v_and_b32_e32 v74, 0xffff, v72
	;; [unrolled: 22-line block ×3, first 2 shown]
	s_waitcnt lgkmcnt(0)
	v_cndmask_b32_e32 v61, 0, v61, vcc
	v_cmp_gt_u32_e32 vcc, v74, v9
	s_nop 1
	v_cndmask_b32_e32 v60, v75, v60, vcc
	v_cndmask_b32_e64 v61, v61, 0, vcc
	v_cndmask_b32_e32 v7, v76, v7, vcc
	v_cmp_gt_u32_e32 vcc, 32, v64
	v_add_u32_e32 v6, v61, v6
	s_nop 0
	v_cndmask_b32_e64 v75, 0, 1, vcc
	v_lshlrev_b32_e32 v75, 5, v75
	v_add_lshl_u32 v76, v75, v73, 2
	ds_bpermute_b32 v7, v76, v7
	ds_bpermute_b32 v61, v76, v6
	v_and_b32_e32 v73, 1, v60
	v_cmp_eq_u32_e32 vcc, 1, v73
	s_waitcnt lgkmcnt(1)
	v_and_b32_e32 v7, 1, v7
	v_cndmask_b32_e64 v7, v7, 1, vcc
	v_cmp_eq_u16_sdwa vcc, v60, v59 src0_sel:BYTE_0 src1_sel:DWORD
	s_waitcnt lgkmcnt(0)
	s_nop 0
	v_cndmask_b32_e32 v61, 0, v61, vcc
	v_cmp_gt_u32_e32 vcc, v77, v9
	s_nop 1
	v_cndmask_b32_e64 v9, v61, 0, vcc
	v_cndmask_b32_e32 v7, v7, v60, vcc
	v_add_u32_e32 v6, v9, v6
	s_branch .LBB1234_163
.LBB1234_162:                           ;   in Loop: Header=BB1234_163 Depth=1
	s_or_b64 exec, exec, s[0:1]
	v_cmp_eq_u16_sdwa s[0:1], v8, v3 src0_sel:BYTE_0 src1_sel:DWORD
	ds_bpermute_b32 v61, v65, v7
	v_and_b32_e32 v78, 1, v7
	v_and_b32_e32 v9, s1, v5
	v_or_b32_e32 v9, 0x80000000, v9
	v_and_b32_e32 v60, s0, v4
	v_ffbl_b32_e32 v9, v9
	v_add_u32_e32 v9, 32, v9
	v_ffbl_b32_e32 v60, v60
	v_min_u32_e32 v9, v60, v9
	ds_bpermute_b32 v60, v65, v6
	s_waitcnt lgkmcnt(1)
	v_and_b32_e32 v61, 1, v61
	v_cmp_eq_u32_e32 vcc, 1, v78
	v_cmp_lt_u32_e64 s[0:1], v64, v9
	v_subrev_u32_e32 v58, 64, v58
	v_cndmask_b32_e64 v61, v61, 1, vcc
	v_cmp_gt_u64_e32 vcc, s[64:65], v[6:7]
	v_and_b32_e32 v78, 0xffff, v61
	v_cndmask_b32_e64 v61, v7, v61, s[0:1]
	v_cndmask_b32_e64 v7, v7, v78, s[0:1]
	s_and_b64 vcc, s[0:1], vcc
	ds_bpermute_b32 v78, v66, v7
	s_waitcnt lgkmcnt(1)
	v_cndmask_b32_e32 v60, 0, v60, vcc
	v_add_u32_e32 v6, v60, v6
	ds_bpermute_b32 v60, v66, v6
	v_and_b32_e32 v79, 1, v61
	s_waitcnt lgkmcnt(1)
	v_and_b32_e32 v78, 1, v78
	v_cmp_eq_u32_e32 vcc, 1, v79
	s_nop 1
	v_cndmask_b32_e64 v78, v78, 1, vcc
	v_cmp_eq_u16_sdwa vcc, v61, v59 src0_sel:BYTE_0 src1_sel:DWORD
	v_and_b32_e32 v79, 0xffff, v78
	s_waitcnt lgkmcnt(0)
	v_cndmask_b32_e32 v60, 0, v60, vcc
	v_cmp_gt_u32_e32 vcc, v67, v9
	s_nop 1
	v_cndmask_b32_e32 v7, v79, v7, vcc
	v_cndmask_b32_e32 v61, v78, v61, vcc
	ds_bpermute_b32 v78, v68, v7
	v_cndmask_b32_e64 v60, v60, 0, vcc
	v_add_u32_e32 v6, v60, v6
	ds_bpermute_b32 v60, v68, v6
	v_and_b32_e32 v79, 1, v61
	s_waitcnt lgkmcnt(1)
	v_and_b32_e32 v78, 1, v78
	v_cmp_eq_u32_e32 vcc, 1, v79
	s_nop 1
	v_cndmask_b32_e64 v78, v78, 1, vcc
	v_cmp_eq_u16_sdwa vcc, v61, v59 src0_sel:BYTE_0 src1_sel:DWORD
	v_and_b32_e32 v79, 0xffff, v78
	s_waitcnt lgkmcnt(0)
	v_cndmask_b32_e32 v60, 0, v60, vcc
	v_cmp_gt_u32_e32 vcc, v69, v9
	s_nop 1
	v_cndmask_b32_e32 v7, v79, v7, vcc
	v_cndmask_b32_e32 v61, v78, v61, vcc
	ds_bpermute_b32 v78, v70, v7
	v_cndmask_b32_e64 v60, v60, 0, vcc
	;; [unrolled: 18-line block ×3, first 2 shown]
	v_add_u32_e32 v6, v60, v6
	ds_bpermute_b32 v60, v72, v6
	v_and_b32_e32 v79, 1, v61
	s_waitcnt lgkmcnt(1)
	v_and_b32_e32 v78, 1, v78
	v_cmp_eq_u32_e32 vcc, 1, v79
	s_nop 1
	v_cndmask_b32_e64 v78, v78, 1, vcc
	v_cmp_eq_u16_sdwa vcc, v61, v59 src0_sel:BYTE_0 src1_sel:DWORD
	v_and_b32_e32 v79, 0xffff, v78
	s_waitcnt lgkmcnt(0)
	v_cndmask_b32_e32 v60, 0, v60, vcc
	v_cmp_gt_u32_e32 vcc, v74, v9
	s_nop 1
	v_cndmask_b32_e64 v60, v60, 0, vcc
	v_cndmask_b32_e32 v7, v79, v7, vcc
	ds_bpermute_b32 v7, v76, v7
	v_add_u32_e32 v6, v60, v6
	ds_bpermute_b32 v60, v76, v6
	v_cndmask_b32_e32 v61, v78, v61, vcc
	v_and_b32_e32 v78, 1, v61
	v_cmp_eq_u32_e32 vcc, 1, v78
	s_waitcnt lgkmcnt(1)
	s_nop 0
	v_cndmask_b32_e64 v7, v7, 1, vcc
	v_cmp_eq_u16_sdwa vcc, v61, v59 src0_sel:BYTE_0 src1_sel:DWORD
	s_waitcnt lgkmcnt(0)
	s_nop 0
	v_cndmask_b32_e32 v60, 0, v60, vcc
	v_cmp_gt_u32_e32 vcc, v77, v9
	s_nop 1
	v_cndmask_b32_e64 v9, v60, 0, vcc
	v_cndmask_b32_e32 v7, v7, v61, vcc
	v_add_u32_e32 v6, v9, v6
	v_cmp_eq_u16_sdwa vcc, v73, v59 src0_sel:BYTE_0 src1_sel:DWORD
	v_and_b32_e32 v9, 1, v73
	v_and_b32_e32 v7, 1, v7
	v_cndmask_b32_e32 v6, 0, v6, vcc
	v_cmp_eq_u32_e32 vcc, 1, v9
	v_add_u32_e32 v6, v6, v75
	s_nop 0
	v_cndmask_b32_e64 v7, v7, 1, vcc
.LBB1234_163:                           ; =>This Loop Header: Depth=1
                                        ;     Child Loop BB1234_166 Depth 2
                                        ;       Child Loop BB1234_167 Depth 3
	v_cmp_ne_u16_sdwa s[0:1], v8, v3 src0_sel:BYTE_0 src1_sel:DWORD
	v_mov_b32_e32 v73, v7
	v_mov_b32_e32 v75, v6
	v_cndmask_b32_e64 v7, 0, 1, s[0:1]
	;;#ASMSTART
	;;#ASMEND
	s_nop 0
	v_cmp_ne_u32_e32 vcc, 0, v7
	s_cmp_lg_u64 vcc, exec
	s_cbranch_scc1 .LBB1234_170
; %bb.164:                              ;   in Loop: Header=BB1234_163 Depth=1
	v_lshl_add_u64 v[60:61], v[58:59], 4, s[72:73]
	;;#ASMSTART
	global_load_dwordx4 v[6:9], v[60:61] off sc1	
s_waitcnt vmcnt(0)
	;;#ASMEND
	s_nop 0
	v_and_b32_e32 v9, 0xff0000, v6
	v_and_b32_e32 v78, 0xff000000, v6
	v_and_b32_e32 v7, 0xff, v7
	v_or_b32_sdwa v6, v6, v9 dst_sel:DWORD dst_unused:UNUSED_PAD src0_sel:WORD_0 src1_sel:DWORD
	v_or3_b32 v7, 0, 0, v7
	v_or3_b32 v6, v6, v78, 0
	v_cmp_eq_u16_sdwa s[68:69], v8, v59 src0_sel:BYTE_0 src1_sel:DWORD
	s_and_saveexec_b64 s[0:1], s[68:69]
	s_cbranch_execz .LBB1234_162
; %bb.165:                              ;   in Loop: Header=BB1234_163 Depth=1
	s_mov_b32 s71, 1
	s_mov_b64 s[68:69], 0
.LBB1234_166:                           ;   Parent Loop BB1234_163 Depth=1
                                        ; =>  This Loop Header: Depth=2
                                        ;       Child Loop BB1234_167 Depth 3
	s_max_u32 s78, s71, 1
.LBB1234_167:                           ;   Parent Loop BB1234_163 Depth=1
                                        ;     Parent Loop BB1234_166 Depth=2
                                        ; =>    This Inner Loop Header: Depth=3
	s_add_i32 s78, s78, -1
	s_cmp_eq_u32 s78, 0
	s_sleep 1
	s_cbranch_scc0 .LBB1234_167
; %bb.168:                              ;   in Loop: Header=BB1234_166 Depth=2
	s_cmp_lt_u32 s71, 32
	s_cselect_b64 s[78:79], -1, 0
	s_cmp_lg_u64 s[78:79], 0
	s_addc_u32 s71, s71, 0
	;;#ASMSTART
	global_load_dwordx4 v[6:9], v[60:61] off sc1	
s_waitcnt vmcnt(0)
	;;#ASMEND
	s_nop 0
	v_cmp_ne_u16_sdwa s[78:79], v8, v59 src0_sel:BYTE_0 src1_sel:DWORD
	s_or_b64 s[68:69], s[78:79], s[68:69]
	s_andn2_b64 exec, exec, s[68:69]
	s_cbranch_execnz .LBB1234_166
; %bb.169:                              ;   in Loop: Header=BB1234_163 Depth=1
	s_or_b64 exec, exec, s[68:69]
	v_and_b32_e32 v7, 0xff, v7
	s_branch .LBB1234_162
.LBB1234_170:                           ;   in Loop: Header=BB1234_163 Depth=1
                                        ; implicit-def: $vgpr7
                                        ; implicit-def: $vgpr6
                                        ; implicit-def: $vgpr8
	s_cbranch_execz .LBB1234_163
; %bb.171:
	s_and_saveexec_b64 s[0:1], s[52:53]
	s_cbranch_execz .LBB1234_173
; %bb.172:
	s_and_b32 s52, s70, 0xff
	s_cmp_eq_u32 s52, 0
	s_cselect_b64 vcc, -1, 0
	s_bitcmp1_b32 s70, 0
	s_mov_b32 s53, 0
	s_cselect_b64 s[64:65], -1, 0
	s_add_i32 s52, s75, 64
	s_lshl_b64 s[52:53], s[52:53], 4
	v_cndmask_b32_e32 v3, 0, v75, vcc
	s_add_u32 s52, s72, s52
	v_add_u32_e32 v2, v3, v2
	v_and_b32_e32 v3, 1, v73
	s_addc_u32 s53, s73, s53
	v_mov_b32_e32 v5, 0
	v_cndmask_b32_e64 v3, v3, 1, s[64:65]
	v_mov_b32_e32 v4, 2
	v_mov_b64_e32 v[6:7], s[52:53]
	;;#ASMSTART
	global_store_dwordx4 v[6:7], v[2:5] off sc1	
s_waitcnt vmcnt(0)
	;;#ASMEND
.LBB1234_173:
	s_or_b64 exec, exec, s[0:1]
	s_and_b64 exec, exec, s[54:55]
	s_cbranch_execz .LBB1234_175
; %bb.174:
	v_mov_b32_e32 v2, 0
	ds_write_b32 v2, v75
	ds_write_b8 v2, v73 offset:4
.LBB1234_175:
	s_or_b64 exec, exec, s[60:61]
	s_mov_b32 s0, 0
	v_mov_b32_e32 v2, 0
	s_mov_b32 s1, 1
	s_waitcnt lgkmcnt(0)
	s_barrier
	ds_read_b32 v3, v2
	v_cmp_gt_u64_e32 vcc, s[0:1], v[10:11]
	v_and_b32_e32 v5, 1, v11
	v_and_b32_e32 v6, 1, v63
	v_cndmask_b32_e32 v4, 0, v62, vcc
	v_cmp_eq_u32_e32 vcc, 1, v5
	v_cndmask_b32_e64 v4, v4, 0, s[54:55]
	s_nop 0
	v_cndmask_b32_e64 v5, v6, 1, vcc
	v_cndmask_b32_e64 v5, v5, v11, s[54:55]
	v_cmp_eq_u16_sdwa vcc, v5, v2 src0_sel:BYTE_0 src1_sel:DWORD
	s_waitcnt lgkmcnt(0)
	s_nop 0
	v_cndmask_b32_e32 v2, 0, v3, vcc
	v_add3_u32 v80, v4, v10, v2
	v_cndmask_b32_e64 v2, 0, v80, s[6:7]
	v_add_u32_e32 v58, v2, v12
	v_cndmask_b32_e64 v2, 0, v58, s[8:9]
	v_add_u32_e32 v59, v2, v14
	;; [unrolled: 2-line block ×22, first 2 shown]
	s_branch .LBB1234_196
.LBB1234_176:
                                        ; implicit-def: $vgpr78
                                        ; implicit-def: $vgpr77
                                        ; implicit-def: $vgpr76
                                        ; implicit-def: $vgpr75
                                        ; implicit-def: $vgpr74
                                        ; implicit-def: $vgpr73
                                        ; implicit-def: $vgpr72
                                        ; implicit-def: $vgpr71
                                        ; implicit-def: $vgpr70
                                        ; implicit-def: $vgpr69
                                        ; implicit-def: $vgpr68
                                        ; implicit-def: $vgpr67
                                        ; implicit-def: $vgpr66
                                        ; implicit-def: $vgpr65
                                        ; implicit-def: $vgpr64
                                        ; implicit-def: $vgpr63
                                        ; implicit-def: $vgpr62
                                        ; implicit-def: $vgpr61
                                        ; implicit-def: $vgpr60
                                        ; implicit-def: $vgpr59
                                        ; implicit-def: $vgpr58
                                        ; implicit-def: $vgpr80
                                        ; implicit-def: $vgpr79
	s_cbranch_execz .LBB1234_196
; %bb.177:
	s_cmp_lg_u64 s[76:77], 0
	s_cselect_b32 s9, s67, 0
	s_cselect_b32 s8, s66, 0
	s_cmp_lg_u64 s[8:9], 0
	s_cselect_b64 s[6:7], -1, 0
	s_mov_b32 s0, 0
	s_and_b64 s[10:11], s[54:55], s[6:7]
	s_and_saveexec_b64 s[6:7], s[10:11]
	s_cbranch_execz .LBB1234_179
; %bb.178:
	v_mov_b32_e32 v2, 0
	global_load_dword v4, v2, s[8:9]
	global_load_ubyte v5, v2, s[8:9] offset:4
	s_mov_b32 s1, 1
	v_and_b32_e32 v3, 1, v11
	v_cmp_gt_u64_e32 vcc, s[0:1], v[10:11]
	s_waitcnt vmcnt(0)
	v_and_b32_e32 v5, 1, v5
	v_cndmask_b32_e32 v4, 0, v4, vcc
	v_cmp_eq_u64_e32 vcc, 0, v[2:3]
	v_add_u32_e32 v10, v4, v10
	s_nop 0
	v_cndmask_b32_e32 v11, 1, v5, vcc
.LBB1234_179:
	s_or_b64 exec, exec, s[6:7]
	s_mov_b32 s1, 1
	v_cmp_gt_u64_e32 vcc, s[0:1], v[12:13]
	v_cmp_gt_u64_e64 s[6:7], s[0:1], v[14:15]
	v_cmp_gt_u64_e64 s[8:9], s[0:1], v[16:17]
	v_cndmask_b32_e32 v2, 0, v10, vcc
	v_add_u32_e32 v58, v2, v12
	v_cndmask_b32_e64 v2, 0, v58, s[6:7]
	v_add_u32_e32 v59, v2, v14
	v_cndmask_b32_e64 v2, 0, v59, s[8:9]
	v_add_u32_e32 v60, v2, v16
	v_cmp_gt_u64_e64 s[10:11], s[0:1], v[18:19]
	v_cmp_gt_u64_e64 s[12:13], s[0:1], v[20:21]
	v_cmp_gt_u64_e64 s[14:15], s[0:1], v[22:23]
	v_cndmask_b32_e64 v2, 0, v60, s[10:11]
	v_add_u32_e32 v61, v2, v18
	v_cndmask_b32_e64 v2, 0, v61, s[12:13]
	v_add_u32_e32 v62, v2, v20
	v_cndmask_b32_e64 v2, 0, v62, s[14:15]
	v_add_u32_e32 v63, v2, v22
	v_cmp_gt_u64_e64 s[16:17], s[0:1], v[24:25]
	v_cmp_gt_u64_e64 s[18:19], s[0:1], v[26:27]
	v_cmp_gt_u64_e64 s[20:21], s[0:1], v[28:29]
	v_cndmask_b32_e64 v2, 0, v63, s[16:17]
	;; [unrolled: 9-line block ×6, first 2 shown]
	v_add_u32_e32 v76, v2, v48
	v_cndmask_b32_e64 v2, 0, v76, s[44:45]
	v_add_u32_e32 v77, v2, v50
	v_cndmask_b32_e64 v2, 0, v77, s[46:47]
	v_add_u32_e32 v78, v2, v52
	v_cmp_gt_u64_e64 s[48:49], s[0:1], v[56:57]
	v_add_lshl_u32 v1, v1, v0, 3
	s_nop 0
	v_cndmask_b32_e64 v2, 0, v78, s[48:49]
	v_add_u32_e32 v79, v2, v56
	v_or3_b32 v2, v55, v51, v49
	v_or3_b32 v2, v2, v47, v45
	;; [unrolled: 1-line block ×10, first 2 shown]
	v_and_b32_e32 v2, 1, v2
	v_cmp_eq_u32_e64 s[0:1], 1, v2
	s_nop 1
	v_cndmask_b32_e64 v4, v11, 1, s[0:1]
	v_cmp_gt_u32_e64 s[0:1], 64, v0
	ds_write_b32 v1, v79
	ds_write_b8 v1, v4 offset:4
	s_waitcnt lgkmcnt(0)
	s_barrier
	s_and_saveexec_b64 s[50:51], s[0:1]
	s_cbranch_execz .LBB1234_191
; %bb.180:
	v_lshrrev_b32_e32 v1, 3, v0
	v_add_lshl_u32 v1, v1, v54, 3
	ds_read2_b32 v[6:7], v1 offset0:2 offset1:4
	ds_read_b64 v[2:3], v1
	ds_read_u8 v8, v1 offset:12
	ds_read_u8 v9, v1 offset:20
	ds_read_b32 v13, v1 offset:24
	ds_read_u8 v15, v1 offset:28
	v_mov_b32_e32 v17, 0
	s_waitcnt lgkmcnt(3)
	v_cmp_eq_u16_sdwa s[0:1], v8, v17 src0_sel:BYTE_0 src1_sel:DWORD
	v_and_b32_e32 v5, 1, v3
	s_nop 0
	v_cndmask_b32_e64 v19, 0, v2, s[0:1]
	v_add_u32_e32 v6, v19, v6
	s_waitcnt lgkmcnt(2)
	v_cmp_eq_u16_sdwa s[0:1], v9, v17 src0_sel:BYTE_0 src1_sel:DWORD
	s_nop 1
	v_cndmask_b32_e64 v6, 0, v6, s[0:1]
	v_add_u32_e32 v6, v6, v7
	s_waitcnt lgkmcnt(0)
	v_cmp_eq_u16_e64 s[0:1], 0, v15
	s_nop 1
	v_cndmask_b32_e64 v6, 0, v6, s[0:1]
	v_add_u32_e32 v7, v6, v13
	v_or_b32_e32 v6, v15, v9
	v_or_b32_e32 v6, v6, v8
	v_and_b32_e32 v6, 1, v6
	v_cmp_eq_u32_e64 s[0:1], 1, v6
	v_mbcnt_lo_u32_b32 v8, -1, 0
	v_and_b32_e32 v6, 0xffffff00, v3
	v_cndmask_b32_e64 v9, v5, 1, s[0:1]
	v_mbcnt_hi_u32_b32 v8, -1, v8
	v_and_b32_e32 v15, 15, v8
	v_or_b32_sdwa v13, v6, v9 dst_sel:DWORD dst_unused:UNUSED_PAD src0_sel:DWORD src1_sel:WORD_0
	v_mov_b32_dpp v17, v7 row_shr:1 row_mask:0xf bank_mask:0xf
	v_cmp_ne_u32_e64 s[0:1], 0, v15
	v_mov_b32_dpp v19, v13 row_shr:1 row_mask:0xf bank_mask:0xf
	s_and_saveexec_b64 s[52:53], s[0:1]
; %bb.181:
	v_and_b32_e32 v13, 1, v9
	v_and_b32_e32 v19, 1, v19
	v_cmp_eq_u32_e64 s[0:1], 1, v13
	s_nop 1
	v_cndmask_b32_e64 v19, v19, 1, s[0:1]
	v_cmp_eq_u16_e64 s[0:1], 0, v9
	v_or_b32_sdwa v13, v6, v19 dst_sel:DWORD dst_unused:UNUSED_PAD src0_sel:DWORD src1_sel:WORD_0
	s_nop 0
	v_cndmask_b32_e64 v9, 0, v17, s[0:1]
	v_add_u32_e32 v7, v9, v7
	v_mov_b32_e32 v9, v19
; %bb.182:
	s_or_b64 exec, exec, s[52:53]
	v_mov_b32_dpp v17, v7 row_shr:2 row_mask:0xf bank_mask:0xf
	v_mov_b32_dpp v19, v13 row_shr:2 row_mask:0xf bank_mask:0xf
	v_cmp_lt_u32_e64 s[0:1], 1, v15
	s_and_saveexec_b64 s[52:53], s[0:1]
; %bb.183:
	v_and_b32_e32 v13, 1, v9
	v_and_b32_e32 v19, 1, v19
	v_cmp_eq_u32_e64 s[0:1], 1, v13
	s_nop 1
	v_cndmask_b32_e64 v19, v19, 1, s[0:1]
	v_cmp_eq_u16_e64 s[0:1], 0, v9
	v_or_b32_sdwa v13, v6, v19 dst_sel:DWORD dst_unused:UNUSED_PAD src0_sel:DWORD src1_sel:WORD_0
	s_nop 0
	v_cndmask_b32_e64 v9, 0, v17, s[0:1]
	v_add_u32_e32 v7, v9, v7
	v_mov_b32_e32 v9, v19
; %bb.184:
	s_or_b64 exec, exec, s[52:53]
	v_mov_b32_dpp v17, v7 row_shr:4 row_mask:0xf bank_mask:0xf
	v_mov_b32_dpp v19, v13 row_shr:4 row_mask:0xf bank_mask:0xf
	v_cmp_lt_u32_e64 s[0:1], 3, v15
	;; [unrolled: 18-line block ×3, first 2 shown]
	s_and_saveexec_b64 s[52:53], s[0:1]
; %bb.187:
	v_and_b32_e32 v13, 1, v9
	v_and_b32_e32 v15, 1, v19
	v_cmp_eq_u32_e64 s[0:1], 1, v13
	s_nop 1
	v_cndmask_b32_e64 v15, v15, 1, s[0:1]
	v_cmp_eq_u16_e64 s[0:1], 0, v9
	v_or_b32_sdwa v13, v6, v15 dst_sel:DWORD dst_unused:UNUSED_PAD src0_sel:DWORD src1_sel:WORD_0
	s_nop 0
	v_cndmask_b32_e64 v9, 0, v17, s[0:1]
	v_add_u32_e32 v7, v9, v7
	v_mov_b32_e32 v9, v15
; %bb.188:
	s_or_b64 exec, exec, s[52:53]
	v_and_b32_e32 v19, 16, v8
	v_mov_b32_dpp v15, v7 row_bcast:15 row_mask:0xf bank_mask:0xf
	v_mov_b32_dpp v17, v13 row_bcast:15 row_mask:0xf bank_mask:0xf
	v_cmp_ne_u32_e64 s[0:1], 0, v19
	s_and_saveexec_b64 s[52:53], s[0:1]
; %bb.189:
	v_and_b32_e32 v13, 1, v9
	v_and_b32_e32 v17, 1, v17
	v_cmp_eq_u32_e64 s[0:1], 1, v13
	s_nop 1
	v_cndmask_b32_e64 v17, v17, 1, s[0:1]
	v_cmp_eq_u16_e64 s[0:1], 0, v9
	v_or_b32_sdwa v13, v6, v17 dst_sel:DWORD dst_unused:UNUSED_PAD src0_sel:DWORD src1_sel:WORD_0
	s_nop 0
	v_cndmask_b32_e64 v9, 0, v15, s[0:1]
	v_add_u32_e32 v7, v9, v7
	v_mov_b32_e32 v9, v17
; %bb.190:
	s_or_b64 exec, exec, s[52:53]
	v_mov_b32_dpp v13, v13 row_bcast:31 row_mask:0xf bank_mask:0xf
	v_and_b32_e32 v17, 1, v9
	v_and_b32_e32 v13, 1, v13
	v_cmp_eq_u32_e64 s[0:1], 1, v17
	v_mov_b32_e32 v17, 0
	v_cmp_eq_u16_sdwa s[52:53], v9, v17 src0_sel:BYTE_0 src1_sel:DWORD
	v_cndmask_b32_e64 v13, v13, 1, s[0:1]
	v_cmp_lt_u32_e64 s[0:1], 31, v8
	v_mov_b32_dpp v15, v7 row_bcast:31 row_mask:0xf bank_mask:0xf
	s_movk_i32 s60, 0xff
	v_cndmask_b32_e64 v9, v9, v13, s[0:1]
	s_and_b64 s[0:1], s[0:1], s[52:53]
	v_cndmask_b32_e64 v13, 0, v15, s[0:1]
	v_add_u32_e32 v7, v13, v7
	v_add_u32_e32 v13, -1, v8
	v_and_b32_e32 v15, 64, v8
	v_cmp_lt_i32_e64 s[0:1], v13, v15
	v_and_or_b32 v6, v9, s60, v6
	s_nop 0
	v_cndmask_b32_e64 v8, v13, v8, s[0:1]
	v_lshlrev_b32_e32 v8, 2, v8
	ds_bpermute_b32 v7, v8, v7
	ds_bpermute_b32 v6, v8, v6
	v_cmp_eq_u16_sdwa s[0:1], v3, v17 src0_sel:BYTE_0 src1_sel:DWORD
	; wave barrier
	s_waitcnt lgkmcnt(1)
	s_nop 0
	v_cndmask_b32_e64 v3, 0, v7, s[0:1]
	v_add_u32_e32 v2, v3, v2
	s_waitcnt lgkmcnt(0)
	v_and_b32_e32 v3, 1, v6
	v_cmp_eq_u32_e64 s[0:1], 1, v5
	v_cndmask_b32_e64 v5, v2, v79, s[54:55]
	s_nop 0
	v_cndmask_b32_e64 v3, v3, 1, s[0:1]
	v_cndmask_b32_e64 v4, v3, v4, s[54:55]
	ds_write_b32 v1, v5
	ds_write_b8 v1, v4 offset:4
	; wave barrier
	ds_read_u8 v6, v1 offset:12
	ds_read2_b32 v[2:3], v1 offset0:2 offset1:4
	ds_read_u8 v7, v1 offset:20
	ds_read_b32 v8, v1 offset:24
	ds_read_u8 v9, v1 offset:28
	s_waitcnt lgkmcnt(4)
	v_cmp_eq_u16_e64 s[0:1], 0, v6
	s_nop 1
	v_cndmask_b32_e64 v5, 0, v5, s[0:1]
	s_waitcnt lgkmcnt(3)
	v_add_u32_e32 v2, v5, v2
	v_and_b32_e32 v5, 1, v6
	v_cmp_eq_u32_e64 s[0:1], 1, v5
	s_nop 1
	v_cndmask_b32_e64 v4, v4, 1, s[0:1]
	s_waitcnt lgkmcnt(2)
	v_cmp_eq_u16_e64 s[0:1], 0, v7
	ds_write_b8 v1, v4 offset:12
	s_nop 0
	v_cndmask_b32_e64 v5, 0, v2, s[0:1]
	v_add_u32_e32 v3, v5, v3
	v_and_b32_e32 v5, 1, v7
	v_cmp_eq_u32_e64 s[0:1], 1, v5
	s_nop 1
	v_cndmask_b32_e64 v4, v4, 1, s[0:1]
	s_waitcnt lgkmcnt(1)
	v_cmp_eq_u16_e64 s[0:1], 0, v9
	ds_write2_b32 v1, v2, v3 offset0:2 offset1:4
	ds_write_b8 v1, v4 offset:20
	v_cndmask_b32_e64 v2, 0, v3, s[0:1]
	v_and_b32_e32 v3, 1, v9
	v_add_u32_e32 v2, v2, v8
	v_cmp_eq_u32_e64 s[0:1], 1, v3
	s_nop 1
	v_cndmask_b32_e64 v3, v4, 1, s[0:1]
	ds_write_b32 v1, v2 offset:24
	ds_write_b8 v1, v3 offset:28
.LBB1234_191:
	s_or_b64 exec, exec, s[50:51]
	v_mov_b32_e32 v1, v79
	s_waitcnt lgkmcnt(0)
	s_barrier
	s_and_saveexec_b64 s[0:1], s[4:5]
	s_cbranch_execnz .LBB1234_269
; %bb.192:
	s_or_b64 exec, exec, s[0:1]
	s_and_saveexec_b64 s[50:51], s[4:5]
	s_cbranch_execnz .LBB1234_270
.LBB1234_193:
	s_or_b64 exec, exec, s[50:51]
	s_and_saveexec_b64 s[0:1], s[54:55]
	s_cbranch_execz .LBB1234_195
.LBB1234_194:
	v_mov_b32_e32 v5, 0
	ds_read_b32 v2, v5 offset:2096
	ds_read_u8 v3, v5 offset:2100
	s_add_u32 s4, s72, 0x400
	s_addc_u32 s5, s73, 0
	v_mov_b32_e32 v4, 2
	v_mov_b64_e32 v[6:7], s[4:5]
	s_waitcnt lgkmcnt(0)
	;;#ASMSTART
	global_store_dwordx4 v[6:7], v[2:5] off sc1	
s_waitcnt vmcnt(0)
	;;#ASMEND
.LBB1234_195:
	s_or_b64 exec, exec, s[0:1]
	v_mov_b32_e32 v80, v10
.LBB1234_196:
	s_add_u32 s0, s62, s58
	s_addc_u32 s1, s63, s59
	s_add_u32 s0, s0, s56
	s_addc_u32 s1, s1, s57
	s_and_b64 vcc, exec, s[2:3]
	s_cbranch_vccz .LBB1234_242
; %bb.197:
	s_movk_i32 s2, 0x5c
	v_mul_i32_i24_e32 v26, 0xffffffa8, v0
	s_waitcnt lgkmcnt(0)
	v_mul_u32_u24_e32 v1, 0x5c, v0
	v_mad_u32_u24 v2, v0, s2, v26
	s_barrier
	ds_write2_b32 v1, v80, v58 offset1:1
	ds_write2_b32 v1, v59, v60 offset0:2 offset1:3
	ds_write2_b32 v1, v61, v62 offset0:4 offset1:5
	;; [unrolled: 1-line block ×10, first 2 shown]
	ds_write_b32 v1, v79 offset:88
	s_waitcnt lgkmcnt(0)
	s_barrier
	ds_read2st64_b32 v[24:25], v2 offset0:4 offset1:8
	ds_read2st64_b32 v[22:23], v2 offset0:12 offset1:16
	;; [unrolled: 1-line block ×11, first 2 shown]
	s_add_i32 s33, s33, s74
	v_mov_b32_e32 v55, 0
	v_lshl_add_u64 v[4:5], s[0:1], 0, v[54:55]
	v_cmp_gt_u32_e32 vcc, s33, v0
	s_and_saveexec_b64 s[2:3], vcc
	s_cbranch_execz .LBB1234_199
; %bb.198:
	v_add_u32_e32 v1, v1, v26
	ds_read_b32 v1, v1
	s_waitcnt lgkmcnt(0)
	flat_store_dword v[4:5], v1
.LBB1234_199:
	s_or_b64 exec, exec, s[2:3]
	v_or_b32_e32 v1, 0x100, v0
	v_cmp_gt_u32_e32 vcc, s33, v1
	s_and_saveexec_b64 s[2:3], vcc
	s_cbranch_execz .LBB1234_201
; %bb.200:
	s_waitcnt lgkmcnt(0)
	flat_store_dword v[4:5], v24 offset:1024
.LBB1234_201:
	s_or_b64 exec, exec, s[2:3]
	v_or_b32_e32 v1, 0x200, v0
	v_cmp_gt_u32_e32 vcc, s33, v1
	s_and_saveexec_b64 s[2:3], vcc
	s_cbranch_execz .LBB1234_203
; %bb.202:
	s_waitcnt lgkmcnt(0)
	flat_store_dword v[4:5], v25 offset:2048
.LBB1234_203:
	;; [unrolled: 9-line block ×3, first 2 shown]
	s_or_b64 exec, exec, s[2:3]
	v_or_b32_e32 v1, 0x400, v0
	v_cmp_gt_u32_e32 vcc, s33, v1
	s_and_saveexec_b64 s[2:3], vcc
	s_cbranch_execz .LBB1234_207
; %bb.206:
	s_waitcnt lgkmcnt(0)
	v_add_co_u32_e32 v24, vcc, 0x1000, v4
	s_nop 1
	v_addc_co_u32_e32 v25, vcc, 0, v5, vcc
	flat_store_dword v[24:25], v23
.LBB1234_207:
	s_or_b64 exec, exec, s[2:3]
	v_or_b32_e32 v1, 0x500, v0
	v_cmp_gt_u32_e32 vcc, s33, v1
	s_and_saveexec_b64 s[2:3], vcc
	s_cbranch_execz .LBB1234_209
; %bb.208:
	s_waitcnt lgkmcnt(0)
	v_add_co_u32_e32 v22, vcc, 0x1000, v4
	s_nop 1
	v_addc_co_u32_e32 v23, vcc, 0, v5, vcc
	flat_store_dword v[22:23], v20 offset:1024
.LBB1234_209:
	s_or_b64 exec, exec, s[2:3]
	v_or_b32_e32 v1, 0x600, v0
	v_cmp_gt_u32_e32 vcc, s33, v1
	s_and_saveexec_b64 s[2:3], vcc
	s_cbranch_execz .LBB1234_211
; %bb.210:
	s_waitcnt lgkmcnt(0)
	v_add_co_u32_e32 v22, vcc, 0x1000, v4
	s_nop 1
	v_addc_co_u32_e32 v23, vcc, 0, v5, vcc
	flat_store_dword v[22:23], v21 offset:2048
.LBB1234_211:
	s_or_b64 exec, exec, s[2:3]
	v_or_b32_e32 v1, 0x700, v0
	v_cmp_gt_u32_e32 vcc, s33, v1
	s_and_saveexec_b64 s[2:3], vcc
	s_cbranch_execz .LBB1234_213
; %bb.212:
	s_waitcnt lgkmcnt(0)
	v_add_co_u32_e32 v20, vcc, 0x1000, v4
	s_nop 1
	v_addc_co_u32_e32 v21, vcc, 0, v5, vcc
	flat_store_dword v[20:21], v18 offset:3072
.LBB1234_213:
	s_or_b64 exec, exec, s[2:3]
	v_or_b32_e32 v1, 0x800, v0
	v_cmp_gt_u32_e32 vcc, s33, v1
	s_and_saveexec_b64 s[2:3], vcc
	s_cbranch_execz .LBB1234_215
; %bb.214:
	s_waitcnt lgkmcnt(0)
	v_add_co_u32_e32 v20, vcc, 0x2000, v4
	s_nop 1
	v_addc_co_u32_e32 v21, vcc, 0, v5, vcc
	flat_store_dword v[20:21], v19
.LBB1234_215:
	s_or_b64 exec, exec, s[2:3]
	v_or_b32_e32 v1, 0x900, v0
	v_cmp_gt_u32_e32 vcc, s33, v1
	s_and_saveexec_b64 s[2:3], vcc
	s_cbranch_execz .LBB1234_217
; %bb.216:
	s_waitcnt lgkmcnt(0)
	v_add_co_u32_e32 v18, vcc, 0x2000, v4
	s_nop 1
	v_addc_co_u32_e32 v19, vcc, 0, v5, vcc
	flat_store_dword v[18:19], v16 offset:1024
.LBB1234_217:
	s_or_b64 exec, exec, s[2:3]
	v_or_b32_e32 v1, 0xa00, v0
	v_cmp_gt_u32_e32 vcc, s33, v1
	s_and_saveexec_b64 s[2:3], vcc
	s_cbranch_execz .LBB1234_219
; %bb.218:
	s_waitcnt lgkmcnt(0)
	v_add_co_u32_e32 v18, vcc, 0x2000, v4
	s_nop 1
	v_addc_co_u32_e32 v19, vcc, 0, v5, vcc
	flat_store_dword v[18:19], v17 offset:2048
.LBB1234_219:
	s_or_b64 exec, exec, s[2:3]
	v_or_b32_e32 v1, 0xb00, v0
	v_cmp_gt_u32_e32 vcc, s33, v1
	s_and_saveexec_b64 s[2:3], vcc
	s_cbranch_execz .LBB1234_221
; %bb.220:
	s_waitcnt lgkmcnt(0)
	v_add_co_u32_e32 v16, vcc, 0x2000, v4
	s_nop 1
	v_addc_co_u32_e32 v17, vcc, 0, v5, vcc
	flat_store_dword v[16:17], v14 offset:3072
.LBB1234_221:
	;; [unrolled: 48-line block ×4, first 2 shown]
	s_or_b64 exec, exec, s[2:3]
	v_or_b32_e32 v1, 0x1400, v0
	v_cmp_gt_u32_e32 vcc, s33, v1
	s_and_saveexec_b64 s[2:3], vcc
	s_cbranch_execz .LBB1234_239
; %bb.238:
	s_waitcnt lgkmcnt(0)
	v_add_co_u32_e32 v8, vcc, 0x5000, v4
	s_nop 1
	v_addc_co_u32_e32 v9, vcc, 0, v5, vcc
	flat_store_dword v[8:9], v7
.LBB1234_239:
	s_or_b64 exec, exec, s[2:3]
	v_or_b32_e32 v1, 0x1500, v0
	v_cmp_gt_u32_e32 vcc, s33, v1
	s_and_saveexec_b64 s[2:3], vcc
	s_cbranch_execz .LBB1234_241
; %bb.240:
	v_add_co_u32_e32 v4, vcc, 0x5000, v4
	s_nop 1
	v_addc_co_u32_e32 v5, vcc, 0, v5, vcc
	s_waitcnt lgkmcnt(0)
	flat_store_dword v[4:5], v2 offset:1024
.LBB1234_241:
	s_or_b64 exec, exec, s[2:3]
	s_waitcnt lgkmcnt(0)
	v_or_b32_e32 v2, 0x1600, v0
	v_mov_b32_e32 v1, v55
	v_cmp_gt_u32_e64 s[2:3], s33, v2
	s_branch .LBB1234_244
.LBB1234_242:
	s_mov_b64 s[2:3], 0
                                        ; implicit-def: $vgpr3
	s_cbranch_execz .LBB1234_244
; %bb.243:
	s_waitcnt lgkmcnt(0)
	v_mul_u32_u24_e32 v1, 0x5c, v0
	s_barrier
	s_movk_i32 s4, 0x5c
	ds_write2_b32 v1, v80, v58 offset1:1
	ds_write2_b32 v1, v59, v60 offset0:2 offset1:3
	ds_write2_b32 v1, v61, v62 offset0:4 offset1:5
	;; [unrolled: 1-line block ×10, first 2 shown]
	ds_write_b32 v1, v79 offset:88
	v_mov_b32_e32 v1, 0
	v_mul_i32_i24_e32 v2, 0xffffffa8, v0
	v_mad_u32_u24 v2, v0, s4, v2
	v_mov_b32_e32 v55, v1
	s_waitcnt lgkmcnt(0)
	s_barrier
	ds_read2st64_b32 v[4:5], v2 offset1:4
	ds_read2st64_b32 v[6:7], v2 offset0:8 offset1:12
	ds_read2st64_b32 v[8:9], v2 offset0:16 offset1:20
	;; [unrolled: 1-line block ×10, first 2 shown]
	ds_read_b32 v3, v2 offset:22528
	v_lshl_add_u64 v[26:27], s[0:1], 0, v[54:55]
	s_movk_i32 s4, 0x1000
	s_waitcnt lgkmcnt(0)
	flat_store_dword v[26:27], v4
	flat_store_dword v[26:27], v5 offset:1024
	flat_store_dword v[26:27], v6 offset:2048
	;; [unrolled: 1-line block ×3, first 2 shown]
	v_add_co_u32_e32 v4, vcc, s4, v26
	s_movk_i32 s4, 0x2000
	s_nop 0
	v_addc_co_u32_e32 v5, vcc, 0, v27, vcc
	flat_store_dword v[4:5], v8
	flat_store_dword v[4:5], v9 offset:1024
	flat_store_dword v[4:5], v10 offset:2048
	;; [unrolled: 1-line block ×3, first 2 shown]
	v_add_co_u32_e32 v4, vcc, s4, v26
	s_movk_i32 s4, 0x3000
	s_nop 0
	v_addc_co_u32_e32 v5, vcc, 0, v27, vcc
	flat_store_dword v[4:5], v12
	flat_store_dword v[4:5], v13 offset:1024
	flat_store_dword v[4:5], v14 offset:2048
	;; [unrolled: 1-line block ×3, first 2 shown]
	v_add_co_u32_e32 v4, vcc, s4, v26
	s_or_b64 s[2:3], s[2:3], exec
	s_nop 0
	v_addc_co_u32_e32 v5, vcc, 0, v27, vcc
	flat_store_dword v[4:5], v16
	flat_store_dword v[4:5], v17 offset:1024
	flat_store_dword v[4:5], v18 offset:2048
	;; [unrolled: 1-line block ×3, first 2 shown]
	v_add_co_u32_e32 v4, vcc, 0x4000, v26
	s_nop 1
	v_addc_co_u32_e32 v5, vcc, 0, v27, vcc
	flat_store_dword v[4:5], v20
	flat_store_dword v[4:5], v21 offset:1024
	flat_store_dword v[4:5], v22 offset:2048
	;; [unrolled: 1-line block ×3, first 2 shown]
	v_add_co_u32_e32 v4, vcc, 0x5000, v26
	s_nop 1
	v_addc_co_u32_e32 v5, vcc, 0, v27, vcc
	flat_store_dword v[4:5], v24
	flat_store_dword v[4:5], v25 offset:1024
.LBB1234_244:
	s_and_saveexec_b64 s[4:5], s[2:3]
	s_cbranch_execnz .LBB1234_246
; %bb.245:
	s_endpgm
.LBB1234_246:
	s_waitcnt lgkmcnt(0)
	v_lshl_add_u64 v[0:1], v[0:1], 2, s[0:1]
	v_add_co_u32_e32 v0, vcc, 0x5000, v0
	s_nop 1
	v_addc_co_u32_e32 v1, vcc, 0, v1, vcc
	flat_store_dword v[0:1], v3 offset:2048
	s_endpgm
.LBB1234_247:
	v_lshl_add_u64 v[30:31], s[60:61], 0, v[2:3]
	flat_load_dword v29, v[30:31]
	s_or_b64 exec, exec, s[0:1]
                                        ; implicit-def: $vgpr30
	s_and_saveexec_b64 s[0:1], s[8:9]
	s_cbranch_execz .LBB1234_59
.LBB1234_248:
	v_mov_b32_e32 v3, 0
	v_lshl_add_u64 v[30:31], s[60:61], 0, v[2:3]
	flat_load_dword v30, v[30:31] offset:1024
	s_or_b64 exec, exec, s[0:1]
                                        ; implicit-def: $vgpr31
	s_and_saveexec_b64 s[0:1], s[10:11]
	s_cbranch_execz .LBB1234_60
.LBB1234_249:
	v_mov_b32_e32 v3, 0
	v_lshl_add_u64 v[32:33], s[60:61], 0, v[2:3]
	flat_load_dword v31, v[32:33] offset:2048
	s_or_b64 exec, exec, s[0:1]
                                        ; implicit-def: $vgpr3
	s_and_saveexec_b64 s[0:1], s[12:13]
	s_cbranch_execz .LBB1234_61
.LBB1234_250:
	v_mov_b32_e32 v3, 0
	v_lshl_add_u64 v[32:33], s[60:61], 0, v[2:3]
	flat_load_dword v3, v[32:33] offset:3072
	s_or_b64 exec, exec, s[0:1]
                                        ; implicit-def: $vgpr32
	s_and_saveexec_b64 s[0:1], s[14:15]
	s_cbranch_execz .LBB1234_62
.LBB1234_251:
	v_lshlrev_b32_e32 v32, 2, v10
	v_mov_b32_e32 v33, 0
	v_lshl_add_u64 v[32:33], s[60:61], 0, v[32:33]
	flat_load_dword v32, v[32:33]
	s_or_b64 exec, exec, s[0:1]
                                        ; implicit-def: $vgpr10
	s_and_saveexec_b64 s[0:1], s[16:17]
	s_cbranch_execz .LBB1234_63
.LBB1234_252:
	v_lshlrev_b32_e32 v10, 2, v11
	v_mov_b32_e32 v11, 0
	v_lshl_add_u64 v[10:11], s[60:61], 0, v[10:11]
	flat_load_dword v10, v[10:11]
	s_or_b64 exec, exec, s[0:1]
                                        ; implicit-def: $vgpr11
	s_and_saveexec_b64 s[0:1], s[18:19]
	s_cbranch_execz .LBB1234_64
.LBB1234_253:
	v_lshlrev_b32_e32 v34, 2, v12
	v_mov_b32_e32 v35, 0
	v_lshl_add_u64 v[34:35], s[60:61], 0, v[34:35]
	flat_load_dword v11, v[34:35]
	s_or_b64 exec, exec, s[0:1]
                                        ; implicit-def: $vgpr12
	s_and_saveexec_b64 s[0:1], s[20:21]
	s_cbranch_execz .LBB1234_65
.LBB1234_254:
	v_lshlrev_b32_e32 v12, 2, v13
	v_mov_b32_e32 v13, 0
	v_lshl_add_u64 v[12:13], s[60:61], 0, v[12:13]
	flat_load_dword v12, v[12:13]
	s_or_b64 exec, exec, s[0:1]
                                        ; implicit-def: $vgpr13
	s_and_saveexec_b64 s[0:1], s[22:23]
	s_cbranch_execz .LBB1234_66
.LBB1234_255:
	v_lshlrev_b32_e32 v34, 2, v14
	v_mov_b32_e32 v35, 0
	v_lshl_add_u64 v[34:35], s[60:61], 0, v[34:35]
	flat_load_dword v13, v[34:35]
	s_or_b64 exec, exec, s[0:1]
                                        ; implicit-def: $vgpr14
	s_and_saveexec_b64 s[0:1], s[24:25]
	s_cbranch_execz .LBB1234_67
.LBB1234_256:
	v_lshlrev_b32_e32 v14, 2, v15
	v_mov_b32_e32 v15, 0
	v_lshl_add_u64 v[14:15], s[60:61], 0, v[14:15]
	flat_load_dword v14, v[14:15]
	s_or_b64 exec, exec, s[0:1]
                                        ; implicit-def: $vgpr15
	s_and_saveexec_b64 s[0:1], s[26:27]
	s_cbranch_execz .LBB1234_68
.LBB1234_257:
	v_lshlrev_b32_e32 v34, 2, v16
	v_mov_b32_e32 v35, 0
	v_lshl_add_u64 v[34:35], s[60:61], 0, v[34:35]
	flat_load_dword v15, v[34:35]
	s_or_b64 exec, exec, s[0:1]
                                        ; implicit-def: $vgpr16
	s_and_saveexec_b64 s[0:1], s[28:29]
	s_cbranch_execz .LBB1234_69
.LBB1234_258:
	v_lshlrev_b32_e32 v16, 2, v17
	v_mov_b32_e32 v17, 0
	v_lshl_add_u64 v[16:17], s[60:61], 0, v[16:17]
	flat_load_dword v16, v[16:17]
	s_or_b64 exec, exec, s[0:1]
                                        ; implicit-def: $vgpr17
	s_and_saveexec_b64 s[0:1], s[30:31]
	s_cbranch_execz .LBB1234_70
.LBB1234_259:
	v_lshlrev_b32_e32 v34, 2, v18
	v_mov_b32_e32 v35, 0
	v_lshl_add_u64 v[34:35], s[60:61], 0, v[34:35]
	flat_load_dword v17, v[34:35]
	s_or_b64 exec, exec, s[0:1]
                                        ; implicit-def: $vgpr18
	s_and_saveexec_b64 s[0:1], s[34:35]
	s_cbranch_execz .LBB1234_71
.LBB1234_260:
	v_lshlrev_b32_e32 v18, 2, v19
	v_mov_b32_e32 v19, 0
	v_lshl_add_u64 v[18:19], s[60:61], 0, v[18:19]
	flat_load_dword v18, v[18:19]
	s_or_b64 exec, exec, s[0:1]
                                        ; implicit-def: $vgpr19
	s_and_saveexec_b64 s[0:1], s[36:37]
	s_cbranch_execz .LBB1234_72
.LBB1234_261:
	v_lshlrev_b32_e32 v34, 2, v20
	v_mov_b32_e32 v35, 0
	v_lshl_add_u64 v[34:35], s[60:61], 0, v[34:35]
	flat_load_dword v19, v[34:35]
	s_or_b64 exec, exec, s[0:1]
                                        ; implicit-def: $vgpr20
	s_and_saveexec_b64 s[0:1], s[38:39]
	s_cbranch_execz .LBB1234_73
.LBB1234_262:
	v_lshlrev_b32_e32 v20, 2, v21
	v_mov_b32_e32 v21, 0
	v_lshl_add_u64 v[20:21], s[60:61], 0, v[20:21]
	flat_load_dword v20, v[20:21]
	s_or_b64 exec, exec, s[0:1]
                                        ; implicit-def: $vgpr21
	s_and_saveexec_b64 s[0:1], s[40:41]
	s_cbranch_execz .LBB1234_74
.LBB1234_263:
	v_lshlrev_b32_e32 v34, 2, v22
	v_mov_b32_e32 v35, 0
	v_lshl_add_u64 v[34:35], s[60:61], 0, v[34:35]
	flat_load_dword v21, v[34:35]
	s_or_b64 exec, exec, s[0:1]
                                        ; implicit-def: $vgpr22
	s_and_saveexec_b64 s[0:1], s[42:43]
	s_cbranch_execz .LBB1234_75
.LBB1234_264:
	v_lshlrev_b32_e32 v22, 2, v23
	v_mov_b32_e32 v23, 0
	v_lshl_add_u64 v[22:23], s[60:61], 0, v[22:23]
	flat_load_dword v22, v[22:23]
	s_or_b64 exec, exec, s[0:1]
                                        ; implicit-def: $vgpr23
	s_and_saveexec_b64 s[0:1], s[44:45]
	s_cbranch_execz .LBB1234_76
.LBB1234_265:
	v_lshlrev_b32_e32 v34, 2, v24
	v_mov_b32_e32 v35, 0
	v_lshl_add_u64 v[34:35], s[60:61], 0, v[34:35]
	flat_load_dword v23, v[34:35]
	s_or_b64 exec, exec, s[0:1]
                                        ; implicit-def: $vgpr24
	s_and_saveexec_b64 s[0:1], s[46:47]
	s_cbranch_execz .LBB1234_77
.LBB1234_266:
	v_lshlrev_b32_e32 v24, 2, v25
	v_mov_b32_e32 v25, 0
	v_lshl_add_u64 v[24:25], s[60:61], 0, v[24:25]
	flat_load_dword v24, v[24:25]
	s_or_b64 exec, exec, s[0:1]
                                        ; implicit-def: $vgpr25
	s_and_saveexec_b64 s[0:1], s[48:49]
	s_cbranch_execz .LBB1234_78
.LBB1234_267:
	v_lshlrev_b32_e32 v34, 2, v26
	v_mov_b32_e32 v35, 0
	v_lshl_add_u64 v[34:35], s[60:61], 0, v[34:35]
	flat_load_dword v25, v[34:35]
	s_or_b64 exec, exec, s[0:1]
                                        ; implicit-def: $vgpr26
	s_and_saveexec_b64 s[0:1], s[50:51]
	s_cbranch_execz .LBB1234_79
.LBB1234_268:
	v_lshlrev_b32_e32 v26, 2, v27
	v_mov_b32_e32 v27, 0
	v_lshl_add_u64 v[26:27], s[60:61], 0, v[26:27]
	flat_load_dword v26, v[26:27]
	s_or_b64 exec, exec, s[0:1]
                                        ; implicit-def: $vgpr27
	s_and_saveexec_b64 s[0:1], s[52:53]
	s_cbranch_execnz .LBB1234_80
	s_branch .LBB1234_81
.LBB1234_269:
	v_add_u32_e32 v1, -1, v0
	v_lshrrev_b32_e32 v2, 5, v1
	v_add_lshl_u32 v1, v2, v1, 3
	ds_read_b32 v1, v1
	s_or_b64 exec, exec, s[0:1]
	s_and_saveexec_b64 s[50:51], s[4:5]
	s_cbranch_execz .LBB1234_193
.LBB1234_270:
	v_and_b32_e32 v3, 0xff, v11
	v_mov_b32_e32 v2, 0
	v_cmp_eq_u64_e64 s[0:1], 0, v[2:3]
	;;#ASMSTART
	;;#ASMEND
	s_waitcnt lgkmcnt(0)
	s_nop 0
	v_cndmask_b32_e64 v1, 0, v1, s[0:1]
	v_add_u32_e32 v10, v1, v10
	v_cndmask_b32_e32 v1, 0, v10, vcc
	v_add_u32_e32 v58, v1, v12
	v_cndmask_b32_e64 v1, 0, v58, s[6:7]
	v_add_u32_e32 v59, v1, v14
	v_cndmask_b32_e64 v1, 0, v59, s[8:9]
	;; [unrolled: 2-line block ×21, first 2 shown]
	v_add_u32_e32 v79, v1, v56
	s_or_b64 exec, exec, s[50:51]
	s_and_saveexec_b64 s[0:1], s[54:55]
	s_cbranch_execnz .LBB1234_194
	s_branch .LBB1234_195
.LBB1234_271:
                                        ; implicit-def: $sgpr0_sgpr1
	s_branch .LBB1234_54
.LBB1234_272:
                                        ; implicit-def: $sgpr0_sgpr1
	s_branch .LBB1234_130
	.section	.rodata,"a",@progbits
	.p2align	6, 0x0
	.amdhsa_kernel _ZN7rocprim17ROCPRIM_400000_NS6detail17trampoline_kernelINS0_14default_configENS1_27scan_by_key_config_selectorIijEEZZNS1_16scan_by_key_implILNS1_25lookback_scan_determinismE0ELb0ES3_N6thrust23THRUST_200600_302600_NS6detail15normal_iteratorINS9_10device_ptrIiEEEENSB_INSC_IjEEEESG_jNS9_4plusIvEENS9_8equal_toIvEEjEE10hipError_tPvRmT2_T3_T4_T5_mT6_T7_P12ihipStream_tbENKUlT_T0_E_clISt17integral_constantIbLb1EES11_EEDaSW_SX_EUlSW_E_NS1_11comp_targetILNS1_3genE5ELNS1_11target_archE942ELNS1_3gpuE9ELNS1_3repE0EEENS1_30default_config_static_selectorELNS0_4arch9wavefront6targetE1EEEvT1_
		.amdhsa_group_segment_fixed_size 25600
		.amdhsa_private_segment_fixed_size 0
		.amdhsa_kernarg_size 112
		.amdhsa_user_sgpr_count 2
		.amdhsa_user_sgpr_dispatch_ptr 0
		.amdhsa_user_sgpr_queue_ptr 0
		.amdhsa_user_sgpr_kernarg_segment_ptr 1
		.amdhsa_user_sgpr_dispatch_id 0
		.amdhsa_user_sgpr_kernarg_preload_length 0
		.amdhsa_user_sgpr_kernarg_preload_offset 0
		.amdhsa_user_sgpr_private_segment_size 0
		.amdhsa_uses_dynamic_stack 0
		.amdhsa_enable_private_segment 0
		.amdhsa_system_sgpr_workgroup_id_x 1
		.amdhsa_system_sgpr_workgroup_id_y 0
		.amdhsa_system_sgpr_workgroup_id_z 0
		.amdhsa_system_sgpr_workgroup_info 0
		.amdhsa_system_vgpr_workitem_id 0
		.amdhsa_next_free_vgpr 81
		.amdhsa_next_free_sgpr 85
		.amdhsa_accum_offset 84
		.amdhsa_reserve_vcc 1
		.amdhsa_float_round_mode_32 0
		.amdhsa_float_round_mode_16_64 0
		.amdhsa_float_denorm_mode_32 3
		.amdhsa_float_denorm_mode_16_64 3
		.amdhsa_dx10_clamp 1
		.amdhsa_ieee_mode 1
		.amdhsa_fp16_overflow 0
		.amdhsa_tg_split 0
		.amdhsa_exception_fp_ieee_invalid_op 0
		.amdhsa_exception_fp_denorm_src 0
		.amdhsa_exception_fp_ieee_div_zero 0
		.amdhsa_exception_fp_ieee_overflow 0
		.amdhsa_exception_fp_ieee_underflow 0
		.amdhsa_exception_fp_ieee_inexact 0
		.amdhsa_exception_int_div_zero 0
	.end_amdhsa_kernel
	.section	.text._ZN7rocprim17ROCPRIM_400000_NS6detail17trampoline_kernelINS0_14default_configENS1_27scan_by_key_config_selectorIijEEZZNS1_16scan_by_key_implILNS1_25lookback_scan_determinismE0ELb0ES3_N6thrust23THRUST_200600_302600_NS6detail15normal_iteratorINS9_10device_ptrIiEEEENSB_INSC_IjEEEESG_jNS9_4plusIvEENS9_8equal_toIvEEjEE10hipError_tPvRmT2_T3_T4_T5_mT6_T7_P12ihipStream_tbENKUlT_T0_E_clISt17integral_constantIbLb1EES11_EEDaSW_SX_EUlSW_E_NS1_11comp_targetILNS1_3genE5ELNS1_11target_archE942ELNS1_3gpuE9ELNS1_3repE0EEENS1_30default_config_static_selectorELNS0_4arch9wavefront6targetE1EEEvT1_,"axG",@progbits,_ZN7rocprim17ROCPRIM_400000_NS6detail17trampoline_kernelINS0_14default_configENS1_27scan_by_key_config_selectorIijEEZZNS1_16scan_by_key_implILNS1_25lookback_scan_determinismE0ELb0ES3_N6thrust23THRUST_200600_302600_NS6detail15normal_iteratorINS9_10device_ptrIiEEEENSB_INSC_IjEEEESG_jNS9_4plusIvEENS9_8equal_toIvEEjEE10hipError_tPvRmT2_T3_T4_T5_mT6_T7_P12ihipStream_tbENKUlT_T0_E_clISt17integral_constantIbLb1EES11_EEDaSW_SX_EUlSW_E_NS1_11comp_targetILNS1_3genE5ELNS1_11target_archE942ELNS1_3gpuE9ELNS1_3repE0EEENS1_30default_config_static_selectorELNS0_4arch9wavefront6targetE1EEEvT1_,comdat
.Lfunc_end1234:
	.size	_ZN7rocprim17ROCPRIM_400000_NS6detail17trampoline_kernelINS0_14default_configENS1_27scan_by_key_config_selectorIijEEZZNS1_16scan_by_key_implILNS1_25lookback_scan_determinismE0ELb0ES3_N6thrust23THRUST_200600_302600_NS6detail15normal_iteratorINS9_10device_ptrIiEEEENSB_INSC_IjEEEESG_jNS9_4plusIvEENS9_8equal_toIvEEjEE10hipError_tPvRmT2_T3_T4_T5_mT6_T7_P12ihipStream_tbENKUlT_T0_E_clISt17integral_constantIbLb1EES11_EEDaSW_SX_EUlSW_E_NS1_11comp_targetILNS1_3genE5ELNS1_11target_archE942ELNS1_3gpuE9ELNS1_3repE0EEENS1_30default_config_static_selectorELNS0_4arch9wavefront6targetE1EEEvT1_, .Lfunc_end1234-_ZN7rocprim17ROCPRIM_400000_NS6detail17trampoline_kernelINS0_14default_configENS1_27scan_by_key_config_selectorIijEEZZNS1_16scan_by_key_implILNS1_25lookback_scan_determinismE0ELb0ES3_N6thrust23THRUST_200600_302600_NS6detail15normal_iteratorINS9_10device_ptrIiEEEENSB_INSC_IjEEEESG_jNS9_4plusIvEENS9_8equal_toIvEEjEE10hipError_tPvRmT2_T3_T4_T5_mT6_T7_P12ihipStream_tbENKUlT_T0_E_clISt17integral_constantIbLb1EES11_EEDaSW_SX_EUlSW_E_NS1_11comp_targetILNS1_3genE5ELNS1_11target_archE942ELNS1_3gpuE9ELNS1_3repE0EEENS1_30default_config_static_selectorELNS0_4arch9wavefront6targetE1EEEvT1_
                                        ; -- End function
	.section	.AMDGPU.csdata,"",@progbits
; Kernel info:
; codeLenInByte = 15672
; NumSgprs: 91
; NumVgprs: 81
; NumAgprs: 0
; TotalNumVgprs: 81
; ScratchSize: 0
; MemoryBound: 0
; FloatMode: 240
; IeeeMode: 1
; LDSByteSize: 25600 bytes/workgroup (compile time only)
; SGPRBlocks: 11
; VGPRBlocks: 10
; NumSGPRsForWavesPerEU: 91
; NumVGPRsForWavesPerEU: 81
; AccumOffset: 84
; Occupancy: 2
; WaveLimiterHint : 1
; COMPUTE_PGM_RSRC2:SCRATCH_EN: 0
; COMPUTE_PGM_RSRC2:USER_SGPR: 2
; COMPUTE_PGM_RSRC2:TRAP_HANDLER: 0
; COMPUTE_PGM_RSRC2:TGID_X_EN: 1
; COMPUTE_PGM_RSRC2:TGID_Y_EN: 0
; COMPUTE_PGM_RSRC2:TGID_Z_EN: 0
; COMPUTE_PGM_RSRC2:TIDIG_COMP_CNT: 0
; COMPUTE_PGM_RSRC3_GFX90A:ACCUM_OFFSET: 20
; COMPUTE_PGM_RSRC3_GFX90A:TG_SPLIT: 0
	.section	.text._ZN7rocprim17ROCPRIM_400000_NS6detail17trampoline_kernelINS0_14default_configENS1_27scan_by_key_config_selectorIijEEZZNS1_16scan_by_key_implILNS1_25lookback_scan_determinismE0ELb0ES3_N6thrust23THRUST_200600_302600_NS6detail15normal_iteratorINS9_10device_ptrIiEEEENSB_INSC_IjEEEESG_jNS9_4plusIvEENS9_8equal_toIvEEjEE10hipError_tPvRmT2_T3_T4_T5_mT6_T7_P12ihipStream_tbENKUlT_T0_E_clISt17integral_constantIbLb1EES11_EEDaSW_SX_EUlSW_E_NS1_11comp_targetILNS1_3genE4ELNS1_11target_archE910ELNS1_3gpuE8ELNS1_3repE0EEENS1_30default_config_static_selectorELNS0_4arch9wavefront6targetE1EEEvT1_,"axG",@progbits,_ZN7rocprim17ROCPRIM_400000_NS6detail17trampoline_kernelINS0_14default_configENS1_27scan_by_key_config_selectorIijEEZZNS1_16scan_by_key_implILNS1_25lookback_scan_determinismE0ELb0ES3_N6thrust23THRUST_200600_302600_NS6detail15normal_iteratorINS9_10device_ptrIiEEEENSB_INSC_IjEEEESG_jNS9_4plusIvEENS9_8equal_toIvEEjEE10hipError_tPvRmT2_T3_T4_T5_mT6_T7_P12ihipStream_tbENKUlT_T0_E_clISt17integral_constantIbLb1EES11_EEDaSW_SX_EUlSW_E_NS1_11comp_targetILNS1_3genE4ELNS1_11target_archE910ELNS1_3gpuE8ELNS1_3repE0EEENS1_30default_config_static_selectorELNS0_4arch9wavefront6targetE1EEEvT1_,comdat
	.protected	_ZN7rocprim17ROCPRIM_400000_NS6detail17trampoline_kernelINS0_14default_configENS1_27scan_by_key_config_selectorIijEEZZNS1_16scan_by_key_implILNS1_25lookback_scan_determinismE0ELb0ES3_N6thrust23THRUST_200600_302600_NS6detail15normal_iteratorINS9_10device_ptrIiEEEENSB_INSC_IjEEEESG_jNS9_4plusIvEENS9_8equal_toIvEEjEE10hipError_tPvRmT2_T3_T4_T5_mT6_T7_P12ihipStream_tbENKUlT_T0_E_clISt17integral_constantIbLb1EES11_EEDaSW_SX_EUlSW_E_NS1_11comp_targetILNS1_3genE4ELNS1_11target_archE910ELNS1_3gpuE8ELNS1_3repE0EEENS1_30default_config_static_selectorELNS0_4arch9wavefront6targetE1EEEvT1_ ; -- Begin function _ZN7rocprim17ROCPRIM_400000_NS6detail17trampoline_kernelINS0_14default_configENS1_27scan_by_key_config_selectorIijEEZZNS1_16scan_by_key_implILNS1_25lookback_scan_determinismE0ELb0ES3_N6thrust23THRUST_200600_302600_NS6detail15normal_iteratorINS9_10device_ptrIiEEEENSB_INSC_IjEEEESG_jNS9_4plusIvEENS9_8equal_toIvEEjEE10hipError_tPvRmT2_T3_T4_T5_mT6_T7_P12ihipStream_tbENKUlT_T0_E_clISt17integral_constantIbLb1EES11_EEDaSW_SX_EUlSW_E_NS1_11comp_targetILNS1_3genE4ELNS1_11target_archE910ELNS1_3gpuE8ELNS1_3repE0EEENS1_30default_config_static_selectorELNS0_4arch9wavefront6targetE1EEEvT1_
	.globl	_ZN7rocprim17ROCPRIM_400000_NS6detail17trampoline_kernelINS0_14default_configENS1_27scan_by_key_config_selectorIijEEZZNS1_16scan_by_key_implILNS1_25lookback_scan_determinismE0ELb0ES3_N6thrust23THRUST_200600_302600_NS6detail15normal_iteratorINS9_10device_ptrIiEEEENSB_INSC_IjEEEESG_jNS9_4plusIvEENS9_8equal_toIvEEjEE10hipError_tPvRmT2_T3_T4_T5_mT6_T7_P12ihipStream_tbENKUlT_T0_E_clISt17integral_constantIbLb1EES11_EEDaSW_SX_EUlSW_E_NS1_11comp_targetILNS1_3genE4ELNS1_11target_archE910ELNS1_3gpuE8ELNS1_3repE0EEENS1_30default_config_static_selectorELNS0_4arch9wavefront6targetE1EEEvT1_
	.p2align	8
	.type	_ZN7rocprim17ROCPRIM_400000_NS6detail17trampoline_kernelINS0_14default_configENS1_27scan_by_key_config_selectorIijEEZZNS1_16scan_by_key_implILNS1_25lookback_scan_determinismE0ELb0ES3_N6thrust23THRUST_200600_302600_NS6detail15normal_iteratorINS9_10device_ptrIiEEEENSB_INSC_IjEEEESG_jNS9_4plusIvEENS9_8equal_toIvEEjEE10hipError_tPvRmT2_T3_T4_T5_mT6_T7_P12ihipStream_tbENKUlT_T0_E_clISt17integral_constantIbLb1EES11_EEDaSW_SX_EUlSW_E_NS1_11comp_targetILNS1_3genE4ELNS1_11target_archE910ELNS1_3gpuE8ELNS1_3repE0EEENS1_30default_config_static_selectorELNS0_4arch9wavefront6targetE1EEEvT1_,@function
_ZN7rocprim17ROCPRIM_400000_NS6detail17trampoline_kernelINS0_14default_configENS1_27scan_by_key_config_selectorIijEEZZNS1_16scan_by_key_implILNS1_25lookback_scan_determinismE0ELb0ES3_N6thrust23THRUST_200600_302600_NS6detail15normal_iteratorINS9_10device_ptrIiEEEENSB_INSC_IjEEEESG_jNS9_4plusIvEENS9_8equal_toIvEEjEE10hipError_tPvRmT2_T3_T4_T5_mT6_T7_P12ihipStream_tbENKUlT_T0_E_clISt17integral_constantIbLb1EES11_EEDaSW_SX_EUlSW_E_NS1_11comp_targetILNS1_3genE4ELNS1_11target_archE910ELNS1_3gpuE8ELNS1_3repE0EEENS1_30default_config_static_selectorELNS0_4arch9wavefront6targetE1EEEvT1_: ; @_ZN7rocprim17ROCPRIM_400000_NS6detail17trampoline_kernelINS0_14default_configENS1_27scan_by_key_config_selectorIijEEZZNS1_16scan_by_key_implILNS1_25lookback_scan_determinismE0ELb0ES3_N6thrust23THRUST_200600_302600_NS6detail15normal_iteratorINS9_10device_ptrIiEEEENSB_INSC_IjEEEESG_jNS9_4plusIvEENS9_8equal_toIvEEjEE10hipError_tPvRmT2_T3_T4_T5_mT6_T7_P12ihipStream_tbENKUlT_T0_E_clISt17integral_constantIbLb1EES11_EEDaSW_SX_EUlSW_E_NS1_11comp_targetILNS1_3genE4ELNS1_11target_archE910ELNS1_3gpuE8ELNS1_3repE0EEENS1_30default_config_static_selectorELNS0_4arch9wavefront6targetE1EEEvT1_
; %bb.0:
	.section	.rodata,"a",@progbits
	.p2align	6, 0x0
	.amdhsa_kernel _ZN7rocprim17ROCPRIM_400000_NS6detail17trampoline_kernelINS0_14default_configENS1_27scan_by_key_config_selectorIijEEZZNS1_16scan_by_key_implILNS1_25lookback_scan_determinismE0ELb0ES3_N6thrust23THRUST_200600_302600_NS6detail15normal_iteratorINS9_10device_ptrIiEEEENSB_INSC_IjEEEESG_jNS9_4plusIvEENS9_8equal_toIvEEjEE10hipError_tPvRmT2_T3_T4_T5_mT6_T7_P12ihipStream_tbENKUlT_T0_E_clISt17integral_constantIbLb1EES11_EEDaSW_SX_EUlSW_E_NS1_11comp_targetILNS1_3genE4ELNS1_11target_archE910ELNS1_3gpuE8ELNS1_3repE0EEENS1_30default_config_static_selectorELNS0_4arch9wavefront6targetE1EEEvT1_
		.amdhsa_group_segment_fixed_size 0
		.amdhsa_private_segment_fixed_size 0
		.amdhsa_kernarg_size 112
		.amdhsa_user_sgpr_count 2
		.amdhsa_user_sgpr_dispatch_ptr 0
		.amdhsa_user_sgpr_queue_ptr 0
		.amdhsa_user_sgpr_kernarg_segment_ptr 1
		.amdhsa_user_sgpr_dispatch_id 0
		.amdhsa_user_sgpr_kernarg_preload_length 0
		.amdhsa_user_sgpr_kernarg_preload_offset 0
		.amdhsa_user_sgpr_private_segment_size 0
		.amdhsa_uses_dynamic_stack 0
		.amdhsa_enable_private_segment 0
		.amdhsa_system_sgpr_workgroup_id_x 1
		.amdhsa_system_sgpr_workgroup_id_y 0
		.amdhsa_system_sgpr_workgroup_id_z 0
		.amdhsa_system_sgpr_workgroup_info 0
		.amdhsa_system_vgpr_workitem_id 0
		.amdhsa_next_free_vgpr 1
		.amdhsa_next_free_sgpr 0
		.amdhsa_accum_offset 4
		.amdhsa_reserve_vcc 0
		.amdhsa_float_round_mode_32 0
		.amdhsa_float_round_mode_16_64 0
		.amdhsa_float_denorm_mode_32 3
		.amdhsa_float_denorm_mode_16_64 3
		.amdhsa_dx10_clamp 1
		.amdhsa_ieee_mode 1
		.amdhsa_fp16_overflow 0
		.amdhsa_tg_split 0
		.amdhsa_exception_fp_ieee_invalid_op 0
		.amdhsa_exception_fp_denorm_src 0
		.amdhsa_exception_fp_ieee_div_zero 0
		.amdhsa_exception_fp_ieee_overflow 0
		.amdhsa_exception_fp_ieee_underflow 0
		.amdhsa_exception_fp_ieee_inexact 0
		.amdhsa_exception_int_div_zero 0
	.end_amdhsa_kernel
	.section	.text._ZN7rocprim17ROCPRIM_400000_NS6detail17trampoline_kernelINS0_14default_configENS1_27scan_by_key_config_selectorIijEEZZNS1_16scan_by_key_implILNS1_25lookback_scan_determinismE0ELb0ES3_N6thrust23THRUST_200600_302600_NS6detail15normal_iteratorINS9_10device_ptrIiEEEENSB_INSC_IjEEEESG_jNS9_4plusIvEENS9_8equal_toIvEEjEE10hipError_tPvRmT2_T3_T4_T5_mT6_T7_P12ihipStream_tbENKUlT_T0_E_clISt17integral_constantIbLb1EES11_EEDaSW_SX_EUlSW_E_NS1_11comp_targetILNS1_3genE4ELNS1_11target_archE910ELNS1_3gpuE8ELNS1_3repE0EEENS1_30default_config_static_selectorELNS0_4arch9wavefront6targetE1EEEvT1_,"axG",@progbits,_ZN7rocprim17ROCPRIM_400000_NS6detail17trampoline_kernelINS0_14default_configENS1_27scan_by_key_config_selectorIijEEZZNS1_16scan_by_key_implILNS1_25lookback_scan_determinismE0ELb0ES3_N6thrust23THRUST_200600_302600_NS6detail15normal_iteratorINS9_10device_ptrIiEEEENSB_INSC_IjEEEESG_jNS9_4plusIvEENS9_8equal_toIvEEjEE10hipError_tPvRmT2_T3_T4_T5_mT6_T7_P12ihipStream_tbENKUlT_T0_E_clISt17integral_constantIbLb1EES11_EEDaSW_SX_EUlSW_E_NS1_11comp_targetILNS1_3genE4ELNS1_11target_archE910ELNS1_3gpuE8ELNS1_3repE0EEENS1_30default_config_static_selectorELNS0_4arch9wavefront6targetE1EEEvT1_,comdat
.Lfunc_end1235:
	.size	_ZN7rocprim17ROCPRIM_400000_NS6detail17trampoline_kernelINS0_14default_configENS1_27scan_by_key_config_selectorIijEEZZNS1_16scan_by_key_implILNS1_25lookback_scan_determinismE0ELb0ES3_N6thrust23THRUST_200600_302600_NS6detail15normal_iteratorINS9_10device_ptrIiEEEENSB_INSC_IjEEEESG_jNS9_4plusIvEENS9_8equal_toIvEEjEE10hipError_tPvRmT2_T3_T4_T5_mT6_T7_P12ihipStream_tbENKUlT_T0_E_clISt17integral_constantIbLb1EES11_EEDaSW_SX_EUlSW_E_NS1_11comp_targetILNS1_3genE4ELNS1_11target_archE910ELNS1_3gpuE8ELNS1_3repE0EEENS1_30default_config_static_selectorELNS0_4arch9wavefront6targetE1EEEvT1_, .Lfunc_end1235-_ZN7rocprim17ROCPRIM_400000_NS6detail17trampoline_kernelINS0_14default_configENS1_27scan_by_key_config_selectorIijEEZZNS1_16scan_by_key_implILNS1_25lookback_scan_determinismE0ELb0ES3_N6thrust23THRUST_200600_302600_NS6detail15normal_iteratorINS9_10device_ptrIiEEEENSB_INSC_IjEEEESG_jNS9_4plusIvEENS9_8equal_toIvEEjEE10hipError_tPvRmT2_T3_T4_T5_mT6_T7_P12ihipStream_tbENKUlT_T0_E_clISt17integral_constantIbLb1EES11_EEDaSW_SX_EUlSW_E_NS1_11comp_targetILNS1_3genE4ELNS1_11target_archE910ELNS1_3gpuE8ELNS1_3repE0EEENS1_30default_config_static_selectorELNS0_4arch9wavefront6targetE1EEEvT1_
                                        ; -- End function
	.section	.AMDGPU.csdata,"",@progbits
; Kernel info:
; codeLenInByte = 0
; NumSgprs: 6
; NumVgprs: 0
; NumAgprs: 0
; TotalNumVgprs: 0
; ScratchSize: 0
; MemoryBound: 0
; FloatMode: 240
; IeeeMode: 1
; LDSByteSize: 0 bytes/workgroup (compile time only)
; SGPRBlocks: 0
; VGPRBlocks: 0
; NumSGPRsForWavesPerEU: 6
; NumVGPRsForWavesPerEU: 1
; AccumOffset: 4
; Occupancy: 8
; WaveLimiterHint : 0
; COMPUTE_PGM_RSRC2:SCRATCH_EN: 0
; COMPUTE_PGM_RSRC2:USER_SGPR: 2
; COMPUTE_PGM_RSRC2:TRAP_HANDLER: 0
; COMPUTE_PGM_RSRC2:TGID_X_EN: 1
; COMPUTE_PGM_RSRC2:TGID_Y_EN: 0
; COMPUTE_PGM_RSRC2:TGID_Z_EN: 0
; COMPUTE_PGM_RSRC2:TIDIG_COMP_CNT: 0
; COMPUTE_PGM_RSRC3_GFX90A:ACCUM_OFFSET: 0
; COMPUTE_PGM_RSRC3_GFX90A:TG_SPLIT: 0
	.section	.text._ZN7rocprim17ROCPRIM_400000_NS6detail17trampoline_kernelINS0_14default_configENS1_27scan_by_key_config_selectorIijEEZZNS1_16scan_by_key_implILNS1_25lookback_scan_determinismE0ELb0ES3_N6thrust23THRUST_200600_302600_NS6detail15normal_iteratorINS9_10device_ptrIiEEEENSB_INSC_IjEEEESG_jNS9_4plusIvEENS9_8equal_toIvEEjEE10hipError_tPvRmT2_T3_T4_T5_mT6_T7_P12ihipStream_tbENKUlT_T0_E_clISt17integral_constantIbLb1EES11_EEDaSW_SX_EUlSW_E_NS1_11comp_targetILNS1_3genE3ELNS1_11target_archE908ELNS1_3gpuE7ELNS1_3repE0EEENS1_30default_config_static_selectorELNS0_4arch9wavefront6targetE1EEEvT1_,"axG",@progbits,_ZN7rocprim17ROCPRIM_400000_NS6detail17trampoline_kernelINS0_14default_configENS1_27scan_by_key_config_selectorIijEEZZNS1_16scan_by_key_implILNS1_25lookback_scan_determinismE0ELb0ES3_N6thrust23THRUST_200600_302600_NS6detail15normal_iteratorINS9_10device_ptrIiEEEENSB_INSC_IjEEEESG_jNS9_4plusIvEENS9_8equal_toIvEEjEE10hipError_tPvRmT2_T3_T4_T5_mT6_T7_P12ihipStream_tbENKUlT_T0_E_clISt17integral_constantIbLb1EES11_EEDaSW_SX_EUlSW_E_NS1_11comp_targetILNS1_3genE3ELNS1_11target_archE908ELNS1_3gpuE7ELNS1_3repE0EEENS1_30default_config_static_selectorELNS0_4arch9wavefront6targetE1EEEvT1_,comdat
	.protected	_ZN7rocprim17ROCPRIM_400000_NS6detail17trampoline_kernelINS0_14default_configENS1_27scan_by_key_config_selectorIijEEZZNS1_16scan_by_key_implILNS1_25lookback_scan_determinismE0ELb0ES3_N6thrust23THRUST_200600_302600_NS6detail15normal_iteratorINS9_10device_ptrIiEEEENSB_INSC_IjEEEESG_jNS9_4plusIvEENS9_8equal_toIvEEjEE10hipError_tPvRmT2_T3_T4_T5_mT6_T7_P12ihipStream_tbENKUlT_T0_E_clISt17integral_constantIbLb1EES11_EEDaSW_SX_EUlSW_E_NS1_11comp_targetILNS1_3genE3ELNS1_11target_archE908ELNS1_3gpuE7ELNS1_3repE0EEENS1_30default_config_static_selectorELNS0_4arch9wavefront6targetE1EEEvT1_ ; -- Begin function _ZN7rocprim17ROCPRIM_400000_NS6detail17trampoline_kernelINS0_14default_configENS1_27scan_by_key_config_selectorIijEEZZNS1_16scan_by_key_implILNS1_25lookback_scan_determinismE0ELb0ES3_N6thrust23THRUST_200600_302600_NS6detail15normal_iteratorINS9_10device_ptrIiEEEENSB_INSC_IjEEEESG_jNS9_4plusIvEENS9_8equal_toIvEEjEE10hipError_tPvRmT2_T3_T4_T5_mT6_T7_P12ihipStream_tbENKUlT_T0_E_clISt17integral_constantIbLb1EES11_EEDaSW_SX_EUlSW_E_NS1_11comp_targetILNS1_3genE3ELNS1_11target_archE908ELNS1_3gpuE7ELNS1_3repE0EEENS1_30default_config_static_selectorELNS0_4arch9wavefront6targetE1EEEvT1_
	.globl	_ZN7rocprim17ROCPRIM_400000_NS6detail17trampoline_kernelINS0_14default_configENS1_27scan_by_key_config_selectorIijEEZZNS1_16scan_by_key_implILNS1_25lookback_scan_determinismE0ELb0ES3_N6thrust23THRUST_200600_302600_NS6detail15normal_iteratorINS9_10device_ptrIiEEEENSB_INSC_IjEEEESG_jNS9_4plusIvEENS9_8equal_toIvEEjEE10hipError_tPvRmT2_T3_T4_T5_mT6_T7_P12ihipStream_tbENKUlT_T0_E_clISt17integral_constantIbLb1EES11_EEDaSW_SX_EUlSW_E_NS1_11comp_targetILNS1_3genE3ELNS1_11target_archE908ELNS1_3gpuE7ELNS1_3repE0EEENS1_30default_config_static_selectorELNS0_4arch9wavefront6targetE1EEEvT1_
	.p2align	8
	.type	_ZN7rocprim17ROCPRIM_400000_NS6detail17trampoline_kernelINS0_14default_configENS1_27scan_by_key_config_selectorIijEEZZNS1_16scan_by_key_implILNS1_25lookback_scan_determinismE0ELb0ES3_N6thrust23THRUST_200600_302600_NS6detail15normal_iteratorINS9_10device_ptrIiEEEENSB_INSC_IjEEEESG_jNS9_4plusIvEENS9_8equal_toIvEEjEE10hipError_tPvRmT2_T3_T4_T5_mT6_T7_P12ihipStream_tbENKUlT_T0_E_clISt17integral_constantIbLb1EES11_EEDaSW_SX_EUlSW_E_NS1_11comp_targetILNS1_3genE3ELNS1_11target_archE908ELNS1_3gpuE7ELNS1_3repE0EEENS1_30default_config_static_selectorELNS0_4arch9wavefront6targetE1EEEvT1_,@function
_ZN7rocprim17ROCPRIM_400000_NS6detail17trampoline_kernelINS0_14default_configENS1_27scan_by_key_config_selectorIijEEZZNS1_16scan_by_key_implILNS1_25lookback_scan_determinismE0ELb0ES3_N6thrust23THRUST_200600_302600_NS6detail15normal_iteratorINS9_10device_ptrIiEEEENSB_INSC_IjEEEESG_jNS9_4plusIvEENS9_8equal_toIvEEjEE10hipError_tPvRmT2_T3_T4_T5_mT6_T7_P12ihipStream_tbENKUlT_T0_E_clISt17integral_constantIbLb1EES11_EEDaSW_SX_EUlSW_E_NS1_11comp_targetILNS1_3genE3ELNS1_11target_archE908ELNS1_3gpuE7ELNS1_3repE0EEENS1_30default_config_static_selectorELNS0_4arch9wavefront6targetE1EEEvT1_: ; @_ZN7rocprim17ROCPRIM_400000_NS6detail17trampoline_kernelINS0_14default_configENS1_27scan_by_key_config_selectorIijEEZZNS1_16scan_by_key_implILNS1_25lookback_scan_determinismE0ELb0ES3_N6thrust23THRUST_200600_302600_NS6detail15normal_iteratorINS9_10device_ptrIiEEEENSB_INSC_IjEEEESG_jNS9_4plusIvEENS9_8equal_toIvEEjEE10hipError_tPvRmT2_T3_T4_T5_mT6_T7_P12ihipStream_tbENKUlT_T0_E_clISt17integral_constantIbLb1EES11_EEDaSW_SX_EUlSW_E_NS1_11comp_targetILNS1_3genE3ELNS1_11target_archE908ELNS1_3gpuE7ELNS1_3repE0EEENS1_30default_config_static_selectorELNS0_4arch9wavefront6targetE1EEEvT1_
; %bb.0:
	.section	.rodata,"a",@progbits
	.p2align	6, 0x0
	.amdhsa_kernel _ZN7rocprim17ROCPRIM_400000_NS6detail17trampoline_kernelINS0_14default_configENS1_27scan_by_key_config_selectorIijEEZZNS1_16scan_by_key_implILNS1_25lookback_scan_determinismE0ELb0ES3_N6thrust23THRUST_200600_302600_NS6detail15normal_iteratorINS9_10device_ptrIiEEEENSB_INSC_IjEEEESG_jNS9_4plusIvEENS9_8equal_toIvEEjEE10hipError_tPvRmT2_T3_T4_T5_mT6_T7_P12ihipStream_tbENKUlT_T0_E_clISt17integral_constantIbLb1EES11_EEDaSW_SX_EUlSW_E_NS1_11comp_targetILNS1_3genE3ELNS1_11target_archE908ELNS1_3gpuE7ELNS1_3repE0EEENS1_30default_config_static_selectorELNS0_4arch9wavefront6targetE1EEEvT1_
		.amdhsa_group_segment_fixed_size 0
		.amdhsa_private_segment_fixed_size 0
		.amdhsa_kernarg_size 112
		.amdhsa_user_sgpr_count 2
		.amdhsa_user_sgpr_dispatch_ptr 0
		.amdhsa_user_sgpr_queue_ptr 0
		.amdhsa_user_sgpr_kernarg_segment_ptr 1
		.amdhsa_user_sgpr_dispatch_id 0
		.amdhsa_user_sgpr_kernarg_preload_length 0
		.amdhsa_user_sgpr_kernarg_preload_offset 0
		.amdhsa_user_sgpr_private_segment_size 0
		.amdhsa_uses_dynamic_stack 0
		.amdhsa_enable_private_segment 0
		.amdhsa_system_sgpr_workgroup_id_x 1
		.amdhsa_system_sgpr_workgroup_id_y 0
		.amdhsa_system_sgpr_workgroup_id_z 0
		.amdhsa_system_sgpr_workgroup_info 0
		.amdhsa_system_vgpr_workitem_id 0
		.amdhsa_next_free_vgpr 1
		.amdhsa_next_free_sgpr 0
		.amdhsa_accum_offset 4
		.amdhsa_reserve_vcc 0
		.amdhsa_float_round_mode_32 0
		.amdhsa_float_round_mode_16_64 0
		.amdhsa_float_denorm_mode_32 3
		.amdhsa_float_denorm_mode_16_64 3
		.amdhsa_dx10_clamp 1
		.amdhsa_ieee_mode 1
		.amdhsa_fp16_overflow 0
		.amdhsa_tg_split 0
		.amdhsa_exception_fp_ieee_invalid_op 0
		.amdhsa_exception_fp_denorm_src 0
		.amdhsa_exception_fp_ieee_div_zero 0
		.amdhsa_exception_fp_ieee_overflow 0
		.amdhsa_exception_fp_ieee_underflow 0
		.amdhsa_exception_fp_ieee_inexact 0
		.amdhsa_exception_int_div_zero 0
	.end_amdhsa_kernel
	.section	.text._ZN7rocprim17ROCPRIM_400000_NS6detail17trampoline_kernelINS0_14default_configENS1_27scan_by_key_config_selectorIijEEZZNS1_16scan_by_key_implILNS1_25lookback_scan_determinismE0ELb0ES3_N6thrust23THRUST_200600_302600_NS6detail15normal_iteratorINS9_10device_ptrIiEEEENSB_INSC_IjEEEESG_jNS9_4plusIvEENS9_8equal_toIvEEjEE10hipError_tPvRmT2_T3_T4_T5_mT6_T7_P12ihipStream_tbENKUlT_T0_E_clISt17integral_constantIbLb1EES11_EEDaSW_SX_EUlSW_E_NS1_11comp_targetILNS1_3genE3ELNS1_11target_archE908ELNS1_3gpuE7ELNS1_3repE0EEENS1_30default_config_static_selectorELNS0_4arch9wavefront6targetE1EEEvT1_,"axG",@progbits,_ZN7rocprim17ROCPRIM_400000_NS6detail17trampoline_kernelINS0_14default_configENS1_27scan_by_key_config_selectorIijEEZZNS1_16scan_by_key_implILNS1_25lookback_scan_determinismE0ELb0ES3_N6thrust23THRUST_200600_302600_NS6detail15normal_iteratorINS9_10device_ptrIiEEEENSB_INSC_IjEEEESG_jNS9_4plusIvEENS9_8equal_toIvEEjEE10hipError_tPvRmT2_T3_T4_T5_mT6_T7_P12ihipStream_tbENKUlT_T0_E_clISt17integral_constantIbLb1EES11_EEDaSW_SX_EUlSW_E_NS1_11comp_targetILNS1_3genE3ELNS1_11target_archE908ELNS1_3gpuE7ELNS1_3repE0EEENS1_30default_config_static_selectorELNS0_4arch9wavefront6targetE1EEEvT1_,comdat
.Lfunc_end1236:
	.size	_ZN7rocprim17ROCPRIM_400000_NS6detail17trampoline_kernelINS0_14default_configENS1_27scan_by_key_config_selectorIijEEZZNS1_16scan_by_key_implILNS1_25lookback_scan_determinismE0ELb0ES3_N6thrust23THRUST_200600_302600_NS6detail15normal_iteratorINS9_10device_ptrIiEEEENSB_INSC_IjEEEESG_jNS9_4plusIvEENS9_8equal_toIvEEjEE10hipError_tPvRmT2_T3_T4_T5_mT6_T7_P12ihipStream_tbENKUlT_T0_E_clISt17integral_constantIbLb1EES11_EEDaSW_SX_EUlSW_E_NS1_11comp_targetILNS1_3genE3ELNS1_11target_archE908ELNS1_3gpuE7ELNS1_3repE0EEENS1_30default_config_static_selectorELNS0_4arch9wavefront6targetE1EEEvT1_, .Lfunc_end1236-_ZN7rocprim17ROCPRIM_400000_NS6detail17trampoline_kernelINS0_14default_configENS1_27scan_by_key_config_selectorIijEEZZNS1_16scan_by_key_implILNS1_25lookback_scan_determinismE0ELb0ES3_N6thrust23THRUST_200600_302600_NS6detail15normal_iteratorINS9_10device_ptrIiEEEENSB_INSC_IjEEEESG_jNS9_4plusIvEENS9_8equal_toIvEEjEE10hipError_tPvRmT2_T3_T4_T5_mT6_T7_P12ihipStream_tbENKUlT_T0_E_clISt17integral_constantIbLb1EES11_EEDaSW_SX_EUlSW_E_NS1_11comp_targetILNS1_3genE3ELNS1_11target_archE908ELNS1_3gpuE7ELNS1_3repE0EEENS1_30default_config_static_selectorELNS0_4arch9wavefront6targetE1EEEvT1_
                                        ; -- End function
	.section	.AMDGPU.csdata,"",@progbits
; Kernel info:
; codeLenInByte = 0
; NumSgprs: 6
; NumVgprs: 0
; NumAgprs: 0
; TotalNumVgprs: 0
; ScratchSize: 0
; MemoryBound: 0
; FloatMode: 240
; IeeeMode: 1
; LDSByteSize: 0 bytes/workgroup (compile time only)
; SGPRBlocks: 0
; VGPRBlocks: 0
; NumSGPRsForWavesPerEU: 6
; NumVGPRsForWavesPerEU: 1
; AccumOffset: 4
; Occupancy: 8
; WaveLimiterHint : 0
; COMPUTE_PGM_RSRC2:SCRATCH_EN: 0
; COMPUTE_PGM_RSRC2:USER_SGPR: 2
; COMPUTE_PGM_RSRC2:TRAP_HANDLER: 0
; COMPUTE_PGM_RSRC2:TGID_X_EN: 1
; COMPUTE_PGM_RSRC2:TGID_Y_EN: 0
; COMPUTE_PGM_RSRC2:TGID_Z_EN: 0
; COMPUTE_PGM_RSRC2:TIDIG_COMP_CNT: 0
; COMPUTE_PGM_RSRC3_GFX90A:ACCUM_OFFSET: 0
; COMPUTE_PGM_RSRC3_GFX90A:TG_SPLIT: 0
	.section	.text._ZN7rocprim17ROCPRIM_400000_NS6detail17trampoline_kernelINS0_14default_configENS1_27scan_by_key_config_selectorIijEEZZNS1_16scan_by_key_implILNS1_25lookback_scan_determinismE0ELb0ES3_N6thrust23THRUST_200600_302600_NS6detail15normal_iteratorINS9_10device_ptrIiEEEENSB_INSC_IjEEEESG_jNS9_4plusIvEENS9_8equal_toIvEEjEE10hipError_tPvRmT2_T3_T4_T5_mT6_T7_P12ihipStream_tbENKUlT_T0_E_clISt17integral_constantIbLb1EES11_EEDaSW_SX_EUlSW_E_NS1_11comp_targetILNS1_3genE2ELNS1_11target_archE906ELNS1_3gpuE6ELNS1_3repE0EEENS1_30default_config_static_selectorELNS0_4arch9wavefront6targetE1EEEvT1_,"axG",@progbits,_ZN7rocprim17ROCPRIM_400000_NS6detail17trampoline_kernelINS0_14default_configENS1_27scan_by_key_config_selectorIijEEZZNS1_16scan_by_key_implILNS1_25lookback_scan_determinismE0ELb0ES3_N6thrust23THRUST_200600_302600_NS6detail15normal_iteratorINS9_10device_ptrIiEEEENSB_INSC_IjEEEESG_jNS9_4plusIvEENS9_8equal_toIvEEjEE10hipError_tPvRmT2_T3_T4_T5_mT6_T7_P12ihipStream_tbENKUlT_T0_E_clISt17integral_constantIbLb1EES11_EEDaSW_SX_EUlSW_E_NS1_11comp_targetILNS1_3genE2ELNS1_11target_archE906ELNS1_3gpuE6ELNS1_3repE0EEENS1_30default_config_static_selectorELNS0_4arch9wavefront6targetE1EEEvT1_,comdat
	.protected	_ZN7rocprim17ROCPRIM_400000_NS6detail17trampoline_kernelINS0_14default_configENS1_27scan_by_key_config_selectorIijEEZZNS1_16scan_by_key_implILNS1_25lookback_scan_determinismE0ELb0ES3_N6thrust23THRUST_200600_302600_NS6detail15normal_iteratorINS9_10device_ptrIiEEEENSB_INSC_IjEEEESG_jNS9_4plusIvEENS9_8equal_toIvEEjEE10hipError_tPvRmT2_T3_T4_T5_mT6_T7_P12ihipStream_tbENKUlT_T0_E_clISt17integral_constantIbLb1EES11_EEDaSW_SX_EUlSW_E_NS1_11comp_targetILNS1_3genE2ELNS1_11target_archE906ELNS1_3gpuE6ELNS1_3repE0EEENS1_30default_config_static_selectorELNS0_4arch9wavefront6targetE1EEEvT1_ ; -- Begin function _ZN7rocprim17ROCPRIM_400000_NS6detail17trampoline_kernelINS0_14default_configENS1_27scan_by_key_config_selectorIijEEZZNS1_16scan_by_key_implILNS1_25lookback_scan_determinismE0ELb0ES3_N6thrust23THRUST_200600_302600_NS6detail15normal_iteratorINS9_10device_ptrIiEEEENSB_INSC_IjEEEESG_jNS9_4plusIvEENS9_8equal_toIvEEjEE10hipError_tPvRmT2_T3_T4_T5_mT6_T7_P12ihipStream_tbENKUlT_T0_E_clISt17integral_constantIbLb1EES11_EEDaSW_SX_EUlSW_E_NS1_11comp_targetILNS1_3genE2ELNS1_11target_archE906ELNS1_3gpuE6ELNS1_3repE0EEENS1_30default_config_static_selectorELNS0_4arch9wavefront6targetE1EEEvT1_
	.globl	_ZN7rocprim17ROCPRIM_400000_NS6detail17trampoline_kernelINS0_14default_configENS1_27scan_by_key_config_selectorIijEEZZNS1_16scan_by_key_implILNS1_25lookback_scan_determinismE0ELb0ES3_N6thrust23THRUST_200600_302600_NS6detail15normal_iteratorINS9_10device_ptrIiEEEENSB_INSC_IjEEEESG_jNS9_4plusIvEENS9_8equal_toIvEEjEE10hipError_tPvRmT2_T3_T4_T5_mT6_T7_P12ihipStream_tbENKUlT_T0_E_clISt17integral_constantIbLb1EES11_EEDaSW_SX_EUlSW_E_NS1_11comp_targetILNS1_3genE2ELNS1_11target_archE906ELNS1_3gpuE6ELNS1_3repE0EEENS1_30default_config_static_selectorELNS0_4arch9wavefront6targetE1EEEvT1_
	.p2align	8
	.type	_ZN7rocprim17ROCPRIM_400000_NS6detail17trampoline_kernelINS0_14default_configENS1_27scan_by_key_config_selectorIijEEZZNS1_16scan_by_key_implILNS1_25lookback_scan_determinismE0ELb0ES3_N6thrust23THRUST_200600_302600_NS6detail15normal_iteratorINS9_10device_ptrIiEEEENSB_INSC_IjEEEESG_jNS9_4plusIvEENS9_8equal_toIvEEjEE10hipError_tPvRmT2_T3_T4_T5_mT6_T7_P12ihipStream_tbENKUlT_T0_E_clISt17integral_constantIbLb1EES11_EEDaSW_SX_EUlSW_E_NS1_11comp_targetILNS1_3genE2ELNS1_11target_archE906ELNS1_3gpuE6ELNS1_3repE0EEENS1_30default_config_static_selectorELNS0_4arch9wavefront6targetE1EEEvT1_,@function
_ZN7rocprim17ROCPRIM_400000_NS6detail17trampoline_kernelINS0_14default_configENS1_27scan_by_key_config_selectorIijEEZZNS1_16scan_by_key_implILNS1_25lookback_scan_determinismE0ELb0ES3_N6thrust23THRUST_200600_302600_NS6detail15normal_iteratorINS9_10device_ptrIiEEEENSB_INSC_IjEEEESG_jNS9_4plusIvEENS9_8equal_toIvEEjEE10hipError_tPvRmT2_T3_T4_T5_mT6_T7_P12ihipStream_tbENKUlT_T0_E_clISt17integral_constantIbLb1EES11_EEDaSW_SX_EUlSW_E_NS1_11comp_targetILNS1_3genE2ELNS1_11target_archE906ELNS1_3gpuE6ELNS1_3repE0EEENS1_30default_config_static_selectorELNS0_4arch9wavefront6targetE1EEEvT1_: ; @_ZN7rocprim17ROCPRIM_400000_NS6detail17trampoline_kernelINS0_14default_configENS1_27scan_by_key_config_selectorIijEEZZNS1_16scan_by_key_implILNS1_25lookback_scan_determinismE0ELb0ES3_N6thrust23THRUST_200600_302600_NS6detail15normal_iteratorINS9_10device_ptrIiEEEENSB_INSC_IjEEEESG_jNS9_4plusIvEENS9_8equal_toIvEEjEE10hipError_tPvRmT2_T3_T4_T5_mT6_T7_P12ihipStream_tbENKUlT_T0_E_clISt17integral_constantIbLb1EES11_EEDaSW_SX_EUlSW_E_NS1_11comp_targetILNS1_3genE2ELNS1_11target_archE906ELNS1_3gpuE6ELNS1_3repE0EEENS1_30default_config_static_selectorELNS0_4arch9wavefront6targetE1EEEvT1_
; %bb.0:
	.section	.rodata,"a",@progbits
	.p2align	6, 0x0
	.amdhsa_kernel _ZN7rocprim17ROCPRIM_400000_NS6detail17trampoline_kernelINS0_14default_configENS1_27scan_by_key_config_selectorIijEEZZNS1_16scan_by_key_implILNS1_25lookback_scan_determinismE0ELb0ES3_N6thrust23THRUST_200600_302600_NS6detail15normal_iteratorINS9_10device_ptrIiEEEENSB_INSC_IjEEEESG_jNS9_4plusIvEENS9_8equal_toIvEEjEE10hipError_tPvRmT2_T3_T4_T5_mT6_T7_P12ihipStream_tbENKUlT_T0_E_clISt17integral_constantIbLb1EES11_EEDaSW_SX_EUlSW_E_NS1_11comp_targetILNS1_3genE2ELNS1_11target_archE906ELNS1_3gpuE6ELNS1_3repE0EEENS1_30default_config_static_selectorELNS0_4arch9wavefront6targetE1EEEvT1_
		.amdhsa_group_segment_fixed_size 0
		.amdhsa_private_segment_fixed_size 0
		.amdhsa_kernarg_size 112
		.amdhsa_user_sgpr_count 2
		.amdhsa_user_sgpr_dispatch_ptr 0
		.amdhsa_user_sgpr_queue_ptr 0
		.amdhsa_user_sgpr_kernarg_segment_ptr 1
		.amdhsa_user_sgpr_dispatch_id 0
		.amdhsa_user_sgpr_kernarg_preload_length 0
		.amdhsa_user_sgpr_kernarg_preload_offset 0
		.amdhsa_user_sgpr_private_segment_size 0
		.amdhsa_uses_dynamic_stack 0
		.amdhsa_enable_private_segment 0
		.amdhsa_system_sgpr_workgroup_id_x 1
		.amdhsa_system_sgpr_workgroup_id_y 0
		.amdhsa_system_sgpr_workgroup_id_z 0
		.amdhsa_system_sgpr_workgroup_info 0
		.amdhsa_system_vgpr_workitem_id 0
		.amdhsa_next_free_vgpr 1
		.amdhsa_next_free_sgpr 0
		.amdhsa_accum_offset 4
		.amdhsa_reserve_vcc 0
		.amdhsa_float_round_mode_32 0
		.amdhsa_float_round_mode_16_64 0
		.amdhsa_float_denorm_mode_32 3
		.amdhsa_float_denorm_mode_16_64 3
		.amdhsa_dx10_clamp 1
		.amdhsa_ieee_mode 1
		.amdhsa_fp16_overflow 0
		.amdhsa_tg_split 0
		.amdhsa_exception_fp_ieee_invalid_op 0
		.amdhsa_exception_fp_denorm_src 0
		.amdhsa_exception_fp_ieee_div_zero 0
		.amdhsa_exception_fp_ieee_overflow 0
		.amdhsa_exception_fp_ieee_underflow 0
		.amdhsa_exception_fp_ieee_inexact 0
		.amdhsa_exception_int_div_zero 0
	.end_amdhsa_kernel
	.section	.text._ZN7rocprim17ROCPRIM_400000_NS6detail17trampoline_kernelINS0_14default_configENS1_27scan_by_key_config_selectorIijEEZZNS1_16scan_by_key_implILNS1_25lookback_scan_determinismE0ELb0ES3_N6thrust23THRUST_200600_302600_NS6detail15normal_iteratorINS9_10device_ptrIiEEEENSB_INSC_IjEEEESG_jNS9_4plusIvEENS9_8equal_toIvEEjEE10hipError_tPvRmT2_T3_T4_T5_mT6_T7_P12ihipStream_tbENKUlT_T0_E_clISt17integral_constantIbLb1EES11_EEDaSW_SX_EUlSW_E_NS1_11comp_targetILNS1_3genE2ELNS1_11target_archE906ELNS1_3gpuE6ELNS1_3repE0EEENS1_30default_config_static_selectorELNS0_4arch9wavefront6targetE1EEEvT1_,"axG",@progbits,_ZN7rocprim17ROCPRIM_400000_NS6detail17trampoline_kernelINS0_14default_configENS1_27scan_by_key_config_selectorIijEEZZNS1_16scan_by_key_implILNS1_25lookback_scan_determinismE0ELb0ES3_N6thrust23THRUST_200600_302600_NS6detail15normal_iteratorINS9_10device_ptrIiEEEENSB_INSC_IjEEEESG_jNS9_4plusIvEENS9_8equal_toIvEEjEE10hipError_tPvRmT2_T3_T4_T5_mT6_T7_P12ihipStream_tbENKUlT_T0_E_clISt17integral_constantIbLb1EES11_EEDaSW_SX_EUlSW_E_NS1_11comp_targetILNS1_3genE2ELNS1_11target_archE906ELNS1_3gpuE6ELNS1_3repE0EEENS1_30default_config_static_selectorELNS0_4arch9wavefront6targetE1EEEvT1_,comdat
.Lfunc_end1237:
	.size	_ZN7rocprim17ROCPRIM_400000_NS6detail17trampoline_kernelINS0_14default_configENS1_27scan_by_key_config_selectorIijEEZZNS1_16scan_by_key_implILNS1_25lookback_scan_determinismE0ELb0ES3_N6thrust23THRUST_200600_302600_NS6detail15normal_iteratorINS9_10device_ptrIiEEEENSB_INSC_IjEEEESG_jNS9_4plusIvEENS9_8equal_toIvEEjEE10hipError_tPvRmT2_T3_T4_T5_mT6_T7_P12ihipStream_tbENKUlT_T0_E_clISt17integral_constantIbLb1EES11_EEDaSW_SX_EUlSW_E_NS1_11comp_targetILNS1_3genE2ELNS1_11target_archE906ELNS1_3gpuE6ELNS1_3repE0EEENS1_30default_config_static_selectorELNS0_4arch9wavefront6targetE1EEEvT1_, .Lfunc_end1237-_ZN7rocprim17ROCPRIM_400000_NS6detail17trampoline_kernelINS0_14default_configENS1_27scan_by_key_config_selectorIijEEZZNS1_16scan_by_key_implILNS1_25lookback_scan_determinismE0ELb0ES3_N6thrust23THRUST_200600_302600_NS6detail15normal_iteratorINS9_10device_ptrIiEEEENSB_INSC_IjEEEESG_jNS9_4plusIvEENS9_8equal_toIvEEjEE10hipError_tPvRmT2_T3_T4_T5_mT6_T7_P12ihipStream_tbENKUlT_T0_E_clISt17integral_constantIbLb1EES11_EEDaSW_SX_EUlSW_E_NS1_11comp_targetILNS1_3genE2ELNS1_11target_archE906ELNS1_3gpuE6ELNS1_3repE0EEENS1_30default_config_static_selectorELNS0_4arch9wavefront6targetE1EEEvT1_
                                        ; -- End function
	.section	.AMDGPU.csdata,"",@progbits
; Kernel info:
; codeLenInByte = 0
; NumSgprs: 6
; NumVgprs: 0
; NumAgprs: 0
; TotalNumVgprs: 0
; ScratchSize: 0
; MemoryBound: 0
; FloatMode: 240
; IeeeMode: 1
; LDSByteSize: 0 bytes/workgroup (compile time only)
; SGPRBlocks: 0
; VGPRBlocks: 0
; NumSGPRsForWavesPerEU: 6
; NumVGPRsForWavesPerEU: 1
; AccumOffset: 4
; Occupancy: 8
; WaveLimiterHint : 0
; COMPUTE_PGM_RSRC2:SCRATCH_EN: 0
; COMPUTE_PGM_RSRC2:USER_SGPR: 2
; COMPUTE_PGM_RSRC2:TRAP_HANDLER: 0
; COMPUTE_PGM_RSRC2:TGID_X_EN: 1
; COMPUTE_PGM_RSRC2:TGID_Y_EN: 0
; COMPUTE_PGM_RSRC2:TGID_Z_EN: 0
; COMPUTE_PGM_RSRC2:TIDIG_COMP_CNT: 0
; COMPUTE_PGM_RSRC3_GFX90A:ACCUM_OFFSET: 0
; COMPUTE_PGM_RSRC3_GFX90A:TG_SPLIT: 0
	.section	.text._ZN7rocprim17ROCPRIM_400000_NS6detail17trampoline_kernelINS0_14default_configENS1_27scan_by_key_config_selectorIijEEZZNS1_16scan_by_key_implILNS1_25lookback_scan_determinismE0ELb0ES3_N6thrust23THRUST_200600_302600_NS6detail15normal_iteratorINS9_10device_ptrIiEEEENSB_INSC_IjEEEESG_jNS9_4plusIvEENS9_8equal_toIvEEjEE10hipError_tPvRmT2_T3_T4_T5_mT6_T7_P12ihipStream_tbENKUlT_T0_E_clISt17integral_constantIbLb1EES11_EEDaSW_SX_EUlSW_E_NS1_11comp_targetILNS1_3genE10ELNS1_11target_archE1200ELNS1_3gpuE4ELNS1_3repE0EEENS1_30default_config_static_selectorELNS0_4arch9wavefront6targetE1EEEvT1_,"axG",@progbits,_ZN7rocprim17ROCPRIM_400000_NS6detail17trampoline_kernelINS0_14default_configENS1_27scan_by_key_config_selectorIijEEZZNS1_16scan_by_key_implILNS1_25lookback_scan_determinismE0ELb0ES3_N6thrust23THRUST_200600_302600_NS6detail15normal_iteratorINS9_10device_ptrIiEEEENSB_INSC_IjEEEESG_jNS9_4plusIvEENS9_8equal_toIvEEjEE10hipError_tPvRmT2_T3_T4_T5_mT6_T7_P12ihipStream_tbENKUlT_T0_E_clISt17integral_constantIbLb1EES11_EEDaSW_SX_EUlSW_E_NS1_11comp_targetILNS1_3genE10ELNS1_11target_archE1200ELNS1_3gpuE4ELNS1_3repE0EEENS1_30default_config_static_selectorELNS0_4arch9wavefront6targetE1EEEvT1_,comdat
	.protected	_ZN7rocprim17ROCPRIM_400000_NS6detail17trampoline_kernelINS0_14default_configENS1_27scan_by_key_config_selectorIijEEZZNS1_16scan_by_key_implILNS1_25lookback_scan_determinismE0ELb0ES3_N6thrust23THRUST_200600_302600_NS6detail15normal_iteratorINS9_10device_ptrIiEEEENSB_INSC_IjEEEESG_jNS9_4plusIvEENS9_8equal_toIvEEjEE10hipError_tPvRmT2_T3_T4_T5_mT6_T7_P12ihipStream_tbENKUlT_T0_E_clISt17integral_constantIbLb1EES11_EEDaSW_SX_EUlSW_E_NS1_11comp_targetILNS1_3genE10ELNS1_11target_archE1200ELNS1_3gpuE4ELNS1_3repE0EEENS1_30default_config_static_selectorELNS0_4arch9wavefront6targetE1EEEvT1_ ; -- Begin function _ZN7rocprim17ROCPRIM_400000_NS6detail17trampoline_kernelINS0_14default_configENS1_27scan_by_key_config_selectorIijEEZZNS1_16scan_by_key_implILNS1_25lookback_scan_determinismE0ELb0ES3_N6thrust23THRUST_200600_302600_NS6detail15normal_iteratorINS9_10device_ptrIiEEEENSB_INSC_IjEEEESG_jNS9_4plusIvEENS9_8equal_toIvEEjEE10hipError_tPvRmT2_T3_T4_T5_mT6_T7_P12ihipStream_tbENKUlT_T0_E_clISt17integral_constantIbLb1EES11_EEDaSW_SX_EUlSW_E_NS1_11comp_targetILNS1_3genE10ELNS1_11target_archE1200ELNS1_3gpuE4ELNS1_3repE0EEENS1_30default_config_static_selectorELNS0_4arch9wavefront6targetE1EEEvT1_
	.globl	_ZN7rocprim17ROCPRIM_400000_NS6detail17trampoline_kernelINS0_14default_configENS1_27scan_by_key_config_selectorIijEEZZNS1_16scan_by_key_implILNS1_25lookback_scan_determinismE0ELb0ES3_N6thrust23THRUST_200600_302600_NS6detail15normal_iteratorINS9_10device_ptrIiEEEENSB_INSC_IjEEEESG_jNS9_4plusIvEENS9_8equal_toIvEEjEE10hipError_tPvRmT2_T3_T4_T5_mT6_T7_P12ihipStream_tbENKUlT_T0_E_clISt17integral_constantIbLb1EES11_EEDaSW_SX_EUlSW_E_NS1_11comp_targetILNS1_3genE10ELNS1_11target_archE1200ELNS1_3gpuE4ELNS1_3repE0EEENS1_30default_config_static_selectorELNS0_4arch9wavefront6targetE1EEEvT1_
	.p2align	8
	.type	_ZN7rocprim17ROCPRIM_400000_NS6detail17trampoline_kernelINS0_14default_configENS1_27scan_by_key_config_selectorIijEEZZNS1_16scan_by_key_implILNS1_25lookback_scan_determinismE0ELb0ES3_N6thrust23THRUST_200600_302600_NS6detail15normal_iteratorINS9_10device_ptrIiEEEENSB_INSC_IjEEEESG_jNS9_4plusIvEENS9_8equal_toIvEEjEE10hipError_tPvRmT2_T3_T4_T5_mT6_T7_P12ihipStream_tbENKUlT_T0_E_clISt17integral_constantIbLb1EES11_EEDaSW_SX_EUlSW_E_NS1_11comp_targetILNS1_3genE10ELNS1_11target_archE1200ELNS1_3gpuE4ELNS1_3repE0EEENS1_30default_config_static_selectorELNS0_4arch9wavefront6targetE1EEEvT1_,@function
_ZN7rocprim17ROCPRIM_400000_NS6detail17trampoline_kernelINS0_14default_configENS1_27scan_by_key_config_selectorIijEEZZNS1_16scan_by_key_implILNS1_25lookback_scan_determinismE0ELb0ES3_N6thrust23THRUST_200600_302600_NS6detail15normal_iteratorINS9_10device_ptrIiEEEENSB_INSC_IjEEEESG_jNS9_4plusIvEENS9_8equal_toIvEEjEE10hipError_tPvRmT2_T3_T4_T5_mT6_T7_P12ihipStream_tbENKUlT_T0_E_clISt17integral_constantIbLb1EES11_EEDaSW_SX_EUlSW_E_NS1_11comp_targetILNS1_3genE10ELNS1_11target_archE1200ELNS1_3gpuE4ELNS1_3repE0EEENS1_30default_config_static_selectorELNS0_4arch9wavefront6targetE1EEEvT1_: ; @_ZN7rocprim17ROCPRIM_400000_NS6detail17trampoline_kernelINS0_14default_configENS1_27scan_by_key_config_selectorIijEEZZNS1_16scan_by_key_implILNS1_25lookback_scan_determinismE0ELb0ES3_N6thrust23THRUST_200600_302600_NS6detail15normal_iteratorINS9_10device_ptrIiEEEENSB_INSC_IjEEEESG_jNS9_4plusIvEENS9_8equal_toIvEEjEE10hipError_tPvRmT2_T3_T4_T5_mT6_T7_P12ihipStream_tbENKUlT_T0_E_clISt17integral_constantIbLb1EES11_EEDaSW_SX_EUlSW_E_NS1_11comp_targetILNS1_3genE10ELNS1_11target_archE1200ELNS1_3gpuE4ELNS1_3repE0EEENS1_30default_config_static_selectorELNS0_4arch9wavefront6targetE1EEEvT1_
; %bb.0:
	.section	.rodata,"a",@progbits
	.p2align	6, 0x0
	.amdhsa_kernel _ZN7rocprim17ROCPRIM_400000_NS6detail17trampoline_kernelINS0_14default_configENS1_27scan_by_key_config_selectorIijEEZZNS1_16scan_by_key_implILNS1_25lookback_scan_determinismE0ELb0ES3_N6thrust23THRUST_200600_302600_NS6detail15normal_iteratorINS9_10device_ptrIiEEEENSB_INSC_IjEEEESG_jNS9_4plusIvEENS9_8equal_toIvEEjEE10hipError_tPvRmT2_T3_T4_T5_mT6_T7_P12ihipStream_tbENKUlT_T0_E_clISt17integral_constantIbLb1EES11_EEDaSW_SX_EUlSW_E_NS1_11comp_targetILNS1_3genE10ELNS1_11target_archE1200ELNS1_3gpuE4ELNS1_3repE0EEENS1_30default_config_static_selectorELNS0_4arch9wavefront6targetE1EEEvT1_
		.amdhsa_group_segment_fixed_size 0
		.amdhsa_private_segment_fixed_size 0
		.amdhsa_kernarg_size 112
		.amdhsa_user_sgpr_count 2
		.amdhsa_user_sgpr_dispatch_ptr 0
		.amdhsa_user_sgpr_queue_ptr 0
		.amdhsa_user_sgpr_kernarg_segment_ptr 1
		.amdhsa_user_sgpr_dispatch_id 0
		.amdhsa_user_sgpr_kernarg_preload_length 0
		.amdhsa_user_sgpr_kernarg_preload_offset 0
		.amdhsa_user_sgpr_private_segment_size 0
		.amdhsa_uses_dynamic_stack 0
		.amdhsa_enable_private_segment 0
		.amdhsa_system_sgpr_workgroup_id_x 1
		.amdhsa_system_sgpr_workgroup_id_y 0
		.amdhsa_system_sgpr_workgroup_id_z 0
		.amdhsa_system_sgpr_workgroup_info 0
		.amdhsa_system_vgpr_workitem_id 0
		.amdhsa_next_free_vgpr 1
		.amdhsa_next_free_sgpr 0
		.amdhsa_accum_offset 4
		.amdhsa_reserve_vcc 0
		.amdhsa_float_round_mode_32 0
		.amdhsa_float_round_mode_16_64 0
		.amdhsa_float_denorm_mode_32 3
		.amdhsa_float_denorm_mode_16_64 3
		.amdhsa_dx10_clamp 1
		.amdhsa_ieee_mode 1
		.amdhsa_fp16_overflow 0
		.amdhsa_tg_split 0
		.amdhsa_exception_fp_ieee_invalid_op 0
		.amdhsa_exception_fp_denorm_src 0
		.amdhsa_exception_fp_ieee_div_zero 0
		.amdhsa_exception_fp_ieee_overflow 0
		.amdhsa_exception_fp_ieee_underflow 0
		.amdhsa_exception_fp_ieee_inexact 0
		.amdhsa_exception_int_div_zero 0
	.end_amdhsa_kernel
	.section	.text._ZN7rocprim17ROCPRIM_400000_NS6detail17trampoline_kernelINS0_14default_configENS1_27scan_by_key_config_selectorIijEEZZNS1_16scan_by_key_implILNS1_25lookback_scan_determinismE0ELb0ES3_N6thrust23THRUST_200600_302600_NS6detail15normal_iteratorINS9_10device_ptrIiEEEENSB_INSC_IjEEEESG_jNS9_4plusIvEENS9_8equal_toIvEEjEE10hipError_tPvRmT2_T3_T4_T5_mT6_T7_P12ihipStream_tbENKUlT_T0_E_clISt17integral_constantIbLb1EES11_EEDaSW_SX_EUlSW_E_NS1_11comp_targetILNS1_3genE10ELNS1_11target_archE1200ELNS1_3gpuE4ELNS1_3repE0EEENS1_30default_config_static_selectorELNS0_4arch9wavefront6targetE1EEEvT1_,"axG",@progbits,_ZN7rocprim17ROCPRIM_400000_NS6detail17trampoline_kernelINS0_14default_configENS1_27scan_by_key_config_selectorIijEEZZNS1_16scan_by_key_implILNS1_25lookback_scan_determinismE0ELb0ES3_N6thrust23THRUST_200600_302600_NS6detail15normal_iteratorINS9_10device_ptrIiEEEENSB_INSC_IjEEEESG_jNS9_4plusIvEENS9_8equal_toIvEEjEE10hipError_tPvRmT2_T3_T4_T5_mT6_T7_P12ihipStream_tbENKUlT_T0_E_clISt17integral_constantIbLb1EES11_EEDaSW_SX_EUlSW_E_NS1_11comp_targetILNS1_3genE10ELNS1_11target_archE1200ELNS1_3gpuE4ELNS1_3repE0EEENS1_30default_config_static_selectorELNS0_4arch9wavefront6targetE1EEEvT1_,comdat
.Lfunc_end1238:
	.size	_ZN7rocprim17ROCPRIM_400000_NS6detail17trampoline_kernelINS0_14default_configENS1_27scan_by_key_config_selectorIijEEZZNS1_16scan_by_key_implILNS1_25lookback_scan_determinismE0ELb0ES3_N6thrust23THRUST_200600_302600_NS6detail15normal_iteratorINS9_10device_ptrIiEEEENSB_INSC_IjEEEESG_jNS9_4plusIvEENS9_8equal_toIvEEjEE10hipError_tPvRmT2_T3_T4_T5_mT6_T7_P12ihipStream_tbENKUlT_T0_E_clISt17integral_constantIbLb1EES11_EEDaSW_SX_EUlSW_E_NS1_11comp_targetILNS1_3genE10ELNS1_11target_archE1200ELNS1_3gpuE4ELNS1_3repE0EEENS1_30default_config_static_selectorELNS0_4arch9wavefront6targetE1EEEvT1_, .Lfunc_end1238-_ZN7rocprim17ROCPRIM_400000_NS6detail17trampoline_kernelINS0_14default_configENS1_27scan_by_key_config_selectorIijEEZZNS1_16scan_by_key_implILNS1_25lookback_scan_determinismE0ELb0ES3_N6thrust23THRUST_200600_302600_NS6detail15normal_iteratorINS9_10device_ptrIiEEEENSB_INSC_IjEEEESG_jNS9_4plusIvEENS9_8equal_toIvEEjEE10hipError_tPvRmT2_T3_T4_T5_mT6_T7_P12ihipStream_tbENKUlT_T0_E_clISt17integral_constantIbLb1EES11_EEDaSW_SX_EUlSW_E_NS1_11comp_targetILNS1_3genE10ELNS1_11target_archE1200ELNS1_3gpuE4ELNS1_3repE0EEENS1_30default_config_static_selectorELNS0_4arch9wavefront6targetE1EEEvT1_
                                        ; -- End function
	.section	.AMDGPU.csdata,"",@progbits
; Kernel info:
; codeLenInByte = 0
; NumSgprs: 6
; NumVgprs: 0
; NumAgprs: 0
; TotalNumVgprs: 0
; ScratchSize: 0
; MemoryBound: 0
; FloatMode: 240
; IeeeMode: 1
; LDSByteSize: 0 bytes/workgroup (compile time only)
; SGPRBlocks: 0
; VGPRBlocks: 0
; NumSGPRsForWavesPerEU: 6
; NumVGPRsForWavesPerEU: 1
; AccumOffset: 4
; Occupancy: 8
; WaveLimiterHint : 0
; COMPUTE_PGM_RSRC2:SCRATCH_EN: 0
; COMPUTE_PGM_RSRC2:USER_SGPR: 2
; COMPUTE_PGM_RSRC2:TRAP_HANDLER: 0
; COMPUTE_PGM_RSRC2:TGID_X_EN: 1
; COMPUTE_PGM_RSRC2:TGID_Y_EN: 0
; COMPUTE_PGM_RSRC2:TGID_Z_EN: 0
; COMPUTE_PGM_RSRC2:TIDIG_COMP_CNT: 0
; COMPUTE_PGM_RSRC3_GFX90A:ACCUM_OFFSET: 0
; COMPUTE_PGM_RSRC3_GFX90A:TG_SPLIT: 0
	.section	.text._ZN7rocprim17ROCPRIM_400000_NS6detail17trampoline_kernelINS0_14default_configENS1_27scan_by_key_config_selectorIijEEZZNS1_16scan_by_key_implILNS1_25lookback_scan_determinismE0ELb0ES3_N6thrust23THRUST_200600_302600_NS6detail15normal_iteratorINS9_10device_ptrIiEEEENSB_INSC_IjEEEESG_jNS9_4plusIvEENS9_8equal_toIvEEjEE10hipError_tPvRmT2_T3_T4_T5_mT6_T7_P12ihipStream_tbENKUlT_T0_E_clISt17integral_constantIbLb1EES11_EEDaSW_SX_EUlSW_E_NS1_11comp_targetILNS1_3genE9ELNS1_11target_archE1100ELNS1_3gpuE3ELNS1_3repE0EEENS1_30default_config_static_selectorELNS0_4arch9wavefront6targetE1EEEvT1_,"axG",@progbits,_ZN7rocprim17ROCPRIM_400000_NS6detail17trampoline_kernelINS0_14default_configENS1_27scan_by_key_config_selectorIijEEZZNS1_16scan_by_key_implILNS1_25lookback_scan_determinismE0ELb0ES3_N6thrust23THRUST_200600_302600_NS6detail15normal_iteratorINS9_10device_ptrIiEEEENSB_INSC_IjEEEESG_jNS9_4plusIvEENS9_8equal_toIvEEjEE10hipError_tPvRmT2_T3_T4_T5_mT6_T7_P12ihipStream_tbENKUlT_T0_E_clISt17integral_constantIbLb1EES11_EEDaSW_SX_EUlSW_E_NS1_11comp_targetILNS1_3genE9ELNS1_11target_archE1100ELNS1_3gpuE3ELNS1_3repE0EEENS1_30default_config_static_selectorELNS0_4arch9wavefront6targetE1EEEvT1_,comdat
	.protected	_ZN7rocprim17ROCPRIM_400000_NS6detail17trampoline_kernelINS0_14default_configENS1_27scan_by_key_config_selectorIijEEZZNS1_16scan_by_key_implILNS1_25lookback_scan_determinismE0ELb0ES3_N6thrust23THRUST_200600_302600_NS6detail15normal_iteratorINS9_10device_ptrIiEEEENSB_INSC_IjEEEESG_jNS9_4plusIvEENS9_8equal_toIvEEjEE10hipError_tPvRmT2_T3_T4_T5_mT6_T7_P12ihipStream_tbENKUlT_T0_E_clISt17integral_constantIbLb1EES11_EEDaSW_SX_EUlSW_E_NS1_11comp_targetILNS1_3genE9ELNS1_11target_archE1100ELNS1_3gpuE3ELNS1_3repE0EEENS1_30default_config_static_selectorELNS0_4arch9wavefront6targetE1EEEvT1_ ; -- Begin function _ZN7rocprim17ROCPRIM_400000_NS6detail17trampoline_kernelINS0_14default_configENS1_27scan_by_key_config_selectorIijEEZZNS1_16scan_by_key_implILNS1_25lookback_scan_determinismE0ELb0ES3_N6thrust23THRUST_200600_302600_NS6detail15normal_iteratorINS9_10device_ptrIiEEEENSB_INSC_IjEEEESG_jNS9_4plusIvEENS9_8equal_toIvEEjEE10hipError_tPvRmT2_T3_T4_T5_mT6_T7_P12ihipStream_tbENKUlT_T0_E_clISt17integral_constantIbLb1EES11_EEDaSW_SX_EUlSW_E_NS1_11comp_targetILNS1_3genE9ELNS1_11target_archE1100ELNS1_3gpuE3ELNS1_3repE0EEENS1_30default_config_static_selectorELNS0_4arch9wavefront6targetE1EEEvT1_
	.globl	_ZN7rocprim17ROCPRIM_400000_NS6detail17trampoline_kernelINS0_14default_configENS1_27scan_by_key_config_selectorIijEEZZNS1_16scan_by_key_implILNS1_25lookback_scan_determinismE0ELb0ES3_N6thrust23THRUST_200600_302600_NS6detail15normal_iteratorINS9_10device_ptrIiEEEENSB_INSC_IjEEEESG_jNS9_4plusIvEENS9_8equal_toIvEEjEE10hipError_tPvRmT2_T3_T4_T5_mT6_T7_P12ihipStream_tbENKUlT_T0_E_clISt17integral_constantIbLb1EES11_EEDaSW_SX_EUlSW_E_NS1_11comp_targetILNS1_3genE9ELNS1_11target_archE1100ELNS1_3gpuE3ELNS1_3repE0EEENS1_30default_config_static_selectorELNS0_4arch9wavefront6targetE1EEEvT1_
	.p2align	8
	.type	_ZN7rocprim17ROCPRIM_400000_NS6detail17trampoline_kernelINS0_14default_configENS1_27scan_by_key_config_selectorIijEEZZNS1_16scan_by_key_implILNS1_25lookback_scan_determinismE0ELb0ES3_N6thrust23THRUST_200600_302600_NS6detail15normal_iteratorINS9_10device_ptrIiEEEENSB_INSC_IjEEEESG_jNS9_4plusIvEENS9_8equal_toIvEEjEE10hipError_tPvRmT2_T3_T4_T5_mT6_T7_P12ihipStream_tbENKUlT_T0_E_clISt17integral_constantIbLb1EES11_EEDaSW_SX_EUlSW_E_NS1_11comp_targetILNS1_3genE9ELNS1_11target_archE1100ELNS1_3gpuE3ELNS1_3repE0EEENS1_30default_config_static_selectorELNS0_4arch9wavefront6targetE1EEEvT1_,@function
_ZN7rocprim17ROCPRIM_400000_NS6detail17trampoline_kernelINS0_14default_configENS1_27scan_by_key_config_selectorIijEEZZNS1_16scan_by_key_implILNS1_25lookback_scan_determinismE0ELb0ES3_N6thrust23THRUST_200600_302600_NS6detail15normal_iteratorINS9_10device_ptrIiEEEENSB_INSC_IjEEEESG_jNS9_4plusIvEENS9_8equal_toIvEEjEE10hipError_tPvRmT2_T3_T4_T5_mT6_T7_P12ihipStream_tbENKUlT_T0_E_clISt17integral_constantIbLb1EES11_EEDaSW_SX_EUlSW_E_NS1_11comp_targetILNS1_3genE9ELNS1_11target_archE1100ELNS1_3gpuE3ELNS1_3repE0EEENS1_30default_config_static_selectorELNS0_4arch9wavefront6targetE1EEEvT1_: ; @_ZN7rocprim17ROCPRIM_400000_NS6detail17trampoline_kernelINS0_14default_configENS1_27scan_by_key_config_selectorIijEEZZNS1_16scan_by_key_implILNS1_25lookback_scan_determinismE0ELb0ES3_N6thrust23THRUST_200600_302600_NS6detail15normal_iteratorINS9_10device_ptrIiEEEENSB_INSC_IjEEEESG_jNS9_4plusIvEENS9_8equal_toIvEEjEE10hipError_tPvRmT2_T3_T4_T5_mT6_T7_P12ihipStream_tbENKUlT_T0_E_clISt17integral_constantIbLb1EES11_EEDaSW_SX_EUlSW_E_NS1_11comp_targetILNS1_3genE9ELNS1_11target_archE1100ELNS1_3gpuE3ELNS1_3repE0EEENS1_30default_config_static_selectorELNS0_4arch9wavefront6targetE1EEEvT1_
; %bb.0:
	.section	.rodata,"a",@progbits
	.p2align	6, 0x0
	.amdhsa_kernel _ZN7rocprim17ROCPRIM_400000_NS6detail17trampoline_kernelINS0_14default_configENS1_27scan_by_key_config_selectorIijEEZZNS1_16scan_by_key_implILNS1_25lookback_scan_determinismE0ELb0ES3_N6thrust23THRUST_200600_302600_NS6detail15normal_iteratorINS9_10device_ptrIiEEEENSB_INSC_IjEEEESG_jNS9_4plusIvEENS9_8equal_toIvEEjEE10hipError_tPvRmT2_T3_T4_T5_mT6_T7_P12ihipStream_tbENKUlT_T0_E_clISt17integral_constantIbLb1EES11_EEDaSW_SX_EUlSW_E_NS1_11comp_targetILNS1_3genE9ELNS1_11target_archE1100ELNS1_3gpuE3ELNS1_3repE0EEENS1_30default_config_static_selectorELNS0_4arch9wavefront6targetE1EEEvT1_
		.amdhsa_group_segment_fixed_size 0
		.amdhsa_private_segment_fixed_size 0
		.amdhsa_kernarg_size 112
		.amdhsa_user_sgpr_count 2
		.amdhsa_user_sgpr_dispatch_ptr 0
		.amdhsa_user_sgpr_queue_ptr 0
		.amdhsa_user_sgpr_kernarg_segment_ptr 1
		.amdhsa_user_sgpr_dispatch_id 0
		.amdhsa_user_sgpr_kernarg_preload_length 0
		.amdhsa_user_sgpr_kernarg_preload_offset 0
		.amdhsa_user_sgpr_private_segment_size 0
		.amdhsa_uses_dynamic_stack 0
		.amdhsa_enable_private_segment 0
		.amdhsa_system_sgpr_workgroup_id_x 1
		.amdhsa_system_sgpr_workgroup_id_y 0
		.amdhsa_system_sgpr_workgroup_id_z 0
		.amdhsa_system_sgpr_workgroup_info 0
		.amdhsa_system_vgpr_workitem_id 0
		.amdhsa_next_free_vgpr 1
		.amdhsa_next_free_sgpr 0
		.amdhsa_accum_offset 4
		.amdhsa_reserve_vcc 0
		.amdhsa_float_round_mode_32 0
		.amdhsa_float_round_mode_16_64 0
		.amdhsa_float_denorm_mode_32 3
		.amdhsa_float_denorm_mode_16_64 3
		.amdhsa_dx10_clamp 1
		.amdhsa_ieee_mode 1
		.amdhsa_fp16_overflow 0
		.amdhsa_tg_split 0
		.amdhsa_exception_fp_ieee_invalid_op 0
		.amdhsa_exception_fp_denorm_src 0
		.amdhsa_exception_fp_ieee_div_zero 0
		.amdhsa_exception_fp_ieee_overflow 0
		.amdhsa_exception_fp_ieee_underflow 0
		.amdhsa_exception_fp_ieee_inexact 0
		.amdhsa_exception_int_div_zero 0
	.end_amdhsa_kernel
	.section	.text._ZN7rocprim17ROCPRIM_400000_NS6detail17trampoline_kernelINS0_14default_configENS1_27scan_by_key_config_selectorIijEEZZNS1_16scan_by_key_implILNS1_25lookback_scan_determinismE0ELb0ES3_N6thrust23THRUST_200600_302600_NS6detail15normal_iteratorINS9_10device_ptrIiEEEENSB_INSC_IjEEEESG_jNS9_4plusIvEENS9_8equal_toIvEEjEE10hipError_tPvRmT2_T3_T4_T5_mT6_T7_P12ihipStream_tbENKUlT_T0_E_clISt17integral_constantIbLb1EES11_EEDaSW_SX_EUlSW_E_NS1_11comp_targetILNS1_3genE9ELNS1_11target_archE1100ELNS1_3gpuE3ELNS1_3repE0EEENS1_30default_config_static_selectorELNS0_4arch9wavefront6targetE1EEEvT1_,"axG",@progbits,_ZN7rocprim17ROCPRIM_400000_NS6detail17trampoline_kernelINS0_14default_configENS1_27scan_by_key_config_selectorIijEEZZNS1_16scan_by_key_implILNS1_25lookback_scan_determinismE0ELb0ES3_N6thrust23THRUST_200600_302600_NS6detail15normal_iteratorINS9_10device_ptrIiEEEENSB_INSC_IjEEEESG_jNS9_4plusIvEENS9_8equal_toIvEEjEE10hipError_tPvRmT2_T3_T4_T5_mT6_T7_P12ihipStream_tbENKUlT_T0_E_clISt17integral_constantIbLb1EES11_EEDaSW_SX_EUlSW_E_NS1_11comp_targetILNS1_3genE9ELNS1_11target_archE1100ELNS1_3gpuE3ELNS1_3repE0EEENS1_30default_config_static_selectorELNS0_4arch9wavefront6targetE1EEEvT1_,comdat
.Lfunc_end1239:
	.size	_ZN7rocprim17ROCPRIM_400000_NS6detail17trampoline_kernelINS0_14default_configENS1_27scan_by_key_config_selectorIijEEZZNS1_16scan_by_key_implILNS1_25lookback_scan_determinismE0ELb0ES3_N6thrust23THRUST_200600_302600_NS6detail15normal_iteratorINS9_10device_ptrIiEEEENSB_INSC_IjEEEESG_jNS9_4plusIvEENS9_8equal_toIvEEjEE10hipError_tPvRmT2_T3_T4_T5_mT6_T7_P12ihipStream_tbENKUlT_T0_E_clISt17integral_constantIbLb1EES11_EEDaSW_SX_EUlSW_E_NS1_11comp_targetILNS1_3genE9ELNS1_11target_archE1100ELNS1_3gpuE3ELNS1_3repE0EEENS1_30default_config_static_selectorELNS0_4arch9wavefront6targetE1EEEvT1_, .Lfunc_end1239-_ZN7rocprim17ROCPRIM_400000_NS6detail17trampoline_kernelINS0_14default_configENS1_27scan_by_key_config_selectorIijEEZZNS1_16scan_by_key_implILNS1_25lookback_scan_determinismE0ELb0ES3_N6thrust23THRUST_200600_302600_NS6detail15normal_iteratorINS9_10device_ptrIiEEEENSB_INSC_IjEEEESG_jNS9_4plusIvEENS9_8equal_toIvEEjEE10hipError_tPvRmT2_T3_T4_T5_mT6_T7_P12ihipStream_tbENKUlT_T0_E_clISt17integral_constantIbLb1EES11_EEDaSW_SX_EUlSW_E_NS1_11comp_targetILNS1_3genE9ELNS1_11target_archE1100ELNS1_3gpuE3ELNS1_3repE0EEENS1_30default_config_static_selectorELNS0_4arch9wavefront6targetE1EEEvT1_
                                        ; -- End function
	.section	.AMDGPU.csdata,"",@progbits
; Kernel info:
; codeLenInByte = 0
; NumSgprs: 6
; NumVgprs: 0
; NumAgprs: 0
; TotalNumVgprs: 0
; ScratchSize: 0
; MemoryBound: 0
; FloatMode: 240
; IeeeMode: 1
; LDSByteSize: 0 bytes/workgroup (compile time only)
; SGPRBlocks: 0
; VGPRBlocks: 0
; NumSGPRsForWavesPerEU: 6
; NumVGPRsForWavesPerEU: 1
; AccumOffset: 4
; Occupancy: 8
; WaveLimiterHint : 0
; COMPUTE_PGM_RSRC2:SCRATCH_EN: 0
; COMPUTE_PGM_RSRC2:USER_SGPR: 2
; COMPUTE_PGM_RSRC2:TRAP_HANDLER: 0
; COMPUTE_PGM_RSRC2:TGID_X_EN: 1
; COMPUTE_PGM_RSRC2:TGID_Y_EN: 0
; COMPUTE_PGM_RSRC2:TGID_Z_EN: 0
; COMPUTE_PGM_RSRC2:TIDIG_COMP_CNT: 0
; COMPUTE_PGM_RSRC3_GFX90A:ACCUM_OFFSET: 0
; COMPUTE_PGM_RSRC3_GFX90A:TG_SPLIT: 0
	.section	.text._ZN7rocprim17ROCPRIM_400000_NS6detail17trampoline_kernelINS0_14default_configENS1_27scan_by_key_config_selectorIijEEZZNS1_16scan_by_key_implILNS1_25lookback_scan_determinismE0ELb0ES3_N6thrust23THRUST_200600_302600_NS6detail15normal_iteratorINS9_10device_ptrIiEEEENSB_INSC_IjEEEESG_jNS9_4plusIvEENS9_8equal_toIvEEjEE10hipError_tPvRmT2_T3_T4_T5_mT6_T7_P12ihipStream_tbENKUlT_T0_E_clISt17integral_constantIbLb1EES11_EEDaSW_SX_EUlSW_E_NS1_11comp_targetILNS1_3genE8ELNS1_11target_archE1030ELNS1_3gpuE2ELNS1_3repE0EEENS1_30default_config_static_selectorELNS0_4arch9wavefront6targetE1EEEvT1_,"axG",@progbits,_ZN7rocprim17ROCPRIM_400000_NS6detail17trampoline_kernelINS0_14default_configENS1_27scan_by_key_config_selectorIijEEZZNS1_16scan_by_key_implILNS1_25lookback_scan_determinismE0ELb0ES3_N6thrust23THRUST_200600_302600_NS6detail15normal_iteratorINS9_10device_ptrIiEEEENSB_INSC_IjEEEESG_jNS9_4plusIvEENS9_8equal_toIvEEjEE10hipError_tPvRmT2_T3_T4_T5_mT6_T7_P12ihipStream_tbENKUlT_T0_E_clISt17integral_constantIbLb1EES11_EEDaSW_SX_EUlSW_E_NS1_11comp_targetILNS1_3genE8ELNS1_11target_archE1030ELNS1_3gpuE2ELNS1_3repE0EEENS1_30default_config_static_selectorELNS0_4arch9wavefront6targetE1EEEvT1_,comdat
	.protected	_ZN7rocprim17ROCPRIM_400000_NS6detail17trampoline_kernelINS0_14default_configENS1_27scan_by_key_config_selectorIijEEZZNS1_16scan_by_key_implILNS1_25lookback_scan_determinismE0ELb0ES3_N6thrust23THRUST_200600_302600_NS6detail15normal_iteratorINS9_10device_ptrIiEEEENSB_INSC_IjEEEESG_jNS9_4plusIvEENS9_8equal_toIvEEjEE10hipError_tPvRmT2_T3_T4_T5_mT6_T7_P12ihipStream_tbENKUlT_T0_E_clISt17integral_constantIbLb1EES11_EEDaSW_SX_EUlSW_E_NS1_11comp_targetILNS1_3genE8ELNS1_11target_archE1030ELNS1_3gpuE2ELNS1_3repE0EEENS1_30default_config_static_selectorELNS0_4arch9wavefront6targetE1EEEvT1_ ; -- Begin function _ZN7rocprim17ROCPRIM_400000_NS6detail17trampoline_kernelINS0_14default_configENS1_27scan_by_key_config_selectorIijEEZZNS1_16scan_by_key_implILNS1_25lookback_scan_determinismE0ELb0ES3_N6thrust23THRUST_200600_302600_NS6detail15normal_iteratorINS9_10device_ptrIiEEEENSB_INSC_IjEEEESG_jNS9_4plusIvEENS9_8equal_toIvEEjEE10hipError_tPvRmT2_T3_T4_T5_mT6_T7_P12ihipStream_tbENKUlT_T0_E_clISt17integral_constantIbLb1EES11_EEDaSW_SX_EUlSW_E_NS1_11comp_targetILNS1_3genE8ELNS1_11target_archE1030ELNS1_3gpuE2ELNS1_3repE0EEENS1_30default_config_static_selectorELNS0_4arch9wavefront6targetE1EEEvT1_
	.globl	_ZN7rocprim17ROCPRIM_400000_NS6detail17trampoline_kernelINS0_14default_configENS1_27scan_by_key_config_selectorIijEEZZNS1_16scan_by_key_implILNS1_25lookback_scan_determinismE0ELb0ES3_N6thrust23THRUST_200600_302600_NS6detail15normal_iteratorINS9_10device_ptrIiEEEENSB_INSC_IjEEEESG_jNS9_4plusIvEENS9_8equal_toIvEEjEE10hipError_tPvRmT2_T3_T4_T5_mT6_T7_P12ihipStream_tbENKUlT_T0_E_clISt17integral_constantIbLb1EES11_EEDaSW_SX_EUlSW_E_NS1_11comp_targetILNS1_3genE8ELNS1_11target_archE1030ELNS1_3gpuE2ELNS1_3repE0EEENS1_30default_config_static_selectorELNS0_4arch9wavefront6targetE1EEEvT1_
	.p2align	8
	.type	_ZN7rocprim17ROCPRIM_400000_NS6detail17trampoline_kernelINS0_14default_configENS1_27scan_by_key_config_selectorIijEEZZNS1_16scan_by_key_implILNS1_25lookback_scan_determinismE0ELb0ES3_N6thrust23THRUST_200600_302600_NS6detail15normal_iteratorINS9_10device_ptrIiEEEENSB_INSC_IjEEEESG_jNS9_4plusIvEENS9_8equal_toIvEEjEE10hipError_tPvRmT2_T3_T4_T5_mT6_T7_P12ihipStream_tbENKUlT_T0_E_clISt17integral_constantIbLb1EES11_EEDaSW_SX_EUlSW_E_NS1_11comp_targetILNS1_3genE8ELNS1_11target_archE1030ELNS1_3gpuE2ELNS1_3repE0EEENS1_30default_config_static_selectorELNS0_4arch9wavefront6targetE1EEEvT1_,@function
_ZN7rocprim17ROCPRIM_400000_NS6detail17trampoline_kernelINS0_14default_configENS1_27scan_by_key_config_selectorIijEEZZNS1_16scan_by_key_implILNS1_25lookback_scan_determinismE0ELb0ES3_N6thrust23THRUST_200600_302600_NS6detail15normal_iteratorINS9_10device_ptrIiEEEENSB_INSC_IjEEEESG_jNS9_4plusIvEENS9_8equal_toIvEEjEE10hipError_tPvRmT2_T3_T4_T5_mT6_T7_P12ihipStream_tbENKUlT_T0_E_clISt17integral_constantIbLb1EES11_EEDaSW_SX_EUlSW_E_NS1_11comp_targetILNS1_3genE8ELNS1_11target_archE1030ELNS1_3gpuE2ELNS1_3repE0EEENS1_30default_config_static_selectorELNS0_4arch9wavefront6targetE1EEEvT1_: ; @_ZN7rocprim17ROCPRIM_400000_NS6detail17trampoline_kernelINS0_14default_configENS1_27scan_by_key_config_selectorIijEEZZNS1_16scan_by_key_implILNS1_25lookback_scan_determinismE0ELb0ES3_N6thrust23THRUST_200600_302600_NS6detail15normal_iteratorINS9_10device_ptrIiEEEENSB_INSC_IjEEEESG_jNS9_4plusIvEENS9_8equal_toIvEEjEE10hipError_tPvRmT2_T3_T4_T5_mT6_T7_P12ihipStream_tbENKUlT_T0_E_clISt17integral_constantIbLb1EES11_EEDaSW_SX_EUlSW_E_NS1_11comp_targetILNS1_3genE8ELNS1_11target_archE1030ELNS1_3gpuE2ELNS1_3repE0EEENS1_30default_config_static_selectorELNS0_4arch9wavefront6targetE1EEEvT1_
; %bb.0:
	.section	.rodata,"a",@progbits
	.p2align	6, 0x0
	.amdhsa_kernel _ZN7rocprim17ROCPRIM_400000_NS6detail17trampoline_kernelINS0_14default_configENS1_27scan_by_key_config_selectorIijEEZZNS1_16scan_by_key_implILNS1_25lookback_scan_determinismE0ELb0ES3_N6thrust23THRUST_200600_302600_NS6detail15normal_iteratorINS9_10device_ptrIiEEEENSB_INSC_IjEEEESG_jNS9_4plusIvEENS9_8equal_toIvEEjEE10hipError_tPvRmT2_T3_T4_T5_mT6_T7_P12ihipStream_tbENKUlT_T0_E_clISt17integral_constantIbLb1EES11_EEDaSW_SX_EUlSW_E_NS1_11comp_targetILNS1_3genE8ELNS1_11target_archE1030ELNS1_3gpuE2ELNS1_3repE0EEENS1_30default_config_static_selectorELNS0_4arch9wavefront6targetE1EEEvT1_
		.amdhsa_group_segment_fixed_size 0
		.amdhsa_private_segment_fixed_size 0
		.amdhsa_kernarg_size 112
		.amdhsa_user_sgpr_count 2
		.amdhsa_user_sgpr_dispatch_ptr 0
		.amdhsa_user_sgpr_queue_ptr 0
		.amdhsa_user_sgpr_kernarg_segment_ptr 1
		.amdhsa_user_sgpr_dispatch_id 0
		.amdhsa_user_sgpr_kernarg_preload_length 0
		.amdhsa_user_sgpr_kernarg_preload_offset 0
		.amdhsa_user_sgpr_private_segment_size 0
		.amdhsa_uses_dynamic_stack 0
		.amdhsa_enable_private_segment 0
		.amdhsa_system_sgpr_workgroup_id_x 1
		.amdhsa_system_sgpr_workgroup_id_y 0
		.amdhsa_system_sgpr_workgroup_id_z 0
		.amdhsa_system_sgpr_workgroup_info 0
		.amdhsa_system_vgpr_workitem_id 0
		.amdhsa_next_free_vgpr 1
		.amdhsa_next_free_sgpr 0
		.amdhsa_accum_offset 4
		.amdhsa_reserve_vcc 0
		.amdhsa_float_round_mode_32 0
		.amdhsa_float_round_mode_16_64 0
		.amdhsa_float_denorm_mode_32 3
		.amdhsa_float_denorm_mode_16_64 3
		.amdhsa_dx10_clamp 1
		.amdhsa_ieee_mode 1
		.amdhsa_fp16_overflow 0
		.amdhsa_tg_split 0
		.amdhsa_exception_fp_ieee_invalid_op 0
		.amdhsa_exception_fp_denorm_src 0
		.amdhsa_exception_fp_ieee_div_zero 0
		.amdhsa_exception_fp_ieee_overflow 0
		.amdhsa_exception_fp_ieee_underflow 0
		.amdhsa_exception_fp_ieee_inexact 0
		.amdhsa_exception_int_div_zero 0
	.end_amdhsa_kernel
	.section	.text._ZN7rocprim17ROCPRIM_400000_NS6detail17trampoline_kernelINS0_14default_configENS1_27scan_by_key_config_selectorIijEEZZNS1_16scan_by_key_implILNS1_25lookback_scan_determinismE0ELb0ES3_N6thrust23THRUST_200600_302600_NS6detail15normal_iteratorINS9_10device_ptrIiEEEENSB_INSC_IjEEEESG_jNS9_4plusIvEENS9_8equal_toIvEEjEE10hipError_tPvRmT2_T3_T4_T5_mT6_T7_P12ihipStream_tbENKUlT_T0_E_clISt17integral_constantIbLb1EES11_EEDaSW_SX_EUlSW_E_NS1_11comp_targetILNS1_3genE8ELNS1_11target_archE1030ELNS1_3gpuE2ELNS1_3repE0EEENS1_30default_config_static_selectorELNS0_4arch9wavefront6targetE1EEEvT1_,"axG",@progbits,_ZN7rocprim17ROCPRIM_400000_NS6detail17trampoline_kernelINS0_14default_configENS1_27scan_by_key_config_selectorIijEEZZNS1_16scan_by_key_implILNS1_25lookback_scan_determinismE0ELb0ES3_N6thrust23THRUST_200600_302600_NS6detail15normal_iteratorINS9_10device_ptrIiEEEENSB_INSC_IjEEEESG_jNS9_4plusIvEENS9_8equal_toIvEEjEE10hipError_tPvRmT2_T3_T4_T5_mT6_T7_P12ihipStream_tbENKUlT_T0_E_clISt17integral_constantIbLb1EES11_EEDaSW_SX_EUlSW_E_NS1_11comp_targetILNS1_3genE8ELNS1_11target_archE1030ELNS1_3gpuE2ELNS1_3repE0EEENS1_30default_config_static_selectorELNS0_4arch9wavefront6targetE1EEEvT1_,comdat
.Lfunc_end1240:
	.size	_ZN7rocprim17ROCPRIM_400000_NS6detail17trampoline_kernelINS0_14default_configENS1_27scan_by_key_config_selectorIijEEZZNS1_16scan_by_key_implILNS1_25lookback_scan_determinismE0ELb0ES3_N6thrust23THRUST_200600_302600_NS6detail15normal_iteratorINS9_10device_ptrIiEEEENSB_INSC_IjEEEESG_jNS9_4plusIvEENS9_8equal_toIvEEjEE10hipError_tPvRmT2_T3_T4_T5_mT6_T7_P12ihipStream_tbENKUlT_T0_E_clISt17integral_constantIbLb1EES11_EEDaSW_SX_EUlSW_E_NS1_11comp_targetILNS1_3genE8ELNS1_11target_archE1030ELNS1_3gpuE2ELNS1_3repE0EEENS1_30default_config_static_selectorELNS0_4arch9wavefront6targetE1EEEvT1_, .Lfunc_end1240-_ZN7rocprim17ROCPRIM_400000_NS6detail17trampoline_kernelINS0_14default_configENS1_27scan_by_key_config_selectorIijEEZZNS1_16scan_by_key_implILNS1_25lookback_scan_determinismE0ELb0ES3_N6thrust23THRUST_200600_302600_NS6detail15normal_iteratorINS9_10device_ptrIiEEEENSB_INSC_IjEEEESG_jNS9_4plusIvEENS9_8equal_toIvEEjEE10hipError_tPvRmT2_T3_T4_T5_mT6_T7_P12ihipStream_tbENKUlT_T0_E_clISt17integral_constantIbLb1EES11_EEDaSW_SX_EUlSW_E_NS1_11comp_targetILNS1_3genE8ELNS1_11target_archE1030ELNS1_3gpuE2ELNS1_3repE0EEENS1_30default_config_static_selectorELNS0_4arch9wavefront6targetE1EEEvT1_
                                        ; -- End function
	.section	.AMDGPU.csdata,"",@progbits
; Kernel info:
; codeLenInByte = 0
; NumSgprs: 6
; NumVgprs: 0
; NumAgprs: 0
; TotalNumVgprs: 0
; ScratchSize: 0
; MemoryBound: 0
; FloatMode: 240
; IeeeMode: 1
; LDSByteSize: 0 bytes/workgroup (compile time only)
; SGPRBlocks: 0
; VGPRBlocks: 0
; NumSGPRsForWavesPerEU: 6
; NumVGPRsForWavesPerEU: 1
; AccumOffset: 4
; Occupancy: 8
; WaveLimiterHint : 0
; COMPUTE_PGM_RSRC2:SCRATCH_EN: 0
; COMPUTE_PGM_RSRC2:USER_SGPR: 2
; COMPUTE_PGM_RSRC2:TRAP_HANDLER: 0
; COMPUTE_PGM_RSRC2:TGID_X_EN: 1
; COMPUTE_PGM_RSRC2:TGID_Y_EN: 0
; COMPUTE_PGM_RSRC2:TGID_Z_EN: 0
; COMPUTE_PGM_RSRC2:TIDIG_COMP_CNT: 0
; COMPUTE_PGM_RSRC3_GFX90A:ACCUM_OFFSET: 0
; COMPUTE_PGM_RSRC3_GFX90A:TG_SPLIT: 0
	.section	.text._ZN7rocprim17ROCPRIM_400000_NS6detail30init_device_scan_by_key_kernelINS1_19lookback_scan_stateINS0_5tupleIJjbEEELb1ELb1EEEN6thrust23THRUST_200600_302600_NS6detail15normal_iteratorINS8_10device_ptrIiEEEEjNS1_16block_id_wrapperIjLb0EEEEEvT_jjPNSG_10value_typeET0_PNSt15iterator_traitsISJ_E10value_typeEmT1_T2_,"axG",@progbits,_ZN7rocprim17ROCPRIM_400000_NS6detail30init_device_scan_by_key_kernelINS1_19lookback_scan_stateINS0_5tupleIJjbEEELb1ELb1EEEN6thrust23THRUST_200600_302600_NS6detail15normal_iteratorINS8_10device_ptrIiEEEEjNS1_16block_id_wrapperIjLb0EEEEEvT_jjPNSG_10value_typeET0_PNSt15iterator_traitsISJ_E10value_typeEmT1_T2_,comdat
	.protected	_ZN7rocprim17ROCPRIM_400000_NS6detail30init_device_scan_by_key_kernelINS1_19lookback_scan_stateINS0_5tupleIJjbEEELb1ELb1EEEN6thrust23THRUST_200600_302600_NS6detail15normal_iteratorINS8_10device_ptrIiEEEEjNS1_16block_id_wrapperIjLb0EEEEEvT_jjPNSG_10value_typeET0_PNSt15iterator_traitsISJ_E10value_typeEmT1_T2_ ; -- Begin function _ZN7rocprim17ROCPRIM_400000_NS6detail30init_device_scan_by_key_kernelINS1_19lookback_scan_stateINS0_5tupleIJjbEEELb1ELb1EEEN6thrust23THRUST_200600_302600_NS6detail15normal_iteratorINS8_10device_ptrIiEEEEjNS1_16block_id_wrapperIjLb0EEEEEvT_jjPNSG_10value_typeET0_PNSt15iterator_traitsISJ_E10value_typeEmT1_T2_
	.globl	_ZN7rocprim17ROCPRIM_400000_NS6detail30init_device_scan_by_key_kernelINS1_19lookback_scan_stateINS0_5tupleIJjbEEELb1ELb1EEEN6thrust23THRUST_200600_302600_NS6detail15normal_iteratorINS8_10device_ptrIiEEEEjNS1_16block_id_wrapperIjLb0EEEEEvT_jjPNSG_10value_typeET0_PNSt15iterator_traitsISJ_E10value_typeEmT1_T2_
	.p2align	8
	.type	_ZN7rocprim17ROCPRIM_400000_NS6detail30init_device_scan_by_key_kernelINS1_19lookback_scan_stateINS0_5tupleIJjbEEELb1ELb1EEEN6thrust23THRUST_200600_302600_NS6detail15normal_iteratorINS8_10device_ptrIiEEEEjNS1_16block_id_wrapperIjLb0EEEEEvT_jjPNSG_10value_typeET0_PNSt15iterator_traitsISJ_E10value_typeEmT1_T2_,@function
_ZN7rocprim17ROCPRIM_400000_NS6detail30init_device_scan_by_key_kernelINS1_19lookback_scan_stateINS0_5tupleIJjbEEELb1ELb1EEEN6thrust23THRUST_200600_302600_NS6detail15normal_iteratorINS8_10device_ptrIiEEEEjNS1_16block_id_wrapperIjLb0EEEEEvT_jjPNSG_10value_typeET0_PNSt15iterator_traitsISJ_E10value_typeEmT1_T2_: ; @_ZN7rocprim17ROCPRIM_400000_NS6detail30init_device_scan_by_key_kernelINS1_19lookback_scan_stateINS0_5tupleIJjbEEELb1ELb1EEEN6thrust23THRUST_200600_302600_NS6detail15normal_iteratorINS8_10device_ptrIiEEEEjNS1_16block_id_wrapperIjLb0EEEEEvT_jjPNSG_10value_typeET0_PNSt15iterator_traitsISJ_E10value_typeEmT1_T2_
; %bb.0:
	s_load_dword s3, s[0:1], 0x44
	s_load_dwordx8 s[4:11], s[0:1], 0x0
	s_load_dword s18, s[0:1], 0x38
	s_waitcnt lgkmcnt(0)
	s_and_b32 s19, s3, 0xffff
	s_mul_i32 s2, s2, s19
	s_cmp_eq_u64 s[8:9], 0
	v_add_u32_e32 v4, s2, v0
	s_cbranch_scc1 .LBB1241_10
; %bb.1:
	s_cmp_lt_u32 s7, s6
	s_cselect_b32 s2, s7, 0
	s_mov_b32 s13, 0
	v_cmp_eq_u32_e32 vcc, s2, v4
	s_and_saveexec_b64 s[2:3], vcc
	s_cbranch_execz .LBB1241_9
; %bb.2:
	s_add_i32 s12, s7, 64
	s_lshl_b64 s[12:13], s[12:13], 4
	s_add_u32 s16, s4, s12
	s_addc_u32 s17, s5, s13
	v_mov_b64_e32 v[0:1], s[16:17]
	;;#ASMSTART
	global_load_dwordx4 v[0:3], v[0:1] off sc1	
s_waitcnt vmcnt(0)
	;;#ASMEND
	v_mov_b32_e32 v7, 0
	v_and_b32_e32 v6, 0xff, v2
	s_mov_b64 s[14:15], 0
	v_cmp_eq_u64_e32 vcc, 0, v[6:7]
	s_and_saveexec_b64 s[12:13], vcc
	s_cbranch_execz .LBB1241_8
; %bb.3:
	s_mov_b32 s7, 1
	v_mov_b64_e32 v[8:9], s[16:17]
.LBB1241_4:                             ; =>This Loop Header: Depth=1
                                        ;     Child Loop BB1241_5 Depth 2
	s_max_u32 s16, s7, 1
.LBB1241_5:                             ;   Parent Loop BB1241_4 Depth=1
                                        ; =>  This Inner Loop Header: Depth=2
	s_add_i32 s16, s16, -1
	s_cmp_eq_u32 s16, 0
	s_sleep 1
	s_cbranch_scc0 .LBB1241_5
; %bb.6:                                ;   in Loop: Header=BB1241_4 Depth=1
	s_cmp_lt_u32 s7, 32
	s_cselect_b64 s[16:17], -1, 0
	s_cmp_lg_u64 s[16:17], 0
	;;#ASMSTART
	global_load_dwordx4 v[0:3], v[8:9] off sc1	
s_waitcnt vmcnt(0)
	;;#ASMEND
	s_addc_u32 s7, s7, 0
	v_and_b32_e32 v6, 0xff, v2
	v_cmp_ne_u64_e32 vcc, 0, v[6:7]
	s_or_b64 s[14:15], vcc, s[14:15]
	s_andn2_b64 exec, exec, s[14:15]
	s_cbranch_execnz .LBB1241_4
; %bb.7:
	s_or_b64 exec, exec, s[14:15]
.LBB1241_8:
	s_or_b64 exec, exec, s[12:13]
	v_mov_b32_e32 v2, 0
	global_store_dword v2, v0, s[8:9]
	global_store_byte v2, v1, s[8:9] offset:4
.LBB1241_9:
	s_or_b64 exec, exec, s[2:3]
.LBB1241_10:
	v_cmp_gt_u32_e32 vcc, s6, v4
	s_and_saveexec_b64 s[2:3], vcc
	s_cbranch_execz .LBB1241_12
; %bb.11:
	v_add_u32_e32 v0, 64, v4
	v_mov_b32_e32 v1, 0
	v_lshl_add_u64 v[6:7], v[0:1], 4, s[4:5]
	v_mov_b32_e32 v0, v1
	v_mov_b32_e32 v2, v1
	;; [unrolled: 1-line block ×3, first 2 shown]
	global_store_dwordx4 v[6:7], v[0:3], off
.LBB1241_12:
	s_or_b64 exec, exec, s[2:3]
	v_cmp_gt_u32_e32 vcc, 64, v4
	v_mov_b32_e32 v5, 0
	s_and_saveexec_b64 s[2:3], vcc
	s_cbranch_execz .LBB1241_14
; %bb.13:
	v_lshl_add_u64 v[6:7], v[4:5], 4, s[4:5]
	v_mov_b32_e32 v2, 0xff
	v_mov_b32_e32 v0, v5
	;; [unrolled: 1-line block ×4, first 2 shown]
	global_store_dwordx4 v[6:7], v[0:3], off
.LBB1241_14:
	s_or_b64 exec, exec, s[2:3]
	s_load_dwordx2 s[2:3], s[0:1], 0x28
	s_waitcnt lgkmcnt(0)
	v_cmp_gt_u64_e32 vcc, s[2:3], v[4:5]
	s_and_saveexec_b64 s[4:5], vcc
	s_cbranch_execz .LBB1241_17
; %bb.15:
	s_load_dword s12, s[0:1], 0x30
	s_load_dwordx2 s[6:7], s[0:1], 0x20
	s_mov_b32 s5, 0
	s_mov_b32 s1, s5
	s_mul_i32 s0, s18, s19
	s_waitcnt lgkmcnt(0)
	s_add_i32 s4, s12, -1
	s_lshl_b64 s[4:5], s[4:5], 2
	s_add_u32 s4, s10, s4
	v_mad_u64_u32 v[0:1], s[8:9], s12, v4, 0
	s_addc_u32 s5, s11, s5
	v_lshl_add_u64 v[0:1], v[0:1], 2, s[4:5]
	s_mul_hi_u32 s5, s12, s0
	s_mul_i32 s4, s12, s0
	s_lshl_b64 s[4:5], s[4:5], 2
	v_lshl_add_u64 v[2:3], v[4:5], 2, s[6:7]
	s_lshl_b64 s[6:7], s[0:1], 2
	s_mov_b64 s[8:9], 0
.LBB1241_16:                            ; =>This Inner Loop Header: Depth=1
	global_load_dword v6, v[0:1], off
	v_lshl_add_u64 v[4:5], v[4:5], 0, s[0:1]
	v_cmp_le_u64_e32 vcc, s[2:3], v[4:5]
	v_lshl_add_u64 v[0:1], v[0:1], 0, s[4:5]
	s_or_b64 s[8:9], vcc, s[8:9]
	s_waitcnt vmcnt(0)
	global_store_dword v[2:3], v6, off
	v_lshl_add_u64 v[2:3], v[2:3], 0, s[6:7]
	s_andn2_b64 exec, exec, s[8:9]
	s_cbranch_execnz .LBB1241_16
.LBB1241_17:
	s_endpgm
	.section	.rodata,"a",@progbits
	.p2align	6, 0x0
	.amdhsa_kernel _ZN7rocprim17ROCPRIM_400000_NS6detail30init_device_scan_by_key_kernelINS1_19lookback_scan_stateINS0_5tupleIJjbEEELb1ELb1EEEN6thrust23THRUST_200600_302600_NS6detail15normal_iteratorINS8_10device_ptrIiEEEEjNS1_16block_id_wrapperIjLb0EEEEEvT_jjPNSG_10value_typeET0_PNSt15iterator_traitsISJ_E10value_typeEmT1_T2_
		.amdhsa_group_segment_fixed_size 0
		.amdhsa_private_segment_fixed_size 0
		.amdhsa_kernarg_size 312
		.amdhsa_user_sgpr_count 2
		.amdhsa_user_sgpr_dispatch_ptr 0
		.amdhsa_user_sgpr_queue_ptr 0
		.amdhsa_user_sgpr_kernarg_segment_ptr 1
		.amdhsa_user_sgpr_dispatch_id 0
		.amdhsa_user_sgpr_kernarg_preload_length 0
		.amdhsa_user_sgpr_kernarg_preload_offset 0
		.amdhsa_user_sgpr_private_segment_size 0
		.amdhsa_uses_dynamic_stack 0
		.amdhsa_enable_private_segment 0
		.amdhsa_system_sgpr_workgroup_id_x 1
		.amdhsa_system_sgpr_workgroup_id_y 0
		.amdhsa_system_sgpr_workgroup_id_z 0
		.amdhsa_system_sgpr_workgroup_info 0
		.amdhsa_system_vgpr_workitem_id 0
		.amdhsa_next_free_vgpr 10
		.amdhsa_next_free_sgpr 20
		.amdhsa_accum_offset 12
		.amdhsa_reserve_vcc 1
		.amdhsa_float_round_mode_32 0
		.amdhsa_float_round_mode_16_64 0
		.amdhsa_float_denorm_mode_32 3
		.amdhsa_float_denorm_mode_16_64 3
		.amdhsa_dx10_clamp 1
		.amdhsa_ieee_mode 1
		.amdhsa_fp16_overflow 0
		.amdhsa_tg_split 0
		.amdhsa_exception_fp_ieee_invalid_op 0
		.amdhsa_exception_fp_denorm_src 0
		.amdhsa_exception_fp_ieee_div_zero 0
		.amdhsa_exception_fp_ieee_overflow 0
		.amdhsa_exception_fp_ieee_underflow 0
		.amdhsa_exception_fp_ieee_inexact 0
		.amdhsa_exception_int_div_zero 0
	.end_amdhsa_kernel
	.section	.text._ZN7rocprim17ROCPRIM_400000_NS6detail30init_device_scan_by_key_kernelINS1_19lookback_scan_stateINS0_5tupleIJjbEEELb1ELb1EEEN6thrust23THRUST_200600_302600_NS6detail15normal_iteratorINS8_10device_ptrIiEEEEjNS1_16block_id_wrapperIjLb0EEEEEvT_jjPNSG_10value_typeET0_PNSt15iterator_traitsISJ_E10value_typeEmT1_T2_,"axG",@progbits,_ZN7rocprim17ROCPRIM_400000_NS6detail30init_device_scan_by_key_kernelINS1_19lookback_scan_stateINS0_5tupleIJjbEEELb1ELb1EEEN6thrust23THRUST_200600_302600_NS6detail15normal_iteratorINS8_10device_ptrIiEEEEjNS1_16block_id_wrapperIjLb0EEEEEvT_jjPNSG_10value_typeET0_PNSt15iterator_traitsISJ_E10value_typeEmT1_T2_,comdat
.Lfunc_end1241:
	.size	_ZN7rocprim17ROCPRIM_400000_NS6detail30init_device_scan_by_key_kernelINS1_19lookback_scan_stateINS0_5tupleIJjbEEELb1ELb1EEEN6thrust23THRUST_200600_302600_NS6detail15normal_iteratorINS8_10device_ptrIiEEEEjNS1_16block_id_wrapperIjLb0EEEEEvT_jjPNSG_10value_typeET0_PNSt15iterator_traitsISJ_E10value_typeEmT1_T2_, .Lfunc_end1241-_ZN7rocprim17ROCPRIM_400000_NS6detail30init_device_scan_by_key_kernelINS1_19lookback_scan_stateINS0_5tupleIJjbEEELb1ELb1EEEN6thrust23THRUST_200600_302600_NS6detail15normal_iteratorINS8_10device_ptrIiEEEEjNS1_16block_id_wrapperIjLb0EEEEEvT_jjPNSG_10value_typeET0_PNSt15iterator_traitsISJ_E10value_typeEmT1_T2_
                                        ; -- End function
	.section	.AMDGPU.csdata,"",@progbits
; Kernel info:
; codeLenInByte = 544
; NumSgprs: 26
; NumVgprs: 10
; NumAgprs: 0
; TotalNumVgprs: 10
; ScratchSize: 0
; MemoryBound: 0
; FloatMode: 240
; IeeeMode: 1
; LDSByteSize: 0 bytes/workgroup (compile time only)
; SGPRBlocks: 3
; VGPRBlocks: 1
; NumSGPRsForWavesPerEU: 26
; NumVGPRsForWavesPerEU: 10
; AccumOffset: 12
; Occupancy: 8
; WaveLimiterHint : 0
; COMPUTE_PGM_RSRC2:SCRATCH_EN: 0
; COMPUTE_PGM_RSRC2:USER_SGPR: 2
; COMPUTE_PGM_RSRC2:TRAP_HANDLER: 0
; COMPUTE_PGM_RSRC2:TGID_X_EN: 1
; COMPUTE_PGM_RSRC2:TGID_Y_EN: 0
; COMPUTE_PGM_RSRC2:TGID_Z_EN: 0
; COMPUTE_PGM_RSRC2:TIDIG_COMP_CNT: 0
; COMPUTE_PGM_RSRC3_GFX90A:ACCUM_OFFSET: 2
; COMPUTE_PGM_RSRC3_GFX90A:TG_SPLIT: 0
	.section	.text._ZN7rocprim17ROCPRIM_400000_NS6detail30init_device_scan_by_key_kernelINS1_19lookback_scan_stateINS0_5tupleIJjbEEELb1ELb1EEENS1_16block_id_wrapperIjLb0EEEEEvT_jjPNS9_10value_typeET0_,"axG",@progbits,_ZN7rocprim17ROCPRIM_400000_NS6detail30init_device_scan_by_key_kernelINS1_19lookback_scan_stateINS0_5tupleIJjbEEELb1ELb1EEENS1_16block_id_wrapperIjLb0EEEEEvT_jjPNS9_10value_typeET0_,comdat
	.protected	_ZN7rocprim17ROCPRIM_400000_NS6detail30init_device_scan_by_key_kernelINS1_19lookback_scan_stateINS0_5tupleIJjbEEELb1ELb1EEENS1_16block_id_wrapperIjLb0EEEEEvT_jjPNS9_10value_typeET0_ ; -- Begin function _ZN7rocprim17ROCPRIM_400000_NS6detail30init_device_scan_by_key_kernelINS1_19lookback_scan_stateINS0_5tupleIJjbEEELb1ELb1EEENS1_16block_id_wrapperIjLb0EEEEEvT_jjPNS9_10value_typeET0_
	.globl	_ZN7rocprim17ROCPRIM_400000_NS6detail30init_device_scan_by_key_kernelINS1_19lookback_scan_stateINS0_5tupleIJjbEEELb1ELb1EEENS1_16block_id_wrapperIjLb0EEEEEvT_jjPNS9_10value_typeET0_
	.p2align	8
	.type	_ZN7rocprim17ROCPRIM_400000_NS6detail30init_device_scan_by_key_kernelINS1_19lookback_scan_stateINS0_5tupleIJjbEEELb1ELb1EEENS1_16block_id_wrapperIjLb0EEEEEvT_jjPNS9_10value_typeET0_,@function
_ZN7rocprim17ROCPRIM_400000_NS6detail30init_device_scan_by_key_kernelINS1_19lookback_scan_stateINS0_5tupleIJjbEEELb1ELb1EEENS1_16block_id_wrapperIjLb0EEEEEvT_jjPNS9_10value_typeET0_: ; @_ZN7rocprim17ROCPRIM_400000_NS6detail30init_device_scan_by_key_kernelINS1_19lookback_scan_stateINS0_5tupleIJjbEEELb1ELb1EEENS1_16block_id_wrapperIjLb0EEEEEvT_jjPNS9_10value_typeET0_
; %bb.0:
	s_load_dword s3, s[0:1], 0x2c
	s_load_dwordx2 s[8:9], s[0:1], 0x10
	s_load_dwordx4 s[4:7], s[0:1], 0x0
	s_waitcnt lgkmcnt(0)
	s_and_b32 s0, s3, 0xffff
	s_mul_i32 s2, s2, s0
	s_cmp_eq_u64 s[8:9], 0
	v_add_u32_e32 v0, s2, v0
	s_cbranch_scc1 .LBB1242_10
; %bb.1:
	s_cmp_lt_u32 s7, s6
	s_cselect_b32 s0, s7, 0
	s_mov_b32 s3, 0
	v_cmp_eq_u32_e32 vcc, s0, v0
	s_and_saveexec_b64 s[0:1], vcc
	s_cbranch_execz .LBB1242_9
; %bb.2:
	s_add_i32 s2, s7, 64
	s_lshl_b64 s[2:3], s[2:3], 4
	s_add_u32 s12, s4, s2
	s_addc_u32 s13, s5, s3
	v_mov_b64_e32 v[2:3], s[12:13]
	;;#ASMSTART
	global_load_dwordx4 v[2:5], v[2:3] off sc1	
s_waitcnt vmcnt(0)
	;;#ASMEND
	v_mov_b32_e32 v7, 0
	v_and_b32_e32 v6, 0xff, v4
	s_mov_b64 s[10:11], 0
	v_cmp_eq_u64_e32 vcc, 0, v[6:7]
	s_and_saveexec_b64 s[2:3], vcc
	s_cbranch_execz .LBB1242_8
; %bb.3:
	s_mov_b32 s7, 1
	v_mov_b64_e32 v[8:9], s[12:13]
.LBB1242_4:                             ; =>This Loop Header: Depth=1
                                        ;     Child Loop BB1242_5 Depth 2
	s_max_u32 s12, s7, 1
.LBB1242_5:                             ;   Parent Loop BB1242_4 Depth=1
                                        ; =>  This Inner Loop Header: Depth=2
	s_add_i32 s12, s12, -1
	s_cmp_eq_u32 s12, 0
	s_sleep 1
	s_cbranch_scc0 .LBB1242_5
; %bb.6:                                ;   in Loop: Header=BB1242_4 Depth=1
	s_cmp_lt_u32 s7, 32
	s_cselect_b64 s[12:13], -1, 0
	s_cmp_lg_u64 s[12:13], 0
	;;#ASMSTART
	global_load_dwordx4 v[2:5], v[8:9] off sc1	
s_waitcnt vmcnt(0)
	;;#ASMEND
	s_addc_u32 s7, s7, 0
	v_and_b32_e32 v6, 0xff, v4
	v_cmp_ne_u64_e32 vcc, 0, v[6:7]
	s_or_b64 s[10:11], vcc, s[10:11]
	s_andn2_b64 exec, exec, s[10:11]
	s_cbranch_execnz .LBB1242_4
; %bb.7:
	s_or_b64 exec, exec, s[10:11]
.LBB1242_8:
	s_or_b64 exec, exec, s[2:3]
	v_mov_b32_e32 v1, 0
	global_store_dword v1, v2, s[8:9]
	global_store_byte v1, v3, s[8:9] offset:4
.LBB1242_9:
	s_or_b64 exec, exec, s[0:1]
.LBB1242_10:
	v_cmp_gt_u32_e32 vcc, s6, v0
	s_and_saveexec_b64 s[0:1], vcc
	s_cbranch_execnz .LBB1242_13
; %bb.11:
	s_or_b64 exec, exec, s[0:1]
	v_cmp_gt_u32_e32 vcc, 64, v0
	s_and_saveexec_b64 s[0:1], vcc
	s_cbranch_execnz .LBB1242_14
.LBB1242_12:
	s_endpgm
.LBB1242_13:
	v_add_u32_e32 v2, 64, v0
	v_mov_b32_e32 v3, 0
	v_lshl_add_u64 v[6:7], v[2:3], 4, s[4:5]
	v_mov_b32_e32 v2, v3
	v_mov_b32_e32 v4, v3
	;; [unrolled: 1-line block ×3, first 2 shown]
	global_store_dwordx4 v[6:7], v[2:5], off
	s_or_b64 exec, exec, s[0:1]
	v_cmp_gt_u32_e32 vcc, 64, v0
	s_and_saveexec_b64 s[0:1], vcc
	s_cbranch_execz .LBB1242_12
.LBB1242_14:
	v_mov_b32_e32 v1, 0
	v_lshl_add_u64 v[4:5], v[0:1], 4, s[4:5]
	v_mov_b32_e32 v2, 0xff
	v_mov_b32_e32 v0, v1
	;; [unrolled: 1-line block ×3, first 2 shown]
	global_store_dwordx4 v[4:5], v[0:3], off
	s_endpgm
	.section	.rodata,"a",@progbits
	.p2align	6, 0x0
	.amdhsa_kernel _ZN7rocprim17ROCPRIM_400000_NS6detail30init_device_scan_by_key_kernelINS1_19lookback_scan_stateINS0_5tupleIJjbEEELb1ELb1EEENS1_16block_id_wrapperIjLb0EEEEEvT_jjPNS9_10value_typeET0_
		.amdhsa_group_segment_fixed_size 0
		.amdhsa_private_segment_fixed_size 0
		.amdhsa_kernarg_size 288
		.amdhsa_user_sgpr_count 2
		.amdhsa_user_sgpr_dispatch_ptr 0
		.amdhsa_user_sgpr_queue_ptr 0
		.amdhsa_user_sgpr_kernarg_segment_ptr 1
		.amdhsa_user_sgpr_dispatch_id 0
		.amdhsa_user_sgpr_kernarg_preload_length 0
		.amdhsa_user_sgpr_kernarg_preload_offset 0
		.amdhsa_user_sgpr_private_segment_size 0
		.amdhsa_uses_dynamic_stack 0
		.amdhsa_enable_private_segment 0
		.amdhsa_system_sgpr_workgroup_id_x 1
		.amdhsa_system_sgpr_workgroup_id_y 0
		.amdhsa_system_sgpr_workgroup_id_z 0
		.amdhsa_system_sgpr_workgroup_info 0
		.amdhsa_system_vgpr_workitem_id 0
		.amdhsa_next_free_vgpr 10
		.amdhsa_next_free_sgpr 14
		.amdhsa_accum_offset 12
		.amdhsa_reserve_vcc 1
		.amdhsa_float_round_mode_32 0
		.amdhsa_float_round_mode_16_64 0
		.amdhsa_float_denorm_mode_32 3
		.amdhsa_float_denorm_mode_16_64 3
		.amdhsa_dx10_clamp 1
		.amdhsa_ieee_mode 1
		.amdhsa_fp16_overflow 0
		.amdhsa_tg_split 0
		.amdhsa_exception_fp_ieee_invalid_op 0
		.amdhsa_exception_fp_denorm_src 0
		.amdhsa_exception_fp_ieee_div_zero 0
		.amdhsa_exception_fp_ieee_overflow 0
		.amdhsa_exception_fp_ieee_underflow 0
		.amdhsa_exception_fp_ieee_inexact 0
		.amdhsa_exception_int_div_zero 0
	.end_amdhsa_kernel
	.section	.text._ZN7rocprim17ROCPRIM_400000_NS6detail30init_device_scan_by_key_kernelINS1_19lookback_scan_stateINS0_5tupleIJjbEEELb1ELb1EEENS1_16block_id_wrapperIjLb0EEEEEvT_jjPNS9_10value_typeET0_,"axG",@progbits,_ZN7rocprim17ROCPRIM_400000_NS6detail30init_device_scan_by_key_kernelINS1_19lookback_scan_stateINS0_5tupleIJjbEEELb1ELb1EEENS1_16block_id_wrapperIjLb0EEEEEvT_jjPNS9_10value_typeET0_,comdat
.Lfunc_end1242:
	.size	_ZN7rocprim17ROCPRIM_400000_NS6detail30init_device_scan_by_key_kernelINS1_19lookback_scan_stateINS0_5tupleIJjbEEELb1ELb1EEENS1_16block_id_wrapperIjLb0EEEEEvT_jjPNS9_10value_typeET0_, .Lfunc_end1242-_ZN7rocprim17ROCPRIM_400000_NS6detail30init_device_scan_by_key_kernelINS1_19lookback_scan_stateINS0_5tupleIJjbEEELb1ELb1EEENS1_16block_id_wrapperIjLb0EEEEEvT_jjPNS9_10value_typeET0_
                                        ; -- End function
	.section	.AMDGPU.csdata,"",@progbits
; Kernel info:
; codeLenInByte = 380
; NumSgprs: 20
; NumVgprs: 10
; NumAgprs: 0
; TotalNumVgprs: 10
; ScratchSize: 0
; MemoryBound: 0
; FloatMode: 240
; IeeeMode: 1
; LDSByteSize: 0 bytes/workgroup (compile time only)
; SGPRBlocks: 2
; VGPRBlocks: 1
; NumSGPRsForWavesPerEU: 20
; NumVGPRsForWavesPerEU: 10
; AccumOffset: 12
; Occupancy: 8
; WaveLimiterHint : 0
; COMPUTE_PGM_RSRC2:SCRATCH_EN: 0
; COMPUTE_PGM_RSRC2:USER_SGPR: 2
; COMPUTE_PGM_RSRC2:TRAP_HANDLER: 0
; COMPUTE_PGM_RSRC2:TGID_X_EN: 1
; COMPUTE_PGM_RSRC2:TGID_Y_EN: 0
; COMPUTE_PGM_RSRC2:TGID_Z_EN: 0
; COMPUTE_PGM_RSRC2:TIDIG_COMP_CNT: 0
; COMPUTE_PGM_RSRC3_GFX90A:ACCUM_OFFSET: 2
; COMPUTE_PGM_RSRC3_GFX90A:TG_SPLIT: 0
	.section	.text._ZN7rocprim17ROCPRIM_400000_NS6detail17trampoline_kernelINS0_14default_configENS1_27scan_by_key_config_selectorIijEEZZNS1_16scan_by_key_implILNS1_25lookback_scan_determinismE0ELb0ES3_N6thrust23THRUST_200600_302600_NS6detail15normal_iteratorINS9_10device_ptrIiEEEENSB_INSC_IjEEEESG_jNS9_4plusIvEENS9_8equal_toIvEEjEE10hipError_tPvRmT2_T3_T4_T5_mT6_T7_P12ihipStream_tbENKUlT_T0_E_clISt17integral_constantIbLb1EES10_IbLb0EEEEDaSW_SX_EUlSW_E_NS1_11comp_targetILNS1_3genE0ELNS1_11target_archE4294967295ELNS1_3gpuE0ELNS1_3repE0EEENS1_30default_config_static_selectorELNS0_4arch9wavefront6targetE1EEEvT1_,"axG",@progbits,_ZN7rocprim17ROCPRIM_400000_NS6detail17trampoline_kernelINS0_14default_configENS1_27scan_by_key_config_selectorIijEEZZNS1_16scan_by_key_implILNS1_25lookback_scan_determinismE0ELb0ES3_N6thrust23THRUST_200600_302600_NS6detail15normal_iteratorINS9_10device_ptrIiEEEENSB_INSC_IjEEEESG_jNS9_4plusIvEENS9_8equal_toIvEEjEE10hipError_tPvRmT2_T3_T4_T5_mT6_T7_P12ihipStream_tbENKUlT_T0_E_clISt17integral_constantIbLb1EES10_IbLb0EEEEDaSW_SX_EUlSW_E_NS1_11comp_targetILNS1_3genE0ELNS1_11target_archE4294967295ELNS1_3gpuE0ELNS1_3repE0EEENS1_30default_config_static_selectorELNS0_4arch9wavefront6targetE1EEEvT1_,comdat
	.protected	_ZN7rocprim17ROCPRIM_400000_NS6detail17trampoline_kernelINS0_14default_configENS1_27scan_by_key_config_selectorIijEEZZNS1_16scan_by_key_implILNS1_25lookback_scan_determinismE0ELb0ES3_N6thrust23THRUST_200600_302600_NS6detail15normal_iteratorINS9_10device_ptrIiEEEENSB_INSC_IjEEEESG_jNS9_4plusIvEENS9_8equal_toIvEEjEE10hipError_tPvRmT2_T3_T4_T5_mT6_T7_P12ihipStream_tbENKUlT_T0_E_clISt17integral_constantIbLb1EES10_IbLb0EEEEDaSW_SX_EUlSW_E_NS1_11comp_targetILNS1_3genE0ELNS1_11target_archE4294967295ELNS1_3gpuE0ELNS1_3repE0EEENS1_30default_config_static_selectorELNS0_4arch9wavefront6targetE1EEEvT1_ ; -- Begin function _ZN7rocprim17ROCPRIM_400000_NS6detail17trampoline_kernelINS0_14default_configENS1_27scan_by_key_config_selectorIijEEZZNS1_16scan_by_key_implILNS1_25lookback_scan_determinismE0ELb0ES3_N6thrust23THRUST_200600_302600_NS6detail15normal_iteratorINS9_10device_ptrIiEEEENSB_INSC_IjEEEESG_jNS9_4plusIvEENS9_8equal_toIvEEjEE10hipError_tPvRmT2_T3_T4_T5_mT6_T7_P12ihipStream_tbENKUlT_T0_E_clISt17integral_constantIbLb1EES10_IbLb0EEEEDaSW_SX_EUlSW_E_NS1_11comp_targetILNS1_3genE0ELNS1_11target_archE4294967295ELNS1_3gpuE0ELNS1_3repE0EEENS1_30default_config_static_selectorELNS0_4arch9wavefront6targetE1EEEvT1_
	.globl	_ZN7rocprim17ROCPRIM_400000_NS6detail17trampoline_kernelINS0_14default_configENS1_27scan_by_key_config_selectorIijEEZZNS1_16scan_by_key_implILNS1_25lookback_scan_determinismE0ELb0ES3_N6thrust23THRUST_200600_302600_NS6detail15normal_iteratorINS9_10device_ptrIiEEEENSB_INSC_IjEEEESG_jNS9_4plusIvEENS9_8equal_toIvEEjEE10hipError_tPvRmT2_T3_T4_T5_mT6_T7_P12ihipStream_tbENKUlT_T0_E_clISt17integral_constantIbLb1EES10_IbLb0EEEEDaSW_SX_EUlSW_E_NS1_11comp_targetILNS1_3genE0ELNS1_11target_archE4294967295ELNS1_3gpuE0ELNS1_3repE0EEENS1_30default_config_static_selectorELNS0_4arch9wavefront6targetE1EEEvT1_
	.p2align	8
	.type	_ZN7rocprim17ROCPRIM_400000_NS6detail17trampoline_kernelINS0_14default_configENS1_27scan_by_key_config_selectorIijEEZZNS1_16scan_by_key_implILNS1_25lookback_scan_determinismE0ELb0ES3_N6thrust23THRUST_200600_302600_NS6detail15normal_iteratorINS9_10device_ptrIiEEEENSB_INSC_IjEEEESG_jNS9_4plusIvEENS9_8equal_toIvEEjEE10hipError_tPvRmT2_T3_T4_T5_mT6_T7_P12ihipStream_tbENKUlT_T0_E_clISt17integral_constantIbLb1EES10_IbLb0EEEEDaSW_SX_EUlSW_E_NS1_11comp_targetILNS1_3genE0ELNS1_11target_archE4294967295ELNS1_3gpuE0ELNS1_3repE0EEENS1_30default_config_static_selectorELNS0_4arch9wavefront6targetE1EEEvT1_,@function
_ZN7rocprim17ROCPRIM_400000_NS6detail17trampoline_kernelINS0_14default_configENS1_27scan_by_key_config_selectorIijEEZZNS1_16scan_by_key_implILNS1_25lookback_scan_determinismE0ELb0ES3_N6thrust23THRUST_200600_302600_NS6detail15normal_iteratorINS9_10device_ptrIiEEEENSB_INSC_IjEEEESG_jNS9_4plusIvEENS9_8equal_toIvEEjEE10hipError_tPvRmT2_T3_T4_T5_mT6_T7_P12ihipStream_tbENKUlT_T0_E_clISt17integral_constantIbLb1EES10_IbLb0EEEEDaSW_SX_EUlSW_E_NS1_11comp_targetILNS1_3genE0ELNS1_11target_archE4294967295ELNS1_3gpuE0ELNS1_3repE0EEENS1_30default_config_static_selectorELNS0_4arch9wavefront6targetE1EEEvT1_: ; @_ZN7rocprim17ROCPRIM_400000_NS6detail17trampoline_kernelINS0_14default_configENS1_27scan_by_key_config_selectorIijEEZZNS1_16scan_by_key_implILNS1_25lookback_scan_determinismE0ELb0ES3_N6thrust23THRUST_200600_302600_NS6detail15normal_iteratorINS9_10device_ptrIiEEEENSB_INSC_IjEEEESG_jNS9_4plusIvEENS9_8equal_toIvEEjEE10hipError_tPvRmT2_T3_T4_T5_mT6_T7_P12ihipStream_tbENKUlT_T0_E_clISt17integral_constantIbLb1EES10_IbLb0EEEEDaSW_SX_EUlSW_E_NS1_11comp_targetILNS1_3genE0ELNS1_11target_archE4294967295ELNS1_3gpuE0ELNS1_3repE0EEENS1_30default_config_static_selectorELNS0_4arch9wavefront6targetE1EEEvT1_
; %bb.0:
	.section	.rodata,"a",@progbits
	.p2align	6, 0x0
	.amdhsa_kernel _ZN7rocprim17ROCPRIM_400000_NS6detail17trampoline_kernelINS0_14default_configENS1_27scan_by_key_config_selectorIijEEZZNS1_16scan_by_key_implILNS1_25lookback_scan_determinismE0ELb0ES3_N6thrust23THRUST_200600_302600_NS6detail15normal_iteratorINS9_10device_ptrIiEEEENSB_INSC_IjEEEESG_jNS9_4plusIvEENS9_8equal_toIvEEjEE10hipError_tPvRmT2_T3_T4_T5_mT6_T7_P12ihipStream_tbENKUlT_T0_E_clISt17integral_constantIbLb1EES10_IbLb0EEEEDaSW_SX_EUlSW_E_NS1_11comp_targetILNS1_3genE0ELNS1_11target_archE4294967295ELNS1_3gpuE0ELNS1_3repE0EEENS1_30default_config_static_selectorELNS0_4arch9wavefront6targetE1EEEvT1_
		.amdhsa_group_segment_fixed_size 0
		.amdhsa_private_segment_fixed_size 0
		.amdhsa_kernarg_size 112
		.amdhsa_user_sgpr_count 2
		.amdhsa_user_sgpr_dispatch_ptr 0
		.amdhsa_user_sgpr_queue_ptr 0
		.amdhsa_user_sgpr_kernarg_segment_ptr 1
		.amdhsa_user_sgpr_dispatch_id 0
		.amdhsa_user_sgpr_kernarg_preload_length 0
		.amdhsa_user_sgpr_kernarg_preload_offset 0
		.amdhsa_user_sgpr_private_segment_size 0
		.amdhsa_uses_dynamic_stack 0
		.amdhsa_enable_private_segment 0
		.amdhsa_system_sgpr_workgroup_id_x 1
		.amdhsa_system_sgpr_workgroup_id_y 0
		.amdhsa_system_sgpr_workgroup_id_z 0
		.amdhsa_system_sgpr_workgroup_info 0
		.amdhsa_system_vgpr_workitem_id 0
		.amdhsa_next_free_vgpr 1
		.amdhsa_next_free_sgpr 0
		.amdhsa_accum_offset 4
		.amdhsa_reserve_vcc 0
		.amdhsa_float_round_mode_32 0
		.amdhsa_float_round_mode_16_64 0
		.amdhsa_float_denorm_mode_32 3
		.amdhsa_float_denorm_mode_16_64 3
		.amdhsa_dx10_clamp 1
		.amdhsa_ieee_mode 1
		.amdhsa_fp16_overflow 0
		.amdhsa_tg_split 0
		.amdhsa_exception_fp_ieee_invalid_op 0
		.amdhsa_exception_fp_denorm_src 0
		.amdhsa_exception_fp_ieee_div_zero 0
		.amdhsa_exception_fp_ieee_overflow 0
		.amdhsa_exception_fp_ieee_underflow 0
		.amdhsa_exception_fp_ieee_inexact 0
		.amdhsa_exception_int_div_zero 0
	.end_amdhsa_kernel
	.section	.text._ZN7rocprim17ROCPRIM_400000_NS6detail17trampoline_kernelINS0_14default_configENS1_27scan_by_key_config_selectorIijEEZZNS1_16scan_by_key_implILNS1_25lookback_scan_determinismE0ELb0ES3_N6thrust23THRUST_200600_302600_NS6detail15normal_iteratorINS9_10device_ptrIiEEEENSB_INSC_IjEEEESG_jNS9_4plusIvEENS9_8equal_toIvEEjEE10hipError_tPvRmT2_T3_T4_T5_mT6_T7_P12ihipStream_tbENKUlT_T0_E_clISt17integral_constantIbLb1EES10_IbLb0EEEEDaSW_SX_EUlSW_E_NS1_11comp_targetILNS1_3genE0ELNS1_11target_archE4294967295ELNS1_3gpuE0ELNS1_3repE0EEENS1_30default_config_static_selectorELNS0_4arch9wavefront6targetE1EEEvT1_,"axG",@progbits,_ZN7rocprim17ROCPRIM_400000_NS6detail17trampoline_kernelINS0_14default_configENS1_27scan_by_key_config_selectorIijEEZZNS1_16scan_by_key_implILNS1_25lookback_scan_determinismE0ELb0ES3_N6thrust23THRUST_200600_302600_NS6detail15normal_iteratorINS9_10device_ptrIiEEEENSB_INSC_IjEEEESG_jNS9_4plusIvEENS9_8equal_toIvEEjEE10hipError_tPvRmT2_T3_T4_T5_mT6_T7_P12ihipStream_tbENKUlT_T0_E_clISt17integral_constantIbLb1EES10_IbLb0EEEEDaSW_SX_EUlSW_E_NS1_11comp_targetILNS1_3genE0ELNS1_11target_archE4294967295ELNS1_3gpuE0ELNS1_3repE0EEENS1_30default_config_static_selectorELNS0_4arch9wavefront6targetE1EEEvT1_,comdat
.Lfunc_end1243:
	.size	_ZN7rocprim17ROCPRIM_400000_NS6detail17trampoline_kernelINS0_14default_configENS1_27scan_by_key_config_selectorIijEEZZNS1_16scan_by_key_implILNS1_25lookback_scan_determinismE0ELb0ES3_N6thrust23THRUST_200600_302600_NS6detail15normal_iteratorINS9_10device_ptrIiEEEENSB_INSC_IjEEEESG_jNS9_4plusIvEENS9_8equal_toIvEEjEE10hipError_tPvRmT2_T3_T4_T5_mT6_T7_P12ihipStream_tbENKUlT_T0_E_clISt17integral_constantIbLb1EES10_IbLb0EEEEDaSW_SX_EUlSW_E_NS1_11comp_targetILNS1_3genE0ELNS1_11target_archE4294967295ELNS1_3gpuE0ELNS1_3repE0EEENS1_30default_config_static_selectorELNS0_4arch9wavefront6targetE1EEEvT1_, .Lfunc_end1243-_ZN7rocprim17ROCPRIM_400000_NS6detail17trampoline_kernelINS0_14default_configENS1_27scan_by_key_config_selectorIijEEZZNS1_16scan_by_key_implILNS1_25lookback_scan_determinismE0ELb0ES3_N6thrust23THRUST_200600_302600_NS6detail15normal_iteratorINS9_10device_ptrIiEEEENSB_INSC_IjEEEESG_jNS9_4plusIvEENS9_8equal_toIvEEjEE10hipError_tPvRmT2_T3_T4_T5_mT6_T7_P12ihipStream_tbENKUlT_T0_E_clISt17integral_constantIbLb1EES10_IbLb0EEEEDaSW_SX_EUlSW_E_NS1_11comp_targetILNS1_3genE0ELNS1_11target_archE4294967295ELNS1_3gpuE0ELNS1_3repE0EEENS1_30default_config_static_selectorELNS0_4arch9wavefront6targetE1EEEvT1_
                                        ; -- End function
	.section	.AMDGPU.csdata,"",@progbits
; Kernel info:
; codeLenInByte = 0
; NumSgprs: 6
; NumVgprs: 0
; NumAgprs: 0
; TotalNumVgprs: 0
; ScratchSize: 0
; MemoryBound: 0
; FloatMode: 240
; IeeeMode: 1
; LDSByteSize: 0 bytes/workgroup (compile time only)
; SGPRBlocks: 0
; VGPRBlocks: 0
; NumSGPRsForWavesPerEU: 6
; NumVGPRsForWavesPerEU: 1
; AccumOffset: 4
; Occupancy: 8
; WaveLimiterHint : 0
; COMPUTE_PGM_RSRC2:SCRATCH_EN: 0
; COMPUTE_PGM_RSRC2:USER_SGPR: 2
; COMPUTE_PGM_RSRC2:TRAP_HANDLER: 0
; COMPUTE_PGM_RSRC2:TGID_X_EN: 1
; COMPUTE_PGM_RSRC2:TGID_Y_EN: 0
; COMPUTE_PGM_RSRC2:TGID_Z_EN: 0
; COMPUTE_PGM_RSRC2:TIDIG_COMP_CNT: 0
; COMPUTE_PGM_RSRC3_GFX90A:ACCUM_OFFSET: 0
; COMPUTE_PGM_RSRC3_GFX90A:TG_SPLIT: 0
	.section	.text._ZN7rocprim17ROCPRIM_400000_NS6detail17trampoline_kernelINS0_14default_configENS1_27scan_by_key_config_selectorIijEEZZNS1_16scan_by_key_implILNS1_25lookback_scan_determinismE0ELb0ES3_N6thrust23THRUST_200600_302600_NS6detail15normal_iteratorINS9_10device_ptrIiEEEENSB_INSC_IjEEEESG_jNS9_4plusIvEENS9_8equal_toIvEEjEE10hipError_tPvRmT2_T3_T4_T5_mT6_T7_P12ihipStream_tbENKUlT_T0_E_clISt17integral_constantIbLb1EES10_IbLb0EEEEDaSW_SX_EUlSW_E_NS1_11comp_targetILNS1_3genE10ELNS1_11target_archE1201ELNS1_3gpuE5ELNS1_3repE0EEENS1_30default_config_static_selectorELNS0_4arch9wavefront6targetE1EEEvT1_,"axG",@progbits,_ZN7rocprim17ROCPRIM_400000_NS6detail17trampoline_kernelINS0_14default_configENS1_27scan_by_key_config_selectorIijEEZZNS1_16scan_by_key_implILNS1_25lookback_scan_determinismE0ELb0ES3_N6thrust23THRUST_200600_302600_NS6detail15normal_iteratorINS9_10device_ptrIiEEEENSB_INSC_IjEEEESG_jNS9_4plusIvEENS9_8equal_toIvEEjEE10hipError_tPvRmT2_T3_T4_T5_mT6_T7_P12ihipStream_tbENKUlT_T0_E_clISt17integral_constantIbLb1EES10_IbLb0EEEEDaSW_SX_EUlSW_E_NS1_11comp_targetILNS1_3genE10ELNS1_11target_archE1201ELNS1_3gpuE5ELNS1_3repE0EEENS1_30default_config_static_selectorELNS0_4arch9wavefront6targetE1EEEvT1_,comdat
	.protected	_ZN7rocprim17ROCPRIM_400000_NS6detail17trampoline_kernelINS0_14default_configENS1_27scan_by_key_config_selectorIijEEZZNS1_16scan_by_key_implILNS1_25lookback_scan_determinismE0ELb0ES3_N6thrust23THRUST_200600_302600_NS6detail15normal_iteratorINS9_10device_ptrIiEEEENSB_INSC_IjEEEESG_jNS9_4plusIvEENS9_8equal_toIvEEjEE10hipError_tPvRmT2_T3_T4_T5_mT6_T7_P12ihipStream_tbENKUlT_T0_E_clISt17integral_constantIbLb1EES10_IbLb0EEEEDaSW_SX_EUlSW_E_NS1_11comp_targetILNS1_3genE10ELNS1_11target_archE1201ELNS1_3gpuE5ELNS1_3repE0EEENS1_30default_config_static_selectorELNS0_4arch9wavefront6targetE1EEEvT1_ ; -- Begin function _ZN7rocprim17ROCPRIM_400000_NS6detail17trampoline_kernelINS0_14default_configENS1_27scan_by_key_config_selectorIijEEZZNS1_16scan_by_key_implILNS1_25lookback_scan_determinismE0ELb0ES3_N6thrust23THRUST_200600_302600_NS6detail15normal_iteratorINS9_10device_ptrIiEEEENSB_INSC_IjEEEESG_jNS9_4plusIvEENS9_8equal_toIvEEjEE10hipError_tPvRmT2_T3_T4_T5_mT6_T7_P12ihipStream_tbENKUlT_T0_E_clISt17integral_constantIbLb1EES10_IbLb0EEEEDaSW_SX_EUlSW_E_NS1_11comp_targetILNS1_3genE10ELNS1_11target_archE1201ELNS1_3gpuE5ELNS1_3repE0EEENS1_30default_config_static_selectorELNS0_4arch9wavefront6targetE1EEEvT1_
	.globl	_ZN7rocprim17ROCPRIM_400000_NS6detail17trampoline_kernelINS0_14default_configENS1_27scan_by_key_config_selectorIijEEZZNS1_16scan_by_key_implILNS1_25lookback_scan_determinismE0ELb0ES3_N6thrust23THRUST_200600_302600_NS6detail15normal_iteratorINS9_10device_ptrIiEEEENSB_INSC_IjEEEESG_jNS9_4plusIvEENS9_8equal_toIvEEjEE10hipError_tPvRmT2_T3_T4_T5_mT6_T7_P12ihipStream_tbENKUlT_T0_E_clISt17integral_constantIbLb1EES10_IbLb0EEEEDaSW_SX_EUlSW_E_NS1_11comp_targetILNS1_3genE10ELNS1_11target_archE1201ELNS1_3gpuE5ELNS1_3repE0EEENS1_30default_config_static_selectorELNS0_4arch9wavefront6targetE1EEEvT1_
	.p2align	8
	.type	_ZN7rocprim17ROCPRIM_400000_NS6detail17trampoline_kernelINS0_14default_configENS1_27scan_by_key_config_selectorIijEEZZNS1_16scan_by_key_implILNS1_25lookback_scan_determinismE0ELb0ES3_N6thrust23THRUST_200600_302600_NS6detail15normal_iteratorINS9_10device_ptrIiEEEENSB_INSC_IjEEEESG_jNS9_4plusIvEENS9_8equal_toIvEEjEE10hipError_tPvRmT2_T3_T4_T5_mT6_T7_P12ihipStream_tbENKUlT_T0_E_clISt17integral_constantIbLb1EES10_IbLb0EEEEDaSW_SX_EUlSW_E_NS1_11comp_targetILNS1_3genE10ELNS1_11target_archE1201ELNS1_3gpuE5ELNS1_3repE0EEENS1_30default_config_static_selectorELNS0_4arch9wavefront6targetE1EEEvT1_,@function
_ZN7rocprim17ROCPRIM_400000_NS6detail17trampoline_kernelINS0_14default_configENS1_27scan_by_key_config_selectorIijEEZZNS1_16scan_by_key_implILNS1_25lookback_scan_determinismE0ELb0ES3_N6thrust23THRUST_200600_302600_NS6detail15normal_iteratorINS9_10device_ptrIiEEEENSB_INSC_IjEEEESG_jNS9_4plusIvEENS9_8equal_toIvEEjEE10hipError_tPvRmT2_T3_T4_T5_mT6_T7_P12ihipStream_tbENKUlT_T0_E_clISt17integral_constantIbLb1EES10_IbLb0EEEEDaSW_SX_EUlSW_E_NS1_11comp_targetILNS1_3genE10ELNS1_11target_archE1201ELNS1_3gpuE5ELNS1_3repE0EEENS1_30default_config_static_selectorELNS0_4arch9wavefront6targetE1EEEvT1_: ; @_ZN7rocprim17ROCPRIM_400000_NS6detail17trampoline_kernelINS0_14default_configENS1_27scan_by_key_config_selectorIijEEZZNS1_16scan_by_key_implILNS1_25lookback_scan_determinismE0ELb0ES3_N6thrust23THRUST_200600_302600_NS6detail15normal_iteratorINS9_10device_ptrIiEEEENSB_INSC_IjEEEESG_jNS9_4plusIvEENS9_8equal_toIvEEjEE10hipError_tPvRmT2_T3_T4_T5_mT6_T7_P12ihipStream_tbENKUlT_T0_E_clISt17integral_constantIbLb1EES10_IbLb0EEEEDaSW_SX_EUlSW_E_NS1_11comp_targetILNS1_3genE10ELNS1_11target_archE1201ELNS1_3gpuE5ELNS1_3repE0EEENS1_30default_config_static_selectorELNS0_4arch9wavefront6targetE1EEEvT1_
; %bb.0:
	.section	.rodata,"a",@progbits
	.p2align	6, 0x0
	.amdhsa_kernel _ZN7rocprim17ROCPRIM_400000_NS6detail17trampoline_kernelINS0_14default_configENS1_27scan_by_key_config_selectorIijEEZZNS1_16scan_by_key_implILNS1_25lookback_scan_determinismE0ELb0ES3_N6thrust23THRUST_200600_302600_NS6detail15normal_iteratorINS9_10device_ptrIiEEEENSB_INSC_IjEEEESG_jNS9_4plusIvEENS9_8equal_toIvEEjEE10hipError_tPvRmT2_T3_T4_T5_mT6_T7_P12ihipStream_tbENKUlT_T0_E_clISt17integral_constantIbLb1EES10_IbLb0EEEEDaSW_SX_EUlSW_E_NS1_11comp_targetILNS1_3genE10ELNS1_11target_archE1201ELNS1_3gpuE5ELNS1_3repE0EEENS1_30default_config_static_selectorELNS0_4arch9wavefront6targetE1EEEvT1_
		.amdhsa_group_segment_fixed_size 0
		.amdhsa_private_segment_fixed_size 0
		.amdhsa_kernarg_size 112
		.amdhsa_user_sgpr_count 2
		.amdhsa_user_sgpr_dispatch_ptr 0
		.amdhsa_user_sgpr_queue_ptr 0
		.amdhsa_user_sgpr_kernarg_segment_ptr 1
		.amdhsa_user_sgpr_dispatch_id 0
		.amdhsa_user_sgpr_kernarg_preload_length 0
		.amdhsa_user_sgpr_kernarg_preload_offset 0
		.amdhsa_user_sgpr_private_segment_size 0
		.amdhsa_uses_dynamic_stack 0
		.amdhsa_enable_private_segment 0
		.amdhsa_system_sgpr_workgroup_id_x 1
		.amdhsa_system_sgpr_workgroup_id_y 0
		.amdhsa_system_sgpr_workgroup_id_z 0
		.amdhsa_system_sgpr_workgroup_info 0
		.amdhsa_system_vgpr_workitem_id 0
		.amdhsa_next_free_vgpr 1
		.amdhsa_next_free_sgpr 0
		.amdhsa_accum_offset 4
		.amdhsa_reserve_vcc 0
		.amdhsa_float_round_mode_32 0
		.amdhsa_float_round_mode_16_64 0
		.amdhsa_float_denorm_mode_32 3
		.amdhsa_float_denorm_mode_16_64 3
		.amdhsa_dx10_clamp 1
		.amdhsa_ieee_mode 1
		.amdhsa_fp16_overflow 0
		.amdhsa_tg_split 0
		.amdhsa_exception_fp_ieee_invalid_op 0
		.amdhsa_exception_fp_denorm_src 0
		.amdhsa_exception_fp_ieee_div_zero 0
		.amdhsa_exception_fp_ieee_overflow 0
		.amdhsa_exception_fp_ieee_underflow 0
		.amdhsa_exception_fp_ieee_inexact 0
		.amdhsa_exception_int_div_zero 0
	.end_amdhsa_kernel
	.section	.text._ZN7rocprim17ROCPRIM_400000_NS6detail17trampoline_kernelINS0_14default_configENS1_27scan_by_key_config_selectorIijEEZZNS1_16scan_by_key_implILNS1_25lookback_scan_determinismE0ELb0ES3_N6thrust23THRUST_200600_302600_NS6detail15normal_iteratorINS9_10device_ptrIiEEEENSB_INSC_IjEEEESG_jNS9_4plusIvEENS9_8equal_toIvEEjEE10hipError_tPvRmT2_T3_T4_T5_mT6_T7_P12ihipStream_tbENKUlT_T0_E_clISt17integral_constantIbLb1EES10_IbLb0EEEEDaSW_SX_EUlSW_E_NS1_11comp_targetILNS1_3genE10ELNS1_11target_archE1201ELNS1_3gpuE5ELNS1_3repE0EEENS1_30default_config_static_selectorELNS0_4arch9wavefront6targetE1EEEvT1_,"axG",@progbits,_ZN7rocprim17ROCPRIM_400000_NS6detail17trampoline_kernelINS0_14default_configENS1_27scan_by_key_config_selectorIijEEZZNS1_16scan_by_key_implILNS1_25lookback_scan_determinismE0ELb0ES3_N6thrust23THRUST_200600_302600_NS6detail15normal_iteratorINS9_10device_ptrIiEEEENSB_INSC_IjEEEESG_jNS9_4plusIvEENS9_8equal_toIvEEjEE10hipError_tPvRmT2_T3_T4_T5_mT6_T7_P12ihipStream_tbENKUlT_T0_E_clISt17integral_constantIbLb1EES10_IbLb0EEEEDaSW_SX_EUlSW_E_NS1_11comp_targetILNS1_3genE10ELNS1_11target_archE1201ELNS1_3gpuE5ELNS1_3repE0EEENS1_30default_config_static_selectorELNS0_4arch9wavefront6targetE1EEEvT1_,comdat
.Lfunc_end1244:
	.size	_ZN7rocprim17ROCPRIM_400000_NS6detail17trampoline_kernelINS0_14default_configENS1_27scan_by_key_config_selectorIijEEZZNS1_16scan_by_key_implILNS1_25lookback_scan_determinismE0ELb0ES3_N6thrust23THRUST_200600_302600_NS6detail15normal_iteratorINS9_10device_ptrIiEEEENSB_INSC_IjEEEESG_jNS9_4plusIvEENS9_8equal_toIvEEjEE10hipError_tPvRmT2_T3_T4_T5_mT6_T7_P12ihipStream_tbENKUlT_T0_E_clISt17integral_constantIbLb1EES10_IbLb0EEEEDaSW_SX_EUlSW_E_NS1_11comp_targetILNS1_3genE10ELNS1_11target_archE1201ELNS1_3gpuE5ELNS1_3repE0EEENS1_30default_config_static_selectorELNS0_4arch9wavefront6targetE1EEEvT1_, .Lfunc_end1244-_ZN7rocprim17ROCPRIM_400000_NS6detail17trampoline_kernelINS0_14default_configENS1_27scan_by_key_config_selectorIijEEZZNS1_16scan_by_key_implILNS1_25lookback_scan_determinismE0ELb0ES3_N6thrust23THRUST_200600_302600_NS6detail15normal_iteratorINS9_10device_ptrIiEEEENSB_INSC_IjEEEESG_jNS9_4plusIvEENS9_8equal_toIvEEjEE10hipError_tPvRmT2_T3_T4_T5_mT6_T7_P12ihipStream_tbENKUlT_T0_E_clISt17integral_constantIbLb1EES10_IbLb0EEEEDaSW_SX_EUlSW_E_NS1_11comp_targetILNS1_3genE10ELNS1_11target_archE1201ELNS1_3gpuE5ELNS1_3repE0EEENS1_30default_config_static_selectorELNS0_4arch9wavefront6targetE1EEEvT1_
                                        ; -- End function
	.section	.AMDGPU.csdata,"",@progbits
; Kernel info:
; codeLenInByte = 0
; NumSgprs: 6
; NumVgprs: 0
; NumAgprs: 0
; TotalNumVgprs: 0
; ScratchSize: 0
; MemoryBound: 0
; FloatMode: 240
; IeeeMode: 1
; LDSByteSize: 0 bytes/workgroup (compile time only)
; SGPRBlocks: 0
; VGPRBlocks: 0
; NumSGPRsForWavesPerEU: 6
; NumVGPRsForWavesPerEU: 1
; AccumOffset: 4
; Occupancy: 8
; WaveLimiterHint : 0
; COMPUTE_PGM_RSRC2:SCRATCH_EN: 0
; COMPUTE_PGM_RSRC2:USER_SGPR: 2
; COMPUTE_PGM_RSRC2:TRAP_HANDLER: 0
; COMPUTE_PGM_RSRC2:TGID_X_EN: 1
; COMPUTE_PGM_RSRC2:TGID_Y_EN: 0
; COMPUTE_PGM_RSRC2:TGID_Z_EN: 0
; COMPUTE_PGM_RSRC2:TIDIG_COMP_CNT: 0
; COMPUTE_PGM_RSRC3_GFX90A:ACCUM_OFFSET: 0
; COMPUTE_PGM_RSRC3_GFX90A:TG_SPLIT: 0
	.section	.text._ZN7rocprim17ROCPRIM_400000_NS6detail17trampoline_kernelINS0_14default_configENS1_27scan_by_key_config_selectorIijEEZZNS1_16scan_by_key_implILNS1_25lookback_scan_determinismE0ELb0ES3_N6thrust23THRUST_200600_302600_NS6detail15normal_iteratorINS9_10device_ptrIiEEEENSB_INSC_IjEEEESG_jNS9_4plusIvEENS9_8equal_toIvEEjEE10hipError_tPvRmT2_T3_T4_T5_mT6_T7_P12ihipStream_tbENKUlT_T0_E_clISt17integral_constantIbLb1EES10_IbLb0EEEEDaSW_SX_EUlSW_E_NS1_11comp_targetILNS1_3genE5ELNS1_11target_archE942ELNS1_3gpuE9ELNS1_3repE0EEENS1_30default_config_static_selectorELNS0_4arch9wavefront6targetE1EEEvT1_,"axG",@progbits,_ZN7rocprim17ROCPRIM_400000_NS6detail17trampoline_kernelINS0_14default_configENS1_27scan_by_key_config_selectorIijEEZZNS1_16scan_by_key_implILNS1_25lookback_scan_determinismE0ELb0ES3_N6thrust23THRUST_200600_302600_NS6detail15normal_iteratorINS9_10device_ptrIiEEEENSB_INSC_IjEEEESG_jNS9_4plusIvEENS9_8equal_toIvEEjEE10hipError_tPvRmT2_T3_T4_T5_mT6_T7_P12ihipStream_tbENKUlT_T0_E_clISt17integral_constantIbLb1EES10_IbLb0EEEEDaSW_SX_EUlSW_E_NS1_11comp_targetILNS1_3genE5ELNS1_11target_archE942ELNS1_3gpuE9ELNS1_3repE0EEENS1_30default_config_static_selectorELNS0_4arch9wavefront6targetE1EEEvT1_,comdat
	.protected	_ZN7rocprim17ROCPRIM_400000_NS6detail17trampoline_kernelINS0_14default_configENS1_27scan_by_key_config_selectorIijEEZZNS1_16scan_by_key_implILNS1_25lookback_scan_determinismE0ELb0ES3_N6thrust23THRUST_200600_302600_NS6detail15normal_iteratorINS9_10device_ptrIiEEEENSB_INSC_IjEEEESG_jNS9_4plusIvEENS9_8equal_toIvEEjEE10hipError_tPvRmT2_T3_T4_T5_mT6_T7_P12ihipStream_tbENKUlT_T0_E_clISt17integral_constantIbLb1EES10_IbLb0EEEEDaSW_SX_EUlSW_E_NS1_11comp_targetILNS1_3genE5ELNS1_11target_archE942ELNS1_3gpuE9ELNS1_3repE0EEENS1_30default_config_static_selectorELNS0_4arch9wavefront6targetE1EEEvT1_ ; -- Begin function _ZN7rocprim17ROCPRIM_400000_NS6detail17trampoline_kernelINS0_14default_configENS1_27scan_by_key_config_selectorIijEEZZNS1_16scan_by_key_implILNS1_25lookback_scan_determinismE0ELb0ES3_N6thrust23THRUST_200600_302600_NS6detail15normal_iteratorINS9_10device_ptrIiEEEENSB_INSC_IjEEEESG_jNS9_4plusIvEENS9_8equal_toIvEEjEE10hipError_tPvRmT2_T3_T4_T5_mT6_T7_P12ihipStream_tbENKUlT_T0_E_clISt17integral_constantIbLb1EES10_IbLb0EEEEDaSW_SX_EUlSW_E_NS1_11comp_targetILNS1_3genE5ELNS1_11target_archE942ELNS1_3gpuE9ELNS1_3repE0EEENS1_30default_config_static_selectorELNS0_4arch9wavefront6targetE1EEEvT1_
	.globl	_ZN7rocprim17ROCPRIM_400000_NS6detail17trampoline_kernelINS0_14default_configENS1_27scan_by_key_config_selectorIijEEZZNS1_16scan_by_key_implILNS1_25lookback_scan_determinismE0ELb0ES3_N6thrust23THRUST_200600_302600_NS6detail15normal_iteratorINS9_10device_ptrIiEEEENSB_INSC_IjEEEESG_jNS9_4plusIvEENS9_8equal_toIvEEjEE10hipError_tPvRmT2_T3_T4_T5_mT6_T7_P12ihipStream_tbENKUlT_T0_E_clISt17integral_constantIbLb1EES10_IbLb0EEEEDaSW_SX_EUlSW_E_NS1_11comp_targetILNS1_3genE5ELNS1_11target_archE942ELNS1_3gpuE9ELNS1_3repE0EEENS1_30default_config_static_selectorELNS0_4arch9wavefront6targetE1EEEvT1_
	.p2align	8
	.type	_ZN7rocprim17ROCPRIM_400000_NS6detail17trampoline_kernelINS0_14default_configENS1_27scan_by_key_config_selectorIijEEZZNS1_16scan_by_key_implILNS1_25lookback_scan_determinismE0ELb0ES3_N6thrust23THRUST_200600_302600_NS6detail15normal_iteratorINS9_10device_ptrIiEEEENSB_INSC_IjEEEESG_jNS9_4plusIvEENS9_8equal_toIvEEjEE10hipError_tPvRmT2_T3_T4_T5_mT6_T7_P12ihipStream_tbENKUlT_T0_E_clISt17integral_constantIbLb1EES10_IbLb0EEEEDaSW_SX_EUlSW_E_NS1_11comp_targetILNS1_3genE5ELNS1_11target_archE942ELNS1_3gpuE9ELNS1_3repE0EEENS1_30default_config_static_selectorELNS0_4arch9wavefront6targetE1EEEvT1_,@function
_ZN7rocprim17ROCPRIM_400000_NS6detail17trampoline_kernelINS0_14default_configENS1_27scan_by_key_config_selectorIijEEZZNS1_16scan_by_key_implILNS1_25lookback_scan_determinismE0ELb0ES3_N6thrust23THRUST_200600_302600_NS6detail15normal_iteratorINS9_10device_ptrIiEEEENSB_INSC_IjEEEESG_jNS9_4plusIvEENS9_8equal_toIvEEjEE10hipError_tPvRmT2_T3_T4_T5_mT6_T7_P12ihipStream_tbENKUlT_T0_E_clISt17integral_constantIbLb1EES10_IbLb0EEEEDaSW_SX_EUlSW_E_NS1_11comp_targetILNS1_3genE5ELNS1_11target_archE942ELNS1_3gpuE9ELNS1_3repE0EEENS1_30default_config_static_selectorELNS0_4arch9wavefront6targetE1EEEvT1_: ; @_ZN7rocprim17ROCPRIM_400000_NS6detail17trampoline_kernelINS0_14default_configENS1_27scan_by_key_config_selectorIijEEZZNS1_16scan_by_key_implILNS1_25lookback_scan_determinismE0ELb0ES3_N6thrust23THRUST_200600_302600_NS6detail15normal_iteratorINS9_10device_ptrIiEEEENSB_INSC_IjEEEESG_jNS9_4plusIvEENS9_8equal_toIvEEjEE10hipError_tPvRmT2_T3_T4_T5_mT6_T7_P12ihipStream_tbENKUlT_T0_E_clISt17integral_constantIbLb1EES10_IbLb0EEEEDaSW_SX_EUlSW_E_NS1_11comp_targetILNS1_3genE5ELNS1_11target_archE942ELNS1_3gpuE9ELNS1_3repE0EEENS1_30default_config_static_selectorELNS0_4arch9wavefront6targetE1EEEvT1_
; %bb.0:
	s_load_dwordx8 s[52:59], s[0:1], 0x0
	s_load_dwordx4 s[68:71], s[0:1], 0x28
	s_load_dwordx2 s[74:75], s[0:1], 0x38
	s_load_dword s3, s[0:1], 0x40
	s_load_dwordx8 s[60:67], s[0:1], 0x48
	s_waitcnt lgkmcnt(0)
	s_lshl_b64 s[72:73], s[54:55], 2
	s_add_u32 s4, s52, s72
	s_addc_u32 s5, s53, s73
	s_add_u32 s6, s56, s72
	s_mul_i32 s0, s75, s3
	s_mul_hi_u32 s1, s74, s3
	s_addc_u32 s7, s57, s73
	s_add_i32 s8, s1, s0
	s_cmp_lg_u64 s[64:65], 0
	s_mul_i32 s0, s2, 0x1700
	s_mov_b32 s1, 0
	s_cselect_b64 s[64:65], -1, 0
	s_lshl_b64 s[56:57], s[0:1], 2
	s_add_u32 s54, s4, s56
	s_addc_u32 s55, s5, s57
	s_add_u32 s52, s6, s56
	s_mul_i32 s3, s74, s3
	s_addc_u32 s53, s7, s57
	s_add_u32 s76, s3, s2
	s_addc_u32 s77, s8, 0
	s_add_u32 s4, s60, -1
	s_addc_u32 s5, s61, -1
	v_mov_b64_e32 v[2:3], s[4:5]
	v_cmp_ge_u64_e64 s[0:1], s[76:77], v[2:3]
	s_mov_b64 s[10:11], 0
	s_mov_b64 s[6:7], -1
	s_and_b64 vcc, exec, s[0:1]
	s_mul_i32 s33, s4, 0xffffe900
	s_barrier
	s_cbranch_vccz .LBB1245_122
; %bb.1:
	v_mov_b64_e32 v[2:3], s[54:55]
	flat_load_dword v1, v[2:3]
	s_add_i32 s3, s33, s70
	v_cmp_gt_u32_e64 s[50:51], s3, v0
	s_waitcnt vmcnt(0) lgkmcnt(0)
	v_mov_b32_e32 v3, v1
	s_and_saveexec_b64 s[4:5], s[50:51]
	s_cbranch_execz .LBB1245_3
; %bb.2:
	v_lshlrev_b32_e32 v2, 2, v0
	v_mov_b32_e32 v3, 0
	v_lshl_add_u64 v[2:3], s[54:55], 0, v[2:3]
	flat_load_dword v3, v[2:3]
.LBB1245_3:
	s_or_b64 exec, exec, s[4:5]
	v_or_b32_e32 v2, 0x100, v0
	v_cmp_gt_u32_e64 s[4:5], s3, v2
	v_mov_b32_e32 v4, v1
	s_and_saveexec_b64 s[6:7], s[4:5]
	s_cbranch_execz .LBB1245_5
; %bb.4:
	v_lshlrev_b32_e32 v4, 2, v0
	v_mov_b32_e32 v5, 0
	v_lshl_add_u64 v[4:5], s[54:55], 0, v[4:5]
	flat_load_dword v4, v[4:5] offset:1024
.LBB1245_5:
	s_or_b64 exec, exec, s[6:7]
	v_or_b32_e32 v2, 0x200, v0
	v_cmp_gt_u32_e64 s[6:7], s3, v2
	v_mov_b32_e32 v5, v1
	s_and_saveexec_b64 s[8:9], s[6:7]
	s_cbranch_execz .LBB1245_7
; %bb.6:
	v_lshlrev_b32_e32 v6, 2, v0
	v_mov_b32_e32 v7, 0
	v_lshl_add_u64 v[6:7], s[54:55], 0, v[6:7]
	flat_load_dword v5, v[6:7] offset:2048
.LBB1245_7:
	;; [unrolled: 12-line block ×3, first 2 shown]
	s_or_b64 exec, exec, s[10:11]
	v_or_b32_e32 v10, 0x400, v0
	v_cmp_gt_u32_e64 s[10:11], s3, v10
	v_mov_b32_e32 v7, v1
	s_and_saveexec_b64 s[12:13], s[10:11]
	s_cbranch_execz .LBB1245_11
; %bb.10:
	v_lshlrev_b32_e32 v8, 2, v10
	v_mov_b32_e32 v9, 0
	v_lshl_add_u64 v[8:9], s[54:55], 0, v[8:9]
	flat_load_dword v7, v[8:9]
.LBB1245_11:
	s_or_b64 exec, exec, s[12:13]
	v_or_b32_e32 v11, 0x500, v0
	v_cmp_gt_u32_e64 s[12:13], s3, v11
	v_mov_b32_e32 v8, v1
	s_and_saveexec_b64 s[14:15], s[12:13]
	s_cbranch_execz .LBB1245_13
; %bb.12:
	v_lshlrev_b32_e32 v8, 2, v11
	v_mov_b32_e32 v9, 0
	v_lshl_add_u64 v[8:9], s[54:55], 0, v[8:9]
	flat_load_dword v8, v[8:9]
.LBB1245_13:
	;; [unrolled: 12-line block ×18, first 2 shown]
	s_or_b64 exec, exec, s[48:49]
	v_or_b32_e32 v28, 0x1600, v0
	v_cmp_gt_u32_e64 s[48:49], s3, v28
	s_and_saveexec_b64 s[60:61], s[48:49]
	s_cbranch_execz .LBB1245_47
; %bb.46:
	v_lshlrev_b32_e32 v44, 2, v28
	v_mov_b32_e32 v45, 0
	v_lshl_add_u64 v[44:45], s[54:55], 0, v[44:45]
	flat_load_dword v1, v[44:45]
.LBB1245_47:
	s_or_b64 exec, exec, s[60:61]
	v_lshlrev_b32_e32 v2, 2, v0
	s_movk_i32 s60, 0x58
	s_waitcnt vmcnt(0) lgkmcnt(0)
	ds_write2st64_b32 v2, v3, v4 offset1:4
	ds_write2st64_b32 v2, v5, v6 offset0:8 offset1:12
	ds_write2st64_b32 v2, v7, v8 offset0:16 offset1:20
	;; [unrolled: 1-line block ×10, first 2 shown]
	ds_write_b32 v2, v1 offset:22528
	v_mad_u32_u24 v1, v0, s60, v2
	s_waitcnt lgkmcnt(0)
	s_barrier
	ds_read2_b32 v[68:69], v1 offset1:1
	ds_read2_b32 v[66:67], v1 offset0:2 offset1:3
	ds_read2_b32 v[64:65], v1 offset0:4 offset1:5
	;; [unrolled: 1-line block ×10, first 2 shown]
	ds_read_b32 v72, v1 offset:88
	s_cmp_eq_u64 s[76:77], 0
	s_mov_b64 s[60:61], s[54:55]
	s_cbranch_scc1 .LBB1245_51
; %bb.48:
	s_andn2_b64 vcc, exec, s[64:65]
	s_cbranch_vccnz .LBB1245_267
; %bb.49:
	s_lshl_b64 s[60:61], s[76:77], 2
	s_add_u32 s60, s66, s60
	s_addc_u32 s61, s67, s61
	s_add_u32 s60, s60, -4
	s_addc_u32 s61, s61, -1
	s_cbranch_execnz .LBB1245_51
.LBB1245_50:
	s_add_u32 s60, s54, -4
	s_addc_u32 s61, s55, -1
.LBB1245_51:
	v_mov_b64_e32 v[30:31], s[60:61]
	flat_load_dword v70, v[30:31]
	s_movk_i32 s60, 0xffa8
	v_mad_i32_i24 v3, v0, s60, v1
	v_cmp_ne_u32_e32 vcc, 0, v0
	s_waitcnt lgkmcnt(0)
	ds_write_b32 v3, v72 offset:23552
	s_waitcnt lgkmcnt(0)
	s_barrier
	s_and_saveexec_b64 s[60:61], vcc
	s_cbranch_execz .LBB1245_53
; %bb.52:
	v_mul_i32_i24_e32 v3, 0xffffffa8, v0
	v_add_u32_e32 v3, v1, v3
	s_waitcnt vmcnt(0)
	ds_read_b32 v70, v3 offset:23548
.LBB1245_53:
	s_or_b64 exec, exec, s[60:61]
	v_mov_b32_e32 v3, 0
	s_waitcnt lgkmcnt(0)
	s_barrier
	s_waitcnt lgkmcnt(0)
                                        ; implicit-def: $vgpr29
	s_and_saveexec_b64 s[60:61], s[50:51]
	s_cbranch_execnz .LBB1245_243
; %bb.54:
	s_or_b64 exec, exec, s[60:61]
                                        ; implicit-def: $vgpr30
	s_and_saveexec_b64 s[50:51], s[4:5]
	s_cbranch_execnz .LBB1245_244
.LBB1245_55:
	s_or_b64 exec, exec, s[50:51]
                                        ; implicit-def: $vgpr31
	s_and_saveexec_b64 s[4:5], s[6:7]
	s_cbranch_execnz .LBB1245_245
.LBB1245_56:
	s_or_b64 exec, exec, s[4:5]
                                        ; implicit-def: $vgpr3
	s_and_saveexec_b64 s[4:5], s[8:9]
	s_cbranch_execnz .LBB1245_246
.LBB1245_57:
	s_or_b64 exec, exec, s[4:5]
                                        ; implicit-def: $vgpr32
	s_and_saveexec_b64 s[4:5], s[10:11]
	s_cbranch_execnz .LBB1245_247
.LBB1245_58:
	s_or_b64 exec, exec, s[4:5]
                                        ; implicit-def: $vgpr10
	s_and_saveexec_b64 s[4:5], s[12:13]
	s_cbranch_execnz .LBB1245_248
.LBB1245_59:
	s_or_b64 exec, exec, s[4:5]
                                        ; implicit-def: $vgpr11
	s_and_saveexec_b64 s[4:5], s[14:15]
	s_cbranch_execnz .LBB1245_249
.LBB1245_60:
	s_or_b64 exec, exec, s[4:5]
                                        ; implicit-def: $vgpr12
	s_and_saveexec_b64 s[4:5], s[16:17]
	s_cbranch_execnz .LBB1245_250
.LBB1245_61:
	s_or_b64 exec, exec, s[4:5]
                                        ; implicit-def: $vgpr13
	s_and_saveexec_b64 s[4:5], s[18:19]
	s_cbranch_execnz .LBB1245_251
.LBB1245_62:
	s_or_b64 exec, exec, s[4:5]
                                        ; implicit-def: $vgpr14
	s_and_saveexec_b64 s[4:5], s[20:21]
	s_cbranch_execnz .LBB1245_252
.LBB1245_63:
	s_or_b64 exec, exec, s[4:5]
                                        ; implicit-def: $vgpr15
	s_and_saveexec_b64 s[4:5], s[22:23]
	s_cbranch_execnz .LBB1245_253
.LBB1245_64:
	s_or_b64 exec, exec, s[4:5]
                                        ; implicit-def: $vgpr16
	s_and_saveexec_b64 s[4:5], s[24:25]
	s_cbranch_execnz .LBB1245_254
.LBB1245_65:
	s_or_b64 exec, exec, s[4:5]
                                        ; implicit-def: $vgpr17
	s_and_saveexec_b64 s[4:5], s[26:27]
	s_cbranch_execnz .LBB1245_255
.LBB1245_66:
	s_or_b64 exec, exec, s[4:5]
                                        ; implicit-def: $vgpr18
	s_and_saveexec_b64 s[4:5], s[28:29]
	s_cbranch_execnz .LBB1245_256
.LBB1245_67:
	s_or_b64 exec, exec, s[4:5]
                                        ; implicit-def: $vgpr19
	s_and_saveexec_b64 s[4:5], s[30:31]
	s_cbranch_execnz .LBB1245_257
.LBB1245_68:
	s_or_b64 exec, exec, s[4:5]
                                        ; implicit-def: $vgpr20
	s_and_saveexec_b64 s[4:5], s[34:35]
	s_cbranch_execnz .LBB1245_258
.LBB1245_69:
	s_or_b64 exec, exec, s[4:5]
                                        ; implicit-def: $vgpr21
	s_and_saveexec_b64 s[4:5], s[36:37]
	s_cbranch_execnz .LBB1245_259
.LBB1245_70:
	s_or_b64 exec, exec, s[4:5]
                                        ; implicit-def: $vgpr22
	s_and_saveexec_b64 s[4:5], s[38:39]
	s_cbranch_execnz .LBB1245_260
.LBB1245_71:
	s_or_b64 exec, exec, s[4:5]
                                        ; implicit-def: $vgpr23
	s_and_saveexec_b64 s[4:5], s[40:41]
	s_cbranch_execnz .LBB1245_261
.LBB1245_72:
	s_or_b64 exec, exec, s[4:5]
                                        ; implicit-def: $vgpr24
	s_and_saveexec_b64 s[4:5], s[42:43]
	s_cbranch_execnz .LBB1245_262
.LBB1245_73:
	s_or_b64 exec, exec, s[4:5]
                                        ; implicit-def: $vgpr25
	s_and_saveexec_b64 s[4:5], s[44:45]
	s_cbranch_execnz .LBB1245_263
.LBB1245_74:
	s_or_b64 exec, exec, s[4:5]
                                        ; implicit-def: $vgpr26
	s_and_saveexec_b64 s[4:5], s[46:47]
	s_cbranch_execnz .LBB1245_264
.LBB1245_75:
	s_or_b64 exec, exec, s[4:5]
                                        ; implicit-def: $vgpr27
	s_and_saveexec_b64 s[4:5], s[48:49]
	s_cbranch_execz .LBB1245_77
.LBB1245_76:
	v_lshlrev_b32_e32 v34, 2, v28
	v_mov_b32_e32 v35, 0
	v_lshl_add_u64 v[34:35], s[52:53], 0, v[34:35]
	flat_load_dword v27, v[34:35]
.LBB1245_77:
	s_or_b64 exec, exec, s[4:5]
	v_mul_u32_u24_e32 v73, 23, v0
	s_waitcnt vmcnt(0) lgkmcnt(0)
	ds_write2st64_b32 v2, v29, v30 offset1:4
	ds_write2st64_b32 v2, v31, v3 offset0:8 offset1:12
	ds_write2st64_b32 v2, v32, v10 offset0:16 offset1:20
	;; [unrolled: 1-line block ×10, first 2 shown]
	ds_write_b32 v2, v27 offset:22528
	v_mov_b64_e32 v[10:11], 0
	v_cmp_gt_u32_e32 vcc, s3, v73
	s_mov_b64 s[10:11], 0
	s_mov_b64 s[6:7], 0
	v_mov_b64_e32 v[12:13], v[10:11]
	v_mov_b64_e32 v[14:15], v[10:11]
	v_mov_b64_e32 v[16:17], v[10:11]
	v_mov_b64_e32 v[18:19], v[10:11]
	v_mov_b64_e32 v[20:21], v[10:11]
	v_mov_b64_e32 v[22:23], v[10:11]
	v_mov_b64_e32 v[24:25], v[10:11]
	v_mov_b64_e32 v[26:27], v[10:11]
	v_mov_b64_e32 v[28:29], v[10:11]
	v_mov_b64_e32 v[30:31], v[10:11]
	v_mov_b64_e32 v[32:33], v[10:11]
	v_mov_b64_e32 v[34:35], v[10:11]
	v_mov_b64_e32 v[36:37], v[10:11]
	v_mov_b64_e32 v[38:39], v[10:11]
	v_mov_b64_e32 v[40:41], v[10:11]
	v_mov_b64_e32 v[42:43], v[10:11]
	v_mov_b64_e32 v[44:45], v[10:11]
	v_mov_b64_e32 v[46:47], v[10:11]
	v_mov_b64_e32 v[48:49], v[10:11]
	v_mov_b64_e32 v[50:51], v[10:11]
	v_mov_b64_e32 v[52:53], v[10:11]
	s_waitcnt lgkmcnt(0)
	s_barrier
	s_waitcnt lgkmcnt(0)
                                        ; implicit-def: $sgpr4_sgpr5
                                        ; implicit-def: $vgpr3
	s_and_saveexec_b64 s[8:9], vcc
	s_cbranch_execz .LBB1245_121
; %bb.78:
	ds_read_b32 v10, v1
	v_add_u32_e32 v2, 1, v73
	v_cmp_ne_u32_e32 vcc, v70, v68
	v_mov_b64_e32 v[12:13], 0
	s_mov_b64 s[12:13], 0
	v_cndmask_b32_e64 v11, 0, 1, vcc
	v_cmp_gt_u32_e32 vcc, s3, v2
	s_mov_b64 s[4:5], 0
	v_mov_b64_e32 v[14:15], v[12:13]
	v_mov_b64_e32 v[16:17], v[12:13]
	;; [unrolled: 1-line block ×20, first 2 shown]
                                        ; implicit-def: $sgpr14_sgpr15
                                        ; implicit-def: $vgpr3
	s_and_saveexec_b64 s[10:11], vcc
	s_cbranch_execz .LBB1245_120
; %bb.79:
	ds_read2_b32 v[70:71], v1 offset0:1 offset1:2
	v_add_u32_e32 v2, 2, v73
	v_cmp_ne_u32_e32 vcc, v68, v69
	v_mov_b64_e32 v[14:15], 0
	s_mov_b64 s[16:17], 0
	v_cndmask_b32_e64 v13, 0, 1, vcc
	v_cmp_gt_u32_e32 vcc, s3, v2
	s_waitcnt lgkmcnt(0)
	v_mov_b32_e32 v12, v70
	v_mov_b64_e32 v[16:17], v[14:15]
	v_mov_b64_e32 v[18:19], v[14:15]
	;; [unrolled: 1-line block ×19, first 2 shown]
                                        ; implicit-def: $sgpr14_sgpr15
                                        ; implicit-def: $vgpr3
	s_and_saveexec_b64 s[12:13], vcc
	s_cbranch_execz .LBB1245_119
; %bb.80:
	v_add_u32_e32 v2, 3, v73
	v_cmp_ne_u32_e32 vcc, v69, v66
	v_mov_b64_e32 v[16:17], 0
	v_mov_b32_e32 v14, v71
	v_cndmask_b32_e64 v15, 0, 1, vcc
	v_cmp_gt_u32_e32 vcc, s3, v2
	v_mov_b64_e32 v[18:19], v[16:17]
	v_mov_b64_e32 v[20:21], v[16:17]
	;; [unrolled: 1-line block ×18, first 2 shown]
                                        ; implicit-def: $sgpr18_sgpr19
                                        ; implicit-def: $vgpr3
	s_and_saveexec_b64 s[14:15], vcc
	s_cbranch_execz .LBB1245_118
; %bb.81:
	ds_read2_b32 v[68:69], v1 offset0:3 offset1:4
	v_add_u32_e32 v2, 4, v73
	v_cmp_ne_u32_e32 vcc, v66, v67
	v_mov_b64_e32 v[18:19], 0
	s_mov_b64 s[20:21], 0
	v_cndmask_b32_e64 v17, 0, 1, vcc
	v_cmp_gt_u32_e32 vcc, s3, v2
	s_waitcnt lgkmcnt(0)
	v_mov_b32_e32 v16, v68
	v_mov_b64_e32 v[20:21], v[18:19]
	v_mov_b64_e32 v[22:23], v[18:19]
	v_mov_b64_e32 v[24:25], v[18:19]
	v_mov_b64_e32 v[26:27], v[18:19]
	v_mov_b64_e32 v[28:29], v[18:19]
	v_mov_b64_e32 v[30:31], v[18:19]
	v_mov_b64_e32 v[32:33], v[18:19]
	v_mov_b64_e32 v[34:35], v[18:19]
	v_mov_b64_e32 v[36:37], v[18:19]
	v_mov_b64_e32 v[38:39], v[18:19]
	v_mov_b64_e32 v[40:41], v[18:19]
	v_mov_b64_e32 v[42:43], v[18:19]
	v_mov_b64_e32 v[44:45], v[18:19]
	v_mov_b64_e32 v[46:47], v[18:19]
	v_mov_b64_e32 v[48:49], v[18:19]
	v_mov_b64_e32 v[50:51], v[18:19]
	v_mov_b64_e32 v[52:53], v[18:19]
                                        ; implicit-def: $sgpr18_sgpr19
                                        ; implicit-def: $vgpr3
	s_and_saveexec_b64 s[16:17], vcc
	s_cbranch_execz .LBB1245_117
; %bb.82:
	v_add_u32_e32 v2, 5, v73
	v_cmp_ne_u32_e32 vcc, v67, v64
	v_mov_b64_e32 v[20:21], 0
	v_mov_b32_e32 v18, v69
	v_cndmask_b32_e64 v19, 0, 1, vcc
	v_cmp_gt_u32_e32 vcc, s3, v2
	v_mov_b64_e32 v[22:23], v[20:21]
	v_mov_b64_e32 v[24:25], v[20:21]
	;; [unrolled: 1-line block ×16, first 2 shown]
                                        ; implicit-def: $sgpr22_sgpr23
                                        ; implicit-def: $vgpr3
	s_and_saveexec_b64 s[18:19], vcc
	s_cbranch_execz .LBB1245_116
; %bb.83:
	ds_read2_b32 v[66:67], v1 offset0:5 offset1:6
	v_add_u32_e32 v2, 6, v73
	v_cmp_ne_u32_e32 vcc, v64, v65
	v_mov_b64_e32 v[22:23], 0
	s_mov_b64 s[24:25], 0
	v_cndmask_b32_e64 v21, 0, 1, vcc
	v_cmp_gt_u32_e32 vcc, s3, v2
	s_waitcnt lgkmcnt(0)
	v_mov_b32_e32 v20, v66
	v_mov_b64_e32 v[24:25], v[22:23]
	v_mov_b64_e32 v[26:27], v[22:23]
	;; [unrolled: 1-line block ×15, first 2 shown]
                                        ; implicit-def: $sgpr22_sgpr23
                                        ; implicit-def: $vgpr3
	s_and_saveexec_b64 s[20:21], vcc
	s_cbranch_execz .LBB1245_115
; %bb.84:
	v_add_u32_e32 v2, 7, v73
	v_cmp_ne_u32_e32 vcc, v65, v62
	v_mov_b64_e32 v[24:25], 0
	v_mov_b32_e32 v22, v67
	v_cndmask_b32_e64 v23, 0, 1, vcc
	v_cmp_gt_u32_e32 vcc, s3, v2
	v_mov_b64_e32 v[26:27], v[24:25]
	v_mov_b64_e32 v[28:29], v[24:25]
	v_mov_b64_e32 v[30:31], v[24:25]
	v_mov_b64_e32 v[32:33], v[24:25]
	v_mov_b64_e32 v[34:35], v[24:25]
	v_mov_b64_e32 v[36:37], v[24:25]
	v_mov_b64_e32 v[38:39], v[24:25]
	v_mov_b64_e32 v[40:41], v[24:25]
	v_mov_b64_e32 v[42:43], v[24:25]
	v_mov_b64_e32 v[44:45], v[24:25]
	v_mov_b64_e32 v[46:47], v[24:25]
	v_mov_b64_e32 v[48:49], v[24:25]
	v_mov_b64_e32 v[50:51], v[24:25]
	v_mov_b64_e32 v[52:53], v[24:25]
                                        ; implicit-def: $sgpr26_sgpr27
                                        ; implicit-def: $vgpr3
	s_and_saveexec_b64 s[22:23], vcc
	s_cbranch_execz .LBB1245_114
; %bb.85:
	ds_read2_b32 v[64:65], v1 offset0:7 offset1:8
	v_add_u32_e32 v2, 8, v73
	v_cmp_ne_u32_e32 vcc, v62, v63
	v_mov_b64_e32 v[26:27], 0
	s_mov_b64 s[28:29], 0
	v_cndmask_b32_e64 v25, 0, 1, vcc
	v_cmp_gt_u32_e32 vcc, s3, v2
	s_waitcnt lgkmcnt(0)
	v_mov_b32_e32 v24, v64
	v_mov_b64_e32 v[28:29], v[26:27]
	v_mov_b64_e32 v[30:31], v[26:27]
	;; [unrolled: 1-line block ×13, first 2 shown]
                                        ; implicit-def: $sgpr26_sgpr27
                                        ; implicit-def: $vgpr3
	s_and_saveexec_b64 s[24:25], vcc
	s_cbranch_execz .LBB1245_113
; %bb.86:
	v_add_u32_e32 v2, 9, v73
	v_cmp_ne_u32_e32 vcc, v63, v60
	v_mov_b64_e32 v[28:29], 0
	v_mov_b32_e32 v26, v65
	v_cndmask_b32_e64 v27, 0, 1, vcc
	v_cmp_gt_u32_e32 vcc, s3, v2
	v_mov_b64_e32 v[30:31], v[28:29]
	v_mov_b64_e32 v[32:33], v[28:29]
	;; [unrolled: 1-line block ×12, first 2 shown]
                                        ; implicit-def: $sgpr30_sgpr31
                                        ; implicit-def: $vgpr3
	s_and_saveexec_b64 s[26:27], vcc
	s_cbranch_execz .LBB1245_112
; %bb.87:
	ds_read2_b32 v[62:63], v1 offset0:9 offset1:10
	v_add_u32_e32 v2, 10, v73
	v_cmp_ne_u32_e32 vcc, v60, v61
	v_mov_b64_e32 v[30:31], 0
	s_mov_b64 s[34:35], 0
	v_cndmask_b32_e64 v29, 0, 1, vcc
	v_cmp_gt_u32_e32 vcc, s3, v2
	s_waitcnt lgkmcnt(0)
	v_mov_b32_e32 v28, v62
	v_mov_b64_e32 v[32:33], v[30:31]
	v_mov_b64_e32 v[34:35], v[30:31]
	v_mov_b64_e32 v[36:37], v[30:31]
	v_mov_b64_e32 v[38:39], v[30:31]
	v_mov_b64_e32 v[40:41], v[30:31]
	v_mov_b64_e32 v[42:43], v[30:31]
	v_mov_b64_e32 v[44:45], v[30:31]
	v_mov_b64_e32 v[46:47], v[30:31]
	v_mov_b64_e32 v[48:49], v[30:31]
	v_mov_b64_e32 v[50:51], v[30:31]
	v_mov_b64_e32 v[52:53], v[30:31]
                                        ; implicit-def: $sgpr30_sgpr31
                                        ; implicit-def: $vgpr3
	s_and_saveexec_b64 s[28:29], vcc
	s_cbranch_execz .LBB1245_111
; %bb.88:
	v_add_u32_e32 v2, 11, v73
	v_cmp_ne_u32_e32 vcc, v61, v58
	v_mov_b64_e32 v[32:33], 0
	v_mov_b32_e32 v30, v63
	v_cndmask_b32_e64 v31, 0, 1, vcc
	v_cmp_gt_u32_e32 vcc, s3, v2
	v_mov_b64_e32 v[34:35], v[32:33]
	v_mov_b64_e32 v[36:37], v[32:33]
	;; [unrolled: 1-line block ×10, first 2 shown]
                                        ; implicit-def: $sgpr36_sgpr37
                                        ; implicit-def: $vgpr3
	s_and_saveexec_b64 s[30:31], vcc
	s_cbranch_execz .LBB1245_110
; %bb.89:
	ds_read2_b32 v[60:61], v1 offset0:11 offset1:12
	v_add_u32_e32 v2, 12, v73
	v_cmp_ne_u32_e32 vcc, v58, v59
	v_mov_b64_e32 v[34:35], 0
	s_mov_b64 s[38:39], 0
	v_cndmask_b32_e64 v33, 0, 1, vcc
	v_cmp_gt_u32_e32 vcc, s3, v2
	s_waitcnt lgkmcnt(0)
	v_mov_b32_e32 v32, v60
	v_mov_b64_e32 v[36:37], v[34:35]
	v_mov_b64_e32 v[38:39], v[34:35]
	;; [unrolled: 1-line block ×9, first 2 shown]
                                        ; implicit-def: $sgpr36_sgpr37
                                        ; implicit-def: $vgpr3
	s_and_saveexec_b64 s[34:35], vcc
	s_cbranch_execz .LBB1245_109
; %bb.90:
	v_add_u32_e32 v2, 13, v73
	v_cmp_ne_u32_e32 vcc, v59, v56
	v_mov_b64_e32 v[36:37], 0
	v_mov_b32_e32 v34, v61
	v_cndmask_b32_e64 v35, 0, 1, vcc
	v_cmp_gt_u32_e32 vcc, s3, v2
	v_mov_b64_e32 v[38:39], v[36:37]
	v_mov_b64_e32 v[40:41], v[36:37]
	;; [unrolled: 1-line block ×8, first 2 shown]
                                        ; implicit-def: $sgpr40_sgpr41
                                        ; implicit-def: $vgpr3
	s_and_saveexec_b64 s[36:37], vcc
	s_cbranch_execz .LBB1245_108
; %bb.91:
	ds_read2_b32 v[58:59], v1 offset0:13 offset1:14
	v_add_u32_e32 v2, 14, v73
	v_cmp_ne_u32_e32 vcc, v56, v57
	v_mov_b64_e32 v[38:39], 0
	s_mov_b64 s[42:43], 0
	v_cndmask_b32_e64 v37, 0, 1, vcc
	v_cmp_gt_u32_e32 vcc, s3, v2
	s_waitcnt lgkmcnt(0)
	v_mov_b32_e32 v36, v58
	v_mov_b64_e32 v[40:41], v[38:39]
	v_mov_b64_e32 v[42:43], v[38:39]
	;; [unrolled: 1-line block ×7, first 2 shown]
                                        ; implicit-def: $sgpr40_sgpr41
                                        ; implicit-def: $vgpr3
	s_and_saveexec_b64 s[38:39], vcc
	s_cbranch_execz .LBB1245_107
; %bb.92:
	v_add_u32_e32 v2, 15, v73
	v_cmp_ne_u32_e32 vcc, v57, v54
	v_mov_b64_e32 v[40:41], 0
	v_mov_b32_e32 v38, v59
	v_cndmask_b32_e64 v39, 0, 1, vcc
	v_cmp_gt_u32_e32 vcc, s3, v2
	v_mov_b64_e32 v[42:43], v[40:41]
	v_mov_b64_e32 v[44:45], v[40:41]
	;; [unrolled: 1-line block ×6, first 2 shown]
                                        ; implicit-def: $sgpr44_sgpr45
                                        ; implicit-def: $vgpr3
	s_and_saveexec_b64 s[40:41], vcc
	s_cbranch_execz .LBB1245_106
; %bb.93:
	ds_read2_b32 v[56:57], v1 offset0:15 offset1:16
	v_add_u32_e32 v2, 16, v73
	v_cmp_ne_u32_e32 vcc, v54, v55
	v_mov_b64_e32 v[42:43], 0
	s_mov_b64 s[46:47], 0
	v_cndmask_b32_e64 v41, 0, 1, vcc
	v_cmp_gt_u32_e32 vcc, s3, v2
	s_waitcnt lgkmcnt(0)
	v_mov_b32_e32 v40, v56
	v_mov_b64_e32 v[44:45], v[42:43]
	v_mov_b64_e32 v[46:47], v[42:43]
	;; [unrolled: 1-line block ×5, first 2 shown]
                                        ; implicit-def: $sgpr44_sgpr45
                                        ; implicit-def: $vgpr3
	s_and_saveexec_b64 s[42:43], vcc
	s_cbranch_execz .LBB1245_105
; %bb.94:
	v_add_u32_e32 v2, 17, v73
	v_cmp_ne_u32_e32 vcc, v55, v8
	v_mov_b64_e32 v[44:45], 0
	v_mov_b32_e32 v42, v57
	v_cndmask_b32_e64 v43, 0, 1, vcc
	v_cmp_gt_u32_e32 vcc, s3, v2
	v_mov_b64_e32 v[46:47], v[44:45]
	v_mov_b64_e32 v[48:49], v[44:45]
	;; [unrolled: 1-line block ×4, first 2 shown]
                                        ; implicit-def: $sgpr48_sgpr49
                                        ; implicit-def: $vgpr3
	s_and_saveexec_b64 s[44:45], vcc
	s_cbranch_execz .LBB1245_104
; %bb.95:
	ds_read2_b32 v[54:55], v1 offset0:17 offset1:18
	v_add_u32_e32 v2, 18, v73
	v_cmp_ne_u32_e32 vcc, v8, v9
	v_mov_b64_e32 v[46:47], 0
	s_mov_b64 s[50:51], 0
	v_cndmask_b32_e64 v45, 0, 1, vcc
	v_cmp_gt_u32_e32 vcc, s3, v2
	s_waitcnt lgkmcnt(0)
	v_mov_b32_e32 v44, v54
	v_mov_b64_e32 v[48:49], v[46:47]
	v_mov_b64_e32 v[50:51], v[46:47]
	;; [unrolled: 1-line block ×3, first 2 shown]
                                        ; implicit-def: $sgpr48_sgpr49
                                        ; implicit-def: $vgpr3
	s_and_saveexec_b64 s[46:47], vcc
	s_cbranch_execz .LBB1245_103
; %bb.96:
	v_add_u32_e32 v2, 19, v73
	v_cmp_ne_u32_e32 vcc, v9, v6
	v_mov_b64_e32 v[48:49], 0
	v_mov_b32_e32 v46, v55
	v_cndmask_b32_e64 v47, 0, 1, vcc
	v_cmp_gt_u32_e32 vcc, s3, v2
	v_mov_b64_e32 v[50:51], v[48:49]
	v_mov_b64_e32 v[52:53], v[48:49]
                                        ; implicit-def: $sgpr60_sgpr61
                                        ; implicit-def: $vgpr3
	s_and_saveexec_b64 s[48:49], vcc
	s_cbranch_execz .LBB1245_102
; %bb.97:
	ds_read2_b32 v[8:9], v1 offset0:19 offset1:20
	v_add_u32_e32 v2, 20, v73
	v_cmp_ne_u32_e32 vcc, v6, v7
	v_mov_b64_e32 v[50:51], 0
	s_mov_b64 s[60:61], 0
	v_cndmask_b32_e64 v49, 0, 1, vcc
	v_cmp_gt_u32_e32 vcc, s3, v2
	s_waitcnt lgkmcnt(0)
	v_mov_b32_e32 v48, v8
	v_mov_b64_e32 v[52:53], v[50:51]
                                        ; implicit-def: $sgpr78_sgpr79
                                        ; implicit-def: $vgpr3
	s_and_saveexec_b64 s[50:51], vcc
	s_cbranch_execz .LBB1245_101
; %bb.98:
	v_add_u32_e32 v2, 21, v73
	v_cmp_ne_u32_e32 vcc, v7, v4
	v_mov_b32_e32 v50, v9
	v_mov_b64_e32 v[52:53], 0
	v_cndmask_b32_e64 v51, 0, 1, vcc
	v_cmp_gt_u32_e32 vcc, s3, v2
                                        ; implicit-def: $sgpr78_sgpr79
                                        ; implicit-def: $vgpr3
	s_and_saveexec_b64 s[4:5], vcc
	s_xor_b64 s[80:81], exec, s[4:5]
	s_cbranch_execz .LBB1245_100
; %bb.99:
	ds_read2_b32 v[2:3], v1 offset0:21 offset1:22
	v_add_u32_e32 v1, 22, v73
	v_cmp_ne_u32_e64 s[4:5], v4, v5
	v_cmp_ne_u32_e32 vcc, v5, v72
	s_and_b64 s[78:79], vcc, exec
	v_cndmask_b32_e64 v53, 0, 1, s[4:5]
	v_cmp_gt_u32_e64 s[4:5], s3, v1
	s_waitcnt lgkmcnt(0)
	v_mov_b32_e32 v52, v2
	s_and_b64 s[60:61], s[4:5], exec
.LBB1245_100:
	s_or_b64 exec, exec, s[80:81]
	s_and_b64 s[78:79], s[78:79], exec
	s_and_b64 s[4:5], s[60:61], exec
.LBB1245_101:
	s_or_b64 exec, exec, s[50:51]
	s_and_b64 s[60:61], s[78:79], exec
	s_and_b64 s[50:51], s[4:5], exec
.LBB1245_102:
	s_or_b64 exec, exec, s[48:49]
	s_and_b64 s[48:49], s[60:61], exec
	s_and_b64 s[4:5], s[50:51], exec
.LBB1245_103:
	s_or_b64 exec, exec, s[46:47]
	s_and_b64 s[48:49], s[48:49], exec
	s_and_b64 s[46:47], s[4:5], exec
.LBB1245_104:
	s_or_b64 exec, exec, s[44:45]
	s_and_b64 s[44:45], s[48:49], exec
	s_and_b64 s[4:5], s[46:47], exec
.LBB1245_105:
	s_or_b64 exec, exec, s[42:43]
	s_and_b64 s[44:45], s[44:45], exec
	s_and_b64 s[42:43], s[4:5], exec
.LBB1245_106:
	s_or_b64 exec, exec, s[40:41]
	s_and_b64 s[40:41], s[44:45], exec
	s_and_b64 s[4:5], s[42:43], exec
.LBB1245_107:
	s_or_b64 exec, exec, s[38:39]
	s_and_b64 s[40:41], s[40:41], exec
	s_and_b64 s[38:39], s[4:5], exec
.LBB1245_108:
	s_or_b64 exec, exec, s[36:37]
	s_and_b64 s[36:37], s[40:41], exec
	s_and_b64 s[4:5], s[38:39], exec
.LBB1245_109:
	s_or_b64 exec, exec, s[34:35]
	s_and_b64 s[36:37], s[36:37], exec
	s_and_b64 s[34:35], s[4:5], exec
.LBB1245_110:
	s_or_b64 exec, exec, s[30:31]
	s_and_b64 s[30:31], s[36:37], exec
	s_and_b64 s[4:5], s[34:35], exec
.LBB1245_111:
	s_or_b64 exec, exec, s[28:29]
	s_and_b64 s[30:31], s[30:31], exec
	s_and_b64 s[28:29], s[4:5], exec
.LBB1245_112:
	s_or_b64 exec, exec, s[26:27]
	s_and_b64 s[26:27], s[30:31], exec
	s_and_b64 s[4:5], s[28:29], exec
.LBB1245_113:
	s_or_b64 exec, exec, s[24:25]
	s_and_b64 s[26:27], s[26:27], exec
	s_and_b64 s[24:25], s[4:5], exec
.LBB1245_114:
	s_or_b64 exec, exec, s[22:23]
	s_and_b64 s[22:23], s[26:27], exec
	s_and_b64 s[4:5], s[24:25], exec
.LBB1245_115:
	s_or_b64 exec, exec, s[20:21]
	s_and_b64 s[22:23], s[22:23], exec
	s_and_b64 s[20:21], s[4:5], exec
.LBB1245_116:
	s_or_b64 exec, exec, s[18:19]
	s_and_b64 s[18:19], s[22:23], exec
	s_and_b64 s[4:5], s[20:21], exec
.LBB1245_117:
	s_or_b64 exec, exec, s[16:17]
	s_and_b64 s[18:19], s[18:19], exec
	s_and_b64 s[16:17], s[4:5], exec
.LBB1245_118:
	s_or_b64 exec, exec, s[14:15]
	s_and_b64 s[14:15], s[18:19], exec
	s_and_b64 s[4:5], s[16:17], exec
.LBB1245_119:
	s_or_b64 exec, exec, s[12:13]
	s_and_b64 s[14:15], s[14:15], exec
	s_and_b64 s[12:13], s[4:5], exec
.LBB1245_120:
	s_or_b64 exec, exec, s[10:11]
	s_and_b64 s[4:5], s[14:15], exec
	s_and_b64 s[10:11], s[12:13], exec
.LBB1245_121:
	s_or_b64 exec, exec, s[8:9]
	s_mov_b64 s[8:9], 0
	s_and_b64 vcc, exec, s[6:7]
	v_lshlrev_b32_e32 v54, 2, v0
	s_cbranch_vccnz .LBB1245_123
	s_branch .LBB1245_131
.LBB1245_122:
                                        ; implicit-def: $sgpr4_sgpr5
                                        ; implicit-def: $vgpr3
                                        ; implicit-def: $vgpr10_vgpr11
                                        ; implicit-def: $vgpr12_vgpr13
                                        ; implicit-def: $vgpr14_vgpr15
                                        ; implicit-def: $vgpr16_vgpr17
                                        ; implicit-def: $vgpr18_vgpr19
                                        ; implicit-def: $vgpr20_vgpr21
                                        ; implicit-def: $vgpr22_vgpr23
                                        ; implicit-def: $vgpr24_vgpr25
                                        ; implicit-def: $vgpr26_vgpr27
                                        ; implicit-def: $vgpr28_vgpr29
                                        ; implicit-def: $vgpr30_vgpr31
                                        ; implicit-def: $vgpr32_vgpr33
                                        ; implicit-def: $vgpr34_vgpr35
                                        ; implicit-def: $vgpr36_vgpr37
                                        ; implicit-def: $vgpr38_vgpr39
                                        ; implicit-def: $vgpr40_vgpr41
                                        ; implicit-def: $vgpr42_vgpr43
                                        ; implicit-def: $vgpr44_vgpr45
                                        ; implicit-def: $vgpr46_vgpr47
                                        ; implicit-def: $vgpr48_vgpr49
                                        ; implicit-def: $vgpr50_vgpr51
                                        ; implicit-def: $vgpr52_vgpr53
                                        ; implicit-def: $sgpr8_sgpr9
	s_and_b64 vcc, exec, s[6:7]
	v_lshlrev_b32_e32 v54, 2, v0
	s_cbranch_vccz .LBB1245_131
.LBB1245_123:
	v_mov_b32_e32 v55, 0
	v_lshl_add_u64 v[2:3], s[54:55], 0, v[54:55]
	v_add_co_u32_e32 v4, vcc, 0x1000, v2
	s_movk_i32 s3, 0x58
	s_nop 0
	v_addc_co_u32_e32 v5, vcc, 0, v3, vcc
	flat_load_dword v8, v[2:3]
	flat_load_dword v9, v[2:3] offset:1024
	s_waitcnt lgkmcnt(0)
	flat_load_dword v10, v[2:3] offset:2048
	flat_load_dword v11, v[2:3] offset:3072
	flat_load_dword v12, v[4:5]
	flat_load_dword v13, v[4:5] offset:1024
	flat_load_dword v14, v[4:5] offset:2048
	;; [unrolled: 1-line block ×3, first 2 shown]
	v_add_co_u32_e32 v4, vcc, 0x2000, v2
	v_mad_u32_u24 v1, v0, s3, v54
	s_nop 0
	v_addc_co_u32_e32 v5, vcc, 0, v3, vcc
	v_add_co_u32_e32 v6, vcc, 0x3000, v2
	s_cmp_eq_u64 s[76:77], 0
	s_nop 0
	v_addc_co_u32_e32 v7, vcc, 0, v3, vcc
	flat_load_dword v16, v[4:5]
	flat_load_dword v17, v[4:5] offset:1024
	flat_load_dword v18, v[4:5] offset:2048
	;; [unrolled: 1-line block ×3, first 2 shown]
	flat_load_dword v20, v[6:7]
	flat_load_dword v21, v[6:7] offset:1024
	flat_load_dword v22, v[6:7] offset:2048
	;; [unrolled: 1-line block ×3, first 2 shown]
	v_add_co_u32_e32 v4, vcc, 0x4000, v2
	s_nop 1
	v_addc_co_u32_e32 v5, vcc, 0, v3, vcc
	v_add_co_u32_e32 v2, vcc, 0x5000, v2
	s_nop 1
	v_addc_co_u32_e32 v3, vcc, 0, v3, vcc
	flat_load_dword v6, v[4:5]
	flat_load_dword v7, v[4:5] offset:1024
	flat_load_dword v24, v[4:5] offset:2048
	;; [unrolled: 1-line block ×3, first 2 shown]
	flat_load_dword v26, v[2:3]
	flat_load_dword v27, v[2:3] offset:1024
	flat_load_dword v28, v[2:3] offset:2048
	s_waitcnt vmcnt(0)
	ds_write2st64_b32 v54, v8, v9 offset1:4
	s_waitcnt lgkmcnt(0)
	ds_write2st64_b32 v54, v10, v11 offset0:8 offset1:12
	ds_write2st64_b32 v54, v12, v13 offset0:16 offset1:20
	;; [unrolled: 1-line block ×10, first 2 shown]
	ds_write_b32 v54, v28 offset:22528
	s_waitcnt lgkmcnt(0)
	s_barrier
	ds_read2_b32 v[2:3], v1 offset1:1
	ds_read2_b32 v[18:19], v1 offset0:2 offset1:3
	ds_read2_b32 v[22:23], v1 offset0:4 offset1:5
	;; [unrolled: 1-line block ×10, first 2 shown]
	ds_read_b32 v10, v1 offset:88
	s_cbranch_scc1 .LBB1245_128
; %bb.124:
	s_andn2_b64 vcc, exec, s[64:65]
	s_cbranch_vccnz .LBB1245_268
; %bb.125:
	s_lshl_b64 s[4:5], s[76:77], 2
	s_add_u32 s3, s66, s4
	s_addc_u32 s5, s67, s5
	s_add_u32 s4, s3, -4
	s_addc_u32 s5, s5, -1
	s_cbranch_execnz .LBB1245_127
.LBB1245_126:
	s_add_u32 s4, s54, -4
	s_addc_u32 s5, s55, -1
.LBB1245_127:
	s_mov_b64 s[54:55], s[4:5]
.LBB1245_128:
	v_mov_b64_e32 v[12:13], s[54:55]
	flat_load_dword v11, v[12:13]
	s_movk_i32 s3, 0xffa8
	v_mad_i32_i24 v12, v0, s3, v1
	v_cmp_ne_u32_e32 vcc, 0, v0
	s_waitcnt lgkmcnt(0)
	ds_write_b32 v12, v10 offset:23552
	s_waitcnt lgkmcnt(0)
	s_barrier
	s_and_saveexec_b64 s[4:5], vcc
	s_cbranch_execz .LBB1245_130
; %bb.129:
	s_waitcnt vmcnt(0)
	v_mul_i32_i24_e32 v11, 0xffffffa8, v0
	v_add_u32_e32 v11, v1, v11
	ds_read_b32 v11, v11 offset:23548
.LBB1245_130:
	s_or_b64 exec, exec, s[4:5]
	v_mov_b32_e32 v55, 0
	v_lshl_add_u64 v[12:13], s[52:53], 0, v[54:55]
	s_movk_i32 s3, 0x1000
	v_add_co_u32_e32 v14, vcc, s3, v12
	s_movk_i32 s3, 0x2000
	s_nop 0
	v_addc_co_u32_e32 v15, vcc, 0, v13, vcc
	s_waitcnt lgkmcnt(0)
	s_barrier
	flat_load_dword v20, v[12:13]
	flat_load_dword v21, v[12:13] offset:1024
	flat_load_dword v24, v[12:13] offset:2048
	;; [unrolled: 1-line block ×3, first 2 shown]
	flat_load_dword v28, v[14:15]
	flat_load_dword v29, v[14:15] offset:1024
	flat_load_dword v32, v[14:15] offset:2048
	;; [unrolled: 1-line block ×3, first 2 shown]
	v_add_co_u32_e32 v14, vcc, s3, v12
	s_movk_i32 s3, 0x3000
	s_nop 0
	v_addc_co_u32_e32 v15, vcc, 0, v13, vcc
	v_add_co_u32_e32 v16, vcc, s3, v12
	s_movk_i32 s3, 0x4000
	s_nop 0
	v_addc_co_u32_e32 v17, vcc, 0, v13, vcc
	flat_load_dword v36, v[14:15]
	flat_load_dword v37, v[14:15] offset:1024
	flat_load_dword v40, v[14:15] offset:2048
	;; [unrolled: 1-line block ×3, first 2 shown]
	flat_load_dword v44, v[16:17]
	flat_load_dword v45, v[16:17] offset:1024
	flat_load_dword v46, v[16:17] offset:2048
	;; [unrolled: 1-line block ×3, first 2 shown]
	v_add_co_u32_e32 v14, vcc, s3, v12
	s_movk_i32 s3, 0x5000
	s_nop 0
	v_addc_co_u32_e32 v15, vcc, 0, v13, vcc
	v_add_co_u32_e32 v12, vcc, s3, v12
	v_cmp_ne_u32_e64 s[4:5], v5, v10
	s_nop 0
	v_addc_co_u32_e32 v13, vcc, 0, v13, vcc
	flat_load_dword v16, v[14:15]
	flat_load_dword v17, v[14:15] offset:1024
	flat_load_dword v48, v[14:15] offset:2048
	;; [unrolled: 1-line block ×3, first 2 shown]
	flat_load_dword v50, v[12:13]
	flat_load_dword v51, v[12:13] offset:1024
	flat_load_dword v52, v[12:13] offset:2048
	s_waitcnt vmcnt(0)
	v_cmp_ne_u32_e32 vcc, v11, v2
	s_mov_b64 s[10:11], -1
                                        ; implicit-def: $sgpr8_sgpr9
	s_waitcnt lgkmcnt(0)
	ds_write2st64_b32 v54, v20, v21 offset1:4
	ds_write2st64_b32 v54, v24, v25 offset0:8 offset1:12
	ds_write2st64_b32 v54, v28, v29 offset0:16 offset1:20
	ds_write2st64_b32 v54, v32, v33 offset0:24 offset1:28
	ds_write2st64_b32 v54, v36, v37 offset0:32 offset1:36
	ds_write2st64_b32 v54, v40, v41 offset0:40 offset1:44
	ds_write2st64_b32 v54, v44, v45 offset0:48 offset1:52
	ds_write2st64_b32 v54, v46, v47 offset0:56 offset1:60
	ds_write2st64_b32 v54, v16, v17 offset0:64 offset1:68
	ds_write2st64_b32 v54, v48, v49 offset0:72 offset1:76
	ds_write2st64_b32 v54, v50, v51 offset0:80 offset1:84
	ds_write_b32 v54, v52 offset:22528
	v_cndmask_b32_e64 v11, 0, 1, vcc
	v_cmp_ne_u32_e32 vcc, v2, v3
	s_waitcnt lgkmcnt(0)
	s_barrier
	v_cndmask_b32_e64 v13, 0, 1, vcc
	v_cmp_ne_u32_e32 vcc, v3, v18
	ds_read2_b32 v[16:17], v1 offset1:1
	ds_read2_b32 v[20:21], v1 offset0:2 offset1:3
	ds_read2_b32 v[24:25], v1 offset0:4 offset1:5
	;; [unrolled: 1-line block ×10, first 2 shown]
	ds_read_b32 v3, v1 offset:88
	v_cndmask_b32_e64 v15, 0, 1, vcc
	v_cmp_ne_u32_e32 vcc, v18, v19
	s_waitcnt lgkmcnt(11)
	v_mov_b32_e32 v12, v17
	v_mov_b32_e32 v10, v16
	v_cndmask_b32_e64 v17, 0, 1, vcc
	v_cmp_ne_u32_e32 vcc, v19, v22
	s_waitcnt lgkmcnt(10)
	v_mov_b32_e32 v16, v21
	v_mov_b32_e32 v14, v20
	v_cndmask_b32_e64 v19, 0, 1, vcc
	v_cmp_ne_u32_e32 vcc, v22, v23
	s_waitcnt lgkmcnt(9)
	v_mov_b32_e32 v20, v25
	v_mov_b32_e32 v18, v24
	v_cndmask_b32_e64 v21, 0, 1, vcc
	v_cmp_ne_u32_e32 vcc, v23, v26
	s_waitcnt lgkmcnt(8)
	v_mov_b32_e32 v24, v29
	v_mov_b32_e32 v22, v28
	v_cndmask_b32_e64 v23, 0, 1, vcc
	v_cmp_ne_u32_e32 vcc, v26, v27
	s_waitcnt lgkmcnt(7)
	v_mov_b32_e32 v28, v33
	v_mov_b32_e32 v26, v32
	v_cndmask_b32_e64 v25, 0, 1, vcc
	v_cmp_ne_u32_e32 vcc, v27, v30
	s_waitcnt lgkmcnt(6)
	v_mov_b32_e32 v32, v37
	s_waitcnt lgkmcnt(2)
	v_mov_b32_e32 v48, v51
	v_cndmask_b32_e64 v27, 0, 1, vcc
	v_cmp_ne_u32_e32 vcc, v30, v31
	v_mov_b32_e32 v30, v36
	v_mov_b32_e32 v36, v41
	v_cndmask_b32_e64 v29, 0, 1, vcc
	v_cmp_ne_u32_e32 vcc, v31, v34
	s_waitcnt lgkmcnt(1)
	v_mov_b32_e32 v52, v57
	v_cndmask_b32_e64 v31, 0, 1, vcc
	v_cmp_ne_u32_e32 vcc, v34, v35
	v_mov_b32_e32 v34, v40
	v_mov_b32_e32 v40, v45
	v_cndmask_b32_e64 v33, 0, 1, vcc
	v_cmp_ne_u32_e32 vcc, v35, v38
	s_nop 1
	v_cndmask_b32_e64 v35, 0, 1, vcc
	v_cmp_ne_u32_e32 vcc, v38, v39
	v_mov_b32_e32 v38, v44
	v_mov_b32_e32 v44, v47
	v_cndmask_b32_e64 v37, 0, 1, vcc
	v_cmp_ne_u32_e32 vcc, v39, v42
	s_nop 1
	v_cndmask_b32_e64 v39, 0, 1, vcc
	v_cmp_ne_u32_e32 vcc, v42, v43
	v_mov_b32_e32 v42, v46
	v_mov_b32_e32 v46, v50
	v_cndmask_b32_e64 v41, 0, 1, vcc
	v_cmp_ne_u32_e32 vcc, v43, v8
	v_mov_b32_e32 v50, v56
	s_nop 0
	v_cndmask_b32_e64 v43, 0, 1, vcc
	v_cmp_ne_u32_e32 vcc, v8, v9
	s_nop 1
	v_cndmask_b32_e64 v45, 0, 1, vcc
	v_cmp_ne_u32_e32 vcc, v9, v6
	;; [unrolled: 3-line block ×5, first 2 shown]
	s_nop 1
	v_cndmask_b32_e64 v53, 0, 1, vcc
.LBB1245_131:
	v_mov_b64_e32 v[56:57], s[8:9]
	s_and_saveexec_b64 s[6:7], s[10:11]
	s_cbranch_execz .LBB1245_133
; %bb.132:
	v_cndmask_b32_e64 v57, 0, 1, s[4:5]
	s_waitcnt lgkmcnt(0)
	v_mov_b32_e32 v56, v3
.LBB1245_133:
	s_or_b64 exec, exec, s[6:7]
	s_mov_b32 s46, 0
	s_cmp_lg_u32 s2, 0
	v_or_b32_e32 v55, v57, v53
	v_lshrrev_b32_e32 v1, 5, v0
	v_cmp_gt_u32_e32 vcc, 64, v0
	s_waitcnt lgkmcnt(0)
	s_barrier
	s_cbranch_scc0 .LBB1245_172
; %bb.134:
	s_mov_b32 s47, 1
	v_cmp_gt_u64_e64 s[52:53], s[46:47], v[12:13]
	v_cmp_gt_u64_e64 s[4:5], s[46:47], v[14:15]
	v_cmp_gt_u64_e64 s[6:7], s[46:47], v[16:17]
	v_cndmask_b32_e64 v2, 0, v10, s[52:53]
	v_add_u32_e32 v2, v2, v12
	v_cndmask_b32_e64 v2, 0, v2, s[4:5]
	v_add_u32_e32 v2, v2, v14
	v_cndmask_b32_e64 v2, 0, v2, s[6:7]
	v_add_u32_e32 v2, v2, v16
	v_cmp_gt_u64_e64 s[8:9], s[46:47], v[18:19]
	v_cmp_gt_u64_e64 s[10:11], s[46:47], v[20:21]
	v_cmp_gt_u64_e64 s[12:13], s[46:47], v[22:23]
	v_cndmask_b32_e64 v2, 0, v2, s[8:9]
	v_add_u32_e32 v2, v2, v18
	v_cndmask_b32_e64 v2, 0, v2, s[10:11]
	v_add_u32_e32 v2, v2, v20
	v_cndmask_b32_e64 v2, 0, v2, s[12:13]
	v_add_u32_e32 v2, v2, v22
	;; [unrolled: 9-line block ×7, first 2 shown]
	v_cmp_gt_u64_e64 s[46:47], s[46:47], v[56:57]
	s_nop 1
	v_cndmask_b32_e64 v2, 0, v2, s[46:47]
	v_add_u32_e32 v62, v2, v56
	v_or3_b32 v2, v55, v51, v49
	v_or3_b32 v2, v2, v47, v45
	;; [unrolled: 1-line block ×10, first 2 shown]
	v_and_b32_e32 v2, 1, v2
	v_cmp_eq_u32_e64 s[48:49], 1, v2
	v_add_lshl_u32 v2, v1, v0, 3
	s_nop 0
	v_cndmask_b32_e64 v63, v11, 1, s[48:49]
	ds_write_b32 v2, v62
	ds_write_b8 v2, v63 offset:4
	s_waitcnt lgkmcnt(0)
	s_barrier
	s_and_saveexec_b64 s[50:51], vcc
	s_cbranch_execz .LBB1245_146
; %bb.135:
	v_lshrrev_b32_e32 v2, 3, v0
	v_add_lshl_u32 v4, v2, v54, 3
	ds_read2_b32 v[6:7], v4 offset0:2 offset1:4
	ds_read_b64 v[2:3], v4
	ds_read_u8 v8, v4 offset:12
	ds_read_u8 v9, v4 offset:20
	ds_read_b32 v58, v4 offset:24
	ds_read_u8 v59, v4 offset:28
	v_mov_b32_e32 v60, 0
	s_waitcnt lgkmcnt(3)
	v_cmp_eq_u16_sdwa s[48:49], v8, v60 src0_sel:BYTE_0 src1_sel:DWORD
	v_and_b32_e32 v5, 1, v3
	s_nop 0
	v_cndmask_b32_e64 v61, 0, v2, s[48:49]
	v_add_u32_e32 v6, v61, v6
	s_waitcnt lgkmcnt(2)
	v_cmp_eq_u16_sdwa s[48:49], v9, v60 src0_sel:BYTE_0 src1_sel:DWORD
	s_nop 1
	v_cndmask_b32_e64 v6, 0, v6, s[48:49]
	v_add_u32_e32 v6, v6, v7
	s_waitcnt lgkmcnt(0)
	v_cmp_eq_u16_e64 s[48:49], 0, v59
	s_nop 1
	v_cndmask_b32_e64 v6, 0, v6, s[48:49]
	v_add_u32_e32 v7, v6, v58
	v_or_b32_e32 v6, v59, v9
	v_or_b32_e32 v6, v6, v8
	v_and_b32_e32 v6, 1, v6
	v_cmp_eq_u32_e64 s[48:49], 1, v6
	v_mbcnt_lo_u32_b32 v8, -1, 0
	v_and_b32_e32 v6, 0xffffff00, v3
	v_cndmask_b32_e64 v9, v5, 1, s[48:49]
	v_mbcnt_hi_u32_b32 v8, -1, v8
	v_and_b32_e32 v59, 15, v8
	v_or_b32_sdwa v58, v6, v9 dst_sel:DWORD dst_unused:UNUSED_PAD src0_sel:DWORD src1_sel:WORD_0
	v_mov_b32_dpp v60, v7 row_shr:1 row_mask:0xf bank_mask:0xf
	v_cmp_ne_u32_e64 s[48:49], 0, v59
	v_mov_b32_dpp v61, v58 row_shr:1 row_mask:0xf bank_mask:0xf
	s_and_saveexec_b64 s[54:55], s[48:49]
; %bb.136:
	v_and_b32_e32 v58, 1, v9
	v_and_b32_e32 v61, 1, v61
	v_cmp_eq_u32_e64 s[48:49], 1, v58
	s_nop 1
	v_cndmask_b32_e64 v61, v61, 1, s[48:49]
	v_cmp_eq_u16_e64 s[48:49], 0, v9
	v_or_b32_sdwa v58, v6, v61 dst_sel:DWORD dst_unused:UNUSED_PAD src0_sel:DWORD src1_sel:WORD_0
	s_nop 0
	v_cndmask_b32_e64 v9, 0, v60, s[48:49]
	v_add_u32_e32 v7, v9, v7
	v_mov_b32_e32 v9, v61
; %bb.137:
	s_or_b64 exec, exec, s[54:55]
	v_mov_b32_dpp v60, v7 row_shr:2 row_mask:0xf bank_mask:0xf
	v_mov_b32_dpp v61, v58 row_shr:2 row_mask:0xf bank_mask:0xf
	v_cmp_lt_u32_e64 s[48:49], 1, v59
	s_and_saveexec_b64 s[54:55], s[48:49]
; %bb.138:
	v_and_b32_e32 v58, 1, v9
	v_and_b32_e32 v61, 1, v61
	v_cmp_eq_u32_e64 s[48:49], 1, v58
	s_nop 1
	v_cndmask_b32_e64 v61, v61, 1, s[48:49]
	v_cmp_eq_u16_e64 s[48:49], 0, v9
	v_or_b32_sdwa v58, v6, v61 dst_sel:DWORD dst_unused:UNUSED_PAD src0_sel:DWORD src1_sel:WORD_0
	s_nop 0
	v_cndmask_b32_e64 v9, 0, v60, s[48:49]
	v_add_u32_e32 v7, v9, v7
	v_mov_b32_e32 v9, v61
; %bb.139:
	s_or_b64 exec, exec, s[54:55]
	v_mov_b32_dpp v60, v7 row_shr:4 row_mask:0xf bank_mask:0xf
	v_mov_b32_dpp v61, v58 row_shr:4 row_mask:0xf bank_mask:0xf
	v_cmp_lt_u32_e64 s[48:49], 3, v59
	s_and_saveexec_b64 s[54:55], s[48:49]
; %bb.140:
	v_and_b32_e32 v58, 1, v9
	v_and_b32_e32 v61, 1, v61
	v_cmp_eq_u32_e64 s[48:49], 1, v58
	s_nop 1
	v_cndmask_b32_e64 v61, v61, 1, s[48:49]
	v_cmp_eq_u16_e64 s[48:49], 0, v9
	v_or_b32_sdwa v58, v6, v61 dst_sel:DWORD dst_unused:UNUSED_PAD src0_sel:DWORD src1_sel:WORD_0
	s_nop 0
	v_cndmask_b32_e64 v9, 0, v60, s[48:49]
	v_add_u32_e32 v7, v9, v7
	v_mov_b32_e32 v9, v61
; %bb.141:
	s_or_b64 exec, exec, s[54:55]
	v_mov_b32_dpp v60, v7 row_shr:8 row_mask:0xf bank_mask:0xf
	v_mov_b32_dpp v61, v58 row_shr:8 row_mask:0xf bank_mask:0xf
	v_cmp_lt_u32_e64 s[48:49], 7, v59
	s_and_saveexec_b64 s[54:55], s[48:49]
; %bb.142:
	v_and_b32_e32 v58, 1, v9
	v_and_b32_e32 v59, 1, v61
	v_cmp_eq_u32_e64 s[48:49], 1, v58
	s_nop 1
	v_cndmask_b32_e64 v59, v59, 1, s[48:49]
	v_cmp_eq_u16_e64 s[48:49], 0, v9
	v_or_b32_sdwa v58, v6, v59 dst_sel:DWORD dst_unused:UNUSED_PAD src0_sel:DWORD src1_sel:WORD_0
	s_nop 0
	v_cndmask_b32_e64 v9, 0, v60, s[48:49]
	v_add_u32_e32 v7, v9, v7
	v_mov_b32_e32 v9, v59
; %bb.143:
	s_or_b64 exec, exec, s[54:55]
	v_and_b32_e32 v61, 16, v8
	v_mov_b32_dpp v59, v7 row_bcast:15 row_mask:0xf bank_mask:0xf
	v_mov_b32_dpp v60, v58 row_bcast:15 row_mask:0xf bank_mask:0xf
	v_cmp_ne_u32_e64 s[48:49], 0, v61
	s_and_saveexec_b64 s[54:55], s[48:49]
; %bb.144:
	v_and_b32_e32 v58, 1, v9
	v_and_b32_e32 v60, 1, v60
	v_cmp_eq_u32_e64 s[48:49], 1, v58
	s_nop 1
	v_cndmask_b32_e64 v60, v60, 1, s[48:49]
	v_cmp_eq_u16_e64 s[48:49], 0, v9
	v_or_b32_sdwa v58, v6, v60 dst_sel:DWORD dst_unused:UNUSED_PAD src0_sel:DWORD src1_sel:WORD_0
	s_nop 0
	v_cndmask_b32_e64 v9, 0, v59, s[48:49]
	v_add_u32_e32 v7, v9, v7
	v_mov_b32_e32 v9, v60
; %bb.145:
	s_or_b64 exec, exec, s[54:55]
	v_mov_b32_dpp v58, v58 row_bcast:31 row_mask:0xf bank_mask:0xf
	v_and_b32_e32 v60, 1, v9
	v_and_b32_e32 v58, 1, v58
	v_cmp_eq_u32_e64 s[48:49], 1, v60
	v_mov_b32_e32 v60, 0
	v_cmp_eq_u16_sdwa s[54:55], v9, v60 src0_sel:BYTE_0 src1_sel:DWORD
	v_cndmask_b32_e64 v58, v58, 1, s[48:49]
	v_cmp_lt_u32_e64 s[48:49], 31, v8
	v_mov_b32_dpp v59, v7 row_bcast:31 row_mask:0xf bank_mask:0xf
	s_movk_i32 s3, 0xff
	v_cndmask_b32_e64 v9, v9, v58, s[48:49]
	s_and_b64 s[48:49], s[48:49], s[54:55]
	v_cndmask_b32_e64 v58, 0, v59, s[48:49]
	v_add_u32_e32 v7, v58, v7
	v_add_u32_e32 v58, -1, v8
	v_and_b32_e32 v59, 64, v8
	v_cmp_lt_i32_e64 s[48:49], v58, v59
	v_and_or_b32 v6, v9, s3, v6
	s_nop 0
	v_cndmask_b32_e64 v8, v58, v8, s[48:49]
	v_lshlrev_b32_e32 v8, 2, v8
	ds_bpermute_b32 v7, v8, v7
	ds_bpermute_b32 v6, v8, v6
	v_cmp_eq_u16_sdwa s[48:49], v3, v60 src0_sel:BYTE_0 src1_sel:DWORD
	; wave barrier
	s_waitcnt lgkmcnt(1)
	s_nop 0
	v_cndmask_b32_e64 v3, 0, v7, s[48:49]
	v_add_u32_e32 v2, v3, v2
	s_waitcnt lgkmcnt(0)
	v_and_b32_e32 v3, 1, v6
	v_cmp_eq_u32_e64 s[48:49], 1, v5
	s_nop 1
	v_cndmask_b32_e64 v3, v3, 1, s[48:49]
	v_cmp_eq_u32_e64 s[48:49], 0, v0
	s_nop 1
	v_cndmask_b32_e64 v5, v2, v62, s[48:49]
	v_cndmask_b32_e64 v6, v3, v63, s[48:49]
	ds_write_b32 v4, v5
	ds_write_b8 v4, v6 offset:4
	; wave barrier
	ds_read_u8 v7, v4 offset:12
	ds_read2_b32 v[2:3], v4 offset0:2 offset1:4
	ds_read_u8 v8, v4 offset:20
	ds_read_b32 v9, v4 offset:24
	ds_read_u8 v58, v4 offset:28
	s_waitcnt lgkmcnt(4)
	v_cmp_eq_u16_e64 s[48:49], 0, v7
	s_nop 1
	v_cndmask_b32_e64 v5, 0, v5, s[48:49]
	s_waitcnt lgkmcnt(3)
	v_add_u32_e32 v2, v5, v2
	v_and_b32_e32 v5, 1, v7
	v_cmp_eq_u32_e64 s[48:49], 1, v5
	s_nop 1
	v_cndmask_b32_e64 v5, v6, 1, s[48:49]
	s_waitcnt lgkmcnt(2)
	v_cmp_eq_u16_e64 s[48:49], 0, v8
	ds_write_b8 v4, v5 offset:12
	s_nop 0
	v_cndmask_b32_e64 v6, 0, v2, s[48:49]
	v_add_u32_e32 v3, v6, v3
	v_and_b32_e32 v6, 1, v8
	v_cmp_eq_u32_e64 s[48:49], 1, v6
	s_nop 1
	v_cndmask_b32_e64 v5, v5, 1, s[48:49]
	s_waitcnt lgkmcnt(1)
	v_cmp_eq_u16_e64 s[48:49], 0, v58
	ds_write2_b32 v4, v2, v3 offset0:2 offset1:4
	ds_write_b8 v4, v5 offset:20
	v_cndmask_b32_e64 v2, 0, v3, s[48:49]
	v_and_b32_e32 v3, 1, v58
	v_add_u32_e32 v2, v2, v9
	v_cmp_eq_u32_e64 s[48:49], 1, v3
	s_nop 1
	v_cndmask_b32_e64 v3, v5, 1, s[48:49]
	ds_write_b32 v4, v2 offset:24
	ds_write_b8 v4, v3 offset:28
.LBB1245_146:
	s_or_b64 exec, exec, s[50:51]
	v_cmp_eq_u32_e64 s[48:49], 0, v0
	v_cmp_ne_u32_e64 s[50:51], 0, v0
	s_waitcnt lgkmcnt(0)
	s_barrier
	s_and_saveexec_b64 s[54:55], s[50:51]
	s_cbranch_execz .LBB1245_148
; %bb.147:
	v_add_u32_e32 v2, -1, v0
	v_lshrrev_b32_e32 v3, 5, v2
	v_add_lshl_u32 v2, v3, v2, 3
	ds_read_b32 v62, v2
	ds_read_u8 v63, v2 offset:4
.LBB1245_148:
	s_or_b64 exec, exec, s[54:55]
	s_and_saveexec_b64 s[60:61], vcc
	s_cbranch_execz .LBB1245_171
; %bb.149:
	v_mov_b32_e32 v5, 0
	ds_read_b64 v[2:3], v5 offset:2096
	v_mbcnt_lo_u32_b32 v4, -1, 0
	v_mbcnt_hi_u32_b32 v73, -1, v4
	s_mov_b32 s65, 0
	v_cmp_eq_u32_e64 s[50:51], 0, v73
	s_waitcnt lgkmcnt(0)
	v_readfirstlane_b32 s3, v3
	s_and_saveexec_b64 s[54:55], s[50:51]
	s_cbranch_execz .LBB1245_151
; %bb.150:
	s_add_i32 s64, s2, 64
	s_lshl_b64 s[66:67], s[64:65], 4
	s_add_u32 s66, s68, s66
	s_addc_u32 s67, s69, s67
	s_and_b32 s77, s3, 0xff000000
	s_mov_b32 s76, s65
	s_and_b32 s79, s3, 0xff0000
	s_mov_b32 s78, s65
	s_or_b64 s[76:77], s[78:79], s[76:77]
	s_and_b32 s79, s3, 0xff00
	s_or_b64 s[76:77], s[76:77], s[78:79]
	s_and_b32 s79, s3, 0xff
	s_or_b64 s[64:65], s[76:77], s[78:79]
	v_mov_b32_e32 v3, s65
	v_mov_b32_e32 v4, 1
	v_mov_b64_e32 v[6:7], s[66:67]
	;;#ASMSTART
	global_store_dwordx4 v[6:7], v[2:5] off sc1	
s_waitcnt vmcnt(0)
	;;#ASMEND
.LBB1245_151:
	s_or_b64 exec, exec, s[54:55]
	v_xad_u32 v58, v73, -1, s2
	v_add_u32_e32 v4, 64, v58
	v_lshl_add_u64 v[60:61], v[4:5], 4, s[68:69]
	;;#ASMSTART
	global_load_dwordx4 v[6:9], v[60:61] off sc1	
s_waitcnt vmcnt(0)
	;;#ASMEND
	s_nop 0
	v_and_b32_e32 v3, 0xff0000, v6
	v_and_b32_e32 v4, 0xff000000, v6
	;; [unrolled: 1-line block ×3, first 2 shown]
	v_or_b32_sdwa v3, v6, v3 dst_sel:DWORD dst_unused:UNUSED_PAD src0_sel:WORD_0 src1_sel:DWORD
	v_or3_b32 v7, 0, 0, v7
	v_or3_b32 v6, v3, v4, 0
	v_cmp_eq_u16_sdwa s[64:65], v8, v5 src0_sel:BYTE_0 src1_sel:DWORD
	s_and_saveexec_b64 s[54:55], s[64:65]
	s_cbranch_execz .LBB1245_157
; %bb.152:
	s_mov_b32 s66, 1
	s_mov_b64 s[64:65], 0
	v_mov_b32_e32 v3, 0
.LBB1245_153:                           ; =>This Loop Header: Depth=1
                                        ;     Child Loop BB1245_154 Depth 2
	s_max_u32 s67, s66, 1
.LBB1245_154:                           ;   Parent Loop BB1245_153 Depth=1
                                        ; =>  This Inner Loop Header: Depth=2
	s_add_i32 s67, s67, -1
	s_cmp_eq_u32 s67, 0
	s_sleep 1
	s_cbranch_scc0 .LBB1245_154
; %bb.155:                              ;   in Loop: Header=BB1245_153 Depth=1
	s_cmp_lt_u32 s66, 32
	s_cselect_b64 s[76:77], -1, 0
	s_cmp_lg_u64 s[76:77], 0
	s_addc_u32 s66, s66, 0
	;;#ASMSTART
	global_load_dwordx4 v[6:9], v[60:61] off sc1	
s_waitcnt vmcnt(0)
	;;#ASMEND
	s_nop 0
	v_cmp_ne_u16_sdwa s[76:77], v8, v3 src0_sel:BYTE_0 src1_sel:DWORD
	s_or_b64 s[64:65], s[76:77], s[64:65]
	s_andn2_b64 exec, exec, s[64:65]
	s_cbranch_execnz .LBB1245_153
; %bb.156:
	s_or_b64 exec, exec, s[64:65]
	v_and_b32_e32 v7, 0xff, v7
.LBB1245_157:
	s_or_b64 exec, exec, s[54:55]
	v_mov_b32_e32 v3, 2
	v_cmp_eq_u16_sdwa s[54:55], v8, v3 src0_sel:BYTE_0 src1_sel:DWORD
	v_lshlrev_b64 v[4:5], v73, -1
	v_and_b32_e32 v64, 63, v73
	v_and_b32_e32 v9, s55, v5
	v_or_b32_e32 v9, 0x80000000, v9
	v_and_b32_e32 v59, s54, v4
	v_ffbl_b32_e32 v9, v9
	v_add_u32_e32 v9, 32, v9
	v_ffbl_b32_e32 v59, v59
	v_cmp_ne_u32_e32 vcc, 63, v64
	v_min_u32_e32 v9, v59, v9
	s_mov_b32 s64, 0
	v_addc_co_u32_e32 v59, vcc, 0, v73, vcc
	v_lshlrev_b32_e32 v65, 2, v59
	ds_bpermute_b32 v59, v65, v7
	ds_bpermute_b32 v60, v65, v6
	v_and_b32_e32 v61, 1, v7
	s_mov_b32 s65, 1
	v_cmp_eq_u32_e32 vcc, 1, v61
	s_waitcnt lgkmcnt(1)
	v_and_b32_e32 v59, 1, v59
	v_cmp_lt_u32_e64 s[54:55], v64, v9
	v_cndmask_b32_e64 v59, v59, 1, vcc
	v_cmp_gt_u64_e32 vcc, s[64:65], v[6:7]
	s_and_b64 vcc, s[54:55], vcc
	v_and_b32_e32 v61, 0xffff, v59
	v_cndmask_b32_e64 v68, v7, v59, s[54:55]
	s_waitcnt lgkmcnt(0)
	v_cndmask_b32_e32 v59, 0, v60, vcc
	v_cmp_gt_u32_e32 vcc, 62, v64
	v_cndmask_b32_e64 v7, v7, v61, s[54:55]
	v_add_u32_e32 v6, v59, v6
	v_cndmask_b32_e64 v60, 0, 1, vcc
	v_lshlrev_b32_e32 v60, 1, v60
	v_add_lshl_u32 v66, v60, v73, 2
	ds_bpermute_b32 v60, v66, v7
	ds_bpermute_b32 v61, v66, v6
	v_and_b32_e32 v59, 1, v68
	v_cmp_eq_u32_e32 vcc, 1, v59
	v_mov_b32_e32 v59, 0
	s_waitcnt lgkmcnt(1)
	v_and_b32_e32 v60, 1, v60
	v_add_u32_e32 v67, 2, v64
	v_cndmask_b32_e64 v60, v60, 1, vcc
	v_cmp_eq_u16_sdwa vcc, v68, v59 src0_sel:BYTE_0 src1_sel:DWORD
	v_and_b32_e32 v69, 0xffff, v60
	v_add_u32_e32 v77, 32, v64
	s_waitcnt lgkmcnt(0)
	v_cndmask_b32_e32 v61, 0, v61, vcc
	v_cmp_gt_u32_e32 vcc, v67, v9
	s_nop 1
	v_cndmask_b32_e32 v60, v60, v68, vcc
	v_cndmask_b32_e64 v61, v61, 0, vcc
	v_cndmask_b32_e32 v7, v69, v7, vcc
	v_cmp_gt_u32_e32 vcc, 60, v64
	v_add_u32_e32 v6, v61, v6
	v_and_b32_e32 v71, 1, v60
	v_cndmask_b32_e64 v68, 0, 1, vcc
	v_lshlrev_b32_e32 v68, 2, v68
	v_add_lshl_u32 v68, v68, v73, 2
	ds_bpermute_b32 v70, v68, v7
	ds_bpermute_b32 v61, v68, v6
	v_cmp_eq_u32_e32 vcc, 1, v71
	v_add_u32_e32 v69, 4, v64
	s_waitcnt lgkmcnt(1)
	v_and_b32_e32 v70, 1, v70
	v_cndmask_b32_e64 v70, v70, 1, vcc
	v_cmp_eq_u16_sdwa vcc, v60, v59 src0_sel:BYTE_0 src1_sel:DWORD
	v_and_b32_e32 v71, 0xffff, v70
	s_waitcnt lgkmcnt(0)
	v_cndmask_b32_e32 v61, 0, v61, vcc
	v_cmp_gt_u32_e32 vcc, v69, v9
	s_nop 1
	v_cndmask_b32_e32 v60, v70, v60, vcc
	v_cndmask_b32_e64 v61, v61, 0, vcc
	v_cndmask_b32_e32 v7, v71, v7, vcc
	v_cmp_gt_u32_e32 vcc, 56, v64
	v_add_u32_e32 v6, v61, v6
	v_and_b32_e32 v74, 1, v60
	v_cndmask_b32_e64 v70, 0, 1, vcc
	v_lshlrev_b32_e32 v70, 3, v70
	v_add_lshl_u32 v70, v70, v73, 2
	ds_bpermute_b32 v72, v70, v7
	ds_bpermute_b32 v61, v70, v6
	v_cmp_eq_u32_e32 vcc, 1, v74
	v_add_u32_e32 v71, 8, v64
	s_waitcnt lgkmcnt(1)
	v_and_b32_e32 v72, 1, v72
	v_cndmask_b32_e64 v72, v72, 1, vcc
	v_cmp_eq_u16_sdwa vcc, v60, v59 src0_sel:BYTE_0 src1_sel:DWORD
	v_and_b32_e32 v74, 0xffff, v72
	;; [unrolled: 22-line block ×3, first 2 shown]
	s_waitcnt lgkmcnt(0)
	v_cndmask_b32_e32 v61, 0, v61, vcc
	v_cmp_gt_u32_e32 vcc, v74, v9
	s_nop 1
	v_cndmask_b32_e32 v60, v75, v60, vcc
	v_cndmask_b32_e64 v61, v61, 0, vcc
	v_cndmask_b32_e32 v7, v76, v7, vcc
	v_cmp_gt_u32_e32 vcc, 32, v64
	v_add_u32_e32 v6, v61, v6
	s_nop 0
	v_cndmask_b32_e64 v75, 0, 1, vcc
	v_lshlrev_b32_e32 v75, 5, v75
	v_add_lshl_u32 v76, v75, v73, 2
	ds_bpermute_b32 v7, v76, v7
	ds_bpermute_b32 v61, v76, v6
	v_and_b32_e32 v73, 1, v60
	v_cmp_eq_u32_e32 vcc, 1, v73
	s_waitcnt lgkmcnt(1)
	v_and_b32_e32 v7, 1, v7
	v_cndmask_b32_e64 v7, v7, 1, vcc
	v_cmp_eq_u16_sdwa vcc, v60, v59 src0_sel:BYTE_0 src1_sel:DWORD
	s_waitcnt lgkmcnt(0)
	s_nop 0
	v_cndmask_b32_e32 v61, 0, v61, vcc
	v_cmp_gt_u32_e32 vcc, v77, v9
	s_nop 1
	v_cndmask_b32_e64 v9, v61, 0, vcc
	v_cndmask_b32_e32 v7, v7, v60, vcc
	v_add_u32_e32 v6, v9, v6
	s_branch .LBB1245_159
.LBB1245_158:                           ;   in Loop: Header=BB1245_159 Depth=1
	s_or_b64 exec, exec, s[54:55]
	v_cmp_eq_u16_sdwa s[54:55], v8, v3 src0_sel:BYTE_0 src1_sel:DWORD
	ds_bpermute_b32 v61, v65, v7
	v_and_b32_e32 v78, 1, v7
	v_and_b32_e32 v9, s55, v5
	v_or_b32_e32 v9, 0x80000000, v9
	v_and_b32_e32 v60, s54, v4
	v_ffbl_b32_e32 v9, v9
	v_add_u32_e32 v9, 32, v9
	v_ffbl_b32_e32 v60, v60
	v_min_u32_e32 v9, v60, v9
	ds_bpermute_b32 v60, v65, v6
	s_waitcnt lgkmcnt(1)
	v_and_b32_e32 v61, 1, v61
	v_cmp_eq_u32_e32 vcc, 1, v78
	v_cmp_lt_u32_e64 s[54:55], v64, v9
	v_subrev_u32_e32 v58, 64, v58
	v_cndmask_b32_e64 v61, v61, 1, vcc
	v_cmp_gt_u64_e32 vcc, s[64:65], v[6:7]
	v_and_b32_e32 v78, 0xffff, v61
	v_cndmask_b32_e64 v61, v7, v61, s[54:55]
	v_cndmask_b32_e64 v7, v7, v78, s[54:55]
	s_and_b64 vcc, s[54:55], vcc
	ds_bpermute_b32 v78, v66, v7
	s_waitcnt lgkmcnt(1)
	v_cndmask_b32_e32 v60, 0, v60, vcc
	v_add_u32_e32 v6, v60, v6
	ds_bpermute_b32 v60, v66, v6
	v_and_b32_e32 v79, 1, v61
	s_waitcnt lgkmcnt(1)
	v_and_b32_e32 v78, 1, v78
	v_cmp_eq_u32_e32 vcc, 1, v79
	s_nop 1
	v_cndmask_b32_e64 v78, v78, 1, vcc
	v_cmp_eq_u16_sdwa vcc, v61, v59 src0_sel:BYTE_0 src1_sel:DWORD
	v_and_b32_e32 v79, 0xffff, v78
	s_waitcnt lgkmcnt(0)
	v_cndmask_b32_e32 v60, 0, v60, vcc
	v_cmp_gt_u32_e32 vcc, v67, v9
	s_nop 1
	v_cndmask_b32_e32 v7, v79, v7, vcc
	v_cndmask_b32_e32 v61, v78, v61, vcc
	ds_bpermute_b32 v78, v68, v7
	v_cndmask_b32_e64 v60, v60, 0, vcc
	v_add_u32_e32 v6, v60, v6
	ds_bpermute_b32 v60, v68, v6
	v_and_b32_e32 v79, 1, v61
	s_waitcnt lgkmcnt(1)
	v_and_b32_e32 v78, 1, v78
	v_cmp_eq_u32_e32 vcc, 1, v79
	s_nop 1
	v_cndmask_b32_e64 v78, v78, 1, vcc
	v_cmp_eq_u16_sdwa vcc, v61, v59 src0_sel:BYTE_0 src1_sel:DWORD
	v_and_b32_e32 v79, 0xffff, v78
	s_waitcnt lgkmcnt(0)
	v_cndmask_b32_e32 v60, 0, v60, vcc
	v_cmp_gt_u32_e32 vcc, v69, v9
	s_nop 1
	v_cndmask_b32_e32 v7, v79, v7, vcc
	v_cndmask_b32_e32 v61, v78, v61, vcc
	ds_bpermute_b32 v78, v70, v7
	v_cndmask_b32_e64 v60, v60, 0, vcc
	;; [unrolled: 18-line block ×3, first 2 shown]
	v_add_u32_e32 v6, v60, v6
	ds_bpermute_b32 v60, v72, v6
	v_and_b32_e32 v79, 1, v61
	s_waitcnt lgkmcnt(1)
	v_and_b32_e32 v78, 1, v78
	v_cmp_eq_u32_e32 vcc, 1, v79
	s_nop 1
	v_cndmask_b32_e64 v78, v78, 1, vcc
	v_cmp_eq_u16_sdwa vcc, v61, v59 src0_sel:BYTE_0 src1_sel:DWORD
	v_and_b32_e32 v79, 0xffff, v78
	s_waitcnt lgkmcnt(0)
	v_cndmask_b32_e32 v60, 0, v60, vcc
	v_cmp_gt_u32_e32 vcc, v74, v9
	s_nop 1
	v_cndmask_b32_e64 v60, v60, 0, vcc
	v_cndmask_b32_e32 v7, v79, v7, vcc
	ds_bpermute_b32 v7, v76, v7
	v_add_u32_e32 v6, v60, v6
	ds_bpermute_b32 v60, v76, v6
	v_cndmask_b32_e32 v61, v78, v61, vcc
	v_and_b32_e32 v78, 1, v61
	v_cmp_eq_u32_e32 vcc, 1, v78
	s_waitcnt lgkmcnt(1)
	s_nop 0
	v_cndmask_b32_e64 v7, v7, 1, vcc
	v_cmp_eq_u16_sdwa vcc, v61, v59 src0_sel:BYTE_0 src1_sel:DWORD
	s_waitcnt lgkmcnt(0)
	s_nop 0
	v_cndmask_b32_e32 v60, 0, v60, vcc
	v_cmp_gt_u32_e32 vcc, v77, v9
	s_nop 1
	v_cndmask_b32_e64 v9, v60, 0, vcc
	v_cndmask_b32_e32 v7, v7, v61, vcc
	v_add_u32_e32 v6, v9, v6
	v_cmp_eq_u16_sdwa vcc, v73, v59 src0_sel:BYTE_0 src1_sel:DWORD
	v_and_b32_e32 v9, 1, v73
	v_and_b32_e32 v7, 1, v7
	v_cndmask_b32_e32 v6, 0, v6, vcc
	v_cmp_eq_u32_e32 vcc, 1, v9
	v_add_u32_e32 v6, v6, v75
	s_nop 0
	v_cndmask_b32_e64 v7, v7, 1, vcc
.LBB1245_159:                           ; =>This Loop Header: Depth=1
                                        ;     Child Loop BB1245_162 Depth 2
                                        ;       Child Loop BB1245_163 Depth 3
	v_cmp_ne_u16_sdwa s[54:55], v8, v3 src0_sel:BYTE_0 src1_sel:DWORD
	v_mov_b32_e32 v73, v7
	v_mov_b32_e32 v75, v6
	v_cndmask_b32_e64 v7, 0, 1, s[54:55]
	;;#ASMSTART
	;;#ASMEND
	s_nop 0
	v_cmp_ne_u32_e32 vcc, 0, v7
	s_cmp_lg_u64 vcc, exec
	s_cbranch_scc1 .LBB1245_166
; %bb.160:                              ;   in Loop: Header=BB1245_159 Depth=1
	v_lshl_add_u64 v[60:61], v[58:59], 4, s[68:69]
	;;#ASMSTART
	global_load_dwordx4 v[6:9], v[60:61] off sc1	
s_waitcnt vmcnt(0)
	;;#ASMEND
	s_nop 0
	v_and_b32_e32 v9, 0xff0000, v6
	v_and_b32_e32 v78, 0xff000000, v6
	;; [unrolled: 1-line block ×3, first 2 shown]
	v_or_b32_sdwa v6, v6, v9 dst_sel:DWORD dst_unused:UNUSED_PAD src0_sel:WORD_0 src1_sel:DWORD
	v_or3_b32 v7, 0, 0, v7
	v_or3_b32 v6, v6, v78, 0
	v_cmp_eq_u16_sdwa s[66:67], v8, v59 src0_sel:BYTE_0 src1_sel:DWORD
	s_and_saveexec_b64 s[54:55], s[66:67]
	s_cbranch_execz .LBB1245_158
; %bb.161:                              ;   in Loop: Header=BB1245_159 Depth=1
	s_mov_b32 s71, 1
	s_mov_b64 s[66:67], 0
.LBB1245_162:                           ;   Parent Loop BB1245_159 Depth=1
                                        ; =>  This Loop Header: Depth=2
                                        ;       Child Loop BB1245_163 Depth 3
	s_max_u32 s76, s71, 1
.LBB1245_163:                           ;   Parent Loop BB1245_159 Depth=1
                                        ;     Parent Loop BB1245_162 Depth=2
                                        ; =>    This Inner Loop Header: Depth=3
	s_add_i32 s76, s76, -1
	s_cmp_eq_u32 s76, 0
	s_sleep 1
	s_cbranch_scc0 .LBB1245_163
; %bb.164:                              ;   in Loop: Header=BB1245_162 Depth=2
	s_cmp_lt_u32 s71, 32
	s_cselect_b64 s[76:77], -1, 0
	s_cmp_lg_u64 s[76:77], 0
	s_addc_u32 s71, s71, 0
	;;#ASMSTART
	global_load_dwordx4 v[6:9], v[60:61] off sc1	
s_waitcnt vmcnt(0)
	;;#ASMEND
	s_nop 0
	v_cmp_ne_u16_sdwa s[76:77], v8, v59 src0_sel:BYTE_0 src1_sel:DWORD
	s_or_b64 s[66:67], s[76:77], s[66:67]
	s_andn2_b64 exec, exec, s[66:67]
	s_cbranch_execnz .LBB1245_162
; %bb.165:                              ;   in Loop: Header=BB1245_159 Depth=1
	s_or_b64 exec, exec, s[66:67]
	v_and_b32_e32 v7, 0xff, v7
	s_branch .LBB1245_158
.LBB1245_166:                           ;   in Loop: Header=BB1245_159 Depth=1
                                        ; implicit-def: $vgpr7
                                        ; implicit-def: $vgpr6
                                        ; implicit-def: $vgpr8
	s_cbranch_execz .LBB1245_159
; %bb.167:
	s_and_saveexec_b64 s[54:55], s[50:51]
	s_cbranch_execz .LBB1245_169
; %bb.168:
	s_and_b32 s50, s3, 0xff
	s_cmp_eq_u32 s50, 0
	s_cselect_b64 vcc, -1, 0
	s_bitcmp1_b32 s3, 0
	s_mov_b32 s51, 0
	s_cselect_b64 s[64:65], -1, 0
	s_add_i32 s50, s2, 64
	s_lshl_b64 s[2:3], s[50:51], 4
	v_cndmask_b32_e32 v3, 0, v75, vcc
	s_add_u32 s2, s68, s2
	v_add_u32_e32 v2, v3, v2
	v_and_b32_e32 v3, 1, v73
	s_addc_u32 s3, s69, s3
	v_mov_b32_e32 v5, 0
	v_cndmask_b32_e64 v3, v3, 1, s[64:65]
	v_mov_b32_e32 v4, 2
	v_mov_b64_e32 v[6:7], s[2:3]
	;;#ASMSTART
	global_store_dwordx4 v[6:7], v[2:5] off sc1	
s_waitcnt vmcnt(0)
	;;#ASMEND
.LBB1245_169:
	s_or_b64 exec, exec, s[54:55]
	s_and_b64 exec, exec, s[48:49]
	s_cbranch_execz .LBB1245_171
; %bb.170:
	v_mov_b32_e32 v2, 0
	ds_write_b32 v2, v75
	ds_write_b8 v2, v73 offset:4
.LBB1245_171:
	s_or_b64 exec, exec, s[60:61]
	s_mov_b32 s2, 0
	v_mov_b32_e32 v2, 0
	s_mov_b32 s3, 1
	s_waitcnt lgkmcnt(0)
	s_barrier
	ds_read_b32 v3, v2
	v_cmp_gt_u64_e32 vcc, s[2:3], v[10:11]
	v_and_b32_e32 v5, 1, v11
	v_and_b32_e32 v6, 1, v63
	v_cndmask_b32_e32 v4, 0, v62, vcc
	v_cmp_eq_u32_e32 vcc, 1, v5
	v_cndmask_b32_e64 v4, v4, 0, s[48:49]
	s_nop 0
	v_cndmask_b32_e64 v5, v6, 1, vcc
	v_cndmask_b32_e64 v5, v5, v11, s[48:49]
	v_cmp_eq_u16_sdwa vcc, v5, v2 src0_sel:BYTE_0 src1_sel:DWORD
	s_waitcnt lgkmcnt(0)
	s_nop 0
	v_cndmask_b32_e32 v2, 0, v3, vcc
	v_add3_u32 v80, v4, v10, v2
	v_cndmask_b32_e64 v2, 0, v80, s[52:53]
	v_add_u32_e32 v58, v2, v12
	v_cndmask_b32_e64 v2, 0, v58, s[4:5]
	v_add_u32_e32 v59, v2, v14
	;; [unrolled: 2-line block ×22, first 2 shown]
	s_branch .LBB1245_192
.LBB1245_172:
                                        ; implicit-def: $vgpr78
                                        ; implicit-def: $vgpr77
                                        ; implicit-def: $vgpr76
                                        ; implicit-def: $vgpr75
                                        ; implicit-def: $vgpr74
                                        ; implicit-def: $vgpr73
                                        ; implicit-def: $vgpr72
                                        ; implicit-def: $vgpr71
                                        ; implicit-def: $vgpr70
                                        ; implicit-def: $vgpr69
                                        ; implicit-def: $vgpr68
                                        ; implicit-def: $vgpr67
                                        ; implicit-def: $vgpr66
                                        ; implicit-def: $vgpr65
                                        ; implicit-def: $vgpr64
                                        ; implicit-def: $vgpr63
                                        ; implicit-def: $vgpr62
                                        ; implicit-def: $vgpr61
                                        ; implicit-def: $vgpr60
                                        ; implicit-def: $vgpr59
                                        ; implicit-def: $vgpr58
                                        ; implicit-def: $vgpr80
                                        ; implicit-def: $vgpr79
	s_cbranch_execz .LBB1245_192
; %bb.173:
	s_cmp_lg_u64 s[74:75], 0
	s_cselect_b32 s5, s63, 0
	s_cselect_b32 s4, s62, 0
	s_cmp_lg_u64 s[4:5], 0
	s_cselect_b64 s[6:7], -1, 0
	v_cmp_eq_u32_e32 vcc, 0, v0
	s_mov_b32 s48, 0
	v_cmp_ne_u32_e64 s[2:3], 0, v0
	s_and_b64 s[8:9], vcc, s[6:7]
	s_and_saveexec_b64 s[6:7], s[8:9]
	s_cbranch_execz .LBB1245_175
; %bb.174:
	v_mov_b32_e32 v2, 0
	global_load_dword v4, v2, s[4:5]
	global_load_ubyte v5, v2, s[4:5] offset:4
	s_mov_b32 s49, 1
	v_and_b32_e32 v3, 1, v11
	v_cmp_gt_u64_e64 s[4:5], s[48:49], v[10:11]
	s_waitcnt vmcnt(0)
	v_and_b32_e32 v5, 1, v5
	v_cndmask_b32_e64 v4, 0, v4, s[4:5]
	v_cmp_eq_u64_e64 s[4:5], 0, v[2:3]
	v_add_u32_e32 v10, v4, v10
	s_nop 0
	v_cndmask_b32_e64 v11, 1, v5, s[4:5]
.LBB1245_175:
	s_or_b64 exec, exec, s[6:7]
	s_mov_b32 s49, 1
	v_cmp_gt_u64_e64 s[4:5], s[48:49], v[12:13]
	v_cmp_gt_u64_e64 s[6:7], s[48:49], v[14:15]
	v_cmp_gt_u64_e64 s[8:9], s[48:49], v[16:17]
	v_cndmask_b32_e64 v2, 0, v10, s[4:5]
	v_add_u32_e32 v58, v2, v12
	v_cndmask_b32_e64 v2, 0, v58, s[6:7]
	v_add_u32_e32 v59, v2, v14
	v_cndmask_b32_e64 v2, 0, v59, s[8:9]
	v_add_u32_e32 v60, v2, v16
	v_cmp_gt_u64_e64 s[10:11], s[48:49], v[18:19]
	v_cmp_gt_u64_e64 s[12:13], s[48:49], v[20:21]
	v_cmp_gt_u64_e64 s[14:15], s[48:49], v[22:23]
	v_cndmask_b32_e64 v2, 0, v60, s[10:11]
	v_add_u32_e32 v61, v2, v18
	v_cndmask_b32_e64 v2, 0, v61, s[12:13]
	v_add_u32_e32 v62, v2, v20
	v_cndmask_b32_e64 v2, 0, v62, s[14:15]
	v_add_u32_e32 v63, v2, v22
	;; [unrolled: 9-line block ×7, first 2 shown]
	v_cmp_gt_u64_e64 s[48:49], s[48:49], v[56:57]
	v_add_lshl_u32 v1, v1, v0, 3
	s_nop 0
	v_cndmask_b32_e64 v2, 0, v78, s[48:49]
	v_add_u32_e32 v79, v2, v56
	v_or3_b32 v2, v55, v51, v49
	v_or3_b32 v2, v2, v47, v45
	;; [unrolled: 1-line block ×10, first 2 shown]
	v_and_b32_e32 v2, 1, v2
	v_cmp_eq_u32_e64 s[50:51], 1, v2
	s_nop 1
	v_cndmask_b32_e64 v4, v11, 1, s[50:51]
	v_cmp_gt_u32_e64 s[50:51], 64, v0
	ds_write_b32 v1, v79
	ds_write_b8 v1, v4 offset:4
	s_waitcnt lgkmcnt(0)
	s_barrier
	s_and_saveexec_b64 s[52:53], s[50:51]
	s_cbranch_execz .LBB1245_187
; %bb.176:
	v_lshrrev_b32_e32 v1, 3, v0
	v_add_lshl_u32 v1, v1, v54, 3
	ds_read2_b32 v[6:7], v1 offset0:2 offset1:4
	ds_read_b64 v[2:3], v1
	ds_read_u8 v8, v1 offset:12
	ds_read_u8 v9, v1 offset:20
	ds_read_b32 v13, v1 offset:24
	ds_read_u8 v15, v1 offset:28
	v_mov_b32_e32 v17, 0
	s_waitcnt lgkmcnt(3)
	v_cmp_eq_u16_sdwa s[50:51], v8, v17 src0_sel:BYTE_0 src1_sel:DWORD
	v_and_b32_e32 v5, 1, v3
	s_nop 0
	v_cndmask_b32_e64 v19, 0, v2, s[50:51]
	v_add_u32_e32 v6, v19, v6
	s_waitcnt lgkmcnt(2)
	v_cmp_eq_u16_sdwa s[50:51], v9, v17 src0_sel:BYTE_0 src1_sel:DWORD
	s_nop 1
	v_cndmask_b32_e64 v6, 0, v6, s[50:51]
	v_add_u32_e32 v6, v6, v7
	s_waitcnt lgkmcnt(0)
	v_cmp_eq_u16_e64 s[50:51], 0, v15
	s_nop 1
	v_cndmask_b32_e64 v6, 0, v6, s[50:51]
	v_add_u32_e32 v7, v6, v13
	v_or_b32_e32 v6, v15, v9
	v_or_b32_e32 v6, v6, v8
	v_and_b32_e32 v6, 1, v6
	v_cmp_eq_u32_e64 s[50:51], 1, v6
	v_mbcnt_lo_u32_b32 v8, -1, 0
	v_and_b32_e32 v6, 0xffffff00, v3
	v_cndmask_b32_e64 v9, v5, 1, s[50:51]
	v_mbcnt_hi_u32_b32 v8, -1, v8
	v_and_b32_e32 v15, 15, v8
	v_or_b32_sdwa v13, v6, v9 dst_sel:DWORD dst_unused:UNUSED_PAD src0_sel:DWORD src1_sel:WORD_0
	v_mov_b32_dpp v17, v7 row_shr:1 row_mask:0xf bank_mask:0xf
	v_cmp_ne_u32_e64 s[50:51], 0, v15
	v_mov_b32_dpp v19, v13 row_shr:1 row_mask:0xf bank_mask:0xf
	s_and_saveexec_b64 s[54:55], s[50:51]
; %bb.177:
	v_and_b32_e32 v13, 1, v9
	v_and_b32_e32 v19, 1, v19
	v_cmp_eq_u32_e64 s[50:51], 1, v13
	s_nop 1
	v_cndmask_b32_e64 v19, v19, 1, s[50:51]
	v_cmp_eq_u16_e64 s[50:51], 0, v9
	v_or_b32_sdwa v13, v6, v19 dst_sel:DWORD dst_unused:UNUSED_PAD src0_sel:DWORD src1_sel:WORD_0
	s_nop 0
	v_cndmask_b32_e64 v9, 0, v17, s[50:51]
	v_add_u32_e32 v7, v9, v7
	v_mov_b32_e32 v9, v19
; %bb.178:
	s_or_b64 exec, exec, s[54:55]
	v_mov_b32_dpp v17, v7 row_shr:2 row_mask:0xf bank_mask:0xf
	v_mov_b32_dpp v19, v13 row_shr:2 row_mask:0xf bank_mask:0xf
	v_cmp_lt_u32_e64 s[50:51], 1, v15
	s_and_saveexec_b64 s[54:55], s[50:51]
; %bb.179:
	v_and_b32_e32 v13, 1, v9
	v_and_b32_e32 v19, 1, v19
	v_cmp_eq_u32_e64 s[50:51], 1, v13
	s_nop 1
	v_cndmask_b32_e64 v19, v19, 1, s[50:51]
	v_cmp_eq_u16_e64 s[50:51], 0, v9
	v_or_b32_sdwa v13, v6, v19 dst_sel:DWORD dst_unused:UNUSED_PAD src0_sel:DWORD src1_sel:WORD_0
	s_nop 0
	v_cndmask_b32_e64 v9, 0, v17, s[50:51]
	v_add_u32_e32 v7, v9, v7
	v_mov_b32_e32 v9, v19
; %bb.180:
	s_or_b64 exec, exec, s[54:55]
	v_mov_b32_dpp v17, v7 row_shr:4 row_mask:0xf bank_mask:0xf
	v_mov_b32_dpp v19, v13 row_shr:4 row_mask:0xf bank_mask:0xf
	v_cmp_lt_u32_e64 s[50:51], 3, v15
	;; [unrolled: 18-line block ×3, first 2 shown]
	s_and_saveexec_b64 s[54:55], s[50:51]
; %bb.183:
	v_and_b32_e32 v13, 1, v9
	v_and_b32_e32 v15, 1, v19
	v_cmp_eq_u32_e64 s[50:51], 1, v13
	s_nop 1
	v_cndmask_b32_e64 v15, v15, 1, s[50:51]
	v_cmp_eq_u16_e64 s[50:51], 0, v9
	v_or_b32_sdwa v13, v6, v15 dst_sel:DWORD dst_unused:UNUSED_PAD src0_sel:DWORD src1_sel:WORD_0
	s_nop 0
	v_cndmask_b32_e64 v9, 0, v17, s[50:51]
	v_add_u32_e32 v7, v9, v7
	v_mov_b32_e32 v9, v15
; %bb.184:
	s_or_b64 exec, exec, s[54:55]
	v_and_b32_e32 v19, 16, v8
	v_mov_b32_dpp v15, v7 row_bcast:15 row_mask:0xf bank_mask:0xf
	v_mov_b32_dpp v17, v13 row_bcast:15 row_mask:0xf bank_mask:0xf
	v_cmp_ne_u32_e64 s[50:51], 0, v19
	s_and_saveexec_b64 s[54:55], s[50:51]
; %bb.185:
	v_and_b32_e32 v13, 1, v9
	v_and_b32_e32 v17, 1, v17
	v_cmp_eq_u32_e64 s[50:51], 1, v13
	s_nop 1
	v_cndmask_b32_e64 v17, v17, 1, s[50:51]
	v_cmp_eq_u16_e64 s[50:51], 0, v9
	v_or_b32_sdwa v13, v6, v17 dst_sel:DWORD dst_unused:UNUSED_PAD src0_sel:DWORD src1_sel:WORD_0
	s_nop 0
	v_cndmask_b32_e64 v9, 0, v15, s[50:51]
	v_add_u32_e32 v7, v9, v7
	v_mov_b32_e32 v9, v17
; %bb.186:
	s_or_b64 exec, exec, s[54:55]
	v_mov_b32_dpp v13, v13 row_bcast:31 row_mask:0xf bank_mask:0xf
	v_and_b32_e32 v17, 1, v9
	v_and_b32_e32 v13, 1, v13
	v_cmp_eq_u32_e64 s[50:51], 1, v17
	v_mov_b32_e32 v17, 0
	v_cmp_eq_u16_sdwa s[54:55], v9, v17 src0_sel:BYTE_0 src1_sel:DWORD
	v_cndmask_b32_e64 v13, v13, 1, s[50:51]
	v_cmp_lt_u32_e64 s[50:51], 31, v8
	v_mov_b32_dpp v15, v7 row_bcast:31 row_mask:0xf bank_mask:0xf
	s_movk_i32 s60, 0xff
	v_cndmask_b32_e64 v9, v9, v13, s[50:51]
	s_and_b64 s[50:51], s[50:51], s[54:55]
	v_cndmask_b32_e64 v13, 0, v15, s[50:51]
	v_add_u32_e32 v7, v13, v7
	v_add_u32_e32 v13, -1, v8
	v_and_b32_e32 v15, 64, v8
	v_cmp_lt_i32_e64 s[50:51], v13, v15
	v_and_or_b32 v6, v9, s60, v6
	s_nop 0
	v_cndmask_b32_e64 v8, v13, v8, s[50:51]
	v_lshlrev_b32_e32 v8, 2, v8
	ds_bpermute_b32 v7, v8, v7
	ds_bpermute_b32 v6, v8, v6
	v_cmp_eq_u16_sdwa s[50:51], v3, v17 src0_sel:BYTE_0 src1_sel:DWORD
	; wave barrier
	s_waitcnt lgkmcnt(1)
	s_nop 0
	v_cndmask_b32_e64 v3, 0, v7, s[50:51]
	v_add_u32_e32 v2, v3, v2
	s_waitcnt lgkmcnt(0)
	v_and_b32_e32 v3, 1, v6
	v_cmp_eq_u32_e64 s[50:51], 1, v5
	v_cndmask_b32_e32 v5, v2, v79, vcc
	s_nop 0
	v_cndmask_b32_e64 v3, v3, 1, s[50:51]
	v_cndmask_b32_e32 v4, v3, v4, vcc
	ds_write_b32 v1, v5
	ds_write_b8 v1, v4 offset:4
	; wave barrier
	ds_read_u8 v6, v1 offset:12
	ds_read2_b32 v[2:3], v1 offset0:2 offset1:4
	ds_read_u8 v7, v1 offset:20
	ds_read_b32 v8, v1 offset:24
	ds_read_u8 v9, v1 offset:28
	s_waitcnt lgkmcnt(4)
	v_cmp_eq_u16_e64 s[50:51], 0, v6
	s_nop 1
	v_cndmask_b32_e64 v5, 0, v5, s[50:51]
	s_waitcnt lgkmcnt(3)
	v_add_u32_e32 v2, v5, v2
	v_and_b32_e32 v5, 1, v6
	v_cmp_eq_u32_e64 s[50:51], 1, v5
	s_nop 1
	v_cndmask_b32_e64 v4, v4, 1, s[50:51]
	s_waitcnt lgkmcnt(2)
	v_cmp_eq_u16_e64 s[50:51], 0, v7
	ds_write_b8 v1, v4 offset:12
	s_nop 0
	v_cndmask_b32_e64 v5, 0, v2, s[50:51]
	v_add_u32_e32 v3, v5, v3
	v_and_b32_e32 v5, 1, v7
	v_cmp_eq_u32_e64 s[50:51], 1, v5
	s_nop 1
	v_cndmask_b32_e64 v4, v4, 1, s[50:51]
	s_waitcnt lgkmcnt(1)
	v_cmp_eq_u16_e64 s[50:51], 0, v9
	ds_write2_b32 v1, v2, v3 offset0:2 offset1:4
	ds_write_b8 v1, v4 offset:20
	v_cndmask_b32_e64 v2, 0, v3, s[50:51]
	v_and_b32_e32 v3, 1, v9
	v_add_u32_e32 v2, v2, v8
	v_cmp_eq_u32_e64 s[50:51], 1, v3
	s_nop 1
	v_cndmask_b32_e64 v3, v4, 1, s[50:51]
	ds_write_b32 v1, v2 offset:24
	ds_write_b8 v1, v3 offset:28
.LBB1245_187:
	s_or_b64 exec, exec, s[52:53]
	v_mov_b32_e32 v1, v79
	s_waitcnt lgkmcnt(0)
	s_barrier
	s_and_saveexec_b64 s[50:51], s[2:3]
	s_cbranch_execnz .LBB1245_265
; %bb.188:
	s_or_b64 exec, exec, s[50:51]
	s_and_saveexec_b64 s[50:51], s[2:3]
	s_cbranch_execnz .LBB1245_266
.LBB1245_189:
	s_or_b64 exec, exec, s[50:51]
	s_and_saveexec_b64 s[2:3], vcc
	s_cbranch_execz .LBB1245_191
.LBB1245_190:
	v_mov_b32_e32 v5, 0
	ds_read_b32 v2, v5 offset:2096
	ds_read_u8 v3, v5 offset:2100
	s_add_u32 s4, s68, 0x400
	s_addc_u32 s5, s69, 0
	v_mov_b32_e32 v4, 2
	v_mov_b64_e32 v[6:7], s[4:5]
	s_waitcnt lgkmcnt(0)
	;;#ASMSTART
	global_store_dwordx4 v[6:7], v[2:5] off sc1	
s_waitcnt vmcnt(0)
	;;#ASMEND
.LBB1245_191:
	s_or_b64 exec, exec, s[2:3]
	v_mov_b32_e32 v80, v10
.LBB1245_192:
	s_add_u32 s2, s58, s72
	s_addc_u32 s3, s59, s73
	s_add_u32 s2, s2, s56
	s_addc_u32 s3, s3, s57
	s_and_b64 vcc, exec, s[0:1]
	s_cbranch_vccz .LBB1245_238
; %bb.193:
	s_movk_i32 s0, 0x5c
	v_mul_i32_i24_e32 v26, 0xffffffa8, v0
	s_waitcnt lgkmcnt(0)
	v_mul_u32_u24_e32 v1, 0x5c, v0
	v_mad_u32_u24 v2, v0, s0, v26
	s_barrier
	ds_write2_b32 v1, v80, v58 offset1:1
	ds_write2_b32 v1, v59, v60 offset0:2 offset1:3
	ds_write2_b32 v1, v61, v62 offset0:4 offset1:5
	;; [unrolled: 1-line block ×10, first 2 shown]
	ds_write_b32 v1, v79 offset:88
	s_waitcnt lgkmcnt(0)
	s_barrier
	ds_read2st64_b32 v[24:25], v2 offset0:4 offset1:8
	ds_read2st64_b32 v[22:23], v2 offset0:12 offset1:16
	;; [unrolled: 1-line block ×11, first 2 shown]
	s_add_i32 s33, s33, s70
	v_mov_b32_e32 v55, 0
	v_lshl_add_u64 v[4:5], s[2:3], 0, v[54:55]
	v_cmp_gt_u32_e32 vcc, s33, v0
	s_and_saveexec_b64 s[0:1], vcc
	s_cbranch_execz .LBB1245_195
; %bb.194:
	v_add_u32_e32 v1, v1, v26
	ds_read_b32 v1, v1
	s_waitcnt lgkmcnt(0)
	flat_store_dword v[4:5], v1
.LBB1245_195:
	s_or_b64 exec, exec, s[0:1]
	v_or_b32_e32 v1, 0x100, v0
	v_cmp_gt_u32_e32 vcc, s33, v1
	s_and_saveexec_b64 s[0:1], vcc
	s_cbranch_execz .LBB1245_197
; %bb.196:
	s_waitcnt lgkmcnt(0)
	flat_store_dword v[4:5], v24 offset:1024
.LBB1245_197:
	s_or_b64 exec, exec, s[0:1]
	v_or_b32_e32 v1, 0x200, v0
	v_cmp_gt_u32_e32 vcc, s33, v1
	s_and_saveexec_b64 s[0:1], vcc
	s_cbranch_execz .LBB1245_199
; %bb.198:
	s_waitcnt lgkmcnt(0)
	flat_store_dword v[4:5], v25 offset:2048
.LBB1245_199:
	;; [unrolled: 9-line block ×3, first 2 shown]
	s_or_b64 exec, exec, s[0:1]
	v_or_b32_e32 v1, 0x400, v0
	v_cmp_gt_u32_e32 vcc, s33, v1
	s_and_saveexec_b64 s[0:1], vcc
	s_cbranch_execz .LBB1245_203
; %bb.202:
	s_waitcnt lgkmcnt(0)
	v_add_co_u32_e32 v24, vcc, 0x1000, v4
	s_nop 1
	v_addc_co_u32_e32 v25, vcc, 0, v5, vcc
	flat_store_dword v[24:25], v23
.LBB1245_203:
	s_or_b64 exec, exec, s[0:1]
	v_or_b32_e32 v1, 0x500, v0
	v_cmp_gt_u32_e32 vcc, s33, v1
	s_and_saveexec_b64 s[0:1], vcc
	s_cbranch_execz .LBB1245_205
; %bb.204:
	s_waitcnt lgkmcnt(0)
	v_add_co_u32_e32 v22, vcc, 0x1000, v4
	s_nop 1
	v_addc_co_u32_e32 v23, vcc, 0, v5, vcc
	flat_store_dword v[22:23], v20 offset:1024
.LBB1245_205:
	s_or_b64 exec, exec, s[0:1]
	v_or_b32_e32 v1, 0x600, v0
	v_cmp_gt_u32_e32 vcc, s33, v1
	s_and_saveexec_b64 s[0:1], vcc
	s_cbranch_execz .LBB1245_207
; %bb.206:
	s_waitcnt lgkmcnt(0)
	v_add_co_u32_e32 v22, vcc, 0x1000, v4
	s_nop 1
	v_addc_co_u32_e32 v23, vcc, 0, v5, vcc
	flat_store_dword v[22:23], v21 offset:2048
.LBB1245_207:
	s_or_b64 exec, exec, s[0:1]
	v_or_b32_e32 v1, 0x700, v0
	v_cmp_gt_u32_e32 vcc, s33, v1
	s_and_saveexec_b64 s[0:1], vcc
	s_cbranch_execz .LBB1245_209
; %bb.208:
	s_waitcnt lgkmcnt(0)
	v_add_co_u32_e32 v20, vcc, 0x1000, v4
	s_nop 1
	v_addc_co_u32_e32 v21, vcc, 0, v5, vcc
	flat_store_dword v[20:21], v18 offset:3072
.LBB1245_209:
	s_or_b64 exec, exec, s[0:1]
	v_or_b32_e32 v1, 0x800, v0
	v_cmp_gt_u32_e32 vcc, s33, v1
	s_and_saveexec_b64 s[0:1], vcc
	s_cbranch_execz .LBB1245_211
; %bb.210:
	s_waitcnt lgkmcnt(0)
	v_add_co_u32_e32 v20, vcc, 0x2000, v4
	s_nop 1
	v_addc_co_u32_e32 v21, vcc, 0, v5, vcc
	flat_store_dword v[20:21], v19
.LBB1245_211:
	s_or_b64 exec, exec, s[0:1]
	v_or_b32_e32 v1, 0x900, v0
	v_cmp_gt_u32_e32 vcc, s33, v1
	s_and_saveexec_b64 s[0:1], vcc
	s_cbranch_execz .LBB1245_213
; %bb.212:
	s_waitcnt lgkmcnt(0)
	v_add_co_u32_e32 v18, vcc, 0x2000, v4
	s_nop 1
	v_addc_co_u32_e32 v19, vcc, 0, v5, vcc
	flat_store_dword v[18:19], v16 offset:1024
.LBB1245_213:
	s_or_b64 exec, exec, s[0:1]
	v_or_b32_e32 v1, 0xa00, v0
	v_cmp_gt_u32_e32 vcc, s33, v1
	s_and_saveexec_b64 s[0:1], vcc
	s_cbranch_execz .LBB1245_215
; %bb.214:
	s_waitcnt lgkmcnt(0)
	v_add_co_u32_e32 v18, vcc, 0x2000, v4
	s_nop 1
	v_addc_co_u32_e32 v19, vcc, 0, v5, vcc
	flat_store_dword v[18:19], v17 offset:2048
.LBB1245_215:
	s_or_b64 exec, exec, s[0:1]
	v_or_b32_e32 v1, 0xb00, v0
	v_cmp_gt_u32_e32 vcc, s33, v1
	s_and_saveexec_b64 s[0:1], vcc
	s_cbranch_execz .LBB1245_217
; %bb.216:
	s_waitcnt lgkmcnt(0)
	v_add_co_u32_e32 v16, vcc, 0x2000, v4
	s_nop 1
	v_addc_co_u32_e32 v17, vcc, 0, v5, vcc
	flat_store_dword v[16:17], v14 offset:3072
.LBB1245_217:
	;; [unrolled: 48-line block ×4, first 2 shown]
	s_or_b64 exec, exec, s[0:1]
	v_or_b32_e32 v1, 0x1400, v0
	v_cmp_gt_u32_e32 vcc, s33, v1
	s_and_saveexec_b64 s[0:1], vcc
	s_cbranch_execz .LBB1245_235
; %bb.234:
	s_waitcnt lgkmcnt(0)
	v_add_co_u32_e32 v8, vcc, 0x5000, v4
	s_nop 1
	v_addc_co_u32_e32 v9, vcc, 0, v5, vcc
	flat_store_dword v[8:9], v7
.LBB1245_235:
	s_or_b64 exec, exec, s[0:1]
	v_or_b32_e32 v1, 0x1500, v0
	v_cmp_gt_u32_e32 vcc, s33, v1
	s_and_saveexec_b64 s[0:1], vcc
	s_cbranch_execz .LBB1245_237
; %bb.236:
	v_add_co_u32_e32 v4, vcc, 0x5000, v4
	s_nop 1
	v_addc_co_u32_e32 v5, vcc, 0, v5, vcc
	s_waitcnt lgkmcnt(0)
	flat_store_dword v[4:5], v2 offset:1024
.LBB1245_237:
	s_or_b64 exec, exec, s[0:1]
	s_waitcnt lgkmcnt(0)
	v_or_b32_e32 v2, 0x1600, v0
	v_mov_b32_e32 v1, v55
	v_cmp_gt_u32_e64 s[0:1], s33, v2
	s_branch .LBB1245_240
.LBB1245_238:
	s_mov_b64 s[0:1], 0
                                        ; implicit-def: $vgpr3
	s_cbranch_execz .LBB1245_240
; %bb.239:
	s_waitcnt lgkmcnt(0)
	v_mul_u32_u24_e32 v1, 0x5c, v0
	s_barrier
	s_movk_i32 s4, 0x5c
	ds_write2_b32 v1, v80, v58 offset1:1
	ds_write2_b32 v1, v59, v60 offset0:2 offset1:3
	ds_write2_b32 v1, v61, v62 offset0:4 offset1:5
	ds_write2_b32 v1, v63, v64 offset0:6 offset1:7
	ds_write2_b32 v1, v65, v66 offset0:8 offset1:9
	ds_write2_b32 v1, v67, v68 offset0:10 offset1:11
	ds_write2_b32 v1, v69, v70 offset0:12 offset1:13
	ds_write2_b32 v1, v71, v72 offset0:14 offset1:15
	ds_write2_b32 v1, v73, v74 offset0:16 offset1:17
	ds_write2_b32 v1, v75, v76 offset0:18 offset1:19
	ds_write2_b32 v1, v77, v78 offset0:20 offset1:21
	ds_write_b32 v1, v79 offset:88
	v_mov_b32_e32 v1, 0
	v_mul_i32_i24_e32 v2, 0xffffffa8, v0
	v_mad_u32_u24 v2, v0, s4, v2
	v_mov_b32_e32 v55, v1
	s_waitcnt lgkmcnt(0)
	s_barrier
	ds_read2st64_b32 v[4:5], v2 offset1:4
	ds_read2st64_b32 v[6:7], v2 offset0:8 offset1:12
	ds_read2st64_b32 v[8:9], v2 offset0:16 offset1:20
	ds_read2st64_b32 v[10:11], v2 offset0:24 offset1:28
	ds_read2st64_b32 v[12:13], v2 offset0:32 offset1:36
	ds_read2st64_b32 v[14:15], v2 offset0:40 offset1:44
	ds_read2st64_b32 v[16:17], v2 offset0:48 offset1:52
	ds_read2st64_b32 v[18:19], v2 offset0:56 offset1:60
	ds_read2st64_b32 v[20:21], v2 offset0:64 offset1:68
	ds_read2st64_b32 v[22:23], v2 offset0:72 offset1:76
	ds_read2st64_b32 v[24:25], v2 offset0:80 offset1:84
	ds_read_b32 v3, v2 offset:22528
	v_lshl_add_u64 v[26:27], s[2:3], 0, v[54:55]
	s_movk_i32 s4, 0x1000
	s_waitcnt lgkmcnt(0)
	flat_store_dword v[26:27], v4
	flat_store_dword v[26:27], v5 offset:1024
	flat_store_dword v[26:27], v6 offset:2048
	;; [unrolled: 1-line block ×3, first 2 shown]
	v_add_co_u32_e32 v4, vcc, s4, v26
	s_movk_i32 s4, 0x2000
	s_nop 0
	v_addc_co_u32_e32 v5, vcc, 0, v27, vcc
	flat_store_dword v[4:5], v8
	flat_store_dword v[4:5], v9 offset:1024
	flat_store_dword v[4:5], v10 offset:2048
	;; [unrolled: 1-line block ×3, first 2 shown]
	v_add_co_u32_e32 v4, vcc, s4, v26
	s_movk_i32 s4, 0x3000
	s_nop 0
	v_addc_co_u32_e32 v5, vcc, 0, v27, vcc
	flat_store_dword v[4:5], v12
	flat_store_dword v[4:5], v13 offset:1024
	flat_store_dword v[4:5], v14 offset:2048
	;; [unrolled: 1-line block ×3, first 2 shown]
	v_add_co_u32_e32 v4, vcc, s4, v26
	s_or_b64 s[0:1], s[0:1], exec
	s_nop 0
	v_addc_co_u32_e32 v5, vcc, 0, v27, vcc
	flat_store_dword v[4:5], v16
	flat_store_dword v[4:5], v17 offset:1024
	flat_store_dword v[4:5], v18 offset:2048
	;; [unrolled: 1-line block ×3, first 2 shown]
	v_add_co_u32_e32 v4, vcc, 0x4000, v26
	s_nop 1
	v_addc_co_u32_e32 v5, vcc, 0, v27, vcc
	flat_store_dword v[4:5], v20
	flat_store_dword v[4:5], v21 offset:1024
	flat_store_dword v[4:5], v22 offset:2048
	;; [unrolled: 1-line block ×3, first 2 shown]
	v_add_co_u32_e32 v4, vcc, 0x5000, v26
	s_nop 1
	v_addc_co_u32_e32 v5, vcc, 0, v27, vcc
	flat_store_dword v[4:5], v24
	flat_store_dword v[4:5], v25 offset:1024
.LBB1245_240:
	s_and_saveexec_b64 s[4:5], s[0:1]
	s_cbranch_execnz .LBB1245_242
; %bb.241:
	s_endpgm
.LBB1245_242:
	s_waitcnt lgkmcnt(0)
	v_lshl_add_u64 v[0:1], v[0:1], 2, s[2:3]
	v_add_co_u32_e32 v0, vcc, 0x5000, v0
	s_nop 1
	v_addc_co_u32_e32 v1, vcc, 0, v1, vcc
	flat_store_dword v[0:1], v3 offset:2048
	s_endpgm
.LBB1245_243:
	v_lshl_add_u64 v[30:31], s[52:53], 0, v[2:3]
	flat_load_dword v29, v[30:31]
	s_or_b64 exec, exec, s[60:61]
                                        ; implicit-def: $vgpr30
	s_and_saveexec_b64 s[50:51], s[4:5]
	s_cbranch_execz .LBB1245_55
.LBB1245_244:
	v_mov_b32_e32 v3, 0
	v_lshl_add_u64 v[30:31], s[52:53], 0, v[2:3]
	flat_load_dword v30, v[30:31] offset:1024
	s_or_b64 exec, exec, s[50:51]
                                        ; implicit-def: $vgpr31
	s_and_saveexec_b64 s[4:5], s[6:7]
	s_cbranch_execz .LBB1245_56
.LBB1245_245:
	v_mov_b32_e32 v3, 0
	v_lshl_add_u64 v[32:33], s[52:53], 0, v[2:3]
	flat_load_dword v31, v[32:33] offset:2048
	s_or_b64 exec, exec, s[4:5]
                                        ; implicit-def: $vgpr3
	s_and_saveexec_b64 s[4:5], s[8:9]
	s_cbranch_execz .LBB1245_57
.LBB1245_246:
	v_mov_b32_e32 v3, 0
	v_lshl_add_u64 v[32:33], s[52:53], 0, v[2:3]
	flat_load_dword v3, v[32:33] offset:3072
	s_or_b64 exec, exec, s[4:5]
                                        ; implicit-def: $vgpr32
	s_and_saveexec_b64 s[4:5], s[10:11]
	s_cbranch_execz .LBB1245_58
.LBB1245_247:
	v_lshlrev_b32_e32 v32, 2, v10
	v_mov_b32_e32 v33, 0
	v_lshl_add_u64 v[32:33], s[52:53], 0, v[32:33]
	flat_load_dword v32, v[32:33]
	s_or_b64 exec, exec, s[4:5]
                                        ; implicit-def: $vgpr10
	s_and_saveexec_b64 s[4:5], s[12:13]
	s_cbranch_execz .LBB1245_59
.LBB1245_248:
	v_lshlrev_b32_e32 v10, 2, v11
	v_mov_b32_e32 v11, 0
	v_lshl_add_u64 v[10:11], s[52:53], 0, v[10:11]
	flat_load_dword v10, v[10:11]
	s_or_b64 exec, exec, s[4:5]
                                        ; implicit-def: $vgpr11
	s_and_saveexec_b64 s[4:5], s[14:15]
	s_cbranch_execz .LBB1245_60
.LBB1245_249:
	v_lshlrev_b32_e32 v34, 2, v12
	v_mov_b32_e32 v35, 0
	v_lshl_add_u64 v[34:35], s[52:53], 0, v[34:35]
	flat_load_dword v11, v[34:35]
	s_or_b64 exec, exec, s[4:5]
                                        ; implicit-def: $vgpr12
	s_and_saveexec_b64 s[4:5], s[16:17]
	s_cbranch_execz .LBB1245_61
.LBB1245_250:
	v_lshlrev_b32_e32 v12, 2, v13
	v_mov_b32_e32 v13, 0
	v_lshl_add_u64 v[12:13], s[52:53], 0, v[12:13]
	flat_load_dword v12, v[12:13]
	s_or_b64 exec, exec, s[4:5]
                                        ; implicit-def: $vgpr13
	s_and_saveexec_b64 s[4:5], s[18:19]
	s_cbranch_execz .LBB1245_62
.LBB1245_251:
	v_lshlrev_b32_e32 v34, 2, v14
	v_mov_b32_e32 v35, 0
	v_lshl_add_u64 v[34:35], s[52:53], 0, v[34:35]
	flat_load_dword v13, v[34:35]
	s_or_b64 exec, exec, s[4:5]
                                        ; implicit-def: $vgpr14
	s_and_saveexec_b64 s[4:5], s[20:21]
	s_cbranch_execz .LBB1245_63
.LBB1245_252:
	v_lshlrev_b32_e32 v14, 2, v15
	v_mov_b32_e32 v15, 0
	v_lshl_add_u64 v[14:15], s[52:53], 0, v[14:15]
	flat_load_dword v14, v[14:15]
	s_or_b64 exec, exec, s[4:5]
                                        ; implicit-def: $vgpr15
	s_and_saveexec_b64 s[4:5], s[22:23]
	s_cbranch_execz .LBB1245_64
.LBB1245_253:
	v_lshlrev_b32_e32 v34, 2, v16
	v_mov_b32_e32 v35, 0
	v_lshl_add_u64 v[34:35], s[52:53], 0, v[34:35]
	flat_load_dword v15, v[34:35]
	s_or_b64 exec, exec, s[4:5]
                                        ; implicit-def: $vgpr16
	s_and_saveexec_b64 s[4:5], s[24:25]
	s_cbranch_execz .LBB1245_65
.LBB1245_254:
	v_lshlrev_b32_e32 v16, 2, v17
	v_mov_b32_e32 v17, 0
	v_lshl_add_u64 v[16:17], s[52:53], 0, v[16:17]
	flat_load_dword v16, v[16:17]
	s_or_b64 exec, exec, s[4:5]
                                        ; implicit-def: $vgpr17
	s_and_saveexec_b64 s[4:5], s[26:27]
	s_cbranch_execz .LBB1245_66
.LBB1245_255:
	v_lshlrev_b32_e32 v34, 2, v18
	v_mov_b32_e32 v35, 0
	v_lshl_add_u64 v[34:35], s[52:53], 0, v[34:35]
	flat_load_dword v17, v[34:35]
	s_or_b64 exec, exec, s[4:5]
                                        ; implicit-def: $vgpr18
	s_and_saveexec_b64 s[4:5], s[28:29]
	s_cbranch_execz .LBB1245_67
.LBB1245_256:
	v_lshlrev_b32_e32 v18, 2, v19
	v_mov_b32_e32 v19, 0
	v_lshl_add_u64 v[18:19], s[52:53], 0, v[18:19]
	flat_load_dword v18, v[18:19]
	s_or_b64 exec, exec, s[4:5]
                                        ; implicit-def: $vgpr19
	s_and_saveexec_b64 s[4:5], s[30:31]
	s_cbranch_execz .LBB1245_68
.LBB1245_257:
	v_lshlrev_b32_e32 v34, 2, v20
	v_mov_b32_e32 v35, 0
	v_lshl_add_u64 v[34:35], s[52:53], 0, v[34:35]
	flat_load_dword v19, v[34:35]
	s_or_b64 exec, exec, s[4:5]
                                        ; implicit-def: $vgpr20
	s_and_saveexec_b64 s[4:5], s[34:35]
	s_cbranch_execz .LBB1245_69
.LBB1245_258:
	v_lshlrev_b32_e32 v20, 2, v21
	v_mov_b32_e32 v21, 0
	v_lshl_add_u64 v[20:21], s[52:53], 0, v[20:21]
	flat_load_dword v20, v[20:21]
	s_or_b64 exec, exec, s[4:5]
                                        ; implicit-def: $vgpr21
	s_and_saveexec_b64 s[4:5], s[36:37]
	s_cbranch_execz .LBB1245_70
.LBB1245_259:
	v_lshlrev_b32_e32 v34, 2, v22
	v_mov_b32_e32 v35, 0
	v_lshl_add_u64 v[34:35], s[52:53], 0, v[34:35]
	flat_load_dword v21, v[34:35]
	s_or_b64 exec, exec, s[4:5]
                                        ; implicit-def: $vgpr22
	s_and_saveexec_b64 s[4:5], s[38:39]
	s_cbranch_execz .LBB1245_71
.LBB1245_260:
	v_lshlrev_b32_e32 v22, 2, v23
	v_mov_b32_e32 v23, 0
	v_lshl_add_u64 v[22:23], s[52:53], 0, v[22:23]
	flat_load_dword v22, v[22:23]
	s_or_b64 exec, exec, s[4:5]
                                        ; implicit-def: $vgpr23
	s_and_saveexec_b64 s[4:5], s[40:41]
	s_cbranch_execz .LBB1245_72
.LBB1245_261:
	v_lshlrev_b32_e32 v34, 2, v24
	v_mov_b32_e32 v35, 0
	v_lshl_add_u64 v[34:35], s[52:53], 0, v[34:35]
	flat_load_dword v23, v[34:35]
	s_or_b64 exec, exec, s[4:5]
                                        ; implicit-def: $vgpr24
	s_and_saveexec_b64 s[4:5], s[42:43]
	s_cbranch_execz .LBB1245_73
.LBB1245_262:
	v_lshlrev_b32_e32 v24, 2, v25
	v_mov_b32_e32 v25, 0
	v_lshl_add_u64 v[24:25], s[52:53], 0, v[24:25]
	flat_load_dword v24, v[24:25]
	s_or_b64 exec, exec, s[4:5]
                                        ; implicit-def: $vgpr25
	s_and_saveexec_b64 s[4:5], s[44:45]
	s_cbranch_execz .LBB1245_74
.LBB1245_263:
	v_lshlrev_b32_e32 v34, 2, v26
	v_mov_b32_e32 v35, 0
	v_lshl_add_u64 v[34:35], s[52:53], 0, v[34:35]
	flat_load_dword v25, v[34:35]
	s_or_b64 exec, exec, s[4:5]
                                        ; implicit-def: $vgpr26
	s_and_saveexec_b64 s[4:5], s[46:47]
	s_cbranch_execz .LBB1245_75
.LBB1245_264:
	v_lshlrev_b32_e32 v26, 2, v27
	v_mov_b32_e32 v27, 0
	v_lshl_add_u64 v[26:27], s[52:53], 0, v[26:27]
	flat_load_dword v26, v[26:27]
	s_or_b64 exec, exec, s[4:5]
                                        ; implicit-def: $vgpr27
	s_and_saveexec_b64 s[4:5], s[48:49]
	s_cbranch_execnz .LBB1245_76
	s_branch .LBB1245_77
.LBB1245_265:
	v_add_u32_e32 v1, -1, v0
	v_lshrrev_b32_e32 v2, 5, v1
	v_add_lshl_u32 v1, v2, v1, 3
	ds_read_b32 v1, v1
	s_or_b64 exec, exec, s[50:51]
	s_and_saveexec_b64 s[50:51], s[2:3]
	s_cbranch_execz .LBB1245_189
.LBB1245_266:
	v_and_b32_e32 v3, 0xff, v11
	v_mov_b32_e32 v2, 0
	v_cmp_eq_u64_e64 s[2:3], 0, v[2:3]
	;;#ASMSTART
	;;#ASMEND
	s_waitcnt lgkmcnt(0)
	s_nop 0
	v_cndmask_b32_e64 v1, 0, v1, s[2:3]
	v_add_u32_e32 v10, v1, v10
	v_cndmask_b32_e64 v1, 0, v10, s[4:5]
	v_add_u32_e32 v58, v1, v12
	v_cndmask_b32_e64 v1, 0, v58, s[6:7]
	v_add_u32_e32 v59, v1, v14
	v_cndmask_b32_e64 v1, 0, v59, s[8:9]
	v_add_u32_e32 v60, v1, v16
	v_cndmask_b32_e64 v1, 0, v60, s[10:11]
	v_add_u32_e32 v61, v1, v18
	v_cndmask_b32_e64 v1, 0, v61, s[12:13]
	v_add_u32_e32 v62, v1, v20
	v_cndmask_b32_e64 v1, 0, v62, s[14:15]
	v_add_u32_e32 v63, v1, v22
	v_cndmask_b32_e64 v1, 0, v63, s[16:17]
	v_add_u32_e32 v64, v1, v24
	v_cndmask_b32_e64 v1, 0, v64, s[18:19]
	v_add_u32_e32 v65, v1, v26
	v_cndmask_b32_e64 v1, 0, v65, s[20:21]
	v_add_u32_e32 v66, v1, v28
	v_cndmask_b32_e64 v1, 0, v66, s[22:23]
	v_add_u32_e32 v67, v1, v30
	v_cndmask_b32_e64 v1, 0, v67, s[24:25]
	v_add_u32_e32 v68, v1, v32
	v_cndmask_b32_e64 v1, 0, v68, s[26:27]
	v_add_u32_e32 v69, v1, v34
	v_cndmask_b32_e64 v1, 0, v69, s[28:29]
	v_add_u32_e32 v70, v1, v36
	v_cndmask_b32_e64 v1, 0, v70, s[30:31]
	v_add_u32_e32 v71, v1, v38
	v_cndmask_b32_e64 v1, 0, v71, s[34:35]
	v_add_u32_e32 v72, v1, v40
	v_cndmask_b32_e64 v1, 0, v72, s[36:37]
	v_add_u32_e32 v73, v1, v42
	v_cndmask_b32_e64 v1, 0, v73, s[38:39]
	v_add_u32_e32 v74, v1, v44
	v_cndmask_b32_e64 v1, 0, v74, s[40:41]
	v_add_u32_e32 v75, v1, v46
	v_cndmask_b32_e64 v1, 0, v75, s[42:43]
	v_add_u32_e32 v76, v1, v48
	v_cndmask_b32_e64 v1, 0, v76, s[44:45]
	v_add_u32_e32 v77, v1, v50
	v_cndmask_b32_e64 v1, 0, v77, s[46:47]
	v_add_u32_e32 v78, v1, v52
	v_cndmask_b32_e64 v1, 0, v78, s[48:49]
	v_add_u32_e32 v79, v1, v56
	s_or_b64 exec, exec, s[50:51]
	s_and_saveexec_b64 s[2:3], vcc
	s_cbranch_execnz .LBB1245_190
	s_branch .LBB1245_191
.LBB1245_267:
                                        ; implicit-def: $sgpr60_sgpr61
	s_branch .LBB1245_50
.LBB1245_268:
                                        ; implicit-def: $sgpr4_sgpr5
	s_branch .LBB1245_126
	.section	.rodata,"a",@progbits
	.p2align	6, 0x0
	.amdhsa_kernel _ZN7rocprim17ROCPRIM_400000_NS6detail17trampoline_kernelINS0_14default_configENS1_27scan_by_key_config_selectorIijEEZZNS1_16scan_by_key_implILNS1_25lookback_scan_determinismE0ELb0ES3_N6thrust23THRUST_200600_302600_NS6detail15normal_iteratorINS9_10device_ptrIiEEEENSB_INSC_IjEEEESG_jNS9_4plusIvEENS9_8equal_toIvEEjEE10hipError_tPvRmT2_T3_T4_T5_mT6_T7_P12ihipStream_tbENKUlT_T0_E_clISt17integral_constantIbLb1EES10_IbLb0EEEEDaSW_SX_EUlSW_E_NS1_11comp_targetILNS1_3genE5ELNS1_11target_archE942ELNS1_3gpuE9ELNS1_3repE0EEENS1_30default_config_static_selectorELNS0_4arch9wavefront6targetE1EEEvT1_
		.amdhsa_group_segment_fixed_size 25600
		.amdhsa_private_segment_fixed_size 0
		.amdhsa_kernarg_size 112
		.amdhsa_user_sgpr_count 2
		.amdhsa_user_sgpr_dispatch_ptr 0
		.amdhsa_user_sgpr_queue_ptr 0
		.amdhsa_user_sgpr_kernarg_segment_ptr 1
		.amdhsa_user_sgpr_dispatch_id 0
		.amdhsa_user_sgpr_kernarg_preload_length 0
		.amdhsa_user_sgpr_kernarg_preload_offset 0
		.amdhsa_user_sgpr_private_segment_size 0
		.amdhsa_uses_dynamic_stack 0
		.amdhsa_enable_private_segment 0
		.amdhsa_system_sgpr_workgroup_id_x 1
		.amdhsa_system_sgpr_workgroup_id_y 0
		.amdhsa_system_sgpr_workgroup_id_z 0
		.amdhsa_system_sgpr_workgroup_info 0
		.amdhsa_system_vgpr_workitem_id 0
		.amdhsa_next_free_vgpr 81
		.amdhsa_next_free_sgpr 82
		.amdhsa_accum_offset 84
		.amdhsa_reserve_vcc 1
		.amdhsa_float_round_mode_32 0
		.amdhsa_float_round_mode_16_64 0
		.amdhsa_float_denorm_mode_32 3
		.amdhsa_float_denorm_mode_16_64 3
		.amdhsa_dx10_clamp 1
		.amdhsa_ieee_mode 1
		.amdhsa_fp16_overflow 0
		.amdhsa_tg_split 0
		.amdhsa_exception_fp_ieee_invalid_op 0
		.amdhsa_exception_fp_denorm_src 0
		.amdhsa_exception_fp_ieee_div_zero 0
		.amdhsa_exception_fp_ieee_overflow 0
		.amdhsa_exception_fp_ieee_underflow 0
		.amdhsa_exception_fp_ieee_inexact 0
		.amdhsa_exception_int_div_zero 0
	.end_amdhsa_kernel
	.section	.text._ZN7rocprim17ROCPRIM_400000_NS6detail17trampoline_kernelINS0_14default_configENS1_27scan_by_key_config_selectorIijEEZZNS1_16scan_by_key_implILNS1_25lookback_scan_determinismE0ELb0ES3_N6thrust23THRUST_200600_302600_NS6detail15normal_iteratorINS9_10device_ptrIiEEEENSB_INSC_IjEEEESG_jNS9_4plusIvEENS9_8equal_toIvEEjEE10hipError_tPvRmT2_T3_T4_T5_mT6_T7_P12ihipStream_tbENKUlT_T0_E_clISt17integral_constantIbLb1EES10_IbLb0EEEEDaSW_SX_EUlSW_E_NS1_11comp_targetILNS1_3genE5ELNS1_11target_archE942ELNS1_3gpuE9ELNS1_3repE0EEENS1_30default_config_static_selectorELNS0_4arch9wavefront6targetE1EEEvT1_,"axG",@progbits,_ZN7rocprim17ROCPRIM_400000_NS6detail17trampoline_kernelINS0_14default_configENS1_27scan_by_key_config_selectorIijEEZZNS1_16scan_by_key_implILNS1_25lookback_scan_determinismE0ELb0ES3_N6thrust23THRUST_200600_302600_NS6detail15normal_iteratorINS9_10device_ptrIiEEEENSB_INSC_IjEEEESG_jNS9_4plusIvEENS9_8equal_toIvEEjEE10hipError_tPvRmT2_T3_T4_T5_mT6_T7_P12ihipStream_tbENKUlT_T0_E_clISt17integral_constantIbLb1EES10_IbLb0EEEEDaSW_SX_EUlSW_E_NS1_11comp_targetILNS1_3genE5ELNS1_11target_archE942ELNS1_3gpuE9ELNS1_3repE0EEENS1_30default_config_static_selectorELNS0_4arch9wavefront6targetE1EEEvT1_,comdat
.Lfunc_end1245:
	.size	_ZN7rocprim17ROCPRIM_400000_NS6detail17trampoline_kernelINS0_14default_configENS1_27scan_by_key_config_selectorIijEEZZNS1_16scan_by_key_implILNS1_25lookback_scan_determinismE0ELb0ES3_N6thrust23THRUST_200600_302600_NS6detail15normal_iteratorINS9_10device_ptrIiEEEENSB_INSC_IjEEEESG_jNS9_4plusIvEENS9_8equal_toIvEEjEE10hipError_tPvRmT2_T3_T4_T5_mT6_T7_P12ihipStream_tbENKUlT_T0_E_clISt17integral_constantIbLb1EES10_IbLb0EEEEDaSW_SX_EUlSW_E_NS1_11comp_targetILNS1_3genE5ELNS1_11target_archE942ELNS1_3gpuE9ELNS1_3repE0EEENS1_30default_config_static_selectorELNS0_4arch9wavefront6targetE1EEEvT1_, .Lfunc_end1245-_ZN7rocprim17ROCPRIM_400000_NS6detail17trampoline_kernelINS0_14default_configENS1_27scan_by_key_config_selectorIijEEZZNS1_16scan_by_key_implILNS1_25lookback_scan_determinismE0ELb0ES3_N6thrust23THRUST_200600_302600_NS6detail15normal_iteratorINS9_10device_ptrIiEEEENSB_INSC_IjEEEESG_jNS9_4plusIvEENS9_8equal_toIvEEjEE10hipError_tPvRmT2_T3_T4_T5_mT6_T7_P12ihipStream_tbENKUlT_T0_E_clISt17integral_constantIbLb1EES10_IbLb0EEEEDaSW_SX_EUlSW_E_NS1_11comp_targetILNS1_3genE5ELNS1_11target_archE942ELNS1_3gpuE9ELNS1_3repE0EEENS1_30default_config_static_selectorELNS0_4arch9wavefront6targetE1EEEvT1_
                                        ; -- End function
	.section	.AMDGPU.csdata,"",@progbits
; Kernel info:
; codeLenInByte = 15588
; NumSgprs: 88
; NumVgprs: 81
; NumAgprs: 0
; TotalNumVgprs: 81
; ScratchSize: 0
; MemoryBound: 0
; FloatMode: 240
; IeeeMode: 1
; LDSByteSize: 25600 bytes/workgroup (compile time only)
; SGPRBlocks: 10
; VGPRBlocks: 10
; NumSGPRsForWavesPerEU: 88
; NumVGPRsForWavesPerEU: 81
; AccumOffset: 84
; Occupancy: 2
; WaveLimiterHint : 1
; COMPUTE_PGM_RSRC2:SCRATCH_EN: 0
; COMPUTE_PGM_RSRC2:USER_SGPR: 2
; COMPUTE_PGM_RSRC2:TRAP_HANDLER: 0
; COMPUTE_PGM_RSRC2:TGID_X_EN: 1
; COMPUTE_PGM_RSRC2:TGID_Y_EN: 0
; COMPUTE_PGM_RSRC2:TGID_Z_EN: 0
; COMPUTE_PGM_RSRC2:TIDIG_COMP_CNT: 0
; COMPUTE_PGM_RSRC3_GFX90A:ACCUM_OFFSET: 20
; COMPUTE_PGM_RSRC3_GFX90A:TG_SPLIT: 0
	.section	.text._ZN7rocprim17ROCPRIM_400000_NS6detail17trampoline_kernelINS0_14default_configENS1_27scan_by_key_config_selectorIijEEZZNS1_16scan_by_key_implILNS1_25lookback_scan_determinismE0ELb0ES3_N6thrust23THRUST_200600_302600_NS6detail15normal_iteratorINS9_10device_ptrIiEEEENSB_INSC_IjEEEESG_jNS9_4plusIvEENS9_8equal_toIvEEjEE10hipError_tPvRmT2_T3_T4_T5_mT6_T7_P12ihipStream_tbENKUlT_T0_E_clISt17integral_constantIbLb1EES10_IbLb0EEEEDaSW_SX_EUlSW_E_NS1_11comp_targetILNS1_3genE4ELNS1_11target_archE910ELNS1_3gpuE8ELNS1_3repE0EEENS1_30default_config_static_selectorELNS0_4arch9wavefront6targetE1EEEvT1_,"axG",@progbits,_ZN7rocprim17ROCPRIM_400000_NS6detail17trampoline_kernelINS0_14default_configENS1_27scan_by_key_config_selectorIijEEZZNS1_16scan_by_key_implILNS1_25lookback_scan_determinismE0ELb0ES3_N6thrust23THRUST_200600_302600_NS6detail15normal_iteratorINS9_10device_ptrIiEEEENSB_INSC_IjEEEESG_jNS9_4plusIvEENS9_8equal_toIvEEjEE10hipError_tPvRmT2_T3_T4_T5_mT6_T7_P12ihipStream_tbENKUlT_T0_E_clISt17integral_constantIbLb1EES10_IbLb0EEEEDaSW_SX_EUlSW_E_NS1_11comp_targetILNS1_3genE4ELNS1_11target_archE910ELNS1_3gpuE8ELNS1_3repE0EEENS1_30default_config_static_selectorELNS0_4arch9wavefront6targetE1EEEvT1_,comdat
	.protected	_ZN7rocprim17ROCPRIM_400000_NS6detail17trampoline_kernelINS0_14default_configENS1_27scan_by_key_config_selectorIijEEZZNS1_16scan_by_key_implILNS1_25lookback_scan_determinismE0ELb0ES3_N6thrust23THRUST_200600_302600_NS6detail15normal_iteratorINS9_10device_ptrIiEEEENSB_INSC_IjEEEESG_jNS9_4plusIvEENS9_8equal_toIvEEjEE10hipError_tPvRmT2_T3_T4_T5_mT6_T7_P12ihipStream_tbENKUlT_T0_E_clISt17integral_constantIbLb1EES10_IbLb0EEEEDaSW_SX_EUlSW_E_NS1_11comp_targetILNS1_3genE4ELNS1_11target_archE910ELNS1_3gpuE8ELNS1_3repE0EEENS1_30default_config_static_selectorELNS0_4arch9wavefront6targetE1EEEvT1_ ; -- Begin function _ZN7rocprim17ROCPRIM_400000_NS6detail17trampoline_kernelINS0_14default_configENS1_27scan_by_key_config_selectorIijEEZZNS1_16scan_by_key_implILNS1_25lookback_scan_determinismE0ELb0ES3_N6thrust23THRUST_200600_302600_NS6detail15normal_iteratorINS9_10device_ptrIiEEEENSB_INSC_IjEEEESG_jNS9_4plusIvEENS9_8equal_toIvEEjEE10hipError_tPvRmT2_T3_T4_T5_mT6_T7_P12ihipStream_tbENKUlT_T0_E_clISt17integral_constantIbLb1EES10_IbLb0EEEEDaSW_SX_EUlSW_E_NS1_11comp_targetILNS1_3genE4ELNS1_11target_archE910ELNS1_3gpuE8ELNS1_3repE0EEENS1_30default_config_static_selectorELNS0_4arch9wavefront6targetE1EEEvT1_
	.globl	_ZN7rocprim17ROCPRIM_400000_NS6detail17trampoline_kernelINS0_14default_configENS1_27scan_by_key_config_selectorIijEEZZNS1_16scan_by_key_implILNS1_25lookback_scan_determinismE0ELb0ES3_N6thrust23THRUST_200600_302600_NS6detail15normal_iteratorINS9_10device_ptrIiEEEENSB_INSC_IjEEEESG_jNS9_4plusIvEENS9_8equal_toIvEEjEE10hipError_tPvRmT2_T3_T4_T5_mT6_T7_P12ihipStream_tbENKUlT_T0_E_clISt17integral_constantIbLb1EES10_IbLb0EEEEDaSW_SX_EUlSW_E_NS1_11comp_targetILNS1_3genE4ELNS1_11target_archE910ELNS1_3gpuE8ELNS1_3repE0EEENS1_30default_config_static_selectorELNS0_4arch9wavefront6targetE1EEEvT1_
	.p2align	8
	.type	_ZN7rocprim17ROCPRIM_400000_NS6detail17trampoline_kernelINS0_14default_configENS1_27scan_by_key_config_selectorIijEEZZNS1_16scan_by_key_implILNS1_25lookback_scan_determinismE0ELb0ES3_N6thrust23THRUST_200600_302600_NS6detail15normal_iteratorINS9_10device_ptrIiEEEENSB_INSC_IjEEEESG_jNS9_4plusIvEENS9_8equal_toIvEEjEE10hipError_tPvRmT2_T3_T4_T5_mT6_T7_P12ihipStream_tbENKUlT_T0_E_clISt17integral_constantIbLb1EES10_IbLb0EEEEDaSW_SX_EUlSW_E_NS1_11comp_targetILNS1_3genE4ELNS1_11target_archE910ELNS1_3gpuE8ELNS1_3repE0EEENS1_30default_config_static_selectorELNS0_4arch9wavefront6targetE1EEEvT1_,@function
_ZN7rocprim17ROCPRIM_400000_NS6detail17trampoline_kernelINS0_14default_configENS1_27scan_by_key_config_selectorIijEEZZNS1_16scan_by_key_implILNS1_25lookback_scan_determinismE0ELb0ES3_N6thrust23THRUST_200600_302600_NS6detail15normal_iteratorINS9_10device_ptrIiEEEENSB_INSC_IjEEEESG_jNS9_4plusIvEENS9_8equal_toIvEEjEE10hipError_tPvRmT2_T3_T4_T5_mT6_T7_P12ihipStream_tbENKUlT_T0_E_clISt17integral_constantIbLb1EES10_IbLb0EEEEDaSW_SX_EUlSW_E_NS1_11comp_targetILNS1_3genE4ELNS1_11target_archE910ELNS1_3gpuE8ELNS1_3repE0EEENS1_30default_config_static_selectorELNS0_4arch9wavefront6targetE1EEEvT1_: ; @_ZN7rocprim17ROCPRIM_400000_NS6detail17trampoline_kernelINS0_14default_configENS1_27scan_by_key_config_selectorIijEEZZNS1_16scan_by_key_implILNS1_25lookback_scan_determinismE0ELb0ES3_N6thrust23THRUST_200600_302600_NS6detail15normal_iteratorINS9_10device_ptrIiEEEENSB_INSC_IjEEEESG_jNS9_4plusIvEENS9_8equal_toIvEEjEE10hipError_tPvRmT2_T3_T4_T5_mT6_T7_P12ihipStream_tbENKUlT_T0_E_clISt17integral_constantIbLb1EES10_IbLb0EEEEDaSW_SX_EUlSW_E_NS1_11comp_targetILNS1_3genE4ELNS1_11target_archE910ELNS1_3gpuE8ELNS1_3repE0EEENS1_30default_config_static_selectorELNS0_4arch9wavefront6targetE1EEEvT1_
; %bb.0:
	.section	.rodata,"a",@progbits
	.p2align	6, 0x0
	.amdhsa_kernel _ZN7rocprim17ROCPRIM_400000_NS6detail17trampoline_kernelINS0_14default_configENS1_27scan_by_key_config_selectorIijEEZZNS1_16scan_by_key_implILNS1_25lookback_scan_determinismE0ELb0ES3_N6thrust23THRUST_200600_302600_NS6detail15normal_iteratorINS9_10device_ptrIiEEEENSB_INSC_IjEEEESG_jNS9_4plusIvEENS9_8equal_toIvEEjEE10hipError_tPvRmT2_T3_T4_T5_mT6_T7_P12ihipStream_tbENKUlT_T0_E_clISt17integral_constantIbLb1EES10_IbLb0EEEEDaSW_SX_EUlSW_E_NS1_11comp_targetILNS1_3genE4ELNS1_11target_archE910ELNS1_3gpuE8ELNS1_3repE0EEENS1_30default_config_static_selectorELNS0_4arch9wavefront6targetE1EEEvT1_
		.amdhsa_group_segment_fixed_size 0
		.amdhsa_private_segment_fixed_size 0
		.amdhsa_kernarg_size 112
		.amdhsa_user_sgpr_count 2
		.amdhsa_user_sgpr_dispatch_ptr 0
		.amdhsa_user_sgpr_queue_ptr 0
		.amdhsa_user_sgpr_kernarg_segment_ptr 1
		.amdhsa_user_sgpr_dispatch_id 0
		.amdhsa_user_sgpr_kernarg_preload_length 0
		.amdhsa_user_sgpr_kernarg_preload_offset 0
		.amdhsa_user_sgpr_private_segment_size 0
		.amdhsa_uses_dynamic_stack 0
		.amdhsa_enable_private_segment 0
		.amdhsa_system_sgpr_workgroup_id_x 1
		.amdhsa_system_sgpr_workgroup_id_y 0
		.amdhsa_system_sgpr_workgroup_id_z 0
		.amdhsa_system_sgpr_workgroup_info 0
		.amdhsa_system_vgpr_workitem_id 0
		.amdhsa_next_free_vgpr 1
		.amdhsa_next_free_sgpr 0
		.amdhsa_accum_offset 4
		.amdhsa_reserve_vcc 0
		.amdhsa_float_round_mode_32 0
		.amdhsa_float_round_mode_16_64 0
		.amdhsa_float_denorm_mode_32 3
		.amdhsa_float_denorm_mode_16_64 3
		.amdhsa_dx10_clamp 1
		.amdhsa_ieee_mode 1
		.amdhsa_fp16_overflow 0
		.amdhsa_tg_split 0
		.amdhsa_exception_fp_ieee_invalid_op 0
		.amdhsa_exception_fp_denorm_src 0
		.amdhsa_exception_fp_ieee_div_zero 0
		.amdhsa_exception_fp_ieee_overflow 0
		.amdhsa_exception_fp_ieee_underflow 0
		.amdhsa_exception_fp_ieee_inexact 0
		.amdhsa_exception_int_div_zero 0
	.end_amdhsa_kernel
	.section	.text._ZN7rocprim17ROCPRIM_400000_NS6detail17trampoline_kernelINS0_14default_configENS1_27scan_by_key_config_selectorIijEEZZNS1_16scan_by_key_implILNS1_25lookback_scan_determinismE0ELb0ES3_N6thrust23THRUST_200600_302600_NS6detail15normal_iteratorINS9_10device_ptrIiEEEENSB_INSC_IjEEEESG_jNS9_4plusIvEENS9_8equal_toIvEEjEE10hipError_tPvRmT2_T3_T4_T5_mT6_T7_P12ihipStream_tbENKUlT_T0_E_clISt17integral_constantIbLb1EES10_IbLb0EEEEDaSW_SX_EUlSW_E_NS1_11comp_targetILNS1_3genE4ELNS1_11target_archE910ELNS1_3gpuE8ELNS1_3repE0EEENS1_30default_config_static_selectorELNS0_4arch9wavefront6targetE1EEEvT1_,"axG",@progbits,_ZN7rocprim17ROCPRIM_400000_NS6detail17trampoline_kernelINS0_14default_configENS1_27scan_by_key_config_selectorIijEEZZNS1_16scan_by_key_implILNS1_25lookback_scan_determinismE0ELb0ES3_N6thrust23THRUST_200600_302600_NS6detail15normal_iteratorINS9_10device_ptrIiEEEENSB_INSC_IjEEEESG_jNS9_4plusIvEENS9_8equal_toIvEEjEE10hipError_tPvRmT2_T3_T4_T5_mT6_T7_P12ihipStream_tbENKUlT_T0_E_clISt17integral_constantIbLb1EES10_IbLb0EEEEDaSW_SX_EUlSW_E_NS1_11comp_targetILNS1_3genE4ELNS1_11target_archE910ELNS1_3gpuE8ELNS1_3repE0EEENS1_30default_config_static_selectorELNS0_4arch9wavefront6targetE1EEEvT1_,comdat
.Lfunc_end1246:
	.size	_ZN7rocprim17ROCPRIM_400000_NS6detail17trampoline_kernelINS0_14default_configENS1_27scan_by_key_config_selectorIijEEZZNS1_16scan_by_key_implILNS1_25lookback_scan_determinismE0ELb0ES3_N6thrust23THRUST_200600_302600_NS6detail15normal_iteratorINS9_10device_ptrIiEEEENSB_INSC_IjEEEESG_jNS9_4plusIvEENS9_8equal_toIvEEjEE10hipError_tPvRmT2_T3_T4_T5_mT6_T7_P12ihipStream_tbENKUlT_T0_E_clISt17integral_constantIbLb1EES10_IbLb0EEEEDaSW_SX_EUlSW_E_NS1_11comp_targetILNS1_3genE4ELNS1_11target_archE910ELNS1_3gpuE8ELNS1_3repE0EEENS1_30default_config_static_selectorELNS0_4arch9wavefront6targetE1EEEvT1_, .Lfunc_end1246-_ZN7rocprim17ROCPRIM_400000_NS6detail17trampoline_kernelINS0_14default_configENS1_27scan_by_key_config_selectorIijEEZZNS1_16scan_by_key_implILNS1_25lookback_scan_determinismE0ELb0ES3_N6thrust23THRUST_200600_302600_NS6detail15normal_iteratorINS9_10device_ptrIiEEEENSB_INSC_IjEEEESG_jNS9_4plusIvEENS9_8equal_toIvEEjEE10hipError_tPvRmT2_T3_T4_T5_mT6_T7_P12ihipStream_tbENKUlT_T0_E_clISt17integral_constantIbLb1EES10_IbLb0EEEEDaSW_SX_EUlSW_E_NS1_11comp_targetILNS1_3genE4ELNS1_11target_archE910ELNS1_3gpuE8ELNS1_3repE0EEENS1_30default_config_static_selectorELNS0_4arch9wavefront6targetE1EEEvT1_
                                        ; -- End function
	.section	.AMDGPU.csdata,"",@progbits
; Kernel info:
; codeLenInByte = 0
; NumSgprs: 6
; NumVgprs: 0
; NumAgprs: 0
; TotalNumVgprs: 0
; ScratchSize: 0
; MemoryBound: 0
; FloatMode: 240
; IeeeMode: 1
; LDSByteSize: 0 bytes/workgroup (compile time only)
; SGPRBlocks: 0
; VGPRBlocks: 0
; NumSGPRsForWavesPerEU: 6
; NumVGPRsForWavesPerEU: 1
; AccumOffset: 4
; Occupancy: 8
; WaveLimiterHint : 0
; COMPUTE_PGM_RSRC2:SCRATCH_EN: 0
; COMPUTE_PGM_RSRC2:USER_SGPR: 2
; COMPUTE_PGM_RSRC2:TRAP_HANDLER: 0
; COMPUTE_PGM_RSRC2:TGID_X_EN: 1
; COMPUTE_PGM_RSRC2:TGID_Y_EN: 0
; COMPUTE_PGM_RSRC2:TGID_Z_EN: 0
; COMPUTE_PGM_RSRC2:TIDIG_COMP_CNT: 0
; COMPUTE_PGM_RSRC3_GFX90A:ACCUM_OFFSET: 0
; COMPUTE_PGM_RSRC3_GFX90A:TG_SPLIT: 0
	.section	.text._ZN7rocprim17ROCPRIM_400000_NS6detail17trampoline_kernelINS0_14default_configENS1_27scan_by_key_config_selectorIijEEZZNS1_16scan_by_key_implILNS1_25lookback_scan_determinismE0ELb0ES3_N6thrust23THRUST_200600_302600_NS6detail15normal_iteratorINS9_10device_ptrIiEEEENSB_INSC_IjEEEESG_jNS9_4plusIvEENS9_8equal_toIvEEjEE10hipError_tPvRmT2_T3_T4_T5_mT6_T7_P12ihipStream_tbENKUlT_T0_E_clISt17integral_constantIbLb1EES10_IbLb0EEEEDaSW_SX_EUlSW_E_NS1_11comp_targetILNS1_3genE3ELNS1_11target_archE908ELNS1_3gpuE7ELNS1_3repE0EEENS1_30default_config_static_selectorELNS0_4arch9wavefront6targetE1EEEvT1_,"axG",@progbits,_ZN7rocprim17ROCPRIM_400000_NS6detail17trampoline_kernelINS0_14default_configENS1_27scan_by_key_config_selectorIijEEZZNS1_16scan_by_key_implILNS1_25lookback_scan_determinismE0ELb0ES3_N6thrust23THRUST_200600_302600_NS6detail15normal_iteratorINS9_10device_ptrIiEEEENSB_INSC_IjEEEESG_jNS9_4plusIvEENS9_8equal_toIvEEjEE10hipError_tPvRmT2_T3_T4_T5_mT6_T7_P12ihipStream_tbENKUlT_T0_E_clISt17integral_constantIbLb1EES10_IbLb0EEEEDaSW_SX_EUlSW_E_NS1_11comp_targetILNS1_3genE3ELNS1_11target_archE908ELNS1_3gpuE7ELNS1_3repE0EEENS1_30default_config_static_selectorELNS0_4arch9wavefront6targetE1EEEvT1_,comdat
	.protected	_ZN7rocprim17ROCPRIM_400000_NS6detail17trampoline_kernelINS0_14default_configENS1_27scan_by_key_config_selectorIijEEZZNS1_16scan_by_key_implILNS1_25lookback_scan_determinismE0ELb0ES3_N6thrust23THRUST_200600_302600_NS6detail15normal_iteratorINS9_10device_ptrIiEEEENSB_INSC_IjEEEESG_jNS9_4plusIvEENS9_8equal_toIvEEjEE10hipError_tPvRmT2_T3_T4_T5_mT6_T7_P12ihipStream_tbENKUlT_T0_E_clISt17integral_constantIbLb1EES10_IbLb0EEEEDaSW_SX_EUlSW_E_NS1_11comp_targetILNS1_3genE3ELNS1_11target_archE908ELNS1_3gpuE7ELNS1_3repE0EEENS1_30default_config_static_selectorELNS0_4arch9wavefront6targetE1EEEvT1_ ; -- Begin function _ZN7rocprim17ROCPRIM_400000_NS6detail17trampoline_kernelINS0_14default_configENS1_27scan_by_key_config_selectorIijEEZZNS1_16scan_by_key_implILNS1_25lookback_scan_determinismE0ELb0ES3_N6thrust23THRUST_200600_302600_NS6detail15normal_iteratorINS9_10device_ptrIiEEEENSB_INSC_IjEEEESG_jNS9_4plusIvEENS9_8equal_toIvEEjEE10hipError_tPvRmT2_T3_T4_T5_mT6_T7_P12ihipStream_tbENKUlT_T0_E_clISt17integral_constantIbLb1EES10_IbLb0EEEEDaSW_SX_EUlSW_E_NS1_11comp_targetILNS1_3genE3ELNS1_11target_archE908ELNS1_3gpuE7ELNS1_3repE0EEENS1_30default_config_static_selectorELNS0_4arch9wavefront6targetE1EEEvT1_
	.globl	_ZN7rocprim17ROCPRIM_400000_NS6detail17trampoline_kernelINS0_14default_configENS1_27scan_by_key_config_selectorIijEEZZNS1_16scan_by_key_implILNS1_25lookback_scan_determinismE0ELb0ES3_N6thrust23THRUST_200600_302600_NS6detail15normal_iteratorINS9_10device_ptrIiEEEENSB_INSC_IjEEEESG_jNS9_4plusIvEENS9_8equal_toIvEEjEE10hipError_tPvRmT2_T3_T4_T5_mT6_T7_P12ihipStream_tbENKUlT_T0_E_clISt17integral_constantIbLb1EES10_IbLb0EEEEDaSW_SX_EUlSW_E_NS1_11comp_targetILNS1_3genE3ELNS1_11target_archE908ELNS1_3gpuE7ELNS1_3repE0EEENS1_30default_config_static_selectorELNS0_4arch9wavefront6targetE1EEEvT1_
	.p2align	8
	.type	_ZN7rocprim17ROCPRIM_400000_NS6detail17trampoline_kernelINS0_14default_configENS1_27scan_by_key_config_selectorIijEEZZNS1_16scan_by_key_implILNS1_25lookback_scan_determinismE0ELb0ES3_N6thrust23THRUST_200600_302600_NS6detail15normal_iteratorINS9_10device_ptrIiEEEENSB_INSC_IjEEEESG_jNS9_4plusIvEENS9_8equal_toIvEEjEE10hipError_tPvRmT2_T3_T4_T5_mT6_T7_P12ihipStream_tbENKUlT_T0_E_clISt17integral_constantIbLb1EES10_IbLb0EEEEDaSW_SX_EUlSW_E_NS1_11comp_targetILNS1_3genE3ELNS1_11target_archE908ELNS1_3gpuE7ELNS1_3repE0EEENS1_30default_config_static_selectorELNS0_4arch9wavefront6targetE1EEEvT1_,@function
_ZN7rocprim17ROCPRIM_400000_NS6detail17trampoline_kernelINS0_14default_configENS1_27scan_by_key_config_selectorIijEEZZNS1_16scan_by_key_implILNS1_25lookback_scan_determinismE0ELb0ES3_N6thrust23THRUST_200600_302600_NS6detail15normal_iteratorINS9_10device_ptrIiEEEENSB_INSC_IjEEEESG_jNS9_4plusIvEENS9_8equal_toIvEEjEE10hipError_tPvRmT2_T3_T4_T5_mT6_T7_P12ihipStream_tbENKUlT_T0_E_clISt17integral_constantIbLb1EES10_IbLb0EEEEDaSW_SX_EUlSW_E_NS1_11comp_targetILNS1_3genE3ELNS1_11target_archE908ELNS1_3gpuE7ELNS1_3repE0EEENS1_30default_config_static_selectorELNS0_4arch9wavefront6targetE1EEEvT1_: ; @_ZN7rocprim17ROCPRIM_400000_NS6detail17trampoline_kernelINS0_14default_configENS1_27scan_by_key_config_selectorIijEEZZNS1_16scan_by_key_implILNS1_25lookback_scan_determinismE0ELb0ES3_N6thrust23THRUST_200600_302600_NS6detail15normal_iteratorINS9_10device_ptrIiEEEENSB_INSC_IjEEEESG_jNS9_4plusIvEENS9_8equal_toIvEEjEE10hipError_tPvRmT2_T3_T4_T5_mT6_T7_P12ihipStream_tbENKUlT_T0_E_clISt17integral_constantIbLb1EES10_IbLb0EEEEDaSW_SX_EUlSW_E_NS1_11comp_targetILNS1_3genE3ELNS1_11target_archE908ELNS1_3gpuE7ELNS1_3repE0EEENS1_30default_config_static_selectorELNS0_4arch9wavefront6targetE1EEEvT1_
; %bb.0:
	.section	.rodata,"a",@progbits
	.p2align	6, 0x0
	.amdhsa_kernel _ZN7rocprim17ROCPRIM_400000_NS6detail17trampoline_kernelINS0_14default_configENS1_27scan_by_key_config_selectorIijEEZZNS1_16scan_by_key_implILNS1_25lookback_scan_determinismE0ELb0ES3_N6thrust23THRUST_200600_302600_NS6detail15normal_iteratorINS9_10device_ptrIiEEEENSB_INSC_IjEEEESG_jNS9_4plusIvEENS9_8equal_toIvEEjEE10hipError_tPvRmT2_T3_T4_T5_mT6_T7_P12ihipStream_tbENKUlT_T0_E_clISt17integral_constantIbLb1EES10_IbLb0EEEEDaSW_SX_EUlSW_E_NS1_11comp_targetILNS1_3genE3ELNS1_11target_archE908ELNS1_3gpuE7ELNS1_3repE0EEENS1_30default_config_static_selectorELNS0_4arch9wavefront6targetE1EEEvT1_
		.amdhsa_group_segment_fixed_size 0
		.amdhsa_private_segment_fixed_size 0
		.amdhsa_kernarg_size 112
		.amdhsa_user_sgpr_count 2
		.amdhsa_user_sgpr_dispatch_ptr 0
		.amdhsa_user_sgpr_queue_ptr 0
		.amdhsa_user_sgpr_kernarg_segment_ptr 1
		.amdhsa_user_sgpr_dispatch_id 0
		.amdhsa_user_sgpr_kernarg_preload_length 0
		.amdhsa_user_sgpr_kernarg_preload_offset 0
		.amdhsa_user_sgpr_private_segment_size 0
		.amdhsa_uses_dynamic_stack 0
		.amdhsa_enable_private_segment 0
		.amdhsa_system_sgpr_workgroup_id_x 1
		.amdhsa_system_sgpr_workgroup_id_y 0
		.amdhsa_system_sgpr_workgroup_id_z 0
		.amdhsa_system_sgpr_workgroup_info 0
		.amdhsa_system_vgpr_workitem_id 0
		.amdhsa_next_free_vgpr 1
		.amdhsa_next_free_sgpr 0
		.amdhsa_accum_offset 4
		.amdhsa_reserve_vcc 0
		.amdhsa_float_round_mode_32 0
		.amdhsa_float_round_mode_16_64 0
		.amdhsa_float_denorm_mode_32 3
		.amdhsa_float_denorm_mode_16_64 3
		.amdhsa_dx10_clamp 1
		.amdhsa_ieee_mode 1
		.amdhsa_fp16_overflow 0
		.amdhsa_tg_split 0
		.amdhsa_exception_fp_ieee_invalid_op 0
		.amdhsa_exception_fp_denorm_src 0
		.amdhsa_exception_fp_ieee_div_zero 0
		.amdhsa_exception_fp_ieee_overflow 0
		.amdhsa_exception_fp_ieee_underflow 0
		.amdhsa_exception_fp_ieee_inexact 0
		.amdhsa_exception_int_div_zero 0
	.end_amdhsa_kernel
	.section	.text._ZN7rocprim17ROCPRIM_400000_NS6detail17trampoline_kernelINS0_14default_configENS1_27scan_by_key_config_selectorIijEEZZNS1_16scan_by_key_implILNS1_25lookback_scan_determinismE0ELb0ES3_N6thrust23THRUST_200600_302600_NS6detail15normal_iteratorINS9_10device_ptrIiEEEENSB_INSC_IjEEEESG_jNS9_4plusIvEENS9_8equal_toIvEEjEE10hipError_tPvRmT2_T3_T4_T5_mT6_T7_P12ihipStream_tbENKUlT_T0_E_clISt17integral_constantIbLb1EES10_IbLb0EEEEDaSW_SX_EUlSW_E_NS1_11comp_targetILNS1_3genE3ELNS1_11target_archE908ELNS1_3gpuE7ELNS1_3repE0EEENS1_30default_config_static_selectorELNS0_4arch9wavefront6targetE1EEEvT1_,"axG",@progbits,_ZN7rocprim17ROCPRIM_400000_NS6detail17trampoline_kernelINS0_14default_configENS1_27scan_by_key_config_selectorIijEEZZNS1_16scan_by_key_implILNS1_25lookback_scan_determinismE0ELb0ES3_N6thrust23THRUST_200600_302600_NS6detail15normal_iteratorINS9_10device_ptrIiEEEENSB_INSC_IjEEEESG_jNS9_4plusIvEENS9_8equal_toIvEEjEE10hipError_tPvRmT2_T3_T4_T5_mT6_T7_P12ihipStream_tbENKUlT_T0_E_clISt17integral_constantIbLb1EES10_IbLb0EEEEDaSW_SX_EUlSW_E_NS1_11comp_targetILNS1_3genE3ELNS1_11target_archE908ELNS1_3gpuE7ELNS1_3repE0EEENS1_30default_config_static_selectorELNS0_4arch9wavefront6targetE1EEEvT1_,comdat
.Lfunc_end1247:
	.size	_ZN7rocprim17ROCPRIM_400000_NS6detail17trampoline_kernelINS0_14default_configENS1_27scan_by_key_config_selectorIijEEZZNS1_16scan_by_key_implILNS1_25lookback_scan_determinismE0ELb0ES3_N6thrust23THRUST_200600_302600_NS6detail15normal_iteratorINS9_10device_ptrIiEEEENSB_INSC_IjEEEESG_jNS9_4plusIvEENS9_8equal_toIvEEjEE10hipError_tPvRmT2_T3_T4_T5_mT6_T7_P12ihipStream_tbENKUlT_T0_E_clISt17integral_constantIbLb1EES10_IbLb0EEEEDaSW_SX_EUlSW_E_NS1_11comp_targetILNS1_3genE3ELNS1_11target_archE908ELNS1_3gpuE7ELNS1_3repE0EEENS1_30default_config_static_selectorELNS0_4arch9wavefront6targetE1EEEvT1_, .Lfunc_end1247-_ZN7rocprim17ROCPRIM_400000_NS6detail17trampoline_kernelINS0_14default_configENS1_27scan_by_key_config_selectorIijEEZZNS1_16scan_by_key_implILNS1_25lookback_scan_determinismE0ELb0ES3_N6thrust23THRUST_200600_302600_NS6detail15normal_iteratorINS9_10device_ptrIiEEEENSB_INSC_IjEEEESG_jNS9_4plusIvEENS9_8equal_toIvEEjEE10hipError_tPvRmT2_T3_T4_T5_mT6_T7_P12ihipStream_tbENKUlT_T0_E_clISt17integral_constantIbLb1EES10_IbLb0EEEEDaSW_SX_EUlSW_E_NS1_11comp_targetILNS1_3genE3ELNS1_11target_archE908ELNS1_3gpuE7ELNS1_3repE0EEENS1_30default_config_static_selectorELNS0_4arch9wavefront6targetE1EEEvT1_
                                        ; -- End function
	.section	.AMDGPU.csdata,"",@progbits
; Kernel info:
; codeLenInByte = 0
; NumSgprs: 6
; NumVgprs: 0
; NumAgprs: 0
; TotalNumVgprs: 0
; ScratchSize: 0
; MemoryBound: 0
; FloatMode: 240
; IeeeMode: 1
; LDSByteSize: 0 bytes/workgroup (compile time only)
; SGPRBlocks: 0
; VGPRBlocks: 0
; NumSGPRsForWavesPerEU: 6
; NumVGPRsForWavesPerEU: 1
; AccumOffset: 4
; Occupancy: 8
; WaveLimiterHint : 0
; COMPUTE_PGM_RSRC2:SCRATCH_EN: 0
; COMPUTE_PGM_RSRC2:USER_SGPR: 2
; COMPUTE_PGM_RSRC2:TRAP_HANDLER: 0
; COMPUTE_PGM_RSRC2:TGID_X_EN: 1
; COMPUTE_PGM_RSRC2:TGID_Y_EN: 0
; COMPUTE_PGM_RSRC2:TGID_Z_EN: 0
; COMPUTE_PGM_RSRC2:TIDIG_COMP_CNT: 0
; COMPUTE_PGM_RSRC3_GFX90A:ACCUM_OFFSET: 0
; COMPUTE_PGM_RSRC3_GFX90A:TG_SPLIT: 0
	.section	.text._ZN7rocprim17ROCPRIM_400000_NS6detail17trampoline_kernelINS0_14default_configENS1_27scan_by_key_config_selectorIijEEZZNS1_16scan_by_key_implILNS1_25lookback_scan_determinismE0ELb0ES3_N6thrust23THRUST_200600_302600_NS6detail15normal_iteratorINS9_10device_ptrIiEEEENSB_INSC_IjEEEESG_jNS9_4plusIvEENS9_8equal_toIvEEjEE10hipError_tPvRmT2_T3_T4_T5_mT6_T7_P12ihipStream_tbENKUlT_T0_E_clISt17integral_constantIbLb1EES10_IbLb0EEEEDaSW_SX_EUlSW_E_NS1_11comp_targetILNS1_3genE2ELNS1_11target_archE906ELNS1_3gpuE6ELNS1_3repE0EEENS1_30default_config_static_selectorELNS0_4arch9wavefront6targetE1EEEvT1_,"axG",@progbits,_ZN7rocprim17ROCPRIM_400000_NS6detail17trampoline_kernelINS0_14default_configENS1_27scan_by_key_config_selectorIijEEZZNS1_16scan_by_key_implILNS1_25lookback_scan_determinismE0ELb0ES3_N6thrust23THRUST_200600_302600_NS6detail15normal_iteratorINS9_10device_ptrIiEEEENSB_INSC_IjEEEESG_jNS9_4plusIvEENS9_8equal_toIvEEjEE10hipError_tPvRmT2_T3_T4_T5_mT6_T7_P12ihipStream_tbENKUlT_T0_E_clISt17integral_constantIbLb1EES10_IbLb0EEEEDaSW_SX_EUlSW_E_NS1_11comp_targetILNS1_3genE2ELNS1_11target_archE906ELNS1_3gpuE6ELNS1_3repE0EEENS1_30default_config_static_selectorELNS0_4arch9wavefront6targetE1EEEvT1_,comdat
	.protected	_ZN7rocprim17ROCPRIM_400000_NS6detail17trampoline_kernelINS0_14default_configENS1_27scan_by_key_config_selectorIijEEZZNS1_16scan_by_key_implILNS1_25lookback_scan_determinismE0ELb0ES3_N6thrust23THRUST_200600_302600_NS6detail15normal_iteratorINS9_10device_ptrIiEEEENSB_INSC_IjEEEESG_jNS9_4plusIvEENS9_8equal_toIvEEjEE10hipError_tPvRmT2_T3_T4_T5_mT6_T7_P12ihipStream_tbENKUlT_T0_E_clISt17integral_constantIbLb1EES10_IbLb0EEEEDaSW_SX_EUlSW_E_NS1_11comp_targetILNS1_3genE2ELNS1_11target_archE906ELNS1_3gpuE6ELNS1_3repE0EEENS1_30default_config_static_selectorELNS0_4arch9wavefront6targetE1EEEvT1_ ; -- Begin function _ZN7rocprim17ROCPRIM_400000_NS6detail17trampoline_kernelINS0_14default_configENS1_27scan_by_key_config_selectorIijEEZZNS1_16scan_by_key_implILNS1_25lookback_scan_determinismE0ELb0ES3_N6thrust23THRUST_200600_302600_NS6detail15normal_iteratorINS9_10device_ptrIiEEEENSB_INSC_IjEEEESG_jNS9_4plusIvEENS9_8equal_toIvEEjEE10hipError_tPvRmT2_T3_T4_T5_mT6_T7_P12ihipStream_tbENKUlT_T0_E_clISt17integral_constantIbLb1EES10_IbLb0EEEEDaSW_SX_EUlSW_E_NS1_11comp_targetILNS1_3genE2ELNS1_11target_archE906ELNS1_3gpuE6ELNS1_3repE0EEENS1_30default_config_static_selectorELNS0_4arch9wavefront6targetE1EEEvT1_
	.globl	_ZN7rocprim17ROCPRIM_400000_NS6detail17trampoline_kernelINS0_14default_configENS1_27scan_by_key_config_selectorIijEEZZNS1_16scan_by_key_implILNS1_25lookback_scan_determinismE0ELb0ES3_N6thrust23THRUST_200600_302600_NS6detail15normal_iteratorINS9_10device_ptrIiEEEENSB_INSC_IjEEEESG_jNS9_4plusIvEENS9_8equal_toIvEEjEE10hipError_tPvRmT2_T3_T4_T5_mT6_T7_P12ihipStream_tbENKUlT_T0_E_clISt17integral_constantIbLb1EES10_IbLb0EEEEDaSW_SX_EUlSW_E_NS1_11comp_targetILNS1_3genE2ELNS1_11target_archE906ELNS1_3gpuE6ELNS1_3repE0EEENS1_30default_config_static_selectorELNS0_4arch9wavefront6targetE1EEEvT1_
	.p2align	8
	.type	_ZN7rocprim17ROCPRIM_400000_NS6detail17trampoline_kernelINS0_14default_configENS1_27scan_by_key_config_selectorIijEEZZNS1_16scan_by_key_implILNS1_25lookback_scan_determinismE0ELb0ES3_N6thrust23THRUST_200600_302600_NS6detail15normal_iteratorINS9_10device_ptrIiEEEENSB_INSC_IjEEEESG_jNS9_4plusIvEENS9_8equal_toIvEEjEE10hipError_tPvRmT2_T3_T4_T5_mT6_T7_P12ihipStream_tbENKUlT_T0_E_clISt17integral_constantIbLb1EES10_IbLb0EEEEDaSW_SX_EUlSW_E_NS1_11comp_targetILNS1_3genE2ELNS1_11target_archE906ELNS1_3gpuE6ELNS1_3repE0EEENS1_30default_config_static_selectorELNS0_4arch9wavefront6targetE1EEEvT1_,@function
_ZN7rocprim17ROCPRIM_400000_NS6detail17trampoline_kernelINS0_14default_configENS1_27scan_by_key_config_selectorIijEEZZNS1_16scan_by_key_implILNS1_25lookback_scan_determinismE0ELb0ES3_N6thrust23THRUST_200600_302600_NS6detail15normal_iteratorINS9_10device_ptrIiEEEENSB_INSC_IjEEEESG_jNS9_4plusIvEENS9_8equal_toIvEEjEE10hipError_tPvRmT2_T3_T4_T5_mT6_T7_P12ihipStream_tbENKUlT_T0_E_clISt17integral_constantIbLb1EES10_IbLb0EEEEDaSW_SX_EUlSW_E_NS1_11comp_targetILNS1_3genE2ELNS1_11target_archE906ELNS1_3gpuE6ELNS1_3repE0EEENS1_30default_config_static_selectorELNS0_4arch9wavefront6targetE1EEEvT1_: ; @_ZN7rocprim17ROCPRIM_400000_NS6detail17trampoline_kernelINS0_14default_configENS1_27scan_by_key_config_selectorIijEEZZNS1_16scan_by_key_implILNS1_25lookback_scan_determinismE0ELb0ES3_N6thrust23THRUST_200600_302600_NS6detail15normal_iteratorINS9_10device_ptrIiEEEENSB_INSC_IjEEEESG_jNS9_4plusIvEENS9_8equal_toIvEEjEE10hipError_tPvRmT2_T3_T4_T5_mT6_T7_P12ihipStream_tbENKUlT_T0_E_clISt17integral_constantIbLb1EES10_IbLb0EEEEDaSW_SX_EUlSW_E_NS1_11comp_targetILNS1_3genE2ELNS1_11target_archE906ELNS1_3gpuE6ELNS1_3repE0EEENS1_30default_config_static_selectorELNS0_4arch9wavefront6targetE1EEEvT1_
; %bb.0:
	.section	.rodata,"a",@progbits
	.p2align	6, 0x0
	.amdhsa_kernel _ZN7rocprim17ROCPRIM_400000_NS6detail17trampoline_kernelINS0_14default_configENS1_27scan_by_key_config_selectorIijEEZZNS1_16scan_by_key_implILNS1_25lookback_scan_determinismE0ELb0ES3_N6thrust23THRUST_200600_302600_NS6detail15normal_iteratorINS9_10device_ptrIiEEEENSB_INSC_IjEEEESG_jNS9_4plusIvEENS9_8equal_toIvEEjEE10hipError_tPvRmT2_T3_T4_T5_mT6_T7_P12ihipStream_tbENKUlT_T0_E_clISt17integral_constantIbLb1EES10_IbLb0EEEEDaSW_SX_EUlSW_E_NS1_11comp_targetILNS1_3genE2ELNS1_11target_archE906ELNS1_3gpuE6ELNS1_3repE0EEENS1_30default_config_static_selectorELNS0_4arch9wavefront6targetE1EEEvT1_
		.amdhsa_group_segment_fixed_size 0
		.amdhsa_private_segment_fixed_size 0
		.amdhsa_kernarg_size 112
		.amdhsa_user_sgpr_count 2
		.amdhsa_user_sgpr_dispatch_ptr 0
		.amdhsa_user_sgpr_queue_ptr 0
		.amdhsa_user_sgpr_kernarg_segment_ptr 1
		.amdhsa_user_sgpr_dispatch_id 0
		.amdhsa_user_sgpr_kernarg_preload_length 0
		.amdhsa_user_sgpr_kernarg_preload_offset 0
		.amdhsa_user_sgpr_private_segment_size 0
		.amdhsa_uses_dynamic_stack 0
		.amdhsa_enable_private_segment 0
		.amdhsa_system_sgpr_workgroup_id_x 1
		.amdhsa_system_sgpr_workgroup_id_y 0
		.amdhsa_system_sgpr_workgroup_id_z 0
		.amdhsa_system_sgpr_workgroup_info 0
		.amdhsa_system_vgpr_workitem_id 0
		.amdhsa_next_free_vgpr 1
		.amdhsa_next_free_sgpr 0
		.amdhsa_accum_offset 4
		.amdhsa_reserve_vcc 0
		.amdhsa_float_round_mode_32 0
		.amdhsa_float_round_mode_16_64 0
		.amdhsa_float_denorm_mode_32 3
		.amdhsa_float_denorm_mode_16_64 3
		.amdhsa_dx10_clamp 1
		.amdhsa_ieee_mode 1
		.amdhsa_fp16_overflow 0
		.amdhsa_tg_split 0
		.amdhsa_exception_fp_ieee_invalid_op 0
		.amdhsa_exception_fp_denorm_src 0
		.amdhsa_exception_fp_ieee_div_zero 0
		.amdhsa_exception_fp_ieee_overflow 0
		.amdhsa_exception_fp_ieee_underflow 0
		.amdhsa_exception_fp_ieee_inexact 0
		.amdhsa_exception_int_div_zero 0
	.end_amdhsa_kernel
	.section	.text._ZN7rocprim17ROCPRIM_400000_NS6detail17trampoline_kernelINS0_14default_configENS1_27scan_by_key_config_selectorIijEEZZNS1_16scan_by_key_implILNS1_25lookback_scan_determinismE0ELb0ES3_N6thrust23THRUST_200600_302600_NS6detail15normal_iteratorINS9_10device_ptrIiEEEENSB_INSC_IjEEEESG_jNS9_4plusIvEENS9_8equal_toIvEEjEE10hipError_tPvRmT2_T3_T4_T5_mT6_T7_P12ihipStream_tbENKUlT_T0_E_clISt17integral_constantIbLb1EES10_IbLb0EEEEDaSW_SX_EUlSW_E_NS1_11comp_targetILNS1_3genE2ELNS1_11target_archE906ELNS1_3gpuE6ELNS1_3repE0EEENS1_30default_config_static_selectorELNS0_4arch9wavefront6targetE1EEEvT1_,"axG",@progbits,_ZN7rocprim17ROCPRIM_400000_NS6detail17trampoline_kernelINS0_14default_configENS1_27scan_by_key_config_selectorIijEEZZNS1_16scan_by_key_implILNS1_25lookback_scan_determinismE0ELb0ES3_N6thrust23THRUST_200600_302600_NS6detail15normal_iteratorINS9_10device_ptrIiEEEENSB_INSC_IjEEEESG_jNS9_4plusIvEENS9_8equal_toIvEEjEE10hipError_tPvRmT2_T3_T4_T5_mT6_T7_P12ihipStream_tbENKUlT_T0_E_clISt17integral_constantIbLb1EES10_IbLb0EEEEDaSW_SX_EUlSW_E_NS1_11comp_targetILNS1_3genE2ELNS1_11target_archE906ELNS1_3gpuE6ELNS1_3repE0EEENS1_30default_config_static_selectorELNS0_4arch9wavefront6targetE1EEEvT1_,comdat
.Lfunc_end1248:
	.size	_ZN7rocprim17ROCPRIM_400000_NS6detail17trampoline_kernelINS0_14default_configENS1_27scan_by_key_config_selectorIijEEZZNS1_16scan_by_key_implILNS1_25lookback_scan_determinismE0ELb0ES3_N6thrust23THRUST_200600_302600_NS6detail15normal_iteratorINS9_10device_ptrIiEEEENSB_INSC_IjEEEESG_jNS9_4plusIvEENS9_8equal_toIvEEjEE10hipError_tPvRmT2_T3_T4_T5_mT6_T7_P12ihipStream_tbENKUlT_T0_E_clISt17integral_constantIbLb1EES10_IbLb0EEEEDaSW_SX_EUlSW_E_NS1_11comp_targetILNS1_3genE2ELNS1_11target_archE906ELNS1_3gpuE6ELNS1_3repE0EEENS1_30default_config_static_selectorELNS0_4arch9wavefront6targetE1EEEvT1_, .Lfunc_end1248-_ZN7rocprim17ROCPRIM_400000_NS6detail17trampoline_kernelINS0_14default_configENS1_27scan_by_key_config_selectorIijEEZZNS1_16scan_by_key_implILNS1_25lookback_scan_determinismE0ELb0ES3_N6thrust23THRUST_200600_302600_NS6detail15normal_iteratorINS9_10device_ptrIiEEEENSB_INSC_IjEEEESG_jNS9_4plusIvEENS9_8equal_toIvEEjEE10hipError_tPvRmT2_T3_T4_T5_mT6_T7_P12ihipStream_tbENKUlT_T0_E_clISt17integral_constantIbLb1EES10_IbLb0EEEEDaSW_SX_EUlSW_E_NS1_11comp_targetILNS1_3genE2ELNS1_11target_archE906ELNS1_3gpuE6ELNS1_3repE0EEENS1_30default_config_static_selectorELNS0_4arch9wavefront6targetE1EEEvT1_
                                        ; -- End function
	.section	.AMDGPU.csdata,"",@progbits
; Kernel info:
; codeLenInByte = 0
; NumSgprs: 6
; NumVgprs: 0
; NumAgprs: 0
; TotalNumVgprs: 0
; ScratchSize: 0
; MemoryBound: 0
; FloatMode: 240
; IeeeMode: 1
; LDSByteSize: 0 bytes/workgroup (compile time only)
; SGPRBlocks: 0
; VGPRBlocks: 0
; NumSGPRsForWavesPerEU: 6
; NumVGPRsForWavesPerEU: 1
; AccumOffset: 4
; Occupancy: 8
; WaveLimiterHint : 0
; COMPUTE_PGM_RSRC2:SCRATCH_EN: 0
; COMPUTE_PGM_RSRC2:USER_SGPR: 2
; COMPUTE_PGM_RSRC2:TRAP_HANDLER: 0
; COMPUTE_PGM_RSRC2:TGID_X_EN: 1
; COMPUTE_PGM_RSRC2:TGID_Y_EN: 0
; COMPUTE_PGM_RSRC2:TGID_Z_EN: 0
; COMPUTE_PGM_RSRC2:TIDIG_COMP_CNT: 0
; COMPUTE_PGM_RSRC3_GFX90A:ACCUM_OFFSET: 0
; COMPUTE_PGM_RSRC3_GFX90A:TG_SPLIT: 0
	.section	.text._ZN7rocprim17ROCPRIM_400000_NS6detail17trampoline_kernelINS0_14default_configENS1_27scan_by_key_config_selectorIijEEZZNS1_16scan_by_key_implILNS1_25lookback_scan_determinismE0ELb0ES3_N6thrust23THRUST_200600_302600_NS6detail15normal_iteratorINS9_10device_ptrIiEEEENSB_INSC_IjEEEESG_jNS9_4plusIvEENS9_8equal_toIvEEjEE10hipError_tPvRmT2_T3_T4_T5_mT6_T7_P12ihipStream_tbENKUlT_T0_E_clISt17integral_constantIbLb1EES10_IbLb0EEEEDaSW_SX_EUlSW_E_NS1_11comp_targetILNS1_3genE10ELNS1_11target_archE1200ELNS1_3gpuE4ELNS1_3repE0EEENS1_30default_config_static_selectorELNS0_4arch9wavefront6targetE1EEEvT1_,"axG",@progbits,_ZN7rocprim17ROCPRIM_400000_NS6detail17trampoline_kernelINS0_14default_configENS1_27scan_by_key_config_selectorIijEEZZNS1_16scan_by_key_implILNS1_25lookback_scan_determinismE0ELb0ES3_N6thrust23THRUST_200600_302600_NS6detail15normal_iteratorINS9_10device_ptrIiEEEENSB_INSC_IjEEEESG_jNS9_4plusIvEENS9_8equal_toIvEEjEE10hipError_tPvRmT2_T3_T4_T5_mT6_T7_P12ihipStream_tbENKUlT_T0_E_clISt17integral_constantIbLb1EES10_IbLb0EEEEDaSW_SX_EUlSW_E_NS1_11comp_targetILNS1_3genE10ELNS1_11target_archE1200ELNS1_3gpuE4ELNS1_3repE0EEENS1_30default_config_static_selectorELNS0_4arch9wavefront6targetE1EEEvT1_,comdat
	.protected	_ZN7rocprim17ROCPRIM_400000_NS6detail17trampoline_kernelINS0_14default_configENS1_27scan_by_key_config_selectorIijEEZZNS1_16scan_by_key_implILNS1_25lookback_scan_determinismE0ELb0ES3_N6thrust23THRUST_200600_302600_NS6detail15normal_iteratorINS9_10device_ptrIiEEEENSB_INSC_IjEEEESG_jNS9_4plusIvEENS9_8equal_toIvEEjEE10hipError_tPvRmT2_T3_T4_T5_mT6_T7_P12ihipStream_tbENKUlT_T0_E_clISt17integral_constantIbLb1EES10_IbLb0EEEEDaSW_SX_EUlSW_E_NS1_11comp_targetILNS1_3genE10ELNS1_11target_archE1200ELNS1_3gpuE4ELNS1_3repE0EEENS1_30default_config_static_selectorELNS0_4arch9wavefront6targetE1EEEvT1_ ; -- Begin function _ZN7rocprim17ROCPRIM_400000_NS6detail17trampoline_kernelINS0_14default_configENS1_27scan_by_key_config_selectorIijEEZZNS1_16scan_by_key_implILNS1_25lookback_scan_determinismE0ELb0ES3_N6thrust23THRUST_200600_302600_NS6detail15normal_iteratorINS9_10device_ptrIiEEEENSB_INSC_IjEEEESG_jNS9_4plusIvEENS9_8equal_toIvEEjEE10hipError_tPvRmT2_T3_T4_T5_mT6_T7_P12ihipStream_tbENKUlT_T0_E_clISt17integral_constantIbLb1EES10_IbLb0EEEEDaSW_SX_EUlSW_E_NS1_11comp_targetILNS1_3genE10ELNS1_11target_archE1200ELNS1_3gpuE4ELNS1_3repE0EEENS1_30default_config_static_selectorELNS0_4arch9wavefront6targetE1EEEvT1_
	.globl	_ZN7rocprim17ROCPRIM_400000_NS6detail17trampoline_kernelINS0_14default_configENS1_27scan_by_key_config_selectorIijEEZZNS1_16scan_by_key_implILNS1_25lookback_scan_determinismE0ELb0ES3_N6thrust23THRUST_200600_302600_NS6detail15normal_iteratorINS9_10device_ptrIiEEEENSB_INSC_IjEEEESG_jNS9_4plusIvEENS9_8equal_toIvEEjEE10hipError_tPvRmT2_T3_T4_T5_mT6_T7_P12ihipStream_tbENKUlT_T0_E_clISt17integral_constantIbLb1EES10_IbLb0EEEEDaSW_SX_EUlSW_E_NS1_11comp_targetILNS1_3genE10ELNS1_11target_archE1200ELNS1_3gpuE4ELNS1_3repE0EEENS1_30default_config_static_selectorELNS0_4arch9wavefront6targetE1EEEvT1_
	.p2align	8
	.type	_ZN7rocprim17ROCPRIM_400000_NS6detail17trampoline_kernelINS0_14default_configENS1_27scan_by_key_config_selectorIijEEZZNS1_16scan_by_key_implILNS1_25lookback_scan_determinismE0ELb0ES3_N6thrust23THRUST_200600_302600_NS6detail15normal_iteratorINS9_10device_ptrIiEEEENSB_INSC_IjEEEESG_jNS9_4plusIvEENS9_8equal_toIvEEjEE10hipError_tPvRmT2_T3_T4_T5_mT6_T7_P12ihipStream_tbENKUlT_T0_E_clISt17integral_constantIbLb1EES10_IbLb0EEEEDaSW_SX_EUlSW_E_NS1_11comp_targetILNS1_3genE10ELNS1_11target_archE1200ELNS1_3gpuE4ELNS1_3repE0EEENS1_30default_config_static_selectorELNS0_4arch9wavefront6targetE1EEEvT1_,@function
_ZN7rocprim17ROCPRIM_400000_NS6detail17trampoline_kernelINS0_14default_configENS1_27scan_by_key_config_selectorIijEEZZNS1_16scan_by_key_implILNS1_25lookback_scan_determinismE0ELb0ES3_N6thrust23THRUST_200600_302600_NS6detail15normal_iteratorINS9_10device_ptrIiEEEENSB_INSC_IjEEEESG_jNS9_4plusIvEENS9_8equal_toIvEEjEE10hipError_tPvRmT2_T3_T4_T5_mT6_T7_P12ihipStream_tbENKUlT_T0_E_clISt17integral_constantIbLb1EES10_IbLb0EEEEDaSW_SX_EUlSW_E_NS1_11comp_targetILNS1_3genE10ELNS1_11target_archE1200ELNS1_3gpuE4ELNS1_3repE0EEENS1_30default_config_static_selectorELNS0_4arch9wavefront6targetE1EEEvT1_: ; @_ZN7rocprim17ROCPRIM_400000_NS6detail17trampoline_kernelINS0_14default_configENS1_27scan_by_key_config_selectorIijEEZZNS1_16scan_by_key_implILNS1_25lookback_scan_determinismE0ELb0ES3_N6thrust23THRUST_200600_302600_NS6detail15normal_iteratorINS9_10device_ptrIiEEEENSB_INSC_IjEEEESG_jNS9_4plusIvEENS9_8equal_toIvEEjEE10hipError_tPvRmT2_T3_T4_T5_mT6_T7_P12ihipStream_tbENKUlT_T0_E_clISt17integral_constantIbLb1EES10_IbLb0EEEEDaSW_SX_EUlSW_E_NS1_11comp_targetILNS1_3genE10ELNS1_11target_archE1200ELNS1_3gpuE4ELNS1_3repE0EEENS1_30default_config_static_selectorELNS0_4arch9wavefront6targetE1EEEvT1_
; %bb.0:
	.section	.rodata,"a",@progbits
	.p2align	6, 0x0
	.amdhsa_kernel _ZN7rocprim17ROCPRIM_400000_NS6detail17trampoline_kernelINS0_14default_configENS1_27scan_by_key_config_selectorIijEEZZNS1_16scan_by_key_implILNS1_25lookback_scan_determinismE0ELb0ES3_N6thrust23THRUST_200600_302600_NS6detail15normal_iteratorINS9_10device_ptrIiEEEENSB_INSC_IjEEEESG_jNS9_4plusIvEENS9_8equal_toIvEEjEE10hipError_tPvRmT2_T3_T4_T5_mT6_T7_P12ihipStream_tbENKUlT_T0_E_clISt17integral_constantIbLb1EES10_IbLb0EEEEDaSW_SX_EUlSW_E_NS1_11comp_targetILNS1_3genE10ELNS1_11target_archE1200ELNS1_3gpuE4ELNS1_3repE0EEENS1_30default_config_static_selectorELNS0_4arch9wavefront6targetE1EEEvT1_
		.amdhsa_group_segment_fixed_size 0
		.amdhsa_private_segment_fixed_size 0
		.amdhsa_kernarg_size 112
		.amdhsa_user_sgpr_count 2
		.amdhsa_user_sgpr_dispatch_ptr 0
		.amdhsa_user_sgpr_queue_ptr 0
		.amdhsa_user_sgpr_kernarg_segment_ptr 1
		.amdhsa_user_sgpr_dispatch_id 0
		.amdhsa_user_sgpr_kernarg_preload_length 0
		.amdhsa_user_sgpr_kernarg_preload_offset 0
		.amdhsa_user_sgpr_private_segment_size 0
		.amdhsa_uses_dynamic_stack 0
		.amdhsa_enable_private_segment 0
		.amdhsa_system_sgpr_workgroup_id_x 1
		.amdhsa_system_sgpr_workgroup_id_y 0
		.amdhsa_system_sgpr_workgroup_id_z 0
		.amdhsa_system_sgpr_workgroup_info 0
		.amdhsa_system_vgpr_workitem_id 0
		.amdhsa_next_free_vgpr 1
		.amdhsa_next_free_sgpr 0
		.amdhsa_accum_offset 4
		.amdhsa_reserve_vcc 0
		.amdhsa_float_round_mode_32 0
		.amdhsa_float_round_mode_16_64 0
		.amdhsa_float_denorm_mode_32 3
		.amdhsa_float_denorm_mode_16_64 3
		.amdhsa_dx10_clamp 1
		.amdhsa_ieee_mode 1
		.amdhsa_fp16_overflow 0
		.amdhsa_tg_split 0
		.amdhsa_exception_fp_ieee_invalid_op 0
		.amdhsa_exception_fp_denorm_src 0
		.amdhsa_exception_fp_ieee_div_zero 0
		.amdhsa_exception_fp_ieee_overflow 0
		.amdhsa_exception_fp_ieee_underflow 0
		.amdhsa_exception_fp_ieee_inexact 0
		.amdhsa_exception_int_div_zero 0
	.end_amdhsa_kernel
	.section	.text._ZN7rocprim17ROCPRIM_400000_NS6detail17trampoline_kernelINS0_14default_configENS1_27scan_by_key_config_selectorIijEEZZNS1_16scan_by_key_implILNS1_25lookback_scan_determinismE0ELb0ES3_N6thrust23THRUST_200600_302600_NS6detail15normal_iteratorINS9_10device_ptrIiEEEENSB_INSC_IjEEEESG_jNS9_4plusIvEENS9_8equal_toIvEEjEE10hipError_tPvRmT2_T3_T4_T5_mT6_T7_P12ihipStream_tbENKUlT_T0_E_clISt17integral_constantIbLb1EES10_IbLb0EEEEDaSW_SX_EUlSW_E_NS1_11comp_targetILNS1_3genE10ELNS1_11target_archE1200ELNS1_3gpuE4ELNS1_3repE0EEENS1_30default_config_static_selectorELNS0_4arch9wavefront6targetE1EEEvT1_,"axG",@progbits,_ZN7rocprim17ROCPRIM_400000_NS6detail17trampoline_kernelINS0_14default_configENS1_27scan_by_key_config_selectorIijEEZZNS1_16scan_by_key_implILNS1_25lookback_scan_determinismE0ELb0ES3_N6thrust23THRUST_200600_302600_NS6detail15normal_iteratorINS9_10device_ptrIiEEEENSB_INSC_IjEEEESG_jNS9_4plusIvEENS9_8equal_toIvEEjEE10hipError_tPvRmT2_T3_T4_T5_mT6_T7_P12ihipStream_tbENKUlT_T0_E_clISt17integral_constantIbLb1EES10_IbLb0EEEEDaSW_SX_EUlSW_E_NS1_11comp_targetILNS1_3genE10ELNS1_11target_archE1200ELNS1_3gpuE4ELNS1_3repE0EEENS1_30default_config_static_selectorELNS0_4arch9wavefront6targetE1EEEvT1_,comdat
.Lfunc_end1249:
	.size	_ZN7rocprim17ROCPRIM_400000_NS6detail17trampoline_kernelINS0_14default_configENS1_27scan_by_key_config_selectorIijEEZZNS1_16scan_by_key_implILNS1_25lookback_scan_determinismE0ELb0ES3_N6thrust23THRUST_200600_302600_NS6detail15normal_iteratorINS9_10device_ptrIiEEEENSB_INSC_IjEEEESG_jNS9_4plusIvEENS9_8equal_toIvEEjEE10hipError_tPvRmT2_T3_T4_T5_mT6_T7_P12ihipStream_tbENKUlT_T0_E_clISt17integral_constantIbLb1EES10_IbLb0EEEEDaSW_SX_EUlSW_E_NS1_11comp_targetILNS1_3genE10ELNS1_11target_archE1200ELNS1_3gpuE4ELNS1_3repE0EEENS1_30default_config_static_selectorELNS0_4arch9wavefront6targetE1EEEvT1_, .Lfunc_end1249-_ZN7rocprim17ROCPRIM_400000_NS6detail17trampoline_kernelINS0_14default_configENS1_27scan_by_key_config_selectorIijEEZZNS1_16scan_by_key_implILNS1_25lookback_scan_determinismE0ELb0ES3_N6thrust23THRUST_200600_302600_NS6detail15normal_iteratorINS9_10device_ptrIiEEEENSB_INSC_IjEEEESG_jNS9_4plusIvEENS9_8equal_toIvEEjEE10hipError_tPvRmT2_T3_T4_T5_mT6_T7_P12ihipStream_tbENKUlT_T0_E_clISt17integral_constantIbLb1EES10_IbLb0EEEEDaSW_SX_EUlSW_E_NS1_11comp_targetILNS1_3genE10ELNS1_11target_archE1200ELNS1_3gpuE4ELNS1_3repE0EEENS1_30default_config_static_selectorELNS0_4arch9wavefront6targetE1EEEvT1_
                                        ; -- End function
	.section	.AMDGPU.csdata,"",@progbits
; Kernel info:
; codeLenInByte = 0
; NumSgprs: 6
; NumVgprs: 0
; NumAgprs: 0
; TotalNumVgprs: 0
; ScratchSize: 0
; MemoryBound: 0
; FloatMode: 240
; IeeeMode: 1
; LDSByteSize: 0 bytes/workgroup (compile time only)
; SGPRBlocks: 0
; VGPRBlocks: 0
; NumSGPRsForWavesPerEU: 6
; NumVGPRsForWavesPerEU: 1
; AccumOffset: 4
; Occupancy: 8
; WaveLimiterHint : 0
; COMPUTE_PGM_RSRC2:SCRATCH_EN: 0
; COMPUTE_PGM_RSRC2:USER_SGPR: 2
; COMPUTE_PGM_RSRC2:TRAP_HANDLER: 0
; COMPUTE_PGM_RSRC2:TGID_X_EN: 1
; COMPUTE_PGM_RSRC2:TGID_Y_EN: 0
; COMPUTE_PGM_RSRC2:TGID_Z_EN: 0
; COMPUTE_PGM_RSRC2:TIDIG_COMP_CNT: 0
; COMPUTE_PGM_RSRC3_GFX90A:ACCUM_OFFSET: 0
; COMPUTE_PGM_RSRC3_GFX90A:TG_SPLIT: 0
	.section	.text._ZN7rocprim17ROCPRIM_400000_NS6detail17trampoline_kernelINS0_14default_configENS1_27scan_by_key_config_selectorIijEEZZNS1_16scan_by_key_implILNS1_25lookback_scan_determinismE0ELb0ES3_N6thrust23THRUST_200600_302600_NS6detail15normal_iteratorINS9_10device_ptrIiEEEENSB_INSC_IjEEEESG_jNS9_4plusIvEENS9_8equal_toIvEEjEE10hipError_tPvRmT2_T3_T4_T5_mT6_T7_P12ihipStream_tbENKUlT_T0_E_clISt17integral_constantIbLb1EES10_IbLb0EEEEDaSW_SX_EUlSW_E_NS1_11comp_targetILNS1_3genE9ELNS1_11target_archE1100ELNS1_3gpuE3ELNS1_3repE0EEENS1_30default_config_static_selectorELNS0_4arch9wavefront6targetE1EEEvT1_,"axG",@progbits,_ZN7rocprim17ROCPRIM_400000_NS6detail17trampoline_kernelINS0_14default_configENS1_27scan_by_key_config_selectorIijEEZZNS1_16scan_by_key_implILNS1_25lookback_scan_determinismE0ELb0ES3_N6thrust23THRUST_200600_302600_NS6detail15normal_iteratorINS9_10device_ptrIiEEEENSB_INSC_IjEEEESG_jNS9_4plusIvEENS9_8equal_toIvEEjEE10hipError_tPvRmT2_T3_T4_T5_mT6_T7_P12ihipStream_tbENKUlT_T0_E_clISt17integral_constantIbLb1EES10_IbLb0EEEEDaSW_SX_EUlSW_E_NS1_11comp_targetILNS1_3genE9ELNS1_11target_archE1100ELNS1_3gpuE3ELNS1_3repE0EEENS1_30default_config_static_selectorELNS0_4arch9wavefront6targetE1EEEvT1_,comdat
	.protected	_ZN7rocprim17ROCPRIM_400000_NS6detail17trampoline_kernelINS0_14default_configENS1_27scan_by_key_config_selectorIijEEZZNS1_16scan_by_key_implILNS1_25lookback_scan_determinismE0ELb0ES3_N6thrust23THRUST_200600_302600_NS6detail15normal_iteratorINS9_10device_ptrIiEEEENSB_INSC_IjEEEESG_jNS9_4plusIvEENS9_8equal_toIvEEjEE10hipError_tPvRmT2_T3_T4_T5_mT6_T7_P12ihipStream_tbENKUlT_T0_E_clISt17integral_constantIbLb1EES10_IbLb0EEEEDaSW_SX_EUlSW_E_NS1_11comp_targetILNS1_3genE9ELNS1_11target_archE1100ELNS1_3gpuE3ELNS1_3repE0EEENS1_30default_config_static_selectorELNS0_4arch9wavefront6targetE1EEEvT1_ ; -- Begin function _ZN7rocprim17ROCPRIM_400000_NS6detail17trampoline_kernelINS0_14default_configENS1_27scan_by_key_config_selectorIijEEZZNS1_16scan_by_key_implILNS1_25lookback_scan_determinismE0ELb0ES3_N6thrust23THRUST_200600_302600_NS6detail15normal_iteratorINS9_10device_ptrIiEEEENSB_INSC_IjEEEESG_jNS9_4plusIvEENS9_8equal_toIvEEjEE10hipError_tPvRmT2_T3_T4_T5_mT6_T7_P12ihipStream_tbENKUlT_T0_E_clISt17integral_constantIbLb1EES10_IbLb0EEEEDaSW_SX_EUlSW_E_NS1_11comp_targetILNS1_3genE9ELNS1_11target_archE1100ELNS1_3gpuE3ELNS1_3repE0EEENS1_30default_config_static_selectorELNS0_4arch9wavefront6targetE1EEEvT1_
	.globl	_ZN7rocprim17ROCPRIM_400000_NS6detail17trampoline_kernelINS0_14default_configENS1_27scan_by_key_config_selectorIijEEZZNS1_16scan_by_key_implILNS1_25lookback_scan_determinismE0ELb0ES3_N6thrust23THRUST_200600_302600_NS6detail15normal_iteratorINS9_10device_ptrIiEEEENSB_INSC_IjEEEESG_jNS9_4plusIvEENS9_8equal_toIvEEjEE10hipError_tPvRmT2_T3_T4_T5_mT6_T7_P12ihipStream_tbENKUlT_T0_E_clISt17integral_constantIbLb1EES10_IbLb0EEEEDaSW_SX_EUlSW_E_NS1_11comp_targetILNS1_3genE9ELNS1_11target_archE1100ELNS1_3gpuE3ELNS1_3repE0EEENS1_30default_config_static_selectorELNS0_4arch9wavefront6targetE1EEEvT1_
	.p2align	8
	.type	_ZN7rocprim17ROCPRIM_400000_NS6detail17trampoline_kernelINS0_14default_configENS1_27scan_by_key_config_selectorIijEEZZNS1_16scan_by_key_implILNS1_25lookback_scan_determinismE0ELb0ES3_N6thrust23THRUST_200600_302600_NS6detail15normal_iteratorINS9_10device_ptrIiEEEENSB_INSC_IjEEEESG_jNS9_4plusIvEENS9_8equal_toIvEEjEE10hipError_tPvRmT2_T3_T4_T5_mT6_T7_P12ihipStream_tbENKUlT_T0_E_clISt17integral_constantIbLb1EES10_IbLb0EEEEDaSW_SX_EUlSW_E_NS1_11comp_targetILNS1_3genE9ELNS1_11target_archE1100ELNS1_3gpuE3ELNS1_3repE0EEENS1_30default_config_static_selectorELNS0_4arch9wavefront6targetE1EEEvT1_,@function
_ZN7rocprim17ROCPRIM_400000_NS6detail17trampoline_kernelINS0_14default_configENS1_27scan_by_key_config_selectorIijEEZZNS1_16scan_by_key_implILNS1_25lookback_scan_determinismE0ELb0ES3_N6thrust23THRUST_200600_302600_NS6detail15normal_iteratorINS9_10device_ptrIiEEEENSB_INSC_IjEEEESG_jNS9_4plusIvEENS9_8equal_toIvEEjEE10hipError_tPvRmT2_T3_T4_T5_mT6_T7_P12ihipStream_tbENKUlT_T0_E_clISt17integral_constantIbLb1EES10_IbLb0EEEEDaSW_SX_EUlSW_E_NS1_11comp_targetILNS1_3genE9ELNS1_11target_archE1100ELNS1_3gpuE3ELNS1_3repE0EEENS1_30default_config_static_selectorELNS0_4arch9wavefront6targetE1EEEvT1_: ; @_ZN7rocprim17ROCPRIM_400000_NS6detail17trampoline_kernelINS0_14default_configENS1_27scan_by_key_config_selectorIijEEZZNS1_16scan_by_key_implILNS1_25lookback_scan_determinismE0ELb0ES3_N6thrust23THRUST_200600_302600_NS6detail15normal_iteratorINS9_10device_ptrIiEEEENSB_INSC_IjEEEESG_jNS9_4plusIvEENS9_8equal_toIvEEjEE10hipError_tPvRmT2_T3_T4_T5_mT6_T7_P12ihipStream_tbENKUlT_T0_E_clISt17integral_constantIbLb1EES10_IbLb0EEEEDaSW_SX_EUlSW_E_NS1_11comp_targetILNS1_3genE9ELNS1_11target_archE1100ELNS1_3gpuE3ELNS1_3repE0EEENS1_30default_config_static_selectorELNS0_4arch9wavefront6targetE1EEEvT1_
; %bb.0:
	.section	.rodata,"a",@progbits
	.p2align	6, 0x0
	.amdhsa_kernel _ZN7rocprim17ROCPRIM_400000_NS6detail17trampoline_kernelINS0_14default_configENS1_27scan_by_key_config_selectorIijEEZZNS1_16scan_by_key_implILNS1_25lookback_scan_determinismE0ELb0ES3_N6thrust23THRUST_200600_302600_NS6detail15normal_iteratorINS9_10device_ptrIiEEEENSB_INSC_IjEEEESG_jNS9_4plusIvEENS9_8equal_toIvEEjEE10hipError_tPvRmT2_T3_T4_T5_mT6_T7_P12ihipStream_tbENKUlT_T0_E_clISt17integral_constantIbLb1EES10_IbLb0EEEEDaSW_SX_EUlSW_E_NS1_11comp_targetILNS1_3genE9ELNS1_11target_archE1100ELNS1_3gpuE3ELNS1_3repE0EEENS1_30default_config_static_selectorELNS0_4arch9wavefront6targetE1EEEvT1_
		.amdhsa_group_segment_fixed_size 0
		.amdhsa_private_segment_fixed_size 0
		.amdhsa_kernarg_size 112
		.amdhsa_user_sgpr_count 2
		.amdhsa_user_sgpr_dispatch_ptr 0
		.amdhsa_user_sgpr_queue_ptr 0
		.amdhsa_user_sgpr_kernarg_segment_ptr 1
		.amdhsa_user_sgpr_dispatch_id 0
		.amdhsa_user_sgpr_kernarg_preload_length 0
		.amdhsa_user_sgpr_kernarg_preload_offset 0
		.amdhsa_user_sgpr_private_segment_size 0
		.amdhsa_uses_dynamic_stack 0
		.amdhsa_enable_private_segment 0
		.amdhsa_system_sgpr_workgroup_id_x 1
		.amdhsa_system_sgpr_workgroup_id_y 0
		.amdhsa_system_sgpr_workgroup_id_z 0
		.amdhsa_system_sgpr_workgroup_info 0
		.amdhsa_system_vgpr_workitem_id 0
		.amdhsa_next_free_vgpr 1
		.amdhsa_next_free_sgpr 0
		.amdhsa_accum_offset 4
		.amdhsa_reserve_vcc 0
		.amdhsa_float_round_mode_32 0
		.amdhsa_float_round_mode_16_64 0
		.amdhsa_float_denorm_mode_32 3
		.amdhsa_float_denorm_mode_16_64 3
		.amdhsa_dx10_clamp 1
		.amdhsa_ieee_mode 1
		.amdhsa_fp16_overflow 0
		.amdhsa_tg_split 0
		.amdhsa_exception_fp_ieee_invalid_op 0
		.amdhsa_exception_fp_denorm_src 0
		.amdhsa_exception_fp_ieee_div_zero 0
		.amdhsa_exception_fp_ieee_overflow 0
		.amdhsa_exception_fp_ieee_underflow 0
		.amdhsa_exception_fp_ieee_inexact 0
		.amdhsa_exception_int_div_zero 0
	.end_amdhsa_kernel
	.section	.text._ZN7rocprim17ROCPRIM_400000_NS6detail17trampoline_kernelINS0_14default_configENS1_27scan_by_key_config_selectorIijEEZZNS1_16scan_by_key_implILNS1_25lookback_scan_determinismE0ELb0ES3_N6thrust23THRUST_200600_302600_NS6detail15normal_iteratorINS9_10device_ptrIiEEEENSB_INSC_IjEEEESG_jNS9_4plusIvEENS9_8equal_toIvEEjEE10hipError_tPvRmT2_T3_T4_T5_mT6_T7_P12ihipStream_tbENKUlT_T0_E_clISt17integral_constantIbLb1EES10_IbLb0EEEEDaSW_SX_EUlSW_E_NS1_11comp_targetILNS1_3genE9ELNS1_11target_archE1100ELNS1_3gpuE3ELNS1_3repE0EEENS1_30default_config_static_selectorELNS0_4arch9wavefront6targetE1EEEvT1_,"axG",@progbits,_ZN7rocprim17ROCPRIM_400000_NS6detail17trampoline_kernelINS0_14default_configENS1_27scan_by_key_config_selectorIijEEZZNS1_16scan_by_key_implILNS1_25lookback_scan_determinismE0ELb0ES3_N6thrust23THRUST_200600_302600_NS6detail15normal_iteratorINS9_10device_ptrIiEEEENSB_INSC_IjEEEESG_jNS9_4plusIvEENS9_8equal_toIvEEjEE10hipError_tPvRmT2_T3_T4_T5_mT6_T7_P12ihipStream_tbENKUlT_T0_E_clISt17integral_constantIbLb1EES10_IbLb0EEEEDaSW_SX_EUlSW_E_NS1_11comp_targetILNS1_3genE9ELNS1_11target_archE1100ELNS1_3gpuE3ELNS1_3repE0EEENS1_30default_config_static_selectorELNS0_4arch9wavefront6targetE1EEEvT1_,comdat
.Lfunc_end1250:
	.size	_ZN7rocprim17ROCPRIM_400000_NS6detail17trampoline_kernelINS0_14default_configENS1_27scan_by_key_config_selectorIijEEZZNS1_16scan_by_key_implILNS1_25lookback_scan_determinismE0ELb0ES3_N6thrust23THRUST_200600_302600_NS6detail15normal_iteratorINS9_10device_ptrIiEEEENSB_INSC_IjEEEESG_jNS9_4plusIvEENS9_8equal_toIvEEjEE10hipError_tPvRmT2_T3_T4_T5_mT6_T7_P12ihipStream_tbENKUlT_T0_E_clISt17integral_constantIbLb1EES10_IbLb0EEEEDaSW_SX_EUlSW_E_NS1_11comp_targetILNS1_3genE9ELNS1_11target_archE1100ELNS1_3gpuE3ELNS1_3repE0EEENS1_30default_config_static_selectorELNS0_4arch9wavefront6targetE1EEEvT1_, .Lfunc_end1250-_ZN7rocprim17ROCPRIM_400000_NS6detail17trampoline_kernelINS0_14default_configENS1_27scan_by_key_config_selectorIijEEZZNS1_16scan_by_key_implILNS1_25lookback_scan_determinismE0ELb0ES3_N6thrust23THRUST_200600_302600_NS6detail15normal_iteratorINS9_10device_ptrIiEEEENSB_INSC_IjEEEESG_jNS9_4plusIvEENS9_8equal_toIvEEjEE10hipError_tPvRmT2_T3_T4_T5_mT6_T7_P12ihipStream_tbENKUlT_T0_E_clISt17integral_constantIbLb1EES10_IbLb0EEEEDaSW_SX_EUlSW_E_NS1_11comp_targetILNS1_3genE9ELNS1_11target_archE1100ELNS1_3gpuE3ELNS1_3repE0EEENS1_30default_config_static_selectorELNS0_4arch9wavefront6targetE1EEEvT1_
                                        ; -- End function
	.section	.AMDGPU.csdata,"",@progbits
; Kernel info:
; codeLenInByte = 0
; NumSgprs: 6
; NumVgprs: 0
; NumAgprs: 0
; TotalNumVgprs: 0
; ScratchSize: 0
; MemoryBound: 0
; FloatMode: 240
; IeeeMode: 1
; LDSByteSize: 0 bytes/workgroup (compile time only)
; SGPRBlocks: 0
; VGPRBlocks: 0
; NumSGPRsForWavesPerEU: 6
; NumVGPRsForWavesPerEU: 1
; AccumOffset: 4
; Occupancy: 8
; WaveLimiterHint : 0
; COMPUTE_PGM_RSRC2:SCRATCH_EN: 0
; COMPUTE_PGM_RSRC2:USER_SGPR: 2
; COMPUTE_PGM_RSRC2:TRAP_HANDLER: 0
; COMPUTE_PGM_RSRC2:TGID_X_EN: 1
; COMPUTE_PGM_RSRC2:TGID_Y_EN: 0
; COMPUTE_PGM_RSRC2:TGID_Z_EN: 0
; COMPUTE_PGM_RSRC2:TIDIG_COMP_CNT: 0
; COMPUTE_PGM_RSRC3_GFX90A:ACCUM_OFFSET: 0
; COMPUTE_PGM_RSRC3_GFX90A:TG_SPLIT: 0
	.section	.text._ZN7rocprim17ROCPRIM_400000_NS6detail17trampoline_kernelINS0_14default_configENS1_27scan_by_key_config_selectorIijEEZZNS1_16scan_by_key_implILNS1_25lookback_scan_determinismE0ELb0ES3_N6thrust23THRUST_200600_302600_NS6detail15normal_iteratorINS9_10device_ptrIiEEEENSB_INSC_IjEEEESG_jNS9_4plusIvEENS9_8equal_toIvEEjEE10hipError_tPvRmT2_T3_T4_T5_mT6_T7_P12ihipStream_tbENKUlT_T0_E_clISt17integral_constantIbLb1EES10_IbLb0EEEEDaSW_SX_EUlSW_E_NS1_11comp_targetILNS1_3genE8ELNS1_11target_archE1030ELNS1_3gpuE2ELNS1_3repE0EEENS1_30default_config_static_selectorELNS0_4arch9wavefront6targetE1EEEvT1_,"axG",@progbits,_ZN7rocprim17ROCPRIM_400000_NS6detail17trampoline_kernelINS0_14default_configENS1_27scan_by_key_config_selectorIijEEZZNS1_16scan_by_key_implILNS1_25lookback_scan_determinismE0ELb0ES3_N6thrust23THRUST_200600_302600_NS6detail15normal_iteratorINS9_10device_ptrIiEEEENSB_INSC_IjEEEESG_jNS9_4plusIvEENS9_8equal_toIvEEjEE10hipError_tPvRmT2_T3_T4_T5_mT6_T7_P12ihipStream_tbENKUlT_T0_E_clISt17integral_constantIbLb1EES10_IbLb0EEEEDaSW_SX_EUlSW_E_NS1_11comp_targetILNS1_3genE8ELNS1_11target_archE1030ELNS1_3gpuE2ELNS1_3repE0EEENS1_30default_config_static_selectorELNS0_4arch9wavefront6targetE1EEEvT1_,comdat
	.protected	_ZN7rocprim17ROCPRIM_400000_NS6detail17trampoline_kernelINS0_14default_configENS1_27scan_by_key_config_selectorIijEEZZNS1_16scan_by_key_implILNS1_25lookback_scan_determinismE0ELb0ES3_N6thrust23THRUST_200600_302600_NS6detail15normal_iteratorINS9_10device_ptrIiEEEENSB_INSC_IjEEEESG_jNS9_4plusIvEENS9_8equal_toIvEEjEE10hipError_tPvRmT2_T3_T4_T5_mT6_T7_P12ihipStream_tbENKUlT_T0_E_clISt17integral_constantIbLb1EES10_IbLb0EEEEDaSW_SX_EUlSW_E_NS1_11comp_targetILNS1_3genE8ELNS1_11target_archE1030ELNS1_3gpuE2ELNS1_3repE0EEENS1_30default_config_static_selectorELNS0_4arch9wavefront6targetE1EEEvT1_ ; -- Begin function _ZN7rocprim17ROCPRIM_400000_NS6detail17trampoline_kernelINS0_14default_configENS1_27scan_by_key_config_selectorIijEEZZNS1_16scan_by_key_implILNS1_25lookback_scan_determinismE0ELb0ES3_N6thrust23THRUST_200600_302600_NS6detail15normal_iteratorINS9_10device_ptrIiEEEENSB_INSC_IjEEEESG_jNS9_4plusIvEENS9_8equal_toIvEEjEE10hipError_tPvRmT2_T3_T4_T5_mT6_T7_P12ihipStream_tbENKUlT_T0_E_clISt17integral_constantIbLb1EES10_IbLb0EEEEDaSW_SX_EUlSW_E_NS1_11comp_targetILNS1_3genE8ELNS1_11target_archE1030ELNS1_3gpuE2ELNS1_3repE0EEENS1_30default_config_static_selectorELNS0_4arch9wavefront6targetE1EEEvT1_
	.globl	_ZN7rocprim17ROCPRIM_400000_NS6detail17trampoline_kernelINS0_14default_configENS1_27scan_by_key_config_selectorIijEEZZNS1_16scan_by_key_implILNS1_25lookback_scan_determinismE0ELb0ES3_N6thrust23THRUST_200600_302600_NS6detail15normal_iteratorINS9_10device_ptrIiEEEENSB_INSC_IjEEEESG_jNS9_4plusIvEENS9_8equal_toIvEEjEE10hipError_tPvRmT2_T3_T4_T5_mT6_T7_P12ihipStream_tbENKUlT_T0_E_clISt17integral_constantIbLb1EES10_IbLb0EEEEDaSW_SX_EUlSW_E_NS1_11comp_targetILNS1_3genE8ELNS1_11target_archE1030ELNS1_3gpuE2ELNS1_3repE0EEENS1_30default_config_static_selectorELNS0_4arch9wavefront6targetE1EEEvT1_
	.p2align	8
	.type	_ZN7rocprim17ROCPRIM_400000_NS6detail17trampoline_kernelINS0_14default_configENS1_27scan_by_key_config_selectorIijEEZZNS1_16scan_by_key_implILNS1_25lookback_scan_determinismE0ELb0ES3_N6thrust23THRUST_200600_302600_NS6detail15normal_iteratorINS9_10device_ptrIiEEEENSB_INSC_IjEEEESG_jNS9_4plusIvEENS9_8equal_toIvEEjEE10hipError_tPvRmT2_T3_T4_T5_mT6_T7_P12ihipStream_tbENKUlT_T0_E_clISt17integral_constantIbLb1EES10_IbLb0EEEEDaSW_SX_EUlSW_E_NS1_11comp_targetILNS1_3genE8ELNS1_11target_archE1030ELNS1_3gpuE2ELNS1_3repE0EEENS1_30default_config_static_selectorELNS0_4arch9wavefront6targetE1EEEvT1_,@function
_ZN7rocprim17ROCPRIM_400000_NS6detail17trampoline_kernelINS0_14default_configENS1_27scan_by_key_config_selectorIijEEZZNS1_16scan_by_key_implILNS1_25lookback_scan_determinismE0ELb0ES3_N6thrust23THRUST_200600_302600_NS6detail15normal_iteratorINS9_10device_ptrIiEEEENSB_INSC_IjEEEESG_jNS9_4plusIvEENS9_8equal_toIvEEjEE10hipError_tPvRmT2_T3_T4_T5_mT6_T7_P12ihipStream_tbENKUlT_T0_E_clISt17integral_constantIbLb1EES10_IbLb0EEEEDaSW_SX_EUlSW_E_NS1_11comp_targetILNS1_3genE8ELNS1_11target_archE1030ELNS1_3gpuE2ELNS1_3repE0EEENS1_30default_config_static_selectorELNS0_4arch9wavefront6targetE1EEEvT1_: ; @_ZN7rocprim17ROCPRIM_400000_NS6detail17trampoline_kernelINS0_14default_configENS1_27scan_by_key_config_selectorIijEEZZNS1_16scan_by_key_implILNS1_25lookback_scan_determinismE0ELb0ES3_N6thrust23THRUST_200600_302600_NS6detail15normal_iteratorINS9_10device_ptrIiEEEENSB_INSC_IjEEEESG_jNS9_4plusIvEENS9_8equal_toIvEEjEE10hipError_tPvRmT2_T3_T4_T5_mT6_T7_P12ihipStream_tbENKUlT_T0_E_clISt17integral_constantIbLb1EES10_IbLb0EEEEDaSW_SX_EUlSW_E_NS1_11comp_targetILNS1_3genE8ELNS1_11target_archE1030ELNS1_3gpuE2ELNS1_3repE0EEENS1_30default_config_static_selectorELNS0_4arch9wavefront6targetE1EEEvT1_
; %bb.0:
	.section	.rodata,"a",@progbits
	.p2align	6, 0x0
	.amdhsa_kernel _ZN7rocprim17ROCPRIM_400000_NS6detail17trampoline_kernelINS0_14default_configENS1_27scan_by_key_config_selectorIijEEZZNS1_16scan_by_key_implILNS1_25lookback_scan_determinismE0ELb0ES3_N6thrust23THRUST_200600_302600_NS6detail15normal_iteratorINS9_10device_ptrIiEEEENSB_INSC_IjEEEESG_jNS9_4plusIvEENS9_8equal_toIvEEjEE10hipError_tPvRmT2_T3_T4_T5_mT6_T7_P12ihipStream_tbENKUlT_T0_E_clISt17integral_constantIbLb1EES10_IbLb0EEEEDaSW_SX_EUlSW_E_NS1_11comp_targetILNS1_3genE8ELNS1_11target_archE1030ELNS1_3gpuE2ELNS1_3repE0EEENS1_30default_config_static_selectorELNS0_4arch9wavefront6targetE1EEEvT1_
		.amdhsa_group_segment_fixed_size 0
		.amdhsa_private_segment_fixed_size 0
		.amdhsa_kernarg_size 112
		.amdhsa_user_sgpr_count 2
		.amdhsa_user_sgpr_dispatch_ptr 0
		.amdhsa_user_sgpr_queue_ptr 0
		.amdhsa_user_sgpr_kernarg_segment_ptr 1
		.amdhsa_user_sgpr_dispatch_id 0
		.amdhsa_user_sgpr_kernarg_preload_length 0
		.amdhsa_user_sgpr_kernarg_preload_offset 0
		.amdhsa_user_sgpr_private_segment_size 0
		.amdhsa_uses_dynamic_stack 0
		.amdhsa_enable_private_segment 0
		.amdhsa_system_sgpr_workgroup_id_x 1
		.amdhsa_system_sgpr_workgroup_id_y 0
		.amdhsa_system_sgpr_workgroup_id_z 0
		.amdhsa_system_sgpr_workgroup_info 0
		.amdhsa_system_vgpr_workitem_id 0
		.amdhsa_next_free_vgpr 1
		.amdhsa_next_free_sgpr 0
		.amdhsa_accum_offset 4
		.amdhsa_reserve_vcc 0
		.amdhsa_float_round_mode_32 0
		.amdhsa_float_round_mode_16_64 0
		.amdhsa_float_denorm_mode_32 3
		.amdhsa_float_denorm_mode_16_64 3
		.amdhsa_dx10_clamp 1
		.amdhsa_ieee_mode 1
		.amdhsa_fp16_overflow 0
		.amdhsa_tg_split 0
		.amdhsa_exception_fp_ieee_invalid_op 0
		.amdhsa_exception_fp_denorm_src 0
		.amdhsa_exception_fp_ieee_div_zero 0
		.amdhsa_exception_fp_ieee_overflow 0
		.amdhsa_exception_fp_ieee_underflow 0
		.amdhsa_exception_fp_ieee_inexact 0
		.amdhsa_exception_int_div_zero 0
	.end_amdhsa_kernel
	.section	.text._ZN7rocprim17ROCPRIM_400000_NS6detail17trampoline_kernelINS0_14default_configENS1_27scan_by_key_config_selectorIijEEZZNS1_16scan_by_key_implILNS1_25lookback_scan_determinismE0ELb0ES3_N6thrust23THRUST_200600_302600_NS6detail15normal_iteratorINS9_10device_ptrIiEEEENSB_INSC_IjEEEESG_jNS9_4plusIvEENS9_8equal_toIvEEjEE10hipError_tPvRmT2_T3_T4_T5_mT6_T7_P12ihipStream_tbENKUlT_T0_E_clISt17integral_constantIbLb1EES10_IbLb0EEEEDaSW_SX_EUlSW_E_NS1_11comp_targetILNS1_3genE8ELNS1_11target_archE1030ELNS1_3gpuE2ELNS1_3repE0EEENS1_30default_config_static_selectorELNS0_4arch9wavefront6targetE1EEEvT1_,"axG",@progbits,_ZN7rocprim17ROCPRIM_400000_NS6detail17trampoline_kernelINS0_14default_configENS1_27scan_by_key_config_selectorIijEEZZNS1_16scan_by_key_implILNS1_25lookback_scan_determinismE0ELb0ES3_N6thrust23THRUST_200600_302600_NS6detail15normal_iteratorINS9_10device_ptrIiEEEENSB_INSC_IjEEEESG_jNS9_4plusIvEENS9_8equal_toIvEEjEE10hipError_tPvRmT2_T3_T4_T5_mT6_T7_P12ihipStream_tbENKUlT_T0_E_clISt17integral_constantIbLb1EES10_IbLb0EEEEDaSW_SX_EUlSW_E_NS1_11comp_targetILNS1_3genE8ELNS1_11target_archE1030ELNS1_3gpuE2ELNS1_3repE0EEENS1_30default_config_static_selectorELNS0_4arch9wavefront6targetE1EEEvT1_,comdat
.Lfunc_end1251:
	.size	_ZN7rocprim17ROCPRIM_400000_NS6detail17trampoline_kernelINS0_14default_configENS1_27scan_by_key_config_selectorIijEEZZNS1_16scan_by_key_implILNS1_25lookback_scan_determinismE0ELb0ES3_N6thrust23THRUST_200600_302600_NS6detail15normal_iteratorINS9_10device_ptrIiEEEENSB_INSC_IjEEEESG_jNS9_4plusIvEENS9_8equal_toIvEEjEE10hipError_tPvRmT2_T3_T4_T5_mT6_T7_P12ihipStream_tbENKUlT_T0_E_clISt17integral_constantIbLb1EES10_IbLb0EEEEDaSW_SX_EUlSW_E_NS1_11comp_targetILNS1_3genE8ELNS1_11target_archE1030ELNS1_3gpuE2ELNS1_3repE0EEENS1_30default_config_static_selectorELNS0_4arch9wavefront6targetE1EEEvT1_, .Lfunc_end1251-_ZN7rocprim17ROCPRIM_400000_NS6detail17trampoline_kernelINS0_14default_configENS1_27scan_by_key_config_selectorIijEEZZNS1_16scan_by_key_implILNS1_25lookback_scan_determinismE0ELb0ES3_N6thrust23THRUST_200600_302600_NS6detail15normal_iteratorINS9_10device_ptrIiEEEENSB_INSC_IjEEEESG_jNS9_4plusIvEENS9_8equal_toIvEEjEE10hipError_tPvRmT2_T3_T4_T5_mT6_T7_P12ihipStream_tbENKUlT_T0_E_clISt17integral_constantIbLb1EES10_IbLb0EEEEDaSW_SX_EUlSW_E_NS1_11comp_targetILNS1_3genE8ELNS1_11target_archE1030ELNS1_3gpuE2ELNS1_3repE0EEENS1_30default_config_static_selectorELNS0_4arch9wavefront6targetE1EEEvT1_
                                        ; -- End function
	.section	.AMDGPU.csdata,"",@progbits
; Kernel info:
; codeLenInByte = 0
; NumSgprs: 6
; NumVgprs: 0
; NumAgprs: 0
; TotalNumVgprs: 0
; ScratchSize: 0
; MemoryBound: 0
; FloatMode: 240
; IeeeMode: 1
; LDSByteSize: 0 bytes/workgroup (compile time only)
; SGPRBlocks: 0
; VGPRBlocks: 0
; NumSGPRsForWavesPerEU: 6
; NumVGPRsForWavesPerEU: 1
; AccumOffset: 4
; Occupancy: 8
; WaveLimiterHint : 0
; COMPUTE_PGM_RSRC2:SCRATCH_EN: 0
; COMPUTE_PGM_RSRC2:USER_SGPR: 2
; COMPUTE_PGM_RSRC2:TRAP_HANDLER: 0
; COMPUTE_PGM_RSRC2:TGID_X_EN: 1
; COMPUTE_PGM_RSRC2:TGID_Y_EN: 0
; COMPUTE_PGM_RSRC2:TGID_Z_EN: 0
; COMPUTE_PGM_RSRC2:TIDIG_COMP_CNT: 0
; COMPUTE_PGM_RSRC3_GFX90A:ACCUM_OFFSET: 0
; COMPUTE_PGM_RSRC3_GFX90A:TG_SPLIT: 0
	.section	.text._ZN7rocprim17ROCPRIM_400000_NS6detail30init_device_scan_by_key_kernelINS1_19lookback_scan_stateINS0_5tupleIJjbEEELb0ELb1EEEN6thrust23THRUST_200600_302600_NS6detail15normal_iteratorINS8_10device_ptrIiEEEEjNS1_16block_id_wrapperIjLb1EEEEEvT_jjPNSG_10value_typeET0_PNSt15iterator_traitsISJ_E10value_typeEmT1_T2_,"axG",@progbits,_ZN7rocprim17ROCPRIM_400000_NS6detail30init_device_scan_by_key_kernelINS1_19lookback_scan_stateINS0_5tupleIJjbEEELb0ELb1EEEN6thrust23THRUST_200600_302600_NS6detail15normal_iteratorINS8_10device_ptrIiEEEEjNS1_16block_id_wrapperIjLb1EEEEEvT_jjPNSG_10value_typeET0_PNSt15iterator_traitsISJ_E10value_typeEmT1_T2_,comdat
	.protected	_ZN7rocprim17ROCPRIM_400000_NS6detail30init_device_scan_by_key_kernelINS1_19lookback_scan_stateINS0_5tupleIJjbEEELb0ELb1EEEN6thrust23THRUST_200600_302600_NS6detail15normal_iteratorINS8_10device_ptrIiEEEEjNS1_16block_id_wrapperIjLb1EEEEEvT_jjPNSG_10value_typeET0_PNSt15iterator_traitsISJ_E10value_typeEmT1_T2_ ; -- Begin function _ZN7rocprim17ROCPRIM_400000_NS6detail30init_device_scan_by_key_kernelINS1_19lookback_scan_stateINS0_5tupleIJjbEEELb0ELb1EEEN6thrust23THRUST_200600_302600_NS6detail15normal_iteratorINS8_10device_ptrIiEEEEjNS1_16block_id_wrapperIjLb1EEEEEvT_jjPNSG_10value_typeET0_PNSt15iterator_traitsISJ_E10value_typeEmT1_T2_
	.globl	_ZN7rocprim17ROCPRIM_400000_NS6detail30init_device_scan_by_key_kernelINS1_19lookback_scan_stateINS0_5tupleIJjbEEELb0ELb1EEEN6thrust23THRUST_200600_302600_NS6detail15normal_iteratorINS8_10device_ptrIiEEEEjNS1_16block_id_wrapperIjLb1EEEEEvT_jjPNSG_10value_typeET0_PNSt15iterator_traitsISJ_E10value_typeEmT1_T2_
	.p2align	8
	.type	_ZN7rocprim17ROCPRIM_400000_NS6detail30init_device_scan_by_key_kernelINS1_19lookback_scan_stateINS0_5tupleIJjbEEELb0ELb1EEEN6thrust23THRUST_200600_302600_NS6detail15normal_iteratorINS8_10device_ptrIiEEEEjNS1_16block_id_wrapperIjLb1EEEEEvT_jjPNSG_10value_typeET0_PNSt15iterator_traitsISJ_E10value_typeEmT1_T2_,@function
_ZN7rocprim17ROCPRIM_400000_NS6detail30init_device_scan_by_key_kernelINS1_19lookback_scan_stateINS0_5tupleIJjbEEELb0ELb1EEEN6thrust23THRUST_200600_302600_NS6detail15normal_iteratorINS8_10device_ptrIiEEEEjNS1_16block_id_wrapperIjLb1EEEEEvT_jjPNSG_10value_typeET0_PNSt15iterator_traitsISJ_E10value_typeEmT1_T2_: ; @_ZN7rocprim17ROCPRIM_400000_NS6detail30init_device_scan_by_key_kernelINS1_19lookback_scan_stateINS0_5tupleIJjbEEELb0ELb1EEEN6thrust23THRUST_200600_302600_NS6detail15normal_iteratorINS8_10device_ptrIiEEEEjNS1_16block_id_wrapperIjLb1EEEEEvT_jjPNSG_10value_typeET0_PNSt15iterator_traitsISJ_E10value_typeEmT1_T2_
; %bb.0:
	s_load_dword s3, s[0:1], 0x4c
	s_load_dwordx8 s[4:11], s[0:1], 0x0
	s_load_dword s18, s[0:1], 0x40
	s_waitcnt lgkmcnt(0)
	s_and_b32 s19, s3, 0xffff
	s_mul_i32 s2, s2, s19
	s_cmp_eq_u64 s[8:9], 0
	v_add_u32_e32 v4, s2, v0
	s_cbranch_scc1 .LBB1252_8
; %bb.1:
	s_cmp_lt_u32 s7, s6
	s_cselect_b32 s2, s7, 0
	s_mov_b32 s13, 0
	v_cmp_eq_u32_e32 vcc, s2, v4
	s_and_saveexec_b64 s[2:3], vcc
	s_cbranch_execz .LBB1252_7
; %bb.2:
	s_add_i32 s12, s7, 64
	s_lshl_b64 s[12:13], s[12:13], 4
	s_add_u32 s16, s4, s12
	s_addc_u32 s17, s5, s13
	v_mov_b64_e32 v[0:1], s[16:17]
	;;#ASMSTART
	global_load_dwordx4 v[0:3], v[0:1] off sc1	
s_waitcnt vmcnt(0)
	;;#ASMEND
	v_mov_b32_e32 v7, 0
	v_and_b32_e32 v6, 0xff, v2
	s_mov_b64 s[14:15], 0
	v_cmp_eq_u64_e32 vcc, 0, v[6:7]
	s_and_saveexec_b64 s[12:13], vcc
	s_cbranch_execz .LBB1252_6
; %bb.3:
	v_mov_b64_e32 v[8:9], s[16:17]
.LBB1252_4:                             ; =>This Inner Loop Header: Depth=1
	;;#ASMSTART
	global_load_dwordx4 v[0:3], v[8:9] off sc1	
s_waitcnt vmcnt(0)
	;;#ASMEND
	s_nop 0
	v_and_b32_e32 v6, 0xff, v2
	v_cmp_ne_u64_e32 vcc, 0, v[6:7]
	s_or_b64 s[14:15], vcc, s[14:15]
	s_andn2_b64 exec, exec, s[14:15]
	s_cbranch_execnz .LBB1252_4
; %bb.5:
	s_or_b64 exec, exec, s[14:15]
.LBB1252_6:
	s_or_b64 exec, exec, s[12:13]
	v_mov_b32_e32 v2, 0
	global_store_dword v2, v0, s[8:9]
	global_store_byte v2, v1, s[8:9] offset:4
.LBB1252_7:
	s_or_b64 exec, exec, s[2:3]
.LBB1252_8:
	v_cmp_eq_u32_e32 vcc, 0, v4
	s_and_saveexec_b64 s[2:3], vcc
	s_cbranch_execz .LBB1252_10
; %bb.9:
	s_load_dwordx2 s[8:9], s[0:1], 0x38
	v_mov_b32_e32 v0, 0
	s_waitcnt lgkmcnt(0)
	global_store_dword v0, v0, s[8:9]
.LBB1252_10:
	s_or_b64 exec, exec, s[2:3]
	v_cmp_gt_u32_e32 vcc, s6, v4
	s_and_saveexec_b64 s[2:3], vcc
	s_cbranch_execz .LBB1252_12
; %bb.11:
	v_add_u32_e32 v0, 64, v4
	v_mov_b32_e32 v1, 0
	v_lshl_add_u64 v[6:7], v[0:1], 4, s[4:5]
	v_mov_b32_e32 v0, v1
	v_mov_b32_e32 v2, v1
	;; [unrolled: 1-line block ×3, first 2 shown]
	global_store_dwordx4 v[6:7], v[0:3], off
.LBB1252_12:
	s_or_b64 exec, exec, s[2:3]
	v_cmp_gt_u32_e32 vcc, 64, v4
	v_mov_b32_e32 v5, 0
	s_and_saveexec_b64 s[2:3], vcc
	s_cbranch_execz .LBB1252_14
; %bb.13:
	v_lshl_add_u64 v[6:7], v[4:5], 4, s[4:5]
	v_mov_b32_e32 v2, 0xff
	v_mov_b32_e32 v0, v5
	;; [unrolled: 1-line block ×4, first 2 shown]
	global_store_dwordx4 v[6:7], v[0:3], off
.LBB1252_14:
	s_or_b64 exec, exec, s[2:3]
	s_load_dwordx2 s[2:3], s[0:1], 0x28
	s_waitcnt lgkmcnt(0)
	v_cmp_gt_u64_e32 vcc, s[2:3], v[4:5]
	s_and_saveexec_b64 s[4:5], vcc
	s_cbranch_execz .LBB1252_17
; %bb.15:
	s_load_dword s12, s[0:1], 0x30
	s_load_dwordx2 s[6:7], s[0:1], 0x20
	s_mov_b32 s5, 0
	s_mov_b32 s1, s5
	s_mul_i32 s0, s18, s19
	s_waitcnt lgkmcnt(0)
	s_add_i32 s4, s12, -1
	s_lshl_b64 s[4:5], s[4:5], 2
	s_add_u32 s4, s10, s4
	v_mad_u64_u32 v[0:1], s[8:9], s12, v4, 0
	s_addc_u32 s5, s11, s5
	v_lshl_add_u64 v[0:1], v[0:1], 2, s[4:5]
	s_mul_hi_u32 s5, s12, s0
	s_mul_i32 s4, s12, s0
	s_lshl_b64 s[4:5], s[4:5], 2
	v_lshl_add_u64 v[2:3], v[4:5], 2, s[6:7]
	s_lshl_b64 s[6:7], s[0:1], 2
	s_mov_b64 s[8:9], 0
.LBB1252_16:                            ; =>This Inner Loop Header: Depth=1
	global_load_dword v6, v[0:1], off
	v_lshl_add_u64 v[4:5], v[4:5], 0, s[0:1]
	v_cmp_le_u64_e32 vcc, s[2:3], v[4:5]
	v_lshl_add_u64 v[0:1], v[0:1], 0, s[4:5]
	s_or_b64 s[8:9], vcc, s[8:9]
	s_waitcnt vmcnt(0)
	global_store_dword v[2:3], v6, off
	v_lshl_add_u64 v[2:3], v[2:3], 0, s[6:7]
	s_andn2_b64 exec, exec, s[8:9]
	s_cbranch_execnz .LBB1252_16
.LBB1252_17:
	s_endpgm
	.section	.rodata,"a",@progbits
	.p2align	6, 0x0
	.amdhsa_kernel _ZN7rocprim17ROCPRIM_400000_NS6detail30init_device_scan_by_key_kernelINS1_19lookback_scan_stateINS0_5tupleIJjbEEELb0ELb1EEEN6thrust23THRUST_200600_302600_NS6detail15normal_iteratorINS8_10device_ptrIiEEEEjNS1_16block_id_wrapperIjLb1EEEEEvT_jjPNSG_10value_typeET0_PNSt15iterator_traitsISJ_E10value_typeEmT1_T2_
		.amdhsa_group_segment_fixed_size 0
		.amdhsa_private_segment_fixed_size 0
		.amdhsa_kernarg_size 320
		.amdhsa_user_sgpr_count 2
		.amdhsa_user_sgpr_dispatch_ptr 0
		.amdhsa_user_sgpr_queue_ptr 0
		.amdhsa_user_sgpr_kernarg_segment_ptr 1
		.amdhsa_user_sgpr_dispatch_id 0
		.amdhsa_user_sgpr_kernarg_preload_length 0
		.amdhsa_user_sgpr_kernarg_preload_offset 0
		.amdhsa_user_sgpr_private_segment_size 0
		.amdhsa_uses_dynamic_stack 0
		.amdhsa_enable_private_segment 0
		.amdhsa_system_sgpr_workgroup_id_x 1
		.amdhsa_system_sgpr_workgroup_id_y 0
		.amdhsa_system_sgpr_workgroup_id_z 0
		.amdhsa_system_sgpr_workgroup_info 0
		.amdhsa_system_vgpr_workitem_id 0
		.amdhsa_next_free_vgpr 10
		.amdhsa_next_free_sgpr 20
		.amdhsa_accum_offset 12
		.amdhsa_reserve_vcc 1
		.amdhsa_float_round_mode_32 0
		.amdhsa_float_round_mode_16_64 0
		.amdhsa_float_denorm_mode_32 3
		.amdhsa_float_denorm_mode_16_64 3
		.amdhsa_dx10_clamp 1
		.amdhsa_ieee_mode 1
		.amdhsa_fp16_overflow 0
		.amdhsa_tg_split 0
		.amdhsa_exception_fp_ieee_invalid_op 0
		.amdhsa_exception_fp_denorm_src 0
		.amdhsa_exception_fp_ieee_div_zero 0
		.amdhsa_exception_fp_ieee_overflow 0
		.amdhsa_exception_fp_ieee_underflow 0
		.amdhsa_exception_fp_ieee_inexact 0
		.amdhsa_exception_int_div_zero 0
	.end_amdhsa_kernel
	.section	.text._ZN7rocprim17ROCPRIM_400000_NS6detail30init_device_scan_by_key_kernelINS1_19lookback_scan_stateINS0_5tupleIJjbEEELb0ELb1EEEN6thrust23THRUST_200600_302600_NS6detail15normal_iteratorINS8_10device_ptrIiEEEEjNS1_16block_id_wrapperIjLb1EEEEEvT_jjPNSG_10value_typeET0_PNSt15iterator_traitsISJ_E10value_typeEmT1_T2_,"axG",@progbits,_ZN7rocprim17ROCPRIM_400000_NS6detail30init_device_scan_by_key_kernelINS1_19lookback_scan_stateINS0_5tupleIJjbEEELb0ELb1EEEN6thrust23THRUST_200600_302600_NS6detail15normal_iteratorINS8_10device_ptrIiEEEEjNS1_16block_id_wrapperIjLb1EEEEEvT_jjPNSG_10value_typeET0_PNSt15iterator_traitsISJ_E10value_typeEmT1_T2_,comdat
.Lfunc_end1252:
	.size	_ZN7rocprim17ROCPRIM_400000_NS6detail30init_device_scan_by_key_kernelINS1_19lookback_scan_stateINS0_5tupleIJjbEEELb0ELb1EEEN6thrust23THRUST_200600_302600_NS6detail15normal_iteratorINS8_10device_ptrIiEEEEjNS1_16block_id_wrapperIjLb1EEEEEvT_jjPNSG_10value_typeET0_PNSt15iterator_traitsISJ_E10value_typeEmT1_T2_, .Lfunc_end1252-_ZN7rocprim17ROCPRIM_400000_NS6detail30init_device_scan_by_key_kernelINS1_19lookback_scan_stateINS0_5tupleIJjbEEELb0ELb1EEEN6thrust23THRUST_200600_302600_NS6detail15normal_iteratorINS8_10device_ptrIiEEEEjNS1_16block_id_wrapperIjLb1EEEEEvT_jjPNSG_10value_typeET0_PNSt15iterator_traitsISJ_E10value_typeEmT1_T2_
                                        ; -- End function
	.section	.AMDGPU.csdata,"",@progbits
; Kernel info:
; codeLenInByte = 548
; NumSgprs: 26
; NumVgprs: 10
; NumAgprs: 0
; TotalNumVgprs: 10
; ScratchSize: 0
; MemoryBound: 0
; FloatMode: 240
; IeeeMode: 1
; LDSByteSize: 0 bytes/workgroup (compile time only)
; SGPRBlocks: 3
; VGPRBlocks: 1
; NumSGPRsForWavesPerEU: 26
; NumVGPRsForWavesPerEU: 10
; AccumOffset: 12
; Occupancy: 8
; WaveLimiterHint : 0
; COMPUTE_PGM_RSRC2:SCRATCH_EN: 0
; COMPUTE_PGM_RSRC2:USER_SGPR: 2
; COMPUTE_PGM_RSRC2:TRAP_HANDLER: 0
; COMPUTE_PGM_RSRC2:TGID_X_EN: 1
; COMPUTE_PGM_RSRC2:TGID_Y_EN: 0
; COMPUTE_PGM_RSRC2:TGID_Z_EN: 0
; COMPUTE_PGM_RSRC2:TIDIG_COMP_CNT: 0
; COMPUTE_PGM_RSRC3_GFX90A:ACCUM_OFFSET: 2
; COMPUTE_PGM_RSRC3_GFX90A:TG_SPLIT: 0
	.section	.text._ZN7rocprim17ROCPRIM_400000_NS6detail30init_device_scan_by_key_kernelINS1_19lookback_scan_stateINS0_5tupleIJjbEEELb0ELb1EEENS1_16block_id_wrapperIjLb1EEEEEvT_jjPNS9_10value_typeET0_,"axG",@progbits,_ZN7rocprim17ROCPRIM_400000_NS6detail30init_device_scan_by_key_kernelINS1_19lookback_scan_stateINS0_5tupleIJjbEEELb0ELb1EEENS1_16block_id_wrapperIjLb1EEEEEvT_jjPNS9_10value_typeET0_,comdat
	.protected	_ZN7rocprim17ROCPRIM_400000_NS6detail30init_device_scan_by_key_kernelINS1_19lookback_scan_stateINS0_5tupleIJjbEEELb0ELb1EEENS1_16block_id_wrapperIjLb1EEEEEvT_jjPNS9_10value_typeET0_ ; -- Begin function _ZN7rocprim17ROCPRIM_400000_NS6detail30init_device_scan_by_key_kernelINS1_19lookback_scan_stateINS0_5tupleIJjbEEELb0ELb1EEENS1_16block_id_wrapperIjLb1EEEEEvT_jjPNS9_10value_typeET0_
	.globl	_ZN7rocprim17ROCPRIM_400000_NS6detail30init_device_scan_by_key_kernelINS1_19lookback_scan_stateINS0_5tupleIJjbEEELb0ELb1EEENS1_16block_id_wrapperIjLb1EEEEEvT_jjPNS9_10value_typeET0_
	.p2align	8
	.type	_ZN7rocprim17ROCPRIM_400000_NS6detail30init_device_scan_by_key_kernelINS1_19lookback_scan_stateINS0_5tupleIJjbEEELb0ELb1EEENS1_16block_id_wrapperIjLb1EEEEEvT_jjPNS9_10value_typeET0_,@function
_ZN7rocprim17ROCPRIM_400000_NS6detail30init_device_scan_by_key_kernelINS1_19lookback_scan_stateINS0_5tupleIJjbEEELb0ELb1EEENS1_16block_id_wrapperIjLb1EEEEEvT_jjPNS9_10value_typeET0_: ; @_ZN7rocprim17ROCPRIM_400000_NS6detail30init_device_scan_by_key_kernelINS1_19lookback_scan_stateINS0_5tupleIJjbEEELb0ELb1EEENS1_16block_id_wrapperIjLb1EEEEEvT_jjPNS9_10value_typeET0_
; %bb.0:
	s_load_dword s3, s[0:1], 0x2c
	s_load_dwordx8 s[4:11], s[0:1], 0x0
	s_waitcnt lgkmcnt(0)
	s_and_b32 s0, s3, 0xffff
	s_mul_i32 s2, s2, s0
	s_cmp_eq_u64 s[8:9], 0
	v_add_u32_e32 v0, s2, v0
	s_cbranch_scc1 .LBB1253_8
; %bb.1:
	s_cmp_lt_u32 s7, s6
	s_cselect_b32 s0, s7, 0
	s_mov_b32 s3, 0
	v_cmp_eq_u32_e32 vcc, s0, v0
	s_and_saveexec_b64 s[0:1], vcc
	s_cbranch_execz .LBB1253_7
; %bb.2:
	s_add_i32 s2, s7, 64
	s_lshl_b64 s[2:3], s[2:3], 4
	s_add_u32 s14, s4, s2
	s_addc_u32 s15, s5, s3
	v_mov_b64_e32 v[2:3], s[14:15]
	;;#ASMSTART
	global_load_dwordx4 v[2:5], v[2:3] off sc1	
s_waitcnt vmcnt(0)
	;;#ASMEND
	v_mov_b32_e32 v7, 0
	v_and_b32_e32 v6, 0xff, v4
	s_mov_b64 s[12:13], 0
	v_cmp_eq_u64_e32 vcc, 0, v[6:7]
	s_and_saveexec_b64 s[2:3], vcc
	s_cbranch_execz .LBB1253_6
; %bb.3:
	v_mov_b64_e32 v[8:9], s[14:15]
.LBB1253_4:                             ; =>This Inner Loop Header: Depth=1
	;;#ASMSTART
	global_load_dwordx4 v[2:5], v[8:9] off sc1	
s_waitcnt vmcnt(0)
	;;#ASMEND
	s_nop 0
	v_and_b32_e32 v6, 0xff, v4
	v_cmp_ne_u64_e32 vcc, 0, v[6:7]
	s_or_b64 s[12:13], vcc, s[12:13]
	s_andn2_b64 exec, exec, s[12:13]
	s_cbranch_execnz .LBB1253_4
; %bb.5:
	s_or_b64 exec, exec, s[12:13]
.LBB1253_6:
	s_or_b64 exec, exec, s[2:3]
	v_mov_b32_e32 v1, 0
	global_store_dword v1, v2, s[8:9]
	global_store_byte v1, v3, s[8:9] offset:4
.LBB1253_7:
	s_or_b64 exec, exec, s[0:1]
.LBB1253_8:
	v_cmp_eq_u32_e32 vcc, 0, v0
	s_and_saveexec_b64 s[0:1], vcc
	s_cbranch_execnz .LBB1253_12
; %bb.9:
	s_or_b64 exec, exec, s[0:1]
	v_cmp_gt_u32_e32 vcc, s6, v0
	s_and_saveexec_b64 s[0:1], vcc
	s_cbranch_execnz .LBB1253_13
.LBB1253_10:
	s_or_b64 exec, exec, s[0:1]
	v_cmp_gt_u32_e32 vcc, 64, v0
	s_and_saveexec_b64 s[0:1], vcc
	s_cbranch_execnz .LBB1253_14
.LBB1253_11:
	s_endpgm
.LBB1253_12:
	v_mov_b32_e32 v1, 0
	global_store_dword v1, v1, s[10:11]
	s_or_b64 exec, exec, s[0:1]
	v_cmp_gt_u32_e32 vcc, s6, v0
	s_and_saveexec_b64 s[0:1], vcc
	s_cbranch_execz .LBB1253_10
.LBB1253_13:
	v_add_u32_e32 v2, 64, v0
	v_mov_b32_e32 v3, 0
	v_lshl_add_u64 v[6:7], v[2:3], 4, s[4:5]
	v_mov_b32_e32 v2, v3
	v_mov_b32_e32 v4, v3
	;; [unrolled: 1-line block ×3, first 2 shown]
	global_store_dwordx4 v[6:7], v[2:5], off
	s_or_b64 exec, exec, s[0:1]
	v_cmp_gt_u32_e32 vcc, 64, v0
	s_and_saveexec_b64 s[0:1], vcc
	s_cbranch_execz .LBB1253_11
.LBB1253_14:
	v_mov_b32_e32 v1, 0
	v_lshl_add_u64 v[4:5], v[0:1], 4, s[4:5]
	v_mov_b32_e32 v2, 0xff
	v_mov_b32_e32 v0, v1
	;; [unrolled: 1-line block ×3, first 2 shown]
	global_store_dwordx4 v[4:5], v[0:3], off
	s_endpgm
	.section	.rodata,"a",@progbits
	.p2align	6, 0x0
	.amdhsa_kernel _ZN7rocprim17ROCPRIM_400000_NS6detail30init_device_scan_by_key_kernelINS1_19lookback_scan_stateINS0_5tupleIJjbEEELb0ELb1EEENS1_16block_id_wrapperIjLb1EEEEEvT_jjPNS9_10value_typeET0_
		.amdhsa_group_segment_fixed_size 0
		.amdhsa_private_segment_fixed_size 0
		.amdhsa_kernarg_size 288
		.amdhsa_user_sgpr_count 2
		.amdhsa_user_sgpr_dispatch_ptr 0
		.amdhsa_user_sgpr_queue_ptr 0
		.amdhsa_user_sgpr_kernarg_segment_ptr 1
		.amdhsa_user_sgpr_dispatch_id 0
		.amdhsa_user_sgpr_kernarg_preload_length 0
		.amdhsa_user_sgpr_kernarg_preload_offset 0
		.amdhsa_user_sgpr_private_segment_size 0
		.amdhsa_uses_dynamic_stack 0
		.amdhsa_enable_private_segment 0
		.amdhsa_system_sgpr_workgroup_id_x 1
		.amdhsa_system_sgpr_workgroup_id_y 0
		.amdhsa_system_sgpr_workgroup_id_z 0
		.amdhsa_system_sgpr_workgroup_info 0
		.amdhsa_system_vgpr_workitem_id 0
		.amdhsa_next_free_vgpr 10
		.amdhsa_next_free_sgpr 16
		.amdhsa_accum_offset 12
		.amdhsa_reserve_vcc 1
		.amdhsa_float_round_mode_32 0
		.amdhsa_float_round_mode_16_64 0
		.amdhsa_float_denorm_mode_32 3
		.amdhsa_float_denorm_mode_16_64 3
		.amdhsa_dx10_clamp 1
		.amdhsa_ieee_mode 1
		.amdhsa_fp16_overflow 0
		.amdhsa_tg_split 0
		.amdhsa_exception_fp_ieee_invalid_op 0
		.amdhsa_exception_fp_denorm_src 0
		.amdhsa_exception_fp_ieee_div_zero 0
		.amdhsa_exception_fp_ieee_overflow 0
		.amdhsa_exception_fp_ieee_underflow 0
		.amdhsa_exception_fp_ieee_inexact 0
		.amdhsa_exception_int_div_zero 0
	.end_amdhsa_kernel
	.section	.text._ZN7rocprim17ROCPRIM_400000_NS6detail30init_device_scan_by_key_kernelINS1_19lookback_scan_stateINS0_5tupleIJjbEEELb0ELb1EEENS1_16block_id_wrapperIjLb1EEEEEvT_jjPNS9_10value_typeET0_,"axG",@progbits,_ZN7rocprim17ROCPRIM_400000_NS6detail30init_device_scan_by_key_kernelINS1_19lookback_scan_stateINS0_5tupleIJjbEEELb0ELb1EEENS1_16block_id_wrapperIjLb1EEEEEvT_jjPNS9_10value_typeET0_,comdat
.Lfunc_end1253:
	.size	_ZN7rocprim17ROCPRIM_400000_NS6detail30init_device_scan_by_key_kernelINS1_19lookback_scan_stateINS0_5tupleIJjbEEELb0ELb1EEENS1_16block_id_wrapperIjLb1EEEEEvT_jjPNS9_10value_typeET0_, .Lfunc_end1253-_ZN7rocprim17ROCPRIM_400000_NS6detail30init_device_scan_by_key_kernelINS1_19lookback_scan_stateINS0_5tupleIJjbEEELb0ELb1EEENS1_16block_id_wrapperIjLb1EEEEEvT_jjPNS9_10value_typeET0_
                                        ; -- End function
	.section	.AMDGPU.csdata,"",@progbits
; Kernel info:
; codeLenInByte = 380
; NumSgprs: 22
; NumVgprs: 10
; NumAgprs: 0
; TotalNumVgprs: 10
; ScratchSize: 0
; MemoryBound: 0
; FloatMode: 240
; IeeeMode: 1
; LDSByteSize: 0 bytes/workgroup (compile time only)
; SGPRBlocks: 2
; VGPRBlocks: 1
; NumSGPRsForWavesPerEU: 22
; NumVGPRsForWavesPerEU: 10
; AccumOffset: 12
; Occupancy: 8
; WaveLimiterHint : 0
; COMPUTE_PGM_RSRC2:SCRATCH_EN: 0
; COMPUTE_PGM_RSRC2:USER_SGPR: 2
; COMPUTE_PGM_RSRC2:TRAP_HANDLER: 0
; COMPUTE_PGM_RSRC2:TGID_X_EN: 1
; COMPUTE_PGM_RSRC2:TGID_Y_EN: 0
; COMPUTE_PGM_RSRC2:TGID_Z_EN: 0
; COMPUTE_PGM_RSRC2:TIDIG_COMP_CNT: 0
; COMPUTE_PGM_RSRC3_GFX90A:ACCUM_OFFSET: 2
; COMPUTE_PGM_RSRC3_GFX90A:TG_SPLIT: 0
	.section	.text._ZN7rocprim17ROCPRIM_400000_NS6detail17trampoline_kernelINS0_14default_configENS1_27scan_by_key_config_selectorIijEEZZNS1_16scan_by_key_implILNS1_25lookback_scan_determinismE0ELb0ES3_N6thrust23THRUST_200600_302600_NS6detail15normal_iteratorINS9_10device_ptrIiEEEENSB_INSC_IjEEEESG_jNS9_4plusIvEENS9_8equal_toIvEEjEE10hipError_tPvRmT2_T3_T4_T5_mT6_T7_P12ihipStream_tbENKUlT_T0_E_clISt17integral_constantIbLb0EES10_IbLb1EEEEDaSW_SX_EUlSW_E_NS1_11comp_targetILNS1_3genE0ELNS1_11target_archE4294967295ELNS1_3gpuE0ELNS1_3repE0EEENS1_30default_config_static_selectorELNS0_4arch9wavefront6targetE1EEEvT1_,"axG",@progbits,_ZN7rocprim17ROCPRIM_400000_NS6detail17trampoline_kernelINS0_14default_configENS1_27scan_by_key_config_selectorIijEEZZNS1_16scan_by_key_implILNS1_25lookback_scan_determinismE0ELb0ES3_N6thrust23THRUST_200600_302600_NS6detail15normal_iteratorINS9_10device_ptrIiEEEENSB_INSC_IjEEEESG_jNS9_4plusIvEENS9_8equal_toIvEEjEE10hipError_tPvRmT2_T3_T4_T5_mT6_T7_P12ihipStream_tbENKUlT_T0_E_clISt17integral_constantIbLb0EES10_IbLb1EEEEDaSW_SX_EUlSW_E_NS1_11comp_targetILNS1_3genE0ELNS1_11target_archE4294967295ELNS1_3gpuE0ELNS1_3repE0EEENS1_30default_config_static_selectorELNS0_4arch9wavefront6targetE1EEEvT1_,comdat
	.protected	_ZN7rocprim17ROCPRIM_400000_NS6detail17trampoline_kernelINS0_14default_configENS1_27scan_by_key_config_selectorIijEEZZNS1_16scan_by_key_implILNS1_25lookback_scan_determinismE0ELb0ES3_N6thrust23THRUST_200600_302600_NS6detail15normal_iteratorINS9_10device_ptrIiEEEENSB_INSC_IjEEEESG_jNS9_4plusIvEENS9_8equal_toIvEEjEE10hipError_tPvRmT2_T3_T4_T5_mT6_T7_P12ihipStream_tbENKUlT_T0_E_clISt17integral_constantIbLb0EES10_IbLb1EEEEDaSW_SX_EUlSW_E_NS1_11comp_targetILNS1_3genE0ELNS1_11target_archE4294967295ELNS1_3gpuE0ELNS1_3repE0EEENS1_30default_config_static_selectorELNS0_4arch9wavefront6targetE1EEEvT1_ ; -- Begin function _ZN7rocprim17ROCPRIM_400000_NS6detail17trampoline_kernelINS0_14default_configENS1_27scan_by_key_config_selectorIijEEZZNS1_16scan_by_key_implILNS1_25lookback_scan_determinismE0ELb0ES3_N6thrust23THRUST_200600_302600_NS6detail15normal_iteratorINS9_10device_ptrIiEEEENSB_INSC_IjEEEESG_jNS9_4plusIvEENS9_8equal_toIvEEjEE10hipError_tPvRmT2_T3_T4_T5_mT6_T7_P12ihipStream_tbENKUlT_T0_E_clISt17integral_constantIbLb0EES10_IbLb1EEEEDaSW_SX_EUlSW_E_NS1_11comp_targetILNS1_3genE0ELNS1_11target_archE4294967295ELNS1_3gpuE0ELNS1_3repE0EEENS1_30default_config_static_selectorELNS0_4arch9wavefront6targetE1EEEvT1_
	.globl	_ZN7rocprim17ROCPRIM_400000_NS6detail17trampoline_kernelINS0_14default_configENS1_27scan_by_key_config_selectorIijEEZZNS1_16scan_by_key_implILNS1_25lookback_scan_determinismE0ELb0ES3_N6thrust23THRUST_200600_302600_NS6detail15normal_iteratorINS9_10device_ptrIiEEEENSB_INSC_IjEEEESG_jNS9_4plusIvEENS9_8equal_toIvEEjEE10hipError_tPvRmT2_T3_T4_T5_mT6_T7_P12ihipStream_tbENKUlT_T0_E_clISt17integral_constantIbLb0EES10_IbLb1EEEEDaSW_SX_EUlSW_E_NS1_11comp_targetILNS1_3genE0ELNS1_11target_archE4294967295ELNS1_3gpuE0ELNS1_3repE0EEENS1_30default_config_static_selectorELNS0_4arch9wavefront6targetE1EEEvT1_
	.p2align	8
	.type	_ZN7rocprim17ROCPRIM_400000_NS6detail17trampoline_kernelINS0_14default_configENS1_27scan_by_key_config_selectorIijEEZZNS1_16scan_by_key_implILNS1_25lookback_scan_determinismE0ELb0ES3_N6thrust23THRUST_200600_302600_NS6detail15normal_iteratorINS9_10device_ptrIiEEEENSB_INSC_IjEEEESG_jNS9_4plusIvEENS9_8equal_toIvEEjEE10hipError_tPvRmT2_T3_T4_T5_mT6_T7_P12ihipStream_tbENKUlT_T0_E_clISt17integral_constantIbLb0EES10_IbLb1EEEEDaSW_SX_EUlSW_E_NS1_11comp_targetILNS1_3genE0ELNS1_11target_archE4294967295ELNS1_3gpuE0ELNS1_3repE0EEENS1_30default_config_static_selectorELNS0_4arch9wavefront6targetE1EEEvT1_,@function
_ZN7rocprim17ROCPRIM_400000_NS6detail17trampoline_kernelINS0_14default_configENS1_27scan_by_key_config_selectorIijEEZZNS1_16scan_by_key_implILNS1_25lookback_scan_determinismE0ELb0ES3_N6thrust23THRUST_200600_302600_NS6detail15normal_iteratorINS9_10device_ptrIiEEEENSB_INSC_IjEEEESG_jNS9_4plusIvEENS9_8equal_toIvEEjEE10hipError_tPvRmT2_T3_T4_T5_mT6_T7_P12ihipStream_tbENKUlT_T0_E_clISt17integral_constantIbLb0EES10_IbLb1EEEEDaSW_SX_EUlSW_E_NS1_11comp_targetILNS1_3genE0ELNS1_11target_archE4294967295ELNS1_3gpuE0ELNS1_3repE0EEENS1_30default_config_static_selectorELNS0_4arch9wavefront6targetE1EEEvT1_: ; @_ZN7rocprim17ROCPRIM_400000_NS6detail17trampoline_kernelINS0_14default_configENS1_27scan_by_key_config_selectorIijEEZZNS1_16scan_by_key_implILNS1_25lookback_scan_determinismE0ELb0ES3_N6thrust23THRUST_200600_302600_NS6detail15normal_iteratorINS9_10device_ptrIiEEEENSB_INSC_IjEEEESG_jNS9_4plusIvEENS9_8equal_toIvEEjEE10hipError_tPvRmT2_T3_T4_T5_mT6_T7_P12ihipStream_tbENKUlT_T0_E_clISt17integral_constantIbLb0EES10_IbLb1EEEEDaSW_SX_EUlSW_E_NS1_11comp_targetILNS1_3genE0ELNS1_11target_archE4294967295ELNS1_3gpuE0ELNS1_3repE0EEENS1_30default_config_static_selectorELNS0_4arch9wavefront6targetE1EEEvT1_
; %bb.0:
	.section	.rodata,"a",@progbits
	.p2align	6, 0x0
	.amdhsa_kernel _ZN7rocprim17ROCPRIM_400000_NS6detail17trampoline_kernelINS0_14default_configENS1_27scan_by_key_config_selectorIijEEZZNS1_16scan_by_key_implILNS1_25lookback_scan_determinismE0ELb0ES3_N6thrust23THRUST_200600_302600_NS6detail15normal_iteratorINS9_10device_ptrIiEEEENSB_INSC_IjEEEESG_jNS9_4plusIvEENS9_8equal_toIvEEjEE10hipError_tPvRmT2_T3_T4_T5_mT6_T7_P12ihipStream_tbENKUlT_T0_E_clISt17integral_constantIbLb0EES10_IbLb1EEEEDaSW_SX_EUlSW_E_NS1_11comp_targetILNS1_3genE0ELNS1_11target_archE4294967295ELNS1_3gpuE0ELNS1_3repE0EEENS1_30default_config_static_selectorELNS0_4arch9wavefront6targetE1EEEvT1_
		.amdhsa_group_segment_fixed_size 0
		.amdhsa_private_segment_fixed_size 0
		.amdhsa_kernarg_size 112
		.amdhsa_user_sgpr_count 2
		.amdhsa_user_sgpr_dispatch_ptr 0
		.amdhsa_user_sgpr_queue_ptr 0
		.amdhsa_user_sgpr_kernarg_segment_ptr 1
		.amdhsa_user_sgpr_dispatch_id 0
		.amdhsa_user_sgpr_kernarg_preload_length 0
		.amdhsa_user_sgpr_kernarg_preload_offset 0
		.amdhsa_user_sgpr_private_segment_size 0
		.amdhsa_uses_dynamic_stack 0
		.amdhsa_enable_private_segment 0
		.amdhsa_system_sgpr_workgroup_id_x 1
		.amdhsa_system_sgpr_workgroup_id_y 0
		.amdhsa_system_sgpr_workgroup_id_z 0
		.amdhsa_system_sgpr_workgroup_info 0
		.amdhsa_system_vgpr_workitem_id 0
		.amdhsa_next_free_vgpr 1
		.amdhsa_next_free_sgpr 0
		.amdhsa_accum_offset 4
		.amdhsa_reserve_vcc 0
		.amdhsa_float_round_mode_32 0
		.amdhsa_float_round_mode_16_64 0
		.amdhsa_float_denorm_mode_32 3
		.amdhsa_float_denorm_mode_16_64 3
		.amdhsa_dx10_clamp 1
		.amdhsa_ieee_mode 1
		.amdhsa_fp16_overflow 0
		.amdhsa_tg_split 0
		.amdhsa_exception_fp_ieee_invalid_op 0
		.amdhsa_exception_fp_denorm_src 0
		.amdhsa_exception_fp_ieee_div_zero 0
		.amdhsa_exception_fp_ieee_overflow 0
		.amdhsa_exception_fp_ieee_underflow 0
		.amdhsa_exception_fp_ieee_inexact 0
		.amdhsa_exception_int_div_zero 0
	.end_amdhsa_kernel
	.section	.text._ZN7rocprim17ROCPRIM_400000_NS6detail17trampoline_kernelINS0_14default_configENS1_27scan_by_key_config_selectorIijEEZZNS1_16scan_by_key_implILNS1_25lookback_scan_determinismE0ELb0ES3_N6thrust23THRUST_200600_302600_NS6detail15normal_iteratorINS9_10device_ptrIiEEEENSB_INSC_IjEEEESG_jNS9_4plusIvEENS9_8equal_toIvEEjEE10hipError_tPvRmT2_T3_T4_T5_mT6_T7_P12ihipStream_tbENKUlT_T0_E_clISt17integral_constantIbLb0EES10_IbLb1EEEEDaSW_SX_EUlSW_E_NS1_11comp_targetILNS1_3genE0ELNS1_11target_archE4294967295ELNS1_3gpuE0ELNS1_3repE0EEENS1_30default_config_static_selectorELNS0_4arch9wavefront6targetE1EEEvT1_,"axG",@progbits,_ZN7rocprim17ROCPRIM_400000_NS6detail17trampoline_kernelINS0_14default_configENS1_27scan_by_key_config_selectorIijEEZZNS1_16scan_by_key_implILNS1_25lookback_scan_determinismE0ELb0ES3_N6thrust23THRUST_200600_302600_NS6detail15normal_iteratorINS9_10device_ptrIiEEEENSB_INSC_IjEEEESG_jNS9_4plusIvEENS9_8equal_toIvEEjEE10hipError_tPvRmT2_T3_T4_T5_mT6_T7_P12ihipStream_tbENKUlT_T0_E_clISt17integral_constantIbLb0EES10_IbLb1EEEEDaSW_SX_EUlSW_E_NS1_11comp_targetILNS1_3genE0ELNS1_11target_archE4294967295ELNS1_3gpuE0ELNS1_3repE0EEENS1_30default_config_static_selectorELNS0_4arch9wavefront6targetE1EEEvT1_,comdat
.Lfunc_end1254:
	.size	_ZN7rocprim17ROCPRIM_400000_NS6detail17trampoline_kernelINS0_14default_configENS1_27scan_by_key_config_selectorIijEEZZNS1_16scan_by_key_implILNS1_25lookback_scan_determinismE0ELb0ES3_N6thrust23THRUST_200600_302600_NS6detail15normal_iteratorINS9_10device_ptrIiEEEENSB_INSC_IjEEEESG_jNS9_4plusIvEENS9_8equal_toIvEEjEE10hipError_tPvRmT2_T3_T4_T5_mT6_T7_P12ihipStream_tbENKUlT_T0_E_clISt17integral_constantIbLb0EES10_IbLb1EEEEDaSW_SX_EUlSW_E_NS1_11comp_targetILNS1_3genE0ELNS1_11target_archE4294967295ELNS1_3gpuE0ELNS1_3repE0EEENS1_30default_config_static_selectorELNS0_4arch9wavefront6targetE1EEEvT1_, .Lfunc_end1254-_ZN7rocprim17ROCPRIM_400000_NS6detail17trampoline_kernelINS0_14default_configENS1_27scan_by_key_config_selectorIijEEZZNS1_16scan_by_key_implILNS1_25lookback_scan_determinismE0ELb0ES3_N6thrust23THRUST_200600_302600_NS6detail15normal_iteratorINS9_10device_ptrIiEEEENSB_INSC_IjEEEESG_jNS9_4plusIvEENS9_8equal_toIvEEjEE10hipError_tPvRmT2_T3_T4_T5_mT6_T7_P12ihipStream_tbENKUlT_T0_E_clISt17integral_constantIbLb0EES10_IbLb1EEEEDaSW_SX_EUlSW_E_NS1_11comp_targetILNS1_3genE0ELNS1_11target_archE4294967295ELNS1_3gpuE0ELNS1_3repE0EEENS1_30default_config_static_selectorELNS0_4arch9wavefront6targetE1EEEvT1_
                                        ; -- End function
	.section	.AMDGPU.csdata,"",@progbits
; Kernel info:
; codeLenInByte = 0
; NumSgprs: 6
; NumVgprs: 0
; NumAgprs: 0
; TotalNumVgprs: 0
; ScratchSize: 0
; MemoryBound: 0
; FloatMode: 240
; IeeeMode: 1
; LDSByteSize: 0 bytes/workgroup (compile time only)
; SGPRBlocks: 0
; VGPRBlocks: 0
; NumSGPRsForWavesPerEU: 6
; NumVGPRsForWavesPerEU: 1
; AccumOffset: 4
; Occupancy: 8
; WaveLimiterHint : 0
; COMPUTE_PGM_RSRC2:SCRATCH_EN: 0
; COMPUTE_PGM_RSRC2:USER_SGPR: 2
; COMPUTE_PGM_RSRC2:TRAP_HANDLER: 0
; COMPUTE_PGM_RSRC2:TGID_X_EN: 1
; COMPUTE_PGM_RSRC2:TGID_Y_EN: 0
; COMPUTE_PGM_RSRC2:TGID_Z_EN: 0
; COMPUTE_PGM_RSRC2:TIDIG_COMP_CNT: 0
; COMPUTE_PGM_RSRC3_GFX90A:ACCUM_OFFSET: 0
; COMPUTE_PGM_RSRC3_GFX90A:TG_SPLIT: 0
	.section	.text._ZN7rocprim17ROCPRIM_400000_NS6detail17trampoline_kernelINS0_14default_configENS1_27scan_by_key_config_selectorIijEEZZNS1_16scan_by_key_implILNS1_25lookback_scan_determinismE0ELb0ES3_N6thrust23THRUST_200600_302600_NS6detail15normal_iteratorINS9_10device_ptrIiEEEENSB_INSC_IjEEEESG_jNS9_4plusIvEENS9_8equal_toIvEEjEE10hipError_tPvRmT2_T3_T4_T5_mT6_T7_P12ihipStream_tbENKUlT_T0_E_clISt17integral_constantIbLb0EES10_IbLb1EEEEDaSW_SX_EUlSW_E_NS1_11comp_targetILNS1_3genE10ELNS1_11target_archE1201ELNS1_3gpuE5ELNS1_3repE0EEENS1_30default_config_static_selectorELNS0_4arch9wavefront6targetE1EEEvT1_,"axG",@progbits,_ZN7rocprim17ROCPRIM_400000_NS6detail17trampoline_kernelINS0_14default_configENS1_27scan_by_key_config_selectorIijEEZZNS1_16scan_by_key_implILNS1_25lookback_scan_determinismE0ELb0ES3_N6thrust23THRUST_200600_302600_NS6detail15normal_iteratorINS9_10device_ptrIiEEEENSB_INSC_IjEEEESG_jNS9_4plusIvEENS9_8equal_toIvEEjEE10hipError_tPvRmT2_T3_T4_T5_mT6_T7_P12ihipStream_tbENKUlT_T0_E_clISt17integral_constantIbLb0EES10_IbLb1EEEEDaSW_SX_EUlSW_E_NS1_11comp_targetILNS1_3genE10ELNS1_11target_archE1201ELNS1_3gpuE5ELNS1_3repE0EEENS1_30default_config_static_selectorELNS0_4arch9wavefront6targetE1EEEvT1_,comdat
	.protected	_ZN7rocprim17ROCPRIM_400000_NS6detail17trampoline_kernelINS0_14default_configENS1_27scan_by_key_config_selectorIijEEZZNS1_16scan_by_key_implILNS1_25lookback_scan_determinismE0ELb0ES3_N6thrust23THRUST_200600_302600_NS6detail15normal_iteratorINS9_10device_ptrIiEEEENSB_INSC_IjEEEESG_jNS9_4plusIvEENS9_8equal_toIvEEjEE10hipError_tPvRmT2_T3_T4_T5_mT6_T7_P12ihipStream_tbENKUlT_T0_E_clISt17integral_constantIbLb0EES10_IbLb1EEEEDaSW_SX_EUlSW_E_NS1_11comp_targetILNS1_3genE10ELNS1_11target_archE1201ELNS1_3gpuE5ELNS1_3repE0EEENS1_30default_config_static_selectorELNS0_4arch9wavefront6targetE1EEEvT1_ ; -- Begin function _ZN7rocprim17ROCPRIM_400000_NS6detail17trampoline_kernelINS0_14default_configENS1_27scan_by_key_config_selectorIijEEZZNS1_16scan_by_key_implILNS1_25lookback_scan_determinismE0ELb0ES3_N6thrust23THRUST_200600_302600_NS6detail15normal_iteratorINS9_10device_ptrIiEEEENSB_INSC_IjEEEESG_jNS9_4plusIvEENS9_8equal_toIvEEjEE10hipError_tPvRmT2_T3_T4_T5_mT6_T7_P12ihipStream_tbENKUlT_T0_E_clISt17integral_constantIbLb0EES10_IbLb1EEEEDaSW_SX_EUlSW_E_NS1_11comp_targetILNS1_3genE10ELNS1_11target_archE1201ELNS1_3gpuE5ELNS1_3repE0EEENS1_30default_config_static_selectorELNS0_4arch9wavefront6targetE1EEEvT1_
	.globl	_ZN7rocprim17ROCPRIM_400000_NS6detail17trampoline_kernelINS0_14default_configENS1_27scan_by_key_config_selectorIijEEZZNS1_16scan_by_key_implILNS1_25lookback_scan_determinismE0ELb0ES3_N6thrust23THRUST_200600_302600_NS6detail15normal_iteratorINS9_10device_ptrIiEEEENSB_INSC_IjEEEESG_jNS9_4plusIvEENS9_8equal_toIvEEjEE10hipError_tPvRmT2_T3_T4_T5_mT6_T7_P12ihipStream_tbENKUlT_T0_E_clISt17integral_constantIbLb0EES10_IbLb1EEEEDaSW_SX_EUlSW_E_NS1_11comp_targetILNS1_3genE10ELNS1_11target_archE1201ELNS1_3gpuE5ELNS1_3repE0EEENS1_30default_config_static_selectorELNS0_4arch9wavefront6targetE1EEEvT1_
	.p2align	8
	.type	_ZN7rocprim17ROCPRIM_400000_NS6detail17trampoline_kernelINS0_14default_configENS1_27scan_by_key_config_selectorIijEEZZNS1_16scan_by_key_implILNS1_25lookback_scan_determinismE0ELb0ES3_N6thrust23THRUST_200600_302600_NS6detail15normal_iteratorINS9_10device_ptrIiEEEENSB_INSC_IjEEEESG_jNS9_4plusIvEENS9_8equal_toIvEEjEE10hipError_tPvRmT2_T3_T4_T5_mT6_T7_P12ihipStream_tbENKUlT_T0_E_clISt17integral_constantIbLb0EES10_IbLb1EEEEDaSW_SX_EUlSW_E_NS1_11comp_targetILNS1_3genE10ELNS1_11target_archE1201ELNS1_3gpuE5ELNS1_3repE0EEENS1_30default_config_static_selectorELNS0_4arch9wavefront6targetE1EEEvT1_,@function
_ZN7rocprim17ROCPRIM_400000_NS6detail17trampoline_kernelINS0_14default_configENS1_27scan_by_key_config_selectorIijEEZZNS1_16scan_by_key_implILNS1_25lookback_scan_determinismE0ELb0ES3_N6thrust23THRUST_200600_302600_NS6detail15normal_iteratorINS9_10device_ptrIiEEEENSB_INSC_IjEEEESG_jNS9_4plusIvEENS9_8equal_toIvEEjEE10hipError_tPvRmT2_T3_T4_T5_mT6_T7_P12ihipStream_tbENKUlT_T0_E_clISt17integral_constantIbLb0EES10_IbLb1EEEEDaSW_SX_EUlSW_E_NS1_11comp_targetILNS1_3genE10ELNS1_11target_archE1201ELNS1_3gpuE5ELNS1_3repE0EEENS1_30default_config_static_selectorELNS0_4arch9wavefront6targetE1EEEvT1_: ; @_ZN7rocprim17ROCPRIM_400000_NS6detail17trampoline_kernelINS0_14default_configENS1_27scan_by_key_config_selectorIijEEZZNS1_16scan_by_key_implILNS1_25lookback_scan_determinismE0ELb0ES3_N6thrust23THRUST_200600_302600_NS6detail15normal_iteratorINS9_10device_ptrIiEEEENSB_INSC_IjEEEESG_jNS9_4plusIvEENS9_8equal_toIvEEjEE10hipError_tPvRmT2_T3_T4_T5_mT6_T7_P12ihipStream_tbENKUlT_T0_E_clISt17integral_constantIbLb0EES10_IbLb1EEEEDaSW_SX_EUlSW_E_NS1_11comp_targetILNS1_3genE10ELNS1_11target_archE1201ELNS1_3gpuE5ELNS1_3repE0EEENS1_30default_config_static_selectorELNS0_4arch9wavefront6targetE1EEEvT1_
; %bb.0:
	.section	.rodata,"a",@progbits
	.p2align	6, 0x0
	.amdhsa_kernel _ZN7rocprim17ROCPRIM_400000_NS6detail17trampoline_kernelINS0_14default_configENS1_27scan_by_key_config_selectorIijEEZZNS1_16scan_by_key_implILNS1_25lookback_scan_determinismE0ELb0ES3_N6thrust23THRUST_200600_302600_NS6detail15normal_iteratorINS9_10device_ptrIiEEEENSB_INSC_IjEEEESG_jNS9_4plusIvEENS9_8equal_toIvEEjEE10hipError_tPvRmT2_T3_T4_T5_mT6_T7_P12ihipStream_tbENKUlT_T0_E_clISt17integral_constantIbLb0EES10_IbLb1EEEEDaSW_SX_EUlSW_E_NS1_11comp_targetILNS1_3genE10ELNS1_11target_archE1201ELNS1_3gpuE5ELNS1_3repE0EEENS1_30default_config_static_selectorELNS0_4arch9wavefront6targetE1EEEvT1_
		.amdhsa_group_segment_fixed_size 0
		.amdhsa_private_segment_fixed_size 0
		.amdhsa_kernarg_size 112
		.amdhsa_user_sgpr_count 2
		.amdhsa_user_sgpr_dispatch_ptr 0
		.amdhsa_user_sgpr_queue_ptr 0
		.amdhsa_user_sgpr_kernarg_segment_ptr 1
		.amdhsa_user_sgpr_dispatch_id 0
		.amdhsa_user_sgpr_kernarg_preload_length 0
		.amdhsa_user_sgpr_kernarg_preload_offset 0
		.amdhsa_user_sgpr_private_segment_size 0
		.amdhsa_uses_dynamic_stack 0
		.amdhsa_enable_private_segment 0
		.amdhsa_system_sgpr_workgroup_id_x 1
		.amdhsa_system_sgpr_workgroup_id_y 0
		.amdhsa_system_sgpr_workgroup_id_z 0
		.amdhsa_system_sgpr_workgroup_info 0
		.amdhsa_system_vgpr_workitem_id 0
		.amdhsa_next_free_vgpr 1
		.amdhsa_next_free_sgpr 0
		.amdhsa_accum_offset 4
		.amdhsa_reserve_vcc 0
		.amdhsa_float_round_mode_32 0
		.amdhsa_float_round_mode_16_64 0
		.amdhsa_float_denorm_mode_32 3
		.amdhsa_float_denorm_mode_16_64 3
		.amdhsa_dx10_clamp 1
		.amdhsa_ieee_mode 1
		.amdhsa_fp16_overflow 0
		.amdhsa_tg_split 0
		.amdhsa_exception_fp_ieee_invalid_op 0
		.amdhsa_exception_fp_denorm_src 0
		.amdhsa_exception_fp_ieee_div_zero 0
		.amdhsa_exception_fp_ieee_overflow 0
		.amdhsa_exception_fp_ieee_underflow 0
		.amdhsa_exception_fp_ieee_inexact 0
		.amdhsa_exception_int_div_zero 0
	.end_amdhsa_kernel
	.section	.text._ZN7rocprim17ROCPRIM_400000_NS6detail17trampoline_kernelINS0_14default_configENS1_27scan_by_key_config_selectorIijEEZZNS1_16scan_by_key_implILNS1_25lookback_scan_determinismE0ELb0ES3_N6thrust23THRUST_200600_302600_NS6detail15normal_iteratorINS9_10device_ptrIiEEEENSB_INSC_IjEEEESG_jNS9_4plusIvEENS9_8equal_toIvEEjEE10hipError_tPvRmT2_T3_T4_T5_mT6_T7_P12ihipStream_tbENKUlT_T0_E_clISt17integral_constantIbLb0EES10_IbLb1EEEEDaSW_SX_EUlSW_E_NS1_11comp_targetILNS1_3genE10ELNS1_11target_archE1201ELNS1_3gpuE5ELNS1_3repE0EEENS1_30default_config_static_selectorELNS0_4arch9wavefront6targetE1EEEvT1_,"axG",@progbits,_ZN7rocprim17ROCPRIM_400000_NS6detail17trampoline_kernelINS0_14default_configENS1_27scan_by_key_config_selectorIijEEZZNS1_16scan_by_key_implILNS1_25lookback_scan_determinismE0ELb0ES3_N6thrust23THRUST_200600_302600_NS6detail15normal_iteratorINS9_10device_ptrIiEEEENSB_INSC_IjEEEESG_jNS9_4plusIvEENS9_8equal_toIvEEjEE10hipError_tPvRmT2_T3_T4_T5_mT6_T7_P12ihipStream_tbENKUlT_T0_E_clISt17integral_constantIbLb0EES10_IbLb1EEEEDaSW_SX_EUlSW_E_NS1_11comp_targetILNS1_3genE10ELNS1_11target_archE1201ELNS1_3gpuE5ELNS1_3repE0EEENS1_30default_config_static_selectorELNS0_4arch9wavefront6targetE1EEEvT1_,comdat
.Lfunc_end1255:
	.size	_ZN7rocprim17ROCPRIM_400000_NS6detail17trampoline_kernelINS0_14default_configENS1_27scan_by_key_config_selectorIijEEZZNS1_16scan_by_key_implILNS1_25lookback_scan_determinismE0ELb0ES3_N6thrust23THRUST_200600_302600_NS6detail15normal_iteratorINS9_10device_ptrIiEEEENSB_INSC_IjEEEESG_jNS9_4plusIvEENS9_8equal_toIvEEjEE10hipError_tPvRmT2_T3_T4_T5_mT6_T7_P12ihipStream_tbENKUlT_T0_E_clISt17integral_constantIbLb0EES10_IbLb1EEEEDaSW_SX_EUlSW_E_NS1_11comp_targetILNS1_3genE10ELNS1_11target_archE1201ELNS1_3gpuE5ELNS1_3repE0EEENS1_30default_config_static_selectorELNS0_4arch9wavefront6targetE1EEEvT1_, .Lfunc_end1255-_ZN7rocprim17ROCPRIM_400000_NS6detail17trampoline_kernelINS0_14default_configENS1_27scan_by_key_config_selectorIijEEZZNS1_16scan_by_key_implILNS1_25lookback_scan_determinismE0ELb0ES3_N6thrust23THRUST_200600_302600_NS6detail15normal_iteratorINS9_10device_ptrIiEEEENSB_INSC_IjEEEESG_jNS9_4plusIvEENS9_8equal_toIvEEjEE10hipError_tPvRmT2_T3_T4_T5_mT6_T7_P12ihipStream_tbENKUlT_T0_E_clISt17integral_constantIbLb0EES10_IbLb1EEEEDaSW_SX_EUlSW_E_NS1_11comp_targetILNS1_3genE10ELNS1_11target_archE1201ELNS1_3gpuE5ELNS1_3repE0EEENS1_30default_config_static_selectorELNS0_4arch9wavefront6targetE1EEEvT1_
                                        ; -- End function
	.section	.AMDGPU.csdata,"",@progbits
; Kernel info:
; codeLenInByte = 0
; NumSgprs: 6
; NumVgprs: 0
; NumAgprs: 0
; TotalNumVgprs: 0
; ScratchSize: 0
; MemoryBound: 0
; FloatMode: 240
; IeeeMode: 1
; LDSByteSize: 0 bytes/workgroup (compile time only)
; SGPRBlocks: 0
; VGPRBlocks: 0
; NumSGPRsForWavesPerEU: 6
; NumVGPRsForWavesPerEU: 1
; AccumOffset: 4
; Occupancy: 8
; WaveLimiterHint : 0
; COMPUTE_PGM_RSRC2:SCRATCH_EN: 0
; COMPUTE_PGM_RSRC2:USER_SGPR: 2
; COMPUTE_PGM_RSRC2:TRAP_HANDLER: 0
; COMPUTE_PGM_RSRC2:TGID_X_EN: 1
; COMPUTE_PGM_RSRC2:TGID_Y_EN: 0
; COMPUTE_PGM_RSRC2:TGID_Z_EN: 0
; COMPUTE_PGM_RSRC2:TIDIG_COMP_CNT: 0
; COMPUTE_PGM_RSRC3_GFX90A:ACCUM_OFFSET: 0
; COMPUTE_PGM_RSRC3_GFX90A:TG_SPLIT: 0
	.section	.text._ZN7rocprim17ROCPRIM_400000_NS6detail17trampoline_kernelINS0_14default_configENS1_27scan_by_key_config_selectorIijEEZZNS1_16scan_by_key_implILNS1_25lookback_scan_determinismE0ELb0ES3_N6thrust23THRUST_200600_302600_NS6detail15normal_iteratorINS9_10device_ptrIiEEEENSB_INSC_IjEEEESG_jNS9_4plusIvEENS9_8equal_toIvEEjEE10hipError_tPvRmT2_T3_T4_T5_mT6_T7_P12ihipStream_tbENKUlT_T0_E_clISt17integral_constantIbLb0EES10_IbLb1EEEEDaSW_SX_EUlSW_E_NS1_11comp_targetILNS1_3genE5ELNS1_11target_archE942ELNS1_3gpuE9ELNS1_3repE0EEENS1_30default_config_static_selectorELNS0_4arch9wavefront6targetE1EEEvT1_,"axG",@progbits,_ZN7rocprim17ROCPRIM_400000_NS6detail17trampoline_kernelINS0_14default_configENS1_27scan_by_key_config_selectorIijEEZZNS1_16scan_by_key_implILNS1_25lookback_scan_determinismE0ELb0ES3_N6thrust23THRUST_200600_302600_NS6detail15normal_iteratorINS9_10device_ptrIiEEEENSB_INSC_IjEEEESG_jNS9_4plusIvEENS9_8equal_toIvEEjEE10hipError_tPvRmT2_T3_T4_T5_mT6_T7_P12ihipStream_tbENKUlT_T0_E_clISt17integral_constantIbLb0EES10_IbLb1EEEEDaSW_SX_EUlSW_E_NS1_11comp_targetILNS1_3genE5ELNS1_11target_archE942ELNS1_3gpuE9ELNS1_3repE0EEENS1_30default_config_static_selectorELNS0_4arch9wavefront6targetE1EEEvT1_,comdat
	.protected	_ZN7rocprim17ROCPRIM_400000_NS6detail17trampoline_kernelINS0_14default_configENS1_27scan_by_key_config_selectorIijEEZZNS1_16scan_by_key_implILNS1_25lookback_scan_determinismE0ELb0ES3_N6thrust23THRUST_200600_302600_NS6detail15normal_iteratorINS9_10device_ptrIiEEEENSB_INSC_IjEEEESG_jNS9_4plusIvEENS9_8equal_toIvEEjEE10hipError_tPvRmT2_T3_T4_T5_mT6_T7_P12ihipStream_tbENKUlT_T0_E_clISt17integral_constantIbLb0EES10_IbLb1EEEEDaSW_SX_EUlSW_E_NS1_11comp_targetILNS1_3genE5ELNS1_11target_archE942ELNS1_3gpuE9ELNS1_3repE0EEENS1_30default_config_static_selectorELNS0_4arch9wavefront6targetE1EEEvT1_ ; -- Begin function _ZN7rocprim17ROCPRIM_400000_NS6detail17trampoline_kernelINS0_14default_configENS1_27scan_by_key_config_selectorIijEEZZNS1_16scan_by_key_implILNS1_25lookback_scan_determinismE0ELb0ES3_N6thrust23THRUST_200600_302600_NS6detail15normal_iteratorINS9_10device_ptrIiEEEENSB_INSC_IjEEEESG_jNS9_4plusIvEENS9_8equal_toIvEEjEE10hipError_tPvRmT2_T3_T4_T5_mT6_T7_P12ihipStream_tbENKUlT_T0_E_clISt17integral_constantIbLb0EES10_IbLb1EEEEDaSW_SX_EUlSW_E_NS1_11comp_targetILNS1_3genE5ELNS1_11target_archE942ELNS1_3gpuE9ELNS1_3repE0EEENS1_30default_config_static_selectorELNS0_4arch9wavefront6targetE1EEEvT1_
	.globl	_ZN7rocprim17ROCPRIM_400000_NS6detail17trampoline_kernelINS0_14default_configENS1_27scan_by_key_config_selectorIijEEZZNS1_16scan_by_key_implILNS1_25lookback_scan_determinismE0ELb0ES3_N6thrust23THRUST_200600_302600_NS6detail15normal_iteratorINS9_10device_ptrIiEEEENSB_INSC_IjEEEESG_jNS9_4plusIvEENS9_8equal_toIvEEjEE10hipError_tPvRmT2_T3_T4_T5_mT6_T7_P12ihipStream_tbENKUlT_T0_E_clISt17integral_constantIbLb0EES10_IbLb1EEEEDaSW_SX_EUlSW_E_NS1_11comp_targetILNS1_3genE5ELNS1_11target_archE942ELNS1_3gpuE9ELNS1_3repE0EEENS1_30default_config_static_selectorELNS0_4arch9wavefront6targetE1EEEvT1_
	.p2align	8
	.type	_ZN7rocprim17ROCPRIM_400000_NS6detail17trampoline_kernelINS0_14default_configENS1_27scan_by_key_config_selectorIijEEZZNS1_16scan_by_key_implILNS1_25lookback_scan_determinismE0ELb0ES3_N6thrust23THRUST_200600_302600_NS6detail15normal_iteratorINS9_10device_ptrIiEEEENSB_INSC_IjEEEESG_jNS9_4plusIvEENS9_8equal_toIvEEjEE10hipError_tPvRmT2_T3_T4_T5_mT6_T7_P12ihipStream_tbENKUlT_T0_E_clISt17integral_constantIbLb0EES10_IbLb1EEEEDaSW_SX_EUlSW_E_NS1_11comp_targetILNS1_3genE5ELNS1_11target_archE942ELNS1_3gpuE9ELNS1_3repE0EEENS1_30default_config_static_selectorELNS0_4arch9wavefront6targetE1EEEvT1_,@function
_ZN7rocprim17ROCPRIM_400000_NS6detail17trampoline_kernelINS0_14default_configENS1_27scan_by_key_config_selectorIijEEZZNS1_16scan_by_key_implILNS1_25lookback_scan_determinismE0ELb0ES3_N6thrust23THRUST_200600_302600_NS6detail15normal_iteratorINS9_10device_ptrIiEEEENSB_INSC_IjEEEESG_jNS9_4plusIvEENS9_8equal_toIvEEjEE10hipError_tPvRmT2_T3_T4_T5_mT6_T7_P12ihipStream_tbENKUlT_T0_E_clISt17integral_constantIbLb0EES10_IbLb1EEEEDaSW_SX_EUlSW_E_NS1_11comp_targetILNS1_3genE5ELNS1_11target_archE942ELNS1_3gpuE9ELNS1_3repE0EEENS1_30default_config_static_selectorELNS0_4arch9wavefront6targetE1EEEvT1_: ; @_ZN7rocprim17ROCPRIM_400000_NS6detail17trampoline_kernelINS0_14default_configENS1_27scan_by_key_config_selectorIijEEZZNS1_16scan_by_key_implILNS1_25lookback_scan_determinismE0ELb0ES3_N6thrust23THRUST_200600_302600_NS6detail15normal_iteratorINS9_10device_ptrIiEEEENSB_INSC_IjEEEESG_jNS9_4plusIvEENS9_8equal_toIvEEjEE10hipError_tPvRmT2_T3_T4_T5_mT6_T7_P12ihipStream_tbENKUlT_T0_E_clISt17integral_constantIbLb0EES10_IbLb1EEEEDaSW_SX_EUlSW_E_NS1_11comp_targetILNS1_3genE5ELNS1_11target_archE942ELNS1_3gpuE9ELNS1_3repE0EEENS1_30default_config_static_selectorELNS0_4arch9wavefront6targetE1EEEvT1_
; %bb.0:
	s_load_dwordx4 s[72:75], s[0:1], 0x28
	s_load_dwordx2 s[76:77], s[0:1], 0x38
	v_cmp_ne_u32_e64 s[4:5], 0, v0
	v_cmp_eq_u32_e64 s[54:55], 0, v0
	s_and_saveexec_b64 s[2:3], s[54:55]
	s_cbranch_execz .LBB1256_4
; %bb.1:
	s_mov_b64 s[8:9], exec
	v_mbcnt_lo_u32_b32 v1, s8, 0
	v_mbcnt_hi_u32_b32 v1, s9, v1
	v_cmp_eq_u32_e32 vcc, 0, v1
                                        ; implicit-def: $vgpr2
	s_and_saveexec_b64 s[6:7], vcc
	s_cbranch_execz .LBB1256_3
; %bb.2:
	s_load_dwordx2 s[10:11], s[0:1], 0x68
	s_bcnt1_i32_b64 s8, s[8:9]
	v_mov_b32_e32 v2, 0
	v_mov_b32_e32 v3, s8
	s_waitcnt lgkmcnt(0)
	global_atomic_add v2, v2, v3, s[10:11] sc0
.LBB1256_3:
	s_or_b64 exec, exec, s[6:7]
	s_waitcnt vmcnt(0)
	v_readfirstlane_b32 s6, v2
	v_mov_b32_e32 v2, 0
	s_nop 0
	v_add_u32_e32 v1, s6, v1
	ds_write_b32 v2, v1
.LBB1256_4:
	s_or_b64 exec, exec, s[2:3]
	s_load_dwordx8 s[56:63], s[0:1], 0x0
	s_load_dword s2, s[0:1], 0x40
	s_load_dwordx8 s[64:71], s[0:1], 0x48
	v_mov_b32_e32 v1, 0
	s_waitcnt lgkmcnt(0)
	s_barrier
	ds_read_b32 v1, v1
	s_lshl_b64 s[58:59], s[58:59], 2
	s_add_u32 s3, s56, s58
	s_addc_u32 s6, s57, s59
	s_add_u32 s7, s60, s58
	s_mul_i32 s0, s77, s2
	s_mul_hi_u32 s1, s76, s2
	s_addc_u32 s8, s61, s59
	s_add_i32 s9, s1, s0
	s_waitcnt lgkmcnt(0)
	v_readfirstlane_b32 s75, v1
	s_cmp_lg_u64 s[68:69], 0
	s_mov_b32 s1, 0
	s_mul_i32 s0, s75, 0x1700
	s_cselect_b64 s[78:79], -1, 0
	s_lshl_b64 s[56:57], s[0:1], 2
	s_add_u32 s68, s3, s56
	s_addc_u32 s69, s6, s57
	s_add_u32 s60, s7, s56
	s_mul_i32 s2, s76, s2
	s_addc_u32 s61, s8, s57
	s_add_u32 s80, s2, s75
	s_addc_u32 s81, s9, 0
	s_add_u32 s0, s64, -1
	s_addc_u32 s1, s65, -1
	v_mov_b64_e32 v[2:3], s[0:1]
	v_cmp_ge_u64_e64 s[2:3], s[80:81], v[2:3]
	s_mov_b64 s[10:11], 0
	s_mov_b64 s[6:7], -1
	s_and_b64 vcc, exec, s[2:3]
	s_mul_i32 s33, s0, 0xffffe900
	s_barrier
	s_barrier
	s_cbranch_vccz .LBB1256_126
; %bb.5:
	v_mov_b64_e32 v[2:3], s[68:69]
	flat_load_dword v1, v[2:3]
	s_add_i32 s84, s33, s74
	v_cmp_gt_u32_e64 s[6:7], s84, v0
	s_waitcnt vmcnt(0) lgkmcnt(0)
	v_mov_b32_e32 v4, v1
	s_and_saveexec_b64 s[0:1], s[6:7]
	s_cbranch_execz .LBB1256_7
; %bb.6:
	v_lshlrev_b32_e32 v2, 2, v0
	v_mov_b32_e32 v3, 0
	v_lshl_add_u64 v[2:3], s[68:69], 0, v[2:3]
	flat_load_dword v4, v[2:3]
.LBB1256_7:
	s_or_b64 exec, exec, s[0:1]
	v_or_b32_e32 v2, 0x100, v0
	v_cmp_gt_u32_e64 s[8:9], s84, v2
	v_mov_b32_e32 v5, v1
	s_and_saveexec_b64 s[0:1], s[8:9]
	s_cbranch_execz .LBB1256_9
; %bb.8:
	v_lshlrev_b32_e32 v2, 2, v0
	v_mov_b32_e32 v3, 0
	v_lshl_add_u64 v[2:3], s[68:69], 0, v[2:3]
	flat_load_dword v5, v[2:3] offset:1024
.LBB1256_9:
	s_or_b64 exec, exec, s[0:1]
	v_or_b32_e32 v2, 0x200, v0
	v_cmp_gt_u32_e64 s[10:11], s84, v2
	v_mov_b32_e32 v6, v1
	s_and_saveexec_b64 s[0:1], s[10:11]
	s_cbranch_execz .LBB1256_11
; %bb.10:
	v_lshlrev_b32_e32 v2, 2, v0
	v_mov_b32_e32 v3, 0
	v_lshl_add_u64 v[2:3], s[68:69], 0, v[2:3]
	flat_load_dword v6, v[2:3] offset:2048
.LBB1256_11:
	;; [unrolled: 12-line block ×3, first 2 shown]
	s_or_b64 exec, exec, s[0:1]
	v_or_b32_e32 v2, 0x400, v0
	v_cmp_gt_u32_e64 s[14:15], s84, v2
	v_lshlrev_b32_e32 v2, 2, v2
	v_mov_b32_e32 v3, v1
	s_and_saveexec_b64 s[0:1], s[14:15]
	s_cbranch_execz .LBB1256_15
; %bb.14:
	v_mov_b32_e32 v3, 0
	v_lshl_add_u64 v[8:9], s[68:69], 0, v[2:3]
	flat_load_dword v3, v[8:9]
.LBB1256_15:
	s_or_b64 exec, exec, s[0:1]
	v_or_b32_e32 v8, 0x500, v0
	v_cmp_gt_u32_e64 s[16:17], s84, v8
	v_lshlrev_b32_e32 v10, 2, v8
	v_mov_b32_e32 v8, v1
	s_and_saveexec_b64 s[0:1], s[16:17]
	s_cbranch_execz .LBB1256_17
; %bb.16:
	v_mov_b32_e32 v11, 0
	v_lshl_add_u64 v[8:9], s[68:69], 0, v[10:11]
	flat_load_dword v8, v[8:9]
.LBB1256_17:
	;; [unrolled: 12-line block ×18, first 2 shown]
	s_or_b64 exec, exec, s[0:1]
	v_or_b32_e32 v41, 0x1600, v0
	v_cmp_gt_u32_e64 s[52:53], s84, v41
	v_lshlrev_b32_e32 v46, 2, v41
	s_and_saveexec_b64 s[0:1], s[52:53]
	s_cbranch_execz .LBB1256_51
; %bb.50:
	v_mov_b32_e32 v47, 0
	v_lshl_add_u64 v[44:45], s[68:69], 0, v[46:47]
	flat_load_dword v1, v[44:45]
.LBB1256_51:
	s_or_b64 exec, exec, s[0:1]
	v_lshlrev_b32_e32 v44, 2, v0
	s_movk_i32 s0, 0x58
	s_waitcnt vmcnt(0) lgkmcnt(0)
	ds_write2st64_b32 v44, v4, v5 offset1:4
	ds_write2st64_b32 v44, v6, v7 offset0:8 offset1:12
	ds_write2st64_b32 v44, v3, v8 offset0:16 offset1:20
	;; [unrolled: 1-line block ×10, first 2 shown]
	ds_write_b32 v44, v1 offset:22528
	v_mad_u32_u24 v1, v0, s0, v44
	s_waitcnt lgkmcnt(0)
	s_barrier
	ds_read2_b32 v[68:69], v1 offset1:1
	ds_read2_b32 v[66:67], v1 offset0:2 offset1:3
	ds_read2_b32 v[64:65], v1 offset0:4 offset1:5
	ds_read2_b32 v[62:63], v1 offset0:6 offset1:7
	ds_read2_b32 v[60:61], v1 offset0:8 offset1:9
	ds_read2_b32 v[58:59], v1 offset0:10 offset1:11
	ds_read2_b32 v[56:57], v1 offset0:12 offset1:13
	ds_read2_b32 v[54:55], v1 offset0:14 offset1:15
	ds_read2_b32 v[8:9], v1 offset0:16 offset1:17
	ds_read2_b32 v[6:7], v1 offset0:18 offset1:19
	ds_read2_b32 v[4:5], v1 offset0:20 offset1:21
	ds_read_b32 v72, v1 offset:88
	s_cmp_eq_u64 s[80:81], 0
	s_mov_b64 s[0:1], s[68:69]
	s_cbranch_scc1 .LBB1256_55
; %bb.52:
	s_andn2_b64 vcc, exec, s[78:79]
	s_cbranch_vccnz .LBB1256_267
; %bb.53:
	s_lshl_b64 s[0:1], s[80:81], 2
	s_add_u32 s0, s70, s0
	s_addc_u32 s1, s71, s1
	s_add_u32 s0, s0, -4
	s_addc_u32 s1, s1, -1
	s_cbranch_execnz .LBB1256_55
.LBB1256_54:
	s_add_u32 s0, s68, -4
	s_addc_u32 s1, s69, -1
.LBB1256_55:
	v_mov_b64_e32 v[48:49], s[0:1]
	flat_load_dword v70, v[48:49]
	s_movk_i32 s0, 0xffa8
	v_mad_i32_i24 v3, v0, s0, v1
	s_waitcnt lgkmcnt(0)
	ds_write_b32 v3, v72 offset:23552
	s_waitcnt lgkmcnt(0)
	s_barrier
	s_and_saveexec_b64 s[0:1], s[4:5]
	s_cbranch_execz .LBB1256_57
; %bb.56:
	v_mul_i32_i24_e32 v3, 0xffffffa8, v0
	v_add_u32_e32 v3, v1, v3
	s_waitcnt vmcnt(0)
	ds_read_b32 v70, v3 offset:23548
.LBB1256_57:
	s_or_b64 exec, exec, s[0:1]
	v_mov_b32_e32 v45, 0
	s_waitcnt lgkmcnt(0)
	s_barrier
	s_waitcnt lgkmcnt(0)
                                        ; implicit-def: $vgpr48
	s_and_saveexec_b64 s[0:1], s[6:7]
	s_cbranch_execnz .LBB1256_243
; %bb.58:
	s_or_b64 exec, exec, s[0:1]
                                        ; implicit-def: $vgpr49
	s_and_saveexec_b64 s[0:1], s[8:9]
	s_cbranch_execnz .LBB1256_244
.LBB1256_59:
	s_or_b64 exec, exec, s[0:1]
                                        ; implicit-def: $vgpr50
	s_and_saveexec_b64 s[0:1], s[10:11]
	s_cbranch_execnz .LBB1256_245
.LBB1256_60:
	s_or_b64 exec, exec, s[0:1]
                                        ; implicit-def: $vgpr45
	s_and_saveexec_b64 s[0:1], s[12:13]
	s_cbranch_execnz .LBB1256_246
.LBB1256_61:
	s_or_b64 exec, exec, s[0:1]
                                        ; implicit-def: $vgpr3
	s_and_saveexec_b64 s[0:1], s[14:15]
	s_cbranch_execnz .LBB1256_247
.LBB1256_62:
	s_or_b64 exec, exec, s[0:1]
                                        ; implicit-def: $vgpr2
	s_and_saveexec_b64 s[0:1], s[16:17]
	s_cbranch_execnz .LBB1256_248
.LBB1256_63:
	s_or_b64 exec, exec, s[0:1]
                                        ; implicit-def: $vgpr10
	s_and_saveexec_b64 s[0:1], s[18:19]
	s_cbranch_execnz .LBB1256_249
.LBB1256_64:
	s_or_b64 exec, exec, s[0:1]
                                        ; implicit-def: $vgpr11
	s_and_saveexec_b64 s[0:1], s[20:21]
	s_cbranch_execnz .LBB1256_250
.LBB1256_65:
	s_or_b64 exec, exec, s[0:1]
                                        ; implicit-def: $vgpr12
	s_and_saveexec_b64 s[0:1], s[22:23]
	s_cbranch_execnz .LBB1256_251
.LBB1256_66:
	s_or_b64 exec, exec, s[0:1]
                                        ; implicit-def: $vgpr13
	s_and_saveexec_b64 s[0:1], s[24:25]
	s_cbranch_execnz .LBB1256_252
.LBB1256_67:
	s_or_b64 exec, exec, s[0:1]
                                        ; implicit-def: $vgpr14
	s_and_saveexec_b64 s[0:1], s[26:27]
	s_cbranch_execnz .LBB1256_253
.LBB1256_68:
	s_or_b64 exec, exec, s[0:1]
                                        ; implicit-def: $vgpr15
	s_and_saveexec_b64 s[0:1], s[28:29]
	s_cbranch_execnz .LBB1256_254
.LBB1256_69:
	s_or_b64 exec, exec, s[0:1]
                                        ; implicit-def: $vgpr16
	s_and_saveexec_b64 s[0:1], s[30:31]
	s_cbranch_execnz .LBB1256_255
.LBB1256_70:
	s_or_b64 exec, exec, s[0:1]
                                        ; implicit-def: $vgpr17
	s_and_saveexec_b64 s[0:1], s[34:35]
	s_cbranch_execnz .LBB1256_256
.LBB1256_71:
	s_or_b64 exec, exec, s[0:1]
                                        ; implicit-def: $vgpr18
	s_and_saveexec_b64 s[0:1], s[36:37]
	s_cbranch_execnz .LBB1256_257
.LBB1256_72:
	s_or_b64 exec, exec, s[0:1]
                                        ; implicit-def: $vgpr19
	s_and_saveexec_b64 s[0:1], s[38:39]
	s_cbranch_execnz .LBB1256_258
.LBB1256_73:
	s_or_b64 exec, exec, s[0:1]
                                        ; implicit-def: $vgpr20
	s_and_saveexec_b64 s[0:1], s[40:41]
	s_cbranch_execnz .LBB1256_259
.LBB1256_74:
	s_or_b64 exec, exec, s[0:1]
                                        ; implicit-def: $vgpr21
	s_and_saveexec_b64 s[0:1], s[42:43]
	s_cbranch_execnz .LBB1256_260
.LBB1256_75:
	s_or_b64 exec, exec, s[0:1]
                                        ; implicit-def: $vgpr22
	s_and_saveexec_b64 s[0:1], s[44:45]
	s_cbranch_execnz .LBB1256_261
.LBB1256_76:
	s_or_b64 exec, exec, s[0:1]
                                        ; implicit-def: $vgpr23
	s_and_saveexec_b64 s[0:1], s[46:47]
	s_cbranch_execnz .LBB1256_262
.LBB1256_77:
	s_or_b64 exec, exec, s[0:1]
                                        ; implicit-def: $vgpr24
	s_and_saveexec_b64 s[0:1], s[48:49]
	s_cbranch_execnz .LBB1256_263
.LBB1256_78:
	s_or_b64 exec, exec, s[0:1]
                                        ; implicit-def: $vgpr25
	s_and_saveexec_b64 s[0:1], s[50:51]
	s_cbranch_execnz .LBB1256_264
.LBB1256_79:
	s_or_b64 exec, exec, s[0:1]
                                        ; implicit-def: $vgpr26
	s_and_saveexec_b64 s[0:1], s[52:53]
	s_cbranch_execz .LBB1256_81
.LBB1256_80:
	v_mov_b32_e32 v47, 0
	v_lshl_add_u64 v[26:27], s[60:61], 0, v[46:47]
	flat_load_dword v26, v[26:27]
.LBB1256_81:
	s_or_b64 exec, exec, s[0:1]
	v_mul_u32_u24_e32 v73, 23, v0
	s_waitcnt vmcnt(0) lgkmcnt(0)
	ds_write2st64_b32 v44, v48, v49 offset1:4
	ds_write2st64_b32 v44, v50, v45 offset0:8 offset1:12
	ds_write2st64_b32 v44, v3, v2 offset0:16 offset1:20
	;; [unrolled: 1-line block ×10, first 2 shown]
	ds_write_b32 v44, v26 offset:22528
	v_mov_b64_e32 v[10:11], 0
	v_cmp_gt_u32_e32 vcc, s84, v73
	s_mov_b64 s[10:11], 0
	s_mov_b64 s[6:7], 0
	v_mov_b64_e32 v[12:13], v[10:11]
	v_mov_b64_e32 v[14:15], v[10:11]
	;; [unrolled: 1-line block ×21, first 2 shown]
	s_waitcnt lgkmcnt(0)
	s_barrier
	s_waitcnt lgkmcnt(0)
                                        ; implicit-def: $sgpr0_sgpr1
                                        ; implicit-def: $vgpr3
	s_and_saveexec_b64 s[8:9], vcc
	s_cbranch_execz .LBB1256_125
; %bb.82:
	ds_read_b32 v10, v1
	v_add_u32_e32 v2, 1, v73
	v_cmp_ne_u32_e32 vcc, v70, v68
	v_mov_b64_e32 v[12:13], 0
	s_mov_b64 s[12:13], 0
	v_cndmask_b32_e64 v11, 0, 1, vcc
	v_cmp_gt_u32_e32 vcc, s84, v2
	s_mov_b64 s[0:1], 0
	v_mov_b64_e32 v[14:15], v[12:13]
	v_mov_b64_e32 v[16:17], v[12:13]
	;; [unrolled: 1-line block ×20, first 2 shown]
                                        ; implicit-def: $sgpr14_sgpr15
                                        ; implicit-def: $vgpr3
	s_and_saveexec_b64 s[10:11], vcc
	s_cbranch_execz .LBB1256_124
; %bb.83:
	ds_read2_b32 v[70:71], v1 offset0:1 offset1:2
	v_add_u32_e32 v2, 2, v73
	v_cmp_ne_u32_e32 vcc, v68, v69
	v_mov_b64_e32 v[14:15], 0
	s_mov_b64 s[16:17], 0
	v_cndmask_b32_e64 v13, 0, 1, vcc
	v_cmp_gt_u32_e32 vcc, s84, v2
	s_waitcnt lgkmcnt(0)
	v_mov_b32_e32 v12, v70
	v_mov_b64_e32 v[16:17], v[14:15]
	v_mov_b64_e32 v[18:19], v[14:15]
	;; [unrolled: 1-line block ×19, first 2 shown]
                                        ; implicit-def: $sgpr14_sgpr15
                                        ; implicit-def: $vgpr3
	s_and_saveexec_b64 s[12:13], vcc
	s_cbranch_execz .LBB1256_123
; %bb.84:
	v_add_u32_e32 v2, 3, v73
	v_cmp_ne_u32_e32 vcc, v69, v66
	v_mov_b64_e32 v[16:17], 0
	v_mov_b32_e32 v14, v71
	v_cndmask_b32_e64 v15, 0, 1, vcc
	v_cmp_gt_u32_e32 vcc, s84, v2
	v_mov_b64_e32 v[18:19], v[16:17]
	v_mov_b64_e32 v[20:21], v[16:17]
	v_mov_b64_e32 v[22:23], v[16:17]
	v_mov_b64_e32 v[24:25], v[16:17]
	v_mov_b64_e32 v[26:27], v[16:17]
	v_mov_b64_e32 v[28:29], v[16:17]
	v_mov_b64_e32 v[30:31], v[16:17]
	v_mov_b64_e32 v[32:33], v[16:17]
	v_mov_b64_e32 v[34:35], v[16:17]
	v_mov_b64_e32 v[36:37], v[16:17]
	v_mov_b64_e32 v[38:39], v[16:17]
	v_mov_b64_e32 v[40:41], v[16:17]
	v_mov_b64_e32 v[42:43], v[16:17]
	v_mov_b64_e32 v[44:45], v[16:17]
	v_mov_b64_e32 v[46:47], v[16:17]
	v_mov_b64_e32 v[48:49], v[16:17]
	v_mov_b64_e32 v[50:51], v[16:17]
	v_mov_b64_e32 v[52:53], v[16:17]
                                        ; implicit-def: $sgpr18_sgpr19
                                        ; implicit-def: $vgpr3
	s_and_saveexec_b64 s[14:15], vcc
	s_cbranch_execz .LBB1256_122
; %bb.85:
	ds_read2_b32 v[68:69], v1 offset0:3 offset1:4
	v_add_u32_e32 v2, 4, v73
	v_cmp_ne_u32_e32 vcc, v66, v67
	v_mov_b64_e32 v[18:19], 0
	s_mov_b64 s[20:21], 0
	v_cndmask_b32_e64 v17, 0, 1, vcc
	v_cmp_gt_u32_e32 vcc, s84, v2
	s_waitcnt lgkmcnt(0)
	v_mov_b32_e32 v16, v68
	v_mov_b64_e32 v[20:21], v[18:19]
	v_mov_b64_e32 v[22:23], v[18:19]
	;; [unrolled: 1-line block ×17, first 2 shown]
                                        ; implicit-def: $sgpr18_sgpr19
                                        ; implicit-def: $vgpr3
	s_and_saveexec_b64 s[16:17], vcc
	s_cbranch_execz .LBB1256_121
; %bb.86:
	v_add_u32_e32 v2, 5, v73
	v_cmp_ne_u32_e32 vcc, v67, v64
	v_mov_b64_e32 v[20:21], 0
	v_mov_b32_e32 v18, v69
	v_cndmask_b32_e64 v19, 0, 1, vcc
	v_cmp_gt_u32_e32 vcc, s84, v2
	v_mov_b64_e32 v[22:23], v[20:21]
	v_mov_b64_e32 v[24:25], v[20:21]
	;; [unrolled: 1-line block ×16, first 2 shown]
                                        ; implicit-def: $sgpr22_sgpr23
                                        ; implicit-def: $vgpr3
	s_and_saveexec_b64 s[18:19], vcc
	s_cbranch_execz .LBB1256_120
; %bb.87:
	ds_read2_b32 v[66:67], v1 offset0:5 offset1:6
	v_add_u32_e32 v2, 6, v73
	v_cmp_ne_u32_e32 vcc, v64, v65
	v_mov_b64_e32 v[22:23], 0
	s_mov_b64 s[24:25], 0
	v_cndmask_b32_e64 v21, 0, 1, vcc
	v_cmp_gt_u32_e32 vcc, s84, v2
	s_waitcnt lgkmcnt(0)
	v_mov_b32_e32 v20, v66
	v_mov_b64_e32 v[24:25], v[22:23]
	v_mov_b64_e32 v[26:27], v[22:23]
	;; [unrolled: 1-line block ×15, first 2 shown]
                                        ; implicit-def: $sgpr22_sgpr23
                                        ; implicit-def: $vgpr3
	s_and_saveexec_b64 s[20:21], vcc
	s_cbranch_execz .LBB1256_119
; %bb.88:
	v_add_u32_e32 v2, 7, v73
	v_cmp_ne_u32_e32 vcc, v65, v62
	v_mov_b64_e32 v[24:25], 0
	v_mov_b32_e32 v22, v67
	v_cndmask_b32_e64 v23, 0, 1, vcc
	v_cmp_gt_u32_e32 vcc, s84, v2
	v_mov_b64_e32 v[26:27], v[24:25]
	v_mov_b64_e32 v[28:29], v[24:25]
	;; [unrolled: 1-line block ×14, first 2 shown]
                                        ; implicit-def: $sgpr26_sgpr27
                                        ; implicit-def: $vgpr3
	s_and_saveexec_b64 s[22:23], vcc
	s_cbranch_execz .LBB1256_118
; %bb.89:
	ds_read2_b32 v[64:65], v1 offset0:7 offset1:8
	v_add_u32_e32 v2, 8, v73
	v_cmp_ne_u32_e32 vcc, v62, v63
	v_mov_b64_e32 v[26:27], 0
	s_mov_b64 s[28:29], 0
	v_cndmask_b32_e64 v25, 0, 1, vcc
	v_cmp_gt_u32_e32 vcc, s84, v2
	s_waitcnt lgkmcnt(0)
	v_mov_b32_e32 v24, v64
	v_mov_b64_e32 v[28:29], v[26:27]
	v_mov_b64_e32 v[30:31], v[26:27]
	;; [unrolled: 1-line block ×13, first 2 shown]
                                        ; implicit-def: $sgpr26_sgpr27
                                        ; implicit-def: $vgpr3
	s_and_saveexec_b64 s[24:25], vcc
	s_cbranch_execz .LBB1256_117
; %bb.90:
	v_add_u32_e32 v2, 9, v73
	v_cmp_ne_u32_e32 vcc, v63, v60
	v_mov_b64_e32 v[28:29], 0
	v_mov_b32_e32 v26, v65
	v_cndmask_b32_e64 v27, 0, 1, vcc
	v_cmp_gt_u32_e32 vcc, s84, v2
	v_mov_b64_e32 v[30:31], v[28:29]
	v_mov_b64_e32 v[32:33], v[28:29]
	;; [unrolled: 1-line block ×12, first 2 shown]
                                        ; implicit-def: $sgpr30_sgpr31
                                        ; implicit-def: $vgpr3
	s_and_saveexec_b64 s[26:27], vcc
	s_cbranch_execz .LBB1256_116
; %bb.91:
	ds_read2_b32 v[62:63], v1 offset0:9 offset1:10
	v_add_u32_e32 v2, 10, v73
	v_cmp_ne_u32_e32 vcc, v60, v61
	v_mov_b64_e32 v[30:31], 0
	s_mov_b64 s[34:35], 0
	v_cndmask_b32_e64 v29, 0, 1, vcc
	v_cmp_gt_u32_e32 vcc, s84, v2
	s_waitcnt lgkmcnt(0)
	v_mov_b32_e32 v28, v62
	v_mov_b64_e32 v[32:33], v[30:31]
	v_mov_b64_e32 v[34:35], v[30:31]
	;; [unrolled: 1-line block ×11, first 2 shown]
                                        ; implicit-def: $sgpr30_sgpr31
                                        ; implicit-def: $vgpr3
	s_and_saveexec_b64 s[28:29], vcc
	s_cbranch_execz .LBB1256_115
; %bb.92:
	v_add_u32_e32 v2, 11, v73
	v_cmp_ne_u32_e32 vcc, v61, v58
	v_mov_b64_e32 v[32:33], 0
	v_mov_b32_e32 v30, v63
	v_cndmask_b32_e64 v31, 0, 1, vcc
	v_cmp_gt_u32_e32 vcc, s84, v2
	v_mov_b64_e32 v[34:35], v[32:33]
	v_mov_b64_e32 v[36:37], v[32:33]
	;; [unrolled: 1-line block ×10, first 2 shown]
                                        ; implicit-def: $sgpr36_sgpr37
                                        ; implicit-def: $vgpr3
	s_and_saveexec_b64 s[30:31], vcc
	s_cbranch_execz .LBB1256_114
; %bb.93:
	ds_read2_b32 v[60:61], v1 offset0:11 offset1:12
	v_add_u32_e32 v2, 12, v73
	v_cmp_ne_u32_e32 vcc, v58, v59
	v_mov_b64_e32 v[34:35], 0
	s_mov_b64 s[38:39], 0
	v_cndmask_b32_e64 v33, 0, 1, vcc
	v_cmp_gt_u32_e32 vcc, s84, v2
	s_waitcnt lgkmcnt(0)
	v_mov_b32_e32 v32, v60
	v_mov_b64_e32 v[36:37], v[34:35]
	v_mov_b64_e32 v[38:39], v[34:35]
	;; [unrolled: 1-line block ×9, first 2 shown]
                                        ; implicit-def: $sgpr36_sgpr37
                                        ; implicit-def: $vgpr3
	s_and_saveexec_b64 s[34:35], vcc
	s_cbranch_execz .LBB1256_113
; %bb.94:
	v_add_u32_e32 v2, 13, v73
	v_cmp_ne_u32_e32 vcc, v59, v56
	v_mov_b64_e32 v[36:37], 0
	v_mov_b32_e32 v34, v61
	v_cndmask_b32_e64 v35, 0, 1, vcc
	v_cmp_gt_u32_e32 vcc, s84, v2
	v_mov_b64_e32 v[38:39], v[36:37]
	v_mov_b64_e32 v[40:41], v[36:37]
	;; [unrolled: 1-line block ×8, first 2 shown]
                                        ; implicit-def: $sgpr40_sgpr41
                                        ; implicit-def: $vgpr3
	s_and_saveexec_b64 s[36:37], vcc
	s_cbranch_execz .LBB1256_112
; %bb.95:
	ds_read2_b32 v[58:59], v1 offset0:13 offset1:14
	v_add_u32_e32 v2, 14, v73
	v_cmp_ne_u32_e32 vcc, v56, v57
	v_mov_b64_e32 v[38:39], 0
	s_mov_b64 s[42:43], 0
	v_cndmask_b32_e64 v37, 0, 1, vcc
	v_cmp_gt_u32_e32 vcc, s84, v2
	s_waitcnt lgkmcnt(0)
	v_mov_b32_e32 v36, v58
	v_mov_b64_e32 v[40:41], v[38:39]
	v_mov_b64_e32 v[42:43], v[38:39]
	;; [unrolled: 1-line block ×7, first 2 shown]
                                        ; implicit-def: $sgpr40_sgpr41
                                        ; implicit-def: $vgpr3
	s_and_saveexec_b64 s[38:39], vcc
	s_cbranch_execz .LBB1256_111
; %bb.96:
	v_add_u32_e32 v2, 15, v73
	v_cmp_ne_u32_e32 vcc, v57, v54
	v_mov_b64_e32 v[40:41], 0
	v_mov_b32_e32 v38, v59
	v_cndmask_b32_e64 v39, 0, 1, vcc
	v_cmp_gt_u32_e32 vcc, s84, v2
	v_mov_b64_e32 v[42:43], v[40:41]
	v_mov_b64_e32 v[44:45], v[40:41]
	;; [unrolled: 1-line block ×6, first 2 shown]
                                        ; implicit-def: $sgpr44_sgpr45
                                        ; implicit-def: $vgpr3
	s_and_saveexec_b64 s[40:41], vcc
	s_cbranch_execz .LBB1256_110
; %bb.97:
	ds_read2_b32 v[56:57], v1 offset0:15 offset1:16
	v_add_u32_e32 v2, 16, v73
	v_cmp_ne_u32_e32 vcc, v54, v55
	v_mov_b64_e32 v[42:43], 0
	s_mov_b64 s[46:47], 0
	v_cndmask_b32_e64 v41, 0, 1, vcc
	v_cmp_gt_u32_e32 vcc, s84, v2
	s_waitcnt lgkmcnt(0)
	v_mov_b32_e32 v40, v56
	v_mov_b64_e32 v[44:45], v[42:43]
	v_mov_b64_e32 v[46:47], v[42:43]
	;; [unrolled: 1-line block ×5, first 2 shown]
                                        ; implicit-def: $sgpr44_sgpr45
                                        ; implicit-def: $vgpr3
	s_and_saveexec_b64 s[42:43], vcc
	s_cbranch_execz .LBB1256_109
; %bb.98:
	v_add_u32_e32 v2, 17, v73
	v_cmp_ne_u32_e32 vcc, v55, v8
	v_mov_b64_e32 v[44:45], 0
	v_mov_b32_e32 v42, v57
	v_cndmask_b32_e64 v43, 0, 1, vcc
	v_cmp_gt_u32_e32 vcc, s84, v2
	v_mov_b64_e32 v[46:47], v[44:45]
	v_mov_b64_e32 v[48:49], v[44:45]
	;; [unrolled: 1-line block ×4, first 2 shown]
                                        ; implicit-def: $sgpr48_sgpr49
                                        ; implicit-def: $vgpr3
	s_and_saveexec_b64 s[44:45], vcc
	s_cbranch_execz .LBB1256_108
; %bb.99:
	ds_read2_b32 v[54:55], v1 offset0:17 offset1:18
	v_add_u32_e32 v2, 18, v73
	v_cmp_ne_u32_e32 vcc, v8, v9
	v_mov_b64_e32 v[46:47], 0
	s_mov_b64 s[50:51], 0
	v_cndmask_b32_e64 v45, 0, 1, vcc
	v_cmp_gt_u32_e32 vcc, s84, v2
	s_waitcnt lgkmcnt(0)
	v_mov_b32_e32 v44, v54
	v_mov_b64_e32 v[48:49], v[46:47]
	v_mov_b64_e32 v[50:51], v[46:47]
	;; [unrolled: 1-line block ×3, first 2 shown]
                                        ; implicit-def: $sgpr48_sgpr49
                                        ; implicit-def: $vgpr3
	s_and_saveexec_b64 s[46:47], vcc
	s_cbranch_execz .LBB1256_107
; %bb.100:
	v_add_u32_e32 v2, 19, v73
	v_cmp_ne_u32_e32 vcc, v9, v6
	v_mov_b64_e32 v[48:49], 0
	v_mov_b32_e32 v46, v55
	v_cndmask_b32_e64 v47, 0, 1, vcc
	v_cmp_gt_u32_e32 vcc, s84, v2
	v_mov_b64_e32 v[50:51], v[48:49]
	v_mov_b64_e32 v[52:53], v[48:49]
                                        ; implicit-def: $sgpr52_sgpr53
                                        ; implicit-def: $vgpr3
	s_and_saveexec_b64 s[48:49], vcc
	s_cbranch_execz .LBB1256_106
; %bb.101:
	ds_read2_b32 v[8:9], v1 offset0:19 offset1:20
	v_add_u32_e32 v2, 20, v73
	v_cmp_ne_u32_e32 vcc, v6, v7
	v_mov_b64_e32 v[50:51], 0
	s_mov_b64 s[52:53], 0
	v_cndmask_b32_e64 v49, 0, 1, vcc
	v_cmp_gt_u32_e32 vcc, s84, v2
	s_waitcnt lgkmcnt(0)
	v_mov_b32_e32 v48, v8
	v_mov_b64_e32 v[52:53], v[50:51]
                                        ; implicit-def: $sgpr64_sgpr65
                                        ; implicit-def: $vgpr3
	s_and_saveexec_b64 s[50:51], vcc
	s_cbranch_execz .LBB1256_105
; %bb.102:
	v_add_u32_e32 v2, 21, v73
	v_cmp_ne_u32_e32 vcc, v7, v4
	v_mov_b32_e32 v50, v9
	v_mov_b64_e32 v[52:53], 0
	v_cndmask_b32_e64 v51, 0, 1, vcc
	v_cmp_gt_u32_e32 vcc, s84, v2
                                        ; implicit-def: $sgpr64_sgpr65
                                        ; implicit-def: $vgpr3
	s_and_saveexec_b64 s[0:1], vcc
	s_xor_b64 s[82:83], exec, s[0:1]
	s_cbranch_execz .LBB1256_104
; %bb.103:
	ds_read2_b32 v[2:3], v1 offset0:21 offset1:22
	v_add_u32_e32 v1, 22, v73
	v_cmp_ne_u32_e64 s[0:1], v4, v5
	v_cmp_ne_u32_e32 vcc, v5, v72
	s_and_b64 s[64:65], vcc, exec
	v_cndmask_b32_e64 v53, 0, 1, s[0:1]
	v_cmp_gt_u32_e64 s[0:1], s84, v1
	s_waitcnt lgkmcnt(0)
	v_mov_b32_e32 v52, v2
	s_and_b64 s[52:53], s[0:1], exec
.LBB1256_104:
	s_or_b64 exec, exec, s[82:83]
	s_and_b64 s[64:65], s[64:65], exec
	s_and_b64 s[0:1], s[52:53], exec
.LBB1256_105:
	s_or_b64 exec, exec, s[50:51]
	s_and_b64 s[52:53], s[64:65], exec
	s_and_b64 s[50:51], s[0:1], exec
.LBB1256_106:
	s_or_b64 exec, exec, s[48:49]
	s_and_b64 s[48:49], s[52:53], exec
	s_and_b64 s[0:1], s[50:51], exec
.LBB1256_107:
	s_or_b64 exec, exec, s[46:47]
	s_and_b64 s[48:49], s[48:49], exec
	s_and_b64 s[46:47], s[0:1], exec
.LBB1256_108:
	s_or_b64 exec, exec, s[44:45]
	s_and_b64 s[44:45], s[48:49], exec
	s_and_b64 s[0:1], s[46:47], exec
.LBB1256_109:
	s_or_b64 exec, exec, s[42:43]
	s_and_b64 s[44:45], s[44:45], exec
	s_and_b64 s[42:43], s[0:1], exec
.LBB1256_110:
	s_or_b64 exec, exec, s[40:41]
	s_and_b64 s[40:41], s[44:45], exec
	s_and_b64 s[0:1], s[42:43], exec
.LBB1256_111:
	s_or_b64 exec, exec, s[38:39]
	s_and_b64 s[40:41], s[40:41], exec
	s_and_b64 s[38:39], s[0:1], exec
.LBB1256_112:
	s_or_b64 exec, exec, s[36:37]
	s_and_b64 s[36:37], s[40:41], exec
	s_and_b64 s[0:1], s[38:39], exec
.LBB1256_113:
	s_or_b64 exec, exec, s[34:35]
	s_and_b64 s[36:37], s[36:37], exec
	s_and_b64 s[34:35], s[0:1], exec
.LBB1256_114:
	s_or_b64 exec, exec, s[30:31]
	s_and_b64 s[30:31], s[36:37], exec
	s_and_b64 s[0:1], s[34:35], exec
.LBB1256_115:
	s_or_b64 exec, exec, s[28:29]
	s_and_b64 s[30:31], s[30:31], exec
	s_and_b64 s[28:29], s[0:1], exec
.LBB1256_116:
	s_or_b64 exec, exec, s[26:27]
	s_and_b64 s[26:27], s[30:31], exec
	s_and_b64 s[0:1], s[28:29], exec
.LBB1256_117:
	s_or_b64 exec, exec, s[24:25]
	s_and_b64 s[26:27], s[26:27], exec
	s_and_b64 s[24:25], s[0:1], exec
.LBB1256_118:
	s_or_b64 exec, exec, s[22:23]
	s_and_b64 s[22:23], s[26:27], exec
	s_and_b64 s[0:1], s[24:25], exec
.LBB1256_119:
	s_or_b64 exec, exec, s[20:21]
	s_and_b64 s[22:23], s[22:23], exec
	s_and_b64 s[20:21], s[0:1], exec
.LBB1256_120:
	s_or_b64 exec, exec, s[18:19]
	s_and_b64 s[18:19], s[22:23], exec
	s_and_b64 s[0:1], s[20:21], exec
.LBB1256_121:
	s_or_b64 exec, exec, s[16:17]
	s_and_b64 s[18:19], s[18:19], exec
	s_and_b64 s[16:17], s[0:1], exec
.LBB1256_122:
	s_or_b64 exec, exec, s[14:15]
	s_and_b64 s[14:15], s[18:19], exec
	s_and_b64 s[0:1], s[16:17], exec
.LBB1256_123:
	s_or_b64 exec, exec, s[12:13]
	s_and_b64 s[14:15], s[14:15], exec
	s_and_b64 s[12:13], s[0:1], exec
.LBB1256_124:
	s_or_b64 exec, exec, s[10:11]
	s_and_b64 s[0:1], s[14:15], exec
	s_and_b64 s[10:11], s[12:13], exec
.LBB1256_125:
	s_or_b64 exec, exec, s[8:9]
	s_mov_b64 s[8:9], 0
	s_and_b64 vcc, exec, s[6:7]
	v_lshlrev_b32_e32 v54, 2, v0
	s_cbranch_vccnz .LBB1256_127
	s_branch .LBB1256_135
.LBB1256_126:
                                        ; implicit-def: $sgpr0_sgpr1
                                        ; implicit-def: $vgpr3
                                        ; implicit-def: $vgpr10_vgpr11
                                        ; implicit-def: $vgpr12_vgpr13
                                        ; implicit-def: $vgpr14_vgpr15
                                        ; implicit-def: $vgpr16_vgpr17
                                        ; implicit-def: $vgpr18_vgpr19
                                        ; implicit-def: $vgpr20_vgpr21
                                        ; implicit-def: $vgpr22_vgpr23
                                        ; implicit-def: $vgpr24_vgpr25
                                        ; implicit-def: $vgpr26_vgpr27
                                        ; implicit-def: $vgpr28_vgpr29
                                        ; implicit-def: $vgpr30_vgpr31
                                        ; implicit-def: $vgpr32_vgpr33
                                        ; implicit-def: $vgpr34_vgpr35
                                        ; implicit-def: $vgpr36_vgpr37
                                        ; implicit-def: $vgpr38_vgpr39
                                        ; implicit-def: $vgpr40_vgpr41
                                        ; implicit-def: $vgpr42_vgpr43
                                        ; implicit-def: $vgpr44_vgpr45
                                        ; implicit-def: $vgpr46_vgpr47
                                        ; implicit-def: $vgpr48_vgpr49
                                        ; implicit-def: $vgpr50_vgpr51
                                        ; implicit-def: $vgpr52_vgpr53
                                        ; implicit-def: $sgpr8_sgpr9
	s_and_b64 vcc, exec, s[6:7]
	v_lshlrev_b32_e32 v54, 2, v0
	s_cbranch_vccz .LBB1256_135
.LBB1256_127:
	v_mov_b32_e32 v55, 0
	v_lshl_add_u64 v[2:3], s[68:69], 0, v[54:55]
	v_add_co_u32_e32 v4, vcc, 0x1000, v2
	s_movk_i32 s0, 0x58
	s_nop 0
	v_addc_co_u32_e32 v5, vcc, 0, v3, vcc
	flat_load_dword v8, v[2:3]
	flat_load_dword v9, v[2:3] offset:1024
	s_waitcnt lgkmcnt(0)
	flat_load_dword v10, v[2:3] offset:2048
	flat_load_dword v11, v[2:3] offset:3072
	flat_load_dword v12, v[4:5]
	flat_load_dword v13, v[4:5] offset:1024
	flat_load_dword v14, v[4:5] offset:2048
	;; [unrolled: 1-line block ×3, first 2 shown]
	v_add_co_u32_e32 v4, vcc, 0x2000, v2
	v_mad_u32_u24 v1, v0, s0, v54
	s_nop 0
	v_addc_co_u32_e32 v5, vcc, 0, v3, vcc
	v_add_co_u32_e32 v6, vcc, 0x3000, v2
	s_cmp_eq_u64 s[80:81], 0
	s_nop 0
	v_addc_co_u32_e32 v7, vcc, 0, v3, vcc
	flat_load_dword v16, v[4:5]
	flat_load_dword v17, v[4:5] offset:1024
	flat_load_dword v18, v[4:5] offset:2048
	flat_load_dword v19, v[4:5] offset:3072
	flat_load_dword v20, v[6:7]
	flat_load_dword v21, v[6:7] offset:1024
	flat_load_dword v22, v[6:7] offset:2048
	;; [unrolled: 1-line block ×3, first 2 shown]
	v_add_co_u32_e32 v4, vcc, 0x4000, v2
	s_nop 1
	v_addc_co_u32_e32 v5, vcc, 0, v3, vcc
	v_add_co_u32_e32 v2, vcc, 0x5000, v2
	s_nop 1
	v_addc_co_u32_e32 v3, vcc, 0, v3, vcc
	flat_load_dword v6, v[4:5]
	flat_load_dword v7, v[4:5] offset:1024
	flat_load_dword v24, v[4:5] offset:2048
	;; [unrolled: 1-line block ×3, first 2 shown]
	flat_load_dword v26, v[2:3]
	flat_load_dword v27, v[2:3] offset:1024
	flat_load_dword v28, v[2:3] offset:2048
	s_waitcnt vmcnt(0)
	ds_write2st64_b32 v54, v8, v9 offset1:4
	s_waitcnt lgkmcnt(0)
	ds_write2st64_b32 v54, v10, v11 offset0:8 offset1:12
	ds_write2st64_b32 v54, v12, v13 offset0:16 offset1:20
	;; [unrolled: 1-line block ×10, first 2 shown]
	ds_write_b32 v54, v28 offset:22528
	s_waitcnt lgkmcnt(0)
	s_barrier
	ds_read2_b32 v[2:3], v1 offset1:1
	ds_read2_b32 v[18:19], v1 offset0:2 offset1:3
	ds_read2_b32 v[22:23], v1 offset0:4 offset1:5
	ds_read2_b32 v[26:27], v1 offset0:6 offset1:7
	ds_read2_b32 v[30:31], v1 offset0:8 offset1:9
	ds_read2_b32 v[34:35], v1 offset0:10 offset1:11
	ds_read2_b32 v[38:39], v1 offset0:12 offset1:13
	ds_read2_b32 v[42:43], v1 offset0:14 offset1:15
	ds_read2_b32 v[8:9], v1 offset0:16 offset1:17
	ds_read2_b32 v[6:7], v1 offset0:18 offset1:19
	ds_read2_b32 v[4:5], v1 offset0:20 offset1:21
	ds_read_b32 v10, v1 offset:88
	s_cbranch_scc1 .LBB1256_132
; %bb.128:
	s_andn2_b64 vcc, exec, s[78:79]
	s_cbranch_vccnz .LBB1256_268
; %bb.129:
	s_lshl_b64 s[0:1], s[80:81], 2
	s_add_u32 s0, s70, s0
	s_addc_u32 s1, s71, s1
	s_add_u32 s0, s0, -4
	s_addc_u32 s1, s1, -1
	s_cbranch_execnz .LBB1256_131
.LBB1256_130:
	s_add_u32 s0, s68, -4
	s_addc_u32 s1, s69, -1
.LBB1256_131:
	s_mov_b64 s[68:69], s[0:1]
.LBB1256_132:
	v_mov_b64_e32 v[12:13], s[68:69]
	flat_load_dword v11, v[12:13]
	s_movk_i32 s0, 0xffa8
	v_mad_i32_i24 v12, v0, s0, v1
	s_waitcnt lgkmcnt(0)
	ds_write_b32 v12, v10 offset:23552
	s_waitcnt lgkmcnt(0)
	s_barrier
	s_and_saveexec_b64 s[0:1], s[4:5]
	s_cbranch_execz .LBB1256_134
; %bb.133:
	s_waitcnt vmcnt(0)
	v_mul_i32_i24_e32 v11, 0xffffffa8, v0
	v_add_u32_e32 v11, v1, v11
	ds_read_b32 v11, v11 offset:23548
.LBB1256_134:
	s_or_b64 exec, exec, s[0:1]
	v_mov_b32_e32 v55, 0
	v_lshl_add_u64 v[12:13], s[60:61], 0, v[54:55]
	s_movk_i32 s0, 0x1000
	v_add_co_u32_e32 v14, vcc, s0, v12
	s_movk_i32 s0, 0x2000
	s_nop 0
	v_addc_co_u32_e32 v15, vcc, 0, v13, vcc
	s_waitcnt lgkmcnt(0)
	s_barrier
	flat_load_dword v20, v[12:13]
	flat_load_dword v21, v[12:13] offset:1024
	flat_load_dword v24, v[12:13] offset:2048
	;; [unrolled: 1-line block ×3, first 2 shown]
	flat_load_dword v28, v[14:15]
	flat_load_dword v29, v[14:15] offset:1024
	flat_load_dword v32, v[14:15] offset:2048
	;; [unrolled: 1-line block ×3, first 2 shown]
	v_add_co_u32_e32 v14, vcc, s0, v12
	s_movk_i32 s0, 0x3000
	s_nop 0
	v_addc_co_u32_e32 v15, vcc, 0, v13, vcc
	v_add_co_u32_e32 v16, vcc, s0, v12
	s_movk_i32 s0, 0x4000
	s_nop 0
	v_addc_co_u32_e32 v17, vcc, 0, v13, vcc
	flat_load_dword v36, v[14:15]
	flat_load_dword v37, v[14:15] offset:1024
	flat_load_dword v40, v[14:15] offset:2048
	flat_load_dword v41, v[14:15] offset:3072
	flat_load_dword v44, v[16:17]
	flat_load_dword v45, v[16:17] offset:1024
	flat_load_dword v46, v[16:17] offset:2048
	;; [unrolled: 1-line block ×3, first 2 shown]
	v_add_co_u32_e32 v14, vcc, s0, v12
	s_movk_i32 s0, 0x5000
	s_nop 0
	v_addc_co_u32_e32 v15, vcc, 0, v13, vcc
	v_add_co_u32_e32 v12, vcc, s0, v12
	v_cmp_ne_u32_e64 s[0:1], v5, v10
	s_nop 0
	v_addc_co_u32_e32 v13, vcc, 0, v13, vcc
	flat_load_dword v16, v[14:15]
	flat_load_dword v17, v[14:15] offset:1024
	flat_load_dword v48, v[14:15] offset:2048
	;; [unrolled: 1-line block ×3, first 2 shown]
	flat_load_dword v50, v[12:13]
	flat_load_dword v51, v[12:13] offset:1024
	flat_load_dword v52, v[12:13] offset:2048
	s_waitcnt vmcnt(0)
	v_cmp_ne_u32_e32 vcc, v11, v2
	s_mov_b64 s[10:11], -1
                                        ; implicit-def: $sgpr8_sgpr9
	s_waitcnt lgkmcnt(0)
	ds_write2st64_b32 v54, v20, v21 offset1:4
	ds_write2st64_b32 v54, v24, v25 offset0:8 offset1:12
	ds_write2st64_b32 v54, v28, v29 offset0:16 offset1:20
	ds_write2st64_b32 v54, v32, v33 offset0:24 offset1:28
	ds_write2st64_b32 v54, v36, v37 offset0:32 offset1:36
	ds_write2st64_b32 v54, v40, v41 offset0:40 offset1:44
	ds_write2st64_b32 v54, v44, v45 offset0:48 offset1:52
	ds_write2st64_b32 v54, v46, v47 offset0:56 offset1:60
	ds_write2st64_b32 v54, v16, v17 offset0:64 offset1:68
	ds_write2st64_b32 v54, v48, v49 offset0:72 offset1:76
	ds_write2st64_b32 v54, v50, v51 offset0:80 offset1:84
	ds_write_b32 v54, v52 offset:22528
	v_cndmask_b32_e64 v11, 0, 1, vcc
	v_cmp_ne_u32_e32 vcc, v2, v3
	s_waitcnt lgkmcnt(0)
	s_barrier
	v_cndmask_b32_e64 v13, 0, 1, vcc
	v_cmp_ne_u32_e32 vcc, v3, v18
	ds_read2_b32 v[16:17], v1 offset1:1
	ds_read2_b32 v[20:21], v1 offset0:2 offset1:3
	ds_read2_b32 v[24:25], v1 offset0:4 offset1:5
	;; [unrolled: 1-line block ×10, first 2 shown]
	ds_read_b32 v3, v1 offset:88
	v_cndmask_b32_e64 v15, 0, 1, vcc
	v_cmp_ne_u32_e32 vcc, v18, v19
	s_waitcnt lgkmcnt(11)
	v_mov_b32_e32 v12, v17
	v_mov_b32_e32 v10, v16
	v_cndmask_b32_e64 v17, 0, 1, vcc
	v_cmp_ne_u32_e32 vcc, v19, v22
	s_waitcnt lgkmcnt(10)
	v_mov_b32_e32 v16, v21
	v_mov_b32_e32 v14, v20
	;; [unrolled: 5-line block ×5, first 2 shown]
	v_cndmask_b32_e64 v25, 0, 1, vcc
	v_cmp_ne_u32_e32 vcc, v27, v30
	s_waitcnt lgkmcnt(6)
	v_mov_b32_e32 v32, v37
	s_waitcnt lgkmcnt(2)
	v_mov_b32_e32 v48, v51
	v_cndmask_b32_e64 v27, 0, 1, vcc
	v_cmp_ne_u32_e32 vcc, v30, v31
	v_mov_b32_e32 v30, v36
	v_mov_b32_e32 v36, v41
	v_cndmask_b32_e64 v29, 0, 1, vcc
	v_cmp_ne_u32_e32 vcc, v31, v34
	s_waitcnt lgkmcnt(1)
	v_mov_b32_e32 v52, v57
	v_cndmask_b32_e64 v31, 0, 1, vcc
	v_cmp_ne_u32_e32 vcc, v34, v35
	v_mov_b32_e32 v34, v40
	v_mov_b32_e32 v40, v45
	v_cndmask_b32_e64 v33, 0, 1, vcc
	v_cmp_ne_u32_e32 vcc, v35, v38
	s_nop 1
	v_cndmask_b32_e64 v35, 0, 1, vcc
	v_cmp_ne_u32_e32 vcc, v38, v39
	v_mov_b32_e32 v38, v44
	v_mov_b32_e32 v44, v47
	v_cndmask_b32_e64 v37, 0, 1, vcc
	v_cmp_ne_u32_e32 vcc, v39, v42
	s_nop 1
	v_cndmask_b32_e64 v39, 0, 1, vcc
	v_cmp_ne_u32_e32 vcc, v42, v43
	v_mov_b32_e32 v42, v46
	v_mov_b32_e32 v46, v50
	v_cndmask_b32_e64 v41, 0, 1, vcc
	v_cmp_ne_u32_e32 vcc, v43, v8
	v_mov_b32_e32 v50, v56
	s_nop 0
	v_cndmask_b32_e64 v43, 0, 1, vcc
	v_cmp_ne_u32_e32 vcc, v8, v9
	s_nop 1
	v_cndmask_b32_e64 v45, 0, 1, vcc
	v_cmp_ne_u32_e32 vcc, v9, v6
	;; [unrolled: 3-line block ×5, first 2 shown]
	s_nop 1
	v_cndmask_b32_e64 v53, 0, 1, vcc
.LBB1256_135:
	v_mov_b64_e32 v[56:57], s[8:9]
	s_and_saveexec_b64 s[6:7], s[10:11]
	s_cbranch_execz .LBB1256_137
; %bb.136:
	v_cndmask_b32_e64 v57, 0, 1, s[0:1]
	s_waitcnt lgkmcnt(0)
	v_mov_b32_e32 v56, v3
.LBB1256_137:
	s_or_b64 exec, exec, s[6:7]
	s_mov_b32 s0, 0
	s_cmp_lg_u32 s75, 0
	v_or_b32_e32 v55, v57, v53
	v_lshrrev_b32_e32 v1, 5, v0
	v_cmp_gt_u32_e32 vcc, 64, v0
	s_waitcnt lgkmcnt(0)
	s_barrier
	s_cbranch_scc0 .LBB1256_172
; %bb.138:
	s_mov_b32 s1, 1
	v_cmp_gt_u64_e64 s[6:7], s[0:1], v[12:13]
	v_cmp_gt_u64_e64 s[8:9], s[0:1], v[14:15]
	v_cmp_gt_u64_e64 s[10:11], s[0:1], v[16:17]
	v_cndmask_b32_e64 v2, 0, v10, s[6:7]
	v_add_u32_e32 v2, v2, v12
	v_cndmask_b32_e64 v2, 0, v2, s[8:9]
	v_add_u32_e32 v2, v2, v14
	v_cndmask_b32_e64 v2, 0, v2, s[10:11]
	v_add_u32_e32 v2, v2, v16
	v_cmp_gt_u64_e64 s[12:13], s[0:1], v[18:19]
	v_cmp_gt_u64_e64 s[14:15], s[0:1], v[20:21]
	v_cmp_gt_u64_e64 s[16:17], s[0:1], v[22:23]
	v_cndmask_b32_e64 v2, 0, v2, s[12:13]
	v_add_u32_e32 v2, v2, v18
	v_cndmask_b32_e64 v2, 0, v2, s[14:15]
	v_add_u32_e32 v2, v2, v20
	v_cndmask_b32_e64 v2, 0, v2, s[16:17]
	v_add_u32_e32 v2, v2, v22
	;; [unrolled: 9-line block ×7, first 2 shown]
	v_cmp_gt_u64_e64 s[50:51], s[0:1], v[56:57]
	s_nop 1
	v_cndmask_b32_e64 v2, 0, v2, s[50:51]
	v_add_u32_e32 v62, v2, v56
	v_or3_b32 v2, v55, v51, v49
	v_or3_b32 v2, v2, v47, v45
	;; [unrolled: 1-line block ×10, first 2 shown]
	v_and_b32_e32 v2, 1, v2
	v_cmp_eq_u32_e64 s[0:1], 1, v2
	v_add_lshl_u32 v2, v1, v0, 3
	s_nop 0
	v_cndmask_b32_e64 v63, v11, 1, s[0:1]
	ds_write_b32 v2, v62
	ds_write_b8 v2, v63 offset:4
	s_waitcnt lgkmcnt(0)
	s_barrier
	s_and_saveexec_b64 s[52:53], vcc
	s_cbranch_execz .LBB1256_150
; %bb.139:
	v_lshrrev_b32_e32 v2, 3, v0
	v_add_lshl_u32 v4, v2, v54, 3
	ds_read2_b32 v[6:7], v4 offset0:2 offset1:4
	ds_read_b64 v[2:3], v4
	ds_read_u8 v8, v4 offset:12
	ds_read_u8 v9, v4 offset:20
	ds_read_b32 v58, v4 offset:24
	ds_read_u8 v59, v4 offset:28
	v_mov_b32_e32 v60, 0
	s_waitcnt lgkmcnt(3)
	v_cmp_eq_u16_sdwa s[0:1], v8, v60 src0_sel:BYTE_0 src1_sel:DWORD
	v_and_b32_e32 v5, 1, v3
	s_nop 0
	v_cndmask_b32_e64 v61, 0, v2, s[0:1]
	v_add_u32_e32 v6, v61, v6
	s_waitcnt lgkmcnt(2)
	v_cmp_eq_u16_sdwa s[0:1], v9, v60 src0_sel:BYTE_0 src1_sel:DWORD
	s_nop 1
	v_cndmask_b32_e64 v6, 0, v6, s[0:1]
	v_add_u32_e32 v6, v6, v7
	s_waitcnt lgkmcnt(0)
	v_cmp_eq_u16_e64 s[0:1], 0, v59
	s_nop 1
	v_cndmask_b32_e64 v6, 0, v6, s[0:1]
	v_add_u32_e32 v7, v6, v58
	v_or_b32_e32 v6, v59, v9
	v_or_b32_e32 v6, v6, v8
	v_and_b32_e32 v6, 1, v6
	v_cmp_eq_u32_e64 s[0:1], 1, v6
	v_mbcnt_lo_u32_b32 v8, -1, 0
	v_and_b32_e32 v6, 0xffffff00, v3
	v_cndmask_b32_e64 v9, v5, 1, s[0:1]
	v_mbcnt_hi_u32_b32 v8, -1, v8
	v_and_b32_e32 v59, 15, v8
	v_or_b32_sdwa v58, v6, v9 dst_sel:DWORD dst_unused:UNUSED_PAD src0_sel:DWORD src1_sel:WORD_0
	v_mov_b32_dpp v60, v7 row_shr:1 row_mask:0xf bank_mask:0xf
	v_cmp_ne_u32_e64 s[0:1], 0, v59
	v_mov_b32_dpp v61, v58 row_shr:1 row_mask:0xf bank_mask:0xf
	s_and_saveexec_b64 s[60:61], s[0:1]
; %bb.140:
	v_and_b32_e32 v58, 1, v9
	v_and_b32_e32 v61, 1, v61
	v_cmp_eq_u32_e64 s[0:1], 1, v58
	s_nop 1
	v_cndmask_b32_e64 v61, v61, 1, s[0:1]
	v_cmp_eq_u16_e64 s[0:1], 0, v9
	v_or_b32_sdwa v58, v6, v61 dst_sel:DWORD dst_unused:UNUSED_PAD src0_sel:DWORD src1_sel:WORD_0
	s_nop 0
	v_cndmask_b32_e64 v9, 0, v60, s[0:1]
	v_add_u32_e32 v7, v9, v7
	v_mov_b32_e32 v9, v61
; %bb.141:
	s_or_b64 exec, exec, s[60:61]
	v_mov_b32_dpp v60, v7 row_shr:2 row_mask:0xf bank_mask:0xf
	v_mov_b32_dpp v61, v58 row_shr:2 row_mask:0xf bank_mask:0xf
	v_cmp_lt_u32_e64 s[0:1], 1, v59
	s_and_saveexec_b64 s[60:61], s[0:1]
; %bb.142:
	v_and_b32_e32 v58, 1, v9
	v_and_b32_e32 v61, 1, v61
	v_cmp_eq_u32_e64 s[0:1], 1, v58
	s_nop 1
	v_cndmask_b32_e64 v61, v61, 1, s[0:1]
	v_cmp_eq_u16_e64 s[0:1], 0, v9
	v_or_b32_sdwa v58, v6, v61 dst_sel:DWORD dst_unused:UNUSED_PAD src0_sel:DWORD src1_sel:WORD_0
	s_nop 0
	v_cndmask_b32_e64 v9, 0, v60, s[0:1]
	v_add_u32_e32 v7, v9, v7
	v_mov_b32_e32 v9, v61
; %bb.143:
	s_or_b64 exec, exec, s[60:61]
	v_mov_b32_dpp v60, v7 row_shr:4 row_mask:0xf bank_mask:0xf
	v_mov_b32_dpp v61, v58 row_shr:4 row_mask:0xf bank_mask:0xf
	v_cmp_lt_u32_e64 s[0:1], 3, v59
	;; [unrolled: 18-line block ×3, first 2 shown]
	s_and_saveexec_b64 s[60:61], s[0:1]
; %bb.146:
	v_and_b32_e32 v58, 1, v9
	v_and_b32_e32 v59, 1, v61
	v_cmp_eq_u32_e64 s[0:1], 1, v58
	s_nop 1
	v_cndmask_b32_e64 v59, v59, 1, s[0:1]
	v_cmp_eq_u16_e64 s[0:1], 0, v9
	v_or_b32_sdwa v58, v6, v59 dst_sel:DWORD dst_unused:UNUSED_PAD src0_sel:DWORD src1_sel:WORD_0
	s_nop 0
	v_cndmask_b32_e64 v9, 0, v60, s[0:1]
	v_add_u32_e32 v7, v9, v7
	v_mov_b32_e32 v9, v59
; %bb.147:
	s_or_b64 exec, exec, s[60:61]
	v_and_b32_e32 v61, 16, v8
	v_mov_b32_dpp v59, v7 row_bcast:15 row_mask:0xf bank_mask:0xf
	v_mov_b32_dpp v60, v58 row_bcast:15 row_mask:0xf bank_mask:0xf
	v_cmp_ne_u32_e64 s[0:1], 0, v61
	s_and_saveexec_b64 s[60:61], s[0:1]
; %bb.148:
	v_and_b32_e32 v58, 1, v9
	v_and_b32_e32 v60, 1, v60
	v_cmp_eq_u32_e64 s[0:1], 1, v58
	s_nop 1
	v_cndmask_b32_e64 v60, v60, 1, s[0:1]
	v_cmp_eq_u16_e64 s[0:1], 0, v9
	v_or_b32_sdwa v58, v6, v60 dst_sel:DWORD dst_unused:UNUSED_PAD src0_sel:DWORD src1_sel:WORD_0
	s_nop 0
	v_cndmask_b32_e64 v9, 0, v59, s[0:1]
	v_add_u32_e32 v7, v9, v7
	v_mov_b32_e32 v9, v60
; %bb.149:
	s_or_b64 exec, exec, s[60:61]
	v_mov_b32_dpp v58, v58 row_bcast:31 row_mask:0xf bank_mask:0xf
	v_and_b32_e32 v60, 1, v9
	v_and_b32_e32 v58, 1, v58
	v_cmp_eq_u32_e64 s[0:1], 1, v60
	v_mov_b32_e32 v60, 0
	v_cmp_eq_u16_sdwa s[60:61], v9, v60 src0_sel:BYTE_0 src1_sel:DWORD
	v_cndmask_b32_e64 v58, v58, 1, s[0:1]
	v_cmp_lt_u32_e64 s[0:1], 31, v8
	v_mov_b32_dpp v59, v7 row_bcast:31 row_mask:0xf bank_mask:0xf
	s_movk_i32 s64, 0xff
	v_cndmask_b32_e64 v9, v9, v58, s[0:1]
	s_and_b64 s[0:1], s[0:1], s[60:61]
	v_cndmask_b32_e64 v58, 0, v59, s[0:1]
	v_add_u32_e32 v7, v58, v7
	v_add_u32_e32 v58, -1, v8
	v_and_b32_e32 v59, 64, v8
	v_cmp_lt_i32_e64 s[0:1], v58, v59
	v_and_or_b32 v6, v9, s64, v6
	s_nop 0
	v_cndmask_b32_e64 v8, v58, v8, s[0:1]
	v_lshlrev_b32_e32 v8, 2, v8
	ds_bpermute_b32 v7, v8, v7
	ds_bpermute_b32 v6, v8, v6
	v_cmp_eq_u16_sdwa s[0:1], v3, v60 src0_sel:BYTE_0 src1_sel:DWORD
	; wave barrier
	s_waitcnt lgkmcnt(1)
	s_nop 0
	v_cndmask_b32_e64 v3, 0, v7, s[0:1]
	v_add_u32_e32 v2, v3, v2
	s_waitcnt lgkmcnt(0)
	v_and_b32_e32 v3, 1, v6
	v_cmp_eq_u32_e64 s[0:1], 1, v5
	v_cndmask_b32_e64 v5, v2, v62, s[54:55]
	s_nop 0
	v_cndmask_b32_e64 v3, v3, 1, s[0:1]
	v_cndmask_b32_e64 v6, v3, v63, s[54:55]
	ds_write_b32 v4, v5
	ds_write_b8 v4, v6 offset:4
	; wave barrier
	ds_read_u8 v7, v4 offset:12
	ds_read2_b32 v[2:3], v4 offset0:2 offset1:4
	ds_read_u8 v8, v4 offset:20
	ds_read_b32 v9, v4 offset:24
	ds_read_u8 v58, v4 offset:28
	s_waitcnt lgkmcnt(4)
	v_cmp_eq_u16_e64 s[0:1], 0, v7
	s_nop 1
	v_cndmask_b32_e64 v5, 0, v5, s[0:1]
	s_waitcnt lgkmcnt(3)
	v_add_u32_e32 v2, v5, v2
	v_and_b32_e32 v5, 1, v7
	v_cmp_eq_u32_e64 s[0:1], 1, v5
	s_nop 1
	v_cndmask_b32_e64 v5, v6, 1, s[0:1]
	s_waitcnt lgkmcnt(2)
	v_cmp_eq_u16_e64 s[0:1], 0, v8
	ds_write_b8 v4, v5 offset:12
	s_nop 0
	v_cndmask_b32_e64 v6, 0, v2, s[0:1]
	v_add_u32_e32 v3, v6, v3
	v_and_b32_e32 v6, 1, v8
	v_cmp_eq_u32_e64 s[0:1], 1, v6
	s_nop 1
	v_cndmask_b32_e64 v5, v5, 1, s[0:1]
	s_waitcnt lgkmcnt(1)
	v_cmp_eq_u16_e64 s[0:1], 0, v58
	ds_write2_b32 v4, v2, v3 offset0:2 offset1:4
	ds_write_b8 v4, v5 offset:20
	v_cndmask_b32_e64 v2, 0, v3, s[0:1]
	v_and_b32_e32 v3, 1, v58
	v_add_u32_e32 v2, v2, v9
	v_cmp_eq_u32_e64 s[0:1], 1, v3
	s_nop 1
	v_cndmask_b32_e64 v3, v5, 1, s[0:1]
	ds_write_b32 v4, v2 offset:24
	ds_write_b8 v4, v3 offset:28
.LBB1256_150:
	s_or_b64 exec, exec, s[52:53]
	s_waitcnt lgkmcnt(0)
	s_barrier
	s_and_saveexec_b64 s[0:1], s[4:5]
	s_cbranch_execz .LBB1256_152
; %bb.151:
	v_add_u32_e32 v2, -1, v0
	v_lshrrev_b32_e32 v3, 5, v2
	v_add_lshl_u32 v2, v3, v2, 3
	ds_read_b32 v62, v2
	ds_read_u8 v63, v2 offset:4
.LBB1256_152:
	s_or_b64 exec, exec, s[0:1]
	s_and_saveexec_b64 s[60:61], vcc
	s_cbranch_execz .LBB1256_171
; %bb.153:
	v_mov_b32_e32 v5, 0
	ds_read_b64 v[2:3], v5 offset:2096
	v_mbcnt_lo_u32_b32 v4, -1, 0
	v_mbcnt_hi_u32_b32 v73, -1, v4
	s_mov_b32 s65, 0
	v_cmp_eq_u32_e64 s[52:53], 0, v73
	s_waitcnt lgkmcnt(0)
	v_readfirstlane_b32 s70, v3
	s_and_saveexec_b64 s[0:1], s[52:53]
	s_cbranch_execz .LBB1256_155
; %bb.154:
	s_add_i32 s64, s75, 64
	s_lshl_b64 s[68:69], s[64:65], 4
	s_add_u32 s68, s72, s68
	s_addc_u32 s69, s73, s69
	s_and_b32 s79, s70, 0xff000000
	s_mov_b32 s78, s65
	s_and_b32 s81, s70, 0xff0000
	s_mov_b32 s80, s65
	s_or_b64 s[78:79], s[80:81], s[78:79]
	s_and_b32 s81, s70, 0xff00
	s_or_b64 s[78:79], s[78:79], s[80:81]
	s_and_b32 s81, s70, 0xff
	s_or_b64 s[64:65], s[78:79], s[80:81]
	v_mov_b32_e32 v3, s65
	v_mov_b32_e32 v4, 1
	v_mov_b64_e32 v[6:7], s[68:69]
	;;#ASMSTART
	global_store_dwordx4 v[6:7], v[2:5] off sc1	
s_waitcnt vmcnt(0)
	;;#ASMEND
.LBB1256_155:
	s_or_b64 exec, exec, s[0:1]
	v_xad_u32 v58, v73, -1, s75
	v_add_u32_e32 v4, 64, v58
	v_lshl_add_u64 v[60:61], v[4:5], 4, s[72:73]
	;;#ASMSTART
	global_load_dwordx4 v[6:9], v[60:61] off sc1	
s_waitcnt vmcnt(0)
	;;#ASMEND
	s_nop 0
	v_and_b32_e32 v3, 0xff0000, v6
	v_and_b32_e32 v4, 0xff000000, v6
	;; [unrolled: 1-line block ×3, first 2 shown]
	v_or_b32_sdwa v3, v6, v3 dst_sel:DWORD dst_unused:UNUSED_PAD src0_sel:WORD_0 src1_sel:DWORD
	v_or3_b32 v7, 0, 0, v7
	v_or3_b32 v6, v3, v4, 0
	v_cmp_eq_u16_sdwa s[64:65], v8, v5 src0_sel:BYTE_0 src1_sel:DWORD
	s_and_saveexec_b64 s[0:1], s[64:65]
	s_cbranch_execz .LBB1256_159
; %bb.156:
	s_mov_b64 s[64:65], 0
	v_mov_b32_e32 v3, 0
.LBB1256_157:                           ; =>This Inner Loop Header: Depth=1
	;;#ASMSTART
	global_load_dwordx4 v[6:9], v[60:61] off sc1	
s_waitcnt vmcnt(0)
	;;#ASMEND
	s_nop 0
	v_cmp_ne_u16_sdwa s[68:69], v8, v3 src0_sel:BYTE_0 src1_sel:DWORD
	s_or_b64 s[64:65], s[68:69], s[64:65]
	s_andn2_b64 exec, exec, s[64:65]
	s_cbranch_execnz .LBB1256_157
; %bb.158:
	s_or_b64 exec, exec, s[64:65]
	v_and_b32_e32 v7, 0xff, v7
.LBB1256_159:
	s_or_b64 exec, exec, s[0:1]
	v_mov_b32_e32 v3, 2
	v_cmp_eq_u16_sdwa s[0:1], v8, v3 src0_sel:BYTE_0 src1_sel:DWORD
	v_lshlrev_b64 v[4:5], v73, -1
	v_and_b32_e32 v64, 63, v73
	v_and_b32_e32 v9, s1, v5
	v_or_b32_e32 v9, 0x80000000, v9
	v_and_b32_e32 v59, s0, v4
	v_ffbl_b32_e32 v9, v9
	v_add_u32_e32 v9, 32, v9
	v_ffbl_b32_e32 v59, v59
	v_cmp_ne_u32_e32 vcc, 63, v64
	v_min_u32_e32 v9, v59, v9
	s_mov_b32 s64, 0
	v_addc_co_u32_e32 v59, vcc, 0, v73, vcc
	v_lshlrev_b32_e32 v65, 2, v59
	ds_bpermute_b32 v59, v65, v7
	ds_bpermute_b32 v60, v65, v6
	v_and_b32_e32 v61, 1, v7
	s_mov_b32 s65, 1
	v_cmp_eq_u32_e32 vcc, 1, v61
	s_waitcnt lgkmcnt(1)
	v_and_b32_e32 v59, 1, v59
	v_cmp_lt_u32_e64 s[0:1], v64, v9
	v_cndmask_b32_e64 v59, v59, 1, vcc
	v_cmp_gt_u64_e32 vcc, s[64:65], v[6:7]
	s_and_b64 vcc, s[0:1], vcc
	v_and_b32_e32 v61, 0xffff, v59
	v_cndmask_b32_e64 v68, v7, v59, s[0:1]
	s_waitcnt lgkmcnt(0)
	v_cndmask_b32_e32 v59, 0, v60, vcc
	v_cmp_gt_u32_e32 vcc, 62, v64
	v_cndmask_b32_e64 v7, v7, v61, s[0:1]
	v_add_u32_e32 v6, v59, v6
	v_cndmask_b32_e64 v60, 0, 1, vcc
	v_lshlrev_b32_e32 v60, 1, v60
	v_add_lshl_u32 v66, v60, v73, 2
	ds_bpermute_b32 v60, v66, v7
	ds_bpermute_b32 v61, v66, v6
	v_and_b32_e32 v59, 1, v68
	v_cmp_eq_u32_e32 vcc, 1, v59
	v_mov_b32_e32 v59, 0
	s_waitcnt lgkmcnt(1)
	v_and_b32_e32 v60, 1, v60
	v_add_u32_e32 v67, 2, v64
	v_cndmask_b32_e64 v60, v60, 1, vcc
	v_cmp_eq_u16_sdwa vcc, v68, v59 src0_sel:BYTE_0 src1_sel:DWORD
	v_and_b32_e32 v69, 0xffff, v60
	v_add_u32_e32 v77, 32, v64
	s_waitcnt lgkmcnt(0)
	v_cndmask_b32_e32 v61, 0, v61, vcc
	v_cmp_gt_u32_e32 vcc, v67, v9
	s_nop 1
	v_cndmask_b32_e32 v60, v60, v68, vcc
	v_cndmask_b32_e64 v61, v61, 0, vcc
	v_cndmask_b32_e32 v7, v69, v7, vcc
	v_cmp_gt_u32_e32 vcc, 60, v64
	v_add_u32_e32 v6, v61, v6
	v_and_b32_e32 v71, 1, v60
	v_cndmask_b32_e64 v68, 0, 1, vcc
	v_lshlrev_b32_e32 v68, 2, v68
	v_add_lshl_u32 v68, v68, v73, 2
	ds_bpermute_b32 v70, v68, v7
	ds_bpermute_b32 v61, v68, v6
	v_cmp_eq_u32_e32 vcc, 1, v71
	v_add_u32_e32 v69, 4, v64
	s_waitcnt lgkmcnt(1)
	v_and_b32_e32 v70, 1, v70
	v_cndmask_b32_e64 v70, v70, 1, vcc
	v_cmp_eq_u16_sdwa vcc, v60, v59 src0_sel:BYTE_0 src1_sel:DWORD
	v_and_b32_e32 v71, 0xffff, v70
	s_waitcnt lgkmcnt(0)
	v_cndmask_b32_e32 v61, 0, v61, vcc
	v_cmp_gt_u32_e32 vcc, v69, v9
	s_nop 1
	v_cndmask_b32_e32 v60, v70, v60, vcc
	v_cndmask_b32_e64 v61, v61, 0, vcc
	v_cndmask_b32_e32 v7, v71, v7, vcc
	v_cmp_gt_u32_e32 vcc, 56, v64
	v_add_u32_e32 v6, v61, v6
	v_and_b32_e32 v74, 1, v60
	v_cndmask_b32_e64 v70, 0, 1, vcc
	v_lshlrev_b32_e32 v70, 3, v70
	v_add_lshl_u32 v70, v70, v73, 2
	ds_bpermute_b32 v72, v70, v7
	ds_bpermute_b32 v61, v70, v6
	v_cmp_eq_u32_e32 vcc, 1, v74
	v_add_u32_e32 v71, 8, v64
	s_waitcnt lgkmcnt(1)
	v_and_b32_e32 v72, 1, v72
	v_cndmask_b32_e64 v72, v72, 1, vcc
	v_cmp_eq_u16_sdwa vcc, v60, v59 src0_sel:BYTE_0 src1_sel:DWORD
	v_and_b32_e32 v74, 0xffff, v72
	s_waitcnt lgkmcnt(0)
	v_cndmask_b32_e32 v61, 0, v61, vcc
	v_cmp_gt_u32_e32 vcc, v71, v9
	s_nop 1
	v_cndmask_b32_e32 v60, v72, v60, vcc
	v_cndmask_b32_e64 v61, v61, 0, vcc
	v_cndmask_b32_e32 v7, v74, v7, vcc
	v_cmp_gt_u32_e32 vcc, 48, v64
	v_add_u32_e32 v6, v61, v6
	v_and_b32_e32 v76, 1, v60
	v_cndmask_b32_e64 v72, 0, 1, vcc
	v_lshlrev_b32_e32 v72, 4, v72
	v_add_lshl_u32 v72, v72, v73, 2
	ds_bpermute_b32 v75, v72, v7
	ds_bpermute_b32 v61, v72, v6
	v_cmp_eq_u32_e32 vcc, 1, v76
	v_add_u32_e32 v74, 16, v64
	s_waitcnt lgkmcnt(1)
	v_and_b32_e32 v75, 1, v75
	v_cndmask_b32_e64 v75, v75, 1, vcc
	v_cmp_eq_u16_sdwa vcc, v60, v59 src0_sel:BYTE_0 src1_sel:DWORD
	v_and_b32_e32 v76, 0xffff, v75
	s_waitcnt lgkmcnt(0)
	v_cndmask_b32_e32 v61, 0, v61, vcc
	v_cmp_gt_u32_e32 vcc, v74, v9
	s_nop 1
	v_cndmask_b32_e32 v60, v75, v60, vcc
	v_cndmask_b32_e64 v61, v61, 0, vcc
	v_cndmask_b32_e32 v7, v76, v7, vcc
	v_cmp_gt_u32_e32 vcc, 32, v64
	v_add_u32_e32 v6, v61, v6
	s_nop 0
	v_cndmask_b32_e64 v75, 0, 1, vcc
	v_lshlrev_b32_e32 v75, 5, v75
	v_add_lshl_u32 v76, v75, v73, 2
	ds_bpermute_b32 v7, v76, v7
	ds_bpermute_b32 v61, v76, v6
	v_and_b32_e32 v73, 1, v60
	v_cmp_eq_u32_e32 vcc, 1, v73
	s_waitcnt lgkmcnt(1)
	v_and_b32_e32 v7, 1, v7
	v_cndmask_b32_e64 v7, v7, 1, vcc
	v_cmp_eq_u16_sdwa vcc, v60, v59 src0_sel:BYTE_0 src1_sel:DWORD
	s_waitcnt lgkmcnt(0)
	s_nop 0
	v_cndmask_b32_e32 v61, 0, v61, vcc
	v_cmp_gt_u32_e32 vcc, v77, v9
	s_nop 1
	v_cndmask_b32_e64 v9, v61, 0, vcc
	v_cndmask_b32_e32 v7, v7, v60, vcc
	v_add_u32_e32 v6, v9, v6
	s_branch .LBB1256_161
.LBB1256_160:                           ;   in Loop: Header=BB1256_161 Depth=1
	s_or_b64 exec, exec, s[0:1]
	v_cmp_eq_u16_sdwa s[0:1], v8, v3 src0_sel:BYTE_0 src1_sel:DWORD
	ds_bpermute_b32 v61, v65, v7
	v_and_b32_e32 v78, 1, v7
	v_and_b32_e32 v9, s1, v5
	v_or_b32_e32 v9, 0x80000000, v9
	v_and_b32_e32 v60, s0, v4
	v_ffbl_b32_e32 v9, v9
	v_add_u32_e32 v9, 32, v9
	v_ffbl_b32_e32 v60, v60
	v_min_u32_e32 v9, v60, v9
	ds_bpermute_b32 v60, v65, v6
	s_waitcnt lgkmcnt(1)
	v_and_b32_e32 v61, 1, v61
	v_cmp_eq_u32_e32 vcc, 1, v78
	v_cmp_lt_u32_e64 s[0:1], v64, v9
	v_subrev_u32_e32 v58, 64, v58
	v_cndmask_b32_e64 v61, v61, 1, vcc
	v_cmp_gt_u64_e32 vcc, s[64:65], v[6:7]
	v_and_b32_e32 v78, 0xffff, v61
	v_cndmask_b32_e64 v61, v7, v61, s[0:1]
	v_cndmask_b32_e64 v7, v7, v78, s[0:1]
	s_and_b64 vcc, s[0:1], vcc
	ds_bpermute_b32 v78, v66, v7
	s_waitcnt lgkmcnt(1)
	v_cndmask_b32_e32 v60, 0, v60, vcc
	v_add_u32_e32 v6, v60, v6
	ds_bpermute_b32 v60, v66, v6
	v_and_b32_e32 v79, 1, v61
	s_waitcnt lgkmcnt(1)
	v_and_b32_e32 v78, 1, v78
	v_cmp_eq_u32_e32 vcc, 1, v79
	s_nop 1
	v_cndmask_b32_e64 v78, v78, 1, vcc
	v_cmp_eq_u16_sdwa vcc, v61, v59 src0_sel:BYTE_0 src1_sel:DWORD
	v_and_b32_e32 v79, 0xffff, v78
	s_waitcnt lgkmcnt(0)
	v_cndmask_b32_e32 v60, 0, v60, vcc
	v_cmp_gt_u32_e32 vcc, v67, v9
	s_nop 1
	v_cndmask_b32_e32 v7, v79, v7, vcc
	v_cndmask_b32_e32 v61, v78, v61, vcc
	ds_bpermute_b32 v78, v68, v7
	v_cndmask_b32_e64 v60, v60, 0, vcc
	v_add_u32_e32 v6, v60, v6
	ds_bpermute_b32 v60, v68, v6
	v_and_b32_e32 v79, 1, v61
	s_waitcnt lgkmcnt(1)
	v_and_b32_e32 v78, 1, v78
	v_cmp_eq_u32_e32 vcc, 1, v79
	s_nop 1
	v_cndmask_b32_e64 v78, v78, 1, vcc
	v_cmp_eq_u16_sdwa vcc, v61, v59 src0_sel:BYTE_0 src1_sel:DWORD
	v_and_b32_e32 v79, 0xffff, v78
	s_waitcnt lgkmcnt(0)
	v_cndmask_b32_e32 v60, 0, v60, vcc
	v_cmp_gt_u32_e32 vcc, v69, v9
	s_nop 1
	v_cndmask_b32_e32 v7, v79, v7, vcc
	v_cndmask_b32_e32 v61, v78, v61, vcc
	ds_bpermute_b32 v78, v70, v7
	v_cndmask_b32_e64 v60, v60, 0, vcc
	;; [unrolled: 18-line block ×3, first 2 shown]
	v_add_u32_e32 v6, v60, v6
	ds_bpermute_b32 v60, v72, v6
	v_and_b32_e32 v79, 1, v61
	s_waitcnt lgkmcnt(1)
	v_and_b32_e32 v78, 1, v78
	v_cmp_eq_u32_e32 vcc, 1, v79
	s_nop 1
	v_cndmask_b32_e64 v78, v78, 1, vcc
	v_cmp_eq_u16_sdwa vcc, v61, v59 src0_sel:BYTE_0 src1_sel:DWORD
	v_and_b32_e32 v79, 0xffff, v78
	s_waitcnt lgkmcnt(0)
	v_cndmask_b32_e32 v60, 0, v60, vcc
	v_cmp_gt_u32_e32 vcc, v74, v9
	s_nop 1
	v_cndmask_b32_e64 v60, v60, 0, vcc
	v_cndmask_b32_e32 v7, v79, v7, vcc
	ds_bpermute_b32 v7, v76, v7
	v_add_u32_e32 v6, v60, v6
	ds_bpermute_b32 v60, v76, v6
	v_cndmask_b32_e32 v61, v78, v61, vcc
	v_and_b32_e32 v78, 1, v61
	v_cmp_eq_u32_e32 vcc, 1, v78
	s_waitcnt lgkmcnt(1)
	s_nop 0
	v_cndmask_b32_e64 v7, v7, 1, vcc
	v_cmp_eq_u16_sdwa vcc, v61, v59 src0_sel:BYTE_0 src1_sel:DWORD
	s_waitcnt lgkmcnt(0)
	s_nop 0
	v_cndmask_b32_e32 v60, 0, v60, vcc
	v_cmp_gt_u32_e32 vcc, v77, v9
	s_nop 1
	v_cndmask_b32_e64 v9, v60, 0, vcc
	v_cndmask_b32_e32 v7, v7, v61, vcc
	v_add_u32_e32 v6, v9, v6
	v_cmp_eq_u16_sdwa vcc, v73, v59 src0_sel:BYTE_0 src1_sel:DWORD
	v_and_b32_e32 v9, 1, v73
	v_and_b32_e32 v7, 1, v7
	v_cndmask_b32_e32 v6, 0, v6, vcc
	v_cmp_eq_u32_e32 vcc, 1, v9
	v_add_u32_e32 v6, v6, v75
	s_nop 0
	v_cndmask_b32_e64 v7, v7, 1, vcc
.LBB1256_161:                           ; =>This Loop Header: Depth=1
                                        ;     Child Loop BB1256_164 Depth 2
	v_cmp_ne_u16_sdwa s[0:1], v8, v3 src0_sel:BYTE_0 src1_sel:DWORD
	v_mov_b32_e32 v73, v7
	v_mov_b32_e32 v75, v6
	v_cndmask_b32_e64 v7, 0, 1, s[0:1]
	;;#ASMSTART
	;;#ASMEND
	s_nop 0
	v_cmp_ne_u32_e32 vcc, 0, v7
	s_cmp_lg_u64 vcc, exec
	s_cbranch_scc1 .LBB1256_166
; %bb.162:                              ;   in Loop: Header=BB1256_161 Depth=1
	v_lshl_add_u64 v[60:61], v[58:59], 4, s[72:73]
	;;#ASMSTART
	global_load_dwordx4 v[6:9], v[60:61] off sc1	
s_waitcnt vmcnt(0)
	;;#ASMEND
	s_nop 0
	v_and_b32_e32 v9, 0xff0000, v6
	v_and_b32_e32 v78, 0xff000000, v6
	;; [unrolled: 1-line block ×3, first 2 shown]
	v_or_b32_sdwa v6, v6, v9 dst_sel:DWORD dst_unused:UNUSED_PAD src0_sel:WORD_0 src1_sel:DWORD
	v_or3_b32 v7, 0, 0, v7
	v_or3_b32 v6, v6, v78, 0
	v_cmp_eq_u16_sdwa s[68:69], v8, v59 src0_sel:BYTE_0 src1_sel:DWORD
	s_and_saveexec_b64 s[0:1], s[68:69]
	s_cbranch_execz .LBB1256_160
; %bb.163:                              ;   in Loop: Header=BB1256_161 Depth=1
	s_mov_b64 s[68:69], 0
.LBB1256_164:                           ;   Parent Loop BB1256_161 Depth=1
                                        ; =>  This Inner Loop Header: Depth=2
	;;#ASMSTART
	global_load_dwordx4 v[6:9], v[60:61] off sc1	
s_waitcnt vmcnt(0)
	;;#ASMEND
	s_nop 0
	v_cmp_ne_u16_sdwa s[78:79], v8, v59 src0_sel:BYTE_0 src1_sel:DWORD
	s_or_b64 s[68:69], s[78:79], s[68:69]
	s_andn2_b64 exec, exec, s[68:69]
	s_cbranch_execnz .LBB1256_164
; %bb.165:                              ;   in Loop: Header=BB1256_161 Depth=1
	s_or_b64 exec, exec, s[68:69]
	v_and_b32_e32 v7, 0xff, v7
	s_branch .LBB1256_160
.LBB1256_166:                           ;   in Loop: Header=BB1256_161 Depth=1
                                        ; implicit-def: $vgpr7
                                        ; implicit-def: $vgpr6
                                        ; implicit-def: $vgpr8
	s_cbranch_execz .LBB1256_161
; %bb.167:
	s_and_saveexec_b64 s[0:1], s[52:53]
	s_cbranch_execz .LBB1256_169
; %bb.168:
	s_and_b32 s52, s70, 0xff
	s_cmp_eq_u32 s52, 0
	s_cselect_b64 vcc, -1, 0
	s_bitcmp1_b32 s70, 0
	s_mov_b32 s53, 0
	s_cselect_b64 s[64:65], -1, 0
	s_add_i32 s52, s75, 64
	s_lshl_b64 s[52:53], s[52:53], 4
	v_cndmask_b32_e32 v3, 0, v75, vcc
	s_add_u32 s52, s72, s52
	v_add_u32_e32 v2, v3, v2
	v_and_b32_e32 v3, 1, v73
	s_addc_u32 s53, s73, s53
	v_mov_b32_e32 v5, 0
	v_cndmask_b32_e64 v3, v3, 1, s[64:65]
	v_mov_b32_e32 v4, 2
	v_mov_b64_e32 v[6:7], s[52:53]
	;;#ASMSTART
	global_store_dwordx4 v[6:7], v[2:5] off sc1	
s_waitcnt vmcnt(0)
	;;#ASMEND
.LBB1256_169:
	s_or_b64 exec, exec, s[0:1]
	s_and_b64 exec, exec, s[54:55]
	s_cbranch_execz .LBB1256_171
; %bb.170:
	v_mov_b32_e32 v2, 0
	ds_write_b32 v2, v75
	ds_write_b8 v2, v73 offset:4
.LBB1256_171:
	s_or_b64 exec, exec, s[60:61]
	s_mov_b32 s0, 0
	v_mov_b32_e32 v2, 0
	s_mov_b32 s1, 1
	s_waitcnt lgkmcnt(0)
	s_barrier
	ds_read_b32 v3, v2
	v_cmp_gt_u64_e32 vcc, s[0:1], v[10:11]
	v_and_b32_e32 v5, 1, v11
	v_and_b32_e32 v6, 1, v63
	v_cndmask_b32_e32 v4, 0, v62, vcc
	v_cmp_eq_u32_e32 vcc, 1, v5
	v_cndmask_b32_e64 v4, v4, 0, s[54:55]
	s_nop 0
	v_cndmask_b32_e64 v5, v6, 1, vcc
	v_cndmask_b32_e64 v5, v5, v11, s[54:55]
	v_cmp_eq_u16_sdwa vcc, v5, v2 src0_sel:BYTE_0 src1_sel:DWORD
	s_waitcnt lgkmcnt(0)
	s_nop 0
	v_cndmask_b32_e32 v2, 0, v3, vcc
	v_add3_u32 v80, v4, v10, v2
	v_cndmask_b32_e64 v2, 0, v80, s[6:7]
	v_add_u32_e32 v58, v2, v12
	v_cndmask_b32_e64 v2, 0, v58, s[8:9]
	v_add_u32_e32 v59, v2, v14
	;; [unrolled: 2-line block ×22, first 2 shown]
	s_branch .LBB1256_192
.LBB1256_172:
                                        ; implicit-def: $vgpr78
                                        ; implicit-def: $vgpr77
                                        ; implicit-def: $vgpr76
                                        ; implicit-def: $vgpr75
                                        ; implicit-def: $vgpr74
                                        ; implicit-def: $vgpr73
                                        ; implicit-def: $vgpr72
                                        ; implicit-def: $vgpr71
                                        ; implicit-def: $vgpr70
                                        ; implicit-def: $vgpr69
                                        ; implicit-def: $vgpr68
                                        ; implicit-def: $vgpr67
                                        ; implicit-def: $vgpr66
                                        ; implicit-def: $vgpr65
                                        ; implicit-def: $vgpr64
                                        ; implicit-def: $vgpr63
                                        ; implicit-def: $vgpr62
                                        ; implicit-def: $vgpr61
                                        ; implicit-def: $vgpr60
                                        ; implicit-def: $vgpr59
                                        ; implicit-def: $vgpr58
                                        ; implicit-def: $vgpr80
                                        ; implicit-def: $vgpr79
	s_cbranch_execz .LBB1256_192
; %bb.173:
	s_cmp_lg_u64 s[76:77], 0
	s_cselect_b32 s9, s67, 0
	s_cselect_b32 s8, s66, 0
	s_cmp_lg_u64 s[8:9], 0
	s_cselect_b64 s[6:7], -1, 0
	s_mov_b32 s0, 0
	s_and_b64 s[10:11], s[54:55], s[6:7]
	s_and_saveexec_b64 s[6:7], s[10:11]
	s_cbranch_execz .LBB1256_175
; %bb.174:
	v_mov_b32_e32 v2, 0
	global_load_dword v4, v2, s[8:9]
	global_load_ubyte v5, v2, s[8:9] offset:4
	s_mov_b32 s1, 1
	v_and_b32_e32 v3, 1, v11
	v_cmp_gt_u64_e32 vcc, s[0:1], v[10:11]
	s_waitcnt vmcnt(0)
	v_and_b32_e32 v5, 1, v5
	v_cndmask_b32_e32 v4, 0, v4, vcc
	v_cmp_eq_u64_e32 vcc, 0, v[2:3]
	v_add_u32_e32 v10, v4, v10
	s_nop 0
	v_cndmask_b32_e32 v11, 1, v5, vcc
.LBB1256_175:
	s_or_b64 exec, exec, s[6:7]
	s_mov_b32 s1, 1
	v_cmp_gt_u64_e32 vcc, s[0:1], v[12:13]
	v_cmp_gt_u64_e64 s[6:7], s[0:1], v[14:15]
	v_cmp_gt_u64_e64 s[8:9], s[0:1], v[16:17]
	v_cndmask_b32_e32 v2, 0, v10, vcc
	v_add_u32_e32 v58, v2, v12
	v_cndmask_b32_e64 v2, 0, v58, s[6:7]
	v_add_u32_e32 v59, v2, v14
	v_cndmask_b32_e64 v2, 0, v59, s[8:9]
	v_add_u32_e32 v60, v2, v16
	v_cmp_gt_u64_e64 s[10:11], s[0:1], v[18:19]
	v_cmp_gt_u64_e64 s[12:13], s[0:1], v[20:21]
	v_cmp_gt_u64_e64 s[14:15], s[0:1], v[22:23]
	v_cndmask_b32_e64 v2, 0, v60, s[10:11]
	v_add_u32_e32 v61, v2, v18
	v_cndmask_b32_e64 v2, 0, v61, s[12:13]
	v_add_u32_e32 v62, v2, v20
	v_cndmask_b32_e64 v2, 0, v62, s[14:15]
	v_add_u32_e32 v63, v2, v22
	v_cmp_gt_u64_e64 s[16:17], s[0:1], v[24:25]
	v_cmp_gt_u64_e64 s[18:19], s[0:1], v[26:27]
	v_cmp_gt_u64_e64 s[20:21], s[0:1], v[28:29]
	v_cndmask_b32_e64 v2, 0, v63, s[16:17]
	;; [unrolled: 9-line block ×6, first 2 shown]
	v_add_u32_e32 v76, v2, v48
	v_cndmask_b32_e64 v2, 0, v76, s[44:45]
	v_add_u32_e32 v77, v2, v50
	v_cndmask_b32_e64 v2, 0, v77, s[46:47]
	v_add_u32_e32 v78, v2, v52
	v_cmp_gt_u64_e64 s[48:49], s[0:1], v[56:57]
	v_add_lshl_u32 v1, v1, v0, 3
	s_nop 0
	v_cndmask_b32_e64 v2, 0, v78, s[48:49]
	v_add_u32_e32 v79, v2, v56
	v_or3_b32 v2, v55, v51, v49
	v_or3_b32 v2, v2, v47, v45
	v_or3_b32 v2, v2, v43, v41
	v_or3_b32 v2, v2, v39, v37
	v_or3_b32 v2, v2, v35, v33
	v_or3_b32 v2, v2, v31, v29
	v_or3_b32 v2, v2, v27, v25
	v_or3_b32 v2, v2, v23, v21
	v_or3_b32 v2, v2, v19, v17
	v_or3_b32 v2, v2, v15, v13
	v_and_b32_e32 v2, 1, v2
	v_cmp_eq_u32_e64 s[0:1], 1, v2
	s_nop 1
	v_cndmask_b32_e64 v4, v11, 1, s[0:1]
	v_cmp_gt_u32_e64 s[0:1], 64, v0
	ds_write_b32 v1, v79
	ds_write_b8 v1, v4 offset:4
	s_waitcnt lgkmcnt(0)
	s_barrier
	s_and_saveexec_b64 s[50:51], s[0:1]
	s_cbranch_execz .LBB1256_187
; %bb.176:
	v_lshrrev_b32_e32 v1, 3, v0
	v_add_lshl_u32 v1, v1, v54, 3
	ds_read2_b32 v[6:7], v1 offset0:2 offset1:4
	ds_read_b64 v[2:3], v1
	ds_read_u8 v8, v1 offset:12
	ds_read_u8 v9, v1 offset:20
	ds_read_b32 v13, v1 offset:24
	ds_read_u8 v15, v1 offset:28
	v_mov_b32_e32 v17, 0
	s_waitcnt lgkmcnt(3)
	v_cmp_eq_u16_sdwa s[0:1], v8, v17 src0_sel:BYTE_0 src1_sel:DWORD
	v_and_b32_e32 v5, 1, v3
	s_nop 0
	v_cndmask_b32_e64 v19, 0, v2, s[0:1]
	v_add_u32_e32 v6, v19, v6
	s_waitcnt lgkmcnt(2)
	v_cmp_eq_u16_sdwa s[0:1], v9, v17 src0_sel:BYTE_0 src1_sel:DWORD
	s_nop 1
	v_cndmask_b32_e64 v6, 0, v6, s[0:1]
	v_add_u32_e32 v6, v6, v7
	s_waitcnt lgkmcnt(0)
	v_cmp_eq_u16_e64 s[0:1], 0, v15
	s_nop 1
	v_cndmask_b32_e64 v6, 0, v6, s[0:1]
	v_add_u32_e32 v7, v6, v13
	v_or_b32_e32 v6, v15, v9
	v_or_b32_e32 v6, v6, v8
	v_and_b32_e32 v6, 1, v6
	v_cmp_eq_u32_e64 s[0:1], 1, v6
	v_mbcnt_lo_u32_b32 v8, -1, 0
	v_and_b32_e32 v6, 0xffffff00, v3
	v_cndmask_b32_e64 v9, v5, 1, s[0:1]
	v_mbcnt_hi_u32_b32 v8, -1, v8
	v_and_b32_e32 v15, 15, v8
	v_or_b32_sdwa v13, v6, v9 dst_sel:DWORD dst_unused:UNUSED_PAD src0_sel:DWORD src1_sel:WORD_0
	v_mov_b32_dpp v17, v7 row_shr:1 row_mask:0xf bank_mask:0xf
	v_cmp_ne_u32_e64 s[0:1], 0, v15
	v_mov_b32_dpp v19, v13 row_shr:1 row_mask:0xf bank_mask:0xf
	s_and_saveexec_b64 s[52:53], s[0:1]
; %bb.177:
	v_and_b32_e32 v13, 1, v9
	v_and_b32_e32 v19, 1, v19
	v_cmp_eq_u32_e64 s[0:1], 1, v13
	s_nop 1
	v_cndmask_b32_e64 v19, v19, 1, s[0:1]
	v_cmp_eq_u16_e64 s[0:1], 0, v9
	v_or_b32_sdwa v13, v6, v19 dst_sel:DWORD dst_unused:UNUSED_PAD src0_sel:DWORD src1_sel:WORD_0
	s_nop 0
	v_cndmask_b32_e64 v9, 0, v17, s[0:1]
	v_add_u32_e32 v7, v9, v7
	v_mov_b32_e32 v9, v19
; %bb.178:
	s_or_b64 exec, exec, s[52:53]
	v_mov_b32_dpp v17, v7 row_shr:2 row_mask:0xf bank_mask:0xf
	v_mov_b32_dpp v19, v13 row_shr:2 row_mask:0xf bank_mask:0xf
	v_cmp_lt_u32_e64 s[0:1], 1, v15
	s_and_saveexec_b64 s[52:53], s[0:1]
; %bb.179:
	v_and_b32_e32 v13, 1, v9
	v_and_b32_e32 v19, 1, v19
	v_cmp_eq_u32_e64 s[0:1], 1, v13
	s_nop 1
	v_cndmask_b32_e64 v19, v19, 1, s[0:1]
	v_cmp_eq_u16_e64 s[0:1], 0, v9
	v_or_b32_sdwa v13, v6, v19 dst_sel:DWORD dst_unused:UNUSED_PAD src0_sel:DWORD src1_sel:WORD_0
	s_nop 0
	v_cndmask_b32_e64 v9, 0, v17, s[0:1]
	v_add_u32_e32 v7, v9, v7
	v_mov_b32_e32 v9, v19
; %bb.180:
	s_or_b64 exec, exec, s[52:53]
	v_mov_b32_dpp v17, v7 row_shr:4 row_mask:0xf bank_mask:0xf
	v_mov_b32_dpp v19, v13 row_shr:4 row_mask:0xf bank_mask:0xf
	v_cmp_lt_u32_e64 s[0:1], 3, v15
	;; [unrolled: 18-line block ×3, first 2 shown]
	s_and_saveexec_b64 s[52:53], s[0:1]
; %bb.183:
	v_and_b32_e32 v13, 1, v9
	v_and_b32_e32 v15, 1, v19
	v_cmp_eq_u32_e64 s[0:1], 1, v13
	s_nop 1
	v_cndmask_b32_e64 v15, v15, 1, s[0:1]
	v_cmp_eq_u16_e64 s[0:1], 0, v9
	v_or_b32_sdwa v13, v6, v15 dst_sel:DWORD dst_unused:UNUSED_PAD src0_sel:DWORD src1_sel:WORD_0
	s_nop 0
	v_cndmask_b32_e64 v9, 0, v17, s[0:1]
	v_add_u32_e32 v7, v9, v7
	v_mov_b32_e32 v9, v15
; %bb.184:
	s_or_b64 exec, exec, s[52:53]
	v_and_b32_e32 v19, 16, v8
	v_mov_b32_dpp v15, v7 row_bcast:15 row_mask:0xf bank_mask:0xf
	v_mov_b32_dpp v17, v13 row_bcast:15 row_mask:0xf bank_mask:0xf
	v_cmp_ne_u32_e64 s[0:1], 0, v19
	s_and_saveexec_b64 s[52:53], s[0:1]
; %bb.185:
	v_and_b32_e32 v13, 1, v9
	v_and_b32_e32 v17, 1, v17
	v_cmp_eq_u32_e64 s[0:1], 1, v13
	s_nop 1
	v_cndmask_b32_e64 v17, v17, 1, s[0:1]
	v_cmp_eq_u16_e64 s[0:1], 0, v9
	v_or_b32_sdwa v13, v6, v17 dst_sel:DWORD dst_unused:UNUSED_PAD src0_sel:DWORD src1_sel:WORD_0
	s_nop 0
	v_cndmask_b32_e64 v9, 0, v15, s[0:1]
	v_add_u32_e32 v7, v9, v7
	v_mov_b32_e32 v9, v17
; %bb.186:
	s_or_b64 exec, exec, s[52:53]
	v_mov_b32_dpp v13, v13 row_bcast:31 row_mask:0xf bank_mask:0xf
	v_and_b32_e32 v17, 1, v9
	v_and_b32_e32 v13, 1, v13
	v_cmp_eq_u32_e64 s[0:1], 1, v17
	v_mov_b32_e32 v17, 0
	v_cmp_eq_u16_sdwa s[52:53], v9, v17 src0_sel:BYTE_0 src1_sel:DWORD
	v_cndmask_b32_e64 v13, v13, 1, s[0:1]
	v_cmp_lt_u32_e64 s[0:1], 31, v8
	v_mov_b32_dpp v15, v7 row_bcast:31 row_mask:0xf bank_mask:0xf
	s_movk_i32 s60, 0xff
	v_cndmask_b32_e64 v9, v9, v13, s[0:1]
	s_and_b64 s[0:1], s[0:1], s[52:53]
	v_cndmask_b32_e64 v13, 0, v15, s[0:1]
	v_add_u32_e32 v7, v13, v7
	v_add_u32_e32 v13, -1, v8
	v_and_b32_e32 v15, 64, v8
	v_cmp_lt_i32_e64 s[0:1], v13, v15
	v_and_or_b32 v6, v9, s60, v6
	s_nop 0
	v_cndmask_b32_e64 v8, v13, v8, s[0:1]
	v_lshlrev_b32_e32 v8, 2, v8
	ds_bpermute_b32 v7, v8, v7
	ds_bpermute_b32 v6, v8, v6
	v_cmp_eq_u16_sdwa s[0:1], v3, v17 src0_sel:BYTE_0 src1_sel:DWORD
	; wave barrier
	s_waitcnt lgkmcnt(1)
	s_nop 0
	v_cndmask_b32_e64 v3, 0, v7, s[0:1]
	v_add_u32_e32 v2, v3, v2
	s_waitcnt lgkmcnt(0)
	v_and_b32_e32 v3, 1, v6
	v_cmp_eq_u32_e64 s[0:1], 1, v5
	v_cndmask_b32_e64 v5, v2, v79, s[54:55]
	s_nop 0
	v_cndmask_b32_e64 v3, v3, 1, s[0:1]
	v_cndmask_b32_e64 v4, v3, v4, s[54:55]
	ds_write_b32 v1, v5
	ds_write_b8 v1, v4 offset:4
	; wave barrier
	ds_read_u8 v6, v1 offset:12
	ds_read2_b32 v[2:3], v1 offset0:2 offset1:4
	ds_read_u8 v7, v1 offset:20
	ds_read_b32 v8, v1 offset:24
	ds_read_u8 v9, v1 offset:28
	s_waitcnt lgkmcnt(4)
	v_cmp_eq_u16_e64 s[0:1], 0, v6
	s_nop 1
	v_cndmask_b32_e64 v5, 0, v5, s[0:1]
	s_waitcnt lgkmcnt(3)
	v_add_u32_e32 v2, v5, v2
	v_and_b32_e32 v5, 1, v6
	v_cmp_eq_u32_e64 s[0:1], 1, v5
	s_nop 1
	v_cndmask_b32_e64 v4, v4, 1, s[0:1]
	s_waitcnt lgkmcnt(2)
	v_cmp_eq_u16_e64 s[0:1], 0, v7
	ds_write_b8 v1, v4 offset:12
	s_nop 0
	v_cndmask_b32_e64 v5, 0, v2, s[0:1]
	v_add_u32_e32 v3, v5, v3
	v_and_b32_e32 v5, 1, v7
	v_cmp_eq_u32_e64 s[0:1], 1, v5
	s_nop 1
	v_cndmask_b32_e64 v4, v4, 1, s[0:1]
	s_waitcnt lgkmcnt(1)
	v_cmp_eq_u16_e64 s[0:1], 0, v9
	ds_write2_b32 v1, v2, v3 offset0:2 offset1:4
	ds_write_b8 v1, v4 offset:20
	v_cndmask_b32_e64 v2, 0, v3, s[0:1]
	v_and_b32_e32 v3, 1, v9
	v_add_u32_e32 v2, v2, v8
	v_cmp_eq_u32_e64 s[0:1], 1, v3
	s_nop 1
	v_cndmask_b32_e64 v3, v4, 1, s[0:1]
	ds_write_b32 v1, v2 offset:24
	ds_write_b8 v1, v3 offset:28
.LBB1256_187:
	s_or_b64 exec, exec, s[50:51]
	v_mov_b32_e32 v1, v79
	s_waitcnt lgkmcnt(0)
	s_barrier
	s_and_saveexec_b64 s[0:1], s[4:5]
	s_cbranch_execnz .LBB1256_265
; %bb.188:
	s_or_b64 exec, exec, s[0:1]
	s_and_saveexec_b64 s[50:51], s[4:5]
	s_cbranch_execnz .LBB1256_266
.LBB1256_189:
	s_or_b64 exec, exec, s[50:51]
	s_and_saveexec_b64 s[0:1], s[54:55]
	s_cbranch_execz .LBB1256_191
.LBB1256_190:
	v_mov_b32_e32 v5, 0
	ds_read_b32 v2, v5 offset:2096
	ds_read_u8 v3, v5 offset:2100
	s_add_u32 s4, s72, 0x400
	s_addc_u32 s5, s73, 0
	v_mov_b32_e32 v4, 2
	v_mov_b64_e32 v[6:7], s[4:5]
	s_waitcnt lgkmcnt(0)
	;;#ASMSTART
	global_store_dwordx4 v[6:7], v[2:5] off sc1	
s_waitcnt vmcnt(0)
	;;#ASMEND
.LBB1256_191:
	s_or_b64 exec, exec, s[0:1]
	v_mov_b32_e32 v80, v10
.LBB1256_192:
	s_add_u32 s0, s62, s58
	s_addc_u32 s1, s63, s59
	s_add_u32 s0, s0, s56
	s_addc_u32 s1, s1, s57
	s_and_b64 vcc, exec, s[2:3]
	s_cbranch_vccz .LBB1256_238
; %bb.193:
	s_movk_i32 s2, 0x5c
	v_mul_i32_i24_e32 v26, 0xffffffa8, v0
	s_waitcnt lgkmcnt(0)
	v_mul_u32_u24_e32 v1, 0x5c, v0
	v_mad_u32_u24 v2, v0, s2, v26
	s_barrier
	ds_write2_b32 v1, v80, v58 offset1:1
	ds_write2_b32 v1, v59, v60 offset0:2 offset1:3
	ds_write2_b32 v1, v61, v62 offset0:4 offset1:5
	ds_write2_b32 v1, v63, v64 offset0:6 offset1:7
	ds_write2_b32 v1, v65, v66 offset0:8 offset1:9
	ds_write2_b32 v1, v67, v68 offset0:10 offset1:11
	ds_write2_b32 v1, v69, v70 offset0:12 offset1:13
	ds_write2_b32 v1, v71, v72 offset0:14 offset1:15
	ds_write2_b32 v1, v73, v74 offset0:16 offset1:17
	ds_write2_b32 v1, v75, v76 offset0:18 offset1:19
	ds_write2_b32 v1, v77, v78 offset0:20 offset1:21
	ds_write_b32 v1, v79 offset:88
	s_waitcnt lgkmcnt(0)
	s_barrier
	ds_read2st64_b32 v[24:25], v2 offset0:4 offset1:8
	ds_read2st64_b32 v[22:23], v2 offset0:12 offset1:16
	ds_read2st64_b32 v[20:21], v2 offset0:20 offset1:24
	ds_read2st64_b32 v[18:19], v2 offset0:28 offset1:32
	ds_read2st64_b32 v[16:17], v2 offset0:36 offset1:40
	ds_read2st64_b32 v[14:15], v2 offset0:44 offset1:48
	ds_read2st64_b32 v[12:13], v2 offset0:52 offset1:56
	ds_read2st64_b32 v[10:11], v2 offset0:60 offset1:64
	ds_read2st64_b32 v[8:9], v2 offset0:68 offset1:72
	ds_read2st64_b32 v[6:7], v2 offset0:76 offset1:80
	ds_read2st64_b32 v[2:3], v2 offset0:84 offset1:88
	s_add_i32 s33, s33, s74
	v_mov_b32_e32 v55, 0
	v_lshl_add_u64 v[4:5], s[0:1], 0, v[54:55]
	v_cmp_gt_u32_e32 vcc, s33, v0
	s_and_saveexec_b64 s[2:3], vcc
	s_cbranch_execz .LBB1256_195
; %bb.194:
	v_add_u32_e32 v1, v1, v26
	ds_read_b32 v1, v1
	s_waitcnt lgkmcnt(0)
	flat_store_dword v[4:5], v1
.LBB1256_195:
	s_or_b64 exec, exec, s[2:3]
	v_or_b32_e32 v1, 0x100, v0
	v_cmp_gt_u32_e32 vcc, s33, v1
	s_and_saveexec_b64 s[2:3], vcc
	s_cbranch_execz .LBB1256_197
; %bb.196:
	s_waitcnt lgkmcnt(0)
	flat_store_dword v[4:5], v24 offset:1024
.LBB1256_197:
	s_or_b64 exec, exec, s[2:3]
	v_or_b32_e32 v1, 0x200, v0
	v_cmp_gt_u32_e32 vcc, s33, v1
	s_and_saveexec_b64 s[2:3], vcc
	s_cbranch_execz .LBB1256_199
; %bb.198:
	s_waitcnt lgkmcnt(0)
	flat_store_dword v[4:5], v25 offset:2048
.LBB1256_199:
	;; [unrolled: 9-line block ×3, first 2 shown]
	s_or_b64 exec, exec, s[2:3]
	v_or_b32_e32 v1, 0x400, v0
	v_cmp_gt_u32_e32 vcc, s33, v1
	s_and_saveexec_b64 s[2:3], vcc
	s_cbranch_execz .LBB1256_203
; %bb.202:
	s_waitcnt lgkmcnt(0)
	v_add_co_u32_e32 v24, vcc, 0x1000, v4
	s_nop 1
	v_addc_co_u32_e32 v25, vcc, 0, v5, vcc
	flat_store_dword v[24:25], v23
.LBB1256_203:
	s_or_b64 exec, exec, s[2:3]
	v_or_b32_e32 v1, 0x500, v0
	v_cmp_gt_u32_e32 vcc, s33, v1
	s_and_saveexec_b64 s[2:3], vcc
	s_cbranch_execz .LBB1256_205
; %bb.204:
	s_waitcnt lgkmcnt(0)
	v_add_co_u32_e32 v22, vcc, 0x1000, v4
	s_nop 1
	v_addc_co_u32_e32 v23, vcc, 0, v5, vcc
	flat_store_dword v[22:23], v20 offset:1024
.LBB1256_205:
	s_or_b64 exec, exec, s[2:3]
	v_or_b32_e32 v1, 0x600, v0
	v_cmp_gt_u32_e32 vcc, s33, v1
	s_and_saveexec_b64 s[2:3], vcc
	s_cbranch_execz .LBB1256_207
; %bb.206:
	s_waitcnt lgkmcnt(0)
	v_add_co_u32_e32 v22, vcc, 0x1000, v4
	s_nop 1
	v_addc_co_u32_e32 v23, vcc, 0, v5, vcc
	flat_store_dword v[22:23], v21 offset:2048
.LBB1256_207:
	s_or_b64 exec, exec, s[2:3]
	v_or_b32_e32 v1, 0x700, v0
	v_cmp_gt_u32_e32 vcc, s33, v1
	s_and_saveexec_b64 s[2:3], vcc
	s_cbranch_execz .LBB1256_209
; %bb.208:
	s_waitcnt lgkmcnt(0)
	v_add_co_u32_e32 v20, vcc, 0x1000, v4
	s_nop 1
	v_addc_co_u32_e32 v21, vcc, 0, v5, vcc
	flat_store_dword v[20:21], v18 offset:3072
.LBB1256_209:
	s_or_b64 exec, exec, s[2:3]
	v_or_b32_e32 v1, 0x800, v0
	v_cmp_gt_u32_e32 vcc, s33, v1
	s_and_saveexec_b64 s[2:3], vcc
	s_cbranch_execz .LBB1256_211
; %bb.210:
	s_waitcnt lgkmcnt(0)
	v_add_co_u32_e32 v20, vcc, 0x2000, v4
	s_nop 1
	v_addc_co_u32_e32 v21, vcc, 0, v5, vcc
	flat_store_dword v[20:21], v19
.LBB1256_211:
	s_or_b64 exec, exec, s[2:3]
	v_or_b32_e32 v1, 0x900, v0
	v_cmp_gt_u32_e32 vcc, s33, v1
	s_and_saveexec_b64 s[2:3], vcc
	s_cbranch_execz .LBB1256_213
; %bb.212:
	s_waitcnt lgkmcnt(0)
	v_add_co_u32_e32 v18, vcc, 0x2000, v4
	s_nop 1
	v_addc_co_u32_e32 v19, vcc, 0, v5, vcc
	flat_store_dword v[18:19], v16 offset:1024
.LBB1256_213:
	s_or_b64 exec, exec, s[2:3]
	v_or_b32_e32 v1, 0xa00, v0
	v_cmp_gt_u32_e32 vcc, s33, v1
	s_and_saveexec_b64 s[2:3], vcc
	s_cbranch_execz .LBB1256_215
; %bb.214:
	s_waitcnt lgkmcnt(0)
	v_add_co_u32_e32 v18, vcc, 0x2000, v4
	s_nop 1
	v_addc_co_u32_e32 v19, vcc, 0, v5, vcc
	flat_store_dword v[18:19], v17 offset:2048
.LBB1256_215:
	s_or_b64 exec, exec, s[2:3]
	v_or_b32_e32 v1, 0xb00, v0
	v_cmp_gt_u32_e32 vcc, s33, v1
	s_and_saveexec_b64 s[2:3], vcc
	s_cbranch_execz .LBB1256_217
; %bb.216:
	s_waitcnt lgkmcnt(0)
	v_add_co_u32_e32 v16, vcc, 0x2000, v4
	s_nop 1
	v_addc_co_u32_e32 v17, vcc, 0, v5, vcc
	flat_store_dword v[16:17], v14 offset:3072
.LBB1256_217:
	s_or_b64 exec, exec, s[2:3]
	v_or_b32_e32 v1, 0xc00, v0
	v_cmp_gt_u32_e32 vcc, s33, v1
	s_and_saveexec_b64 s[2:3], vcc
	s_cbranch_execz .LBB1256_219
; %bb.218:
	s_waitcnt lgkmcnt(0)
	v_add_co_u32_e32 v16, vcc, 0x3000, v4
	s_nop 1
	v_addc_co_u32_e32 v17, vcc, 0, v5, vcc
	flat_store_dword v[16:17], v15
.LBB1256_219:
	s_or_b64 exec, exec, s[2:3]
	v_or_b32_e32 v1, 0xd00, v0
	v_cmp_gt_u32_e32 vcc, s33, v1
	s_and_saveexec_b64 s[2:3], vcc
	s_cbranch_execz .LBB1256_221
; %bb.220:
	s_waitcnt lgkmcnt(0)
	v_add_co_u32_e32 v14, vcc, 0x3000, v4
	s_nop 1
	v_addc_co_u32_e32 v15, vcc, 0, v5, vcc
	flat_store_dword v[14:15], v12 offset:1024
.LBB1256_221:
	s_or_b64 exec, exec, s[2:3]
	v_or_b32_e32 v1, 0xe00, v0
	v_cmp_gt_u32_e32 vcc, s33, v1
	s_and_saveexec_b64 s[2:3], vcc
	s_cbranch_execz .LBB1256_223
; %bb.222:
	s_waitcnt lgkmcnt(0)
	v_add_co_u32_e32 v14, vcc, 0x3000, v4
	s_nop 1
	v_addc_co_u32_e32 v15, vcc, 0, v5, vcc
	flat_store_dword v[14:15], v13 offset:2048
.LBB1256_223:
	s_or_b64 exec, exec, s[2:3]
	v_or_b32_e32 v1, 0xf00, v0
	v_cmp_gt_u32_e32 vcc, s33, v1
	s_and_saveexec_b64 s[2:3], vcc
	s_cbranch_execz .LBB1256_225
; %bb.224:
	s_waitcnt lgkmcnt(0)
	v_add_co_u32_e32 v12, vcc, 0x3000, v4
	s_nop 1
	v_addc_co_u32_e32 v13, vcc, 0, v5, vcc
	flat_store_dword v[12:13], v10 offset:3072
.LBB1256_225:
	s_or_b64 exec, exec, s[2:3]
	v_or_b32_e32 v1, 0x1000, v0
	v_cmp_gt_u32_e32 vcc, s33, v1
	s_and_saveexec_b64 s[2:3], vcc
	s_cbranch_execz .LBB1256_227
; %bb.226:
	s_waitcnt lgkmcnt(0)
	v_add_co_u32_e32 v12, vcc, 0x4000, v4
	s_nop 1
	v_addc_co_u32_e32 v13, vcc, 0, v5, vcc
	flat_store_dword v[12:13], v11
.LBB1256_227:
	s_or_b64 exec, exec, s[2:3]
	v_or_b32_e32 v1, 0x1100, v0
	v_cmp_gt_u32_e32 vcc, s33, v1
	s_and_saveexec_b64 s[2:3], vcc
	s_cbranch_execz .LBB1256_229
; %bb.228:
	s_waitcnt lgkmcnt(0)
	v_add_co_u32_e32 v10, vcc, 0x4000, v4
	s_nop 1
	v_addc_co_u32_e32 v11, vcc, 0, v5, vcc
	flat_store_dword v[10:11], v8 offset:1024
.LBB1256_229:
	s_or_b64 exec, exec, s[2:3]
	v_or_b32_e32 v1, 0x1200, v0
	v_cmp_gt_u32_e32 vcc, s33, v1
	s_and_saveexec_b64 s[2:3], vcc
	s_cbranch_execz .LBB1256_231
; %bb.230:
	s_waitcnt lgkmcnt(0)
	v_add_co_u32_e32 v10, vcc, 0x4000, v4
	s_nop 1
	v_addc_co_u32_e32 v11, vcc, 0, v5, vcc
	flat_store_dword v[10:11], v9 offset:2048
.LBB1256_231:
	s_or_b64 exec, exec, s[2:3]
	v_or_b32_e32 v1, 0x1300, v0
	v_cmp_gt_u32_e32 vcc, s33, v1
	s_and_saveexec_b64 s[2:3], vcc
	s_cbranch_execz .LBB1256_233
; %bb.232:
	s_waitcnt lgkmcnt(0)
	v_add_co_u32_e32 v8, vcc, 0x4000, v4
	s_nop 1
	v_addc_co_u32_e32 v9, vcc, 0, v5, vcc
	flat_store_dword v[8:9], v6 offset:3072
.LBB1256_233:
	s_or_b64 exec, exec, s[2:3]
	v_or_b32_e32 v1, 0x1400, v0
	v_cmp_gt_u32_e32 vcc, s33, v1
	s_and_saveexec_b64 s[2:3], vcc
	s_cbranch_execz .LBB1256_235
; %bb.234:
	s_waitcnt lgkmcnt(0)
	v_add_co_u32_e32 v8, vcc, 0x5000, v4
	s_nop 1
	v_addc_co_u32_e32 v9, vcc, 0, v5, vcc
	flat_store_dword v[8:9], v7
.LBB1256_235:
	s_or_b64 exec, exec, s[2:3]
	v_or_b32_e32 v1, 0x1500, v0
	v_cmp_gt_u32_e32 vcc, s33, v1
	s_and_saveexec_b64 s[2:3], vcc
	s_cbranch_execz .LBB1256_237
; %bb.236:
	v_add_co_u32_e32 v4, vcc, 0x5000, v4
	s_nop 1
	v_addc_co_u32_e32 v5, vcc, 0, v5, vcc
	s_waitcnt lgkmcnt(0)
	flat_store_dword v[4:5], v2 offset:1024
.LBB1256_237:
	s_or_b64 exec, exec, s[2:3]
	s_waitcnt lgkmcnt(0)
	v_or_b32_e32 v2, 0x1600, v0
	v_mov_b32_e32 v1, v55
	v_cmp_gt_u32_e64 s[2:3], s33, v2
	s_branch .LBB1256_240
.LBB1256_238:
	s_mov_b64 s[2:3], 0
                                        ; implicit-def: $vgpr3
	s_cbranch_execz .LBB1256_240
; %bb.239:
	s_waitcnt lgkmcnt(0)
	v_mul_u32_u24_e32 v1, 0x5c, v0
	s_barrier
	s_movk_i32 s4, 0x5c
	ds_write2_b32 v1, v80, v58 offset1:1
	ds_write2_b32 v1, v59, v60 offset0:2 offset1:3
	ds_write2_b32 v1, v61, v62 offset0:4 offset1:5
	;; [unrolled: 1-line block ×10, first 2 shown]
	ds_write_b32 v1, v79 offset:88
	v_mov_b32_e32 v1, 0
	v_mul_i32_i24_e32 v2, 0xffffffa8, v0
	v_mad_u32_u24 v2, v0, s4, v2
	v_mov_b32_e32 v55, v1
	s_waitcnt lgkmcnt(0)
	s_barrier
	ds_read2st64_b32 v[4:5], v2 offset1:4
	ds_read2st64_b32 v[6:7], v2 offset0:8 offset1:12
	ds_read2st64_b32 v[8:9], v2 offset0:16 offset1:20
	;; [unrolled: 1-line block ×10, first 2 shown]
	ds_read_b32 v3, v2 offset:22528
	v_lshl_add_u64 v[26:27], s[0:1], 0, v[54:55]
	s_movk_i32 s4, 0x1000
	s_waitcnt lgkmcnt(0)
	flat_store_dword v[26:27], v4
	flat_store_dword v[26:27], v5 offset:1024
	flat_store_dword v[26:27], v6 offset:2048
	;; [unrolled: 1-line block ×3, first 2 shown]
	v_add_co_u32_e32 v4, vcc, s4, v26
	s_movk_i32 s4, 0x2000
	s_nop 0
	v_addc_co_u32_e32 v5, vcc, 0, v27, vcc
	flat_store_dword v[4:5], v8
	flat_store_dword v[4:5], v9 offset:1024
	flat_store_dword v[4:5], v10 offset:2048
	;; [unrolled: 1-line block ×3, first 2 shown]
	v_add_co_u32_e32 v4, vcc, s4, v26
	s_movk_i32 s4, 0x3000
	s_nop 0
	v_addc_co_u32_e32 v5, vcc, 0, v27, vcc
	flat_store_dword v[4:5], v12
	flat_store_dword v[4:5], v13 offset:1024
	flat_store_dword v[4:5], v14 offset:2048
	;; [unrolled: 1-line block ×3, first 2 shown]
	v_add_co_u32_e32 v4, vcc, s4, v26
	s_or_b64 s[2:3], s[2:3], exec
	s_nop 0
	v_addc_co_u32_e32 v5, vcc, 0, v27, vcc
	flat_store_dword v[4:5], v16
	flat_store_dword v[4:5], v17 offset:1024
	flat_store_dword v[4:5], v18 offset:2048
	;; [unrolled: 1-line block ×3, first 2 shown]
	v_add_co_u32_e32 v4, vcc, 0x4000, v26
	s_nop 1
	v_addc_co_u32_e32 v5, vcc, 0, v27, vcc
	flat_store_dword v[4:5], v20
	flat_store_dword v[4:5], v21 offset:1024
	flat_store_dword v[4:5], v22 offset:2048
	;; [unrolled: 1-line block ×3, first 2 shown]
	v_add_co_u32_e32 v4, vcc, 0x5000, v26
	s_nop 1
	v_addc_co_u32_e32 v5, vcc, 0, v27, vcc
	flat_store_dword v[4:5], v24
	flat_store_dword v[4:5], v25 offset:1024
.LBB1256_240:
	s_and_saveexec_b64 s[4:5], s[2:3]
	s_cbranch_execnz .LBB1256_242
; %bb.241:
	s_endpgm
.LBB1256_242:
	s_waitcnt lgkmcnt(0)
	v_lshl_add_u64 v[0:1], v[0:1], 2, s[0:1]
	v_add_co_u32_e32 v0, vcc, 0x5000, v0
	s_nop 1
	v_addc_co_u32_e32 v1, vcc, 0, v1, vcc
	flat_store_dword v[0:1], v3 offset:2048
	s_endpgm
.LBB1256_243:
	v_lshl_add_u64 v[48:49], s[60:61], 0, v[44:45]
	flat_load_dword v48, v[48:49]
	s_or_b64 exec, exec, s[0:1]
                                        ; implicit-def: $vgpr49
	s_and_saveexec_b64 s[0:1], s[8:9]
	s_cbranch_execz .LBB1256_59
.LBB1256_244:
	v_mov_b32_e32 v45, 0
	v_lshl_add_u64 v[50:51], s[60:61], 0, v[44:45]
	flat_load_dword v49, v[50:51] offset:1024
	s_or_b64 exec, exec, s[0:1]
                                        ; implicit-def: $vgpr50
	s_and_saveexec_b64 s[0:1], s[10:11]
	s_cbranch_execz .LBB1256_60
.LBB1256_245:
	v_mov_b32_e32 v45, 0
	v_lshl_add_u64 v[50:51], s[60:61], 0, v[44:45]
	flat_load_dword v50, v[50:51] offset:2048
	s_or_b64 exec, exec, s[0:1]
                                        ; implicit-def: $vgpr45
	s_and_saveexec_b64 s[0:1], s[12:13]
	s_cbranch_execz .LBB1256_61
.LBB1256_246:
	v_mov_b32_e32 v45, 0
	v_lshl_add_u64 v[52:53], s[60:61], 0, v[44:45]
	flat_load_dword v45, v[52:53] offset:3072
	s_or_b64 exec, exec, s[0:1]
                                        ; implicit-def: $vgpr3
	s_and_saveexec_b64 s[0:1], s[14:15]
	s_cbranch_execz .LBB1256_62
.LBB1256_247:
	v_mov_b32_e32 v3, 0
	v_lshl_add_u64 v[2:3], s[60:61], 0, v[2:3]
	flat_load_dword v3, v[2:3]
	s_or_b64 exec, exec, s[0:1]
                                        ; implicit-def: $vgpr2
	s_and_saveexec_b64 s[0:1], s[16:17]
	s_cbranch_execz .LBB1256_63
.LBB1256_248:
	v_mov_b32_e32 v11, 0
	v_lshl_add_u64 v[10:11], s[60:61], 0, v[10:11]
	flat_load_dword v2, v[10:11]
	s_or_b64 exec, exec, s[0:1]
                                        ; implicit-def: $vgpr10
	s_and_saveexec_b64 s[0:1], s[18:19]
	s_cbranch_execz .LBB1256_64
.LBB1256_249:
	v_mov_b32_e32 v13, 0
	v_lshl_add_u64 v[10:11], s[60:61], 0, v[12:13]
	flat_load_dword v10, v[10:11]
	s_or_b64 exec, exec, s[0:1]
                                        ; implicit-def: $vgpr11
	s_and_saveexec_b64 s[0:1], s[20:21]
	s_cbranch_execz .LBB1256_65
.LBB1256_250:
	v_mov_b32_e32 v15, 0
	v_lshl_add_u64 v[12:13], s[60:61], 0, v[14:15]
	flat_load_dword v11, v[12:13]
	s_or_b64 exec, exec, s[0:1]
                                        ; implicit-def: $vgpr12
	s_and_saveexec_b64 s[0:1], s[22:23]
	s_cbranch_execz .LBB1256_66
.LBB1256_251:
	v_mov_b32_e32 v17, 0
	v_lshl_add_u64 v[12:13], s[60:61], 0, v[16:17]
	flat_load_dword v12, v[12:13]
	s_or_b64 exec, exec, s[0:1]
                                        ; implicit-def: $vgpr13
	s_and_saveexec_b64 s[0:1], s[24:25]
	s_cbranch_execz .LBB1256_67
.LBB1256_252:
	v_mov_b32_e32 v19, 0
	v_lshl_add_u64 v[14:15], s[60:61], 0, v[18:19]
	flat_load_dword v13, v[14:15]
	s_or_b64 exec, exec, s[0:1]
                                        ; implicit-def: $vgpr14
	s_and_saveexec_b64 s[0:1], s[26:27]
	s_cbranch_execz .LBB1256_68
.LBB1256_253:
	v_mov_b32_e32 v21, 0
	v_lshl_add_u64 v[14:15], s[60:61], 0, v[20:21]
	flat_load_dword v14, v[14:15]
	s_or_b64 exec, exec, s[0:1]
                                        ; implicit-def: $vgpr15
	s_and_saveexec_b64 s[0:1], s[28:29]
	s_cbranch_execz .LBB1256_69
.LBB1256_254:
	v_mov_b32_e32 v23, 0
	v_lshl_add_u64 v[16:17], s[60:61], 0, v[22:23]
	flat_load_dword v15, v[16:17]
	s_or_b64 exec, exec, s[0:1]
                                        ; implicit-def: $vgpr16
	s_and_saveexec_b64 s[0:1], s[30:31]
	s_cbranch_execz .LBB1256_70
.LBB1256_255:
	v_mov_b32_e32 v25, 0
	v_lshl_add_u64 v[16:17], s[60:61], 0, v[24:25]
	flat_load_dword v16, v[16:17]
	s_or_b64 exec, exec, s[0:1]
                                        ; implicit-def: $vgpr17
	s_and_saveexec_b64 s[0:1], s[34:35]
	s_cbranch_execz .LBB1256_71
.LBB1256_256:
	v_mov_b32_e32 v27, 0
	v_lshl_add_u64 v[18:19], s[60:61], 0, v[26:27]
	flat_load_dword v17, v[18:19]
	s_or_b64 exec, exec, s[0:1]
                                        ; implicit-def: $vgpr18
	s_and_saveexec_b64 s[0:1], s[36:37]
	s_cbranch_execz .LBB1256_72
.LBB1256_257:
	v_mov_b32_e32 v29, 0
	v_lshl_add_u64 v[18:19], s[60:61], 0, v[28:29]
	flat_load_dword v18, v[18:19]
	s_or_b64 exec, exec, s[0:1]
                                        ; implicit-def: $vgpr19
	s_and_saveexec_b64 s[0:1], s[38:39]
	s_cbranch_execz .LBB1256_73
.LBB1256_258:
	v_mov_b32_e32 v31, 0
	v_lshl_add_u64 v[20:21], s[60:61], 0, v[30:31]
	flat_load_dword v19, v[20:21]
	s_or_b64 exec, exec, s[0:1]
                                        ; implicit-def: $vgpr20
	s_and_saveexec_b64 s[0:1], s[40:41]
	s_cbranch_execz .LBB1256_74
.LBB1256_259:
	v_mov_b32_e32 v33, 0
	v_lshl_add_u64 v[20:21], s[60:61], 0, v[32:33]
	flat_load_dword v20, v[20:21]
	s_or_b64 exec, exec, s[0:1]
                                        ; implicit-def: $vgpr21
	s_and_saveexec_b64 s[0:1], s[42:43]
	s_cbranch_execz .LBB1256_75
.LBB1256_260:
	v_mov_b32_e32 v35, 0
	v_lshl_add_u64 v[22:23], s[60:61], 0, v[34:35]
	flat_load_dword v21, v[22:23]
	s_or_b64 exec, exec, s[0:1]
                                        ; implicit-def: $vgpr22
	s_and_saveexec_b64 s[0:1], s[44:45]
	s_cbranch_execz .LBB1256_76
.LBB1256_261:
	v_mov_b32_e32 v37, 0
	v_lshl_add_u64 v[22:23], s[60:61], 0, v[36:37]
	flat_load_dword v22, v[22:23]
	s_or_b64 exec, exec, s[0:1]
                                        ; implicit-def: $vgpr23
	s_and_saveexec_b64 s[0:1], s[46:47]
	s_cbranch_execz .LBB1256_77
.LBB1256_262:
	v_mov_b32_e32 v39, 0
	v_lshl_add_u64 v[24:25], s[60:61], 0, v[38:39]
	flat_load_dword v23, v[24:25]
	s_or_b64 exec, exec, s[0:1]
                                        ; implicit-def: $vgpr24
	s_and_saveexec_b64 s[0:1], s[48:49]
	s_cbranch_execz .LBB1256_78
.LBB1256_263:
	v_mov_b32_e32 v41, 0
	v_lshl_add_u64 v[24:25], s[60:61], 0, v[40:41]
	flat_load_dword v24, v[24:25]
	s_or_b64 exec, exec, s[0:1]
                                        ; implicit-def: $vgpr25
	s_and_saveexec_b64 s[0:1], s[50:51]
	s_cbranch_execz .LBB1256_79
.LBB1256_264:
	v_mov_b32_e32 v43, 0
	v_lshl_add_u64 v[26:27], s[60:61], 0, v[42:43]
	flat_load_dword v25, v[26:27]
	s_or_b64 exec, exec, s[0:1]
                                        ; implicit-def: $vgpr26
	s_and_saveexec_b64 s[0:1], s[52:53]
	s_cbranch_execnz .LBB1256_80
	s_branch .LBB1256_81
.LBB1256_265:
	v_add_u32_e32 v1, -1, v0
	v_lshrrev_b32_e32 v2, 5, v1
	v_add_lshl_u32 v1, v2, v1, 3
	ds_read_b32 v1, v1
	s_or_b64 exec, exec, s[0:1]
	s_and_saveexec_b64 s[50:51], s[4:5]
	s_cbranch_execz .LBB1256_189
.LBB1256_266:
	v_and_b32_e32 v3, 0xff, v11
	v_mov_b32_e32 v2, 0
	v_cmp_eq_u64_e64 s[0:1], 0, v[2:3]
	;;#ASMSTART
	;;#ASMEND
	s_waitcnt lgkmcnt(0)
	s_nop 0
	v_cndmask_b32_e64 v1, 0, v1, s[0:1]
	v_add_u32_e32 v10, v1, v10
	v_cndmask_b32_e32 v1, 0, v10, vcc
	v_add_u32_e32 v58, v1, v12
	v_cndmask_b32_e64 v1, 0, v58, s[6:7]
	v_add_u32_e32 v59, v1, v14
	v_cndmask_b32_e64 v1, 0, v59, s[8:9]
	;; [unrolled: 2-line block ×21, first 2 shown]
	v_add_u32_e32 v79, v1, v56
	s_or_b64 exec, exec, s[50:51]
	s_and_saveexec_b64 s[0:1], s[54:55]
	s_cbranch_execnz .LBB1256_190
	s_branch .LBB1256_191
.LBB1256_267:
                                        ; implicit-def: $sgpr0_sgpr1
	s_branch .LBB1256_54
.LBB1256_268:
                                        ; implicit-def: $sgpr0_sgpr1
	s_branch .LBB1256_130
	.section	.rodata,"a",@progbits
	.p2align	6, 0x0
	.amdhsa_kernel _ZN7rocprim17ROCPRIM_400000_NS6detail17trampoline_kernelINS0_14default_configENS1_27scan_by_key_config_selectorIijEEZZNS1_16scan_by_key_implILNS1_25lookback_scan_determinismE0ELb0ES3_N6thrust23THRUST_200600_302600_NS6detail15normal_iteratorINS9_10device_ptrIiEEEENSB_INSC_IjEEEESG_jNS9_4plusIvEENS9_8equal_toIvEEjEE10hipError_tPvRmT2_T3_T4_T5_mT6_T7_P12ihipStream_tbENKUlT_T0_E_clISt17integral_constantIbLb0EES10_IbLb1EEEEDaSW_SX_EUlSW_E_NS1_11comp_targetILNS1_3genE5ELNS1_11target_archE942ELNS1_3gpuE9ELNS1_3repE0EEENS1_30default_config_static_selectorELNS0_4arch9wavefront6targetE1EEEvT1_
		.amdhsa_group_segment_fixed_size 25600
		.amdhsa_private_segment_fixed_size 0
		.amdhsa_kernarg_size 112
		.amdhsa_user_sgpr_count 2
		.amdhsa_user_sgpr_dispatch_ptr 0
		.amdhsa_user_sgpr_queue_ptr 0
		.amdhsa_user_sgpr_kernarg_segment_ptr 1
		.amdhsa_user_sgpr_dispatch_id 0
		.amdhsa_user_sgpr_kernarg_preload_length 0
		.amdhsa_user_sgpr_kernarg_preload_offset 0
		.amdhsa_user_sgpr_private_segment_size 0
		.amdhsa_uses_dynamic_stack 0
		.amdhsa_enable_private_segment 0
		.amdhsa_system_sgpr_workgroup_id_x 1
		.amdhsa_system_sgpr_workgroup_id_y 0
		.amdhsa_system_sgpr_workgroup_id_z 0
		.amdhsa_system_sgpr_workgroup_info 0
		.amdhsa_system_vgpr_workitem_id 0
		.amdhsa_next_free_vgpr 81
		.amdhsa_next_free_sgpr 85
		.amdhsa_accum_offset 84
		.amdhsa_reserve_vcc 1
		.amdhsa_float_round_mode_32 0
		.amdhsa_float_round_mode_16_64 0
		.amdhsa_float_denorm_mode_32 3
		.amdhsa_float_denorm_mode_16_64 3
		.amdhsa_dx10_clamp 1
		.amdhsa_ieee_mode 1
		.amdhsa_fp16_overflow 0
		.amdhsa_tg_split 0
		.amdhsa_exception_fp_ieee_invalid_op 0
		.amdhsa_exception_fp_denorm_src 0
		.amdhsa_exception_fp_ieee_div_zero 0
		.amdhsa_exception_fp_ieee_overflow 0
		.amdhsa_exception_fp_ieee_underflow 0
		.amdhsa_exception_fp_ieee_inexact 0
		.amdhsa_exception_int_div_zero 0
	.end_amdhsa_kernel
	.section	.text._ZN7rocprim17ROCPRIM_400000_NS6detail17trampoline_kernelINS0_14default_configENS1_27scan_by_key_config_selectorIijEEZZNS1_16scan_by_key_implILNS1_25lookback_scan_determinismE0ELb0ES3_N6thrust23THRUST_200600_302600_NS6detail15normal_iteratorINS9_10device_ptrIiEEEENSB_INSC_IjEEEESG_jNS9_4plusIvEENS9_8equal_toIvEEjEE10hipError_tPvRmT2_T3_T4_T5_mT6_T7_P12ihipStream_tbENKUlT_T0_E_clISt17integral_constantIbLb0EES10_IbLb1EEEEDaSW_SX_EUlSW_E_NS1_11comp_targetILNS1_3genE5ELNS1_11target_archE942ELNS1_3gpuE9ELNS1_3repE0EEENS1_30default_config_static_selectorELNS0_4arch9wavefront6targetE1EEEvT1_,"axG",@progbits,_ZN7rocprim17ROCPRIM_400000_NS6detail17trampoline_kernelINS0_14default_configENS1_27scan_by_key_config_selectorIijEEZZNS1_16scan_by_key_implILNS1_25lookback_scan_determinismE0ELb0ES3_N6thrust23THRUST_200600_302600_NS6detail15normal_iteratorINS9_10device_ptrIiEEEENSB_INSC_IjEEEESG_jNS9_4plusIvEENS9_8equal_toIvEEjEE10hipError_tPvRmT2_T3_T4_T5_mT6_T7_P12ihipStream_tbENKUlT_T0_E_clISt17integral_constantIbLb0EES10_IbLb1EEEEDaSW_SX_EUlSW_E_NS1_11comp_targetILNS1_3genE5ELNS1_11target_archE942ELNS1_3gpuE9ELNS1_3repE0EEENS1_30default_config_static_selectorELNS0_4arch9wavefront6targetE1EEEvT1_,comdat
.Lfunc_end1256:
	.size	_ZN7rocprim17ROCPRIM_400000_NS6detail17trampoline_kernelINS0_14default_configENS1_27scan_by_key_config_selectorIijEEZZNS1_16scan_by_key_implILNS1_25lookback_scan_determinismE0ELb0ES3_N6thrust23THRUST_200600_302600_NS6detail15normal_iteratorINS9_10device_ptrIiEEEENSB_INSC_IjEEEESG_jNS9_4plusIvEENS9_8equal_toIvEEjEE10hipError_tPvRmT2_T3_T4_T5_mT6_T7_P12ihipStream_tbENKUlT_T0_E_clISt17integral_constantIbLb0EES10_IbLb1EEEEDaSW_SX_EUlSW_E_NS1_11comp_targetILNS1_3genE5ELNS1_11target_archE942ELNS1_3gpuE9ELNS1_3repE0EEENS1_30default_config_static_selectorELNS0_4arch9wavefront6targetE1EEEvT1_, .Lfunc_end1256-_ZN7rocprim17ROCPRIM_400000_NS6detail17trampoline_kernelINS0_14default_configENS1_27scan_by_key_config_selectorIijEEZZNS1_16scan_by_key_implILNS1_25lookback_scan_determinismE0ELb0ES3_N6thrust23THRUST_200600_302600_NS6detail15normal_iteratorINS9_10device_ptrIiEEEENSB_INSC_IjEEEESG_jNS9_4plusIvEENS9_8equal_toIvEEjEE10hipError_tPvRmT2_T3_T4_T5_mT6_T7_P12ihipStream_tbENKUlT_T0_E_clISt17integral_constantIbLb0EES10_IbLb1EEEEDaSW_SX_EUlSW_E_NS1_11comp_targetILNS1_3genE5ELNS1_11target_archE942ELNS1_3gpuE9ELNS1_3repE0EEENS1_30default_config_static_selectorELNS0_4arch9wavefront6targetE1EEEvT1_
                                        ; -- End function
	.section	.AMDGPU.csdata,"",@progbits
; Kernel info:
; codeLenInByte = 15516
; NumSgprs: 91
; NumVgprs: 81
; NumAgprs: 0
; TotalNumVgprs: 81
; ScratchSize: 0
; MemoryBound: 0
; FloatMode: 240
; IeeeMode: 1
; LDSByteSize: 25600 bytes/workgroup (compile time only)
; SGPRBlocks: 11
; VGPRBlocks: 10
; NumSGPRsForWavesPerEU: 91
; NumVGPRsForWavesPerEU: 81
; AccumOffset: 84
; Occupancy: 2
; WaveLimiterHint : 1
; COMPUTE_PGM_RSRC2:SCRATCH_EN: 0
; COMPUTE_PGM_RSRC2:USER_SGPR: 2
; COMPUTE_PGM_RSRC2:TRAP_HANDLER: 0
; COMPUTE_PGM_RSRC2:TGID_X_EN: 1
; COMPUTE_PGM_RSRC2:TGID_Y_EN: 0
; COMPUTE_PGM_RSRC2:TGID_Z_EN: 0
; COMPUTE_PGM_RSRC2:TIDIG_COMP_CNT: 0
; COMPUTE_PGM_RSRC3_GFX90A:ACCUM_OFFSET: 20
; COMPUTE_PGM_RSRC3_GFX90A:TG_SPLIT: 0
	.section	.text._ZN7rocprim17ROCPRIM_400000_NS6detail17trampoline_kernelINS0_14default_configENS1_27scan_by_key_config_selectorIijEEZZNS1_16scan_by_key_implILNS1_25lookback_scan_determinismE0ELb0ES3_N6thrust23THRUST_200600_302600_NS6detail15normal_iteratorINS9_10device_ptrIiEEEENSB_INSC_IjEEEESG_jNS9_4plusIvEENS9_8equal_toIvEEjEE10hipError_tPvRmT2_T3_T4_T5_mT6_T7_P12ihipStream_tbENKUlT_T0_E_clISt17integral_constantIbLb0EES10_IbLb1EEEEDaSW_SX_EUlSW_E_NS1_11comp_targetILNS1_3genE4ELNS1_11target_archE910ELNS1_3gpuE8ELNS1_3repE0EEENS1_30default_config_static_selectorELNS0_4arch9wavefront6targetE1EEEvT1_,"axG",@progbits,_ZN7rocprim17ROCPRIM_400000_NS6detail17trampoline_kernelINS0_14default_configENS1_27scan_by_key_config_selectorIijEEZZNS1_16scan_by_key_implILNS1_25lookback_scan_determinismE0ELb0ES3_N6thrust23THRUST_200600_302600_NS6detail15normal_iteratorINS9_10device_ptrIiEEEENSB_INSC_IjEEEESG_jNS9_4plusIvEENS9_8equal_toIvEEjEE10hipError_tPvRmT2_T3_T4_T5_mT6_T7_P12ihipStream_tbENKUlT_T0_E_clISt17integral_constantIbLb0EES10_IbLb1EEEEDaSW_SX_EUlSW_E_NS1_11comp_targetILNS1_3genE4ELNS1_11target_archE910ELNS1_3gpuE8ELNS1_3repE0EEENS1_30default_config_static_selectorELNS0_4arch9wavefront6targetE1EEEvT1_,comdat
	.protected	_ZN7rocprim17ROCPRIM_400000_NS6detail17trampoline_kernelINS0_14default_configENS1_27scan_by_key_config_selectorIijEEZZNS1_16scan_by_key_implILNS1_25lookback_scan_determinismE0ELb0ES3_N6thrust23THRUST_200600_302600_NS6detail15normal_iteratorINS9_10device_ptrIiEEEENSB_INSC_IjEEEESG_jNS9_4plusIvEENS9_8equal_toIvEEjEE10hipError_tPvRmT2_T3_T4_T5_mT6_T7_P12ihipStream_tbENKUlT_T0_E_clISt17integral_constantIbLb0EES10_IbLb1EEEEDaSW_SX_EUlSW_E_NS1_11comp_targetILNS1_3genE4ELNS1_11target_archE910ELNS1_3gpuE8ELNS1_3repE0EEENS1_30default_config_static_selectorELNS0_4arch9wavefront6targetE1EEEvT1_ ; -- Begin function _ZN7rocprim17ROCPRIM_400000_NS6detail17trampoline_kernelINS0_14default_configENS1_27scan_by_key_config_selectorIijEEZZNS1_16scan_by_key_implILNS1_25lookback_scan_determinismE0ELb0ES3_N6thrust23THRUST_200600_302600_NS6detail15normal_iteratorINS9_10device_ptrIiEEEENSB_INSC_IjEEEESG_jNS9_4plusIvEENS9_8equal_toIvEEjEE10hipError_tPvRmT2_T3_T4_T5_mT6_T7_P12ihipStream_tbENKUlT_T0_E_clISt17integral_constantIbLb0EES10_IbLb1EEEEDaSW_SX_EUlSW_E_NS1_11comp_targetILNS1_3genE4ELNS1_11target_archE910ELNS1_3gpuE8ELNS1_3repE0EEENS1_30default_config_static_selectorELNS0_4arch9wavefront6targetE1EEEvT1_
	.globl	_ZN7rocprim17ROCPRIM_400000_NS6detail17trampoline_kernelINS0_14default_configENS1_27scan_by_key_config_selectorIijEEZZNS1_16scan_by_key_implILNS1_25lookback_scan_determinismE0ELb0ES3_N6thrust23THRUST_200600_302600_NS6detail15normal_iteratorINS9_10device_ptrIiEEEENSB_INSC_IjEEEESG_jNS9_4plusIvEENS9_8equal_toIvEEjEE10hipError_tPvRmT2_T3_T4_T5_mT6_T7_P12ihipStream_tbENKUlT_T0_E_clISt17integral_constantIbLb0EES10_IbLb1EEEEDaSW_SX_EUlSW_E_NS1_11comp_targetILNS1_3genE4ELNS1_11target_archE910ELNS1_3gpuE8ELNS1_3repE0EEENS1_30default_config_static_selectorELNS0_4arch9wavefront6targetE1EEEvT1_
	.p2align	8
	.type	_ZN7rocprim17ROCPRIM_400000_NS6detail17trampoline_kernelINS0_14default_configENS1_27scan_by_key_config_selectorIijEEZZNS1_16scan_by_key_implILNS1_25lookback_scan_determinismE0ELb0ES3_N6thrust23THRUST_200600_302600_NS6detail15normal_iteratorINS9_10device_ptrIiEEEENSB_INSC_IjEEEESG_jNS9_4plusIvEENS9_8equal_toIvEEjEE10hipError_tPvRmT2_T3_T4_T5_mT6_T7_P12ihipStream_tbENKUlT_T0_E_clISt17integral_constantIbLb0EES10_IbLb1EEEEDaSW_SX_EUlSW_E_NS1_11comp_targetILNS1_3genE4ELNS1_11target_archE910ELNS1_3gpuE8ELNS1_3repE0EEENS1_30default_config_static_selectorELNS0_4arch9wavefront6targetE1EEEvT1_,@function
_ZN7rocprim17ROCPRIM_400000_NS6detail17trampoline_kernelINS0_14default_configENS1_27scan_by_key_config_selectorIijEEZZNS1_16scan_by_key_implILNS1_25lookback_scan_determinismE0ELb0ES3_N6thrust23THRUST_200600_302600_NS6detail15normal_iteratorINS9_10device_ptrIiEEEENSB_INSC_IjEEEESG_jNS9_4plusIvEENS9_8equal_toIvEEjEE10hipError_tPvRmT2_T3_T4_T5_mT6_T7_P12ihipStream_tbENKUlT_T0_E_clISt17integral_constantIbLb0EES10_IbLb1EEEEDaSW_SX_EUlSW_E_NS1_11comp_targetILNS1_3genE4ELNS1_11target_archE910ELNS1_3gpuE8ELNS1_3repE0EEENS1_30default_config_static_selectorELNS0_4arch9wavefront6targetE1EEEvT1_: ; @_ZN7rocprim17ROCPRIM_400000_NS6detail17trampoline_kernelINS0_14default_configENS1_27scan_by_key_config_selectorIijEEZZNS1_16scan_by_key_implILNS1_25lookback_scan_determinismE0ELb0ES3_N6thrust23THRUST_200600_302600_NS6detail15normal_iteratorINS9_10device_ptrIiEEEENSB_INSC_IjEEEESG_jNS9_4plusIvEENS9_8equal_toIvEEjEE10hipError_tPvRmT2_T3_T4_T5_mT6_T7_P12ihipStream_tbENKUlT_T0_E_clISt17integral_constantIbLb0EES10_IbLb1EEEEDaSW_SX_EUlSW_E_NS1_11comp_targetILNS1_3genE4ELNS1_11target_archE910ELNS1_3gpuE8ELNS1_3repE0EEENS1_30default_config_static_selectorELNS0_4arch9wavefront6targetE1EEEvT1_
; %bb.0:
	.section	.rodata,"a",@progbits
	.p2align	6, 0x0
	.amdhsa_kernel _ZN7rocprim17ROCPRIM_400000_NS6detail17trampoline_kernelINS0_14default_configENS1_27scan_by_key_config_selectorIijEEZZNS1_16scan_by_key_implILNS1_25lookback_scan_determinismE0ELb0ES3_N6thrust23THRUST_200600_302600_NS6detail15normal_iteratorINS9_10device_ptrIiEEEENSB_INSC_IjEEEESG_jNS9_4plusIvEENS9_8equal_toIvEEjEE10hipError_tPvRmT2_T3_T4_T5_mT6_T7_P12ihipStream_tbENKUlT_T0_E_clISt17integral_constantIbLb0EES10_IbLb1EEEEDaSW_SX_EUlSW_E_NS1_11comp_targetILNS1_3genE4ELNS1_11target_archE910ELNS1_3gpuE8ELNS1_3repE0EEENS1_30default_config_static_selectorELNS0_4arch9wavefront6targetE1EEEvT1_
		.amdhsa_group_segment_fixed_size 0
		.amdhsa_private_segment_fixed_size 0
		.amdhsa_kernarg_size 112
		.amdhsa_user_sgpr_count 2
		.amdhsa_user_sgpr_dispatch_ptr 0
		.amdhsa_user_sgpr_queue_ptr 0
		.amdhsa_user_sgpr_kernarg_segment_ptr 1
		.amdhsa_user_sgpr_dispatch_id 0
		.amdhsa_user_sgpr_kernarg_preload_length 0
		.amdhsa_user_sgpr_kernarg_preload_offset 0
		.amdhsa_user_sgpr_private_segment_size 0
		.amdhsa_uses_dynamic_stack 0
		.amdhsa_enable_private_segment 0
		.amdhsa_system_sgpr_workgroup_id_x 1
		.amdhsa_system_sgpr_workgroup_id_y 0
		.amdhsa_system_sgpr_workgroup_id_z 0
		.amdhsa_system_sgpr_workgroup_info 0
		.amdhsa_system_vgpr_workitem_id 0
		.amdhsa_next_free_vgpr 1
		.amdhsa_next_free_sgpr 0
		.amdhsa_accum_offset 4
		.amdhsa_reserve_vcc 0
		.amdhsa_float_round_mode_32 0
		.amdhsa_float_round_mode_16_64 0
		.amdhsa_float_denorm_mode_32 3
		.amdhsa_float_denorm_mode_16_64 3
		.amdhsa_dx10_clamp 1
		.amdhsa_ieee_mode 1
		.amdhsa_fp16_overflow 0
		.amdhsa_tg_split 0
		.amdhsa_exception_fp_ieee_invalid_op 0
		.amdhsa_exception_fp_denorm_src 0
		.amdhsa_exception_fp_ieee_div_zero 0
		.amdhsa_exception_fp_ieee_overflow 0
		.amdhsa_exception_fp_ieee_underflow 0
		.amdhsa_exception_fp_ieee_inexact 0
		.amdhsa_exception_int_div_zero 0
	.end_amdhsa_kernel
	.section	.text._ZN7rocprim17ROCPRIM_400000_NS6detail17trampoline_kernelINS0_14default_configENS1_27scan_by_key_config_selectorIijEEZZNS1_16scan_by_key_implILNS1_25lookback_scan_determinismE0ELb0ES3_N6thrust23THRUST_200600_302600_NS6detail15normal_iteratorINS9_10device_ptrIiEEEENSB_INSC_IjEEEESG_jNS9_4plusIvEENS9_8equal_toIvEEjEE10hipError_tPvRmT2_T3_T4_T5_mT6_T7_P12ihipStream_tbENKUlT_T0_E_clISt17integral_constantIbLb0EES10_IbLb1EEEEDaSW_SX_EUlSW_E_NS1_11comp_targetILNS1_3genE4ELNS1_11target_archE910ELNS1_3gpuE8ELNS1_3repE0EEENS1_30default_config_static_selectorELNS0_4arch9wavefront6targetE1EEEvT1_,"axG",@progbits,_ZN7rocprim17ROCPRIM_400000_NS6detail17trampoline_kernelINS0_14default_configENS1_27scan_by_key_config_selectorIijEEZZNS1_16scan_by_key_implILNS1_25lookback_scan_determinismE0ELb0ES3_N6thrust23THRUST_200600_302600_NS6detail15normal_iteratorINS9_10device_ptrIiEEEENSB_INSC_IjEEEESG_jNS9_4plusIvEENS9_8equal_toIvEEjEE10hipError_tPvRmT2_T3_T4_T5_mT6_T7_P12ihipStream_tbENKUlT_T0_E_clISt17integral_constantIbLb0EES10_IbLb1EEEEDaSW_SX_EUlSW_E_NS1_11comp_targetILNS1_3genE4ELNS1_11target_archE910ELNS1_3gpuE8ELNS1_3repE0EEENS1_30default_config_static_selectorELNS0_4arch9wavefront6targetE1EEEvT1_,comdat
.Lfunc_end1257:
	.size	_ZN7rocprim17ROCPRIM_400000_NS6detail17trampoline_kernelINS0_14default_configENS1_27scan_by_key_config_selectorIijEEZZNS1_16scan_by_key_implILNS1_25lookback_scan_determinismE0ELb0ES3_N6thrust23THRUST_200600_302600_NS6detail15normal_iteratorINS9_10device_ptrIiEEEENSB_INSC_IjEEEESG_jNS9_4plusIvEENS9_8equal_toIvEEjEE10hipError_tPvRmT2_T3_T4_T5_mT6_T7_P12ihipStream_tbENKUlT_T0_E_clISt17integral_constantIbLb0EES10_IbLb1EEEEDaSW_SX_EUlSW_E_NS1_11comp_targetILNS1_3genE4ELNS1_11target_archE910ELNS1_3gpuE8ELNS1_3repE0EEENS1_30default_config_static_selectorELNS0_4arch9wavefront6targetE1EEEvT1_, .Lfunc_end1257-_ZN7rocprim17ROCPRIM_400000_NS6detail17trampoline_kernelINS0_14default_configENS1_27scan_by_key_config_selectorIijEEZZNS1_16scan_by_key_implILNS1_25lookback_scan_determinismE0ELb0ES3_N6thrust23THRUST_200600_302600_NS6detail15normal_iteratorINS9_10device_ptrIiEEEENSB_INSC_IjEEEESG_jNS9_4plusIvEENS9_8equal_toIvEEjEE10hipError_tPvRmT2_T3_T4_T5_mT6_T7_P12ihipStream_tbENKUlT_T0_E_clISt17integral_constantIbLb0EES10_IbLb1EEEEDaSW_SX_EUlSW_E_NS1_11comp_targetILNS1_3genE4ELNS1_11target_archE910ELNS1_3gpuE8ELNS1_3repE0EEENS1_30default_config_static_selectorELNS0_4arch9wavefront6targetE1EEEvT1_
                                        ; -- End function
	.section	.AMDGPU.csdata,"",@progbits
; Kernel info:
; codeLenInByte = 0
; NumSgprs: 6
; NumVgprs: 0
; NumAgprs: 0
; TotalNumVgprs: 0
; ScratchSize: 0
; MemoryBound: 0
; FloatMode: 240
; IeeeMode: 1
; LDSByteSize: 0 bytes/workgroup (compile time only)
; SGPRBlocks: 0
; VGPRBlocks: 0
; NumSGPRsForWavesPerEU: 6
; NumVGPRsForWavesPerEU: 1
; AccumOffset: 4
; Occupancy: 8
; WaveLimiterHint : 0
; COMPUTE_PGM_RSRC2:SCRATCH_EN: 0
; COMPUTE_PGM_RSRC2:USER_SGPR: 2
; COMPUTE_PGM_RSRC2:TRAP_HANDLER: 0
; COMPUTE_PGM_RSRC2:TGID_X_EN: 1
; COMPUTE_PGM_RSRC2:TGID_Y_EN: 0
; COMPUTE_PGM_RSRC2:TGID_Z_EN: 0
; COMPUTE_PGM_RSRC2:TIDIG_COMP_CNT: 0
; COMPUTE_PGM_RSRC3_GFX90A:ACCUM_OFFSET: 0
; COMPUTE_PGM_RSRC3_GFX90A:TG_SPLIT: 0
	.section	.text._ZN7rocprim17ROCPRIM_400000_NS6detail17trampoline_kernelINS0_14default_configENS1_27scan_by_key_config_selectorIijEEZZNS1_16scan_by_key_implILNS1_25lookback_scan_determinismE0ELb0ES3_N6thrust23THRUST_200600_302600_NS6detail15normal_iteratorINS9_10device_ptrIiEEEENSB_INSC_IjEEEESG_jNS9_4plusIvEENS9_8equal_toIvEEjEE10hipError_tPvRmT2_T3_T4_T5_mT6_T7_P12ihipStream_tbENKUlT_T0_E_clISt17integral_constantIbLb0EES10_IbLb1EEEEDaSW_SX_EUlSW_E_NS1_11comp_targetILNS1_3genE3ELNS1_11target_archE908ELNS1_3gpuE7ELNS1_3repE0EEENS1_30default_config_static_selectorELNS0_4arch9wavefront6targetE1EEEvT1_,"axG",@progbits,_ZN7rocprim17ROCPRIM_400000_NS6detail17trampoline_kernelINS0_14default_configENS1_27scan_by_key_config_selectorIijEEZZNS1_16scan_by_key_implILNS1_25lookback_scan_determinismE0ELb0ES3_N6thrust23THRUST_200600_302600_NS6detail15normal_iteratorINS9_10device_ptrIiEEEENSB_INSC_IjEEEESG_jNS9_4plusIvEENS9_8equal_toIvEEjEE10hipError_tPvRmT2_T3_T4_T5_mT6_T7_P12ihipStream_tbENKUlT_T0_E_clISt17integral_constantIbLb0EES10_IbLb1EEEEDaSW_SX_EUlSW_E_NS1_11comp_targetILNS1_3genE3ELNS1_11target_archE908ELNS1_3gpuE7ELNS1_3repE0EEENS1_30default_config_static_selectorELNS0_4arch9wavefront6targetE1EEEvT1_,comdat
	.protected	_ZN7rocprim17ROCPRIM_400000_NS6detail17trampoline_kernelINS0_14default_configENS1_27scan_by_key_config_selectorIijEEZZNS1_16scan_by_key_implILNS1_25lookback_scan_determinismE0ELb0ES3_N6thrust23THRUST_200600_302600_NS6detail15normal_iteratorINS9_10device_ptrIiEEEENSB_INSC_IjEEEESG_jNS9_4plusIvEENS9_8equal_toIvEEjEE10hipError_tPvRmT2_T3_T4_T5_mT6_T7_P12ihipStream_tbENKUlT_T0_E_clISt17integral_constantIbLb0EES10_IbLb1EEEEDaSW_SX_EUlSW_E_NS1_11comp_targetILNS1_3genE3ELNS1_11target_archE908ELNS1_3gpuE7ELNS1_3repE0EEENS1_30default_config_static_selectorELNS0_4arch9wavefront6targetE1EEEvT1_ ; -- Begin function _ZN7rocprim17ROCPRIM_400000_NS6detail17trampoline_kernelINS0_14default_configENS1_27scan_by_key_config_selectorIijEEZZNS1_16scan_by_key_implILNS1_25lookback_scan_determinismE0ELb0ES3_N6thrust23THRUST_200600_302600_NS6detail15normal_iteratorINS9_10device_ptrIiEEEENSB_INSC_IjEEEESG_jNS9_4plusIvEENS9_8equal_toIvEEjEE10hipError_tPvRmT2_T3_T4_T5_mT6_T7_P12ihipStream_tbENKUlT_T0_E_clISt17integral_constantIbLb0EES10_IbLb1EEEEDaSW_SX_EUlSW_E_NS1_11comp_targetILNS1_3genE3ELNS1_11target_archE908ELNS1_3gpuE7ELNS1_3repE0EEENS1_30default_config_static_selectorELNS0_4arch9wavefront6targetE1EEEvT1_
	.globl	_ZN7rocprim17ROCPRIM_400000_NS6detail17trampoline_kernelINS0_14default_configENS1_27scan_by_key_config_selectorIijEEZZNS1_16scan_by_key_implILNS1_25lookback_scan_determinismE0ELb0ES3_N6thrust23THRUST_200600_302600_NS6detail15normal_iteratorINS9_10device_ptrIiEEEENSB_INSC_IjEEEESG_jNS9_4plusIvEENS9_8equal_toIvEEjEE10hipError_tPvRmT2_T3_T4_T5_mT6_T7_P12ihipStream_tbENKUlT_T0_E_clISt17integral_constantIbLb0EES10_IbLb1EEEEDaSW_SX_EUlSW_E_NS1_11comp_targetILNS1_3genE3ELNS1_11target_archE908ELNS1_3gpuE7ELNS1_3repE0EEENS1_30default_config_static_selectorELNS0_4arch9wavefront6targetE1EEEvT1_
	.p2align	8
	.type	_ZN7rocprim17ROCPRIM_400000_NS6detail17trampoline_kernelINS0_14default_configENS1_27scan_by_key_config_selectorIijEEZZNS1_16scan_by_key_implILNS1_25lookback_scan_determinismE0ELb0ES3_N6thrust23THRUST_200600_302600_NS6detail15normal_iteratorINS9_10device_ptrIiEEEENSB_INSC_IjEEEESG_jNS9_4plusIvEENS9_8equal_toIvEEjEE10hipError_tPvRmT2_T3_T4_T5_mT6_T7_P12ihipStream_tbENKUlT_T0_E_clISt17integral_constantIbLb0EES10_IbLb1EEEEDaSW_SX_EUlSW_E_NS1_11comp_targetILNS1_3genE3ELNS1_11target_archE908ELNS1_3gpuE7ELNS1_3repE0EEENS1_30default_config_static_selectorELNS0_4arch9wavefront6targetE1EEEvT1_,@function
_ZN7rocprim17ROCPRIM_400000_NS6detail17trampoline_kernelINS0_14default_configENS1_27scan_by_key_config_selectorIijEEZZNS1_16scan_by_key_implILNS1_25lookback_scan_determinismE0ELb0ES3_N6thrust23THRUST_200600_302600_NS6detail15normal_iteratorINS9_10device_ptrIiEEEENSB_INSC_IjEEEESG_jNS9_4plusIvEENS9_8equal_toIvEEjEE10hipError_tPvRmT2_T3_T4_T5_mT6_T7_P12ihipStream_tbENKUlT_T0_E_clISt17integral_constantIbLb0EES10_IbLb1EEEEDaSW_SX_EUlSW_E_NS1_11comp_targetILNS1_3genE3ELNS1_11target_archE908ELNS1_3gpuE7ELNS1_3repE0EEENS1_30default_config_static_selectorELNS0_4arch9wavefront6targetE1EEEvT1_: ; @_ZN7rocprim17ROCPRIM_400000_NS6detail17trampoline_kernelINS0_14default_configENS1_27scan_by_key_config_selectorIijEEZZNS1_16scan_by_key_implILNS1_25lookback_scan_determinismE0ELb0ES3_N6thrust23THRUST_200600_302600_NS6detail15normal_iteratorINS9_10device_ptrIiEEEENSB_INSC_IjEEEESG_jNS9_4plusIvEENS9_8equal_toIvEEjEE10hipError_tPvRmT2_T3_T4_T5_mT6_T7_P12ihipStream_tbENKUlT_T0_E_clISt17integral_constantIbLb0EES10_IbLb1EEEEDaSW_SX_EUlSW_E_NS1_11comp_targetILNS1_3genE3ELNS1_11target_archE908ELNS1_3gpuE7ELNS1_3repE0EEENS1_30default_config_static_selectorELNS0_4arch9wavefront6targetE1EEEvT1_
; %bb.0:
	.section	.rodata,"a",@progbits
	.p2align	6, 0x0
	.amdhsa_kernel _ZN7rocprim17ROCPRIM_400000_NS6detail17trampoline_kernelINS0_14default_configENS1_27scan_by_key_config_selectorIijEEZZNS1_16scan_by_key_implILNS1_25lookback_scan_determinismE0ELb0ES3_N6thrust23THRUST_200600_302600_NS6detail15normal_iteratorINS9_10device_ptrIiEEEENSB_INSC_IjEEEESG_jNS9_4plusIvEENS9_8equal_toIvEEjEE10hipError_tPvRmT2_T3_T4_T5_mT6_T7_P12ihipStream_tbENKUlT_T0_E_clISt17integral_constantIbLb0EES10_IbLb1EEEEDaSW_SX_EUlSW_E_NS1_11comp_targetILNS1_3genE3ELNS1_11target_archE908ELNS1_3gpuE7ELNS1_3repE0EEENS1_30default_config_static_selectorELNS0_4arch9wavefront6targetE1EEEvT1_
		.amdhsa_group_segment_fixed_size 0
		.amdhsa_private_segment_fixed_size 0
		.amdhsa_kernarg_size 112
		.amdhsa_user_sgpr_count 2
		.amdhsa_user_sgpr_dispatch_ptr 0
		.amdhsa_user_sgpr_queue_ptr 0
		.amdhsa_user_sgpr_kernarg_segment_ptr 1
		.amdhsa_user_sgpr_dispatch_id 0
		.amdhsa_user_sgpr_kernarg_preload_length 0
		.amdhsa_user_sgpr_kernarg_preload_offset 0
		.amdhsa_user_sgpr_private_segment_size 0
		.amdhsa_uses_dynamic_stack 0
		.amdhsa_enable_private_segment 0
		.amdhsa_system_sgpr_workgroup_id_x 1
		.amdhsa_system_sgpr_workgroup_id_y 0
		.amdhsa_system_sgpr_workgroup_id_z 0
		.amdhsa_system_sgpr_workgroup_info 0
		.amdhsa_system_vgpr_workitem_id 0
		.amdhsa_next_free_vgpr 1
		.amdhsa_next_free_sgpr 0
		.amdhsa_accum_offset 4
		.amdhsa_reserve_vcc 0
		.amdhsa_float_round_mode_32 0
		.amdhsa_float_round_mode_16_64 0
		.amdhsa_float_denorm_mode_32 3
		.amdhsa_float_denorm_mode_16_64 3
		.amdhsa_dx10_clamp 1
		.amdhsa_ieee_mode 1
		.amdhsa_fp16_overflow 0
		.amdhsa_tg_split 0
		.amdhsa_exception_fp_ieee_invalid_op 0
		.amdhsa_exception_fp_denorm_src 0
		.amdhsa_exception_fp_ieee_div_zero 0
		.amdhsa_exception_fp_ieee_overflow 0
		.amdhsa_exception_fp_ieee_underflow 0
		.amdhsa_exception_fp_ieee_inexact 0
		.amdhsa_exception_int_div_zero 0
	.end_amdhsa_kernel
	.section	.text._ZN7rocprim17ROCPRIM_400000_NS6detail17trampoline_kernelINS0_14default_configENS1_27scan_by_key_config_selectorIijEEZZNS1_16scan_by_key_implILNS1_25lookback_scan_determinismE0ELb0ES3_N6thrust23THRUST_200600_302600_NS6detail15normal_iteratorINS9_10device_ptrIiEEEENSB_INSC_IjEEEESG_jNS9_4plusIvEENS9_8equal_toIvEEjEE10hipError_tPvRmT2_T3_T4_T5_mT6_T7_P12ihipStream_tbENKUlT_T0_E_clISt17integral_constantIbLb0EES10_IbLb1EEEEDaSW_SX_EUlSW_E_NS1_11comp_targetILNS1_3genE3ELNS1_11target_archE908ELNS1_3gpuE7ELNS1_3repE0EEENS1_30default_config_static_selectorELNS0_4arch9wavefront6targetE1EEEvT1_,"axG",@progbits,_ZN7rocprim17ROCPRIM_400000_NS6detail17trampoline_kernelINS0_14default_configENS1_27scan_by_key_config_selectorIijEEZZNS1_16scan_by_key_implILNS1_25lookback_scan_determinismE0ELb0ES3_N6thrust23THRUST_200600_302600_NS6detail15normal_iteratorINS9_10device_ptrIiEEEENSB_INSC_IjEEEESG_jNS9_4plusIvEENS9_8equal_toIvEEjEE10hipError_tPvRmT2_T3_T4_T5_mT6_T7_P12ihipStream_tbENKUlT_T0_E_clISt17integral_constantIbLb0EES10_IbLb1EEEEDaSW_SX_EUlSW_E_NS1_11comp_targetILNS1_3genE3ELNS1_11target_archE908ELNS1_3gpuE7ELNS1_3repE0EEENS1_30default_config_static_selectorELNS0_4arch9wavefront6targetE1EEEvT1_,comdat
.Lfunc_end1258:
	.size	_ZN7rocprim17ROCPRIM_400000_NS6detail17trampoline_kernelINS0_14default_configENS1_27scan_by_key_config_selectorIijEEZZNS1_16scan_by_key_implILNS1_25lookback_scan_determinismE0ELb0ES3_N6thrust23THRUST_200600_302600_NS6detail15normal_iteratorINS9_10device_ptrIiEEEENSB_INSC_IjEEEESG_jNS9_4plusIvEENS9_8equal_toIvEEjEE10hipError_tPvRmT2_T3_T4_T5_mT6_T7_P12ihipStream_tbENKUlT_T0_E_clISt17integral_constantIbLb0EES10_IbLb1EEEEDaSW_SX_EUlSW_E_NS1_11comp_targetILNS1_3genE3ELNS1_11target_archE908ELNS1_3gpuE7ELNS1_3repE0EEENS1_30default_config_static_selectorELNS0_4arch9wavefront6targetE1EEEvT1_, .Lfunc_end1258-_ZN7rocprim17ROCPRIM_400000_NS6detail17trampoline_kernelINS0_14default_configENS1_27scan_by_key_config_selectorIijEEZZNS1_16scan_by_key_implILNS1_25lookback_scan_determinismE0ELb0ES3_N6thrust23THRUST_200600_302600_NS6detail15normal_iteratorINS9_10device_ptrIiEEEENSB_INSC_IjEEEESG_jNS9_4plusIvEENS9_8equal_toIvEEjEE10hipError_tPvRmT2_T3_T4_T5_mT6_T7_P12ihipStream_tbENKUlT_T0_E_clISt17integral_constantIbLb0EES10_IbLb1EEEEDaSW_SX_EUlSW_E_NS1_11comp_targetILNS1_3genE3ELNS1_11target_archE908ELNS1_3gpuE7ELNS1_3repE0EEENS1_30default_config_static_selectorELNS0_4arch9wavefront6targetE1EEEvT1_
                                        ; -- End function
	.section	.AMDGPU.csdata,"",@progbits
; Kernel info:
; codeLenInByte = 0
; NumSgprs: 6
; NumVgprs: 0
; NumAgprs: 0
; TotalNumVgprs: 0
; ScratchSize: 0
; MemoryBound: 0
; FloatMode: 240
; IeeeMode: 1
; LDSByteSize: 0 bytes/workgroup (compile time only)
; SGPRBlocks: 0
; VGPRBlocks: 0
; NumSGPRsForWavesPerEU: 6
; NumVGPRsForWavesPerEU: 1
; AccumOffset: 4
; Occupancy: 8
; WaveLimiterHint : 0
; COMPUTE_PGM_RSRC2:SCRATCH_EN: 0
; COMPUTE_PGM_RSRC2:USER_SGPR: 2
; COMPUTE_PGM_RSRC2:TRAP_HANDLER: 0
; COMPUTE_PGM_RSRC2:TGID_X_EN: 1
; COMPUTE_PGM_RSRC2:TGID_Y_EN: 0
; COMPUTE_PGM_RSRC2:TGID_Z_EN: 0
; COMPUTE_PGM_RSRC2:TIDIG_COMP_CNT: 0
; COMPUTE_PGM_RSRC3_GFX90A:ACCUM_OFFSET: 0
; COMPUTE_PGM_RSRC3_GFX90A:TG_SPLIT: 0
	.section	.text._ZN7rocprim17ROCPRIM_400000_NS6detail17trampoline_kernelINS0_14default_configENS1_27scan_by_key_config_selectorIijEEZZNS1_16scan_by_key_implILNS1_25lookback_scan_determinismE0ELb0ES3_N6thrust23THRUST_200600_302600_NS6detail15normal_iteratorINS9_10device_ptrIiEEEENSB_INSC_IjEEEESG_jNS9_4plusIvEENS9_8equal_toIvEEjEE10hipError_tPvRmT2_T3_T4_T5_mT6_T7_P12ihipStream_tbENKUlT_T0_E_clISt17integral_constantIbLb0EES10_IbLb1EEEEDaSW_SX_EUlSW_E_NS1_11comp_targetILNS1_3genE2ELNS1_11target_archE906ELNS1_3gpuE6ELNS1_3repE0EEENS1_30default_config_static_selectorELNS0_4arch9wavefront6targetE1EEEvT1_,"axG",@progbits,_ZN7rocprim17ROCPRIM_400000_NS6detail17trampoline_kernelINS0_14default_configENS1_27scan_by_key_config_selectorIijEEZZNS1_16scan_by_key_implILNS1_25lookback_scan_determinismE0ELb0ES3_N6thrust23THRUST_200600_302600_NS6detail15normal_iteratorINS9_10device_ptrIiEEEENSB_INSC_IjEEEESG_jNS9_4plusIvEENS9_8equal_toIvEEjEE10hipError_tPvRmT2_T3_T4_T5_mT6_T7_P12ihipStream_tbENKUlT_T0_E_clISt17integral_constantIbLb0EES10_IbLb1EEEEDaSW_SX_EUlSW_E_NS1_11comp_targetILNS1_3genE2ELNS1_11target_archE906ELNS1_3gpuE6ELNS1_3repE0EEENS1_30default_config_static_selectorELNS0_4arch9wavefront6targetE1EEEvT1_,comdat
	.protected	_ZN7rocprim17ROCPRIM_400000_NS6detail17trampoline_kernelINS0_14default_configENS1_27scan_by_key_config_selectorIijEEZZNS1_16scan_by_key_implILNS1_25lookback_scan_determinismE0ELb0ES3_N6thrust23THRUST_200600_302600_NS6detail15normal_iteratorINS9_10device_ptrIiEEEENSB_INSC_IjEEEESG_jNS9_4plusIvEENS9_8equal_toIvEEjEE10hipError_tPvRmT2_T3_T4_T5_mT6_T7_P12ihipStream_tbENKUlT_T0_E_clISt17integral_constantIbLb0EES10_IbLb1EEEEDaSW_SX_EUlSW_E_NS1_11comp_targetILNS1_3genE2ELNS1_11target_archE906ELNS1_3gpuE6ELNS1_3repE0EEENS1_30default_config_static_selectorELNS0_4arch9wavefront6targetE1EEEvT1_ ; -- Begin function _ZN7rocprim17ROCPRIM_400000_NS6detail17trampoline_kernelINS0_14default_configENS1_27scan_by_key_config_selectorIijEEZZNS1_16scan_by_key_implILNS1_25lookback_scan_determinismE0ELb0ES3_N6thrust23THRUST_200600_302600_NS6detail15normal_iteratorINS9_10device_ptrIiEEEENSB_INSC_IjEEEESG_jNS9_4plusIvEENS9_8equal_toIvEEjEE10hipError_tPvRmT2_T3_T4_T5_mT6_T7_P12ihipStream_tbENKUlT_T0_E_clISt17integral_constantIbLb0EES10_IbLb1EEEEDaSW_SX_EUlSW_E_NS1_11comp_targetILNS1_3genE2ELNS1_11target_archE906ELNS1_3gpuE6ELNS1_3repE0EEENS1_30default_config_static_selectorELNS0_4arch9wavefront6targetE1EEEvT1_
	.globl	_ZN7rocprim17ROCPRIM_400000_NS6detail17trampoline_kernelINS0_14default_configENS1_27scan_by_key_config_selectorIijEEZZNS1_16scan_by_key_implILNS1_25lookback_scan_determinismE0ELb0ES3_N6thrust23THRUST_200600_302600_NS6detail15normal_iteratorINS9_10device_ptrIiEEEENSB_INSC_IjEEEESG_jNS9_4plusIvEENS9_8equal_toIvEEjEE10hipError_tPvRmT2_T3_T4_T5_mT6_T7_P12ihipStream_tbENKUlT_T0_E_clISt17integral_constantIbLb0EES10_IbLb1EEEEDaSW_SX_EUlSW_E_NS1_11comp_targetILNS1_3genE2ELNS1_11target_archE906ELNS1_3gpuE6ELNS1_3repE0EEENS1_30default_config_static_selectorELNS0_4arch9wavefront6targetE1EEEvT1_
	.p2align	8
	.type	_ZN7rocprim17ROCPRIM_400000_NS6detail17trampoline_kernelINS0_14default_configENS1_27scan_by_key_config_selectorIijEEZZNS1_16scan_by_key_implILNS1_25lookback_scan_determinismE0ELb0ES3_N6thrust23THRUST_200600_302600_NS6detail15normal_iteratorINS9_10device_ptrIiEEEENSB_INSC_IjEEEESG_jNS9_4plusIvEENS9_8equal_toIvEEjEE10hipError_tPvRmT2_T3_T4_T5_mT6_T7_P12ihipStream_tbENKUlT_T0_E_clISt17integral_constantIbLb0EES10_IbLb1EEEEDaSW_SX_EUlSW_E_NS1_11comp_targetILNS1_3genE2ELNS1_11target_archE906ELNS1_3gpuE6ELNS1_3repE0EEENS1_30default_config_static_selectorELNS0_4arch9wavefront6targetE1EEEvT1_,@function
_ZN7rocprim17ROCPRIM_400000_NS6detail17trampoline_kernelINS0_14default_configENS1_27scan_by_key_config_selectorIijEEZZNS1_16scan_by_key_implILNS1_25lookback_scan_determinismE0ELb0ES3_N6thrust23THRUST_200600_302600_NS6detail15normal_iteratorINS9_10device_ptrIiEEEENSB_INSC_IjEEEESG_jNS9_4plusIvEENS9_8equal_toIvEEjEE10hipError_tPvRmT2_T3_T4_T5_mT6_T7_P12ihipStream_tbENKUlT_T0_E_clISt17integral_constantIbLb0EES10_IbLb1EEEEDaSW_SX_EUlSW_E_NS1_11comp_targetILNS1_3genE2ELNS1_11target_archE906ELNS1_3gpuE6ELNS1_3repE0EEENS1_30default_config_static_selectorELNS0_4arch9wavefront6targetE1EEEvT1_: ; @_ZN7rocprim17ROCPRIM_400000_NS6detail17trampoline_kernelINS0_14default_configENS1_27scan_by_key_config_selectorIijEEZZNS1_16scan_by_key_implILNS1_25lookback_scan_determinismE0ELb0ES3_N6thrust23THRUST_200600_302600_NS6detail15normal_iteratorINS9_10device_ptrIiEEEENSB_INSC_IjEEEESG_jNS9_4plusIvEENS9_8equal_toIvEEjEE10hipError_tPvRmT2_T3_T4_T5_mT6_T7_P12ihipStream_tbENKUlT_T0_E_clISt17integral_constantIbLb0EES10_IbLb1EEEEDaSW_SX_EUlSW_E_NS1_11comp_targetILNS1_3genE2ELNS1_11target_archE906ELNS1_3gpuE6ELNS1_3repE0EEENS1_30default_config_static_selectorELNS0_4arch9wavefront6targetE1EEEvT1_
; %bb.0:
	.section	.rodata,"a",@progbits
	.p2align	6, 0x0
	.amdhsa_kernel _ZN7rocprim17ROCPRIM_400000_NS6detail17trampoline_kernelINS0_14default_configENS1_27scan_by_key_config_selectorIijEEZZNS1_16scan_by_key_implILNS1_25lookback_scan_determinismE0ELb0ES3_N6thrust23THRUST_200600_302600_NS6detail15normal_iteratorINS9_10device_ptrIiEEEENSB_INSC_IjEEEESG_jNS9_4plusIvEENS9_8equal_toIvEEjEE10hipError_tPvRmT2_T3_T4_T5_mT6_T7_P12ihipStream_tbENKUlT_T0_E_clISt17integral_constantIbLb0EES10_IbLb1EEEEDaSW_SX_EUlSW_E_NS1_11comp_targetILNS1_3genE2ELNS1_11target_archE906ELNS1_3gpuE6ELNS1_3repE0EEENS1_30default_config_static_selectorELNS0_4arch9wavefront6targetE1EEEvT1_
		.amdhsa_group_segment_fixed_size 0
		.amdhsa_private_segment_fixed_size 0
		.amdhsa_kernarg_size 112
		.amdhsa_user_sgpr_count 2
		.amdhsa_user_sgpr_dispatch_ptr 0
		.amdhsa_user_sgpr_queue_ptr 0
		.amdhsa_user_sgpr_kernarg_segment_ptr 1
		.amdhsa_user_sgpr_dispatch_id 0
		.amdhsa_user_sgpr_kernarg_preload_length 0
		.amdhsa_user_sgpr_kernarg_preload_offset 0
		.amdhsa_user_sgpr_private_segment_size 0
		.amdhsa_uses_dynamic_stack 0
		.amdhsa_enable_private_segment 0
		.amdhsa_system_sgpr_workgroup_id_x 1
		.amdhsa_system_sgpr_workgroup_id_y 0
		.amdhsa_system_sgpr_workgroup_id_z 0
		.amdhsa_system_sgpr_workgroup_info 0
		.amdhsa_system_vgpr_workitem_id 0
		.amdhsa_next_free_vgpr 1
		.amdhsa_next_free_sgpr 0
		.amdhsa_accum_offset 4
		.amdhsa_reserve_vcc 0
		.amdhsa_float_round_mode_32 0
		.amdhsa_float_round_mode_16_64 0
		.amdhsa_float_denorm_mode_32 3
		.amdhsa_float_denorm_mode_16_64 3
		.amdhsa_dx10_clamp 1
		.amdhsa_ieee_mode 1
		.amdhsa_fp16_overflow 0
		.amdhsa_tg_split 0
		.amdhsa_exception_fp_ieee_invalid_op 0
		.amdhsa_exception_fp_denorm_src 0
		.amdhsa_exception_fp_ieee_div_zero 0
		.amdhsa_exception_fp_ieee_overflow 0
		.amdhsa_exception_fp_ieee_underflow 0
		.amdhsa_exception_fp_ieee_inexact 0
		.amdhsa_exception_int_div_zero 0
	.end_amdhsa_kernel
	.section	.text._ZN7rocprim17ROCPRIM_400000_NS6detail17trampoline_kernelINS0_14default_configENS1_27scan_by_key_config_selectorIijEEZZNS1_16scan_by_key_implILNS1_25lookback_scan_determinismE0ELb0ES3_N6thrust23THRUST_200600_302600_NS6detail15normal_iteratorINS9_10device_ptrIiEEEENSB_INSC_IjEEEESG_jNS9_4plusIvEENS9_8equal_toIvEEjEE10hipError_tPvRmT2_T3_T4_T5_mT6_T7_P12ihipStream_tbENKUlT_T0_E_clISt17integral_constantIbLb0EES10_IbLb1EEEEDaSW_SX_EUlSW_E_NS1_11comp_targetILNS1_3genE2ELNS1_11target_archE906ELNS1_3gpuE6ELNS1_3repE0EEENS1_30default_config_static_selectorELNS0_4arch9wavefront6targetE1EEEvT1_,"axG",@progbits,_ZN7rocprim17ROCPRIM_400000_NS6detail17trampoline_kernelINS0_14default_configENS1_27scan_by_key_config_selectorIijEEZZNS1_16scan_by_key_implILNS1_25lookback_scan_determinismE0ELb0ES3_N6thrust23THRUST_200600_302600_NS6detail15normal_iteratorINS9_10device_ptrIiEEEENSB_INSC_IjEEEESG_jNS9_4plusIvEENS9_8equal_toIvEEjEE10hipError_tPvRmT2_T3_T4_T5_mT6_T7_P12ihipStream_tbENKUlT_T0_E_clISt17integral_constantIbLb0EES10_IbLb1EEEEDaSW_SX_EUlSW_E_NS1_11comp_targetILNS1_3genE2ELNS1_11target_archE906ELNS1_3gpuE6ELNS1_3repE0EEENS1_30default_config_static_selectorELNS0_4arch9wavefront6targetE1EEEvT1_,comdat
.Lfunc_end1259:
	.size	_ZN7rocprim17ROCPRIM_400000_NS6detail17trampoline_kernelINS0_14default_configENS1_27scan_by_key_config_selectorIijEEZZNS1_16scan_by_key_implILNS1_25lookback_scan_determinismE0ELb0ES3_N6thrust23THRUST_200600_302600_NS6detail15normal_iteratorINS9_10device_ptrIiEEEENSB_INSC_IjEEEESG_jNS9_4plusIvEENS9_8equal_toIvEEjEE10hipError_tPvRmT2_T3_T4_T5_mT6_T7_P12ihipStream_tbENKUlT_T0_E_clISt17integral_constantIbLb0EES10_IbLb1EEEEDaSW_SX_EUlSW_E_NS1_11comp_targetILNS1_3genE2ELNS1_11target_archE906ELNS1_3gpuE6ELNS1_3repE0EEENS1_30default_config_static_selectorELNS0_4arch9wavefront6targetE1EEEvT1_, .Lfunc_end1259-_ZN7rocprim17ROCPRIM_400000_NS6detail17trampoline_kernelINS0_14default_configENS1_27scan_by_key_config_selectorIijEEZZNS1_16scan_by_key_implILNS1_25lookback_scan_determinismE0ELb0ES3_N6thrust23THRUST_200600_302600_NS6detail15normal_iteratorINS9_10device_ptrIiEEEENSB_INSC_IjEEEESG_jNS9_4plusIvEENS9_8equal_toIvEEjEE10hipError_tPvRmT2_T3_T4_T5_mT6_T7_P12ihipStream_tbENKUlT_T0_E_clISt17integral_constantIbLb0EES10_IbLb1EEEEDaSW_SX_EUlSW_E_NS1_11comp_targetILNS1_3genE2ELNS1_11target_archE906ELNS1_3gpuE6ELNS1_3repE0EEENS1_30default_config_static_selectorELNS0_4arch9wavefront6targetE1EEEvT1_
                                        ; -- End function
	.section	.AMDGPU.csdata,"",@progbits
; Kernel info:
; codeLenInByte = 0
; NumSgprs: 6
; NumVgprs: 0
; NumAgprs: 0
; TotalNumVgprs: 0
; ScratchSize: 0
; MemoryBound: 0
; FloatMode: 240
; IeeeMode: 1
; LDSByteSize: 0 bytes/workgroup (compile time only)
; SGPRBlocks: 0
; VGPRBlocks: 0
; NumSGPRsForWavesPerEU: 6
; NumVGPRsForWavesPerEU: 1
; AccumOffset: 4
; Occupancy: 8
; WaveLimiterHint : 0
; COMPUTE_PGM_RSRC2:SCRATCH_EN: 0
; COMPUTE_PGM_RSRC2:USER_SGPR: 2
; COMPUTE_PGM_RSRC2:TRAP_HANDLER: 0
; COMPUTE_PGM_RSRC2:TGID_X_EN: 1
; COMPUTE_PGM_RSRC2:TGID_Y_EN: 0
; COMPUTE_PGM_RSRC2:TGID_Z_EN: 0
; COMPUTE_PGM_RSRC2:TIDIG_COMP_CNT: 0
; COMPUTE_PGM_RSRC3_GFX90A:ACCUM_OFFSET: 0
; COMPUTE_PGM_RSRC3_GFX90A:TG_SPLIT: 0
	.section	.text._ZN7rocprim17ROCPRIM_400000_NS6detail17trampoline_kernelINS0_14default_configENS1_27scan_by_key_config_selectorIijEEZZNS1_16scan_by_key_implILNS1_25lookback_scan_determinismE0ELb0ES3_N6thrust23THRUST_200600_302600_NS6detail15normal_iteratorINS9_10device_ptrIiEEEENSB_INSC_IjEEEESG_jNS9_4plusIvEENS9_8equal_toIvEEjEE10hipError_tPvRmT2_T3_T4_T5_mT6_T7_P12ihipStream_tbENKUlT_T0_E_clISt17integral_constantIbLb0EES10_IbLb1EEEEDaSW_SX_EUlSW_E_NS1_11comp_targetILNS1_3genE10ELNS1_11target_archE1200ELNS1_3gpuE4ELNS1_3repE0EEENS1_30default_config_static_selectorELNS0_4arch9wavefront6targetE1EEEvT1_,"axG",@progbits,_ZN7rocprim17ROCPRIM_400000_NS6detail17trampoline_kernelINS0_14default_configENS1_27scan_by_key_config_selectorIijEEZZNS1_16scan_by_key_implILNS1_25lookback_scan_determinismE0ELb0ES3_N6thrust23THRUST_200600_302600_NS6detail15normal_iteratorINS9_10device_ptrIiEEEENSB_INSC_IjEEEESG_jNS9_4plusIvEENS9_8equal_toIvEEjEE10hipError_tPvRmT2_T3_T4_T5_mT6_T7_P12ihipStream_tbENKUlT_T0_E_clISt17integral_constantIbLb0EES10_IbLb1EEEEDaSW_SX_EUlSW_E_NS1_11comp_targetILNS1_3genE10ELNS1_11target_archE1200ELNS1_3gpuE4ELNS1_3repE0EEENS1_30default_config_static_selectorELNS0_4arch9wavefront6targetE1EEEvT1_,comdat
	.protected	_ZN7rocprim17ROCPRIM_400000_NS6detail17trampoline_kernelINS0_14default_configENS1_27scan_by_key_config_selectorIijEEZZNS1_16scan_by_key_implILNS1_25lookback_scan_determinismE0ELb0ES3_N6thrust23THRUST_200600_302600_NS6detail15normal_iteratorINS9_10device_ptrIiEEEENSB_INSC_IjEEEESG_jNS9_4plusIvEENS9_8equal_toIvEEjEE10hipError_tPvRmT2_T3_T4_T5_mT6_T7_P12ihipStream_tbENKUlT_T0_E_clISt17integral_constantIbLb0EES10_IbLb1EEEEDaSW_SX_EUlSW_E_NS1_11comp_targetILNS1_3genE10ELNS1_11target_archE1200ELNS1_3gpuE4ELNS1_3repE0EEENS1_30default_config_static_selectorELNS0_4arch9wavefront6targetE1EEEvT1_ ; -- Begin function _ZN7rocprim17ROCPRIM_400000_NS6detail17trampoline_kernelINS0_14default_configENS1_27scan_by_key_config_selectorIijEEZZNS1_16scan_by_key_implILNS1_25lookback_scan_determinismE0ELb0ES3_N6thrust23THRUST_200600_302600_NS6detail15normal_iteratorINS9_10device_ptrIiEEEENSB_INSC_IjEEEESG_jNS9_4plusIvEENS9_8equal_toIvEEjEE10hipError_tPvRmT2_T3_T4_T5_mT6_T7_P12ihipStream_tbENKUlT_T0_E_clISt17integral_constantIbLb0EES10_IbLb1EEEEDaSW_SX_EUlSW_E_NS1_11comp_targetILNS1_3genE10ELNS1_11target_archE1200ELNS1_3gpuE4ELNS1_3repE0EEENS1_30default_config_static_selectorELNS0_4arch9wavefront6targetE1EEEvT1_
	.globl	_ZN7rocprim17ROCPRIM_400000_NS6detail17trampoline_kernelINS0_14default_configENS1_27scan_by_key_config_selectorIijEEZZNS1_16scan_by_key_implILNS1_25lookback_scan_determinismE0ELb0ES3_N6thrust23THRUST_200600_302600_NS6detail15normal_iteratorINS9_10device_ptrIiEEEENSB_INSC_IjEEEESG_jNS9_4plusIvEENS9_8equal_toIvEEjEE10hipError_tPvRmT2_T3_T4_T5_mT6_T7_P12ihipStream_tbENKUlT_T0_E_clISt17integral_constantIbLb0EES10_IbLb1EEEEDaSW_SX_EUlSW_E_NS1_11comp_targetILNS1_3genE10ELNS1_11target_archE1200ELNS1_3gpuE4ELNS1_3repE0EEENS1_30default_config_static_selectorELNS0_4arch9wavefront6targetE1EEEvT1_
	.p2align	8
	.type	_ZN7rocprim17ROCPRIM_400000_NS6detail17trampoline_kernelINS0_14default_configENS1_27scan_by_key_config_selectorIijEEZZNS1_16scan_by_key_implILNS1_25lookback_scan_determinismE0ELb0ES3_N6thrust23THRUST_200600_302600_NS6detail15normal_iteratorINS9_10device_ptrIiEEEENSB_INSC_IjEEEESG_jNS9_4plusIvEENS9_8equal_toIvEEjEE10hipError_tPvRmT2_T3_T4_T5_mT6_T7_P12ihipStream_tbENKUlT_T0_E_clISt17integral_constantIbLb0EES10_IbLb1EEEEDaSW_SX_EUlSW_E_NS1_11comp_targetILNS1_3genE10ELNS1_11target_archE1200ELNS1_3gpuE4ELNS1_3repE0EEENS1_30default_config_static_selectorELNS0_4arch9wavefront6targetE1EEEvT1_,@function
_ZN7rocprim17ROCPRIM_400000_NS6detail17trampoline_kernelINS0_14default_configENS1_27scan_by_key_config_selectorIijEEZZNS1_16scan_by_key_implILNS1_25lookback_scan_determinismE0ELb0ES3_N6thrust23THRUST_200600_302600_NS6detail15normal_iteratorINS9_10device_ptrIiEEEENSB_INSC_IjEEEESG_jNS9_4plusIvEENS9_8equal_toIvEEjEE10hipError_tPvRmT2_T3_T4_T5_mT6_T7_P12ihipStream_tbENKUlT_T0_E_clISt17integral_constantIbLb0EES10_IbLb1EEEEDaSW_SX_EUlSW_E_NS1_11comp_targetILNS1_3genE10ELNS1_11target_archE1200ELNS1_3gpuE4ELNS1_3repE0EEENS1_30default_config_static_selectorELNS0_4arch9wavefront6targetE1EEEvT1_: ; @_ZN7rocprim17ROCPRIM_400000_NS6detail17trampoline_kernelINS0_14default_configENS1_27scan_by_key_config_selectorIijEEZZNS1_16scan_by_key_implILNS1_25lookback_scan_determinismE0ELb0ES3_N6thrust23THRUST_200600_302600_NS6detail15normal_iteratorINS9_10device_ptrIiEEEENSB_INSC_IjEEEESG_jNS9_4plusIvEENS9_8equal_toIvEEjEE10hipError_tPvRmT2_T3_T4_T5_mT6_T7_P12ihipStream_tbENKUlT_T0_E_clISt17integral_constantIbLb0EES10_IbLb1EEEEDaSW_SX_EUlSW_E_NS1_11comp_targetILNS1_3genE10ELNS1_11target_archE1200ELNS1_3gpuE4ELNS1_3repE0EEENS1_30default_config_static_selectorELNS0_4arch9wavefront6targetE1EEEvT1_
; %bb.0:
	.section	.rodata,"a",@progbits
	.p2align	6, 0x0
	.amdhsa_kernel _ZN7rocprim17ROCPRIM_400000_NS6detail17trampoline_kernelINS0_14default_configENS1_27scan_by_key_config_selectorIijEEZZNS1_16scan_by_key_implILNS1_25lookback_scan_determinismE0ELb0ES3_N6thrust23THRUST_200600_302600_NS6detail15normal_iteratorINS9_10device_ptrIiEEEENSB_INSC_IjEEEESG_jNS9_4plusIvEENS9_8equal_toIvEEjEE10hipError_tPvRmT2_T3_T4_T5_mT6_T7_P12ihipStream_tbENKUlT_T0_E_clISt17integral_constantIbLb0EES10_IbLb1EEEEDaSW_SX_EUlSW_E_NS1_11comp_targetILNS1_3genE10ELNS1_11target_archE1200ELNS1_3gpuE4ELNS1_3repE0EEENS1_30default_config_static_selectorELNS0_4arch9wavefront6targetE1EEEvT1_
		.amdhsa_group_segment_fixed_size 0
		.amdhsa_private_segment_fixed_size 0
		.amdhsa_kernarg_size 112
		.amdhsa_user_sgpr_count 2
		.amdhsa_user_sgpr_dispatch_ptr 0
		.amdhsa_user_sgpr_queue_ptr 0
		.amdhsa_user_sgpr_kernarg_segment_ptr 1
		.amdhsa_user_sgpr_dispatch_id 0
		.amdhsa_user_sgpr_kernarg_preload_length 0
		.amdhsa_user_sgpr_kernarg_preload_offset 0
		.amdhsa_user_sgpr_private_segment_size 0
		.amdhsa_uses_dynamic_stack 0
		.amdhsa_enable_private_segment 0
		.amdhsa_system_sgpr_workgroup_id_x 1
		.amdhsa_system_sgpr_workgroup_id_y 0
		.amdhsa_system_sgpr_workgroup_id_z 0
		.amdhsa_system_sgpr_workgroup_info 0
		.amdhsa_system_vgpr_workitem_id 0
		.amdhsa_next_free_vgpr 1
		.amdhsa_next_free_sgpr 0
		.amdhsa_accum_offset 4
		.amdhsa_reserve_vcc 0
		.amdhsa_float_round_mode_32 0
		.amdhsa_float_round_mode_16_64 0
		.amdhsa_float_denorm_mode_32 3
		.amdhsa_float_denorm_mode_16_64 3
		.amdhsa_dx10_clamp 1
		.amdhsa_ieee_mode 1
		.amdhsa_fp16_overflow 0
		.amdhsa_tg_split 0
		.amdhsa_exception_fp_ieee_invalid_op 0
		.amdhsa_exception_fp_denorm_src 0
		.amdhsa_exception_fp_ieee_div_zero 0
		.amdhsa_exception_fp_ieee_overflow 0
		.amdhsa_exception_fp_ieee_underflow 0
		.amdhsa_exception_fp_ieee_inexact 0
		.amdhsa_exception_int_div_zero 0
	.end_amdhsa_kernel
	.section	.text._ZN7rocprim17ROCPRIM_400000_NS6detail17trampoline_kernelINS0_14default_configENS1_27scan_by_key_config_selectorIijEEZZNS1_16scan_by_key_implILNS1_25lookback_scan_determinismE0ELb0ES3_N6thrust23THRUST_200600_302600_NS6detail15normal_iteratorINS9_10device_ptrIiEEEENSB_INSC_IjEEEESG_jNS9_4plusIvEENS9_8equal_toIvEEjEE10hipError_tPvRmT2_T3_T4_T5_mT6_T7_P12ihipStream_tbENKUlT_T0_E_clISt17integral_constantIbLb0EES10_IbLb1EEEEDaSW_SX_EUlSW_E_NS1_11comp_targetILNS1_3genE10ELNS1_11target_archE1200ELNS1_3gpuE4ELNS1_3repE0EEENS1_30default_config_static_selectorELNS0_4arch9wavefront6targetE1EEEvT1_,"axG",@progbits,_ZN7rocprim17ROCPRIM_400000_NS6detail17trampoline_kernelINS0_14default_configENS1_27scan_by_key_config_selectorIijEEZZNS1_16scan_by_key_implILNS1_25lookback_scan_determinismE0ELb0ES3_N6thrust23THRUST_200600_302600_NS6detail15normal_iteratorINS9_10device_ptrIiEEEENSB_INSC_IjEEEESG_jNS9_4plusIvEENS9_8equal_toIvEEjEE10hipError_tPvRmT2_T3_T4_T5_mT6_T7_P12ihipStream_tbENKUlT_T0_E_clISt17integral_constantIbLb0EES10_IbLb1EEEEDaSW_SX_EUlSW_E_NS1_11comp_targetILNS1_3genE10ELNS1_11target_archE1200ELNS1_3gpuE4ELNS1_3repE0EEENS1_30default_config_static_selectorELNS0_4arch9wavefront6targetE1EEEvT1_,comdat
.Lfunc_end1260:
	.size	_ZN7rocprim17ROCPRIM_400000_NS6detail17trampoline_kernelINS0_14default_configENS1_27scan_by_key_config_selectorIijEEZZNS1_16scan_by_key_implILNS1_25lookback_scan_determinismE0ELb0ES3_N6thrust23THRUST_200600_302600_NS6detail15normal_iteratorINS9_10device_ptrIiEEEENSB_INSC_IjEEEESG_jNS9_4plusIvEENS9_8equal_toIvEEjEE10hipError_tPvRmT2_T3_T4_T5_mT6_T7_P12ihipStream_tbENKUlT_T0_E_clISt17integral_constantIbLb0EES10_IbLb1EEEEDaSW_SX_EUlSW_E_NS1_11comp_targetILNS1_3genE10ELNS1_11target_archE1200ELNS1_3gpuE4ELNS1_3repE0EEENS1_30default_config_static_selectorELNS0_4arch9wavefront6targetE1EEEvT1_, .Lfunc_end1260-_ZN7rocprim17ROCPRIM_400000_NS6detail17trampoline_kernelINS0_14default_configENS1_27scan_by_key_config_selectorIijEEZZNS1_16scan_by_key_implILNS1_25lookback_scan_determinismE0ELb0ES3_N6thrust23THRUST_200600_302600_NS6detail15normal_iteratorINS9_10device_ptrIiEEEENSB_INSC_IjEEEESG_jNS9_4plusIvEENS9_8equal_toIvEEjEE10hipError_tPvRmT2_T3_T4_T5_mT6_T7_P12ihipStream_tbENKUlT_T0_E_clISt17integral_constantIbLb0EES10_IbLb1EEEEDaSW_SX_EUlSW_E_NS1_11comp_targetILNS1_3genE10ELNS1_11target_archE1200ELNS1_3gpuE4ELNS1_3repE0EEENS1_30default_config_static_selectorELNS0_4arch9wavefront6targetE1EEEvT1_
                                        ; -- End function
	.section	.AMDGPU.csdata,"",@progbits
; Kernel info:
; codeLenInByte = 0
; NumSgprs: 6
; NumVgprs: 0
; NumAgprs: 0
; TotalNumVgprs: 0
; ScratchSize: 0
; MemoryBound: 0
; FloatMode: 240
; IeeeMode: 1
; LDSByteSize: 0 bytes/workgroup (compile time only)
; SGPRBlocks: 0
; VGPRBlocks: 0
; NumSGPRsForWavesPerEU: 6
; NumVGPRsForWavesPerEU: 1
; AccumOffset: 4
; Occupancy: 8
; WaveLimiterHint : 0
; COMPUTE_PGM_RSRC2:SCRATCH_EN: 0
; COMPUTE_PGM_RSRC2:USER_SGPR: 2
; COMPUTE_PGM_RSRC2:TRAP_HANDLER: 0
; COMPUTE_PGM_RSRC2:TGID_X_EN: 1
; COMPUTE_PGM_RSRC2:TGID_Y_EN: 0
; COMPUTE_PGM_RSRC2:TGID_Z_EN: 0
; COMPUTE_PGM_RSRC2:TIDIG_COMP_CNT: 0
; COMPUTE_PGM_RSRC3_GFX90A:ACCUM_OFFSET: 0
; COMPUTE_PGM_RSRC3_GFX90A:TG_SPLIT: 0
	.section	.text._ZN7rocprim17ROCPRIM_400000_NS6detail17trampoline_kernelINS0_14default_configENS1_27scan_by_key_config_selectorIijEEZZNS1_16scan_by_key_implILNS1_25lookback_scan_determinismE0ELb0ES3_N6thrust23THRUST_200600_302600_NS6detail15normal_iteratorINS9_10device_ptrIiEEEENSB_INSC_IjEEEESG_jNS9_4plusIvEENS9_8equal_toIvEEjEE10hipError_tPvRmT2_T3_T4_T5_mT6_T7_P12ihipStream_tbENKUlT_T0_E_clISt17integral_constantIbLb0EES10_IbLb1EEEEDaSW_SX_EUlSW_E_NS1_11comp_targetILNS1_3genE9ELNS1_11target_archE1100ELNS1_3gpuE3ELNS1_3repE0EEENS1_30default_config_static_selectorELNS0_4arch9wavefront6targetE1EEEvT1_,"axG",@progbits,_ZN7rocprim17ROCPRIM_400000_NS6detail17trampoline_kernelINS0_14default_configENS1_27scan_by_key_config_selectorIijEEZZNS1_16scan_by_key_implILNS1_25lookback_scan_determinismE0ELb0ES3_N6thrust23THRUST_200600_302600_NS6detail15normal_iteratorINS9_10device_ptrIiEEEENSB_INSC_IjEEEESG_jNS9_4plusIvEENS9_8equal_toIvEEjEE10hipError_tPvRmT2_T3_T4_T5_mT6_T7_P12ihipStream_tbENKUlT_T0_E_clISt17integral_constantIbLb0EES10_IbLb1EEEEDaSW_SX_EUlSW_E_NS1_11comp_targetILNS1_3genE9ELNS1_11target_archE1100ELNS1_3gpuE3ELNS1_3repE0EEENS1_30default_config_static_selectorELNS0_4arch9wavefront6targetE1EEEvT1_,comdat
	.protected	_ZN7rocprim17ROCPRIM_400000_NS6detail17trampoline_kernelINS0_14default_configENS1_27scan_by_key_config_selectorIijEEZZNS1_16scan_by_key_implILNS1_25lookback_scan_determinismE0ELb0ES3_N6thrust23THRUST_200600_302600_NS6detail15normal_iteratorINS9_10device_ptrIiEEEENSB_INSC_IjEEEESG_jNS9_4plusIvEENS9_8equal_toIvEEjEE10hipError_tPvRmT2_T3_T4_T5_mT6_T7_P12ihipStream_tbENKUlT_T0_E_clISt17integral_constantIbLb0EES10_IbLb1EEEEDaSW_SX_EUlSW_E_NS1_11comp_targetILNS1_3genE9ELNS1_11target_archE1100ELNS1_3gpuE3ELNS1_3repE0EEENS1_30default_config_static_selectorELNS0_4arch9wavefront6targetE1EEEvT1_ ; -- Begin function _ZN7rocprim17ROCPRIM_400000_NS6detail17trampoline_kernelINS0_14default_configENS1_27scan_by_key_config_selectorIijEEZZNS1_16scan_by_key_implILNS1_25lookback_scan_determinismE0ELb0ES3_N6thrust23THRUST_200600_302600_NS6detail15normal_iteratorINS9_10device_ptrIiEEEENSB_INSC_IjEEEESG_jNS9_4plusIvEENS9_8equal_toIvEEjEE10hipError_tPvRmT2_T3_T4_T5_mT6_T7_P12ihipStream_tbENKUlT_T0_E_clISt17integral_constantIbLb0EES10_IbLb1EEEEDaSW_SX_EUlSW_E_NS1_11comp_targetILNS1_3genE9ELNS1_11target_archE1100ELNS1_3gpuE3ELNS1_3repE0EEENS1_30default_config_static_selectorELNS0_4arch9wavefront6targetE1EEEvT1_
	.globl	_ZN7rocprim17ROCPRIM_400000_NS6detail17trampoline_kernelINS0_14default_configENS1_27scan_by_key_config_selectorIijEEZZNS1_16scan_by_key_implILNS1_25lookback_scan_determinismE0ELb0ES3_N6thrust23THRUST_200600_302600_NS6detail15normal_iteratorINS9_10device_ptrIiEEEENSB_INSC_IjEEEESG_jNS9_4plusIvEENS9_8equal_toIvEEjEE10hipError_tPvRmT2_T3_T4_T5_mT6_T7_P12ihipStream_tbENKUlT_T0_E_clISt17integral_constantIbLb0EES10_IbLb1EEEEDaSW_SX_EUlSW_E_NS1_11comp_targetILNS1_3genE9ELNS1_11target_archE1100ELNS1_3gpuE3ELNS1_3repE0EEENS1_30default_config_static_selectorELNS0_4arch9wavefront6targetE1EEEvT1_
	.p2align	8
	.type	_ZN7rocprim17ROCPRIM_400000_NS6detail17trampoline_kernelINS0_14default_configENS1_27scan_by_key_config_selectorIijEEZZNS1_16scan_by_key_implILNS1_25lookback_scan_determinismE0ELb0ES3_N6thrust23THRUST_200600_302600_NS6detail15normal_iteratorINS9_10device_ptrIiEEEENSB_INSC_IjEEEESG_jNS9_4plusIvEENS9_8equal_toIvEEjEE10hipError_tPvRmT2_T3_T4_T5_mT6_T7_P12ihipStream_tbENKUlT_T0_E_clISt17integral_constantIbLb0EES10_IbLb1EEEEDaSW_SX_EUlSW_E_NS1_11comp_targetILNS1_3genE9ELNS1_11target_archE1100ELNS1_3gpuE3ELNS1_3repE0EEENS1_30default_config_static_selectorELNS0_4arch9wavefront6targetE1EEEvT1_,@function
_ZN7rocprim17ROCPRIM_400000_NS6detail17trampoline_kernelINS0_14default_configENS1_27scan_by_key_config_selectorIijEEZZNS1_16scan_by_key_implILNS1_25lookback_scan_determinismE0ELb0ES3_N6thrust23THRUST_200600_302600_NS6detail15normal_iteratorINS9_10device_ptrIiEEEENSB_INSC_IjEEEESG_jNS9_4plusIvEENS9_8equal_toIvEEjEE10hipError_tPvRmT2_T3_T4_T5_mT6_T7_P12ihipStream_tbENKUlT_T0_E_clISt17integral_constantIbLb0EES10_IbLb1EEEEDaSW_SX_EUlSW_E_NS1_11comp_targetILNS1_3genE9ELNS1_11target_archE1100ELNS1_3gpuE3ELNS1_3repE0EEENS1_30default_config_static_selectorELNS0_4arch9wavefront6targetE1EEEvT1_: ; @_ZN7rocprim17ROCPRIM_400000_NS6detail17trampoline_kernelINS0_14default_configENS1_27scan_by_key_config_selectorIijEEZZNS1_16scan_by_key_implILNS1_25lookback_scan_determinismE0ELb0ES3_N6thrust23THRUST_200600_302600_NS6detail15normal_iteratorINS9_10device_ptrIiEEEENSB_INSC_IjEEEESG_jNS9_4plusIvEENS9_8equal_toIvEEjEE10hipError_tPvRmT2_T3_T4_T5_mT6_T7_P12ihipStream_tbENKUlT_T0_E_clISt17integral_constantIbLb0EES10_IbLb1EEEEDaSW_SX_EUlSW_E_NS1_11comp_targetILNS1_3genE9ELNS1_11target_archE1100ELNS1_3gpuE3ELNS1_3repE0EEENS1_30default_config_static_selectorELNS0_4arch9wavefront6targetE1EEEvT1_
; %bb.0:
	.section	.rodata,"a",@progbits
	.p2align	6, 0x0
	.amdhsa_kernel _ZN7rocprim17ROCPRIM_400000_NS6detail17trampoline_kernelINS0_14default_configENS1_27scan_by_key_config_selectorIijEEZZNS1_16scan_by_key_implILNS1_25lookback_scan_determinismE0ELb0ES3_N6thrust23THRUST_200600_302600_NS6detail15normal_iteratorINS9_10device_ptrIiEEEENSB_INSC_IjEEEESG_jNS9_4plusIvEENS9_8equal_toIvEEjEE10hipError_tPvRmT2_T3_T4_T5_mT6_T7_P12ihipStream_tbENKUlT_T0_E_clISt17integral_constantIbLb0EES10_IbLb1EEEEDaSW_SX_EUlSW_E_NS1_11comp_targetILNS1_3genE9ELNS1_11target_archE1100ELNS1_3gpuE3ELNS1_3repE0EEENS1_30default_config_static_selectorELNS0_4arch9wavefront6targetE1EEEvT1_
		.amdhsa_group_segment_fixed_size 0
		.amdhsa_private_segment_fixed_size 0
		.amdhsa_kernarg_size 112
		.amdhsa_user_sgpr_count 2
		.amdhsa_user_sgpr_dispatch_ptr 0
		.amdhsa_user_sgpr_queue_ptr 0
		.amdhsa_user_sgpr_kernarg_segment_ptr 1
		.amdhsa_user_sgpr_dispatch_id 0
		.amdhsa_user_sgpr_kernarg_preload_length 0
		.amdhsa_user_sgpr_kernarg_preload_offset 0
		.amdhsa_user_sgpr_private_segment_size 0
		.amdhsa_uses_dynamic_stack 0
		.amdhsa_enable_private_segment 0
		.amdhsa_system_sgpr_workgroup_id_x 1
		.amdhsa_system_sgpr_workgroup_id_y 0
		.amdhsa_system_sgpr_workgroup_id_z 0
		.amdhsa_system_sgpr_workgroup_info 0
		.amdhsa_system_vgpr_workitem_id 0
		.amdhsa_next_free_vgpr 1
		.amdhsa_next_free_sgpr 0
		.amdhsa_accum_offset 4
		.amdhsa_reserve_vcc 0
		.amdhsa_float_round_mode_32 0
		.amdhsa_float_round_mode_16_64 0
		.amdhsa_float_denorm_mode_32 3
		.amdhsa_float_denorm_mode_16_64 3
		.amdhsa_dx10_clamp 1
		.amdhsa_ieee_mode 1
		.amdhsa_fp16_overflow 0
		.amdhsa_tg_split 0
		.amdhsa_exception_fp_ieee_invalid_op 0
		.amdhsa_exception_fp_denorm_src 0
		.amdhsa_exception_fp_ieee_div_zero 0
		.amdhsa_exception_fp_ieee_overflow 0
		.amdhsa_exception_fp_ieee_underflow 0
		.amdhsa_exception_fp_ieee_inexact 0
		.amdhsa_exception_int_div_zero 0
	.end_amdhsa_kernel
	.section	.text._ZN7rocprim17ROCPRIM_400000_NS6detail17trampoline_kernelINS0_14default_configENS1_27scan_by_key_config_selectorIijEEZZNS1_16scan_by_key_implILNS1_25lookback_scan_determinismE0ELb0ES3_N6thrust23THRUST_200600_302600_NS6detail15normal_iteratorINS9_10device_ptrIiEEEENSB_INSC_IjEEEESG_jNS9_4plusIvEENS9_8equal_toIvEEjEE10hipError_tPvRmT2_T3_T4_T5_mT6_T7_P12ihipStream_tbENKUlT_T0_E_clISt17integral_constantIbLb0EES10_IbLb1EEEEDaSW_SX_EUlSW_E_NS1_11comp_targetILNS1_3genE9ELNS1_11target_archE1100ELNS1_3gpuE3ELNS1_3repE0EEENS1_30default_config_static_selectorELNS0_4arch9wavefront6targetE1EEEvT1_,"axG",@progbits,_ZN7rocprim17ROCPRIM_400000_NS6detail17trampoline_kernelINS0_14default_configENS1_27scan_by_key_config_selectorIijEEZZNS1_16scan_by_key_implILNS1_25lookback_scan_determinismE0ELb0ES3_N6thrust23THRUST_200600_302600_NS6detail15normal_iteratorINS9_10device_ptrIiEEEENSB_INSC_IjEEEESG_jNS9_4plusIvEENS9_8equal_toIvEEjEE10hipError_tPvRmT2_T3_T4_T5_mT6_T7_P12ihipStream_tbENKUlT_T0_E_clISt17integral_constantIbLb0EES10_IbLb1EEEEDaSW_SX_EUlSW_E_NS1_11comp_targetILNS1_3genE9ELNS1_11target_archE1100ELNS1_3gpuE3ELNS1_3repE0EEENS1_30default_config_static_selectorELNS0_4arch9wavefront6targetE1EEEvT1_,comdat
.Lfunc_end1261:
	.size	_ZN7rocprim17ROCPRIM_400000_NS6detail17trampoline_kernelINS0_14default_configENS1_27scan_by_key_config_selectorIijEEZZNS1_16scan_by_key_implILNS1_25lookback_scan_determinismE0ELb0ES3_N6thrust23THRUST_200600_302600_NS6detail15normal_iteratorINS9_10device_ptrIiEEEENSB_INSC_IjEEEESG_jNS9_4plusIvEENS9_8equal_toIvEEjEE10hipError_tPvRmT2_T3_T4_T5_mT6_T7_P12ihipStream_tbENKUlT_T0_E_clISt17integral_constantIbLb0EES10_IbLb1EEEEDaSW_SX_EUlSW_E_NS1_11comp_targetILNS1_3genE9ELNS1_11target_archE1100ELNS1_3gpuE3ELNS1_3repE0EEENS1_30default_config_static_selectorELNS0_4arch9wavefront6targetE1EEEvT1_, .Lfunc_end1261-_ZN7rocprim17ROCPRIM_400000_NS6detail17trampoline_kernelINS0_14default_configENS1_27scan_by_key_config_selectorIijEEZZNS1_16scan_by_key_implILNS1_25lookback_scan_determinismE0ELb0ES3_N6thrust23THRUST_200600_302600_NS6detail15normal_iteratorINS9_10device_ptrIiEEEENSB_INSC_IjEEEESG_jNS9_4plusIvEENS9_8equal_toIvEEjEE10hipError_tPvRmT2_T3_T4_T5_mT6_T7_P12ihipStream_tbENKUlT_T0_E_clISt17integral_constantIbLb0EES10_IbLb1EEEEDaSW_SX_EUlSW_E_NS1_11comp_targetILNS1_3genE9ELNS1_11target_archE1100ELNS1_3gpuE3ELNS1_3repE0EEENS1_30default_config_static_selectorELNS0_4arch9wavefront6targetE1EEEvT1_
                                        ; -- End function
	.section	.AMDGPU.csdata,"",@progbits
; Kernel info:
; codeLenInByte = 0
; NumSgprs: 6
; NumVgprs: 0
; NumAgprs: 0
; TotalNumVgprs: 0
; ScratchSize: 0
; MemoryBound: 0
; FloatMode: 240
; IeeeMode: 1
; LDSByteSize: 0 bytes/workgroup (compile time only)
; SGPRBlocks: 0
; VGPRBlocks: 0
; NumSGPRsForWavesPerEU: 6
; NumVGPRsForWavesPerEU: 1
; AccumOffset: 4
; Occupancy: 8
; WaveLimiterHint : 0
; COMPUTE_PGM_RSRC2:SCRATCH_EN: 0
; COMPUTE_PGM_RSRC2:USER_SGPR: 2
; COMPUTE_PGM_RSRC2:TRAP_HANDLER: 0
; COMPUTE_PGM_RSRC2:TGID_X_EN: 1
; COMPUTE_PGM_RSRC2:TGID_Y_EN: 0
; COMPUTE_PGM_RSRC2:TGID_Z_EN: 0
; COMPUTE_PGM_RSRC2:TIDIG_COMP_CNT: 0
; COMPUTE_PGM_RSRC3_GFX90A:ACCUM_OFFSET: 0
; COMPUTE_PGM_RSRC3_GFX90A:TG_SPLIT: 0
	.section	.text._ZN7rocprim17ROCPRIM_400000_NS6detail17trampoline_kernelINS0_14default_configENS1_27scan_by_key_config_selectorIijEEZZNS1_16scan_by_key_implILNS1_25lookback_scan_determinismE0ELb0ES3_N6thrust23THRUST_200600_302600_NS6detail15normal_iteratorINS9_10device_ptrIiEEEENSB_INSC_IjEEEESG_jNS9_4plusIvEENS9_8equal_toIvEEjEE10hipError_tPvRmT2_T3_T4_T5_mT6_T7_P12ihipStream_tbENKUlT_T0_E_clISt17integral_constantIbLb0EES10_IbLb1EEEEDaSW_SX_EUlSW_E_NS1_11comp_targetILNS1_3genE8ELNS1_11target_archE1030ELNS1_3gpuE2ELNS1_3repE0EEENS1_30default_config_static_selectorELNS0_4arch9wavefront6targetE1EEEvT1_,"axG",@progbits,_ZN7rocprim17ROCPRIM_400000_NS6detail17trampoline_kernelINS0_14default_configENS1_27scan_by_key_config_selectorIijEEZZNS1_16scan_by_key_implILNS1_25lookback_scan_determinismE0ELb0ES3_N6thrust23THRUST_200600_302600_NS6detail15normal_iteratorINS9_10device_ptrIiEEEENSB_INSC_IjEEEESG_jNS9_4plusIvEENS9_8equal_toIvEEjEE10hipError_tPvRmT2_T3_T4_T5_mT6_T7_P12ihipStream_tbENKUlT_T0_E_clISt17integral_constantIbLb0EES10_IbLb1EEEEDaSW_SX_EUlSW_E_NS1_11comp_targetILNS1_3genE8ELNS1_11target_archE1030ELNS1_3gpuE2ELNS1_3repE0EEENS1_30default_config_static_selectorELNS0_4arch9wavefront6targetE1EEEvT1_,comdat
	.protected	_ZN7rocprim17ROCPRIM_400000_NS6detail17trampoline_kernelINS0_14default_configENS1_27scan_by_key_config_selectorIijEEZZNS1_16scan_by_key_implILNS1_25lookback_scan_determinismE0ELb0ES3_N6thrust23THRUST_200600_302600_NS6detail15normal_iteratorINS9_10device_ptrIiEEEENSB_INSC_IjEEEESG_jNS9_4plusIvEENS9_8equal_toIvEEjEE10hipError_tPvRmT2_T3_T4_T5_mT6_T7_P12ihipStream_tbENKUlT_T0_E_clISt17integral_constantIbLb0EES10_IbLb1EEEEDaSW_SX_EUlSW_E_NS1_11comp_targetILNS1_3genE8ELNS1_11target_archE1030ELNS1_3gpuE2ELNS1_3repE0EEENS1_30default_config_static_selectorELNS0_4arch9wavefront6targetE1EEEvT1_ ; -- Begin function _ZN7rocprim17ROCPRIM_400000_NS6detail17trampoline_kernelINS0_14default_configENS1_27scan_by_key_config_selectorIijEEZZNS1_16scan_by_key_implILNS1_25lookback_scan_determinismE0ELb0ES3_N6thrust23THRUST_200600_302600_NS6detail15normal_iteratorINS9_10device_ptrIiEEEENSB_INSC_IjEEEESG_jNS9_4plusIvEENS9_8equal_toIvEEjEE10hipError_tPvRmT2_T3_T4_T5_mT6_T7_P12ihipStream_tbENKUlT_T0_E_clISt17integral_constantIbLb0EES10_IbLb1EEEEDaSW_SX_EUlSW_E_NS1_11comp_targetILNS1_3genE8ELNS1_11target_archE1030ELNS1_3gpuE2ELNS1_3repE0EEENS1_30default_config_static_selectorELNS0_4arch9wavefront6targetE1EEEvT1_
	.globl	_ZN7rocprim17ROCPRIM_400000_NS6detail17trampoline_kernelINS0_14default_configENS1_27scan_by_key_config_selectorIijEEZZNS1_16scan_by_key_implILNS1_25lookback_scan_determinismE0ELb0ES3_N6thrust23THRUST_200600_302600_NS6detail15normal_iteratorINS9_10device_ptrIiEEEENSB_INSC_IjEEEESG_jNS9_4plusIvEENS9_8equal_toIvEEjEE10hipError_tPvRmT2_T3_T4_T5_mT6_T7_P12ihipStream_tbENKUlT_T0_E_clISt17integral_constantIbLb0EES10_IbLb1EEEEDaSW_SX_EUlSW_E_NS1_11comp_targetILNS1_3genE8ELNS1_11target_archE1030ELNS1_3gpuE2ELNS1_3repE0EEENS1_30default_config_static_selectorELNS0_4arch9wavefront6targetE1EEEvT1_
	.p2align	8
	.type	_ZN7rocprim17ROCPRIM_400000_NS6detail17trampoline_kernelINS0_14default_configENS1_27scan_by_key_config_selectorIijEEZZNS1_16scan_by_key_implILNS1_25lookback_scan_determinismE0ELb0ES3_N6thrust23THRUST_200600_302600_NS6detail15normal_iteratorINS9_10device_ptrIiEEEENSB_INSC_IjEEEESG_jNS9_4plusIvEENS9_8equal_toIvEEjEE10hipError_tPvRmT2_T3_T4_T5_mT6_T7_P12ihipStream_tbENKUlT_T0_E_clISt17integral_constantIbLb0EES10_IbLb1EEEEDaSW_SX_EUlSW_E_NS1_11comp_targetILNS1_3genE8ELNS1_11target_archE1030ELNS1_3gpuE2ELNS1_3repE0EEENS1_30default_config_static_selectorELNS0_4arch9wavefront6targetE1EEEvT1_,@function
_ZN7rocprim17ROCPRIM_400000_NS6detail17trampoline_kernelINS0_14default_configENS1_27scan_by_key_config_selectorIijEEZZNS1_16scan_by_key_implILNS1_25lookback_scan_determinismE0ELb0ES3_N6thrust23THRUST_200600_302600_NS6detail15normal_iteratorINS9_10device_ptrIiEEEENSB_INSC_IjEEEESG_jNS9_4plusIvEENS9_8equal_toIvEEjEE10hipError_tPvRmT2_T3_T4_T5_mT6_T7_P12ihipStream_tbENKUlT_T0_E_clISt17integral_constantIbLb0EES10_IbLb1EEEEDaSW_SX_EUlSW_E_NS1_11comp_targetILNS1_3genE8ELNS1_11target_archE1030ELNS1_3gpuE2ELNS1_3repE0EEENS1_30default_config_static_selectorELNS0_4arch9wavefront6targetE1EEEvT1_: ; @_ZN7rocprim17ROCPRIM_400000_NS6detail17trampoline_kernelINS0_14default_configENS1_27scan_by_key_config_selectorIijEEZZNS1_16scan_by_key_implILNS1_25lookback_scan_determinismE0ELb0ES3_N6thrust23THRUST_200600_302600_NS6detail15normal_iteratorINS9_10device_ptrIiEEEENSB_INSC_IjEEEESG_jNS9_4plusIvEENS9_8equal_toIvEEjEE10hipError_tPvRmT2_T3_T4_T5_mT6_T7_P12ihipStream_tbENKUlT_T0_E_clISt17integral_constantIbLb0EES10_IbLb1EEEEDaSW_SX_EUlSW_E_NS1_11comp_targetILNS1_3genE8ELNS1_11target_archE1030ELNS1_3gpuE2ELNS1_3repE0EEENS1_30default_config_static_selectorELNS0_4arch9wavefront6targetE1EEEvT1_
; %bb.0:
	.section	.rodata,"a",@progbits
	.p2align	6, 0x0
	.amdhsa_kernel _ZN7rocprim17ROCPRIM_400000_NS6detail17trampoline_kernelINS0_14default_configENS1_27scan_by_key_config_selectorIijEEZZNS1_16scan_by_key_implILNS1_25lookback_scan_determinismE0ELb0ES3_N6thrust23THRUST_200600_302600_NS6detail15normal_iteratorINS9_10device_ptrIiEEEENSB_INSC_IjEEEESG_jNS9_4plusIvEENS9_8equal_toIvEEjEE10hipError_tPvRmT2_T3_T4_T5_mT6_T7_P12ihipStream_tbENKUlT_T0_E_clISt17integral_constantIbLb0EES10_IbLb1EEEEDaSW_SX_EUlSW_E_NS1_11comp_targetILNS1_3genE8ELNS1_11target_archE1030ELNS1_3gpuE2ELNS1_3repE0EEENS1_30default_config_static_selectorELNS0_4arch9wavefront6targetE1EEEvT1_
		.amdhsa_group_segment_fixed_size 0
		.amdhsa_private_segment_fixed_size 0
		.amdhsa_kernarg_size 112
		.amdhsa_user_sgpr_count 2
		.amdhsa_user_sgpr_dispatch_ptr 0
		.amdhsa_user_sgpr_queue_ptr 0
		.amdhsa_user_sgpr_kernarg_segment_ptr 1
		.amdhsa_user_sgpr_dispatch_id 0
		.amdhsa_user_sgpr_kernarg_preload_length 0
		.amdhsa_user_sgpr_kernarg_preload_offset 0
		.amdhsa_user_sgpr_private_segment_size 0
		.amdhsa_uses_dynamic_stack 0
		.amdhsa_enable_private_segment 0
		.amdhsa_system_sgpr_workgroup_id_x 1
		.amdhsa_system_sgpr_workgroup_id_y 0
		.amdhsa_system_sgpr_workgroup_id_z 0
		.amdhsa_system_sgpr_workgroup_info 0
		.amdhsa_system_vgpr_workitem_id 0
		.amdhsa_next_free_vgpr 1
		.amdhsa_next_free_sgpr 0
		.amdhsa_accum_offset 4
		.amdhsa_reserve_vcc 0
		.amdhsa_float_round_mode_32 0
		.amdhsa_float_round_mode_16_64 0
		.amdhsa_float_denorm_mode_32 3
		.amdhsa_float_denorm_mode_16_64 3
		.amdhsa_dx10_clamp 1
		.amdhsa_ieee_mode 1
		.amdhsa_fp16_overflow 0
		.amdhsa_tg_split 0
		.amdhsa_exception_fp_ieee_invalid_op 0
		.amdhsa_exception_fp_denorm_src 0
		.amdhsa_exception_fp_ieee_div_zero 0
		.amdhsa_exception_fp_ieee_overflow 0
		.amdhsa_exception_fp_ieee_underflow 0
		.amdhsa_exception_fp_ieee_inexact 0
		.amdhsa_exception_int_div_zero 0
	.end_amdhsa_kernel
	.section	.text._ZN7rocprim17ROCPRIM_400000_NS6detail17trampoline_kernelINS0_14default_configENS1_27scan_by_key_config_selectorIijEEZZNS1_16scan_by_key_implILNS1_25lookback_scan_determinismE0ELb0ES3_N6thrust23THRUST_200600_302600_NS6detail15normal_iteratorINS9_10device_ptrIiEEEENSB_INSC_IjEEEESG_jNS9_4plusIvEENS9_8equal_toIvEEjEE10hipError_tPvRmT2_T3_T4_T5_mT6_T7_P12ihipStream_tbENKUlT_T0_E_clISt17integral_constantIbLb0EES10_IbLb1EEEEDaSW_SX_EUlSW_E_NS1_11comp_targetILNS1_3genE8ELNS1_11target_archE1030ELNS1_3gpuE2ELNS1_3repE0EEENS1_30default_config_static_selectorELNS0_4arch9wavefront6targetE1EEEvT1_,"axG",@progbits,_ZN7rocprim17ROCPRIM_400000_NS6detail17trampoline_kernelINS0_14default_configENS1_27scan_by_key_config_selectorIijEEZZNS1_16scan_by_key_implILNS1_25lookback_scan_determinismE0ELb0ES3_N6thrust23THRUST_200600_302600_NS6detail15normal_iteratorINS9_10device_ptrIiEEEENSB_INSC_IjEEEESG_jNS9_4plusIvEENS9_8equal_toIvEEjEE10hipError_tPvRmT2_T3_T4_T5_mT6_T7_P12ihipStream_tbENKUlT_T0_E_clISt17integral_constantIbLb0EES10_IbLb1EEEEDaSW_SX_EUlSW_E_NS1_11comp_targetILNS1_3genE8ELNS1_11target_archE1030ELNS1_3gpuE2ELNS1_3repE0EEENS1_30default_config_static_selectorELNS0_4arch9wavefront6targetE1EEEvT1_,comdat
.Lfunc_end1262:
	.size	_ZN7rocprim17ROCPRIM_400000_NS6detail17trampoline_kernelINS0_14default_configENS1_27scan_by_key_config_selectorIijEEZZNS1_16scan_by_key_implILNS1_25lookback_scan_determinismE0ELb0ES3_N6thrust23THRUST_200600_302600_NS6detail15normal_iteratorINS9_10device_ptrIiEEEENSB_INSC_IjEEEESG_jNS9_4plusIvEENS9_8equal_toIvEEjEE10hipError_tPvRmT2_T3_T4_T5_mT6_T7_P12ihipStream_tbENKUlT_T0_E_clISt17integral_constantIbLb0EES10_IbLb1EEEEDaSW_SX_EUlSW_E_NS1_11comp_targetILNS1_3genE8ELNS1_11target_archE1030ELNS1_3gpuE2ELNS1_3repE0EEENS1_30default_config_static_selectorELNS0_4arch9wavefront6targetE1EEEvT1_, .Lfunc_end1262-_ZN7rocprim17ROCPRIM_400000_NS6detail17trampoline_kernelINS0_14default_configENS1_27scan_by_key_config_selectorIijEEZZNS1_16scan_by_key_implILNS1_25lookback_scan_determinismE0ELb0ES3_N6thrust23THRUST_200600_302600_NS6detail15normal_iteratorINS9_10device_ptrIiEEEENSB_INSC_IjEEEESG_jNS9_4plusIvEENS9_8equal_toIvEEjEE10hipError_tPvRmT2_T3_T4_T5_mT6_T7_P12ihipStream_tbENKUlT_T0_E_clISt17integral_constantIbLb0EES10_IbLb1EEEEDaSW_SX_EUlSW_E_NS1_11comp_targetILNS1_3genE8ELNS1_11target_archE1030ELNS1_3gpuE2ELNS1_3repE0EEENS1_30default_config_static_selectorELNS0_4arch9wavefront6targetE1EEEvT1_
                                        ; -- End function
	.section	.AMDGPU.csdata,"",@progbits
; Kernel info:
; codeLenInByte = 0
; NumSgprs: 6
; NumVgprs: 0
; NumAgprs: 0
; TotalNumVgprs: 0
; ScratchSize: 0
; MemoryBound: 0
; FloatMode: 240
; IeeeMode: 1
; LDSByteSize: 0 bytes/workgroup (compile time only)
; SGPRBlocks: 0
; VGPRBlocks: 0
; NumSGPRsForWavesPerEU: 6
; NumVGPRsForWavesPerEU: 1
; AccumOffset: 4
; Occupancy: 8
; WaveLimiterHint : 0
; COMPUTE_PGM_RSRC2:SCRATCH_EN: 0
; COMPUTE_PGM_RSRC2:USER_SGPR: 2
; COMPUTE_PGM_RSRC2:TRAP_HANDLER: 0
; COMPUTE_PGM_RSRC2:TGID_X_EN: 1
; COMPUTE_PGM_RSRC2:TGID_Y_EN: 0
; COMPUTE_PGM_RSRC2:TGID_Z_EN: 0
; COMPUTE_PGM_RSRC2:TIDIG_COMP_CNT: 0
; COMPUTE_PGM_RSRC3_GFX90A:ACCUM_OFFSET: 0
; COMPUTE_PGM_RSRC3_GFX90A:TG_SPLIT: 0
	.section	.text._ZN6thrust23THRUST_200600_302600_NS11hip_rocprim14__parallel_for6kernelILj256ENS1_11__transform17unary_transform_fINS0_7pointerIiNS1_3tagENS0_11use_defaultES8_EENS0_10device_ptrItEENS4_14no_stencil_tagENS0_8identityIiEENS4_21always_true_predicateEEElLj1EEEvT0_T1_SI_,"axG",@progbits,_ZN6thrust23THRUST_200600_302600_NS11hip_rocprim14__parallel_for6kernelILj256ENS1_11__transform17unary_transform_fINS0_7pointerIiNS1_3tagENS0_11use_defaultES8_EENS0_10device_ptrItEENS4_14no_stencil_tagENS0_8identityIiEENS4_21always_true_predicateEEElLj1EEEvT0_T1_SI_,comdat
	.protected	_ZN6thrust23THRUST_200600_302600_NS11hip_rocprim14__parallel_for6kernelILj256ENS1_11__transform17unary_transform_fINS0_7pointerIiNS1_3tagENS0_11use_defaultES8_EENS0_10device_ptrItEENS4_14no_stencil_tagENS0_8identityIiEENS4_21always_true_predicateEEElLj1EEEvT0_T1_SI_ ; -- Begin function _ZN6thrust23THRUST_200600_302600_NS11hip_rocprim14__parallel_for6kernelILj256ENS1_11__transform17unary_transform_fINS0_7pointerIiNS1_3tagENS0_11use_defaultES8_EENS0_10device_ptrItEENS4_14no_stencil_tagENS0_8identityIiEENS4_21always_true_predicateEEElLj1EEEvT0_T1_SI_
	.globl	_ZN6thrust23THRUST_200600_302600_NS11hip_rocprim14__parallel_for6kernelILj256ENS1_11__transform17unary_transform_fINS0_7pointerIiNS1_3tagENS0_11use_defaultES8_EENS0_10device_ptrItEENS4_14no_stencil_tagENS0_8identityIiEENS4_21always_true_predicateEEElLj1EEEvT0_T1_SI_
	.p2align	8
	.type	_ZN6thrust23THRUST_200600_302600_NS11hip_rocprim14__parallel_for6kernelILj256ENS1_11__transform17unary_transform_fINS0_7pointerIiNS1_3tagENS0_11use_defaultES8_EENS0_10device_ptrItEENS4_14no_stencil_tagENS0_8identityIiEENS4_21always_true_predicateEEElLj1EEEvT0_T1_SI_,@function
_ZN6thrust23THRUST_200600_302600_NS11hip_rocprim14__parallel_for6kernelILj256ENS1_11__transform17unary_transform_fINS0_7pointerIiNS1_3tagENS0_11use_defaultES8_EENS0_10device_ptrItEENS4_14no_stencil_tagENS0_8identityIiEENS4_21always_true_predicateEEElLj1EEEvT0_T1_SI_: ; @_ZN6thrust23THRUST_200600_302600_NS11hip_rocprim14__parallel_for6kernelILj256ENS1_11__transform17unary_transform_fINS0_7pointerIiNS1_3tagENS0_11use_defaultES8_EENS0_10device_ptrItEENS4_14no_stencil_tagENS0_8identityIiEENS4_21always_true_predicateEEElLj1EEEvT0_T1_SI_
; %bb.0:
	s_load_dwordx4 s[8:11], s[0:1], 0x18
	s_load_dwordx4 s[4:7], s[0:1], 0x0
	s_lshl_b32 s0, s2, 8
	v_mov_b64_e32 v[2:3], 0x100
	s_waitcnt lgkmcnt(0)
	s_add_u32 s0, s0, s10
	s_addc_u32 s1, 0, s11
	s_sub_u32 s2, s8, s0
	s_subb_u32 s3, s9, s1
	v_cmp_lt_i64_e32 vcc, s[2:3], v[2:3]
	s_and_b64 s[8:9], vcc, exec
	s_cselect_b32 s8, s2, 0x100
	s_cmpk_lg_i32 s8, 0x100
	s_mov_b64 s[2:3], -1
	s_cbranch_scc1 .LBB1263_3
; %bb.1:
	s_andn2_b64 vcc, exec, s[2:3]
	s_cbranch_vccz .LBB1263_6
.LBB1263_2:
	s_endpgm
.LBB1263_3:
	v_cmp_gt_u32_e32 vcc, s8, v0
	s_and_saveexec_b64 s[2:3], vcc
	s_cbranch_execz .LBB1263_5
; %bb.4:
	v_mov_b32_e32 v1, 0
	v_lshl_add_u64 v[2:3], s[0:1], 0, v[0:1]
	v_lshl_add_u64 v[4:5], v[2:3], 2, s[4:5]
	flat_load_dword v1, v[4:5]
	v_lshl_add_u64 v[2:3], v[2:3], 1, s[6:7]
	s_waitcnt vmcnt(0) lgkmcnt(0)
	flat_store_short v[2:3], v1
.LBB1263_5:
	s_or_b64 exec, exec, s[2:3]
	s_cbranch_execnz .LBB1263_2
.LBB1263_6:
	v_mov_b32_e32 v1, 0
	v_lshl_add_u64 v[0:1], s[0:1], 0, v[0:1]
	v_lshl_add_u64 v[2:3], v[0:1], 2, s[4:5]
	flat_load_dword v2, v[2:3]
	v_lshl_add_u64 v[0:1], v[0:1], 1, s[6:7]
	s_waitcnt vmcnt(0) lgkmcnt(0)
	flat_store_short v[0:1], v2
	s_endpgm
	.section	.rodata,"a",@progbits
	.p2align	6, 0x0
	.amdhsa_kernel _ZN6thrust23THRUST_200600_302600_NS11hip_rocprim14__parallel_for6kernelILj256ENS1_11__transform17unary_transform_fINS0_7pointerIiNS1_3tagENS0_11use_defaultES8_EENS0_10device_ptrItEENS4_14no_stencil_tagENS0_8identityIiEENS4_21always_true_predicateEEElLj1EEEvT0_T1_SI_
		.amdhsa_group_segment_fixed_size 0
		.amdhsa_private_segment_fixed_size 0
		.amdhsa_kernarg_size 40
		.amdhsa_user_sgpr_count 2
		.amdhsa_user_sgpr_dispatch_ptr 0
		.amdhsa_user_sgpr_queue_ptr 0
		.amdhsa_user_sgpr_kernarg_segment_ptr 1
		.amdhsa_user_sgpr_dispatch_id 0
		.amdhsa_user_sgpr_kernarg_preload_length 0
		.amdhsa_user_sgpr_kernarg_preload_offset 0
		.amdhsa_user_sgpr_private_segment_size 0
		.amdhsa_uses_dynamic_stack 0
		.amdhsa_enable_private_segment 0
		.amdhsa_system_sgpr_workgroup_id_x 1
		.amdhsa_system_sgpr_workgroup_id_y 0
		.amdhsa_system_sgpr_workgroup_id_z 0
		.amdhsa_system_sgpr_workgroup_info 0
		.amdhsa_system_vgpr_workitem_id 0
		.amdhsa_next_free_vgpr 6
		.amdhsa_next_free_sgpr 12
		.amdhsa_accum_offset 8
		.amdhsa_reserve_vcc 1
		.amdhsa_float_round_mode_32 0
		.amdhsa_float_round_mode_16_64 0
		.amdhsa_float_denorm_mode_32 3
		.amdhsa_float_denorm_mode_16_64 3
		.amdhsa_dx10_clamp 1
		.amdhsa_ieee_mode 1
		.amdhsa_fp16_overflow 0
		.amdhsa_tg_split 0
		.amdhsa_exception_fp_ieee_invalid_op 0
		.amdhsa_exception_fp_denorm_src 0
		.amdhsa_exception_fp_ieee_div_zero 0
		.amdhsa_exception_fp_ieee_overflow 0
		.amdhsa_exception_fp_ieee_underflow 0
		.amdhsa_exception_fp_ieee_inexact 0
		.amdhsa_exception_int_div_zero 0
	.end_amdhsa_kernel
	.section	.text._ZN6thrust23THRUST_200600_302600_NS11hip_rocprim14__parallel_for6kernelILj256ENS1_11__transform17unary_transform_fINS0_7pointerIiNS1_3tagENS0_11use_defaultES8_EENS0_10device_ptrItEENS4_14no_stencil_tagENS0_8identityIiEENS4_21always_true_predicateEEElLj1EEEvT0_T1_SI_,"axG",@progbits,_ZN6thrust23THRUST_200600_302600_NS11hip_rocprim14__parallel_for6kernelILj256ENS1_11__transform17unary_transform_fINS0_7pointerIiNS1_3tagENS0_11use_defaultES8_EENS0_10device_ptrItEENS4_14no_stencil_tagENS0_8identityIiEENS4_21always_true_predicateEEElLj1EEEvT0_T1_SI_,comdat
.Lfunc_end1263:
	.size	_ZN6thrust23THRUST_200600_302600_NS11hip_rocprim14__parallel_for6kernelILj256ENS1_11__transform17unary_transform_fINS0_7pointerIiNS1_3tagENS0_11use_defaultES8_EENS0_10device_ptrItEENS4_14no_stencil_tagENS0_8identityIiEENS4_21always_true_predicateEEElLj1EEEvT0_T1_SI_, .Lfunc_end1263-_ZN6thrust23THRUST_200600_302600_NS11hip_rocprim14__parallel_for6kernelILj256ENS1_11__transform17unary_transform_fINS0_7pointerIiNS1_3tagENS0_11use_defaultES8_EENS0_10device_ptrItEENS4_14no_stencil_tagENS0_8identityIiEENS4_21always_true_predicateEEElLj1EEEvT0_T1_SI_
                                        ; -- End function
	.section	.AMDGPU.csdata,"",@progbits
; Kernel info:
; codeLenInByte = 208
; NumSgprs: 18
; NumVgprs: 6
; NumAgprs: 0
; TotalNumVgprs: 6
; ScratchSize: 0
; MemoryBound: 0
; FloatMode: 240
; IeeeMode: 1
; LDSByteSize: 0 bytes/workgroup (compile time only)
; SGPRBlocks: 2
; VGPRBlocks: 0
; NumSGPRsForWavesPerEU: 18
; NumVGPRsForWavesPerEU: 6
; AccumOffset: 8
; Occupancy: 8
; WaveLimiterHint : 0
; COMPUTE_PGM_RSRC2:SCRATCH_EN: 0
; COMPUTE_PGM_RSRC2:USER_SGPR: 2
; COMPUTE_PGM_RSRC2:TRAP_HANDLER: 0
; COMPUTE_PGM_RSRC2:TGID_X_EN: 1
; COMPUTE_PGM_RSRC2:TGID_Y_EN: 0
; COMPUTE_PGM_RSRC2:TGID_Z_EN: 0
; COMPUTE_PGM_RSRC2:TIDIG_COMP_CNT: 0
; COMPUTE_PGM_RSRC3_GFX90A:ACCUM_OFFSET: 1
; COMPUTE_PGM_RSRC3_GFX90A:TG_SPLIT: 0
	.section	.text._ZN6thrust23THRUST_200600_302600_NS11hip_rocprim14__parallel_for6kernelILj256ENS1_20__uninitialized_fill7functorINS0_10device_ptrItEEtEEmLj1EEEvT0_T1_SA_,"axG",@progbits,_ZN6thrust23THRUST_200600_302600_NS11hip_rocprim14__parallel_for6kernelILj256ENS1_20__uninitialized_fill7functorINS0_10device_ptrItEEtEEmLj1EEEvT0_T1_SA_,comdat
	.protected	_ZN6thrust23THRUST_200600_302600_NS11hip_rocprim14__parallel_for6kernelILj256ENS1_20__uninitialized_fill7functorINS0_10device_ptrItEEtEEmLj1EEEvT0_T1_SA_ ; -- Begin function _ZN6thrust23THRUST_200600_302600_NS11hip_rocprim14__parallel_for6kernelILj256ENS1_20__uninitialized_fill7functorINS0_10device_ptrItEEtEEmLj1EEEvT0_T1_SA_
	.globl	_ZN6thrust23THRUST_200600_302600_NS11hip_rocprim14__parallel_for6kernelILj256ENS1_20__uninitialized_fill7functorINS0_10device_ptrItEEtEEmLj1EEEvT0_T1_SA_
	.p2align	8
	.type	_ZN6thrust23THRUST_200600_302600_NS11hip_rocprim14__parallel_for6kernelILj256ENS1_20__uninitialized_fill7functorINS0_10device_ptrItEEtEEmLj1EEEvT0_T1_SA_,@function
_ZN6thrust23THRUST_200600_302600_NS11hip_rocprim14__parallel_for6kernelILj256ENS1_20__uninitialized_fill7functorINS0_10device_ptrItEEtEEmLj1EEEvT0_T1_SA_: ; @_ZN6thrust23THRUST_200600_302600_NS11hip_rocprim14__parallel_for6kernelILj256ENS1_20__uninitialized_fill7functorINS0_10device_ptrItEEtEEmLj1EEEvT0_T1_SA_
; %bb.0:
	s_load_dwordx4 s[4:7], s[0:1], 0x10
	s_lshl_b32 s2, s2, 8
	v_mov_b64_e32 v[2:3], 0x100
	s_waitcnt lgkmcnt(0)
	s_add_u32 s2, s2, s6
	s_addc_u32 s3, 0, s7
	s_sub_u32 s4, s4, s2
	s_subb_u32 s5, s5, s3
	v_cmp_lt_u64_e32 vcc, s[4:5], v[2:3]
	s_cbranch_vccz .LBB1264_2
; %bb.1:
	v_cmp_gt_u32_e32 vcc, s4, v0
	s_and_b64 s[4:5], vcc, exec
	s_cbranch_execz .LBB1264_3
	s_branch .LBB1264_4
.LBB1264_2:
	s_mov_b64 s[4:5], 0
.LBB1264_3:
	s_or_b64 s[4:5], s[4:5], exec
.LBB1264_4:
	s_and_saveexec_b64 s[6:7], s[4:5]
	s_cbranch_execnz .LBB1264_6
; %bb.5:
	s_endpgm
.LBB1264_6:
	s_load_dwordx2 s[4:5], s[0:1], 0x0
	s_load_dword s6, s[0:1], 0x8
	s_lshl_b64 s[0:1], s[2:3], 1
	v_mov_b32_e32 v1, 0
	s_waitcnt lgkmcnt(0)
	s_add_u32 s0, s4, s0
	s_addc_u32 s1, s5, s1
	v_lshl_add_u64 v[0:1], v[0:1], 1, s[0:1]
	v_mov_b32_e32 v2, s6
	flat_store_short v[0:1], v2
	s_endpgm
	.section	.rodata,"a",@progbits
	.p2align	6, 0x0
	.amdhsa_kernel _ZN6thrust23THRUST_200600_302600_NS11hip_rocprim14__parallel_for6kernelILj256ENS1_20__uninitialized_fill7functorINS0_10device_ptrItEEtEEmLj1EEEvT0_T1_SA_
		.amdhsa_group_segment_fixed_size 0
		.amdhsa_private_segment_fixed_size 0
		.amdhsa_kernarg_size 32
		.amdhsa_user_sgpr_count 2
		.amdhsa_user_sgpr_dispatch_ptr 0
		.amdhsa_user_sgpr_queue_ptr 0
		.amdhsa_user_sgpr_kernarg_segment_ptr 1
		.amdhsa_user_sgpr_dispatch_id 0
		.amdhsa_user_sgpr_kernarg_preload_length 0
		.amdhsa_user_sgpr_kernarg_preload_offset 0
		.amdhsa_user_sgpr_private_segment_size 0
		.amdhsa_uses_dynamic_stack 0
		.amdhsa_enable_private_segment 0
		.amdhsa_system_sgpr_workgroup_id_x 1
		.amdhsa_system_sgpr_workgroup_id_y 0
		.amdhsa_system_sgpr_workgroup_id_z 0
		.amdhsa_system_sgpr_workgroup_info 0
		.amdhsa_system_vgpr_workitem_id 0
		.amdhsa_next_free_vgpr 4
		.amdhsa_next_free_sgpr 8
		.amdhsa_accum_offset 4
		.amdhsa_reserve_vcc 1
		.amdhsa_float_round_mode_32 0
		.amdhsa_float_round_mode_16_64 0
		.amdhsa_float_denorm_mode_32 3
		.amdhsa_float_denorm_mode_16_64 3
		.amdhsa_dx10_clamp 1
		.amdhsa_ieee_mode 1
		.amdhsa_fp16_overflow 0
		.amdhsa_tg_split 0
		.amdhsa_exception_fp_ieee_invalid_op 0
		.amdhsa_exception_fp_denorm_src 0
		.amdhsa_exception_fp_ieee_div_zero 0
		.amdhsa_exception_fp_ieee_overflow 0
		.amdhsa_exception_fp_ieee_underflow 0
		.amdhsa_exception_fp_ieee_inexact 0
		.amdhsa_exception_int_div_zero 0
	.end_amdhsa_kernel
	.section	.text._ZN6thrust23THRUST_200600_302600_NS11hip_rocprim14__parallel_for6kernelILj256ENS1_20__uninitialized_fill7functorINS0_10device_ptrItEEtEEmLj1EEEvT0_T1_SA_,"axG",@progbits,_ZN6thrust23THRUST_200600_302600_NS11hip_rocprim14__parallel_for6kernelILj256ENS1_20__uninitialized_fill7functorINS0_10device_ptrItEEtEEmLj1EEEvT0_T1_SA_,comdat
.Lfunc_end1264:
	.size	_ZN6thrust23THRUST_200600_302600_NS11hip_rocprim14__parallel_for6kernelILj256ENS1_20__uninitialized_fill7functorINS0_10device_ptrItEEtEEmLj1EEEvT0_T1_SA_, .Lfunc_end1264-_ZN6thrust23THRUST_200600_302600_NS11hip_rocprim14__parallel_for6kernelILj256ENS1_20__uninitialized_fill7functorINS0_10device_ptrItEEtEEmLj1EEEvT0_T1_SA_
                                        ; -- End function
	.section	.AMDGPU.csdata,"",@progbits
; Kernel info:
; codeLenInByte = 144
; NumSgprs: 14
; NumVgprs: 4
; NumAgprs: 0
; TotalNumVgprs: 4
; ScratchSize: 0
; MemoryBound: 0
; FloatMode: 240
; IeeeMode: 1
; LDSByteSize: 0 bytes/workgroup (compile time only)
; SGPRBlocks: 1
; VGPRBlocks: 0
; NumSGPRsForWavesPerEU: 14
; NumVGPRsForWavesPerEU: 4
; AccumOffset: 4
; Occupancy: 8
; WaveLimiterHint : 0
; COMPUTE_PGM_RSRC2:SCRATCH_EN: 0
; COMPUTE_PGM_RSRC2:USER_SGPR: 2
; COMPUTE_PGM_RSRC2:TRAP_HANDLER: 0
; COMPUTE_PGM_RSRC2:TGID_X_EN: 1
; COMPUTE_PGM_RSRC2:TGID_Y_EN: 0
; COMPUTE_PGM_RSRC2:TGID_Z_EN: 0
; COMPUTE_PGM_RSRC2:TIDIG_COMP_CNT: 0
; COMPUTE_PGM_RSRC3_GFX90A:ACCUM_OFFSET: 0
; COMPUTE_PGM_RSRC3_GFX90A:TG_SPLIT: 0
	.section	.text._ZN7rocprim17ROCPRIM_400000_NS6detail30init_device_scan_by_key_kernelINS1_19lookback_scan_stateINS0_5tupleIJtbEEELb0ELb1EEEN6thrust23THRUST_200600_302600_NS6detail15normal_iteratorINS8_10device_ptrIiEEEEjNS1_16block_id_wrapperIjLb0EEEEEvT_jjPNSG_10value_typeET0_PNSt15iterator_traitsISJ_E10value_typeEmT1_T2_,"axG",@progbits,_ZN7rocprim17ROCPRIM_400000_NS6detail30init_device_scan_by_key_kernelINS1_19lookback_scan_stateINS0_5tupleIJtbEEELb0ELb1EEEN6thrust23THRUST_200600_302600_NS6detail15normal_iteratorINS8_10device_ptrIiEEEEjNS1_16block_id_wrapperIjLb0EEEEEvT_jjPNSG_10value_typeET0_PNSt15iterator_traitsISJ_E10value_typeEmT1_T2_,comdat
	.protected	_ZN7rocprim17ROCPRIM_400000_NS6detail30init_device_scan_by_key_kernelINS1_19lookback_scan_stateINS0_5tupleIJtbEEELb0ELb1EEEN6thrust23THRUST_200600_302600_NS6detail15normal_iteratorINS8_10device_ptrIiEEEEjNS1_16block_id_wrapperIjLb0EEEEEvT_jjPNSG_10value_typeET0_PNSt15iterator_traitsISJ_E10value_typeEmT1_T2_ ; -- Begin function _ZN7rocprim17ROCPRIM_400000_NS6detail30init_device_scan_by_key_kernelINS1_19lookback_scan_stateINS0_5tupleIJtbEEELb0ELb1EEEN6thrust23THRUST_200600_302600_NS6detail15normal_iteratorINS8_10device_ptrIiEEEEjNS1_16block_id_wrapperIjLb0EEEEEvT_jjPNSG_10value_typeET0_PNSt15iterator_traitsISJ_E10value_typeEmT1_T2_
	.globl	_ZN7rocprim17ROCPRIM_400000_NS6detail30init_device_scan_by_key_kernelINS1_19lookback_scan_stateINS0_5tupleIJtbEEELb0ELb1EEEN6thrust23THRUST_200600_302600_NS6detail15normal_iteratorINS8_10device_ptrIiEEEEjNS1_16block_id_wrapperIjLb0EEEEEvT_jjPNSG_10value_typeET0_PNSt15iterator_traitsISJ_E10value_typeEmT1_T2_
	.p2align	8
	.type	_ZN7rocprim17ROCPRIM_400000_NS6detail30init_device_scan_by_key_kernelINS1_19lookback_scan_stateINS0_5tupleIJtbEEELb0ELb1EEEN6thrust23THRUST_200600_302600_NS6detail15normal_iteratorINS8_10device_ptrIiEEEEjNS1_16block_id_wrapperIjLb0EEEEEvT_jjPNSG_10value_typeET0_PNSt15iterator_traitsISJ_E10value_typeEmT1_T2_,@function
_ZN7rocprim17ROCPRIM_400000_NS6detail30init_device_scan_by_key_kernelINS1_19lookback_scan_stateINS0_5tupleIJtbEEELb0ELb1EEEN6thrust23THRUST_200600_302600_NS6detail15normal_iteratorINS8_10device_ptrIiEEEEjNS1_16block_id_wrapperIjLb0EEEEEvT_jjPNSG_10value_typeET0_PNSt15iterator_traitsISJ_E10value_typeEmT1_T2_: ; @_ZN7rocprim17ROCPRIM_400000_NS6detail30init_device_scan_by_key_kernelINS1_19lookback_scan_stateINS0_5tupleIJtbEEELb0ELb1EEEN6thrust23THRUST_200600_302600_NS6detail15normal_iteratorINS8_10device_ptrIiEEEEjNS1_16block_id_wrapperIjLb0EEEEEvT_jjPNSG_10value_typeET0_PNSt15iterator_traitsISJ_E10value_typeEmT1_T2_
; %bb.0:
	s_load_dword s3, s[0:1], 0x44
	s_load_dwordx8 s[4:11], s[0:1], 0x0
	s_load_dword s14, s[0:1], 0x38
	s_waitcnt lgkmcnt(0)
	s_and_b32 s15, s3, 0xffff
	s_mul_i32 s2, s2, s15
	s_cmp_eq_u64 s[8:9], 0
	v_add_u32_e32 v0, s2, v0
	s_cbranch_scc1 .LBB1265_6
; %bb.1:
	s_cmp_lt_u32 s7, s6
	s_cselect_b32 s2, s7, 0
	s_mov_b32 s13, 0
	v_cmp_eq_u32_e32 vcc, s2, v0
	s_and_saveexec_b64 s[2:3], vcc
	s_cbranch_execz .LBB1265_5
; %bb.2:
	s_add_i32 s12, s7, 64
	s_lshl_b64 s[12:13], s[12:13], 3
	s_add_u32 s12, s4, s12
	s_addc_u32 s13, s5, s13
	v_mov_b32_e32 v4, 0
	global_load_dwordx2 v[2:3], v4, s[12:13] sc1
	s_waitcnt vmcnt(0)
	v_and_b32_e32 v5, 0xff, v3
	v_cmp_ne_u64_e32 vcc, 0, v[4:5]
	s_cbranch_vccnz .LBB1265_4
.LBB1265_3:                             ; =>This Inner Loop Header: Depth=1
	global_load_dwordx2 v[2:3], v4, s[12:13] sc1
	s_waitcnt vmcnt(0)
	v_and_b32_e32 v5, 0xff, v3
	v_cmp_eq_u64_e32 vcc, 0, v[4:5]
	s_cbranch_vccnz .LBB1265_3
.LBB1265_4:
	v_mov_b32_e32 v1, 0
	global_store_short v1, v2, s[8:9]
	global_store_byte_d16_hi v1, v2, s[8:9] offset:2
.LBB1265_5:
	s_or_b64 exec, exec, s[2:3]
.LBB1265_6:
	v_cmp_gt_u32_e32 vcc, s6, v0
	s_and_saveexec_b64 s[2:3], vcc
	s_cbranch_execz .LBB1265_8
; %bb.7:
	v_add_u32_e32 v2, 64, v0
	v_mov_b32_e32 v3, 0
	v_lshl_add_u64 v[4:5], v[2:3], 3, s[4:5]
	v_mov_b32_e32 v2, v3
	global_store_dwordx2 v[4:5], v[2:3], off
.LBB1265_8:
	s_or_b64 exec, exec, s[2:3]
	v_cmp_gt_u32_e32 vcc, 64, v0
	v_mov_b32_e32 v1, 0
	s_and_saveexec_b64 s[2:3], vcc
	s_cbranch_execz .LBB1265_10
; %bb.9:
	v_lshl_add_u64 v[2:3], v[0:1], 3, s[4:5]
	v_mov_b32_e32 v5, 0xff
	v_mov_b32_e32 v4, v1
	global_store_dwordx2 v[2:3], v[4:5], off
.LBB1265_10:
	s_or_b64 exec, exec, s[2:3]
	s_load_dwordx2 s[2:3], s[0:1], 0x28
	s_waitcnt lgkmcnt(0)
	v_cmp_gt_u64_e32 vcc, s[2:3], v[0:1]
	s_and_saveexec_b64 s[4:5], vcc
	s_cbranch_execz .LBB1265_13
; %bb.11:
	s_load_dword s12, s[0:1], 0x30
	s_load_dwordx2 s[6:7], s[0:1], 0x20
	s_mov_b32 s5, 0
	s_mov_b32 s1, s5
	s_mul_i32 s0, s14, s15
	s_waitcnt lgkmcnt(0)
	s_add_i32 s4, s12, -1
	s_lshl_b64 s[4:5], s[4:5], 2
	s_add_u32 s4, s10, s4
	v_mad_u64_u32 v[2:3], s[8:9], s12, v0, 0
	s_addc_u32 s5, s11, s5
	v_lshl_add_u64 v[2:3], v[2:3], 2, s[4:5]
	s_mul_hi_u32 s5, s12, s0
	s_mul_i32 s4, s12, s0
	s_lshl_b64 s[4:5], s[4:5], 2
	v_lshl_add_u64 v[4:5], v[0:1], 2, s[6:7]
	s_lshl_b64 s[6:7], s[0:1], 2
	s_mov_b64 s[8:9], 0
.LBB1265_12:                            ; =>This Inner Loop Header: Depth=1
	global_load_dword v6, v[2:3], off
	v_lshl_add_u64 v[0:1], v[0:1], 0, s[0:1]
	v_cmp_le_u64_e32 vcc, s[2:3], v[0:1]
	v_lshl_add_u64 v[2:3], v[2:3], 0, s[4:5]
	s_or_b64 s[8:9], vcc, s[8:9]
	s_waitcnt vmcnt(0)
	global_store_dword v[4:5], v6, off
	v_lshl_add_u64 v[4:5], v[4:5], 0, s[6:7]
	s_andn2_b64 exec, exec, s[8:9]
	s_cbranch_execnz .LBB1265_12
.LBB1265_13:
	s_endpgm
	.section	.rodata,"a",@progbits
	.p2align	6, 0x0
	.amdhsa_kernel _ZN7rocprim17ROCPRIM_400000_NS6detail30init_device_scan_by_key_kernelINS1_19lookback_scan_stateINS0_5tupleIJtbEEELb0ELb1EEEN6thrust23THRUST_200600_302600_NS6detail15normal_iteratorINS8_10device_ptrIiEEEEjNS1_16block_id_wrapperIjLb0EEEEEvT_jjPNSG_10value_typeET0_PNSt15iterator_traitsISJ_E10value_typeEmT1_T2_
		.amdhsa_group_segment_fixed_size 0
		.amdhsa_private_segment_fixed_size 0
		.amdhsa_kernarg_size 312
		.amdhsa_user_sgpr_count 2
		.amdhsa_user_sgpr_dispatch_ptr 0
		.amdhsa_user_sgpr_queue_ptr 0
		.amdhsa_user_sgpr_kernarg_segment_ptr 1
		.amdhsa_user_sgpr_dispatch_id 0
		.amdhsa_user_sgpr_kernarg_preload_length 0
		.amdhsa_user_sgpr_kernarg_preload_offset 0
		.amdhsa_user_sgpr_private_segment_size 0
		.amdhsa_uses_dynamic_stack 0
		.amdhsa_enable_private_segment 0
		.amdhsa_system_sgpr_workgroup_id_x 1
		.amdhsa_system_sgpr_workgroup_id_y 0
		.amdhsa_system_sgpr_workgroup_id_z 0
		.amdhsa_system_sgpr_workgroup_info 0
		.amdhsa_system_vgpr_workitem_id 0
		.amdhsa_next_free_vgpr 7
		.amdhsa_next_free_sgpr 16
		.amdhsa_accum_offset 8
		.amdhsa_reserve_vcc 1
		.amdhsa_float_round_mode_32 0
		.amdhsa_float_round_mode_16_64 0
		.amdhsa_float_denorm_mode_32 3
		.amdhsa_float_denorm_mode_16_64 3
		.amdhsa_dx10_clamp 1
		.amdhsa_ieee_mode 1
		.amdhsa_fp16_overflow 0
		.amdhsa_tg_split 0
		.amdhsa_exception_fp_ieee_invalid_op 0
		.amdhsa_exception_fp_denorm_src 0
		.amdhsa_exception_fp_ieee_div_zero 0
		.amdhsa_exception_fp_ieee_overflow 0
		.amdhsa_exception_fp_ieee_underflow 0
		.amdhsa_exception_fp_ieee_inexact 0
		.amdhsa_exception_int_div_zero 0
	.end_amdhsa_kernel
	.section	.text._ZN7rocprim17ROCPRIM_400000_NS6detail30init_device_scan_by_key_kernelINS1_19lookback_scan_stateINS0_5tupleIJtbEEELb0ELb1EEEN6thrust23THRUST_200600_302600_NS6detail15normal_iteratorINS8_10device_ptrIiEEEEjNS1_16block_id_wrapperIjLb0EEEEEvT_jjPNSG_10value_typeET0_PNSt15iterator_traitsISJ_E10value_typeEmT1_T2_,"axG",@progbits,_ZN7rocprim17ROCPRIM_400000_NS6detail30init_device_scan_by_key_kernelINS1_19lookback_scan_stateINS0_5tupleIJtbEEELb0ELb1EEEN6thrust23THRUST_200600_302600_NS6detail15normal_iteratorINS8_10device_ptrIiEEEEjNS1_16block_id_wrapperIjLb0EEEEEvT_jjPNSG_10value_typeET0_PNSt15iterator_traitsISJ_E10value_typeEmT1_T2_,comdat
.Lfunc_end1265:
	.size	_ZN7rocprim17ROCPRIM_400000_NS6detail30init_device_scan_by_key_kernelINS1_19lookback_scan_stateINS0_5tupleIJtbEEELb0ELb1EEEN6thrust23THRUST_200600_302600_NS6detail15normal_iteratorINS8_10device_ptrIiEEEEjNS1_16block_id_wrapperIjLb0EEEEEvT_jjPNSG_10value_typeET0_PNSt15iterator_traitsISJ_E10value_typeEmT1_T2_, .Lfunc_end1265-_ZN7rocprim17ROCPRIM_400000_NS6detail30init_device_scan_by_key_kernelINS1_19lookback_scan_stateINS0_5tupleIJtbEEELb0ELb1EEEN6thrust23THRUST_200600_302600_NS6detail15normal_iteratorINS8_10device_ptrIiEEEEjNS1_16block_id_wrapperIjLb0EEEEEvT_jjPNSG_10value_typeET0_PNSt15iterator_traitsISJ_E10value_typeEmT1_T2_
                                        ; -- End function
	.section	.AMDGPU.csdata,"",@progbits
; Kernel info:
; codeLenInByte = 448
; NumSgprs: 22
; NumVgprs: 7
; NumAgprs: 0
; TotalNumVgprs: 7
; ScratchSize: 0
; MemoryBound: 0
; FloatMode: 240
; IeeeMode: 1
; LDSByteSize: 0 bytes/workgroup (compile time only)
; SGPRBlocks: 2
; VGPRBlocks: 0
; NumSGPRsForWavesPerEU: 22
; NumVGPRsForWavesPerEU: 7
; AccumOffset: 8
; Occupancy: 8
; WaveLimiterHint : 0
; COMPUTE_PGM_RSRC2:SCRATCH_EN: 0
; COMPUTE_PGM_RSRC2:USER_SGPR: 2
; COMPUTE_PGM_RSRC2:TRAP_HANDLER: 0
; COMPUTE_PGM_RSRC2:TGID_X_EN: 1
; COMPUTE_PGM_RSRC2:TGID_Y_EN: 0
; COMPUTE_PGM_RSRC2:TGID_Z_EN: 0
; COMPUTE_PGM_RSRC2:TIDIG_COMP_CNT: 0
; COMPUTE_PGM_RSRC3_GFX90A:ACCUM_OFFSET: 1
; COMPUTE_PGM_RSRC3_GFX90A:TG_SPLIT: 0
	.section	.text._ZN7rocprim17ROCPRIM_400000_NS6detail30init_device_scan_by_key_kernelINS1_19lookback_scan_stateINS0_5tupleIJtbEEELb0ELb1EEENS1_16block_id_wrapperIjLb0EEEEEvT_jjPNS9_10value_typeET0_,"axG",@progbits,_ZN7rocprim17ROCPRIM_400000_NS6detail30init_device_scan_by_key_kernelINS1_19lookback_scan_stateINS0_5tupleIJtbEEELb0ELb1EEENS1_16block_id_wrapperIjLb0EEEEEvT_jjPNS9_10value_typeET0_,comdat
	.protected	_ZN7rocprim17ROCPRIM_400000_NS6detail30init_device_scan_by_key_kernelINS1_19lookback_scan_stateINS0_5tupleIJtbEEELb0ELb1EEENS1_16block_id_wrapperIjLb0EEEEEvT_jjPNS9_10value_typeET0_ ; -- Begin function _ZN7rocprim17ROCPRIM_400000_NS6detail30init_device_scan_by_key_kernelINS1_19lookback_scan_stateINS0_5tupleIJtbEEELb0ELb1EEENS1_16block_id_wrapperIjLb0EEEEEvT_jjPNS9_10value_typeET0_
	.globl	_ZN7rocprim17ROCPRIM_400000_NS6detail30init_device_scan_by_key_kernelINS1_19lookback_scan_stateINS0_5tupleIJtbEEELb0ELb1EEENS1_16block_id_wrapperIjLb0EEEEEvT_jjPNS9_10value_typeET0_
	.p2align	8
	.type	_ZN7rocprim17ROCPRIM_400000_NS6detail30init_device_scan_by_key_kernelINS1_19lookback_scan_stateINS0_5tupleIJtbEEELb0ELb1EEENS1_16block_id_wrapperIjLb0EEEEEvT_jjPNS9_10value_typeET0_,@function
_ZN7rocprim17ROCPRIM_400000_NS6detail30init_device_scan_by_key_kernelINS1_19lookback_scan_stateINS0_5tupleIJtbEEELb0ELb1EEENS1_16block_id_wrapperIjLb0EEEEEvT_jjPNS9_10value_typeET0_: ; @_ZN7rocprim17ROCPRIM_400000_NS6detail30init_device_scan_by_key_kernelINS1_19lookback_scan_stateINS0_5tupleIJtbEEELb0ELb1EEENS1_16block_id_wrapperIjLb0EEEEEvT_jjPNS9_10value_typeET0_
; %bb.0:
	s_load_dword s3, s[0:1], 0x2c
	s_load_dwordx2 s[8:9], s[0:1], 0x10
	s_load_dwordx4 s[4:7], s[0:1], 0x0
	s_waitcnt lgkmcnt(0)
	s_and_b32 s0, s3, 0xffff
	s_mul_i32 s2, s2, s0
	s_cmp_eq_u64 s[8:9], 0
	v_add_u32_e32 v0, s2, v0
	s_cbranch_scc1 .LBB1266_6
; %bb.1:
	s_cmp_lt_u32 s7, s6
	s_cselect_b32 s0, s7, 0
	s_mov_b32 s3, 0
	v_cmp_eq_u32_e32 vcc, s0, v0
	s_and_saveexec_b64 s[0:1], vcc
	s_cbranch_execz .LBB1266_5
; %bb.2:
	s_add_i32 s2, s7, 64
	s_lshl_b64 s[2:3], s[2:3], 3
	s_add_u32 s2, s4, s2
	s_addc_u32 s3, s5, s3
	v_mov_b32_e32 v4, 0
	global_load_dwordx2 v[2:3], v4, s[2:3] sc1
	s_waitcnt vmcnt(0)
	v_and_b32_e32 v5, 0xff, v3
	v_cmp_ne_u64_e32 vcc, 0, v[4:5]
	s_cbranch_vccnz .LBB1266_4
.LBB1266_3:                             ; =>This Inner Loop Header: Depth=1
	global_load_dwordx2 v[2:3], v4, s[2:3] sc1
	s_waitcnt vmcnt(0)
	v_and_b32_e32 v5, 0xff, v3
	v_cmp_eq_u64_e32 vcc, 0, v[4:5]
	s_cbranch_vccnz .LBB1266_3
.LBB1266_4:
	v_mov_b32_e32 v1, 0
	global_store_short v1, v2, s[8:9]
	global_store_byte_d16_hi v1, v2, s[8:9] offset:2
.LBB1266_5:
	s_or_b64 exec, exec, s[0:1]
.LBB1266_6:
	v_cmp_gt_u32_e32 vcc, s6, v0
	s_and_saveexec_b64 s[0:1], vcc
	s_cbranch_execnz .LBB1266_9
; %bb.7:
	s_or_b64 exec, exec, s[0:1]
	v_cmp_gt_u32_e32 vcc, 64, v0
	s_and_saveexec_b64 s[0:1], vcc
	s_cbranch_execnz .LBB1266_10
.LBB1266_8:
	s_endpgm
.LBB1266_9:
	v_add_u32_e32 v2, 64, v0
	v_mov_b32_e32 v3, 0
	v_lshl_add_u64 v[4:5], v[2:3], 3, s[4:5]
	v_mov_b32_e32 v2, v3
	global_store_dwordx2 v[4:5], v[2:3], off
	s_or_b64 exec, exec, s[0:1]
	v_cmp_gt_u32_e32 vcc, 64, v0
	s_and_saveexec_b64 s[0:1], vcc
	s_cbranch_execz .LBB1266_8
.LBB1266_10:
	v_mov_b32_e32 v1, 0
	v_lshl_add_u64 v[2:3], v[0:1], 3, s[4:5]
	v_mov_b32_e32 v5, 0xff
	v_mov_b32_e32 v4, v1
	global_store_dwordx2 v[2:3], v[4:5], off
	s_endpgm
	.section	.rodata,"a",@progbits
	.p2align	6, 0x0
	.amdhsa_kernel _ZN7rocprim17ROCPRIM_400000_NS6detail30init_device_scan_by_key_kernelINS1_19lookback_scan_stateINS0_5tupleIJtbEEELb0ELb1EEENS1_16block_id_wrapperIjLb0EEEEEvT_jjPNS9_10value_typeET0_
		.amdhsa_group_segment_fixed_size 0
		.amdhsa_private_segment_fixed_size 0
		.amdhsa_kernarg_size 288
		.amdhsa_user_sgpr_count 2
		.amdhsa_user_sgpr_dispatch_ptr 0
		.amdhsa_user_sgpr_queue_ptr 0
		.amdhsa_user_sgpr_kernarg_segment_ptr 1
		.amdhsa_user_sgpr_dispatch_id 0
		.amdhsa_user_sgpr_kernarg_preload_length 0
		.amdhsa_user_sgpr_kernarg_preload_offset 0
		.amdhsa_user_sgpr_private_segment_size 0
		.amdhsa_uses_dynamic_stack 0
		.amdhsa_enable_private_segment 0
		.amdhsa_system_sgpr_workgroup_id_x 1
		.amdhsa_system_sgpr_workgroup_id_y 0
		.amdhsa_system_sgpr_workgroup_id_z 0
		.amdhsa_system_sgpr_workgroup_info 0
		.amdhsa_system_vgpr_workitem_id 0
		.amdhsa_next_free_vgpr 6
		.amdhsa_next_free_sgpr 10
		.amdhsa_accum_offset 8
		.amdhsa_reserve_vcc 1
		.amdhsa_float_round_mode_32 0
		.amdhsa_float_round_mode_16_64 0
		.amdhsa_float_denorm_mode_32 3
		.amdhsa_float_denorm_mode_16_64 3
		.amdhsa_dx10_clamp 1
		.amdhsa_ieee_mode 1
		.amdhsa_fp16_overflow 0
		.amdhsa_tg_split 0
		.amdhsa_exception_fp_ieee_invalid_op 0
		.amdhsa_exception_fp_denorm_src 0
		.amdhsa_exception_fp_ieee_div_zero 0
		.amdhsa_exception_fp_ieee_overflow 0
		.amdhsa_exception_fp_ieee_underflow 0
		.amdhsa_exception_fp_ieee_inexact 0
		.amdhsa_exception_int_div_zero 0
	.end_amdhsa_kernel
	.section	.text._ZN7rocprim17ROCPRIM_400000_NS6detail30init_device_scan_by_key_kernelINS1_19lookback_scan_stateINS0_5tupleIJtbEEELb0ELb1EEENS1_16block_id_wrapperIjLb0EEEEEvT_jjPNS9_10value_typeET0_,"axG",@progbits,_ZN7rocprim17ROCPRIM_400000_NS6detail30init_device_scan_by_key_kernelINS1_19lookback_scan_stateINS0_5tupleIJtbEEELb0ELb1EEENS1_16block_id_wrapperIjLb0EEEEEvT_jjPNS9_10value_typeET0_,comdat
.Lfunc_end1266:
	.size	_ZN7rocprim17ROCPRIM_400000_NS6detail30init_device_scan_by_key_kernelINS1_19lookback_scan_stateINS0_5tupleIJtbEEELb0ELb1EEENS1_16block_id_wrapperIjLb0EEEEEvT_jjPNS9_10value_typeET0_, .Lfunc_end1266-_ZN7rocprim17ROCPRIM_400000_NS6detail30init_device_scan_by_key_kernelINS1_19lookback_scan_stateINS0_5tupleIJtbEEELb0ELb1EEENS1_16block_id_wrapperIjLb0EEEEEvT_jjPNS9_10value_typeET0_
                                        ; -- End function
	.section	.AMDGPU.csdata,"",@progbits
; Kernel info:
; codeLenInByte = 288
; NumSgprs: 16
; NumVgprs: 6
; NumAgprs: 0
; TotalNumVgprs: 6
; ScratchSize: 0
; MemoryBound: 0
; FloatMode: 240
; IeeeMode: 1
; LDSByteSize: 0 bytes/workgroup (compile time only)
; SGPRBlocks: 1
; VGPRBlocks: 0
; NumSGPRsForWavesPerEU: 16
; NumVGPRsForWavesPerEU: 6
; AccumOffset: 8
; Occupancy: 8
; WaveLimiterHint : 0
; COMPUTE_PGM_RSRC2:SCRATCH_EN: 0
; COMPUTE_PGM_RSRC2:USER_SGPR: 2
; COMPUTE_PGM_RSRC2:TRAP_HANDLER: 0
; COMPUTE_PGM_RSRC2:TGID_X_EN: 1
; COMPUTE_PGM_RSRC2:TGID_Y_EN: 0
; COMPUTE_PGM_RSRC2:TGID_Z_EN: 0
; COMPUTE_PGM_RSRC2:TIDIG_COMP_CNT: 0
; COMPUTE_PGM_RSRC3_GFX90A:ACCUM_OFFSET: 1
; COMPUTE_PGM_RSRC3_GFX90A:TG_SPLIT: 0
	.section	.text._ZN7rocprim17ROCPRIM_400000_NS6detail17trampoline_kernelINS0_14default_configENS1_27scan_by_key_config_selectorIitEEZZNS1_16scan_by_key_implILNS1_25lookback_scan_determinismE0ELb0ES3_N6thrust23THRUST_200600_302600_NS6detail15normal_iteratorINS9_10device_ptrIiEEEENSB_INSC_ItEEEESG_tNS9_4plusIvEENS9_8equal_toIvEEtEE10hipError_tPvRmT2_T3_T4_T5_mT6_T7_P12ihipStream_tbENKUlT_T0_E_clISt17integral_constantIbLb0EES11_EEDaSW_SX_EUlSW_E_NS1_11comp_targetILNS1_3genE0ELNS1_11target_archE4294967295ELNS1_3gpuE0ELNS1_3repE0EEENS1_30default_config_static_selectorELNS0_4arch9wavefront6targetE1EEEvT1_,"axG",@progbits,_ZN7rocprim17ROCPRIM_400000_NS6detail17trampoline_kernelINS0_14default_configENS1_27scan_by_key_config_selectorIitEEZZNS1_16scan_by_key_implILNS1_25lookback_scan_determinismE0ELb0ES3_N6thrust23THRUST_200600_302600_NS6detail15normal_iteratorINS9_10device_ptrIiEEEENSB_INSC_ItEEEESG_tNS9_4plusIvEENS9_8equal_toIvEEtEE10hipError_tPvRmT2_T3_T4_T5_mT6_T7_P12ihipStream_tbENKUlT_T0_E_clISt17integral_constantIbLb0EES11_EEDaSW_SX_EUlSW_E_NS1_11comp_targetILNS1_3genE0ELNS1_11target_archE4294967295ELNS1_3gpuE0ELNS1_3repE0EEENS1_30default_config_static_selectorELNS0_4arch9wavefront6targetE1EEEvT1_,comdat
	.protected	_ZN7rocprim17ROCPRIM_400000_NS6detail17trampoline_kernelINS0_14default_configENS1_27scan_by_key_config_selectorIitEEZZNS1_16scan_by_key_implILNS1_25lookback_scan_determinismE0ELb0ES3_N6thrust23THRUST_200600_302600_NS6detail15normal_iteratorINS9_10device_ptrIiEEEENSB_INSC_ItEEEESG_tNS9_4plusIvEENS9_8equal_toIvEEtEE10hipError_tPvRmT2_T3_T4_T5_mT6_T7_P12ihipStream_tbENKUlT_T0_E_clISt17integral_constantIbLb0EES11_EEDaSW_SX_EUlSW_E_NS1_11comp_targetILNS1_3genE0ELNS1_11target_archE4294967295ELNS1_3gpuE0ELNS1_3repE0EEENS1_30default_config_static_selectorELNS0_4arch9wavefront6targetE1EEEvT1_ ; -- Begin function _ZN7rocprim17ROCPRIM_400000_NS6detail17trampoline_kernelINS0_14default_configENS1_27scan_by_key_config_selectorIitEEZZNS1_16scan_by_key_implILNS1_25lookback_scan_determinismE0ELb0ES3_N6thrust23THRUST_200600_302600_NS6detail15normal_iteratorINS9_10device_ptrIiEEEENSB_INSC_ItEEEESG_tNS9_4plusIvEENS9_8equal_toIvEEtEE10hipError_tPvRmT2_T3_T4_T5_mT6_T7_P12ihipStream_tbENKUlT_T0_E_clISt17integral_constantIbLb0EES11_EEDaSW_SX_EUlSW_E_NS1_11comp_targetILNS1_3genE0ELNS1_11target_archE4294967295ELNS1_3gpuE0ELNS1_3repE0EEENS1_30default_config_static_selectorELNS0_4arch9wavefront6targetE1EEEvT1_
	.globl	_ZN7rocprim17ROCPRIM_400000_NS6detail17trampoline_kernelINS0_14default_configENS1_27scan_by_key_config_selectorIitEEZZNS1_16scan_by_key_implILNS1_25lookback_scan_determinismE0ELb0ES3_N6thrust23THRUST_200600_302600_NS6detail15normal_iteratorINS9_10device_ptrIiEEEENSB_INSC_ItEEEESG_tNS9_4plusIvEENS9_8equal_toIvEEtEE10hipError_tPvRmT2_T3_T4_T5_mT6_T7_P12ihipStream_tbENKUlT_T0_E_clISt17integral_constantIbLb0EES11_EEDaSW_SX_EUlSW_E_NS1_11comp_targetILNS1_3genE0ELNS1_11target_archE4294967295ELNS1_3gpuE0ELNS1_3repE0EEENS1_30default_config_static_selectorELNS0_4arch9wavefront6targetE1EEEvT1_
	.p2align	8
	.type	_ZN7rocprim17ROCPRIM_400000_NS6detail17trampoline_kernelINS0_14default_configENS1_27scan_by_key_config_selectorIitEEZZNS1_16scan_by_key_implILNS1_25lookback_scan_determinismE0ELb0ES3_N6thrust23THRUST_200600_302600_NS6detail15normal_iteratorINS9_10device_ptrIiEEEENSB_INSC_ItEEEESG_tNS9_4plusIvEENS9_8equal_toIvEEtEE10hipError_tPvRmT2_T3_T4_T5_mT6_T7_P12ihipStream_tbENKUlT_T0_E_clISt17integral_constantIbLb0EES11_EEDaSW_SX_EUlSW_E_NS1_11comp_targetILNS1_3genE0ELNS1_11target_archE4294967295ELNS1_3gpuE0ELNS1_3repE0EEENS1_30default_config_static_selectorELNS0_4arch9wavefront6targetE1EEEvT1_,@function
_ZN7rocprim17ROCPRIM_400000_NS6detail17trampoline_kernelINS0_14default_configENS1_27scan_by_key_config_selectorIitEEZZNS1_16scan_by_key_implILNS1_25lookback_scan_determinismE0ELb0ES3_N6thrust23THRUST_200600_302600_NS6detail15normal_iteratorINS9_10device_ptrIiEEEENSB_INSC_ItEEEESG_tNS9_4plusIvEENS9_8equal_toIvEEtEE10hipError_tPvRmT2_T3_T4_T5_mT6_T7_P12ihipStream_tbENKUlT_T0_E_clISt17integral_constantIbLb0EES11_EEDaSW_SX_EUlSW_E_NS1_11comp_targetILNS1_3genE0ELNS1_11target_archE4294967295ELNS1_3gpuE0ELNS1_3repE0EEENS1_30default_config_static_selectorELNS0_4arch9wavefront6targetE1EEEvT1_: ; @_ZN7rocprim17ROCPRIM_400000_NS6detail17trampoline_kernelINS0_14default_configENS1_27scan_by_key_config_selectorIitEEZZNS1_16scan_by_key_implILNS1_25lookback_scan_determinismE0ELb0ES3_N6thrust23THRUST_200600_302600_NS6detail15normal_iteratorINS9_10device_ptrIiEEEENSB_INSC_ItEEEESG_tNS9_4plusIvEENS9_8equal_toIvEEtEE10hipError_tPvRmT2_T3_T4_T5_mT6_T7_P12ihipStream_tbENKUlT_T0_E_clISt17integral_constantIbLb0EES11_EEDaSW_SX_EUlSW_E_NS1_11comp_targetILNS1_3genE0ELNS1_11target_archE4294967295ELNS1_3gpuE0ELNS1_3repE0EEENS1_30default_config_static_selectorELNS0_4arch9wavefront6targetE1EEEvT1_
; %bb.0:
	.section	.rodata,"a",@progbits
	.p2align	6, 0x0
	.amdhsa_kernel _ZN7rocprim17ROCPRIM_400000_NS6detail17trampoline_kernelINS0_14default_configENS1_27scan_by_key_config_selectorIitEEZZNS1_16scan_by_key_implILNS1_25lookback_scan_determinismE0ELb0ES3_N6thrust23THRUST_200600_302600_NS6detail15normal_iteratorINS9_10device_ptrIiEEEENSB_INSC_ItEEEESG_tNS9_4plusIvEENS9_8equal_toIvEEtEE10hipError_tPvRmT2_T3_T4_T5_mT6_T7_P12ihipStream_tbENKUlT_T0_E_clISt17integral_constantIbLb0EES11_EEDaSW_SX_EUlSW_E_NS1_11comp_targetILNS1_3genE0ELNS1_11target_archE4294967295ELNS1_3gpuE0ELNS1_3repE0EEENS1_30default_config_static_selectorELNS0_4arch9wavefront6targetE1EEEvT1_
		.amdhsa_group_segment_fixed_size 0
		.amdhsa_private_segment_fixed_size 0
		.amdhsa_kernarg_size 112
		.amdhsa_user_sgpr_count 2
		.amdhsa_user_sgpr_dispatch_ptr 0
		.amdhsa_user_sgpr_queue_ptr 0
		.amdhsa_user_sgpr_kernarg_segment_ptr 1
		.amdhsa_user_sgpr_dispatch_id 0
		.amdhsa_user_sgpr_kernarg_preload_length 0
		.amdhsa_user_sgpr_kernarg_preload_offset 0
		.amdhsa_user_sgpr_private_segment_size 0
		.amdhsa_uses_dynamic_stack 0
		.amdhsa_enable_private_segment 0
		.amdhsa_system_sgpr_workgroup_id_x 1
		.amdhsa_system_sgpr_workgroup_id_y 0
		.amdhsa_system_sgpr_workgroup_id_z 0
		.amdhsa_system_sgpr_workgroup_info 0
		.amdhsa_system_vgpr_workitem_id 0
		.amdhsa_next_free_vgpr 1
		.amdhsa_next_free_sgpr 0
		.amdhsa_accum_offset 4
		.amdhsa_reserve_vcc 0
		.amdhsa_float_round_mode_32 0
		.amdhsa_float_round_mode_16_64 0
		.amdhsa_float_denorm_mode_32 3
		.amdhsa_float_denorm_mode_16_64 3
		.amdhsa_dx10_clamp 1
		.amdhsa_ieee_mode 1
		.amdhsa_fp16_overflow 0
		.amdhsa_tg_split 0
		.amdhsa_exception_fp_ieee_invalid_op 0
		.amdhsa_exception_fp_denorm_src 0
		.amdhsa_exception_fp_ieee_div_zero 0
		.amdhsa_exception_fp_ieee_overflow 0
		.amdhsa_exception_fp_ieee_underflow 0
		.amdhsa_exception_fp_ieee_inexact 0
		.amdhsa_exception_int_div_zero 0
	.end_amdhsa_kernel
	.section	.text._ZN7rocprim17ROCPRIM_400000_NS6detail17trampoline_kernelINS0_14default_configENS1_27scan_by_key_config_selectorIitEEZZNS1_16scan_by_key_implILNS1_25lookback_scan_determinismE0ELb0ES3_N6thrust23THRUST_200600_302600_NS6detail15normal_iteratorINS9_10device_ptrIiEEEENSB_INSC_ItEEEESG_tNS9_4plusIvEENS9_8equal_toIvEEtEE10hipError_tPvRmT2_T3_T4_T5_mT6_T7_P12ihipStream_tbENKUlT_T0_E_clISt17integral_constantIbLb0EES11_EEDaSW_SX_EUlSW_E_NS1_11comp_targetILNS1_3genE0ELNS1_11target_archE4294967295ELNS1_3gpuE0ELNS1_3repE0EEENS1_30default_config_static_selectorELNS0_4arch9wavefront6targetE1EEEvT1_,"axG",@progbits,_ZN7rocprim17ROCPRIM_400000_NS6detail17trampoline_kernelINS0_14default_configENS1_27scan_by_key_config_selectorIitEEZZNS1_16scan_by_key_implILNS1_25lookback_scan_determinismE0ELb0ES3_N6thrust23THRUST_200600_302600_NS6detail15normal_iteratorINS9_10device_ptrIiEEEENSB_INSC_ItEEEESG_tNS9_4plusIvEENS9_8equal_toIvEEtEE10hipError_tPvRmT2_T3_T4_T5_mT6_T7_P12ihipStream_tbENKUlT_T0_E_clISt17integral_constantIbLb0EES11_EEDaSW_SX_EUlSW_E_NS1_11comp_targetILNS1_3genE0ELNS1_11target_archE4294967295ELNS1_3gpuE0ELNS1_3repE0EEENS1_30default_config_static_selectorELNS0_4arch9wavefront6targetE1EEEvT1_,comdat
.Lfunc_end1267:
	.size	_ZN7rocprim17ROCPRIM_400000_NS6detail17trampoline_kernelINS0_14default_configENS1_27scan_by_key_config_selectorIitEEZZNS1_16scan_by_key_implILNS1_25lookback_scan_determinismE0ELb0ES3_N6thrust23THRUST_200600_302600_NS6detail15normal_iteratorINS9_10device_ptrIiEEEENSB_INSC_ItEEEESG_tNS9_4plusIvEENS9_8equal_toIvEEtEE10hipError_tPvRmT2_T3_T4_T5_mT6_T7_P12ihipStream_tbENKUlT_T0_E_clISt17integral_constantIbLb0EES11_EEDaSW_SX_EUlSW_E_NS1_11comp_targetILNS1_3genE0ELNS1_11target_archE4294967295ELNS1_3gpuE0ELNS1_3repE0EEENS1_30default_config_static_selectorELNS0_4arch9wavefront6targetE1EEEvT1_, .Lfunc_end1267-_ZN7rocprim17ROCPRIM_400000_NS6detail17trampoline_kernelINS0_14default_configENS1_27scan_by_key_config_selectorIitEEZZNS1_16scan_by_key_implILNS1_25lookback_scan_determinismE0ELb0ES3_N6thrust23THRUST_200600_302600_NS6detail15normal_iteratorINS9_10device_ptrIiEEEENSB_INSC_ItEEEESG_tNS9_4plusIvEENS9_8equal_toIvEEtEE10hipError_tPvRmT2_T3_T4_T5_mT6_T7_P12ihipStream_tbENKUlT_T0_E_clISt17integral_constantIbLb0EES11_EEDaSW_SX_EUlSW_E_NS1_11comp_targetILNS1_3genE0ELNS1_11target_archE4294967295ELNS1_3gpuE0ELNS1_3repE0EEENS1_30default_config_static_selectorELNS0_4arch9wavefront6targetE1EEEvT1_
                                        ; -- End function
	.section	.AMDGPU.csdata,"",@progbits
; Kernel info:
; codeLenInByte = 0
; NumSgprs: 6
; NumVgprs: 0
; NumAgprs: 0
; TotalNumVgprs: 0
; ScratchSize: 0
; MemoryBound: 0
; FloatMode: 240
; IeeeMode: 1
; LDSByteSize: 0 bytes/workgroup (compile time only)
; SGPRBlocks: 0
; VGPRBlocks: 0
; NumSGPRsForWavesPerEU: 6
; NumVGPRsForWavesPerEU: 1
; AccumOffset: 4
; Occupancy: 8
; WaveLimiterHint : 0
; COMPUTE_PGM_RSRC2:SCRATCH_EN: 0
; COMPUTE_PGM_RSRC2:USER_SGPR: 2
; COMPUTE_PGM_RSRC2:TRAP_HANDLER: 0
; COMPUTE_PGM_RSRC2:TGID_X_EN: 1
; COMPUTE_PGM_RSRC2:TGID_Y_EN: 0
; COMPUTE_PGM_RSRC2:TGID_Z_EN: 0
; COMPUTE_PGM_RSRC2:TIDIG_COMP_CNT: 0
; COMPUTE_PGM_RSRC3_GFX90A:ACCUM_OFFSET: 0
; COMPUTE_PGM_RSRC3_GFX90A:TG_SPLIT: 0
	.section	.text._ZN7rocprim17ROCPRIM_400000_NS6detail17trampoline_kernelINS0_14default_configENS1_27scan_by_key_config_selectorIitEEZZNS1_16scan_by_key_implILNS1_25lookback_scan_determinismE0ELb0ES3_N6thrust23THRUST_200600_302600_NS6detail15normal_iteratorINS9_10device_ptrIiEEEENSB_INSC_ItEEEESG_tNS9_4plusIvEENS9_8equal_toIvEEtEE10hipError_tPvRmT2_T3_T4_T5_mT6_T7_P12ihipStream_tbENKUlT_T0_E_clISt17integral_constantIbLb0EES11_EEDaSW_SX_EUlSW_E_NS1_11comp_targetILNS1_3genE10ELNS1_11target_archE1201ELNS1_3gpuE5ELNS1_3repE0EEENS1_30default_config_static_selectorELNS0_4arch9wavefront6targetE1EEEvT1_,"axG",@progbits,_ZN7rocprim17ROCPRIM_400000_NS6detail17trampoline_kernelINS0_14default_configENS1_27scan_by_key_config_selectorIitEEZZNS1_16scan_by_key_implILNS1_25lookback_scan_determinismE0ELb0ES3_N6thrust23THRUST_200600_302600_NS6detail15normal_iteratorINS9_10device_ptrIiEEEENSB_INSC_ItEEEESG_tNS9_4plusIvEENS9_8equal_toIvEEtEE10hipError_tPvRmT2_T3_T4_T5_mT6_T7_P12ihipStream_tbENKUlT_T0_E_clISt17integral_constantIbLb0EES11_EEDaSW_SX_EUlSW_E_NS1_11comp_targetILNS1_3genE10ELNS1_11target_archE1201ELNS1_3gpuE5ELNS1_3repE0EEENS1_30default_config_static_selectorELNS0_4arch9wavefront6targetE1EEEvT1_,comdat
	.protected	_ZN7rocprim17ROCPRIM_400000_NS6detail17trampoline_kernelINS0_14default_configENS1_27scan_by_key_config_selectorIitEEZZNS1_16scan_by_key_implILNS1_25lookback_scan_determinismE0ELb0ES3_N6thrust23THRUST_200600_302600_NS6detail15normal_iteratorINS9_10device_ptrIiEEEENSB_INSC_ItEEEESG_tNS9_4plusIvEENS9_8equal_toIvEEtEE10hipError_tPvRmT2_T3_T4_T5_mT6_T7_P12ihipStream_tbENKUlT_T0_E_clISt17integral_constantIbLb0EES11_EEDaSW_SX_EUlSW_E_NS1_11comp_targetILNS1_3genE10ELNS1_11target_archE1201ELNS1_3gpuE5ELNS1_3repE0EEENS1_30default_config_static_selectorELNS0_4arch9wavefront6targetE1EEEvT1_ ; -- Begin function _ZN7rocprim17ROCPRIM_400000_NS6detail17trampoline_kernelINS0_14default_configENS1_27scan_by_key_config_selectorIitEEZZNS1_16scan_by_key_implILNS1_25lookback_scan_determinismE0ELb0ES3_N6thrust23THRUST_200600_302600_NS6detail15normal_iteratorINS9_10device_ptrIiEEEENSB_INSC_ItEEEESG_tNS9_4plusIvEENS9_8equal_toIvEEtEE10hipError_tPvRmT2_T3_T4_T5_mT6_T7_P12ihipStream_tbENKUlT_T0_E_clISt17integral_constantIbLb0EES11_EEDaSW_SX_EUlSW_E_NS1_11comp_targetILNS1_3genE10ELNS1_11target_archE1201ELNS1_3gpuE5ELNS1_3repE0EEENS1_30default_config_static_selectorELNS0_4arch9wavefront6targetE1EEEvT1_
	.globl	_ZN7rocprim17ROCPRIM_400000_NS6detail17trampoline_kernelINS0_14default_configENS1_27scan_by_key_config_selectorIitEEZZNS1_16scan_by_key_implILNS1_25lookback_scan_determinismE0ELb0ES3_N6thrust23THRUST_200600_302600_NS6detail15normal_iteratorINS9_10device_ptrIiEEEENSB_INSC_ItEEEESG_tNS9_4plusIvEENS9_8equal_toIvEEtEE10hipError_tPvRmT2_T3_T4_T5_mT6_T7_P12ihipStream_tbENKUlT_T0_E_clISt17integral_constantIbLb0EES11_EEDaSW_SX_EUlSW_E_NS1_11comp_targetILNS1_3genE10ELNS1_11target_archE1201ELNS1_3gpuE5ELNS1_3repE0EEENS1_30default_config_static_selectorELNS0_4arch9wavefront6targetE1EEEvT1_
	.p2align	8
	.type	_ZN7rocprim17ROCPRIM_400000_NS6detail17trampoline_kernelINS0_14default_configENS1_27scan_by_key_config_selectorIitEEZZNS1_16scan_by_key_implILNS1_25lookback_scan_determinismE0ELb0ES3_N6thrust23THRUST_200600_302600_NS6detail15normal_iteratorINS9_10device_ptrIiEEEENSB_INSC_ItEEEESG_tNS9_4plusIvEENS9_8equal_toIvEEtEE10hipError_tPvRmT2_T3_T4_T5_mT6_T7_P12ihipStream_tbENKUlT_T0_E_clISt17integral_constantIbLb0EES11_EEDaSW_SX_EUlSW_E_NS1_11comp_targetILNS1_3genE10ELNS1_11target_archE1201ELNS1_3gpuE5ELNS1_3repE0EEENS1_30default_config_static_selectorELNS0_4arch9wavefront6targetE1EEEvT1_,@function
_ZN7rocprim17ROCPRIM_400000_NS6detail17trampoline_kernelINS0_14default_configENS1_27scan_by_key_config_selectorIitEEZZNS1_16scan_by_key_implILNS1_25lookback_scan_determinismE0ELb0ES3_N6thrust23THRUST_200600_302600_NS6detail15normal_iteratorINS9_10device_ptrIiEEEENSB_INSC_ItEEEESG_tNS9_4plusIvEENS9_8equal_toIvEEtEE10hipError_tPvRmT2_T3_T4_T5_mT6_T7_P12ihipStream_tbENKUlT_T0_E_clISt17integral_constantIbLb0EES11_EEDaSW_SX_EUlSW_E_NS1_11comp_targetILNS1_3genE10ELNS1_11target_archE1201ELNS1_3gpuE5ELNS1_3repE0EEENS1_30default_config_static_selectorELNS0_4arch9wavefront6targetE1EEEvT1_: ; @_ZN7rocprim17ROCPRIM_400000_NS6detail17trampoline_kernelINS0_14default_configENS1_27scan_by_key_config_selectorIitEEZZNS1_16scan_by_key_implILNS1_25lookback_scan_determinismE0ELb0ES3_N6thrust23THRUST_200600_302600_NS6detail15normal_iteratorINS9_10device_ptrIiEEEENSB_INSC_ItEEEESG_tNS9_4plusIvEENS9_8equal_toIvEEtEE10hipError_tPvRmT2_T3_T4_T5_mT6_T7_P12ihipStream_tbENKUlT_T0_E_clISt17integral_constantIbLb0EES11_EEDaSW_SX_EUlSW_E_NS1_11comp_targetILNS1_3genE10ELNS1_11target_archE1201ELNS1_3gpuE5ELNS1_3repE0EEENS1_30default_config_static_selectorELNS0_4arch9wavefront6targetE1EEEvT1_
; %bb.0:
	.section	.rodata,"a",@progbits
	.p2align	6, 0x0
	.amdhsa_kernel _ZN7rocprim17ROCPRIM_400000_NS6detail17trampoline_kernelINS0_14default_configENS1_27scan_by_key_config_selectorIitEEZZNS1_16scan_by_key_implILNS1_25lookback_scan_determinismE0ELb0ES3_N6thrust23THRUST_200600_302600_NS6detail15normal_iteratorINS9_10device_ptrIiEEEENSB_INSC_ItEEEESG_tNS9_4plusIvEENS9_8equal_toIvEEtEE10hipError_tPvRmT2_T3_T4_T5_mT6_T7_P12ihipStream_tbENKUlT_T0_E_clISt17integral_constantIbLb0EES11_EEDaSW_SX_EUlSW_E_NS1_11comp_targetILNS1_3genE10ELNS1_11target_archE1201ELNS1_3gpuE5ELNS1_3repE0EEENS1_30default_config_static_selectorELNS0_4arch9wavefront6targetE1EEEvT1_
		.amdhsa_group_segment_fixed_size 0
		.amdhsa_private_segment_fixed_size 0
		.amdhsa_kernarg_size 112
		.amdhsa_user_sgpr_count 2
		.amdhsa_user_sgpr_dispatch_ptr 0
		.amdhsa_user_sgpr_queue_ptr 0
		.amdhsa_user_sgpr_kernarg_segment_ptr 1
		.amdhsa_user_sgpr_dispatch_id 0
		.amdhsa_user_sgpr_kernarg_preload_length 0
		.amdhsa_user_sgpr_kernarg_preload_offset 0
		.amdhsa_user_sgpr_private_segment_size 0
		.amdhsa_uses_dynamic_stack 0
		.amdhsa_enable_private_segment 0
		.amdhsa_system_sgpr_workgroup_id_x 1
		.amdhsa_system_sgpr_workgroup_id_y 0
		.amdhsa_system_sgpr_workgroup_id_z 0
		.amdhsa_system_sgpr_workgroup_info 0
		.amdhsa_system_vgpr_workitem_id 0
		.amdhsa_next_free_vgpr 1
		.amdhsa_next_free_sgpr 0
		.amdhsa_accum_offset 4
		.amdhsa_reserve_vcc 0
		.amdhsa_float_round_mode_32 0
		.amdhsa_float_round_mode_16_64 0
		.amdhsa_float_denorm_mode_32 3
		.amdhsa_float_denorm_mode_16_64 3
		.amdhsa_dx10_clamp 1
		.amdhsa_ieee_mode 1
		.amdhsa_fp16_overflow 0
		.amdhsa_tg_split 0
		.amdhsa_exception_fp_ieee_invalid_op 0
		.amdhsa_exception_fp_denorm_src 0
		.amdhsa_exception_fp_ieee_div_zero 0
		.amdhsa_exception_fp_ieee_overflow 0
		.amdhsa_exception_fp_ieee_underflow 0
		.amdhsa_exception_fp_ieee_inexact 0
		.amdhsa_exception_int_div_zero 0
	.end_amdhsa_kernel
	.section	.text._ZN7rocprim17ROCPRIM_400000_NS6detail17trampoline_kernelINS0_14default_configENS1_27scan_by_key_config_selectorIitEEZZNS1_16scan_by_key_implILNS1_25lookback_scan_determinismE0ELb0ES3_N6thrust23THRUST_200600_302600_NS6detail15normal_iteratorINS9_10device_ptrIiEEEENSB_INSC_ItEEEESG_tNS9_4plusIvEENS9_8equal_toIvEEtEE10hipError_tPvRmT2_T3_T4_T5_mT6_T7_P12ihipStream_tbENKUlT_T0_E_clISt17integral_constantIbLb0EES11_EEDaSW_SX_EUlSW_E_NS1_11comp_targetILNS1_3genE10ELNS1_11target_archE1201ELNS1_3gpuE5ELNS1_3repE0EEENS1_30default_config_static_selectorELNS0_4arch9wavefront6targetE1EEEvT1_,"axG",@progbits,_ZN7rocprim17ROCPRIM_400000_NS6detail17trampoline_kernelINS0_14default_configENS1_27scan_by_key_config_selectorIitEEZZNS1_16scan_by_key_implILNS1_25lookback_scan_determinismE0ELb0ES3_N6thrust23THRUST_200600_302600_NS6detail15normal_iteratorINS9_10device_ptrIiEEEENSB_INSC_ItEEEESG_tNS9_4plusIvEENS9_8equal_toIvEEtEE10hipError_tPvRmT2_T3_T4_T5_mT6_T7_P12ihipStream_tbENKUlT_T0_E_clISt17integral_constantIbLb0EES11_EEDaSW_SX_EUlSW_E_NS1_11comp_targetILNS1_3genE10ELNS1_11target_archE1201ELNS1_3gpuE5ELNS1_3repE0EEENS1_30default_config_static_selectorELNS0_4arch9wavefront6targetE1EEEvT1_,comdat
.Lfunc_end1268:
	.size	_ZN7rocprim17ROCPRIM_400000_NS6detail17trampoline_kernelINS0_14default_configENS1_27scan_by_key_config_selectorIitEEZZNS1_16scan_by_key_implILNS1_25lookback_scan_determinismE0ELb0ES3_N6thrust23THRUST_200600_302600_NS6detail15normal_iteratorINS9_10device_ptrIiEEEENSB_INSC_ItEEEESG_tNS9_4plusIvEENS9_8equal_toIvEEtEE10hipError_tPvRmT2_T3_T4_T5_mT6_T7_P12ihipStream_tbENKUlT_T0_E_clISt17integral_constantIbLb0EES11_EEDaSW_SX_EUlSW_E_NS1_11comp_targetILNS1_3genE10ELNS1_11target_archE1201ELNS1_3gpuE5ELNS1_3repE0EEENS1_30default_config_static_selectorELNS0_4arch9wavefront6targetE1EEEvT1_, .Lfunc_end1268-_ZN7rocprim17ROCPRIM_400000_NS6detail17trampoline_kernelINS0_14default_configENS1_27scan_by_key_config_selectorIitEEZZNS1_16scan_by_key_implILNS1_25lookback_scan_determinismE0ELb0ES3_N6thrust23THRUST_200600_302600_NS6detail15normal_iteratorINS9_10device_ptrIiEEEENSB_INSC_ItEEEESG_tNS9_4plusIvEENS9_8equal_toIvEEtEE10hipError_tPvRmT2_T3_T4_T5_mT6_T7_P12ihipStream_tbENKUlT_T0_E_clISt17integral_constantIbLb0EES11_EEDaSW_SX_EUlSW_E_NS1_11comp_targetILNS1_3genE10ELNS1_11target_archE1201ELNS1_3gpuE5ELNS1_3repE0EEENS1_30default_config_static_selectorELNS0_4arch9wavefront6targetE1EEEvT1_
                                        ; -- End function
	.section	.AMDGPU.csdata,"",@progbits
; Kernel info:
; codeLenInByte = 0
; NumSgprs: 6
; NumVgprs: 0
; NumAgprs: 0
; TotalNumVgprs: 0
; ScratchSize: 0
; MemoryBound: 0
; FloatMode: 240
; IeeeMode: 1
; LDSByteSize: 0 bytes/workgroup (compile time only)
; SGPRBlocks: 0
; VGPRBlocks: 0
; NumSGPRsForWavesPerEU: 6
; NumVGPRsForWavesPerEU: 1
; AccumOffset: 4
; Occupancy: 8
; WaveLimiterHint : 0
; COMPUTE_PGM_RSRC2:SCRATCH_EN: 0
; COMPUTE_PGM_RSRC2:USER_SGPR: 2
; COMPUTE_PGM_RSRC2:TRAP_HANDLER: 0
; COMPUTE_PGM_RSRC2:TGID_X_EN: 1
; COMPUTE_PGM_RSRC2:TGID_Y_EN: 0
; COMPUTE_PGM_RSRC2:TGID_Z_EN: 0
; COMPUTE_PGM_RSRC2:TIDIG_COMP_CNT: 0
; COMPUTE_PGM_RSRC3_GFX90A:ACCUM_OFFSET: 0
; COMPUTE_PGM_RSRC3_GFX90A:TG_SPLIT: 0
	.section	.text._ZN7rocprim17ROCPRIM_400000_NS6detail17trampoline_kernelINS0_14default_configENS1_27scan_by_key_config_selectorIitEEZZNS1_16scan_by_key_implILNS1_25lookback_scan_determinismE0ELb0ES3_N6thrust23THRUST_200600_302600_NS6detail15normal_iteratorINS9_10device_ptrIiEEEENSB_INSC_ItEEEESG_tNS9_4plusIvEENS9_8equal_toIvEEtEE10hipError_tPvRmT2_T3_T4_T5_mT6_T7_P12ihipStream_tbENKUlT_T0_E_clISt17integral_constantIbLb0EES11_EEDaSW_SX_EUlSW_E_NS1_11comp_targetILNS1_3genE5ELNS1_11target_archE942ELNS1_3gpuE9ELNS1_3repE0EEENS1_30default_config_static_selectorELNS0_4arch9wavefront6targetE1EEEvT1_,"axG",@progbits,_ZN7rocprim17ROCPRIM_400000_NS6detail17trampoline_kernelINS0_14default_configENS1_27scan_by_key_config_selectorIitEEZZNS1_16scan_by_key_implILNS1_25lookback_scan_determinismE0ELb0ES3_N6thrust23THRUST_200600_302600_NS6detail15normal_iteratorINS9_10device_ptrIiEEEENSB_INSC_ItEEEESG_tNS9_4plusIvEENS9_8equal_toIvEEtEE10hipError_tPvRmT2_T3_T4_T5_mT6_T7_P12ihipStream_tbENKUlT_T0_E_clISt17integral_constantIbLb0EES11_EEDaSW_SX_EUlSW_E_NS1_11comp_targetILNS1_3genE5ELNS1_11target_archE942ELNS1_3gpuE9ELNS1_3repE0EEENS1_30default_config_static_selectorELNS0_4arch9wavefront6targetE1EEEvT1_,comdat
	.protected	_ZN7rocprim17ROCPRIM_400000_NS6detail17trampoline_kernelINS0_14default_configENS1_27scan_by_key_config_selectorIitEEZZNS1_16scan_by_key_implILNS1_25lookback_scan_determinismE0ELb0ES3_N6thrust23THRUST_200600_302600_NS6detail15normal_iteratorINS9_10device_ptrIiEEEENSB_INSC_ItEEEESG_tNS9_4plusIvEENS9_8equal_toIvEEtEE10hipError_tPvRmT2_T3_T4_T5_mT6_T7_P12ihipStream_tbENKUlT_T0_E_clISt17integral_constantIbLb0EES11_EEDaSW_SX_EUlSW_E_NS1_11comp_targetILNS1_3genE5ELNS1_11target_archE942ELNS1_3gpuE9ELNS1_3repE0EEENS1_30default_config_static_selectorELNS0_4arch9wavefront6targetE1EEEvT1_ ; -- Begin function _ZN7rocprim17ROCPRIM_400000_NS6detail17trampoline_kernelINS0_14default_configENS1_27scan_by_key_config_selectorIitEEZZNS1_16scan_by_key_implILNS1_25lookback_scan_determinismE0ELb0ES3_N6thrust23THRUST_200600_302600_NS6detail15normal_iteratorINS9_10device_ptrIiEEEENSB_INSC_ItEEEESG_tNS9_4plusIvEENS9_8equal_toIvEEtEE10hipError_tPvRmT2_T3_T4_T5_mT6_T7_P12ihipStream_tbENKUlT_T0_E_clISt17integral_constantIbLb0EES11_EEDaSW_SX_EUlSW_E_NS1_11comp_targetILNS1_3genE5ELNS1_11target_archE942ELNS1_3gpuE9ELNS1_3repE0EEENS1_30default_config_static_selectorELNS0_4arch9wavefront6targetE1EEEvT1_
	.globl	_ZN7rocprim17ROCPRIM_400000_NS6detail17trampoline_kernelINS0_14default_configENS1_27scan_by_key_config_selectorIitEEZZNS1_16scan_by_key_implILNS1_25lookback_scan_determinismE0ELb0ES3_N6thrust23THRUST_200600_302600_NS6detail15normal_iteratorINS9_10device_ptrIiEEEENSB_INSC_ItEEEESG_tNS9_4plusIvEENS9_8equal_toIvEEtEE10hipError_tPvRmT2_T3_T4_T5_mT6_T7_P12ihipStream_tbENKUlT_T0_E_clISt17integral_constantIbLb0EES11_EEDaSW_SX_EUlSW_E_NS1_11comp_targetILNS1_3genE5ELNS1_11target_archE942ELNS1_3gpuE9ELNS1_3repE0EEENS1_30default_config_static_selectorELNS0_4arch9wavefront6targetE1EEEvT1_
	.p2align	8
	.type	_ZN7rocprim17ROCPRIM_400000_NS6detail17trampoline_kernelINS0_14default_configENS1_27scan_by_key_config_selectorIitEEZZNS1_16scan_by_key_implILNS1_25lookback_scan_determinismE0ELb0ES3_N6thrust23THRUST_200600_302600_NS6detail15normal_iteratorINS9_10device_ptrIiEEEENSB_INSC_ItEEEESG_tNS9_4plusIvEENS9_8equal_toIvEEtEE10hipError_tPvRmT2_T3_T4_T5_mT6_T7_P12ihipStream_tbENKUlT_T0_E_clISt17integral_constantIbLb0EES11_EEDaSW_SX_EUlSW_E_NS1_11comp_targetILNS1_3genE5ELNS1_11target_archE942ELNS1_3gpuE9ELNS1_3repE0EEENS1_30default_config_static_selectorELNS0_4arch9wavefront6targetE1EEEvT1_,@function
_ZN7rocprim17ROCPRIM_400000_NS6detail17trampoline_kernelINS0_14default_configENS1_27scan_by_key_config_selectorIitEEZZNS1_16scan_by_key_implILNS1_25lookback_scan_determinismE0ELb0ES3_N6thrust23THRUST_200600_302600_NS6detail15normal_iteratorINS9_10device_ptrIiEEEENSB_INSC_ItEEEESG_tNS9_4plusIvEENS9_8equal_toIvEEtEE10hipError_tPvRmT2_T3_T4_T5_mT6_T7_P12ihipStream_tbENKUlT_T0_E_clISt17integral_constantIbLb0EES11_EEDaSW_SX_EUlSW_E_NS1_11comp_targetILNS1_3genE5ELNS1_11target_archE942ELNS1_3gpuE9ELNS1_3repE0EEENS1_30default_config_static_selectorELNS0_4arch9wavefront6targetE1EEEvT1_: ; @_ZN7rocprim17ROCPRIM_400000_NS6detail17trampoline_kernelINS0_14default_configENS1_27scan_by_key_config_selectorIitEEZZNS1_16scan_by_key_implILNS1_25lookback_scan_determinismE0ELb0ES3_N6thrust23THRUST_200600_302600_NS6detail15normal_iteratorINS9_10device_ptrIiEEEENSB_INSC_ItEEEESG_tNS9_4plusIvEENS9_8equal_toIvEEtEE10hipError_tPvRmT2_T3_T4_T5_mT6_T7_P12ihipStream_tbENKUlT_T0_E_clISt17integral_constantIbLb0EES11_EEDaSW_SX_EUlSW_E_NS1_11comp_targetILNS1_3genE5ELNS1_11target_archE942ELNS1_3gpuE9ELNS1_3repE0EEENS1_30default_config_static_selectorELNS0_4arch9wavefront6targetE1EEEvT1_
; %bb.0:
	s_load_dwordx8 s[52:59], s[0:1], 0x0
	s_load_dwordx4 s[68:71], s[0:1], 0x28
	s_load_dwordx2 s[74:75], s[0:1], 0x38
	s_load_dword s3, s[0:1], 0x40
	s_load_dwordx8 s[60:67], s[0:1], 0x48
	s_waitcnt lgkmcnt(0)
	s_lshl_b64 s[0:1], s[54:55], 2
	s_add_u32 s8, s52, s0
	s_addc_u32 s9, s53, s1
	s_lshl_b64 s[72:73], s[54:55], 1
	s_add_u32 s10, s56, s72
	s_mul_i32 s0, s75, s3
	s_mul_hi_u32 s1, s74, s3
	s_addc_u32 s11, s57, s73
	s_add_i32 s12, s1, s0
	s_cmp_lg_u64 s[64:65], 0
	s_mul_i32 s0, s2, 0x1800
	s_mov_b32 s1, 0
	s_cselect_b64 s[76:77], -1, 0
	s_lshl_b64 s[4:5], s[0:1], 2
	s_add_u32 s64, s8, s4
	s_addc_u32 s65, s9, s5
	s_lshl_b64 s[56:57], s[0:1], 1
	s_add_u32 s54, s10, s56
	s_mul_i32 s3, s74, s3
	s_addc_u32 s55, s11, s57
	s_add_u32 s78, s3, s2
	s_addc_u32 s79, s12, 0
	s_add_u32 s4, s60, -1
	s_addc_u32 s5, s61, -1
	v_mov_b64_e32 v[2:3], s[4:5]
	v_cmp_ge_u64_e64 s[0:1], s[78:79], v[2:3]
	s_mov_b64 s[6:7], 0
	s_mov_b64 s[28:29], -1
	s_and_b64 vcc, exec, s[0:1]
	s_mul_i32 s33, s4, 0xffffe800
	s_barrier
	s_cbranch_vccz .LBB1269_127
; %bb.1:
	v_mov_b64_e32 v[2:3], s[64:65]
	flat_load_dword v2, v[2:3]
	s_add_i32 s3, s33, s70
	v_cmp_gt_u32_e64 s[52:53], s3, v0
	s_waitcnt vmcnt(0) lgkmcnt(0)
	v_mov_b32_e32 v3, v2
	s_and_saveexec_b64 s[4:5], s[52:53]
	s_cbranch_execz .LBB1269_3
; %bb.2:
	v_lshlrev_b32_e32 v4, 2, v0
	v_mov_b32_e32 v5, 0
	v_lshl_add_u64 v[4:5], s[64:65], 0, v[4:5]
	flat_load_dword v3, v[4:5]
.LBB1269_3:
	s_or_b64 exec, exec, s[4:5]
	v_or_b32_e32 v1, 0x100, v0
	v_cmp_gt_u32_e64 s[4:5], s3, v1
	v_mov_b32_e32 v19, v2
	s_and_saveexec_b64 s[6:7], s[4:5]
	s_cbranch_execz .LBB1269_5
; %bb.4:
	v_lshlrev_b32_e32 v4, 2, v0
	v_mov_b32_e32 v5, 0
	v_lshl_add_u64 v[4:5], s[64:65], 0, v[4:5]
	flat_load_dword v19, v[4:5] offset:1024
.LBB1269_5:
	s_or_b64 exec, exec, s[6:7]
	v_or_b32_e32 v1, 0x200, v0
	v_cmp_gt_u32_e64 s[6:7], s3, v1
	v_mov_b32_e32 v20, v2
	s_and_saveexec_b64 s[8:9], s[6:7]
	s_cbranch_execz .LBB1269_7
; %bb.6:
	v_lshlrev_b32_e32 v4, 2, v0
	v_mov_b32_e32 v5, 0
	v_lshl_add_u64 v[4:5], s[64:65], 0, v[4:5]
	flat_load_dword v20, v[4:5] offset:2048
.LBB1269_7:
	;; [unrolled: 12-line block ×3, first 2 shown]
	s_or_b64 exec, exec, s[10:11]
	v_or_b32_e32 v1, 0x400, v0
	v_cmp_gt_u32_e64 s[10:11], s3, v1
	v_mov_b32_e32 v22, v2
	s_and_saveexec_b64 s[12:13], s[10:11]
	s_cbranch_execz .LBB1269_11
; %bb.10:
	v_lshlrev_b32_e32 v4, 2, v1
	v_mov_b32_e32 v5, 0
	v_lshl_add_u64 v[4:5], s[64:65], 0, v[4:5]
	flat_load_dword v22, v[4:5]
.LBB1269_11:
	s_or_b64 exec, exec, s[12:13]
	v_or_b32_e32 v1, 0x500, v0
	v_cmp_gt_u32_e64 s[12:13], s3, v1
	v_mov_b32_e32 v23, v2
	s_and_saveexec_b64 s[14:15], s[12:13]
	s_cbranch_execz .LBB1269_13
; %bb.12:
	v_lshlrev_b32_e32 v4, 2, v1
	v_mov_b32_e32 v5, 0
	v_lshl_add_u64 v[4:5], s[64:65], 0, v[4:5]
	flat_load_dword v23, v[4:5]
.LBB1269_13:
	;; [unrolled: 12-line block ×19, first 2 shown]
	s_or_b64 exec, exec, s[50:51]
	v_or_b32_e32 v18, 0x1700, v0
	v_cmp_gt_u32_e64 s[50:51], s3, v18
	s_and_saveexec_b64 s[60:61], s[50:51]
	s_cbranch_execz .LBB1269_49
; %bb.48:
	v_lshlrev_b32_e32 v42, 2, v18
	v_mov_b32_e32 v43, 0
	v_lshl_add_u64 v[42:43], s[64:65], 0, v[42:43]
	flat_load_dword v2, v[42:43]
.LBB1269_49:
	s_or_b64 exec, exec, s[60:61]
	v_lshlrev_b32_e32 v41, 2, v0
	s_movk_i32 s60, 0x5c
	s_waitcnt vmcnt(0) lgkmcnt(0)
	ds_write2st64_b32 v41, v3, v19 offset1:4
	ds_write2st64_b32 v41, v20, v21 offset0:8 offset1:12
	ds_write2st64_b32 v41, v22, v23 offset0:16 offset1:20
	;; [unrolled: 1-line block ×11, first 2 shown]
	v_mad_u32_u24 v2, v0, s60, v41
	s_waitcnt lgkmcnt(0)
	s_barrier
	ds_read_b128 v[42:45], v2
	ds_read_b128 v[38:41], v2 offset:16
	ds_read_b128 v[34:37], v2 offset:32
	;; [unrolled: 1-line block ×5, first 2 shown]
	s_cmp_eq_u64 s[78:79], 0
	s_mov_b64 s[60:61], s[64:65]
	s_cbranch_scc1 .LBB1269_53
; %bb.50:
	s_andn2_b64 vcc, exec, s[76:77]
	s_cbranch_vccnz .LBB1269_313
; %bb.51:
	s_lshl_b64 s[60:61], s[78:79], 2
	s_add_u32 s60, s66, s60
	s_addc_u32 s61, s67, s61
	s_add_u32 s60, s60, -4
	s_addc_u32 s61, s61, -1
	s_cbranch_execnz .LBB1269_53
.LBB1269_52:
	s_add_u32 s60, s64, -4
	s_addc_u32 s61, s65, -1
.LBB1269_53:
	v_mov_b64_e32 v[20:21], s[60:61]
	flat_load_dword v46, v[20:21]
	s_movk_i32 s60, 0xffa4
	v_mad_i32_i24 v19, v0, s60, v2
	v_cmp_ne_u32_e32 vcc, 0, v0
	s_waitcnt lgkmcnt(0)
	ds_write_b32 v19, v25 offset:24576
	s_waitcnt lgkmcnt(0)
	s_barrier
	s_and_saveexec_b64 s[60:61], vcc
	s_cbranch_execz .LBB1269_55
; %bb.54:
	s_waitcnt vmcnt(0)
	ds_read_b32 v46, v19 offset:24572
.LBB1269_55:
	s_or_b64 exec, exec, s[60:61]
	v_mov_b32_e32 v3, 0
	s_waitcnt lgkmcnt(0)
	s_barrier
	s_waitcnt lgkmcnt(0)
                                        ; implicit-def: $vgpr2
	s_and_saveexec_b64 s[60:61], s[52:53]
	s_cbranch_execnz .LBB1269_290
; %bb.56:
	s_or_b64 exec, exec, s[60:61]
                                        ; implicit-def: $vgpr3
	s_and_saveexec_b64 s[52:53], s[4:5]
	s_cbranch_execnz .LBB1269_291
.LBB1269_57:
	s_or_b64 exec, exec, s[52:53]
                                        ; implicit-def: $vgpr20
	s_and_saveexec_b64 s[4:5], s[6:7]
	s_cbranch_execnz .LBB1269_292
.LBB1269_58:
	s_or_b64 exec, exec, s[4:5]
                                        ; implicit-def: $vgpr21
	s_and_saveexec_b64 s[4:5], s[8:9]
	s_cbranch_execnz .LBB1269_293
.LBB1269_59:
	s_or_b64 exec, exec, s[4:5]
                                        ; implicit-def: $vgpr47
	s_and_saveexec_b64 s[4:5], s[10:11]
	s_cbranch_execnz .LBB1269_294
.LBB1269_60:
	s_or_b64 exec, exec, s[4:5]
                                        ; implicit-def: $vgpr48
	s_and_saveexec_b64 s[4:5], s[12:13]
	s_cbranch_execnz .LBB1269_295
.LBB1269_61:
	s_or_b64 exec, exec, s[4:5]
                                        ; implicit-def: $vgpr49
	s_and_saveexec_b64 s[4:5], s[14:15]
	s_cbranch_execnz .LBB1269_296
.LBB1269_62:
	s_or_b64 exec, exec, s[4:5]
                                        ; implicit-def: $vgpr50
	s_and_saveexec_b64 s[4:5], s[16:17]
	s_cbranch_execnz .LBB1269_297
.LBB1269_63:
	s_or_b64 exec, exec, s[4:5]
                                        ; implicit-def: $vgpr51
	s_and_saveexec_b64 s[4:5], s[18:19]
	s_cbranch_execnz .LBB1269_298
.LBB1269_64:
	s_or_b64 exec, exec, s[4:5]
                                        ; implicit-def: $vgpr1
	s_and_saveexec_b64 s[4:5], s[20:21]
	s_cbranch_execnz .LBB1269_299
.LBB1269_65:
	s_or_b64 exec, exec, s[4:5]
                                        ; implicit-def: $vgpr4
	s_and_saveexec_b64 s[4:5], s[22:23]
	s_cbranch_execnz .LBB1269_300
.LBB1269_66:
	s_or_b64 exec, exec, s[4:5]
                                        ; implicit-def: $vgpr5
	s_and_saveexec_b64 s[4:5], s[24:25]
	s_cbranch_execnz .LBB1269_301
.LBB1269_67:
	s_or_b64 exec, exec, s[4:5]
                                        ; implicit-def: $vgpr6
	s_and_saveexec_b64 s[4:5], s[26:27]
	s_cbranch_execnz .LBB1269_302
.LBB1269_68:
	s_or_b64 exec, exec, s[4:5]
                                        ; implicit-def: $vgpr7
	s_and_saveexec_b64 s[4:5], s[28:29]
	s_cbranch_execnz .LBB1269_303
.LBB1269_69:
	s_or_b64 exec, exec, s[4:5]
                                        ; implicit-def: $vgpr8
	s_and_saveexec_b64 s[4:5], s[30:31]
	s_cbranch_execnz .LBB1269_304
.LBB1269_70:
	s_or_b64 exec, exec, s[4:5]
                                        ; implicit-def: $vgpr9
	s_and_saveexec_b64 s[4:5], s[34:35]
	s_cbranch_execnz .LBB1269_305
.LBB1269_71:
	s_or_b64 exec, exec, s[4:5]
                                        ; implicit-def: $vgpr10
	s_and_saveexec_b64 s[4:5], s[36:37]
	s_cbranch_execnz .LBB1269_306
.LBB1269_72:
	s_or_b64 exec, exec, s[4:5]
                                        ; implicit-def: $vgpr11
	s_and_saveexec_b64 s[4:5], s[38:39]
	s_cbranch_execnz .LBB1269_307
.LBB1269_73:
	s_or_b64 exec, exec, s[4:5]
                                        ; implicit-def: $vgpr12
	s_and_saveexec_b64 s[4:5], s[40:41]
	s_cbranch_execnz .LBB1269_308
.LBB1269_74:
	s_or_b64 exec, exec, s[4:5]
                                        ; implicit-def: $vgpr13
	s_and_saveexec_b64 s[4:5], s[42:43]
	s_cbranch_execnz .LBB1269_309
.LBB1269_75:
	s_or_b64 exec, exec, s[4:5]
                                        ; implicit-def: $vgpr14
	s_and_saveexec_b64 s[4:5], s[44:45]
	s_cbranch_execnz .LBB1269_310
.LBB1269_76:
	s_or_b64 exec, exec, s[4:5]
                                        ; implicit-def: $vgpr15
	s_and_saveexec_b64 s[4:5], s[46:47]
	s_cbranch_execnz .LBB1269_311
.LBB1269_77:
	s_or_b64 exec, exec, s[4:5]
                                        ; implicit-def: $vgpr16
	s_and_saveexec_b64 s[4:5], s[48:49]
	s_cbranch_execnz .LBB1269_312
.LBB1269_78:
	s_or_b64 exec, exec, s[4:5]
                                        ; implicit-def: $vgpr17
	s_and_saveexec_b64 s[4:5], s[50:51]
	s_cbranch_execz .LBB1269_80
.LBB1269_79:
	v_lshlrev_b32_e32 v52, 1, v18
	v_mov_b32_e32 v53, 0
	v_lshl_add_u64 v[52:53], s[54:55], 0, v[52:53]
	flat_load_ushort v17, v[52:53]
.LBB1269_80:
	s_or_b64 exec, exec, s[4:5]
	v_lshlrev_b32_e32 v18, 1, v0
	s_mov_b32 s8, 0
	v_sub_u32_e32 v54, v19, v18
	s_mov_b32 s9, s8
	s_mov_b32 s6, s8
	;; [unrolled: 1-line block ×3, first 2 shown]
	v_mul_u32_u24_e32 v53, 24, v0
	s_waitcnt vmcnt(0) lgkmcnt(0)
	ds_write_b16 v54, v2
	ds_write_b16 v54, v3 offset:512
	ds_write_b16 v54, v20 offset:1024
	;; [unrolled: 1-line block ×23, first 2 shown]
	s_mov_b32 s10, s8
	s_mov_b32 s11, s8
	;; [unrolled: 1-line block ×18, first 2 shown]
	v_mov_b64_e32 v[20:21], s[6:7]
	v_mov_b64_e32 v[2:3], s[8:9]
	v_cmp_gt_u32_e32 vcc, s3, v53
	s_mov_b64 s[28:29], 0
	v_mov_b64_e32 v[50:51], s[24:25]
	v_mov_b64_e32 v[18:19], s[4:5]
	;; [unrolled: 1-line block ×9, first 2 shown]
	v_mov_b32_e32 v1, 0
	s_mov_b64 s[6:7], 0
	s_waitcnt lgkmcnt(0)
	s_barrier
	s_waitcnt lgkmcnt(0)
                                        ; implicit-def: $sgpr4_sgpr5
                                        ; implicit-def: $vgpr52
	s_and_saveexec_b64 s[10:11], vcc
	s_cbranch_execz .LBB1269_126
; %bb.81:
	v_mad_u32_u24 v1, v0, 46, v54
	ds_read_u16 v1, v1
	v_cmp_ne_u32_e32 vcc, v46, v42
	s_mov_b32 s12, 0
	v_or_b32_e32 v2, 1, v53
	v_cndmask_b32_e64 v3, 0, 1, vcc
	s_mov_b32 s13, s12
	s_mov_b32 s6, s12
	;; [unrolled: 1-line block ×3, first 2 shown]
	v_cmp_gt_u32_e32 vcc, s3, v2
	s_waitcnt lgkmcnt(0)
	v_lshl_or_b32 v1, v3, 16, v1
	s_mov_b32 s14, s12
	s_mov_b32 s15, s12
	;; [unrolled: 1-line block ×18, first 2 shown]
	v_mov_b64_e32 v[20:21], s[6:7]
	v_mov_b64_e32 v[2:3], s[12:13]
	s_mov_b64 s[34:35], 0
	v_mov_b64_e32 v[50:51], s[30:31]
	v_mov_b64_e32 v[18:19], s[4:5]
	v_mov_b64_e32 v[4:5], s[14:15]
	v_mov_b64_e32 v[6:7], s[16:17]
	v_mov_b64_e32 v[8:9], s[18:19]
	v_mov_b64_e32 v[10:11], s[20:21]
	v_mov_b64_e32 v[12:13], s[22:23]
	v_mov_b64_e32 v[14:15], s[24:25]
	v_mov_b64_e32 v[16:17], s[26:27]
                                        ; implicit-def: $sgpr36_sgpr37
                                        ; implicit-def: $vgpr52
	s_and_saveexec_b64 s[30:31], vcc
	s_cbranch_execz .LBB1269_125
; %bb.82:
	v_mul_u32_u24_e32 v2, 46, v0
	v_add_u32_e32 v54, v54, v2
	ds_read_b128 v[46:49], v54 offset:2
	v_or_b32_e32 v2, 2, v53
	v_cmp_ne_u32_e32 vcc, v42, v43
	v_mov_b64_e32 v[20:21], s[6:7]
	v_mov_b32_e32 v51, 0
	v_cndmask_b32_e64 v3, 0, 1, vcc
	v_cmp_gt_u32_e32 vcc, s3, v2
	s_waitcnt lgkmcnt(0)
	v_and_b32_e32 v2, 0xffff, v46
	v_lshl_or_b32 v50, v3, 16, v2
	v_mov_b64_e32 v[2:3], s[12:13]
	v_mov_b64_e32 v[18:19], s[4:5]
	v_mov_b64_e32 v[4:5], s[14:15]
	v_mov_b64_e32 v[6:7], s[16:17]
	v_mov_b64_e32 v[8:9], s[18:19]
	v_mov_b64_e32 v[10:11], s[20:21]
	v_mov_b64_e32 v[12:13], s[22:23]
	v_mov_b64_e32 v[14:15], s[24:25]
	v_mov_b64_e32 v[16:17], s[26:27]
                                        ; implicit-def: $sgpr12_sgpr13
                                        ; implicit-def: $vgpr52
	s_and_saveexec_b64 s[6:7], vcc
	s_cbranch_execz .LBB1269_124
; %bb.83:
	v_cmp_ne_u32_e32 vcc, v43, v44
	s_mov_b32 s12, 0
	v_or_b32_e32 v2, 3, v53
	v_cndmask_b32_e64 v3, 0, 1, vcc
	s_mov_b32 s13, s12
	s_mov_b32 s36, s12
	;; [unrolled: 1-line block ×3, first 2 shown]
	v_alignbit_b32 v51, v3, v46, 16
	v_cmp_gt_u32_e32 vcc, s3, v2
	s_mov_b32 s14, s12
	s_mov_b32 s15, s12
	;; [unrolled: 1-line block ×16, first 2 shown]
	v_mov_b64_e32 v[18:19], s[36:37]
	v_mov_b64_e32 v[2:3], s[12:13]
	s_mov_b64 s[4:5], 0
	v_mov_b64_e32 v[20:21], s[38:39]
	v_mov_b64_e32 v[4:5], s[14:15]
	;; [unrolled: 1-line block ×8, first 2 shown]
                                        ; implicit-def: $sgpr36_sgpr37
                                        ; implicit-def: $vgpr52
	s_and_saveexec_b64 s[34:35], vcc
	s_cbranch_execz .LBB1269_123
; %bb.84:
	v_cmp_ne_u32_e32 vcc, v44, v45
	v_and_b32_e32 v2, 0xffff, v47
	v_or_b32_e32 v3, 4, v53
	v_cndmask_b32_e64 v4, 0, 1, vcc
	v_lshl_or_b32 v18, v4, 16, v2
	v_cmp_gt_u32_e32 vcc, s3, v3
	v_mov_b32_e32 v20, 0
	v_mov_b64_e32 v[2:3], s[12:13]
	v_mov_b32_e32 v19, v20
	v_mov_b32_e32 v21, v20
	v_mov_b64_e32 v[4:5], s[14:15]
	v_mov_b64_e32 v[6:7], s[16:17]
	;; [unrolled: 1-line block ×7, first 2 shown]
                                        ; implicit-def: $sgpr12_sgpr13
                                        ; implicit-def: $vgpr52
	s_and_saveexec_b64 s[36:37], vcc
	s_cbranch_execz .LBB1269_122
; %bb.85:
	v_cmp_ne_u32_e32 vcc, v45, v38
	s_mov_b32 s12, 0
	v_or_b32_e32 v2, 5, v53
	v_cndmask_b32_e64 v3, 0, 1, vcc
	s_mov_b32 s13, s12
	v_alignbit_b32 v19, v3, v47, 16
	v_cmp_gt_u32_e32 vcc, s3, v2
	s_mov_b32 s14, s12
	s_mov_b32 s15, s12
	;; [unrolled: 1-line block ×14, first 2 shown]
	v_mov_b64_e32 v[2:3], s[12:13]
	v_mov_b32_e32 v21, v20
	v_mov_b64_e32 v[4:5], s[14:15]
	v_mov_b64_e32 v[6:7], s[16:17]
	;; [unrolled: 1-line block ×7, first 2 shown]
                                        ; implicit-def: $sgpr40_sgpr41
                                        ; implicit-def: $vgpr52
	s_and_saveexec_b64 s[38:39], vcc
	s_cbranch_execz .LBB1269_121
; %bb.86:
	v_cmp_ne_u32_e32 vcc, v38, v39
	v_and_b32_e32 v2, 0xffff, v48
	v_or_b32_e32 v3, 6, v53
	v_cndmask_b32_e64 v4, 0, 1, vcc
	v_lshl_or_b32 v20, v4, 16, v2
	v_cmp_gt_u32_e32 vcc, s3, v3
	v_mov_b64_e32 v[2:3], s[12:13]
	v_mov_b32_e32 v21, s12
	v_mov_b64_e32 v[4:5], s[14:15]
	v_mov_b64_e32 v[6:7], s[16:17]
	;; [unrolled: 1-line block ×7, first 2 shown]
                                        ; implicit-def: $sgpr12_sgpr13
                                        ; implicit-def: $vgpr52
	s_and_saveexec_b64 s[40:41], vcc
	s_cbranch_execz .LBB1269_120
; %bb.87:
	v_cmp_ne_u32_e32 vcc, v39, v40
	s_mov_b32 s12, 0
	v_or_b32_e32 v2, 7, v53
	v_cndmask_b32_e64 v3, 0, 1, vcc
	s_mov_b32 s13, s12
	v_alignbit_b32 v21, v3, v48, 16
	v_cmp_gt_u32_e32 vcc, s3, v2
	s_mov_b32 s14, s12
	s_mov_b32 s15, s12
	;; [unrolled: 1-line block ×14, first 2 shown]
	v_mov_b64_e32 v[2:3], s[12:13]
	v_mov_b64_e32 v[4:5], s[14:15]
	;; [unrolled: 1-line block ×8, first 2 shown]
                                        ; implicit-def: $sgpr14_sgpr15
                                        ; implicit-def: $vgpr52
	s_and_saveexec_b64 s[12:13], vcc
	s_cbranch_execz .LBB1269_119
; %bb.88:
	v_cmp_ne_u32_e32 vcc, v40, v41
	v_and_b32_e32 v2, 0xffff, v49
	v_add_u32_e32 v3, 8, v53
	v_cndmask_b32_e64 v4, 0, 1, vcc
	v_lshl_or_b32 v2, v4, 16, v2
	v_mov_b32_e32 v4, 0
	v_cmp_gt_u32_e32 vcc, s3, v3
	v_mov_b32_e32 v3, v4
	v_mov_b32_e32 v5, v4
	;; [unrolled: 1-line block ×14, first 2 shown]
                                        ; implicit-def: $sgpr16_sgpr17
                                        ; implicit-def: $vgpr52
	s_and_saveexec_b64 s[14:15], vcc
	s_cbranch_execz .LBB1269_118
; %bb.89:
	v_cmp_ne_u32_e32 vcc, v41, v34
	v_add_u32_e32 v5, 9, v53
	v_mov_b32_e32 v6, v4
	v_cndmask_b32_e64 v3, 0, 1, vcc
	v_alignbit_b32 v3, v3, v49, 16
	v_cmp_gt_u32_e32 vcc, s3, v5
	v_mov_b32_e32 v5, v4
	v_mov_b32_e32 v7, v4
	;; [unrolled: 1-line block ×12, first 2 shown]
                                        ; implicit-def: $sgpr18_sgpr19
                                        ; implicit-def: $vgpr52
	s_and_saveexec_b64 s[16:17], vcc
	s_cbranch_execz .LBB1269_117
; %bb.90:
	ds_read_b128 v[38:41], v54 offset:18
	v_add_u32_e32 v4, 10, v53
	v_cmp_ne_u32_e32 vcc, v34, v35
	v_mov_b32_e32 v6, 0
	v_mov_b32_e32 v7, v6
	v_cndmask_b32_e64 v5, 0, 1, vcc
	v_cmp_gt_u32_e32 vcc, s3, v4
	s_waitcnt lgkmcnt(0)
	v_and_b32_e32 v4, 0xffff, v38
	v_lshl_or_b32 v4, v5, 16, v4
	v_mov_b32_e32 v5, v6
	v_mov_b32_e32 v8, v6
	;; [unrolled: 1-line block ×11, first 2 shown]
                                        ; implicit-def: $sgpr20_sgpr21
                                        ; implicit-def: $vgpr52
	s_and_saveexec_b64 s[18:19], vcc
	s_cbranch_execz .LBB1269_116
; %bb.91:
	v_cmp_ne_u32_e32 vcc, v35, v36
	v_add_u32_e32 v7, 11, v53
	v_mov_b32_e32 v8, v6
	v_cndmask_b32_e64 v5, 0, 1, vcc
	v_alignbit_b32 v5, v5, v38, 16
	v_cmp_gt_u32_e32 vcc, s3, v7
	v_mov_b32_e32 v7, v6
	v_mov_b32_e32 v9, v6
	;; [unrolled: 1-line block ×10, first 2 shown]
                                        ; implicit-def: $sgpr22_sgpr23
                                        ; implicit-def: $vgpr52
	s_and_saveexec_b64 s[20:21], vcc
	s_cbranch_execz .LBB1269_115
; %bb.92:
	v_cmp_ne_u32_e32 vcc, v36, v37
	v_and_b32_e32 v6, 0xffff, v39
	v_add_u32_e32 v7, 12, v53
	v_cndmask_b32_e64 v8, 0, 1, vcc
	v_lshl_or_b32 v6, v8, 16, v6
	v_mov_b32_e32 v8, 0
	v_cmp_gt_u32_e32 vcc, s3, v7
	v_mov_b32_e32 v7, v8
	v_mov_b32_e32 v9, v8
	;; [unrolled: 1-line block ×10, first 2 shown]
                                        ; implicit-def: $sgpr24_sgpr25
                                        ; implicit-def: $vgpr52
	s_and_saveexec_b64 s[22:23], vcc
	s_cbranch_execz .LBB1269_114
; %bb.93:
	v_cmp_ne_u32_e32 vcc, v37, v30
	v_add_u32_e32 v9, 13, v53
	v_mov_b32_e32 v10, v8
	v_cndmask_b32_e64 v7, 0, 1, vcc
	v_alignbit_b32 v7, v7, v39, 16
	v_cmp_gt_u32_e32 vcc, s3, v9
	v_mov_b32_e32 v9, v8
	v_mov_b32_e32 v11, v8
	;; [unrolled: 1-line block ×8, first 2 shown]
                                        ; implicit-def: $sgpr26_sgpr27
                                        ; implicit-def: $vgpr52
	s_and_saveexec_b64 s[24:25], vcc
	s_cbranch_execz .LBB1269_113
; %bb.94:
	v_cmp_ne_u32_e32 vcc, v30, v31
	v_and_b32_e32 v8, 0xffff, v40
	v_add_u32_e32 v9, 14, v53
	v_cndmask_b32_e64 v10, 0, 1, vcc
	v_lshl_or_b32 v8, v10, 16, v8
	v_mov_b32_e32 v10, 0
	v_cmp_gt_u32_e32 vcc, s3, v9
	v_mov_b32_e32 v9, v10
	v_mov_b32_e32 v11, v10
	;; [unrolled: 1-line block ×8, first 2 shown]
                                        ; implicit-def: $sgpr42_sgpr43
                                        ; implicit-def: $vgpr52
	s_and_saveexec_b64 s[26:27], vcc
	s_cbranch_execz .LBB1269_112
; %bb.95:
	v_cmp_ne_u32_e32 vcc, v31, v32
	v_add_u32_e32 v11, 15, v53
	v_mov_b32_e32 v12, v10
	v_cndmask_b32_e64 v9, 0, 1, vcc
	v_alignbit_b32 v9, v9, v40, 16
	v_cmp_gt_u32_e32 vcc, s3, v11
	v_mov_b32_e32 v11, v10
	v_mov_b32_e32 v13, v10
	;; [unrolled: 1-line block ×6, first 2 shown]
                                        ; implicit-def: $sgpr44_sgpr45
                                        ; implicit-def: $vgpr52
	s_and_saveexec_b64 s[42:43], vcc
	s_cbranch_execz .LBB1269_111
; %bb.96:
	v_cmp_ne_u32_e32 vcc, v32, v33
	v_and_b32_e32 v10, 0xffff, v41
	v_add_u32_e32 v11, 16, v53
	v_cndmask_b32_e64 v12, 0, 1, vcc
	v_lshl_or_b32 v10, v12, 16, v10
	v_mov_b32_e32 v12, 0
	v_cmp_gt_u32_e32 vcc, s3, v11
	v_mov_b32_e32 v11, v12
	v_mov_b32_e32 v13, v12
	;; [unrolled: 1-line block ×6, first 2 shown]
                                        ; implicit-def: $sgpr46_sgpr47
                                        ; implicit-def: $vgpr52
	s_and_saveexec_b64 s[44:45], vcc
	s_cbranch_execz .LBB1269_110
; %bb.97:
	v_cmp_ne_u32_e32 vcc, v33, v26
	v_add_u32_e32 v13, 17, v53
	v_mov_b32_e32 v14, v12
	v_cndmask_b32_e64 v11, 0, 1, vcc
	v_alignbit_b32 v11, v11, v41, 16
	v_cmp_gt_u32_e32 vcc, s3, v13
	v_mov_b32_e32 v13, v12
	v_mov_b32_e32 v15, v12
	;; [unrolled: 1-line block ×4, first 2 shown]
                                        ; implicit-def: $sgpr48_sgpr49
                                        ; implicit-def: $vgpr52
	s_and_saveexec_b64 s[46:47], vcc
	s_cbranch_execz .LBB1269_109
; %bb.98:
	ds_read_b96 v[30:32], v54 offset:34
	v_add_u32_e32 v12, 18, v53
	v_cmp_ne_u32_e32 vcc, v26, v27
	v_mov_b32_e32 v14, 0
	v_mov_b32_e32 v15, v14
	v_cndmask_b32_e64 v13, 0, 1, vcc
	v_cmp_gt_u32_e32 vcc, s3, v12
	s_waitcnt lgkmcnt(0)
	v_and_b32_e32 v12, 0xffff, v30
	v_lshl_or_b32 v12, v13, 16, v12
	v_mov_b32_e32 v13, v14
	v_mov_b32_e32 v16, v14
	;; [unrolled: 1-line block ×3, first 2 shown]
                                        ; implicit-def: $sgpr50_sgpr51
                                        ; implicit-def: $vgpr52
	s_and_saveexec_b64 s[48:49], vcc
	s_cbranch_execz .LBB1269_108
; %bb.99:
	v_cmp_ne_u32_e32 vcc, v27, v28
	v_add_u32_e32 v15, 19, v53
	v_mov_b32_e32 v16, v14
	v_cndmask_b32_e64 v13, 0, 1, vcc
	v_alignbit_b32 v13, v13, v30, 16
	v_cmp_gt_u32_e32 vcc, s3, v15
	v_mov_b32_e32 v15, v14
	v_mov_b32_e32 v17, v14
                                        ; implicit-def: $sgpr52_sgpr53
                                        ; implicit-def: $vgpr52
	s_and_saveexec_b64 s[50:51], vcc
	s_cbranch_execz .LBB1269_107
; %bb.100:
	v_cmp_ne_u32_e32 vcc, v28, v29
	v_and_b32_e32 v14, 0xffff, v31
	v_add_u32_e32 v15, 20, v53
	v_cndmask_b32_e64 v16, 0, 1, vcc
	v_lshl_or_b32 v14, v16, 16, v14
	v_mov_b32_e32 v16, 0
	v_cmp_gt_u32_e32 vcc, s3, v15
	v_mov_b32_e32 v15, v16
	v_mov_b32_e32 v17, v16
                                        ; implicit-def: $sgpr60_sgpr61
                                        ; implicit-def: $vgpr52
	s_and_saveexec_b64 s[52:53], vcc
	s_cbranch_execz .LBB1269_106
; %bb.101:
	v_cmp_ne_u32_e32 vcc, v29, v22
	v_add_u32_e32 v17, 21, v53
	s_mov_b32 s9, 0
	v_cndmask_b32_e64 v15, 0, 1, vcc
	v_alignbit_b32 v15, v15, v31, 16
	v_cmp_gt_u32_e32 vcc, s3, v17
	v_mov_b32_e32 v17, v16
                                        ; implicit-def: $sgpr80_sgpr81
                                        ; implicit-def: $vgpr52
	s_and_saveexec_b64 s[60:61], vcc
	s_cbranch_execz .LBB1269_105
; %bb.102:
	v_cmp_ne_u32_e32 vcc, v22, v23
	v_and_b32_e32 v16, 0xffff, v32
	v_add_u32_e32 v17, 22, v53
	v_cndmask_b32_e64 v22, 0, 1, vcc
	v_lshl_or_b32 v16, v22, 16, v16
	v_cmp_gt_u32_e32 vcc, s3, v17
	v_mov_b32_e32 v17, s9
                                        ; implicit-def: $sgpr80_sgpr81
                                        ; implicit-def: $vgpr52
	s_and_saveexec_b64 s[82:83], vcc
	s_xor_b64 s[82:83], exec, s[82:83]
	s_cbranch_execz .LBB1269_104
; %bb.103:
	ds_read_u16 v52, v54 offset:46
	v_add_u32_e32 v22, 23, v53
	v_cmp_ne_u32_e64 s[4:5], v23, v24
	v_cmp_ne_u32_e32 vcc, v24, v25
	s_and_b64 s[80:81], vcc, exec
	v_cndmask_b32_e64 v17, 0, 1, s[4:5]
	v_cmp_gt_u32_e64 s[4:5], s3, v22
	v_alignbit_b32 v17, v17, v32, 16
	s_and_b64 s[4:5], s[4:5], exec
.LBB1269_104:
	s_or_b64 exec, exec, s[82:83]
	s_and_b64 s[80:81], s[80:81], exec
	s_and_b64 s[4:5], s[4:5], exec
.LBB1269_105:
	s_or_b64 exec, exec, s[60:61]
	s_and_b64 s[60:61], s[80:81], exec
	s_and_b64 s[4:5], s[4:5], exec
.LBB1269_106:
	s_or_b64 exec, exec, s[52:53]
	s_and_b64 s[52:53], s[60:61], exec
	s_and_b64 s[4:5], s[4:5], exec
.LBB1269_107:
	s_or_b64 exec, exec, s[50:51]
	s_and_b64 s[50:51], s[52:53], exec
	s_and_b64 s[4:5], s[4:5], exec
.LBB1269_108:
	s_or_b64 exec, exec, s[48:49]
	s_and_b64 s[48:49], s[50:51], exec
	s_and_b64 s[4:5], s[4:5], exec
.LBB1269_109:
	s_or_b64 exec, exec, s[46:47]
	s_and_b64 s[46:47], s[48:49], exec
	s_and_b64 s[4:5], s[4:5], exec
.LBB1269_110:
	s_or_b64 exec, exec, s[44:45]
	s_and_b64 s[44:45], s[46:47], exec
	s_and_b64 s[4:5], s[4:5], exec
.LBB1269_111:
	s_or_b64 exec, exec, s[42:43]
	s_and_b64 s[42:43], s[44:45], exec
	s_and_b64 s[4:5], s[4:5], exec
.LBB1269_112:
	s_or_b64 exec, exec, s[26:27]
	s_and_b64 s[26:27], s[42:43], exec
	s_and_b64 s[4:5], s[4:5], exec
.LBB1269_113:
	s_or_b64 exec, exec, s[24:25]
	s_and_b64 s[24:25], s[26:27], exec
	s_and_b64 s[4:5], s[4:5], exec
.LBB1269_114:
	s_or_b64 exec, exec, s[22:23]
	s_and_b64 s[22:23], s[24:25], exec
	s_and_b64 s[4:5], s[4:5], exec
.LBB1269_115:
	s_or_b64 exec, exec, s[20:21]
	s_and_b64 s[20:21], s[22:23], exec
	s_and_b64 s[4:5], s[4:5], exec
.LBB1269_116:
	s_or_b64 exec, exec, s[18:19]
	s_and_b64 s[18:19], s[20:21], exec
	s_and_b64 s[4:5], s[4:5], exec
.LBB1269_117:
	s_or_b64 exec, exec, s[16:17]
	s_and_b64 s[16:17], s[18:19], exec
	s_and_b64 s[4:5], s[4:5], exec
.LBB1269_118:
	s_or_b64 exec, exec, s[14:15]
	s_and_b64 s[14:15], s[16:17], exec
	s_and_b64 s[4:5], s[4:5], exec
.LBB1269_119:
	s_or_b64 exec, exec, s[12:13]
	s_and_b64 s[12:13], s[14:15], exec
	s_and_b64 s[4:5], s[4:5], exec
.LBB1269_120:
	s_or_b64 exec, exec, s[40:41]
	s_and_b64 s[40:41], s[12:13], exec
	s_and_b64 s[4:5], s[4:5], exec
.LBB1269_121:
	s_or_b64 exec, exec, s[38:39]
	s_and_b64 s[12:13], s[40:41], exec
	s_and_b64 s[4:5], s[4:5], exec
.LBB1269_122:
	s_or_b64 exec, exec, s[36:37]
	s_and_b64 s[36:37], s[12:13], exec
	s_and_b64 s[4:5], s[4:5], exec
.LBB1269_123:
	s_or_b64 exec, exec, s[34:35]
	s_and_b64 s[12:13], s[36:37], exec
	s_and_b64 s[34:35], s[4:5], exec
.LBB1269_124:
	s_or_b64 exec, exec, s[6:7]
	s_and_b64 s[36:37], s[12:13], exec
	s_and_b64 s[34:35], s[34:35], exec
.LBB1269_125:
	s_or_b64 exec, exec, s[30:31]
	s_and_b64 s[4:5], s[36:37], exec
	s_and_b64 s[6:7], s[34:35], exec
.LBB1269_126:
	s_or_b64 exec, exec, s[10:11]
	s_and_b64 vcc, exec, s[28:29]
	s_cbranch_vccnz .LBB1269_128
	s_branch .LBB1269_136
.LBB1269_127:
                                        ; implicit-def: $sgpr4_sgpr5
                                        ; implicit-def: $vgpr50_vgpr51
                                        ; implicit-def: $vgpr18_vgpr19_vgpr20_vgpr21
                                        ; implicit-def: $vgpr2_vgpr3_vgpr4_vgpr5_vgpr6_vgpr7_vgpr8_vgpr9_vgpr10_vgpr11_vgpr12_vgpr13_vgpr14_vgpr15_vgpr16_vgpr17
                                        ; implicit-def: $vgpr52
                                        ; implicit-def: $vgpr1
                                        ; implicit-def: $sgpr8
	s_and_b64 vcc, exec, s[28:29]
	s_cbranch_vccz .LBB1269_136
.LBB1269_128:
	v_mov_b32_e32 v3, 0
	v_lshlrev_b32_e32 v2, 2, v0
	v_lshl_add_u64 v[4:5], s[64:65], 0, v[2:3]
	v_add_co_u32_e32 v6, vcc, 0x1000, v4
	s_movk_i32 s3, 0x5c
	s_nop 0
	v_addc_co_u32_e32 v7, vcc, 0, v5, vcc
	flat_load_dword v3, v[4:5]
	flat_load_dword v10, v[4:5] offset:1024
	flat_load_dword v11, v[4:5] offset:2048
	;; [unrolled: 1-line block ×3, first 2 shown]
	flat_load_dword v13, v[6:7]
	flat_load_dword v14, v[6:7] offset:1024
	flat_load_dword v15, v[6:7] offset:2048
	;; [unrolled: 1-line block ×3, first 2 shown]
	v_add_co_u32_e32 v6, vcc, 0x2000, v4
	v_mad_u32_u24 v1, v0, s3, v2
	s_nop 0
	v_addc_co_u32_e32 v7, vcc, 0, v5, vcc
	v_add_co_u32_e32 v8, vcc, 0x3000, v4
	s_cmp_eq_u64 s[78:79], 0
	s_nop 0
	v_addc_co_u32_e32 v9, vcc, 0, v5, vcc
	flat_load_dword v17, v[6:7]
	flat_load_dword v18, v[6:7] offset:1024
	flat_load_dword v19, v[6:7] offset:2048
	flat_load_dword v20, v[6:7] offset:3072
	flat_load_dword v21, v[8:9]
	flat_load_dword v22, v[8:9] offset:1024
	flat_load_dword v23, v[8:9] offset:2048
	;; [unrolled: 1-line block ×3, first 2 shown]
	v_add_co_u32_e32 v6, vcc, 0x4000, v4
	s_nop 1
	v_addc_co_u32_e32 v7, vcc, 0, v5, vcc
	v_add_co_u32_e32 v4, vcc, 0x5000, v4
	s_nop 1
	v_addc_co_u32_e32 v5, vcc, 0, v5, vcc
	flat_load_dword v8, v[6:7]
	flat_load_dword v9, v[6:7] offset:1024
	flat_load_dword v25, v[6:7] offset:2048
	;; [unrolled: 1-line block ×3, first 2 shown]
	flat_load_dword v27, v[4:5]
	flat_load_dword v28, v[4:5] offset:1024
	flat_load_dword v29, v[4:5] offset:2048
	;; [unrolled: 1-line block ×3, first 2 shown]
	s_waitcnt vmcnt(0) lgkmcnt(0)
	ds_write2st64_b32 v2, v3, v10 offset1:4
	ds_write2st64_b32 v2, v11, v12 offset0:8 offset1:12
	ds_write2st64_b32 v2, v13, v14 offset0:16 offset1:20
	;; [unrolled: 1-line block ×11, first 2 shown]
	s_waitcnt lgkmcnt(0)
	s_barrier
	ds_read2_b64 v[2:5], v1 offset1:11
	ds_read2_b64 v[34:37], v1 offset0:9 offset1:10
	ds_read2_b64 v[30:33], v1 offset0:7 offset1:8
	;; [unrolled: 1-line block ×5, first 2 shown]
	s_cbranch_scc1 .LBB1269_133
; %bb.129:
	s_andn2_b64 vcc, exec, s[76:77]
	s_cbranch_vccnz .LBB1269_314
; %bb.130:
	s_lshl_b64 s[4:5], s[78:79], 2
	s_add_u32 s3, s66, s4
	s_addc_u32 s5, s67, s5
	s_add_u32 s4, s3, -4
	s_addc_u32 s5, s5, -1
	s_cbranch_execnz .LBB1269_132
.LBB1269_131:
	s_add_u32 s4, s64, -4
	s_addc_u32 s5, s65, -1
.LBB1269_132:
	s_mov_b64 s[64:65], s[4:5]
.LBB1269_133:
	v_mov_b64_e32 v[10:11], s[64:65]
	flat_load_dword v10, v[10:11]
	s_movk_i32 s3, 0xffa4
	v_mad_i32_i24 v1, v0, s3, v1
	v_cmp_ne_u32_e32 vcc, 0, v0
	s_waitcnt lgkmcnt(0)
	ds_write_b32 v1, v5 offset:24576
	s_waitcnt lgkmcnt(0)
	s_barrier
	s_and_saveexec_b64 s[4:5], vcc
	s_cbranch_execz .LBB1269_135
; %bb.134:
	s_waitcnt vmcnt(0)
	ds_read_b32 v10, v1 offset:24572
.LBB1269_135:
	s_or_b64 exec, exec, s[4:5]
	v_lshlrev_b32_e32 v12, 1, v0
	v_mov_b32_e32 v13, 0
	v_lshl_add_u64 v[14:15], s[54:55], 0, v[12:13]
	s_movk_i32 s3, 0x1000
	v_add_co_u32_e32 v16, vcc, s3, v14
	s_movk_i32 s3, 0x2000
	s_nop 0
	v_addc_co_u32_e32 v17, vcc, 0, v15, vcc
	s_waitcnt lgkmcnt(0)
	s_barrier
	flat_load_ushort v11, v[14:15]
	flat_load_ushort v13, v[14:15] offset:512
	flat_load_ushort v18, v[14:15] offset:1024
	;; [unrolled: 1-line block ×7, first 2 shown]
	v_add_co_u32_e32 v14, vcc, s3, v14
	flat_load_ushort v40, v[16:17]
	flat_load_ushort v41, v[16:17] offset:512
	flat_load_ushort v42, v[16:17] offset:1024
	;; [unrolled: 1-line block ×7, first 2 shown]
	v_addc_co_u32_e32 v15, vcc, 0, v15, vcc
	flat_load_ushort v16, v[14:15]
	flat_load_ushort v17, v[14:15] offset:512
	flat_load_ushort v48, v[14:15] offset:1024
	;; [unrolled: 1-line block ×7, first 2 shown]
	s_waitcnt vmcnt(0)
	v_cmp_ne_u32_e32 vcc, v10, v2
	v_sub_u32_e32 v1, v1, v12
	v_cmp_ne_u32_e64 s[4:5], v4, v5
	v_cndmask_b32_e64 v5, 0, 1, vcc
	v_cmp_ne_u32_e32 vcc, v3, v6
	v_mad_u32_u24 v55, v0, 46, v1
	s_mov_b64 s[6:7], -1
	v_cndmask_b32_e64 v54, 0, 1, vcc
	v_cmp_ne_u32_e32 vcc, v2, v3
                                        ; implicit-def: $sgpr8
	s_waitcnt lgkmcnt(0)
	ds_write_b16 v1, v11
	ds_write_b16 v1, v13 offset:512
	ds_write_b16 v1, v18 offset:1024
	;; [unrolled: 1-line block ×23, first 2 shown]
	s_waitcnt lgkmcnt(0)
	s_barrier
	ds_read_u16 v1, v55
	ds_read_b96 v[14:16], v55 offset:2
	ds_read_b128 v[38:41], v55 offset:14
	ds_read_b128 v[10:13], v55 offset:30
	ds_read_u16 v52, v55 offset:46
	v_cndmask_b32_e64 v2, 0, 1, vcc
	v_cmp_ne_u32_e32 vcc, v9, v22
	s_waitcnt lgkmcnt(4)
	v_lshl_or_b32 v1, v5, 16, v1
	s_waitcnt lgkmcnt(3)
	v_and_b32_e32 v5, 0xffff, v14
	v_cndmask_b32_e64 v3, 0, 1, vcc
	v_cmp_ne_u32_e32 vcc, v7, v8
	v_lshl_or_b32 v50, v2, 16, v5
	v_and_b32_e32 v17, 0xffff, v16
	v_cndmask_b32_e64 v2, 0, 1, vcc
	v_cmp_ne_u32_e32 vcc, v8, v9
	v_alignbit_b32 v19, v2, v15, 16
	v_alignbit_b32 v21, v3, v16, 16
	v_cndmask_b32_e64 v2, 0, 1, vcc
	v_cmp_ne_u32_e32 vcc, v6, v7
	v_lshl_or_b32 v20, v2, 16, v17
	v_alignbit_b32 v51, v54, v14, 16
	v_cndmask_b32_e64 v2, 0, 1, vcc
	v_cmp_ne_u32_e32 vcc, v37, v4
	v_and_b32_e32 v14, 0xffff, v15
	s_waitcnt lgkmcnt(1)
	v_and_b32_e32 v16, 0xffff, v13
	v_cndmask_b32_e64 v3, 0, 1, vcc
	v_cmp_ne_u32_e32 vcc, v35, v36
	v_alignbit_b32 v17, v3, v13, 16
	v_and_b32_e32 v44, 0xffff, v11
	v_cndmask_b32_e64 v3, 0, 1, vcc
	v_cmp_ne_u32_e32 vcc, v33, v34
	v_alignbit_b32 v15, v3, v12, 16
	v_lshl_or_b32 v18, v2, 16, v14
	v_cndmask_b32_e64 v3, 0, 1, vcc
	v_cmp_ne_u32_e32 vcc, v31, v32
	v_alignbit_b32 v13, v3, v11, 16
	v_and_b32_e32 v14, 0xffff, v12
	v_cndmask_b32_e64 v3, 0, 1, vcc
	v_cmp_ne_u32_e32 vcc, v29, v30
	v_alignbit_b32 v11, v3, v10, 16
	v_and_b32_e32 v43, 0xffff, v10
	;; [unrolled: 4-line block ×5, first 2 shown]
	v_cndmask_b32_e64 v3, 0, 1, vcc
	v_cmp_ne_u32_e32 vcc, v36, v37
	v_and_b32_e32 v42, 0xffff, v39
	v_alignbit_b32 v3, v3, v38, 16
	v_cndmask_b32_e64 v4, 0, 1, vcc
	v_cmp_ne_u32_e32 vcc, v34, v35
	v_lshl_or_b32 v16, v4, 16, v16
	s_nop 0
	v_cndmask_b32_e64 v4, 0, 1, vcc
	v_cmp_ne_u32_e32 vcc, v32, v33
	v_lshl_or_b32 v14, v4, 16, v14
	s_nop 0
	;; [unrolled: 4-line block ×7, first 2 shown]
	v_cndmask_b32_e64 v22, 0, 1, vcc
	v_lshl_or_b32 v2, v22, 16, v2
.LBB1269_136:
	v_mov_b32_e32 v32, s8
	s_and_saveexec_b64 s[8:9], s[6:7]
	s_cbranch_execz .LBB1269_138
; %bb.137:
	v_mov_b32_e32 v22, 0x10000
	v_cndmask_b32_e64 v22, 0, v22, s[4:5]
	s_waitcnt lgkmcnt(0)
	v_or_b32_sdwa v32, v22, v52 dst_sel:DWORD dst_unused:UNUSED_PAD src0_sel:DWORD src1_sel:WORD_0
.LBB1269_138:
	s_or_b64 exec, exec, s[8:9]
	s_cmp_lg_u32 s2, 0
	v_mbcnt_lo_u32_b32 v33, -1, 0
	s_waitcnt lgkmcnt(0)
	s_barrier
	s_cbranch_scc0 .LBB1269_205
; %bb.139:
	s_mov_b32 s3, 0x10000
	v_cmp_gt_u32_e64 s[52:53], s3, v50
	v_cmp_gt_u32_e64 s[4:5], s3, v51
	v_cmp_gt_u32_e64 s[6:7], s3, v18
	v_cndmask_b32_e64 v22, 0, v1, s[52:53]
	v_add_u16_e32 v22, v22, v50
	v_cndmask_b32_e64 v22, 0, v22, s[4:5]
	v_add_u16_e32 v22, v22, v51
	v_cndmask_b32_e64 v22, 0, v22, s[6:7]
	v_add_u16_e32 v22, v22, v18
	v_cmp_gt_u32_e64 s[8:9], s3, v19
	v_cmp_gt_u32_e64 s[10:11], s3, v20
	v_cmp_gt_u32_e64 s[12:13], s3, v21
	v_cndmask_b32_e64 v22, 0, v22, s[8:9]
	v_add_u16_e32 v22, v22, v19
	v_cndmask_b32_e64 v22, 0, v22, s[10:11]
	v_add_u16_e32 v22, v22, v20
	v_cndmask_b32_e64 v22, 0, v22, s[12:13]
	v_add_u16_e32 v22, v22, v21
	v_cmp_gt_u32_e64 s[14:15], s3, v2
	v_cmp_gt_u32_e64 s[16:17], s3, v3
	v_cmp_gt_u32_e64 s[18:19], s3, v4
	v_cndmask_b32_e64 v22, 0, v22, s[14:15]
	v_add_u16_e32 v22, v22, v2
	v_cndmask_b32_e64 v22, 0, v22, s[16:17]
	v_add_u16_e32 v22, v22, v3
	v_cndmask_b32_e64 v22, 0, v22, s[18:19]
	v_add_u16_e32 v22, v22, v4
	v_cmp_gt_u32_e64 s[20:21], s3, v5
	v_cmp_gt_u32_e64 s[22:23], s3, v6
	v_cmp_gt_u32_e64 s[24:25], s3, v7
	v_cndmask_b32_e64 v22, 0, v22, s[20:21]
	v_add_u16_e32 v22, v22, v5
	v_cndmask_b32_e64 v22, 0, v22, s[22:23]
	v_add_u16_e32 v22, v22, v6
	v_cndmask_b32_e64 v22, 0, v22, s[24:25]
	v_add_u16_e32 v22, v22, v7
	v_cmp_gt_u32_e64 s[26:27], s3, v8
	v_cmp_gt_u32_e64 s[28:29], s3, v9
	v_cmp_gt_u32_e64 s[30:31], s3, v10
	v_cndmask_b32_e64 v22, 0, v22, s[26:27]
	v_add_u16_e32 v22, v22, v8
	v_cndmask_b32_e64 v22, 0, v22, s[28:29]
	v_add_u16_e32 v22, v22, v9
	v_cndmask_b32_e64 v22, 0, v22, s[30:31]
	v_add_u16_e32 v22, v22, v10
	v_cmp_gt_u32_e64 s[34:35], s3, v11
	v_cmp_gt_u32_e64 s[36:37], s3, v12
	v_or3_b32 v23, v32, v17, v16
	v_cndmask_b32_e64 v22, 0, v22, s[34:35]
	v_add_u16_e32 v22, v22, v11
	v_cndmask_b32_e64 v22, 0, v22, s[36:37]
	v_add_u16_e32 v22, v22, v12
	v_cmp_gt_u32_e64 s[38:39], s3, v13
	v_or3_b32 v23, v23, v15, v14
	v_or3_b32 v23, v23, v13, v12
	v_cndmask_b32_e64 v22, 0, v22, s[38:39]
	v_add_u16_e32 v22, v22, v13
	v_cmp_gt_u32_e64 s[40:41], s3, v14
	v_or3_b32 v23, v23, v11, v10
	v_or3_b32 v23, v23, v9, v8
	v_cndmask_b32_e64 v22, 0, v22, s[40:41]
	v_add_u16_e32 v22, v22, v14
	v_cmp_gt_u32_e64 s[42:43], s3, v15
	v_or3_b32 v23, v23, v7, v6
	v_or3_b32 v23, v23, v5, v4
	v_cndmask_b32_e64 v22, 0, v22, s[42:43]
	v_add_u16_e32 v22, v22, v15
	v_cmp_gt_u32_e64 s[44:45], s3, v16
	v_or3_b32 v23, v23, v3, v2
	v_or3_b32 v23, v23, v21, v20
	v_cndmask_b32_e64 v22, 0, v22, s[44:45]
	v_add_u16_e32 v22, v22, v16
	v_cmp_gt_u32_e64 s[46:47], s3, v17
	v_or3_b32 v23, v23, v19, v18
	v_or3_b32 v23, v23, v51, v50
	v_cndmask_b32_e64 v22, 0, v22, s[46:47]
	v_add_u16_e32 v22, v22, v17
	v_cmp_gt_u32_e64 s[48:49], s3, v32
	v_and_b32_e32 v23, 0x10000, v23
	v_lshrrev_b32_e32 v34, 16, v1
	v_cndmask_b32_e64 v24, 0, v22, s[48:49]
	v_cmp_eq_u32_e32 vcc, 0, v23
	v_add_u16_e32 v22, v24, v32
	v_mbcnt_hi_u32_b32 v25, -1, v33
	v_cndmask_b32_e32 v23, 1, v34, vcc
	v_add_u16_e32 v24, v24, v32
	v_and_b32_e32 v27, 15, v25
	v_lshl_or_b32 v24, v23, 16, v24
	v_cmp_ne_u32_e32 vcc, 0, v27
	s_nop 0
	v_mov_b32_dpp v26, v24 row_shr:1 row_mask:0xf bank_mask:0xf
	s_and_saveexec_b64 s[50:51], vcc
	s_cbranch_execz .LBB1269_141
; %bb.140:
	v_cmp_eq_u32_e32 vcc, 0, v23
	v_and_b32_e32 v23, 1, v23
	v_mov_b32_e32 v29, 1
	v_cndmask_b32_e32 v24, 0, v26, vcc
	v_and_b32_sdwa v26, v26, v29 dst_sel:DWORD dst_unused:UNUSED_PAD src0_sel:WORD_1 src1_sel:DWORD
	v_cmp_eq_u32_e32 vcc, 1, v23
	v_add_u16_e32 v28, v24, v22
	v_add_u16_e32 v22, v24, v22
	v_cndmask_b32_e64 v23, v26, 1, vcc
	v_lshlrev_b32_e32 v26, 16, v23
	v_or_b32_e32 v24, v26, v22
	v_mov_b32_e32 v22, v28
.LBB1269_141:
	s_or_b64 exec, exec, s[50:51]
	v_lshrrev_b32_e32 v26, 16, v24
	v_mov_b32_dpp v28, v24 row_shr:2 row_mask:0xf bank_mask:0xf
	v_cmp_lt_u32_e32 vcc, 1, v27
	s_and_saveexec_b64 s[50:51], vcc
	s_cbranch_execz .LBB1269_143
; %bb.142:
	v_cmp_gt_u32_e32 vcc, s3, v24
	v_and_b32_e32 v23, 0x10000, v24
	v_mov_b32_e32 v24, 1
	v_cndmask_b32_e32 v26, 0, v28, vcc
	v_and_b32_sdwa v24, v28, v24 dst_sel:DWORD dst_unused:UNUSED_PAD src0_sel:WORD_1 src1_sel:DWORD
	v_cmp_ne_u32_e32 vcc, 0, v23
	v_add_u16_e32 v29, v26, v22
	v_add_u16_e32 v22, v26, v22
	v_cndmask_b32_e64 v23, v24, 1, vcc
	v_lshlrev_b32_e32 v24, 16, v23
	v_or_b32_e32 v24, v24, v22
	v_mov_b32_e32 v26, v23
	v_mov_b32_e32 v22, v29
.LBB1269_143:
	s_or_b64 exec, exec, s[50:51]
	v_mov_b32_dpp v28, v24 row_shr:4 row_mask:0xf bank_mask:0xf
	v_cmp_lt_u32_e32 vcc, 3, v27
	s_and_saveexec_b64 s[50:51], vcc
	s_cbranch_execz .LBB1269_145
; %bb.144:
	v_mov_b32_e32 v23, 0
	v_cmp_eq_u16_sdwa vcc, v26, v23 src0_sel:BYTE_0 src1_sel:DWORD
	v_and_b32_e32 v23, 1, v26
	v_mov_b32_e32 v26, 1
	v_cndmask_b32_e32 v24, 0, v28, vcc
	v_and_b32_sdwa v26, v28, v26 dst_sel:DWORD dst_unused:UNUSED_PAD src0_sel:WORD_1 src1_sel:DWORD
	v_cmp_eq_u32_e32 vcc, 1, v23
	v_add_u16_e32 v29, v24, v22
	v_add_u16_e32 v22, v24, v22
	v_cndmask_b32_e64 v23, v26, 1, vcc
	v_lshlrev_b32_e32 v26, 16, v23
	v_or_b32_e32 v24, v26, v22
	v_mov_b32_e32 v26, v23
	v_mov_b32_e32 v22, v29
.LBB1269_145:
	s_or_b64 exec, exec, s[50:51]
	v_mov_b32_dpp v28, v24 row_shr:8 row_mask:0xf bank_mask:0xf
	v_cmp_lt_u32_e32 vcc, 7, v27
	s_and_saveexec_b64 s[50:51], vcc
	s_cbranch_execz .LBB1269_147
; %bb.146:
	v_mov_b32_e32 v23, 0
	v_cmp_eq_u16_sdwa vcc, v26, v23 src0_sel:BYTE_0 src1_sel:DWORD
	v_and_b32_e32 v23, 1, v26
	v_mov_b32_e32 v26, 1
	v_cndmask_b32_e32 v24, 0, v28, vcc
	v_and_b32_sdwa v26, v28, v26 dst_sel:DWORD dst_unused:UNUSED_PAD src0_sel:WORD_1 src1_sel:DWORD
	v_cmp_eq_u32_e32 vcc, 1, v23
	v_add_u16_e32 v27, v24, v22
	v_add_u16_e32 v22, v24, v22
	v_cndmask_b32_e64 v23, v26, 1, vcc
	v_lshlrev_b32_e32 v26, 16, v23
	v_or_b32_e32 v24, v26, v22
	v_mov_b32_e32 v26, v23
	v_mov_b32_e32 v22, v27
.LBB1269_147:
	s_or_b64 exec, exec, s[50:51]
	v_and_b32_e32 v28, 16, v25
	v_mov_b32_dpp v27, v24 row_bcast:15 row_mask:0xf bank_mask:0xf
	v_cmp_ne_u32_e32 vcc, 0, v28
	s_and_saveexec_b64 s[50:51], vcc
	s_cbranch_execz .LBB1269_149
; %bb.148:
	v_mov_b32_e32 v23, 0
	v_cmp_eq_u16_sdwa vcc, v26, v23 src0_sel:BYTE_0 src1_sel:DWORD
	v_and_b32_e32 v23, 1, v26
	v_mov_b32_e32 v26, 1
	v_cndmask_b32_e32 v24, 0, v27, vcc
	v_and_b32_sdwa v26, v27, v26 dst_sel:DWORD dst_unused:UNUSED_PAD src0_sel:WORD_1 src1_sel:DWORD
	v_cmp_eq_u32_e32 vcc, 1, v23
	v_add_u16_e32 v28, v24, v22
	v_add_u16_e32 v22, v24, v22
	v_cndmask_b32_e64 v23, v26, 1, vcc
	v_lshlrev_b32_e32 v26, 16, v23
	v_or_b32_e32 v24, v26, v22
	v_mov_b32_e32 v22, v28
	v_mov_b32_e32 v26, v23
.LBB1269_149:
	s_or_b64 exec, exec, s[50:51]
	v_mov_b32_dpp v24, v24 row_bcast:31 row_mask:0xf bank_mask:0xf
	v_cmp_lt_u32_e32 vcc, 31, v25
	s_and_saveexec_b64 s[50:51], vcc
; %bb.150:
	v_mov_b32_e32 v23, 0
	v_cmp_eq_u16_sdwa vcc, v26, v23 src0_sel:BYTE_0 src1_sel:DWORD
	s_nop 1
	v_cndmask_b32_e32 v23, 0, v24, vcc
	v_add_u16_e32 v22, v23, v22
	v_and_b32_e32 v23, 1, v26
	v_mov_b32_e32 v26, 1
	v_and_b32_sdwa v24, v24, v26 dst_sel:DWORD dst_unused:UNUSED_PAD src0_sel:WORD_1 src1_sel:DWORD
	v_cmp_eq_u32_e32 vcc, 1, v23
	s_nop 1
	v_cndmask_b32_e64 v23, v24, 1, vcc
; %bb.151:
	s_or_b64 exec, exec, s[50:51]
	v_or_b32_e32 v26, 63, v0
	v_lshrrev_b32_e32 v24, 6, v0
	v_cmp_eq_u32_e32 vcc, v26, v0
	s_and_saveexec_b64 s[50:51], vcc
	s_cbranch_execz .LBB1269_153
; %bb.152:
	v_lshlrev_b32_e32 v26, 2, v24
	ds_write_b16 v26, v22
	ds_write_b8 v26, v23 offset:2
.LBB1269_153:
	s_or_b64 exec, exec, s[50:51]
	v_cmp_gt_u32_e32 vcc, 4, v0
	s_waitcnt lgkmcnt(0)
	s_barrier
	s_and_saveexec_b64 s[50:51], vcc
	s_cbranch_execz .LBB1269_159
; %bb.154:
	v_lshlrev_b32_e32 v26, 2, v0
	ds_read_b32 v27, v26
	v_and_b32_e32 v30, 3, v25
	v_cmp_ne_u32_e32 vcc, 0, v30
	s_waitcnt lgkmcnt(0)
	v_lshrrev_b32_e32 v29, 16, v27
	v_mov_b32_dpp v31, v27 row_shr:1 row_mask:0xf bank_mask:0xf
	v_mov_b32_e32 v28, v27
	s_and_saveexec_b64 s[54:55], vcc
	s_cbranch_execz .LBB1269_156
; %bb.155:
	v_mov_b32_e32 v28, 0
	v_cmp_eq_u16_sdwa vcc, v29, v28 src0_sel:BYTE_0 src1_sel:DWORD
	v_and_b32_e32 v29, 0x10000, v27
	v_mov_b32_e32 v37, 1
	v_cndmask_b32_e32 v36, 0, v31, vcc
	v_and_b32_sdwa v31, v31, v37 dst_sel:DWORD dst_unused:UNUSED_PAD src0_sel:WORD_1 src1_sel:DWORD
	v_cmp_ne_u32_e32 vcc, 0, v29
	v_and_b32_e32 v35, 0xff000000, v27
	v_add_u16_e32 v28, v36, v27
	v_cndmask_b32_e64 v29, v31, 1, vcc
	v_lshlrev_b32_e32 v31, 16, v29
	v_add_u16_e32 v27, v36, v27
	v_or3_b32 v27, v31, v35, v27
.LBB1269_156:
	s_or_b64 exec, exec, s[54:55]
	s_nop 0
	v_mov_b32_dpp v31, v27 row_shr:2 row_mask:0xf bank_mask:0xf
	v_cmp_lt_u32_e32 vcc, 1, v30
	s_and_saveexec_b64 s[54:55], vcc
; %bb.157:
	v_and_b32_e32 v29, 0xff0000, v27
	v_cmp_eq_u32_e32 vcc, 0, v29
	v_and_b32_e32 v27, 0x10000, v27
	s_nop 0
	v_cndmask_b32_e32 v29, 0, v31, vcc
	v_add_u16_e32 v28, v29, v28
	v_mov_b32_e32 v29, 1
	v_and_b32_sdwa v29, v31, v29 dst_sel:DWORD dst_unused:UNUSED_PAD src0_sel:WORD_1 src1_sel:DWORD
	v_cmp_eq_u32_e32 vcc, 0, v27
	s_nop 1
	v_cndmask_b32_e32 v29, 1, v29, vcc
; %bb.158:
	s_or_b64 exec, exec, s[54:55]
	ds_write_b16 v26, v28
	ds_write_b8 v26, v29 offset:2
.LBB1269_159:
	s_or_b64 exec, exec, s[50:51]
	v_cmp_gt_u32_e32 vcc, 64, v0
	v_cmp_lt_u32_e64 s[50:51], 63, v0
	v_mov_b32_e32 v35, 0
	v_mov_b32_e32 v36, 0
	s_waitcnt lgkmcnt(0)
	s_barrier
	s_and_saveexec_b64 s[54:55], s[50:51]
	s_cbranch_execz .LBB1269_161
; %bb.160:
	v_lshl_add_u32 v24, v24, 2, -4
	ds_read_u16 v35, v24
	ds_read_u8 v36, v24 offset:2
	v_mov_b32_e32 v26, 0
	v_and_b32_e32 v27, 1, v23
	v_cmp_eq_u16_sdwa s[50:51], v23, v26 src0_sel:BYTE_0 src1_sel:DWORD
	s_waitcnt lgkmcnt(1)
	s_nop 0
	v_cndmask_b32_e64 v23, 0, v35, s[50:51]
	v_cmp_eq_u32_e64 s[50:51], 1, v27
	v_add_u16_e32 v22, v23, v22
	s_waitcnt lgkmcnt(0)
	v_cndmask_b32_e64 v23, v36, 1, s[50:51]
.LBB1269_161:
	s_or_b64 exec, exec, s[54:55]
	v_and_b32_e32 v23, 0xff, v23
	v_and_b32_e32 v22, 0xffff, v22
	v_lshl_or_b32 v22, v23, 16, v22
	v_add_u32_e32 v23, -1, v25
	v_and_b32_e32 v24, 64, v25
	v_cmp_lt_i32_e64 s[50:51], v23, v24
	s_nop 1
	v_cndmask_b32_e64 v23, v23, v25, s[50:51]
	v_lshlrev_b32_e32 v23, 2, v23
	ds_bpermute_b32 v37, v23, v22
	v_cmp_eq_u32_e64 s[50:51], 0, v25
	s_and_saveexec_b64 s[54:55], vcc
	s_cbranch_execz .LBB1269_204
; %bb.162:
	v_mov_b32_e32 v29, 0
	ds_read_b32 v22, v29 offset:12
	s_and_saveexec_b64 s[60:61], s[50:51]
	s_cbranch_execz .LBB1269_164
; %bb.163:
	s_add_i32 s64, s2, 64
	s_mov_b32 s65, 0
	s_lshl_b64 s[64:65], s[64:65], 3
	s_add_u32 s64, s68, s64
	v_mov_b32_e32 v23, 1
	s_addc_u32 s65, s69, s65
	s_waitcnt lgkmcnt(0)
	global_store_dwordx2 v29, v[22:23], s[64:65] sc1
.LBB1269_164:
	s_or_b64 exec, exec, s[60:61]
	v_xad_u32 v24, v25, -1, s2
	v_add_u32_e32 v28, 64, v24
	v_lshl_add_u64 v[30:31], v[28:29], 3, s[68:69]
	global_load_dwordx2 v[26:27], v[30:31], off sc1
	s_waitcnt vmcnt(0)
	v_cmp_eq_u16_sdwa s[64:65], v27, v29 src0_sel:BYTE_0 src1_sel:DWORD
	s_and_saveexec_b64 s[60:61], s[64:65]
	s_cbranch_execz .LBB1269_168
; %bb.165:
	s_mov_b64 s[64:65], 0
	v_mov_b32_e32 v23, 0
.LBB1269_166:                           ; =>This Inner Loop Header: Depth=1
	global_load_dwordx2 v[26:27], v[30:31], off sc1
	s_waitcnt vmcnt(0)
	v_cmp_ne_u16_sdwa s[66:67], v27, v23 src0_sel:BYTE_0 src1_sel:DWORD
	s_or_b64 s[64:65], s[66:67], s[64:65]
	s_andn2_b64 exec, exec, s[64:65]
	s_cbranch_execnz .LBB1269_166
; %bb.167:
	s_or_b64 exec, exec, s[64:65]
.LBB1269_168:
	s_or_b64 exec, exec, s[60:61]
	v_mov_b32_e32 v23, 2
	v_cmp_eq_u16_sdwa s[60:61], v27, v23 src0_sel:BYTE_0 src1_sel:DWORD
	v_lshlrev_b64 v[28:29], v25, -1
	v_and_b32_e32 v49, 0xffffff, v26
	v_and_b32_e32 v23, s61, v29
	v_or_b32_e32 v23, 0x80000000, v23
	v_ffbl_b32_e32 v23, v23
	v_add_u32_e32 v31, 32, v23
	v_and_b32_e32 v23, 63, v25
	v_cmp_ne_u32_e32 vcc, 63, v23
	v_and_b32_e32 v30, s60, v28
	v_ffbl_b32_e32 v30, v30
	v_addc_co_u32_e32 v38, vcc, 0, v25, vcc
	v_lshlrev_b32_e32 v38, 2, v38
	ds_bpermute_b32 v39, v38, v49
	v_min_u32_e32 v31, v30, v31
	v_lshrrev_b32_e32 v30, 16, v26
	v_cmp_lt_u32_e32 vcc, v23, v31
	v_bfe_u32 v47, v26, 16, 8
	s_and_saveexec_b64 s[60:61], vcc
	s_cbranch_execz .LBB1269_170
; %bb.169:
	v_and_b32_e32 v30, 0xff0000, v26
	v_cmp_eq_u32_e32 vcc, 0, v30
	v_and_b32_e32 v30, 0x10000, v30
	v_mov_b32_e32 v42, 1
	s_waitcnt lgkmcnt(0)
	v_cndmask_b32_e32 v40, 0, v39, vcc
	v_and_b32_sdwa v39, v39, v42 dst_sel:DWORD dst_unused:UNUSED_PAD src0_sel:WORD_1 src1_sel:DWORD
	v_cmp_ne_u32_e32 vcc, 0, v30
	v_add_u16_e32 v41, v40, v26
	v_add_u16_e32 v26, v40, v26
	v_cndmask_b32_e64 v30, v39, 1, vcc
	v_lshlrev_b32_e32 v39, 16, v30
	v_or_b32_e32 v49, v39, v26
	v_mov_b32_e32 v26, v41
	v_mov_b32_e32 v47, v30
.LBB1269_170:
	s_or_b64 exec, exec, s[60:61]
	v_cmp_gt_u32_e32 vcc, 62, v23
	v_add_u32_e32 v40, 2, v23
	s_waitcnt lgkmcnt(0)
	v_cndmask_b32_e64 v39, 0, 1, vcc
	v_lshlrev_b32_e32 v39, 1, v39
	v_add_lshl_u32 v39, v39, v25, 2
	ds_bpermute_b32 v41, v39, v49
	v_cmp_le_u32_e32 vcc, v40, v31
	s_and_saveexec_b64 s[60:61], vcc
	s_cbranch_execz .LBB1269_172
; %bb.171:
	v_cmp_eq_u16_e32 vcc, 0, v47
	v_and_b32_e32 v30, 1, v47
	v_mov_b32_e32 v44, 1
	s_waitcnt lgkmcnt(0)
	v_cndmask_b32_e32 v42, 0, v41, vcc
	v_and_b32_sdwa v41, v41, v44 dst_sel:DWORD dst_unused:UNUSED_PAD src0_sel:WORD_1 src1_sel:DWORD
	v_cmp_eq_u32_e32 vcc, 1, v30
	v_add_u16_e32 v43, v42, v26
	v_add_u16_e32 v26, v42, v26
	v_cndmask_b32_e64 v30, v41, 1, vcc
	v_lshlrev_b32_e32 v41, 16, v30
	v_or_b32_e32 v49, v41, v26
	v_mov_b32_e32 v26, v43
	v_mov_b32_e32 v47, v30
.LBB1269_172:
	s_or_b64 exec, exec, s[60:61]
	v_cmp_gt_u32_e32 vcc, 60, v23
	v_add_u32_e32 v42, 4, v23
	s_waitcnt lgkmcnt(0)
	v_cndmask_b32_e64 v41, 0, 1, vcc
	v_lshlrev_b32_e32 v41, 2, v41
	v_add_lshl_u32 v41, v41, v25, 2
	ds_bpermute_b32 v43, v41, v49
	v_cmp_le_u32_e32 vcc, v42, v31
	s_and_saveexec_b64 s[60:61], vcc
	s_cbranch_execz .LBB1269_174
; %bb.173:
	v_cmp_eq_u16_e32 vcc, 0, v47
	v_and_b32_e32 v30, 1, v47
	v_mov_b32_e32 v46, 1
	s_waitcnt lgkmcnt(0)
	v_cndmask_b32_e32 v44, 0, v43, vcc
	v_and_b32_sdwa v43, v43, v46 dst_sel:DWORD dst_unused:UNUSED_PAD src0_sel:WORD_1 src1_sel:DWORD
	v_cmp_eq_u32_e32 vcc, 1, v30
	v_add_u16_e32 v45, v44, v26
	v_add_u16_e32 v26, v44, v26
	v_cndmask_b32_e64 v30, v43, 1, vcc
	v_lshlrev_b32_e32 v43, 16, v30
	v_or_b32_e32 v49, v43, v26
	v_mov_b32_e32 v26, v45
	v_mov_b32_e32 v47, v30
.LBB1269_174:
	;; [unrolled: 27-line block ×4, first 2 shown]
	s_or_b64 exec, exec, s[60:61]
	v_cmp_gt_u32_e32 vcc, 32, v23
	v_add_u32_e32 v52, 32, v23
	s_waitcnt lgkmcnt(0)
	v_cndmask_b32_e64 v48, 0, 1, vcc
	v_lshlrev_b32_e32 v48, 5, v48
	v_add_lshl_u32 v48, v48, v25, 2
	ds_bpermute_b32 v25, v48, v49
	v_cmp_le_u32_e32 vcc, v52, v31
	s_and_saveexec_b64 s[60:61], vcc
	s_cbranch_execz .LBB1269_180
; %bb.179:
	v_cmp_eq_u16_e32 vcc, 0, v47
	v_mov_b32_e32 v31, 1
	s_waitcnt lgkmcnt(0)
	v_cndmask_b32_e32 v30, 0, v25, vcc
	v_add_u16_e32 v26, v30, v26
	v_and_b32_e32 v30, 1, v47
	v_and_b32_sdwa v25, v25, v31 dst_sel:DWORD dst_unused:UNUSED_PAD src0_sel:WORD_1 src1_sel:DWORD
	v_cmp_eq_u32_e32 vcc, 1, v30
	s_nop 1
	v_cndmask_b32_e64 v30, v25, 1, vcc
.LBB1269_180:
	s_or_b64 exec, exec, s[60:61]
	s_waitcnt lgkmcnt(0)
	v_mov_b32_e32 v25, 0
	v_mov_b32_e32 v53, 2
	;; [unrolled: 1-line block ×3, first 2 shown]
	s_branch .LBB1269_182
.LBB1269_181:                           ;   in Loop: Header=BB1269_182 Depth=1
	s_or_b64 exec, exec, s[60:61]
	v_cmp_eq_u16_sdwa vcc, v47, v25 src0_sel:BYTE_0 src1_sel:DWORD
	v_and_b32_e32 v30, 1, v47
	v_and_b32_e32 v31, 1, v31
	v_cndmask_b32_e32 v26, 0, v26, vcc
	v_cmp_eq_u32_e32 vcc, 1, v30
	v_subrev_u32_e32 v24, 64, v24
	v_add_u16_e32 v26, v26, v49
	v_cndmask_b32_e64 v30, v31, 1, vcc
.LBB1269_182:                           ; =>This Loop Header: Depth=1
                                        ;     Child Loop BB1269_185 Depth 2
	v_cmp_ne_u16_sdwa s[60:61], v27, v53 src0_sel:BYTE_0 src1_sel:DWORD
	v_mov_b32_e32 v47, v30
	v_mov_b32_e32 v49, v26
	v_cndmask_b32_e64 v27, 0, 1, s[60:61]
	;;#ASMSTART
	;;#ASMEND
	s_nop 0
	v_cmp_ne_u32_e32 vcc, 0, v27
	s_cmp_lg_u64 vcc, exec
	s_cbranch_scc1 .LBB1269_199
; %bb.183:                              ;   in Loop: Header=BB1269_182 Depth=1
	v_lshl_add_u64 v[30:31], v[24:25], 3, s[68:69]
	global_load_dwordx2 v[26:27], v[30:31], off sc1
	s_waitcnt vmcnt(0)
	v_cmp_eq_u16_sdwa s[64:65], v27, v25 src0_sel:BYTE_0 src1_sel:DWORD
	s_and_saveexec_b64 s[60:61], s[64:65]
	s_cbranch_execz .LBB1269_187
; %bb.184:                              ;   in Loop: Header=BB1269_182 Depth=1
	s_mov_b64 s[64:65], 0
.LBB1269_185:                           ;   Parent Loop BB1269_182 Depth=1
                                        ; =>  This Inner Loop Header: Depth=2
	global_load_dwordx2 v[26:27], v[30:31], off sc1
	s_waitcnt vmcnt(0)
	v_cmp_ne_u16_sdwa s[66:67], v27, v25 src0_sel:BYTE_0 src1_sel:DWORD
	s_or_b64 s[64:65], s[66:67], s[64:65]
	s_andn2_b64 exec, exec, s[64:65]
	s_cbranch_execnz .LBB1269_185
; %bb.186:                              ;   in Loop: Header=BB1269_182 Depth=1
	s_or_b64 exec, exec, s[64:65]
.LBB1269_187:                           ;   in Loop: Header=BB1269_182 Depth=1
	s_or_b64 exec, exec, s[60:61]
	v_cmp_eq_u16_sdwa s[60:61], v27, v53 src0_sel:BYTE_0 src1_sel:DWORD
	s_waitcnt lgkmcnt(0)
	v_and_b32_e32 v56, 0xffffff, v26
	ds_bpermute_b32 v57, v38, v56
	v_and_b32_e32 v30, s61, v29
	v_or_b32_e32 v30, 0x80000000, v30
	v_and_b32_e32 v31, s60, v28
	v_ffbl_b32_e32 v30, v30
	v_add_u32_e32 v30, 32, v30
	v_ffbl_b32_e32 v31, v31
	v_min_u32_e32 v30, v31, v30
	v_lshrrev_b32_e32 v31, 16, v26
	v_cmp_lt_u32_e32 vcc, v23, v30
	v_bfe_u32 v55, v26, 16, 8
	s_and_saveexec_b64 s[60:61], vcc
	s_cbranch_execz .LBB1269_189
; %bb.188:                              ;   in Loop: Header=BB1269_182 Depth=1
	v_and_b32_e32 v31, 0xff0000, v26
	v_cmp_eq_u32_e32 vcc, 0, v31
	v_and_b32_e32 v31, 0x10000, v31
	s_waitcnt lgkmcnt(0)
	v_and_b32_sdwa v56, v57, v54 dst_sel:DWORD dst_unused:UNUSED_PAD src0_sel:WORD_1 src1_sel:DWORD
	v_cndmask_b32_e32 v55, 0, v57, vcc
	v_cmp_ne_u32_e32 vcc, 0, v31
	v_add_u16_e32 v58, v55, v26
	v_add_u16_e32 v26, v55, v26
	v_cndmask_b32_e64 v31, v56, 1, vcc
	v_lshlrev_b32_e32 v56, 16, v31
	v_or_b32_e32 v56, v56, v26
	v_mov_b32_e32 v26, v58
	v_mov_b32_e32 v55, v31
.LBB1269_189:                           ;   in Loop: Header=BB1269_182 Depth=1
	s_or_b64 exec, exec, s[60:61]
	s_waitcnt lgkmcnt(0)
	ds_bpermute_b32 v57, v39, v56
	v_cmp_le_u32_e32 vcc, v40, v30
	s_and_saveexec_b64 s[60:61], vcc
	s_cbranch_execz .LBB1269_191
; %bb.190:                              ;   in Loop: Header=BB1269_182 Depth=1
	v_cmp_eq_u16_e32 vcc, 0, v55
	v_and_b32_e32 v31, 1, v55
	s_waitcnt lgkmcnt(0)
	v_and_b32_sdwa v55, v57, v54 dst_sel:DWORD dst_unused:UNUSED_PAD src0_sel:WORD_1 src1_sel:DWORD
	v_cndmask_b32_e32 v56, 0, v57, vcc
	v_cmp_eq_u32_e32 vcc, 1, v31
	v_add_u16_e32 v58, v56, v26
	v_add_u16_e32 v26, v56, v26
	v_cndmask_b32_e64 v31, v55, 1, vcc
	v_lshlrev_b32_e32 v55, 16, v31
	v_or_b32_e32 v56, v55, v26
	v_mov_b32_e32 v26, v58
	v_mov_b32_e32 v55, v31
.LBB1269_191:                           ;   in Loop: Header=BB1269_182 Depth=1
	s_or_b64 exec, exec, s[60:61]
	s_waitcnt lgkmcnt(0)
	ds_bpermute_b32 v57, v41, v56
	v_cmp_le_u32_e32 vcc, v42, v30
	s_and_saveexec_b64 s[60:61], vcc
	s_cbranch_execz .LBB1269_193
; %bb.192:                              ;   in Loop: Header=BB1269_182 Depth=1
	v_cmp_eq_u16_e32 vcc, 0, v55
	v_and_b32_e32 v31, 1, v55
	s_waitcnt lgkmcnt(0)
	v_and_b32_sdwa v55, v57, v54 dst_sel:DWORD dst_unused:UNUSED_PAD src0_sel:WORD_1 src1_sel:DWORD
	v_cndmask_b32_e32 v56, 0, v57, vcc
	v_cmp_eq_u32_e32 vcc, 1, v31
	v_add_u16_e32 v58, v56, v26
	v_add_u16_e32 v26, v56, v26
	v_cndmask_b32_e64 v31, v55, 1, vcc
	v_lshlrev_b32_e32 v55, 16, v31
	v_or_b32_e32 v56, v55, v26
	v_mov_b32_e32 v26, v58
	v_mov_b32_e32 v55, v31
.LBB1269_193:                           ;   in Loop: Header=BB1269_182 Depth=1
	s_or_b64 exec, exec, s[60:61]
	s_waitcnt lgkmcnt(0)
	ds_bpermute_b32 v57, v43, v56
	v_cmp_le_u32_e32 vcc, v44, v30
	s_and_saveexec_b64 s[60:61], vcc
	s_cbranch_execz .LBB1269_195
; %bb.194:                              ;   in Loop: Header=BB1269_182 Depth=1
	v_cmp_eq_u16_e32 vcc, 0, v55
	v_and_b32_e32 v31, 1, v55
	s_waitcnt lgkmcnt(0)
	v_and_b32_sdwa v55, v57, v54 dst_sel:DWORD dst_unused:UNUSED_PAD src0_sel:WORD_1 src1_sel:DWORD
	v_cndmask_b32_e32 v56, 0, v57, vcc
	v_cmp_eq_u32_e32 vcc, 1, v31
	v_add_u16_e32 v58, v56, v26
	v_add_u16_e32 v26, v56, v26
	v_cndmask_b32_e64 v31, v55, 1, vcc
	v_lshlrev_b32_e32 v55, 16, v31
	v_or_b32_e32 v56, v55, v26
	v_mov_b32_e32 v26, v58
	v_mov_b32_e32 v55, v31
.LBB1269_195:                           ;   in Loop: Header=BB1269_182 Depth=1
	s_or_b64 exec, exec, s[60:61]
	s_waitcnt lgkmcnt(0)
	ds_bpermute_b32 v57, v45, v56
	v_cmp_le_u32_e32 vcc, v46, v30
	s_and_saveexec_b64 s[60:61], vcc
	s_cbranch_execz .LBB1269_197
; %bb.196:                              ;   in Loop: Header=BB1269_182 Depth=1
	v_cmp_eq_u16_e32 vcc, 0, v55
	v_and_b32_e32 v31, 1, v55
	s_waitcnt lgkmcnt(0)
	v_and_b32_sdwa v55, v57, v54 dst_sel:DWORD dst_unused:UNUSED_PAD src0_sel:WORD_1 src1_sel:DWORD
	v_cndmask_b32_e32 v56, 0, v57, vcc
	v_cmp_eq_u32_e32 vcc, 1, v31
	v_add_u16_e32 v58, v56, v26
	v_add_u16_e32 v26, v56, v26
	v_cndmask_b32_e64 v31, v55, 1, vcc
	v_lshlrev_b32_e32 v55, 16, v31
	v_or_b32_e32 v56, v55, v26
	v_mov_b32_e32 v26, v58
	v_mov_b32_e32 v55, v31
.LBB1269_197:                           ;   in Loop: Header=BB1269_182 Depth=1
	s_or_b64 exec, exec, s[60:61]
	ds_bpermute_b32 v56, v48, v56
	v_cmp_le_u32_e32 vcc, v52, v30
	s_and_saveexec_b64 s[60:61], vcc
	s_cbranch_execz .LBB1269_181
; %bb.198:                              ;   in Loop: Header=BB1269_182 Depth=1
	v_cmp_eq_u16_e32 vcc, 0, v55
	s_waitcnt lgkmcnt(0)
	v_lshrrev_b32_e32 v31, 16, v56
	v_cndmask_b32_e32 v30, 0, v56, vcc
	v_add_u16_e32 v26, v30, v26
	v_and_b32_e32 v30, 1, v55
	v_cmp_eq_u32_e32 vcc, 1, v30
	s_nop 1
	v_cndmask_b32_e64 v31, v31, 1, vcc
	s_branch .LBB1269_181
.LBB1269_199:                           ;   in Loop: Header=BB1269_182 Depth=1
                                        ; implicit-def: $vgpr30
                                        ; implicit-def: $vgpr26
	s_cbranch_execz .LBB1269_182
; %bb.200:
	s_and_saveexec_b64 s[60:61], s[50:51]
	s_cbranch_execz .LBB1269_202
; %bb.201:
	v_and_b32_e32 v23, 0xff0000, v22
	s_mov_b32 s3, 0
	v_cmp_eq_u32_e32 vcc, 0, v23
	v_and_b32_e32 v24, 0x10000, v22
	v_mov_b32_e32 v25, 1
	s_add_i32 s2, s2, 64
	v_cndmask_b32_e32 v23, 0, v49, vcc
	v_and_b32_sdwa v25, v47, v25 dst_sel:WORD_1 dst_unused:UNUSED_PAD src0_sel:DWORD src1_sel:DWORD
	v_mov_b32_e32 v26, 0x10000
	v_cmp_eq_u32_e32 vcc, 0, v24
	s_lshl_b64 s[2:3], s[2:3], 3
	s_add_u32 s2, s68, s2
	v_cndmask_b32_e32 v24, v26, v25, vcc
	v_add_u16_e32 v22, v23, v22
	s_addc_u32 s3, s69, s3
	v_mov_b32_e32 v25, 0
	v_or_b32_e32 v22, v24, v22
	v_mov_b32_e32 v23, 2
	global_store_dwordx2 v25, v[22:23], s[2:3] sc1
.LBB1269_202:
	s_or_b64 exec, exec, s[60:61]
	v_cmp_eq_u32_e32 vcc, 0, v0
	s_and_b64 exec, exec, vcc
	s_cbranch_execz .LBB1269_204
; %bb.203:
	v_mov_b32_e32 v22, 0
	ds_write_b16 v22, v49 offset:12
	ds_write_b8 v22, v47 offset:14
.LBB1269_204:
	s_or_b64 exec, exec, s[54:55]
	s_waitcnt lgkmcnt(0)
	v_lshrrev_b32_e32 v22, 16, v37
	v_mov_b32_e32 v24, 0
	s_mov_b32 s2, 0x10000
	v_cndmask_b32_e64 v22, v22, v36, s[50:51]
	v_cndmask_b32_e64 v23, v37, v35, s[50:51]
	s_barrier
	ds_read_b32 v25, v24 offset:12
	v_cmp_gt_u32_e32 vcc, s2, v1
	v_and_b32_e32 v26, 0x10000, v1
	v_and_b32_e32 v22, 1, v22
	v_cndmask_b32_e32 v23, 0, v23, vcc
	v_cmp_ne_u32_e32 vcc, 0, v26
	s_nop 1
	v_cndmask_b32_e64 v22, v22, 1, vcc
	v_cmp_eq_u32_e32 vcc, 0, v0
	s_nop 1
	v_cndmask_b32_e32 v22, v22, v34, vcc
	v_cndmask_b32_e64 v23, v23, 0, vcc
	v_cmp_eq_u16_sdwa vcc, v22, v24 src0_sel:BYTE_0 src1_sel:DWORD
	v_add_u16_e32 v23, v23, v1
	s_waitcnt lgkmcnt(0)
	v_cndmask_b32_e32 v22, 0, v25, vcc
	v_add_u16_e32 v47, v23, v22
	v_cndmask_b32_e64 v22, 0, v47, s[52:53]
	v_add_u16_e32 v22, v22, v50
	v_cndmask_b32_e64 v23, 0, v22, s[4:5]
	;; [unrolled: 2-line block ×23, first 2 shown]
	v_add_u16_e32 v46, v46, v32
	s_branch .LBB1269_235
.LBB1269_205:
                                        ; implicit-def: $vgpr47
                                        ; implicit-def: $vgpr22
                                        ; implicit-def: $vgpr23
                                        ; implicit-def: $vgpr24
                                        ; implicit-def: $vgpr25
                                        ; implicit-def: $vgpr26
                                        ; implicit-def: $vgpr27
                                        ; implicit-def: $vgpr29
                                        ; implicit-def: $vgpr28
                                        ; implicit-def: $vgpr30
                                        ; implicit-def: $vgpr31
                                        ; implicit-def: $vgpr34
                                        ; implicit-def: $vgpr35
                                        ; implicit-def: $vgpr36
                                        ; implicit-def: $vgpr37
                                        ; implicit-def: $vgpr39
                                        ; implicit-def: $vgpr38
                                        ; implicit-def: $vgpr40
                                        ; implicit-def: $vgpr41
                                        ; implicit-def: $vgpr42
                                        ; implicit-def: $vgpr43
                                        ; implicit-def: $vgpr44
                                        ; implicit-def: $vgpr45
                                        ; implicit-def: $vgpr46
	s_cbranch_execz .LBB1269_235
; %bb.206:
	s_cmp_lg_u64 s[74:75], 0
	s_cselect_b32 s5, s63, 0
	s_cselect_b32 s4, s62, 0
	s_cmp_lg_u64 s[4:5], 0
	s_cselect_b64 s[6:7], -1, 0
	v_cmp_eq_u32_e32 vcc, 0, v0
	v_cmp_ne_u32_e64 s[2:3], 0, v0
	s_and_b64 s[8:9], vcc, s[6:7]
	s_and_saveexec_b64 s[6:7], s[8:9]
	s_cbranch_execz .LBB1269_208
; %bb.207:
	v_mov_b32_e32 v22, 0
	global_load_ushort v23, v22, s[4:5]
	global_load_ubyte v24, v22, s[4:5] offset:2
	s_mov_b32 s4, 0x10000
	v_and_b32_e32 v22, 0x10000, v1
	v_mov_b32_e32 v25, 1
	v_cmp_gt_u32_e64 s[4:5], s4, v1
	v_mov_b32_e32 v26, 0x10000
	s_waitcnt vmcnt(0)
	v_and_b32_sdwa v24, v24, v25 dst_sel:WORD_1 dst_unused:UNUSED_PAD src0_sel:DWORD src1_sel:DWORD
	v_cndmask_b32_e64 v23, 0, v23, s[4:5]
	v_cmp_eq_u32_e64 s[4:5], 0, v22
	v_add_u16_e32 v1, v23, v1
	s_nop 0
	v_cndmask_b32_e64 v22, v26, v24, s[4:5]
	v_or_b32_e32 v1, v22, v1
.LBB1269_208:
	s_or_b64 exec, exec, s[6:7]
	s_mov_b32 s50, 0x10000
	v_cmp_gt_u32_e64 s[4:5], s50, v50
	v_cmp_gt_u32_e64 s[6:7], s50, v51
	;; [unrolled: 1-line block ×3, first 2 shown]
	v_cndmask_b32_e64 v22, 0, v1, s[4:5]
	v_add_u16_e32 v22, v22, v50
	v_cndmask_b32_e64 v23, 0, v22, s[6:7]
	v_add_u16_e32 v23, v23, v51
	;; [unrolled: 2-line block ×3, first 2 shown]
	v_cmp_gt_u32_e64 s[10:11], s50, v19
	v_cmp_gt_u32_e64 s[12:13], s50, v20
	v_bfe_u32 v28, v19, 16, 1
	v_cndmask_b32_e64 v25, 0, v24, s[10:11]
	v_add_u16_e32 v25, v25, v19
	v_mov_b32_e32 v52, 1
	v_cndmask_b32_e64 v26, 0, v25, s[12:13]
	v_lshlrev_b16_e32 v28, 1, v28
	v_and_b32_sdwa v29, v18, v52 dst_sel:DWORD dst_unused:UNUSED_PAD src0_sel:WORD_1 src1_sel:DWORD
	v_add_u16_e32 v26, v26, v20
	v_cmp_gt_u32_e64 s[14:15], s50, v21
	v_or_b32_e32 v28, v29, v28
	v_bfe_u32 v29, v21, 16, 1
	v_and_b32_sdwa v30, v20, v52 dst_sel:DWORD dst_unused:UNUSED_PAD src0_sel:WORD_1 src1_sel:DWORD
	v_cndmask_b32_e64 v27, 0, v26, s[14:15]
	v_lshlrev_b16_e32 v29, 3, v29
	v_lshlrev_b16_e32 v30, 2, v30
	v_add_u16_e32 v27, v27, v21
	v_or_b32_e32 v29, v29, v30
	v_cmp_gt_u32_e64 s[16:17], s50, v2
	v_or_b32_e32 v46, v28, v29
	v_cmp_gt_u32_e64 s[18:19], s50, v3
	v_cndmask_b32_e64 v28, 0, v27, s[16:17]
	v_add_u16_e32 v29, v28, v2
	v_cndmask_b32_e64 v28, 0, v29, s[18:19]
	v_bfe_u32 v48, v11, 16, 1
	v_add_u16_e32 v28, v28, v3
	v_cmp_gt_u32_e64 s[20:21], s50, v4
	v_lshlrev_b16_e32 v48, 1, v48
	v_and_b32_sdwa v49, v10, v52 dst_sel:DWORD dst_unused:UNUSED_PAD src0_sel:WORD_1 src1_sel:DWORD
	v_cndmask_b32_e64 v30, 0, v28, s[20:21]
	v_or_b32_e32 v48, v49, v48
	v_bfe_u32 v49, v13, 16, 1
	v_and_b32_sdwa v53, v12, v52 dst_sel:DWORD dst_unused:UNUSED_PAD src0_sel:WORD_1 src1_sel:DWORD
	v_add_u16_e32 v30, v30, v4
	v_cmp_gt_u32_e64 s[22:23], s50, v5
	v_lshlrev_b16_e32 v49, 3, v49
	v_lshlrev_b16_e32 v53, 2, v53
	v_cndmask_b32_e64 v31, 0, v30, s[22:23]
	v_or_b32_e32 v49, v49, v53
	v_add_u16_e32 v31, v31, v5
	v_cmp_gt_u32_e64 s[24:25], s50, v6
	v_or_b32_sdwa v48, v48, v49 dst_sel:BYTE_1 dst_unused:UNUSED_PAD src0_sel:DWORD src1_sel:DWORD
	v_bfe_u32 v49, v15, 16, 1
	v_cndmask_b32_e64 v34, 0, v31, s[24:25]
	v_lshlrev_b16_e32 v49, 1, v49
	v_and_b32_sdwa v53, v14, v52 dst_sel:DWORD dst_unused:UNUSED_PAD src0_sel:WORD_1 src1_sel:DWORD
	v_add_u16_e32 v34, v34, v6
	v_cmp_gt_u32_e64 s[26:27], s50, v7
	v_or_b32_e32 v49, v53, v49
	v_bfe_u32 v53, v17, 16, 1
	v_and_b32_sdwa v54, v16, v52 dst_sel:DWORD dst_unused:UNUSED_PAD src0_sel:WORD_1 src1_sel:DWORD
	v_cndmask_b32_e64 v35, 0, v34, s[26:27]
	v_lshlrev_b16_e32 v53, 3, v53
	v_lshlrev_b16_e32 v54, 2, v54
	v_add_u16_e32 v35, v35, v7
	v_cmp_gt_u32_e64 s[28:29], s50, v8
	v_or_b32_e32 v53, v53, v54
	v_or_b32_e32 v49, v49, v53
	v_cndmask_b32_e64 v36, 0, v35, s[28:29]
	v_add_u16_e32 v36, v36, v8
	v_cmp_gt_u32_e64 s[30:31], s50, v9
	v_lshlrev_b16_e32 v49, 12, v49
	v_or_b32_e32 v48, v49, v48
	v_cndmask_b32_e64 v37, 0, v36, s[30:31]
	v_bfe_u32 v49, v3, 16, 1
	v_add_u16_e32 v37, v37, v9
	v_cmp_gt_u32_e64 s[34:35], s50, v10
	v_lshlrev_b16_e32 v49, 1, v49
	v_and_b32_sdwa v53, v2, v52 dst_sel:DWORD dst_unused:UNUSED_PAD src0_sel:WORD_1 src1_sel:DWORD
	v_cndmask_b32_e64 v38, 0, v37, s[34:35]
	v_or_b32_e32 v49, v53, v49
	v_bfe_u32 v53, v5, 16, 1
	v_and_b32_sdwa v54, v4, v52 dst_sel:DWORD dst_unused:UNUSED_PAD src0_sel:WORD_1 src1_sel:DWORD
	v_add_u16_e32 v39, v38, v10
	v_cmp_gt_u32_e64 s[36:37], s50, v11
	v_lshlrev_b16_e32 v53, 3, v53
	v_lshlrev_b16_e32 v54, 2, v54
	v_cndmask_b32_e64 v38, 0, v39, s[36:37]
	v_or_b32_e32 v53, v53, v54
	v_add_u16_e32 v38, v38, v11
	v_cmp_gt_u32_e64 s[38:39], s50, v12
	v_or_b32_e32 v49, v49, v53
	v_bfe_u32 v53, v7, 16, 1
	v_cndmask_b32_e64 v40, 0, v38, s[38:39]
	v_lshlrev_b16_e32 v53, 1, v53
	v_and_b32_sdwa v54, v6, v52 dst_sel:DWORD dst_unused:UNUSED_PAD src0_sel:WORD_1 src1_sel:DWORD
	v_add_u16_e32 v40, v40, v12
	v_cmp_gt_u32_e64 s[40:41], s50, v13
	v_or_b32_e32 v53, v54, v53
	v_bfe_u32 v54, v9, 16, 1
	v_and_b32_sdwa v55, v8, v52 dst_sel:DWORD dst_unused:UNUSED_PAD src0_sel:WORD_1 src1_sel:DWORD
	v_cndmask_b32_e64 v41, 0, v40, s[40:41]
	v_lshlrev_b16_e32 v54, 3, v54
	v_lshlrev_b16_e32 v55, 2, v55
	v_add_u16_e32 v41, v41, v13
	v_cmp_gt_u32_e64 s[42:43], s50, v14
	v_or_b32_e32 v54, v54, v55
	v_or_b32_e32 v53, v53, v54
	v_cndmask_b32_e64 v42, 0, v41, s[42:43]
	v_add_u16_e32 v42, v42, v14
	v_cmp_gt_u32_e64 s[44:45], s50, v15
	v_lshlrev_b16_e32 v53, 4, v53
	v_or_b32_e32 v49, v49, v53
	v_cndmask_b32_e64 v43, 0, v42, s[44:45]
	v_add_u16_e32 v43, v43, v15
	v_cmp_gt_u32_e64 s[46:47], s50, v16
	v_or_b32_sdwa v49, v49, v48 dst_sel:DWORD dst_unused:UNUSED_PAD src0_sel:BYTE_0 src1_sel:DWORD
	v_or_b32_e32 v46, v49, v46
	v_cndmask_b32_e64 v44, 0, v43, s[46:47]
	v_add_u16_e32 v44, v44, v16
	v_cmp_gt_u32_e64 s[48:49], s50, v17
	v_cmp_ne_u16_e64 s[52:53], 0, v46
	v_or3_b32 v46, v51, v50, v32
	v_cndmask_b32_e64 v45, 0, v44, s[48:49]
	v_and_b32_e32 v46, 0x10000, v46
	v_add_u16_e32 v45, v45, v17
	v_cmp_gt_u32_e64 s[50:51], s50, v32
	v_cmp_ne_u32_e64 s[54:55], 0, v46
	v_lshrrev_b32_e32 v47, 16, v1
	v_cndmask_b32_e64 v53, 0, v45, s[50:51]
	s_or_b64 s[52:53], s[54:55], s[52:53]
	v_cndmask_b32_e64 v49, v47, 1, s[52:53]
	v_mbcnt_hi_u32_b32 v33, -1, v33
	v_add_u16_e32 v46, v53, v32
	v_add_u16_e32 v48, v53, v32
	v_and_b32_e32 v54, 15, v33
	v_lshl_or_b32 v53, v49, 16, v46
	v_cmp_ne_u32_e64 s[52:53], 0, v54
	s_nop 0
	v_mov_b32_dpp v55, v53 row_shr:1 row_mask:0xf bank_mask:0xf
	s_and_saveexec_b64 s[54:55], s[52:53]
; %bb.209:
	v_cmp_eq_u32_e64 s[52:53], 0, v49
	v_and_b32_e32 v49, 1, v49
	v_and_b32_sdwa v52, v55, v52 dst_sel:DWORD dst_unused:UNUSED_PAD src0_sel:WORD_1 src1_sel:DWORD
	v_cndmask_b32_e64 v53, 0, v55, s[52:53]
	v_cmp_eq_u32_e64 s[52:53], 1, v49
	v_add_u16_e32 v56, v48, v53
	v_add_u16_e32 v48, v48, v53
	v_cndmask_b32_e64 v49, v52, 1, s[52:53]
	v_lshlrev_b32_e32 v52, 16, v49
	v_or_b32_e32 v53, v52, v48
	v_mov_b32_e32 v48, v56
; %bb.210:
	s_or_b64 exec, exec, s[54:55]
	v_lshrrev_b32_e32 v52, 16, v53
	v_mov_b32_dpp v55, v53 row_shr:2 row_mask:0xf bank_mask:0xf
	v_cmp_lt_u32_e64 s[52:53], 1, v54
	s_and_saveexec_b64 s[54:55], s[52:53]
	s_cbranch_execz .LBB1269_212
; %bb.211:
	s_mov_b32 s52, 0x10000
	v_cmp_gt_u32_e64 s[52:53], s52, v53
	v_and_b32_e32 v49, 0x10000, v53
	v_mov_b32_e32 v53, 1
	v_cndmask_b32_e64 v52, 0, v55, s[52:53]
	v_and_b32_sdwa v53, v55, v53 dst_sel:DWORD dst_unused:UNUSED_PAD src0_sel:WORD_1 src1_sel:DWORD
	v_cmp_ne_u32_e64 s[52:53], 0, v49
	v_add_u16_e32 v56, v52, v48
	v_add_u16_e32 v48, v52, v48
	v_cndmask_b32_e64 v49, v53, 1, s[52:53]
	v_lshlrev_b32_e32 v53, 16, v49
	v_or_b32_e32 v53, v53, v48
	v_mov_b32_e32 v52, v49
	v_mov_b32_e32 v48, v56
.LBB1269_212:
	s_or_b64 exec, exec, s[54:55]
	v_mov_b32_dpp v55, v53 row_shr:4 row_mask:0xf bank_mask:0xf
	v_cmp_lt_u32_e64 s[52:53], 3, v54
	s_and_saveexec_b64 s[54:55], s[52:53]
	s_cbranch_execz .LBB1269_214
; %bb.213:
	v_mov_b32_e32 v49, 0
	v_cmp_eq_u16_sdwa s[52:53], v52, v49 src0_sel:BYTE_0 src1_sel:DWORD
	v_and_b32_e32 v49, 1, v52
	v_mov_b32_e32 v52, 1
	v_cndmask_b32_e64 v53, 0, v55, s[52:53]
	v_and_b32_sdwa v52, v55, v52 dst_sel:DWORD dst_unused:UNUSED_PAD src0_sel:WORD_1 src1_sel:DWORD
	v_cmp_eq_u32_e64 s[52:53], 1, v49
	v_add_u16_e32 v56, v53, v48
	v_add_u16_e32 v48, v53, v48
	v_cndmask_b32_e64 v49, v52, 1, s[52:53]
	v_lshlrev_b32_e32 v52, 16, v49
	v_or_b32_e32 v53, v52, v48
	v_mov_b32_e32 v52, v49
	v_mov_b32_e32 v48, v56
.LBB1269_214:
	s_or_b64 exec, exec, s[54:55]
	v_mov_b32_dpp v55, v53 row_shr:8 row_mask:0xf bank_mask:0xf
	v_cmp_lt_u32_e64 s[52:53], 7, v54
	s_and_saveexec_b64 s[54:55], s[52:53]
	s_cbranch_execz .LBB1269_216
; %bb.215:
	v_mov_b32_e32 v49, 0
	v_cmp_eq_u16_sdwa s[52:53], v52, v49 src0_sel:BYTE_0 src1_sel:DWORD
	v_and_b32_e32 v49, 1, v52
	v_mov_b32_e32 v52, 1
	v_cndmask_b32_e64 v53, 0, v55, s[52:53]
	v_and_b32_sdwa v52, v55, v52 dst_sel:DWORD dst_unused:UNUSED_PAD src0_sel:WORD_1 src1_sel:DWORD
	v_cmp_eq_u32_e64 s[52:53], 1, v49
	v_add_u16_e32 v54, v53, v48
	v_add_u16_e32 v48, v53, v48
	v_cndmask_b32_e64 v49, v52, 1, s[52:53]
	v_lshlrev_b32_e32 v52, 16, v49
	v_or_b32_e32 v53, v52, v48
	v_mov_b32_e32 v52, v49
	v_mov_b32_e32 v48, v54
.LBB1269_216:
	s_or_b64 exec, exec, s[54:55]
	v_and_b32_e32 v55, 16, v33
	v_mov_b32_dpp v54, v53 row_bcast:15 row_mask:0xf bank_mask:0xf
	v_cmp_ne_u32_e64 s[52:53], 0, v55
	s_and_saveexec_b64 s[54:55], s[52:53]
	s_cbranch_execz .LBB1269_218
; %bb.217:
	v_mov_b32_e32 v49, 0
	v_cmp_eq_u16_sdwa s[52:53], v52, v49 src0_sel:BYTE_0 src1_sel:DWORD
	v_and_b32_e32 v49, 1, v52
	v_mov_b32_e32 v52, 1
	v_cndmask_b32_e64 v53, 0, v54, s[52:53]
	v_and_b32_sdwa v52, v54, v52 dst_sel:DWORD dst_unused:UNUSED_PAD src0_sel:WORD_1 src1_sel:DWORD
	v_cmp_eq_u32_e64 s[52:53], 1, v49
	v_add_u16_e32 v55, v53, v48
	v_add_u16_e32 v48, v53, v48
	v_cndmask_b32_e64 v49, v52, 1, s[52:53]
	v_lshlrev_b32_e32 v52, 16, v49
	v_or_b32_e32 v53, v52, v48
	v_mov_b32_e32 v48, v55
	v_mov_b32_e32 v52, v49
.LBB1269_218:
	s_or_b64 exec, exec, s[54:55]
	v_mov_b32_dpp v53, v53 row_bcast:31 row_mask:0xf bank_mask:0xf
	v_cmp_lt_u32_e64 s[52:53], 31, v33
	s_and_saveexec_b64 s[54:55], s[52:53]
; %bb.219:
	v_mov_b32_e32 v49, 0
	v_cmp_eq_u16_sdwa s[52:53], v52, v49 src0_sel:BYTE_0 src1_sel:DWORD
	s_nop 1
	v_cndmask_b32_e64 v49, 0, v53, s[52:53]
	v_add_u16_e32 v48, v49, v48
	v_and_b32_e32 v49, 1, v52
	v_mov_b32_e32 v52, 1
	v_and_b32_sdwa v52, v53, v52 dst_sel:DWORD dst_unused:UNUSED_PAD src0_sel:WORD_1 src1_sel:DWORD
	v_cmp_eq_u32_e64 s[52:53], 1, v49
	s_nop 1
	v_cndmask_b32_e64 v49, v52, 1, s[52:53]
; %bb.220:
	s_or_b64 exec, exec, s[54:55]
	v_or_b32_e32 v53, 63, v0
	v_lshrrev_b32_e32 v52, 6, v0
	v_cmp_eq_u32_e64 s[52:53], v53, v0
	s_and_saveexec_b64 s[54:55], s[52:53]
	s_cbranch_execz .LBB1269_222
; %bb.221:
	v_lshlrev_b32_e32 v53, 2, v52
	ds_write_b16 v53, v48
	ds_write_b8 v53, v49 offset:2
.LBB1269_222:
	s_or_b64 exec, exec, s[54:55]
	v_cmp_gt_u32_e64 s[52:53], 4, v0
	s_waitcnt lgkmcnt(0)
	s_barrier
	s_and_saveexec_b64 s[54:55], s[52:53]
	s_cbranch_execz .LBB1269_228
; %bb.223:
	v_lshlrev_b32_e32 v53, 2, v0
	ds_read_b32 v54, v53
	v_and_b32_e32 v57, 3, v33
	v_cmp_ne_u32_e64 s[52:53], 0, v57
	s_waitcnt lgkmcnt(0)
	v_lshrrev_b32_e32 v56, 16, v54
	v_mov_b32_dpp v58, v54 row_shr:1 row_mask:0xf bank_mask:0xf
	v_mov_b32_e32 v55, v54
	s_and_saveexec_b64 s[60:61], s[52:53]
	s_cbranch_execz .LBB1269_225
; %bb.224:
	v_mov_b32_e32 v55, 0
	v_cmp_eq_u16_sdwa s[52:53], v56, v55 src0_sel:BYTE_0 src1_sel:DWORD
	v_and_b32_e32 v56, 0x10000, v54
	v_mov_b32_e32 v61, 1
	v_cndmask_b32_e64 v60, 0, v58, s[52:53]
	v_and_b32_sdwa v58, v58, v61 dst_sel:DWORD dst_unused:UNUSED_PAD src0_sel:WORD_1 src1_sel:DWORD
	v_cmp_ne_u32_e64 s[52:53], 0, v56
	v_and_b32_e32 v59, 0xff000000, v54
	v_add_u16_e32 v55, v60, v54
	v_cndmask_b32_e64 v56, v58, 1, s[52:53]
	v_lshlrev_b32_e32 v58, 16, v56
	v_add_u16_e32 v54, v60, v54
	v_or3_b32 v54, v58, v59, v54
.LBB1269_225:
	s_or_b64 exec, exec, s[60:61]
	s_nop 0
	v_mov_b32_dpp v58, v54 row_shr:2 row_mask:0xf bank_mask:0xf
	v_cmp_lt_u32_e64 s[52:53], 1, v57
	s_and_saveexec_b64 s[60:61], s[52:53]
; %bb.226:
	v_and_b32_e32 v56, 0xff0000, v54
	v_cmp_eq_u32_e64 s[52:53], 0, v56
	v_and_b32_e32 v54, 0x10000, v54
	s_nop 0
	v_cndmask_b32_e64 v56, 0, v58, s[52:53]
	v_add_u16_e32 v55, v56, v55
	v_mov_b32_e32 v56, 1
	v_and_b32_sdwa v56, v58, v56 dst_sel:DWORD dst_unused:UNUSED_PAD src0_sel:WORD_1 src1_sel:DWORD
	v_cmp_eq_u32_e64 s[52:53], 0, v54
	s_nop 1
	v_cndmask_b32_e64 v56, 1, v56, s[52:53]
; %bb.227:
	s_or_b64 exec, exec, s[60:61]
	ds_write_b16 v53, v55
	ds_write_b8 v53, v56 offset:2
.LBB1269_228:
	s_or_b64 exec, exec, s[54:55]
	v_cmp_lt_u32_e64 s[52:53], 63, v0
	v_mov_b32_e32 v53, 0
	s_waitcnt lgkmcnt(0)
	s_barrier
	s_and_saveexec_b64 s[54:55], s[52:53]
	s_cbranch_execz .LBB1269_230
; %bb.229:
	v_lshl_add_u32 v52, v52, 2, -4
	ds_read_u16 v53, v52
	ds_read_u8 v52, v52 offset:2
	v_mov_b32_e32 v54, 0
	v_and_b32_e32 v55, 1, v49
	v_cmp_eq_u16_sdwa s[52:53], v49, v54 src0_sel:BYTE_0 src1_sel:DWORD
	s_waitcnt lgkmcnt(1)
	s_nop 0
	v_cndmask_b32_e64 v49, 0, v53, s[52:53]
	v_cmp_eq_u32_e64 s[52:53], 1, v55
	v_add_u16_e32 v48, v49, v48
	s_waitcnt lgkmcnt(0)
	v_cndmask_b32_e64 v49, v52, 1, s[52:53]
.LBB1269_230:
	s_or_b64 exec, exec, s[54:55]
	v_and_b32_e32 v49, 0xff, v49
	v_and_b32_e32 v48, 0xffff, v48
	v_lshl_or_b32 v48, v49, 16, v48
	v_add_u32_e32 v49, -1, v33
	v_and_b32_e32 v52, 64, v33
	v_cmp_lt_i32_e64 s[52:53], v49, v52
	s_nop 1
	v_cndmask_b32_e64 v49, v49, v33, s[52:53]
	v_lshlrev_b32_e32 v49, 2, v49
	ds_bpermute_b32 v48, v49, v48
	s_and_saveexec_b64 s[52:53], s[2:3]
	s_cbranch_execz .LBB1269_232
; %bb.231:
	v_cmp_eq_u32_e64 s[2:3], 0, v33
	v_and_b32_e32 v23, 0xff0000, v1
	v_mov_b32_e32 v47, 0
	s_waitcnt lgkmcnt(0)
	v_cndmask_b32_e64 v22, v48, v53, s[2:3]
	v_and_b32_e32 v22, 0xffff, v22
	v_cmp_eq_u32_e64 s[2:3], 0, v23
	;;#ASMSTART
	;;#ASMEND
	s_nop 1
	v_cndmask_b32_e64 v22, 0, v22, s[2:3]
	v_add_u32_e32 v1, v22, v1
	v_cndmask_b32_e64 v22, 0, v1, s[4:5]
	v_add_u16_e32 v22, v22, v50
	v_cndmask_b32_e64 v23, 0, v22, s[6:7]
	v_add_u16_e32 v23, v23, v51
	;; [unrolled: 2-line block ×23, first 2 shown]
.LBB1269_232:
	s_or_b64 exec, exec, s[52:53]
	s_and_saveexec_b64 s[2:3], vcc
	s_cbranch_execz .LBB1269_234
; %bb.233:
	v_mov_b32_e32 v4, 0
	ds_read_u8 v2, v4 offset:14
	ds_read_u16 v3, v4 offset:12
	s_waitcnt lgkmcnt(1)
	v_lshlrev_b32_e32 v2, 16, v2
	s_waitcnt lgkmcnt(0)
	v_or_b32_e32 v2, v2, v3
	v_mov_b32_e32 v3, 2
	global_store_dwordx2 v4, v[2:3], s[68:69] offset:512 sc1
.LBB1269_234:
	s_or_b64 exec, exec, s[2:3]
	v_lshl_or_b32 v47, v47, 16, v1
.LBB1269_235:
	s_add_u32 s2, s58, s72
	s_addc_u32 s3, s59, s73
	s_add_u32 s2, s2, s56
	s_addc_u32 s3, s3, s57
	s_and_b64 vcc, exec, s[0:1]
	v_mul_u32_u24_e32 v6, 24, v0
	s_cbranch_vccz .LBB1269_285
; %bb.236:
	s_add_i32 s33, s33, s70
	v_cmp_le_u32_e32 vcc, s33, v6
	v_or_b32_e32 v8, 1, v6
	v_or_b32_e32 v7, 2, v6
	;; [unrolled: 1-line block ×7, first 2 shown]
	s_and_saveexec_b64 s[0:1], vcc
	s_xor_b64 s[0:1], exec, s[0:1]
; %bb.237:
	v_or_b32_e32 v8, 1, v6
	v_or_b32_e32 v7, 2, v6
	;; [unrolled: 1-line block ×7, first 2 shown]
; %bb.238:
	s_andn2_saveexec_b64 s[0:1], s[0:1]
	s_or_b64 exec, exec, s[0:1]
	v_lshlrev_b32_e32 v50, 1, v6
	v_lshlrev_b32_e32 v8, 1, v8
	;; [unrolled: 1-line block ×7, first 2 shown]
	s_mov_b32 s0, 0x5040100
	s_waitcnt lgkmcnt(0)
	s_barrier
	ds_write_b16 v50, v47
	ds_write_b16 v8, v22
	;; [unrolled: 1-line block ×7, first 2 shown]
	v_lshlrev_b32_e32 v1, 1, v1
	v_perm_b32 v5, v39, v37, s0
	v_perm_b32 v4, v36, v35, s0
	;; [unrolled: 1-line block ×4, first 2 shown]
	ds_write_b16 v1, v29
	ds_write_b128 v50, v[2:5] offset:16
	v_perm_b32 v5, v46, v45, s0
	v_perm_b32 v4, v44, v43, s0
	;; [unrolled: 1-line block ×4, first 2 shown]
	s_movk_i32 s0, 0xffd2
	ds_write_b128 v50, v[2:5] offset:32
	v_mad_i32_i24 v2, v0, s0, v50
	s_waitcnt lgkmcnt(0)
	s_barrier
	ds_read_u16 v53, v2 offset:512
	ds_read_u16 v52, v2 offset:1024
	;; [unrolled: 1-line block ×23, first 2 shown]
	v_mov_b32_e32 v3, 0
	v_lshlrev_b32_e32 v2, 1, v0
	v_lshl_add_u64 v[4:5], s[2:3], 0, v[2:3]
	v_cmp_gt_u32_e32 vcc, s33, v0
	s_and_saveexec_b64 s[0:1], vcc
	s_cbranch_execz .LBB1269_240
; %bb.239:
	v_mul_i32_i24_e32 v2, 0xffffffd2, v0
	v_add_u32_e32 v2, v50, v2
	ds_read_u16 v2, v2
	s_waitcnt lgkmcnt(0)
	flat_store_short v[4:5], v2
.LBB1269_240:
	s_or_b64 exec, exec, s[0:1]
	v_or_b32_e32 v2, 0x100, v0
	v_cmp_gt_u32_e32 vcc, s33, v2
	s_and_saveexec_b64 s[0:1], vcc
	s_cbranch_execz .LBB1269_242
; %bb.241:
	s_waitcnt lgkmcnt(0)
	flat_store_short v[4:5], v53 offset:512
.LBB1269_242:
	s_or_b64 exec, exec, s[0:1]
	v_or_b32_e32 v2, 0x200, v0
	v_cmp_gt_u32_e32 vcc, s33, v2
	s_and_saveexec_b64 s[0:1], vcc
	s_cbranch_execz .LBB1269_244
; %bb.243:
	s_waitcnt lgkmcnt(0)
	flat_store_short v[4:5], v52 offset:1024
.LBB1269_244:
	;; [unrolled: 9-line block ×7, first 2 shown]
	s_or_b64 exec, exec, s[0:1]
	v_or_b32_e32 v2, 0x800, v0
	v_cmp_gt_u32_e32 vcc, s33, v2
	s_and_saveexec_b64 s[0:1], vcc
	s_cbranch_execz .LBB1269_256
; %bb.255:
	s_waitcnt lgkmcnt(0)
	v_add_co_u32_e32 v32, vcc, 0x1000, v4
	s_nop 1
	v_addc_co_u32_e32 v33, vcc, 0, v5, vcc
	flat_store_short v[32:33], v21
.LBB1269_256:
	s_or_b64 exec, exec, s[0:1]
	v_or_b32_e32 v2, 0x900, v0
	v_cmp_gt_u32_e32 vcc, s33, v2
	s_and_saveexec_b64 s[0:1], vcc
	s_cbranch_execz .LBB1269_258
; %bb.257:
	s_waitcnt lgkmcnt(0)
	v_add_co_u32_e32 v32, vcc, 0x1000, v4
	s_nop 1
	v_addc_co_u32_e32 v33, vcc, 0, v5, vcc
	flat_store_short v[32:33], v20 offset:512
.LBB1269_258:
	s_or_b64 exec, exec, s[0:1]
	v_or_b32_e32 v2, 0xa00, v0
	v_cmp_gt_u32_e32 vcc, s33, v2
	s_and_saveexec_b64 s[0:1], vcc
	s_cbranch_execz .LBB1269_260
; %bb.259:
	s_waitcnt lgkmcnt(0)
	v_add_co_u32_e32 v20, vcc, 0x1000, v4
	s_nop 1
	v_addc_co_u32_e32 v21, vcc, 0, v5, vcc
	flat_store_short v[20:21], v19 offset:1024
.LBB1269_260:
	;; [unrolled: 12-line block ×7, first 2 shown]
	s_or_b64 exec, exec, s[0:1]
	v_or_b32_e32 v2, 0x1000, v0
	v_cmp_gt_u32_e32 vcc, s33, v2
	s_and_saveexec_b64 s[0:1], vcc
	s_cbranch_execz .LBB1269_272
; %bb.271:
	s_waitcnt lgkmcnt(0)
	v_add_co_u32_e32 v14, vcc, 0x2000, v4
	s_nop 1
	v_addc_co_u32_e32 v15, vcc, 0, v5, vcc
	flat_store_short v[14:15], v13
.LBB1269_272:
	s_or_b64 exec, exec, s[0:1]
	v_or_b32_e32 v2, 0x1100, v0
	v_cmp_gt_u32_e32 vcc, s33, v2
	s_and_saveexec_b64 s[0:1], vcc
	s_cbranch_execz .LBB1269_274
; %bb.273:
	s_waitcnt lgkmcnt(0)
	v_add_co_u32_e32 v14, vcc, 0x2000, v4
	s_nop 1
	v_addc_co_u32_e32 v15, vcc, 0, v5, vcc
	flat_store_short v[14:15], v12 offset:512
.LBB1269_274:
	s_or_b64 exec, exec, s[0:1]
	v_or_b32_e32 v2, 0x1200, v0
	v_cmp_gt_u32_e32 vcc, s33, v2
	s_and_saveexec_b64 s[0:1], vcc
	s_cbranch_execz .LBB1269_276
; %bb.275:
	s_waitcnt lgkmcnt(0)
	v_add_co_u32_e32 v12, vcc, 0x2000, v4
	s_nop 1
	v_addc_co_u32_e32 v13, vcc, 0, v5, vcc
	flat_store_short v[12:13], v11 offset:1024
.LBB1269_276:
	s_or_b64 exec, exec, s[0:1]
	v_or_b32_e32 v2, 0x1300, v0
	v_cmp_gt_u32_e32 vcc, s33, v2
	s_and_saveexec_b64 s[0:1], vcc
	s_cbranch_execz .LBB1269_278
; %bb.277:
	s_waitcnt lgkmcnt(0)
	v_add_co_u32_e32 v12, vcc, 0x2000, v4
	s_nop 1
	v_addc_co_u32_e32 v13, vcc, 0, v5, vcc
	flat_store_short v[12:13], v10 offset:1536
.LBB1269_278:
	s_or_b64 exec, exec, s[0:1]
	v_or_b32_e32 v2, 0x1400, v0
	v_cmp_gt_u32_e32 vcc, s33, v2
	s_and_saveexec_b64 s[0:1], vcc
	s_cbranch_execz .LBB1269_280
; %bb.279:
	s_waitcnt lgkmcnt(0)
	v_add_co_u32_e32 v10, vcc, 0x2000, v4
	s_nop 1
	v_addc_co_u32_e32 v11, vcc, 0, v5, vcc
	flat_store_short v[10:11], v9 offset:2048
.LBB1269_280:
	s_or_b64 exec, exec, s[0:1]
	v_or_b32_e32 v2, 0x1500, v0
	v_cmp_gt_u32_e32 vcc, s33, v2
	s_and_saveexec_b64 s[0:1], vcc
	s_cbranch_execz .LBB1269_282
; %bb.281:
	s_waitcnt lgkmcnt(0)
	v_add_co_u32_e32 v10, vcc, 0x2000, v4
	s_nop 1
	v_addc_co_u32_e32 v11, vcc, 0, v5, vcc
	flat_store_short v[10:11], v8 offset:2560
.LBB1269_282:
	s_or_b64 exec, exec, s[0:1]
	v_or_b32_e32 v2, 0x1600, v0
	v_cmp_gt_u32_e32 vcc, s33, v2
	s_and_saveexec_b64 s[0:1], vcc
	s_cbranch_execz .LBB1269_284
; %bb.283:
	v_add_co_u32_e32 v4, vcc, 0x2000, v4
	s_nop 1
	v_addc_co_u32_e32 v5, vcc, 0, v5, vcc
	s_waitcnt lgkmcnt(0)
	flat_store_short v[4:5], v1 offset:3072
.LBB1269_284:
	s_or_b64 exec, exec, s[0:1]
	v_or_b32_e32 v2, 0x1700, v0
	s_waitcnt lgkmcnt(0)
	v_mov_b32_e32 v1, v3
	v_cmp_gt_u32_e64 s[0:1], s33, v2
	s_branch .LBB1269_287
.LBB1269_285:
	s_mov_b64 s[0:1], 0
                                        ; implicit-def: $vgpr7
	s_cbranch_execz .LBB1269_287
; %bb.286:
	s_mov_b32 s4, 0x5040100
	v_lshlrev_b32_e32 v6, 1, v6
	v_perm_b32 v5, v29, v27, s4
	v_perm_b32 v4, v26, v25, s4
	;; [unrolled: 1-line block ×4, first 2 shown]
	s_waitcnt lgkmcnt(0)
	s_barrier
	ds_write_b128 v6, v[2:5]
	v_perm_b32 v5, v39, v37, s4
	v_perm_b32 v4, v36, v35, s4
	;; [unrolled: 1-line block ×4, first 2 shown]
	ds_write_b128 v6, v[2:5] offset:16
	v_perm_b32 v4, v44, v43, s4
	v_perm_b32 v3, v42, v41, s4
	;; [unrolled: 1-line block ×4, first 2 shown]
	s_movk_i32 s4, 0xffd2
	ds_write_b128 v6, v[2:5] offset:32
	v_mov_b32_e32 v1, 0
	v_mad_i32_i24 v2, v0, s4, v6
	s_waitcnt lgkmcnt(0)
	s_barrier
	ds_read_u16 v4, v2
	ds_read_u16 v5, v2 offset:512
	ds_read_u16 v6, v2 offset:1024
	;; [unrolled: 1-line block ×23, first 2 shown]
	v_lshlrev_b32_e32 v2, 1, v0
	v_mov_b32_e32 v3, v1
	v_lshl_add_u64 v[2:3], s[2:3], 0, v[2:3]
	s_movk_i32 s4, 0x1000
	s_waitcnt lgkmcnt(0)
	flat_store_short v[2:3], v4
	flat_store_short v[2:3], v5 offset:512
	flat_store_short v[2:3], v6 offset:1024
	;; [unrolled: 1-line block ×7, first 2 shown]
	v_add_co_u32_e32 v4, vcc, s4, v2
	s_or_b64 s[0:1], s[0:1], exec
	s_nop 0
	v_addc_co_u32_e32 v5, vcc, 0, v3, vcc
	v_add_co_u32_e32 v2, vcc, 0x2000, v2
	flat_store_short v[4:5], v13
	flat_store_short v[4:5], v14 offset:512
	flat_store_short v[4:5], v15 offset:1024
	;; [unrolled: 1-line block ×7, first 2 shown]
	v_addc_co_u32_e32 v3, vcc, 0, v3, vcc
	flat_store_short v[2:3], v21
	flat_store_short v[2:3], v22 offset:512
	flat_store_short v[2:3], v23 offset:1024
	;; [unrolled: 1-line block ×6, first 2 shown]
.LBB1269_287:
	s_and_saveexec_b64 s[4:5], s[0:1]
	s_cbranch_execnz .LBB1269_289
; %bb.288:
	s_endpgm
.LBB1269_289:
	v_lshl_add_u64 v[0:1], v[0:1], 1, s[2:3]
	v_add_co_u32_e32 v0, vcc, 0x2000, v0
	s_nop 1
	v_addc_co_u32_e32 v1, vcc, 0, v1, vcc
	flat_store_short v[0:1], v7 offset:3584
	s_endpgm
.LBB1269_290:
	v_lshlrev_b32_e32 v2, 1, v0
	v_lshl_add_u64 v[2:3], s[54:55], 0, v[2:3]
	flat_load_ushort v2, v[2:3]
	s_or_b64 exec, exec, s[60:61]
                                        ; implicit-def: $vgpr3
	s_and_saveexec_b64 s[52:53], s[4:5]
	s_cbranch_execz .LBB1269_57
.LBB1269_291:
	v_lshlrev_b32_e32 v20, 1, v0
	v_mov_b32_e32 v21, 0
	v_lshl_add_u64 v[20:21], s[54:55], 0, v[20:21]
	flat_load_ushort v3, v[20:21] offset:512
	s_or_b64 exec, exec, s[52:53]
                                        ; implicit-def: $vgpr20
	s_and_saveexec_b64 s[4:5], s[6:7]
	s_cbranch_execz .LBB1269_58
.LBB1269_292:
	v_lshlrev_b32_e32 v20, 1, v0
	v_mov_b32_e32 v21, 0
	v_lshl_add_u64 v[20:21], s[54:55], 0, v[20:21]
	flat_load_ushort v20, v[20:21] offset:1024
	s_or_b64 exec, exec, s[4:5]
                                        ; implicit-def: $vgpr21
	s_and_saveexec_b64 s[4:5], s[8:9]
	s_cbranch_execz .LBB1269_59
.LBB1269_293:
	v_lshlrev_b32_e32 v48, 1, v0
	v_mov_b32_e32 v49, 0
	v_lshl_add_u64 v[48:49], s[54:55], 0, v[48:49]
	flat_load_ushort v21, v[48:49] offset:1536
	s_or_b64 exec, exec, s[4:5]
                                        ; implicit-def: $vgpr47
	s_and_saveexec_b64 s[4:5], s[10:11]
	s_cbranch_execz .LBB1269_60
.LBB1269_294:
	v_lshlrev_b32_e32 v48, 1, v0
	v_mov_b32_e32 v49, 0
	v_lshl_add_u64 v[48:49], s[54:55], 0, v[48:49]
	flat_load_ushort v47, v[48:49] offset:2048
	s_or_b64 exec, exec, s[4:5]
                                        ; implicit-def: $vgpr48
	s_and_saveexec_b64 s[4:5], s[12:13]
	s_cbranch_execz .LBB1269_61
.LBB1269_295:
	v_lshlrev_b32_e32 v48, 1, v0
	v_mov_b32_e32 v49, 0
	v_lshl_add_u64 v[48:49], s[54:55], 0, v[48:49]
	flat_load_ushort v48, v[48:49] offset:2560
	s_or_b64 exec, exec, s[4:5]
                                        ; implicit-def: $vgpr49
	s_and_saveexec_b64 s[4:5], s[14:15]
	s_cbranch_execz .LBB1269_62
.LBB1269_296:
	v_lshlrev_b32_e32 v50, 1, v0
	v_mov_b32_e32 v51, 0
	v_lshl_add_u64 v[50:51], s[54:55], 0, v[50:51]
	flat_load_ushort v49, v[50:51] offset:3072
	s_or_b64 exec, exec, s[4:5]
                                        ; implicit-def: $vgpr50
	s_and_saveexec_b64 s[4:5], s[16:17]
	s_cbranch_execz .LBB1269_63
.LBB1269_297:
	v_lshlrev_b32_e32 v50, 1, v0
	v_mov_b32_e32 v51, 0
	v_lshl_add_u64 v[50:51], s[54:55], 0, v[50:51]
	flat_load_ushort v50, v[50:51] offset:3584
	s_or_b64 exec, exec, s[4:5]
                                        ; implicit-def: $vgpr51
	s_and_saveexec_b64 s[4:5], s[18:19]
	s_cbranch_execz .LBB1269_64
.LBB1269_298:
	v_lshlrev_b32_e32 v52, 1, v1
	v_mov_b32_e32 v53, 0
	v_lshl_add_u64 v[52:53], s[54:55], 0, v[52:53]
	flat_load_ushort v51, v[52:53]
	s_or_b64 exec, exec, s[4:5]
                                        ; implicit-def: $vgpr1
	s_and_saveexec_b64 s[4:5], s[20:21]
	s_cbranch_execz .LBB1269_65
.LBB1269_299:
	v_lshlrev_b32_e32 v52, 1, v4
	v_mov_b32_e32 v53, 0
	v_lshl_add_u64 v[52:53], s[54:55], 0, v[52:53]
	flat_load_ushort v1, v[52:53]
	s_or_b64 exec, exec, s[4:5]
                                        ; implicit-def: $vgpr4
	s_and_saveexec_b64 s[4:5], s[22:23]
	s_cbranch_execz .LBB1269_66
.LBB1269_300:
	v_lshlrev_b32_e32 v4, 1, v5
	v_mov_b32_e32 v5, 0
	v_lshl_add_u64 v[4:5], s[54:55], 0, v[4:5]
	flat_load_ushort v4, v[4:5]
	s_or_b64 exec, exec, s[4:5]
                                        ; implicit-def: $vgpr5
	s_and_saveexec_b64 s[4:5], s[24:25]
	s_cbranch_execz .LBB1269_67
.LBB1269_301:
	v_lshlrev_b32_e32 v52, 1, v6
	v_mov_b32_e32 v53, 0
	v_lshl_add_u64 v[52:53], s[54:55], 0, v[52:53]
	flat_load_ushort v5, v[52:53]
	s_or_b64 exec, exec, s[4:5]
                                        ; implicit-def: $vgpr6
	s_and_saveexec_b64 s[4:5], s[26:27]
	s_cbranch_execz .LBB1269_68
.LBB1269_302:
	v_lshlrev_b32_e32 v6, 1, v7
	v_mov_b32_e32 v7, 0
	v_lshl_add_u64 v[6:7], s[54:55], 0, v[6:7]
	flat_load_ushort v6, v[6:7]
	s_or_b64 exec, exec, s[4:5]
                                        ; implicit-def: $vgpr7
	s_and_saveexec_b64 s[4:5], s[28:29]
	s_cbranch_execz .LBB1269_69
.LBB1269_303:
	v_lshlrev_b32_e32 v52, 1, v8
	v_mov_b32_e32 v53, 0
	v_lshl_add_u64 v[52:53], s[54:55], 0, v[52:53]
	flat_load_ushort v7, v[52:53]
	s_or_b64 exec, exec, s[4:5]
                                        ; implicit-def: $vgpr8
	s_and_saveexec_b64 s[4:5], s[30:31]
	s_cbranch_execz .LBB1269_70
.LBB1269_304:
	v_lshlrev_b32_e32 v8, 1, v9
	v_mov_b32_e32 v9, 0
	v_lshl_add_u64 v[8:9], s[54:55], 0, v[8:9]
	flat_load_ushort v8, v[8:9]
	s_or_b64 exec, exec, s[4:5]
                                        ; implicit-def: $vgpr9
	s_and_saveexec_b64 s[4:5], s[34:35]
	s_cbranch_execz .LBB1269_71
.LBB1269_305:
	v_lshlrev_b32_e32 v52, 1, v10
	v_mov_b32_e32 v53, 0
	v_lshl_add_u64 v[52:53], s[54:55], 0, v[52:53]
	flat_load_ushort v9, v[52:53]
	s_or_b64 exec, exec, s[4:5]
                                        ; implicit-def: $vgpr10
	s_and_saveexec_b64 s[4:5], s[36:37]
	s_cbranch_execz .LBB1269_72
.LBB1269_306:
	v_lshlrev_b32_e32 v10, 1, v11
	v_mov_b32_e32 v11, 0
	v_lshl_add_u64 v[10:11], s[54:55], 0, v[10:11]
	flat_load_ushort v10, v[10:11]
	s_or_b64 exec, exec, s[4:5]
                                        ; implicit-def: $vgpr11
	s_and_saveexec_b64 s[4:5], s[38:39]
	s_cbranch_execz .LBB1269_73
.LBB1269_307:
	v_lshlrev_b32_e32 v52, 1, v12
	v_mov_b32_e32 v53, 0
	v_lshl_add_u64 v[52:53], s[54:55], 0, v[52:53]
	flat_load_ushort v11, v[52:53]
	s_or_b64 exec, exec, s[4:5]
                                        ; implicit-def: $vgpr12
	s_and_saveexec_b64 s[4:5], s[40:41]
	s_cbranch_execz .LBB1269_74
.LBB1269_308:
	v_lshlrev_b32_e32 v12, 1, v13
	v_mov_b32_e32 v13, 0
	v_lshl_add_u64 v[12:13], s[54:55], 0, v[12:13]
	flat_load_ushort v12, v[12:13]
	s_or_b64 exec, exec, s[4:5]
                                        ; implicit-def: $vgpr13
	s_and_saveexec_b64 s[4:5], s[42:43]
	s_cbranch_execz .LBB1269_75
.LBB1269_309:
	v_lshlrev_b32_e32 v52, 1, v14
	v_mov_b32_e32 v53, 0
	v_lshl_add_u64 v[52:53], s[54:55], 0, v[52:53]
	flat_load_ushort v13, v[52:53]
	s_or_b64 exec, exec, s[4:5]
                                        ; implicit-def: $vgpr14
	s_and_saveexec_b64 s[4:5], s[44:45]
	s_cbranch_execz .LBB1269_76
.LBB1269_310:
	v_lshlrev_b32_e32 v14, 1, v15
	v_mov_b32_e32 v15, 0
	v_lshl_add_u64 v[14:15], s[54:55], 0, v[14:15]
	flat_load_ushort v14, v[14:15]
	s_or_b64 exec, exec, s[4:5]
                                        ; implicit-def: $vgpr15
	s_and_saveexec_b64 s[4:5], s[46:47]
	s_cbranch_execz .LBB1269_77
.LBB1269_311:
	v_lshlrev_b32_e32 v52, 1, v16
	v_mov_b32_e32 v53, 0
	v_lshl_add_u64 v[52:53], s[54:55], 0, v[52:53]
	flat_load_ushort v15, v[52:53]
	s_or_b64 exec, exec, s[4:5]
                                        ; implicit-def: $vgpr16
	s_and_saveexec_b64 s[4:5], s[48:49]
	s_cbranch_execz .LBB1269_78
.LBB1269_312:
	v_lshlrev_b32_e32 v16, 1, v17
	v_mov_b32_e32 v17, 0
	v_lshl_add_u64 v[16:17], s[54:55], 0, v[16:17]
	flat_load_ushort v16, v[16:17]
	s_or_b64 exec, exec, s[4:5]
                                        ; implicit-def: $vgpr17
	s_and_saveexec_b64 s[4:5], s[50:51]
	s_cbranch_execnz .LBB1269_79
	s_branch .LBB1269_80
.LBB1269_313:
                                        ; implicit-def: $sgpr60_sgpr61
	s_branch .LBB1269_52
.LBB1269_314:
                                        ; implicit-def: $sgpr4_sgpr5
	s_branch .LBB1269_131
	.section	.rodata,"a",@progbits
	.p2align	6, 0x0
	.amdhsa_kernel _ZN7rocprim17ROCPRIM_400000_NS6detail17trampoline_kernelINS0_14default_configENS1_27scan_by_key_config_selectorIitEEZZNS1_16scan_by_key_implILNS1_25lookback_scan_determinismE0ELb0ES3_N6thrust23THRUST_200600_302600_NS6detail15normal_iteratorINS9_10device_ptrIiEEEENSB_INSC_ItEEEESG_tNS9_4plusIvEENS9_8equal_toIvEEtEE10hipError_tPvRmT2_T3_T4_T5_mT6_T7_P12ihipStream_tbENKUlT_T0_E_clISt17integral_constantIbLb0EES11_EEDaSW_SX_EUlSW_E_NS1_11comp_targetILNS1_3genE5ELNS1_11target_archE942ELNS1_3gpuE9ELNS1_3repE0EEENS1_30default_config_static_selectorELNS0_4arch9wavefront6targetE1EEEvT1_
		.amdhsa_group_segment_fixed_size 26624
		.amdhsa_private_segment_fixed_size 0
		.amdhsa_kernarg_size 112
		.amdhsa_user_sgpr_count 2
		.amdhsa_user_sgpr_dispatch_ptr 0
		.amdhsa_user_sgpr_queue_ptr 0
		.amdhsa_user_sgpr_kernarg_segment_ptr 1
		.amdhsa_user_sgpr_dispatch_id 0
		.amdhsa_user_sgpr_kernarg_preload_length 0
		.amdhsa_user_sgpr_kernarg_preload_offset 0
		.amdhsa_user_sgpr_private_segment_size 0
		.amdhsa_uses_dynamic_stack 0
		.amdhsa_enable_private_segment 0
		.amdhsa_system_sgpr_workgroup_id_x 1
		.amdhsa_system_sgpr_workgroup_id_y 0
		.amdhsa_system_sgpr_workgroup_id_z 0
		.amdhsa_system_sgpr_workgroup_info 0
		.amdhsa_system_vgpr_workitem_id 0
		.amdhsa_next_free_vgpr 62
		.amdhsa_next_free_sgpr 84
		.amdhsa_accum_offset 64
		.amdhsa_reserve_vcc 1
		.amdhsa_float_round_mode_32 0
		.amdhsa_float_round_mode_16_64 0
		.amdhsa_float_denorm_mode_32 3
		.amdhsa_float_denorm_mode_16_64 3
		.amdhsa_dx10_clamp 1
		.amdhsa_ieee_mode 1
		.amdhsa_fp16_overflow 0
		.amdhsa_tg_split 0
		.amdhsa_exception_fp_ieee_invalid_op 0
		.amdhsa_exception_fp_denorm_src 0
		.amdhsa_exception_fp_ieee_div_zero 0
		.amdhsa_exception_fp_ieee_overflow 0
		.amdhsa_exception_fp_ieee_underflow 0
		.amdhsa_exception_fp_ieee_inexact 0
		.amdhsa_exception_int_div_zero 0
	.end_amdhsa_kernel
	.section	.text._ZN7rocprim17ROCPRIM_400000_NS6detail17trampoline_kernelINS0_14default_configENS1_27scan_by_key_config_selectorIitEEZZNS1_16scan_by_key_implILNS1_25lookback_scan_determinismE0ELb0ES3_N6thrust23THRUST_200600_302600_NS6detail15normal_iteratorINS9_10device_ptrIiEEEENSB_INSC_ItEEEESG_tNS9_4plusIvEENS9_8equal_toIvEEtEE10hipError_tPvRmT2_T3_T4_T5_mT6_T7_P12ihipStream_tbENKUlT_T0_E_clISt17integral_constantIbLb0EES11_EEDaSW_SX_EUlSW_E_NS1_11comp_targetILNS1_3genE5ELNS1_11target_archE942ELNS1_3gpuE9ELNS1_3repE0EEENS1_30default_config_static_selectorELNS0_4arch9wavefront6targetE1EEEvT1_,"axG",@progbits,_ZN7rocprim17ROCPRIM_400000_NS6detail17trampoline_kernelINS0_14default_configENS1_27scan_by_key_config_selectorIitEEZZNS1_16scan_by_key_implILNS1_25lookback_scan_determinismE0ELb0ES3_N6thrust23THRUST_200600_302600_NS6detail15normal_iteratorINS9_10device_ptrIiEEEENSB_INSC_ItEEEESG_tNS9_4plusIvEENS9_8equal_toIvEEtEE10hipError_tPvRmT2_T3_T4_T5_mT6_T7_P12ihipStream_tbENKUlT_T0_E_clISt17integral_constantIbLb0EES11_EEDaSW_SX_EUlSW_E_NS1_11comp_targetILNS1_3genE5ELNS1_11target_archE942ELNS1_3gpuE9ELNS1_3repE0EEENS1_30default_config_static_selectorELNS0_4arch9wavefront6targetE1EEEvT1_,comdat
.Lfunc_end1269:
	.size	_ZN7rocprim17ROCPRIM_400000_NS6detail17trampoline_kernelINS0_14default_configENS1_27scan_by_key_config_selectorIitEEZZNS1_16scan_by_key_implILNS1_25lookback_scan_determinismE0ELb0ES3_N6thrust23THRUST_200600_302600_NS6detail15normal_iteratorINS9_10device_ptrIiEEEENSB_INSC_ItEEEESG_tNS9_4plusIvEENS9_8equal_toIvEEtEE10hipError_tPvRmT2_T3_T4_T5_mT6_T7_P12ihipStream_tbENKUlT_T0_E_clISt17integral_constantIbLb0EES11_EEDaSW_SX_EUlSW_E_NS1_11comp_targetILNS1_3genE5ELNS1_11target_archE942ELNS1_3gpuE9ELNS1_3repE0EEENS1_30default_config_static_selectorELNS0_4arch9wavefront6targetE1EEEvT1_, .Lfunc_end1269-_ZN7rocprim17ROCPRIM_400000_NS6detail17trampoline_kernelINS0_14default_configENS1_27scan_by_key_config_selectorIitEEZZNS1_16scan_by_key_implILNS1_25lookback_scan_determinismE0ELb0ES3_N6thrust23THRUST_200600_302600_NS6detail15normal_iteratorINS9_10device_ptrIiEEEENSB_INSC_ItEEEESG_tNS9_4plusIvEENS9_8equal_toIvEEtEE10hipError_tPvRmT2_T3_T4_T5_mT6_T7_P12ihipStream_tbENKUlT_T0_E_clISt17integral_constantIbLb0EES11_EEDaSW_SX_EUlSW_E_NS1_11comp_targetILNS1_3genE5ELNS1_11target_archE942ELNS1_3gpuE9ELNS1_3repE0EEENS1_30default_config_static_selectorELNS0_4arch9wavefront6targetE1EEEvT1_
                                        ; -- End function
	.section	.AMDGPU.csdata,"",@progbits
; Kernel info:
; codeLenInByte = 16148
; NumSgprs: 90
; NumVgprs: 62
; NumAgprs: 0
; TotalNumVgprs: 62
; ScratchSize: 0
; MemoryBound: 0
; FloatMode: 240
; IeeeMode: 1
; LDSByteSize: 26624 bytes/workgroup (compile time only)
; SGPRBlocks: 11
; VGPRBlocks: 7
; NumSGPRsForWavesPerEU: 90
; NumVGPRsForWavesPerEU: 62
; AccumOffset: 64
; Occupancy: 2
; WaveLimiterHint : 1
; COMPUTE_PGM_RSRC2:SCRATCH_EN: 0
; COMPUTE_PGM_RSRC2:USER_SGPR: 2
; COMPUTE_PGM_RSRC2:TRAP_HANDLER: 0
; COMPUTE_PGM_RSRC2:TGID_X_EN: 1
; COMPUTE_PGM_RSRC2:TGID_Y_EN: 0
; COMPUTE_PGM_RSRC2:TGID_Z_EN: 0
; COMPUTE_PGM_RSRC2:TIDIG_COMP_CNT: 0
; COMPUTE_PGM_RSRC3_GFX90A:ACCUM_OFFSET: 15
; COMPUTE_PGM_RSRC3_GFX90A:TG_SPLIT: 0
	.section	.text._ZN7rocprim17ROCPRIM_400000_NS6detail17trampoline_kernelINS0_14default_configENS1_27scan_by_key_config_selectorIitEEZZNS1_16scan_by_key_implILNS1_25lookback_scan_determinismE0ELb0ES3_N6thrust23THRUST_200600_302600_NS6detail15normal_iteratorINS9_10device_ptrIiEEEENSB_INSC_ItEEEESG_tNS9_4plusIvEENS9_8equal_toIvEEtEE10hipError_tPvRmT2_T3_T4_T5_mT6_T7_P12ihipStream_tbENKUlT_T0_E_clISt17integral_constantIbLb0EES11_EEDaSW_SX_EUlSW_E_NS1_11comp_targetILNS1_3genE4ELNS1_11target_archE910ELNS1_3gpuE8ELNS1_3repE0EEENS1_30default_config_static_selectorELNS0_4arch9wavefront6targetE1EEEvT1_,"axG",@progbits,_ZN7rocprim17ROCPRIM_400000_NS6detail17trampoline_kernelINS0_14default_configENS1_27scan_by_key_config_selectorIitEEZZNS1_16scan_by_key_implILNS1_25lookback_scan_determinismE0ELb0ES3_N6thrust23THRUST_200600_302600_NS6detail15normal_iteratorINS9_10device_ptrIiEEEENSB_INSC_ItEEEESG_tNS9_4plusIvEENS9_8equal_toIvEEtEE10hipError_tPvRmT2_T3_T4_T5_mT6_T7_P12ihipStream_tbENKUlT_T0_E_clISt17integral_constantIbLb0EES11_EEDaSW_SX_EUlSW_E_NS1_11comp_targetILNS1_3genE4ELNS1_11target_archE910ELNS1_3gpuE8ELNS1_3repE0EEENS1_30default_config_static_selectorELNS0_4arch9wavefront6targetE1EEEvT1_,comdat
	.protected	_ZN7rocprim17ROCPRIM_400000_NS6detail17trampoline_kernelINS0_14default_configENS1_27scan_by_key_config_selectorIitEEZZNS1_16scan_by_key_implILNS1_25lookback_scan_determinismE0ELb0ES3_N6thrust23THRUST_200600_302600_NS6detail15normal_iteratorINS9_10device_ptrIiEEEENSB_INSC_ItEEEESG_tNS9_4plusIvEENS9_8equal_toIvEEtEE10hipError_tPvRmT2_T3_T4_T5_mT6_T7_P12ihipStream_tbENKUlT_T0_E_clISt17integral_constantIbLb0EES11_EEDaSW_SX_EUlSW_E_NS1_11comp_targetILNS1_3genE4ELNS1_11target_archE910ELNS1_3gpuE8ELNS1_3repE0EEENS1_30default_config_static_selectorELNS0_4arch9wavefront6targetE1EEEvT1_ ; -- Begin function _ZN7rocprim17ROCPRIM_400000_NS6detail17trampoline_kernelINS0_14default_configENS1_27scan_by_key_config_selectorIitEEZZNS1_16scan_by_key_implILNS1_25lookback_scan_determinismE0ELb0ES3_N6thrust23THRUST_200600_302600_NS6detail15normal_iteratorINS9_10device_ptrIiEEEENSB_INSC_ItEEEESG_tNS9_4plusIvEENS9_8equal_toIvEEtEE10hipError_tPvRmT2_T3_T4_T5_mT6_T7_P12ihipStream_tbENKUlT_T0_E_clISt17integral_constantIbLb0EES11_EEDaSW_SX_EUlSW_E_NS1_11comp_targetILNS1_3genE4ELNS1_11target_archE910ELNS1_3gpuE8ELNS1_3repE0EEENS1_30default_config_static_selectorELNS0_4arch9wavefront6targetE1EEEvT1_
	.globl	_ZN7rocprim17ROCPRIM_400000_NS6detail17trampoline_kernelINS0_14default_configENS1_27scan_by_key_config_selectorIitEEZZNS1_16scan_by_key_implILNS1_25lookback_scan_determinismE0ELb0ES3_N6thrust23THRUST_200600_302600_NS6detail15normal_iteratorINS9_10device_ptrIiEEEENSB_INSC_ItEEEESG_tNS9_4plusIvEENS9_8equal_toIvEEtEE10hipError_tPvRmT2_T3_T4_T5_mT6_T7_P12ihipStream_tbENKUlT_T0_E_clISt17integral_constantIbLb0EES11_EEDaSW_SX_EUlSW_E_NS1_11comp_targetILNS1_3genE4ELNS1_11target_archE910ELNS1_3gpuE8ELNS1_3repE0EEENS1_30default_config_static_selectorELNS0_4arch9wavefront6targetE1EEEvT1_
	.p2align	8
	.type	_ZN7rocprim17ROCPRIM_400000_NS6detail17trampoline_kernelINS0_14default_configENS1_27scan_by_key_config_selectorIitEEZZNS1_16scan_by_key_implILNS1_25lookback_scan_determinismE0ELb0ES3_N6thrust23THRUST_200600_302600_NS6detail15normal_iteratorINS9_10device_ptrIiEEEENSB_INSC_ItEEEESG_tNS9_4plusIvEENS9_8equal_toIvEEtEE10hipError_tPvRmT2_T3_T4_T5_mT6_T7_P12ihipStream_tbENKUlT_T0_E_clISt17integral_constantIbLb0EES11_EEDaSW_SX_EUlSW_E_NS1_11comp_targetILNS1_3genE4ELNS1_11target_archE910ELNS1_3gpuE8ELNS1_3repE0EEENS1_30default_config_static_selectorELNS0_4arch9wavefront6targetE1EEEvT1_,@function
_ZN7rocprim17ROCPRIM_400000_NS6detail17trampoline_kernelINS0_14default_configENS1_27scan_by_key_config_selectorIitEEZZNS1_16scan_by_key_implILNS1_25lookback_scan_determinismE0ELb0ES3_N6thrust23THRUST_200600_302600_NS6detail15normal_iteratorINS9_10device_ptrIiEEEENSB_INSC_ItEEEESG_tNS9_4plusIvEENS9_8equal_toIvEEtEE10hipError_tPvRmT2_T3_T4_T5_mT6_T7_P12ihipStream_tbENKUlT_T0_E_clISt17integral_constantIbLb0EES11_EEDaSW_SX_EUlSW_E_NS1_11comp_targetILNS1_3genE4ELNS1_11target_archE910ELNS1_3gpuE8ELNS1_3repE0EEENS1_30default_config_static_selectorELNS0_4arch9wavefront6targetE1EEEvT1_: ; @_ZN7rocprim17ROCPRIM_400000_NS6detail17trampoline_kernelINS0_14default_configENS1_27scan_by_key_config_selectorIitEEZZNS1_16scan_by_key_implILNS1_25lookback_scan_determinismE0ELb0ES3_N6thrust23THRUST_200600_302600_NS6detail15normal_iteratorINS9_10device_ptrIiEEEENSB_INSC_ItEEEESG_tNS9_4plusIvEENS9_8equal_toIvEEtEE10hipError_tPvRmT2_T3_T4_T5_mT6_T7_P12ihipStream_tbENKUlT_T0_E_clISt17integral_constantIbLb0EES11_EEDaSW_SX_EUlSW_E_NS1_11comp_targetILNS1_3genE4ELNS1_11target_archE910ELNS1_3gpuE8ELNS1_3repE0EEENS1_30default_config_static_selectorELNS0_4arch9wavefront6targetE1EEEvT1_
; %bb.0:
	.section	.rodata,"a",@progbits
	.p2align	6, 0x0
	.amdhsa_kernel _ZN7rocprim17ROCPRIM_400000_NS6detail17trampoline_kernelINS0_14default_configENS1_27scan_by_key_config_selectorIitEEZZNS1_16scan_by_key_implILNS1_25lookback_scan_determinismE0ELb0ES3_N6thrust23THRUST_200600_302600_NS6detail15normal_iteratorINS9_10device_ptrIiEEEENSB_INSC_ItEEEESG_tNS9_4plusIvEENS9_8equal_toIvEEtEE10hipError_tPvRmT2_T3_T4_T5_mT6_T7_P12ihipStream_tbENKUlT_T0_E_clISt17integral_constantIbLb0EES11_EEDaSW_SX_EUlSW_E_NS1_11comp_targetILNS1_3genE4ELNS1_11target_archE910ELNS1_3gpuE8ELNS1_3repE0EEENS1_30default_config_static_selectorELNS0_4arch9wavefront6targetE1EEEvT1_
		.amdhsa_group_segment_fixed_size 0
		.amdhsa_private_segment_fixed_size 0
		.amdhsa_kernarg_size 112
		.amdhsa_user_sgpr_count 2
		.amdhsa_user_sgpr_dispatch_ptr 0
		.amdhsa_user_sgpr_queue_ptr 0
		.amdhsa_user_sgpr_kernarg_segment_ptr 1
		.amdhsa_user_sgpr_dispatch_id 0
		.amdhsa_user_sgpr_kernarg_preload_length 0
		.amdhsa_user_sgpr_kernarg_preload_offset 0
		.amdhsa_user_sgpr_private_segment_size 0
		.amdhsa_uses_dynamic_stack 0
		.amdhsa_enable_private_segment 0
		.amdhsa_system_sgpr_workgroup_id_x 1
		.amdhsa_system_sgpr_workgroup_id_y 0
		.amdhsa_system_sgpr_workgroup_id_z 0
		.amdhsa_system_sgpr_workgroup_info 0
		.amdhsa_system_vgpr_workitem_id 0
		.amdhsa_next_free_vgpr 1
		.amdhsa_next_free_sgpr 0
		.amdhsa_accum_offset 4
		.amdhsa_reserve_vcc 0
		.amdhsa_float_round_mode_32 0
		.amdhsa_float_round_mode_16_64 0
		.amdhsa_float_denorm_mode_32 3
		.amdhsa_float_denorm_mode_16_64 3
		.amdhsa_dx10_clamp 1
		.amdhsa_ieee_mode 1
		.amdhsa_fp16_overflow 0
		.amdhsa_tg_split 0
		.amdhsa_exception_fp_ieee_invalid_op 0
		.amdhsa_exception_fp_denorm_src 0
		.amdhsa_exception_fp_ieee_div_zero 0
		.amdhsa_exception_fp_ieee_overflow 0
		.amdhsa_exception_fp_ieee_underflow 0
		.amdhsa_exception_fp_ieee_inexact 0
		.amdhsa_exception_int_div_zero 0
	.end_amdhsa_kernel
	.section	.text._ZN7rocprim17ROCPRIM_400000_NS6detail17trampoline_kernelINS0_14default_configENS1_27scan_by_key_config_selectorIitEEZZNS1_16scan_by_key_implILNS1_25lookback_scan_determinismE0ELb0ES3_N6thrust23THRUST_200600_302600_NS6detail15normal_iteratorINS9_10device_ptrIiEEEENSB_INSC_ItEEEESG_tNS9_4plusIvEENS9_8equal_toIvEEtEE10hipError_tPvRmT2_T3_T4_T5_mT6_T7_P12ihipStream_tbENKUlT_T0_E_clISt17integral_constantIbLb0EES11_EEDaSW_SX_EUlSW_E_NS1_11comp_targetILNS1_3genE4ELNS1_11target_archE910ELNS1_3gpuE8ELNS1_3repE0EEENS1_30default_config_static_selectorELNS0_4arch9wavefront6targetE1EEEvT1_,"axG",@progbits,_ZN7rocprim17ROCPRIM_400000_NS6detail17trampoline_kernelINS0_14default_configENS1_27scan_by_key_config_selectorIitEEZZNS1_16scan_by_key_implILNS1_25lookback_scan_determinismE0ELb0ES3_N6thrust23THRUST_200600_302600_NS6detail15normal_iteratorINS9_10device_ptrIiEEEENSB_INSC_ItEEEESG_tNS9_4plusIvEENS9_8equal_toIvEEtEE10hipError_tPvRmT2_T3_T4_T5_mT6_T7_P12ihipStream_tbENKUlT_T0_E_clISt17integral_constantIbLb0EES11_EEDaSW_SX_EUlSW_E_NS1_11comp_targetILNS1_3genE4ELNS1_11target_archE910ELNS1_3gpuE8ELNS1_3repE0EEENS1_30default_config_static_selectorELNS0_4arch9wavefront6targetE1EEEvT1_,comdat
.Lfunc_end1270:
	.size	_ZN7rocprim17ROCPRIM_400000_NS6detail17trampoline_kernelINS0_14default_configENS1_27scan_by_key_config_selectorIitEEZZNS1_16scan_by_key_implILNS1_25lookback_scan_determinismE0ELb0ES3_N6thrust23THRUST_200600_302600_NS6detail15normal_iteratorINS9_10device_ptrIiEEEENSB_INSC_ItEEEESG_tNS9_4plusIvEENS9_8equal_toIvEEtEE10hipError_tPvRmT2_T3_T4_T5_mT6_T7_P12ihipStream_tbENKUlT_T0_E_clISt17integral_constantIbLb0EES11_EEDaSW_SX_EUlSW_E_NS1_11comp_targetILNS1_3genE4ELNS1_11target_archE910ELNS1_3gpuE8ELNS1_3repE0EEENS1_30default_config_static_selectorELNS0_4arch9wavefront6targetE1EEEvT1_, .Lfunc_end1270-_ZN7rocprim17ROCPRIM_400000_NS6detail17trampoline_kernelINS0_14default_configENS1_27scan_by_key_config_selectorIitEEZZNS1_16scan_by_key_implILNS1_25lookback_scan_determinismE0ELb0ES3_N6thrust23THRUST_200600_302600_NS6detail15normal_iteratorINS9_10device_ptrIiEEEENSB_INSC_ItEEEESG_tNS9_4plusIvEENS9_8equal_toIvEEtEE10hipError_tPvRmT2_T3_T4_T5_mT6_T7_P12ihipStream_tbENKUlT_T0_E_clISt17integral_constantIbLb0EES11_EEDaSW_SX_EUlSW_E_NS1_11comp_targetILNS1_3genE4ELNS1_11target_archE910ELNS1_3gpuE8ELNS1_3repE0EEENS1_30default_config_static_selectorELNS0_4arch9wavefront6targetE1EEEvT1_
                                        ; -- End function
	.section	.AMDGPU.csdata,"",@progbits
; Kernel info:
; codeLenInByte = 0
; NumSgprs: 6
; NumVgprs: 0
; NumAgprs: 0
; TotalNumVgprs: 0
; ScratchSize: 0
; MemoryBound: 0
; FloatMode: 240
; IeeeMode: 1
; LDSByteSize: 0 bytes/workgroup (compile time only)
; SGPRBlocks: 0
; VGPRBlocks: 0
; NumSGPRsForWavesPerEU: 6
; NumVGPRsForWavesPerEU: 1
; AccumOffset: 4
; Occupancy: 8
; WaveLimiterHint : 0
; COMPUTE_PGM_RSRC2:SCRATCH_EN: 0
; COMPUTE_PGM_RSRC2:USER_SGPR: 2
; COMPUTE_PGM_RSRC2:TRAP_HANDLER: 0
; COMPUTE_PGM_RSRC2:TGID_X_EN: 1
; COMPUTE_PGM_RSRC2:TGID_Y_EN: 0
; COMPUTE_PGM_RSRC2:TGID_Z_EN: 0
; COMPUTE_PGM_RSRC2:TIDIG_COMP_CNT: 0
; COMPUTE_PGM_RSRC3_GFX90A:ACCUM_OFFSET: 0
; COMPUTE_PGM_RSRC3_GFX90A:TG_SPLIT: 0
	.section	.text._ZN7rocprim17ROCPRIM_400000_NS6detail17trampoline_kernelINS0_14default_configENS1_27scan_by_key_config_selectorIitEEZZNS1_16scan_by_key_implILNS1_25lookback_scan_determinismE0ELb0ES3_N6thrust23THRUST_200600_302600_NS6detail15normal_iteratorINS9_10device_ptrIiEEEENSB_INSC_ItEEEESG_tNS9_4plusIvEENS9_8equal_toIvEEtEE10hipError_tPvRmT2_T3_T4_T5_mT6_T7_P12ihipStream_tbENKUlT_T0_E_clISt17integral_constantIbLb0EES11_EEDaSW_SX_EUlSW_E_NS1_11comp_targetILNS1_3genE3ELNS1_11target_archE908ELNS1_3gpuE7ELNS1_3repE0EEENS1_30default_config_static_selectorELNS0_4arch9wavefront6targetE1EEEvT1_,"axG",@progbits,_ZN7rocprim17ROCPRIM_400000_NS6detail17trampoline_kernelINS0_14default_configENS1_27scan_by_key_config_selectorIitEEZZNS1_16scan_by_key_implILNS1_25lookback_scan_determinismE0ELb0ES3_N6thrust23THRUST_200600_302600_NS6detail15normal_iteratorINS9_10device_ptrIiEEEENSB_INSC_ItEEEESG_tNS9_4plusIvEENS9_8equal_toIvEEtEE10hipError_tPvRmT2_T3_T4_T5_mT6_T7_P12ihipStream_tbENKUlT_T0_E_clISt17integral_constantIbLb0EES11_EEDaSW_SX_EUlSW_E_NS1_11comp_targetILNS1_3genE3ELNS1_11target_archE908ELNS1_3gpuE7ELNS1_3repE0EEENS1_30default_config_static_selectorELNS0_4arch9wavefront6targetE1EEEvT1_,comdat
	.protected	_ZN7rocprim17ROCPRIM_400000_NS6detail17trampoline_kernelINS0_14default_configENS1_27scan_by_key_config_selectorIitEEZZNS1_16scan_by_key_implILNS1_25lookback_scan_determinismE0ELb0ES3_N6thrust23THRUST_200600_302600_NS6detail15normal_iteratorINS9_10device_ptrIiEEEENSB_INSC_ItEEEESG_tNS9_4plusIvEENS9_8equal_toIvEEtEE10hipError_tPvRmT2_T3_T4_T5_mT6_T7_P12ihipStream_tbENKUlT_T0_E_clISt17integral_constantIbLb0EES11_EEDaSW_SX_EUlSW_E_NS1_11comp_targetILNS1_3genE3ELNS1_11target_archE908ELNS1_3gpuE7ELNS1_3repE0EEENS1_30default_config_static_selectorELNS0_4arch9wavefront6targetE1EEEvT1_ ; -- Begin function _ZN7rocprim17ROCPRIM_400000_NS6detail17trampoline_kernelINS0_14default_configENS1_27scan_by_key_config_selectorIitEEZZNS1_16scan_by_key_implILNS1_25lookback_scan_determinismE0ELb0ES3_N6thrust23THRUST_200600_302600_NS6detail15normal_iteratorINS9_10device_ptrIiEEEENSB_INSC_ItEEEESG_tNS9_4plusIvEENS9_8equal_toIvEEtEE10hipError_tPvRmT2_T3_T4_T5_mT6_T7_P12ihipStream_tbENKUlT_T0_E_clISt17integral_constantIbLb0EES11_EEDaSW_SX_EUlSW_E_NS1_11comp_targetILNS1_3genE3ELNS1_11target_archE908ELNS1_3gpuE7ELNS1_3repE0EEENS1_30default_config_static_selectorELNS0_4arch9wavefront6targetE1EEEvT1_
	.globl	_ZN7rocprim17ROCPRIM_400000_NS6detail17trampoline_kernelINS0_14default_configENS1_27scan_by_key_config_selectorIitEEZZNS1_16scan_by_key_implILNS1_25lookback_scan_determinismE0ELb0ES3_N6thrust23THRUST_200600_302600_NS6detail15normal_iteratorINS9_10device_ptrIiEEEENSB_INSC_ItEEEESG_tNS9_4plusIvEENS9_8equal_toIvEEtEE10hipError_tPvRmT2_T3_T4_T5_mT6_T7_P12ihipStream_tbENKUlT_T0_E_clISt17integral_constantIbLb0EES11_EEDaSW_SX_EUlSW_E_NS1_11comp_targetILNS1_3genE3ELNS1_11target_archE908ELNS1_3gpuE7ELNS1_3repE0EEENS1_30default_config_static_selectorELNS0_4arch9wavefront6targetE1EEEvT1_
	.p2align	8
	.type	_ZN7rocprim17ROCPRIM_400000_NS6detail17trampoline_kernelINS0_14default_configENS1_27scan_by_key_config_selectorIitEEZZNS1_16scan_by_key_implILNS1_25lookback_scan_determinismE0ELb0ES3_N6thrust23THRUST_200600_302600_NS6detail15normal_iteratorINS9_10device_ptrIiEEEENSB_INSC_ItEEEESG_tNS9_4plusIvEENS9_8equal_toIvEEtEE10hipError_tPvRmT2_T3_T4_T5_mT6_T7_P12ihipStream_tbENKUlT_T0_E_clISt17integral_constantIbLb0EES11_EEDaSW_SX_EUlSW_E_NS1_11comp_targetILNS1_3genE3ELNS1_11target_archE908ELNS1_3gpuE7ELNS1_3repE0EEENS1_30default_config_static_selectorELNS0_4arch9wavefront6targetE1EEEvT1_,@function
_ZN7rocprim17ROCPRIM_400000_NS6detail17trampoline_kernelINS0_14default_configENS1_27scan_by_key_config_selectorIitEEZZNS1_16scan_by_key_implILNS1_25lookback_scan_determinismE0ELb0ES3_N6thrust23THRUST_200600_302600_NS6detail15normal_iteratorINS9_10device_ptrIiEEEENSB_INSC_ItEEEESG_tNS9_4plusIvEENS9_8equal_toIvEEtEE10hipError_tPvRmT2_T3_T4_T5_mT6_T7_P12ihipStream_tbENKUlT_T0_E_clISt17integral_constantIbLb0EES11_EEDaSW_SX_EUlSW_E_NS1_11comp_targetILNS1_3genE3ELNS1_11target_archE908ELNS1_3gpuE7ELNS1_3repE0EEENS1_30default_config_static_selectorELNS0_4arch9wavefront6targetE1EEEvT1_: ; @_ZN7rocprim17ROCPRIM_400000_NS6detail17trampoline_kernelINS0_14default_configENS1_27scan_by_key_config_selectorIitEEZZNS1_16scan_by_key_implILNS1_25lookback_scan_determinismE0ELb0ES3_N6thrust23THRUST_200600_302600_NS6detail15normal_iteratorINS9_10device_ptrIiEEEENSB_INSC_ItEEEESG_tNS9_4plusIvEENS9_8equal_toIvEEtEE10hipError_tPvRmT2_T3_T4_T5_mT6_T7_P12ihipStream_tbENKUlT_T0_E_clISt17integral_constantIbLb0EES11_EEDaSW_SX_EUlSW_E_NS1_11comp_targetILNS1_3genE3ELNS1_11target_archE908ELNS1_3gpuE7ELNS1_3repE0EEENS1_30default_config_static_selectorELNS0_4arch9wavefront6targetE1EEEvT1_
; %bb.0:
	.section	.rodata,"a",@progbits
	.p2align	6, 0x0
	.amdhsa_kernel _ZN7rocprim17ROCPRIM_400000_NS6detail17trampoline_kernelINS0_14default_configENS1_27scan_by_key_config_selectorIitEEZZNS1_16scan_by_key_implILNS1_25lookback_scan_determinismE0ELb0ES3_N6thrust23THRUST_200600_302600_NS6detail15normal_iteratorINS9_10device_ptrIiEEEENSB_INSC_ItEEEESG_tNS9_4plusIvEENS9_8equal_toIvEEtEE10hipError_tPvRmT2_T3_T4_T5_mT6_T7_P12ihipStream_tbENKUlT_T0_E_clISt17integral_constantIbLb0EES11_EEDaSW_SX_EUlSW_E_NS1_11comp_targetILNS1_3genE3ELNS1_11target_archE908ELNS1_3gpuE7ELNS1_3repE0EEENS1_30default_config_static_selectorELNS0_4arch9wavefront6targetE1EEEvT1_
		.amdhsa_group_segment_fixed_size 0
		.amdhsa_private_segment_fixed_size 0
		.amdhsa_kernarg_size 112
		.amdhsa_user_sgpr_count 2
		.amdhsa_user_sgpr_dispatch_ptr 0
		.amdhsa_user_sgpr_queue_ptr 0
		.amdhsa_user_sgpr_kernarg_segment_ptr 1
		.amdhsa_user_sgpr_dispatch_id 0
		.amdhsa_user_sgpr_kernarg_preload_length 0
		.amdhsa_user_sgpr_kernarg_preload_offset 0
		.amdhsa_user_sgpr_private_segment_size 0
		.amdhsa_uses_dynamic_stack 0
		.amdhsa_enable_private_segment 0
		.amdhsa_system_sgpr_workgroup_id_x 1
		.amdhsa_system_sgpr_workgroup_id_y 0
		.amdhsa_system_sgpr_workgroup_id_z 0
		.amdhsa_system_sgpr_workgroup_info 0
		.amdhsa_system_vgpr_workitem_id 0
		.amdhsa_next_free_vgpr 1
		.amdhsa_next_free_sgpr 0
		.amdhsa_accum_offset 4
		.amdhsa_reserve_vcc 0
		.amdhsa_float_round_mode_32 0
		.amdhsa_float_round_mode_16_64 0
		.amdhsa_float_denorm_mode_32 3
		.amdhsa_float_denorm_mode_16_64 3
		.amdhsa_dx10_clamp 1
		.amdhsa_ieee_mode 1
		.amdhsa_fp16_overflow 0
		.amdhsa_tg_split 0
		.amdhsa_exception_fp_ieee_invalid_op 0
		.amdhsa_exception_fp_denorm_src 0
		.amdhsa_exception_fp_ieee_div_zero 0
		.amdhsa_exception_fp_ieee_overflow 0
		.amdhsa_exception_fp_ieee_underflow 0
		.amdhsa_exception_fp_ieee_inexact 0
		.amdhsa_exception_int_div_zero 0
	.end_amdhsa_kernel
	.section	.text._ZN7rocprim17ROCPRIM_400000_NS6detail17trampoline_kernelINS0_14default_configENS1_27scan_by_key_config_selectorIitEEZZNS1_16scan_by_key_implILNS1_25lookback_scan_determinismE0ELb0ES3_N6thrust23THRUST_200600_302600_NS6detail15normal_iteratorINS9_10device_ptrIiEEEENSB_INSC_ItEEEESG_tNS9_4plusIvEENS9_8equal_toIvEEtEE10hipError_tPvRmT2_T3_T4_T5_mT6_T7_P12ihipStream_tbENKUlT_T0_E_clISt17integral_constantIbLb0EES11_EEDaSW_SX_EUlSW_E_NS1_11comp_targetILNS1_3genE3ELNS1_11target_archE908ELNS1_3gpuE7ELNS1_3repE0EEENS1_30default_config_static_selectorELNS0_4arch9wavefront6targetE1EEEvT1_,"axG",@progbits,_ZN7rocprim17ROCPRIM_400000_NS6detail17trampoline_kernelINS0_14default_configENS1_27scan_by_key_config_selectorIitEEZZNS1_16scan_by_key_implILNS1_25lookback_scan_determinismE0ELb0ES3_N6thrust23THRUST_200600_302600_NS6detail15normal_iteratorINS9_10device_ptrIiEEEENSB_INSC_ItEEEESG_tNS9_4plusIvEENS9_8equal_toIvEEtEE10hipError_tPvRmT2_T3_T4_T5_mT6_T7_P12ihipStream_tbENKUlT_T0_E_clISt17integral_constantIbLb0EES11_EEDaSW_SX_EUlSW_E_NS1_11comp_targetILNS1_3genE3ELNS1_11target_archE908ELNS1_3gpuE7ELNS1_3repE0EEENS1_30default_config_static_selectorELNS0_4arch9wavefront6targetE1EEEvT1_,comdat
.Lfunc_end1271:
	.size	_ZN7rocprim17ROCPRIM_400000_NS6detail17trampoline_kernelINS0_14default_configENS1_27scan_by_key_config_selectorIitEEZZNS1_16scan_by_key_implILNS1_25lookback_scan_determinismE0ELb0ES3_N6thrust23THRUST_200600_302600_NS6detail15normal_iteratorINS9_10device_ptrIiEEEENSB_INSC_ItEEEESG_tNS9_4plusIvEENS9_8equal_toIvEEtEE10hipError_tPvRmT2_T3_T4_T5_mT6_T7_P12ihipStream_tbENKUlT_T0_E_clISt17integral_constantIbLb0EES11_EEDaSW_SX_EUlSW_E_NS1_11comp_targetILNS1_3genE3ELNS1_11target_archE908ELNS1_3gpuE7ELNS1_3repE0EEENS1_30default_config_static_selectorELNS0_4arch9wavefront6targetE1EEEvT1_, .Lfunc_end1271-_ZN7rocprim17ROCPRIM_400000_NS6detail17trampoline_kernelINS0_14default_configENS1_27scan_by_key_config_selectorIitEEZZNS1_16scan_by_key_implILNS1_25lookback_scan_determinismE0ELb0ES3_N6thrust23THRUST_200600_302600_NS6detail15normal_iteratorINS9_10device_ptrIiEEEENSB_INSC_ItEEEESG_tNS9_4plusIvEENS9_8equal_toIvEEtEE10hipError_tPvRmT2_T3_T4_T5_mT6_T7_P12ihipStream_tbENKUlT_T0_E_clISt17integral_constantIbLb0EES11_EEDaSW_SX_EUlSW_E_NS1_11comp_targetILNS1_3genE3ELNS1_11target_archE908ELNS1_3gpuE7ELNS1_3repE0EEENS1_30default_config_static_selectorELNS0_4arch9wavefront6targetE1EEEvT1_
                                        ; -- End function
	.section	.AMDGPU.csdata,"",@progbits
; Kernel info:
; codeLenInByte = 0
; NumSgprs: 6
; NumVgprs: 0
; NumAgprs: 0
; TotalNumVgprs: 0
; ScratchSize: 0
; MemoryBound: 0
; FloatMode: 240
; IeeeMode: 1
; LDSByteSize: 0 bytes/workgroup (compile time only)
; SGPRBlocks: 0
; VGPRBlocks: 0
; NumSGPRsForWavesPerEU: 6
; NumVGPRsForWavesPerEU: 1
; AccumOffset: 4
; Occupancy: 8
; WaveLimiterHint : 0
; COMPUTE_PGM_RSRC2:SCRATCH_EN: 0
; COMPUTE_PGM_RSRC2:USER_SGPR: 2
; COMPUTE_PGM_RSRC2:TRAP_HANDLER: 0
; COMPUTE_PGM_RSRC2:TGID_X_EN: 1
; COMPUTE_PGM_RSRC2:TGID_Y_EN: 0
; COMPUTE_PGM_RSRC2:TGID_Z_EN: 0
; COMPUTE_PGM_RSRC2:TIDIG_COMP_CNT: 0
; COMPUTE_PGM_RSRC3_GFX90A:ACCUM_OFFSET: 0
; COMPUTE_PGM_RSRC3_GFX90A:TG_SPLIT: 0
	.section	.text._ZN7rocprim17ROCPRIM_400000_NS6detail17trampoline_kernelINS0_14default_configENS1_27scan_by_key_config_selectorIitEEZZNS1_16scan_by_key_implILNS1_25lookback_scan_determinismE0ELb0ES3_N6thrust23THRUST_200600_302600_NS6detail15normal_iteratorINS9_10device_ptrIiEEEENSB_INSC_ItEEEESG_tNS9_4plusIvEENS9_8equal_toIvEEtEE10hipError_tPvRmT2_T3_T4_T5_mT6_T7_P12ihipStream_tbENKUlT_T0_E_clISt17integral_constantIbLb0EES11_EEDaSW_SX_EUlSW_E_NS1_11comp_targetILNS1_3genE2ELNS1_11target_archE906ELNS1_3gpuE6ELNS1_3repE0EEENS1_30default_config_static_selectorELNS0_4arch9wavefront6targetE1EEEvT1_,"axG",@progbits,_ZN7rocprim17ROCPRIM_400000_NS6detail17trampoline_kernelINS0_14default_configENS1_27scan_by_key_config_selectorIitEEZZNS1_16scan_by_key_implILNS1_25lookback_scan_determinismE0ELb0ES3_N6thrust23THRUST_200600_302600_NS6detail15normal_iteratorINS9_10device_ptrIiEEEENSB_INSC_ItEEEESG_tNS9_4plusIvEENS9_8equal_toIvEEtEE10hipError_tPvRmT2_T3_T4_T5_mT6_T7_P12ihipStream_tbENKUlT_T0_E_clISt17integral_constantIbLb0EES11_EEDaSW_SX_EUlSW_E_NS1_11comp_targetILNS1_3genE2ELNS1_11target_archE906ELNS1_3gpuE6ELNS1_3repE0EEENS1_30default_config_static_selectorELNS0_4arch9wavefront6targetE1EEEvT1_,comdat
	.protected	_ZN7rocprim17ROCPRIM_400000_NS6detail17trampoline_kernelINS0_14default_configENS1_27scan_by_key_config_selectorIitEEZZNS1_16scan_by_key_implILNS1_25lookback_scan_determinismE0ELb0ES3_N6thrust23THRUST_200600_302600_NS6detail15normal_iteratorINS9_10device_ptrIiEEEENSB_INSC_ItEEEESG_tNS9_4plusIvEENS9_8equal_toIvEEtEE10hipError_tPvRmT2_T3_T4_T5_mT6_T7_P12ihipStream_tbENKUlT_T0_E_clISt17integral_constantIbLb0EES11_EEDaSW_SX_EUlSW_E_NS1_11comp_targetILNS1_3genE2ELNS1_11target_archE906ELNS1_3gpuE6ELNS1_3repE0EEENS1_30default_config_static_selectorELNS0_4arch9wavefront6targetE1EEEvT1_ ; -- Begin function _ZN7rocprim17ROCPRIM_400000_NS6detail17trampoline_kernelINS0_14default_configENS1_27scan_by_key_config_selectorIitEEZZNS1_16scan_by_key_implILNS1_25lookback_scan_determinismE0ELb0ES3_N6thrust23THRUST_200600_302600_NS6detail15normal_iteratorINS9_10device_ptrIiEEEENSB_INSC_ItEEEESG_tNS9_4plusIvEENS9_8equal_toIvEEtEE10hipError_tPvRmT2_T3_T4_T5_mT6_T7_P12ihipStream_tbENKUlT_T0_E_clISt17integral_constantIbLb0EES11_EEDaSW_SX_EUlSW_E_NS1_11comp_targetILNS1_3genE2ELNS1_11target_archE906ELNS1_3gpuE6ELNS1_3repE0EEENS1_30default_config_static_selectorELNS0_4arch9wavefront6targetE1EEEvT1_
	.globl	_ZN7rocprim17ROCPRIM_400000_NS6detail17trampoline_kernelINS0_14default_configENS1_27scan_by_key_config_selectorIitEEZZNS1_16scan_by_key_implILNS1_25lookback_scan_determinismE0ELb0ES3_N6thrust23THRUST_200600_302600_NS6detail15normal_iteratorINS9_10device_ptrIiEEEENSB_INSC_ItEEEESG_tNS9_4plusIvEENS9_8equal_toIvEEtEE10hipError_tPvRmT2_T3_T4_T5_mT6_T7_P12ihipStream_tbENKUlT_T0_E_clISt17integral_constantIbLb0EES11_EEDaSW_SX_EUlSW_E_NS1_11comp_targetILNS1_3genE2ELNS1_11target_archE906ELNS1_3gpuE6ELNS1_3repE0EEENS1_30default_config_static_selectorELNS0_4arch9wavefront6targetE1EEEvT1_
	.p2align	8
	.type	_ZN7rocprim17ROCPRIM_400000_NS6detail17trampoline_kernelINS0_14default_configENS1_27scan_by_key_config_selectorIitEEZZNS1_16scan_by_key_implILNS1_25lookback_scan_determinismE0ELb0ES3_N6thrust23THRUST_200600_302600_NS6detail15normal_iteratorINS9_10device_ptrIiEEEENSB_INSC_ItEEEESG_tNS9_4plusIvEENS9_8equal_toIvEEtEE10hipError_tPvRmT2_T3_T4_T5_mT6_T7_P12ihipStream_tbENKUlT_T0_E_clISt17integral_constantIbLb0EES11_EEDaSW_SX_EUlSW_E_NS1_11comp_targetILNS1_3genE2ELNS1_11target_archE906ELNS1_3gpuE6ELNS1_3repE0EEENS1_30default_config_static_selectorELNS0_4arch9wavefront6targetE1EEEvT1_,@function
_ZN7rocprim17ROCPRIM_400000_NS6detail17trampoline_kernelINS0_14default_configENS1_27scan_by_key_config_selectorIitEEZZNS1_16scan_by_key_implILNS1_25lookback_scan_determinismE0ELb0ES3_N6thrust23THRUST_200600_302600_NS6detail15normal_iteratorINS9_10device_ptrIiEEEENSB_INSC_ItEEEESG_tNS9_4plusIvEENS9_8equal_toIvEEtEE10hipError_tPvRmT2_T3_T4_T5_mT6_T7_P12ihipStream_tbENKUlT_T0_E_clISt17integral_constantIbLb0EES11_EEDaSW_SX_EUlSW_E_NS1_11comp_targetILNS1_3genE2ELNS1_11target_archE906ELNS1_3gpuE6ELNS1_3repE0EEENS1_30default_config_static_selectorELNS0_4arch9wavefront6targetE1EEEvT1_: ; @_ZN7rocprim17ROCPRIM_400000_NS6detail17trampoline_kernelINS0_14default_configENS1_27scan_by_key_config_selectorIitEEZZNS1_16scan_by_key_implILNS1_25lookback_scan_determinismE0ELb0ES3_N6thrust23THRUST_200600_302600_NS6detail15normal_iteratorINS9_10device_ptrIiEEEENSB_INSC_ItEEEESG_tNS9_4plusIvEENS9_8equal_toIvEEtEE10hipError_tPvRmT2_T3_T4_T5_mT6_T7_P12ihipStream_tbENKUlT_T0_E_clISt17integral_constantIbLb0EES11_EEDaSW_SX_EUlSW_E_NS1_11comp_targetILNS1_3genE2ELNS1_11target_archE906ELNS1_3gpuE6ELNS1_3repE0EEENS1_30default_config_static_selectorELNS0_4arch9wavefront6targetE1EEEvT1_
; %bb.0:
	.section	.rodata,"a",@progbits
	.p2align	6, 0x0
	.amdhsa_kernel _ZN7rocprim17ROCPRIM_400000_NS6detail17trampoline_kernelINS0_14default_configENS1_27scan_by_key_config_selectorIitEEZZNS1_16scan_by_key_implILNS1_25lookback_scan_determinismE0ELb0ES3_N6thrust23THRUST_200600_302600_NS6detail15normal_iteratorINS9_10device_ptrIiEEEENSB_INSC_ItEEEESG_tNS9_4plusIvEENS9_8equal_toIvEEtEE10hipError_tPvRmT2_T3_T4_T5_mT6_T7_P12ihipStream_tbENKUlT_T0_E_clISt17integral_constantIbLb0EES11_EEDaSW_SX_EUlSW_E_NS1_11comp_targetILNS1_3genE2ELNS1_11target_archE906ELNS1_3gpuE6ELNS1_3repE0EEENS1_30default_config_static_selectorELNS0_4arch9wavefront6targetE1EEEvT1_
		.amdhsa_group_segment_fixed_size 0
		.amdhsa_private_segment_fixed_size 0
		.amdhsa_kernarg_size 112
		.amdhsa_user_sgpr_count 2
		.amdhsa_user_sgpr_dispatch_ptr 0
		.amdhsa_user_sgpr_queue_ptr 0
		.amdhsa_user_sgpr_kernarg_segment_ptr 1
		.amdhsa_user_sgpr_dispatch_id 0
		.amdhsa_user_sgpr_kernarg_preload_length 0
		.amdhsa_user_sgpr_kernarg_preload_offset 0
		.amdhsa_user_sgpr_private_segment_size 0
		.amdhsa_uses_dynamic_stack 0
		.amdhsa_enable_private_segment 0
		.amdhsa_system_sgpr_workgroup_id_x 1
		.amdhsa_system_sgpr_workgroup_id_y 0
		.amdhsa_system_sgpr_workgroup_id_z 0
		.amdhsa_system_sgpr_workgroup_info 0
		.amdhsa_system_vgpr_workitem_id 0
		.amdhsa_next_free_vgpr 1
		.amdhsa_next_free_sgpr 0
		.amdhsa_accum_offset 4
		.amdhsa_reserve_vcc 0
		.amdhsa_float_round_mode_32 0
		.amdhsa_float_round_mode_16_64 0
		.amdhsa_float_denorm_mode_32 3
		.amdhsa_float_denorm_mode_16_64 3
		.amdhsa_dx10_clamp 1
		.amdhsa_ieee_mode 1
		.amdhsa_fp16_overflow 0
		.amdhsa_tg_split 0
		.amdhsa_exception_fp_ieee_invalid_op 0
		.amdhsa_exception_fp_denorm_src 0
		.amdhsa_exception_fp_ieee_div_zero 0
		.amdhsa_exception_fp_ieee_overflow 0
		.amdhsa_exception_fp_ieee_underflow 0
		.amdhsa_exception_fp_ieee_inexact 0
		.amdhsa_exception_int_div_zero 0
	.end_amdhsa_kernel
	.section	.text._ZN7rocprim17ROCPRIM_400000_NS6detail17trampoline_kernelINS0_14default_configENS1_27scan_by_key_config_selectorIitEEZZNS1_16scan_by_key_implILNS1_25lookback_scan_determinismE0ELb0ES3_N6thrust23THRUST_200600_302600_NS6detail15normal_iteratorINS9_10device_ptrIiEEEENSB_INSC_ItEEEESG_tNS9_4plusIvEENS9_8equal_toIvEEtEE10hipError_tPvRmT2_T3_T4_T5_mT6_T7_P12ihipStream_tbENKUlT_T0_E_clISt17integral_constantIbLb0EES11_EEDaSW_SX_EUlSW_E_NS1_11comp_targetILNS1_3genE2ELNS1_11target_archE906ELNS1_3gpuE6ELNS1_3repE0EEENS1_30default_config_static_selectorELNS0_4arch9wavefront6targetE1EEEvT1_,"axG",@progbits,_ZN7rocprim17ROCPRIM_400000_NS6detail17trampoline_kernelINS0_14default_configENS1_27scan_by_key_config_selectorIitEEZZNS1_16scan_by_key_implILNS1_25lookback_scan_determinismE0ELb0ES3_N6thrust23THRUST_200600_302600_NS6detail15normal_iteratorINS9_10device_ptrIiEEEENSB_INSC_ItEEEESG_tNS9_4plusIvEENS9_8equal_toIvEEtEE10hipError_tPvRmT2_T3_T4_T5_mT6_T7_P12ihipStream_tbENKUlT_T0_E_clISt17integral_constantIbLb0EES11_EEDaSW_SX_EUlSW_E_NS1_11comp_targetILNS1_3genE2ELNS1_11target_archE906ELNS1_3gpuE6ELNS1_3repE0EEENS1_30default_config_static_selectorELNS0_4arch9wavefront6targetE1EEEvT1_,comdat
.Lfunc_end1272:
	.size	_ZN7rocprim17ROCPRIM_400000_NS6detail17trampoline_kernelINS0_14default_configENS1_27scan_by_key_config_selectorIitEEZZNS1_16scan_by_key_implILNS1_25lookback_scan_determinismE0ELb0ES3_N6thrust23THRUST_200600_302600_NS6detail15normal_iteratorINS9_10device_ptrIiEEEENSB_INSC_ItEEEESG_tNS9_4plusIvEENS9_8equal_toIvEEtEE10hipError_tPvRmT2_T3_T4_T5_mT6_T7_P12ihipStream_tbENKUlT_T0_E_clISt17integral_constantIbLb0EES11_EEDaSW_SX_EUlSW_E_NS1_11comp_targetILNS1_3genE2ELNS1_11target_archE906ELNS1_3gpuE6ELNS1_3repE0EEENS1_30default_config_static_selectorELNS0_4arch9wavefront6targetE1EEEvT1_, .Lfunc_end1272-_ZN7rocprim17ROCPRIM_400000_NS6detail17trampoline_kernelINS0_14default_configENS1_27scan_by_key_config_selectorIitEEZZNS1_16scan_by_key_implILNS1_25lookback_scan_determinismE0ELb0ES3_N6thrust23THRUST_200600_302600_NS6detail15normal_iteratorINS9_10device_ptrIiEEEENSB_INSC_ItEEEESG_tNS9_4plusIvEENS9_8equal_toIvEEtEE10hipError_tPvRmT2_T3_T4_T5_mT6_T7_P12ihipStream_tbENKUlT_T0_E_clISt17integral_constantIbLb0EES11_EEDaSW_SX_EUlSW_E_NS1_11comp_targetILNS1_3genE2ELNS1_11target_archE906ELNS1_3gpuE6ELNS1_3repE0EEENS1_30default_config_static_selectorELNS0_4arch9wavefront6targetE1EEEvT1_
                                        ; -- End function
	.section	.AMDGPU.csdata,"",@progbits
; Kernel info:
; codeLenInByte = 0
; NumSgprs: 6
; NumVgprs: 0
; NumAgprs: 0
; TotalNumVgprs: 0
; ScratchSize: 0
; MemoryBound: 0
; FloatMode: 240
; IeeeMode: 1
; LDSByteSize: 0 bytes/workgroup (compile time only)
; SGPRBlocks: 0
; VGPRBlocks: 0
; NumSGPRsForWavesPerEU: 6
; NumVGPRsForWavesPerEU: 1
; AccumOffset: 4
; Occupancy: 8
; WaveLimiterHint : 0
; COMPUTE_PGM_RSRC2:SCRATCH_EN: 0
; COMPUTE_PGM_RSRC2:USER_SGPR: 2
; COMPUTE_PGM_RSRC2:TRAP_HANDLER: 0
; COMPUTE_PGM_RSRC2:TGID_X_EN: 1
; COMPUTE_PGM_RSRC2:TGID_Y_EN: 0
; COMPUTE_PGM_RSRC2:TGID_Z_EN: 0
; COMPUTE_PGM_RSRC2:TIDIG_COMP_CNT: 0
; COMPUTE_PGM_RSRC3_GFX90A:ACCUM_OFFSET: 0
; COMPUTE_PGM_RSRC3_GFX90A:TG_SPLIT: 0
	.section	.text._ZN7rocprim17ROCPRIM_400000_NS6detail17trampoline_kernelINS0_14default_configENS1_27scan_by_key_config_selectorIitEEZZNS1_16scan_by_key_implILNS1_25lookback_scan_determinismE0ELb0ES3_N6thrust23THRUST_200600_302600_NS6detail15normal_iteratorINS9_10device_ptrIiEEEENSB_INSC_ItEEEESG_tNS9_4plusIvEENS9_8equal_toIvEEtEE10hipError_tPvRmT2_T3_T4_T5_mT6_T7_P12ihipStream_tbENKUlT_T0_E_clISt17integral_constantIbLb0EES11_EEDaSW_SX_EUlSW_E_NS1_11comp_targetILNS1_3genE10ELNS1_11target_archE1200ELNS1_3gpuE4ELNS1_3repE0EEENS1_30default_config_static_selectorELNS0_4arch9wavefront6targetE1EEEvT1_,"axG",@progbits,_ZN7rocprim17ROCPRIM_400000_NS6detail17trampoline_kernelINS0_14default_configENS1_27scan_by_key_config_selectorIitEEZZNS1_16scan_by_key_implILNS1_25lookback_scan_determinismE0ELb0ES3_N6thrust23THRUST_200600_302600_NS6detail15normal_iteratorINS9_10device_ptrIiEEEENSB_INSC_ItEEEESG_tNS9_4plusIvEENS9_8equal_toIvEEtEE10hipError_tPvRmT2_T3_T4_T5_mT6_T7_P12ihipStream_tbENKUlT_T0_E_clISt17integral_constantIbLb0EES11_EEDaSW_SX_EUlSW_E_NS1_11comp_targetILNS1_3genE10ELNS1_11target_archE1200ELNS1_3gpuE4ELNS1_3repE0EEENS1_30default_config_static_selectorELNS0_4arch9wavefront6targetE1EEEvT1_,comdat
	.protected	_ZN7rocprim17ROCPRIM_400000_NS6detail17trampoline_kernelINS0_14default_configENS1_27scan_by_key_config_selectorIitEEZZNS1_16scan_by_key_implILNS1_25lookback_scan_determinismE0ELb0ES3_N6thrust23THRUST_200600_302600_NS6detail15normal_iteratorINS9_10device_ptrIiEEEENSB_INSC_ItEEEESG_tNS9_4plusIvEENS9_8equal_toIvEEtEE10hipError_tPvRmT2_T3_T4_T5_mT6_T7_P12ihipStream_tbENKUlT_T0_E_clISt17integral_constantIbLb0EES11_EEDaSW_SX_EUlSW_E_NS1_11comp_targetILNS1_3genE10ELNS1_11target_archE1200ELNS1_3gpuE4ELNS1_3repE0EEENS1_30default_config_static_selectorELNS0_4arch9wavefront6targetE1EEEvT1_ ; -- Begin function _ZN7rocprim17ROCPRIM_400000_NS6detail17trampoline_kernelINS0_14default_configENS1_27scan_by_key_config_selectorIitEEZZNS1_16scan_by_key_implILNS1_25lookback_scan_determinismE0ELb0ES3_N6thrust23THRUST_200600_302600_NS6detail15normal_iteratorINS9_10device_ptrIiEEEENSB_INSC_ItEEEESG_tNS9_4plusIvEENS9_8equal_toIvEEtEE10hipError_tPvRmT2_T3_T4_T5_mT6_T7_P12ihipStream_tbENKUlT_T0_E_clISt17integral_constantIbLb0EES11_EEDaSW_SX_EUlSW_E_NS1_11comp_targetILNS1_3genE10ELNS1_11target_archE1200ELNS1_3gpuE4ELNS1_3repE0EEENS1_30default_config_static_selectorELNS0_4arch9wavefront6targetE1EEEvT1_
	.globl	_ZN7rocprim17ROCPRIM_400000_NS6detail17trampoline_kernelINS0_14default_configENS1_27scan_by_key_config_selectorIitEEZZNS1_16scan_by_key_implILNS1_25lookback_scan_determinismE0ELb0ES3_N6thrust23THRUST_200600_302600_NS6detail15normal_iteratorINS9_10device_ptrIiEEEENSB_INSC_ItEEEESG_tNS9_4plusIvEENS9_8equal_toIvEEtEE10hipError_tPvRmT2_T3_T4_T5_mT6_T7_P12ihipStream_tbENKUlT_T0_E_clISt17integral_constantIbLb0EES11_EEDaSW_SX_EUlSW_E_NS1_11comp_targetILNS1_3genE10ELNS1_11target_archE1200ELNS1_3gpuE4ELNS1_3repE0EEENS1_30default_config_static_selectorELNS0_4arch9wavefront6targetE1EEEvT1_
	.p2align	8
	.type	_ZN7rocprim17ROCPRIM_400000_NS6detail17trampoline_kernelINS0_14default_configENS1_27scan_by_key_config_selectorIitEEZZNS1_16scan_by_key_implILNS1_25lookback_scan_determinismE0ELb0ES3_N6thrust23THRUST_200600_302600_NS6detail15normal_iteratorINS9_10device_ptrIiEEEENSB_INSC_ItEEEESG_tNS9_4plusIvEENS9_8equal_toIvEEtEE10hipError_tPvRmT2_T3_T4_T5_mT6_T7_P12ihipStream_tbENKUlT_T0_E_clISt17integral_constantIbLb0EES11_EEDaSW_SX_EUlSW_E_NS1_11comp_targetILNS1_3genE10ELNS1_11target_archE1200ELNS1_3gpuE4ELNS1_3repE0EEENS1_30default_config_static_selectorELNS0_4arch9wavefront6targetE1EEEvT1_,@function
_ZN7rocprim17ROCPRIM_400000_NS6detail17trampoline_kernelINS0_14default_configENS1_27scan_by_key_config_selectorIitEEZZNS1_16scan_by_key_implILNS1_25lookback_scan_determinismE0ELb0ES3_N6thrust23THRUST_200600_302600_NS6detail15normal_iteratorINS9_10device_ptrIiEEEENSB_INSC_ItEEEESG_tNS9_4plusIvEENS9_8equal_toIvEEtEE10hipError_tPvRmT2_T3_T4_T5_mT6_T7_P12ihipStream_tbENKUlT_T0_E_clISt17integral_constantIbLb0EES11_EEDaSW_SX_EUlSW_E_NS1_11comp_targetILNS1_3genE10ELNS1_11target_archE1200ELNS1_3gpuE4ELNS1_3repE0EEENS1_30default_config_static_selectorELNS0_4arch9wavefront6targetE1EEEvT1_: ; @_ZN7rocprim17ROCPRIM_400000_NS6detail17trampoline_kernelINS0_14default_configENS1_27scan_by_key_config_selectorIitEEZZNS1_16scan_by_key_implILNS1_25lookback_scan_determinismE0ELb0ES3_N6thrust23THRUST_200600_302600_NS6detail15normal_iteratorINS9_10device_ptrIiEEEENSB_INSC_ItEEEESG_tNS9_4plusIvEENS9_8equal_toIvEEtEE10hipError_tPvRmT2_T3_T4_T5_mT6_T7_P12ihipStream_tbENKUlT_T0_E_clISt17integral_constantIbLb0EES11_EEDaSW_SX_EUlSW_E_NS1_11comp_targetILNS1_3genE10ELNS1_11target_archE1200ELNS1_3gpuE4ELNS1_3repE0EEENS1_30default_config_static_selectorELNS0_4arch9wavefront6targetE1EEEvT1_
; %bb.0:
	.section	.rodata,"a",@progbits
	.p2align	6, 0x0
	.amdhsa_kernel _ZN7rocprim17ROCPRIM_400000_NS6detail17trampoline_kernelINS0_14default_configENS1_27scan_by_key_config_selectorIitEEZZNS1_16scan_by_key_implILNS1_25lookback_scan_determinismE0ELb0ES3_N6thrust23THRUST_200600_302600_NS6detail15normal_iteratorINS9_10device_ptrIiEEEENSB_INSC_ItEEEESG_tNS9_4plusIvEENS9_8equal_toIvEEtEE10hipError_tPvRmT2_T3_T4_T5_mT6_T7_P12ihipStream_tbENKUlT_T0_E_clISt17integral_constantIbLb0EES11_EEDaSW_SX_EUlSW_E_NS1_11comp_targetILNS1_3genE10ELNS1_11target_archE1200ELNS1_3gpuE4ELNS1_3repE0EEENS1_30default_config_static_selectorELNS0_4arch9wavefront6targetE1EEEvT1_
		.amdhsa_group_segment_fixed_size 0
		.amdhsa_private_segment_fixed_size 0
		.amdhsa_kernarg_size 112
		.amdhsa_user_sgpr_count 2
		.amdhsa_user_sgpr_dispatch_ptr 0
		.amdhsa_user_sgpr_queue_ptr 0
		.amdhsa_user_sgpr_kernarg_segment_ptr 1
		.amdhsa_user_sgpr_dispatch_id 0
		.amdhsa_user_sgpr_kernarg_preload_length 0
		.amdhsa_user_sgpr_kernarg_preload_offset 0
		.amdhsa_user_sgpr_private_segment_size 0
		.amdhsa_uses_dynamic_stack 0
		.amdhsa_enable_private_segment 0
		.amdhsa_system_sgpr_workgroup_id_x 1
		.amdhsa_system_sgpr_workgroup_id_y 0
		.amdhsa_system_sgpr_workgroup_id_z 0
		.amdhsa_system_sgpr_workgroup_info 0
		.amdhsa_system_vgpr_workitem_id 0
		.amdhsa_next_free_vgpr 1
		.amdhsa_next_free_sgpr 0
		.amdhsa_accum_offset 4
		.amdhsa_reserve_vcc 0
		.amdhsa_float_round_mode_32 0
		.amdhsa_float_round_mode_16_64 0
		.amdhsa_float_denorm_mode_32 3
		.amdhsa_float_denorm_mode_16_64 3
		.amdhsa_dx10_clamp 1
		.amdhsa_ieee_mode 1
		.amdhsa_fp16_overflow 0
		.amdhsa_tg_split 0
		.amdhsa_exception_fp_ieee_invalid_op 0
		.amdhsa_exception_fp_denorm_src 0
		.amdhsa_exception_fp_ieee_div_zero 0
		.amdhsa_exception_fp_ieee_overflow 0
		.amdhsa_exception_fp_ieee_underflow 0
		.amdhsa_exception_fp_ieee_inexact 0
		.amdhsa_exception_int_div_zero 0
	.end_amdhsa_kernel
	.section	.text._ZN7rocprim17ROCPRIM_400000_NS6detail17trampoline_kernelINS0_14default_configENS1_27scan_by_key_config_selectorIitEEZZNS1_16scan_by_key_implILNS1_25lookback_scan_determinismE0ELb0ES3_N6thrust23THRUST_200600_302600_NS6detail15normal_iteratorINS9_10device_ptrIiEEEENSB_INSC_ItEEEESG_tNS9_4plusIvEENS9_8equal_toIvEEtEE10hipError_tPvRmT2_T3_T4_T5_mT6_T7_P12ihipStream_tbENKUlT_T0_E_clISt17integral_constantIbLb0EES11_EEDaSW_SX_EUlSW_E_NS1_11comp_targetILNS1_3genE10ELNS1_11target_archE1200ELNS1_3gpuE4ELNS1_3repE0EEENS1_30default_config_static_selectorELNS0_4arch9wavefront6targetE1EEEvT1_,"axG",@progbits,_ZN7rocprim17ROCPRIM_400000_NS6detail17trampoline_kernelINS0_14default_configENS1_27scan_by_key_config_selectorIitEEZZNS1_16scan_by_key_implILNS1_25lookback_scan_determinismE0ELb0ES3_N6thrust23THRUST_200600_302600_NS6detail15normal_iteratorINS9_10device_ptrIiEEEENSB_INSC_ItEEEESG_tNS9_4plusIvEENS9_8equal_toIvEEtEE10hipError_tPvRmT2_T3_T4_T5_mT6_T7_P12ihipStream_tbENKUlT_T0_E_clISt17integral_constantIbLb0EES11_EEDaSW_SX_EUlSW_E_NS1_11comp_targetILNS1_3genE10ELNS1_11target_archE1200ELNS1_3gpuE4ELNS1_3repE0EEENS1_30default_config_static_selectorELNS0_4arch9wavefront6targetE1EEEvT1_,comdat
.Lfunc_end1273:
	.size	_ZN7rocprim17ROCPRIM_400000_NS6detail17trampoline_kernelINS0_14default_configENS1_27scan_by_key_config_selectorIitEEZZNS1_16scan_by_key_implILNS1_25lookback_scan_determinismE0ELb0ES3_N6thrust23THRUST_200600_302600_NS6detail15normal_iteratorINS9_10device_ptrIiEEEENSB_INSC_ItEEEESG_tNS9_4plusIvEENS9_8equal_toIvEEtEE10hipError_tPvRmT2_T3_T4_T5_mT6_T7_P12ihipStream_tbENKUlT_T0_E_clISt17integral_constantIbLb0EES11_EEDaSW_SX_EUlSW_E_NS1_11comp_targetILNS1_3genE10ELNS1_11target_archE1200ELNS1_3gpuE4ELNS1_3repE0EEENS1_30default_config_static_selectorELNS0_4arch9wavefront6targetE1EEEvT1_, .Lfunc_end1273-_ZN7rocprim17ROCPRIM_400000_NS6detail17trampoline_kernelINS0_14default_configENS1_27scan_by_key_config_selectorIitEEZZNS1_16scan_by_key_implILNS1_25lookback_scan_determinismE0ELb0ES3_N6thrust23THRUST_200600_302600_NS6detail15normal_iteratorINS9_10device_ptrIiEEEENSB_INSC_ItEEEESG_tNS9_4plusIvEENS9_8equal_toIvEEtEE10hipError_tPvRmT2_T3_T4_T5_mT6_T7_P12ihipStream_tbENKUlT_T0_E_clISt17integral_constantIbLb0EES11_EEDaSW_SX_EUlSW_E_NS1_11comp_targetILNS1_3genE10ELNS1_11target_archE1200ELNS1_3gpuE4ELNS1_3repE0EEENS1_30default_config_static_selectorELNS0_4arch9wavefront6targetE1EEEvT1_
                                        ; -- End function
	.section	.AMDGPU.csdata,"",@progbits
; Kernel info:
; codeLenInByte = 0
; NumSgprs: 6
; NumVgprs: 0
; NumAgprs: 0
; TotalNumVgprs: 0
; ScratchSize: 0
; MemoryBound: 0
; FloatMode: 240
; IeeeMode: 1
; LDSByteSize: 0 bytes/workgroup (compile time only)
; SGPRBlocks: 0
; VGPRBlocks: 0
; NumSGPRsForWavesPerEU: 6
; NumVGPRsForWavesPerEU: 1
; AccumOffset: 4
; Occupancy: 8
; WaveLimiterHint : 0
; COMPUTE_PGM_RSRC2:SCRATCH_EN: 0
; COMPUTE_PGM_RSRC2:USER_SGPR: 2
; COMPUTE_PGM_RSRC2:TRAP_HANDLER: 0
; COMPUTE_PGM_RSRC2:TGID_X_EN: 1
; COMPUTE_PGM_RSRC2:TGID_Y_EN: 0
; COMPUTE_PGM_RSRC2:TGID_Z_EN: 0
; COMPUTE_PGM_RSRC2:TIDIG_COMP_CNT: 0
; COMPUTE_PGM_RSRC3_GFX90A:ACCUM_OFFSET: 0
; COMPUTE_PGM_RSRC3_GFX90A:TG_SPLIT: 0
	.section	.text._ZN7rocprim17ROCPRIM_400000_NS6detail17trampoline_kernelINS0_14default_configENS1_27scan_by_key_config_selectorIitEEZZNS1_16scan_by_key_implILNS1_25lookback_scan_determinismE0ELb0ES3_N6thrust23THRUST_200600_302600_NS6detail15normal_iteratorINS9_10device_ptrIiEEEENSB_INSC_ItEEEESG_tNS9_4plusIvEENS9_8equal_toIvEEtEE10hipError_tPvRmT2_T3_T4_T5_mT6_T7_P12ihipStream_tbENKUlT_T0_E_clISt17integral_constantIbLb0EES11_EEDaSW_SX_EUlSW_E_NS1_11comp_targetILNS1_3genE9ELNS1_11target_archE1100ELNS1_3gpuE3ELNS1_3repE0EEENS1_30default_config_static_selectorELNS0_4arch9wavefront6targetE1EEEvT1_,"axG",@progbits,_ZN7rocprim17ROCPRIM_400000_NS6detail17trampoline_kernelINS0_14default_configENS1_27scan_by_key_config_selectorIitEEZZNS1_16scan_by_key_implILNS1_25lookback_scan_determinismE0ELb0ES3_N6thrust23THRUST_200600_302600_NS6detail15normal_iteratorINS9_10device_ptrIiEEEENSB_INSC_ItEEEESG_tNS9_4plusIvEENS9_8equal_toIvEEtEE10hipError_tPvRmT2_T3_T4_T5_mT6_T7_P12ihipStream_tbENKUlT_T0_E_clISt17integral_constantIbLb0EES11_EEDaSW_SX_EUlSW_E_NS1_11comp_targetILNS1_3genE9ELNS1_11target_archE1100ELNS1_3gpuE3ELNS1_3repE0EEENS1_30default_config_static_selectorELNS0_4arch9wavefront6targetE1EEEvT1_,comdat
	.protected	_ZN7rocprim17ROCPRIM_400000_NS6detail17trampoline_kernelINS0_14default_configENS1_27scan_by_key_config_selectorIitEEZZNS1_16scan_by_key_implILNS1_25lookback_scan_determinismE0ELb0ES3_N6thrust23THRUST_200600_302600_NS6detail15normal_iteratorINS9_10device_ptrIiEEEENSB_INSC_ItEEEESG_tNS9_4plusIvEENS9_8equal_toIvEEtEE10hipError_tPvRmT2_T3_T4_T5_mT6_T7_P12ihipStream_tbENKUlT_T0_E_clISt17integral_constantIbLb0EES11_EEDaSW_SX_EUlSW_E_NS1_11comp_targetILNS1_3genE9ELNS1_11target_archE1100ELNS1_3gpuE3ELNS1_3repE0EEENS1_30default_config_static_selectorELNS0_4arch9wavefront6targetE1EEEvT1_ ; -- Begin function _ZN7rocprim17ROCPRIM_400000_NS6detail17trampoline_kernelINS0_14default_configENS1_27scan_by_key_config_selectorIitEEZZNS1_16scan_by_key_implILNS1_25lookback_scan_determinismE0ELb0ES3_N6thrust23THRUST_200600_302600_NS6detail15normal_iteratorINS9_10device_ptrIiEEEENSB_INSC_ItEEEESG_tNS9_4plusIvEENS9_8equal_toIvEEtEE10hipError_tPvRmT2_T3_T4_T5_mT6_T7_P12ihipStream_tbENKUlT_T0_E_clISt17integral_constantIbLb0EES11_EEDaSW_SX_EUlSW_E_NS1_11comp_targetILNS1_3genE9ELNS1_11target_archE1100ELNS1_3gpuE3ELNS1_3repE0EEENS1_30default_config_static_selectorELNS0_4arch9wavefront6targetE1EEEvT1_
	.globl	_ZN7rocprim17ROCPRIM_400000_NS6detail17trampoline_kernelINS0_14default_configENS1_27scan_by_key_config_selectorIitEEZZNS1_16scan_by_key_implILNS1_25lookback_scan_determinismE0ELb0ES3_N6thrust23THRUST_200600_302600_NS6detail15normal_iteratorINS9_10device_ptrIiEEEENSB_INSC_ItEEEESG_tNS9_4plusIvEENS9_8equal_toIvEEtEE10hipError_tPvRmT2_T3_T4_T5_mT6_T7_P12ihipStream_tbENKUlT_T0_E_clISt17integral_constantIbLb0EES11_EEDaSW_SX_EUlSW_E_NS1_11comp_targetILNS1_3genE9ELNS1_11target_archE1100ELNS1_3gpuE3ELNS1_3repE0EEENS1_30default_config_static_selectorELNS0_4arch9wavefront6targetE1EEEvT1_
	.p2align	8
	.type	_ZN7rocprim17ROCPRIM_400000_NS6detail17trampoline_kernelINS0_14default_configENS1_27scan_by_key_config_selectorIitEEZZNS1_16scan_by_key_implILNS1_25lookback_scan_determinismE0ELb0ES3_N6thrust23THRUST_200600_302600_NS6detail15normal_iteratorINS9_10device_ptrIiEEEENSB_INSC_ItEEEESG_tNS9_4plusIvEENS9_8equal_toIvEEtEE10hipError_tPvRmT2_T3_T4_T5_mT6_T7_P12ihipStream_tbENKUlT_T0_E_clISt17integral_constantIbLb0EES11_EEDaSW_SX_EUlSW_E_NS1_11comp_targetILNS1_3genE9ELNS1_11target_archE1100ELNS1_3gpuE3ELNS1_3repE0EEENS1_30default_config_static_selectorELNS0_4arch9wavefront6targetE1EEEvT1_,@function
_ZN7rocprim17ROCPRIM_400000_NS6detail17trampoline_kernelINS0_14default_configENS1_27scan_by_key_config_selectorIitEEZZNS1_16scan_by_key_implILNS1_25lookback_scan_determinismE0ELb0ES3_N6thrust23THRUST_200600_302600_NS6detail15normal_iteratorINS9_10device_ptrIiEEEENSB_INSC_ItEEEESG_tNS9_4plusIvEENS9_8equal_toIvEEtEE10hipError_tPvRmT2_T3_T4_T5_mT6_T7_P12ihipStream_tbENKUlT_T0_E_clISt17integral_constantIbLb0EES11_EEDaSW_SX_EUlSW_E_NS1_11comp_targetILNS1_3genE9ELNS1_11target_archE1100ELNS1_3gpuE3ELNS1_3repE0EEENS1_30default_config_static_selectorELNS0_4arch9wavefront6targetE1EEEvT1_: ; @_ZN7rocprim17ROCPRIM_400000_NS6detail17trampoline_kernelINS0_14default_configENS1_27scan_by_key_config_selectorIitEEZZNS1_16scan_by_key_implILNS1_25lookback_scan_determinismE0ELb0ES3_N6thrust23THRUST_200600_302600_NS6detail15normal_iteratorINS9_10device_ptrIiEEEENSB_INSC_ItEEEESG_tNS9_4plusIvEENS9_8equal_toIvEEtEE10hipError_tPvRmT2_T3_T4_T5_mT6_T7_P12ihipStream_tbENKUlT_T0_E_clISt17integral_constantIbLb0EES11_EEDaSW_SX_EUlSW_E_NS1_11comp_targetILNS1_3genE9ELNS1_11target_archE1100ELNS1_3gpuE3ELNS1_3repE0EEENS1_30default_config_static_selectorELNS0_4arch9wavefront6targetE1EEEvT1_
; %bb.0:
	.section	.rodata,"a",@progbits
	.p2align	6, 0x0
	.amdhsa_kernel _ZN7rocprim17ROCPRIM_400000_NS6detail17trampoline_kernelINS0_14default_configENS1_27scan_by_key_config_selectorIitEEZZNS1_16scan_by_key_implILNS1_25lookback_scan_determinismE0ELb0ES3_N6thrust23THRUST_200600_302600_NS6detail15normal_iteratorINS9_10device_ptrIiEEEENSB_INSC_ItEEEESG_tNS9_4plusIvEENS9_8equal_toIvEEtEE10hipError_tPvRmT2_T3_T4_T5_mT6_T7_P12ihipStream_tbENKUlT_T0_E_clISt17integral_constantIbLb0EES11_EEDaSW_SX_EUlSW_E_NS1_11comp_targetILNS1_3genE9ELNS1_11target_archE1100ELNS1_3gpuE3ELNS1_3repE0EEENS1_30default_config_static_selectorELNS0_4arch9wavefront6targetE1EEEvT1_
		.amdhsa_group_segment_fixed_size 0
		.amdhsa_private_segment_fixed_size 0
		.amdhsa_kernarg_size 112
		.amdhsa_user_sgpr_count 2
		.amdhsa_user_sgpr_dispatch_ptr 0
		.amdhsa_user_sgpr_queue_ptr 0
		.amdhsa_user_sgpr_kernarg_segment_ptr 1
		.amdhsa_user_sgpr_dispatch_id 0
		.amdhsa_user_sgpr_kernarg_preload_length 0
		.amdhsa_user_sgpr_kernarg_preload_offset 0
		.amdhsa_user_sgpr_private_segment_size 0
		.amdhsa_uses_dynamic_stack 0
		.amdhsa_enable_private_segment 0
		.amdhsa_system_sgpr_workgroup_id_x 1
		.amdhsa_system_sgpr_workgroup_id_y 0
		.amdhsa_system_sgpr_workgroup_id_z 0
		.amdhsa_system_sgpr_workgroup_info 0
		.amdhsa_system_vgpr_workitem_id 0
		.amdhsa_next_free_vgpr 1
		.amdhsa_next_free_sgpr 0
		.amdhsa_accum_offset 4
		.amdhsa_reserve_vcc 0
		.amdhsa_float_round_mode_32 0
		.amdhsa_float_round_mode_16_64 0
		.amdhsa_float_denorm_mode_32 3
		.amdhsa_float_denorm_mode_16_64 3
		.amdhsa_dx10_clamp 1
		.amdhsa_ieee_mode 1
		.amdhsa_fp16_overflow 0
		.amdhsa_tg_split 0
		.amdhsa_exception_fp_ieee_invalid_op 0
		.amdhsa_exception_fp_denorm_src 0
		.amdhsa_exception_fp_ieee_div_zero 0
		.amdhsa_exception_fp_ieee_overflow 0
		.amdhsa_exception_fp_ieee_underflow 0
		.amdhsa_exception_fp_ieee_inexact 0
		.amdhsa_exception_int_div_zero 0
	.end_amdhsa_kernel
	.section	.text._ZN7rocprim17ROCPRIM_400000_NS6detail17trampoline_kernelINS0_14default_configENS1_27scan_by_key_config_selectorIitEEZZNS1_16scan_by_key_implILNS1_25lookback_scan_determinismE0ELb0ES3_N6thrust23THRUST_200600_302600_NS6detail15normal_iteratorINS9_10device_ptrIiEEEENSB_INSC_ItEEEESG_tNS9_4plusIvEENS9_8equal_toIvEEtEE10hipError_tPvRmT2_T3_T4_T5_mT6_T7_P12ihipStream_tbENKUlT_T0_E_clISt17integral_constantIbLb0EES11_EEDaSW_SX_EUlSW_E_NS1_11comp_targetILNS1_3genE9ELNS1_11target_archE1100ELNS1_3gpuE3ELNS1_3repE0EEENS1_30default_config_static_selectorELNS0_4arch9wavefront6targetE1EEEvT1_,"axG",@progbits,_ZN7rocprim17ROCPRIM_400000_NS6detail17trampoline_kernelINS0_14default_configENS1_27scan_by_key_config_selectorIitEEZZNS1_16scan_by_key_implILNS1_25lookback_scan_determinismE0ELb0ES3_N6thrust23THRUST_200600_302600_NS6detail15normal_iteratorINS9_10device_ptrIiEEEENSB_INSC_ItEEEESG_tNS9_4plusIvEENS9_8equal_toIvEEtEE10hipError_tPvRmT2_T3_T4_T5_mT6_T7_P12ihipStream_tbENKUlT_T0_E_clISt17integral_constantIbLb0EES11_EEDaSW_SX_EUlSW_E_NS1_11comp_targetILNS1_3genE9ELNS1_11target_archE1100ELNS1_3gpuE3ELNS1_3repE0EEENS1_30default_config_static_selectorELNS0_4arch9wavefront6targetE1EEEvT1_,comdat
.Lfunc_end1274:
	.size	_ZN7rocprim17ROCPRIM_400000_NS6detail17trampoline_kernelINS0_14default_configENS1_27scan_by_key_config_selectorIitEEZZNS1_16scan_by_key_implILNS1_25lookback_scan_determinismE0ELb0ES3_N6thrust23THRUST_200600_302600_NS6detail15normal_iteratorINS9_10device_ptrIiEEEENSB_INSC_ItEEEESG_tNS9_4plusIvEENS9_8equal_toIvEEtEE10hipError_tPvRmT2_T3_T4_T5_mT6_T7_P12ihipStream_tbENKUlT_T0_E_clISt17integral_constantIbLb0EES11_EEDaSW_SX_EUlSW_E_NS1_11comp_targetILNS1_3genE9ELNS1_11target_archE1100ELNS1_3gpuE3ELNS1_3repE0EEENS1_30default_config_static_selectorELNS0_4arch9wavefront6targetE1EEEvT1_, .Lfunc_end1274-_ZN7rocprim17ROCPRIM_400000_NS6detail17trampoline_kernelINS0_14default_configENS1_27scan_by_key_config_selectorIitEEZZNS1_16scan_by_key_implILNS1_25lookback_scan_determinismE0ELb0ES3_N6thrust23THRUST_200600_302600_NS6detail15normal_iteratorINS9_10device_ptrIiEEEENSB_INSC_ItEEEESG_tNS9_4plusIvEENS9_8equal_toIvEEtEE10hipError_tPvRmT2_T3_T4_T5_mT6_T7_P12ihipStream_tbENKUlT_T0_E_clISt17integral_constantIbLb0EES11_EEDaSW_SX_EUlSW_E_NS1_11comp_targetILNS1_3genE9ELNS1_11target_archE1100ELNS1_3gpuE3ELNS1_3repE0EEENS1_30default_config_static_selectorELNS0_4arch9wavefront6targetE1EEEvT1_
                                        ; -- End function
	.section	.AMDGPU.csdata,"",@progbits
; Kernel info:
; codeLenInByte = 0
; NumSgprs: 6
; NumVgprs: 0
; NumAgprs: 0
; TotalNumVgprs: 0
; ScratchSize: 0
; MemoryBound: 0
; FloatMode: 240
; IeeeMode: 1
; LDSByteSize: 0 bytes/workgroup (compile time only)
; SGPRBlocks: 0
; VGPRBlocks: 0
; NumSGPRsForWavesPerEU: 6
; NumVGPRsForWavesPerEU: 1
; AccumOffset: 4
; Occupancy: 8
; WaveLimiterHint : 0
; COMPUTE_PGM_RSRC2:SCRATCH_EN: 0
; COMPUTE_PGM_RSRC2:USER_SGPR: 2
; COMPUTE_PGM_RSRC2:TRAP_HANDLER: 0
; COMPUTE_PGM_RSRC2:TGID_X_EN: 1
; COMPUTE_PGM_RSRC2:TGID_Y_EN: 0
; COMPUTE_PGM_RSRC2:TGID_Z_EN: 0
; COMPUTE_PGM_RSRC2:TIDIG_COMP_CNT: 0
; COMPUTE_PGM_RSRC3_GFX90A:ACCUM_OFFSET: 0
; COMPUTE_PGM_RSRC3_GFX90A:TG_SPLIT: 0
	.section	.text._ZN7rocprim17ROCPRIM_400000_NS6detail17trampoline_kernelINS0_14default_configENS1_27scan_by_key_config_selectorIitEEZZNS1_16scan_by_key_implILNS1_25lookback_scan_determinismE0ELb0ES3_N6thrust23THRUST_200600_302600_NS6detail15normal_iteratorINS9_10device_ptrIiEEEENSB_INSC_ItEEEESG_tNS9_4plusIvEENS9_8equal_toIvEEtEE10hipError_tPvRmT2_T3_T4_T5_mT6_T7_P12ihipStream_tbENKUlT_T0_E_clISt17integral_constantIbLb0EES11_EEDaSW_SX_EUlSW_E_NS1_11comp_targetILNS1_3genE8ELNS1_11target_archE1030ELNS1_3gpuE2ELNS1_3repE0EEENS1_30default_config_static_selectorELNS0_4arch9wavefront6targetE1EEEvT1_,"axG",@progbits,_ZN7rocprim17ROCPRIM_400000_NS6detail17trampoline_kernelINS0_14default_configENS1_27scan_by_key_config_selectorIitEEZZNS1_16scan_by_key_implILNS1_25lookback_scan_determinismE0ELb0ES3_N6thrust23THRUST_200600_302600_NS6detail15normal_iteratorINS9_10device_ptrIiEEEENSB_INSC_ItEEEESG_tNS9_4plusIvEENS9_8equal_toIvEEtEE10hipError_tPvRmT2_T3_T4_T5_mT6_T7_P12ihipStream_tbENKUlT_T0_E_clISt17integral_constantIbLb0EES11_EEDaSW_SX_EUlSW_E_NS1_11comp_targetILNS1_3genE8ELNS1_11target_archE1030ELNS1_3gpuE2ELNS1_3repE0EEENS1_30default_config_static_selectorELNS0_4arch9wavefront6targetE1EEEvT1_,comdat
	.protected	_ZN7rocprim17ROCPRIM_400000_NS6detail17trampoline_kernelINS0_14default_configENS1_27scan_by_key_config_selectorIitEEZZNS1_16scan_by_key_implILNS1_25lookback_scan_determinismE0ELb0ES3_N6thrust23THRUST_200600_302600_NS6detail15normal_iteratorINS9_10device_ptrIiEEEENSB_INSC_ItEEEESG_tNS9_4plusIvEENS9_8equal_toIvEEtEE10hipError_tPvRmT2_T3_T4_T5_mT6_T7_P12ihipStream_tbENKUlT_T0_E_clISt17integral_constantIbLb0EES11_EEDaSW_SX_EUlSW_E_NS1_11comp_targetILNS1_3genE8ELNS1_11target_archE1030ELNS1_3gpuE2ELNS1_3repE0EEENS1_30default_config_static_selectorELNS0_4arch9wavefront6targetE1EEEvT1_ ; -- Begin function _ZN7rocprim17ROCPRIM_400000_NS6detail17trampoline_kernelINS0_14default_configENS1_27scan_by_key_config_selectorIitEEZZNS1_16scan_by_key_implILNS1_25lookback_scan_determinismE0ELb0ES3_N6thrust23THRUST_200600_302600_NS6detail15normal_iteratorINS9_10device_ptrIiEEEENSB_INSC_ItEEEESG_tNS9_4plusIvEENS9_8equal_toIvEEtEE10hipError_tPvRmT2_T3_T4_T5_mT6_T7_P12ihipStream_tbENKUlT_T0_E_clISt17integral_constantIbLb0EES11_EEDaSW_SX_EUlSW_E_NS1_11comp_targetILNS1_3genE8ELNS1_11target_archE1030ELNS1_3gpuE2ELNS1_3repE0EEENS1_30default_config_static_selectorELNS0_4arch9wavefront6targetE1EEEvT1_
	.globl	_ZN7rocprim17ROCPRIM_400000_NS6detail17trampoline_kernelINS0_14default_configENS1_27scan_by_key_config_selectorIitEEZZNS1_16scan_by_key_implILNS1_25lookback_scan_determinismE0ELb0ES3_N6thrust23THRUST_200600_302600_NS6detail15normal_iteratorINS9_10device_ptrIiEEEENSB_INSC_ItEEEESG_tNS9_4plusIvEENS9_8equal_toIvEEtEE10hipError_tPvRmT2_T3_T4_T5_mT6_T7_P12ihipStream_tbENKUlT_T0_E_clISt17integral_constantIbLb0EES11_EEDaSW_SX_EUlSW_E_NS1_11comp_targetILNS1_3genE8ELNS1_11target_archE1030ELNS1_3gpuE2ELNS1_3repE0EEENS1_30default_config_static_selectorELNS0_4arch9wavefront6targetE1EEEvT1_
	.p2align	8
	.type	_ZN7rocprim17ROCPRIM_400000_NS6detail17trampoline_kernelINS0_14default_configENS1_27scan_by_key_config_selectorIitEEZZNS1_16scan_by_key_implILNS1_25lookback_scan_determinismE0ELb0ES3_N6thrust23THRUST_200600_302600_NS6detail15normal_iteratorINS9_10device_ptrIiEEEENSB_INSC_ItEEEESG_tNS9_4plusIvEENS9_8equal_toIvEEtEE10hipError_tPvRmT2_T3_T4_T5_mT6_T7_P12ihipStream_tbENKUlT_T0_E_clISt17integral_constantIbLb0EES11_EEDaSW_SX_EUlSW_E_NS1_11comp_targetILNS1_3genE8ELNS1_11target_archE1030ELNS1_3gpuE2ELNS1_3repE0EEENS1_30default_config_static_selectorELNS0_4arch9wavefront6targetE1EEEvT1_,@function
_ZN7rocprim17ROCPRIM_400000_NS6detail17trampoline_kernelINS0_14default_configENS1_27scan_by_key_config_selectorIitEEZZNS1_16scan_by_key_implILNS1_25lookback_scan_determinismE0ELb0ES3_N6thrust23THRUST_200600_302600_NS6detail15normal_iteratorINS9_10device_ptrIiEEEENSB_INSC_ItEEEESG_tNS9_4plusIvEENS9_8equal_toIvEEtEE10hipError_tPvRmT2_T3_T4_T5_mT6_T7_P12ihipStream_tbENKUlT_T0_E_clISt17integral_constantIbLb0EES11_EEDaSW_SX_EUlSW_E_NS1_11comp_targetILNS1_3genE8ELNS1_11target_archE1030ELNS1_3gpuE2ELNS1_3repE0EEENS1_30default_config_static_selectorELNS0_4arch9wavefront6targetE1EEEvT1_: ; @_ZN7rocprim17ROCPRIM_400000_NS6detail17trampoline_kernelINS0_14default_configENS1_27scan_by_key_config_selectorIitEEZZNS1_16scan_by_key_implILNS1_25lookback_scan_determinismE0ELb0ES3_N6thrust23THRUST_200600_302600_NS6detail15normal_iteratorINS9_10device_ptrIiEEEENSB_INSC_ItEEEESG_tNS9_4plusIvEENS9_8equal_toIvEEtEE10hipError_tPvRmT2_T3_T4_T5_mT6_T7_P12ihipStream_tbENKUlT_T0_E_clISt17integral_constantIbLb0EES11_EEDaSW_SX_EUlSW_E_NS1_11comp_targetILNS1_3genE8ELNS1_11target_archE1030ELNS1_3gpuE2ELNS1_3repE0EEENS1_30default_config_static_selectorELNS0_4arch9wavefront6targetE1EEEvT1_
; %bb.0:
	.section	.rodata,"a",@progbits
	.p2align	6, 0x0
	.amdhsa_kernel _ZN7rocprim17ROCPRIM_400000_NS6detail17trampoline_kernelINS0_14default_configENS1_27scan_by_key_config_selectorIitEEZZNS1_16scan_by_key_implILNS1_25lookback_scan_determinismE0ELb0ES3_N6thrust23THRUST_200600_302600_NS6detail15normal_iteratorINS9_10device_ptrIiEEEENSB_INSC_ItEEEESG_tNS9_4plusIvEENS9_8equal_toIvEEtEE10hipError_tPvRmT2_T3_T4_T5_mT6_T7_P12ihipStream_tbENKUlT_T0_E_clISt17integral_constantIbLb0EES11_EEDaSW_SX_EUlSW_E_NS1_11comp_targetILNS1_3genE8ELNS1_11target_archE1030ELNS1_3gpuE2ELNS1_3repE0EEENS1_30default_config_static_selectorELNS0_4arch9wavefront6targetE1EEEvT1_
		.amdhsa_group_segment_fixed_size 0
		.amdhsa_private_segment_fixed_size 0
		.amdhsa_kernarg_size 112
		.amdhsa_user_sgpr_count 2
		.amdhsa_user_sgpr_dispatch_ptr 0
		.amdhsa_user_sgpr_queue_ptr 0
		.amdhsa_user_sgpr_kernarg_segment_ptr 1
		.amdhsa_user_sgpr_dispatch_id 0
		.amdhsa_user_sgpr_kernarg_preload_length 0
		.amdhsa_user_sgpr_kernarg_preload_offset 0
		.amdhsa_user_sgpr_private_segment_size 0
		.amdhsa_uses_dynamic_stack 0
		.amdhsa_enable_private_segment 0
		.amdhsa_system_sgpr_workgroup_id_x 1
		.amdhsa_system_sgpr_workgroup_id_y 0
		.amdhsa_system_sgpr_workgroup_id_z 0
		.amdhsa_system_sgpr_workgroup_info 0
		.amdhsa_system_vgpr_workitem_id 0
		.amdhsa_next_free_vgpr 1
		.amdhsa_next_free_sgpr 0
		.amdhsa_accum_offset 4
		.amdhsa_reserve_vcc 0
		.amdhsa_float_round_mode_32 0
		.amdhsa_float_round_mode_16_64 0
		.amdhsa_float_denorm_mode_32 3
		.amdhsa_float_denorm_mode_16_64 3
		.amdhsa_dx10_clamp 1
		.amdhsa_ieee_mode 1
		.amdhsa_fp16_overflow 0
		.amdhsa_tg_split 0
		.amdhsa_exception_fp_ieee_invalid_op 0
		.amdhsa_exception_fp_denorm_src 0
		.amdhsa_exception_fp_ieee_div_zero 0
		.amdhsa_exception_fp_ieee_overflow 0
		.amdhsa_exception_fp_ieee_underflow 0
		.amdhsa_exception_fp_ieee_inexact 0
		.amdhsa_exception_int_div_zero 0
	.end_amdhsa_kernel
	.section	.text._ZN7rocprim17ROCPRIM_400000_NS6detail17trampoline_kernelINS0_14default_configENS1_27scan_by_key_config_selectorIitEEZZNS1_16scan_by_key_implILNS1_25lookback_scan_determinismE0ELb0ES3_N6thrust23THRUST_200600_302600_NS6detail15normal_iteratorINS9_10device_ptrIiEEEENSB_INSC_ItEEEESG_tNS9_4plusIvEENS9_8equal_toIvEEtEE10hipError_tPvRmT2_T3_T4_T5_mT6_T7_P12ihipStream_tbENKUlT_T0_E_clISt17integral_constantIbLb0EES11_EEDaSW_SX_EUlSW_E_NS1_11comp_targetILNS1_3genE8ELNS1_11target_archE1030ELNS1_3gpuE2ELNS1_3repE0EEENS1_30default_config_static_selectorELNS0_4arch9wavefront6targetE1EEEvT1_,"axG",@progbits,_ZN7rocprim17ROCPRIM_400000_NS6detail17trampoline_kernelINS0_14default_configENS1_27scan_by_key_config_selectorIitEEZZNS1_16scan_by_key_implILNS1_25lookback_scan_determinismE0ELb0ES3_N6thrust23THRUST_200600_302600_NS6detail15normal_iteratorINS9_10device_ptrIiEEEENSB_INSC_ItEEEESG_tNS9_4plusIvEENS9_8equal_toIvEEtEE10hipError_tPvRmT2_T3_T4_T5_mT6_T7_P12ihipStream_tbENKUlT_T0_E_clISt17integral_constantIbLb0EES11_EEDaSW_SX_EUlSW_E_NS1_11comp_targetILNS1_3genE8ELNS1_11target_archE1030ELNS1_3gpuE2ELNS1_3repE0EEENS1_30default_config_static_selectorELNS0_4arch9wavefront6targetE1EEEvT1_,comdat
.Lfunc_end1275:
	.size	_ZN7rocprim17ROCPRIM_400000_NS6detail17trampoline_kernelINS0_14default_configENS1_27scan_by_key_config_selectorIitEEZZNS1_16scan_by_key_implILNS1_25lookback_scan_determinismE0ELb0ES3_N6thrust23THRUST_200600_302600_NS6detail15normal_iteratorINS9_10device_ptrIiEEEENSB_INSC_ItEEEESG_tNS9_4plusIvEENS9_8equal_toIvEEtEE10hipError_tPvRmT2_T3_T4_T5_mT6_T7_P12ihipStream_tbENKUlT_T0_E_clISt17integral_constantIbLb0EES11_EEDaSW_SX_EUlSW_E_NS1_11comp_targetILNS1_3genE8ELNS1_11target_archE1030ELNS1_3gpuE2ELNS1_3repE0EEENS1_30default_config_static_selectorELNS0_4arch9wavefront6targetE1EEEvT1_, .Lfunc_end1275-_ZN7rocprim17ROCPRIM_400000_NS6detail17trampoline_kernelINS0_14default_configENS1_27scan_by_key_config_selectorIitEEZZNS1_16scan_by_key_implILNS1_25lookback_scan_determinismE0ELb0ES3_N6thrust23THRUST_200600_302600_NS6detail15normal_iteratorINS9_10device_ptrIiEEEENSB_INSC_ItEEEESG_tNS9_4plusIvEENS9_8equal_toIvEEtEE10hipError_tPvRmT2_T3_T4_T5_mT6_T7_P12ihipStream_tbENKUlT_T0_E_clISt17integral_constantIbLb0EES11_EEDaSW_SX_EUlSW_E_NS1_11comp_targetILNS1_3genE8ELNS1_11target_archE1030ELNS1_3gpuE2ELNS1_3repE0EEENS1_30default_config_static_selectorELNS0_4arch9wavefront6targetE1EEEvT1_
                                        ; -- End function
	.section	.AMDGPU.csdata,"",@progbits
; Kernel info:
; codeLenInByte = 0
; NumSgprs: 6
; NumVgprs: 0
; NumAgprs: 0
; TotalNumVgprs: 0
; ScratchSize: 0
; MemoryBound: 0
; FloatMode: 240
; IeeeMode: 1
; LDSByteSize: 0 bytes/workgroup (compile time only)
; SGPRBlocks: 0
; VGPRBlocks: 0
; NumSGPRsForWavesPerEU: 6
; NumVGPRsForWavesPerEU: 1
; AccumOffset: 4
; Occupancy: 8
; WaveLimiterHint : 0
; COMPUTE_PGM_RSRC2:SCRATCH_EN: 0
; COMPUTE_PGM_RSRC2:USER_SGPR: 2
; COMPUTE_PGM_RSRC2:TRAP_HANDLER: 0
; COMPUTE_PGM_RSRC2:TGID_X_EN: 1
; COMPUTE_PGM_RSRC2:TGID_Y_EN: 0
; COMPUTE_PGM_RSRC2:TGID_Z_EN: 0
; COMPUTE_PGM_RSRC2:TIDIG_COMP_CNT: 0
; COMPUTE_PGM_RSRC3_GFX90A:ACCUM_OFFSET: 0
; COMPUTE_PGM_RSRC3_GFX90A:TG_SPLIT: 0
	.section	.text._ZN7rocprim17ROCPRIM_400000_NS6detail30init_device_scan_by_key_kernelINS1_19lookback_scan_stateINS0_5tupleIJtbEEELb1ELb1EEEN6thrust23THRUST_200600_302600_NS6detail15normal_iteratorINS8_10device_ptrIiEEEEjNS1_16block_id_wrapperIjLb1EEEEEvT_jjPNSG_10value_typeET0_PNSt15iterator_traitsISJ_E10value_typeEmT1_T2_,"axG",@progbits,_ZN7rocprim17ROCPRIM_400000_NS6detail30init_device_scan_by_key_kernelINS1_19lookback_scan_stateINS0_5tupleIJtbEEELb1ELb1EEEN6thrust23THRUST_200600_302600_NS6detail15normal_iteratorINS8_10device_ptrIiEEEEjNS1_16block_id_wrapperIjLb1EEEEEvT_jjPNSG_10value_typeET0_PNSt15iterator_traitsISJ_E10value_typeEmT1_T2_,comdat
	.protected	_ZN7rocprim17ROCPRIM_400000_NS6detail30init_device_scan_by_key_kernelINS1_19lookback_scan_stateINS0_5tupleIJtbEEELb1ELb1EEEN6thrust23THRUST_200600_302600_NS6detail15normal_iteratorINS8_10device_ptrIiEEEEjNS1_16block_id_wrapperIjLb1EEEEEvT_jjPNSG_10value_typeET0_PNSt15iterator_traitsISJ_E10value_typeEmT1_T2_ ; -- Begin function _ZN7rocprim17ROCPRIM_400000_NS6detail30init_device_scan_by_key_kernelINS1_19lookback_scan_stateINS0_5tupleIJtbEEELb1ELb1EEEN6thrust23THRUST_200600_302600_NS6detail15normal_iteratorINS8_10device_ptrIiEEEEjNS1_16block_id_wrapperIjLb1EEEEEvT_jjPNSG_10value_typeET0_PNSt15iterator_traitsISJ_E10value_typeEmT1_T2_
	.globl	_ZN7rocprim17ROCPRIM_400000_NS6detail30init_device_scan_by_key_kernelINS1_19lookback_scan_stateINS0_5tupleIJtbEEELb1ELb1EEEN6thrust23THRUST_200600_302600_NS6detail15normal_iteratorINS8_10device_ptrIiEEEEjNS1_16block_id_wrapperIjLb1EEEEEvT_jjPNSG_10value_typeET0_PNSt15iterator_traitsISJ_E10value_typeEmT1_T2_
	.p2align	8
	.type	_ZN7rocprim17ROCPRIM_400000_NS6detail30init_device_scan_by_key_kernelINS1_19lookback_scan_stateINS0_5tupleIJtbEEELb1ELb1EEEN6thrust23THRUST_200600_302600_NS6detail15normal_iteratorINS8_10device_ptrIiEEEEjNS1_16block_id_wrapperIjLb1EEEEEvT_jjPNSG_10value_typeET0_PNSt15iterator_traitsISJ_E10value_typeEmT1_T2_,@function
_ZN7rocprim17ROCPRIM_400000_NS6detail30init_device_scan_by_key_kernelINS1_19lookback_scan_stateINS0_5tupleIJtbEEELb1ELb1EEEN6thrust23THRUST_200600_302600_NS6detail15normal_iteratorINS8_10device_ptrIiEEEEjNS1_16block_id_wrapperIjLb1EEEEEvT_jjPNSG_10value_typeET0_PNSt15iterator_traitsISJ_E10value_typeEmT1_T2_: ; @_ZN7rocprim17ROCPRIM_400000_NS6detail30init_device_scan_by_key_kernelINS1_19lookback_scan_stateINS0_5tupleIJtbEEELb1ELb1EEEN6thrust23THRUST_200600_302600_NS6detail15normal_iteratorINS8_10device_ptrIiEEEEjNS1_16block_id_wrapperIjLb1EEEEEvT_jjPNSG_10value_typeET0_PNSt15iterator_traitsISJ_E10value_typeEmT1_T2_
; %bb.0:
	s_load_dword s3, s[0:1], 0x4c
	s_load_dwordx8 s[4:11], s[0:1], 0x0
	s_load_dword s14, s[0:1], 0x40
	s_waitcnt lgkmcnt(0)
	s_and_b32 s15, s3, 0xffff
	s_mul_i32 s2, s2, s15
	s_cmp_eq_u64 s[8:9], 0
	v_add_u32_e32 v0, s2, v0
	s_cbranch_scc1 .LBB1276_9
; %bb.1:
	s_cmp_lt_u32 s7, s6
	s_cselect_b32 s2, s7, 0
	s_mov_b32 s13, 0
	v_cmp_eq_u32_e32 vcc, s2, v0
	s_and_saveexec_b64 s[2:3], vcc
	s_cbranch_execz .LBB1276_8
; %bb.2:
	s_add_i32 s12, s7, 64
	s_lshl_b64 s[12:13], s[12:13], 3
	s_add_u32 s12, s4, s12
	s_addc_u32 s13, s5, s13
	v_mov_b32_e32 v2, 0
	global_load_dwordx2 v[4:5], v2, s[12:13] sc1
	s_waitcnt vmcnt(0)
	v_and_b32_e32 v3, 0xff, v5
	v_cmp_ne_u64_e32 vcc, 0, v[2:3]
	s_cbranch_vccnz .LBB1276_7
; %bb.3:
	s_mov_b32 s7, 1
.LBB1276_4:                             ; =>This Loop Header: Depth=1
                                        ;     Child Loop BB1276_5 Depth 2
	s_max_u32 s16, s7, 1
.LBB1276_5:                             ;   Parent Loop BB1276_4 Depth=1
                                        ; =>  This Inner Loop Header: Depth=2
	s_add_i32 s16, s16, -1
	s_cmp_eq_u32 s16, 0
	s_sleep 1
	s_cbranch_scc0 .LBB1276_5
; %bb.6:                                ;   in Loop: Header=BB1276_4 Depth=1
	global_load_dwordx2 v[4:5], v2, s[12:13] sc1
	s_cmp_lt_u32 s7, 32
	s_cselect_b64 s[16:17], -1, 0
	s_cmp_lg_u64 s[16:17], 0
	s_addc_u32 s7, s7, 0
	s_waitcnt vmcnt(0)
	v_and_b32_e32 v3, 0xff, v5
	v_cmp_ne_u64_e32 vcc, 0, v[2:3]
	s_cbranch_vccz .LBB1276_4
.LBB1276_7:
	v_mov_b32_e32 v1, 0
	global_store_short v1, v4, s[8:9]
	global_store_byte_d16_hi v1, v4, s[8:9] offset:2
.LBB1276_8:
	s_or_b64 exec, exec, s[2:3]
.LBB1276_9:
	v_cmp_eq_u32_e32 vcc, 0, v0
	s_and_saveexec_b64 s[2:3], vcc
	s_cbranch_execz .LBB1276_11
; %bb.10:
	s_load_dwordx2 s[8:9], s[0:1], 0x38
	v_mov_b32_e32 v1, 0
	s_waitcnt lgkmcnt(0)
	global_store_dword v1, v1, s[8:9]
.LBB1276_11:
	s_or_b64 exec, exec, s[2:3]
	v_cmp_gt_u32_e32 vcc, s6, v0
	s_and_saveexec_b64 s[2:3], vcc
	s_cbranch_execz .LBB1276_13
; %bb.12:
	v_add_u32_e32 v2, 64, v0
	v_mov_b32_e32 v3, 0
	v_lshl_add_u64 v[4:5], v[2:3], 3, s[4:5]
	v_mov_b32_e32 v2, v3
	global_store_dwordx2 v[4:5], v[2:3], off
.LBB1276_13:
	s_or_b64 exec, exec, s[2:3]
	v_cmp_gt_u32_e32 vcc, 64, v0
	v_mov_b32_e32 v1, 0
	s_and_saveexec_b64 s[2:3], vcc
	s_cbranch_execz .LBB1276_15
; %bb.14:
	v_lshl_add_u64 v[2:3], v[0:1], 3, s[4:5]
	v_mov_b32_e32 v5, 0xff
	v_mov_b32_e32 v4, v1
	global_store_dwordx2 v[2:3], v[4:5], off
.LBB1276_15:
	s_or_b64 exec, exec, s[2:3]
	s_load_dwordx2 s[2:3], s[0:1], 0x28
	s_waitcnt lgkmcnt(0)
	v_cmp_gt_u64_e32 vcc, s[2:3], v[0:1]
	s_and_saveexec_b64 s[4:5], vcc
	s_cbranch_execz .LBB1276_18
; %bb.16:
	s_load_dword s12, s[0:1], 0x30
	s_load_dwordx2 s[6:7], s[0:1], 0x20
	s_mov_b32 s5, 0
	s_mov_b32 s1, s5
	s_mul_i32 s0, s14, s15
	s_waitcnt lgkmcnt(0)
	s_add_i32 s4, s12, -1
	s_lshl_b64 s[4:5], s[4:5], 2
	s_add_u32 s4, s10, s4
	v_mad_u64_u32 v[2:3], s[8:9], s12, v0, 0
	s_addc_u32 s5, s11, s5
	v_lshl_add_u64 v[2:3], v[2:3], 2, s[4:5]
	s_mul_hi_u32 s5, s12, s0
	s_mul_i32 s4, s12, s0
	s_lshl_b64 s[4:5], s[4:5], 2
	v_lshl_add_u64 v[4:5], v[0:1], 2, s[6:7]
	s_lshl_b64 s[6:7], s[0:1], 2
	s_mov_b64 s[8:9], 0
.LBB1276_17:                            ; =>This Inner Loop Header: Depth=1
	global_load_dword v6, v[2:3], off
	v_lshl_add_u64 v[0:1], v[0:1], 0, s[0:1]
	v_cmp_le_u64_e32 vcc, s[2:3], v[0:1]
	v_lshl_add_u64 v[2:3], v[2:3], 0, s[4:5]
	s_or_b64 s[8:9], vcc, s[8:9]
	s_waitcnt vmcnt(0)
	global_store_dword v[4:5], v6, off
	v_lshl_add_u64 v[4:5], v[4:5], 0, s[6:7]
	s_andn2_b64 exec, exec, s[8:9]
	s_cbranch_execnz .LBB1276_17
.LBB1276_18:
	s_endpgm
	.section	.rodata,"a",@progbits
	.p2align	6, 0x0
	.amdhsa_kernel _ZN7rocprim17ROCPRIM_400000_NS6detail30init_device_scan_by_key_kernelINS1_19lookback_scan_stateINS0_5tupleIJtbEEELb1ELb1EEEN6thrust23THRUST_200600_302600_NS6detail15normal_iteratorINS8_10device_ptrIiEEEEjNS1_16block_id_wrapperIjLb1EEEEEvT_jjPNSG_10value_typeET0_PNSt15iterator_traitsISJ_E10value_typeEmT1_T2_
		.amdhsa_group_segment_fixed_size 0
		.amdhsa_private_segment_fixed_size 0
		.amdhsa_kernarg_size 320
		.amdhsa_user_sgpr_count 2
		.amdhsa_user_sgpr_dispatch_ptr 0
		.amdhsa_user_sgpr_queue_ptr 0
		.amdhsa_user_sgpr_kernarg_segment_ptr 1
		.amdhsa_user_sgpr_dispatch_id 0
		.amdhsa_user_sgpr_kernarg_preload_length 0
		.amdhsa_user_sgpr_kernarg_preload_offset 0
		.amdhsa_user_sgpr_private_segment_size 0
		.amdhsa_uses_dynamic_stack 0
		.amdhsa_enable_private_segment 0
		.amdhsa_system_sgpr_workgroup_id_x 1
		.amdhsa_system_sgpr_workgroup_id_y 0
		.amdhsa_system_sgpr_workgroup_id_z 0
		.amdhsa_system_sgpr_workgroup_info 0
		.amdhsa_system_vgpr_workitem_id 0
		.amdhsa_next_free_vgpr 7
		.amdhsa_next_free_sgpr 18
		.amdhsa_accum_offset 8
		.amdhsa_reserve_vcc 1
		.amdhsa_float_round_mode_32 0
		.amdhsa_float_round_mode_16_64 0
		.amdhsa_float_denorm_mode_32 3
		.amdhsa_float_denorm_mode_16_64 3
		.amdhsa_dx10_clamp 1
		.amdhsa_ieee_mode 1
		.amdhsa_fp16_overflow 0
		.amdhsa_tg_split 0
		.amdhsa_exception_fp_ieee_invalid_op 0
		.amdhsa_exception_fp_denorm_src 0
		.amdhsa_exception_fp_ieee_div_zero 0
		.amdhsa_exception_fp_ieee_overflow 0
		.amdhsa_exception_fp_ieee_underflow 0
		.amdhsa_exception_fp_ieee_inexact 0
		.amdhsa_exception_int_div_zero 0
	.end_amdhsa_kernel
	.section	.text._ZN7rocprim17ROCPRIM_400000_NS6detail30init_device_scan_by_key_kernelINS1_19lookback_scan_stateINS0_5tupleIJtbEEELb1ELb1EEEN6thrust23THRUST_200600_302600_NS6detail15normal_iteratorINS8_10device_ptrIiEEEEjNS1_16block_id_wrapperIjLb1EEEEEvT_jjPNSG_10value_typeET0_PNSt15iterator_traitsISJ_E10value_typeEmT1_T2_,"axG",@progbits,_ZN7rocprim17ROCPRIM_400000_NS6detail30init_device_scan_by_key_kernelINS1_19lookback_scan_stateINS0_5tupleIJtbEEELb1ELb1EEEN6thrust23THRUST_200600_302600_NS6detail15normal_iteratorINS8_10device_ptrIiEEEEjNS1_16block_id_wrapperIjLb1EEEEEvT_jjPNSG_10value_typeET0_PNSt15iterator_traitsISJ_E10value_typeEmT1_T2_,comdat
.Lfunc_end1276:
	.size	_ZN7rocprim17ROCPRIM_400000_NS6detail30init_device_scan_by_key_kernelINS1_19lookback_scan_stateINS0_5tupleIJtbEEELb1ELb1EEEN6thrust23THRUST_200600_302600_NS6detail15normal_iteratorINS8_10device_ptrIiEEEEjNS1_16block_id_wrapperIjLb1EEEEEvT_jjPNSG_10value_typeET0_PNSt15iterator_traitsISJ_E10value_typeEmT1_T2_, .Lfunc_end1276-_ZN7rocprim17ROCPRIM_400000_NS6detail30init_device_scan_by_key_kernelINS1_19lookback_scan_stateINS0_5tupleIJtbEEELb1ELb1EEEN6thrust23THRUST_200600_302600_NS6detail15normal_iteratorINS8_10device_ptrIiEEEEjNS1_16block_id_wrapperIjLb1EEEEEvT_jjPNSG_10value_typeET0_PNSt15iterator_traitsISJ_E10value_typeEmT1_T2_
                                        ; -- End function
	.section	.AMDGPU.csdata,"",@progbits
; Kernel info:
; codeLenInByte = 528
; NumSgprs: 24
; NumVgprs: 7
; NumAgprs: 0
; TotalNumVgprs: 7
; ScratchSize: 0
; MemoryBound: 0
; FloatMode: 240
; IeeeMode: 1
; LDSByteSize: 0 bytes/workgroup (compile time only)
; SGPRBlocks: 2
; VGPRBlocks: 0
; NumSGPRsForWavesPerEU: 24
; NumVGPRsForWavesPerEU: 7
; AccumOffset: 8
; Occupancy: 8
; WaveLimiterHint : 0
; COMPUTE_PGM_RSRC2:SCRATCH_EN: 0
; COMPUTE_PGM_RSRC2:USER_SGPR: 2
; COMPUTE_PGM_RSRC2:TRAP_HANDLER: 0
; COMPUTE_PGM_RSRC2:TGID_X_EN: 1
; COMPUTE_PGM_RSRC2:TGID_Y_EN: 0
; COMPUTE_PGM_RSRC2:TGID_Z_EN: 0
; COMPUTE_PGM_RSRC2:TIDIG_COMP_CNT: 0
; COMPUTE_PGM_RSRC3_GFX90A:ACCUM_OFFSET: 1
; COMPUTE_PGM_RSRC3_GFX90A:TG_SPLIT: 0
	.section	.text._ZN7rocprim17ROCPRIM_400000_NS6detail30init_device_scan_by_key_kernelINS1_19lookback_scan_stateINS0_5tupleIJtbEEELb1ELb1EEENS1_16block_id_wrapperIjLb1EEEEEvT_jjPNS9_10value_typeET0_,"axG",@progbits,_ZN7rocprim17ROCPRIM_400000_NS6detail30init_device_scan_by_key_kernelINS1_19lookback_scan_stateINS0_5tupleIJtbEEELb1ELb1EEENS1_16block_id_wrapperIjLb1EEEEEvT_jjPNS9_10value_typeET0_,comdat
	.protected	_ZN7rocprim17ROCPRIM_400000_NS6detail30init_device_scan_by_key_kernelINS1_19lookback_scan_stateINS0_5tupleIJtbEEELb1ELb1EEENS1_16block_id_wrapperIjLb1EEEEEvT_jjPNS9_10value_typeET0_ ; -- Begin function _ZN7rocprim17ROCPRIM_400000_NS6detail30init_device_scan_by_key_kernelINS1_19lookback_scan_stateINS0_5tupleIJtbEEELb1ELb1EEENS1_16block_id_wrapperIjLb1EEEEEvT_jjPNS9_10value_typeET0_
	.globl	_ZN7rocprim17ROCPRIM_400000_NS6detail30init_device_scan_by_key_kernelINS1_19lookback_scan_stateINS0_5tupleIJtbEEELb1ELb1EEENS1_16block_id_wrapperIjLb1EEEEEvT_jjPNS9_10value_typeET0_
	.p2align	8
	.type	_ZN7rocprim17ROCPRIM_400000_NS6detail30init_device_scan_by_key_kernelINS1_19lookback_scan_stateINS0_5tupleIJtbEEELb1ELb1EEENS1_16block_id_wrapperIjLb1EEEEEvT_jjPNS9_10value_typeET0_,@function
_ZN7rocprim17ROCPRIM_400000_NS6detail30init_device_scan_by_key_kernelINS1_19lookback_scan_stateINS0_5tupleIJtbEEELb1ELb1EEENS1_16block_id_wrapperIjLb1EEEEEvT_jjPNS9_10value_typeET0_: ; @_ZN7rocprim17ROCPRIM_400000_NS6detail30init_device_scan_by_key_kernelINS1_19lookback_scan_stateINS0_5tupleIJtbEEELb1ELb1EEENS1_16block_id_wrapperIjLb1EEEEEvT_jjPNS9_10value_typeET0_
; %bb.0:
	s_load_dword s3, s[0:1], 0x2c
	s_load_dwordx8 s[4:11], s[0:1], 0x0
	s_waitcnt lgkmcnt(0)
	s_and_b32 s0, s3, 0xffff
	s_mul_i32 s2, s2, s0
	s_cmp_eq_u64 s[8:9], 0
	v_add_u32_e32 v0, s2, v0
	s_cbranch_scc1 .LBB1277_9
; %bb.1:
	s_cmp_lt_u32 s7, s6
	s_cselect_b32 s0, s7, 0
	s_mov_b32 s3, 0
	v_cmp_eq_u32_e32 vcc, s0, v0
	s_and_saveexec_b64 s[0:1], vcc
	s_cbranch_execz .LBB1277_8
; %bb.2:
	s_add_i32 s2, s7, 64
	s_lshl_b64 s[2:3], s[2:3], 3
	s_add_u32 s2, s4, s2
	s_addc_u32 s3, s5, s3
	v_mov_b32_e32 v2, 0
	global_load_dwordx2 v[4:5], v2, s[2:3] sc1
	s_waitcnt vmcnt(0)
	v_and_b32_e32 v3, 0xff, v5
	v_cmp_ne_u64_e32 vcc, 0, v[2:3]
	s_cbranch_vccnz .LBB1277_7
; %bb.3:
	s_mov_b32 s7, 1
.LBB1277_4:                             ; =>This Loop Header: Depth=1
                                        ;     Child Loop BB1277_5 Depth 2
	s_max_u32 s12, s7, 1
.LBB1277_5:                             ;   Parent Loop BB1277_4 Depth=1
                                        ; =>  This Inner Loop Header: Depth=2
	s_add_i32 s12, s12, -1
	s_cmp_eq_u32 s12, 0
	s_sleep 1
	s_cbranch_scc0 .LBB1277_5
; %bb.6:                                ;   in Loop: Header=BB1277_4 Depth=1
	global_load_dwordx2 v[4:5], v2, s[2:3] sc1
	s_cmp_lt_u32 s7, 32
	s_cselect_b64 s[12:13], -1, 0
	s_cmp_lg_u64 s[12:13], 0
	s_addc_u32 s7, s7, 0
	s_waitcnt vmcnt(0)
	v_and_b32_e32 v3, 0xff, v5
	v_cmp_ne_u64_e32 vcc, 0, v[2:3]
	s_cbranch_vccz .LBB1277_4
.LBB1277_7:
	v_mov_b32_e32 v1, 0
	global_store_short v1, v4, s[8:9]
	global_store_byte_d16_hi v1, v4, s[8:9] offset:2
.LBB1277_8:
	s_or_b64 exec, exec, s[0:1]
.LBB1277_9:
	v_cmp_eq_u32_e32 vcc, 0, v0
	s_and_saveexec_b64 s[0:1], vcc
	s_cbranch_execnz .LBB1277_13
; %bb.10:
	s_or_b64 exec, exec, s[0:1]
	v_cmp_gt_u32_e32 vcc, s6, v0
	s_and_saveexec_b64 s[0:1], vcc
	s_cbranch_execnz .LBB1277_14
.LBB1277_11:
	s_or_b64 exec, exec, s[0:1]
	v_cmp_gt_u32_e32 vcc, 64, v0
	s_and_saveexec_b64 s[0:1], vcc
	s_cbranch_execnz .LBB1277_15
.LBB1277_12:
	s_endpgm
.LBB1277_13:
	v_mov_b32_e32 v1, 0
	global_store_dword v1, v1, s[10:11]
	s_or_b64 exec, exec, s[0:1]
	v_cmp_gt_u32_e32 vcc, s6, v0
	s_and_saveexec_b64 s[0:1], vcc
	s_cbranch_execz .LBB1277_11
.LBB1277_14:
	v_add_u32_e32 v2, 64, v0
	v_mov_b32_e32 v3, 0
	v_lshl_add_u64 v[4:5], v[2:3], 3, s[4:5]
	v_mov_b32_e32 v2, v3
	global_store_dwordx2 v[4:5], v[2:3], off
	s_or_b64 exec, exec, s[0:1]
	v_cmp_gt_u32_e32 vcc, 64, v0
	s_and_saveexec_b64 s[0:1], vcc
	s_cbranch_execz .LBB1277_12
.LBB1277_15:
	v_mov_b32_e32 v1, 0
	v_lshl_add_u64 v[2:3], v[0:1], 3, s[4:5]
	v_mov_b32_e32 v5, 0xff
	v_mov_b32_e32 v4, v1
	global_store_dwordx2 v[2:3], v[4:5], off
	s_endpgm
	.section	.rodata,"a",@progbits
	.p2align	6, 0x0
	.amdhsa_kernel _ZN7rocprim17ROCPRIM_400000_NS6detail30init_device_scan_by_key_kernelINS1_19lookback_scan_stateINS0_5tupleIJtbEEELb1ELb1EEENS1_16block_id_wrapperIjLb1EEEEEvT_jjPNS9_10value_typeET0_
		.amdhsa_group_segment_fixed_size 0
		.amdhsa_private_segment_fixed_size 0
		.amdhsa_kernarg_size 288
		.amdhsa_user_sgpr_count 2
		.amdhsa_user_sgpr_dispatch_ptr 0
		.amdhsa_user_sgpr_queue_ptr 0
		.amdhsa_user_sgpr_kernarg_segment_ptr 1
		.amdhsa_user_sgpr_dispatch_id 0
		.amdhsa_user_sgpr_kernarg_preload_length 0
		.amdhsa_user_sgpr_kernarg_preload_offset 0
		.amdhsa_user_sgpr_private_segment_size 0
		.amdhsa_uses_dynamic_stack 0
		.amdhsa_enable_private_segment 0
		.amdhsa_system_sgpr_workgroup_id_x 1
		.amdhsa_system_sgpr_workgroup_id_y 0
		.amdhsa_system_sgpr_workgroup_id_z 0
		.amdhsa_system_sgpr_workgroup_info 0
		.amdhsa_system_vgpr_workitem_id 0
		.amdhsa_next_free_vgpr 6
		.amdhsa_next_free_sgpr 14
		.amdhsa_accum_offset 8
		.amdhsa_reserve_vcc 1
		.amdhsa_float_round_mode_32 0
		.amdhsa_float_round_mode_16_64 0
		.amdhsa_float_denorm_mode_32 3
		.amdhsa_float_denorm_mode_16_64 3
		.amdhsa_dx10_clamp 1
		.amdhsa_ieee_mode 1
		.amdhsa_fp16_overflow 0
		.amdhsa_tg_split 0
		.amdhsa_exception_fp_ieee_invalid_op 0
		.amdhsa_exception_fp_denorm_src 0
		.amdhsa_exception_fp_ieee_div_zero 0
		.amdhsa_exception_fp_ieee_overflow 0
		.amdhsa_exception_fp_ieee_underflow 0
		.amdhsa_exception_fp_ieee_inexact 0
		.amdhsa_exception_int_div_zero 0
	.end_amdhsa_kernel
	.section	.text._ZN7rocprim17ROCPRIM_400000_NS6detail30init_device_scan_by_key_kernelINS1_19lookback_scan_stateINS0_5tupleIJtbEEELb1ELb1EEENS1_16block_id_wrapperIjLb1EEEEEvT_jjPNS9_10value_typeET0_,"axG",@progbits,_ZN7rocprim17ROCPRIM_400000_NS6detail30init_device_scan_by_key_kernelINS1_19lookback_scan_stateINS0_5tupleIJtbEEELb1ELb1EEENS1_16block_id_wrapperIjLb1EEEEEvT_jjPNS9_10value_typeET0_,comdat
.Lfunc_end1277:
	.size	_ZN7rocprim17ROCPRIM_400000_NS6detail30init_device_scan_by_key_kernelINS1_19lookback_scan_stateINS0_5tupleIJtbEEELb1ELb1EEENS1_16block_id_wrapperIjLb1EEEEEvT_jjPNS9_10value_typeET0_, .Lfunc_end1277-_ZN7rocprim17ROCPRIM_400000_NS6detail30init_device_scan_by_key_kernelINS1_19lookback_scan_stateINS0_5tupleIJtbEEELb1ELb1EEENS1_16block_id_wrapperIjLb1EEEEEvT_jjPNS9_10value_typeET0_
                                        ; -- End function
	.section	.AMDGPU.csdata,"",@progbits
; Kernel info:
; codeLenInByte = 364
; NumSgprs: 20
; NumVgprs: 6
; NumAgprs: 0
; TotalNumVgprs: 6
; ScratchSize: 0
; MemoryBound: 0
; FloatMode: 240
; IeeeMode: 1
; LDSByteSize: 0 bytes/workgroup (compile time only)
; SGPRBlocks: 2
; VGPRBlocks: 0
; NumSGPRsForWavesPerEU: 20
; NumVGPRsForWavesPerEU: 6
; AccumOffset: 8
; Occupancy: 8
; WaveLimiterHint : 0
; COMPUTE_PGM_RSRC2:SCRATCH_EN: 0
; COMPUTE_PGM_RSRC2:USER_SGPR: 2
; COMPUTE_PGM_RSRC2:TRAP_HANDLER: 0
; COMPUTE_PGM_RSRC2:TGID_X_EN: 1
; COMPUTE_PGM_RSRC2:TGID_Y_EN: 0
; COMPUTE_PGM_RSRC2:TGID_Z_EN: 0
; COMPUTE_PGM_RSRC2:TIDIG_COMP_CNT: 0
; COMPUTE_PGM_RSRC3_GFX90A:ACCUM_OFFSET: 1
; COMPUTE_PGM_RSRC3_GFX90A:TG_SPLIT: 0
	.section	.text._ZN7rocprim17ROCPRIM_400000_NS6detail17trampoline_kernelINS0_14default_configENS1_27scan_by_key_config_selectorIitEEZZNS1_16scan_by_key_implILNS1_25lookback_scan_determinismE0ELb0ES3_N6thrust23THRUST_200600_302600_NS6detail15normal_iteratorINS9_10device_ptrIiEEEENSB_INSC_ItEEEESG_tNS9_4plusIvEENS9_8equal_toIvEEtEE10hipError_tPvRmT2_T3_T4_T5_mT6_T7_P12ihipStream_tbENKUlT_T0_E_clISt17integral_constantIbLb1EES11_EEDaSW_SX_EUlSW_E_NS1_11comp_targetILNS1_3genE0ELNS1_11target_archE4294967295ELNS1_3gpuE0ELNS1_3repE0EEENS1_30default_config_static_selectorELNS0_4arch9wavefront6targetE1EEEvT1_,"axG",@progbits,_ZN7rocprim17ROCPRIM_400000_NS6detail17trampoline_kernelINS0_14default_configENS1_27scan_by_key_config_selectorIitEEZZNS1_16scan_by_key_implILNS1_25lookback_scan_determinismE0ELb0ES3_N6thrust23THRUST_200600_302600_NS6detail15normal_iteratorINS9_10device_ptrIiEEEENSB_INSC_ItEEEESG_tNS9_4plusIvEENS9_8equal_toIvEEtEE10hipError_tPvRmT2_T3_T4_T5_mT6_T7_P12ihipStream_tbENKUlT_T0_E_clISt17integral_constantIbLb1EES11_EEDaSW_SX_EUlSW_E_NS1_11comp_targetILNS1_3genE0ELNS1_11target_archE4294967295ELNS1_3gpuE0ELNS1_3repE0EEENS1_30default_config_static_selectorELNS0_4arch9wavefront6targetE1EEEvT1_,comdat
	.protected	_ZN7rocprim17ROCPRIM_400000_NS6detail17trampoline_kernelINS0_14default_configENS1_27scan_by_key_config_selectorIitEEZZNS1_16scan_by_key_implILNS1_25lookback_scan_determinismE0ELb0ES3_N6thrust23THRUST_200600_302600_NS6detail15normal_iteratorINS9_10device_ptrIiEEEENSB_INSC_ItEEEESG_tNS9_4plusIvEENS9_8equal_toIvEEtEE10hipError_tPvRmT2_T3_T4_T5_mT6_T7_P12ihipStream_tbENKUlT_T0_E_clISt17integral_constantIbLb1EES11_EEDaSW_SX_EUlSW_E_NS1_11comp_targetILNS1_3genE0ELNS1_11target_archE4294967295ELNS1_3gpuE0ELNS1_3repE0EEENS1_30default_config_static_selectorELNS0_4arch9wavefront6targetE1EEEvT1_ ; -- Begin function _ZN7rocprim17ROCPRIM_400000_NS6detail17trampoline_kernelINS0_14default_configENS1_27scan_by_key_config_selectorIitEEZZNS1_16scan_by_key_implILNS1_25lookback_scan_determinismE0ELb0ES3_N6thrust23THRUST_200600_302600_NS6detail15normal_iteratorINS9_10device_ptrIiEEEENSB_INSC_ItEEEESG_tNS9_4plusIvEENS9_8equal_toIvEEtEE10hipError_tPvRmT2_T3_T4_T5_mT6_T7_P12ihipStream_tbENKUlT_T0_E_clISt17integral_constantIbLb1EES11_EEDaSW_SX_EUlSW_E_NS1_11comp_targetILNS1_3genE0ELNS1_11target_archE4294967295ELNS1_3gpuE0ELNS1_3repE0EEENS1_30default_config_static_selectorELNS0_4arch9wavefront6targetE1EEEvT1_
	.globl	_ZN7rocprim17ROCPRIM_400000_NS6detail17trampoline_kernelINS0_14default_configENS1_27scan_by_key_config_selectorIitEEZZNS1_16scan_by_key_implILNS1_25lookback_scan_determinismE0ELb0ES3_N6thrust23THRUST_200600_302600_NS6detail15normal_iteratorINS9_10device_ptrIiEEEENSB_INSC_ItEEEESG_tNS9_4plusIvEENS9_8equal_toIvEEtEE10hipError_tPvRmT2_T3_T4_T5_mT6_T7_P12ihipStream_tbENKUlT_T0_E_clISt17integral_constantIbLb1EES11_EEDaSW_SX_EUlSW_E_NS1_11comp_targetILNS1_3genE0ELNS1_11target_archE4294967295ELNS1_3gpuE0ELNS1_3repE0EEENS1_30default_config_static_selectorELNS0_4arch9wavefront6targetE1EEEvT1_
	.p2align	8
	.type	_ZN7rocprim17ROCPRIM_400000_NS6detail17trampoline_kernelINS0_14default_configENS1_27scan_by_key_config_selectorIitEEZZNS1_16scan_by_key_implILNS1_25lookback_scan_determinismE0ELb0ES3_N6thrust23THRUST_200600_302600_NS6detail15normal_iteratorINS9_10device_ptrIiEEEENSB_INSC_ItEEEESG_tNS9_4plusIvEENS9_8equal_toIvEEtEE10hipError_tPvRmT2_T3_T4_T5_mT6_T7_P12ihipStream_tbENKUlT_T0_E_clISt17integral_constantIbLb1EES11_EEDaSW_SX_EUlSW_E_NS1_11comp_targetILNS1_3genE0ELNS1_11target_archE4294967295ELNS1_3gpuE0ELNS1_3repE0EEENS1_30default_config_static_selectorELNS0_4arch9wavefront6targetE1EEEvT1_,@function
_ZN7rocprim17ROCPRIM_400000_NS6detail17trampoline_kernelINS0_14default_configENS1_27scan_by_key_config_selectorIitEEZZNS1_16scan_by_key_implILNS1_25lookback_scan_determinismE0ELb0ES3_N6thrust23THRUST_200600_302600_NS6detail15normal_iteratorINS9_10device_ptrIiEEEENSB_INSC_ItEEEESG_tNS9_4plusIvEENS9_8equal_toIvEEtEE10hipError_tPvRmT2_T3_T4_T5_mT6_T7_P12ihipStream_tbENKUlT_T0_E_clISt17integral_constantIbLb1EES11_EEDaSW_SX_EUlSW_E_NS1_11comp_targetILNS1_3genE0ELNS1_11target_archE4294967295ELNS1_3gpuE0ELNS1_3repE0EEENS1_30default_config_static_selectorELNS0_4arch9wavefront6targetE1EEEvT1_: ; @_ZN7rocprim17ROCPRIM_400000_NS6detail17trampoline_kernelINS0_14default_configENS1_27scan_by_key_config_selectorIitEEZZNS1_16scan_by_key_implILNS1_25lookback_scan_determinismE0ELb0ES3_N6thrust23THRUST_200600_302600_NS6detail15normal_iteratorINS9_10device_ptrIiEEEENSB_INSC_ItEEEESG_tNS9_4plusIvEENS9_8equal_toIvEEtEE10hipError_tPvRmT2_T3_T4_T5_mT6_T7_P12ihipStream_tbENKUlT_T0_E_clISt17integral_constantIbLb1EES11_EEDaSW_SX_EUlSW_E_NS1_11comp_targetILNS1_3genE0ELNS1_11target_archE4294967295ELNS1_3gpuE0ELNS1_3repE0EEENS1_30default_config_static_selectorELNS0_4arch9wavefront6targetE1EEEvT1_
; %bb.0:
	.section	.rodata,"a",@progbits
	.p2align	6, 0x0
	.amdhsa_kernel _ZN7rocprim17ROCPRIM_400000_NS6detail17trampoline_kernelINS0_14default_configENS1_27scan_by_key_config_selectorIitEEZZNS1_16scan_by_key_implILNS1_25lookback_scan_determinismE0ELb0ES3_N6thrust23THRUST_200600_302600_NS6detail15normal_iteratorINS9_10device_ptrIiEEEENSB_INSC_ItEEEESG_tNS9_4plusIvEENS9_8equal_toIvEEtEE10hipError_tPvRmT2_T3_T4_T5_mT6_T7_P12ihipStream_tbENKUlT_T0_E_clISt17integral_constantIbLb1EES11_EEDaSW_SX_EUlSW_E_NS1_11comp_targetILNS1_3genE0ELNS1_11target_archE4294967295ELNS1_3gpuE0ELNS1_3repE0EEENS1_30default_config_static_selectorELNS0_4arch9wavefront6targetE1EEEvT1_
		.amdhsa_group_segment_fixed_size 0
		.amdhsa_private_segment_fixed_size 0
		.amdhsa_kernarg_size 112
		.amdhsa_user_sgpr_count 2
		.amdhsa_user_sgpr_dispatch_ptr 0
		.amdhsa_user_sgpr_queue_ptr 0
		.amdhsa_user_sgpr_kernarg_segment_ptr 1
		.amdhsa_user_sgpr_dispatch_id 0
		.amdhsa_user_sgpr_kernarg_preload_length 0
		.amdhsa_user_sgpr_kernarg_preload_offset 0
		.amdhsa_user_sgpr_private_segment_size 0
		.amdhsa_uses_dynamic_stack 0
		.amdhsa_enable_private_segment 0
		.amdhsa_system_sgpr_workgroup_id_x 1
		.amdhsa_system_sgpr_workgroup_id_y 0
		.amdhsa_system_sgpr_workgroup_id_z 0
		.amdhsa_system_sgpr_workgroup_info 0
		.amdhsa_system_vgpr_workitem_id 0
		.amdhsa_next_free_vgpr 1
		.amdhsa_next_free_sgpr 0
		.amdhsa_accum_offset 4
		.amdhsa_reserve_vcc 0
		.amdhsa_float_round_mode_32 0
		.amdhsa_float_round_mode_16_64 0
		.amdhsa_float_denorm_mode_32 3
		.amdhsa_float_denorm_mode_16_64 3
		.amdhsa_dx10_clamp 1
		.amdhsa_ieee_mode 1
		.amdhsa_fp16_overflow 0
		.amdhsa_tg_split 0
		.amdhsa_exception_fp_ieee_invalid_op 0
		.amdhsa_exception_fp_denorm_src 0
		.amdhsa_exception_fp_ieee_div_zero 0
		.amdhsa_exception_fp_ieee_overflow 0
		.amdhsa_exception_fp_ieee_underflow 0
		.amdhsa_exception_fp_ieee_inexact 0
		.amdhsa_exception_int_div_zero 0
	.end_amdhsa_kernel
	.section	.text._ZN7rocprim17ROCPRIM_400000_NS6detail17trampoline_kernelINS0_14default_configENS1_27scan_by_key_config_selectorIitEEZZNS1_16scan_by_key_implILNS1_25lookback_scan_determinismE0ELb0ES3_N6thrust23THRUST_200600_302600_NS6detail15normal_iteratorINS9_10device_ptrIiEEEENSB_INSC_ItEEEESG_tNS9_4plusIvEENS9_8equal_toIvEEtEE10hipError_tPvRmT2_T3_T4_T5_mT6_T7_P12ihipStream_tbENKUlT_T0_E_clISt17integral_constantIbLb1EES11_EEDaSW_SX_EUlSW_E_NS1_11comp_targetILNS1_3genE0ELNS1_11target_archE4294967295ELNS1_3gpuE0ELNS1_3repE0EEENS1_30default_config_static_selectorELNS0_4arch9wavefront6targetE1EEEvT1_,"axG",@progbits,_ZN7rocprim17ROCPRIM_400000_NS6detail17trampoline_kernelINS0_14default_configENS1_27scan_by_key_config_selectorIitEEZZNS1_16scan_by_key_implILNS1_25lookback_scan_determinismE0ELb0ES3_N6thrust23THRUST_200600_302600_NS6detail15normal_iteratorINS9_10device_ptrIiEEEENSB_INSC_ItEEEESG_tNS9_4plusIvEENS9_8equal_toIvEEtEE10hipError_tPvRmT2_T3_T4_T5_mT6_T7_P12ihipStream_tbENKUlT_T0_E_clISt17integral_constantIbLb1EES11_EEDaSW_SX_EUlSW_E_NS1_11comp_targetILNS1_3genE0ELNS1_11target_archE4294967295ELNS1_3gpuE0ELNS1_3repE0EEENS1_30default_config_static_selectorELNS0_4arch9wavefront6targetE1EEEvT1_,comdat
.Lfunc_end1278:
	.size	_ZN7rocprim17ROCPRIM_400000_NS6detail17trampoline_kernelINS0_14default_configENS1_27scan_by_key_config_selectorIitEEZZNS1_16scan_by_key_implILNS1_25lookback_scan_determinismE0ELb0ES3_N6thrust23THRUST_200600_302600_NS6detail15normal_iteratorINS9_10device_ptrIiEEEENSB_INSC_ItEEEESG_tNS9_4plusIvEENS9_8equal_toIvEEtEE10hipError_tPvRmT2_T3_T4_T5_mT6_T7_P12ihipStream_tbENKUlT_T0_E_clISt17integral_constantIbLb1EES11_EEDaSW_SX_EUlSW_E_NS1_11comp_targetILNS1_3genE0ELNS1_11target_archE4294967295ELNS1_3gpuE0ELNS1_3repE0EEENS1_30default_config_static_selectorELNS0_4arch9wavefront6targetE1EEEvT1_, .Lfunc_end1278-_ZN7rocprim17ROCPRIM_400000_NS6detail17trampoline_kernelINS0_14default_configENS1_27scan_by_key_config_selectorIitEEZZNS1_16scan_by_key_implILNS1_25lookback_scan_determinismE0ELb0ES3_N6thrust23THRUST_200600_302600_NS6detail15normal_iteratorINS9_10device_ptrIiEEEENSB_INSC_ItEEEESG_tNS9_4plusIvEENS9_8equal_toIvEEtEE10hipError_tPvRmT2_T3_T4_T5_mT6_T7_P12ihipStream_tbENKUlT_T0_E_clISt17integral_constantIbLb1EES11_EEDaSW_SX_EUlSW_E_NS1_11comp_targetILNS1_3genE0ELNS1_11target_archE4294967295ELNS1_3gpuE0ELNS1_3repE0EEENS1_30default_config_static_selectorELNS0_4arch9wavefront6targetE1EEEvT1_
                                        ; -- End function
	.section	.AMDGPU.csdata,"",@progbits
; Kernel info:
; codeLenInByte = 0
; NumSgprs: 6
; NumVgprs: 0
; NumAgprs: 0
; TotalNumVgprs: 0
; ScratchSize: 0
; MemoryBound: 0
; FloatMode: 240
; IeeeMode: 1
; LDSByteSize: 0 bytes/workgroup (compile time only)
; SGPRBlocks: 0
; VGPRBlocks: 0
; NumSGPRsForWavesPerEU: 6
; NumVGPRsForWavesPerEU: 1
; AccumOffset: 4
; Occupancy: 8
; WaveLimiterHint : 0
; COMPUTE_PGM_RSRC2:SCRATCH_EN: 0
; COMPUTE_PGM_RSRC2:USER_SGPR: 2
; COMPUTE_PGM_RSRC2:TRAP_HANDLER: 0
; COMPUTE_PGM_RSRC2:TGID_X_EN: 1
; COMPUTE_PGM_RSRC2:TGID_Y_EN: 0
; COMPUTE_PGM_RSRC2:TGID_Z_EN: 0
; COMPUTE_PGM_RSRC2:TIDIG_COMP_CNT: 0
; COMPUTE_PGM_RSRC3_GFX90A:ACCUM_OFFSET: 0
; COMPUTE_PGM_RSRC3_GFX90A:TG_SPLIT: 0
	.section	.text._ZN7rocprim17ROCPRIM_400000_NS6detail17trampoline_kernelINS0_14default_configENS1_27scan_by_key_config_selectorIitEEZZNS1_16scan_by_key_implILNS1_25lookback_scan_determinismE0ELb0ES3_N6thrust23THRUST_200600_302600_NS6detail15normal_iteratorINS9_10device_ptrIiEEEENSB_INSC_ItEEEESG_tNS9_4plusIvEENS9_8equal_toIvEEtEE10hipError_tPvRmT2_T3_T4_T5_mT6_T7_P12ihipStream_tbENKUlT_T0_E_clISt17integral_constantIbLb1EES11_EEDaSW_SX_EUlSW_E_NS1_11comp_targetILNS1_3genE10ELNS1_11target_archE1201ELNS1_3gpuE5ELNS1_3repE0EEENS1_30default_config_static_selectorELNS0_4arch9wavefront6targetE1EEEvT1_,"axG",@progbits,_ZN7rocprim17ROCPRIM_400000_NS6detail17trampoline_kernelINS0_14default_configENS1_27scan_by_key_config_selectorIitEEZZNS1_16scan_by_key_implILNS1_25lookback_scan_determinismE0ELb0ES3_N6thrust23THRUST_200600_302600_NS6detail15normal_iteratorINS9_10device_ptrIiEEEENSB_INSC_ItEEEESG_tNS9_4plusIvEENS9_8equal_toIvEEtEE10hipError_tPvRmT2_T3_T4_T5_mT6_T7_P12ihipStream_tbENKUlT_T0_E_clISt17integral_constantIbLb1EES11_EEDaSW_SX_EUlSW_E_NS1_11comp_targetILNS1_3genE10ELNS1_11target_archE1201ELNS1_3gpuE5ELNS1_3repE0EEENS1_30default_config_static_selectorELNS0_4arch9wavefront6targetE1EEEvT1_,comdat
	.protected	_ZN7rocprim17ROCPRIM_400000_NS6detail17trampoline_kernelINS0_14default_configENS1_27scan_by_key_config_selectorIitEEZZNS1_16scan_by_key_implILNS1_25lookback_scan_determinismE0ELb0ES3_N6thrust23THRUST_200600_302600_NS6detail15normal_iteratorINS9_10device_ptrIiEEEENSB_INSC_ItEEEESG_tNS9_4plusIvEENS9_8equal_toIvEEtEE10hipError_tPvRmT2_T3_T4_T5_mT6_T7_P12ihipStream_tbENKUlT_T0_E_clISt17integral_constantIbLb1EES11_EEDaSW_SX_EUlSW_E_NS1_11comp_targetILNS1_3genE10ELNS1_11target_archE1201ELNS1_3gpuE5ELNS1_3repE0EEENS1_30default_config_static_selectorELNS0_4arch9wavefront6targetE1EEEvT1_ ; -- Begin function _ZN7rocprim17ROCPRIM_400000_NS6detail17trampoline_kernelINS0_14default_configENS1_27scan_by_key_config_selectorIitEEZZNS1_16scan_by_key_implILNS1_25lookback_scan_determinismE0ELb0ES3_N6thrust23THRUST_200600_302600_NS6detail15normal_iteratorINS9_10device_ptrIiEEEENSB_INSC_ItEEEESG_tNS9_4plusIvEENS9_8equal_toIvEEtEE10hipError_tPvRmT2_T3_T4_T5_mT6_T7_P12ihipStream_tbENKUlT_T0_E_clISt17integral_constantIbLb1EES11_EEDaSW_SX_EUlSW_E_NS1_11comp_targetILNS1_3genE10ELNS1_11target_archE1201ELNS1_3gpuE5ELNS1_3repE0EEENS1_30default_config_static_selectorELNS0_4arch9wavefront6targetE1EEEvT1_
	.globl	_ZN7rocprim17ROCPRIM_400000_NS6detail17trampoline_kernelINS0_14default_configENS1_27scan_by_key_config_selectorIitEEZZNS1_16scan_by_key_implILNS1_25lookback_scan_determinismE0ELb0ES3_N6thrust23THRUST_200600_302600_NS6detail15normal_iteratorINS9_10device_ptrIiEEEENSB_INSC_ItEEEESG_tNS9_4plusIvEENS9_8equal_toIvEEtEE10hipError_tPvRmT2_T3_T4_T5_mT6_T7_P12ihipStream_tbENKUlT_T0_E_clISt17integral_constantIbLb1EES11_EEDaSW_SX_EUlSW_E_NS1_11comp_targetILNS1_3genE10ELNS1_11target_archE1201ELNS1_3gpuE5ELNS1_3repE0EEENS1_30default_config_static_selectorELNS0_4arch9wavefront6targetE1EEEvT1_
	.p2align	8
	.type	_ZN7rocprim17ROCPRIM_400000_NS6detail17trampoline_kernelINS0_14default_configENS1_27scan_by_key_config_selectorIitEEZZNS1_16scan_by_key_implILNS1_25lookback_scan_determinismE0ELb0ES3_N6thrust23THRUST_200600_302600_NS6detail15normal_iteratorINS9_10device_ptrIiEEEENSB_INSC_ItEEEESG_tNS9_4plusIvEENS9_8equal_toIvEEtEE10hipError_tPvRmT2_T3_T4_T5_mT6_T7_P12ihipStream_tbENKUlT_T0_E_clISt17integral_constantIbLb1EES11_EEDaSW_SX_EUlSW_E_NS1_11comp_targetILNS1_3genE10ELNS1_11target_archE1201ELNS1_3gpuE5ELNS1_3repE0EEENS1_30default_config_static_selectorELNS0_4arch9wavefront6targetE1EEEvT1_,@function
_ZN7rocprim17ROCPRIM_400000_NS6detail17trampoline_kernelINS0_14default_configENS1_27scan_by_key_config_selectorIitEEZZNS1_16scan_by_key_implILNS1_25lookback_scan_determinismE0ELb0ES3_N6thrust23THRUST_200600_302600_NS6detail15normal_iteratorINS9_10device_ptrIiEEEENSB_INSC_ItEEEESG_tNS9_4plusIvEENS9_8equal_toIvEEtEE10hipError_tPvRmT2_T3_T4_T5_mT6_T7_P12ihipStream_tbENKUlT_T0_E_clISt17integral_constantIbLb1EES11_EEDaSW_SX_EUlSW_E_NS1_11comp_targetILNS1_3genE10ELNS1_11target_archE1201ELNS1_3gpuE5ELNS1_3repE0EEENS1_30default_config_static_selectorELNS0_4arch9wavefront6targetE1EEEvT1_: ; @_ZN7rocprim17ROCPRIM_400000_NS6detail17trampoline_kernelINS0_14default_configENS1_27scan_by_key_config_selectorIitEEZZNS1_16scan_by_key_implILNS1_25lookback_scan_determinismE0ELb0ES3_N6thrust23THRUST_200600_302600_NS6detail15normal_iteratorINS9_10device_ptrIiEEEENSB_INSC_ItEEEESG_tNS9_4plusIvEENS9_8equal_toIvEEtEE10hipError_tPvRmT2_T3_T4_T5_mT6_T7_P12ihipStream_tbENKUlT_T0_E_clISt17integral_constantIbLb1EES11_EEDaSW_SX_EUlSW_E_NS1_11comp_targetILNS1_3genE10ELNS1_11target_archE1201ELNS1_3gpuE5ELNS1_3repE0EEENS1_30default_config_static_selectorELNS0_4arch9wavefront6targetE1EEEvT1_
; %bb.0:
	.section	.rodata,"a",@progbits
	.p2align	6, 0x0
	.amdhsa_kernel _ZN7rocprim17ROCPRIM_400000_NS6detail17trampoline_kernelINS0_14default_configENS1_27scan_by_key_config_selectorIitEEZZNS1_16scan_by_key_implILNS1_25lookback_scan_determinismE0ELb0ES3_N6thrust23THRUST_200600_302600_NS6detail15normal_iteratorINS9_10device_ptrIiEEEENSB_INSC_ItEEEESG_tNS9_4plusIvEENS9_8equal_toIvEEtEE10hipError_tPvRmT2_T3_T4_T5_mT6_T7_P12ihipStream_tbENKUlT_T0_E_clISt17integral_constantIbLb1EES11_EEDaSW_SX_EUlSW_E_NS1_11comp_targetILNS1_3genE10ELNS1_11target_archE1201ELNS1_3gpuE5ELNS1_3repE0EEENS1_30default_config_static_selectorELNS0_4arch9wavefront6targetE1EEEvT1_
		.amdhsa_group_segment_fixed_size 0
		.amdhsa_private_segment_fixed_size 0
		.amdhsa_kernarg_size 112
		.amdhsa_user_sgpr_count 2
		.amdhsa_user_sgpr_dispatch_ptr 0
		.amdhsa_user_sgpr_queue_ptr 0
		.amdhsa_user_sgpr_kernarg_segment_ptr 1
		.amdhsa_user_sgpr_dispatch_id 0
		.amdhsa_user_sgpr_kernarg_preload_length 0
		.amdhsa_user_sgpr_kernarg_preload_offset 0
		.amdhsa_user_sgpr_private_segment_size 0
		.amdhsa_uses_dynamic_stack 0
		.amdhsa_enable_private_segment 0
		.amdhsa_system_sgpr_workgroup_id_x 1
		.amdhsa_system_sgpr_workgroup_id_y 0
		.amdhsa_system_sgpr_workgroup_id_z 0
		.amdhsa_system_sgpr_workgroup_info 0
		.amdhsa_system_vgpr_workitem_id 0
		.amdhsa_next_free_vgpr 1
		.amdhsa_next_free_sgpr 0
		.amdhsa_accum_offset 4
		.amdhsa_reserve_vcc 0
		.amdhsa_float_round_mode_32 0
		.amdhsa_float_round_mode_16_64 0
		.amdhsa_float_denorm_mode_32 3
		.amdhsa_float_denorm_mode_16_64 3
		.amdhsa_dx10_clamp 1
		.amdhsa_ieee_mode 1
		.amdhsa_fp16_overflow 0
		.amdhsa_tg_split 0
		.amdhsa_exception_fp_ieee_invalid_op 0
		.amdhsa_exception_fp_denorm_src 0
		.amdhsa_exception_fp_ieee_div_zero 0
		.amdhsa_exception_fp_ieee_overflow 0
		.amdhsa_exception_fp_ieee_underflow 0
		.amdhsa_exception_fp_ieee_inexact 0
		.amdhsa_exception_int_div_zero 0
	.end_amdhsa_kernel
	.section	.text._ZN7rocprim17ROCPRIM_400000_NS6detail17trampoline_kernelINS0_14default_configENS1_27scan_by_key_config_selectorIitEEZZNS1_16scan_by_key_implILNS1_25lookback_scan_determinismE0ELb0ES3_N6thrust23THRUST_200600_302600_NS6detail15normal_iteratorINS9_10device_ptrIiEEEENSB_INSC_ItEEEESG_tNS9_4plusIvEENS9_8equal_toIvEEtEE10hipError_tPvRmT2_T3_T4_T5_mT6_T7_P12ihipStream_tbENKUlT_T0_E_clISt17integral_constantIbLb1EES11_EEDaSW_SX_EUlSW_E_NS1_11comp_targetILNS1_3genE10ELNS1_11target_archE1201ELNS1_3gpuE5ELNS1_3repE0EEENS1_30default_config_static_selectorELNS0_4arch9wavefront6targetE1EEEvT1_,"axG",@progbits,_ZN7rocprim17ROCPRIM_400000_NS6detail17trampoline_kernelINS0_14default_configENS1_27scan_by_key_config_selectorIitEEZZNS1_16scan_by_key_implILNS1_25lookback_scan_determinismE0ELb0ES3_N6thrust23THRUST_200600_302600_NS6detail15normal_iteratorINS9_10device_ptrIiEEEENSB_INSC_ItEEEESG_tNS9_4plusIvEENS9_8equal_toIvEEtEE10hipError_tPvRmT2_T3_T4_T5_mT6_T7_P12ihipStream_tbENKUlT_T0_E_clISt17integral_constantIbLb1EES11_EEDaSW_SX_EUlSW_E_NS1_11comp_targetILNS1_3genE10ELNS1_11target_archE1201ELNS1_3gpuE5ELNS1_3repE0EEENS1_30default_config_static_selectorELNS0_4arch9wavefront6targetE1EEEvT1_,comdat
.Lfunc_end1279:
	.size	_ZN7rocprim17ROCPRIM_400000_NS6detail17trampoline_kernelINS0_14default_configENS1_27scan_by_key_config_selectorIitEEZZNS1_16scan_by_key_implILNS1_25lookback_scan_determinismE0ELb0ES3_N6thrust23THRUST_200600_302600_NS6detail15normal_iteratorINS9_10device_ptrIiEEEENSB_INSC_ItEEEESG_tNS9_4plusIvEENS9_8equal_toIvEEtEE10hipError_tPvRmT2_T3_T4_T5_mT6_T7_P12ihipStream_tbENKUlT_T0_E_clISt17integral_constantIbLb1EES11_EEDaSW_SX_EUlSW_E_NS1_11comp_targetILNS1_3genE10ELNS1_11target_archE1201ELNS1_3gpuE5ELNS1_3repE0EEENS1_30default_config_static_selectorELNS0_4arch9wavefront6targetE1EEEvT1_, .Lfunc_end1279-_ZN7rocprim17ROCPRIM_400000_NS6detail17trampoline_kernelINS0_14default_configENS1_27scan_by_key_config_selectorIitEEZZNS1_16scan_by_key_implILNS1_25lookback_scan_determinismE0ELb0ES3_N6thrust23THRUST_200600_302600_NS6detail15normal_iteratorINS9_10device_ptrIiEEEENSB_INSC_ItEEEESG_tNS9_4plusIvEENS9_8equal_toIvEEtEE10hipError_tPvRmT2_T3_T4_T5_mT6_T7_P12ihipStream_tbENKUlT_T0_E_clISt17integral_constantIbLb1EES11_EEDaSW_SX_EUlSW_E_NS1_11comp_targetILNS1_3genE10ELNS1_11target_archE1201ELNS1_3gpuE5ELNS1_3repE0EEENS1_30default_config_static_selectorELNS0_4arch9wavefront6targetE1EEEvT1_
                                        ; -- End function
	.section	.AMDGPU.csdata,"",@progbits
; Kernel info:
; codeLenInByte = 0
; NumSgprs: 6
; NumVgprs: 0
; NumAgprs: 0
; TotalNumVgprs: 0
; ScratchSize: 0
; MemoryBound: 0
; FloatMode: 240
; IeeeMode: 1
; LDSByteSize: 0 bytes/workgroup (compile time only)
; SGPRBlocks: 0
; VGPRBlocks: 0
; NumSGPRsForWavesPerEU: 6
; NumVGPRsForWavesPerEU: 1
; AccumOffset: 4
; Occupancy: 8
; WaveLimiterHint : 0
; COMPUTE_PGM_RSRC2:SCRATCH_EN: 0
; COMPUTE_PGM_RSRC2:USER_SGPR: 2
; COMPUTE_PGM_RSRC2:TRAP_HANDLER: 0
; COMPUTE_PGM_RSRC2:TGID_X_EN: 1
; COMPUTE_PGM_RSRC2:TGID_Y_EN: 0
; COMPUTE_PGM_RSRC2:TGID_Z_EN: 0
; COMPUTE_PGM_RSRC2:TIDIG_COMP_CNT: 0
; COMPUTE_PGM_RSRC3_GFX90A:ACCUM_OFFSET: 0
; COMPUTE_PGM_RSRC3_GFX90A:TG_SPLIT: 0
	.section	.text._ZN7rocprim17ROCPRIM_400000_NS6detail17trampoline_kernelINS0_14default_configENS1_27scan_by_key_config_selectorIitEEZZNS1_16scan_by_key_implILNS1_25lookback_scan_determinismE0ELb0ES3_N6thrust23THRUST_200600_302600_NS6detail15normal_iteratorINS9_10device_ptrIiEEEENSB_INSC_ItEEEESG_tNS9_4plusIvEENS9_8equal_toIvEEtEE10hipError_tPvRmT2_T3_T4_T5_mT6_T7_P12ihipStream_tbENKUlT_T0_E_clISt17integral_constantIbLb1EES11_EEDaSW_SX_EUlSW_E_NS1_11comp_targetILNS1_3genE5ELNS1_11target_archE942ELNS1_3gpuE9ELNS1_3repE0EEENS1_30default_config_static_selectorELNS0_4arch9wavefront6targetE1EEEvT1_,"axG",@progbits,_ZN7rocprim17ROCPRIM_400000_NS6detail17trampoline_kernelINS0_14default_configENS1_27scan_by_key_config_selectorIitEEZZNS1_16scan_by_key_implILNS1_25lookback_scan_determinismE0ELb0ES3_N6thrust23THRUST_200600_302600_NS6detail15normal_iteratorINS9_10device_ptrIiEEEENSB_INSC_ItEEEESG_tNS9_4plusIvEENS9_8equal_toIvEEtEE10hipError_tPvRmT2_T3_T4_T5_mT6_T7_P12ihipStream_tbENKUlT_T0_E_clISt17integral_constantIbLb1EES11_EEDaSW_SX_EUlSW_E_NS1_11comp_targetILNS1_3genE5ELNS1_11target_archE942ELNS1_3gpuE9ELNS1_3repE0EEENS1_30default_config_static_selectorELNS0_4arch9wavefront6targetE1EEEvT1_,comdat
	.protected	_ZN7rocprim17ROCPRIM_400000_NS6detail17trampoline_kernelINS0_14default_configENS1_27scan_by_key_config_selectorIitEEZZNS1_16scan_by_key_implILNS1_25lookback_scan_determinismE0ELb0ES3_N6thrust23THRUST_200600_302600_NS6detail15normal_iteratorINS9_10device_ptrIiEEEENSB_INSC_ItEEEESG_tNS9_4plusIvEENS9_8equal_toIvEEtEE10hipError_tPvRmT2_T3_T4_T5_mT6_T7_P12ihipStream_tbENKUlT_T0_E_clISt17integral_constantIbLb1EES11_EEDaSW_SX_EUlSW_E_NS1_11comp_targetILNS1_3genE5ELNS1_11target_archE942ELNS1_3gpuE9ELNS1_3repE0EEENS1_30default_config_static_selectorELNS0_4arch9wavefront6targetE1EEEvT1_ ; -- Begin function _ZN7rocprim17ROCPRIM_400000_NS6detail17trampoline_kernelINS0_14default_configENS1_27scan_by_key_config_selectorIitEEZZNS1_16scan_by_key_implILNS1_25lookback_scan_determinismE0ELb0ES3_N6thrust23THRUST_200600_302600_NS6detail15normal_iteratorINS9_10device_ptrIiEEEENSB_INSC_ItEEEESG_tNS9_4plusIvEENS9_8equal_toIvEEtEE10hipError_tPvRmT2_T3_T4_T5_mT6_T7_P12ihipStream_tbENKUlT_T0_E_clISt17integral_constantIbLb1EES11_EEDaSW_SX_EUlSW_E_NS1_11comp_targetILNS1_3genE5ELNS1_11target_archE942ELNS1_3gpuE9ELNS1_3repE0EEENS1_30default_config_static_selectorELNS0_4arch9wavefront6targetE1EEEvT1_
	.globl	_ZN7rocprim17ROCPRIM_400000_NS6detail17trampoline_kernelINS0_14default_configENS1_27scan_by_key_config_selectorIitEEZZNS1_16scan_by_key_implILNS1_25lookback_scan_determinismE0ELb0ES3_N6thrust23THRUST_200600_302600_NS6detail15normal_iteratorINS9_10device_ptrIiEEEENSB_INSC_ItEEEESG_tNS9_4plusIvEENS9_8equal_toIvEEtEE10hipError_tPvRmT2_T3_T4_T5_mT6_T7_P12ihipStream_tbENKUlT_T0_E_clISt17integral_constantIbLb1EES11_EEDaSW_SX_EUlSW_E_NS1_11comp_targetILNS1_3genE5ELNS1_11target_archE942ELNS1_3gpuE9ELNS1_3repE0EEENS1_30default_config_static_selectorELNS0_4arch9wavefront6targetE1EEEvT1_
	.p2align	8
	.type	_ZN7rocprim17ROCPRIM_400000_NS6detail17trampoline_kernelINS0_14default_configENS1_27scan_by_key_config_selectorIitEEZZNS1_16scan_by_key_implILNS1_25lookback_scan_determinismE0ELb0ES3_N6thrust23THRUST_200600_302600_NS6detail15normal_iteratorINS9_10device_ptrIiEEEENSB_INSC_ItEEEESG_tNS9_4plusIvEENS9_8equal_toIvEEtEE10hipError_tPvRmT2_T3_T4_T5_mT6_T7_P12ihipStream_tbENKUlT_T0_E_clISt17integral_constantIbLb1EES11_EEDaSW_SX_EUlSW_E_NS1_11comp_targetILNS1_3genE5ELNS1_11target_archE942ELNS1_3gpuE9ELNS1_3repE0EEENS1_30default_config_static_selectorELNS0_4arch9wavefront6targetE1EEEvT1_,@function
_ZN7rocprim17ROCPRIM_400000_NS6detail17trampoline_kernelINS0_14default_configENS1_27scan_by_key_config_selectorIitEEZZNS1_16scan_by_key_implILNS1_25lookback_scan_determinismE0ELb0ES3_N6thrust23THRUST_200600_302600_NS6detail15normal_iteratorINS9_10device_ptrIiEEEENSB_INSC_ItEEEESG_tNS9_4plusIvEENS9_8equal_toIvEEtEE10hipError_tPvRmT2_T3_T4_T5_mT6_T7_P12ihipStream_tbENKUlT_T0_E_clISt17integral_constantIbLb1EES11_EEDaSW_SX_EUlSW_E_NS1_11comp_targetILNS1_3genE5ELNS1_11target_archE942ELNS1_3gpuE9ELNS1_3repE0EEENS1_30default_config_static_selectorELNS0_4arch9wavefront6targetE1EEEvT1_: ; @_ZN7rocprim17ROCPRIM_400000_NS6detail17trampoline_kernelINS0_14default_configENS1_27scan_by_key_config_selectorIitEEZZNS1_16scan_by_key_implILNS1_25lookback_scan_determinismE0ELb0ES3_N6thrust23THRUST_200600_302600_NS6detail15normal_iteratorINS9_10device_ptrIiEEEENSB_INSC_ItEEEESG_tNS9_4plusIvEENS9_8equal_toIvEEtEE10hipError_tPvRmT2_T3_T4_T5_mT6_T7_P12ihipStream_tbENKUlT_T0_E_clISt17integral_constantIbLb1EES11_EEDaSW_SX_EUlSW_E_NS1_11comp_targetILNS1_3genE5ELNS1_11target_archE942ELNS1_3gpuE9ELNS1_3repE0EEENS1_30default_config_static_selectorELNS0_4arch9wavefront6targetE1EEEvT1_
; %bb.0:
	s_load_dwordx4 s[76:79], s[0:1], 0x28
	s_load_dwordx2 s[80:81], s[0:1], 0x38
	v_cmp_ne_u32_e64 s[4:5], 0, v0
	v_cmp_eq_u32_e64 s[56:57], 0, v0
	s_and_saveexec_b64 s[2:3], s[56:57]
	s_cbranch_execz .LBB1280_4
; %bb.1:
	s_mov_b64 s[8:9], exec
	v_mbcnt_lo_u32_b32 v1, s8, 0
	v_mbcnt_hi_u32_b32 v1, s9, v1
	v_cmp_eq_u32_e32 vcc, 0, v1
                                        ; implicit-def: $vgpr2
	s_and_saveexec_b64 s[6:7], vcc
	s_cbranch_execz .LBB1280_3
; %bb.2:
	s_load_dwordx2 s[10:11], s[0:1], 0x68
	s_bcnt1_i32_b64 s8, s[8:9]
	v_mov_b32_e32 v2, 0
	v_mov_b32_e32 v3, s8
	s_waitcnt lgkmcnt(0)
	global_atomic_add v2, v2, v3, s[10:11] sc0
.LBB1280_3:
	s_or_b64 exec, exec, s[6:7]
	s_waitcnt vmcnt(0)
	v_readfirstlane_b32 s6, v2
	v_mov_b32_e32 v2, 0
	s_nop 0
	v_add_u32_e32 v1, s6, v1
	ds_write_b32 v2, v1
.LBB1280_4:
	s_or_b64 exec, exec, s[2:3]
	s_load_dwordx8 s[60:67], s[0:1], 0x0
	s_load_dword s2, s[0:1], 0x40
	s_load_dwordx8 s[68:75], s[0:1], 0x48
	v_mov_b32_e32 v1, 0
	s_waitcnt lgkmcnt(0)
	s_barrier
	ds_read_b32 v1, v1
	s_lshl_b64 s[0:1], s[62:63], 2
	s_add_u32 s6, s60, s0
	s_addc_u32 s7, s61, s1
	s_lshl_b64 s[58:59], s[62:63], 1
	s_add_u32 s8, s64, s58
	s_mul_i32 s0, s81, s2
	s_mul_hi_u32 s1, s80, s2
	s_addc_u32 s9, s65, s59
	s_add_i32 s10, s1, s0
	s_waitcnt lgkmcnt(0)
	v_readfirstlane_b32 s79, v1
	s_cmp_lg_u64 s[72:73], 0
	s_mov_b32 s1, 0
	s_mul_i32 s0, s79, 0x1800
	s_mul_i32 s11, s80, s2
	s_cselect_b64 s[72:73], -1, 0
	s_lshl_b64 s[2:3], s[0:1], 2
	s_add_u32 s64, s6, s2
	s_addc_u32 s65, s7, s3
	s_lshl_b64 s[60:61], s[0:1], 1
	s_add_u32 s62, s8, s60
	s_addc_u32 s63, s9, s61
	s_add_u32 s82, s11, s79
	s_addc_u32 s83, s10, 0
	s_add_u32 s0, s68, -1
	s_addc_u32 s1, s69, -1
	v_mov_b64_e32 v[2:3], s[0:1]
	v_cmp_ge_u64_e64 s[2:3], s[82:83], v[2:3]
	s_mov_b64 s[12:13], 0
	s_mov_b64 s[6:7], -1
	s_and_b64 vcc, exec, s[2:3]
	s_mul_i32 s33, s0, 0xffffe800
	s_barrier
	s_barrier
	s_cbranch_vccz .LBB1280_131
; %bb.5:
	v_mov_b64_e32 v[2:3], s[64:65]
	flat_load_dword v2, v[2:3]
	s_add_i32 s86, s33, s78
	v_cmp_gt_u32_e64 s[6:7], s86, v0
	s_waitcnt vmcnt(0) lgkmcnt(0)
	v_mov_b32_e32 v3, v2
	s_and_saveexec_b64 s[0:1], s[6:7]
	s_cbranch_execz .LBB1280_7
; %bb.6:
	v_lshlrev_b32_e32 v4, 2, v0
	v_mov_b32_e32 v5, 0
	v_lshl_add_u64 v[4:5], s[64:65], 0, v[4:5]
	flat_load_dword v3, v[4:5]
.LBB1280_7:
	s_or_b64 exec, exec, s[0:1]
	v_or_b32_e32 v1, 0x100, v0
	v_cmp_gt_u32_e64 s[8:9], s86, v1
	v_mov_b32_e32 v19, v2
	s_and_saveexec_b64 s[0:1], s[8:9]
	s_cbranch_execz .LBB1280_9
; %bb.8:
	v_lshlrev_b32_e32 v4, 2, v0
	v_mov_b32_e32 v5, 0
	v_lshl_add_u64 v[4:5], s[64:65], 0, v[4:5]
	flat_load_dword v19, v[4:5] offset:1024
.LBB1280_9:
	s_or_b64 exec, exec, s[0:1]
	v_or_b32_e32 v1, 0x200, v0
	v_cmp_gt_u32_e64 s[10:11], s86, v1
	v_mov_b32_e32 v20, v2
	s_and_saveexec_b64 s[0:1], s[10:11]
	s_cbranch_execz .LBB1280_11
; %bb.10:
	v_lshlrev_b32_e32 v4, 2, v0
	v_mov_b32_e32 v5, 0
	v_lshl_add_u64 v[4:5], s[64:65], 0, v[4:5]
	flat_load_dword v20, v[4:5] offset:2048
.LBB1280_11:
	s_or_b64 exec, exec, s[0:1]
	v_or_b32_e32 v1, 0x300, v0
	v_cmp_gt_u32_e64 s[12:13], s86, v1
	v_mov_b32_e32 v21, v2
	s_and_saveexec_b64 s[0:1], s[12:13]
	s_cbranch_execz .LBB1280_13
; %bb.12:
	v_lshlrev_b32_e32 v4, 2, v0
	v_mov_b32_e32 v5, 0
	v_lshl_add_u64 v[4:5], s[64:65], 0, v[4:5]
	flat_load_dword v21, v[4:5] offset:3072
.LBB1280_13:
	s_or_b64 exec, exec, s[0:1]
	v_or_b32_e32 v1, 0x400, v0
	v_cmp_gt_u32_e64 s[14:15], s86, v1
	v_mov_b32_e32 v22, v2
	s_and_saveexec_b64 s[0:1], s[14:15]
	s_cbranch_execz .LBB1280_15
; %bb.14:
	v_lshlrev_b32_e32 v4, 2, v1
	v_mov_b32_e32 v5, 0
	v_lshl_add_u64 v[4:5], s[64:65], 0, v[4:5]
	flat_load_dword v22, v[4:5]
.LBB1280_15:
	s_or_b64 exec, exec, s[0:1]
	v_or_b32_e32 v1, 0x500, v0
	v_cmp_gt_u32_e64 s[16:17], s86, v1
	v_mov_b32_e32 v23, v2
	s_and_saveexec_b64 s[0:1], s[16:17]
	s_cbranch_execz .LBB1280_17
; %bb.16:
	v_lshlrev_b32_e32 v4, 2, v1
	v_mov_b32_e32 v5, 0
	v_lshl_add_u64 v[4:5], s[64:65], 0, v[4:5]
	flat_load_dword v23, v[4:5]
.LBB1280_17:
	;; [unrolled: 12-line block ×19, first 2 shown]
	s_or_b64 exec, exec, s[0:1]
	v_or_b32_e32 v18, 0x1700, v0
	v_cmp_gt_u32_e64 s[54:55], s86, v18
	s_and_saveexec_b64 s[0:1], s[54:55]
	s_cbranch_execz .LBB1280_53
; %bb.52:
	v_lshlrev_b32_e32 v42, 2, v18
	v_mov_b32_e32 v43, 0
	v_lshl_add_u64 v[42:43], s[64:65], 0, v[42:43]
	flat_load_dword v2, v[42:43]
.LBB1280_53:
	s_or_b64 exec, exec, s[0:1]
	v_lshlrev_b32_e32 v41, 2, v0
	s_movk_i32 s0, 0x5c
	s_waitcnt vmcnt(0) lgkmcnt(0)
	ds_write2st64_b32 v41, v3, v19 offset1:4
	ds_write2st64_b32 v41, v20, v21 offset0:8 offset1:12
	ds_write2st64_b32 v41, v22, v23 offset0:16 offset1:20
	;; [unrolled: 1-line block ×11, first 2 shown]
	v_mad_u32_u24 v2, v0, s0, v41
	s_waitcnt lgkmcnt(0)
	s_barrier
	ds_read_b128 v[42:45], v2
	ds_read_b128 v[38:41], v2 offset:16
	ds_read_b128 v[34:37], v2 offset:32
	;; [unrolled: 1-line block ×5, first 2 shown]
	s_cmp_eq_u64 s[82:83], 0
	s_mov_b64 s[0:1], s[64:65]
	s_cbranch_scc1 .LBB1280_57
; %bb.54:
	s_andn2_b64 vcc, exec, s[72:73]
	s_cbranch_vccnz .LBB1280_323
; %bb.55:
	s_lshl_b64 s[0:1], s[82:83], 2
	s_add_u32 s0, s74, s0
	s_addc_u32 s1, s75, s1
	s_add_u32 s0, s0, -4
	s_addc_u32 s1, s1, -1
	s_cbranch_execnz .LBB1280_57
.LBB1280_56:
	s_add_u32 s0, s64, -4
	s_addc_u32 s1, s65, -1
.LBB1280_57:
	v_mov_b64_e32 v[20:21], s[0:1]
	flat_load_dword v46, v[20:21]
	s_movk_i32 s0, 0xffa4
	v_mad_i32_i24 v19, v0, s0, v2
	s_waitcnt lgkmcnt(0)
	ds_write_b32 v19, v25 offset:24576
	s_waitcnt lgkmcnt(0)
	s_barrier
	s_and_saveexec_b64 s[0:1], s[4:5]
	s_cbranch_execz .LBB1280_59
; %bb.58:
	s_waitcnt vmcnt(0)
	ds_read_b32 v46, v19 offset:24572
.LBB1280_59:
	s_or_b64 exec, exec, s[0:1]
	v_mov_b32_e32 v3, 0
	s_waitcnt lgkmcnt(0)
	s_barrier
	s_waitcnt lgkmcnt(0)
                                        ; implicit-def: $vgpr2
	s_and_saveexec_b64 s[0:1], s[6:7]
	s_cbranch_execnz .LBB1280_300
; %bb.60:
	s_or_b64 exec, exec, s[0:1]
                                        ; implicit-def: $vgpr3
	s_and_saveexec_b64 s[0:1], s[8:9]
	s_cbranch_execnz .LBB1280_301
.LBB1280_61:
	s_or_b64 exec, exec, s[0:1]
                                        ; implicit-def: $vgpr20
	s_and_saveexec_b64 s[0:1], s[10:11]
	s_cbranch_execnz .LBB1280_302
.LBB1280_62:
	s_or_b64 exec, exec, s[0:1]
                                        ; implicit-def: $vgpr21
	s_and_saveexec_b64 s[0:1], s[12:13]
	s_cbranch_execnz .LBB1280_303
.LBB1280_63:
	s_or_b64 exec, exec, s[0:1]
                                        ; implicit-def: $vgpr47
	s_and_saveexec_b64 s[0:1], s[14:15]
	s_cbranch_execnz .LBB1280_304
.LBB1280_64:
	s_or_b64 exec, exec, s[0:1]
                                        ; implicit-def: $vgpr48
	s_and_saveexec_b64 s[0:1], s[16:17]
	s_cbranch_execnz .LBB1280_305
.LBB1280_65:
	s_or_b64 exec, exec, s[0:1]
                                        ; implicit-def: $vgpr49
	s_and_saveexec_b64 s[0:1], s[18:19]
	s_cbranch_execnz .LBB1280_306
.LBB1280_66:
	s_or_b64 exec, exec, s[0:1]
                                        ; implicit-def: $vgpr50
	s_and_saveexec_b64 s[0:1], s[20:21]
	s_cbranch_execnz .LBB1280_307
.LBB1280_67:
	s_or_b64 exec, exec, s[0:1]
                                        ; implicit-def: $vgpr51
	s_and_saveexec_b64 s[0:1], s[22:23]
	s_cbranch_execnz .LBB1280_308
.LBB1280_68:
	s_or_b64 exec, exec, s[0:1]
                                        ; implicit-def: $vgpr1
	s_and_saveexec_b64 s[0:1], s[24:25]
	s_cbranch_execnz .LBB1280_309
.LBB1280_69:
	s_or_b64 exec, exec, s[0:1]
                                        ; implicit-def: $vgpr4
	s_and_saveexec_b64 s[0:1], s[26:27]
	s_cbranch_execnz .LBB1280_310
.LBB1280_70:
	s_or_b64 exec, exec, s[0:1]
                                        ; implicit-def: $vgpr5
	s_and_saveexec_b64 s[0:1], s[28:29]
	s_cbranch_execnz .LBB1280_311
.LBB1280_71:
	s_or_b64 exec, exec, s[0:1]
                                        ; implicit-def: $vgpr6
	s_and_saveexec_b64 s[0:1], s[30:31]
	s_cbranch_execnz .LBB1280_312
.LBB1280_72:
	s_or_b64 exec, exec, s[0:1]
                                        ; implicit-def: $vgpr7
	s_and_saveexec_b64 s[0:1], s[34:35]
	s_cbranch_execnz .LBB1280_313
.LBB1280_73:
	s_or_b64 exec, exec, s[0:1]
                                        ; implicit-def: $vgpr8
	s_and_saveexec_b64 s[0:1], s[36:37]
	s_cbranch_execnz .LBB1280_314
.LBB1280_74:
	s_or_b64 exec, exec, s[0:1]
                                        ; implicit-def: $vgpr9
	s_and_saveexec_b64 s[0:1], s[38:39]
	s_cbranch_execnz .LBB1280_315
.LBB1280_75:
	s_or_b64 exec, exec, s[0:1]
                                        ; implicit-def: $vgpr10
	s_and_saveexec_b64 s[0:1], s[40:41]
	s_cbranch_execnz .LBB1280_316
.LBB1280_76:
	s_or_b64 exec, exec, s[0:1]
                                        ; implicit-def: $vgpr11
	s_and_saveexec_b64 s[0:1], s[42:43]
	s_cbranch_execnz .LBB1280_317
.LBB1280_77:
	s_or_b64 exec, exec, s[0:1]
                                        ; implicit-def: $vgpr12
	s_and_saveexec_b64 s[0:1], s[44:45]
	s_cbranch_execnz .LBB1280_318
.LBB1280_78:
	s_or_b64 exec, exec, s[0:1]
                                        ; implicit-def: $vgpr13
	s_and_saveexec_b64 s[0:1], s[46:47]
	s_cbranch_execnz .LBB1280_319
.LBB1280_79:
	s_or_b64 exec, exec, s[0:1]
                                        ; implicit-def: $vgpr14
	s_and_saveexec_b64 s[0:1], s[48:49]
	s_cbranch_execnz .LBB1280_320
.LBB1280_80:
	s_or_b64 exec, exec, s[0:1]
                                        ; implicit-def: $vgpr15
	s_and_saveexec_b64 s[0:1], s[50:51]
	s_cbranch_execnz .LBB1280_321
.LBB1280_81:
	s_or_b64 exec, exec, s[0:1]
                                        ; implicit-def: $vgpr16
	s_and_saveexec_b64 s[0:1], s[52:53]
	s_cbranch_execnz .LBB1280_322
.LBB1280_82:
	s_or_b64 exec, exec, s[0:1]
                                        ; implicit-def: $vgpr17
	s_and_saveexec_b64 s[0:1], s[54:55]
	s_cbranch_execz .LBB1280_84
.LBB1280_83:
	v_lshlrev_b32_e32 v52, 1, v18
	v_mov_b32_e32 v53, 0
	v_lshl_add_u64 v[52:53], s[62:63], 0, v[52:53]
	flat_load_ushort v17, v[52:53]
.LBB1280_84:
	s_or_b64 exec, exec, s[0:1]
	v_lshlrev_b32_e32 v18, 1, v0
	s_mov_b32 s8, 0
	v_sub_u32_e32 v54, v19, v18
	s_mov_b32 s9, s8
	s_mov_b32 s24, s8
	;; [unrolled: 1-line block ×3, first 2 shown]
	v_mul_u32_u24_e32 v53, 24, v0
	s_waitcnt vmcnt(0) lgkmcnt(0)
	ds_write_b16 v54, v2
	ds_write_b16 v54, v3 offset:512
	ds_write_b16 v54, v20 offset:1024
	;; [unrolled: 1-line block ×23, first 2 shown]
	s_mov_b32 s10, s8
	s_mov_b32 s11, s8
	;; [unrolled: 1-line block ×18, first 2 shown]
	v_mov_b64_e32 v[18:19], s[24:25]
	v_mov_b64_e32 v[2:3], s[8:9]
	v_cmp_gt_u32_e32 vcc, s86, v53
	s_mov_b64 s[6:7], 0
	v_mov_b64_e32 v[50:51], s[0:1]
	v_mov_b64_e32 v[20:21], s[26:27]
	v_mov_b64_e32 v[4:5], s[10:11]
	v_mov_b64_e32 v[6:7], s[12:13]
	v_mov_b64_e32 v[8:9], s[14:15]
	v_mov_b64_e32 v[10:11], s[16:17]
	v_mov_b64_e32 v[12:13], s[18:19]
	v_mov_b64_e32 v[14:15], s[20:21]
	v_mov_b64_e32 v[16:17], s[22:23]
	v_mov_b32_e32 v1, 0
	s_mov_b64 s[12:13], 0
	s_waitcnt lgkmcnt(0)
	s_barrier
	s_waitcnt lgkmcnt(0)
                                        ; implicit-def: $sgpr0_sgpr1
                                        ; implicit-def: $vgpr52
	s_and_saveexec_b64 s[10:11], vcc
	s_cbranch_execz .LBB1280_130
; %bb.85:
	v_mad_u32_u24 v1, v0, 46, v54
	ds_read_u16 v1, v1
	v_cmp_ne_u32_e32 vcc, v46, v42
	s_mov_b32 s12, 0
	v_or_b32_e32 v2, 1, v53
	v_cndmask_b32_e64 v3, 0, 1, vcc
	s_mov_b32 s13, s12
	s_mov_b32 s28, s12
	;; [unrolled: 1-line block ×3, first 2 shown]
	v_cmp_gt_u32_e32 vcc, s86, v2
	s_waitcnt lgkmcnt(0)
	v_lshl_or_b32 v1, v3, 16, v1
	s_mov_b32 s14, s12
	s_mov_b32 s15, s12
	s_mov_b32 s16, s12
	s_mov_b32 s17, s12
	s_mov_b32 s18, s12
	s_mov_b32 s19, s12
	s_mov_b32 s20, s12
	s_mov_b32 s21, s12
	s_mov_b32 s22, s12
	s_mov_b32 s23, s12
	s_mov_b32 s24, s12
	s_mov_b32 s25, s12
	s_mov_b32 s26, s12
	s_mov_b32 s27, s12
	s_mov_b32 s30, s12
	s_mov_b32 s31, s12
	s_mov_b32 s0, s12
	s_mov_b32 s1, s12
	v_mov_b64_e32 v[18:19], s[28:29]
	v_mov_b64_e32 v[2:3], s[12:13]
	s_mov_b64 s[36:37], 0
	v_mov_b64_e32 v[50:51], s[0:1]
	v_mov_b64_e32 v[20:21], s[30:31]
	;; [unrolled: 1-line block ×9, first 2 shown]
                                        ; implicit-def: $sgpr38_sgpr39
                                        ; implicit-def: $vgpr52
	s_and_saveexec_b64 s[34:35], vcc
	s_cbranch_execz .LBB1280_129
; %bb.86:
	v_mul_u32_u24_e32 v2, 46, v0
	v_add_u32_e32 v54, v54, v2
	ds_read_b128 v[46:49], v54 offset:2
	v_or_b32_e32 v2, 2, v53
	v_cmp_ne_u32_e32 vcc, v42, v43
	v_mov_b64_e32 v[18:19], s[28:29]
	v_mov_b32_e32 v51, 0
	v_cndmask_b32_e64 v3, 0, 1, vcc
	v_cmp_gt_u32_e32 vcc, s86, v2
	s_waitcnt lgkmcnt(0)
	v_and_b32_e32 v2, 0xffff, v46
	v_lshl_or_b32 v50, v3, 16, v2
	v_mov_b64_e32 v[2:3], s[12:13]
	s_mov_b64 s[0:1], 0
	v_mov_b64_e32 v[20:21], s[30:31]
	v_mov_b64_e32 v[4:5], s[14:15]
	;; [unrolled: 1-line block ×8, first 2 shown]
                                        ; implicit-def: $sgpr12_sgpr13
                                        ; implicit-def: $vgpr52
	s_and_saveexec_b64 s[28:29], vcc
	s_cbranch_execz .LBB1280_128
; %bb.87:
	v_cmp_ne_u32_e32 vcc, v43, v44
	s_mov_b32 s12, 0
	v_or_b32_e32 v2, 3, v53
	v_cndmask_b32_e64 v3, 0, 1, vcc
	s_mov_b32 s13, s12
	s_mov_b32 s36, s12
	;; [unrolled: 1-line block ×3, first 2 shown]
	v_alignbit_b32 v51, v3, v46, 16
	v_cmp_gt_u32_e32 vcc, s86, v2
	s_mov_b32 s14, s12
	s_mov_b32 s15, s12
	;; [unrolled: 1-line block ×16, first 2 shown]
	v_mov_b64_e32 v[18:19], s[36:37]
	v_mov_b64_e32 v[2:3], s[12:13]
	;; [unrolled: 1-line block ×10, first 2 shown]
                                        ; implicit-def: $sgpr36_sgpr37
                                        ; implicit-def: $vgpr52
	s_and_saveexec_b64 s[30:31], vcc
	s_cbranch_execz .LBB1280_127
; %bb.88:
	v_cmp_ne_u32_e32 vcc, v44, v45
	v_and_b32_e32 v2, 0xffff, v47
	v_or_b32_e32 v3, 4, v53
	v_cndmask_b32_e64 v4, 0, 1, vcc
	v_lshl_or_b32 v18, v4, 16, v2
	v_cmp_gt_u32_e32 vcc, s86, v3
	v_mov_b32_e32 v20, 0
	v_mov_b64_e32 v[2:3], s[12:13]
	v_mov_b32_e32 v19, v20
	v_mov_b32_e32 v21, v20
	v_mov_b64_e32 v[4:5], s[14:15]
	v_mov_b64_e32 v[6:7], s[16:17]
	;; [unrolled: 1-line block ×7, first 2 shown]
                                        ; implicit-def: $sgpr12_sgpr13
                                        ; implicit-def: $vgpr52
	s_and_saveexec_b64 s[36:37], vcc
	s_cbranch_execz .LBB1280_126
; %bb.89:
	v_cmp_ne_u32_e32 vcc, v45, v38
	s_mov_b32 s12, 0
	v_or_b32_e32 v2, 5, v53
	v_cndmask_b32_e64 v3, 0, 1, vcc
	s_mov_b32 s13, s12
	v_alignbit_b32 v19, v3, v47, 16
	v_cmp_gt_u32_e32 vcc, s86, v2
	s_mov_b32 s14, s12
	s_mov_b32 s15, s12
	;; [unrolled: 1-line block ×14, first 2 shown]
	v_mov_b64_e32 v[2:3], s[12:13]
	v_mov_b32_e32 v21, v20
	v_mov_b64_e32 v[4:5], s[14:15]
	v_mov_b64_e32 v[6:7], s[16:17]
	;; [unrolled: 1-line block ×7, first 2 shown]
                                        ; implicit-def: $sgpr40_sgpr41
                                        ; implicit-def: $vgpr52
	s_and_saveexec_b64 s[38:39], vcc
	s_cbranch_execz .LBB1280_125
; %bb.90:
	v_cmp_ne_u32_e32 vcc, v38, v39
	v_and_b32_e32 v2, 0xffff, v48
	v_or_b32_e32 v3, 6, v53
	v_cndmask_b32_e64 v4, 0, 1, vcc
	v_lshl_or_b32 v20, v4, 16, v2
	v_cmp_gt_u32_e32 vcc, s86, v3
	v_mov_b64_e32 v[2:3], s[12:13]
	v_mov_b32_e32 v21, s12
	v_mov_b64_e32 v[4:5], s[14:15]
	v_mov_b64_e32 v[6:7], s[16:17]
	;; [unrolled: 1-line block ×7, first 2 shown]
                                        ; implicit-def: $sgpr12_sgpr13
                                        ; implicit-def: $vgpr52
	s_and_saveexec_b64 s[40:41], vcc
	s_cbranch_execz .LBB1280_124
; %bb.91:
	v_cmp_ne_u32_e32 vcc, v39, v40
	s_mov_b32 s12, 0
	v_or_b32_e32 v2, 7, v53
	v_cndmask_b32_e64 v3, 0, 1, vcc
	s_mov_b32 s13, s12
	v_alignbit_b32 v21, v3, v48, 16
	v_cmp_gt_u32_e32 vcc, s86, v2
	s_mov_b32 s14, s12
	s_mov_b32 s15, s12
	s_mov_b32 s16, s12
	s_mov_b32 s17, s12
	s_mov_b32 s18, s12
	s_mov_b32 s19, s12
	s_mov_b32 s20, s12
	s_mov_b32 s21, s12
	s_mov_b32 s22, s12
	s_mov_b32 s23, s12
	s_mov_b32 s24, s12
	s_mov_b32 s25, s12
	s_mov_b32 s26, s12
	s_mov_b32 s27, s12
	v_mov_b64_e32 v[2:3], s[12:13]
	v_mov_b64_e32 v[4:5], s[14:15]
	;; [unrolled: 1-line block ×8, first 2 shown]
                                        ; implicit-def: $sgpr14_sgpr15
                                        ; implicit-def: $vgpr52
	s_and_saveexec_b64 s[12:13], vcc
	s_cbranch_execz .LBB1280_123
; %bb.92:
	v_cmp_ne_u32_e32 vcc, v40, v41
	v_and_b32_e32 v2, 0xffff, v49
	v_add_u32_e32 v3, 8, v53
	v_cndmask_b32_e64 v4, 0, 1, vcc
	v_lshl_or_b32 v2, v4, 16, v2
	v_mov_b32_e32 v4, 0
	v_cmp_gt_u32_e32 vcc, s86, v3
	v_mov_b32_e32 v3, v4
	v_mov_b32_e32 v5, v4
	;; [unrolled: 1-line block ×14, first 2 shown]
                                        ; implicit-def: $sgpr16_sgpr17
                                        ; implicit-def: $vgpr52
	s_and_saveexec_b64 s[14:15], vcc
	s_cbranch_execz .LBB1280_122
; %bb.93:
	v_cmp_ne_u32_e32 vcc, v41, v34
	v_add_u32_e32 v5, 9, v53
	v_mov_b32_e32 v6, v4
	v_cndmask_b32_e64 v3, 0, 1, vcc
	v_alignbit_b32 v3, v3, v49, 16
	v_cmp_gt_u32_e32 vcc, s86, v5
	v_mov_b32_e32 v5, v4
	v_mov_b32_e32 v7, v4
	;; [unrolled: 1-line block ×12, first 2 shown]
                                        ; implicit-def: $sgpr18_sgpr19
                                        ; implicit-def: $vgpr52
	s_and_saveexec_b64 s[16:17], vcc
	s_cbranch_execz .LBB1280_121
; %bb.94:
	ds_read_b128 v[38:41], v54 offset:18
	v_add_u32_e32 v4, 10, v53
	v_cmp_ne_u32_e32 vcc, v34, v35
	v_mov_b32_e32 v6, 0
	v_mov_b32_e32 v7, v6
	v_cndmask_b32_e64 v5, 0, 1, vcc
	v_cmp_gt_u32_e32 vcc, s86, v4
	s_waitcnt lgkmcnt(0)
	v_and_b32_e32 v4, 0xffff, v38
	v_lshl_or_b32 v4, v5, 16, v4
	v_mov_b32_e32 v5, v6
	v_mov_b32_e32 v8, v6
	;; [unrolled: 1-line block ×11, first 2 shown]
                                        ; implicit-def: $sgpr20_sgpr21
                                        ; implicit-def: $vgpr52
	s_and_saveexec_b64 s[18:19], vcc
	s_cbranch_execz .LBB1280_120
; %bb.95:
	v_cmp_ne_u32_e32 vcc, v35, v36
	v_add_u32_e32 v7, 11, v53
	v_mov_b32_e32 v8, v6
	v_cndmask_b32_e64 v5, 0, 1, vcc
	v_alignbit_b32 v5, v5, v38, 16
	v_cmp_gt_u32_e32 vcc, s86, v7
	v_mov_b32_e32 v7, v6
	v_mov_b32_e32 v9, v6
	v_mov_b32_e32 v10, v6
	v_mov_b32_e32 v11, v6
	v_mov_b32_e32 v12, v6
	v_mov_b32_e32 v13, v6
	v_mov_b32_e32 v14, v6
	v_mov_b32_e32 v15, v6
	v_mov_b32_e32 v16, v6
	v_mov_b32_e32 v17, v6
                                        ; implicit-def: $sgpr22_sgpr23
                                        ; implicit-def: $vgpr52
	s_and_saveexec_b64 s[20:21], vcc
	s_cbranch_execz .LBB1280_119
; %bb.96:
	v_cmp_ne_u32_e32 vcc, v36, v37
	v_and_b32_e32 v6, 0xffff, v39
	v_add_u32_e32 v7, 12, v53
	v_cndmask_b32_e64 v8, 0, 1, vcc
	v_lshl_or_b32 v6, v8, 16, v6
	v_mov_b32_e32 v8, 0
	v_cmp_gt_u32_e32 vcc, s86, v7
	v_mov_b32_e32 v7, v8
	v_mov_b32_e32 v9, v8
	;; [unrolled: 1-line block ×10, first 2 shown]
                                        ; implicit-def: $sgpr24_sgpr25
                                        ; implicit-def: $vgpr52
	s_and_saveexec_b64 s[22:23], vcc
	s_cbranch_execz .LBB1280_118
; %bb.97:
	v_cmp_ne_u32_e32 vcc, v37, v30
	v_add_u32_e32 v9, 13, v53
	v_mov_b32_e32 v10, v8
	v_cndmask_b32_e64 v7, 0, 1, vcc
	v_alignbit_b32 v7, v7, v39, 16
	v_cmp_gt_u32_e32 vcc, s86, v9
	v_mov_b32_e32 v9, v8
	v_mov_b32_e32 v11, v8
	;; [unrolled: 1-line block ×8, first 2 shown]
                                        ; implicit-def: $sgpr26_sgpr27
                                        ; implicit-def: $vgpr52
	s_and_saveexec_b64 s[24:25], vcc
	s_cbranch_execz .LBB1280_117
; %bb.98:
	v_cmp_ne_u32_e32 vcc, v30, v31
	v_and_b32_e32 v8, 0xffff, v40
	v_add_u32_e32 v9, 14, v53
	v_cndmask_b32_e64 v10, 0, 1, vcc
	v_lshl_or_b32 v8, v10, 16, v8
	v_mov_b32_e32 v10, 0
	v_cmp_gt_u32_e32 vcc, s86, v9
	v_mov_b32_e32 v9, v10
	v_mov_b32_e32 v11, v10
	;; [unrolled: 1-line block ×8, first 2 shown]
                                        ; implicit-def: $sgpr42_sgpr43
                                        ; implicit-def: $vgpr52
	s_and_saveexec_b64 s[26:27], vcc
	s_cbranch_execz .LBB1280_116
; %bb.99:
	v_cmp_ne_u32_e32 vcc, v31, v32
	v_add_u32_e32 v11, 15, v53
	v_mov_b32_e32 v12, v10
	v_cndmask_b32_e64 v9, 0, 1, vcc
	v_alignbit_b32 v9, v9, v40, 16
	v_cmp_gt_u32_e32 vcc, s86, v11
	v_mov_b32_e32 v11, v10
	v_mov_b32_e32 v13, v10
	;; [unrolled: 1-line block ×6, first 2 shown]
                                        ; implicit-def: $sgpr44_sgpr45
                                        ; implicit-def: $vgpr52
	s_and_saveexec_b64 s[42:43], vcc
	s_cbranch_execz .LBB1280_115
; %bb.100:
	v_cmp_ne_u32_e32 vcc, v32, v33
	v_and_b32_e32 v10, 0xffff, v41
	v_add_u32_e32 v11, 16, v53
	v_cndmask_b32_e64 v12, 0, 1, vcc
	v_lshl_or_b32 v10, v12, 16, v10
	v_mov_b32_e32 v12, 0
	v_cmp_gt_u32_e32 vcc, s86, v11
	v_mov_b32_e32 v11, v12
	v_mov_b32_e32 v13, v12
	;; [unrolled: 1-line block ×6, first 2 shown]
                                        ; implicit-def: $sgpr46_sgpr47
                                        ; implicit-def: $vgpr52
	s_and_saveexec_b64 s[44:45], vcc
	s_cbranch_execz .LBB1280_114
; %bb.101:
	v_cmp_ne_u32_e32 vcc, v33, v26
	v_add_u32_e32 v13, 17, v53
	v_mov_b32_e32 v14, v12
	v_cndmask_b32_e64 v11, 0, 1, vcc
	v_alignbit_b32 v11, v11, v41, 16
	v_cmp_gt_u32_e32 vcc, s86, v13
	v_mov_b32_e32 v13, v12
	v_mov_b32_e32 v15, v12
	;; [unrolled: 1-line block ×4, first 2 shown]
                                        ; implicit-def: $sgpr48_sgpr49
                                        ; implicit-def: $vgpr52
	s_and_saveexec_b64 s[46:47], vcc
	s_cbranch_execz .LBB1280_113
; %bb.102:
	ds_read_b96 v[30:32], v54 offset:34
	v_add_u32_e32 v12, 18, v53
	v_cmp_ne_u32_e32 vcc, v26, v27
	v_mov_b32_e32 v14, 0
	v_mov_b32_e32 v15, v14
	v_cndmask_b32_e64 v13, 0, 1, vcc
	v_cmp_gt_u32_e32 vcc, s86, v12
	s_waitcnt lgkmcnt(0)
	v_and_b32_e32 v12, 0xffff, v30
	v_lshl_or_b32 v12, v13, 16, v12
	v_mov_b32_e32 v13, v14
	v_mov_b32_e32 v16, v14
	v_mov_b32_e32 v17, v14
                                        ; implicit-def: $sgpr50_sgpr51
                                        ; implicit-def: $vgpr52
	s_and_saveexec_b64 s[48:49], vcc
	s_cbranch_execz .LBB1280_112
; %bb.103:
	v_cmp_ne_u32_e32 vcc, v27, v28
	v_add_u32_e32 v15, 19, v53
	v_mov_b32_e32 v16, v14
	v_cndmask_b32_e64 v13, 0, 1, vcc
	v_alignbit_b32 v13, v13, v30, 16
	v_cmp_gt_u32_e32 vcc, s86, v15
	v_mov_b32_e32 v15, v14
	v_mov_b32_e32 v17, v14
                                        ; implicit-def: $sgpr52_sgpr53
                                        ; implicit-def: $vgpr52
	s_and_saveexec_b64 s[50:51], vcc
	s_cbranch_execz .LBB1280_111
; %bb.104:
	v_cmp_ne_u32_e32 vcc, v28, v29
	v_and_b32_e32 v14, 0xffff, v31
	v_add_u32_e32 v15, 20, v53
	v_cndmask_b32_e64 v16, 0, 1, vcc
	v_lshl_or_b32 v14, v16, 16, v14
	v_mov_b32_e32 v16, 0
	v_cmp_gt_u32_e32 vcc, s86, v15
	v_mov_b32_e32 v15, v16
	v_mov_b32_e32 v17, v16
                                        ; implicit-def: $sgpr54_sgpr55
                                        ; implicit-def: $vgpr52
	s_and_saveexec_b64 s[52:53], vcc
	s_cbranch_execz .LBB1280_110
; %bb.105:
	v_cmp_ne_u32_e32 vcc, v29, v22
	v_add_u32_e32 v17, 21, v53
	s_mov_b32 s9, 0
	v_cndmask_b32_e64 v15, 0, 1, vcc
	v_alignbit_b32 v15, v15, v31, 16
	v_cmp_gt_u32_e32 vcc, s86, v17
	v_mov_b32_e32 v17, v16
                                        ; implicit-def: $sgpr68_sgpr69
                                        ; implicit-def: $vgpr52
	s_and_saveexec_b64 s[54:55], vcc
	s_cbranch_execz .LBB1280_109
; %bb.106:
	v_cmp_ne_u32_e32 vcc, v22, v23
	v_and_b32_e32 v16, 0xffff, v32
	v_add_u32_e32 v17, 22, v53
	v_cndmask_b32_e64 v22, 0, 1, vcc
	v_lshl_or_b32 v16, v22, 16, v16
	v_cmp_gt_u32_e32 vcc, s86, v17
	v_mov_b32_e32 v17, s9
                                        ; implicit-def: $sgpr68_sgpr69
                                        ; implicit-def: $vgpr52
	s_and_saveexec_b64 s[84:85], vcc
	s_xor_b64 s[84:85], exec, s[84:85]
	s_cbranch_execz .LBB1280_108
; %bb.107:
	ds_read_u16 v52, v54 offset:46
	v_add_u32_e32 v22, 23, v53
	v_cmp_ne_u32_e64 s[0:1], v23, v24
	v_cmp_ne_u32_e32 vcc, v24, v25
	s_and_b64 s[68:69], vcc, exec
	v_cndmask_b32_e64 v17, 0, 1, s[0:1]
	v_cmp_gt_u32_e64 s[0:1], s86, v22
	v_alignbit_b32 v17, v17, v32, 16
	s_and_b64 s[0:1], s[0:1], exec
.LBB1280_108:
	s_or_b64 exec, exec, s[84:85]
	s_and_b64 s[68:69], s[68:69], exec
	s_and_b64 s[0:1], s[0:1], exec
.LBB1280_109:
	s_or_b64 exec, exec, s[54:55]
	s_and_b64 s[54:55], s[68:69], exec
	s_and_b64 s[0:1], s[0:1], exec
.LBB1280_110:
	s_or_b64 exec, exec, s[52:53]
	s_and_b64 s[52:53], s[54:55], exec
	s_and_b64 s[0:1], s[0:1], exec
.LBB1280_111:
	s_or_b64 exec, exec, s[50:51]
	s_and_b64 s[50:51], s[52:53], exec
	s_and_b64 s[0:1], s[0:1], exec
.LBB1280_112:
	s_or_b64 exec, exec, s[48:49]
	s_and_b64 s[48:49], s[50:51], exec
	s_and_b64 s[0:1], s[0:1], exec
.LBB1280_113:
	s_or_b64 exec, exec, s[46:47]
	s_and_b64 s[46:47], s[48:49], exec
	s_and_b64 s[0:1], s[0:1], exec
.LBB1280_114:
	s_or_b64 exec, exec, s[44:45]
	s_and_b64 s[44:45], s[46:47], exec
	s_and_b64 s[0:1], s[0:1], exec
.LBB1280_115:
	s_or_b64 exec, exec, s[42:43]
	s_and_b64 s[42:43], s[44:45], exec
	s_and_b64 s[0:1], s[0:1], exec
.LBB1280_116:
	s_or_b64 exec, exec, s[26:27]
	s_and_b64 s[26:27], s[42:43], exec
	s_and_b64 s[0:1], s[0:1], exec
.LBB1280_117:
	s_or_b64 exec, exec, s[24:25]
	s_and_b64 s[24:25], s[26:27], exec
	s_and_b64 s[0:1], s[0:1], exec
.LBB1280_118:
	s_or_b64 exec, exec, s[22:23]
	s_and_b64 s[22:23], s[24:25], exec
	s_and_b64 s[0:1], s[0:1], exec
.LBB1280_119:
	s_or_b64 exec, exec, s[20:21]
	s_and_b64 s[20:21], s[22:23], exec
	s_and_b64 s[0:1], s[0:1], exec
.LBB1280_120:
	s_or_b64 exec, exec, s[18:19]
	s_and_b64 s[18:19], s[20:21], exec
	s_and_b64 s[0:1], s[0:1], exec
.LBB1280_121:
	s_or_b64 exec, exec, s[16:17]
	s_and_b64 s[16:17], s[18:19], exec
	s_and_b64 s[0:1], s[0:1], exec
.LBB1280_122:
	s_or_b64 exec, exec, s[14:15]
	s_and_b64 s[14:15], s[16:17], exec
	s_and_b64 s[0:1], s[0:1], exec
.LBB1280_123:
	s_or_b64 exec, exec, s[12:13]
	s_and_b64 s[12:13], s[14:15], exec
	s_and_b64 s[0:1], s[0:1], exec
.LBB1280_124:
	s_or_b64 exec, exec, s[40:41]
	s_and_b64 s[40:41], s[12:13], exec
	s_and_b64 s[0:1], s[0:1], exec
.LBB1280_125:
	s_or_b64 exec, exec, s[38:39]
	s_and_b64 s[12:13], s[40:41], exec
	s_and_b64 s[0:1], s[0:1], exec
.LBB1280_126:
	s_or_b64 exec, exec, s[36:37]
	s_and_b64 s[36:37], s[12:13], exec
	s_and_b64 s[0:1], s[0:1], exec
.LBB1280_127:
	s_or_b64 exec, exec, s[30:31]
	s_and_b64 s[12:13], s[36:37], exec
	s_and_b64 s[0:1], s[0:1], exec
.LBB1280_128:
	s_or_b64 exec, exec, s[28:29]
	s_and_b64 s[38:39], s[12:13], exec
	s_and_b64 s[36:37], s[0:1], exec
.LBB1280_129:
	s_or_b64 exec, exec, s[34:35]
	s_and_b64 s[0:1], s[38:39], exec
	s_and_b64 s[12:13], s[36:37], exec
.LBB1280_130:
	s_or_b64 exec, exec, s[10:11]
	s_and_b64 vcc, exec, s[6:7]
	s_cbranch_vccnz .LBB1280_132
	s_branch .LBB1280_140
.LBB1280_131:
                                        ; implicit-def: $sgpr0_sgpr1
                                        ; implicit-def: $vgpr50_vgpr51
                                        ; implicit-def: $vgpr18_vgpr19_vgpr20_vgpr21
                                        ; implicit-def: $vgpr2_vgpr3_vgpr4_vgpr5_vgpr6_vgpr7_vgpr8_vgpr9_vgpr10_vgpr11_vgpr12_vgpr13_vgpr14_vgpr15_vgpr16_vgpr17
                                        ; implicit-def: $vgpr52
                                        ; implicit-def: $vgpr1
                                        ; implicit-def: $sgpr8
	s_and_b64 vcc, exec, s[6:7]
	s_cbranch_vccz .LBB1280_140
.LBB1280_132:
	v_mov_b32_e32 v3, 0
	v_lshlrev_b32_e32 v2, 2, v0
	v_lshl_add_u64 v[4:5], s[64:65], 0, v[2:3]
	v_add_co_u32_e32 v6, vcc, 0x1000, v4
	s_movk_i32 s0, 0x5c
	s_nop 0
	v_addc_co_u32_e32 v7, vcc, 0, v5, vcc
	flat_load_dword v3, v[4:5]
	flat_load_dword v10, v[4:5] offset:1024
	flat_load_dword v11, v[4:5] offset:2048
	;; [unrolled: 1-line block ×3, first 2 shown]
	flat_load_dword v13, v[6:7]
	flat_load_dword v14, v[6:7] offset:1024
	flat_load_dword v15, v[6:7] offset:2048
	;; [unrolled: 1-line block ×3, first 2 shown]
	v_add_co_u32_e32 v6, vcc, 0x2000, v4
	v_mad_u32_u24 v1, v0, s0, v2
	s_nop 0
	v_addc_co_u32_e32 v7, vcc, 0, v5, vcc
	v_add_co_u32_e32 v8, vcc, 0x3000, v4
	s_cmp_eq_u64 s[82:83], 0
	s_nop 0
	v_addc_co_u32_e32 v9, vcc, 0, v5, vcc
	flat_load_dword v17, v[6:7]
	flat_load_dword v18, v[6:7] offset:1024
	flat_load_dword v19, v[6:7] offset:2048
	;; [unrolled: 1-line block ×3, first 2 shown]
	flat_load_dword v21, v[8:9]
	flat_load_dword v22, v[8:9] offset:1024
	flat_load_dword v23, v[8:9] offset:2048
	;; [unrolled: 1-line block ×3, first 2 shown]
	v_add_co_u32_e32 v6, vcc, 0x4000, v4
	s_nop 1
	v_addc_co_u32_e32 v7, vcc, 0, v5, vcc
	v_add_co_u32_e32 v4, vcc, 0x5000, v4
	s_nop 1
	v_addc_co_u32_e32 v5, vcc, 0, v5, vcc
	flat_load_dword v8, v[6:7]
	flat_load_dword v9, v[6:7] offset:1024
	flat_load_dword v25, v[6:7] offset:2048
	;; [unrolled: 1-line block ×3, first 2 shown]
	flat_load_dword v27, v[4:5]
	flat_load_dword v28, v[4:5] offset:1024
	flat_load_dword v29, v[4:5] offset:2048
	;; [unrolled: 1-line block ×3, first 2 shown]
	s_waitcnt vmcnt(0) lgkmcnt(0)
	ds_write2st64_b32 v2, v3, v10 offset1:4
	ds_write2st64_b32 v2, v11, v12 offset0:8 offset1:12
	ds_write2st64_b32 v2, v13, v14 offset0:16 offset1:20
	;; [unrolled: 1-line block ×11, first 2 shown]
	s_waitcnt lgkmcnt(0)
	s_barrier
	ds_read2_b64 v[2:5], v1 offset1:11
	ds_read2_b64 v[34:37], v1 offset0:9 offset1:10
	ds_read2_b64 v[30:33], v1 offset0:7 offset1:8
	;; [unrolled: 1-line block ×5, first 2 shown]
	s_cbranch_scc1 .LBB1280_137
; %bb.133:
	s_andn2_b64 vcc, exec, s[72:73]
	s_cbranch_vccnz .LBB1280_324
; %bb.134:
	s_lshl_b64 s[0:1], s[82:83], 2
	s_add_u32 s0, s74, s0
	s_addc_u32 s1, s75, s1
	s_add_u32 s0, s0, -4
	s_addc_u32 s1, s1, -1
	s_cbranch_execnz .LBB1280_136
.LBB1280_135:
	s_add_u32 s0, s64, -4
	s_addc_u32 s1, s65, -1
.LBB1280_136:
	s_mov_b64 s[64:65], s[0:1]
.LBB1280_137:
	v_mov_b64_e32 v[10:11], s[64:65]
	flat_load_dword v10, v[10:11]
	s_movk_i32 s0, 0xffa4
	v_mad_i32_i24 v1, v0, s0, v1
	s_waitcnt lgkmcnt(0)
	ds_write_b32 v1, v5 offset:24576
	s_waitcnt lgkmcnt(0)
	s_barrier
	s_and_saveexec_b64 s[0:1], s[4:5]
	s_cbranch_execz .LBB1280_139
; %bb.138:
	s_waitcnt vmcnt(0)
	ds_read_b32 v10, v1 offset:24572
.LBB1280_139:
	s_or_b64 exec, exec, s[0:1]
	v_lshlrev_b32_e32 v12, 1, v0
	v_mov_b32_e32 v13, 0
	v_lshl_add_u64 v[14:15], s[62:63], 0, v[12:13]
	s_movk_i32 s0, 0x1000
	v_add_co_u32_e32 v16, vcc, s0, v14
	s_movk_i32 s0, 0x2000
	s_nop 0
	v_addc_co_u32_e32 v17, vcc, 0, v15, vcc
	s_waitcnt lgkmcnt(0)
	s_barrier
	flat_load_ushort v11, v[14:15]
	flat_load_ushort v13, v[14:15] offset:512
	flat_load_ushort v18, v[14:15] offset:1024
	;; [unrolled: 1-line block ×7, first 2 shown]
	v_add_co_u32_e32 v14, vcc, s0, v14
	flat_load_ushort v40, v[16:17]
	flat_load_ushort v41, v[16:17] offset:512
	flat_load_ushort v42, v[16:17] offset:1024
	;; [unrolled: 1-line block ×7, first 2 shown]
	v_addc_co_u32_e32 v15, vcc, 0, v15, vcc
	flat_load_ushort v16, v[14:15]
	flat_load_ushort v17, v[14:15] offset:512
	flat_load_ushort v48, v[14:15] offset:1024
	;; [unrolled: 1-line block ×7, first 2 shown]
	s_waitcnt vmcnt(0)
	v_cmp_ne_u32_e32 vcc, v10, v2
	v_sub_u32_e32 v1, v1, v12
	v_cmp_ne_u32_e64 s[0:1], v4, v5
	v_cndmask_b32_e64 v5, 0, 1, vcc
	v_cmp_ne_u32_e32 vcc, v3, v6
	v_mad_u32_u24 v55, v0, 46, v1
	s_mov_b64 s[12:13], -1
	v_cndmask_b32_e64 v54, 0, 1, vcc
	v_cmp_ne_u32_e32 vcc, v2, v3
                                        ; implicit-def: $sgpr8
	s_waitcnt lgkmcnt(0)
	ds_write_b16 v1, v11
	ds_write_b16 v1, v13 offset:512
	ds_write_b16 v1, v18 offset:1024
	;; [unrolled: 1-line block ×23, first 2 shown]
	s_waitcnt lgkmcnt(0)
	s_barrier
	ds_read_u16 v1, v55
	ds_read_b96 v[14:16], v55 offset:2
	ds_read_b128 v[38:41], v55 offset:14
	ds_read_b128 v[10:13], v55 offset:30
	ds_read_u16 v52, v55 offset:46
	v_cndmask_b32_e64 v2, 0, 1, vcc
	v_cmp_ne_u32_e32 vcc, v9, v22
	s_waitcnt lgkmcnt(4)
	v_lshl_or_b32 v1, v5, 16, v1
	s_waitcnt lgkmcnt(3)
	v_and_b32_e32 v5, 0xffff, v14
	v_cndmask_b32_e64 v3, 0, 1, vcc
	v_cmp_ne_u32_e32 vcc, v7, v8
	v_lshl_or_b32 v50, v2, 16, v5
	v_and_b32_e32 v17, 0xffff, v16
	v_cndmask_b32_e64 v2, 0, 1, vcc
	v_cmp_ne_u32_e32 vcc, v8, v9
	v_alignbit_b32 v19, v2, v15, 16
	v_alignbit_b32 v21, v3, v16, 16
	v_cndmask_b32_e64 v2, 0, 1, vcc
	v_cmp_ne_u32_e32 vcc, v6, v7
	v_lshl_or_b32 v20, v2, 16, v17
	v_alignbit_b32 v51, v54, v14, 16
	v_cndmask_b32_e64 v2, 0, 1, vcc
	v_cmp_ne_u32_e32 vcc, v37, v4
	v_and_b32_e32 v14, 0xffff, v15
	s_waitcnt lgkmcnt(1)
	v_and_b32_e32 v16, 0xffff, v13
	v_cndmask_b32_e64 v3, 0, 1, vcc
	v_cmp_ne_u32_e32 vcc, v35, v36
	v_alignbit_b32 v17, v3, v13, 16
	v_and_b32_e32 v44, 0xffff, v11
	v_cndmask_b32_e64 v3, 0, 1, vcc
	v_cmp_ne_u32_e32 vcc, v33, v34
	v_alignbit_b32 v15, v3, v12, 16
	v_lshl_or_b32 v18, v2, 16, v14
	v_cndmask_b32_e64 v3, 0, 1, vcc
	v_cmp_ne_u32_e32 vcc, v31, v32
	v_alignbit_b32 v13, v3, v11, 16
	v_and_b32_e32 v14, 0xffff, v12
	v_cndmask_b32_e64 v3, 0, 1, vcc
	v_cmp_ne_u32_e32 vcc, v29, v30
	v_alignbit_b32 v11, v3, v10, 16
	v_and_b32_e32 v43, 0xffff, v10
	;; [unrolled: 4-line block ×5, first 2 shown]
	v_cndmask_b32_e64 v3, 0, 1, vcc
	v_cmp_ne_u32_e32 vcc, v36, v37
	v_and_b32_e32 v42, 0xffff, v39
	v_alignbit_b32 v3, v3, v38, 16
	v_cndmask_b32_e64 v4, 0, 1, vcc
	v_cmp_ne_u32_e32 vcc, v34, v35
	v_lshl_or_b32 v16, v4, 16, v16
	s_nop 0
	v_cndmask_b32_e64 v4, 0, 1, vcc
	v_cmp_ne_u32_e32 vcc, v32, v33
	v_lshl_or_b32 v14, v4, 16, v14
	s_nop 0
	;; [unrolled: 4-line block ×7, first 2 shown]
	v_cndmask_b32_e64 v22, 0, 1, vcc
	v_lshl_or_b32 v2, v22, 16, v2
.LBB1280_140:
	v_mov_b32_e32 v32, s8
	s_and_saveexec_b64 s[6:7], s[12:13]
	s_cbranch_execz .LBB1280_142
; %bb.141:
	v_mov_b32_e32 v22, 0x10000
	v_cndmask_b32_e64 v22, 0, v22, s[0:1]
	s_waitcnt lgkmcnt(0)
	v_or_b32_sdwa v32, v22, v52 dst_sel:DWORD dst_unused:UNUSED_PAD src0_sel:DWORD src1_sel:WORD_0
.LBB1280_142:
	s_or_b64 exec, exec, s[6:7]
	s_cmp_lg_u32 s79, 0
	v_mbcnt_lo_u32_b32 v33, -1, 0
	s_waitcnt lgkmcnt(0)
	s_barrier
	s_cbranch_scc0 .LBB1280_213
; %bb.143:
	s_mov_b32 s0, 0x10000
	v_cmp_gt_u32_e64 s[6:7], s0, v50
	v_cmp_gt_u32_e64 s[8:9], s0, v51
	v_cmp_gt_u32_e64 s[10:11], s0, v18
	v_cndmask_b32_e64 v22, 0, v1, s[6:7]
	v_add_u16_e32 v22, v22, v50
	v_cndmask_b32_e64 v22, 0, v22, s[8:9]
	v_add_u16_e32 v22, v22, v51
	v_cndmask_b32_e64 v22, 0, v22, s[10:11]
	v_add_u16_e32 v22, v22, v18
	v_cmp_gt_u32_e64 s[12:13], s0, v19
	v_cmp_gt_u32_e64 s[14:15], s0, v20
	v_cmp_gt_u32_e64 s[16:17], s0, v21
	v_cndmask_b32_e64 v22, 0, v22, s[12:13]
	v_add_u16_e32 v22, v22, v19
	v_cndmask_b32_e64 v22, 0, v22, s[14:15]
	v_add_u16_e32 v22, v22, v20
	v_cndmask_b32_e64 v22, 0, v22, s[16:17]
	v_add_u16_e32 v22, v22, v21
	;; [unrolled: 9-line block ×5, first 2 shown]
	v_cmp_gt_u32_e64 s[38:39], s0, v11
	v_cmp_gt_u32_e64 s[40:41], s0, v12
	v_or3_b32 v23, v32, v17, v16
	v_cndmask_b32_e64 v22, 0, v22, s[38:39]
	v_add_u16_e32 v22, v22, v11
	v_cndmask_b32_e64 v22, 0, v22, s[40:41]
	v_add_u16_e32 v22, v22, v12
	v_cmp_gt_u32_e64 s[42:43], s0, v13
	v_or3_b32 v23, v23, v15, v14
	v_or3_b32 v23, v23, v13, v12
	v_cndmask_b32_e64 v22, 0, v22, s[42:43]
	v_add_u16_e32 v22, v22, v13
	v_cmp_gt_u32_e64 s[44:45], s0, v14
	v_or3_b32 v23, v23, v11, v10
	v_or3_b32 v23, v23, v9, v8
	;; [unrolled: 5-line block ×5, first 2 shown]
	v_cndmask_b32_e64 v22, 0, v22, s[50:51]
	v_add_u16_e32 v22, v22, v17
	v_cmp_gt_u32_e64 s[52:53], s0, v32
	v_and_b32_e32 v23, 0x10000, v23
	v_lshrrev_b32_e32 v34, 16, v1
	v_cndmask_b32_e64 v24, 0, v22, s[52:53]
	v_cmp_eq_u32_e32 vcc, 0, v23
	v_add_u16_e32 v22, v24, v32
	v_mbcnt_hi_u32_b32 v25, -1, v33
	v_cndmask_b32_e32 v23, 1, v34, vcc
	v_add_u16_e32 v24, v24, v32
	v_and_b32_e32 v27, 15, v25
	v_lshl_or_b32 v24, v23, 16, v24
	v_cmp_ne_u32_e32 vcc, 0, v27
	s_nop 0
	v_mov_b32_dpp v26, v24 row_shr:1 row_mask:0xf bank_mask:0xf
	s_and_saveexec_b64 s[0:1], vcc
	s_cbranch_execz .LBB1280_145
; %bb.144:
	v_cmp_eq_u32_e32 vcc, 0, v23
	v_and_b32_e32 v23, 1, v23
	v_mov_b32_e32 v29, 1
	v_cndmask_b32_e32 v24, 0, v26, vcc
	v_and_b32_sdwa v26, v26, v29 dst_sel:DWORD dst_unused:UNUSED_PAD src0_sel:WORD_1 src1_sel:DWORD
	v_cmp_eq_u32_e32 vcc, 1, v23
	v_add_u16_e32 v28, v24, v22
	v_add_u16_e32 v22, v24, v22
	v_cndmask_b32_e64 v23, v26, 1, vcc
	v_lshlrev_b32_e32 v26, 16, v23
	v_or_b32_e32 v24, v26, v22
	v_mov_b32_e32 v22, v28
.LBB1280_145:
	s_or_b64 exec, exec, s[0:1]
	v_lshrrev_b32_e32 v26, 16, v24
	v_mov_b32_dpp v28, v24 row_shr:2 row_mask:0xf bank_mask:0xf
	v_cmp_lt_u32_e32 vcc, 1, v27
	s_and_saveexec_b64 s[0:1], vcc
	s_cbranch_execz .LBB1280_147
; %bb.146:
	s_mov_b32 s54, 0x10000
	v_cmp_gt_u32_e32 vcc, s54, v24
	v_and_b32_e32 v23, 0x10000, v24
	v_mov_b32_e32 v24, 1
	v_cndmask_b32_e32 v26, 0, v28, vcc
	v_and_b32_sdwa v24, v28, v24 dst_sel:DWORD dst_unused:UNUSED_PAD src0_sel:WORD_1 src1_sel:DWORD
	v_cmp_ne_u32_e32 vcc, 0, v23
	v_add_u16_e32 v29, v26, v22
	v_add_u16_e32 v22, v26, v22
	v_cndmask_b32_e64 v23, v24, 1, vcc
	v_lshlrev_b32_e32 v24, 16, v23
	v_or_b32_e32 v24, v24, v22
	v_mov_b32_e32 v26, v23
	v_mov_b32_e32 v22, v29
.LBB1280_147:
	s_or_b64 exec, exec, s[0:1]
	v_mov_b32_dpp v28, v24 row_shr:4 row_mask:0xf bank_mask:0xf
	v_cmp_lt_u32_e32 vcc, 3, v27
	s_and_saveexec_b64 s[0:1], vcc
	s_cbranch_execz .LBB1280_149
; %bb.148:
	v_mov_b32_e32 v23, 0
	v_cmp_eq_u16_sdwa vcc, v26, v23 src0_sel:BYTE_0 src1_sel:DWORD
	v_and_b32_e32 v23, 1, v26
	v_mov_b32_e32 v26, 1
	v_cndmask_b32_e32 v24, 0, v28, vcc
	v_and_b32_sdwa v26, v28, v26 dst_sel:DWORD dst_unused:UNUSED_PAD src0_sel:WORD_1 src1_sel:DWORD
	v_cmp_eq_u32_e32 vcc, 1, v23
	v_add_u16_e32 v29, v24, v22
	v_add_u16_e32 v22, v24, v22
	v_cndmask_b32_e64 v23, v26, 1, vcc
	v_lshlrev_b32_e32 v26, 16, v23
	v_or_b32_e32 v24, v26, v22
	v_mov_b32_e32 v26, v23
	v_mov_b32_e32 v22, v29
.LBB1280_149:
	s_or_b64 exec, exec, s[0:1]
	v_mov_b32_dpp v28, v24 row_shr:8 row_mask:0xf bank_mask:0xf
	v_cmp_lt_u32_e32 vcc, 7, v27
	s_and_saveexec_b64 s[0:1], vcc
	s_cbranch_execz .LBB1280_151
; %bb.150:
	v_mov_b32_e32 v23, 0
	v_cmp_eq_u16_sdwa vcc, v26, v23 src0_sel:BYTE_0 src1_sel:DWORD
	v_and_b32_e32 v23, 1, v26
	v_mov_b32_e32 v26, 1
	v_cndmask_b32_e32 v24, 0, v28, vcc
	v_and_b32_sdwa v26, v28, v26 dst_sel:DWORD dst_unused:UNUSED_PAD src0_sel:WORD_1 src1_sel:DWORD
	v_cmp_eq_u32_e32 vcc, 1, v23
	v_add_u16_e32 v27, v24, v22
	v_add_u16_e32 v22, v24, v22
	v_cndmask_b32_e64 v23, v26, 1, vcc
	v_lshlrev_b32_e32 v26, 16, v23
	v_or_b32_e32 v24, v26, v22
	v_mov_b32_e32 v26, v23
	v_mov_b32_e32 v22, v27
.LBB1280_151:
	s_or_b64 exec, exec, s[0:1]
	v_and_b32_e32 v28, 16, v25
	v_mov_b32_dpp v27, v24 row_bcast:15 row_mask:0xf bank_mask:0xf
	v_cmp_ne_u32_e32 vcc, 0, v28
	s_and_saveexec_b64 s[0:1], vcc
	s_cbranch_execz .LBB1280_153
; %bb.152:
	v_mov_b32_e32 v23, 0
	v_cmp_eq_u16_sdwa vcc, v26, v23 src0_sel:BYTE_0 src1_sel:DWORD
	v_and_b32_e32 v23, 1, v26
	v_mov_b32_e32 v26, 1
	v_cndmask_b32_e32 v24, 0, v27, vcc
	v_and_b32_sdwa v26, v27, v26 dst_sel:DWORD dst_unused:UNUSED_PAD src0_sel:WORD_1 src1_sel:DWORD
	v_cmp_eq_u32_e32 vcc, 1, v23
	v_add_u16_e32 v28, v24, v22
	v_add_u16_e32 v22, v24, v22
	v_cndmask_b32_e64 v23, v26, 1, vcc
	v_lshlrev_b32_e32 v26, 16, v23
	v_or_b32_e32 v24, v26, v22
	v_mov_b32_e32 v22, v28
	v_mov_b32_e32 v26, v23
.LBB1280_153:
	s_or_b64 exec, exec, s[0:1]
	v_mov_b32_dpp v24, v24 row_bcast:31 row_mask:0xf bank_mask:0xf
	v_cmp_lt_u32_e32 vcc, 31, v25
	s_and_saveexec_b64 s[0:1], vcc
; %bb.154:
	v_mov_b32_e32 v23, 0
	v_cmp_eq_u16_sdwa vcc, v26, v23 src0_sel:BYTE_0 src1_sel:DWORD
	s_nop 1
	v_cndmask_b32_e32 v23, 0, v24, vcc
	v_add_u16_e32 v22, v23, v22
	v_and_b32_e32 v23, 1, v26
	v_mov_b32_e32 v26, 1
	v_and_b32_sdwa v24, v24, v26 dst_sel:DWORD dst_unused:UNUSED_PAD src0_sel:WORD_1 src1_sel:DWORD
	v_cmp_eq_u32_e32 vcc, 1, v23
	s_nop 1
	v_cndmask_b32_e64 v23, v24, 1, vcc
; %bb.155:
	s_or_b64 exec, exec, s[0:1]
	v_or_b32_e32 v26, 63, v0
	v_lshrrev_b32_e32 v24, 6, v0
	v_cmp_eq_u32_e32 vcc, v26, v0
	s_and_saveexec_b64 s[0:1], vcc
	s_cbranch_execz .LBB1280_157
; %bb.156:
	v_lshlrev_b32_e32 v26, 2, v24
	ds_write_b16 v26, v22
	ds_write_b8 v26, v23 offset:2
.LBB1280_157:
	s_or_b64 exec, exec, s[0:1]
	v_cmp_gt_u32_e32 vcc, 4, v0
	s_waitcnt lgkmcnt(0)
	s_barrier
	s_and_saveexec_b64 s[0:1], vcc
	s_cbranch_execz .LBB1280_163
; %bb.158:
	v_lshlrev_b32_e32 v26, 2, v0
	ds_read_b32 v27, v26
	v_and_b32_e32 v30, 3, v25
	v_cmp_ne_u32_e32 vcc, 0, v30
	s_waitcnt lgkmcnt(0)
	v_lshrrev_b32_e32 v29, 16, v27
	v_mov_b32_dpp v31, v27 row_shr:1 row_mask:0xf bank_mask:0xf
	v_mov_b32_e32 v28, v27
	s_and_saveexec_b64 s[54:55], vcc
	s_cbranch_execz .LBB1280_160
; %bb.159:
	v_mov_b32_e32 v28, 0
	v_cmp_eq_u16_sdwa vcc, v29, v28 src0_sel:BYTE_0 src1_sel:DWORD
	v_and_b32_e32 v29, 0x10000, v27
	v_mov_b32_e32 v37, 1
	v_cndmask_b32_e32 v36, 0, v31, vcc
	v_and_b32_sdwa v31, v31, v37 dst_sel:DWORD dst_unused:UNUSED_PAD src0_sel:WORD_1 src1_sel:DWORD
	v_cmp_ne_u32_e32 vcc, 0, v29
	v_and_b32_e32 v35, 0xff000000, v27
	v_add_u16_e32 v28, v36, v27
	v_cndmask_b32_e64 v29, v31, 1, vcc
	v_lshlrev_b32_e32 v31, 16, v29
	v_add_u16_e32 v27, v36, v27
	v_or3_b32 v27, v31, v35, v27
.LBB1280_160:
	s_or_b64 exec, exec, s[54:55]
	s_nop 0
	v_mov_b32_dpp v31, v27 row_shr:2 row_mask:0xf bank_mask:0xf
	v_cmp_lt_u32_e32 vcc, 1, v30
	s_and_saveexec_b64 s[54:55], vcc
; %bb.161:
	v_and_b32_e32 v29, 0xff0000, v27
	v_cmp_eq_u32_e32 vcc, 0, v29
	v_and_b32_e32 v27, 0x10000, v27
	s_nop 0
	v_cndmask_b32_e32 v29, 0, v31, vcc
	v_add_u16_e32 v28, v29, v28
	v_mov_b32_e32 v29, 1
	v_and_b32_sdwa v29, v31, v29 dst_sel:DWORD dst_unused:UNUSED_PAD src0_sel:WORD_1 src1_sel:DWORD
	v_cmp_eq_u32_e32 vcc, 0, v27
	s_nop 1
	v_cndmask_b32_e32 v29, 1, v29, vcc
; %bb.162:
	s_or_b64 exec, exec, s[54:55]
	ds_write_b16 v26, v28
	ds_write_b8 v26, v29 offset:2
.LBB1280_163:
	s_or_b64 exec, exec, s[0:1]
	v_cmp_gt_u32_e32 vcc, 64, v0
	v_cmp_lt_u32_e64 s[0:1], 63, v0
	v_mov_b32_e32 v35, 0
	v_mov_b32_e32 v36, 0
	s_waitcnt lgkmcnt(0)
	s_barrier
	s_and_saveexec_b64 s[54:55], s[0:1]
	s_cbranch_execz .LBB1280_165
; %bb.164:
	v_lshl_add_u32 v24, v24, 2, -4
	ds_read_u16 v35, v24
	ds_read_u8 v36, v24 offset:2
	v_mov_b32_e32 v26, 0
	v_and_b32_e32 v27, 1, v23
	v_cmp_eq_u16_sdwa s[0:1], v23, v26 src0_sel:BYTE_0 src1_sel:DWORD
	s_waitcnt lgkmcnt(1)
	s_nop 0
	v_cndmask_b32_e64 v23, 0, v35, s[0:1]
	v_cmp_eq_u32_e64 s[0:1], 1, v27
	v_add_u16_e32 v22, v23, v22
	s_waitcnt lgkmcnt(0)
	v_cndmask_b32_e64 v23, v36, 1, s[0:1]
.LBB1280_165:
	s_or_b64 exec, exec, s[54:55]
	v_and_b32_e32 v23, 0xff, v23
	v_and_b32_e32 v22, 0xffff, v22
	v_lshl_or_b32 v22, v23, 16, v22
	v_add_u32_e32 v23, -1, v25
	v_and_b32_e32 v24, 64, v25
	v_cmp_lt_i32_e64 s[0:1], v23, v24
	v_cmp_eq_u32_e64 s[54:55], 0, v25
	s_nop 0
	v_cndmask_b32_e64 v23, v23, v25, s[0:1]
	v_lshlrev_b32_e32 v23, 2, v23
	ds_bpermute_b32 v37, v23, v22
	s_and_saveexec_b64 s[0:1], vcc
	s_cbranch_execz .LBB1280_212
; %bb.166:
	v_mov_b32_e32 v31, 0
	ds_read_b32 v22, v31 offset:12
	s_and_saveexec_b64 s[62:63], s[54:55]
	s_cbranch_execz .LBB1280_168
; %bb.167:
	s_add_i32 s64, s79, 64
	s_mov_b32 s65, 0
	s_lshl_b64 s[64:65], s[64:65], 3
	s_add_u32 s64, s76, s64
	v_mov_b32_e32 v23, 1
	s_addc_u32 s65, s77, s65
	s_waitcnt lgkmcnt(0)
	global_store_dwordx2 v31, v[22:23], s[64:65] sc1
.LBB1280_168:
	s_or_b64 exec, exec, s[62:63]
	v_xad_u32 v24, v25, -1, s79
	v_add_u32_e32 v30, 64, v24
	v_lshl_add_u64 v[28:29], v[30:31], 3, s[76:77]
	global_load_dwordx2 v[26:27], v[28:29], off sc1
	s_waitcnt vmcnt(0)
	v_cmp_eq_u16_sdwa s[64:65], v27, v31 src0_sel:BYTE_0 src1_sel:DWORD
	s_and_saveexec_b64 s[62:63], s[64:65]
	s_cbranch_execz .LBB1280_174
; %bb.169:
	s_mov_b32 s68, 1
	s_mov_b64 s[64:65], 0
	v_mov_b32_e32 v23, 0
.LBB1280_170:                           ; =>This Loop Header: Depth=1
                                        ;     Child Loop BB1280_171 Depth 2
	s_max_u32 s69, s68, 1
.LBB1280_171:                           ;   Parent Loop BB1280_170 Depth=1
                                        ; =>  This Inner Loop Header: Depth=2
	s_add_i32 s69, s69, -1
	s_cmp_eq_u32 s69, 0
	s_sleep 1
	s_cbranch_scc0 .LBB1280_171
; %bb.172:                              ;   in Loop: Header=BB1280_170 Depth=1
	global_load_dwordx2 v[26:27], v[28:29], off sc1
	s_cmp_lt_u32 s68, 32
	s_cselect_b64 s[72:73], -1, 0
	s_cmp_lg_u64 s[72:73], 0
	s_addc_u32 s68, s68, 0
	s_waitcnt vmcnt(0)
	v_cmp_ne_u16_sdwa s[72:73], v27, v23 src0_sel:BYTE_0 src1_sel:DWORD
	s_or_b64 s[64:65], s[72:73], s[64:65]
	s_andn2_b64 exec, exec, s[64:65]
	s_cbranch_execnz .LBB1280_170
; %bb.173:
	s_or_b64 exec, exec, s[64:65]
.LBB1280_174:
	s_or_b64 exec, exec, s[62:63]
	v_mov_b32_e32 v23, 2
	v_cmp_eq_u16_sdwa s[62:63], v27, v23 src0_sel:BYTE_0 src1_sel:DWORD
	v_lshlrev_b64 v[28:29], v25, -1
	v_and_b32_e32 v49, 0xffffff, v26
	v_and_b32_e32 v23, s63, v29
	v_or_b32_e32 v23, 0x80000000, v23
	v_ffbl_b32_e32 v23, v23
	v_add_u32_e32 v31, 32, v23
	v_and_b32_e32 v23, 63, v25
	v_cmp_ne_u32_e32 vcc, 63, v23
	v_and_b32_e32 v30, s62, v28
	v_ffbl_b32_e32 v30, v30
	v_addc_co_u32_e32 v38, vcc, 0, v25, vcc
	v_lshlrev_b32_e32 v38, 2, v38
	ds_bpermute_b32 v39, v38, v49
	v_min_u32_e32 v31, v30, v31
	v_lshrrev_b32_e32 v30, 16, v26
	v_cmp_lt_u32_e32 vcc, v23, v31
	v_bfe_u32 v47, v26, 16, 8
	s_and_saveexec_b64 s[62:63], vcc
	s_cbranch_execz .LBB1280_176
; %bb.175:
	v_and_b32_e32 v30, 0xff0000, v26
	v_cmp_eq_u32_e32 vcc, 0, v30
	v_and_b32_e32 v30, 0x10000, v30
	v_mov_b32_e32 v42, 1
	s_waitcnt lgkmcnt(0)
	v_cndmask_b32_e32 v40, 0, v39, vcc
	v_and_b32_sdwa v39, v39, v42 dst_sel:DWORD dst_unused:UNUSED_PAD src0_sel:WORD_1 src1_sel:DWORD
	v_cmp_ne_u32_e32 vcc, 0, v30
	v_add_u16_e32 v41, v40, v26
	v_add_u16_e32 v26, v40, v26
	v_cndmask_b32_e64 v30, v39, 1, vcc
	v_lshlrev_b32_e32 v39, 16, v30
	v_or_b32_e32 v49, v39, v26
	v_mov_b32_e32 v26, v41
	v_mov_b32_e32 v47, v30
.LBB1280_176:
	s_or_b64 exec, exec, s[62:63]
	v_cmp_gt_u32_e32 vcc, 62, v23
	v_add_u32_e32 v40, 2, v23
	s_waitcnt lgkmcnt(0)
	v_cndmask_b32_e64 v39, 0, 1, vcc
	v_lshlrev_b32_e32 v39, 1, v39
	v_add_lshl_u32 v39, v39, v25, 2
	ds_bpermute_b32 v41, v39, v49
	v_cmp_le_u32_e32 vcc, v40, v31
	s_and_saveexec_b64 s[62:63], vcc
	s_cbranch_execz .LBB1280_178
; %bb.177:
	v_cmp_eq_u16_e32 vcc, 0, v47
	v_and_b32_e32 v30, 1, v47
	v_mov_b32_e32 v44, 1
	s_waitcnt lgkmcnt(0)
	v_cndmask_b32_e32 v42, 0, v41, vcc
	v_and_b32_sdwa v41, v41, v44 dst_sel:DWORD dst_unused:UNUSED_PAD src0_sel:WORD_1 src1_sel:DWORD
	v_cmp_eq_u32_e32 vcc, 1, v30
	v_add_u16_e32 v43, v42, v26
	v_add_u16_e32 v26, v42, v26
	v_cndmask_b32_e64 v30, v41, 1, vcc
	v_lshlrev_b32_e32 v41, 16, v30
	v_or_b32_e32 v49, v41, v26
	v_mov_b32_e32 v26, v43
	v_mov_b32_e32 v47, v30
.LBB1280_178:
	s_or_b64 exec, exec, s[62:63]
	v_cmp_gt_u32_e32 vcc, 60, v23
	v_add_u32_e32 v42, 4, v23
	s_waitcnt lgkmcnt(0)
	v_cndmask_b32_e64 v41, 0, 1, vcc
	v_lshlrev_b32_e32 v41, 2, v41
	v_add_lshl_u32 v41, v41, v25, 2
	ds_bpermute_b32 v43, v41, v49
	v_cmp_le_u32_e32 vcc, v42, v31
	s_and_saveexec_b64 s[62:63], vcc
	s_cbranch_execz .LBB1280_180
; %bb.179:
	v_cmp_eq_u16_e32 vcc, 0, v47
	v_and_b32_e32 v30, 1, v47
	v_mov_b32_e32 v46, 1
	s_waitcnt lgkmcnt(0)
	v_cndmask_b32_e32 v44, 0, v43, vcc
	v_and_b32_sdwa v43, v43, v46 dst_sel:DWORD dst_unused:UNUSED_PAD src0_sel:WORD_1 src1_sel:DWORD
	v_cmp_eq_u32_e32 vcc, 1, v30
	v_add_u16_e32 v45, v44, v26
	v_add_u16_e32 v26, v44, v26
	v_cndmask_b32_e64 v30, v43, 1, vcc
	v_lshlrev_b32_e32 v43, 16, v30
	v_or_b32_e32 v49, v43, v26
	v_mov_b32_e32 v26, v45
	v_mov_b32_e32 v47, v30
.LBB1280_180:
	;; [unrolled: 27-line block ×4, first 2 shown]
	s_or_b64 exec, exec, s[62:63]
	v_cmp_gt_u32_e32 vcc, 32, v23
	s_waitcnt lgkmcnt(0)
	s_nop 0
	v_cndmask_b32_e64 v48, 0, 1, vcc
	v_lshlrev_b32_e32 v48, 5, v48
	v_add_lshl_u32 v48, v48, v25, 2
	ds_bpermute_b32 v25, v48, v49
	v_add_u32_e32 v49, 32, v23
	v_cmp_le_u32_e32 vcc, v49, v31
	s_and_saveexec_b64 s[62:63], vcc
	s_cbranch_execz .LBB1280_186
; %bb.185:
	v_cmp_eq_u16_e32 vcc, 0, v47
	v_mov_b32_e32 v31, 1
	s_waitcnt lgkmcnt(0)
	v_cndmask_b32_e32 v30, 0, v25, vcc
	v_add_u16_e32 v26, v30, v26
	v_and_b32_e32 v30, 1, v47
	v_and_b32_sdwa v25, v25, v31 dst_sel:DWORD dst_unused:UNUSED_PAD src0_sel:WORD_1 src1_sel:DWORD
	v_cmp_eq_u32_e32 vcc, 1, v30
	s_nop 1
	v_cndmask_b32_e64 v30, v25, 1, vcc
.LBB1280_186:
	s_or_b64 exec, exec, s[62:63]
	s_waitcnt lgkmcnt(0)
	v_mov_b32_e32 v25, 0
	v_mov_b32_e32 v53, 2
	;; [unrolled: 1-line block ×3, first 2 shown]
	s_branch .LBB1280_188
.LBB1280_187:                           ;   in Loop: Header=BB1280_188 Depth=1
	s_or_b64 exec, exec, s[62:63]
	v_cmp_eq_u16_sdwa vcc, v47, v25 src0_sel:BYTE_0 src1_sel:DWORD
	v_and_b32_e32 v30, 1, v47
	v_and_b32_e32 v31, 1, v31
	v_cndmask_b32_e32 v26, 0, v26, vcc
	v_cmp_eq_u32_e32 vcc, 1, v30
	v_subrev_u32_e32 v24, 64, v24
	v_add_u16_e32 v26, v26, v52
	v_cndmask_b32_e64 v30, v31, 1, vcc
.LBB1280_188:                           ; =>This Loop Header: Depth=1
                                        ;     Child Loop BB1280_191 Depth 2
                                        ;       Child Loop BB1280_192 Depth 3
	v_cmp_ne_u16_sdwa s[62:63], v27, v53 src0_sel:BYTE_0 src1_sel:DWORD
	v_mov_b32_e32 v47, v30
	v_mov_b32_e32 v52, v26
	v_cndmask_b32_e64 v27, 0, 1, s[62:63]
	;;#ASMSTART
	;;#ASMEND
	s_nop 0
	v_cmp_ne_u32_e32 vcc, 0, v27
	s_cmp_lg_u64 vcc, exec
	s_cbranch_scc1 .LBB1280_207
; %bb.189:                              ;   in Loop: Header=BB1280_188 Depth=1
	v_lshl_add_u64 v[30:31], v[24:25], 3, s[76:77]
	global_load_dwordx2 v[26:27], v[30:31], off sc1
	s_waitcnt vmcnt(0)
	v_cmp_eq_u16_sdwa s[64:65], v27, v25 src0_sel:BYTE_0 src1_sel:DWORD
	s_and_saveexec_b64 s[62:63], s[64:65]
	s_cbranch_execz .LBB1280_195
; %bb.190:                              ;   in Loop: Header=BB1280_188 Depth=1
	s_mov_b32 s68, 1
	s_mov_b64 s[64:65], 0
.LBB1280_191:                           ;   Parent Loop BB1280_188 Depth=1
                                        ; =>  This Loop Header: Depth=2
                                        ;       Child Loop BB1280_192 Depth 3
	s_max_u32 s69, s68, 1
.LBB1280_192:                           ;   Parent Loop BB1280_188 Depth=1
                                        ;     Parent Loop BB1280_191 Depth=2
                                        ; =>    This Inner Loop Header: Depth=3
	s_add_i32 s69, s69, -1
	s_cmp_eq_u32 s69, 0
	s_sleep 1
	s_cbranch_scc0 .LBB1280_192
; %bb.193:                              ;   in Loop: Header=BB1280_191 Depth=2
	global_load_dwordx2 v[26:27], v[30:31], off sc1
	s_cmp_lt_u32 s68, 32
	s_cselect_b64 s[72:73], -1, 0
	s_cmp_lg_u64 s[72:73], 0
	s_addc_u32 s68, s68, 0
	s_waitcnt vmcnt(0)
	v_cmp_ne_u16_sdwa s[72:73], v27, v25 src0_sel:BYTE_0 src1_sel:DWORD
	s_or_b64 s[64:65], s[72:73], s[64:65]
	s_andn2_b64 exec, exec, s[64:65]
	s_cbranch_execnz .LBB1280_191
; %bb.194:                              ;   in Loop: Header=BB1280_188 Depth=1
	s_or_b64 exec, exec, s[64:65]
.LBB1280_195:                           ;   in Loop: Header=BB1280_188 Depth=1
	s_or_b64 exec, exec, s[62:63]
	v_cmp_eq_u16_sdwa s[62:63], v27, v53 src0_sel:BYTE_0 src1_sel:DWORD
	s_waitcnt lgkmcnt(0)
	v_and_b32_e32 v56, 0xffffff, v26
	ds_bpermute_b32 v57, v38, v56
	v_and_b32_e32 v30, s63, v29
	v_or_b32_e32 v30, 0x80000000, v30
	v_and_b32_e32 v31, s62, v28
	v_ffbl_b32_e32 v30, v30
	v_add_u32_e32 v30, 32, v30
	v_ffbl_b32_e32 v31, v31
	v_min_u32_e32 v30, v31, v30
	v_lshrrev_b32_e32 v31, 16, v26
	v_cmp_lt_u32_e32 vcc, v23, v30
	v_bfe_u32 v55, v26, 16, 8
	s_and_saveexec_b64 s[62:63], vcc
	s_cbranch_execz .LBB1280_197
; %bb.196:                              ;   in Loop: Header=BB1280_188 Depth=1
	v_and_b32_e32 v31, 0xff0000, v26
	v_cmp_eq_u32_e32 vcc, 0, v31
	v_and_b32_e32 v31, 0x10000, v31
	s_waitcnt lgkmcnt(0)
	v_and_b32_sdwa v56, v57, v54 dst_sel:DWORD dst_unused:UNUSED_PAD src0_sel:WORD_1 src1_sel:DWORD
	v_cndmask_b32_e32 v55, 0, v57, vcc
	v_cmp_ne_u32_e32 vcc, 0, v31
	v_add_u16_e32 v58, v55, v26
	v_add_u16_e32 v26, v55, v26
	v_cndmask_b32_e64 v31, v56, 1, vcc
	v_lshlrev_b32_e32 v56, 16, v31
	v_or_b32_e32 v56, v56, v26
	v_mov_b32_e32 v26, v58
	v_mov_b32_e32 v55, v31
.LBB1280_197:                           ;   in Loop: Header=BB1280_188 Depth=1
	s_or_b64 exec, exec, s[62:63]
	s_waitcnt lgkmcnt(0)
	ds_bpermute_b32 v57, v39, v56
	v_cmp_le_u32_e32 vcc, v40, v30
	s_and_saveexec_b64 s[62:63], vcc
	s_cbranch_execz .LBB1280_199
; %bb.198:                              ;   in Loop: Header=BB1280_188 Depth=1
	v_cmp_eq_u16_e32 vcc, 0, v55
	v_and_b32_e32 v31, 1, v55
	s_waitcnt lgkmcnt(0)
	v_and_b32_sdwa v55, v57, v54 dst_sel:DWORD dst_unused:UNUSED_PAD src0_sel:WORD_1 src1_sel:DWORD
	v_cndmask_b32_e32 v56, 0, v57, vcc
	v_cmp_eq_u32_e32 vcc, 1, v31
	v_add_u16_e32 v58, v56, v26
	v_add_u16_e32 v26, v56, v26
	v_cndmask_b32_e64 v31, v55, 1, vcc
	v_lshlrev_b32_e32 v55, 16, v31
	v_or_b32_e32 v56, v55, v26
	v_mov_b32_e32 v26, v58
	v_mov_b32_e32 v55, v31
.LBB1280_199:                           ;   in Loop: Header=BB1280_188 Depth=1
	s_or_b64 exec, exec, s[62:63]
	s_waitcnt lgkmcnt(0)
	ds_bpermute_b32 v57, v41, v56
	v_cmp_le_u32_e32 vcc, v42, v30
	s_and_saveexec_b64 s[62:63], vcc
	s_cbranch_execz .LBB1280_201
; %bb.200:                              ;   in Loop: Header=BB1280_188 Depth=1
	v_cmp_eq_u16_e32 vcc, 0, v55
	v_and_b32_e32 v31, 1, v55
	s_waitcnt lgkmcnt(0)
	v_and_b32_sdwa v55, v57, v54 dst_sel:DWORD dst_unused:UNUSED_PAD src0_sel:WORD_1 src1_sel:DWORD
	v_cndmask_b32_e32 v56, 0, v57, vcc
	v_cmp_eq_u32_e32 vcc, 1, v31
	v_add_u16_e32 v58, v56, v26
	v_add_u16_e32 v26, v56, v26
	v_cndmask_b32_e64 v31, v55, 1, vcc
	v_lshlrev_b32_e32 v55, 16, v31
	v_or_b32_e32 v56, v55, v26
	v_mov_b32_e32 v26, v58
	v_mov_b32_e32 v55, v31
.LBB1280_201:                           ;   in Loop: Header=BB1280_188 Depth=1
	s_or_b64 exec, exec, s[62:63]
	s_waitcnt lgkmcnt(0)
	ds_bpermute_b32 v57, v43, v56
	v_cmp_le_u32_e32 vcc, v44, v30
	s_and_saveexec_b64 s[62:63], vcc
	s_cbranch_execz .LBB1280_203
; %bb.202:                              ;   in Loop: Header=BB1280_188 Depth=1
	v_cmp_eq_u16_e32 vcc, 0, v55
	v_and_b32_e32 v31, 1, v55
	s_waitcnt lgkmcnt(0)
	v_and_b32_sdwa v55, v57, v54 dst_sel:DWORD dst_unused:UNUSED_PAD src0_sel:WORD_1 src1_sel:DWORD
	v_cndmask_b32_e32 v56, 0, v57, vcc
	v_cmp_eq_u32_e32 vcc, 1, v31
	v_add_u16_e32 v58, v56, v26
	v_add_u16_e32 v26, v56, v26
	v_cndmask_b32_e64 v31, v55, 1, vcc
	v_lshlrev_b32_e32 v55, 16, v31
	v_or_b32_e32 v56, v55, v26
	v_mov_b32_e32 v26, v58
	v_mov_b32_e32 v55, v31
.LBB1280_203:                           ;   in Loop: Header=BB1280_188 Depth=1
	s_or_b64 exec, exec, s[62:63]
	s_waitcnt lgkmcnt(0)
	ds_bpermute_b32 v57, v45, v56
	v_cmp_le_u32_e32 vcc, v46, v30
	s_and_saveexec_b64 s[62:63], vcc
	s_cbranch_execz .LBB1280_205
; %bb.204:                              ;   in Loop: Header=BB1280_188 Depth=1
	v_cmp_eq_u16_e32 vcc, 0, v55
	v_and_b32_e32 v31, 1, v55
	s_waitcnt lgkmcnt(0)
	v_and_b32_sdwa v55, v57, v54 dst_sel:DWORD dst_unused:UNUSED_PAD src0_sel:WORD_1 src1_sel:DWORD
	v_cndmask_b32_e32 v56, 0, v57, vcc
	v_cmp_eq_u32_e32 vcc, 1, v31
	v_add_u16_e32 v58, v56, v26
	v_add_u16_e32 v26, v56, v26
	v_cndmask_b32_e64 v31, v55, 1, vcc
	v_lshlrev_b32_e32 v55, 16, v31
	v_or_b32_e32 v56, v55, v26
	v_mov_b32_e32 v26, v58
	v_mov_b32_e32 v55, v31
.LBB1280_205:                           ;   in Loop: Header=BB1280_188 Depth=1
	s_or_b64 exec, exec, s[62:63]
	ds_bpermute_b32 v56, v48, v56
	v_cmp_le_u32_e32 vcc, v49, v30
	s_and_saveexec_b64 s[62:63], vcc
	s_cbranch_execz .LBB1280_187
; %bb.206:                              ;   in Loop: Header=BB1280_188 Depth=1
	v_cmp_eq_u16_e32 vcc, 0, v55
	s_waitcnt lgkmcnt(0)
	v_lshrrev_b32_e32 v31, 16, v56
	v_cndmask_b32_e32 v30, 0, v56, vcc
	v_add_u16_e32 v26, v30, v26
	v_and_b32_e32 v30, 1, v55
	v_cmp_eq_u32_e32 vcc, 1, v30
	s_nop 1
	v_cndmask_b32_e64 v31, v31, 1, vcc
	s_branch .LBB1280_187
.LBB1280_207:                           ;   in Loop: Header=BB1280_188 Depth=1
                                        ; implicit-def: $vgpr30
                                        ; implicit-def: $vgpr26
	s_cbranch_execz .LBB1280_188
; %bb.208:
	s_and_saveexec_b64 s[62:63], s[54:55]
	s_cbranch_execz .LBB1280_210
; %bb.209:
	v_and_b32_e32 v23, 0xff0000, v22
	s_mov_b32 s65, 0
	v_cmp_eq_u32_e32 vcc, 0, v23
	v_and_b32_e32 v24, 0x10000, v22
	v_mov_b32_e32 v25, 1
	s_add_i32 s64, s79, 64
	v_cndmask_b32_e32 v23, 0, v52, vcc
	v_and_b32_sdwa v25, v47, v25 dst_sel:WORD_1 dst_unused:UNUSED_PAD src0_sel:DWORD src1_sel:DWORD
	v_mov_b32_e32 v26, 0x10000
	v_cmp_eq_u32_e32 vcc, 0, v24
	s_lshl_b64 s[64:65], s[64:65], 3
	s_add_u32 s64, s76, s64
	v_cndmask_b32_e32 v24, v26, v25, vcc
	v_add_u16_e32 v22, v23, v22
	s_addc_u32 s65, s77, s65
	v_mov_b32_e32 v25, 0
	v_or_b32_e32 v22, v24, v22
	v_mov_b32_e32 v23, 2
	global_store_dwordx2 v25, v[22:23], s[64:65] sc1
.LBB1280_210:
	s_or_b64 exec, exec, s[62:63]
	s_and_b64 exec, exec, s[56:57]
	s_cbranch_execz .LBB1280_212
; %bb.211:
	v_mov_b32_e32 v22, 0
	ds_write_b16 v22, v52 offset:12
	ds_write_b8 v22, v47 offset:14
.LBB1280_212:
	s_or_b64 exec, exec, s[0:1]
	s_waitcnt lgkmcnt(0)
	v_lshrrev_b32_e32 v22, 16, v37
	v_mov_b32_e32 v24, 0
	s_mov_b32 s0, 0x10000
	v_cndmask_b32_e64 v22, v22, v36, s[54:55]
	v_cndmask_b32_e64 v23, v37, v35, s[54:55]
	s_barrier
	ds_read_b32 v25, v24 offset:12
	v_cmp_gt_u32_e32 vcc, s0, v1
	v_and_b32_e32 v26, 0x10000, v1
	v_and_b32_e32 v22, 1, v22
	v_cndmask_b32_e32 v23, 0, v23, vcc
	v_cmp_ne_u32_e32 vcc, 0, v26
	v_cndmask_b32_e64 v23, v23, 0, s[56:57]
	v_add_u16_e32 v23, v23, v1
	v_cndmask_b32_e64 v22, v22, 1, vcc
	v_cndmask_b32_e64 v22, v22, v34, s[56:57]
	v_cmp_eq_u16_sdwa vcc, v22, v24 src0_sel:BYTE_0 src1_sel:DWORD
	s_waitcnt lgkmcnt(0)
	s_nop 0
	v_cndmask_b32_e32 v22, 0, v25, vcc
	v_add_u16_e32 v47, v23, v22
	v_cndmask_b32_e64 v22, 0, v47, s[6:7]
	v_add_u16_e32 v22, v22, v50
	v_cndmask_b32_e64 v23, 0, v22, s[8:9]
	;; [unrolled: 2-line block ×23, first 2 shown]
	v_add_u16_e32 v46, v46, v32
	s_branch .LBB1280_243
.LBB1280_213:
                                        ; implicit-def: $vgpr47
                                        ; implicit-def: $vgpr22
                                        ; implicit-def: $vgpr23
                                        ; implicit-def: $vgpr24
                                        ; implicit-def: $vgpr25
                                        ; implicit-def: $vgpr26
                                        ; implicit-def: $vgpr27
                                        ; implicit-def: $vgpr29
                                        ; implicit-def: $vgpr28
                                        ; implicit-def: $vgpr30
                                        ; implicit-def: $vgpr31
                                        ; implicit-def: $vgpr34
                                        ; implicit-def: $vgpr35
                                        ; implicit-def: $vgpr36
                                        ; implicit-def: $vgpr37
                                        ; implicit-def: $vgpr39
                                        ; implicit-def: $vgpr38
                                        ; implicit-def: $vgpr40
                                        ; implicit-def: $vgpr41
                                        ; implicit-def: $vgpr42
                                        ; implicit-def: $vgpr43
                                        ; implicit-def: $vgpr44
                                        ; implicit-def: $vgpr45
                                        ; implicit-def: $vgpr46
	s_cbranch_execz .LBB1280_243
; %bb.214:
	s_cmp_lg_u64 s[80:81], 0
	s_cselect_b32 s7, s71, 0
	s_cselect_b32 s6, s70, 0
	s_cmp_lg_u64 s[6:7], 0
	s_cselect_b64 s[0:1], -1, 0
	s_and_b64 s[8:9], s[56:57], s[0:1]
	s_and_saveexec_b64 s[0:1], s[8:9]
	s_cbranch_execz .LBB1280_216
; %bb.215:
	v_mov_b32_e32 v22, 0
	global_load_ushort v23, v22, s[6:7]
	global_load_ubyte v24, v22, s[6:7] offset:2
	s_mov_b32 s6, 0x10000
	v_and_b32_e32 v22, 0x10000, v1
	v_mov_b32_e32 v25, 1
	v_cmp_gt_u32_e32 vcc, s6, v1
	v_mov_b32_e32 v26, 0x10000
	s_waitcnt vmcnt(0)
	v_and_b32_sdwa v24, v24, v25 dst_sel:WORD_1 dst_unused:UNUSED_PAD src0_sel:DWORD src1_sel:DWORD
	v_cndmask_b32_e32 v23, 0, v23, vcc
	v_cmp_eq_u32_e32 vcc, 0, v22
	v_add_u16_e32 v1, v23, v1
	s_nop 0
	v_cndmask_b32_e32 v22, v26, v24, vcc
	v_or_b32_e32 v1, v22, v1
.LBB1280_216:
	s_or_b64 exec, exec, s[0:1]
	s_mov_b32 s0, 0x10000
	v_cmp_gt_u32_e32 vcc, s0, v50
	v_cmp_gt_u32_e64 s[6:7], s0, v51
	v_cmp_gt_u32_e64 s[8:9], s0, v18
	v_cndmask_b32_e32 v22, 0, v1, vcc
	v_add_u16_e32 v22, v22, v50
	v_cndmask_b32_e64 v23, 0, v22, s[6:7]
	v_add_u16_e32 v23, v23, v51
	v_cndmask_b32_e64 v24, 0, v23, s[8:9]
	v_add_u16_e32 v24, v24, v18
	v_cmp_gt_u32_e64 s[10:11], s0, v19
	v_cmp_gt_u32_e64 s[12:13], s0, v20
	v_bfe_u32 v28, v19, 16, 1
	v_cndmask_b32_e64 v25, 0, v24, s[10:11]
	v_add_u16_e32 v25, v25, v19
	v_mov_b32_e32 v52, 1
	v_cndmask_b32_e64 v26, 0, v25, s[12:13]
	v_lshlrev_b16_e32 v28, 1, v28
	v_and_b32_sdwa v29, v18, v52 dst_sel:DWORD dst_unused:UNUSED_PAD src0_sel:WORD_1 src1_sel:DWORD
	v_add_u16_e32 v26, v26, v20
	v_cmp_gt_u32_e64 s[14:15], s0, v21
	v_or_b32_e32 v28, v29, v28
	v_bfe_u32 v29, v21, 16, 1
	v_and_b32_sdwa v30, v20, v52 dst_sel:DWORD dst_unused:UNUSED_PAD src0_sel:WORD_1 src1_sel:DWORD
	v_cndmask_b32_e64 v27, 0, v26, s[14:15]
	v_lshlrev_b16_e32 v29, 3, v29
	v_lshlrev_b16_e32 v30, 2, v30
	v_add_u16_e32 v27, v27, v21
	v_or_b32_e32 v29, v29, v30
	v_cmp_gt_u32_e64 s[16:17], s0, v2
	v_or_b32_e32 v46, v28, v29
	v_cmp_gt_u32_e64 s[18:19], s0, v3
	v_cndmask_b32_e64 v28, 0, v27, s[16:17]
	v_add_u16_e32 v29, v28, v2
	v_cndmask_b32_e64 v28, 0, v29, s[18:19]
	v_bfe_u32 v48, v11, 16, 1
	v_add_u16_e32 v28, v28, v3
	v_cmp_gt_u32_e64 s[20:21], s0, v4
	v_lshlrev_b16_e32 v48, 1, v48
	v_and_b32_sdwa v49, v10, v52 dst_sel:DWORD dst_unused:UNUSED_PAD src0_sel:WORD_1 src1_sel:DWORD
	v_cndmask_b32_e64 v30, 0, v28, s[20:21]
	v_or_b32_e32 v48, v49, v48
	v_bfe_u32 v49, v13, 16, 1
	v_and_b32_sdwa v53, v12, v52 dst_sel:DWORD dst_unused:UNUSED_PAD src0_sel:WORD_1 src1_sel:DWORD
	v_add_u16_e32 v30, v30, v4
	v_cmp_gt_u32_e64 s[22:23], s0, v5
	v_lshlrev_b16_e32 v49, 3, v49
	v_lshlrev_b16_e32 v53, 2, v53
	v_cndmask_b32_e64 v31, 0, v30, s[22:23]
	v_or_b32_e32 v49, v49, v53
	v_add_u16_e32 v31, v31, v5
	v_cmp_gt_u32_e64 s[24:25], s0, v6
	v_or_b32_sdwa v48, v48, v49 dst_sel:BYTE_1 dst_unused:UNUSED_PAD src0_sel:DWORD src1_sel:DWORD
	v_bfe_u32 v49, v15, 16, 1
	v_cndmask_b32_e64 v34, 0, v31, s[24:25]
	v_lshlrev_b16_e32 v49, 1, v49
	v_and_b32_sdwa v53, v14, v52 dst_sel:DWORD dst_unused:UNUSED_PAD src0_sel:WORD_1 src1_sel:DWORD
	v_add_u16_e32 v34, v34, v6
	v_cmp_gt_u32_e64 s[26:27], s0, v7
	v_or_b32_e32 v49, v53, v49
	v_bfe_u32 v53, v17, 16, 1
	v_and_b32_sdwa v54, v16, v52 dst_sel:DWORD dst_unused:UNUSED_PAD src0_sel:WORD_1 src1_sel:DWORD
	v_cndmask_b32_e64 v35, 0, v34, s[26:27]
	v_lshlrev_b16_e32 v53, 3, v53
	v_lshlrev_b16_e32 v54, 2, v54
	v_add_u16_e32 v35, v35, v7
	v_cmp_gt_u32_e64 s[28:29], s0, v8
	v_or_b32_e32 v53, v53, v54
	v_or_b32_e32 v49, v49, v53
	v_cndmask_b32_e64 v36, 0, v35, s[28:29]
	v_add_u16_e32 v36, v36, v8
	v_cmp_gt_u32_e64 s[30:31], s0, v9
	v_lshlrev_b16_e32 v49, 12, v49
	v_or_b32_e32 v48, v49, v48
	v_cndmask_b32_e64 v37, 0, v36, s[30:31]
	v_bfe_u32 v49, v3, 16, 1
	v_add_u16_e32 v37, v37, v9
	v_cmp_gt_u32_e64 s[34:35], s0, v10
	v_lshlrev_b16_e32 v49, 1, v49
	v_and_b32_sdwa v53, v2, v52 dst_sel:DWORD dst_unused:UNUSED_PAD src0_sel:WORD_1 src1_sel:DWORD
	v_cndmask_b32_e64 v38, 0, v37, s[34:35]
	v_or_b32_e32 v49, v53, v49
	v_bfe_u32 v53, v5, 16, 1
	v_and_b32_sdwa v54, v4, v52 dst_sel:DWORD dst_unused:UNUSED_PAD src0_sel:WORD_1 src1_sel:DWORD
	v_add_u16_e32 v39, v38, v10
	v_cmp_gt_u32_e64 s[36:37], s0, v11
	v_lshlrev_b16_e32 v53, 3, v53
	v_lshlrev_b16_e32 v54, 2, v54
	v_cndmask_b32_e64 v38, 0, v39, s[36:37]
	v_or_b32_e32 v53, v53, v54
	v_add_u16_e32 v38, v38, v11
	v_cmp_gt_u32_e64 s[38:39], s0, v12
	v_or_b32_e32 v49, v49, v53
	v_bfe_u32 v53, v7, 16, 1
	v_cndmask_b32_e64 v40, 0, v38, s[38:39]
	v_lshlrev_b16_e32 v53, 1, v53
	v_and_b32_sdwa v54, v6, v52 dst_sel:DWORD dst_unused:UNUSED_PAD src0_sel:WORD_1 src1_sel:DWORD
	v_add_u16_e32 v40, v40, v12
	v_cmp_gt_u32_e64 s[40:41], s0, v13
	v_or_b32_e32 v53, v54, v53
	v_bfe_u32 v54, v9, 16, 1
	v_and_b32_sdwa v55, v8, v52 dst_sel:DWORD dst_unused:UNUSED_PAD src0_sel:WORD_1 src1_sel:DWORD
	v_cndmask_b32_e64 v41, 0, v40, s[40:41]
	v_lshlrev_b16_e32 v54, 3, v54
	v_lshlrev_b16_e32 v55, 2, v55
	v_add_u16_e32 v41, v41, v13
	v_cmp_gt_u32_e64 s[42:43], s0, v14
	v_or_b32_e32 v54, v54, v55
	v_or_b32_e32 v53, v53, v54
	v_cndmask_b32_e64 v42, 0, v41, s[42:43]
	v_add_u16_e32 v42, v42, v14
	v_cmp_gt_u32_e64 s[44:45], s0, v15
	v_lshlrev_b16_e32 v53, 4, v53
	v_or_b32_e32 v49, v49, v53
	v_cndmask_b32_e64 v43, 0, v42, s[44:45]
	v_add_u16_e32 v43, v43, v15
	v_cmp_gt_u32_e64 s[46:47], s0, v16
	v_or_b32_sdwa v49, v49, v48 dst_sel:DWORD dst_unused:UNUSED_PAD src0_sel:BYTE_0 src1_sel:DWORD
	v_or_b32_e32 v46, v49, v46
	v_cndmask_b32_e64 v44, 0, v43, s[46:47]
	v_add_u16_e32 v44, v44, v16
	v_cmp_gt_u32_e64 s[48:49], s0, v17
	v_cmp_gt_u32_e64 s[50:51], s0, v32
	v_cmp_ne_u16_e64 s[0:1], 0, v46
	v_or3_b32 v46, v51, v50, v32
	v_cndmask_b32_e64 v45, 0, v44, s[48:49]
	v_and_b32_e32 v46, 0x10000, v46
	v_add_u16_e32 v45, v45, v17
	v_cmp_ne_u32_e64 s[52:53], 0, v46
	v_lshrrev_b32_e32 v47, 16, v1
	v_cndmask_b32_e64 v53, 0, v45, s[50:51]
	s_or_b64 s[0:1], s[52:53], s[0:1]
	v_cndmask_b32_e64 v49, v47, 1, s[0:1]
	v_mbcnt_hi_u32_b32 v33, -1, v33
	v_add_u16_e32 v46, v53, v32
	v_add_u16_e32 v48, v53, v32
	v_and_b32_e32 v54, 15, v33
	v_lshl_or_b32 v53, v49, 16, v46
	v_cmp_ne_u32_e64 s[0:1], 0, v54
	s_nop 0
	v_mov_b32_dpp v55, v53 row_shr:1 row_mask:0xf bank_mask:0xf
	s_and_saveexec_b64 s[52:53], s[0:1]
; %bb.217:
	v_cmp_eq_u32_e64 s[0:1], 0, v49
	v_and_b32_e32 v49, 1, v49
	v_and_b32_sdwa v52, v55, v52 dst_sel:DWORD dst_unused:UNUSED_PAD src0_sel:WORD_1 src1_sel:DWORD
	v_cndmask_b32_e64 v53, 0, v55, s[0:1]
	v_cmp_eq_u32_e64 s[0:1], 1, v49
	v_add_u16_e32 v56, v48, v53
	v_add_u16_e32 v48, v48, v53
	v_cndmask_b32_e64 v49, v52, 1, s[0:1]
	v_lshlrev_b32_e32 v52, 16, v49
	v_or_b32_e32 v53, v52, v48
	v_mov_b32_e32 v48, v56
; %bb.218:
	s_or_b64 exec, exec, s[52:53]
	v_lshrrev_b32_e32 v52, 16, v53
	v_mov_b32_dpp v55, v53 row_shr:2 row_mask:0xf bank_mask:0xf
	v_cmp_lt_u32_e64 s[0:1], 1, v54
	s_and_saveexec_b64 s[52:53], s[0:1]
	s_cbranch_execz .LBB1280_220
; %bb.219:
	s_mov_b32 s0, 0x10000
	v_cmp_gt_u32_e64 s[0:1], s0, v53
	v_and_b32_e32 v49, 0x10000, v53
	v_mov_b32_e32 v53, 1
	v_cndmask_b32_e64 v52, 0, v55, s[0:1]
	v_and_b32_sdwa v53, v55, v53 dst_sel:DWORD dst_unused:UNUSED_PAD src0_sel:WORD_1 src1_sel:DWORD
	v_cmp_ne_u32_e64 s[0:1], 0, v49
	v_add_u16_e32 v56, v52, v48
	v_add_u16_e32 v48, v52, v48
	v_cndmask_b32_e64 v49, v53, 1, s[0:1]
	v_lshlrev_b32_e32 v53, 16, v49
	v_or_b32_e32 v53, v53, v48
	v_mov_b32_e32 v52, v49
	v_mov_b32_e32 v48, v56
.LBB1280_220:
	s_or_b64 exec, exec, s[52:53]
	v_mov_b32_dpp v55, v53 row_shr:4 row_mask:0xf bank_mask:0xf
	v_cmp_lt_u32_e64 s[0:1], 3, v54
	s_and_saveexec_b64 s[52:53], s[0:1]
	s_cbranch_execz .LBB1280_222
; %bb.221:
	v_mov_b32_e32 v49, 0
	v_cmp_eq_u16_sdwa s[0:1], v52, v49 src0_sel:BYTE_0 src1_sel:DWORD
	v_and_b32_e32 v49, 1, v52
	v_mov_b32_e32 v52, 1
	v_cndmask_b32_e64 v53, 0, v55, s[0:1]
	v_and_b32_sdwa v52, v55, v52 dst_sel:DWORD dst_unused:UNUSED_PAD src0_sel:WORD_1 src1_sel:DWORD
	v_cmp_eq_u32_e64 s[0:1], 1, v49
	v_add_u16_e32 v56, v53, v48
	v_add_u16_e32 v48, v53, v48
	v_cndmask_b32_e64 v49, v52, 1, s[0:1]
	v_lshlrev_b32_e32 v52, 16, v49
	v_or_b32_e32 v53, v52, v48
	v_mov_b32_e32 v52, v49
	v_mov_b32_e32 v48, v56
.LBB1280_222:
	s_or_b64 exec, exec, s[52:53]
	v_mov_b32_dpp v55, v53 row_shr:8 row_mask:0xf bank_mask:0xf
	v_cmp_lt_u32_e64 s[0:1], 7, v54
	s_and_saveexec_b64 s[52:53], s[0:1]
	s_cbranch_execz .LBB1280_224
; %bb.223:
	v_mov_b32_e32 v49, 0
	v_cmp_eq_u16_sdwa s[0:1], v52, v49 src0_sel:BYTE_0 src1_sel:DWORD
	v_and_b32_e32 v49, 1, v52
	v_mov_b32_e32 v52, 1
	v_cndmask_b32_e64 v53, 0, v55, s[0:1]
	v_and_b32_sdwa v52, v55, v52 dst_sel:DWORD dst_unused:UNUSED_PAD src0_sel:WORD_1 src1_sel:DWORD
	v_cmp_eq_u32_e64 s[0:1], 1, v49
	v_add_u16_e32 v54, v53, v48
	v_add_u16_e32 v48, v53, v48
	v_cndmask_b32_e64 v49, v52, 1, s[0:1]
	v_lshlrev_b32_e32 v52, 16, v49
	v_or_b32_e32 v53, v52, v48
	v_mov_b32_e32 v52, v49
	v_mov_b32_e32 v48, v54
.LBB1280_224:
	s_or_b64 exec, exec, s[52:53]
	v_and_b32_e32 v55, 16, v33
	v_mov_b32_dpp v54, v53 row_bcast:15 row_mask:0xf bank_mask:0xf
	v_cmp_ne_u32_e64 s[0:1], 0, v55
	s_and_saveexec_b64 s[52:53], s[0:1]
	s_cbranch_execz .LBB1280_226
; %bb.225:
	v_mov_b32_e32 v49, 0
	v_cmp_eq_u16_sdwa s[0:1], v52, v49 src0_sel:BYTE_0 src1_sel:DWORD
	v_and_b32_e32 v49, 1, v52
	v_mov_b32_e32 v52, 1
	v_cndmask_b32_e64 v53, 0, v54, s[0:1]
	v_and_b32_sdwa v52, v54, v52 dst_sel:DWORD dst_unused:UNUSED_PAD src0_sel:WORD_1 src1_sel:DWORD
	v_cmp_eq_u32_e64 s[0:1], 1, v49
	v_add_u16_e32 v55, v53, v48
	v_add_u16_e32 v48, v53, v48
	v_cndmask_b32_e64 v49, v52, 1, s[0:1]
	v_lshlrev_b32_e32 v52, 16, v49
	v_or_b32_e32 v53, v52, v48
	v_mov_b32_e32 v48, v55
	v_mov_b32_e32 v52, v49
.LBB1280_226:
	s_or_b64 exec, exec, s[52:53]
	v_mov_b32_dpp v53, v53 row_bcast:31 row_mask:0xf bank_mask:0xf
	v_cmp_lt_u32_e64 s[0:1], 31, v33
	s_and_saveexec_b64 s[52:53], s[0:1]
; %bb.227:
	v_mov_b32_e32 v49, 0
	v_cmp_eq_u16_sdwa s[0:1], v52, v49 src0_sel:BYTE_0 src1_sel:DWORD
	s_nop 1
	v_cndmask_b32_e64 v49, 0, v53, s[0:1]
	v_add_u16_e32 v48, v49, v48
	v_and_b32_e32 v49, 1, v52
	v_mov_b32_e32 v52, 1
	v_and_b32_sdwa v52, v53, v52 dst_sel:DWORD dst_unused:UNUSED_PAD src0_sel:WORD_1 src1_sel:DWORD
	v_cmp_eq_u32_e64 s[0:1], 1, v49
	s_nop 1
	v_cndmask_b32_e64 v49, v52, 1, s[0:1]
; %bb.228:
	s_or_b64 exec, exec, s[52:53]
	v_or_b32_e32 v53, 63, v0
	v_lshrrev_b32_e32 v52, 6, v0
	v_cmp_eq_u32_e64 s[0:1], v53, v0
	s_and_saveexec_b64 s[52:53], s[0:1]
	s_cbranch_execz .LBB1280_230
; %bb.229:
	v_lshlrev_b32_e32 v53, 2, v52
	ds_write_b16 v53, v48
	ds_write_b8 v53, v49 offset:2
.LBB1280_230:
	s_or_b64 exec, exec, s[52:53]
	v_cmp_gt_u32_e64 s[0:1], 4, v0
	s_waitcnt lgkmcnt(0)
	s_barrier
	s_and_saveexec_b64 s[52:53], s[0:1]
	s_cbranch_execz .LBB1280_236
; %bb.231:
	v_lshlrev_b32_e32 v53, 2, v0
	ds_read_b32 v54, v53
	v_and_b32_e32 v57, 3, v33
	v_cmp_ne_u32_e64 s[0:1], 0, v57
	s_waitcnt lgkmcnt(0)
	v_lshrrev_b32_e32 v56, 16, v54
	v_mov_b32_dpp v58, v54 row_shr:1 row_mask:0xf bank_mask:0xf
	v_mov_b32_e32 v55, v54
	s_and_saveexec_b64 s[54:55], s[0:1]
	s_cbranch_execz .LBB1280_233
; %bb.232:
	v_mov_b32_e32 v55, 0
	v_cmp_eq_u16_sdwa s[0:1], v56, v55 src0_sel:BYTE_0 src1_sel:DWORD
	v_and_b32_e32 v56, 0x10000, v54
	v_mov_b32_e32 v61, 1
	v_cndmask_b32_e64 v60, 0, v58, s[0:1]
	v_and_b32_sdwa v58, v58, v61 dst_sel:DWORD dst_unused:UNUSED_PAD src0_sel:WORD_1 src1_sel:DWORD
	v_cmp_ne_u32_e64 s[0:1], 0, v56
	v_and_b32_e32 v59, 0xff000000, v54
	v_add_u16_e32 v55, v60, v54
	v_cndmask_b32_e64 v56, v58, 1, s[0:1]
	v_lshlrev_b32_e32 v58, 16, v56
	v_add_u16_e32 v54, v60, v54
	v_or3_b32 v54, v58, v59, v54
.LBB1280_233:
	s_or_b64 exec, exec, s[54:55]
	s_nop 0
	v_mov_b32_dpp v58, v54 row_shr:2 row_mask:0xf bank_mask:0xf
	v_cmp_lt_u32_e64 s[0:1], 1, v57
	s_and_saveexec_b64 s[54:55], s[0:1]
; %bb.234:
	v_and_b32_e32 v56, 0xff0000, v54
	v_cmp_eq_u32_e64 s[0:1], 0, v56
	v_and_b32_e32 v54, 0x10000, v54
	s_nop 0
	v_cndmask_b32_e64 v56, 0, v58, s[0:1]
	v_add_u16_e32 v55, v56, v55
	v_mov_b32_e32 v56, 1
	v_and_b32_sdwa v56, v58, v56 dst_sel:DWORD dst_unused:UNUSED_PAD src0_sel:WORD_1 src1_sel:DWORD
	v_cmp_eq_u32_e64 s[0:1], 0, v54
	s_nop 1
	v_cndmask_b32_e64 v56, 1, v56, s[0:1]
; %bb.235:
	s_or_b64 exec, exec, s[54:55]
	ds_write_b16 v53, v55
	ds_write_b8 v53, v56 offset:2
.LBB1280_236:
	s_or_b64 exec, exec, s[52:53]
	v_cmp_lt_u32_e64 s[0:1], 63, v0
	v_mov_b32_e32 v53, 0
	s_waitcnt lgkmcnt(0)
	s_barrier
	s_and_saveexec_b64 s[52:53], s[0:1]
	s_cbranch_execz .LBB1280_238
; %bb.237:
	v_lshl_add_u32 v52, v52, 2, -4
	ds_read_u16 v53, v52
	ds_read_u8 v52, v52 offset:2
	v_mov_b32_e32 v54, 0
	v_and_b32_e32 v55, 1, v49
	v_cmp_eq_u16_sdwa s[0:1], v49, v54 src0_sel:BYTE_0 src1_sel:DWORD
	s_waitcnt lgkmcnt(1)
	s_nop 0
	v_cndmask_b32_e64 v49, 0, v53, s[0:1]
	v_cmp_eq_u32_e64 s[0:1], 1, v55
	v_add_u16_e32 v48, v49, v48
	s_waitcnt lgkmcnt(0)
	v_cndmask_b32_e64 v49, v52, 1, s[0:1]
.LBB1280_238:
	s_or_b64 exec, exec, s[52:53]
	v_and_b32_e32 v49, 0xff, v49
	v_and_b32_e32 v48, 0xffff, v48
	v_lshl_or_b32 v48, v49, 16, v48
	v_add_u32_e32 v49, -1, v33
	v_and_b32_e32 v52, 64, v33
	v_cmp_lt_i32_e64 s[0:1], v49, v52
	s_nop 1
	v_cndmask_b32_e64 v49, v49, v33, s[0:1]
	v_lshlrev_b32_e32 v49, 2, v49
	ds_bpermute_b32 v48, v49, v48
	s_and_saveexec_b64 s[52:53], s[4:5]
	s_cbranch_execz .LBB1280_240
; %bb.239:
	v_cmp_eq_u32_e64 s[0:1], 0, v33
	v_and_b32_e32 v23, 0xff0000, v1
	v_mov_b32_e32 v47, 0
	s_waitcnt lgkmcnt(0)
	v_cndmask_b32_e64 v22, v48, v53, s[0:1]
	v_and_b32_e32 v22, 0xffff, v22
	v_cmp_eq_u32_e64 s[0:1], 0, v23
	;;#ASMSTART
	;;#ASMEND
	s_nop 1
	v_cndmask_b32_e64 v22, 0, v22, s[0:1]
	v_add_u32_e32 v1, v22, v1
	v_cndmask_b32_e32 v22, 0, v1, vcc
	v_add_u16_e32 v22, v22, v50
	v_cndmask_b32_e64 v23, 0, v22, s[6:7]
	v_add_u16_e32 v23, v23, v51
	v_cndmask_b32_e64 v24, 0, v23, s[8:9]
	;; [unrolled: 2-line block ×22, first 2 shown]
	v_add_u16_e32 v46, v2, v32
.LBB1280_240:
	s_or_b64 exec, exec, s[52:53]
	s_and_saveexec_b64 s[0:1], s[56:57]
	s_cbranch_execz .LBB1280_242
; %bb.241:
	v_mov_b32_e32 v4, 0
	ds_read_u8 v2, v4 offset:14
	ds_read_u16 v3, v4 offset:12
	s_waitcnt lgkmcnt(1)
	v_lshlrev_b32_e32 v2, 16, v2
	s_waitcnt lgkmcnt(0)
	v_or_b32_e32 v2, v2, v3
	v_mov_b32_e32 v3, 2
	global_store_dwordx2 v4, v[2:3], s[76:77] offset:512 sc1
.LBB1280_242:
	s_or_b64 exec, exec, s[0:1]
	v_lshl_or_b32 v47, v47, 16, v1
.LBB1280_243:
	s_add_u32 s0, s66, s58
	s_addc_u32 s1, s67, s59
	s_add_u32 s0, s0, s60
	s_addc_u32 s1, s1, s61
	s_and_b64 vcc, exec, s[2:3]
	v_mul_u32_u24_e32 v6, 24, v0
	s_cbranch_vccz .LBB1280_295
; %bb.244:
	s_add_i32 s33, s33, s78
	v_cmp_le_u32_e32 vcc, s33, v6
                                        ; implicit-def: $vgpr1
                                        ; implicit-def: $vgpr2
                                        ; implicit-def: $vgpr3
                                        ; implicit-def: $vgpr4
                                        ; implicit-def: $vgpr5
                                        ; implicit-def: $vgpr7
                                        ; implicit-def: $vgpr8
	s_and_saveexec_b64 s[2:3], vcc
	s_xor_b64 s[2:3], exec, s[2:3]
; %bb.245:
	v_or_b32_e32 v1, 1, v6
	v_or_b32_e32 v2, 2, v6
	v_or_b32_e32 v3, 3, v6
	v_or_b32_e32 v4, 4, v6
	v_or_b32_e32 v5, 5, v6
	v_or_b32_e32 v7, 6, v6
	v_or_b32_e32 v8, 7, v6
; %bb.246:
	s_andn2_saveexec_b64 s[2:3], s[2:3]
; %bb.247:
	v_or_b32_e32 v1, 1, v6
	v_or_b32_e32 v2, 2, v6
	;; [unrolled: 1-line block ×7, first 2 shown]
; %bb.248:
	s_or_b64 exec, exec, s[2:3]
	v_lshlrev_b32_e32 v50, 1, v6
	v_lshlrev_b32_e32 v1, 1, v1
	s_waitcnt lgkmcnt(0)
	s_barrier
	ds_write_b16 v50, v47
	ds_write_b16 v1, v22
	v_lshlrev_b32_e32 v1, 1, v2
	ds_write_b16 v1, v23
	v_lshlrev_b32_e32 v1, 1, v3
	ds_write_b16 v1, v24
	v_lshlrev_b32_e32 v1, 1, v4
	ds_write_b16 v1, v25
	v_lshlrev_b32_e32 v1, 1, v5
	ds_write_b16 v1, v26
	v_lshlrev_b32_e32 v1, 1, v7
	s_mov_b32 s2, 0x5040100
	ds_write_b16 v1, v27
	v_lshlrev_b32_e32 v1, 1, v8
	v_perm_b32 v5, v39, v37, s2
	v_perm_b32 v4, v36, v35, s2
	;; [unrolled: 1-line block ×4, first 2 shown]
	ds_write_b16 v1, v29
	ds_write_b128 v50, v[2:5] offset:16
	v_perm_b32 v5, v46, v45, s2
	v_perm_b32 v4, v44, v43, s2
	;; [unrolled: 1-line block ×4, first 2 shown]
	s_movk_i32 s2, 0xffd2
	ds_write_b128 v50, v[2:5] offset:32
	v_mad_i32_i24 v2, v0, s2, v50
	s_waitcnt lgkmcnt(0)
	s_barrier
	ds_read_u16 v53, v2 offset:512
	ds_read_u16 v52, v2 offset:1024
	;; [unrolled: 1-line block ×23, first 2 shown]
	v_mov_b32_e32 v3, 0
	v_lshlrev_b32_e32 v2, 1, v0
	v_lshl_add_u64 v[4:5], s[0:1], 0, v[2:3]
	v_cmp_gt_u32_e32 vcc, s33, v0
	s_and_saveexec_b64 s[2:3], vcc
	s_cbranch_execz .LBB1280_250
; %bb.249:
	v_mul_i32_i24_e32 v2, 0xffffffd2, v0
	v_add_u32_e32 v2, v50, v2
	ds_read_u16 v2, v2
	s_waitcnt lgkmcnt(0)
	flat_store_short v[4:5], v2
.LBB1280_250:
	s_or_b64 exec, exec, s[2:3]
	v_or_b32_e32 v2, 0x100, v0
	v_cmp_gt_u32_e32 vcc, s33, v2
	s_and_saveexec_b64 s[2:3], vcc
	s_cbranch_execz .LBB1280_252
; %bb.251:
	s_waitcnt lgkmcnt(0)
	flat_store_short v[4:5], v53 offset:512
.LBB1280_252:
	s_or_b64 exec, exec, s[2:3]
	v_or_b32_e32 v2, 0x200, v0
	v_cmp_gt_u32_e32 vcc, s33, v2
	s_and_saveexec_b64 s[2:3], vcc
	s_cbranch_execz .LBB1280_254
; %bb.253:
	s_waitcnt lgkmcnt(0)
	flat_store_short v[4:5], v52 offset:1024
.LBB1280_254:
	;; [unrolled: 9-line block ×7, first 2 shown]
	s_or_b64 exec, exec, s[2:3]
	v_or_b32_e32 v2, 0x800, v0
	v_cmp_gt_u32_e32 vcc, s33, v2
	s_and_saveexec_b64 s[2:3], vcc
	s_cbranch_execz .LBB1280_266
; %bb.265:
	s_waitcnt lgkmcnt(0)
	v_add_co_u32_e32 v32, vcc, 0x1000, v4
	s_nop 1
	v_addc_co_u32_e32 v33, vcc, 0, v5, vcc
	flat_store_short v[32:33], v21
.LBB1280_266:
	s_or_b64 exec, exec, s[2:3]
	v_or_b32_e32 v2, 0x900, v0
	v_cmp_gt_u32_e32 vcc, s33, v2
	s_and_saveexec_b64 s[2:3], vcc
	s_cbranch_execz .LBB1280_268
; %bb.267:
	s_waitcnt lgkmcnt(0)
	v_add_co_u32_e32 v32, vcc, 0x1000, v4
	s_nop 1
	v_addc_co_u32_e32 v33, vcc, 0, v5, vcc
	flat_store_short v[32:33], v20 offset:512
.LBB1280_268:
	s_or_b64 exec, exec, s[2:3]
	v_or_b32_e32 v2, 0xa00, v0
	v_cmp_gt_u32_e32 vcc, s33, v2
	s_and_saveexec_b64 s[2:3], vcc
	s_cbranch_execz .LBB1280_270
; %bb.269:
	s_waitcnt lgkmcnt(0)
	v_add_co_u32_e32 v20, vcc, 0x1000, v4
	s_nop 1
	v_addc_co_u32_e32 v21, vcc, 0, v5, vcc
	flat_store_short v[20:21], v19 offset:1024
.LBB1280_270:
	;; [unrolled: 12-line block ×7, first 2 shown]
	s_or_b64 exec, exec, s[2:3]
	v_or_b32_e32 v2, 0x1000, v0
	v_cmp_gt_u32_e32 vcc, s33, v2
	s_and_saveexec_b64 s[2:3], vcc
	s_cbranch_execz .LBB1280_282
; %bb.281:
	s_waitcnt lgkmcnt(0)
	v_add_co_u32_e32 v14, vcc, 0x2000, v4
	s_nop 1
	v_addc_co_u32_e32 v15, vcc, 0, v5, vcc
	flat_store_short v[14:15], v13
.LBB1280_282:
	s_or_b64 exec, exec, s[2:3]
	v_or_b32_e32 v2, 0x1100, v0
	v_cmp_gt_u32_e32 vcc, s33, v2
	s_and_saveexec_b64 s[2:3], vcc
	s_cbranch_execz .LBB1280_284
; %bb.283:
	s_waitcnt lgkmcnt(0)
	v_add_co_u32_e32 v14, vcc, 0x2000, v4
	s_nop 1
	v_addc_co_u32_e32 v15, vcc, 0, v5, vcc
	flat_store_short v[14:15], v12 offset:512
.LBB1280_284:
	s_or_b64 exec, exec, s[2:3]
	v_or_b32_e32 v2, 0x1200, v0
	v_cmp_gt_u32_e32 vcc, s33, v2
	s_and_saveexec_b64 s[2:3], vcc
	s_cbranch_execz .LBB1280_286
; %bb.285:
	s_waitcnt lgkmcnt(0)
	v_add_co_u32_e32 v12, vcc, 0x2000, v4
	s_nop 1
	v_addc_co_u32_e32 v13, vcc, 0, v5, vcc
	flat_store_short v[12:13], v11 offset:1024
.LBB1280_286:
	s_or_b64 exec, exec, s[2:3]
	v_or_b32_e32 v2, 0x1300, v0
	v_cmp_gt_u32_e32 vcc, s33, v2
	s_and_saveexec_b64 s[2:3], vcc
	s_cbranch_execz .LBB1280_288
; %bb.287:
	s_waitcnt lgkmcnt(0)
	v_add_co_u32_e32 v12, vcc, 0x2000, v4
	s_nop 1
	v_addc_co_u32_e32 v13, vcc, 0, v5, vcc
	flat_store_short v[12:13], v10 offset:1536
.LBB1280_288:
	s_or_b64 exec, exec, s[2:3]
	v_or_b32_e32 v2, 0x1400, v0
	v_cmp_gt_u32_e32 vcc, s33, v2
	s_and_saveexec_b64 s[2:3], vcc
	s_cbranch_execz .LBB1280_290
; %bb.289:
	s_waitcnt lgkmcnt(0)
	v_add_co_u32_e32 v10, vcc, 0x2000, v4
	s_nop 1
	v_addc_co_u32_e32 v11, vcc, 0, v5, vcc
	flat_store_short v[10:11], v9 offset:2048
.LBB1280_290:
	s_or_b64 exec, exec, s[2:3]
	v_or_b32_e32 v2, 0x1500, v0
	v_cmp_gt_u32_e32 vcc, s33, v2
	s_and_saveexec_b64 s[2:3], vcc
	s_cbranch_execz .LBB1280_292
; %bb.291:
	s_waitcnt lgkmcnt(0)
	v_add_co_u32_e32 v10, vcc, 0x2000, v4
	s_nop 1
	v_addc_co_u32_e32 v11, vcc, 0, v5, vcc
	flat_store_short v[10:11], v8 offset:2560
.LBB1280_292:
	s_or_b64 exec, exec, s[2:3]
	v_or_b32_e32 v2, 0x1600, v0
	v_cmp_gt_u32_e32 vcc, s33, v2
	s_and_saveexec_b64 s[2:3], vcc
	s_cbranch_execz .LBB1280_294
; %bb.293:
	v_add_co_u32_e32 v4, vcc, 0x2000, v4
	s_nop 1
	v_addc_co_u32_e32 v5, vcc, 0, v5, vcc
	s_waitcnt lgkmcnt(0)
	flat_store_short v[4:5], v1 offset:3072
.LBB1280_294:
	s_or_b64 exec, exec, s[2:3]
	v_or_b32_e32 v2, 0x1700, v0
	s_waitcnt lgkmcnt(0)
	v_mov_b32_e32 v1, v3
	v_cmp_gt_u32_e64 s[2:3], s33, v2
	s_branch .LBB1280_297
.LBB1280_295:
	s_mov_b64 s[2:3], 0
                                        ; implicit-def: $vgpr7
	s_cbranch_execz .LBB1280_297
; %bb.296:
	s_mov_b32 s4, 0x5040100
	v_lshlrev_b32_e32 v6, 1, v6
	v_perm_b32 v5, v29, v27, s4
	v_perm_b32 v4, v26, v25, s4
	;; [unrolled: 1-line block ×4, first 2 shown]
	s_waitcnt lgkmcnt(0)
	s_barrier
	ds_write_b128 v6, v[2:5]
	v_perm_b32 v5, v39, v37, s4
	v_perm_b32 v4, v36, v35, s4
	;; [unrolled: 1-line block ×4, first 2 shown]
	ds_write_b128 v6, v[2:5] offset:16
	v_perm_b32 v4, v44, v43, s4
	v_perm_b32 v3, v42, v41, s4
	;; [unrolled: 1-line block ×4, first 2 shown]
	s_movk_i32 s4, 0xffd2
	ds_write_b128 v6, v[2:5] offset:32
	v_mov_b32_e32 v1, 0
	v_mad_i32_i24 v2, v0, s4, v6
	s_waitcnt lgkmcnt(0)
	s_barrier
	ds_read_u16 v4, v2
	ds_read_u16 v5, v2 offset:512
	ds_read_u16 v6, v2 offset:1024
	;; [unrolled: 1-line block ×23, first 2 shown]
	v_lshlrev_b32_e32 v2, 1, v0
	v_mov_b32_e32 v3, v1
	v_lshl_add_u64 v[2:3], s[0:1], 0, v[2:3]
	s_movk_i32 s4, 0x1000
	s_waitcnt lgkmcnt(0)
	flat_store_short v[2:3], v4
	flat_store_short v[2:3], v5 offset:512
	flat_store_short v[2:3], v6 offset:1024
	;; [unrolled: 1-line block ×7, first 2 shown]
	v_add_co_u32_e32 v4, vcc, s4, v2
	s_or_b64 s[2:3], s[2:3], exec
	s_nop 0
	v_addc_co_u32_e32 v5, vcc, 0, v3, vcc
	v_add_co_u32_e32 v2, vcc, 0x2000, v2
	flat_store_short v[4:5], v13
	flat_store_short v[4:5], v14 offset:512
	flat_store_short v[4:5], v15 offset:1024
	;; [unrolled: 1-line block ×7, first 2 shown]
	v_addc_co_u32_e32 v3, vcc, 0, v3, vcc
	flat_store_short v[2:3], v21
	flat_store_short v[2:3], v22 offset:512
	flat_store_short v[2:3], v23 offset:1024
	;; [unrolled: 1-line block ×6, first 2 shown]
.LBB1280_297:
	s_and_saveexec_b64 s[4:5], s[2:3]
	s_cbranch_execnz .LBB1280_299
; %bb.298:
	s_endpgm
.LBB1280_299:
	v_lshl_add_u64 v[0:1], v[0:1], 1, s[0:1]
	v_add_co_u32_e32 v0, vcc, 0x2000, v0
	s_nop 1
	v_addc_co_u32_e32 v1, vcc, 0, v1, vcc
	flat_store_short v[0:1], v7 offset:3584
	s_endpgm
.LBB1280_300:
	v_lshlrev_b32_e32 v2, 1, v0
	v_lshl_add_u64 v[2:3], s[62:63], 0, v[2:3]
	flat_load_ushort v2, v[2:3]
	s_or_b64 exec, exec, s[0:1]
                                        ; implicit-def: $vgpr3
	s_and_saveexec_b64 s[0:1], s[8:9]
	s_cbranch_execz .LBB1280_61
.LBB1280_301:
	v_lshlrev_b32_e32 v20, 1, v0
	v_mov_b32_e32 v21, 0
	v_lshl_add_u64 v[20:21], s[62:63], 0, v[20:21]
	flat_load_ushort v3, v[20:21] offset:512
	s_or_b64 exec, exec, s[0:1]
                                        ; implicit-def: $vgpr20
	s_and_saveexec_b64 s[0:1], s[10:11]
	s_cbranch_execz .LBB1280_62
.LBB1280_302:
	v_lshlrev_b32_e32 v20, 1, v0
	v_mov_b32_e32 v21, 0
	v_lshl_add_u64 v[20:21], s[62:63], 0, v[20:21]
	flat_load_ushort v20, v[20:21] offset:1024
	s_or_b64 exec, exec, s[0:1]
                                        ; implicit-def: $vgpr21
	s_and_saveexec_b64 s[0:1], s[12:13]
	s_cbranch_execz .LBB1280_63
.LBB1280_303:
	v_lshlrev_b32_e32 v48, 1, v0
	v_mov_b32_e32 v49, 0
	v_lshl_add_u64 v[48:49], s[62:63], 0, v[48:49]
	flat_load_ushort v21, v[48:49] offset:1536
	s_or_b64 exec, exec, s[0:1]
                                        ; implicit-def: $vgpr47
	s_and_saveexec_b64 s[0:1], s[14:15]
	s_cbranch_execz .LBB1280_64
.LBB1280_304:
	v_lshlrev_b32_e32 v48, 1, v0
	v_mov_b32_e32 v49, 0
	v_lshl_add_u64 v[48:49], s[62:63], 0, v[48:49]
	flat_load_ushort v47, v[48:49] offset:2048
	s_or_b64 exec, exec, s[0:1]
                                        ; implicit-def: $vgpr48
	s_and_saveexec_b64 s[0:1], s[16:17]
	s_cbranch_execz .LBB1280_65
.LBB1280_305:
	v_lshlrev_b32_e32 v48, 1, v0
	v_mov_b32_e32 v49, 0
	v_lshl_add_u64 v[48:49], s[62:63], 0, v[48:49]
	flat_load_ushort v48, v[48:49] offset:2560
	s_or_b64 exec, exec, s[0:1]
                                        ; implicit-def: $vgpr49
	s_and_saveexec_b64 s[0:1], s[18:19]
	s_cbranch_execz .LBB1280_66
.LBB1280_306:
	v_lshlrev_b32_e32 v50, 1, v0
	v_mov_b32_e32 v51, 0
	v_lshl_add_u64 v[50:51], s[62:63], 0, v[50:51]
	flat_load_ushort v49, v[50:51] offset:3072
	s_or_b64 exec, exec, s[0:1]
                                        ; implicit-def: $vgpr50
	s_and_saveexec_b64 s[0:1], s[20:21]
	s_cbranch_execz .LBB1280_67
.LBB1280_307:
	v_lshlrev_b32_e32 v50, 1, v0
	v_mov_b32_e32 v51, 0
	v_lshl_add_u64 v[50:51], s[62:63], 0, v[50:51]
	flat_load_ushort v50, v[50:51] offset:3584
	s_or_b64 exec, exec, s[0:1]
                                        ; implicit-def: $vgpr51
	s_and_saveexec_b64 s[0:1], s[22:23]
	s_cbranch_execz .LBB1280_68
.LBB1280_308:
	v_lshlrev_b32_e32 v52, 1, v1
	v_mov_b32_e32 v53, 0
	v_lshl_add_u64 v[52:53], s[62:63], 0, v[52:53]
	flat_load_ushort v51, v[52:53]
	s_or_b64 exec, exec, s[0:1]
                                        ; implicit-def: $vgpr1
	s_and_saveexec_b64 s[0:1], s[24:25]
	s_cbranch_execz .LBB1280_69
.LBB1280_309:
	v_lshlrev_b32_e32 v52, 1, v4
	v_mov_b32_e32 v53, 0
	v_lshl_add_u64 v[52:53], s[62:63], 0, v[52:53]
	flat_load_ushort v1, v[52:53]
	s_or_b64 exec, exec, s[0:1]
                                        ; implicit-def: $vgpr4
	s_and_saveexec_b64 s[0:1], s[26:27]
	s_cbranch_execz .LBB1280_70
.LBB1280_310:
	v_lshlrev_b32_e32 v4, 1, v5
	v_mov_b32_e32 v5, 0
	v_lshl_add_u64 v[4:5], s[62:63], 0, v[4:5]
	flat_load_ushort v4, v[4:5]
	s_or_b64 exec, exec, s[0:1]
                                        ; implicit-def: $vgpr5
	s_and_saveexec_b64 s[0:1], s[28:29]
	s_cbranch_execz .LBB1280_71
.LBB1280_311:
	v_lshlrev_b32_e32 v52, 1, v6
	v_mov_b32_e32 v53, 0
	v_lshl_add_u64 v[52:53], s[62:63], 0, v[52:53]
	flat_load_ushort v5, v[52:53]
	s_or_b64 exec, exec, s[0:1]
                                        ; implicit-def: $vgpr6
	s_and_saveexec_b64 s[0:1], s[30:31]
	s_cbranch_execz .LBB1280_72
.LBB1280_312:
	v_lshlrev_b32_e32 v6, 1, v7
	v_mov_b32_e32 v7, 0
	v_lshl_add_u64 v[6:7], s[62:63], 0, v[6:7]
	flat_load_ushort v6, v[6:7]
	s_or_b64 exec, exec, s[0:1]
                                        ; implicit-def: $vgpr7
	s_and_saveexec_b64 s[0:1], s[34:35]
	s_cbranch_execz .LBB1280_73
.LBB1280_313:
	v_lshlrev_b32_e32 v52, 1, v8
	v_mov_b32_e32 v53, 0
	v_lshl_add_u64 v[52:53], s[62:63], 0, v[52:53]
	flat_load_ushort v7, v[52:53]
	s_or_b64 exec, exec, s[0:1]
                                        ; implicit-def: $vgpr8
	s_and_saveexec_b64 s[0:1], s[36:37]
	s_cbranch_execz .LBB1280_74
.LBB1280_314:
	v_lshlrev_b32_e32 v8, 1, v9
	v_mov_b32_e32 v9, 0
	v_lshl_add_u64 v[8:9], s[62:63], 0, v[8:9]
	flat_load_ushort v8, v[8:9]
	s_or_b64 exec, exec, s[0:1]
                                        ; implicit-def: $vgpr9
	s_and_saveexec_b64 s[0:1], s[38:39]
	s_cbranch_execz .LBB1280_75
.LBB1280_315:
	v_lshlrev_b32_e32 v52, 1, v10
	v_mov_b32_e32 v53, 0
	v_lshl_add_u64 v[52:53], s[62:63], 0, v[52:53]
	flat_load_ushort v9, v[52:53]
	s_or_b64 exec, exec, s[0:1]
                                        ; implicit-def: $vgpr10
	s_and_saveexec_b64 s[0:1], s[40:41]
	s_cbranch_execz .LBB1280_76
.LBB1280_316:
	v_lshlrev_b32_e32 v10, 1, v11
	v_mov_b32_e32 v11, 0
	v_lshl_add_u64 v[10:11], s[62:63], 0, v[10:11]
	flat_load_ushort v10, v[10:11]
	s_or_b64 exec, exec, s[0:1]
                                        ; implicit-def: $vgpr11
	s_and_saveexec_b64 s[0:1], s[42:43]
	s_cbranch_execz .LBB1280_77
.LBB1280_317:
	v_lshlrev_b32_e32 v52, 1, v12
	v_mov_b32_e32 v53, 0
	v_lshl_add_u64 v[52:53], s[62:63], 0, v[52:53]
	flat_load_ushort v11, v[52:53]
	s_or_b64 exec, exec, s[0:1]
                                        ; implicit-def: $vgpr12
	s_and_saveexec_b64 s[0:1], s[44:45]
	s_cbranch_execz .LBB1280_78
.LBB1280_318:
	v_lshlrev_b32_e32 v12, 1, v13
	v_mov_b32_e32 v13, 0
	v_lshl_add_u64 v[12:13], s[62:63], 0, v[12:13]
	flat_load_ushort v12, v[12:13]
	s_or_b64 exec, exec, s[0:1]
                                        ; implicit-def: $vgpr13
	s_and_saveexec_b64 s[0:1], s[46:47]
	s_cbranch_execz .LBB1280_79
.LBB1280_319:
	v_lshlrev_b32_e32 v52, 1, v14
	v_mov_b32_e32 v53, 0
	v_lshl_add_u64 v[52:53], s[62:63], 0, v[52:53]
	flat_load_ushort v13, v[52:53]
	s_or_b64 exec, exec, s[0:1]
                                        ; implicit-def: $vgpr14
	s_and_saveexec_b64 s[0:1], s[48:49]
	s_cbranch_execz .LBB1280_80
.LBB1280_320:
	v_lshlrev_b32_e32 v14, 1, v15
	v_mov_b32_e32 v15, 0
	v_lshl_add_u64 v[14:15], s[62:63], 0, v[14:15]
	flat_load_ushort v14, v[14:15]
	s_or_b64 exec, exec, s[0:1]
                                        ; implicit-def: $vgpr15
	s_and_saveexec_b64 s[0:1], s[50:51]
	s_cbranch_execz .LBB1280_81
.LBB1280_321:
	v_lshlrev_b32_e32 v52, 1, v16
	v_mov_b32_e32 v53, 0
	v_lshl_add_u64 v[52:53], s[62:63], 0, v[52:53]
	flat_load_ushort v15, v[52:53]
	s_or_b64 exec, exec, s[0:1]
                                        ; implicit-def: $vgpr16
	s_and_saveexec_b64 s[0:1], s[52:53]
	s_cbranch_execz .LBB1280_82
.LBB1280_322:
	v_lshlrev_b32_e32 v16, 1, v17
	v_mov_b32_e32 v17, 0
	v_lshl_add_u64 v[16:17], s[62:63], 0, v[16:17]
	flat_load_ushort v16, v[16:17]
	s_or_b64 exec, exec, s[0:1]
                                        ; implicit-def: $vgpr17
	s_and_saveexec_b64 s[0:1], s[54:55]
	s_cbranch_execnz .LBB1280_83
	s_branch .LBB1280_84
.LBB1280_323:
                                        ; implicit-def: $sgpr0_sgpr1
	s_branch .LBB1280_56
.LBB1280_324:
                                        ; implicit-def: $sgpr0_sgpr1
	s_branch .LBB1280_135
	.section	.rodata,"a",@progbits
	.p2align	6, 0x0
	.amdhsa_kernel _ZN7rocprim17ROCPRIM_400000_NS6detail17trampoline_kernelINS0_14default_configENS1_27scan_by_key_config_selectorIitEEZZNS1_16scan_by_key_implILNS1_25lookback_scan_determinismE0ELb0ES3_N6thrust23THRUST_200600_302600_NS6detail15normal_iteratorINS9_10device_ptrIiEEEENSB_INSC_ItEEEESG_tNS9_4plusIvEENS9_8equal_toIvEEtEE10hipError_tPvRmT2_T3_T4_T5_mT6_T7_P12ihipStream_tbENKUlT_T0_E_clISt17integral_constantIbLb1EES11_EEDaSW_SX_EUlSW_E_NS1_11comp_targetILNS1_3genE5ELNS1_11target_archE942ELNS1_3gpuE9ELNS1_3repE0EEENS1_30default_config_static_selectorELNS0_4arch9wavefront6targetE1EEEvT1_
		.amdhsa_group_segment_fixed_size 26624
		.amdhsa_private_segment_fixed_size 0
		.amdhsa_kernarg_size 112
		.amdhsa_user_sgpr_count 2
		.amdhsa_user_sgpr_dispatch_ptr 0
		.amdhsa_user_sgpr_queue_ptr 0
		.amdhsa_user_sgpr_kernarg_segment_ptr 1
		.amdhsa_user_sgpr_dispatch_id 0
		.amdhsa_user_sgpr_kernarg_preload_length 0
		.amdhsa_user_sgpr_kernarg_preload_offset 0
		.amdhsa_user_sgpr_private_segment_size 0
		.amdhsa_uses_dynamic_stack 0
		.amdhsa_enable_private_segment 0
		.amdhsa_system_sgpr_workgroup_id_x 1
		.amdhsa_system_sgpr_workgroup_id_y 0
		.amdhsa_system_sgpr_workgroup_id_z 0
		.amdhsa_system_sgpr_workgroup_info 0
		.amdhsa_system_vgpr_workitem_id 0
		.amdhsa_next_free_vgpr 62
		.amdhsa_next_free_sgpr 87
		.amdhsa_accum_offset 64
		.amdhsa_reserve_vcc 1
		.amdhsa_float_round_mode_32 0
		.amdhsa_float_round_mode_16_64 0
		.amdhsa_float_denorm_mode_32 3
		.amdhsa_float_denorm_mode_16_64 3
		.amdhsa_dx10_clamp 1
		.amdhsa_ieee_mode 1
		.amdhsa_fp16_overflow 0
		.amdhsa_tg_split 0
		.amdhsa_exception_fp_ieee_invalid_op 0
		.amdhsa_exception_fp_denorm_src 0
		.amdhsa_exception_fp_ieee_div_zero 0
		.amdhsa_exception_fp_ieee_overflow 0
		.amdhsa_exception_fp_ieee_underflow 0
		.amdhsa_exception_fp_ieee_inexact 0
		.amdhsa_exception_int_div_zero 0
	.end_amdhsa_kernel
	.section	.text._ZN7rocprim17ROCPRIM_400000_NS6detail17trampoline_kernelINS0_14default_configENS1_27scan_by_key_config_selectorIitEEZZNS1_16scan_by_key_implILNS1_25lookback_scan_determinismE0ELb0ES3_N6thrust23THRUST_200600_302600_NS6detail15normal_iteratorINS9_10device_ptrIiEEEENSB_INSC_ItEEEESG_tNS9_4plusIvEENS9_8equal_toIvEEtEE10hipError_tPvRmT2_T3_T4_T5_mT6_T7_P12ihipStream_tbENKUlT_T0_E_clISt17integral_constantIbLb1EES11_EEDaSW_SX_EUlSW_E_NS1_11comp_targetILNS1_3genE5ELNS1_11target_archE942ELNS1_3gpuE9ELNS1_3repE0EEENS1_30default_config_static_selectorELNS0_4arch9wavefront6targetE1EEEvT1_,"axG",@progbits,_ZN7rocprim17ROCPRIM_400000_NS6detail17trampoline_kernelINS0_14default_configENS1_27scan_by_key_config_selectorIitEEZZNS1_16scan_by_key_implILNS1_25lookback_scan_determinismE0ELb0ES3_N6thrust23THRUST_200600_302600_NS6detail15normal_iteratorINS9_10device_ptrIiEEEENSB_INSC_ItEEEESG_tNS9_4plusIvEENS9_8equal_toIvEEtEE10hipError_tPvRmT2_T3_T4_T5_mT6_T7_P12ihipStream_tbENKUlT_T0_E_clISt17integral_constantIbLb1EES11_EEDaSW_SX_EUlSW_E_NS1_11comp_targetILNS1_3genE5ELNS1_11target_archE942ELNS1_3gpuE9ELNS1_3repE0EEENS1_30default_config_static_selectorELNS0_4arch9wavefront6targetE1EEEvT1_,comdat
.Lfunc_end1280:
	.size	_ZN7rocprim17ROCPRIM_400000_NS6detail17trampoline_kernelINS0_14default_configENS1_27scan_by_key_config_selectorIitEEZZNS1_16scan_by_key_implILNS1_25lookback_scan_determinismE0ELb0ES3_N6thrust23THRUST_200600_302600_NS6detail15normal_iteratorINS9_10device_ptrIiEEEENSB_INSC_ItEEEESG_tNS9_4plusIvEENS9_8equal_toIvEEtEE10hipError_tPvRmT2_T3_T4_T5_mT6_T7_P12ihipStream_tbENKUlT_T0_E_clISt17integral_constantIbLb1EES11_EEDaSW_SX_EUlSW_E_NS1_11comp_targetILNS1_3genE5ELNS1_11target_archE942ELNS1_3gpuE9ELNS1_3repE0EEENS1_30default_config_static_selectorELNS0_4arch9wavefront6targetE1EEEvT1_, .Lfunc_end1280-_ZN7rocprim17ROCPRIM_400000_NS6detail17trampoline_kernelINS0_14default_configENS1_27scan_by_key_config_selectorIitEEZZNS1_16scan_by_key_implILNS1_25lookback_scan_determinismE0ELb0ES3_N6thrust23THRUST_200600_302600_NS6detail15normal_iteratorINS9_10device_ptrIiEEEENSB_INSC_ItEEEESG_tNS9_4plusIvEENS9_8equal_toIvEEtEE10hipError_tPvRmT2_T3_T4_T5_mT6_T7_P12ihipStream_tbENKUlT_T0_E_clISt17integral_constantIbLb1EES11_EEDaSW_SX_EUlSW_E_NS1_11comp_targetILNS1_3genE5ELNS1_11target_archE942ELNS1_3gpuE9ELNS1_3repE0EEENS1_30default_config_static_selectorELNS0_4arch9wavefront6targetE1EEEvT1_
                                        ; -- End function
	.section	.AMDGPU.csdata,"",@progbits
; Kernel info:
; codeLenInByte = 16336
; NumSgprs: 93
; NumVgprs: 62
; NumAgprs: 0
; TotalNumVgprs: 62
; ScratchSize: 0
; MemoryBound: 0
; FloatMode: 240
; IeeeMode: 1
; LDSByteSize: 26624 bytes/workgroup (compile time only)
; SGPRBlocks: 11
; VGPRBlocks: 7
; NumSGPRsForWavesPerEU: 93
; NumVGPRsForWavesPerEU: 62
; AccumOffset: 64
; Occupancy: 2
; WaveLimiterHint : 1
; COMPUTE_PGM_RSRC2:SCRATCH_EN: 0
; COMPUTE_PGM_RSRC2:USER_SGPR: 2
; COMPUTE_PGM_RSRC2:TRAP_HANDLER: 0
; COMPUTE_PGM_RSRC2:TGID_X_EN: 1
; COMPUTE_PGM_RSRC2:TGID_Y_EN: 0
; COMPUTE_PGM_RSRC2:TGID_Z_EN: 0
; COMPUTE_PGM_RSRC2:TIDIG_COMP_CNT: 0
; COMPUTE_PGM_RSRC3_GFX90A:ACCUM_OFFSET: 15
; COMPUTE_PGM_RSRC3_GFX90A:TG_SPLIT: 0
	.section	.text._ZN7rocprim17ROCPRIM_400000_NS6detail17trampoline_kernelINS0_14default_configENS1_27scan_by_key_config_selectorIitEEZZNS1_16scan_by_key_implILNS1_25lookback_scan_determinismE0ELb0ES3_N6thrust23THRUST_200600_302600_NS6detail15normal_iteratorINS9_10device_ptrIiEEEENSB_INSC_ItEEEESG_tNS9_4plusIvEENS9_8equal_toIvEEtEE10hipError_tPvRmT2_T3_T4_T5_mT6_T7_P12ihipStream_tbENKUlT_T0_E_clISt17integral_constantIbLb1EES11_EEDaSW_SX_EUlSW_E_NS1_11comp_targetILNS1_3genE4ELNS1_11target_archE910ELNS1_3gpuE8ELNS1_3repE0EEENS1_30default_config_static_selectorELNS0_4arch9wavefront6targetE1EEEvT1_,"axG",@progbits,_ZN7rocprim17ROCPRIM_400000_NS6detail17trampoline_kernelINS0_14default_configENS1_27scan_by_key_config_selectorIitEEZZNS1_16scan_by_key_implILNS1_25lookback_scan_determinismE0ELb0ES3_N6thrust23THRUST_200600_302600_NS6detail15normal_iteratorINS9_10device_ptrIiEEEENSB_INSC_ItEEEESG_tNS9_4plusIvEENS9_8equal_toIvEEtEE10hipError_tPvRmT2_T3_T4_T5_mT6_T7_P12ihipStream_tbENKUlT_T0_E_clISt17integral_constantIbLb1EES11_EEDaSW_SX_EUlSW_E_NS1_11comp_targetILNS1_3genE4ELNS1_11target_archE910ELNS1_3gpuE8ELNS1_3repE0EEENS1_30default_config_static_selectorELNS0_4arch9wavefront6targetE1EEEvT1_,comdat
	.protected	_ZN7rocprim17ROCPRIM_400000_NS6detail17trampoline_kernelINS0_14default_configENS1_27scan_by_key_config_selectorIitEEZZNS1_16scan_by_key_implILNS1_25lookback_scan_determinismE0ELb0ES3_N6thrust23THRUST_200600_302600_NS6detail15normal_iteratorINS9_10device_ptrIiEEEENSB_INSC_ItEEEESG_tNS9_4plusIvEENS9_8equal_toIvEEtEE10hipError_tPvRmT2_T3_T4_T5_mT6_T7_P12ihipStream_tbENKUlT_T0_E_clISt17integral_constantIbLb1EES11_EEDaSW_SX_EUlSW_E_NS1_11comp_targetILNS1_3genE4ELNS1_11target_archE910ELNS1_3gpuE8ELNS1_3repE0EEENS1_30default_config_static_selectorELNS0_4arch9wavefront6targetE1EEEvT1_ ; -- Begin function _ZN7rocprim17ROCPRIM_400000_NS6detail17trampoline_kernelINS0_14default_configENS1_27scan_by_key_config_selectorIitEEZZNS1_16scan_by_key_implILNS1_25lookback_scan_determinismE0ELb0ES3_N6thrust23THRUST_200600_302600_NS6detail15normal_iteratorINS9_10device_ptrIiEEEENSB_INSC_ItEEEESG_tNS9_4plusIvEENS9_8equal_toIvEEtEE10hipError_tPvRmT2_T3_T4_T5_mT6_T7_P12ihipStream_tbENKUlT_T0_E_clISt17integral_constantIbLb1EES11_EEDaSW_SX_EUlSW_E_NS1_11comp_targetILNS1_3genE4ELNS1_11target_archE910ELNS1_3gpuE8ELNS1_3repE0EEENS1_30default_config_static_selectorELNS0_4arch9wavefront6targetE1EEEvT1_
	.globl	_ZN7rocprim17ROCPRIM_400000_NS6detail17trampoline_kernelINS0_14default_configENS1_27scan_by_key_config_selectorIitEEZZNS1_16scan_by_key_implILNS1_25lookback_scan_determinismE0ELb0ES3_N6thrust23THRUST_200600_302600_NS6detail15normal_iteratorINS9_10device_ptrIiEEEENSB_INSC_ItEEEESG_tNS9_4plusIvEENS9_8equal_toIvEEtEE10hipError_tPvRmT2_T3_T4_T5_mT6_T7_P12ihipStream_tbENKUlT_T0_E_clISt17integral_constantIbLb1EES11_EEDaSW_SX_EUlSW_E_NS1_11comp_targetILNS1_3genE4ELNS1_11target_archE910ELNS1_3gpuE8ELNS1_3repE0EEENS1_30default_config_static_selectorELNS0_4arch9wavefront6targetE1EEEvT1_
	.p2align	8
	.type	_ZN7rocprim17ROCPRIM_400000_NS6detail17trampoline_kernelINS0_14default_configENS1_27scan_by_key_config_selectorIitEEZZNS1_16scan_by_key_implILNS1_25lookback_scan_determinismE0ELb0ES3_N6thrust23THRUST_200600_302600_NS6detail15normal_iteratorINS9_10device_ptrIiEEEENSB_INSC_ItEEEESG_tNS9_4plusIvEENS9_8equal_toIvEEtEE10hipError_tPvRmT2_T3_T4_T5_mT6_T7_P12ihipStream_tbENKUlT_T0_E_clISt17integral_constantIbLb1EES11_EEDaSW_SX_EUlSW_E_NS1_11comp_targetILNS1_3genE4ELNS1_11target_archE910ELNS1_3gpuE8ELNS1_3repE0EEENS1_30default_config_static_selectorELNS0_4arch9wavefront6targetE1EEEvT1_,@function
_ZN7rocprim17ROCPRIM_400000_NS6detail17trampoline_kernelINS0_14default_configENS1_27scan_by_key_config_selectorIitEEZZNS1_16scan_by_key_implILNS1_25lookback_scan_determinismE0ELb0ES3_N6thrust23THRUST_200600_302600_NS6detail15normal_iteratorINS9_10device_ptrIiEEEENSB_INSC_ItEEEESG_tNS9_4plusIvEENS9_8equal_toIvEEtEE10hipError_tPvRmT2_T3_T4_T5_mT6_T7_P12ihipStream_tbENKUlT_T0_E_clISt17integral_constantIbLb1EES11_EEDaSW_SX_EUlSW_E_NS1_11comp_targetILNS1_3genE4ELNS1_11target_archE910ELNS1_3gpuE8ELNS1_3repE0EEENS1_30default_config_static_selectorELNS0_4arch9wavefront6targetE1EEEvT1_: ; @_ZN7rocprim17ROCPRIM_400000_NS6detail17trampoline_kernelINS0_14default_configENS1_27scan_by_key_config_selectorIitEEZZNS1_16scan_by_key_implILNS1_25lookback_scan_determinismE0ELb0ES3_N6thrust23THRUST_200600_302600_NS6detail15normal_iteratorINS9_10device_ptrIiEEEENSB_INSC_ItEEEESG_tNS9_4plusIvEENS9_8equal_toIvEEtEE10hipError_tPvRmT2_T3_T4_T5_mT6_T7_P12ihipStream_tbENKUlT_T0_E_clISt17integral_constantIbLb1EES11_EEDaSW_SX_EUlSW_E_NS1_11comp_targetILNS1_3genE4ELNS1_11target_archE910ELNS1_3gpuE8ELNS1_3repE0EEENS1_30default_config_static_selectorELNS0_4arch9wavefront6targetE1EEEvT1_
; %bb.0:
	.section	.rodata,"a",@progbits
	.p2align	6, 0x0
	.amdhsa_kernel _ZN7rocprim17ROCPRIM_400000_NS6detail17trampoline_kernelINS0_14default_configENS1_27scan_by_key_config_selectorIitEEZZNS1_16scan_by_key_implILNS1_25lookback_scan_determinismE0ELb0ES3_N6thrust23THRUST_200600_302600_NS6detail15normal_iteratorINS9_10device_ptrIiEEEENSB_INSC_ItEEEESG_tNS9_4plusIvEENS9_8equal_toIvEEtEE10hipError_tPvRmT2_T3_T4_T5_mT6_T7_P12ihipStream_tbENKUlT_T0_E_clISt17integral_constantIbLb1EES11_EEDaSW_SX_EUlSW_E_NS1_11comp_targetILNS1_3genE4ELNS1_11target_archE910ELNS1_3gpuE8ELNS1_3repE0EEENS1_30default_config_static_selectorELNS0_4arch9wavefront6targetE1EEEvT1_
		.amdhsa_group_segment_fixed_size 0
		.amdhsa_private_segment_fixed_size 0
		.amdhsa_kernarg_size 112
		.amdhsa_user_sgpr_count 2
		.amdhsa_user_sgpr_dispatch_ptr 0
		.amdhsa_user_sgpr_queue_ptr 0
		.amdhsa_user_sgpr_kernarg_segment_ptr 1
		.amdhsa_user_sgpr_dispatch_id 0
		.amdhsa_user_sgpr_kernarg_preload_length 0
		.amdhsa_user_sgpr_kernarg_preload_offset 0
		.amdhsa_user_sgpr_private_segment_size 0
		.amdhsa_uses_dynamic_stack 0
		.amdhsa_enable_private_segment 0
		.amdhsa_system_sgpr_workgroup_id_x 1
		.amdhsa_system_sgpr_workgroup_id_y 0
		.amdhsa_system_sgpr_workgroup_id_z 0
		.amdhsa_system_sgpr_workgroup_info 0
		.amdhsa_system_vgpr_workitem_id 0
		.amdhsa_next_free_vgpr 1
		.amdhsa_next_free_sgpr 0
		.amdhsa_accum_offset 4
		.amdhsa_reserve_vcc 0
		.amdhsa_float_round_mode_32 0
		.amdhsa_float_round_mode_16_64 0
		.amdhsa_float_denorm_mode_32 3
		.amdhsa_float_denorm_mode_16_64 3
		.amdhsa_dx10_clamp 1
		.amdhsa_ieee_mode 1
		.amdhsa_fp16_overflow 0
		.amdhsa_tg_split 0
		.amdhsa_exception_fp_ieee_invalid_op 0
		.amdhsa_exception_fp_denorm_src 0
		.amdhsa_exception_fp_ieee_div_zero 0
		.amdhsa_exception_fp_ieee_overflow 0
		.amdhsa_exception_fp_ieee_underflow 0
		.amdhsa_exception_fp_ieee_inexact 0
		.amdhsa_exception_int_div_zero 0
	.end_amdhsa_kernel
	.section	.text._ZN7rocprim17ROCPRIM_400000_NS6detail17trampoline_kernelINS0_14default_configENS1_27scan_by_key_config_selectorIitEEZZNS1_16scan_by_key_implILNS1_25lookback_scan_determinismE0ELb0ES3_N6thrust23THRUST_200600_302600_NS6detail15normal_iteratorINS9_10device_ptrIiEEEENSB_INSC_ItEEEESG_tNS9_4plusIvEENS9_8equal_toIvEEtEE10hipError_tPvRmT2_T3_T4_T5_mT6_T7_P12ihipStream_tbENKUlT_T0_E_clISt17integral_constantIbLb1EES11_EEDaSW_SX_EUlSW_E_NS1_11comp_targetILNS1_3genE4ELNS1_11target_archE910ELNS1_3gpuE8ELNS1_3repE0EEENS1_30default_config_static_selectorELNS0_4arch9wavefront6targetE1EEEvT1_,"axG",@progbits,_ZN7rocprim17ROCPRIM_400000_NS6detail17trampoline_kernelINS0_14default_configENS1_27scan_by_key_config_selectorIitEEZZNS1_16scan_by_key_implILNS1_25lookback_scan_determinismE0ELb0ES3_N6thrust23THRUST_200600_302600_NS6detail15normal_iteratorINS9_10device_ptrIiEEEENSB_INSC_ItEEEESG_tNS9_4plusIvEENS9_8equal_toIvEEtEE10hipError_tPvRmT2_T3_T4_T5_mT6_T7_P12ihipStream_tbENKUlT_T0_E_clISt17integral_constantIbLb1EES11_EEDaSW_SX_EUlSW_E_NS1_11comp_targetILNS1_3genE4ELNS1_11target_archE910ELNS1_3gpuE8ELNS1_3repE0EEENS1_30default_config_static_selectorELNS0_4arch9wavefront6targetE1EEEvT1_,comdat
.Lfunc_end1281:
	.size	_ZN7rocprim17ROCPRIM_400000_NS6detail17trampoline_kernelINS0_14default_configENS1_27scan_by_key_config_selectorIitEEZZNS1_16scan_by_key_implILNS1_25lookback_scan_determinismE0ELb0ES3_N6thrust23THRUST_200600_302600_NS6detail15normal_iteratorINS9_10device_ptrIiEEEENSB_INSC_ItEEEESG_tNS9_4plusIvEENS9_8equal_toIvEEtEE10hipError_tPvRmT2_T3_T4_T5_mT6_T7_P12ihipStream_tbENKUlT_T0_E_clISt17integral_constantIbLb1EES11_EEDaSW_SX_EUlSW_E_NS1_11comp_targetILNS1_3genE4ELNS1_11target_archE910ELNS1_3gpuE8ELNS1_3repE0EEENS1_30default_config_static_selectorELNS0_4arch9wavefront6targetE1EEEvT1_, .Lfunc_end1281-_ZN7rocprim17ROCPRIM_400000_NS6detail17trampoline_kernelINS0_14default_configENS1_27scan_by_key_config_selectorIitEEZZNS1_16scan_by_key_implILNS1_25lookback_scan_determinismE0ELb0ES3_N6thrust23THRUST_200600_302600_NS6detail15normal_iteratorINS9_10device_ptrIiEEEENSB_INSC_ItEEEESG_tNS9_4plusIvEENS9_8equal_toIvEEtEE10hipError_tPvRmT2_T3_T4_T5_mT6_T7_P12ihipStream_tbENKUlT_T0_E_clISt17integral_constantIbLb1EES11_EEDaSW_SX_EUlSW_E_NS1_11comp_targetILNS1_3genE4ELNS1_11target_archE910ELNS1_3gpuE8ELNS1_3repE0EEENS1_30default_config_static_selectorELNS0_4arch9wavefront6targetE1EEEvT1_
                                        ; -- End function
	.section	.AMDGPU.csdata,"",@progbits
; Kernel info:
; codeLenInByte = 0
; NumSgprs: 6
; NumVgprs: 0
; NumAgprs: 0
; TotalNumVgprs: 0
; ScratchSize: 0
; MemoryBound: 0
; FloatMode: 240
; IeeeMode: 1
; LDSByteSize: 0 bytes/workgroup (compile time only)
; SGPRBlocks: 0
; VGPRBlocks: 0
; NumSGPRsForWavesPerEU: 6
; NumVGPRsForWavesPerEU: 1
; AccumOffset: 4
; Occupancy: 8
; WaveLimiterHint : 0
; COMPUTE_PGM_RSRC2:SCRATCH_EN: 0
; COMPUTE_PGM_RSRC2:USER_SGPR: 2
; COMPUTE_PGM_RSRC2:TRAP_HANDLER: 0
; COMPUTE_PGM_RSRC2:TGID_X_EN: 1
; COMPUTE_PGM_RSRC2:TGID_Y_EN: 0
; COMPUTE_PGM_RSRC2:TGID_Z_EN: 0
; COMPUTE_PGM_RSRC2:TIDIG_COMP_CNT: 0
; COMPUTE_PGM_RSRC3_GFX90A:ACCUM_OFFSET: 0
; COMPUTE_PGM_RSRC3_GFX90A:TG_SPLIT: 0
	.section	.text._ZN7rocprim17ROCPRIM_400000_NS6detail17trampoline_kernelINS0_14default_configENS1_27scan_by_key_config_selectorIitEEZZNS1_16scan_by_key_implILNS1_25lookback_scan_determinismE0ELb0ES3_N6thrust23THRUST_200600_302600_NS6detail15normal_iteratorINS9_10device_ptrIiEEEENSB_INSC_ItEEEESG_tNS9_4plusIvEENS9_8equal_toIvEEtEE10hipError_tPvRmT2_T3_T4_T5_mT6_T7_P12ihipStream_tbENKUlT_T0_E_clISt17integral_constantIbLb1EES11_EEDaSW_SX_EUlSW_E_NS1_11comp_targetILNS1_3genE3ELNS1_11target_archE908ELNS1_3gpuE7ELNS1_3repE0EEENS1_30default_config_static_selectorELNS0_4arch9wavefront6targetE1EEEvT1_,"axG",@progbits,_ZN7rocprim17ROCPRIM_400000_NS6detail17trampoline_kernelINS0_14default_configENS1_27scan_by_key_config_selectorIitEEZZNS1_16scan_by_key_implILNS1_25lookback_scan_determinismE0ELb0ES3_N6thrust23THRUST_200600_302600_NS6detail15normal_iteratorINS9_10device_ptrIiEEEENSB_INSC_ItEEEESG_tNS9_4plusIvEENS9_8equal_toIvEEtEE10hipError_tPvRmT2_T3_T4_T5_mT6_T7_P12ihipStream_tbENKUlT_T0_E_clISt17integral_constantIbLb1EES11_EEDaSW_SX_EUlSW_E_NS1_11comp_targetILNS1_3genE3ELNS1_11target_archE908ELNS1_3gpuE7ELNS1_3repE0EEENS1_30default_config_static_selectorELNS0_4arch9wavefront6targetE1EEEvT1_,comdat
	.protected	_ZN7rocprim17ROCPRIM_400000_NS6detail17trampoline_kernelINS0_14default_configENS1_27scan_by_key_config_selectorIitEEZZNS1_16scan_by_key_implILNS1_25lookback_scan_determinismE0ELb0ES3_N6thrust23THRUST_200600_302600_NS6detail15normal_iteratorINS9_10device_ptrIiEEEENSB_INSC_ItEEEESG_tNS9_4plusIvEENS9_8equal_toIvEEtEE10hipError_tPvRmT2_T3_T4_T5_mT6_T7_P12ihipStream_tbENKUlT_T0_E_clISt17integral_constantIbLb1EES11_EEDaSW_SX_EUlSW_E_NS1_11comp_targetILNS1_3genE3ELNS1_11target_archE908ELNS1_3gpuE7ELNS1_3repE0EEENS1_30default_config_static_selectorELNS0_4arch9wavefront6targetE1EEEvT1_ ; -- Begin function _ZN7rocprim17ROCPRIM_400000_NS6detail17trampoline_kernelINS0_14default_configENS1_27scan_by_key_config_selectorIitEEZZNS1_16scan_by_key_implILNS1_25lookback_scan_determinismE0ELb0ES3_N6thrust23THRUST_200600_302600_NS6detail15normal_iteratorINS9_10device_ptrIiEEEENSB_INSC_ItEEEESG_tNS9_4plusIvEENS9_8equal_toIvEEtEE10hipError_tPvRmT2_T3_T4_T5_mT6_T7_P12ihipStream_tbENKUlT_T0_E_clISt17integral_constantIbLb1EES11_EEDaSW_SX_EUlSW_E_NS1_11comp_targetILNS1_3genE3ELNS1_11target_archE908ELNS1_3gpuE7ELNS1_3repE0EEENS1_30default_config_static_selectorELNS0_4arch9wavefront6targetE1EEEvT1_
	.globl	_ZN7rocprim17ROCPRIM_400000_NS6detail17trampoline_kernelINS0_14default_configENS1_27scan_by_key_config_selectorIitEEZZNS1_16scan_by_key_implILNS1_25lookback_scan_determinismE0ELb0ES3_N6thrust23THRUST_200600_302600_NS6detail15normal_iteratorINS9_10device_ptrIiEEEENSB_INSC_ItEEEESG_tNS9_4plusIvEENS9_8equal_toIvEEtEE10hipError_tPvRmT2_T3_T4_T5_mT6_T7_P12ihipStream_tbENKUlT_T0_E_clISt17integral_constantIbLb1EES11_EEDaSW_SX_EUlSW_E_NS1_11comp_targetILNS1_3genE3ELNS1_11target_archE908ELNS1_3gpuE7ELNS1_3repE0EEENS1_30default_config_static_selectorELNS0_4arch9wavefront6targetE1EEEvT1_
	.p2align	8
	.type	_ZN7rocprim17ROCPRIM_400000_NS6detail17trampoline_kernelINS0_14default_configENS1_27scan_by_key_config_selectorIitEEZZNS1_16scan_by_key_implILNS1_25lookback_scan_determinismE0ELb0ES3_N6thrust23THRUST_200600_302600_NS6detail15normal_iteratorINS9_10device_ptrIiEEEENSB_INSC_ItEEEESG_tNS9_4plusIvEENS9_8equal_toIvEEtEE10hipError_tPvRmT2_T3_T4_T5_mT6_T7_P12ihipStream_tbENKUlT_T0_E_clISt17integral_constantIbLb1EES11_EEDaSW_SX_EUlSW_E_NS1_11comp_targetILNS1_3genE3ELNS1_11target_archE908ELNS1_3gpuE7ELNS1_3repE0EEENS1_30default_config_static_selectorELNS0_4arch9wavefront6targetE1EEEvT1_,@function
_ZN7rocprim17ROCPRIM_400000_NS6detail17trampoline_kernelINS0_14default_configENS1_27scan_by_key_config_selectorIitEEZZNS1_16scan_by_key_implILNS1_25lookback_scan_determinismE0ELb0ES3_N6thrust23THRUST_200600_302600_NS6detail15normal_iteratorINS9_10device_ptrIiEEEENSB_INSC_ItEEEESG_tNS9_4plusIvEENS9_8equal_toIvEEtEE10hipError_tPvRmT2_T3_T4_T5_mT6_T7_P12ihipStream_tbENKUlT_T0_E_clISt17integral_constantIbLb1EES11_EEDaSW_SX_EUlSW_E_NS1_11comp_targetILNS1_3genE3ELNS1_11target_archE908ELNS1_3gpuE7ELNS1_3repE0EEENS1_30default_config_static_selectorELNS0_4arch9wavefront6targetE1EEEvT1_: ; @_ZN7rocprim17ROCPRIM_400000_NS6detail17trampoline_kernelINS0_14default_configENS1_27scan_by_key_config_selectorIitEEZZNS1_16scan_by_key_implILNS1_25lookback_scan_determinismE0ELb0ES3_N6thrust23THRUST_200600_302600_NS6detail15normal_iteratorINS9_10device_ptrIiEEEENSB_INSC_ItEEEESG_tNS9_4plusIvEENS9_8equal_toIvEEtEE10hipError_tPvRmT2_T3_T4_T5_mT6_T7_P12ihipStream_tbENKUlT_T0_E_clISt17integral_constantIbLb1EES11_EEDaSW_SX_EUlSW_E_NS1_11comp_targetILNS1_3genE3ELNS1_11target_archE908ELNS1_3gpuE7ELNS1_3repE0EEENS1_30default_config_static_selectorELNS0_4arch9wavefront6targetE1EEEvT1_
; %bb.0:
	.section	.rodata,"a",@progbits
	.p2align	6, 0x0
	.amdhsa_kernel _ZN7rocprim17ROCPRIM_400000_NS6detail17trampoline_kernelINS0_14default_configENS1_27scan_by_key_config_selectorIitEEZZNS1_16scan_by_key_implILNS1_25lookback_scan_determinismE0ELb0ES3_N6thrust23THRUST_200600_302600_NS6detail15normal_iteratorINS9_10device_ptrIiEEEENSB_INSC_ItEEEESG_tNS9_4plusIvEENS9_8equal_toIvEEtEE10hipError_tPvRmT2_T3_T4_T5_mT6_T7_P12ihipStream_tbENKUlT_T0_E_clISt17integral_constantIbLb1EES11_EEDaSW_SX_EUlSW_E_NS1_11comp_targetILNS1_3genE3ELNS1_11target_archE908ELNS1_3gpuE7ELNS1_3repE0EEENS1_30default_config_static_selectorELNS0_4arch9wavefront6targetE1EEEvT1_
		.amdhsa_group_segment_fixed_size 0
		.amdhsa_private_segment_fixed_size 0
		.amdhsa_kernarg_size 112
		.amdhsa_user_sgpr_count 2
		.amdhsa_user_sgpr_dispatch_ptr 0
		.amdhsa_user_sgpr_queue_ptr 0
		.amdhsa_user_sgpr_kernarg_segment_ptr 1
		.amdhsa_user_sgpr_dispatch_id 0
		.amdhsa_user_sgpr_kernarg_preload_length 0
		.amdhsa_user_sgpr_kernarg_preload_offset 0
		.amdhsa_user_sgpr_private_segment_size 0
		.amdhsa_uses_dynamic_stack 0
		.amdhsa_enable_private_segment 0
		.amdhsa_system_sgpr_workgroup_id_x 1
		.amdhsa_system_sgpr_workgroup_id_y 0
		.amdhsa_system_sgpr_workgroup_id_z 0
		.amdhsa_system_sgpr_workgroup_info 0
		.amdhsa_system_vgpr_workitem_id 0
		.amdhsa_next_free_vgpr 1
		.amdhsa_next_free_sgpr 0
		.amdhsa_accum_offset 4
		.amdhsa_reserve_vcc 0
		.amdhsa_float_round_mode_32 0
		.amdhsa_float_round_mode_16_64 0
		.amdhsa_float_denorm_mode_32 3
		.amdhsa_float_denorm_mode_16_64 3
		.amdhsa_dx10_clamp 1
		.amdhsa_ieee_mode 1
		.amdhsa_fp16_overflow 0
		.amdhsa_tg_split 0
		.amdhsa_exception_fp_ieee_invalid_op 0
		.amdhsa_exception_fp_denorm_src 0
		.amdhsa_exception_fp_ieee_div_zero 0
		.amdhsa_exception_fp_ieee_overflow 0
		.amdhsa_exception_fp_ieee_underflow 0
		.amdhsa_exception_fp_ieee_inexact 0
		.amdhsa_exception_int_div_zero 0
	.end_amdhsa_kernel
	.section	.text._ZN7rocprim17ROCPRIM_400000_NS6detail17trampoline_kernelINS0_14default_configENS1_27scan_by_key_config_selectorIitEEZZNS1_16scan_by_key_implILNS1_25lookback_scan_determinismE0ELb0ES3_N6thrust23THRUST_200600_302600_NS6detail15normal_iteratorINS9_10device_ptrIiEEEENSB_INSC_ItEEEESG_tNS9_4plusIvEENS9_8equal_toIvEEtEE10hipError_tPvRmT2_T3_T4_T5_mT6_T7_P12ihipStream_tbENKUlT_T0_E_clISt17integral_constantIbLb1EES11_EEDaSW_SX_EUlSW_E_NS1_11comp_targetILNS1_3genE3ELNS1_11target_archE908ELNS1_3gpuE7ELNS1_3repE0EEENS1_30default_config_static_selectorELNS0_4arch9wavefront6targetE1EEEvT1_,"axG",@progbits,_ZN7rocprim17ROCPRIM_400000_NS6detail17trampoline_kernelINS0_14default_configENS1_27scan_by_key_config_selectorIitEEZZNS1_16scan_by_key_implILNS1_25lookback_scan_determinismE0ELb0ES3_N6thrust23THRUST_200600_302600_NS6detail15normal_iteratorINS9_10device_ptrIiEEEENSB_INSC_ItEEEESG_tNS9_4plusIvEENS9_8equal_toIvEEtEE10hipError_tPvRmT2_T3_T4_T5_mT6_T7_P12ihipStream_tbENKUlT_T0_E_clISt17integral_constantIbLb1EES11_EEDaSW_SX_EUlSW_E_NS1_11comp_targetILNS1_3genE3ELNS1_11target_archE908ELNS1_3gpuE7ELNS1_3repE0EEENS1_30default_config_static_selectorELNS0_4arch9wavefront6targetE1EEEvT1_,comdat
.Lfunc_end1282:
	.size	_ZN7rocprim17ROCPRIM_400000_NS6detail17trampoline_kernelINS0_14default_configENS1_27scan_by_key_config_selectorIitEEZZNS1_16scan_by_key_implILNS1_25lookback_scan_determinismE0ELb0ES3_N6thrust23THRUST_200600_302600_NS6detail15normal_iteratorINS9_10device_ptrIiEEEENSB_INSC_ItEEEESG_tNS9_4plusIvEENS9_8equal_toIvEEtEE10hipError_tPvRmT2_T3_T4_T5_mT6_T7_P12ihipStream_tbENKUlT_T0_E_clISt17integral_constantIbLb1EES11_EEDaSW_SX_EUlSW_E_NS1_11comp_targetILNS1_3genE3ELNS1_11target_archE908ELNS1_3gpuE7ELNS1_3repE0EEENS1_30default_config_static_selectorELNS0_4arch9wavefront6targetE1EEEvT1_, .Lfunc_end1282-_ZN7rocprim17ROCPRIM_400000_NS6detail17trampoline_kernelINS0_14default_configENS1_27scan_by_key_config_selectorIitEEZZNS1_16scan_by_key_implILNS1_25lookback_scan_determinismE0ELb0ES3_N6thrust23THRUST_200600_302600_NS6detail15normal_iteratorINS9_10device_ptrIiEEEENSB_INSC_ItEEEESG_tNS9_4plusIvEENS9_8equal_toIvEEtEE10hipError_tPvRmT2_T3_T4_T5_mT6_T7_P12ihipStream_tbENKUlT_T0_E_clISt17integral_constantIbLb1EES11_EEDaSW_SX_EUlSW_E_NS1_11comp_targetILNS1_3genE3ELNS1_11target_archE908ELNS1_3gpuE7ELNS1_3repE0EEENS1_30default_config_static_selectorELNS0_4arch9wavefront6targetE1EEEvT1_
                                        ; -- End function
	.section	.AMDGPU.csdata,"",@progbits
; Kernel info:
; codeLenInByte = 0
; NumSgprs: 6
; NumVgprs: 0
; NumAgprs: 0
; TotalNumVgprs: 0
; ScratchSize: 0
; MemoryBound: 0
; FloatMode: 240
; IeeeMode: 1
; LDSByteSize: 0 bytes/workgroup (compile time only)
; SGPRBlocks: 0
; VGPRBlocks: 0
; NumSGPRsForWavesPerEU: 6
; NumVGPRsForWavesPerEU: 1
; AccumOffset: 4
; Occupancy: 8
; WaveLimiterHint : 0
; COMPUTE_PGM_RSRC2:SCRATCH_EN: 0
; COMPUTE_PGM_RSRC2:USER_SGPR: 2
; COMPUTE_PGM_RSRC2:TRAP_HANDLER: 0
; COMPUTE_PGM_RSRC2:TGID_X_EN: 1
; COMPUTE_PGM_RSRC2:TGID_Y_EN: 0
; COMPUTE_PGM_RSRC2:TGID_Z_EN: 0
; COMPUTE_PGM_RSRC2:TIDIG_COMP_CNT: 0
; COMPUTE_PGM_RSRC3_GFX90A:ACCUM_OFFSET: 0
; COMPUTE_PGM_RSRC3_GFX90A:TG_SPLIT: 0
	.section	.text._ZN7rocprim17ROCPRIM_400000_NS6detail17trampoline_kernelINS0_14default_configENS1_27scan_by_key_config_selectorIitEEZZNS1_16scan_by_key_implILNS1_25lookback_scan_determinismE0ELb0ES3_N6thrust23THRUST_200600_302600_NS6detail15normal_iteratorINS9_10device_ptrIiEEEENSB_INSC_ItEEEESG_tNS9_4plusIvEENS9_8equal_toIvEEtEE10hipError_tPvRmT2_T3_T4_T5_mT6_T7_P12ihipStream_tbENKUlT_T0_E_clISt17integral_constantIbLb1EES11_EEDaSW_SX_EUlSW_E_NS1_11comp_targetILNS1_3genE2ELNS1_11target_archE906ELNS1_3gpuE6ELNS1_3repE0EEENS1_30default_config_static_selectorELNS0_4arch9wavefront6targetE1EEEvT1_,"axG",@progbits,_ZN7rocprim17ROCPRIM_400000_NS6detail17trampoline_kernelINS0_14default_configENS1_27scan_by_key_config_selectorIitEEZZNS1_16scan_by_key_implILNS1_25lookback_scan_determinismE0ELb0ES3_N6thrust23THRUST_200600_302600_NS6detail15normal_iteratorINS9_10device_ptrIiEEEENSB_INSC_ItEEEESG_tNS9_4plusIvEENS9_8equal_toIvEEtEE10hipError_tPvRmT2_T3_T4_T5_mT6_T7_P12ihipStream_tbENKUlT_T0_E_clISt17integral_constantIbLb1EES11_EEDaSW_SX_EUlSW_E_NS1_11comp_targetILNS1_3genE2ELNS1_11target_archE906ELNS1_3gpuE6ELNS1_3repE0EEENS1_30default_config_static_selectorELNS0_4arch9wavefront6targetE1EEEvT1_,comdat
	.protected	_ZN7rocprim17ROCPRIM_400000_NS6detail17trampoline_kernelINS0_14default_configENS1_27scan_by_key_config_selectorIitEEZZNS1_16scan_by_key_implILNS1_25lookback_scan_determinismE0ELb0ES3_N6thrust23THRUST_200600_302600_NS6detail15normal_iteratorINS9_10device_ptrIiEEEENSB_INSC_ItEEEESG_tNS9_4plusIvEENS9_8equal_toIvEEtEE10hipError_tPvRmT2_T3_T4_T5_mT6_T7_P12ihipStream_tbENKUlT_T0_E_clISt17integral_constantIbLb1EES11_EEDaSW_SX_EUlSW_E_NS1_11comp_targetILNS1_3genE2ELNS1_11target_archE906ELNS1_3gpuE6ELNS1_3repE0EEENS1_30default_config_static_selectorELNS0_4arch9wavefront6targetE1EEEvT1_ ; -- Begin function _ZN7rocprim17ROCPRIM_400000_NS6detail17trampoline_kernelINS0_14default_configENS1_27scan_by_key_config_selectorIitEEZZNS1_16scan_by_key_implILNS1_25lookback_scan_determinismE0ELb0ES3_N6thrust23THRUST_200600_302600_NS6detail15normal_iteratorINS9_10device_ptrIiEEEENSB_INSC_ItEEEESG_tNS9_4plusIvEENS9_8equal_toIvEEtEE10hipError_tPvRmT2_T3_T4_T5_mT6_T7_P12ihipStream_tbENKUlT_T0_E_clISt17integral_constantIbLb1EES11_EEDaSW_SX_EUlSW_E_NS1_11comp_targetILNS1_3genE2ELNS1_11target_archE906ELNS1_3gpuE6ELNS1_3repE0EEENS1_30default_config_static_selectorELNS0_4arch9wavefront6targetE1EEEvT1_
	.globl	_ZN7rocprim17ROCPRIM_400000_NS6detail17trampoline_kernelINS0_14default_configENS1_27scan_by_key_config_selectorIitEEZZNS1_16scan_by_key_implILNS1_25lookback_scan_determinismE0ELb0ES3_N6thrust23THRUST_200600_302600_NS6detail15normal_iteratorINS9_10device_ptrIiEEEENSB_INSC_ItEEEESG_tNS9_4plusIvEENS9_8equal_toIvEEtEE10hipError_tPvRmT2_T3_T4_T5_mT6_T7_P12ihipStream_tbENKUlT_T0_E_clISt17integral_constantIbLb1EES11_EEDaSW_SX_EUlSW_E_NS1_11comp_targetILNS1_3genE2ELNS1_11target_archE906ELNS1_3gpuE6ELNS1_3repE0EEENS1_30default_config_static_selectorELNS0_4arch9wavefront6targetE1EEEvT1_
	.p2align	8
	.type	_ZN7rocprim17ROCPRIM_400000_NS6detail17trampoline_kernelINS0_14default_configENS1_27scan_by_key_config_selectorIitEEZZNS1_16scan_by_key_implILNS1_25lookback_scan_determinismE0ELb0ES3_N6thrust23THRUST_200600_302600_NS6detail15normal_iteratorINS9_10device_ptrIiEEEENSB_INSC_ItEEEESG_tNS9_4plusIvEENS9_8equal_toIvEEtEE10hipError_tPvRmT2_T3_T4_T5_mT6_T7_P12ihipStream_tbENKUlT_T0_E_clISt17integral_constantIbLb1EES11_EEDaSW_SX_EUlSW_E_NS1_11comp_targetILNS1_3genE2ELNS1_11target_archE906ELNS1_3gpuE6ELNS1_3repE0EEENS1_30default_config_static_selectorELNS0_4arch9wavefront6targetE1EEEvT1_,@function
_ZN7rocprim17ROCPRIM_400000_NS6detail17trampoline_kernelINS0_14default_configENS1_27scan_by_key_config_selectorIitEEZZNS1_16scan_by_key_implILNS1_25lookback_scan_determinismE0ELb0ES3_N6thrust23THRUST_200600_302600_NS6detail15normal_iteratorINS9_10device_ptrIiEEEENSB_INSC_ItEEEESG_tNS9_4plusIvEENS9_8equal_toIvEEtEE10hipError_tPvRmT2_T3_T4_T5_mT6_T7_P12ihipStream_tbENKUlT_T0_E_clISt17integral_constantIbLb1EES11_EEDaSW_SX_EUlSW_E_NS1_11comp_targetILNS1_3genE2ELNS1_11target_archE906ELNS1_3gpuE6ELNS1_3repE0EEENS1_30default_config_static_selectorELNS0_4arch9wavefront6targetE1EEEvT1_: ; @_ZN7rocprim17ROCPRIM_400000_NS6detail17trampoline_kernelINS0_14default_configENS1_27scan_by_key_config_selectorIitEEZZNS1_16scan_by_key_implILNS1_25lookback_scan_determinismE0ELb0ES3_N6thrust23THRUST_200600_302600_NS6detail15normal_iteratorINS9_10device_ptrIiEEEENSB_INSC_ItEEEESG_tNS9_4plusIvEENS9_8equal_toIvEEtEE10hipError_tPvRmT2_T3_T4_T5_mT6_T7_P12ihipStream_tbENKUlT_T0_E_clISt17integral_constantIbLb1EES11_EEDaSW_SX_EUlSW_E_NS1_11comp_targetILNS1_3genE2ELNS1_11target_archE906ELNS1_3gpuE6ELNS1_3repE0EEENS1_30default_config_static_selectorELNS0_4arch9wavefront6targetE1EEEvT1_
; %bb.0:
	.section	.rodata,"a",@progbits
	.p2align	6, 0x0
	.amdhsa_kernel _ZN7rocprim17ROCPRIM_400000_NS6detail17trampoline_kernelINS0_14default_configENS1_27scan_by_key_config_selectorIitEEZZNS1_16scan_by_key_implILNS1_25lookback_scan_determinismE0ELb0ES3_N6thrust23THRUST_200600_302600_NS6detail15normal_iteratorINS9_10device_ptrIiEEEENSB_INSC_ItEEEESG_tNS9_4plusIvEENS9_8equal_toIvEEtEE10hipError_tPvRmT2_T3_T4_T5_mT6_T7_P12ihipStream_tbENKUlT_T0_E_clISt17integral_constantIbLb1EES11_EEDaSW_SX_EUlSW_E_NS1_11comp_targetILNS1_3genE2ELNS1_11target_archE906ELNS1_3gpuE6ELNS1_3repE0EEENS1_30default_config_static_selectorELNS0_4arch9wavefront6targetE1EEEvT1_
		.amdhsa_group_segment_fixed_size 0
		.amdhsa_private_segment_fixed_size 0
		.amdhsa_kernarg_size 112
		.amdhsa_user_sgpr_count 2
		.amdhsa_user_sgpr_dispatch_ptr 0
		.amdhsa_user_sgpr_queue_ptr 0
		.amdhsa_user_sgpr_kernarg_segment_ptr 1
		.amdhsa_user_sgpr_dispatch_id 0
		.amdhsa_user_sgpr_kernarg_preload_length 0
		.amdhsa_user_sgpr_kernarg_preload_offset 0
		.amdhsa_user_sgpr_private_segment_size 0
		.amdhsa_uses_dynamic_stack 0
		.amdhsa_enable_private_segment 0
		.amdhsa_system_sgpr_workgroup_id_x 1
		.amdhsa_system_sgpr_workgroup_id_y 0
		.amdhsa_system_sgpr_workgroup_id_z 0
		.amdhsa_system_sgpr_workgroup_info 0
		.amdhsa_system_vgpr_workitem_id 0
		.amdhsa_next_free_vgpr 1
		.amdhsa_next_free_sgpr 0
		.amdhsa_accum_offset 4
		.amdhsa_reserve_vcc 0
		.amdhsa_float_round_mode_32 0
		.amdhsa_float_round_mode_16_64 0
		.amdhsa_float_denorm_mode_32 3
		.amdhsa_float_denorm_mode_16_64 3
		.amdhsa_dx10_clamp 1
		.amdhsa_ieee_mode 1
		.amdhsa_fp16_overflow 0
		.amdhsa_tg_split 0
		.amdhsa_exception_fp_ieee_invalid_op 0
		.amdhsa_exception_fp_denorm_src 0
		.amdhsa_exception_fp_ieee_div_zero 0
		.amdhsa_exception_fp_ieee_overflow 0
		.amdhsa_exception_fp_ieee_underflow 0
		.amdhsa_exception_fp_ieee_inexact 0
		.amdhsa_exception_int_div_zero 0
	.end_amdhsa_kernel
	.section	.text._ZN7rocprim17ROCPRIM_400000_NS6detail17trampoline_kernelINS0_14default_configENS1_27scan_by_key_config_selectorIitEEZZNS1_16scan_by_key_implILNS1_25lookback_scan_determinismE0ELb0ES3_N6thrust23THRUST_200600_302600_NS6detail15normal_iteratorINS9_10device_ptrIiEEEENSB_INSC_ItEEEESG_tNS9_4plusIvEENS9_8equal_toIvEEtEE10hipError_tPvRmT2_T3_T4_T5_mT6_T7_P12ihipStream_tbENKUlT_T0_E_clISt17integral_constantIbLb1EES11_EEDaSW_SX_EUlSW_E_NS1_11comp_targetILNS1_3genE2ELNS1_11target_archE906ELNS1_3gpuE6ELNS1_3repE0EEENS1_30default_config_static_selectorELNS0_4arch9wavefront6targetE1EEEvT1_,"axG",@progbits,_ZN7rocprim17ROCPRIM_400000_NS6detail17trampoline_kernelINS0_14default_configENS1_27scan_by_key_config_selectorIitEEZZNS1_16scan_by_key_implILNS1_25lookback_scan_determinismE0ELb0ES3_N6thrust23THRUST_200600_302600_NS6detail15normal_iteratorINS9_10device_ptrIiEEEENSB_INSC_ItEEEESG_tNS9_4plusIvEENS9_8equal_toIvEEtEE10hipError_tPvRmT2_T3_T4_T5_mT6_T7_P12ihipStream_tbENKUlT_T0_E_clISt17integral_constantIbLb1EES11_EEDaSW_SX_EUlSW_E_NS1_11comp_targetILNS1_3genE2ELNS1_11target_archE906ELNS1_3gpuE6ELNS1_3repE0EEENS1_30default_config_static_selectorELNS0_4arch9wavefront6targetE1EEEvT1_,comdat
.Lfunc_end1283:
	.size	_ZN7rocprim17ROCPRIM_400000_NS6detail17trampoline_kernelINS0_14default_configENS1_27scan_by_key_config_selectorIitEEZZNS1_16scan_by_key_implILNS1_25lookback_scan_determinismE0ELb0ES3_N6thrust23THRUST_200600_302600_NS6detail15normal_iteratorINS9_10device_ptrIiEEEENSB_INSC_ItEEEESG_tNS9_4plusIvEENS9_8equal_toIvEEtEE10hipError_tPvRmT2_T3_T4_T5_mT6_T7_P12ihipStream_tbENKUlT_T0_E_clISt17integral_constantIbLb1EES11_EEDaSW_SX_EUlSW_E_NS1_11comp_targetILNS1_3genE2ELNS1_11target_archE906ELNS1_3gpuE6ELNS1_3repE0EEENS1_30default_config_static_selectorELNS0_4arch9wavefront6targetE1EEEvT1_, .Lfunc_end1283-_ZN7rocprim17ROCPRIM_400000_NS6detail17trampoline_kernelINS0_14default_configENS1_27scan_by_key_config_selectorIitEEZZNS1_16scan_by_key_implILNS1_25lookback_scan_determinismE0ELb0ES3_N6thrust23THRUST_200600_302600_NS6detail15normal_iteratorINS9_10device_ptrIiEEEENSB_INSC_ItEEEESG_tNS9_4plusIvEENS9_8equal_toIvEEtEE10hipError_tPvRmT2_T3_T4_T5_mT6_T7_P12ihipStream_tbENKUlT_T0_E_clISt17integral_constantIbLb1EES11_EEDaSW_SX_EUlSW_E_NS1_11comp_targetILNS1_3genE2ELNS1_11target_archE906ELNS1_3gpuE6ELNS1_3repE0EEENS1_30default_config_static_selectorELNS0_4arch9wavefront6targetE1EEEvT1_
                                        ; -- End function
	.section	.AMDGPU.csdata,"",@progbits
; Kernel info:
; codeLenInByte = 0
; NumSgprs: 6
; NumVgprs: 0
; NumAgprs: 0
; TotalNumVgprs: 0
; ScratchSize: 0
; MemoryBound: 0
; FloatMode: 240
; IeeeMode: 1
; LDSByteSize: 0 bytes/workgroup (compile time only)
; SGPRBlocks: 0
; VGPRBlocks: 0
; NumSGPRsForWavesPerEU: 6
; NumVGPRsForWavesPerEU: 1
; AccumOffset: 4
; Occupancy: 8
; WaveLimiterHint : 0
; COMPUTE_PGM_RSRC2:SCRATCH_EN: 0
; COMPUTE_PGM_RSRC2:USER_SGPR: 2
; COMPUTE_PGM_RSRC2:TRAP_HANDLER: 0
; COMPUTE_PGM_RSRC2:TGID_X_EN: 1
; COMPUTE_PGM_RSRC2:TGID_Y_EN: 0
; COMPUTE_PGM_RSRC2:TGID_Z_EN: 0
; COMPUTE_PGM_RSRC2:TIDIG_COMP_CNT: 0
; COMPUTE_PGM_RSRC3_GFX90A:ACCUM_OFFSET: 0
; COMPUTE_PGM_RSRC3_GFX90A:TG_SPLIT: 0
	.section	.text._ZN7rocprim17ROCPRIM_400000_NS6detail17trampoline_kernelINS0_14default_configENS1_27scan_by_key_config_selectorIitEEZZNS1_16scan_by_key_implILNS1_25lookback_scan_determinismE0ELb0ES3_N6thrust23THRUST_200600_302600_NS6detail15normal_iteratorINS9_10device_ptrIiEEEENSB_INSC_ItEEEESG_tNS9_4plusIvEENS9_8equal_toIvEEtEE10hipError_tPvRmT2_T3_T4_T5_mT6_T7_P12ihipStream_tbENKUlT_T0_E_clISt17integral_constantIbLb1EES11_EEDaSW_SX_EUlSW_E_NS1_11comp_targetILNS1_3genE10ELNS1_11target_archE1200ELNS1_3gpuE4ELNS1_3repE0EEENS1_30default_config_static_selectorELNS0_4arch9wavefront6targetE1EEEvT1_,"axG",@progbits,_ZN7rocprim17ROCPRIM_400000_NS6detail17trampoline_kernelINS0_14default_configENS1_27scan_by_key_config_selectorIitEEZZNS1_16scan_by_key_implILNS1_25lookback_scan_determinismE0ELb0ES3_N6thrust23THRUST_200600_302600_NS6detail15normal_iteratorINS9_10device_ptrIiEEEENSB_INSC_ItEEEESG_tNS9_4plusIvEENS9_8equal_toIvEEtEE10hipError_tPvRmT2_T3_T4_T5_mT6_T7_P12ihipStream_tbENKUlT_T0_E_clISt17integral_constantIbLb1EES11_EEDaSW_SX_EUlSW_E_NS1_11comp_targetILNS1_3genE10ELNS1_11target_archE1200ELNS1_3gpuE4ELNS1_3repE0EEENS1_30default_config_static_selectorELNS0_4arch9wavefront6targetE1EEEvT1_,comdat
	.protected	_ZN7rocprim17ROCPRIM_400000_NS6detail17trampoline_kernelINS0_14default_configENS1_27scan_by_key_config_selectorIitEEZZNS1_16scan_by_key_implILNS1_25lookback_scan_determinismE0ELb0ES3_N6thrust23THRUST_200600_302600_NS6detail15normal_iteratorINS9_10device_ptrIiEEEENSB_INSC_ItEEEESG_tNS9_4plusIvEENS9_8equal_toIvEEtEE10hipError_tPvRmT2_T3_T4_T5_mT6_T7_P12ihipStream_tbENKUlT_T0_E_clISt17integral_constantIbLb1EES11_EEDaSW_SX_EUlSW_E_NS1_11comp_targetILNS1_3genE10ELNS1_11target_archE1200ELNS1_3gpuE4ELNS1_3repE0EEENS1_30default_config_static_selectorELNS0_4arch9wavefront6targetE1EEEvT1_ ; -- Begin function _ZN7rocprim17ROCPRIM_400000_NS6detail17trampoline_kernelINS0_14default_configENS1_27scan_by_key_config_selectorIitEEZZNS1_16scan_by_key_implILNS1_25lookback_scan_determinismE0ELb0ES3_N6thrust23THRUST_200600_302600_NS6detail15normal_iteratorINS9_10device_ptrIiEEEENSB_INSC_ItEEEESG_tNS9_4plusIvEENS9_8equal_toIvEEtEE10hipError_tPvRmT2_T3_T4_T5_mT6_T7_P12ihipStream_tbENKUlT_T0_E_clISt17integral_constantIbLb1EES11_EEDaSW_SX_EUlSW_E_NS1_11comp_targetILNS1_3genE10ELNS1_11target_archE1200ELNS1_3gpuE4ELNS1_3repE0EEENS1_30default_config_static_selectorELNS0_4arch9wavefront6targetE1EEEvT1_
	.globl	_ZN7rocprim17ROCPRIM_400000_NS6detail17trampoline_kernelINS0_14default_configENS1_27scan_by_key_config_selectorIitEEZZNS1_16scan_by_key_implILNS1_25lookback_scan_determinismE0ELb0ES3_N6thrust23THRUST_200600_302600_NS6detail15normal_iteratorINS9_10device_ptrIiEEEENSB_INSC_ItEEEESG_tNS9_4plusIvEENS9_8equal_toIvEEtEE10hipError_tPvRmT2_T3_T4_T5_mT6_T7_P12ihipStream_tbENKUlT_T0_E_clISt17integral_constantIbLb1EES11_EEDaSW_SX_EUlSW_E_NS1_11comp_targetILNS1_3genE10ELNS1_11target_archE1200ELNS1_3gpuE4ELNS1_3repE0EEENS1_30default_config_static_selectorELNS0_4arch9wavefront6targetE1EEEvT1_
	.p2align	8
	.type	_ZN7rocprim17ROCPRIM_400000_NS6detail17trampoline_kernelINS0_14default_configENS1_27scan_by_key_config_selectorIitEEZZNS1_16scan_by_key_implILNS1_25lookback_scan_determinismE0ELb0ES3_N6thrust23THRUST_200600_302600_NS6detail15normal_iteratorINS9_10device_ptrIiEEEENSB_INSC_ItEEEESG_tNS9_4plusIvEENS9_8equal_toIvEEtEE10hipError_tPvRmT2_T3_T4_T5_mT6_T7_P12ihipStream_tbENKUlT_T0_E_clISt17integral_constantIbLb1EES11_EEDaSW_SX_EUlSW_E_NS1_11comp_targetILNS1_3genE10ELNS1_11target_archE1200ELNS1_3gpuE4ELNS1_3repE0EEENS1_30default_config_static_selectorELNS0_4arch9wavefront6targetE1EEEvT1_,@function
_ZN7rocprim17ROCPRIM_400000_NS6detail17trampoline_kernelINS0_14default_configENS1_27scan_by_key_config_selectorIitEEZZNS1_16scan_by_key_implILNS1_25lookback_scan_determinismE0ELb0ES3_N6thrust23THRUST_200600_302600_NS6detail15normal_iteratorINS9_10device_ptrIiEEEENSB_INSC_ItEEEESG_tNS9_4plusIvEENS9_8equal_toIvEEtEE10hipError_tPvRmT2_T3_T4_T5_mT6_T7_P12ihipStream_tbENKUlT_T0_E_clISt17integral_constantIbLb1EES11_EEDaSW_SX_EUlSW_E_NS1_11comp_targetILNS1_3genE10ELNS1_11target_archE1200ELNS1_3gpuE4ELNS1_3repE0EEENS1_30default_config_static_selectorELNS0_4arch9wavefront6targetE1EEEvT1_: ; @_ZN7rocprim17ROCPRIM_400000_NS6detail17trampoline_kernelINS0_14default_configENS1_27scan_by_key_config_selectorIitEEZZNS1_16scan_by_key_implILNS1_25lookback_scan_determinismE0ELb0ES3_N6thrust23THRUST_200600_302600_NS6detail15normal_iteratorINS9_10device_ptrIiEEEENSB_INSC_ItEEEESG_tNS9_4plusIvEENS9_8equal_toIvEEtEE10hipError_tPvRmT2_T3_T4_T5_mT6_T7_P12ihipStream_tbENKUlT_T0_E_clISt17integral_constantIbLb1EES11_EEDaSW_SX_EUlSW_E_NS1_11comp_targetILNS1_3genE10ELNS1_11target_archE1200ELNS1_3gpuE4ELNS1_3repE0EEENS1_30default_config_static_selectorELNS0_4arch9wavefront6targetE1EEEvT1_
; %bb.0:
	.section	.rodata,"a",@progbits
	.p2align	6, 0x0
	.amdhsa_kernel _ZN7rocprim17ROCPRIM_400000_NS6detail17trampoline_kernelINS0_14default_configENS1_27scan_by_key_config_selectorIitEEZZNS1_16scan_by_key_implILNS1_25lookback_scan_determinismE0ELb0ES3_N6thrust23THRUST_200600_302600_NS6detail15normal_iteratorINS9_10device_ptrIiEEEENSB_INSC_ItEEEESG_tNS9_4plusIvEENS9_8equal_toIvEEtEE10hipError_tPvRmT2_T3_T4_T5_mT6_T7_P12ihipStream_tbENKUlT_T0_E_clISt17integral_constantIbLb1EES11_EEDaSW_SX_EUlSW_E_NS1_11comp_targetILNS1_3genE10ELNS1_11target_archE1200ELNS1_3gpuE4ELNS1_3repE0EEENS1_30default_config_static_selectorELNS0_4arch9wavefront6targetE1EEEvT1_
		.amdhsa_group_segment_fixed_size 0
		.amdhsa_private_segment_fixed_size 0
		.amdhsa_kernarg_size 112
		.amdhsa_user_sgpr_count 2
		.amdhsa_user_sgpr_dispatch_ptr 0
		.amdhsa_user_sgpr_queue_ptr 0
		.amdhsa_user_sgpr_kernarg_segment_ptr 1
		.amdhsa_user_sgpr_dispatch_id 0
		.amdhsa_user_sgpr_kernarg_preload_length 0
		.amdhsa_user_sgpr_kernarg_preload_offset 0
		.amdhsa_user_sgpr_private_segment_size 0
		.amdhsa_uses_dynamic_stack 0
		.amdhsa_enable_private_segment 0
		.amdhsa_system_sgpr_workgroup_id_x 1
		.amdhsa_system_sgpr_workgroup_id_y 0
		.amdhsa_system_sgpr_workgroup_id_z 0
		.amdhsa_system_sgpr_workgroup_info 0
		.amdhsa_system_vgpr_workitem_id 0
		.amdhsa_next_free_vgpr 1
		.amdhsa_next_free_sgpr 0
		.amdhsa_accum_offset 4
		.amdhsa_reserve_vcc 0
		.amdhsa_float_round_mode_32 0
		.amdhsa_float_round_mode_16_64 0
		.amdhsa_float_denorm_mode_32 3
		.amdhsa_float_denorm_mode_16_64 3
		.amdhsa_dx10_clamp 1
		.amdhsa_ieee_mode 1
		.amdhsa_fp16_overflow 0
		.amdhsa_tg_split 0
		.amdhsa_exception_fp_ieee_invalid_op 0
		.amdhsa_exception_fp_denorm_src 0
		.amdhsa_exception_fp_ieee_div_zero 0
		.amdhsa_exception_fp_ieee_overflow 0
		.amdhsa_exception_fp_ieee_underflow 0
		.amdhsa_exception_fp_ieee_inexact 0
		.amdhsa_exception_int_div_zero 0
	.end_amdhsa_kernel
	.section	.text._ZN7rocprim17ROCPRIM_400000_NS6detail17trampoline_kernelINS0_14default_configENS1_27scan_by_key_config_selectorIitEEZZNS1_16scan_by_key_implILNS1_25lookback_scan_determinismE0ELb0ES3_N6thrust23THRUST_200600_302600_NS6detail15normal_iteratorINS9_10device_ptrIiEEEENSB_INSC_ItEEEESG_tNS9_4plusIvEENS9_8equal_toIvEEtEE10hipError_tPvRmT2_T3_T4_T5_mT6_T7_P12ihipStream_tbENKUlT_T0_E_clISt17integral_constantIbLb1EES11_EEDaSW_SX_EUlSW_E_NS1_11comp_targetILNS1_3genE10ELNS1_11target_archE1200ELNS1_3gpuE4ELNS1_3repE0EEENS1_30default_config_static_selectorELNS0_4arch9wavefront6targetE1EEEvT1_,"axG",@progbits,_ZN7rocprim17ROCPRIM_400000_NS6detail17trampoline_kernelINS0_14default_configENS1_27scan_by_key_config_selectorIitEEZZNS1_16scan_by_key_implILNS1_25lookback_scan_determinismE0ELb0ES3_N6thrust23THRUST_200600_302600_NS6detail15normal_iteratorINS9_10device_ptrIiEEEENSB_INSC_ItEEEESG_tNS9_4plusIvEENS9_8equal_toIvEEtEE10hipError_tPvRmT2_T3_T4_T5_mT6_T7_P12ihipStream_tbENKUlT_T0_E_clISt17integral_constantIbLb1EES11_EEDaSW_SX_EUlSW_E_NS1_11comp_targetILNS1_3genE10ELNS1_11target_archE1200ELNS1_3gpuE4ELNS1_3repE0EEENS1_30default_config_static_selectorELNS0_4arch9wavefront6targetE1EEEvT1_,comdat
.Lfunc_end1284:
	.size	_ZN7rocprim17ROCPRIM_400000_NS6detail17trampoline_kernelINS0_14default_configENS1_27scan_by_key_config_selectorIitEEZZNS1_16scan_by_key_implILNS1_25lookback_scan_determinismE0ELb0ES3_N6thrust23THRUST_200600_302600_NS6detail15normal_iteratorINS9_10device_ptrIiEEEENSB_INSC_ItEEEESG_tNS9_4plusIvEENS9_8equal_toIvEEtEE10hipError_tPvRmT2_T3_T4_T5_mT6_T7_P12ihipStream_tbENKUlT_T0_E_clISt17integral_constantIbLb1EES11_EEDaSW_SX_EUlSW_E_NS1_11comp_targetILNS1_3genE10ELNS1_11target_archE1200ELNS1_3gpuE4ELNS1_3repE0EEENS1_30default_config_static_selectorELNS0_4arch9wavefront6targetE1EEEvT1_, .Lfunc_end1284-_ZN7rocprim17ROCPRIM_400000_NS6detail17trampoline_kernelINS0_14default_configENS1_27scan_by_key_config_selectorIitEEZZNS1_16scan_by_key_implILNS1_25lookback_scan_determinismE0ELb0ES3_N6thrust23THRUST_200600_302600_NS6detail15normal_iteratorINS9_10device_ptrIiEEEENSB_INSC_ItEEEESG_tNS9_4plusIvEENS9_8equal_toIvEEtEE10hipError_tPvRmT2_T3_T4_T5_mT6_T7_P12ihipStream_tbENKUlT_T0_E_clISt17integral_constantIbLb1EES11_EEDaSW_SX_EUlSW_E_NS1_11comp_targetILNS1_3genE10ELNS1_11target_archE1200ELNS1_3gpuE4ELNS1_3repE0EEENS1_30default_config_static_selectorELNS0_4arch9wavefront6targetE1EEEvT1_
                                        ; -- End function
	.section	.AMDGPU.csdata,"",@progbits
; Kernel info:
; codeLenInByte = 0
; NumSgprs: 6
; NumVgprs: 0
; NumAgprs: 0
; TotalNumVgprs: 0
; ScratchSize: 0
; MemoryBound: 0
; FloatMode: 240
; IeeeMode: 1
; LDSByteSize: 0 bytes/workgroup (compile time only)
; SGPRBlocks: 0
; VGPRBlocks: 0
; NumSGPRsForWavesPerEU: 6
; NumVGPRsForWavesPerEU: 1
; AccumOffset: 4
; Occupancy: 8
; WaveLimiterHint : 0
; COMPUTE_PGM_RSRC2:SCRATCH_EN: 0
; COMPUTE_PGM_RSRC2:USER_SGPR: 2
; COMPUTE_PGM_RSRC2:TRAP_HANDLER: 0
; COMPUTE_PGM_RSRC2:TGID_X_EN: 1
; COMPUTE_PGM_RSRC2:TGID_Y_EN: 0
; COMPUTE_PGM_RSRC2:TGID_Z_EN: 0
; COMPUTE_PGM_RSRC2:TIDIG_COMP_CNT: 0
; COMPUTE_PGM_RSRC3_GFX90A:ACCUM_OFFSET: 0
; COMPUTE_PGM_RSRC3_GFX90A:TG_SPLIT: 0
	.section	.text._ZN7rocprim17ROCPRIM_400000_NS6detail17trampoline_kernelINS0_14default_configENS1_27scan_by_key_config_selectorIitEEZZNS1_16scan_by_key_implILNS1_25lookback_scan_determinismE0ELb0ES3_N6thrust23THRUST_200600_302600_NS6detail15normal_iteratorINS9_10device_ptrIiEEEENSB_INSC_ItEEEESG_tNS9_4plusIvEENS9_8equal_toIvEEtEE10hipError_tPvRmT2_T3_T4_T5_mT6_T7_P12ihipStream_tbENKUlT_T0_E_clISt17integral_constantIbLb1EES11_EEDaSW_SX_EUlSW_E_NS1_11comp_targetILNS1_3genE9ELNS1_11target_archE1100ELNS1_3gpuE3ELNS1_3repE0EEENS1_30default_config_static_selectorELNS0_4arch9wavefront6targetE1EEEvT1_,"axG",@progbits,_ZN7rocprim17ROCPRIM_400000_NS6detail17trampoline_kernelINS0_14default_configENS1_27scan_by_key_config_selectorIitEEZZNS1_16scan_by_key_implILNS1_25lookback_scan_determinismE0ELb0ES3_N6thrust23THRUST_200600_302600_NS6detail15normal_iteratorINS9_10device_ptrIiEEEENSB_INSC_ItEEEESG_tNS9_4plusIvEENS9_8equal_toIvEEtEE10hipError_tPvRmT2_T3_T4_T5_mT6_T7_P12ihipStream_tbENKUlT_T0_E_clISt17integral_constantIbLb1EES11_EEDaSW_SX_EUlSW_E_NS1_11comp_targetILNS1_3genE9ELNS1_11target_archE1100ELNS1_3gpuE3ELNS1_3repE0EEENS1_30default_config_static_selectorELNS0_4arch9wavefront6targetE1EEEvT1_,comdat
	.protected	_ZN7rocprim17ROCPRIM_400000_NS6detail17trampoline_kernelINS0_14default_configENS1_27scan_by_key_config_selectorIitEEZZNS1_16scan_by_key_implILNS1_25lookback_scan_determinismE0ELb0ES3_N6thrust23THRUST_200600_302600_NS6detail15normal_iteratorINS9_10device_ptrIiEEEENSB_INSC_ItEEEESG_tNS9_4plusIvEENS9_8equal_toIvEEtEE10hipError_tPvRmT2_T3_T4_T5_mT6_T7_P12ihipStream_tbENKUlT_T0_E_clISt17integral_constantIbLb1EES11_EEDaSW_SX_EUlSW_E_NS1_11comp_targetILNS1_3genE9ELNS1_11target_archE1100ELNS1_3gpuE3ELNS1_3repE0EEENS1_30default_config_static_selectorELNS0_4arch9wavefront6targetE1EEEvT1_ ; -- Begin function _ZN7rocprim17ROCPRIM_400000_NS6detail17trampoline_kernelINS0_14default_configENS1_27scan_by_key_config_selectorIitEEZZNS1_16scan_by_key_implILNS1_25lookback_scan_determinismE0ELb0ES3_N6thrust23THRUST_200600_302600_NS6detail15normal_iteratorINS9_10device_ptrIiEEEENSB_INSC_ItEEEESG_tNS9_4plusIvEENS9_8equal_toIvEEtEE10hipError_tPvRmT2_T3_T4_T5_mT6_T7_P12ihipStream_tbENKUlT_T0_E_clISt17integral_constantIbLb1EES11_EEDaSW_SX_EUlSW_E_NS1_11comp_targetILNS1_3genE9ELNS1_11target_archE1100ELNS1_3gpuE3ELNS1_3repE0EEENS1_30default_config_static_selectorELNS0_4arch9wavefront6targetE1EEEvT1_
	.globl	_ZN7rocprim17ROCPRIM_400000_NS6detail17trampoline_kernelINS0_14default_configENS1_27scan_by_key_config_selectorIitEEZZNS1_16scan_by_key_implILNS1_25lookback_scan_determinismE0ELb0ES3_N6thrust23THRUST_200600_302600_NS6detail15normal_iteratorINS9_10device_ptrIiEEEENSB_INSC_ItEEEESG_tNS9_4plusIvEENS9_8equal_toIvEEtEE10hipError_tPvRmT2_T3_T4_T5_mT6_T7_P12ihipStream_tbENKUlT_T0_E_clISt17integral_constantIbLb1EES11_EEDaSW_SX_EUlSW_E_NS1_11comp_targetILNS1_3genE9ELNS1_11target_archE1100ELNS1_3gpuE3ELNS1_3repE0EEENS1_30default_config_static_selectorELNS0_4arch9wavefront6targetE1EEEvT1_
	.p2align	8
	.type	_ZN7rocprim17ROCPRIM_400000_NS6detail17trampoline_kernelINS0_14default_configENS1_27scan_by_key_config_selectorIitEEZZNS1_16scan_by_key_implILNS1_25lookback_scan_determinismE0ELb0ES3_N6thrust23THRUST_200600_302600_NS6detail15normal_iteratorINS9_10device_ptrIiEEEENSB_INSC_ItEEEESG_tNS9_4plusIvEENS9_8equal_toIvEEtEE10hipError_tPvRmT2_T3_T4_T5_mT6_T7_P12ihipStream_tbENKUlT_T0_E_clISt17integral_constantIbLb1EES11_EEDaSW_SX_EUlSW_E_NS1_11comp_targetILNS1_3genE9ELNS1_11target_archE1100ELNS1_3gpuE3ELNS1_3repE0EEENS1_30default_config_static_selectorELNS0_4arch9wavefront6targetE1EEEvT1_,@function
_ZN7rocprim17ROCPRIM_400000_NS6detail17trampoline_kernelINS0_14default_configENS1_27scan_by_key_config_selectorIitEEZZNS1_16scan_by_key_implILNS1_25lookback_scan_determinismE0ELb0ES3_N6thrust23THRUST_200600_302600_NS6detail15normal_iteratorINS9_10device_ptrIiEEEENSB_INSC_ItEEEESG_tNS9_4plusIvEENS9_8equal_toIvEEtEE10hipError_tPvRmT2_T3_T4_T5_mT6_T7_P12ihipStream_tbENKUlT_T0_E_clISt17integral_constantIbLb1EES11_EEDaSW_SX_EUlSW_E_NS1_11comp_targetILNS1_3genE9ELNS1_11target_archE1100ELNS1_3gpuE3ELNS1_3repE0EEENS1_30default_config_static_selectorELNS0_4arch9wavefront6targetE1EEEvT1_: ; @_ZN7rocprim17ROCPRIM_400000_NS6detail17trampoline_kernelINS0_14default_configENS1_27scan_by_key_config_selectorIitEEZZNS1_16scan_by_key_implILNS1_25lookback_scan_determinismE0ELb0ES3_N6thrust23THRUST_200600_302600_NS6detail15normal_iteratorINS9_10device_ptrIiEEEENSB_INSC_ItEEEESG_tNS9_4plusIvEENS9_8equal_toIvEEtEE10hipError_tPvRmT2_T3_T4_T5_mT6_T7_P12ihipStream_tbENKUlT_T0_E_clISt17integral_constantIbLb1EES11_EEDaSW_SX_EUlSW_E_NS1_11comp_targetILNS1_3genE9ELNS1_11target_archE1100ELNS1_3gpuE3ELNS1_3repE0EEENS1_30default_config_static_selectorELNS0_4arch9wavefront6targetE1EEEvT1_
; %bb.0:
	.section	.rodata,"a",@progbits
	.p2align	6, 0x0
	.amdhsa_kernel _ZN7rocprim17ROCPRIM_400000_NS6detail17trampoline_kernelINS0_14default_configENS1_27scan_by_key_config_selectorIitEEZZNS1_16scan_by_key_implILNS1_25lookback_scan_determinismE0ELb0ES3_N6thrust23THRUST_200600_302600_NS6detail15normal_iteratorINS9_10device_ptrIiEEEENSB_INSC_ItEEEESG_tNS9_4plusIvEENS9_8equal_toIvEEtEE10hipError_tPvRmT2_T3_T4_T5_mT6_T7_P12ihipStream_tbENKUlT_T0_E_clISt17integral_constantIbLb1EES11_EEDaSW_SX_EUlSW_E_NS1_11comp_targetILNS1_3genE9ELNS1_11target_archE1100ELNS1_3gpuE3ELNS1_3repE0EEENS1_30default_config_static_selectorELNS0_4arch9wavefront6targetE1EEEvT1_
		.amdhsa_group_segment_fixed_size 0
		.amdhsa_private_segment_fixed_size 0
		.amdhsa_kernarg_size 112
		.amdhsa_user_sgpr_count 2
		.amdhsa_user_sgpr_dispatch_ptr 0
		.amdhsa_user_sgpr_queue_ptr 0
		.amdhsa_user_sgpr_kernarg_segment_ptr 1
		.amdhsa_user_sgpr_dispatch_id 0
		.amdhsa_user_sgpr_kernarg_preload_length 0
		.amdhsa_user_sgpr_kernarg_preload_offset 0
		.amdhsa_user_sgpr_private_segment_size 0
		.amdhsa_uses_dynamic_stack 0
		.amdhsa_enable_private_segment 0
		.amdhsa_system_sgpr_workgroup_id_x 1
		.amdhsa_system_sgpr_workgroup_id_y 0
		.amdhsa_system_sgpr_workgroup_id_z 0
		.amdhsa_system_sgpr_workgroup_info 0
		.amdhsa_system_vgpr_workitem_id 0
		.amdhsa_next_free_vgpr 1
		.amdhsa_next_free_sgpr 0
		.amdhsa_accum_offset 4
		.amdhsa_reserve_vcc 0
		.amdhsa_float_round_mode_32 0
		.amdhsa_float_round_mode_16_64 0
		.amdhsa_float_denorm_mode_32 3
		.amdhsa_float_denorm_mode_16_64 3
		.amdhsa_dx10_clamp 1
		.amdhsa_ieee_mode 1
		.amdhsa_fp16_overflow 0
		.amdhsa_tg_split 0
		.amdhsa_exception_fp_ieee_invalid_op 0
		.amdhsa_exception_fp_denorm_src 0
		.amdhsa_exception_fp_ieee_div_zero 0
		.amdhsa_exception_fp_ieee_overflow 0
		.amdhsa_exception_fp_ieee_underflow 0
		.amdhsa_exception_fp_ieee_inexact 0
		.amdhsa_exception_int_div_zero 0
	.end_amdhsa_kernel
	.section	.text._ZN7rocprim17ROCPRIM_400000_NS6detail17trampoline_kernelINS0_14default_configENS1_27scan_by_key_config_selectorIitEEZZNS1_16scan_by_key_implILNS1_25lookback_scan_determinismE0ELb0ES3_N6thrust23THRUST_200600_302600_NS6detail15normal_iteratorINS9_10device_ptrIiEEEENSB_INSC_ItEEEESG_tNS9_4plusIvEENS9_8equal_toIvEEtEE10hipError_tPvRmT2_T3_T4_T5_mT6_T7_P12ihipStream_tbENKUlT_T0_E_clISt17integral_constantIbLb1EES11_EEDaSW_SX_EUlSW_E_NS1_11comp_targetILNS1_3genE9ELNS1_11target_archE1100ELNS1_3gpuE3ELNS1_3repE0EEENS1_30default_config_static_selectorELNS0_4arch9wavefront6targetE1EEEvT1_,"axG",@progbits,_ZN7rocprim17ROCPRIM_400000_NS6detail17trampoline_kernelINS0_14default_configENS1_27scan_by_key_config_selectorIitEEZZNS1_16scan_by_key_implILNS1_25lookback_scan_determinismE0ELb0ES3_N6thrust23THRUST_200600_302600_NS6detail15normal_iteratorINS9_10device_ptrIiEEEENSB_INSC_ItEEEESG_tNS9_4plusIvEENS9_8equal_toIvEEtEE10hipError_tPvRmT2_T3_T4_T5_mT6_T7_P12ihipStream_tbENKUlT_T0_E_clISt17integral_constantIbLb1EES11_EEDaSW_SX_EUlSW_E_NS1_11comp_targetILNS1_3genE9ELNS1_11target_archE1100ELNS1_3gpuE3ELNS1_3repE0EEENS1_30default_config_static_selectorELNS0_4arch9wavefront6targetE1EEEvT1_,comdat
.Lfunc_end1285:
	.size	_ZN7rocprim17ROCPRIM_400000_NS6detail17trampoline_kernelINS0_14default_configENS1_27scan_by_key_config_selectorIitEEZZNS1_16scan_by_key_implILNS1_25lookback_scan_determinismE0ELb0ES3_N6thrust23THRUST_200600_302600_NS6detail15normal_iteratorINS9_10device_ptrIiEEEENSB_INSC_ItEEEESG_tNS9_4plusIvEENS9_8equal_toIvEEtEE10hipError_tPvRmT2_T3_T4_T5_mT6_T7_P12ihipStream_tbENKUlT_T0_E_clISt17integral_constantIbLb1EES11_EEDaSW_SX_EUlSW_E_NS1_11comp_targetILNS1_3genE9ELNS1_11target_archE1100ELNS1_3gpuE3ELNS1_3repE0EEENS1_30default_config_static_selectorELNS0_4arch9wavefront6targetE1EEEvT1_, .Lfunc_end1285-_ZN7rocprim17ROCPRIM_400000_NS6detail17trampoline_kernelINS0_14default_configENS1_27scan_by_key_config_selectorIitEEZZNS1_16scan_by_key_implILNS1_25lookback_scan_determinismE0ELb0ES3_N6thrust23THRUST_200600_302600_NS6detail15normal_iteratorINS9_10device_ptrIiEEEENSB_INSC_ItEEEESG_tNS9_4plusIvEENS9_8equal_toIvEEtEE10hipError_tPvRmT2_T3_T4_T5_mT6_T7_P12ihipStream_tbENKUlT_T0_E_clISt17integral_constantIbLb1EES11_EEDaSW_SX_EUlSW_E_NS1_11comp_targetILNS1_3genE9ELNS1_11target_archE1100ELNS1_3gpuE3ELNS1_3repE0EEENS1_30default_config_static_selectorELNS0_4arch9wavefront6targetE1EEEvT1_
                                        ; -- End function
	.section	.AMDGPU.csdata,"",@progbits
; Kernel info:
; codeLenInByte = 0
; NumSgprs: 6
; NumVgprs: 0
; NumAgprs: 0
; TotalNumVgprs: 0
; ScratchSize: 0
; MemoryBound: 0
; FloatMode: 240
; IeeeMode: 1
; LDSByteSize: 0 bytes/workgroup (compile time only)
; SGPRBlocks: 0
; VGPRBlocks: 0
; NumSGPRsForWavesPerEU: 6
; NumVGPRsForWavesPerEU: 1
; AccumOffset: 4
; Occupancy: 8
; WaveLimiterHint : 0
; COMPUTE_PGM_RSRC2:SCRATCH_EN: 0
; COMPUTE_PGM_RSRC2:USER_SGPR: 2
; COMPUTE_PGM_RSRC2:TRAP_HANDLER: 0
; COMPUTE_PGM_RSRC2:TGID_X_EN: 1
; COMPUTE_PGM_RSRC2:TGID_Y_EN: 0
; COMPUTE_PGM_RSRC2:TGID_Z_EN: 0
; COMPUTE_PGM_RSRC2:TIDIG_COMP_CNT: 0
; COMPUTE_PGM_RSRC3_GFX90A:ACCUM_OFFSET: 0
; COMPUTE_PGM_RSRC3_GFX90A:TG_SPLIT: 0
	.section	.text._ZN7rocprim17ROCPRIM_400000_NS6detail17trampoline_kernelINS0_14default_configENS1_27scan_by_key_config_selectorIitEEZZNS1_16scan_by_key_implILNS1_25lookback_scan_determinismE0ELb0ES3_N6thrust23THRUST_200600_302600_NS6detail15normal_iteratorINS9_10device_ptrIiEEEENSB_INSC_ItEEEESG_tNS9_4plusIvEENS9_8equal_toIvEEtEE10hipError_tPvRmT2_T3_T4_T5_mT6_T7_P12ihipStream_tbENKUlT_T0_E_clISt17integral_constantIbLb1EES11_EEDaSW_SX_EUlSW_E_NS1_11comp_targetILNS1_3genE8ELNS1_11target_archE1030ELNS1_3gpuE2ELNS1_3repE0EEENS1_30default_config_static_selectorELNS0_4arch9wavefront6targetE1EEEvT1_,"axG",@progbits,_ZN7rocprim17ROCPRIM_400000_NS6detail17trampoline_kernelINS0_14default_configENS1_27scan_by_key_config_selectorIitEEZZNS1_16scan_by_key_implILNS1_25lookback_scan_determinismE0ELb0ES3_N6thrust23THRUST_200600_302600_NS6detail15normal_iteratorINS9_10device_ptrIiEEEENSB_INSC_ItEEEESG_tNS9_4plusIvEENS9_8equal_toIvEEtEE10hipError_tPvRmT2_T3_T4_T5_mT6_T7_P12ihipStream_tbENKUlT_T0_E_clISt17integral_constantIbLb1EES11_EEDaSW_SX_EUlSW_E_NS1_11comp_targetILNS1_3genE8ELNS1_11target_archE1030ELNS1_3gpuE2ELNS1_3repE0EEENS1_30default_config_static_selectorELNS0_4arch9wavefront6targetE1EEEvT1_,comdat
	.protected	_ZN7rocprim17ROCPRIM_400000_NS6detail17trampoline_kernelINS0_14default_configENS1_27scan_by_key_config_selectorIitEEZZNS1_16scan_by_key_implILNS1_25lookback_scan_determinismE0ELb0ES3_N6thrust23THRUST_200600_302600_NS6detail15normal_iteratorINS9_10device_ptrIiEEEENSB_INSC_ItEEEESG_tNS9_4plusIvEENS9_8equal_toIvEEtEE10hipError_tPvRmT2_T3_T4_T5_mT6_T7_P12ihipStream_tbENKUlT_T0_E_clISt17integral_constantIbLb1EES11_EEDaSW_SX_EUlSW_E_NS1_11comp_targetILNS1_3genE8ELNS1_11target_archE1030ELNS1_3gpuE2ELNS1_3repE0EEENS1_30default_config_static_selectorELNS0_4arch9wavefront6targetE1EEEvT1_ ; -- Begin function _ZN7rocprim17ROCPRIM_400000_NS6detail17trampoline_kernelINS0_14default_configENS1_27scan_by_key_config_selectorIitEEZZNS1_16scan_by_key_implILNS1_25lookback_scan_determinismE0ELb0ES3_N6thrust23THRUST_200600_302600_NS6detail15normal_iteratorINS9_10device_ptrIiEEEENSB_INSC_ItEEEESG_tNS9_4plusIvEENS9_8equal_toIvEEtEE10hipError_tPvRmT2_T3_T4_T5_mT6_T7_P12ihipStream_tbENKUlT_T0_E_clISt17integral_constantIbLb1EES11_EEDaSW_SX_EUlSW_E_NS1_11comp_targetILNS1_3genE8ELNS1_11target_archE1030ELNS1_3gpuE2ELNS1_3repE0EEENS1_30default_config_static_selectorELNS0_4arch9wavefront6targetE1EEEvT1_
	.globl	_ZN7rocprim17ROCPRIM_400000_NS6detail17trampoline_kernelINS0_14default_configENS1_27scan_by_key_config_selectorIitEEZZNS1_16scan_by_key_implILNS1_25lookback_scan_determinismE0ELb0ES3_N6thrust23THRUST_200600_302600_NS6detail15normal_iteratorINS9_10device_ptrIiEEEENSB_INSC_ItEEEESG_tNS9_4plusIvEENS9_8equal_toIvEEtEE10hipError_tPvRmT2_T3_T4_T5_mT6_T7_P12ihipStream_tbENKUlT_T0_E_clISt17integral_constantIbLb1EES11_EEDaSW_SX_EUlSW_E_NS1_11comp_targetILNS1_3genE8ELNS1_11target_archE1030ELNS1_3gpuE2ELNS1_3repE0EEENS1_30default_config_static_selectorELNS0_4arch9wavefront6targetE1EEEvT1_
	.p2align	8
	.type	_ZN7rocprim17ROCPRIM_400000_NS6detail17trampoline_kernelINS0_14default_configENS1_27scan_by_key_config_selectorIitEEZZNS1_16scan_by_key_implILNS1_25lookback_scan_determinismE0ELb0ES3_N6thrust23THRUST_200600_302600_NS6detail15normal_iteratorINS9_10device_ptrIiEEEENSB_INSC_ItEEEESG_tNS9_4plusIvEENS9_8equal_toIvEEtEE10hipError_tPvRmT2_T3_T4_T5_mT6_T7_P12ihipStream_tbENKUlT_T0_E_clISt17integral_constantIbLb1EES11_EEDaSW_SX_EUlSW_E_NS1_11comp_targetILNS1_3genE8ELNS1_11target_archE1030ELNS1_3gpuE2ELNS1_3repE0EEENS1_30default_config_static_selectorELNS0_4arch9wavefront6targetE1EEEvT1_,@function
_ZN7rocprim17ROCPRIM_400000_NS6detail17trampoline_kernelINS0_14default_configENS1_27scan_by_key_config_selectorIitEEZZNS1_16scan_by_key_implILNS1_25lookback_scan_determinismE0ELb0ES3_N6thrust23THRUST_200600_302600_NS6detail15normal_iteratorINS9_10device_ptrIiEEEENSB_INSC_ItEEEESG_tNS9_4plusIvEENS9_8equal_toIvEEtEE10hipError_tPvRmT2_T3_T4_T5_mT6_T7_P12ihipStream_tbENKUlT_T0_E_clISt17integral_constantIbLb1EES11_EEDaSW_SX_EUlSW_E_NS1_11comp_targetILNS1_3genE8ELNS1_11target_archE1030ELNS1_3gpuE2ELNS1_3repE0EEENS1_30default_config_static_selectorELNS0_4arch9wavefront6targetE1EEEvT1_: ; @_ZN7rocprim17ROCPRIM_400000_NS6detail17trampoline_kernelINS0_14default_configENS1_27scan_by_key_config_selectorIitEEZZNS1_16scan_by_key_implILNS1_25lookback_scan_determinismE0ELb0ES3_N6thrust23THRUST_200600_302600_NS6detail15normal_iteratorINS9_10device_ptrIiEEEENSB_INSC_ItEEEESG_tNS9_4plusIvEENS9_8equal_toIvEEtEE10hipError_tPvRmT2_T3_T4_T5_mT6_T7_P12ihipStream_tbENKUlT_T0_E_clISt17integral_constantIbLb1EES11_EEDaSW_SX_EUlSW_E_NS1_11comp_targetILNS1_3genE8ELNS1_11target_archE1030ELNS1_3gpuE2ELNS1_3repE0EEENS1_30default_config_static_selectorELNS0_4arch9wavefront6targetE1EEEvT1_
; %bb.0:
	.section	.rodata,"a",@progbits
	.p2align	6, 0x0
	.amdhsa_kernel _ZN7rocprim17ROCPRIM_400000_NS6detail17trampoline_kernelINS0_14default_configENS1_27scan_by_key_config_selectorIitEEZZNS1_16scan_by_key_implILNS1_25lookback_scan_determinismE0ELb0ES3_N6thrust23THRUST_200600_302600_NS6detail15normal_iteratorINS9_10device_ptrIiEEEENSB_INSC_ItEEEESG_tNS9_4plusIvEENS9_8equal_toIvEEtEE10hipError_tPvRmT2_T3_T4_T5_mT6_T7_P12ihipStream_tbENKUlT_T0_E_clISt17integral_constantIbLb1EES11_EEDaSW_SX_EUlSW_E_NS1_11comp_targetILNS1_3genE8ELNS1_11target_archE1030ELNS1_3gpuE2ELNS1_3repE0EEENS1_30default_config_static_selectorELNS0_4arch9wavefront6targetE1EEEvT1_
		.amdhsa_group_segment_fixed_size 0
		.amdhsa_private_segment_fixed_size 0
		.amdhsa_kernarg_size 112
		.amdhsa_user_sgpr_count 2
		.amdhsa_user_sgpr_dispatch_ptr 0
		.amdhsa_user_sgpr_queue_ptr 0
		.amdhsa_user_sgpr_kernarg_segment_ptr 1
		.amdhsa_user_sgpr_dispatch_id 0
		.amdhsa_user_sgpr_kernarg_preload_length 0
		.amdhsa_user_sgpr_kernarg_preload_offset 0
		.amdhsa_user_sgpr_private_segment_size 0
		.amdhsa_uses_dynamic_stack 0
		.amdhsa_enable_private_segment 0
		.amdhsa_system_sgpr_workgroup_id_x 1
		.amdhsa_system_sgpr_workgroup_id_y 0
		.amdhsa_system_sgpr_workgroup_id_z 0
		.amdhsa_system_sgpr_workgroup_info 0
		.amdhsa_system_vgpr_workitem_id 0
		.amdhsa_next_free_vgpr 1
		.amdhsa_next_free_sgpr 0
		.amdhsa_accum_offset 4
		.amdhsa_reserve_vcc 0
		.amdhsa_float_round_mode_32 0
		.amdhsa_float_round_mode_16_64 0
		.amdhsa_float_denorm_mode_32 3
		.amdhsa_float_denorm_mode_16_64 3
		.amdhsa_dx10_clamp 1
		.amdhsa_ieee_mode 1
		.amdhsa_fp16_overflow 0
		.amdhsa_tg_split 0
		.amdhsa_exception_fp_ieee_invalid_op 0
		.amdhsa_exception_fp_denorm_src 0
		.amdhsa_exception_fp_ieee_div_zero 0
		.amdhsa_exception_fp_ieee_overflow 0
		.amdhsa_exception_fp_ieee_underflow 0
		.amdhsa_exception_fp_ieee_inexact 0
		.amdhsa_exception_int_div_zero 0
	.end_amdhsa_kernel
	.section	.text._ZN7rocprim17ROCPRIM_400000_NS6detail17trampoline_kernelINS0_14default_configENS1_27scan_by_key_config_selectorIitEEZZNS1_16scan_by_key_implILNS1_25lookback_scan_determinismE0ELb0ES3_N6thrust23THRUST_200600_302600_NS6detail15normal_iteratorINS9_10device_ptrIiEEEENSB_INSC_ItEEEESG_tNS9_4plusIvEENS9_8equal_toIvEEtEE10hipError_tPvRmT2_T3_T4_T5_mT6_T7_P12ihipStream_tbENKUlT_T0_E_clISt17integral_constantIbLb1EES11_EEDaSW_SX_EUlSW_E_NS1_11comp_targetILNS1_3genE8ELNS1_11target_archE1030ELNS1_3gpuE2ELNS1_3repE0EEENS1_30default_config_static_selectorELNS0_4arch9wavefront6targetE1EEEvT1_,"axG",@progbits,_ZN7rocprim17ROCPRIM_400000_NS6detail17trampoline_kernelINS0_14default_configENS1_27scan_by_key_config_selectorIitEEZZNS1_16scan_by_key_implILNS1_25lookback_scan_determinismE0ELb0ES3_N6thrust23THRUST_200600_302600_NS6detail15normal_iteratorINS9_10device_ptrIiEEEENSB_INSC_ItEEEESG_tNS9_4plusIvEENS9_8equal_toIvEEtEE10hipError_tPvRmT2_T3_T4_T5_mT6_T7_P12ihipStream_tbENKUlT_T0_E_clISt17integral_constantIbLb1EES11_EEDaSW_SX_EUlSW_E_NS1_11comp_targetILNS1_3genE8ELNS1_11target_archE1030ELNS1_3gpuE2ELNS1_3repE0EEENS1_30default_config_static_selectorELNS0_4arch9wavefront6targetE1EEEvT1_,comdat
.Lfunc_end1286:
	.size	_ZN7rocprim17ROCPRIM_400000_NS6detail17trampoline_kernelINS0_14default_configENS1_27scan_by_key_config_selectorIitEEZZNS1_16scan_by_key_implILNS1_25lookback_scan_determinismE0ELb0ES3_N6thrust23THRUST_200600_302600_NS6detail15normal_iteratorINS9_10device_ptrIiEEEENSB_INSC_ItEEEESG_tNS9_4plusIvEENS9_8equal_toIvEEtEE10hipError_tPvRmT2_T3_T4_T5_mT6_T7_P12ihipStream_tbENKUlT_T0_E_clISt17integral_constantIbLb1EES11_EEDaSW_SX_EUlSW_E_NS1_11comp_targetILNS1_3genE8ELNS1_11target_archE1030ELNS1_3gpuE2ELNS1_3repE0EEENS1_30default_config_static_selectorELNS0_4arch9wavefront6targetE1EEEvT1_, .Lfunc_end1286-_ZN7rocprim17ROCPRIM_400000_NS6detail17trampoline_kernelINS0_14default_configENS1_27scan_by_key_config_selectorIitEEZZNS1_16scan_by_key_implILNS1_25lookback_scan_determinismE0ELb0ES3_N6thrust23THRUST_200600_302600_NS6detail15normal_iteratorINS9_10device_ptrIiEEEENSB_INSC_ItEEEESG_tNS9_4plusIvEENS9_8equal_toIvEEtEE10hipError_tPvRmT2_T3_T4_T5_mT6_T7_P12ihipStream_tbENKUlT_T0_E_clISt17integral_constantIbLb1EES11_EEDaSW_SX_EUlSW_E_NS1_11comp_targetILNS1_3genE8ELNS1_11target_archE1030ELNS1_3gpuE2ELNS1_3repE0EEENS1_30default_config_static_selectorELNS0_4arch9wavefront6targetE1EEEvT1_
                                        ; -- End function
	.section	.AMDGPU.csdata,"",@progbits
; Kernel info:
; codeLenInByte = 0
; NumSgprs: 6
; NumVgprs: 0
; NumAgprs: 0
; TotalNumVgprs: 0
; ScratchSize: 0
; MemoryBound: 0
; FloatMode: 240
; IeeeMode: 1
; LDSByteSize: 0 bytes/workgroup (compile time only)
; SGPRBlocks: 0
; VGPRBlocks: 0
; NumSGPRsForWavesPerEU: 6
; NumVGPRsForWavesPerEU: 1
; AccumOffset: 4
; Occupancy: 8
; WaveLimiterHint : 0
; COMPUTE_PGM_RSRC2:SCRATCH_EN: 0
; COMPUTE_PGM_RSRC2:USER_SGPR: 2
; COMPUTE_PGM_RSRC2:TRAP_HANDLER: 0
; COMPUTE_PGM_RSRC2:TGID_X_EN: 1
; COMPUTE_PGM_RSRC2:TGID_Y_EN: 0
; COMPUTE_PGM_RSRC2:TGID_Z_EN: 0
; COMPUTE_PGM_RSRC2:TIDIG_COMP_CNT: 0
; COMPUTE_PGM_RSRC3_GFX90A:ACCUM_OFFSET: 0
; COMPUTE_PGM_RSRC3_GFX90A:TG_SPLIT: 0
	.section	.text._ZN7rocprim17ROCPRIM_400000_NS6detail30init_device_scan_by_key_kernelINS1_19lookback_scan_stateINS0_5tupleIJtbEEELb1ELb1EEEN6thrust23THRUST_200600_302600_NS6detail15normal_iteratorINS8_10device_ptrIiEEEEjNS1_16block_id_wrapperIjLb0EEEEEvT_jjPNSG_10value_typeET0_PNSt15iterator_traitsISJ_E10value_typeEmT1_T2_,"axG",@progbits,_ZN7rocprim17ROCPRIM_400000_NS6detail30init_device_scan_by_key_kernelINS1_19lookback_scan_stateINS0_5tupleIJtbEEELb1ELb1EEEN6thrust23THRUST_200600_302600_NS6detail15normal_iteratorINS8_10device_ptrIiEEEEjNS1_16block_id_wrapperIjLb0EEEEEvT_jjPNSG_10value_typeET0_PNSt15iterator_traitsISJ_E10value_typeEmT1_T2_,comdat
	.protected	_ZN7rocprim17ROCPRIM_400000_NS6detail30init_device_scan_by_key_kernelINS1_19lookback_scan_stateINS0_5tupleIJtbEEELb1ELb1EEEN6thrust23THRUST_200600_302600_NS6detail15normal_iteratorINS8_10device_ptrIiEEEEjNS1_16block_id_wrapperIjLb0EEEEEvT_jjPNSG_10value_typeET0_PNSt15iterator_traitsISJ_E10value_typeEmT1_T2_ ; -- Begin function _ZN7rocprim17ROCPRIM_400000_NS6detail30init_device_scan_by_key_kernelINS1_19lookback_scan_stateINS0_5tupleIJtbEEELb1ELb1EEEN6thrust23THRUST_200600_302600_NS6detail15normal_iteratorINS8_10device_ptrIiEEEEjNS1_16block_id_wrapperIjLb0EEEEEvT_jjPNSG_10value_typeET0_PNSt15iterator_traitsISJ_E10value_typeEmT1_T2_
	.globl	_ZN7rocprim17ROCPRIM_400000_NS6detail30init_device_scan_by_key_kernelINS1_19lookback_scan_stateINS0_5tupleIJtbEEELb1ELb1EEEN6thrust23THRUST_200600_302600_NS6detail15normal_iteratorINS8_10device_ptrIiEEEEjNS1_16block_id_wrapperIjLb0EEEEEvT_jjPNSG_10value_typeET0_PNSt15iterator_traitsISJ_E10value_typeEmT1_T2_
	.p2align	8
	.type	_ZN7rocprim17ROCPRIM_400000_NS6detail30init_device_scan_by_key_kernelINS1_19lookback_scan_stateINS0_5tupleIJtbEEELb1ELb1EEEN6thrust23THRUST_200600_302600_NS6detail15normal_iteratorINS8_10device_ptrIiEEEEjNS1_16block_id_wrapperIjLb0EEEEEvT_jjPNSG_10value_typeET0_PNSt15iterator_traitsISJ_E10value_typeEmT1_T2_,@function
_ZN7rocprim17ROCPRIM_400000_NS6detail30init_device_scan_by_key_kernelINS1_19lookback_scan_stateINS0_5tupleIJtbEEELb1ELb1EEEN6thrust23THRUST_200600_302600_NS6detail15normal_iteratorINS8_10device_ptrIiEEEEjNS1_16block_id_wrapperIjLb0EEEEEvT_jjPNSG_10value_typeET0_PNSt15iterator_traitsISJ_E10value_typeEmT1_T2_: ; @_ZN7rocprim17ROCPRIM_400000_NS6detail30init_device_scan_by_key_kernelINS1_19lookback_scan_stateINS0_5tupleIJtbEEELb1ELb1EEEN6thrust23THRUST_200600_302600_NS6detail15normal_iteratorINS8_10device_ptrIiEEEEjNS1_16block_id_wrapperIjLb0EEEEEvT_jjPNSG_10value_typeET0_PNSt15iterator_traitsISJ_E10value_typeEmT1_T2_
; %bb.0:
	s_load_dword s3, s[0:1], 0x44
	s_load_dwordx8 s[4:11], s[0:1], 0x0
	s_load_dword s14, s[0:1], 0x38
	s_waitcnt lgkmcnt(0)
	s_and_b32 s15, s3, 0xffff
	s_mul_i32 s2, s2, s15
	s_cmp_eq_u64 s[8:9], 0
	v_add_u32_e32 v0, s2, v0
	s_cbranch_scc1 .LBB1287_9
; %bb.1:
	s_cmp_lt_u32 s7, s6
	s_cselect_b32 s2, s7, 0
	s_mov_b32 s13, 0
	v_cmp_eq_u32_e32 vcc, s2, v0
	s_and_saveexec_b64 s[2:3], vcc
	s_cbranch_execz .LBB1287_8
; %bb.2:
	s_add_i32 s12, s7, 64
	s_lshl_b64 s[12:13], s[12:13], 3
	s_add_u32 s12, s4, s12
	s_addc_u32 s13, s5, s13
	v_mov_b32_e32 v2, 0
	global_load_dwordx2 v[4:5], v2, s[12:13] sc1
	s_waitcnt vmcnt(0)
	v_and_b32_e32 v3, 0xff, v5
	v_cmp_ne_u64_e32 vcc, 0, v[2:3]
	s_cbranch_vccnz .LBB1287_7
; %bb.3:
	s_mov_b32 s7, 1
.LBB1287_4:                             ; =>This Loop Header: Depth=1
                                        ;     Child Loop BB1287_5 Depth 2
	s_max_u32 s16, s7, 1
.LBB1287_5:                             ;   Parent Loop BB1287_4 Depth=1
                                        ; =>  This Inner Loop Header: Depth=2
	s_add_i32 s16, s16, -1
	s_cmp_eq_u32 s16, 0
	s_sleep 1
	s_cbranch_scc0 .LBB1287_5
; %bb.6:                                ;   in Loop: Header=BB1287_4 Depth=1
	global_load_dwordx2 v[4:5], v2, s[12:13] sc1
	s_cmp_lt_u32 s7, 32
	s_cselect_b64 s[16:17], -1, 0
	s_cmp_lg_u64 s[16:17], 0
	s_addc_u32 s7, s7, 0
	s_waitcnt vmcnt(0)
	v_and_b32_e32 v3, 0xff, v5
	v_cmp_ne_u64_e32 vcc, 0, v[2:3]
	s_cbranch_vccz .LBB1287_4
.LBB1287_7:
	v_mov_b32_e32 v1, 0
	global_store_short v1, v4, s[8:9]
	global_store_byte_d16_hi v1, v4, s[8:9] offset:2
.LBB1287_8:
	s_or_b64 exec, exec, s[2:3]
.LBB1287_9:
	v_cmp_gt_u32_e32 vcc, s6, v0
	s_and_saveexec_b64 s[2:3], vcc
	s_cbranch_execz .LBB1287_11
; %bb.10:
	v_add_u32_e32 v2, 64, v0
	v_mov_b32_e32 v3, 0
	v_lshl_add_u64 v[4:5], v[2:3], 3, s[4:5]
	v_mov_b32_e32 v2, v3
	global_store_dwordx2 v[4:5], v[2:3], off
.LBB1287_11:
	s_or_b64 exec, exec, s[2:3]
	v_cmp_gt_u32_e32 vcc, 64, v0
	v_mov_b32_e32 v1, 0
	s_and_saveexec_b64 s[2:3], vcc
	s_cbranch_execz .LBB1287_13
; %bb.12:
	v_lshl_add_u64 v[2:3], v[0:1], 3, s[4:5]
	v_mov_b32_e32 v5, 0xff
	v_mov_b32_e32 v4, v1
	global_store_dwordx2 v[2:3], v[4:5], off
.LBB1287_13:
	s_or_b64 exec, exec, s[2:3]
	s_load_dwordx2 s[2:3], s[0:1], 0x28
	s_waitcnt lgkmcnt(0)
	v_cmp_gt_u64_e32 vcc, s[2:3], v[0:1]
	s_and_saveexec_b64 s[4:5], vcc
	s_cbranch_execz .LBB1287_16
; %bb.14:
	s_load_dword s12, s[0:1], 0x30
	s_load_dwordx2 s[6:7], s[0:1], 0x20
	s_mov_b32 s5, 0
	s_mov_b32 s1, s5
	s_mul_i32 s0, s14, s15
	s_waitcnt lgkmcnt(0)
	s_add_i32 s4, s12, -1
	s_lshl_b64 s[4:5], s[4:5], 2
	s_add_u32 s4, s10, s4
	v_mad_u64_u32 v[2:3], s[8:9], s12, v0, 0
	s_addc_u32 s5, s11, s5
	v_lshl_add_u64 v[2:3], v[2:3], 2, s[4:5]
	s_mul_hi_u32 s5, s12, s0
	s_mul_i32 s4, s12, s0
	s_lshl_b64 s[4:5], s[4:5], 2
	v_lshl_add_u64 v[4:5], v[0:1], 2, s[6:7]
	s_lshl_b64 s[6:7], s[0:1], 2
	s_mov_b64 s[8:9], 0
.LBB1287_15:                            ; =>This Inner Loop Header: Depth=1
	global_load_dword v6, v[2:3], off
	v_lshl_add_u64 v[0:1], v[0:1], 0, s[0:1]
	v_cmp_le_u64_e32 vcc, s[2:3], v[0:1]
	v_lshl_add_u64 v[2:3], v[2:3], 0, s[4:5]
	s_or_b64 s[8:9], vcc, s[8:9]
	s_waitcnt vmcnt(0)
	global_store_dword v[4:5], v6, off
	v_lshl_add_u64 v[4:5], v[4:5], 0, s[6:7]
	s_andn2_b64 exec, exec, s[8:9]
	s_cbranch_execnz .LBB1287_15
.LBB1287_16:
	s_endpgm
	.section	.rodata,"a",@progbits
	.p2align	6, 0x0
	.amdhsa_kernel _ZN7rocprim17ROCPRIM_400000_NS6detail30init_device_scan_by_key_kernelINS1_19lookback_scan_stateINS0_5tupleIJtbEEELb1ELb1EEEN6thrust23THRUST_200600_302600_NS6detail15normal_iteratorINS8_10device_ptrIiEEEEjNS1_16block_id_wrapperIjLb0EEEEEvT_jjPNSG_10value_typeET0_PNSt15iterator_traitsISJ_E10value_typeEmT1_T2_
		.amdhsa_group_segment_fixed_size 0
		.amdhsa_private_segment_fixed_size 0
		.amdhsa_kernarg_size 312
		.amdhsa_user_sgpr_count 2
		.amdhsa_user_sgpr_dispatch_ptr 0
		.amdhsa_user_sgpr_queue_ptr 0
		.amdhsa_user_sgpr_kernarg_segment_ptr 1
		.amdhsa_user_sgpr_dispatch_id 0
		.amdhsa_user_sgpr_kernarg_preload_length 0
		.amdhsa_user_sgpr_kernarg_preload_offset 0
		.amdhsa_user_sgpr_private_segment_size 0
		.amdhsa_uses_dynamic_stack 0
		.amdhsa_enable_private_segment 0
		.amdhsa_system_sgpr_workgroup_id_x 1
		.amdhsa_system_sgpr_workgroup_id_y 0
		.amdhsa_system_sgpr_workgroup_id_z 0
		.amdhsa_system_sgpr_workgroup_info 0
		.amdhsa_system_vgpr_workitem_id 0
		.amdhsa_next_free_vgpr 7
		.amdhsa_next_free_sgpr 18
		.amdhsa_accum_offset 8
		.amdhsa_reserve_vcc 1
		.amdhsa_float_round_mode_32 0
		.amdhsa_float_round_mode_16_64 0
		.amdhsa_float_denorm_mode_32 3
		.amdhsa_float_denorm_mode_16_64 3
		.amdhsa_dx10_clamp 1
		.amdhsa_ieee_mode 1
		.amdhsa_fp16_overflow 0
		.amdhsa_tg_split 0
		.amdhsa_exception_fp_ieee_invalid_op 0
		.amdhsa_exception_fp_denorm_src 0
		.amdhsa_exception_fp_ieee_div_zero 0
		.amdhsa_exception_fp_ieee_overflow 0
		.amdhsa_exception_fp_ieee_underflow 0
		.amdhsa_exception_fp_ieee_inexact 0
		.amdhsa_exception_int_div_zero 0
	.end_amdhsa_kernel
	.section	.text._ZN7rocprim17ROCPRIM_400000_NS6detail30init_device_scan_by_key_kernelINS1_19lookback_scan_stateINS0_5tupleIJtbEEELb1ELb1EEEN6thrust23THRUST_200600_302600_NS6detail15normal_iteratorINS8_10device_ptrIiEEEEjNS1_16block_id_wrapperIjLb0EEEEEvT_jjPNSG_10value_typeET0_PNSt15iterator_traitsISJ_E10value_typeEmT1_T2_,"axG",@progbits,_ZN7rocprim17ROCPRIM_400000_NS6detail30init_device_scan_by_key_kernelINS1_19lookback_scan_stateINS0_5tupleIJtbEEELb1ELb1EEEN6thrust23THRUST_200600_302600_NS6detail15normal_iteratorINS8_10device_ptrIiEEEEjNS1_16block_id_wrapperIjLb0EEEEEvT_jjPNSG_10value_typeET0_PNSt15iterator_traitsISJ_E10value_typeEmT1_T2_,comdat
.Lfunc_end1287:
	.size	_ZN7rocprim17ROCPRIM_400000_NS6detail30init_device_scan_by_key_kernelINS1_19lookback_scan_stateINS0_5tupleIJtbEEELb1ELb1EEEN6thrust23THRUST_200600_302600_NS6detail15normal_iteratorINS8_10device_ptrIiEEEEjNS1_16block_id_wrapperIjLb0EEEEEvT_jjPNSG_10value_typeET0_PNSt15iterator_traitsISJ_E10value_typeEmT1_T2_, .Lfunc_end1287-_ZN7rocprim17ROCPRIM_400000_NS6detail30init_device_scan_by_key_kernelINS1_19lookback_scan_stateINS0_5tupleIJtbEEELb1ELb1EEEN6thrust23THRUST_200600_302600_NS6detail15normal_iteratorINS8_10device_ptrIiEEEEjNS1_16block_id_wrapperIjLb0EEEEEvT_jjPNSG_10value_typeET0_PNSt15iterator_traitsISJ_E10value_typeEmT1_T2_
                                        ; -- End function
	.section	.AMDGPU.csdata,"",@progbits
; Kernel info:
; codeLenInByte = 488
; NumSgprs: 24
; NumVgprs: 7
; NumAgprs: 0
; TotalNumVgprs: 7
; ScratchSize: 0
; MemoryBound: 0
; FloatMode: 240
; IeeeMode: 1
; LDSByteSize: 0 bytes/workgroup (compile time only)
; SGPRBlocks: 2
; VGPRBlocks: 0
; NumSGPRsForWavesPerEU: 24
; NumVGPRsForWavesPerEU: 7
; AccumOffset: 8
; Occupancy: 8
; WaveLimiterHint : 0
; COMPUTE_PGM_RSRC2:SCRATCH_EN: 0
; COMPUTE_PGM_RSRC2:USER_SGPR: 2
; COMPUTE_PGM_RSRC2:TRAP_HANDLER: 0
; COMPUTE_PGM_RSRC2:TGID_X_EN: 1
; COMPUTE_PGM_RSRC2:TGID_Y_EN: 0
; COMPUTE_PGM_RSRC2:TGID_Z_EN: 0
; COMPUTE_PGM_RSRC2:TIDIG_COMP_CNT: 0
; COMPUTE_PGM_RSRC3_GFX90A:ACCUM_OFFSET: 1
; COMPUTE_PGM_RSRC3_GFX90A:TG_SPLIT: 0
	.section	.text._ZN7rocprim17ROCPRIM_400000_NS6detail30init_device_scan_by_key_kernelINS1_19lookback_scan_stateINS0_5tupleIJtbEEELb1ELb1EEENS1_16block_id_wrapperIjLb0EEEEEvT_jjPNS9_10value_typeET0_,"axG",@progbits,_ZN7rocprim17ROCPRIM_400000_NS6detail30init_device_scan_by_key_kernelINS1_19lookback_scan_stateINS0_5tupleIJtbEEELb1ELb1EEENS1_16block_id_wrapperIjLb0EEEEEvT_jjPNS9_10value_typeET0_,comdat
	.protected	_ZN7rocprim17ROCPRIM_400000_NS6detail30init_device_scan_by_key_kernelINS1_19lookback_scan_stateINS0_5tupleIJtbEEELb1ELb1EEENS1_16block_id_wrapperIjLb0EEEEEvT_jjPNS9_10value_typeET0_ ; -- Begin function _ZN7rocprim17ROCPRIM_400000_NS6detail30init_device_scan_by_key_kernelINS1_19lookback_scan_stateINS0_5tupleIJtbEEELb1ELb1EEENS1_16block_id_wrapperIjLb0EEEEEvT_jjPNS9_10value_typeET0_
	.globl	_ZN7rocprim17ROCPRIM_400000_NS6detail30init_device_scan_by_key_kernelINS1_19lookback_scan_stateINS0_5tupleIJtbEEELb1ELb1EEENS1_16block_id_wrapperIjLb0EEEEEvT_jjPNS9_10value_typeET0_
	.p2align	8
	.type	_ZN7rocprim17ROCPRIM_400000_NS6detail30init_device_scan_by_key_kernelINS1_19lookback_scan_stateINS0_5tupleIJtbEEELb1ELb1EEENS1_16block_id_wrapperIjLb0EEEEEvT_jjPNS9_10value_typeET0_,@function
_ZN7rocprim17ROCPRIM_400000_NS6detail30init_device_scan_by_key_kernelINS1_19lookback_scan_stateINS0_5tupleIJtbEEELb1ELb1EEENS1_16block_id_wrapperIjLb0EEEEEvT_jjPNS9_10value_typeET0_: ; @_ZN7rocprim17ROCPRIM_400000_NS6detail30init_device_scan_by_key_kernelINS1_19lookback_scan_stateINS0_5tupleIJtbEEELb1ELb1EEENS1_16block_id_wrapperIjLb0EEEEEvT_jjPNS9_10value_typeET0_
; %bb.0:
	s_load_dword s3, s[0:1], 0x2c
	s_load_dwordx2 s[8:9], s[0:1], 0x10
	s_load_dwordx4 s[4:7], s[0:1], 0x0
	s_waitcnt lgkmcnt(0)
	s_and_b32 s0, s3, 0xffff
	s_mul_i32 s2, s2, s0
	s_cmp_eq_u64 s[8:9], 0
	v_add_u32_e32 v0, s2, v0
	s_cbranch_scc1 .LBB1288_9
; %bb.1:
	s_cmp_lt_u32 s7, s6
	s_cselect_b32 s0, s7, 0
	s_mov_b32 s3, 0
	v_cmp_eq_u32_e32 vcc, s0, v0
	s_and_saveexec_b64 s[0:1], vcc
	s_cbranch_execz .LBB1288_8
; %bb.2:
	s_add_i32 s2, s7, 64
	s_lshl_b64 s[2:3], s[2:3], 3
	s_add_u32 s2, s4, s2
	s_addc_u32 s3, s5, s3
	v_mov_b32_e32 v2, 0
	global_load_dwordx2 v[4:5], v2, s[2:3] sc1
	s_waitcnt vmcnt(0)
	v_and_b32_e32 v3, 0xff, v5
	v_cmp_ne_u64_e32 vcc, 0, v[2:3]
	s_cbranch_vccnz .LBB1288_7
; %bb.3:
	s_mov_b32 s7, 1
.LBB1288_4:                             ; =>This Loop Header: Depth=1
                                        ;     Child Loop BB1288_5 Depth 2
	s_max_u32 s10, s7, 1
.LBB1288_5:                             ;   Parent Loop BB1288_4 Depth=1
                                        ; =>  This Inner Loop Header: Depth=2
	s_add_i32 s10, s10, -1
	s_cmp_eq_u32 s10, 0
	s_sleep 1
	s_cbranch_scc0 .LBB1288_5
; %bb.6:                                ;   in Loop: Header=BB1288_4 Depth=1
	global_load_dwordx2 v[4:5], v2, s[2:3] sc1
	s_cmp_lt_u32 s7, 32
	s_cselect_b64 s[10:11], -1, 0
	s_cmp_lg_u64 s[10:11], 0
	s_addc_u32 s7, s7, 0
	s_waitcnt vmcnt(0)
	v_and_b32_e32 v3, 0xff, v5
	v_cmp_ne_u64_e32 vcc, 0, v[2:3]
	s_cbranch_vccz .LBB1288_4
.LBB1288_7:
	v_mov_b32_e32 v1, 0
	global_store_short v1, v4, s[8:9]
	global_store_byte_d16_hi v1, v4, s[8:9] offset:2
.LBB1288_8:
	s_or_b64 exec, exec, s[0:1]
.LBB1288_9:
	v_cmp_gt_u32_e32 vcc, s6, v0
	s_and_saveexec_b64 s[0:1], vcc
	s_cbranch_execnz .LBB1288_12
; %bb.10:
	s_or_b64 exec, exec, s[0:1]
	v_cmp_gt_u32_e32 vcc, 64, v0
	s_and_saveexec_b64 s[0:1], vcc
	s_cbranch_execnz .LBB1288_13
.LBB1288_11:
	s_endpgm
.LBB1288_12:
	v_add_u32_e32 v2, 64, v0
	v_mov_b32_e32 v3, 0
	v_lshl_add_u64 v[4:5], v[2:3], 3, s[4:5]
	v_mov_b32_e32 v2, v3
	global_store_dwordx2 v[4:5], v[2:3], off
	s_or_b64 exec, exec, s[0:1]
	v_cmp_gt_u32_e32 vcc, 64, v0
	s_and_saveexec_b64 s[0:1], vcc
	s_cbranch_execz .LBB1288_11
.LBB1288_13:
	v_mov_b32_e32 v1, 0
	v_lshl_add_u64 v[2:3], v[0:1], 3, s[4:5]
	v_mov_b32_e32 v5, 0xff
	v_mov_b32_e32 v4, v1
	global_store_dwordx2 v[2:3], v[4:5], off
	s_endpgm
	.section	.rodata,"a",@progbits
	.p2align	6, 0x0
	.amdhsa_kernel _ZN7rocprim17ROCPRIM_400000_NS6detail30init_device_scan_by_key_kernelINS1_19lookback_scan_stateINS0_5tupleIJtbEEELb1ELb1EEENS1_16block_id_wrapperIjLb0EEEEEvT_jjPNS9_10value_typeET0_
		.amdhsa_group_segment_fixed_size 0
		.amdhsa_private_segment_fixed_size 0
		.amdhsa_kernarg_size 288
		.amdhsa_user_sgpr_count 2
		.amdhsa_user_sgpr_dispatch_ptr 0
		.amdhsa_user_sgpr_queue_ptr 0
		.amdhsa_user_sgpr_kernarg_segment_ptr 1
		.amdhsa_user_sgpr_dispatch_id 0
		.amdhsa_user_sgpr_kernarg_preload_length 0
		.amdhsa_user_sgpr_kernarg_preload_offset 0
		.amdhsa_user_sgpr_private_segment_size 0
		.amdhsa_uses_dynamic_stack 0
		.amdhsa_enable_private_segment 0
		.amdhsa_system_sgpr_workgroup_id_x 1
		.amdhsa_system_sgpr_workgroup_id_y 0
		.amdhsa_system_sgpr_workgroup_id_z 0
		.amdhsa_system_sgpr_workgroup_info 0
		.amdhsa_system_vgpr_workitem_id 0
		.amdhsa_next_free_vgpr 6
		.amdhsa_next_free_sgpr 12
		.amdhsa_accum_offset 8
		.amdhsa_reserve_vcc 1
		.amdhsa_float_round_mode_32 0
		.amdhsa_float_round_mode_16_64 0
		.amdhsa_float_denorm_mode_32 3
		.amdhsa_float_denorm_mode_16_64 3
		.amdhsa_dx10_clamp 1
		.amdhsa_ieee_mode 1
		.amdhsa_fp16_overflow 0
		.amdhsa_tg_split 0
		.amdhsa_exception_fp_ieee_invalid_op 0
		.amdhsa_exception_fp_denorm_src 0
		.amdhsa_exception_fp_ieee_div_zero 0
		.amdhsa_exception_fp_ieee_overflow 0
		.amdhsa_exception_fp_ieee_underflow 0
		.amdhsa_exception_fp_ieee_inexact 0
		.amdhsa_exception_int_div_zero 0
	.end_amdhsa_kernel
	.section	.text._ZN7rocprim17ROCPRIM_400000_NS6detail30init_device_scan_by_key_kernelINS1_19lookback_scan_stateINS0_5tupleIJtbEEELb1ELb1EEENS1_16block_id_wrapperIjLb0EEEEEvT_jjPNS9_10value_typeET0_,"axG",@progbits,_ZN7rocprim17ROCPRIM_400000_NS6detail30init_device_scan_by_key_kernelINS1_19lookback_scan_stateINS0_5tupleIJtbEEELb1ELb1EEENS1_16block_id_wrapperIjLb0EEEEEvT_jjPNS9_10value_typeET0_,comdat
.Lfunc_end1288:
	.size	_ZN7rocprim17ROCPRIM_400000_NS6detail30init_device_scan_by_key_kernelINS1_19lookback_scan_stateINS0_5tupleIJtbEEELb1ELb1EEENS1_16block_id_wrapperIjLb0EEEEEvT_jjPNS9_10value_typeET0_, .Lfunc_end1288-_ZN7rocprim17ROCPRIM_400000_NS6detail30init_device_scan_by_key_kernelINS1_19lookback_scan_stateINS0_5tupleIJtbEEELb1ELb1EEENS1_16block_id_wrapperIjLb0EEEEEvT_jjPNS9_10value_typeET0_
                                        ; -- End function
	.section	.AMDGPU.csdata,"",@progbits
; Kernel info:
; codeLenInByte = 328
; NumSgprs: 18
; NumVgprs: 6
; NumAgprs: 0
; TotalNumVgprs: 6
; ScratchSize: 0
; MemoryBound: 0
; FloatMode: 240
; IeeeMode: 1
; LDSByteSize: 0 bytes/workgroup (compile time only)
; SGPRBlocks: 2
; VGPRBlocks: 0
; NumSGPRsForWavesPerEU: 18
; NumVGPRsForWavesPerEU: 6
; AccumOffset: 8
; Occupancy: 8
; WaveLimiterHint : 0
; COMPUTE_PGM_RSRC2:SCRATCH_EN: 0
; COMPUTE_PGM_RSRC2:USER_SGPR: 2
; COMPUTE_PGM_RSRC2:TRAP_HANDLER: 0
; COMPUTE_PGM_RSRC2:TGID_X_EN: 1
; COMPUTE_PGM_RSRC2:TGID_Y_EN: 0
; COMPUTE_PGM_RSRC2:TGID_Z_EN: 0
; COMPUTE_PGM_RSRC2:TIDIG_COMP_CNT: 0
; COMPUTE_PGM_RSRC3_GFX90A:ACCUM_OFFSET: 1
; COMPUTE_PGM_RSRC3_GFX90A:TG_SPLIT: 0
	.section	.text._ZN7rocprim17ROCPRIM_400000_NS6detail17trampoline_kernelINS0_14default_configENS1_27scan_by_key_config_selectorIitEEZZNS1_16scan_by_key_implILNS1_25lookback_scan_determinismE0ELb0ES3_N6thrust23THRUST_200600_302600_NS6detail15normal_iteratorINS9_10device_ptrIiEEEENSB_INSC_ItEEEESG_tNS9_4plusIvEENS9_8equal_toIvEEtEE10hipError_tPvRmT2_T3_T4_T5_mT6_T7_P12ihipStream_tbENKUlT_T0_E_clISt17integral_constantIbLb1EES10_IbLb0EEEEDaSW_SX_EUlSW_E_NS1_11comp_targetILNS1_3genE0ELNS1_11target_archE4294967295ELNS1_3gpuE0ELNS1_3repE0EEENS1_30default_config_static_selectorELNS0_4arch9wavefront6targetE1EEEvT1_,"axG",@progbits,_ZN7rocprim17ROCPRIM_400000_NS6detail17trampoline_kernelINS0_14default_configENS1_27scan_by_key_config_selectorIitEEZZNS1_16scan_by_key_implILNS1_25lookback_scan_determinismE0ELb0ES3_N6thrust23THRUST_200600_302600_NS6detail15normal_iteratorINS9_10device_ptrIiEEEENSB_INSC_ItEEEESG_tNS9_4plusIvEENS9_8equal_toIvEEtEE10hipError_tPvRmT2_T3_T4_T5_mT6_T7_P12ihipStream_tbENKUlT_T0_E_clISt17integral_constantIbLb1EES10_IbLb0EEEEDaSW_SX_EUlSW_E_NS1_11comp_targetILNS1_3genE0ELNS1_11target_archE4294967295ELNS1_3gpuE0ELNS1_3repE0EEENS1_30default_config_static_selectorELNS0_4arch9wavefront6targetE1EEEvT1_,comdat
	.protected	_ZN7rocprim17ROCPRIM_400000_NS6detail17trampoline_kernelINS0_14default_configENS1_27scan_by_key_config_selectorIitEEZZNS1_16scan_by_key_implILNS1_25lookback_scan_determinismE0ELb0ES3_N6thrust23THRUST_200600_302600_NS6detail15normal_iteratorINS9_10device_ptrIiEEEENSB_INSC_ItEEEESG_tNS9_4plusIvEENS9_8equal_toIvEEtEE10hipError_tPvRmT2_T3_T4_T5_mT6_T7_P12ihipStream_tbENKUlT_T0_E_clISt17integral_constantIbLb1EES10_IbLb0EEEEDaSW_SX_EUlSW_E_NS1_11comp_targetILNS1_3genE0ELNS1_11target_archE4294967295ELNS1_3gpuE0ELNS1_3repE0EEENS1_30default_config_static_selectorELNS0_4arch9wavefront6targetE1EEEvT1_ ; -- Begin function _ZN7rocprim17ROCPRIM_400000_NS6detail17trampoline_kernelINS0_14default_configENS1_27scan_by_key_config_selectorIitEEZZNS1_16scan_by_key_implILNS1_25lookback_scan_determinismE0ELb0ES3_N6thrust23THRUST_200600_302600_NS6detail15normal_iteratorINS9_10device_ptrIiEEEENSB_INSC_ItEEEESG_tNS9_4plusIvEENS9_8equal_toIvEEtEE10hipError_tPvRmT2_T3_T4_T5_mT6_T7_P12ihipStream_tbENKUlT_T0_E_clISt17integral_constantIbLb1EES10_IbLb0EEEEDaSW_SX_EUlSW_E_NS1_11comp_targetILNS1_3genE0ELNS1_11target_archE4294967295ELNS1_3gpuE0ELNS1_3repE0EEENS1_30default_config_static_selectorELNS0_4arch9wavefront6targetE1EEEvT1_
	.globl	_ZN7rocprim17ROCPRIM_400000_NS6detail17trampoline_kernelINS0_14default_configENS1_27scan_by_key_config_selectorIitEEZZNS1_16scan_by_key_implILNS1_25lookback_scan_determinismE0ELb0ES3_N6thrust23THRUST_200600_302600_NS6detail15normal_iteratorINS9_10device_ptrIiEEEENSB_INSC_ItEEEESG_tNS9_4plusIvEENS9_8equal_toIvEEtEE10hipError_tPvRmT2_T3_T4_T5_mT6_T7_P12ihipStream_tbENKUlT_T0_E_clISt17integral_constantIbLb1EES10_IbLb0EEEEDaSW_SX_EUlSW_E_NS1_11comp_targetILNS1_3genE0ELNS1_11target_archE4294967295ELNS1_3gpuE0ELNS1_3repE0EEENS1_30default_config_static_selectorELNS0_4arch9wavefront6targetE1EEEvT1_
	.p2align	8
	.type	_ZN7rocprim17ROCPRIM_400000_NS6detail17trampoline_kernelINS0_14default_configENS1_27scan_by_key_config_selectorIitEEZZNS1_16scan_by_key_implILNS1_25lookback_scan_determinismE0ELb0ES3_N6thrust23THRUST_200600_302600_NS6detail15normal_iteratorINS9_10device_ptrIiEEEENSB_INSC_ItEEEESG_tNS9_4plusIvEENS9_8equal_toIvEEtEE10hipError_tPvRmT2_T3_T4_T5_mT6_T7_P12ihipStream_tbENKUlT_T0_E_clISt17integral_constantIbLb1EES10_IbLb0EEEEDaSW_SX_EUlSW_E_NS1_11comp_targetILNS1_3genE0ELNS1_11target_archE4294967295ELNS1_3gpuE0ELNS1_3repE0EEENS1_30default_config_static_selectorELNS0_4arch9wavefront6targetE1EEEvT1_,@function
_ZN7rocprim17ROCPRIM_400000_NS6detail17trampoline_kernelINS0_14default_configENS1_27scan_by_key_config_selectorIitEEZZNS1_16scan_by_key_implILNS1_25lookback_scan_determinismE0ELb0ES3_N6thrust23THRUST_200600_302600_NS6detail15normal_iteratorINS9_10device_ptrIiEEEENSB_INSC_ItEEEESG_tNS9_4plusIvEENS9_8equal_toIvEEtEE10hipError_tPvRmT2_T3_T4_T5_mT6_T7_P12ihipStream_tbENKUlT_T0_E_clISt17integral_constantIbLb1EES10_IbLb0EEEEDaSW_SX_EUlSW_E_NS1_11comp_targetILNS1_3genE0ELNS1_11target_archE4294967295ELNS1_3gpuE0ELNS1_3repE0EEENS1_30default_config_static_selectorELNS0_4arch9wavefront6targetE1EEEvT1_: ; @_ZN7rocprim17ROCPRIM_400000_NS6detail17trampoline_kernelINS0_14default_configENS1_27scan_by_key_config_selectorIitEEZZNS1_16scan_by_key_implILNS1_25lookback_scan_determinismE0ELb0ES3_N6thrust23THRUST_200600_302600_NS6detail15normal_iteratorINS9_10device_ptrIiEEEENSB_INSC_ItEEEESG_tNS9_4plusIvEENS9_8equal_toIvEEtEE10hipError_tPvRmT2_T3_T4_T5_mT6_T7_P12ihipStream_tbENKUlT_T0_E_clISt17integral_constantIbLb1EES10_IbLb0EEEEDaSW_SX_EUlSW_E_NS1_11comp_targetILNS1_3genE0ELNS1_11target_archE4294967295ELNS1_3gpuE0ELNS1_3repE0EEENS1_30default_config_static_selectorELNS0_4arch9wavefront6targetE1EEEvT1_
; %bb.0:
	.section	.rodata,"a",@progbits
	.p2align	6, 0x0
	.amdhsa_kernel _ZN7rocprim17ROCPRIM_400000_NS6detail17trampoline_kernelINS0_14default_configENS1_27scan_by_key_config_selectorIitEEZZNS1_16scan_by_key_implILNS1_25lookback_scan_determinismE0ELb0ES3_N6thrust23THRUST_200600_302600_NS6detail15normal_iteratorINS9_10device_ptrIiEEEENSB_INSC_ItEEEESG_tNS9_4plusIvEENS9_8equal_toIvEEtEE10hipError_tPvRmT2_T3_T4_T5_mT6_T7_P12ihipStream_tbENKUlT_T0_E_clISt17integral_constantIbLb1EES10_IbLb0EEEEDaSW_SX_EUlSW_E_NS1_11comp_targetILNS1_3genE0ELNS1_11target_archE4294967295ELNS1_3gpuE0ELNS1_3repE0EEENS1_30default_config_static_selectorELNS0_4arch9wavefront6targetE1EEEvT1_
		.amdhsa_group_segment_fixed_size 0
		.amdhsa_private_segment_fixed_size 0
		.amdhsa_kernarg_size 112
		.amdhsa_user_sgpr_count 2
		.amdhsa_user_sgpr_dispatch_ptr 0
		.amdhsa_user_sgpr_queue_ptr 0
		.amdhsa_user_sgpr_kernarg_segment_ptr 1
		.amdhsa_user_sgpr_dispatch_id 0
		.amdhsa_user_sgpr_kernarg_preload_length 0
		.amdhsa_user_sgpr_kernarg_preload_offset 0
		.amdhsa_user_sgpr_private_segment_size 0
		.amdhsa_uses_dynamic_stack 0
		.amdhsa_enable_private_segment 0
		.amdhsa_system_sgpr_workgroup_id_x 1
		.amdhsa_system_sgpr_workgroup_id_y 0
		.amdhsa_system_sgpr_workgroup_id_z 0
		.amdhsa_system_sgpr_workgroup_info 0
		.amdhsa_system_vgpr_workitem_id 0
		.amdhsa_next_free_vgpr 1
		.amdhsa_next_free_sgpr 0
		.amdhsa_accum_offset 4
		.amdhsa_reserve_vcc 0
		.amdhsa_float_round_mode_32 0
		.amdhsa_float_round_mode_16_64 0
		.amdhsa_float_denorm_mode_32 3
		.amdhsa_float_denorm_mode_16_64 3
		.amdhsa_dx10_clamp 1
		.amdhsa_ieee_mode 1
		.amdhsa_fp16_overflow 0
		.amdhsa_tg_split 0
		.amdhsa_exception_fp_ieee_invalid_op 0
		.amdhsa_exception_fp_denorm_src 0
		.amdhsa_exception_fp_ieee_div_zero 0
		.amdhsa_exception_fp_ieee_overflow 0
		.amdhsa_exception_fp_ieee_underflow 0
		.amdhsa_exception_fp_ieee_inexact 0
		.amdhsa_exception_int_div_zero 0
	.end_amdhsa_kernel
	.section	.text._ZN7rocprim17ROCPRIM_400000_NS6detail17trampoline_kernelINS0_14default_configENS1_27scan_by_key_config_selectorIitEEZZNS1_16scan_by_key_implILNS1_25lookback_scan_determinismE0ELb0ES3_N6thrust23THRUST_200600_302600_NS6detail15normal_iteratorINS9_10device_ptrIiEEEENSB_INSC_ItEEEESG_tNS9_4plusIvEENS9_8equal_toIvEEtEE10hipError_tPvRmT2_T3_T4_T5_mT6_T7_P12ihipStream_tbENKUlT_T0_E_clISt17integral_constantIbLb1EES10_IbLb0EEEEDaSW_SX_EUlSW_E_NS1_11comp_targetILNS1_3genE0ELNS1_11target_archE4294967295ELNS1_3gpuE0ELNS1_3repE0EEENS1_30default_config_static_selectorELNS0_4arch9wavefront6targetE1EEEvT1_,"axG",@progbits,_ZN7rocprim17ROCPRIM_400000_NS6detail17trampoline_kernelINS0_14default_configENS1_27scan_by_key_config_selectorIitEEZZNS1_16scan_by_key_implILNS1_25lookback_scan_determinismE0ELb0ES3_N6thrust23THRUST_200600_302600_NS6detail15normal_iteratorINS9_10device_ptrIiEEEENSB_INSC_ItEEEESG_tNS9_4plusIvEENS9_8equal_toIvEEtEE10hipError_tPvRmT2_T3_T4_T5_mT6_T7_P12ihipStream_tbENKUlT_T0_E_clISt17integral_constantIbLb1EES10_IbLb0EEEEDaSW_SX_EUlSW_E_NS1_11comp_targetILNS1_3genE0ELNS1_11target_archE4294967295ELNS1_3gpuE0ELNS1_3repE0EEENS1_30default_config_static_selectorELNS0_4arch9wavefront6targetE1EEEvT1_,comdat
.Lfunc_end1289:
	.size	_ZN7rocprim17ROCPRIM_400000_NS6detail17trampoline_kernelINS0_14default_configENS1_27scan_by_key_config_selectorIitEEZZNS1_16scan_by_key_implILNS1_25lookback_scan_determinismE0ELb0ES3_N6thrust23THRUST_200600_302600_NS6detail15normal_iteratorINS9_10device_ptrIiEEEENSB_INSC_ItEEEESG_tNS9_4plusIvEENS9_8equal_toIvEEtEE10hipError_tPvRmT2_T3_T4_T5_mT6_T7_P12ihipStream_tbENKUlT_T0_E_clISt17integral_constantIbLb1EES10_IbLb0EEEEDaSW_SX_EUlSW_E_NS1_11comp_targetILNS1_3genE0ELNS1_11target_archE4294967295ELNS1_3gpuE0ELNS1_3repE0EEENS1_30default_config_static_selectorELNS0_4arch9wavefront6targetE1EEEvT1_, .Lfunc_end1289-_ZN7rocprim17ROCPRIM_400000_NS6detail17trampoline_kernelINS0_14default_configENS1_27scan_by_key_config_selectorIitEEZZNS1_16scan_by_key_implILNS1_25lookback_scan_determinismE0ELb0ES3_N6thrust23THRUST_200600_302600_NS6detail15normal_iteratorINS9_10device_ptrIiEEEENSB_INSC_ItEEEESG_tNS9_4plusIvEENS9_8equal_toIvEEtEE10hipError_tPvRmT2_T3_T4_T5_mT6_T7_P12ihipStream_tbENKUlT_T0_E_clISt17integral_constantIbLb1EES10_IbLb0EEEEDaSW_SX_EUlSW_E_NS1_11comp_targetILNS1_3genE0ELNS1_11target_archE4294967295ELNS1_3gpuE0ELNS1_3repE0EEENS1_30default_config_static_selectorELNS0_4arch9wavefront6targetE1EEEvT1_
                                        ; -- End function
	.section	.AMDGPU.csdata,"",@progbits
; Kernel info:
; codeLenInByte = 0
; NumSgprs: 6
; NumVgprs: 0
; NumAgprs: 0
; TotalNumVgprs: 0
; ScratchSize: 0
; MemoryBound: 0
; FloatMode: 240
; IeeeMode: 1
; LDSByteSize: 0 bytes/workgroup (compile time only)
; SGPRBlocks: 0
; VGPRBlocks: 0
; NumSGPRsForWavesPerEU: 6
; NumVGPRsForWavesPerEU: 1
; AccumOffset: 4
; Occupancy: 8
; WaveLimiterHint : 0
; COMPUTE_PGM_RSRC2:SCRATCH_EN: 0
; COMPUTE_PGM_RSRC2:USER_SGPR: 2
; COMPUTE_PGM_RSRC2:TRAP_HANDLER: 0
; COMPUTE_PGM_RSRC2:TGID_X_EN: 1
; COMPUTE_PGM_RSRC2:TGID_Y_EN: 0
; COMPUTE_PGM_RSRC2:TGID_Z_EN: 0
; COMPUTE_PGM_RSRC2:TIDIG_COMP_CNT: 0
; COMPUTE_PGM_RSRC3_GFX90A:ACCUM_OFFSET: 0
; COMPUTE_PGM_RSRC3_GFX90A:TG_SPLIT: 0
	.section	.text._ZN7rocprim17ROCPRIM_400000_NS6detail17trampoline_kernelINS0_14default_configENS1_27scan_by_key_config_selectorIitEEZZNS1_16scan_by_key_implILNS1_25lookback_scan_determinismE0ELb0ES3_N6thrust23THRUST_200600_302600_NS6detail15normal_iteratorINS9_10device_ptrIiEEEENSB_INSC_ItEEEESG_tNS9_4plusIvEENS9_8equal_toIvEEtEE10hipError_tPvRmT2_T3_T4_T5_mT6_T7_P12ihipStream_tbENKUlT_T0_E_clISt17integral_constantIbLb1EES10_IbLb0EEEEDaSW_SX_EUlSW_E_NS1_11comp_targetILNS1_3genE10ELNS1_11target_archE1201ELNS1_3gpuE5ELNS1_3repE0EEENS1_30default_config_static_selectorELNS0_4arch9wavefront6targetE1EEEvT1_,"axG",@progbits,_ZN7rocprim17ROCPRIM_400000_NS6detail17trampoline_kernelINS0_14default_configENS1_27scan_by_key_config_selectorIitEEZZNS1_16scan_by_key_implILNS1_25lookback_scan_determinismE0ELb0ES3_N6thrust23THRUST_200600_302600_NS6detail15normal_iteratorINS9_10device_ptrIiEEEENSB_INSC_ItEEEESG_tNS9_4plusIvEENS9_8equal_toIvEEtEE10hipError_tPvRmT2_T3_T4_T5_mT6_T7_P12ihipStream_tbENKUlT_T0_E_clISt17integral_constantIbLb1EES10_IbLb0EEEEDaSW_SX_EUlSW_E_NS1_11comp_targetILNS1_3genE10ELNS1_11target_archE1201ELNS1_3gpuE5ELNS1_3repE0EEENS1_30default_config_static_selectorELNS0_4arch9wavefront6targetE1EEEvT1_,comdat
	.protected	_ZN7rocprim17ROCPRIM_400000_NS6detail17trampoline_kernelINS0_14default_configENS1_27scan_by_key_config_selectorIitEEZZNS1_16scan_by_key_implILNS1_25lookback_scan_determinismE0ELb0ES3_N6thrust23THRUST_200600_302600_NS6detail15normal_iteratorINS9_10device_ptrIiEEEENSB_INSC_ItEEEESG_tNS9_4plusIvEENS9_8equal_toIvEEtEE10hipError_tPvRmT2_T3_T4_T5_mT6_T7_P12ihipStream_tbENKUlT_T0_E_clISt17integral_constantIbLb1EES10_IbLb0EEEEDaSW_SX_EUlSW_E_NS1_11comp_targetILNS1_3genE10ELNS1_11target_archE1201ELNS1_3gpuE5ELNS1_3repE0EEENS1_30default_config_static_selectorELNS0_4arch9wavefront6targetE1EEEvT1_ ; -- Begin function _ZN7rocprim17ROCPRIM_400000_NS6detail17trampoline_kernelINS0_14default_configENS1_27scan_by_key_config_selectorIitEEZZNS1_16scan_by_key_implILNS1_25lookback_scan_determinismE0ELb0ES3_N6thrust23THRUST_200600_302600_NS6detail15normal_iteratorINS9_10device_ptrIiEEEENSB_INSC_ItEEEESG_tNS9_4plusIvEENS9_8equal_toIvEEtEE10hipError_tPvRmT2_T3_T4_T5_mT6_T7_P12ihipStream_tbENKUlT_T0_E_clISt17integral_constantIbLb1EES10_IbLb0EEEEDaSW_SX_EUlSW_E_NS1_11comp_targetILNS1_3genE10ELNS1_11target_archE1201ELNS1_3gpuE5ELNS1_3repE0EEENS1_30default_config_static_selectorELNS0_4arch9wavefront6targetE1EEEvT1_
	.globl	_ZN7rocprim17ROCPRIM_400000_NS6detail17trampoline_kernelINS0_14default_configENS1_27scan_by_key_config_selectorIitEEZZNS1_16scan_by_key_implILNS1_25lookback_scan_determinismE0ELb0ES3_N6thrust23THRUST_200600_302600_NS6detail15normal_iteratorINS9_10device_ptrIiEEEENSB_INSC_ItEEEESG_tNS9_4plusIvEENS9_8equal_toIvEEtEE10hipError_tPvRmT2_T3_T4_T5_mT6_T7_P12ihipStream_tbENKUlT_T0_E_clISt17integral_constantIbLb1EES10_IbLb0EEEEDaSW_SX_EUlSW_E_NS1_11comp_targetILNS1_3genE10ELNS1_11target_archE1201ELNS1_3gpuE5ELNS1_3repE0EEENS1_30default_config_static_selectorELNS0_4arch9wavefront6targetE1EEEvT1_
	.p2align	8
	.type	_ZN7rocprim17ROCPRIM_400000_NS6detail17trampoline_kernelINS0_14default_configENS1_27scan_by_key_config_selectorIitEEZZNS1_16scan_by_key_implILNS1_25lookback_scan_determinismE0ELb0ES3_N6thrust23THRUST_200600_302600_NS6detail15normal_iteratorINS9_10device_ptrIiEEEENSB_INSC_ItEEEESG_tNS9_4plusIvEENS9_8equal_toIvEEtEE10hipError_tPvRmT2_T3_T4_T5_mT6_T7_P12ihipStream_tbENKUlT_T0_E_clISt17integral_constantIbLb1EES10_IbLb0EEEEDaSW_SX_EUlSW_E_NS1_11comp_targetILNS1_3genE10ELNS1_11target_archE1201ELNS1_3gpuE5ELNS1_3repE0EEENS1_30default_config_static_selectorELNS0_4arch9wavefront6targetE1EEEvT1_,@function
_ZN7rocprim17ROCPRIM_400000_NS6detail17trampoline_kernelINS0_14default_configENS1_27scan_by_key_config_selectorIitEEZZNS1_16scan_by_key_implILNS1_25lookback_scan_determinismE0ELb0ES3_N6thrust23THRUST_200600_302600_NS6detail15normal_iteratorINS9_10device_ptrIiEEEENSB_INSC_ItEEEESG_tNS9_4plusIvEENS9_8equal_toIvEEtEE10hipError_tPvRmT2_T3_T4_T5_mT6_T7_P12ihipStream_tbENKUlT_T0_E_clISt17integral_constantIbLb1EES10_IbLb0EEEEDaSW_SX_EUlSW_E_NS1_11comp_targetILNS1_3genE10ELNS1_11target_archE1201ELNS1_3gpuE5ELNS1_3repE0EEENS1_30default_config_static_selectorELNS0_4arch9wavefront6targetE1EEEvT1_: ; @_ZN7rocprim17ROCPRIM_400000_NS6detail17trampoline_kernelINS0_14default_configENS1_27scan_by_key_config_selectorIitEEZZNS1_16scan_by_key_implILNS1_25lookback_scan_determinismE0ELb0ES3_N6thrust23THRUST_200600_302600_NS6detail15normal_iteratorINS9_10device_ptrIiEEEENSB_INSC_ItEEEESG_tNS9_4plusIvEENS9_8equal_toIvEEtEE10hipError_tPvRmT2_T3_T4_T5_mT6_T7_P12ihipStream_tbENKUlT_T0_E_clISt17integral_constantIbLb1EES10_IbLb0EEEEDaSW_SX_EUlSW_E_NS1_11comp_targetILNS1_3genE10ELNS1_11target_archE1201ELNS1_3gpuE5ELNS1_3repE0EEENS1_30default_config_static_selectorELNS0_4arch9wavefront6targetE1EEEvT1_
; %bb.0:
	.section	.rodata,"a",@progbits
	.p2align	6, 0x0
	.amdhsa_kernel _ZN7rocprim17ROCPRIM_400000_NS6detail17trampoline_kernelINS0_14default_configENS1_27scan_by_key_config_selectorIitEEZZNS1_16scan_by_key_implILNS1_25lookback_scan_determinismE0ELb0ES3_N6thrust23THRUST_200600_302600_NS6detail15normal_iteratorINS9_10device_ptrIiEEEENSB_INSC_ItEEEESG_tNS9_4plusIvEENS9_8equal_toIvEEtEE10hipError_tPvRmT2_T3_T4_T5_mT6_T7_P12ihipStream_tbENKUlT_T0_E_clISt17integral_constantIbLb1EES10_IbLb0EEEEDaSW_SX_EUlSW_E_NS1_11comp_targetILNS1_3genE10ELNS1_11target_archE1201ELNS1_3gpuE5ELNS1_3repE0EEENS1_30default_config_static_selectorELNS0_4arch9wavefront6targetE1EEEvT1_
		.amdhsa_group_segment_fixed_size 0
		.amdhsa_private_segment_fixed_size 0
		.amdhsa_kernarg_size 112
		.amdhsa_user_sgpr_count 2
		.amdhsa_user_sgpr_dispatch_ptr 0
		.amdhsa_user_sgpr_queue_ptr 0
		.amdhsa_user_sgpr_kernarg_segment_ptr 1
		.amdhsa_user_sgpr_dispatch_id 0
		.amdhsa_user_sgpr_kernarg_preload_length 0
		.amdhsa_user_sgpr_kernarg_preload_offset 0
		.amdhsa_user_sgpr_private_segment_size 0
		.amdhsa_uses_dynamic_stack 0
		.amdhsa_enable_private_segment 0
		.amdhsa_system_sgpr_workgroup_id_x 1
		.amdhsa_system_sgpr_workgroup_id_y 0
		.amdhsa_system_sgpr_workgroup_id_z 0
		.amdhsa_system_sgpr_workgroup_info 0
		.amdhsa_system_vgpr_workitem_id 0
		.amdhsa_next_free_vgpr 1
		.amdhsa_next_free_sgpr 0
		.amdhsa_accum_offset 4
		.amdhsa_reserve_vcc 0
		.amdhsa_float_round_mode_32 0
		.amdhsa_float_round_mode_16_64 0
		.amdhsa_float_denorm_mode_32 3
		.amdhsa_float_denorm_mode_16_64 3
		.amdhsa_dx10_clamp 1
		.amdhsa_ieee_mode 1
		.amdhsa_fp16_overflow 0
		.amdhsa_tg_split 0
		.amdhsa_exception_fp_ieee_invalid_op 0
		.amdhsa_exception_fp_denorm_src 0
		.amdhsa_exception_fp_ieee_div_zero 0
		.amdhsa_exception_fp_ieee_overflow 0
		.amdhsa_exception_fp_ieee_underflow 0
		.amdhsa_exception_fp_ieee_inexact 0
		.amdhsa_exception_int_div_zero 0
	.end_amdhsa_kernel
	.section	.text._ZN7rocprim17ROCPRIM_400000_NS6detail17trampoline_kernelINS0_14default_configENS1_27scan_by_key_config_selectorIitEEZZNS1_16scan_by_key_implILNS1_25lookback_scan_determinismE0ELb0ES3_N6thrust23THRUST_200600_302600_NS6detail15normal_iteratorINS9_10device_ptrIiEEEENSB_INSC_ItEEEESG_tNS9_4plusIvEENS9_8equal_toIvEEtEE10hipError_tPvRmT2_T3_T4_T5_mT6_T7_P12ihipStream_tbENKUlT_T0_E_clISt17integral_constantIbLb1EES10_IbLb0EEEEDaSW_SX_EUlSW_E_NS1_11comp_targetILNS1_3genE10ELNS1_11target_archE1201ELNS1_3gpuE5ELNS1_3repE0EEENS1_30default_config_static_selectorELNS0_4arch9wavefront6targetE1EEEvT1_,"axG",@progbits,_ZN7rocprim17ROCPRIM_400000_NS6detail17trampoline_kernelINS0_14default_configENS1_27scan_by_key_config_selectorIitEEZZNS1_16scan_by_key_implILNS1_25lookback_scan_determinismE0ELb0ES3_N6thrust23THRUST_200600_302600_NS6detail15normal_iteratorINS9_10device_ptrIiEEEENSB_INSC_ItEEEESG_tNS9_4plusIvEENS9_8equal_toIvEEtEE10hipError_tPvRmT2_T3_T4_T5_mT6_T7_P12ihipStream_tbENKUlT_T0_E_clISt17integral_constantIbLb1EES10_IbLb0EEEEDaSW_SX_EUlSW_E_NS1_11comp_targetILNS1_3genE10ELNS1_11target_archE1201ELNS1_3gpuE5ELNS1_3repE0EEENS1_30default_config_static_selectorELNS0_4arch9wavefront6targetE1EEEvT1_,comdat
.Lfunc_end1290:
	.size	_ZN7rocprim17ROCPRIM_400000_NS6detail17trampoline_kernelINS0_14default_configENS1_27scan_by_key_config_selectorIitEEZZNS1_16scan_by_key_implILNS1_25lookback_scan_determinismE0ELb0ES3_N6thrust23THRUST_200600_302600_NS6detail15normal_iteratorINS9_10device_ptrIiEEEENSB_INSC_ItEEEESG_tNS9_4plusIvEENS9_8equal_toIvEEtEE10hipError_tPvRmT2_T3_T4_T5_mT6_T7_P12ihipStream_tbENKUlT_T0_E_clISt17integral_constantIbLb1EES10_IbLb0EEEEDaSW_SX_EUlSW_E_NS1_11comp_targetILNS1_3genE10ELNS1_11target_archE1201ELNS1_3gpuE5ELNS1_3repE0EEENS1_30default_config_static_selectorELNS0_4arch9wavefront6targetE1EEEvT1_, .Lfunc_end1290-_ZN7rocprim17ROCPRIM_400000_NS6detail17trampoline_kernelINS0_14default_configENS1_27scan_by_key_config_selectorIitEEZZNS1_16scan_by_key_implILNS1_25lookback_scan_determinismE0ELb0ES3_N6thrust23THRUST_200600_302600_NS6detail15normal_iteratorINS9_10device_ptrIiEEEENSB_INSC_ItEEEESG_tNS9_4plusIvEENS9_8equal_toIvEEtEE10hipError_tPvRmT2_T3_T4_T5_mT6_T7_P12ihipStream_tbENKUlT_T0_E_clISt17integral_constantIbLb1EES10_IbLb0EEEEDaSW_SX_EUlSW_E_NS1_11comp_targetILNS1_3genE10ELNS1_11target_archE1201ELNS1_3gpuE5ELNS1_3repE0EEENS1_30default_config_static_selectorELNS0_4arch9wavefront6targetE1EEEvT1_
                                        ; -- End function
	.section	.AMDGPU.csdata,"",@progbits
; Kernel info:
; codeLenInByte = 0
; NumSgprs: 6
; NumVgprs: 0
; NumAgprs: 0
; TotalNumVgprs: 0
; ScratchSize: 0
; MemoryBound: 0
; FloatMode: 240
; IeeeMode: 1
; LDSByteSize: 0 bytes/workgroup (compile time only)
; SGPRBlocks: 0
; VGPRBlocks: 0
; NumSGPRsForWavesPerEU: 6
; NumVGPRsForWavesPerEU: 1
; AccumOffset: 4
; Occupancy: 8
; WaveLimiterHint : 0
; COMPUTE_PGM_RSRC2:SCRATCH_EN: 0
; COMPUTE_PGM_RSRC2:USER_SGPR: 2
; COMPUTE_PGM_RSRC2:TRAP_HANDLER: 0
; COMPUTE_PGM_RSRC2:TGID_X_EN: 1
; COMPUTE_PGM_RSRC2:TGID_Y_EN: 0
; COMPUTE_PGM_RSRC2:TGID_Z_EN: 0
; COMPUTE_PGM_RSRC2:TIDIG_COMP_CNT: 0
; COMPUTE_PGM_RSRC3_GFX90A:ACCUM_OFFSET: 0
; COMPUTE_PGM_RSRC3_GFX90A:TG_SPLIT: 0
	.section	.text._ZN7rocprim17ROCPRIM_400000_NS6detail17trampoline_kernelINS0_14default_configENS1_27scan_by_key_config_selectorIitEEZZNS1_16scan_by_key_implILNS1_25lookback_scan_determinismE0ELb0ES3_N6thrust23THRUST_200600_302600_NS6detail15normal_iteratorINS9_10device_ptrIiEEEENSB_INSC_ItEEEESG_tNS9_4plusIvEENS9_8equal_toIvEEtEE10hipError_tPvRmT2_T3_T4_T5_mT6_T7_P12ihipStream_tbENKUlT_T0_E_clISt17integral_constantIbLb1EES10_IbLb0EEEEDaSW_SX_EUlSW_E_NS1_11comp_targetILNS1_3genE5ELNS1_11target_archE942ELNS1_3gpuE9ELNS1_3repE0EEENS1_30default_config_static_selectorELNS0_4arch9wavefront6targetE1EEEvT1_,"axG",@progbits,_ZN7rocprim17ROCPRIM_400000_NS6detail17trampoline_kernelINS0_14default_configENS1_27scan_by_key_config_selectorIitEEZZNS1_16scan_by_key_implILNS1_25lookback_scan_determinismE0ELb0ES3_N6thrust23THRUST_200600_302600_NS6detail15normal_iteratorINS9_10device_ptrIiEEEENSB_INSC_ItEEEESG_tNS9_4plusIvEENS9_8equal_toIvEEtEE10hipError_tPvRmT2_T3_T4_T5_mT6_T7_P12ihipStream_tbENKUlT_T0_E_clISt17integral_constantIbLb1EES10_IbLb0EEEEDaSW_SX_EUlSW_E_NS1_11comp_targetILNS1_3genE5ELNS1_11target_archE942ELNS1_3gpuE9ELNS1_3repE0EEENS1_30default_config_static_selectorELNS0_4arch9wavefront6targetE1EEEvT1_,comdat
	.protected	_ZN7rocprim17ROCPRIM_400000_NS6detail17trampoline_kernelINS0_14default_configENS1_27scan_by_key_config_selectorIitEEZZNS1_16scan_by_key_implILNS1_25lookback_scan_determinismE0ELb0ES3_N6thrust23THRUST_200600_302600_NS6detail15normal_iteratorINS9_10device_ptrIiEEEENSB_INSC_ItEEEESG_tNS9_4plusIvEENS9_8equal_toIvEEtEE10hipError_tPvRmT2_T3_T4_T5_mT6_T7_P12ihipStream_tbENKUlT_T0_E_clISt17integral_constantIbLb1EES10_IbLb0EEEEDaSW_SX_EUlSW_E_NS1_11comp_targetILNS1_3genE5ELNS1_11target_archE942ELNS1_3gpuE9ELNS1_3repE0EEENS1_30default_config_static_selectorELNS0_4arch9wavefront6targetE1EEEvT1_ ; -- Begin function _ZN7rocprim17ROCPRIM_400000_NS6detail17trampoline_kernelINS0_14default_configENS1_27scan_by_key_config_selectorIitEEZZNS1_16scan_by_key_implILNS1_25lookback_scan_determinismE0ELb0ES3_N6thrust23THRUST_200600_302600_NS6detail15normal_iteratorINS9_10device_ptrIiEEEENSB_INSC_ItEEEESG_tNS9_4plusIvEENS9_8equal_toIvEEtEE10hipError_tPvRmT2_T3_T4_T5_mT6_T7_P12ihipStream_tbENKUlT_T0_E_clISt17integral_constantIbLb1EES10_IbLb0EEEEDaSW_SX_EUlSW_E_NS1_11comp_targetILNS1_3genE5ELNS1_11target_archE942ELNS1_3gpuE9ELNS1_3repE0EEENS1_30default_config_static_selectorELNS0_4arch9wavefront6targetE1EEEvT1_
	.globl	_ZN7rocprim17ROCPRIM_400000_NS6detail17trampoline_kernelINS0_14default_configENS1_27scan_by_key_config_selectorIitEEZZNS1_16scan_by_key_implILNS1_25lookback_scan_determinismE0ELb0ES3_N6thrust23THRUST_200600_302600_NS6detail15normal_iteratorINS9_10device_ptrIiEEEENSB_INSC_ItEEEESG_tNS9_4plusIvEENS9_8equal_toIvEEtEE10hipError_tPvRmT2_T3_T4_T5_mT6_T7_P12ihipStream_tbENKUlT_T0_E_clISt17integral_constantIbLb1EES10_IbLb0EEEEDaSW_SX_EUlSW_E_NS1_11comp_targetILNS1_3genE5ELNS1_11target_archE942ELNS1_3gpuE9ELNS1_3repE0EEENS1_30default_config_static_selectorELNS0_4arch9wavefront6targetE1EEEvT1_
	.p2align	8
	.type	_ZN7rocprim17ROCPRIM_400000_NS6detail17trampoline_kernelINS0_14default_configENS1_27scan_by_key_config_selectorIitEEZZNS1_16scan_by_key_implILNS1_25lookback_scan_determinismE0ELb0ES3_N6thrust23THRUST_200600_302600_NS6detail15normal_iteratorINS9_10device_ptrIiEEEENSB_INSC_ItEEEESG_tNS9_4plusIvEENS9_8equal_toIvEEtEE10hipError_tPvRmT2_T3_T4_T5_mT6_T7_P12ihipStream_tbENKUlT_T0_E_clISt17integral_constantIbLb1EES10_IbLb0EEEEDaSW_SX_EUlSW_E_NS1_11comp_targetILNS1_3genE5ELNS1_11target_archE942ELNS1_3gpuE9ELNS1_3repE0EEENS1_30default_config_static_selectorELNS0_4arch9wavefront6targetE1EEEvT1_,@function
_ZN7rocprim17ROCPRIM_400000_NS6detail17trampoline_kernelINS0_14default_configENS1_27scan_by_key_config_selectorIitEEZZNS1_16scan_by_key_implILNS1_25lookback_scan_determinismE0ELb0ES3_N6thrust23THRUST_200600_302600_NS6detail15normal_iteratorINS9_10device_ptrIiEEEENSB_INSC_ItEEEESG_tNS9_4plusIvEENS9_8equal_toIvEEtEE10hipError_tPvRmT2_T3_T4_T5_mT6_T7_P12ihipStream_tbENKUlT_T0_E_clISt17integral_constantIbLb1EES10_IbLb0EEEEDaSW_SX_EUlSW_E_NS1_11comp_targetILNS1_3genE5ELNS1_11target_archE942ELNS1_3gpuE9ELNS1_3repE0EEENS1_30default_config_static_selectorELNS0_4arch9wavefront6targetE1EEEvT1_: ; @_ZN7rocprim17ROCPRIM_400000_NS6detail17trampoline_kernelINS0_14default_configENS1_27scan_by_key_config_selectorIitEEZZNS1_16scan_by_key_implILNS1_25lookback_scan_determinismE0ELb0ES3_N6thrust23THRUST_200600_302600_NS6detail15normal_iteratorINS9_10device_ptrIiEEEENSB_INSC_ItEEEESG_tNS9_4plusIvEENS9_8equal_toIvEEtEE10hipError_tPvRmT2_T3_T4_T5_mT6_T7_P12ihipStream_tbENKUlT_T0_E_clISt17integral_constantIbLb1EES10_IbLb0EEEEDaSW_SX_EUlSW_E_NS1_11comp_targetILNS1_3genE5ELNS1_11target_archE942ELNS1_3gpuE9ELNS1_3repE0EEENS1_30default_config_static_selectorELNS0_4arch9wavefront6targetE1EEEvT1_
; %bb.0:
	s_load_dwordx8 s[52:59], s[0:1], 0x0
	s_load_dwordx4 s[68:71], s[0:1], 0x28
	s_load_dwordx2 s[74:75], s[0:1], 0x38
	s_load_dword s3, s[0:1], 0x40
	s_load_dwordx8 s[60:67], s[0:1], 0x48
	s_waitcnt lgkmcnt(0)
	s_lshl_b64 s[0:1], s[54:55], 2
	s_add_u32 s8, s52, s0
	s_addc_u32 s9, s53, s1
	s_lshl_b64 s[72:73], s[54:55], 1
	s_add_u32 s10, s56, s72
	s_mul_i32 s0, s75, s3
	s_mul_hi_u32 s1, s74, s3
	s_addc_u32 s11, s57, s73
	s_add_i32 s12, s1, s0
	s_cmp_lg_u64 s[64:65], 0
	s_mul_i32 s0, s2, 0x1800
	s_mov_b32 s1, 0
	s_cselect_b64 s[76:77], -1, 0
	s_lshl_b64 s[4:5], s[0:1], 2
	s_add_u32 s64, s8, s4
	s_addc_u32 s65, s9, s5
	s_lshl_b64 s[56:57], s[0:1], 1
	s_add_u32 s54, s10, s56
	s_mul_i32 s3, s74, s3
	s_addc_u32 s55, s11, s57
	s_add_u32 s78, s3, s2
	s_addc_u32 s79, s12, 0
	s_add_u32 s4, s60, -1
	s_addc_u32 s5, s61, -1
	v_mov_b64_e32 v[2:3], s[4:5]
	v_cmp_ge_u64_e64 s[0:1], s[78:79], v[2:3]
	s_mov_b64 s[6:7], 0
	s_mov_b64 s[28:29], -1
	s_and_b64 vcc, exec, s[0:1]
	s_mul_i32 s33, s4, 0xffffe800
	s_barrier
	s_cbranch_vccz .LBB1291_127
; %bb.1:
	v_mov_b64_e32 v[2:3], s[64:65]
	flat_load_dword v2, v[2:3]
	s_add_i32 s3, s33, s70
	v_cmp_gt_u32_e64 s[52:53], s3, v0
	s_waitcnt vmcnt(0) lgkmcnt(0)
	v_mov_b32_e32 v3, v2
	s_and_saveexec_b64 s[4:5], s[52:53]
	s_cbranch_execz .LBB1291_3
; %bb.2:
	v_lshlrev_b32_e32 v4, 2, v0
	v_mov_b32_e32 v5, 0
	v_lshl_add_u64 v[4:5], s[64:65], 0, v[4:5]
	flat_load_dword v3, v[4:5]
.LBB1291_3:
	s_or_b64 exec, exec, s[4:5]
	v_or_b32_e32 v1, 0x100, v0
	v_cmp_gt_u32_e64 s[4:5], s3, v1
	v_mov_b32_e32 v19, v2
	s_and_saveexec_b64 s[6:7], s[4:5]
	s_cbranch_execz .LBB1291_5
; %bb.4:
	v_lshlrev_b32_e32 v4, 2, v0
	v_mov_b32_e32 v5, 0
	v_lshl_add_u64 v[4:5], s[64:65], 0, v[4:5]
	flat_load_dword v19, v[4:5] offset:1024
.LBB1291_5:
	s_or_b64 exec, exec, s[6:7]
	v_or_b32_e32 v1, 0x200, v0
	v_cmp_gt_u32_e64 s[6:7], s3, v1
	v_mov_b32_e32 v20, v2
	s_and_saveexec_b64 s[8:9], s[6:7]
	s_cbranch_execz .LBB1291_7
; %bb.6:
	v_lshlrev_b32_e32 v4, 2, v0
	v_mov_b32_e32 v5, 0
	v_lshl_add_u64 v[4:5], s[64:65], 0, v[4:5]
	flat_load_dword v20, v[4:5] offset:2048
.LBB1291_7:
	s_or_b64 exec, exec, s[8:9]
	v_or_b32_e32 v1, 0x300, v0
	v_cmp_gt_u32_e64 s[8:9], s3, v1
	v_mov_b32_e32 v21, v2
	s_and_saveexec_b64 s[10:11], s[8:9]
	s_cbranch_execz .LBB1291_9
; %bb.8:
	v_lshlrev_b32_e32 v4, 2, v0
	v_mov_b32_e32 v5, 0
	v_lshl_add_u64 v[4:5], s[64:65], 0, v[4:5]
	flat_load_dword v21, v[4:5] offset:3072
.LBB1291_9:
	s_or_b64 exec, exec, s[10:11]
	v_or_b32_e32 v1, 0x400, v0
	v_cmp_gt_u32_e64 s[10:11], s3, v1
	v_mov_b32_e32 v22, v2
	s_and_saveexec_b64 s[12:13], s[10:11]
	s_cbranch_execz .LBB1291_11
; %bb.10:
	v_lshlrev_b32_e32 v4, 2, v1
	v_mov_b32_e32 v5, 0
	v_lshl_add_u64 v[4:5], s[64:65], 0, v[4:5]
	flat_load_dword v22, v[4:5]
.LBB1291_11:
	s_or_b64 exec, exec, s[12:13]
	v_or_b32_e32 v1, 0x500, v0
	v_cmp_gt_u32_e64 s[12:13], s3, v1
	v_mov_b32_e32 v23, v2
	s_and_saveexec_b64 s[14:15], s[12:13]
	s_cbranch_execz .LBB1291_13
; %bb.12:
	v_lshlrev_b32_e32 v4, 2, v1
	v_mov_b32_e32 v5, 0
	v_lshl_add_u64 v[4:5], s[64:65], 0, v[4:5]
	flat_load_dword v23, v[4:5]
.LBB1291_13:
	;; [unrolled: 12-line block ×19, first 2 shown]
	s_or_b64 exec, exec, s[50:51]
	v_or_b32_e32 v18, 0x1700, v0
	v_cmp_gt_u32_e64 s[50:51], s3, v18
	s_and_saveexec_b64 s[60:61], s[50:51]
	s_cbranch_execz .LBB1291_49
; %bb.48:
	v_lshlrev_b32_e32 v42, 2, v18
	v_mov_b32_e32 v43, 0
	v_lshl_add_u64 v[42:43], s[64:65], 0, v[42:43]
	flat_load_dword v2, v[42:43]
.LBB1291_49:
	s_or_b64 exec, exec, s[60:61]
	v_lshlrev_b32_e32 v41, 2, v0
	s_movk_i32 s60, 0x5c
	s_waitcnt vmcnt(0) lgkmcnt(0)
	ds_write2st64_b32 v41, v3, v19 offset1:4
	ds_write2st64_b32 v41, v20, v21 offset0:8 offset1:12
	ds_write2st64_b32 v41, v22, v23 offset0:16 offset1:20
	;; [unrolled: 1-line block ×11, first 2 shown]
	v_mad_u32_u24 v2, v0, s60, v41
	s_waitcnt lgkmcnt(0)
	s_barrier
	ds_read_b128 v[42:45], v2
	ds_read_b128 v[38:41], v2 offset:16
	ds_read_b128 v[34:37], v2 offset:32
	ds_read_b128 v[30:33], v2 offset:48
	ds_read_b128 v[26:29], v2 offset:64
	ds_read_b128 v[22:25], v2 offset:80
	s_cmp_eq_u64 s[78:79], 0
	s_mov_b64 s[60:61], s[64:65]
	s_cbranch_scc1 .LBB1291_53
; %bb.50:
	s_andn2_b64 vcc, exec, s[76:77]
	s_cbranch_vccnz .LBB1291_319
; %bb.51:
	s_lshl_b64 s[60:61], s[78:79], 2
	s_add_u32 s60, s66, s60
	s_addc_u32 s61, s67, s61
	s_add_u32 s60, s60, -4
	s_addc_u32 s61, s61, -1
	s_cbranch_execnz .LBB1291_53
.LBB1291_52:
	s_add_u32 s60, s64, -4
	s_addc_u32 s61, s65, -1
.LBB1291_53:
	v_mov_b64_e32 v[20:21], s[60:61]
	flat_load_dword v46, v[20:21]
	s_movk_i32 s60, 0xffa4
	v_mad_i32_i24 v19, v0, s60, v2
	v_cmp_ne_u32_e32 vcc, 0, v0
	s_waitcnt lgkmcnt(0)
	ds_write_b32 v19, v25 offset:24576
	s_waitcnt lgkmcnt(0)
	s_barrier
	s_and_saveexec_b64 s[60:61], vcc
	s_cbranch_execz .LBB1291_55
; %bb.54:
	s_waitcnt vmcnt(0)
	ds_read_b32 v46, v19 offset:24572
.LBB1291_55:
	s_or_b64 exec, exec, s[60:61]
	v_mov_b32_e32 v3, 0
	s_waitcnt lgkmcnt(0)
	s_barrier
	s_waitcnt lgkmcnt(0)
                                        ; implicit-def: $vgpr2
	s_and_saveexec_b64 s[60:61], s[52:53]
	s_cbranch_execnz .LBB1291_296
; %bb.56:
	s_or_b64 exec, exec, s[60:61]
                                        ; implicit-def: $vgpr3
	s_and_saveexec_b64 s[52:53], s[4:5]
	s_cbranch_execnz .LBB1291_297
.LBB1291_57:
	s_or_b64 exec, exec, s[52:53]
                                        ; implicit-def: $vgpr20
	s_and_saveexec_b64 s[4:5], s[6:7]
	s_cbranch_execnz .LBB1291_298
.LBB1291_58:
	s_or_b64 exec, exec, s[4:5]
                                        ; implicit-def: $vgpr21
	s_and_saveexec_b64 s[4:5], s[8:9]
	s_cbranch_execnz .LBB1291_299
.LBB1291_59:
	s_or_b64 exec, exec, s[4:5]
                                        ; implicit-def: $vgpr47
	s_and_saveexec_b64 s[4:5], s[10:11]
	s_cbranch_execnz .LBB1291_300
.LBB1291_60:
	s_or_b64 exec, exec, s[4:5]
                                        ; implicit-def: $vgpr48
	s_and_saveexec_b64 s[4:5], s[12:13]
	s_cbranch_execnz .LBB1291_301
.LBB1291_61:
	s_or_b64 exec, exec, s[4:5]
                                        ; implicit-def: $vgpr49
	s_and_saveexec_b64 s[4:5], s[14:15]
	s_cbranch_execnz .LBB1291_302
.LBB1291_62:
	s_or_b64 exec, exec, s[4:5]
                                        ; implicit-def: $vgpr50
	s_and_saveexec_b64 s[4:5], s[16:17]
	s_cbranch_execnz .LBB1291_303
.LBB1291_63:
	s_or_b64 exec, exec, s[4:5]
                                        ; implicit-def: $vgpr51
	s_and_saveexec_b64 s[4:5], s[18:19]
	s_cbranch_execnz .LBB1291_304
.LBB1291_64:
	s_or_b64 exec, exec, s[4:5]
                                        ; implicit-def: $vgpr1
	s_and_saveexec_b64 s[4:5], s[20:21]
	s_cbranch_execnz .LBB1291_305
.LBB1291_65:
	s_or_b64 exec, exec, s[4:5]
                                        ; implicit-def: $vgpr4
	s_and_saveexec_b64 s[4:5], s[22:23]
	s_cbranch_execnz .LBB1291_306
.LBB1291_66:
	s_or_b64 exec, exec, s[4:5]
                                        ; implicit-def: $vgpr5
	s_and_saveexec_b64 s[4:5], s[24:25]
	s_cbranch_execnz .LBB1291_307
.LBB1291_67:
	s_or_b64 exec, exec, s[4:5]
                                        ; implicit-def: $vgpr6
	s_and_saveexec_b64 s[4:5], s[26:27]
	s_cbranch_execnz .LBB1291_308
.LBB1291_68:
	s_or_b64 exec, exec, s[4:5]
                                        ; implicit-def: $vgpr7
	s_and_saveexec_b64 s[4:5], s[28:29]
	s_cbranch_execnz .LBB1291_309
.LBB1291_69:
	s_or_b64 exec, exec, s[4:5]
                                        ; implicit-def: $vgpr8
	s_and_saveexec_b64 s[4:5], s[30:31]
	s_cbranch_execnz .LBB1291_310
.LBB1291_70:
	s_or_b64 exec, exec, s[4:5]
                                        ; implicit-def: $vgpr9
	s_and_saveexec_b64 s[4:5], s[34:35]
	s_cbranch_execnz .LBB1291_311
.LBB1291_71:
	s_or_b64 exec, exec, s[4:5]
                                        ; implicit-def: $vgpr10
	s_and_saveexec_b64 s[4:5], s[36:37]
	s_cbranch_execnz .LBB1291_312
.LBB1291_72:
	s_or_b64 exec, exec, s[4:5]
                                        ; implicit-def: $vgpr11
	s_and_saveexec_b64 s[4:5], s[38:39]
	s_cbranch_execnz .LBB1291_313
.LBB1291_73:
	s_or_b64 exec, exec, s[4:5]
                                        ; implicit-def: $vgpr12
	s_and_saveexec_b64 s[4:5], s[40:41]
	s_cbranch_execnz .LBB1291_314
.LBB1291_74:
	s_or_b64 exec, exec, s[4:5]
                                        ; implicit-def: $vgpr13
	s_and_saveexec_b64 s[4:5], s[42:43]
	s_cbranch_execnz .LBB1291_315
.LBB1291_75:
	s_or_b64 exec, exec, s[4:5]
                                        ; implicit-def: $vgpr14
	s_and_saveexec_b64 s[4:5], s[44:45]
	s_cbranch_execnz .LBB1291_316
.LBB1291_76:
	s_or_b64 exec, exec, s[4:5]
                                        ; implicit-def: $vgpr15
	s_and_saveexec_b64 s[4:5], s[46:47]
	s_cbranch_execnz .LBB1291_317
.LBB1291_77:
	s_or_b64 exec, exec, s[4:5]
                                        ; implicit-def: $vgpr16
	s_and_saveexec_b64 s[4:5], s[48:49]
	s_cbranch_execnz .LBB1291_318
.LBB1291_78:
	s_or_b64 exec, exec, s[4:5]
                                        ; implicit-def: $vgpr17
	s_and_saveexec_b64 s[4:5], s[50:51]
	s_cbranch_execz .LBB1291_80
.LBB1291_79:
	v_lshlrev_b32_e32 v52, 1, v18
	v_mov_b32_e32 v53, 0
	v_lshl_add_u64 v[52:53], s[54:55], 0, v[52:53]
	flat_load_ushort v17, v[52:53]
.LBB1291_80:
	s_or_b64 exec, exec, s[4:5]
	v_lshlrev_b32_e32 v18, 1, v0
	s_mov_b32 s8, 0
	v_sub_u32_e32 v54, v19, v18
	s_mov_b32 s9, s8
	s_mov_b32 s6, s8
	;; [unrolled: 1-line block ×3, first 2 shown]
	v_mul_u32_u24_e32 v53, 24, v0
	s_waitcnt vmcnt(0) lgkmcnt(0)
	ds_write_b16 v54, v2
	ds_write_b16 v54, v3 offset:512
	ds_write_b16 v54, v20 offset:1024
	;; [unrolled: 1-line block ×23, first 2 shown]
	s_mov_b32 s10, s8
	s_mov_b32 s11, s8
	;; [unrolled: 1-line block ×18, first 2 shown]
	v_mov_b64_e32 v[20:21], s[6:7]
	v_mov_b64_e32 v[2:3], s[8:9]
	v_cmp_gt_u32_e32 vcc, s3, v53
	s_mov_b64 s[28:29], 0
	v_mov_b64_e32 v[50:51], s[24:25]
	v_mov_b64_e32 v[18:19], s[4:5]
	v_mov_b64_e32 v[4:5], s[10:11]
	v_mov_b64_e32 v[6:7], s[12:13]
	v_mov_b64_e32 v[8:9], s[14:15]
	v_mov_b64_e32 v[10:11], s[16:17]
	v_mov_b64_e32 v[12:13], s[18:19]
	v_mov_b64_e32 v[14:15], s[20:21]
	v_mov_b64_e32 v[16:17], s[22:23]
	v_mov_b32_e32 v1, 0
	s_mov_b64 s[6:7], 0
	s_waitcnt lgkmcnt(0)
	s_barrier
	s_waitcnt lgkmcnt(0)
                                        ; implicit-def: $sgpr4_sgpr5
                                        ; implicit-def: $vgpr52
	s_and_saveexec_b64 s[10:11], vcc
	s_cbranch_execz .LBB1291_126
; %bb.81:
	v_mad_u32_u24 v1, v0, 46, v54
	ds_read_u16 v1, v1
	v_cmp_ne_u32_e32 vcc, v46, v42
	s_mov_b32 s12, 0
	v_or_b32_e32 v2, 1, v53
	v_cndmask_b32_e64 v3, 0, 1, vcc
	s_mov_b32 s13, s12
	s_mov_b32 s6, s12
	;; [unrolled: 1-line block ×3, first 2 shown]
	v_cmp_gt_u32_e32 vcc, s3, v2
	s_waitcnt lgkmcnt(0)
	v_lshl_or_b32 v1, v3, 16, v1
	s_mov_b32 s14, s12
	s_mov_b32 s15, s12
	;; [unrolled: 1-line block ×18, first 2 shown]
	v_mov_b64_e32 v[20:21], s[6:7]
	v_mov_b64_e32 v[2:3], s[12:13]
	s_mov_b64 s[34:35], 0
	v_mov_b64_e32 v[50:51], s[30:31]
	v_mov_b64_e32 v[18:19], s[4:5]
	;; [unrolled: 1-line block ×9, first 2 shown]
                                        ; implicit-def: $sgpr36_sgpr37
                                        ; implicit-def: $vgpr52
	s_and_saveexec_b64 s[30:31], vcc
	s_cbranch_execz .LBB1291_125
; %bb.82:
	v_mul_u32_u24_e32 v2, 46, v0
	v_add_u32_e32 v54, v54, v2
	ds_read_b128 v[46:49], v54 offset:2
	v_or_b32_e32 v2, 2, v53
	v_cmp_ne_u32_e32 vcc, v42, v43
	v_mov_b64_e32 v[20:21], s[6:7]
	v_mov_b32_e32 v51, 0
	v_cndmask_b32_e64 v3, 0, 1, vcc
	v_cmp_gt_u32_e32 vcc, s3, v2
	s_waitcnt lgkmcnt(0)
	v_and_b32_e32 v2, 0xffff, v46
	v_lshl_or_b32 v50, v3, 16, v2
	v_mov_b64_e32 v[2:3], s[12:13]
	v_mov_b64_e32 v[18:19], s[4:5]
	;; [unrolled: 1-line block ×9, first 2 shown]
                                        ; implicit-def: $sgpr12_sgpr13
                                        ; implicit-def: $vgpr52
	s_and_saveexec_b64 s[6:7], vcc
	s_cbranch_execz .LBB1291_124
; %bb.83:
	v_cmp_ne_u32_e32 vcc, v43, v44
	s_mov_b32 s12, 0
	v_or_b32_e32 v2, 3, v53
	v_cndmask_b32_e64 v3, 0, 1, vcc
	s_mov_b32 s13, s12
	s_mov_b32 s36, s12
	;; [unrolled: 1-line block ×3, first 2 shown]
	v_alignbit_b32 v51, v3, v46, 16
	v_cmp_gt_u32_e32 vcc, s3, v2
	s_mov_b32 s14, s12
	s_mov_b32 s15, s12
	;; [unrolled: 1-line block ×16, first 2 shown]
	v_mov_b64_e32 v[18:19], s[36:37]
	v_mov_b64_e32 v[2:3], s[12:13]
	s_mov_b64 s[4:5], 0
	v_mov_b64_e32 v[20:21], s[38:39]
	v_mov_b64_e32 v[4:5], s[14:15]
	;; [unrolled: 1-line block ×8, first 2 shown]
                                        ; implicit-def: $sgpr36_sgpr37
                                        ; implicit-def: $vgpr52
	s_and_saveexec_b64 s[34:35], vcc
	s_cbranch_execz .LBB1291_123
; %bb.84:
	v_cmp_ne_u32_e32 vcc, v44, v45
	v_and_b32_e32 v2, 0xffff, v47
	v_or_b32_e32 v3, 4, v53
	v_cndmask_b32_e64 v4, 0, 1, vcc
	v_lshl_or_b32 v18, v4, 16, v2
	v_cmp_gt_u32_e32 vcc, s3, v3
	v_mov_b32_e32 v20, 0
	v_mov_b64_e32 v[2:3], s[12:13]
	v_mov_b32_e32 v19, v20
	v_mov_b32_e32 v21, v20
	v_mov_b64_e32 v[4:5], s[14:15]
	v_mov_b64_e32 v[6:7], s[16:17]
	;; [unrolled: 1-line block ×7, first 2 shown]
                                        ; implicit-def: $sgpr12_sgpr13
                                        ; implicit-def: $vgpr52
	s_and_saveexec_b64 s[36:37], vcc
	s_cbranch_execz .LBB1291_122
; %bb.85:
	v_cmp_ne_u32_e32 vcc, v45, v38
	s_mov_b32 s12, 0
	v_or_b32_e32 v2, 5, v53
	v_cndmask_b32_e64 v3, 0, 1, vcc
	s_mov_b32 s13, s12
	v_alignbit_b32 v19, v3, v47, 16
	v_cmp_gt_u32_e32 vcc, s3, v2
	s_mov_b32 s14, s12
	s_mov_b32 s15, s12
	;; [unrolled: 1-line block ×14, first 2 shown]
	v_mov_b64_e32 v[2:3], s[12:13]
	v_mov_b32_e32 v21, v20
	v_mov_b64_e32 v[4:5], s[14:15]
	v_mov_b64_e32 v[6:7], s[16:17]
	;; [unrolled: 1-line block ×7, first 2 shown]
                                        ; implicit-def: $sgpr40_sgpr41
                                        ; implicit-def: $vgpr52
	s_and_saveexec_b64 s[38:39], vcc
	s_cbranch_execz .LBB1291_121
; %bb.86:
	v_cmp_ne_u32_e32 vcc, v38, v39
	v_and_b32_e32 v2, 0xffff, v48
	v_or_b32_e32 v3, 6, v53
	v_cndmask_b32_e64 v4, 0, 1, vcc
	v_lshl_or_b32 v20, v4, 16, v2
	v_cmp_gt_u32_e32 vcc, s3, v3
	v_mov_b64_e32 v[2:3], s[12:13]
	v_mov_b32_e32 v21, s12
	v_mov_b64_e32 v[4:5], s[14:15]
	v_mov_b64_e32 v[6:7], s[16:17]
	;; [unrolled: 1-line block ×7, first 2 shown]
                                        ; implicit-def: $sgpr12_sgpr13
                                        ; implicit-def: $vgpr52
	s_and_saveexec_b64 s[40:41], vcc
	s_cbranch_execz .LBB1291_120
; %bb.87:
	v_cmp_ne_u32_e32 vcc, v39, v40
	s_mov_b32 s12, 0
	v_or_b32_e32 v2, 7, v53
	v_cndmask_b32_e64 v3, 0, 1, vcc
	s_mov_b32 s13, s12
	v_alignbit_b32 v21, v3, v48, 16
	v_cmp_gt_u32_e32 vcc, s3, v2
	s_mov_b32 s14, s12
	s_mov_b32 s15, s12
	;; [unrolled: 1-line block ×14, first 2 shown]
	v_mov_b64_e32 v[2:3], s[12:13]
	v_mov_b64_e32 v[4:5], s[14:15]
	;; [unrolled: 1-line block ×8, first 2 shown]
                                        ; implicit-def: $sgpr14_sgpr15
                                        ; implicit-def: $vgpr52
	s_and_saveexec_b64 s[12:13], vcc
	s_cbranch_execz .LBB1291_119
; %bb.88:
	v_cmp_ne_u32_e32 vcc, v40, v41
	v_and_b32_e32 v2, 0xffff, v49
	v_add_u32_e32 v3, 8, v53
	v_cndmask_b32_e64 v4, 0, 1, vcc
	v_lshl_or_b32 v2, v4, 16, v2
	v_mov_b32_e32 v4, 0
	v_cmp_gt_u32_e32 vcc, s3, v3
	v_mov_b32_e32 v3, v4
	v_mov_b32_e32 v5, v4
	;; [unrolled: 1-line block ×14, first 2 shown]
                                        ; implicit-def: $sgpr16_sgpr17
                                        ; implicit-def: $vgpr52
	s_and_saveexec_b64 s[14:15], vcc
	s_cbranch_execz .LBB1291_118
; %bb.89:
	v_cmp_ne_u32_e32 vcc, v41, v34
	v_add_u32_e32 v5, 9, v53
	v_mov_b32_e32 v6, v4
	v_cndmask_b32_e64 v3, 0, 1, vcc
	v_alignbit_b32 v3, v3, v49, 16
	v_cmp_gt_u32_e32 vcc, s3, v5
	v_mov_b32_e32 v5, v4
	v_mov_b32_e32 v7, v4
	;; [unrolled: 1-line block ×12, first 2 shown]
                                        ; implicit-def: $sgpr18_sgpr19
                                        ; implicit-def: $vgpr52
	s_and_saveexec_b64 s[16:17], vcc
	s_cbranch_execz .LBB1291_117
; %bb.90:
	ds_read_b128 v[38:41], v54 offset:18
	v_add_u32_e32 v4, 10, v53
	v_cmp_ne_u32_e32 vcc, v34, v35
	v_mov_b32_e32 v6, 0
	v_mov_b32_e32 v7, v6
	v_cndmask_b32_e64 v5, 0, 1, vcc
	v_cmp_gt_u32_e32 vcc, s3, v4
	s_waitcnt lgkmcnt(0)
	v_and_b32_e32 v4, 0xffff, v38
	v_lshl_or_b32 v4, v5, 16, v4
	v_mov_b32_e32 v5, v6
	v_mov_b32_e32 v8, v6
	v_mov_b32_e32 v9, v6
	v_mov_b32_e32 v10, v6
	v_mov_b32_e32 v11, v6
	v_mov_b32_e32 v12, v6
	v_mov_b32_e32 v13, v6
	v_mov_b32_e32 v14, v6
	v_mov_b32_e32 v15, v6
	v_mov_b32_e32 v16, v6
	v_mov_b32_e32 v17, v6
                                        ; implicit-def: $sgpr20_sgpr21
                                        ; implicit-def: $vgpr52
	s_and_saveexec_b64 s[18:19], vcc
	s_cbranch_execz .LBB1291_116
; %bb.91:
	v_cmp_ne_u32_e32 vcc, v35, v36
	v_add_u32_e32 v7, 11, v53
	v_mov_b32_e32 v8, v6
	v_cndmask_b32_e64 v5, 0, 1, vcc
	v_alignbit_b32 v5, v5, v38, 16
	v_cmp_gt_u32_e32 vcc, s3, v7
	v_mov_b32_e32 v7, v6
	v_mov_b32_e32 v9, v6
	;; [unrolled: 1-line block ×10, first 2 shown]
                                        ; implicit-def: $sgpr22_sgpr23
                                        ; implicit-def: $vgpr52
	s_and_saveexec_b64 s[20:21], vcc
	s_cbranch_execz .LBB1291_115
; %bb.92:
	v_cmp_ne_u32_e32 vcc, v36, v37
	v_and_b32_e32 v6, 0xffff, v39
	v_add_u32_e32 v7, 12, v53
	v_cndmask_b32_e64 v8, 0, 1, vcc
	v_lshl_or_b32 v6, v8, 16, v6
	v_mov_b32_e32 v8, 0
	v_cmp_gt_u32_e32 vcc, s3, v7
	v_mov_b32_e32 v7, v8
	v_mov_b32_e32 v9, v8
	;; [unrolled: 1-line block ×10, first 2 shown]
                                        ; implicit-def: $sgpr24_sgpr25
                                        ; implicit-def: $vgpr52
	s_and_saveexec_b64 s[22:23], vcc
	s_cbranch_execz .LBB1291_114
; %bb.93:
	v_cmp_ne_u32_e32 vcc, v37, v30
	v_add_u32_e32 v9, 13, v53
	v_mov_b32_e32 v10, v8
	v_cndmask_b32_e64 v7, 0, 1, vcc
	v_alignbit_b32 v7, v7, v39, 16
	v_cmp_gt_u32_e32 vcc, s3, v9
	v_mov_b32_e32 v9, v8
	v_mov_b32_e32 v11, v8
	;; [unrolled: 1-line block ×8, first 2 shown]
                                        ; implicit-def: $sgpr26_sgpr27
                                        ; implicit-def: $vgpr52
	s_and_saveexec_b64 s[24:25], vcc
	s_cbranch_execz .LBB1291_113
; %bb.94:
	v_cmp_ne_u32_e32 vcc, v30, v31
	v_and_b32_e32 v8, 0xffff, v40
	v_add_u32_e32 v9, 14, v53
	v_cndmask_b32_e64 v10, 0, 1, vcc
	v_lshl_or_b32 v8, v10, 16, v8
	v_mov_b32_e32 v10, 0
	v_cmp_gt_u32_e32 vcc, s3, v9
	v_mov_b32_e32 v9, v10
	v_mov_b32_e32 v11, v10
	;; [unrolled: 1-line block ×8, first 2 shown]
                                        ; implicit-def: $sgpr42_sgpr43
                                        ; implicit-def: $vgpr52
	s_and_saveexec_b64 s[26:27], vcc
	s_cbranch_execz .LBB1291_112
; %bb.95:
	v_cmp_ne_u32_e32 vcc, v31, v32
	v_add_u32_e32 v11, 15, v53
	v_mov_b32_e32 v12, v10
	v_cndmask_b32_e64 v9, 0, 1, vcc
	v_alignbit_b32 v9, v9, v40, 16
	v_cmp_gt_u32_e32 vcc, s3, v11
	v_mov_b32_e32 v11, v10
	v_mov_b32_e32 v13, v10
	;; [unrolled: 1-line block ×6, first 2 shown]
                                        ; implicit-def: $sgpr44_sgpr45
                                        ; implicit-def: $vgpr52
	s_and_saveexec_b64 s[42:43], vcc
	s_cbranch_execz .LBB1291_111
; %bb.96:
	v_cmp_ne_u32_e32 vcc, v32, v33
	v_and_b32_e32 v10, 0xffff, v41
	v_add_u32_e32 v11, 16, v53
	v_cndmask_b32_e64 v12, 0, 1, vcc
	v_lshl_or_b32 v10, v12, 16, v10
	v_mov_b32_e32 v12, 0
	v_cmp_gt_u32_e32 vcc, s3, v11
	v_mov_b32_e32 v11, v12
	v_mov_b32_e32 v13, v12
	v_mov_b32_e32 v14, v12
	v_mov_b32_e32 v15, v12
	v_mov_b32_e32 v16, v12
	v_mov_b32_e32 v17, v12
                                        ; implicit-def: $sgpr46_sgpr47
                                        ; implicit-def: $vgpr52
	s_and_saveexec_b64 s[44:45], vcc
	s_cbranch_execz .LBB1291_110
; %bb.97:
	v_cmp_ne_u32_e32 vcc, v33, v26
	v_add_u32_e32 v13, 17, v53
	v_mov_b32_e32 v14, v12
	v_cndmask_b32_e64 v11, 0, 1, vcc
	v_alignbit_b32 v11, v11, v41, 16
	v_cmp_gt_u32_e32 vcc, s3, v13
	v_mov_b32_e32 v13, v12
	v_mov_b32_e32 v15, v12
	v_mov_b32_e32 v16, v12
	v_mov_b32_e32 v17, v12
                                        ; implicit-def: $sgpr48_sgpr49
                                        ; implicit-def: $vgpr52
	s_and_saveexec_b64 s[46:47], vcc
	s_cbranch_execz .LBB1291_109
; %bb.98:
	ds_read_b96 v[30:32], v54 offset:34
	v_add_u32_e32 v12, 18, v53
	v_cmp_ne_u32_e32 vcc, v26, v27
	v_mov_b32_e32 v14, 0
	v_mov_b32_e32 v15, v14
	v_cndmask_b32_e64 v13, 0, 1, vcc
	v_cmp_gt_u32_e32 vcc, s3, v12
	s_waitcnt lgkmcnt(0)
	v_and_b32_e32 v12, 0xffff, v30
	v_lshl_or_b32 v12, v13, 16, v12
	v_mov_b32_e32 v13, v14
	v_mov_b32_e32 v16, v14
	;; [unrolled: 1-line block ×3, first 2 shown]
                                        ; implicit-def: $sgpr50_sgpr51
                                        ; implicit-def: $vgpr52
	s_and_saveexec_b64 s[48:49], vcc
	s_cbranch_execz .LBB1291_108
; %bb.99:
	v_cmp_ne_u32_e32 vcc, v27, v28
	v_add_u32_e32 v15, 19, v53
	v_mov_b32_e32 v16, v14
	v_cndmask_b32_e64 v13, 0, 1, vcc
	v_alignbit_b32 v13, v13, v30, 16
	v_cmp_gt_u32_e32 vcc, s3, v15
	v_mov_b32_e32 v15, v14
	v_mov_b32_e32 v17, v14
                                        ; implicit-def: $sgpr52_sgpr53
                                        ; implicit-def: $vgpr52
	s_and_saveexec_b64 s[50:51], vcc
	s_cbranch_execz .LBB1291_107
; %bb.100:
	v_cmp_ne_u32_e32 vcc, v28, v29
	v_and_b32_e32 v14, 0xffff, v31
	v_add_u32_e32 v15, 20, v53
	v_cndmask_b32_e64 v16, 0, 1, vcc
	v_lshl_or_b32 v14, v16, 16, v14
	v_mov_b32_e32 v16, 0
	v_cmp_gt_u32_e32 vcc, s3, v15
	v_mov_b32_e32 v15, v16
	v_mov_b32_e32 v17, v16
                                        ; implicit-def: $sgpr60_sgpr61
                                        ; implicit-def: $vgpr52
	s_and_saveexec_b64 s[52:53], vcc
	s_cbranch_execz .LBB1291_106
; %bb.101:
	v_cmp_ne_u32_e32 vcc, v29, v22
	v_add_u32_e32 v17, 21, v53
	s_mov_b32 s9, 0
	v_cndmask_b32_e64 v15, 0, 1, vcc
	v_alignbit_b32 v15, v15, v31, 16
	v_cmp_gt_u32_e32 vcc, s3, v17
	v_mov_b32_e32 v17, v16
                                        ; implicit-def: $sgpr80_sgpr81
                                        ; implicit-def: $vgpr52
	s_and_saveexec_b64 s[60:61], vcc
	s_cbranch_execz .LBB1291_105
; %bb.102:
	v_cmp_ne_u32_e32 vcc, v22, v23
	v_and_b32_e32 v16, 0xffff, v32
	v_add_u32_e32 v17, 22, v53
	v_cndmask_b32_e64 v22, 0, 1, vcc
	v_lshl_or_b32 v16, v22, 16, v16
	v_cmp_gt_u32_e32 vcc, s3, v17
	v_mov_b32_e32 v17, s9
                                        ; implicit-def: $sgpr80_sgpr81
                                        ; implicit-def: $vgpr52
	s_and_saveexec_b64 s[82:83], vcc
	s_xor_b64 s[82:83], exec, s[82:83]
	s_cbranch_execz .LBB1291_104
; %bb.103:
	ds_read_u16 v52, v54 offset:46
	v_add_u32_e32 v22, 23, v53
	v_cmp_ne_u32_e64 s[4:5], v23, v24
	v_cmp_ne_u32_e32 vcc, v24, v25
	s_and_b64 s[80:81], vcc, exec
	v_cndmask_b32_e64 v17, 0, 1, s[4:5]
	v_cmp_gt_u32_e64 s[4:5], s3, v22
	v_alignbit_b32 v17, v17, v32, 16
	s_and_b64 s[4:5], s[4:5], exec
.LBB1291_104:
	s_or_b64 exec, exec, s[82:83]
	s_and_b64 s[80:81], s[80:81], exec
	s_and_b64 s[4:5], s[4:5], exec
.LBB1291_105:
	s_or_b64 exec, exec, s[60:61]
	s_and_b64 s[60:61], s[80:81], exec
	s_and_b64 s[4:5], s[4:5], exec
.LBB1291_106:
	s_or_b64 exec, exec, s[52:53]
	s_and_b64 s[52:53], s[60:61], exec
	s_and_b64 s[4:5], s[4:5], exec
.LBB1291_107:
	s_or_b64 exec, exec, s[50:51]
	s_and_b64 s[50:51], s[52:53], exec
	s_and_b64 s[4:5], s[4:5], exec
.LBB1291_108:
	s_or_b64 exec, exec, s[48:49]
	s_and_b64 s[48:49], s[50:51], exec
	s_and_b64 s[4:5], s[4:5], exec
.LBB1291_109:
	s_or_b64 exec, exec, s[46:47]
	s_and_b64 s[46:47], s[48:49], exec
	s_and_b64 s[4:5], s[4:5], exec
.LBB1291_110:
	s_or_b64 exec, exec, s[44:45]
	s_and_b64 s[44:45], s[46:47], exec
	s_and_b64 s[4:5], s[4:5], exec
.LBB1291_111:
	s_or_b64 exec, exec, s[42:43]
	s_and_b64 s[42:43], s[44:45], exec
	s_and_b64 s[4:5], s[4:5], exec
.LBB1291_112:
	s_or_b64 exec, exec, s[26:27]
	s_and_b64 s[26:27], s[42:43], exec
	s_and_b64 s[4:5], s[4:5], exec
.LBB1291_113:
	s_or_b64 exec, exec, s[24:25]
	s_and_b64 s[24:25], s[26:27], exec
	s_and_b64 s[4:5], s[4:5], exec
.LBB1291_114:
	s_or_b64 exec, exec, s[22:23]
	s_and_b64 s[22:23], s[24:25], exec
	s_and_b64 s[4:5], s[4:5], exec
.LBB1291_115:
	s_or_b64 exec, exec, s[20:21]
	s_and_b64 s[20:21], s[22:23], exec
	s_and_b64 s[4:5], s[4:5], exec
.LBB1291_116:
	s_or_b64 exec, exec, s[18:19]
	s_and_b64 s[18:19], s[20:21], exec
	s_and_b64 s[4:5], s[4:5], exec
.LBB1291_117:
	s_or_b64 exec, exec, s[16:17]
	s_and_b64 s[16:17], s[18:19], exec
	s_and_b64 s[4:5], s[4:5], exec
.LBB1291_118:
	s_or_b64 exec, exec, s[14:15]
	s_and_b64 s[14:15], s[16:17], exec
	s_and_b64 s[4:5], s[4:5], exec
.LBB1291_119:
	s_or_b64 exec, exec, s[12:13]
	s_and_b64 s[12:13], s[14:15], exec
	s_and_b64 s[4:5], s[4:5], exec
.LBB1291_120:
	s_or_b64 exec, exec, s[40:41]
	s_and_b64 s[40:41], s[12:13], exec
	s_and_b64 s[4:5], s[4:5], exec
.LBB1291_121:
	s_or_b64 exec, exec, s[38:39]
	s_and_b64 s[12:13], s[40:41], exec
	s_and_b64 s[4:5], s[4:5], exec
.LBB1291_122:
	s_or_b64 exec, exec, s[36:37]
	s_and_b64 s[36:37], s[12:13], exec
	s_and_b64 s[4:5], s[4:5], exec
.LBB1291_123:
	s_or_b64 exec, exec, s[34:35]
	s_and_b64 s[12:13], s[36:37], exec
	s_and_b64 s[34:35], s[4:5], exec
.LBB1291_124:
	s_or_b64 exec, exec, s[6:7]
	s_and_b64 s[36:37], s[12:13], exec
	s_and_b64 s[34:35], s[34:35], exec
.LBB1291_125:
	s_or_b64 exec, exec, s[30:31]
	s_and_b64 s[4:5], s[36:37], exec
	s_and_b64 s[6:7], s[34:35], exec
.LBB1291_126:
	s_or_b64 exec, exec, s[10:11]
	s_and_b64 vcc, exec, s[28:29]
	s_cbranch_vccnz .LBB1291_128
	s_branch .LBB1291_136
.LBB1291_127:
                                        ; implicit-def: $sgpr4_sgpr5
                                        ; implicit-def: $vgpr50_vgpr51
                                        ; implicit-def: $vgpr18_vgpr19_vgpr20_vgpr21
                                        ; implicit-def: $vgpr2_vgpr3_vgpr4_vgpr5_vgpr6_vgpr7_vgpr8_vgpr9_vgpr10_vgpr11_vgpr12_vgpr13_vgpr14_vgpr15_vgpr16_vgpr17
                                        ; implicit-def: $vgpr52
                                        ; implicit-def: $vgpr1
                                        ; implicit-def: $sgpr8
	s_and_b64 vcc, exec, s[28:29]
	s_cbranch_vccz .LBB1291_136
.LBB1291_128:
	v_mov_b32_e32 v3, 0
	v_lshlrev_b32_e32 v2, 2, v0
	v_lshl_add_u64 v[4:5], s[64:65], 0, v[2:3]
	v_add_co_u32_e32 v6, vcc, 0x1000, v4
	s_movk_i32 s3, 0x5c
	s_nop 0
	v_addc_co_u32_e32 v7, vcc, 0, v5, vcc
	flat_load_dword v3, v[4:5]
	flat_load_dword v10, v[4:5] offset:1024
	flat_load_dword v11, v[4:5] offset:2048
	;; [unrolled: 1-line block ×3, first 2 shown]
	flat_load_dword v13, v[6:7]
	flat_load_dword v14, v[6:7] offset:1024
	flat_load_dword v15, v[6:7] offset:2048
	flat_load_dword v16, v[6:7] offset:3072
	v_add_co_u32_e32 v6, vcc, 0x2000, v4
	v_mad_u32_u24 v1, v0, s3, v2
	s_nop 0
	v_addc_co_u32_e32 v7, vcc, 0, v5, vcc
	v_add_co_u32_e32 v8, vcc, 0x3000, v4
	s_cmp_eq_u64 s[78:79], 0
	s_nop 0
	v_addc_co_u32_e32 v9, vcc, 0, v5, vcc
	flat_load_dword v17, v[6:7]
	flat_load_dword v18, v[6:7] offset:1024
	flat_load_dword v19, v[6:7] offset:2048
	;; [unrolled: 1-line block ×3, first 2 shown]
	flat_load_dword v21, v[8:9]
	flat_load_dword v22, v[8:9] offset:1024
	flat_load_dword v23, v[8:9] offset:2048
	;; [unrolled: 1-line block ×3, first 2 shown]
	v_add_co_u32_e32 v6, vcc, 0x4000, v4
	s_nop 1
	v_addc_co_u32_e32 v7, vcc, 0, v5, vcc
	v_add_co_u32_e32 v4, vcc, 0x5000, v4
	s_nop 1
	v_addc_co_u32_e32 v5, vcc, 0, v5, vcc
	flat_load_dword v8, v[6:7]
	flat_load_dword v9, v[6:7] offset:1024
	flat_load_dword v25, v[6:7] offset:2048
	;; [unrolled: 1-line block ×3, first 2 shown]
	flat_load_dword v27, v[4:5]
	flat_load_dword v28, v[4:5] offset:1024
	flat_load_dword v29, v[4:5] offset:2048
	;; [unrolled: 1-line block ×3, first 2 shown]
	s_waitcnt vmcnt(0) lgkmcnt(0)
	ds_write2st64_b32 v2, v3, v10 offset1:4
	ds_write2st64_b32 v2, v11, v12 offset0:8 offset1:12
	ds_write2st64_b32 v2, v13, v14 offset0:16 offset1:20
	;; [unrolled: 1-line block ×11, first 2 shown]
	s_waitcnt lgkmcnt(0)
	s_barrier
	ds_read2_b64 v[2:5], v1 offset1:11
	ds_read2_b64 v[34:37], v1 offset0:9 offset1:10
	ds_read2_b64 v[30:33], v1 offset0:7 offset1:8
	ds_read2_b64 v[26:29], v1 offset0:5 offset1:6
	ds_read2_b64 v[6:9], v1 offset0:1 offset1:2
	ds_read2_b64 v[22:25], v1 offset0:3 offset1:4
	s_cbranch_scc1 .LBB1291_133
; %bb.129:
	s_andn2_b64 vcc, exec, s[76:77]
	s_cbranch_vccnz .LBB1291_320
; %bb.130:
	s_lshl_b64 s[4:5], s[78:79], 2
	s_add_u32 s3, s66, s4
	s_addc_u32 s5, s67, s5
	s_add_u32 s4, s3, -4
	s_addc_u32 s5, s5, -1
	s_cbranch_execnz .LBB1291_132
.LBB1291_131:
	s_add_u32 s4, s64, -4
	s_addc_u32 s5, s65, -1
.LBB1291_132:
	s_mov_b64 s[64:65], s[4:5]
.LBB1291_133:
	v_mov_b64_e32 v[10:11], s[64:65]
	flat_load_dword v10, v[10:11]
	s_movk_i32 s3, 0xffa4
	v_mad_i32_i24 v1, v0, s3, v1
	v_cmp_ne_u32_e32 vcc, 0, v0
	s_waitcnt lgkmcnt(0)
	ds_write_b32 v1, v5 offset:24576
	s_waitcnt lgkmcnt(0)
	s_barrier
	s_and_saveexec_b64 s[4:5], vcc
	s_cbranch_execz .LBB1291_135
; %bb.134:
	s_waitcnt vmcnt(0)
	ds_read_b32 v10, v1 offset:24572
.LBB1291_135:
	s_or_b64 exec, exec, s[4:5]
	v_lshlrev_b32_e32 v12, 1, v0
	v_mov_b32_e32 v13, 0
	v_lshl_add_u64 v[14:15], s[54:55], 0, v[12:13]
	s_movk_i32 s3, 0x1000
	v_add_co_u32_e32 v16, vcc, s3, v14
	s_movk_i32 s3, 0x2000
	s_nop 0
	v_addc_co_u32_e32 v17, vcc, 0, v15, vcc
	s_waitcnt lgkmcnt(0)
	s_barrier
	flat_load_ushort v11, v[14:15]
	flat_load_ushort v13, v[14:15] offset:512
	flat_load_ushort v18, v[14:15] offset:1024
	;; [unrolled: 1-line block ×7, first 2 shown]
	v_add_co_u32_e32 v14, vcc, s3, v14
	flat_load_ushort v40, v[16:17]
	flat_load_ushort v41, v[16:17] offset:512
	flat_load_ushort v42, v[16:17] offset:1024
	;; [unrolled: 1-line block ×7, first 2 shown]
	v_addc_co_u32_e32 v15, vcc, 0, v15, vcc
	flat_load_ushort v16, v[14:15]
	flat_load_ushort v17, v[14:15] offset:512
	flat_load_ushort v48, v[14:15] offset:1024
	;; [unrolled: 1-line block ×7, first 2 shown]
	s_waitcnt vmcnt(0)
	v_cmp_ne_u32_e32 vcc, v10, v2
	v_sub_u32_e32 v1, v1, v12
	v_cmp_ne_u32_e64 s[4:5], v4, v5
	v_cndmask_b32_e64 v5, 0, 1, vcc
	v_cmp_ne_u32_e32 vcc, v3, v6
	v_mad_u32_u24 v55, v0, 46, v1
	s_mov_b64 s[6:7], -1
	v_cndmask_b32_e64 v54, 0, 1, vcc
	v_cmp_ne_u32_e32 vcc, v2, v3
                                        ; implicit-def: $sgpr8
	s_waitcnt lgkmcnt(0)
	ds_write_b16 v1, v11
	ds_write_b16 v1, v13 offset:512
	ds_write_b16 v1, v18 offset:1024
	;; [unrolled: 1-line block ×23, first 2 shown]
	s_waitcnt lgkmcnt(0)
	s_barrier
	ds_read_u16 v1, v55
	ds_read_b96 v[14:16], v55 offset:2
	ds_read_b128 v[38:41], v55 offset:14
	ds_read_b128 v[10:13], v55 offset:30
	ds_read_u16 v52, v55 offset:46
	v_cndmask_b32_e64 v2, 0, 1, vcc
	v_cmp_ne_u32_e32 vcc, v9, v22
	s_waitcnt lgkmcnt(4)
	v_lshl_or_b32 v1, v5, 16, v1
	s_waitcnt lgkmcnt(3)
	v_and_b32_e32 v5, 0xffff, v14
	v_cndmask_b32_e64 v3, 0, 1, vcc
	v_cmp_ne_u32_e32 vcc, v7, v8
	v_lshl_or_b32 v50, v2, 16, v5
	v_and_b32_e32 v17, 0xffff, v16
	v_cndmask_b32_e64 v2, 0, 1, vcc
	v_cmp_ne_u32_e32 vcc, v8, v9
	v_alignbit_b32 v19, v2, v15, 16
	v_alignbit_b32 v21, v3, v16, 16
	v_cndmask_b32_e64 v2, 0, 1, vcc
	v_cmp_ne_u32_e32 vcc, v6, v7
	v_lshl_or_b32 v20, v2, 16, v17
	v_alignbit_b32 v51, v54, v14, 16
	v_cndmask_b32_e64 v2, 0, 1, vcc
	v_cmp_ne_u32_e32 vcc, v37, v4
	v_and_b32_e32 v14, 0xffff, v15
	s_waitcnt lgkmcnt(1)
	v_and_b32_e32 v16, 0xffff, v13
	v_cndmask_b32_e64 v3, 0, 1, vcc
	v_cmp_ne_u32_e32 vcc, v35, v36
	v_alignbit_b32 v17, v3, v13, 16
	v_and_b32_e32 v44, 0xffff, v11
	v_cndmask_b32_e64 v3, 0, 1, vcc
	v_cmp_ne_u32_e32 vcc, v33, v34
	v_alignbit_b32 v15, v3, v12, 16
	v_lshl_or_b32 v18, v2, 16, v14
	v_cndmask_b32_e64 v3, 0, 1, vcc
	v_cmp_ne_u32_e32 vcc, v31, v32
	v_alignbit_b32 v13, v3, v11, 16
	v_and_b32_e32 v14, 0xffff, v12
	v_cndmask_b32_e64 v3, 0, 1, vcc
	v_cmp_ne_u32_e32 vcc, v29, v30
	v_alignbit_b32 v11, v3, v10, 16
	v_and_b32_e32 v43, 0xffff, v10
	;; [unrolled: 4-line block ×5, first 2 shown]
	v_cndmask_b32_e64 v3, 0, 1, vcc
	v_cmp_ne_u32_e32 vcc, v36, v37
	v_and_b32_e32 v42, 0xffff, v39
	v_alignbit_b32 v3, v3, v38, 16
	v_cndmask_b32_e64 v4, 0, 1, vcc
	v_cmp_ne_u32_e32 vcc, v34, v35
	v_lshl_or_b32 v16, v4, 16, v16
	s_nop 0
	v_cndmask_b32_e64 v4, 0, 1, vcc
	v_cmp_ne_u32_e32 vcc, v32, v33
	v_lshl_or_b32 v14, v4, 16, v14
	s_nop 0
	;; [unrolled: 4-line block ×7, first 2 shown]
	v_cndmask_b32_e64 v22, 0, 1, vcc
	v_lshl_or_b32 v2, v22, 16, v2
.LBB1291_136:
	v_mov_b32_e32 v32, s8
	s_and_saveexec_b64 s[8:9], s[6:7]
	s_cbranch_execz .LBB1291_138
; %bb.137:
	v_mov_b32_e32 v22, 0x10000
	v_cndmask_b32_e64 v22, 0, v22, s[4:5]
	s_waitcnt lgkmcnt(0)
	v_or_b32_sdwa v32, v22, v52 dst_sel:DWORD dst_unused:UNUSED_PAD src0_sel:DWORD src1_sel:WORD_0
.LBB1291_138:
	s_or_b64 exec, exec, s[8:9]
	s_cmp_lg_u32 s2, 0
	v_mbcnt_lo_u32_b32 v33, -1, 0
	s_waitcnt lgkmcnt(0)
	s_barrier
	s_cbranch_scc0 .LBB1291_209
; %bb.139:
	s_mov_b32 s3, 0x10000
	v_cmp_gt_u32_e64 s[52:53], s3, v50
	v_cmp_gt_u32_e64 s[4:5], s3, v51
	v_cmp_gt_u32_e64 s[6:7], s3, v18
	v_cndmask_b32_e64 v22, 0, v1, s[52:53]
	v_add_u16_e32 v22, v22, v50
	v_cndmask_b32_e64 v22, 0, v22, s[4:5]
	v_add_u16_e32 v22, v22, v51
	v_cndmask_b32_e64 v22, 0, v22, s[6:7]
	v_add_u16_e32 v22, v22, v18
	v_cmp_gt_u32_e64 s[8:9], s3, v19
	v_cmp_gt_u32_e64 s[10:11], s3, v20
	v_cmp_gt_u32_e64 s[12:13], s3, v21
	v_cndmask_b32_e64 v22, 0, v22, s[8:9]
	v_add_u16_e32 v22, v22, v19
	v_cndmask_b32_e64 v22, 0, v22, s[10:11]
	v_add_u16_e32 v22, v22, v20
	v_cndmask_b32_e64 v22, 0, v22, s[12:13]
	v_add_u16_e32 v22, v22, v21
	;; [unrolled: 9-line block ×5, first 2 shown]
	v_cmp_gt_u32_e64 s[34:35], s3, v11
	v_cmp_gt_u32_e64 s[36:37], s3, v12
	v_or3_b32 v23, v32, v17, v16
	v_cndmask_b32_e64 v22, 0, v22, s[34:35]
	v_add_u16_e32 v22, v22, v11
	v_cndmask_b32_e64 v22, 0, v22, s[36:37]
	v_add_u16_e32 v22, v22, v12
	v_cmp_gt_u32_e64 s[38:39], s3, v13
	v_or3_b32 v23, v23, v15, v14
	v_or3_b32 v23, v23, v13, v12
	v_cndmask_b32_e64 v22, 0, v22, s[38:39]
	v_add_u16_e32 v22, v22, v13
	v_cmp_gt_u32_e64 s[40:41], s3, v14
	v_or3_b32 v23, v23, v11, v10
	v_or3_b32 v23, v23, v9, v8
	;; [unrolled: 5-line block ×5, first 2 shown]
	v_cndmask_b32_e64 v22, 0, v22, s[46:47]
	v_add_u16_e32 v22, v22, v17
	v_cmp_gt_u32_e64 s[48:49], s3, v32
	v_and_b32_e32 v23, 0x10000, v23
	v_lshrrev_b32_e32 v34, 16, v1
	v_cndmask_b32_e64 v24, 0, v22, s[48:49]
	v_cmp_eq_u32_e32 vcc, 0, v23
	v_add_u16_e32 v22, v24, v32
	v_mbcnt_hi_u32_b32 v25, -1, v33
	v_cndmask_b32_e32 v23, 1, v34, vcc
	v_add_u16_e32 v24, v24, v32
	v_and_b32_e32 v27, 15, v25
	v_lshl_or_b32 v24, v23, 16, v24
	v_cmp_ne_u32_e32 vcc, 0, v27
	s_nop 0
	v_mov_b32_dpp v26, v24 row_shr:1 row_mask:0xf bank_mask:0xf
	s_and_saveexec_b64 s[50:51], vcc
	s_cbranch_execz .LBB1291_141
; %bb.140:
	v_cmp_eq_u32_e32 vcc, 0, v23
	v_and_b32_e32 v23, 1, v23
	v_mov_b32_e32 v29, 1
	v_cndmask_b32_e32 v24, 0, v26, vcc
	v_and_b32_sdwa v26, v26, v29 dst_sel:DWORD dst_unused:UNUSED_PAD src0_sel:WORD_1 src1_sel:DWORD
	v_cmp_eq_u32_e32 vcc, 1, v23
	v_add_u16_e32 v28, v24, v22
	v_add_u16_e32 v22, v24, v22
	v_cndmask_b32_e64 v23, v26, 1, vcc
	v_lshlrev_b32_e32 v26, 16, v23
	v_or_b32_e32 v24, v26, v22
	v_mov_b32_e32 v22, v28
.LBB1291_141:
	s_or_b64 exec, exec, s[50:51]
	v_lshrrev_b32_e32 v26, 16, v24
	v_mov_b32_dpp v28, v24 row_shr:2 row_mask:0xf bank_mask:0xf
	v_cmp_lt_u32_e32 vcc, 1, v27
	s_and_saveexec_b64 s[50:51], vcc
	s_cbranch_execz .LBB1291_143
; %bb.142:
	v_cmp_gt_u32_e32 vcc, s3, v24
	v_and_b32_e32 v23, 0x10000, v24
	v_mov_b32_e32 v24, 1
	v_cndmask_b32_e32 v26, 0, v28, vcc
	v_and_b32_sdwa v24, v28, v24 dst_sel:DWORD dst_unused:UNUSED_PAD src0_sel:WORD_1 src1_sel:DWORD
	v_cmp_ne_u32_e32 vcc, 0, v23
	v_add_u16_e32 v29, v26, v22
	v_add_u16_e32 v22, v26, v22
	v_cndmask_b32_e64 v23, v24, 1, vcc
	v_lshlrev_b32_e32 v24, 16, v23
	v_or_b32_e32 v24, v24, v22
	v_mov_b32_e32 v26, v23
	v_mov_b32_e32 v22, v29
.LBB1291_143:
	s_or_b64 exec, exec, s[50:51]
	v_mov_b32_dpp v28, v24 row_shr:4 row_mask:0xf bank_mask:0xf
	v_cmp_lt_u32_e32 vcc, 3, v27
	s_and_saveexec_b64 s[50:51], vcc
	s_cbranch_execz .LBB1291_145
; %bb.144:
	v_mov_b32_e32 v23, 0
	v_cmp_eq_u16_sdwa vcc, v26, v23 src0_sel:BYTE_0 src1_sel:DWORD
	v_and_b32_e32 v23, 1, v26
	v_mov_b32_e32 v26, 1
	v_cndmask_b32_e32 v24, 0, v28, vcc
	v_and_b32_sdwa v26, v28, v26 dst_sel:DWORD dst_unused:UNUSED_PAD src0_sel:WORD_1 src1_sel:DWORD
	v_cmp_eq_u32_e32 vcc, 1, v23
	v_add_u16_e32 v29, v24, v22
	v_add_u16_e32 v22, v24, v22
	v_cndmask_b32_e64 v23, v26, 1, vcc
	v_lshlrev_b32_e32 v26, 16, v23
	v_or_b32_e32 v24, v26, v22
	v_mov_b32_e32 v26, v23
	v_mov_b32_e32 v22, v29
.LBB1291_145:
	s_or_b64 exec, exec, s[50:51]
	v_mov_b32_dpp v28, v24 row_shr:8 row_mask:0xf bank_mask:0xf
	v_cmp_lt_u32_e32 vcc, 7, v27
	s_and_saveexec_b64 s[50:51], vcc
	s_cbranch_execz .LBB1291_147
; %bb.146:
	v_mov_b32_e32 v23, 0
	v_cmp_eq_u16_sdwa vcc, v26, v23 src0_sel:BYTE_0 src1_sel:DWORD
	v_and_b32_e32 v23, 1, v26
	v_mov_b32_e32 v26, 1
	v_cndmask_b32_e32 v24, 0, v28, vcc
	v_and_b32_sdwa v26, v28, v26 dst_sel:DWORD dst_unused:UNUSED_PAD src0_sel:WORD_1 src1_sel:DWORD
	v_cmp_eq_u32_e32 vcc, 1, v23
	v_add_u16_e32 v27, v24, v22
	v_add_u16_e32 v22, v24, v22
	v_cndmask_b32_e64 v23, v26, 1, vcc
	v_lshlrev_b32_e32 v26, 16, v23
	v_or_b32_e32 v24, v26, v22
	v_mov_b32_e32 v26, v23
	v_mov_b32_e32 v22, v27
.LBB1291_147:
	s_or_b64 exec, exec, s[50:51]
	v_and_b32_e32 v28, 16, v25
	v_mov_b32_dpp v27, v24 row_bcast:15 row_mask:0xf bank_mask:0xf
	v_cmp_ne_u32_e32 vcc, 0, v28
	s_and_saveexec_b64 s[50:51], vcc
	s_cbranch_execz .LBB1291_149
; %bb.148:
	v_mov_b32_e32 v23, 0
	v_cmp_eq_u16_sdwa vcc, v26, v23 src0_sel:BYTE_0 src1_sel:DWORD
	v_and_b32_e32 v23, 1, v26
	v_mov_b32_e32 v26, 1
	v_cndmask_b32_e32 v24, 0, v27, vcc
	v_and_b32_sdwa v26, v27, v26 dst_sel:DWORD dst_unused:UNUSED_PAD src0_sel:WORD_1 src1_sel:DWORD
	v_cmp_eq_u32_e32 vcc, 1, v23
	v_add_u16_e32 v28, v24, v22
	v_add_u16_e32 v22, v24, v22
	v_cndmask_b32_e64 v23, v26, 1, vcc
	v_lshlrev_b32_e32 v26, 16, v23
	v_or_b32_e32 v24, v26, v22
	v_mov_b32_e32 v22, v28
	v_mov_b32_e32 v26, v23
.LBB1291_149:
	s_or_b64 exec, exec, s[50:51]
	v_mov_b32_dpp v24, v24 row_bcast:31 row_mask:0xf bank_mask:0xf
	v_cmp_lt_u32_e32 vcc, 31, v25
	s_and_saveexec_b64 s[50:51], vcc
; %bb.150:
	v_mov_b32_e32 v23, 0
	v_cmp_eq_u16_sdwa vcc, v26, v23 src0_sel:BYTE_0 src1_sel:DWORD
	s_nop 1
	v_cndmask_b32_e32 v23, 0, v24, vcc
	v_add_u16_e32 v22, v23, v22
	v_and_b32_e32 v23, 1, v26
	v_mov_b32_e32 v26, 1
	v_and_b32_sdwa v24, v24, v26 dst_sel:DWORD dst_unused:UNUSED_PAD src0_sel:WORD_1 src1_sel:DWORD
	v_cmp_eq_u32_e32 vcc, 1, v23
	s_nop 1
	v_cndmask_b32_e64 v23, v24, 1, vcc
; %bb.151:
	s_or_b64 exec, exec, s[50:51]
	v_or_b32_e32 v26, 63, v0
	v_lshrrev_b32_e32 v24, 6, v0
	v_cmp_eq_u32_e32 vcc, v26, v0
	s_and_saveexec_b64 s[50:51], vcc
	s_cbranch_execz .LBB1291_153
; %bb.152:
	v_lshlrev_b32_e32 v26, 2, v24
	ds_write_b16 v26, v22
	ds_write_b8 v26, v23 offset:2
.LBB1291_153:
	s_or_b64 exec, exec, s[50:51]
	v_cmp_gt_u32_e32 vcc, 4, v0
	s_waitcnt lgkmcnt(0)
	s_barrier
	s_and_saveexec_b64 s[50:51], vcc
	s_cbranch_execz .LBB1291_159
; %bb.154:
	v_lshlrev_b32_e32 v26, 2, v0
	ds_read_b32 v27, v26
	v_and_b32_e32 v30, 3, v25
	v_cmp_ne_u32_e32 vcc, 0, v30
	s_waitcnt lgkmcnt(0)
	v_lshrrev_b32_e32 v29, 16, v27
	v_mov_b32_dpp v31, v27 row_shr:1 row_mask:0xf bank_mask:0xf
	v_mov_b32_e32 v28, v27
	s_and_saveexec_b64 s[54:55], vcc
	s_cbranch_execz .LBB1291_156
; %bb.155:
	v_mov_b32_e32 v28, 0
	v_cmp_eq_u16_sdwa vcc, v29, v28 src0_sel:BYTE_0 src1_sel:DWORD
	v_and_b32_e32 v29, 0x10000, v27
	v_mov_b32_e32 v37, 1
	v_cndmask_b32_e32 v36, 0, v31, vcc
	v_and_b32_sdwa v31, v31, v37 dst_sel:DWORD dst_unused:UNUSED_PAD src0_sel:WORD_1 src1_sel:DWORD
	v_cmp_ne_u32_e32 vcc, 0, v29
	v_and_b32_e32 v35, 0xff000000, v27
	v_add_u16_e32 v28, v36, v27
	v_cndmask_b32_e64 v29, v31, 1, vcc
	v_lshlrev_b32_e32 v31, 16, v29
	v_add_u16_e32 v27, v36, v27
	v_or3_b32 v27, v31, v35, v27
.LBB1291_156:
	s_or_b64 exec, exec, s[54:55]
	s_nop 0
	v_mov_b32_dpp v31, v27 row_shr:2 row_mask:0xf bank_mask:0xf
	v_cmp_lt_u32_e32 vcc, 1, v30
	s_and_saveexec_b64 s[54:55], vcc
; %bb.157:
	v_and_b32_e32 v29, 0xff0000, v27
	v_cmp_eq_u32_e32 vcc, 0, v29
	v_and_b32_e32 v27, 0x10000, v27
	s_nop 0
	v_cndmask_b32_e32 v29, 0, v31, vcc
	v_add_u16_e32 v28, v29, v28
	v_mov_b32_e32 v29, 1
	v_and_b32_sdwa v29, v31, v29 dst_sel:DWORD dst_unused:UNUSED_PAD src0_sel:WORD_1 src1_sel:DWORD
	v_cmp_eq_u32_e32 vcc, 0, v27
	s_nop 1
	v_cndmask_b32_e32 v29, 1, v29, vcc
; %bb.158:
	s_or_b64 exec, exec, s[54:55]
	ds_write_b16 v26, v28
	ds_write_b8 v26, v29 offset:2
.LBB1291_159:
	s_or_b64 exec, exec, s[50:51]
	v_cmp_gt_u32_e32 vcc, 64, v0
	v_cmp_lt_u32_e64 s[50:51], 63, v0
	v_mov_b32_e32 v35, 0
	v_mov_b32_e32 v36, 0
	s_waitcnt lgkmcnt(0)
	s_barrier
	s_and_saveexec_b64 s[54:55], s[50:51]
	s_cbranch_execz .LBB1291_161
; %bb.160:
	v_lshl_add_u32 v24, v24, 2, -4
	ds_read_u16 v35, v24
	ds_read_u8 v36, v24 offset:2
	v_mov_b32_e32 v26, 0
	v_and_b32_e32 v27, 1, v23
	v_cmp_eq_u16_sdwa s[50:51], v23, v26 src0_sel:BYTE_0 src1_sel:DWORD
	s_waitcnt lgkmcnt(1)
	s_nop 0
	v_cndmask_b32_e64 v23, 0, v35, s[50:51]
	v_cmp_eq_u32_e64 s[50:51], 1, v27
	v_add_u16_e32 v22, v23, v22
	s_waitcnt lgkmcnt(0)
	v_cndmask_b32_e64 v23, v36, 1, s[50:51]
.LBB1291_161:
	s_or_b64 exec, exec, s[54:55]
	v_and_b32_e32 v23, 0xff, v23
	v_and_b32_e32 v22, 0xffff, v22
	v_lshl_or_b32 v22, v23, 16, v22
	v_add_u32_e32 v23, -1, v25
	v_and_b32_e32 v24, 64, v25
	v_cmp_lt_i32_e64 s[50:51], v23, v24
	s_nop 1
	v_cndmask_b32_e64 v23, v23, v25, s[50:51]
	v_lshlrev_b32_e32 v23, 2, v23
	ds_bpermute_b32 v37, v23, v22
	v_cmp_eq_u32_e64 s[50:51], 0, v25
	s_and_saveexec_b64 s[54:55], vcc
	s_cbranch_execz .LBB1291_208
; %bb.162:
	v_mov_b32_e32 v31, 0
	ds_read_b32 v22, v31 offset:12
	s_and_saveexec_b64 s[60:61], s[50:51]
	s_cbranch_execz .LBB1291_164
; %bb.163:
	s_add_i32 s64, s2, 64
	s_mov_b32 s65, 0
	s_lshl_b64 s[64:65], s[64:65], 3
	s_add_u32 s64, s68, s64
	v_mov_b32_e32 v23, 1
	s_addc_u32 s65, s69, s65
	s_waitcnt lgkmcnt(0)
	global_store_dwordx2 v31, v[22:23], s[64:65] sc1
.LBB1291_164:
	s_or_b64 exec, exec, s[60:61]
	v_xad_u32 v24, v25, -1, s2
	v_add_u32_e32 v30, 64, v24
	v_lshl_add_u64 v[28:29], v[30:31], 3, s[68:69]
	global_load_dwordx2 v[26:27], v[28:29], off sc1
	s_waitcnt vmcnt(0)
	v_cmp_eq_u16_sdwa s[64:65], v27, v31 src0_sel:BYTE_0 src1_sel:DWORD
	s_and_saveexec_b64 s[60:61], s[64:65]
	s_cbranch_execz .LBB1291_170
; %bb.165:
	s_mov_b32 s3, 1
	s_mov_b64 s[64:65], 0
	v_mov_b32_e32 v23, 0
.LBB1291_166:                           ; =>This Loop Header: Depth=1
                                        ;     Child Loop BB1291_167 Depth 2
	s_max_u32 s66, s3, 1
.LBB1291_167:                           ;   Parent Loop BB1291_166 Depth=1
                                        ; =>  This Inner Loop Header: Depth=2
	s_add_i32 s66, s66, -1
	s_cmp_eq_u32 s66, 0
	s_sleep 1
	s_cbranch_scc0 .LBB1291_167
; %bb.168:                              ;   in Loop: Header=BB1291_166 Depth=1
	global_load_dwordx2 v[26:27], v[28:29], off sc1
	s_cmp_lt_u32 s3, 32
	s_cselect_b64 s[66:67], -1, 0
	s_cmp_lg_u64 s[66:67], 0
	s_addc_u32 s3, s3, 0
	s_waitcnt vmcnt(0)
	v_cmp_ne_u16_sdwa s[66:67], v27, v23 src0_sel:BYTE_0 src1_sel:DWORD
	s_or_b64 s[64:65], s[66:67], s[64:65]
	s_andn2_b64 exec, exec, s[64:65]
	s_cbranch_execnz .LBB1291_166
; %bb.169:
	s_or_b64 exec, exec, s[64:65]
.LBB1291_170:
	s_or_b64 exec, exec, s[60:61]
	v_mov_b32_e32 v23, 2
	v_cmp_eq_u16_sdwa s[60:61], v27, v23 src0_sel:BYTE_0 src1_sel:DWORD
	v_lshlrev_b64 v[28:29], v25, -1
	v_and_b32_e32 v49, 0xffffff, v26
	v_and_b32_e32 v23, s61, v29
	v_or_b32_e32 v23, 0x80000000, v23
	v_ffbl_b32_e32 v23, v23
	v_add_u32_e32 v31, 32, v23
	v_and_b32_e32 v23, 63, v25
	v_cmp_ne_u32_e32 vcc, 63, v23
	v_and_b32_e32 v30, s60, v28
	v_ffbl_b32_e32 v30, v30
	v_addc_co_u32_e32 v38, vcc, 0, v25, vcc
	v_lshlrev_b32_e32 v38, 2, v38
	ds_bpermute_b32 v39, v38, v49
	v_min_u32_e32 v31, v30, v31
	v_lshrrev_b32_e32 v30, 16, v26
	v_cmp_lt_u32_e32 vcc, v23, v31
	v_bfe_u32 v47, v26, 16, 8
	s_and_saveexec_b64 s[60:61], vcc
	s_cbranch_execz .LBB1291_172
; %bb.171:
	v_and_b32_e32 v30, 0xff0000, v26
	v_cmp_eq_u32_e32 vcc, 0, v30
	v_and_b32_e32 v30, 0x10000, v30
	v_mov_b32_e32 v42, 1
	s_waitcnt lgkmcnt(0)
	v_cndmask_b32_e32 v40, 0, v39, vcc
	v_and_b32_sdwa v39, v39, v42 dst_sel:DWORD dst_unused:UNUSED_PAD src0_sel:WORD_1 src1_sel:DWORD
	v_cmp_ne_u32_e32 vcc, 0, v30
	v_add_u16_e32 v41, v40, v26
	v_add_u16_e32 v26, v40, v26
	v_cndmask_b32_e64 v30, v39, 1, vcc
	v_lshlrev_b32_e32 v39, 16, v30
	v_or_b32_e32 v49, v39, v26
	v_mov_b32_e32 v26, v41
	v_mov_b32_e32 v47, v30
.LBB1291_172:
	s_or_b64 exec, exec, s[60:61]
	v_cmp_gt_u32_e32 vcc, 62, v23
	v_add_u32_e32 v40, 2, v23
	s_waitcnt lgkmcnt(0)
	v_cndmask_b32_e64 v39, 0, 1, vcc
	v_lshlrev_b32_e32 v39, 1, v39
	v_add_lshl_u32 v39, v39, v25, 2
	ds_bpermute_b32 v41, v39, v49
	v_cmp_le_u32_e32 vcc, v40, v31
	s_and_saveexec_b64 s[60:61], vcc
	s_cbranch_execz .LBB1291_174
; %bb.173:
	v_cmp_eq_u16_e32 vcc, 0, v47
	v_and_b32_e32 v30, 1, v47
	v_mov_b32_e32 v44, 1
	s_waitcnt lgkmcnt(0)
	v_cndmask_b32_e32 v42, 0, v41, vcc
	v_and_b32_sdwa v41, v41, v44 dst_sel:DWORD dst_unused:UNUSED_PAD src0_sel:WORD_1 src1_sel:DWORD
	v_cmp_eq_u32_e32 vcc, 1, v30
	v_add_u16_e32 v43, v42, v26
	v_add_u16_e32 v26, v42, v26
	v_cndmask_b32_e64 v30, v41, 1, vcc
	v_lshlrev_b32_e32 v41, 16, v30
	v_or_b32_e32 v49, v41, v26
	v_mov_b32_e32 v26, v43
	v_mov_b32_e32 v47, v30
.LBB1291_174:
	s_or_b64 exec, exec, s[60:61]
	v_cmp_gt_u32_e32 vcc, 60, v23
	v_add_u32_e32 v42, 4, v23
	s_waitcnt lgkmcnt(0)
	v_cndmask_b32_e64 v41, 0, 1, vcc
	v_lshlrev_b32_e32 v41, 2, v41
	v_add_lshl_u32 v41, v41, v25, 2
	ds_bpermute_b32 v43, v41, v49
	v_cmp_le_u32_e32 vcc, v42, v31
	s_and_saveexec_b64 s[60:61], vcc
	s_cbranch_execz .LBB1291_176
; %bb.175:
	v_cmp_eq_u16_e32 vcc, 0, v47
	v_and_b32_e32 v30, 1, v47
	v_mov_b32_e32 v46, 1
	s_waitcnt lgkmcnt(0)
	v_cndmask_b32_e32 v44, 0, v43, vcc
	v_and_b32_sdwa v43, v43, v46 dst_sel:DWORD dst_unused:UNUSED_PAD src0_sel:WORD_1 src1_sel:DWORD
	v_cmp_eq_u32_e32 vcc, 1, v30
	v_add_u16_e32 v45, v44, v26
	v_add_u16_e32 v26, v44, v26
	v_cndmask_b32_e64 v30, v43, 1, vcc
	v_lshlrev_b32_e32 v43, 16, v30
	v_or_b32_e32 v49, v43, v26
	v_mov_b32_e32 v26, v45
	v_mov_b32_e32 v47, v30
.LBB1291_176:
	;; [unrolled: 27-line block ×4, first 2 shown]
	s_or_b64 exec, exec, s[60:61]
	v_cmp_gt_u32_e32 vcc, 32, v23
	v_add_u32_e32 v52, 32, v23
	s_waitcnt lgkmcnt(0)
	v_cndmask_b32_e64 v48, 0, 1, vcc
	v_lshlrev_b32_e32 v48, 5, v48
	v_add_lshl_u32 v48, v48, v25, 2
	ds_bpermute_b32 v25, v48, v49
	v_cmp_le_u32_e32 vcc, v52, v31
	s_and_saveexec_b64 s[60:61], vcc
	s_cbranch_execz .LBB1291_182
; %bb.181:
	v_cmp_eq_u16_e32 vcc, 0, v47
	v_mov_b32_e32 v31, 1
	s_waitcnt lgkmcnt(0)
	v_cndmask_b32_e32 v30, 0, v25, vcc
	v_add_u16_e32 v26, v30, v26
	v_and_b32_e32 v30, 1, v47
	v_and_b32_sdwa v25, v25, v31 dst_sel:DWORD dst_unused:UNUSED_PAD src0_sel:WORD_1 src1_sel:DWORD
	v_cmp_eq_u32_e32 vcc, 1, v30
	s_nop 1
	v_cndmask_b32_e64 v30, v25, 1, vcc
.LBB1291_182:
	s_or_b64 exec, exec, s[60:61]
	s_waitcnt lgkmcnt(0)
	v_mov_b32_e32 v25, 0
	v_mov_b32_e32 v53, 2
	;; [unrolled: 1-line block ×3, first 2 shown]
	s_branch .LBB1291_184
.LBB1291_183:                           ;   in Loop: Header=BB1291_184 Depth=1
	s_or_b64 exec, exec, s[60:61]
	v_cmp_eq_u16_sdwa vcc, v47, v25 src0_sel:BYTE_0 src1_sel:DWORD
	v_and_b32_e32 v30, 1, v47
	v_and_b32_e32 v31, 1, v31
	v_cndmask_b32_e32 v26, 0, v26, vcc
	v_cmp_eq_u32_e32 vcc, 1, v30
	v_subrev_u32_e32 v24, 64, v24
	v_add_u16_e32 v26, v26, v49
	v_cndmask_b32_e64 v30, v31, 1, vcc
.LBB1291_184:                           ; =>This Loop Header: Depth=1
                                        ;     Child Loop BB1291_187 Depth 2
                                        ;       Child Loop BB1291_188 Depth 3
	v_cmp_ne_u16_sdwa s[60:61], v27, v53 src0_sel:BYTE_0 src1_sel:DWORD
	v_mov_b32_e32 v47, v30
	v_mov_b32_e32 v49, v26
	v_cndmask_b32_e64 v27, 0, 1, s[60:61]
	;;#ASMSTART
	;;#ASMEND
	s_nop 0
	v_cmp_ne_u32_e32 vcc, 0, v27
	s_cmp_lg_u64 vcc, exec
	s_cbranch_scc1 .LBB1291_203
; %bb.185:                              ;   in Loop: Header=BB1291_184 Depth=1
	v_lshl_add_u64 v[30:31], v[24:25], 3, s[68:69]
	global_load_dwordx2 v[26:27], v[30:31], off sc1
	s_waitcnt vmcnt(0)
	v_cmp_eq_u16_sdwa s[64:65], v27, v25 src0_sel:BYTE_0 src1_sel:DWORD
	s_and_saveexec_b64 s[60:61], s[64:65]
	s_cbranch_execz .LBB1291_191
; %bb.186:                              ;   in Loop: Header=BB1291_184 Depth=1
	s_mov_b32 s3, 1
	s_mov_b64 s[64:65], 0
.LBB1291_187:                           ;   Parent Loop BB1291_184 Depth=1
                                        ; =>  This Loop Header: Depth=2
                                        ;       Child Loop BB1291_188 Depth 3
	s_max_u32 s66, s3, 1
.LBB1291_188:                           ;   Parent Loop BB1291_184 Depth=1
                                        ;     Parent Loop BB1291_187 Depth=2
                                        ; =>    This Inner Loop Header: Depth=3
	s_add_i32 s66, s66, -1
	s_cmp_eq_u32 s66, 0
	s_sleep 1
	s_cbranch_scc0 .LBB1291_188
; %bb.189:                              ;   in Loop: Header=BB1291_187 Depth=2
	global_load_dwordx2 v[26:27], v[30:31], off sc1
	s_cmp_lt_u32 s3, 32
	s_cselect_b64 s[66:67], -1, 0
	s_cmp_lg_u64 s[66:67], 0
	s_addc_u32 s3, s3, 0
	s_waitcnt vmcnt(0)
	v_cmp_ne_u16_sdwa s[66:67], v27, v25 src0_sel:BYTE_0 src1_sel:DWORD
	s_or_b64 s[64:65], s[66:67], s[64:65]
	s_andn2_b64 exec, exec, s[64:65]
	s_cbranch_execnz .LBB1291_187
; %bb.190:                              ;   in Loop: Header=BB1291_184 Depth=1
	s_or_b64 exec, exec, s[64:65]
.LBB1291_191:                           ;   in Loop: Header=BB1291_184 Depth=1
	s_or_b64 exec, exec, s[60:61]
	v_cmp_eq_u16_sdwa s[60:61], v27, v53 src0_sel:BYTE_0 src1_sel:DWORD
	s_waitcnt lgkmcnt(0)
	v_and_b32_e32 v56, 0xffffff, v26
	ds_bpermute_b32 v57, v38, v56
	v_and_b32_e32 v30, s61, v29
	v_or_b32_e32 v30, 0x80000000, v30
	v_and_b32_e32 v31, s60, v28
	v_ffbl_b32_e32 v30, v30
	v_add_u32_e32 v30, 32, v30
	v_ffbl_b32_e32 v31, v31
	v_min_u32_e32 v30, v31, v30
	v_lshrrev_b32_e32 v31, 16, v26
	v_cmp_lt_u32_e32 vcc, v23, v30
	v_bfe_u32 v55, v26, 16, 8
	s_and_saveexec_b64 s[60:61], vcc
	s_cbranch_execz .LBB1291_193
; %bb.192:                              ;   in Loop: Header=BB1291_184 Depth=1
	v_and_b32_e32 v31, 0xff0000, v26
	v_cmp_eq_u32_e32 vcc, 0, v31
	v_and_b32_e32 v31, 0x10000, v31
	s_waitcnt lgkmcnt(0)
	v_and_b32_sdwa v56, v57, v54 dst_sel:DWORD dst_unused:UNUSED_PAD src0_sel:WORD_1 src1_sel:DWORD
	v_cndmask_b32_e32 v55, 0, v57, vcc
	v_cmp_ne_u32_e32 vcc, 0, v31
	v_add_u16_e32 v58, v55, v26
	v_add_u16_e32 v26, v55, v26
	v_cndmask_b32_e64 v31, v56, 1, vcc
	v_lshlrev_b32_e32 v56, 16, v31
	v_or_b32_e32 v56, v56, v26
	v_mov_b32_e32 v26, v58
	v_mov_b32_e32 v55, v31
.LBB1291_193:                           ;   in Loop: Header=BB1291_184 Depth=1
	s_or_b64 exec, exec, s[60:61]
	s_waitcnt lgkmcnt(0)
	ds_bpermute_b32 v57, v39, v56
	v_cmp_le_u32_e32 vcc, v40, v30
	s_and_saveexec_b64 s[60:61], vcc
	s_cbranch_execz .LBB1291_195
; %bb.194:                              ;   in Loop: Header=BB1291_184 Depth=1
	v_cmp_eq_u16_e32 vcc, 0, v55
	v_and_b32_e32 v31, 1, v55
	s_waitcnt lgkmcnt(0)
	v_and_b32_sdwa v55, v57, v54 dst_sel:DWORD dst_unused:UNUSED_PAD src0_sel:WORD_1 src1_sel:DWORD
	v_cndmask_b32_e32 v56, 0, v57, vcc
	v_cmp_eq_u32_e32 vcc, 1, v31
	v_add_u16_e32 v58, v56, v26
	v_add_u16_e32 v26, v56, v26
	v_cndmask_b32_e64 v31, v55, 1, vcc
	v_lshlrev_b32_e32 v55, 16, v31
	v_or_b32_e32 v56, v55, v26
	v_mov_b32_e32 v26, v58
	v_mov_b32_e32 v55, v31
.LBB1291_195:                           ;   in Loop: Header=BB1291_184 Depth=1
	s_or_b64 exec, exec, s[60:61]
	s_waitcnt lgkmcnt(0)
	ds_bpermute_b32 v57, v41, v56
	v_cmp_le_u32_e32 vcc, v42, v30
	s_and_saveexec_b64 s[60:61], vcc
	s_cbranch_execz .LBB1291_197
; %bb.196:                              ;   in Loop: Header=BB1291_184 Depth=1
	v_cmp_eq_u16_e32 vcc, 0, v55
	v_and_b32_e32 v31, 1, v55
	s_waitcnt lgkmcnt(0)
	v_and_b32_sdwa v55, v57, v54 dst_sel:DWORD dst_unused:UNUSED_PAD src0_sel:WORD_1 src1_sel:DWORD
	v_cndmask_b32_e32 v56, 0, v57, vcc
	v_cmp_eq_u32_e32 vcc, 1, v31
	v_add_u16_e32 v58, v56, v26
	v_add_u16_e32 v26, v56, v26
	v_cndmask_b32_e64 v31, v55, 1, vcc
	v_lshlrev_b32_e32 v55, 16, v31
	v_or_b32_e32 v56, v55, v26
	v_mov_b32_e32 v26, v58
	v_mov_b32_e32 v55, v31
.LBB1291_197:                           ;   in Loop: Header=BB1291_184 Depth=1
	;; [unrolled: 21-line block ×4, first 2 shown]
	s_or_b64 exec, exec, s[60:61]
	ds_bpermute_b32 v56, v48, v56
	v_cmp_le_u32_e32 vcc, v52, v30
	s_and_saveexec_b64 s[60:61], vcc
	s_cbranch_execz .LBB1291_183
; %bb.202:                              ;   in Loop: Header=BB1291_184 Depth=1
	v_cmp_eq_u16_e32 vcc, 0, v55
	s_waitcnt lgkmcnt(0)
	v_lshrrev_b32_e32 v31, 16, v56
	v_cndmask_b32_e32 v30, 0, v56, vcc
	v_add_u16_e32 v26, v30, v26
	v_and_b32_e32 v30, 1, v55
	v_cmp_eq_u32_e32 vcc, 1, v30
	s_nop 1
	v_cndmask_b32_e64 v31, v31, 1, vcc
	s_branch .LBB1291_183
.LBB1291_203:                           ;   in Loop: Header=BB1291_184 Depth=1
                                        ; implicit-def: $vgpr30
                                        ; implicit-def: $vgpr26
	s_cbranch_execz .LBB1291_184
; %bb.204:
	s_and_saveexec_b64 s[60:61], s[50:51]
	s_cbranch_execz .LBB1291_206
; %bb.205:
	v_and_b32_e32 v23, 0xff0000, v22
	s_mov_b32 s3, 0
	v_cmp_eq_u32_e32 vcc, 0, v23
	v_and_b32_e32 v24, 0x10000, v22
	v_mov_b32_e32 v25, 1
	s_add_i32 s2, s2, 64
	v_cndmask_b32_e32 v23, 0, v49, vcc
	v_and_b32_sdwa v25, v47, v25 dst_sel:WORD_1 dst_unused:UNUSED_PAD src0_sel:DWORD src1_sel:DWORD
	v_mov_b32_e32 v26, 0x10000
	v_cmp_eq_u32_e32 vcc, 0, v24
	s_lshl_b64 s[2:3], s[2:3], 3
	s_add_u32 s2, s68, s2
	v_cndmask_b32_e32 v24, v26, v25, vcc
	v_add_u16_e32 v22, v23, v22
	s_addc_u32 s3, s69, s3
	v_mov_b32_e32 v25, 0
	v_or_b32_e32 v22, v24, v22
	v_mov_b32_e32 v23, 2
	global_store_dwordx2 v25, v[22:23], s[2:3] sc1
.LBB1291_206:
	s_or_b64 exec, exec, s[60:61]
	v_cmp_eq_u32_e32 vcc, 0, v0
	s_and_b64 exec, exec, vcc
	s_cbranch_execz .LBB1291_208
; %bb.207:
	v_mov_b32_e32 v22, 0
	ds_write_b16 v22, v49 offset:12
	ds_write_b8 v22, v47 offset:14
.LBB1291_208:
	s_or_b64 exec, exec, s[54:55]
	s_waitcnt lgkmcnt(0)
	v_lshrrev_b32_e32 v22, 16, v37
	v_mov_b32_e32 v24, 0
	s_mov_b32 s2, 0x10000
	v_cndmask_b32_e64 v22, v22, v36, s[50:51]
	v_cndmask_b32_e64 v23, v37, v35, s[50:51]
	s_barrier
	ds_read_b32 v25, v24 offset:12
	v_cmp_gt_u32_e32 vcc, s2, v1
	v_and_b32_e32 v26, 0x10000, v1
	v_and_b32_e32 v22, 1, v22
	v_cndmask_b32_e32 v23, 0, v23, vcc
	v_cmp_ne_u32_e32 vcc, 0, v26
	s_nop 1
	v_cndmask_b32_e64 v22, v22, 1, vcc
	v_cmp_eq_u32_e32 vcc, 0, v0
	s_nop 1
	v_cndmask_b32_e32 v22, v22, v34, vcc
	v_cndmask_b32_e64 v23, v23, 0, vcc
	v_cmp_eq_u16_sdwa vcc, v22, v24 src0_sel:BYTE_0 src1_sel:DWORD
	v_add_u16_e32 v23, v23, v1
	s_waitcnt lgkmcnt(0)
	v_cndmask_b32_e32 v22, 0, v25, vcc
	v_add_u16_e32 v47, v23, v22
	v_cndmask_b32_e64 v22, 0, v47, s[52:53]
	v_add_u16_e32 v22, v22, v50
	v_cndmask_b32_e64 v23, 0, v22, s[4:5]
	;; [unrolled: 2-line block ×23, first 2 shown]
	v_add_u16_e32 v46, v46, v32
	s_branch .LBB1291_239
.LBB1291_209:
                                        ; implicit-def: $vgpr47
                                        ; implicit-def: $vgpr22
                                        ; implicit-def: $vgpr23
                                        ; implicit-def: $vgpr24
                                        ; implicit-def: $vgpr25
                                        ; implicit-def: $vgpr26
                                        ; implicit-def: $vgpr27
                                        ; implicit-def: $vgpr29
                                        ; implicit-def: $vgpr28
                                        ; implicit-def: $vgpr30
                                        ; implicit-def: $vgpr31
                                        ; implicit-def: $vgpr34
                                        ; implicit-def: $vgpr35
                                        ; implicit-def: $vgpr36
                                        ; implicit-def: $vgpr37
                                        ; implicit-def: $vgpr39
                                        ; implicit-def: $vgpr38
                                        ; implicit-def: $vgpr40
                                        ; implicit-def: $vgpr41
                                        ; implicit-def: $vgpr42
                                        ; implicit-def: $vgpr43
                                        ; implicit-def: $vgpr44
                                        ; implicit-def: $vgpr45
                                        ; implicit-def: $vgpr46
	s_cbranch_execz .LBB1291_239
; %bb.210:
	s_cmp_lg_u64 s[74:75], 0
	s_cselect_b32 s5, s63, 0
	s_cselect_b32 s4, s62, 0
	s_cmp_lg_u64 s[4:5], 0
	s_cselect_b64 s[6:7], -1, 0
	v_cmp_eq_u32_e32 vcc, 0, v0
	v_cmp_ne_u32_e64 s[2:3], 0, v0
	s_and_b64 s[8:9], vcc, s[6:7]
	s_and_saveexec_b64 s[6:7], s[8:9]
	s_cbranch_execz .LBB1291_212
; %bb.211:
	v_mov_b32_e32 v22, 0
	global_load_ushort v23, v22, s[4:5]
	global_load_ubyte v24, v22, s[4:5] offset:2
	s_mov_b32 s4, 0x10000
	v_and_b32_e32 v22, 0x10000, v1
	v_mov_b32_e32 v25, 1
	v_cmp_gt_u32_e64 s[4:5], s4, v1
	v_mov_b32_e32 v26, 0x10000
	s_waitcnt vmcnt(0)
	v_and_b32_sdwa v24, v24, v25 dst_sel:WORD_1 dst_unused:UNUSED_PAD src0_sel:DWORD src1_sel:DWORD
	v_cndmask_b32_e64 v23, 0, v23, s[4:5]
	v_cmp_eq_u32_e64 s[4:5], 0, v22
	v_add_u16_e32 v1, v23, v1
	s_nop 0
	v_cndmask_b32_e64 v22, v26, v24, s[4:5]
	v_or_b32_e32 v1, v22, v1
.LBB1291_212:
	s_or_b64 exec, exec, s[6:7]
	s_mov_b32 s50, 0x10000
	v_cmp_gt_u32_e64 s[4:5], s50, v50
	v_cmp_gt_u32_e64 s[6:7], s50, v51
	;; [unrolled: 1-line block ×3, first 2 shown]
	v_cndmask_b32_e64 v22, 0, v1, s[4:5]
	v_add_u16_e32 v22, v22, v50
	v_cndmask_b32_e64 v23, 0, v22, s[6:7]
	v_add_u16_e32 v23, v23, v51
	;; [unrolled: 2-line block ×3, first 2 shown]
	v_cmp_gt_u32_e64 s[10:11], s50, v19
	v_cmp_gt_u32_e64 s[12:13], s50, v20
	v_bfe_u32 v28, v19, 16, 1
	v_cndmask_b32_e64 v25, 0, v24, s[10:11]
	v_add_u16_e32 v25, v25, v19
	v_mov_b32_e32 v52, 1
	v_cndmask_b32_e64 v26, 0, v25, s[12:13]
	v_lshlrev_b16_e32 v28, 1, v28
	v_and_b32_sdwa v29, v18, v52 dst_sel:DWORD dst_unused:UNUSED_PAD src0_sel:WORD_1 src1_sel:DWORD
	v_add_u16_e32 v26, v26, v20
	v_cmp_gt_u32_e64 s[14:15], s50, v21
	v_or_b32_e32 v28, v29, v28
	v_bfe_u32 v29, v21, 16, 1
	v_and_b32_sdwa v30, v20, v52 dst_sel:DWORD dst_unused:UNUSED_PAD src0_sel:WORD_1 src1_sel:DWORD
	v_cndmask_b32_e64 v27, 0, v26, s[14:15]
	v_lshlrev_b16_e32 v29, 3, v29
	v_lshlrev_b16_e32 v30, 2, v30
	v_add_u16_e32 v27, v27, v21
	v_or_b32_e32 v29, v29, v30
	v_cmp_gt_u32_e64 s[16:17], s50, v2
	v_or_b32_e32 v46, v28, v29
	v_cmp_gt_u32_e64 s[18:19], s50, v3
	v_cndmask_b32_e64 v28, 0, v27, s[16:17]
	v_add_u16_e32 v29, v28, v2
	v_cndmask_b32_e64 v28, 0, v29, s[18:19]
	v_bfe_u32 v48, v11, 16, 1
	v_add_u16_e32 v28, v28, v3
	v_cmp_gt_u32_e64 s[20:21], s50, v4
	v_lshlrev_b16_e32 v48, 1, v48
	v_and_b32_sdwa v49, v10, v52 dst_sel:DWORD dst_unused:UNUSED_PAD src0_sel:WORD_1 src1_sel:DWORD
	v_cndmask_b32_e64 v30, 0, v28, s[20:21]
	v_or_b32_e32 v48, v49, v48
	v_bfe_u32 v49, v13, 16, 1
	v_and_b32_sdwa v53, v12, v52 dst_sel:DWORD dst_unused:UNUSED_PAD src0_sel:WORD_1 src1_sel:DWORD
	v_add_u16_e32 v30, v30, v4
	v_cmp_gt_u32_e64 s[22:23], s50, v5
	v_lshlrev_b16_e32 v49, 3, v49
	v_lshlrev_b16_e32 v53, 2, v53
	v_cndmask_b32_e64 v31, 0, v30, s[22:23]
	v_or_b32_e32 v49, v49, v53
	v_add_u16_e32 v31, v31, v5
	v_cmp_gt_u32_e64 s[24:25], s50, v6
	v_or_b32_sdwa v48, v48, v49 dst_sel:BYTE_1 dst_unused:UNUSED_PAD src0_sel:DWORD src1_sel:DWORD
	v_bfe_u32 v49, v15, 16, 1
	v_cndmask_b32_e64 v34, 0, v31, s[24:25]
	v_lshlrev_b16_e32 v49, 1, v49
	v_and_b32_sdwa v53, v14, v52 dst_sel:DWORD dst_unused:UNUSED_PAD src0_sel:WORD_1 src1_sel:DWORD
	v_add_u16_e32 v34, v34, v6
	v_cmp_gt_u32_e64 s[26:27], s50, v7
	v_or_b32_e32 v49, v53, v49
	v_bfe_u32 v53, v17, 16, 1
	v_and_b32_sdwa v54, v16, v52 dst_sel:DWORD dst_unused:UNUSED_PAD src0_sel:WORD_1 src1_sel:DWORD
	v_cndmask_b32_e64 v35, 0, v34, s[26:27]
	v_lshlrev_b16_e32 v53, 3, v53
	v_lshlrev_b16_e32 v54, 2, v54
	v_add_u16_e32 v35, v35, v7
	v_cmp_gt_u32_e64 s[28:29], s50, v8
	v_or_b32_e32 v53, v53, v54
	v_or_b32_e32 v49, v49, v53
	v_cndmask_b32_e64 v36, 0, v35, s[28:29]
	v_add_u16_e32 v36, v36, v8
	v_cmp_gt_u32_e64 s[30:31], s50, v9
	v_lshlrev_b16_e32 v49, 12, v49
	v_or_b32_e32 v48, v49, v48
	v_cndmask_b32_e64 v37, 0, v36, s[30:31]
	v_bfe_u32 v49, v3, 16, 1
	v_add_u16_e32 v37, v37, v9
	v_cmp_gt_u32_e64 s[34:35], s50, v10
	v_lshlrev_b16_e32 v49, 1, v49
	v_and_b32_sdwa v53, v2, v52 dst_sel:DWORD dst_unused:UNUSED_PAD src0_sel:WORD_1 src1_sel:DWORD
	v_cndmask_b32_e64 v38, 0, v37, s[34:35]
	v_or_b32_e32 v49, v53, v49
	v_bfe_u32 v53, v5, 16, 1
	v_and_b32_sdwa v54, v4, v52 dst_sel:DWORD dst_unused:UNUSED_PAD src0_sel:WORD_1 src1_sel:DWORD
	v_add_u16_e32 v39, v38, v10
	v_cmp_gt_u32_e64 s[36:37], s50, v11
	v_lshlrev_b16_e32 v53, 3, v53
	v_lshlrev_b16_e32 v54, 2, v54
	v_cndmask_b32_e64 v38, 0, v39, s[36:37]
	v_or_b32_e32 v53, v53, v54
	v_add_u16_e32 v38, v38, v11
	v_cmp_gt_u32_e64 s[38:39], s50, v12
	v_or_b32_e32 v49, v49, v53
	v_bfe_u32 v53, v7, 16, 1
	v_cndmask_b32_e64 v40, 0, v38, s[38:39]
	v_lshlrev_b16_e32 v53, 1, v53
	v_and_b32_sdwa v54, v6, v52 dst_sel:DWORD dst_unused:UNUSED_PAD src0_sel:WORD_1 src1_sel:DWORD
	v_add_u16_e32 v40, v40, v12
	v_cmp_gt_u32_e64 s[40:41], s50, v13
	v_or_b32_e32 v53, v54, v53
	v_bfe_u32 v54, v9, 16, 1
	v_and_b32_sdwa v55, v8, v52 dst_sel:DWORD dst_unused:UNUSED_PAD src0_sel:WORD_1 src1_sel:DWORD
	v_cndmask_b32_e64 v41, 0, v40, s[40:41]
	v_lshlrev_b16_e32 v54, 3, v54
	v_lshlrev_b16_e32 v55, 2, v55
	v_add_u16_e32 v41, v41, v13
	v_cmp_gt_u32_e64 s[42:43], s50, v14
	v_or_b32_e32 v54, v54, v55
	v_or_b32_e32 v53, v53, v54
	v_cndmask_b32_e64 v42, 0, v41, s[42:43]
	v_add_u16_e32 v42, v42, v14
	v_cmp_gt_u32_e64 s[44:45], s50, v15
	v_lshlrev_b16_e32 v53, 4, v53
	v_or_b32_e32 v49, v49, v53
	v_cndmask_b32_e64 v43, 0, v42, s[44:45]
	v_add_u16_e32 v43, v43, v15
	v_cmp_gt_u32_e64 s[46:47], s50, v16
	v_or_b32_sdwa v49, v49, v48 dst_sel:DWORD dst_unused:UNUSED_PAD src0_sel:BYTE_0 src1_sel:DWORD
	v_or_b32_e32 v46, v49, v46
	v_cndmask_b32_e64 v44, 0, v43, s[46:47]
	v_add_u16_e32 v44, v44, v16
	v_cmp_gt_u32_e64 s[48:49], s50, v17
	v_cmp_ne_u16_e64 s[52:53], 0, v46
	v_or3_b32 v46, v51, v50, v32
	v_cndmask_b32_e64 v45, 0, v44, s[48:49]
	v_and_b32_e32 v46, 0x10000, v46
	v_add_u16_e32 v45, v45, v17
	v_cmp_gt_u32_e64 s[50:51], s50, v32
	v_cmp_ne_u32_e64 s[54:55], 0, v46
	v_lshrrev_b32_e32 v47, 16, v1
	v_cndmask_b32_e64 v53, 0, v45, s[50:51]
	s_or_b64 s[52:53], s[54:55], s[52:53]
	v_cndmask_b32_e64 v49, v47, 1, s[52:53]
	v_mbcnt_hi_u32_b32 v33, -1, v33
	v_add_u16_e32 v46, v53, v32
	v_add_u16_e32 v48, v53, v32
	v_and_b32_e32 v54, 15, v33
	v_lshl_or_b32 v53, v49, 16, v46
	v_cmp_ne_u32_e64 s[52:53], 0, v54
	s_nop 0
	v_mov_b32_dpp v55, v53 row_shr:1 row_mask:0xf bank_mask:0xf
	s_and_saveexec_b64 s[54:55], s[52:53]
; %bb.213:
	v_cmp_eq_u32_e64 s[52:53], 0, v49
	v_and_b32_e32 v49, 1, v49
	v_and_b32_sdwa v52, v55, v52 dst_sel:DWORD dst_unused:UNUSED_PAD src0_sel:WORD_1 src1_sel:DWORD
	v_cndmask_b32_e64 v53, 0, v55, s[52:53]
	v_cmp_eq_u32_e64 s[52:53], 1, v49
	v_add_u16_e32 v56, v48, v53
	v_add_u16_e32 v48, v48, v53
	v_cndmask_b32_e64 v49, v52, 1, s[52:53]
	v_lshlrev_b32_e32 v52, 16, v49
	v_or_b32_e32 v53, v52, v48
	v_mov_b32_e32 v48, v56
; %bb.214:
	s_or_b64 exec, exec, s[54:55]
	v_lshrrev_b32_e32 v52, 16, v53
	v_mov_b32_dpp v55, v53 row_shr:2 row_mask:0xf bank_mask:0xf
	v_cmp_lt_u32_e64 s[52:53], 1, v54
	s_and_saveexec_b64 s[54:55], s[52:53]
	s_cbranch_execz .LBB1291_216
; %bb.215:
	s_mov_b32 s52, 0x10000
	v_cmp_gt_u32_e64 s[52:53], s52, v53
	v_and_b32_e32 v49, 0x10000, v53
	v_mov_b32_e32 v53, 1
	v_cndmask_b32_e64 v52, 0, v55, s[52:53]
	v_and_b32_sdwa v53, v55, v53 dst_sel:DWORD dst_unused:UNUSED_PAD src0_sel:WORD_1 src1_sel:DWORD
	v_cmp_ne_u32_e64 s[52:53], 0, v49
	v_add_u16_e32 v56, v52, v48
	v_add_u16_e32 v48, v52, v48
	v_cndmask_b32_e64 v49, v53, 1, s[52:53]
	v_lshlrev_b32_e32 v53, 16, v49
	v_or_b32_e32 v53, v53, v48
	v_mov_b32_e32 v52, v49
	v_mov_b32_e32 v48, v56
.LBB1291_216:
	s_or_b64 exec, exec, s[54:55]
	v_mov_b32_dpp v55, v53 row_shr:4 row_mask:0xf bank_mask:0xf
	v_cmp_lt_u32_e64 s[52:53], 3, v54
	s_and_saveexec_b64 s[54:55], s[52:53]
	s_cbranch_execz .LBB1291_218
; %bb.217:
	v_mov_b32_e32 v49, 0
	v_cmp_eq_u16_sdwa s[52:53], v52, v49 src0_sel:BYTE_0 src1_sel:DWORD
	v_and_b32_e32 v49, 1, v52
	v_mov_b32_e32 v52, 1
	v_cndmask_b32_e64 v53, 0, v55, s[52:53]
	v_and_b32_sdwa v52, v55, v52 dst_sel:DWORD dst_unused:UNUSED_PAD src0_sel:WORD_1 src1_sel:DWORD
	v_cmp_eq_u32_e64 s[52:53], 1, v49
	v_add_u16_e32 v56, v53, v48
	v_add_u16_e32 v48, v53, v48
	v_cndmask_b32_e64 v49, v52, 1, s[52:53]
	v_lshlrev_b32_e32 v52, 16, v49
	v_or_b32_e32 v53, v52, v48
	v_mov_b32_e32 v52, v49
	v_mov_b32_e32 v48, v56
.LBB1291_218:
	s_or_b64 exec, exec, s[54:55]
	v_mov_b32_dpp v55, v53 row_shr:8 row_mask:0xf bank_mask:0xf
	v_cmp_lt_u32_e64 s[52:53], 7, v54
	s_and_saveexec_b64 s[54:55], s[52:53]
	s_cbranch_execz .LBB1291_220
; %bb.219:
	v_mov_b32_e32 v49, 0
	v_cmp_eq_u16_sdwa s[52:53], v52, v49 src0_sel:BYTE_0 src1_sel:DWORD
	v_and_b32_e32 v49, 1, v52
	v_mov_b32_e32 v52, 1
	v_cndmask_b32_e64 v53, 0, v55, s[52:53]
	v_and_b32_sdwa v52, v55, v52 dst_sel:DWORD dst_unused:UNUSED_PAD src0_sel:WORD_1 src1_sel:DWORD
	v_cmp_eq_u32_e64 s[52:53], 1, v49
	v_add_u16_e32 v54, v53, v48
	v_add_u16_e32 v48, v53, v48
	v_cndmask_b32_e64 v49, v52, 1, s[52:53]
	v_lshlrev_b32_e32 v52, 16, v49
	v_or_b32_e32 v53, v52, v48
	v_mov_b32_e32 v52, v49
	v_mov_b32_e32 v48, v54
.LBB1291_220:
	s_or_b64 exec, exec, s[54:55]
	v_and_b32_e32 v55, 16, v33
	v_mov_b32_dpp v54, v53 row_bcast:15 row_mask:0xf bank_mask:0xf
	v_cmp_ne_u32_e64 s[52:53], 0, v55
	s_and_saveexec_b64 s[54:55], s[52:53]
	s_cbranch_execz .LBB1291_222
; %bb.221:
	v_mov_b32_e32 v49, 0
	v_cmp_eq_u16_sdwa s[52:53], v52, v49 src0_sel:BYTE_0 src1_sel:DWORD
	v_and_b32_e32 v49, 1, v52
	v_mov_b32_e32 v52, 1
	v_cndmask_b32_e64 v53, 0, v54, s[52:53]
	v_and_b32_sdwa v52, v54, v52 dst_sel:DWORD dst_unused:UNUSED_PAD src0_sel:WORD_1 src1_sel:DWORD
	v_cmp_eq_u32_e64 s[52:53], 1, v49
	v_add_u16_e32 v55, v53, v48
	v_add_u16_e32 v48, v53, v48
	v_cndmask_b32_e64 v49, v52, 1, s[52:53]
	v_lshlrev_b32_e32 v52, 16, v49
	v_or_b32_e32 v53, v52, v48
	v_mov_b32_e32 v48, v55
	v_mov_b32_e32 v52, v49
.LBB1291_222:
	s_or_b64 exec, exec, s[54:55]
	v_mov_b32_dpp v53, v53 row_bcast:31 row_mask:0xf bank_mask:0xf
	v_cmp_lt_u32_e64 s[52:53], 31, v33
	s_and_saveexec_b64 s[54:55], s[52:53]
; %bb.223:
	v_mov_b32_e32 v49, 0
	v_cmp_eq_u16_sdwa s[52:53], v52, v49 src0_sel:BYTE_0 src1_sel:DWORD
	s_nop 1
	v_cndmask_b32_e64 v49, 0, v53, s[52:53]
	v_add_u16_e32 v48, v49, v48
	v_and_b32_e32 v49, 1, v52
	v_mov_b32_e32 v52, 1
	v_and_b32_sdwa v52, v53, v52 dst_sel:DWORD dst_unused:UNUSED_PAD src0_sel:WORD_1 src1_sel:DWORD
	v_cmp_eq_u32_e64 s[52:53], 1, v49
	s_nop 1
	v_cndmask_b32_e64 v49, v52, 1, s[52:53]
; %bb.224:
	s_or_b64 exec, exec, s[54:55]
	v_or_b32_e32 v53, 63, v0
	v_lshrrev_b32_e32 v52, 6, v0
	v_cmp_eq_u32_e64 s[52:53], v53, v0
	s_and_saveexec_b64 s[54:55], s[52:53]
	s_cbranch_execz .LBB1291_226
; %bb.225:
	v_lshlrev_b32_e32 v53, 2, v52
	ds_write_b16 v53, v48
	ds_write_b8 v53, v49 offset:2
.LBB1291_226:
	s_or_b64 exec, exec, s[54:55]
	v_cmp_gt_u32_e64 s[52:53], 4, v0
	s_waitcnt lgkmcnt(0)
	s_barrier
	s_and_saveexec_b64 s[54:55], s[52:53]
	s_cbranch_execz .LBB1291_232
; %bb.227:
	v_lshlrev_b32_e32 v53, 2, v0
	ds_read_b32 v54, v53
	v_and_b32_e32 v57, 3, v33
	v_cmp_ne_u32_e64 s[52:53], 0, v57
	s_waitcnt lgkmcnt(0)
	v_lshrrev_b32_e32 v56, 16, v54
	v_mov_b32_dpp v58, v54 row_shr:1 row_mask:0xf bank_mask:0xf
	v_mov_b32_e32 v55, v54
	s_and_saveexec_b64 s[60:61], s[52:53]
	s_cbranch_execz .LBB1291_229
; %bb.228:
	v_mov_b32_e32 v55, 0
	v_cmp_eq_u16_sdwa s[52:53], v56, v55 src0_sel:BYTE_0 src1_sel:DWORD
	v_and_b32_e32 v56, 0x10000, v54
	v_mov_b32_e32 v61, 1
	v_cndmask_b32_e64 v60, 0, v58, s[52:53]
	v_and_b32_sdwa v58, v58, v61 dst_sel:DWORD dst_unused:UNUSED_PAD src0_sel:WORD_1 src1_sel:DWORD
	v_cmp_ne_u32_e64 s[52:53], 0, v56
	v_and_b32_e32 v59, 0xff000000, v54
	v_add_u16_e32 v55, v60, v54
	v_cndmask_b32_e64 v56, v58, 1, s[52:53]
	v_lshlrev_b32_e32 v58, 16, v56
	v_add_u16_e32 v54, v60, v54
	v_or3_b32 v54, v58, v59, v54
.LBB1291_229:
	s_or_b64 exec, exec, s[60:61]
	s_nop 0
	v_mov_b32_dpp v58, v54 row_shr:2 row_mask:0xf bank_mask:0xf
	v_cmp_lt_u32_e64 s[52:53], 1, v57
	s_and_saveexec_b64 s[60:61], s[52:53]
; %bb.230:
	v_and_b32_e32 v56, 0xff0000, v54
	v_cmp_eq_u32_e64 s[52:53], 0, v56
	v_and_b32_e32 v54, 0x10000, v54
	s_nop 0
	v_cndmask_b32_e64 v56, 0, v58, s[52:53]
	v_add_u16_e32 v55, v56, v55
	v_mov_b32_e32 v56, 1
	v_and_b32_sdwa v56, v58, v56 dst_sel:DWORD dst_unused:UNUSED_PAD src0_sel:WORD_1 src1_sel:DWORD
	v_cmp_eq_u32_e64 s[52:53], 0, v54
	s_nop 1
	v_cndmask_b32_e64 v56, 1, v56, s[52:53]
; %bb.231:
	s_or_b64 exec, exec, s[60:61]
	ds_write_b16 v53, v55
	ds_write_b8 v53, v56 offset:2
.LBB1291_232:
	s_or_b64 exec, exec, s[54:55]
	v_cmp_lt_u32_e64 s[52:53], 63, v0
	v_mov_b32_e32 v53, 0
	s_waitcnt lgkmcnt(0)
	s_barrier
	s_and_saveexec_b64 s[54:55], s[52:53]
	s_cbranch_execz .LBB1291_234
; %bb.233:
	v_lshl_add_u32 v52, v52, 2, -4
	ds_read_u16 v53, v52
	ds_read_u8 v52, v52 offset:2
	v_mov_b32_e32 v54, 0
	v_and_b32_e32 v55, 1, v49
	v_cmp_eq_u16_sdwa s[52:53], v49, v54 src0_sel:BYTE_0 src1_sel:DWORD
	s_waitcnt lgkmcnt(1)
	s_nop 0
	v_cndmask_b32_e64 v49, 0, v53, s[52:53]
	v_cmp_eq_u32_e64 s[52:53], 1, v55
	v_add_u16_e32 v48, v49, v48
	s_waitcnt lgkmcnt(0)
	v_cndmask_b32_e64 v49, v52, 1, s[52:53]
.LBB1291_234:
	s_or_b64 exec, exec, s[54:55]
	v_and_b32_e32 v49, 0xff, v49
	v_and_b32_e32 v48, 0xffff, v48
	v_lshl_or_b32 v48, v49, 16, v48
	v_add_u32_e32 v49, -1, v33
	v_and_b32_e32 v52, 64, v33
	v_cmp_lt_i32_e64 s[52:53], v49, v52
	s_nop 1
	v_cndmask_b32_e64 v49, v49, v33, s[52:53]
	v_lshlrev_b32_e32 v49, 2, v49
	ds_bpermute_b32 v48, v49, v48
	s_and_saveexec_b64 s[52:53], s[2:3]
	s_cbranch_execz .LBB1291_236
; %bb.235:
	v_cmp_eq_u32_e64 s[2:3], 0, v33
	v_and_b32_e32 v23, 0xff0000, v1
	v_mov_b32_e32 v47, 0
	s_waitcnt lgkmcnt(0)
	v_cndmask_b32_e64 v22, v48, v53, s[2:3]
	v_and_b32_e32 v22, 0xffff, v22
	v_cmp_eq_u32_e64 s[2:3], 0, v23
	;;#ASMSTART
	;;#ASMEND
	s_nop 1
	v_cndmask_b32_e64 v22, 0, v22, s[2:3]
	v_add_u32_e32 v1, v22, v1
	v_cndmask_b32_e64 v22, 0, v1, s[4:5]
	v_add_u16_e32 v22, v22, v50
	v_cndmask_b32_e64 v23, 0, v22, s[6:7]
	v_add_u16_e32 v23, v23, v51
	;; [unrolled: 2-line block ×23, first 2 shown]
.LBB1291_236:
	s_or_b64 exec, exec, s[52:53]
	s_and_saveexec_b64 s[2:3], vcc
	s_cbranch_execz .LBB1291_238
; %bb.237:
	v_mov_b32_e32 v4, 0
	ds_read_u8 v2, v4 offset:14
	ds_read_u16 v3, v4 offset:12
	s_waitcnt lgkmcnt(1)
	v_lshlrev_b32_e32 v2, 16, v2
	s_waitcnt lgkmcnt(0)
	v_or_b32_e32 v2, v2, v3
	v_mov_b32_e32 v3, 2
	global_store_dwordx2 v4, v[2:3], s[68:69] offset:512 sc1
.LBB1291_238:
	s_or_b64 exec, exec, s[2:3]
	v_lshl_or_b32 v47, v47, 16, v1
.LBB1291_239:
	s_add_u32 s2, s58, s72
	s_addc_u32 s3, s59, s73
	s_add_u32 s2, s2, s56
	s_addc_u32 s3, s3, s57
	s_and_b64 vcc, exec, s[0:1]
	v_mul_u32_u24_e32 v6, 24, v0
	s_cbranch_vccz .LBB1291_291
; %bb.240:
	s_add_i32 s33, s33, s70
	v_cmp_le_u32_e32 vcc, s33, v6
                                        ; implicit-def: $vgpr1
                                        ; implicit-def: $vgpr2
                                        ; implicit-def: $vgpr3
                                        ; implicit-def: $vgpr4
                                        ; implicit-def: $vgpr5
                                        ; implicit-def: $vgpr7
                                        ; implicit-def: $vgpr8
	s_and_saveexec_b64 s[0:1], vcc
	s_xor_b64 s[0:1], exec, s[0:1]
; %bb.241:
	v_or_b32_e32 v1, 1, v6
	v_or_b32_e32 v2, 2, v6
	;; [unrolled: 1-line block ×7, first 2 shown]
; %bb.242:
	s_andn2_saveexec_b64 s[0:1], s[0:1]
; %bb.243:
	v_or_b32_e32 v1, 1, v6
	v_or_b32_e32 v2, 2, v6
	;; [unrolled: 1-line block ×7, first 2 shown]
; %bb.244:
	s_or_b64 exec, exec, s[0:1]
	v_lshlrev_b32_e32 v50, 1, v6
	v_lshlrev_b32_e32 v1, 1, v1
	s_waitcnt lgkmcnt(0)
	s_barrier
	ds_write_b16 v50, v47
	ds_write_b16 v1, v22
	v_lshlrev_b32_e32 v1, 1, v2
	ds_write_b16 v1, v23
	v_lshlrev_b32_e32 v1, 1, v3
	;; [unrolled: 2-line block ×5, first 2 shown]
	s_mov_b32 s0, 0x5040100
	ds_write_b16 v1, v27
	v_lshlrev_b32_e32 v1, 1, v8
	v_perm_b32 v5, v39, v37, s0
	v_perm_b32 v4, v36, v35, s0
	;; [unrolled: 1-line block ×4, first 2 shown]
	ds_write_b16 v1, v29
	ds_write_b128 v50, v[2:5] offset:16
	v_perm_b32 v5, v46, v45, s0
	v_perm_b32 v4, v44, v43, s0
	;; [unrolled: 1-line block ×4, first 2 shown]
	s_movk_i32 s0, 0xffd2
	ds_write_b128 v50, v[2:5] offset:32
	v_mad_i32_i24 v2, v0, s0, v50
	s_waitcnt lgkmcnt(0)
	s_barrier
	ds_read_u16 v53, v2 offset:512
	ds_read_u16 v52, v2 offset:1024
	;; [unrolled: 1-line block ×23, first 2 shown]
	v_mov_b32_e32 v3, 0
	v_lshlrev_b32_e32 v2, 1, v0
	v_lshl_add_u64 v[4:5], s[2:3], 0, v[2:3]
	v_cmp_gt_u32_e32 vcc, s33, v0
	s_and_saveexec_b64 s[0:1], vcc
	s_cbranch_execz .LBB1291_246
; %bb.245:
	v_mul_i32_i24_e32 v2, 0xffffffd2, v0
	v_add_u32_e32 v2, v50, v2
	ds_read_u16 v2, v2
	s_waitcnt lgkmcnt(0)
	flat_store_short v[4:5], v2
.LBB1291_246:
	s_or_b64 exec, exec, s[0:1]
	v_or_b32_e32 v2, 0x100, v0
	v_cmp_gt_u32_e32 vcc, s33, v2
	s_and_saveexec_b64 s[0:1], vcc
	s_cbranch_execz .LBB1291_248
; %bb.247:
	s_waitcnt lgkmcnt(0)
	flat_store_short v[4:5], v53 offset:512
.LBB1291_248:
	s_or_b64 exec, exec, s[0:1]
	v_or_b32_e32 v2, 0x200, v0
	v_cmp_gt_u32_e32 vcc, s33, v2
	s_and_saveexec_b64 s[0:1], vcc
	s_cbranch_execz .LBB1291_250
; %bb.249:
	s_waitcnt lgkmcnt(0)
	flat_store_short v[4:5], v52 offset:1024
.LBB1291_250:
	;; [unrolled: 9-line block ×7, first 2 shown]
	s_or_b64 exec, exec, s[0:1]
	v_or_b32_e32 v2, 0x800, v0
	v_cmp_gt_u32_e32 vcc, s33, v2
	s_and_saveexec_b64 s[0:1], vcc
	s_cbranch_execz .LBB1291_262
; %bb.261:
	s_waitcnt lgkmcnt(0)
	v_add_co_u32_e32 v32, vcc, 0x1000, v4
	s_nop 1
	v_addc_co_u32_e32 v33, vcc, 0, v5, vcc
	flat_store_short v[32:33], v21
.LBB1291_262:
	s_or_b64 exec, exec, s[0:1]
	v_or_b32_e32 v2, 0x900, v0
	v_cmp_gt_u32_e32 vcc, s33, v2
	s_and_saveexec_b64 s[0:1], vcc
	s_cbranch_execz .LBB1291_264
; %bb.263:
	s_waitcnt lgkmcnt(0)
	v_add_co_u32_e32 v32, vcc, 0x1000, v4
	s_nop 1
	v_addc_co_u32_e32 v33, vcc, 0, v5, vcc
	flat_store_short v[32:33], v20 offset:512
.LBB1291_264:
	s_or_b64 exec, exec, s[0:1]
	v_or_b32_e32 v2, 0xa00, v0
	v_cmp_gt_u32_e32 vcc, s33, v2
	s_and_saveexec_b64 s[0:1], vcc
	s_cbranch_execz .LBB1291_266
; %bb.265:
	s_waitcnt lgkmcnt(0)
	v_add_co_u32_e32 v20, vcc, 0x1000, v4
	s_nop 1
	v_addc_co_u32_e32 v21, vcc, 0, v5, vcc
	flat_store_short v[20:21], v19 offset:1024
.LBB1291_266:
	;; [unrolled: 12-line block ×7, first 2 shown]
	s_or_b64 exec, exec, s[0:1]
	v_or_b32_e32 v2, 0x1000, v0
	v_cmp_gt_u32_e32 vcc, s33, v2
	s_and_saveexec_b64 s[0:1], vcc
	s_cbranch_execz .LBB1291_278
; %bb.277:
	s_waitcnt lgkmcnt(0)
	v_add_co_u32_e32 v14, vcc, 0x2000, v4
	s_nop 1
	v_addc_co_u32_e32 v15, vcc, 0, v5, vcc
	flat_store_short v[14:15], v13
.LBB1291_278:
	s_or_b64 exec, exec, s[0:1]
	v_or_b32_e32 v2, 0x1100, v0
	v_cmp_gt_u32_e32 vcc, s33, v2
	s_and_saveexec_b64 s[0:1], vcc
	s_cbranch_execz .LBB1291_280
; %bb.279:
	s_waitcnt lgkmcnt(0)
	v_add_co_u32_e32 v14, vcc, 0x2000, v4
	s_nop 1
	v_addc_co_u32_e32 v15, vcc, 0, v5, vcc
	flat_store_short v[14:15], v12 offset:512
.LBB1291_280:
	s_or_b64 exec, exec, s[0:1]
	v_or_b32_e32 v2, 0x1200, v0
	v_cmp_gt_u32_e32 vcc, s33, v2
	s_and_saveexec_b64 s[0:1], vcc
	s_cbranch_execz .LBB1291_282
; %bb.281:
	s_waitcnt lgkmcnt(0)
	v_add_co_u32_e32 v12, vcc, 0x2000, v4
	s_nop 1
	v_addc_co_u32_e32 v13, vcc, 0, v5, vcc
	flat_store_short v[12:13], v11 offset:1024
.LBB1291_282:
	;; [unrolled: 12-line block ×5, first 2 shown]
	s_or_b64 exec, exec, s[0:1]
	v_or_b32_e32 v2, 0x1600, v0
	v_cmp_gt_u32_e32 vcc, s33, v2
	s_and_saveexec_b64 s[0:1], vcc
	s_cbranch_execz .LBB1291_290
; %bb.289:
	v_add_co_u32_e32 v4, vcc, 0x2000, v4
	s_nop 1
	v_addc_co_u32_e32 v5, vcc, 0, v5, vcc
	s_waitcnt lgkmcnt(0)
	flat_store_short v[4:5], v1 offset:3072
.LBB1291_290:
	s_or_b64 exec, exec, s[0:1]
	v_or_b32_e32 v2, 0x1700, v0
	s_waitcnt lgkmcnt(0)
	v_mov_b32_e32 v1, v3
	v_cmp_gt_u32_e64 s[0:1], s33, v2
	s_branch .LBB1291_293
.LBB1291_291:
	s_mov_b64 s[0:1], 0
                                        ; implicit-def: $vgpr7
	s_cbranch_execz .LBB1291_293
; %bb.292:
	s_mov_b32 s4, 0x5040100
	v_lshlrev_b32_e32 v6, 1, v6
	v_perm_b32 v5, v29, v27, s4
	v_perm_b32 v4, v26, v25, s4
	;; [unrolled: 1-line block ×4, first 2 shown]
	s_waitcnt lgkmcnt(0)
	s_barrier
	ds_write_b128 v6, v[2:5]
	v_perm_b32 v5, v39, v37, s4
	v_perm_b32 v4, v36, v35, s4
	;; [unrolled: 1-line block ×4, first 2 shown]
	ds_write_b128 v6, v[2:5] offset:16
	v_perm_b32 v4, v44, v43, s4
	v_perm_b32 v3, v42, v41, s4
	;; [unrolled: 1-line block ×4, first 2 shown]
	s_movk_i32 s4, 0xffd2
	ds_write_b128 v6, v[2:5] offset:32
	v_mov_b32_e32 v1, 0
	v_mad_i32_i24 v2, v0, s4, v6
	s_waitcnt lgkmcnt(0)
	s_barrier
	ds_read_u16 v4, v2
	ds_read_u16 v5, v2 offset:512
	ds_read_u16 v6, v2 offset:1024
	;; [unrolled: 1-line block ×23, first 2 shown]
	v_lshlrev_b32_e32 v2, 1, v0
	v_mov_b32_e32 v3, v1
	v_lshl_add_u64 v[2:3], s[2:3], 0, v[2:3]
	s_movk_i32 s4, 0x1000
	s_waitcnt lgkmcnt(0)
	flat_store_short v[2:3], v4
	flat_store_short v[2:3], v5 offset:512
	flat_store_short v[2:3], v6 offset:1024
	;; [unrolled: 1-line block ×7, first 2 shown]
	v_add_co_u32_e32 v4, vcc, s4, v2
	s_or_b64 s[0:1], s[0:1], exec
	s_nop 0
	v_addc_co_u32_e32 v5, vcc, 0, v3, vcc
	v_add_co_u32_e32 v2, vcc, 0x2000, v2
	flat_store_short v[4:5], v13
	flat_store_short v[4:5], v14 offset:512
	flat_store_short v[4:5], v15 offset:1024
	;; [unrolled: 1-line block ×7, first 2 shown]
	v_addc_co_u32_e32 v3, vcc, 0, v3, vcc
	flat_store_short v[2:3], v21
	flat_store_short v[2:3], v22 offset:512
	flat_store_short v[2:3], v23 offset:1024
	flat_store_short v[2:3], v24 offset:1536
	flat_store_short v[2:3], v25 offset:2048
	flat_store_short v[2:3], v26 offset:2560
	flat_store_short v[2:3], v27 offset:3072
.LBB1291_293:
	s_and_saveexec_b64 s[4:5], s[0:1]
	s_cbranch_execnz .LBB1291_295
; %bb.294:
	s_endpgm
.LBB1291_295:
	v_lshl_add_u64 v[0:1], v[0:1], 1, s[2:3]
	v_add_co_u32_e32 v0, vcc, 0x2000, v0
	s_nop 1
	v_addc_co_u32_e32 v1, vcc, 0, v1, vcc
	flat_store_short v[0:1], v7 offset:3584
	s_endpgm
.LBB1291_296:
	v_lshlrev_b32_e32 v2, 1, v0
	v_lshl_add_u64 v[2:3], s[54:55], 0, v[2:3]
	flat_load_ushort v2, v[2:3]
	s_or_b64 exec, exec, s[60:61]
                                        ; implicit-def: $vgpr3
	s_and_saveexec_b64 s[52:53], s[4:5]
	s_cbranch_execz .LBB1291_57
.LBB1291_297:
	v_lshlrev_b32_e32 v20, 1, v0
	v_mov_b32_e32 v21, 0
	v_lshl_add_u64 v[20:21], s[54:55], 0, v[20:21]
	flat_load_ushort v3, v[20:21] offset:512
	s_or_b64 exec, exec, s[52:53]
                                        ; implicit-def: $vgpr20
	s_and_saveexec_b64 s[4:5], s[6:7]
	s_cbranch_execz .LBB1291_58
.LBB1291_298:
	v_lshlrev_b32_e32 v20, 1, v0
	v_mov_b32_e32 v21, 0
	v_lshl_add_u64 v[20:21], s[54:55], 0, v[20:21]
	flat_load_ushort v20, v[20:21] offset:1024
	s_or_b64 exec, exec, s[4:5]
                                        ; implicit-def: $vgpr21
	s_and_saveexec_b64 s[4:5], s[8:9]
	s_cbranch_execz .LBB1291_59
.LBB1291_299:
	v_lshlrev_b32_e32 v48, 1, v0
	v_mov_b32_e32 v49, 0
	v_lshl_add_u64 v[48:49], s[54:55], 0, v[48:49]
	flat_load_ushort v21, v[48:49] offset:1536
	s_or_b64 exec, exec, s[4:5]
                                        ; implicit-def: $vgpr47
	s_and_saveexec_b64 s[4:5], s[10:11]
	s_cbranch_execz .LBB1291_60
.LBB1291_300:
	v_lshlrev_b32_e32 v48, 1, v0
	v_mov_b32_e32 v49, 0
	v_lshl_add_u64 v[48:49], s[54:55], 0, v[48:49]
	flat_load_ushort v47, v[48:49] offset:2048
	s_or_b64 exec, exec, s[4:5]
                                        ; implicit-def: $vgpr48
	s_and_saveexec_b64 s[4:5], s[12:13]
	s_cbranch_execz .LBB1291_61
.LBB1291_301:
	v_lshlrev_b32_e32 v48, 1, v0
	v_mov_b32_e32 v49, 0
	v_lshl_add_u64 v[48:49], s[54:55], 0, v[48:49]
	flat_load_ushort v48, v[48:49] offset:2560
	s_or_b64 exec, exec, s[4:5]
                                        ; implicit-def: $vgpr49
	s_and_saveexec_b64 s[4:5], s[14:15]
	s_cbranch_execz .LBB1291_62
.LBB1291_302:
	v_lshlrev_b32_e32 v50, 1, v0
	v_mov_b32_e32 v51, 0
	v_lshl_add_u64 v[50:51], s[54:55], 0, v[50:51]
	flat_load_ushort v49, v[50:51] offset:3072
	s_or_b64 exec, exec, s[4:5]
                                        ; implicit-def: $vgpr50
	s_and_saveexec_b64 s[4:5], s[16:17]
	s_cbranch_execz .LBB1291_63
.LBB1291_303:
	v_lshlrev_b32_e32 v50, 1, v0
	v_mov_b32_e32 v51, 0
	v_lshl_add_u64 v[50:51], s[54:55], 0, v[50:51]
	flat_load_ushort v50, v[50:51] offset:3584
	s_or_b64 exec, exec, s[4:5]
                                        ; implicit-def: $vgpr51
	s_and_saveexec_b64 s[4:5], s[18:19]
	s_cbranch_execz .LBB1291_64
.LBB1291_304:
	v_lshlrev_b32_e32 v52, 1, v1
	v_mov_b32_e32 v53, 0
	v_lshl_add_u64 v[52:53], s[54:55], 0, v[52:53]
	flat_load_ushort v51, v[52:53]
	s_or_b64 exec, exec, s[4:5]
                                        ; implicit-def: $vgpr1
	s_and_saveexec_b64 s[4:5], s[20:21]
	s_cbranch_execz .LBB1291_65
.LBB1291_305:
	v_lshlrev_b32_e32 v52, 1, v4
	v_mov_b32_e32 v53, 0
	v_lshl_add_u64 v[52:53], s[54:55], 0, v[52:53]
	flat_load_ushort v1, v[52:53]
	s_or_b64 exec, exec, s[4:5]
                                        ; implicit-def: $vgpr4
	s_and_saveexec_b64 s[4:5], s[22:23]
	s_cbranch_execz .LBB1291_66
.LBB1291_306:
	v_lshlrev_b32_e32 v4, 1, v5
	v_mov_b32_e32 v5, 0
	v_lshl_add_u64 v[4:5], s[54:55], 0, v[4:5]
	flat_load_ushort v4, v[4:5]
	s_or_b64 exec, exec, s[4:5]
                                        ; implicit-def: $vgpr5
	s_and_saveexec_b64 s[4:5], s[24:25]
	s_cbranch_execz .LBB1291_67
.LBB1291_307:
	v_lshlrev_b32_e32 v52, 1, v6
	v_mov_b32_e32 v53, 0
	v_lshl_add_u64 v[52:53], s[54:55], 0, v[52:53]
	flat_load_ushort v5, v[52:53]
	s_or_b64 exec, exec, s[4:5]
                                        ; implicit-def: $vgpr6
	s_and_saveexec_b64 s[4:5], s[26:27]
	s_cbranch_execz .LBB1291_68
.LBB1291_308:
	v_lshlrev_b32_e32 v6, 1, v7
	v_mov_b32_e32 v7, 0
	v_lshl_add_u64 v[6:7], s[54:55], 0, v[6:7]
	flat_load_ushort v6, v[6:7]
	s_or_b64 exec, exec, s[4:5]
                                        ; implicit-def: $vgpr7
	s_and_saveexec_b64 s[4:5], s[28:29]
	s_cbranch_execz .LBB1291_69
.LBB1291_309:
	v_lshlrev_b32_e32 v52, 1, v8
	v_mov_b32_e32 v53, 0
	v_lshl_add_u64 v[52:53], s[54:55], 0, v[52:53]
	flat_load_ushort v7, v[52:53]
	s_or_b64 exec, exec, s[4:5]
                                        ; implicit-def: $vgpr8
	s_and_saveexec_b64 s[4:5], s[30:31]
	s_cbranch_execz .LBB1291_70
.LBB1291_310:
	v_lshlrev_b32_e32 v8, 1, v9
	v_mov_b32_e32 v9, 0
	v_lshl_add_u64 v[8:9], s[54:55], 0, v[8:9]
	flat_load_ushort v8, v[8:9]
	s_or_b64 exec, exec, s[4:5]
                                        ; implicit-def: $vgpr9
	s_and_saveexec_b64 s[4:5], s[34:35]
	s_cbranch_execz .LBB1291_71
.LBB1291_311:
	v_lshlrev_b32_e32 v52, 1, v10
	v_mov_b32_e32 v53, 0
	v_lshl_add_u64 v[52:53], s[54:55], 0, v[52:53]
	flat_load_ushort v9, v[52:53]
	s_or_b64 exec, exec, s[4:5]
                                        ; implicit-def: $vgpr10
	s_and_saveexec_b64 s[4:5], s[36:37]
	s_cbranch_execz .LBB1291_72
.LBB1291_312:
	v_lshlrev_b32_e32 v10, 1, v11
	v_mov_b32_e32 v11, 0
	v_lshl_add_u64 v[10:11], s[54:55], 0, v[10:11]
	flat_load_ushort v10, v[10:11]
	s_or_b64 exec, exec, s[4:5]
                                        ; implicit-def: $vgpr11
	s_and_saveexec_b64 s[4:5], s[38:39]
	s_cbranch_execz .LBB1291_73
.LBB1291_313:
	v_lshlrev_b32_e32 v52, 1, v12
	v_mov_b32_e32 v53, 0
	v_lshl_add_u64 v[52:53], s[54:55], 0, v[52:53]
	flat_load_ushort v11, v[52:53]
	s_or_b64 exec, exec, s[4:5]
                                        ; implicit-def: $vgpr12
	s_and_saveexec_b64 s[4:5], s[40:41]
	s_cbranch_execz .LBB1291_74
.LBB1291_314:
	v_lshlrev_b32_e32 v12, 1, v13
	v_mov_b32_e32 v13, 0
	v_lshl_add_u64 v[12:13], s[54:55], 0, v[12:13]
	flat_load_ushort v12, v[12:13]
	s_or_b64 exec, exec, s[4:5]
                                        ; implicit-def: $vgpr13
	s_and_saveexec_b64 s[4:5], s[42:43]
	s_cbranch_execz .LBB1291_75
.LBB1291_315:
	v_lshlrev_b32_e32 v52, 1, v14
	v_mov_b32_e32 v53, 0
	v_lshl_add_u64 v[52:53], s[54:55], 0, v[52:53]
	flat_load_ushort v13, v[52:53]
	s_or_b64 exec, exec, s[4:5]
                                        ; implicit-def: $vgpr14
	s_and_saveexec_b64 s[4:5], s[44:45]
	s_cbranch_execz .LBB1291_76
.LBB1291_316:
	v_lshlrev_b32_e32 v14, 1, v15
	v_mov_b32_e32 v15, 0
	v_lshl_add_u64 v[14:15], s[54:55], 0, v[14:15]
	flat_load_ushort v14, v[14:15]
	s_or_b64 exec, exec, s[4:5]
                                        ; implicit-def: $vgpr15
	s_and_saveexec_b64 s[4:5], s[46:47]
	s_cbranch_execz .LBB1291_77
.LBB1291_317:
	v_lshlrev_b32_e32 v52, 1, v16
	v_mov_b32_e32 v53, 0
	v_lshl_add_u64 v[52:53], s[54:55], 0, v[52:53]
	flat_load_ushort v15, v[52:53]
	s_or_b64 exec, exec, s[4:5]
                                        ; implicit-def: $vgpr16
	s_and_saveexec_b64 s[4:5], s[48:49]
	s_cbranch_execz .LBB1291_78
.LBB1291_318:
	v_lshlrev_b32_e32 v16, 1, v17
	v_mov_b32_e32 v17, 0
	v_lshl_add_u64 v[16:17], s[54:55], 0, v[16:17]
	flat_load_ushort v16, v[16:17]
	s_or_b64 exec, exec, s[4:5]
                                        ; implicit-def: $vgpr17
	s_and_saveexec_b64 s[4:5], s[50:51]
	s_cbranch_execnz .LBB1291_79
	s_branch .LBB1291_80
.LBB1291_319:
                                        ; implicit-def: $sgpr60_sgpr61
	s_branch .LBB1291_52
.LBB1291_320:
                                        ; implicit-def: $sgpr4_sgpr5
	s_branch .LBB1291_131
	.section	.rodata,"a",@progbits
	.p2align	6, 0x0
	.amdhsa_kernel _ZN7rocprim17ROCPRIM_400000_NS6detail17trampoline_kernelINS0_14default_configENS1_27scan_by_key_config_selectorIitEEZZNS1_16scan_by_key_implILNS1_25lookback_scan_determinismE0ELb0ES3_N6thrust23THRUST_200600_302600_NS6detail15normal_iteratorINS9_10device_ptrIiEEEENSB_INSC_ItEEEESG_tNS9_4plusIvEENS9_8equal_toIvEEtEE10hipError_tPvRmT2_T3_T4_T5_mT6_T7_P12ihipStream_tbENKUlT_T0_E_clISt17integral_constantIbLb1EES10_IbLb0EEEEDaSW_SX_EUlSW_E_NS1_11comp_targetILNS1_3genE5ELNS1_11target_archE942ELNS1_3gpuE9ELNS1_3repE0EEENS1_30default_config_static_selectorELNS0_4arch9wavefront6targetE1EEEvT1_
		.amdhsa_group_segment_fixed_size 26624
		.amdhsa_private_segment_fixed_size 0
		.amdhsa_kernarg_size 112
		.amdhsa_user_sgpr_count 2
		.amdhsa_user_sgpr_dispatch_ptr 0
		.amdhsa_user_sgpr_queue_ptr 0
		.amdhsa_user_sgpr_kernarg_segment_ptr 1
		.amdhsa_user_sgpr_dispatch_id 0
		.amdhsa_user_sgpr_kernarg_preload_length 0
		.amdhsa_user_sgpr_kernarg_preload_offset 0
		.amdhsa_user_sgpr_private_segment_size 0
		.amdhsa_uses_dynamic_stack 0
		.amdhsa_enable_private_segment 0
		.amdhsa_system_sgpr_workgroup_id_x 1
		.amdhsa_system_sgpr_workgroup_id_y 0
		.amdhsa_system_sgpr_workgroup_id_z 0
		.amdhsa_system_sgpr_workgroup_info 0
		.amdhsa_system_vgpr_workitem_id 0
		.amdhsa_next_free_vgpr 62
		.amdhsa_next_free_sgpr 84
		.amdhsa_accum_offset 64
		.amdhsa_reserve_vcc 1
		.amdhsa_float_round_mode_32 0
		.amdhsa_float_round_mode_16_64 0
		.amdhsa_float_denorm_mode_32 3
		.amdhsa_float_denorm_mode_16_64 3
		.amdhsa_dx10_clamp 1
		.amdhsa_ieee_mode 1
		.amdhsa_fp16_overflow 0
		.amdhsa_tg_split 0
		.amdhsa_exception_fp_ieee_invalid_op 0
		.amdhsa_exception_fp_denorm_src 0
		.amdhsa_exception_fp_ieee_div_zero 0
		.amdhsa_exception_fp_ieee_overflow 0
		.amdhsa_exception_fp_ieee_underflow 0
		.amdhsa_exception_fp_ieee_inexact 0
		.amdhsa_exception_int_div_zero 0
	.end_amdhsa_kernel
	.section	.text._ZN7rocprim17ROCPRIM_400000_NS6detail17trampoline_kernelINS0_14default_configENS1_27scan_by_key_config_selectorIitEEZZNS1_16scan_by_key_implILNS1_25lookback_scan_determinismE0ELb0ES3_N6thrust23THRUST_200600_302600_NS6detail15normal_iteratorINS9_10device_ptrIiEEEENSB_INSC_ItEEEESG_tNS9_4plusIvEENS9_8equal_toIvEEtEE10hipError_tPvRmT2_T3_T4_T5_mT6_T7_P12ihipStream_tbENKUlT_T0_E_clISt17integral_constantIbLb1EES10_IbLb0EEEEDaSW_SX_EUlSW_E_NS1_11comp_targetILNS1_3genE5ELNS1_11target_archE942ELNS1_3gpuE9ELNS1_3repE0EEENS1_30default_config_static_selectorELNS0_4arch9wavefront6targetE1EEEvT1_,"axG",@progbits,_ZN7rocprim17ROCPRIM_400000_NS6detail17trampoline_kernelINS0_14default_configENS1_27scan_by_key_config_selectorIitEEZZNS1_16scan_by_key_implILNS1_25lookback_scan_determinismE0ELb0ES3_N6thrust23THRUST_200600_302600_NS6detail15normal_iteratorINS9_10device_ptrIiEEEENSB_INSC_ItEEEESG_tNS9_4plusIvEENS9_8equal_toIvEEtEE10hipError_tPvRmT2_T3_T4_T5_mT6_T7_P12ihipStream_tbENKUlT_T0_E_clISt17integral_constantIbLb1EES10_IbLb0EEEEDaSW_SX_EUlSW_E_NS1_11comp_targetILNS1_3genE5ELNS1_11target_archE942ELNS1_3gpuE9ELNS1_3repE0EEENS1_30default_config_static_selectorELNS0_4arch9wavefront6targetE1EEEvT1_,comdat
.Lfunc_end1291:
	.size	_ZN7rocprim17ROCPRIM_400000_NS6detail17trampoline_kernelINS0_14default_configENS1_27scan_by_key_config_selectorIitEEZZNS1_16scan_by_key_implILNS1_25lookback_scan_determinismE0ELb0ES3_N6thrust23THRUST_200600_302600_NS6detail15normal_iteratorINS9_10device_ptrIiEEEENSB_INSC_ItEEEESG_tNS9_4plusIvEENS9_8equal_toIvEEtEE10hipError_tPvRmT2_T3_T4_T5_mT6_T7_P12ihipStream_tbENKUlT_T0_E_clISt17integral_constantIbLb1EES10_IbLb0EEEEDaSW_SX_EUlSW_E_NS1_11comp_targetILNS1_3genE5ELNS1_11target_archE942ELNS1_3gpuE9ELNS1_3repE0EEENS1_30default_config_static_selectorELNS0_4arch9wavefront6targetE1EEEvT1_, .Lfunc_end1291-_ZN7rocprim17ROCPRIM_400000_NS6detail17trampoline_kernelINS0_14default_configENS1_27scan_by_key_config_selectorIitEEZZNS1_16scan_by_key_implILNS1_25lookback_scan_determinismE0ELb0ES3_N6thrust23THRUST_200600_302600_NS6detail15normal_iteratorINS9_10device_ptrIiEEEENSB_INSC_ItEEEESG_tNS9_4plusIvEENS9_8equal_toIvEEtEE10hipError_tPvRmT2_T3_T4_T5_mT6_T7_P12ihipStream_tbENKUlT_T0_E_clISt17integral_constantIbLb1EES10_IbLb0EEEEDaSW_SX_EUlSW_E_NS1_11comp_targetILNS1_3genE5ELNS1_11target_archE942ELNS1_3gpuE9ELNS1_3repE0EEENS1_30default_config_static_selectorELNS0_4arch9wavefront6targetE1EEEvT1_
                                        ; -- End function
	.section	.AMDGPU.csdata,"",@progbits
; Kernel info:
; codeLenInByte = 16228
; NumSgprs: 90
; NumVgprs: 62
; NumAgprs: 0
; TotalNumVgprs: 62
; ScratchSize: 0
; MemoryBound: 0
; FloatMode: 240
; IeeeMode: 1
; LDSByteSize: 26624 bytes/workgroup (compile time only)
; SGPRBlocks: 11
; VGPRBlocks: 7
; NumSGPRsForWavesPerEU: 90
; NumVGPRsForWavesPerEU: 62
; AccumOffset: 64
; Occupancy: 2
; WaveLimiterHint : 1
; COMPUTE_PGM_RSRC2:SCRATCH_EN: 0
; COMPUTE_PGM_RSRC2:USER_SGPR: 2
; COMPUTE_PGM_RSRC2:TRAP_HANDLER: 0
; COMPUTE_PGM_RSRC2:TGID_X_EN: 1
; COMPUTE_PGM_RSRC2:TGID_Y_EN: 0
; COMPUTE_PGM_RSRC2:TGID_Z_EN: 0
; COMPUTE_PGM_RSRC2:TIDIG_COMP_CNT: 0
; COMPUTE_PGM_RSRC3_GFX90A:ACCUM_OFFSET: 15
; COMPUTE_PGM_RSRC3_GFX90A:TG_SPLIT: 0
	.section	.text._ZN7rocprim17ROCPRIM_400000_NS6detail17trampoline_kernelINS0_14default_configENS1_27scan_by_key_config_selectorIitEEZZNS1_16scan_by_key_implILNS1_25lookback_scan_determinismE0ELb0ES3_N6thrust23THRUST_200600_302600_NS6detail15normal_iteratorINS9_10device_ptrIiEEEENSB_INSC_ItEEEESG_tNS9_4plusIvEENS9_8equal_toIvEEtEE10hipError_tPvRmT2_T3_T4_T5_mT6_T7_P12ihipStream_tbENKUlT_T0_E_clISt17integral_constantIbLb1EES10_IbLb0EEEEDaSW_SX_EUlSW_E_NS1_11comp_targetILNS1_3genE4ELNS1_11target_archE910ELNS1_3gpuE8ELNS1_3repE0EEENS1_30default_config_static_selectorELNS0_4arch9wavefront6targetE1EEEvT1_,"axG",@progbits,_ZN7rocprim17ROCPRIM_400000_NS6detail17trampoline_kernelINS0_14default_configENS1_27scan_by_key_config_selectorIitEEZZNS1_16scan_by_key_implILNS1_25lookback_scan_determinismE0ELb0ES3_N6thrust23THRUST_200600_302600_NS6detail15normal_iteratorINS9_10device_ptrIiEEEENSB_INSC_ItEEEESG_tNS9_4plusIvEENS9_8equal_toIvEEtEE10hipError_tPvRmT2_T3_T4_T5_mT6_T7_P12ihipStream_tbENKUlT_T0_E_clISt17integral_constantIbLb1EES10_IbLb0EEEEDaSW_SX_EUlSW_E_NS1_11comp_targetILNS1_3genE4ELNS1_11target_archE910ELNS1_3gpuE8ELNS1_3repE0EEENS1_30default_config_static_selectorELNS0_4arch9wavefront6targetE1EEEvT1_,comdat
	.protected	_ZN7rocprim17ROCPRIM_400000_NS6detail17trampoline_kernelINS0_14default_configENS1_27scan_by_key_config_selectorIitEEZZNS1_16scan_by_key_implILNS1_25lookback_scan_determinismE0ELb0ES3_N6thrust23THRUST_200600_302600_NS6detail15normal_iteratorINS9_10device_ptrIiEEEENSB_INSC_ItEEEESG_tNS9_4plusIvEENS9_8equal_toIvEEtEE10hipError_tPvRmT2_T3_T4_T5_mT6_T7_P12ihipStream_tbENKUlT_T0_E_clISt17integral_constantIbLb1EES10_IbLb0EEEEDaSW_SX_EUlSW_E_NS1_11comp_targetILNS1_3genE4ELNS1_11target_archE910ELNS1_3gpuE8ELNS1_3repE0EEENS1_30default_config_static_selectorELNS0_4arch9wavefront6targetE1EEEvT1_ ; -- Begin function _ZN7rocprim17ROCPRIM_400000_NS6detail17trampoline_kernelINS0_14default_configENS1_27scan_by_key_config_selectorIitEEZZNS1_16scan_by_key_implILNS1_25lookback_scan_determinismE0ELb0ES3_N6thrust23THRUST_200600_302600_NS6detail15normal_iteratorINS9_10device_ptrIiEEEENSB_INSC_ItEEEESG_tNS9_4plusIvEENS9_8equal_toIvEEtEE10hipError_tPvRmT2_T3_T4_T5_mT6_T7_P12ihipStream_tbENKUlT_T0_E_clISt17integral_constantIbLb1EES10_IbLb0EEEEDaSW_SX_EUlSW_E_NS1_11comp_targetILNS1_3genE4ELNS1_11target_archE910ELNS1_3gpuE8ELNS1_3repE0EEENS1_30default_config_static_selectorELNS0_4arch9wavefront6targetE1EEEvT1_
	.globl	_ZN7rocprim17ROCPRIM_400000_NS6detail17trampoline_kernelINS0_14default_configENS1_27scan_by_key_config_selectorIitEEZZNS1_16scan_by_key_implILNS1_25lookback_scan_determinismE0ELb0ES3_N6thrust23THRUST_200600_302600_NS6detail15normal_iteratorINS9_10device_ptrIiEEEENSB_INSC_ItEEEESG_tNS9_4plusIvEENS9_8equal_toIvEEtEE10hipError_tPvRmT2_T3_T4_T5_mT6_T7_P12ihipStream_tbENKUlT_T0_E_clISt17integral_constantIbLb1EES10_IbLb0EEEEDaSW_SX_EUlSW_E_NS1_11comp_targetILNS1_3genE4ELNS1_11target_archE910ELNS1_3gpuE8ELNS1_3repE0EEENS1_30default_config_static_selectorELNS0_4arch9wavefront6targetE1EEEvT1_
	.p2align	8
	.type	_ZN7rocprim17ROCPRIM_400000_NS6detail17trampoline_kernelINS0_14default_configENS1_27scan_by_key_config_selectorIitEEZZNS1_16scan_by_key_implILNS1_25lookback_scan_determinismE0ELb0ES3_N6thrust23THRUST_200600_302600_NS6detail15normal_iteratorINS9_10device_ptrIiEEEENSB_INSC_ItEEEESG_tNS9_4plusIvEENS9_8equal_toIvEEtEE10hipError_tPvRmT2_T3_T4_T5_mT6_T7_P12ihipStream_tbENKUlT_T0_E_clISt17integral_constantIbLb1EES10_IbLb0EEEEDaSW_SX_EUlSW_E_NS1_11comp_targetILNS1_3genE4ELNS1_11target_archE910ELNS1_3gpuE8ELNS1_3repE0EEENS1_30default_config_static_selectorELNS0_4arch9wavefront6targetE1EEEvT1_,@function
_ZN7rocprim17ROCPRIM_400000_NS6detail17trampoline_kernelINS0_14default_configENS1_27scan_by_key_config_selectorIitEEZZNS1_16scan_by_key_implILNS1_25lookback_scan_determinismE0ELb0ES3_N6thrust23THRUST_200600_302600_NS6detail15normal_iteratorINS9_10device_ptrIiEEEENSB_INSC_ItEEEESG_tNS9_4plusIvEENS9_8equal_toIvEEtEE10hipError_tPvRmT2_T3_T4_T5_mT6_T7_P12ihipStream_tbENKUlT_T0_E_clISt17integral_constantIbLb1EES10_IbLb0EEEEDaSW_SX_EUlSW_E_NS1_11comp_targetILNS1_3genE4ELNS1_11target_archE910ELNS1_3gpuE8ELNS1_3repE0EEENS1_30default_config_static_selectorELNS0_4arch9wavefront6targetE1EEEvT1_: ; @_ZN7rocprim17ROCPRIM_400000_NS6detail17trampoline_kernelINS0_14default_configENS1_27scan_by_key_config_selectorIitEEZZNS1_16scan_by_key_implILNS1_25lookback_scan_determinismE0ELb0ES3_N6thrust23THRUST_200600_302600_NS6detail15normal_iteratorINS9_10device_ptrIiEEEENSB_INSC_ItEEEESG_tNS9_4plusIvEENS9_8equal_toIvEEtEE10hipError_tPvRmT2_T3_T4_T5_mT6_T7_P12ihipStream_tbENKUlT_T0_E_clISt17integral_constantIbLb1EES10_IbLb0EEEEDaSW_SX_EUlSW_E_NS1_11comp_targetILNS1_3genE4ELNS1_11target_archE910ELNS1_3gpuE8ELNS1_3repE0EEENS1_30default_config_static_selectorELNS0_4arch9wavefront6targetE1EEEvT1_
; %bb.0:
	.section	.rodata,"a",@progbits
	.p2align	6, 0x0
	.amdhsa_kernel _ZN7rocprim17ROCPRIM_400000_NS6detail17trampoline_kernelINS0_14default_configENS1_27scan_by_key_config_selectorIitEEZZNS1_16scan_by_key_implILNS1_25lookback_scan_determinismE0ELb0ES3_N6thrust23THRUST_200600_302600_NS6detail15normal_iteratorINS9_10device_ptrIiEEEENSB_INSC_ItEEEESG_tNS9_4plusIvEENS9_8equal_toIvEEtEE10hipError_tPvRmT2_T3_T4_T5_mT6_T7_P12ihipStream_tbENKUlT_T0_E_clISt17integral_constantIbLb1EES10_IbLb0EEEEDaSW_SX_EUlSW_E_NS1_11comp_targetILNS1_3genE4ELNS1_11target_archE910ELNS1_3gpuE8ELNS1_3repE0EEENS1_30default_config_static_selectorELNS0_4arch9wavefront6targetE1EEEvT1_
		.amdhsa_group_segment_fixed_size 0
		.amdhsa_private_segment_fixed_size 0
		.amdhsa_kernarg_size 112
		.amdhsa_user_sgpr_count 2
		.amdhsa_user_sgpr_dispatch_ptr 0
		.amdhsa_user_sgpr_queue_ptr 0
		.amdhsa_user_sgpr_kernarg_segment_ptr 1
		.amdhsa_user_sgpr_dispatch_id 0
		.amdhsa_user_sgpr_kernarg_preload_length 0
		.amdhsa_user_sgpr_kernarg_preload_offset 0
		.amdhsa_user_sgpr_private_segment_size 0
		.amdhsa_uses_dynamic_stack 0
		.amdhsa_enable_private_segment 0
		.amdhsa_system_sgpr_workgroup_id_x 1
		.amdhsa_system_sgpr_workgroup_id_y 0
		.amdhsa_system_sgpr_workgroup_id_z 0
		.amdhsa_system_sgpr_workgroup_info 0
		.amdhsa_system_vgpr_workitem_id 0
		.amdhsa_next_free_vgpr 1
		.amdhsa_next_free_sgpr 0
		.amdhsa_accum_offset 4
		.amdhsa_reserve_vcc 0
		.amdhsa_float_round_mode_32 0
		.amdhsa_float_round_mode_16_64 0
		.amdhsa_float_denorm_mode_32 3
		.amdhsa_float_denorm_mode_16_64 3
		.amdhsa_dx10_clamp 1
		.amdhsa_ieee_mode 1
		.amdhsa_fp16_overflow 0
		.amdhsa_tg_split 0
		.amdhsa_exception_fp_ieee_invalid_op 0
		.amdhsa_exception_fp_denorm_src 0
		.amdhsa_exception_fp_ieee_div_zero 0
		.amdhsa_exception_fp_ieee_overflow 0
		.amdhsa_exception_fp_ieee_underflow 0
		.amdhsa_exception_fp_ieee_inexact 0
		.amdhsa_exception_int_div_zero 0
	.end_amdhsa_kernel
	.section	.text._ZN7rocprim17ROCPRIM_400000_NS6detail17trampoline_kernelINS0_14default_configENS1_27scan_by_key_config_selectorIitEEZZNS1_16scan_by_key_implILNS1_25lookback_scan_determinismE0ELb0ES3_N6thrust23THRUST_200600_302600_NS6detail15normal_iteratorINS9_10device_ptrIiEEEENSB_INSC_ItEEEESG_tNS9_4plusIvEENS9_8equal_toIvEEtEE10hipError_tPvRmT2_T3_T4_T5_mT6_T7_P12ihipStream_tbENKUlT_T0_E_clISt17integral_constantIbLb1EES10_IbLb0EEEEDaSW_SX_EUlSW_E_NS1_11comp_targetILNS1_3genE4ELNS1_11target_archE910ELNS1_3gpuE8ELNS1_3repE0EEENS1_30default_config_static_selectorELNS0_4arch9wavefront6targetE1EEEvT1_,"axG",@progbits,_ZN7rocprim17ROCPRIM_400000_NS6detail17trampoline_kernelINS0_14default_configENS1_27scan_by_key_config_selectorIitEEZZNS1_16scan_by_key_implILNS1_25lookback_scan_determinismE0ELb0ES3_N6thrust23THRUST_200600_302600_NS6detail15normal_iteratorINS9_10device_ptrIiEEEENSB_INSC_ItEEEESG_tNS9_4plusIvEENS9_8equal_toIvEEtEE10hipError_tPvRmT2_T3_T4_T5_mT6_T7_P12ihipStream_tbENKUlT_T0_E_clISt17integral_constantIbLb1EES10_IbLb0EEEEDaSW_SX_EUlSW_E_NS1_11comp_targetILNS1_3genE4ELNS1_11target_archE910ELNS1_3gpuE8ELNS1_3repE0EEENS1_30default_config_static_selectorELNS0_4arch9wavefront6targetE1EEEvT1_,comdat
.Lfunc_end1292:
	.size	_ZN7rocprim17ROCPRIM_400000_NS6detail17trampoline_kernelINS0_14default_configENS1_27scan_by_key_config_selectorIitEEZZNS1_16scan_by_key_implILNS1_25lookback_scan_determinismE0ELb0ES3_N6thrust23THRUST_200600_302600_NS6detail15normal_iteratorINS9_10device_ptrIiEEEENSB_INSC_ItEEEESG_tNS9_4plusIvEENS9_8equal_toIvEEtEE10hipError_tPvRmT2_T3_T4_T5_mT6_T7_P12ihipStream_tbENKUlT_T0_E_clISt17integral_constantIbLb1EES10_IbLb0EEEEDaSW_SX_EUlSW_E_NS1_11comp_targetILNS1_3genE4ELNS1_11target_archE910ELNS1_3gpuE8ELNS1_3repE0EEENS1_30default_config_static_selectorELNS0_4arch9wavefront6targetE1EEEvT1_, .Lfunc_end1292-_ZN7rocprim17ROCPRIM_400000_NS6detail17trampoline_kernelINS0_14default_configENS1_27scan_by_key_config_selectorIitEEZZNS1_16scan_by_key_implILNS1_25lookback_scan_determinismE0ELb0ES3_N6thrust23THRUST_200600_302600_NS6detail15normal_iteratorINS9_10device_ptrIiEEEENSB_INSC_ItEEEESG_tNS9_4plusIvEENS9_8equal_toIvEEtEE10hipError_tPvRmT2_T3_T4_T5_mT6_T7_P12ihipStream_tbENKUlT_T0_E_clISt17integral_constantIbLb1EES10_IbLb0EEEEDaSW_SX_EUlSW_E_NS1_11comp_targetILNS1_3genE4ELNS1_11target_archE910ELNS1_3gpuE8ELNS1_3repE0EEENS1_30default_config_static_selectorELNS0_4arch9wavefront6targetE1EEEvT1_
                                        ; -- End function
	.section	.AMDGPU.csdata,"",@progbits
; Kernel info:
; codeLenInByte = 0
; NumSgprs: 6
; NumVgprs: 0
; NumAgprs: 0
; TotalNumVgprs: 0
; ScratchSize: 0
; MemoryBound: 0
; FloatMode: 240
; IeeeMode: 1
; LDSByteSize: 0 bytes/workgroup (compile time only)
; SGPRBlocks: 0
; VGPRBlocks: 0
; NumSGPRsForWavesPerEU: 6
; NumVGPRsForWavesPerEU: 1
; AccumOffset: 4
; Occupancy: 8
; WaveLimiterHint : 0
; COMPUTE_PGM_RSRC2:SCRATCH_EN: 0
; COMPUTE_PGM_RSRC2:USER_SGPR: 2
; COMPUTE_PGM_RSRC2:TRAP_HANDLER: 0
; COMPUTE_PGM_RSRC2:TGID_X_EN: 1
; COMPUTE_PGM_RSRC2:TGID_Y_EN: 0
; COMPUTE_PGM_RSRC2:TGID_Z_EN: 0
; COMPUTE_PGM_RSRC2:TIDIG_COMP_CNT: 0
; COMPUTE_PGM_RSRC3_GFX90A:ACCUM_OFFSET: 0
; COMPUTE_PGM_RSRC3_GFX90A:TG_SPLIT: 0
	.section	.text._ZN7rocprim17ROCPRIM_400000_NS6detail17trampoline_kernelINS0_14default_configENS1_27scan_by_key_config_selectorIitEEZZNS1_16scan_by_key_implILNS1_25lookback_scan_determinismE0ELb0ES3_N6thrust23THRUST_200600_302600_NS6detail15normal_iteratorINS9_10device_ptrIiEEEENSB_INSC_ItEEEESG_tNS9_4plusIvEENS9_8equal_toIvEEtEE10hipError_tPvRmT2_T3_T4_T5_mT6_T7_P12ihipStream_tbENKUlT_T0_E_clISt17integral_constantIbLb1EES10_IbLb0EEEEDaSW_SX_EUlSW_E_NS1_11comp_targetILNS1_3genE3ELNS1_11target_archE908ELNS1_3gpuE7ELNS1_3repE0EEENS1_30default_config_static_selectorELNS0_4arch9wavefront6targetE1EEEvT1_,"axG",@progbits,_ZN7rocprim17ROCPRIM_400000_NS6detail17trampoline_kernelINS0_14default_configENS1_27scan_by_key_config_selectorIitEEZZNS1_16scan_by_key_implILNS1_25lookback_scan_determinismE0ELb0ES3_N6thrust23THRUST_200600_302600_NS6detail15normal_iteratorINS9_10device_ptrIiEEEENSB_INSC_ItEEEESG_tNS9_4plusIvEENS9_8equal_toIvEEtEE10hipError_tPvRmT2_T3_T4_T5_mT6_T7_P12ihipStream_tbENKUlT_T0_E_clISt17integral_constantIbLb1EES10_IbLb0EEEEDaSW_SX_EUlSW_E_NS1_11comp_targetILNS1_3genE3ELNS1_11target_archE908ELNS1_3gpuE7ELNS1_3repE0EEENS1_30default_config_static_selectorELNS0_4arch9wavefront6targetE1EEEvT1_,comdat
	.protected	_ZN7rocprim17ROCPRIM_400000_NS6detail17trampoline_kernelINS0_14default_configENS1_27scan_by_key_config_selectorIitEEZZNS1_16scan_by_key_implILNS1_25lookback_scan_determinismE0ELb0ES3_N6thrust23THRUST_200600_302600_NS6detail15normal_iteratorINS9_10device_ptrIiEEEENSB_INSC_ItEEEESG_tNS9_4plusIvEENS9_8equal_toIvEEtEE10hipError_tPvRmT2_T3_T4_T5_mT6_T7_P12ihipStream_tbENKUlT_T0_E_clISt17integral_constantIbLb1EES10_IbLb0EEEEDaSW_SX_EUlSW_E_NS1_11comp_targetILNS1_3genE3ELNS1_11target_archE908ELNS1_3gpuE7ELNS1_3repE0EEENS1_30default_config_static_selectorELNS0_4arch9wavefront6targetE1EEEvT1_ ; -- Begin function _ZN7rocprim17ROCPRIM_400000_NS6detail17trampoline_kernelINS0_14default_configENS1_27scan_by_key_config_selectorIitEEZZNS1_16scan_by_key_implILNS1_25lookback_scan_determinismE0ELb0ES3_N6thrust23THRUST_200600_302600_NS6detail15normal_iteratorINS9_10device_ptrIiEEEENSB_INSC_ItEEEESG_tNS9_4plusIvEENS9_8equal_toIvEEtEE10hipError_tPvRmT2_T3_T4_T5_mT6_T7_P12ihipStream_tbENKUlT_T0_E_clISt17integral_constantIbLb1EES10_IbLb0EEEEDaSW_SX_EUlSW_E_NS1_11comp_targetILNS1_3genE3ELNS1_11target_archE908ELNS1_3gpuE7ELNS1_3repE0EEENS1_30default_config_static_selectorELNS0_4arch9wavefront6targetE1EEEvT1_
	.globl	_ZN7rocprim17ROCPRIM_400000_NS6detail17trampoline_kernelINS0_14default_configENS1_27scan_by_key_config_selectorIitEEZZNS1_16scan_by_key_implILNS1_25lookback_scan_determinismE0ELb0ES3_N6thrust23THRUST_200600_302600_NS6detail15normal_iteratorINS9_10device_ptrIiEEEENSB_INSC_ItEEEESG_tNS9_4plusIvEENS9_8equal_toIvEEtEE10hipError_tPvRmT2_T3_T4_T5_mT6_T7_P12ihipStream_tbENKUlT_T0_E_clISt17integral_constantIbLb1EES10_IbLb0EEEEDaSW_SX_EUlSW_E_NS1_11comp_targetILNS1_3genE3ELNS1_11target_archE908ELNS1_3gpuE7ELNS1_3repE0EEENS1_30default_config_static_selectorELNS0_4arch9wavefront6targetE1EEEvT1_
	.p2align	8
	.type	_ZN7rocprim17ROCPRIM_400000_NS6detail17trampoline_kernelINS0_14default_configENS1_27scan_by_key_config_selectorIitEEZZNS1_16scan_by_key_implILNS1_25lookback_scan_determinismE0ELb0ES3_N6thrust23THRUST_200600_302600_NS6detail15normal_iteratorINS9_10device_ptrIiEEEENSB_INSC_ItEEEESG_tNS9_4plusIvEENS9_8equal_toIvEEtEE10hipError_tPvRmT2_T3_T4_T5_mT6_T7_P12ihipStream_tbENKUlT_T0_E_clISt17integral_constantIbLb1EES10_IbLb0EEEEDaSW_SX_EUlSW_E_NS1_11comp_targetILNS1_3genE3ELNS1_11target_archE908ELNS1_3gpuE7ELNS1_3repE0EEENS1_30default_config_static_selectorELNS0_4arch9wavefront6targetE1EEEvT1_,@function
_ZN7rocprim17ROCPRIM_400000_NS6detail17trampoline_kernelINS0_14default_configENS1_27scan_by_key_config_selectorIitEEZZNS1_16scan_by_key_implILNS1_25lookback_scan_determinismE0ELb0ES3_N6thrust23THRUST_200600_302600_NS6detail15normal_iteratorINS9_10device_ptrIiEEEENSB_INSC_ItEEEESG_tNS9_4plusIvEENS9_8equal_toIvEEtEE10hipError_tPvRmT2_T3_T4_T5_mT6_T7_P12ihipStream_tbENKUlT_T0_E_clISt17integral_constantIbLb1EES10_IbLb0EEEEDaSW_SX_EUlSW_E_NS1_11comp_targetILNS1_3genE3ELNS1_11target_archE908ELNS1_3gpuE7ELNS1_3repE0EEENS1_30default_config_static_selectorELNS0_4arch9wavefront6targetE1EEEvT1_: ; @_ZN7rocprim17ROCPRIM_400000_NS6detail17trampoline_kernelINS0_14default_configENS1_27scan_by_key_config_selectorIitEEZZNS1_16scan_by_key_implILNS1_25lookback_scan_determinismE0ELb0ES3_N6thrust23THRUST_200600_302600_NS6detail15normal_iteratorINS9_10device_ptrIiEEEENSB_INSC_ItEEEESG_tNS9_4plusIvEENS9_8equal_toIvEEtEE10hipError_tPvRmT2_T3_T4_T5_mT6_T7_P12ihipStream_tbENKUlT_T0_E_clISt17integral_constantIbLb1EES10_IbLb0EEEEDaSW_SX_EUlSW_E_NS1_11comp_targetILNS1_3genE3ELNS1_11target_archE908ELNS1_3gpuE7ELNS1_3repE0EEENS1_30default_config_static_selectorELNS0_4arch9wavefront6targetE1EEEvT1_
; %bb.0:
	.section	.rodata,"a",@progbits
	.p2align	6, 0x0
	.amdhsa_kernel _ZN7rocprim17ROCPRIM_400000_NS6detail17trampoline_kernelINS0_14default_configENS1_27scan_by_key_config_selectorIitEEZZNS1_16scan_by_key_implILNS1_25lookback_scan_determinismE0ELb0ES3_N6thrust23THRUST_200600_302600_NS6detail15normal_iteratorINS9_10device_ptrIiEEEENSB_INSC_ItEEEESG_tNS9_4plusIvEENS9_8equal_toIvEEtEE10hipError_tPvRmT2_T3_T4_T5_mT6_T7_P12ihipStream_tbENKUlT_T0_E_clISt17integral_constantIbLb1EES10_IbLb0EEEEDaSW_SX_EUlSW_E_NS1_11comp_targetILNS1_3genE3ELNS1_11target_archE908ELNS1_3gpuE7ELNS1_3repE0EEENS1_30default_config_static_selectorELNS0_4arch9wavefront6targetE1EEEvT1_
		.amdhsa_group_segment_fixed_size 0
		.amdhsa_private_segment_fixed_size 0
		.amdhsa_kernarg_size 112
		.amdhsa_user_sgpr_count 2
		.amdhsa_user_sgpr_dispatch_ptr 0
		.amdhsa_user_sgpr_queue_ptr 0
		.amdhsa_user_sgpr_kernarg_segment_ptr 1
		.amdhsa_user_sgpr_dispatch_id 0
		.amdhsa_user_sgpr_kernarg_preload_length 0
		.amdhsa_user_sgpr_kernarg_preload_offset 0
		.amdhsa_user_sgpr_private_segment_size 0
		.amdhsa_uses_dynamic_stack 0
		.amdhsa_enable_private_segment 0
		.amdhsa_system_sgpr_workgroup_id_x 1
		.amdhsa_system_sgpr_workgroup_id_y 0
		.amdhsa_system_sgpr_workgroup_id_z 0
		.amdhsa_system_sgpr_workgroup_info 0
		.amdhsa_system_vgpr_workitem_id 0
		.amdhsa_next_free_vgpr 1
		.amdhsa_next_free_sgpr 0
		.amdhsa_accum_offset 4
		.amdhsa_reserve_vcc 0
		.amdhsa_float_round_mode_32 0
		.amdhsa_float_round_mode_16_64 0
		.amdhsa_float_denorm_mode_32 3
		.amdhsa_float_denorm_mode_16_64 3
		.amdhsa_dx10_clamp 1
		.amdhsa_ieee_mode 1
		.amdhsa_fp16_overflow 0
		.amdhsa_tg_split 0
		.amdhsa_exception_fp_ieee_invalid_op 0
		.amdhsa_exception_fp_denorm_src 0
		.amdhsa_exception_fp_ieee_div_zero 0
		.amdhsa_exception_fp_ieee_overflow 0
		.amdhsa_exception_fp_ieee_underflow 0
		.amdhsa_exception_fp_ieee_inexact 0
		.amdhsa_exception_int_div_zero 0
	.end_amdhsa_kernel
	.section	.text._ZN7rocprim17ROCPRIM_400000_NS6detail17trampoline_kernelINS0_14default_configENS1_27scan_by_key_config_selectorIitEEZZNS1_16scan_by_key_implILNS1_25lookback_scan_determinismE0ELb0ES3_N6thrust23THRUST_200600_302600_NS6detail15normal_iteratorINS9_10device_ptrIiEEEENSB_INSC_ItEEEESG_tNS9_4plusIvEENS9_8equal_toIvEEtEE10hipError_tPvRmT2_T3_T4_T5_mT6_T7_P12ihipStream_tbENKUlT_T0_E_clISt17integral_constantIbLb1EES10_IbLb0EEEEDaSW_SX_EUlSW_E_NS1_11comp_targetILNS1_3genE3ELNS1_11target_archE908ELNS1_3gpuE7ELNS1_3repE0EEENS1_30default_config_static_selectorELNS0_4arch9wavefront6targetE1EEEvT1_,"axG",@progbits,_ZN7rocprim17ROCPRIM_400000_NS6detail17trampoline_kernelINS0_14default_configENS1_27scan_by_key_config_selectorIitEEZZNS1_16scan_by_key_implILNS1_25lookback_scan_determinismE0ELb0ES3_N6thrust23THRUST_200600_302600_NS6detail15normal_iteratorINS9_10device_ptrIiEEEENSB_INSC_ItEEEESG_tNS9_4plusIvEENS9_8equal_toIvEEtEE10hipError_tPvRmT2_T3_T4_T5_mT6_T7_P12ihipStream_tbENKUlT_T0_E_clISt17integral_constantIbLb1EES10_IbLb0EEEEDaSW_SX_EUlSW_E_NS1_11comp_targetILNS1_3genE3ELNS1_11target_archE908ELNS1_3gpuE7ELNS1_3repE0EEENS1_30default_config_static_selectorELNS0_4arch9wavefront6targetE1EEEvT1_,comdat
.Lfunc_end1293:
	.size	_ZN7rocprim17ROCPRIM_400000_NS6detail17trampoline_kernelINS0_14default_configENS1_27scan_by_key_config_selectorIitEEZZNS1_16scan_by_key_implILNS1_25lookback_scan_determinismE0ELb0ES3_N6thrust23THRUST_200600_302600_NS6detail15normal_iteratorINS9_10device_ptrIiEEEENSB_INSC_ItEEEESG_tNS9_4plusIvEENS9_8equal_toIvEEtEE10hipError_tPvRmT2_T3_T4_T5_mT6_T7_P12ihipStream_tbENKUlT_T0_E_clISt17integral_constantIbLb1EES10_IbLb0EEEEDaSW_SX_EUlSW_E_NS1_11comp_targetILNS1_3genE3ELNS1_11target_archE908ELNS1_3gpuE7ELNS1_3repE0EEENS1_30default_config_static_selectorELNS0_4arch9wavefront6targetE1EEEvT1_, .Lfunc_end1293-_ZN7rocprim17ROCPRIM_400000_NS6detail17trampoline_kernelINS0_14default_configENS1_27scan_by_key_config_selectorIitEEZZNS1_16scan_by_key_implILNS1_25lookback_scan_determinismE0ELb0ES3_N6thrust23THRUST_200600_302600_NS6detail15normal_iteratorINS9_10device_ptrIiEEEENSB_INSC_ItEEEESG_tNS9_4plusIvEENS9_8equal_toIvEEtEE10hipError_tPvRmT2_T3_T4_T5_mT6_T7_P12ihipStream_tbENKUlT_T0_E_clISt17integral_constantIbLb1EES10_IbLb0EEEEDaSW_SX_EUlSW_E_NS1_11comp_targetILNS1_3genE3ELNS1_11target_archE908ELNS1_3gpuE7ELNS1_3repE0EEENS1_30default_config_static_selectorELNS0_4arch9wavefront6targetE1EEEvT1_
                                        ; -- End function
	.section	.AMDGPU.csdata,"",@progbits
; Kernel info:
; codeLenInByte = 0
; NumSgprs: 6
; NumVgprs: 0
; NumAgprs: 0
; TotalNumVgprs: 0
; ScratchSize: 0
; MemoryBound: 0
; FloatMode: 240
; IeeeMode: 1
; LDSByteSize: 0 bytes/workgroup (compile time only)
; SGPRBlocks: 0
; VGPRBlocks: 0
; NumSGPRsForWavesPerEU: 6
; NumVGPRsForWavesPerEU: 1
; AccumOffset: 4
; Occupancy: 8
; WaveLimiterHint : 0
; COMPUTE_PGM_RSRC2:SCRATCH_EN: 0
; COMPUTE_PGM_RSRC2:USER_SGPR: 2
; COMPUTE_PGM_RSRC2:TRAP_HANDLER: 0
; COMPUTE_PGM_RSRC2:TGID_X_EN: 1
; COMPUTE_PGM_RSRC2:TGID_Y_EN: 0
; COMPUTE_PGM_RSRC2:TGID_Z_EN: 0
; COMPUTE_PGM_RSRC2:TIDIG_COMP_CNT: 0
; COMPUTE_PGM_RSRC3_GFX90A:ACCUM_OFFSET: 0
; COMPUTE_PGM_RSRC3_GFX90A:TG_SPLIT: 0
	.section	.text._ZN7rocprim17ROCPRIM_400000_NS6detail17trampoline_kernelINS0_14default_configENS1_27scan_by_key_config_selectorIitEEZZNS1_16scan_by_key_implILNS1_25lookback_scan_determinismE0ELb0ES3_N6thrust23THRUST_200600_302600_NS6detail15normal_iteratorINS9_10device_ptrIiEEEENSB_INSC_ItEEEESG_tNS9_4plusIvEENS9_8equal_toIvEEtEE10hipError_tPvRmT2_T3_T4_T5_mT6_T7_P12ihipStream_tbENKUlT_T0_E_clISt17integral_constantIbLb1EES10_IbLb0EEEEDaSW_SX_EUlSW_E_NS1_11comp_targetILNS1_3genE2ELNS1_11target_archE906ELNS1_3gpuE6ELNS1_3repE0EEENS1_30default_config_static_selectorELNS0_4arch9wavefront6targetE1EEEvT1_,"axG",@progbits,_ZN7rocprim17ROCPRIM_400000_NS6detail17trampoline_kernelINS0_14default_configENS1_27scan_by_key_config_selectorIitEEZZNS1_16scan_by_key_implILNS1_25lookback_scan_determinismE0ELb0ES3_N6thrust23THRUST_200600_302600_NS6detail15normal_iteratorINS9_10device_ptrIiEEEENSB_INSC_ItEEEESG_tNS9_4plusIvEENS9_8equal_toIvEEtEE10hipError_tPvRmT2_T3_T4_T5_mT6_T7_P12ihipStream_tbENKUlT_T0_E_clISt17integral_constantIbLb1EES10_IbLb0EEEEDaSW_SX_EUlSW_E_NS1_11comp_targetILNS1_3genE2ELNS1_11target_archE906ELNS1_3gpuE6ELNS1_3repE0EEENS1_30default_config_static_selectorELNS0_4arch9wavefront6targetE1EEEvT1_,comdat
	.protected	_ZN7rocprim17ROCPRIM_400000_NS6detail17trampoline_kernelINS0_14default_configENS1_27scan_by_key_config_selectorIitEEZZNS1_16scan_by_key_implILNS1_25lookback_scan_determinismE0ELb0ES3_N6thrust23THRUST_200600_302600_NS6detail15normal_iteratorINS9_10device_ptrIiEEEENSB_INSC_ItEEEESG_tNS9_4plusIvEENS9_8equal_toIvEEtEE10hipError_tPvRmT2_T3_T4_T5_mT6_T7_P12ihipStream_tbENKUlT_T0_E_clISt17integral_constantIbLb1EES10_IbLb0EEEEDaSW_SX_EUlSW_E_NS1_11comp_targetILNS1_3genE2ELNS1_11target_archE906ELNS1_3gpuE6ELNS1_3repE0EEENS1_30default_config_static_selectorELNS0_4arch9wavefront6targetE1EEEvT1_ ; -- Begin function _ZN7rocprim17ROCPRIM_400000_NS6detail17trampoline_kernelINS0_14default_configENS1_27scan_by_key_config_selectorIitEEZZNS1_16scan_by_key_implILNS1_25lookback_scan_determinismE0ELb0ES3_N6thrust23THRUST_200600_302600_NS6detail15normal_iteratorINS9_10device_ptrIiEEEENSB_INSC_ItEEEESG_tNS9_4plusIvEENS9_8equal_toIvEEtEE10hipError_tPvRmT2_T3_T4_T5_mT6_T7_P12ihipStream_tbENKUlT_T0_E_clISt17integral_constantIbLb1EES10_IbLb0EEEEDaSW_SX_EUlSW_E_NS1_11comp_targetILNS1_3genE2ELNS1_11target_archE906ELNS1_3gpuE6ELNS1_3repE0EEENS1_30default_config_static_selectorELNS0_4arch9wavefront6targetE1EEEvT1_
	.globl	_ZN7rocprim17ROCPRIM_400000_NS6detail17trampoline_kernelINS0_14default_configENS1_27scan_by_key_config_selectorIitEEZZNS1_16scan_by_key_implILNS1_25lookback_scan_determinismE0ELb0ES3_N6thrust23THRUST_200600_302600_NS6detail15normal_iteratorINS9_10device_ptrIiEEEENSB_INSC_ItEEEESG_tNS9_4plusIvEENS9_8equal_toIvEEtEE10hipError_tPvRmT2_T3_T4_T5_mT6_T7_P12ihipStream_tbENKUlT_T0_E_clISt17integral_constantIbLb1EES10_IbLb0EEEEDaSW_SX_EUlSW_E_NS1_11comp_targetILNS1_3genE2ELNS1_11target_archE906ELNS1_3gpuE6ELNS1_3repE0EEENS1_30default_config_static_selectorELNS0_4arch9wavefront6targetE1EEEvT1_
	.p2align	8
	.type	_ZN7rocprim17ROCPRIM_400000_NS6detail17trampoline_kernelINS0_14default_configENS1_27scan_by_key_config_selectorIitEEZZNS1_16scan_by_key_implILNS1_25lookback_scan_determinismE0ELb0ES3_N6thrust23THRUST_200600_302600_NS6detail15normal_iteratorINS9_10device_ptrIiEEEENSB_INSC_ItEEEESG_tNS9_4plusIvEENS9_8equal_toIvEEtEE10hipError_tPvRmT2_T3_T4_T5_mT6_T7_P12ihipStream_tbENKUlT_T0_E_clISt17integral_constantIbLb1EES10_IbLb0EEEEDaSW_SX_EUlSW_E_NS1_11comp_targetILNS1_3genE2ELNS1_11target_archE906ELNS1_3gpuE6ELNS1_3repE0EEENS1_30default_config_static_selectorELNS0_4arch9wavefront6targetE1EEEvT1_,@function
_ZN7rocprim17ROCPRIM_400000_NS6detail17trampoline_kernelINS0_14default_configENS1_27scan_by_key_config_selectorIitEEZZNS1_16scan_by_key_implILNS1_25lookback_scan_determinismE0ELb0ES3_N6thrust23THRUST_200600_302600_NS6detail15normal_iteratorINS9_10device_ptrIiEEEENSB_INSC_ItEEEESG_tNS9_4plusIvEENS9_8equal_toIvEEtEE10hipError_tPvRmT2_T3_T4_T5_mT6_T7_P12ihipStream_tbENKUlT_T0_E_clISt17integral_constantIbLb1EES10_IbLb0EEEEDaSW_SX_EUlSW_E_NS1_11comp_targetILNS1_3genE2ELNS1_11target_archE906ELNS1_3gpuE6ELNS1_3repE0EEENS1_30default_config_static_selectorELNS0_4arch9wavefront6targetE1EEEvT1_: ; @_ZN7rocprim17ROCPRIM_400000_NS6detail17trampoline_kernelINS0_14default_configENS1_27scan_by_key_config_selectorIitEEZZNS1_16scan_by_key_implILNS1_25lookback_scan_determinismE0ELb0ES3_N6thrust23THRUST_200600_302600_NS6detail15normal_iteratorINS9_10device_ptrIiEEEENSB_INSC_ItEEEESG_tNS9_4plusIvEENS9_8equal_toIvEEtEE10hipError_tPvRmT2_T3_T4_T5_mT6_T7_P12ihipStream_tbENKUlT_T0_E_clISt17integral_constantIbLb1EES10_IbLb0EEEEDaSW_SX_EUlSW_E_NS1_11comp_targetILNS1_3genE2ELNS1_11target_archE906ELNS1_3gpuE6ELNS1_3repE0EEENS1_30default_config_static_selectorELNS0_4arch9wavefront6targetE1EEEvT1_
; %bb.0:
	.section	.rodata,"a",@progbits
	.p2align	6, 0x0
	.amdhsa_kernel _ZN7rocprim17ROCPRIM_400000_NS6detail17trampoline_kernelINS0_14default_configENS1_27scan_by_key_config_selectorIitEEZZNS1_16scan_by_key_implILNS1_25lookback_scan_determinismE0ELb0ES3_N6thrust23THRUST_200600_302600_NS6detail15normal_iteratorINS9_10device_ptrIiEEEENSB_INSC_ItEEEESG_tNS9_4plusIvEENS9_8equal_toIvEEtEE10hipError_tPvRmT2_T3_T4_T5_mT6_T7_P12ihipStream_tbENKUlT_T0_E_clISt17integral_constantIbLb1EES10_IbLb0EEEEDaSW_SX_EUlSW_E_NS1_11comp_targetILNS1_3genE2ELNS1_11target_archE906ELNS1_3gpuE6ELNS1_3repE0EEENS1_30default_config_static_selectorELNS0_4arch9wavefront6targetE1EEEvT1_
		.amdhsa_group_segment_fixed_size 0
		.amdhsa_private_segment_fixed_size 0
		.amdhsa_kernarg_size 112
		.amdhsa_user_sgpr_count 2
		.amdhsa_user_sgpr_dispatch_ptr 0
		.amdhsa_user_sgpr_queue_ptr 0
		.amdhsa_user_sgpr_kernarg_segment_ptr 1
		.amdhsa_user_sgpr_dispatch_id 0
		.amdhsa_user_sgpr_kernarg_preload_length 0
		.amdhsa_user_sgpr_kernarg_preload_offset 0
		.amdhsa_user_sgpr_private_segment_size 0
		.amdhsa_uses_dynamic_stack 0
		.amdhsa_enable_private_segment 0
		.amdhsa_system_sgpr_workgroup_id_x 1
		.amdhsa_system_sgpr_workgroup_id_y 0
		.amdhsa_system_sgpr_workgroup_id_z 0
		.amdhsa_system_sgpr_workgroup_info 0
		.amdhsa_system_vgpr_workitem_id 0
		.amdhsa_next_free_vgpr 1
		.amdhsa_next_free_sgpr 0
		.amdhsa_accum_offset 4
		.amdhsa_reserve_vcc 0
		.amdhsa_float_round_mode_32 0
		.amdhsa_float_round_mode_16_64 0
		.amdhsa_float_denorm_mode_32 3
		.amdhsa_float_denorm_mode_16_64 3
		.amdhsa_dx10_clamp 1
		.amdhsa_ieee_mode 1
		.amdhsa_fp16_overflow 0
		.amdhsa_tg_split 0
		.amdhsa_exception_fp_ieee_invalid_op 0
		.amdhsa_exception_fp_denorm_src 0
		.amdhsa_exception_fp_ieee_div_zero 0
		.amdhsa_exception_fp_ieee_overflow 0
		.amdhsa_exception_fp_ieee_underflow 0
		.amdhsa_exception_fp_ieee_inexact 0
		.amdhsa_exception_int_div_zero 0
	.end_amdhsa_kernel
	.section	.text._ZN7rocprim17ROCPRIM_400000_NS6detail17trampoline_kernelINS0_14default_configENS1_27scan_by_key_config_selectorIitEEZZNS1_16scan_by_key_implILNS1_25lookback_scan_determinismE0ELb0ES3_N6thrust23THRUST_200600_302600_NS6detail15normal_iteratorINS9_10device_ptrIiEEEENSB_INSC_ItEEEESG_tNS9_4plusIvEENS9_8equal_toIvEEtEE10hipError_tPvRmT2_T3_T4_T5_mT6_T7_P12ihipStream_tbENKUlT_T0_E_clISt17integral_constantIbLb1EES10_IbLb0EEEEDaSW_SX_EUlSW_E_NS1_11comp_targetILNS1_3genE2ELNS1_11target_archE906ELNS1_3gpuE6ELNS1_3repE0EEENS1_30default_config_static_selectorELNS0_4arch9wavefront6targetE1EEEvT1_,"axG",@progbits,_ZN7rocprim17ROCPRIM_400000_NS6detail17trampoline_kernelINS0_14default_configENS1_27scan_by_key_config_selectorIitEEZZNS1_16scan_by_key_implILNS1_25lookback_scan_determinismE0ELb0ES3_N6thrust23THRUST_200600_302600_NS6detail15normal_iteratorINS9_10device_ptrIiEEEENSB_INSC_ItEEEESG_tNS9_4plusIvEENS9_8equal_toIvEEtEE10hipError_tPvRmT2_T3_T4_T5_mT6_T7_P12ihipStream_tbENKUlT_T0_E_clISt17integral_constantIbLb1EES10_IbLb0EEEEDaSW_SX_EUlSW_E_NS1_11comp_targetILNS1_3genE2ELNS1_11target_archE906ELNS1_3gpuE6ELNS1_3repE0EEENS1_30default_config_static_selectorELNS0_4arch9wavefront6targetE1EEEvT1_,comdat
.Lfunc_end1294:
	.size	_ZN7rocprim17ROCPRIM_400000_NS6detail17trampoline_kernelINS0_14default_configENS1_27scan_by_key_config_selectorIitEEZZNS1_16scan_by_key_implILNS1_25lookback_scan_determinismE0ELb0ES3_N6thrust23THRUST_200600_302600_NS6detail15normal_iteratorINS9_10device_ptrIiEEEENSB_INSC_ItEEEESG_tNS9_4plusIvEENS9_8equal_toIvEEtEE10hipError_tPvRmT2_T3_T4_T5_mT6_T7_P12ihipStream_tbENKUlT_T0_E_clISt17integral_constantIbLb1EES10_IbLb0EEEEDaSW_SX_EUlSW_E_NS1_11comp_targetILNS1_3genE2ELNS1_11target_archE906ELNS1_3gpuE6ELNS1_3repE0EEENS1_30default_config_static_selectorELNS0_4arch9wavefront6targetE1EEEvT1_, .Lfunc_end1294-_ZN7rocprim17ROCPRIM_400000_NS6detail17trampoline_kernelINS0_14default_configENS1_27scan_by_key_config_selectorIitEEZZNS1_16scan_by_key_implILNS1_25lookback_scan_determinismE0ELb0ES3_N6thrust23THRUST_200600_302600_NS6detail15normal_iteratorINS9_10device_ptrIiEEEENSB_INSC_ItEEEESG_tNS9_4plusIvEENS9_8equal_toIvEEtEE10hipError_tPvRmT2_T3_T4_T5_mT6_T7_P12ihipStream_tbENKUlT_T0_E_clISt17integral_constantIbLb1EES10_IbLb0EEEEDaSW_SX_EUlSW_E_NS1_11comp_targetILNS1_3genE2ELNS1_11target_archE906ELNS1_3gpuE6ELNS1_3repE0EEENS1_30default_config_static_selectorELNS0_4arch9wavefront6targetE1EEEvT1_
                                        ; -- End function
	.section	.AMDGPU.csdata,"",@progbits
; Kernel info:
; codeLenInByte = 0
; NumSgprs: 6
; NumVgprs: 0
; NumAgprs: 0
; TotalNumVgprs: 0
; ScratchSize: 0
; MemoryBound: 0
; FloatMode: 240
; IeeeMode: 1
; LDSByteSize: 0 bytes/workgroup (compile time only)
; SGPRBlocks: 0
; VGPRBlocks: 0
; NumSGPRsForWavesPerEU: 6
; NumVGPRsForWavesPerEU: 1
; AccumOffset: 4
; Occupancy: 8
; WaveLimiterHint : 0
; COMPUTE_PGM_RSRC2:SCRATCH_EN: 0
; COMPUTE_PGM_RSRC2:USER_SGPR: 2
; COMPUTE_PGM_RSRC2:TRAP_HANDLER: 0
; COMPUTE_PGM_RSRC2:TGID_X_EN: 1
; COMPUTE_PGM_RSRC2:TGID_Y_EN: 0
; COMPUTE_PGM_RSRC2:TGID_Z_EN: 0
; COMPUTE_PGM_RSRC2:TIDIG_COMP_CNT: 0
; COMPUTE_PGM_RSRC3_GFX90A:ACCUM_OFFSET: 0
; COMPUTE_PGM_RSRC3_GFX90A:TG_SPLIT: 0
	.section	.text._ZN7rocprim17ROCPRIM_400000_NS6detail17trampoline_kernelINS0_14default_configENS1_27scan_by_key_config_selectorIitEEZZNS1_16scan_by_key_implILNS1_25lookback_scan_determinismE0ELb0ES3_N6thrust23THRUST_200600_302600_NS6detail15normal_iteratorINS9_10device_ptrIiEEEENSB_INSC_ItEEEESG_tNS9_4plusIvEENS9_8equal_toIvEEtEE10hipError_tPvRmT2_T3_T4_T5_mT6_T7_P12ihipStream_tbENKUlT_T0_E_clISt17integral_constantIbLb1EES10_IbLb0EEEEDaSW_SX_EUlSW_E_NS1_11comp_targetILNS1_3genE10ELNS1_11target_archE1200ELNS1_3gpuE4ELNS1_3repE0EEENS1_30default_config_static_selectorELNS0_4arch9wavefront6targetE1EEEvT1_,"axG",@progbits,_ZN7rocprim17ROCPRIM_400000_NS6detail17trampoline_kernelINS0_14default_configENS1_27scan_by_key_config_selectorIitEEZZNS1_16scan_by_key_implILNS1_25lookback_scan_determinismE0ELb0ES3_N6thrust23THRUST_200600_302600_NS6detail15normal_iteratorINS9_10device_ptrIiEEEENSB_INSC_ItEEEESG_tNS9_4plusIvEENS9_8equal_toIvEEtEE10hipError_tPvRmT2_T3_T4_T5_mT6_T7_P12ihipStream_tbENKUlT_T0_E_clISt17integral_constantIbLb1EES10_IbLb0EEEEDaSW_SX_EUlSW_E_NS1_11comp_targetILNS1_3genE10ELNS1_11target_archE1200ELNS1_3gpuE4ELNS1_3repE0EEENS1_30default_config_static_selectorELNS0_4arch9wavefront6targetE1EEEvT1_,comdat
	.protected	_ZN7rocprim17ROCPRIM_400000_NS6detail17trampoline_kernelINS0_14default_configENS1_27scan_by_key_config_selectorIitEEZZNS1_16scan_by_key_implILNS1_25lookback_scan_determinismE0ELb0ES3_N6thrust23THRUST_200600_302600_NS6detail15normal_iteratorINS9_10device_ptrIiEEEENSB_INSC_ItEEEESG_tNS9_4plusIvEENS9_8equal_toIvEEtEE10hipError_tPvRmT2_T3_T4_T5_mT6_T7_P12ihipStream_tbENKUlT_T0_E_clISt17integral_constantIbLb1EES10_IbLb0EEEEDaSW_SX_EUlSW_E_NS1_11comp_targetILNS1_3genE10ELNS1_11target_archE1200ELNS1_3gpuE4ELNS1_3repE0EEENS1_30default_config_static_selectorELNS0_4arch9wavefront6targetE1EEEvT1_ ; -- Begin function _ZN7rocprim17ROCPRIM_400000_NS6detail17trampoline_kernelINS0_14default_configENS1_27scan_by_key_config_selectorIitEEZZNS1_16scan_by_key_implILNS1_25lookback_scan_determinismE0ELb0ES3_N6thrust23THRUST_200600_302600_NS6detail15normal_iteratorINS9_10device_ptrIiEEEENSB_INSC_ItEEEESG_tNS9_4plusIvEENS9_8equal_toIvEEtEE10hipError_tPvRmT2_T3_T4_T5_mT6_T7_P12ihipStream_tbENKUlT_T0_E_clISt17integral_constantIbLb1EES10_IbLb0EEEEDaSW_SX_EUlSW_E_NS1_11comp_targetILNS1_3genE10ELNS1_11target_archE1200ELNS1_3gpuE4ELNS1_3repE0EEENS1_30default_config_static_selectorELNS0_4arch9wavefront6targetE1EEEvT1_
	.globl	_ZN7rocprim17ROCPRIM_400000_NS6detail17trampoline_kernelINS0_14default_configENS1_27scan_by_key_config_selectorIitEEZZNS1_16scan_by_key_implILNS1_25lookback_scan_determinismE0ELb0ES3_N6thrust23THRUST_200600_302600_NS6detail15normal_iteratorINS9_10device_ptrIiEEEENSB_INSC_ItEEEESG_tNS9_4plusIvEENS9_8equal_toIvEEtEE10hipError_tPvRmT2_T3_T4_T5_mT6_T7_P12ihipStream_tbENKUlT_T0_E_clISt17integral_constantIbLb1EES10_IbLb0EEEEDaSW_SX_EUlSW_E_NS1_11comp_targetILNS1_3genE10ELNS1_11target_archE1200ELNS1_3gpuE4ELNS1_3repE0EEENS1_30default_config_static_selectorELNS0_4arch9wavefront6targetE1EEEvT1_
	.p2align	8
	.type	_ZN7rocprim17ROCPRIM_400000_NS6detail17trampoline_kernelINS0_14default_configENS1_27scan_by_key_config_selectorIitEEZZNS1_16scan_by_key_implILNS1_25lookback_scan_determinismE0ELb0ES3_N6thrust23THRUST_200600_302600_NS6detail15normal_iteratorINS9_10device_ptrIiEEEENSB_INSC_ItEEEESG_tNS9_4plusIvEENS9_8equal_toIvEEtEE10hipError_tPvRmT2_T3_T4_T5_mT6_T7_P12ihipStream_tbENKUlT_T0_E_clISt17integral_constantIbLb1EES10_IbLb0EEEEDaSW_SX_EUlSW_E_NS1_11comp_targetILNS1_3genE10ELNS1_11target_archE1200ELNS1_3gpuE4ELNS1_3repE0EEENS1_30default_config_static_selectorELNS0_4arch9wavefront6targetE1EEEvT1_,@function
_ZN7rocprim17ROCPRIM_400000_NS6detail17trampoline_kernelINS0_14default_configENS1_27scan_by_key_config_selectorIitEEZZNS1_16scan_by_key_implILNS1_25lookback_scan_determinismE0ELb0ES3_N6thrust23THRUST_200600_302600_NS6detail15normal_iteratorINS9_10device_ptrIiEEEENSB_INSC_ItEEEESG_tNS9_4plusIvEENS9_8equal_toIvEEtEE10hipError_tPvRmT2_T3_T4_T5_mT6_T7_P12ihipStream_tbENKUlT_T0_E_clISt17integral_constantIbLb1EES10_IbLb0EEEEDaSW_SX_EUlSW_E_NS1_11comp_targetILNS1_3genE10ELNS1_11target_archE1200ELNS1_3gpuE4ELNS1_3repE0EEENS1_30default_config_static_selectorELNS0_4arch9wavefront6targetE1EEEvT1_: ; @_ZN7rocprim17ROCPRIM_400000_NS6detail17trampoline_kernelINS0_14default_configENS1_27scan_by_key_config_selectorIitEEZZNS1_16scan_by_key_implILNS1_25lookback_scan_determinismE0ELb0ES3_N6thrust23THRUST_200600_302600_NS6detail15normal_iteratorINS9_10device_ptrIiEEEENSB_INSC_ItEEEESG_tNS9_4plusIvEENS9_8equal_toIvEEtEE10hipError_tPvRmT2_T3_T4_T5_mT6_T7_P12ihipStream_tbENKUlT_T0_E_clISt17integral_constantIbLb1EES10_IbLb0EEEEDaSW_SX_EUlSW_E_NS1_11comp_targetILNS1_3genE10ELNS1_11target_archE1200ELNS1_3gpuE4ELNS1_3repE0EEENS1_30default_config_static_selectorELNS0_4arch9wavefront6targetE1EEEvT1_
; %bb.0:
	.section	.rodata,"a",@progbits
	.p2align	6, 0x0
	.amdhsa_kernel _ZN7rocprim17ROCPRIM_400000_NS6detail17trampoline_kernelINS0_14default_configENS1_27scan_by_key_config_selectorIitEEZZNS1_16scan_by_key_implILNS1_25lookback_scan_determinismE0ELb0ES3_N6thrust23THRUST_200600_302600_NS6detail15normal_iteratorINS9_10device_ptrIiEEEENSB_INSC_ItEEEESG_tNS9_4plusIvEENS9_8equal_toIvEEtEE10hipError_tPvRmT2_T3_T4_T5_mT6_T7_P12ihipStream_tbENKUlT_T0_E_clISt17integral_constantIbLb1EES10_IbLb0EEEEDaSW_SX_EUlSW_E_NS1_11comp_targetILNS1_3genE10ELNS1_11target_archE1200ELNS1_3gpuE4ELNS1_3repE0EEENS1_30default_config_static_selectorELNS0_4arch9wavefront6targetE1EEEvT1_
		.amdhsa_group_segment_fixed_size 0
		.amdhsa_private_segment_fixed_size 0
		.amdhsa_kernarg_size 112
		.amdhsa_user_sgpr_count 2
		.amdhsa_user_sgpr_dispatch_ptr 0
		.amdhsa_user_sgpr_queue_ptr 0
		.amdhsa_user_sgpr_kernarg_segment_ptr 1
		.amdhsa_user_sgpr_dispatch_id 0
		.amdhsa_user_sgpr_kernarg_preload_length 0
		.amdhsa_user_sgpr_kernarg_preload_offset 0
		.amdhsa_user_sgpr_private_segment_size 0
		.amdhsa_uses_dynamic_stack 0
		.amdhsa_enable_private_segment 0
		.amdhsa_system_sgpr_workgroup_id_x 1
		.amdhsa_system_sgpr_workgroup_id_y 0
		.amdhsa_system_sgpr_workgroup_id_z 0
		.amdhsa_system_sgpr_workgroup_info 0
		.amdhsa_system_vgpr_workitem_id 0
		.amdhsa_next_free_vgpr 1
		.amdhsa_next_free_sgpr 0
		.amdhsa_accum_offset 4
		.amdhsa_reserve_vcc 0
		.amdhsa_float_round_mode_32 0
		.amdhsa_float_round_mode_16_64 0
		.amdhsa_float_denorm_mode_32 3
		.amdhsa_float_denorm_mode_16_64 3
		.amdhsa_dx10_clamp 1
		.amdhsa_ieee_mode 1
		.amdhsa_fp16_overflow 0
		.amdhsa_tg_split 0
		.amdhsa_exception_fp_ieee_invalid_op 0
		.amdhsa_exception_fp_denorm_src 0
		.amdhsa_exception_fp_ieee_div_zero 0
		.amdhsa_exception_fp_ieee_overflow 0
		.amdhsa_exception_fp_ieee_underflow 0
		.amdhsa_exception_fp_ieee_inexact 0
		.amdhsa_exception_int_div_zero 0
	.end_amdhsa_kernel
	.section	.text._ZN7rocprim17ROCPRIM_400000_NS6detail17trampoline_kernelINS0_14default_configENS1_27scan_by_key_config_selectorIitEEZZNS1_16scan_by_key_implILNS1_25lookback_scan_determinismE0ELb0ES3_N6thrust23THRUST_200600_302600_NS6detail15normal_iteratorINS9_10device_ptrIiEEEENSB_INSC_ItEEEESG_tNS9_4plusIvEENS9_8equal_toIvEEtEE10hipError_tPvRmT2_T3_T4_T5_mT6_T7_P12ihipStream_tbENKUlT_T0_E_clISt17integral_constantIbLb1EES10_IbLb0EEEEDaSW_SX_EUlSW_E_NS1_11comp_targetILNS1_3genE10ELNS1_11target_archE1200ELNS1_3gpuE4ELNS1_3repE0EEENS1_30default_config_static_selectorELNS0_4arch9wavefront6targetE1EEEvT1_,"axG",@progbits,_ZN7rocprim17ROCPRIM_400000_NS6detail17trampoline_kernelINS0_14default_configENS1_27scan_by_key_config_selectorIitEEZZNS1_16scan_by_key_implILNS1_25lookback_scan_determinismE0ELb0ES3_N6thrust23THRUST_200600_302600_NS6detail15normal_iteratorINS9_10device_ptrIiEEEENSB_INSC_ItEEEESG_tNS9_4plusIvEENS9_8equal_toIvEEtEE10hipError_tPvRmT2_T3_T4_T5_mT6_T7_P12ihipStream_tbENKUlT_T0_E_clISt17integral_constantIbLb1EES10_IbLb0EEEEDaSW_SX_EUlSW_E_NS1_11comp_targetILNS1_3genE10ELNS1_11target_archE1200ELNS1_3gpuE4ELNS1_3repE0EEENS1_30default_config_static_selectorELNS0_4arch9wavefront6targetE1EEEvT1_,comdat
.Lfunc_end1295:
	.size	_ZN7rocprim17ROCPRIM_400000_NS6detail17trampoline_kernelINS0_14default_configENS1_27scan_by_key_config_selectorIitEEZZNS1_16scan_by_key_implILNS1_25lookback_scan_determinismE0ELb0ES3_N6thrust23THRUST_200600_302600_NS6detail15normal_iteratorINS9_10device_ptrIiEEEENSB_INSC_ItEEEESG_tNS9_4plusIvEENS9_8equal_toIvEEtEE10hipError_tPvRmT2_T3_T4_T5_mT6_T7_P12ihipStream_tbENKUlT_T0_E_clISt17integral_constantIbLb1EES10_IbLb0EEEEDaSW_SX_EUlSW_E_NS1_11comp_targetILNS1_3genE10ELNS1_11target_archE1200ELNS1_3gpuE4ELNS1_3repE0EEENS1_30default_config_static_selectorELNS0_4arch9wavefront6targetE1EEEvT1_, .Lfunc_end1295-_ZN7rocprim17ROCPRIM_400000_NS6detail17trampoline_kernelINS0_14default_configENS1_27scan_by_key_config_selectorIitEEZZNS1_16scan_by_key_implILNS1_25lookback_scan_determinismE0ELb0ES3_N6thrust23THRUST_200600_302600_NS6detail15normal_iteratorINS9_10device_ptrIiEEEENSB_INSC_ItEEEESG_tNS9_4plusIvEENS9_8equal_toIvEEtEE10hipError_tPvRmT2_T3_T4_T5_mT6_T7_P12ihipStream_tbENKUlT_T0_E_clISt17integral_constantIbLb1EES10_IbLb0EEEEDaSW_SX_EUlSW_E_NS1_11comp_targetILNS1_3genE10ELNS1_11target_archE1200ELNS1_3gpuE4ELNS1_3repE0EEENS1_30default_config_static_selectorELNS0_4arch9wavefront6targetE1EEEvT1_
                                        ; -- End function
	.section	.AMDGPU.csdata,"",@progbits
; Kernel info:
; codeLenInByte = 0
; NumSgprs: 6
; NumVgprs: 0
; NumAgprs: 0
; TotalNumVgprs: 0
; ScratchSize: 0
; MemoryBound: 0
; FloatMode: 240
; IeeeMode: 1
; LDSByteSize: 0 bytes/workgroup (compile time only)
; SGPRBlocks: 0
; VGPRBlocks: 0
; NumSGPRsForWavesPerEU: 6
; NumVGPRsForWavesPerEU: 1
; AccumOffset: 4
; Occupancy: 8
; WaveLimiterHint : 0
; COMPUTE_PGM_RSRC2:SCRATCH_EN: 0
; COMPUTE_PGM_RSRC2:USER_SGPR: 2
; COMPUTE_PGM_RSRC2:TRAP_HANDLER: 0
; COMPUTE_PGM_RSRC2:TGID_X_EN: 1
; COMPUTE_PGM_RSRC2:TGID_Y_EN: 0
; COMPUTE_PGM_RSRC2:TGID_Z_EN: 0
; COMPUTE_PGM_RSRC2:TIDIG_COMP_CNT: 0
; COMPUTE_PGM_RSRC3_GFX90A:ACCUM_OFFSET: 0
; COMPUTE_PGM_RSRC3_GFX90A:TG_SPLIT: 0
	.section	.text._ZN7rocprim17ROCPRIM_400000_NS6detail17trampoline_kernelINS0_14default_configENS1_27scan_by_key_config_selectorIitEEZZNS1_16scan_by_key_implILNS1_25lookback_scan_determinismE0ELb0ES3_N6thrust23THRUST_200600_302600_NS6detail15normal_iteratorINS9_10device_ptrIiEEEENSB_INSC_ItEEEESG_tNS9_4plusIvEENS9_8equal_toIvEEtEE10hipError_tPvRmT2_T3_T4_T5_mT6_T7_P12ihipStream_tbENKUlT_T0_E_clISt17integral_constantIbLb1EES10_IbLb0EEEEDaSW_SX_EUlSW_E_NS1_11comp_targetILNS1_3genE9ELNS1_11target_archE1100ELNS1_3gpuE3ELNS1_3repE0EEENS1_30default_config_static_selectorELNS0_4arch9wavefront6targetE1EEEvT1_,"axG",@progbits,_ZN7rocprim17ROCPRIM_400000_NS6detail17trampoline_kernelINS0_14default_configENS1_27scan_by_key_config_selectorIitEEZZNS1_16scan_by_key_implILNS1_25lookback_scan_determinismE0ELb0ES3_N6thrust23THRUST_200600_302600_NS6detail15normal_iteratorINS9_10device_ptrIiEEEENSB_INSC_ItEEEESG_tNS9_4plusIvEENS9_8equal_toIvEEtEE10hipError_tPvRmT2_T3_T4_T5_mT6_T7_P12ihipStream_tbENKUlT_T0_E_clISt17integral_constantIbLb1EES10_IbLb0EEEEDaSW_SX_EUlSW_E_NS1_11comp_targetILNS1_3genE9ELNS1_11target_archE1100ELNS1_3gpuE3ELNS1_3repE0EEENS1_30default_config_static_selectorELNS0_4arch9wavefront6targetE1EEEvT1_,comdat
	.protected	_ZN7rocprim17ROCPRIM_400000_NS6detail17trampoline_kernelINS0_14default_configENS1_27scan_by_key_config_selectorIitEEZZNS1_16scan_by_key_implILNS1_25lookback_scan_determinismE0ELb0ES3_N6thrust23THRUST_200600_302600_NS6detail15normal_iteratorINS9_10device_ptrIiEEEENSB_INSC_ItEEEESG_tNS9_4plusIvEENS9_8equal_toIvEEtEE10hipError_tPvRmT2_T3_T4_T5_mT6_T7_P12ihipStream_tbENKUlT_T0_E_clISt17integral_constantIbLb1EES10_IbLb0EEEEDaSW_SX_EUlSW_E_NS1_11comp_targetILNS1_3genE9ELNS1_11target_archE1100ELNS1_3gpuE3ELNS1_3repE0EEENS1_30default_config_static_selectorELNS0_4arch9wavefront6targetE1EEEvT1_ ; -- Begin function _ZN7rocprim17ROCPRIM_400000_NS6detail17trampoline_kernelINS0_14default_configENS1_27scan_by_key_config_selectorIitEEZZNS1_16scan_by_key_implILNS1_25lookback_scan_determinismE0ELb0ES3_N6thrust23THRUST_200600_302600_NS6detail15normal_iteratorINS9_10device_ptrIiEEEENSB_INSC_ItEEEESG_tNS9_4plusIvEENS9_8equal_toIvEEtEE10hipError_tPvRmT2_T3_T4_T5_mT6_T7_P12ihipStream_tbENKUlT_T0_E_clISt17integral_constantIbLb1EES10_IbLb0EEEEDaSW_SX_EUlSW_E_NS1_11comp_targetILNS1_3genE9ELNS1_11target_archE1100ELNS1_3gpuE3ELNS1_3repE0EEENS1_30default_config_static_selectorELNS0_4arch9wavefront6targetE1EEEvT1_
	.globl	_ZN7rocprim17ROCPRIM_400000_NS6detail17trampoline_kernelINS0_14default_configENS1_27scan_by_key_config_selectorIitEEZZNS1_16scan_by_key_implILNS1_25lookback_scan_determinismE0ELb0ES3_N6thrust23THRUST_200600_302600_NS6detail15normal_iteratorINS9_10device_ptrIiEEEENSB_INSC_ItEEEESG_tNS9_4plusIvEENS9_8equal_toIvEEtEE10hipError_tPvRmT2_T3_T4_T5_mT6_T7_P12ihipStream_tbENKUlT_T0_E_clISt17integral_constantIbLb1EES10_IbLb0EEEEDaSW_SX_EUlSW_E_NS1_11comp_targetILNS1_3genE9ELNS1_11target_archE1100ELNS1_3gpuE3ELNS1_3repE0EEENS1_30default_config_static_selectorELNS0_4arch9wavefront6targetE1EEEvT1_
	.p2align	8
	.type	_ZN7rocprim17ROCPRIM_400000_NS6detail17trampoline_kernelINS0_14default_configENS1_27scan_by_key_config_selectorIitEEZZNS1_16scan_by_key_implILNS1_25lookback_scan_determinismE0ELb0ES3_N6thrust23THRUST_200600_302600_NS6detail15normal_iteratorINS9_10device_ptrIiEEEENSB_INSC_ItEEEESG_tNS9_4plusIvEENS9_8equal_toIvEEtEE10hipError_tPvRmT2_T3_T4_T5_mT6_T7_P12ihipStream_tbENKUlT_T0_E_clISt17integral_constantIbLb1EES10_IbLb0EEEEDaSW_SX_EUlSW_E_NS1_11comp_targetILNS1_3genE9ELNS1_11target_archE1100ELNS1_3gpuE3ELNS1_3repE0EEENS1_30default_config_static_selectorELNS0_4arch9wavefront6targetE1EEEvT1_,@function
_ZN7rocprim17ROCPRIM_400000_NS6detail17trampoline_kernelINS0_14default_configENS1_27scan_by_key_config_selectorIitEEZZNS1_16scan_by_key_implILNS1_25lookback_scan_determinismE0ELb0ES3_N6thrust23THRUST_200600_302600_NS6detail15normal_iteratorINS9_10device_ptrIiEEEENSB_INSC_ItEEEESG_tNS9_4plusIvEENS9_8equal_toIvEEtEE10hipError_tPvRmT2_T3_T4_T5_mT6_T7_P12ihipStream_tbENKUlT_T0_E_clISt17integral_constantIbLb1EES10_IbLb0EEEEDaSW_SX_EUlSW_E_NS1_11comp_targetILNS1_3genE9ELNS1_11target_archE1100ELNS1_3gpuE3ELNS1_3repE0EEENS1_30default_config_static_selectorELNS0_4arch9wavefront6targetE1EEEvT1_: ; @_ZN7rocprim17ROCPRIM_400000_NS6detail17trampoline_kernelINS0_14default_configENS1_27scan_by_key_config_selectorIitEEZZNS1_16scan_by_key_implILNS1_25lookback_scan_determinismE0ELb0ES3_N6thrust23THRUST_200600_302600_NS6detail15normal_iteratorINS9_10device_ptrIiEEEENSB_INSC_ItEEEESG_tNS9_4plusIvEENS9_8equal_toIvEEtEE10hipError_tPvRmT2_T3_T4_T5_mT6_T7_P12ihipStream_tbENKUlT_T0_E_clISt17integral_constantIbLb1EES10_IbLb0EEEEDaSW_SX_EUlSW_E_NS1_11comp_targetILNS1_3genE9ELNS1_11target_archE1100ELNS1_3gpuE3ELNS1_3repE0EEENS1_30default_config_static_selectorELNS0_4arch9wavefront6targetE1EEEvT1_
; %bb.0:
	.section	.rodata,"a",@progbits
	.p2align	6, 0x0
	.amdhsa_kernel _ZN7rocprim17ROCPRIM_400000_NS6detail17trampoline_kernelINS0_14default_configENS1_27scan_by_key_config_selectorIitEEZZNS1_16scan_by_key_implILNS1_25lookback_scan_determinismE0ELb0ES3_N6thrust23THRUST_200600_302600_NS6detail15normal_iteratorINS9_10device_ptrIiEEEENSB_INSC_ItEEEESG_tNS9_4plusIvEENS9_8equal_toIvEEtEE10hipError_tPvRmT2_T3_T4_T5_mT6_T7_P12ihipStream_tbENKUlT_T0_E_clISt17integral_constantIbLb1EES10_IbLb0EEEEDaSW_SX_EUlSW_E_NS1_11comp_targetILNS1_3genE9ELNS1_11target_archE1100ELNS1_3gpuE3ELNS1_3repE0EEENS1_30default_config_static_selectorELNS0_4arch9wavefront6targetE1EEEvT1_
		.amdhsa_group_segment_fixed_size 0
		.amdhsa_private_segment_fixed_size 0
		.amdhsa_kernarg_size 112
		.amdhsa_user_sgpr_count 2
		.amdhsa_user_sgpr_dispatch_ptr 0
		.amdhsa_user_sgpr_queue_ptr 0
		.amdhsa_user_sgpr_kernarg_segment_ptr 1
		.amdhsa_user_sgpr_dispatch_id 0
		.amdhsa_user_sgpr_kernarg_preload_length 0
		.amdhsa_user_sgpr_kernarg_preload_offset 0
		.amdhsa_user_sgpr_private_segment_size 0
		.amdhsa_uses_dynamic_stack 0
		.amdhsa_enable_private_segment 0
		.amdhsa_system_sgpr_workgroup_id_x 1
		.amdhsa_system_sgpr_workgroup_id_y 0
		.amdhsa_system_sgpr_workgroup_id_z 0
		.amdhsa_system_sgpr_workgroup_info 0
		.amdhsa_system_vgpr_workitem_id 0
		.amdhsa_next_free_vgpr 1
		.amdhsa_next_free_sgpr 0
		.amdhsa_accum_offset 4
		.amdhsa_reserve_vcc 0
		.amdhsa_float_round_mode_32 0
		.amdhsa_float_round_mode_16_64 0
		.amdhsa_float_denorm_mode_32 3
		.amdhsa_float_denorm_mode_16_64 3
		.amdhsa_dx10_clamp 1
		.amdhsa_ieee_mode 1
		.amdhsa_fp16_overflow 0
		.amdhsa_tg_split 0
		.amdhsa_exception_fp_ieee_invalid_op 0
		.amdhsa_exception_fp_denorm_src 0
		.amdhsa_exception_fp_ieee_div_zero 0
		.amdhsa_exception_fp_ieee_overflow 0
		.amdhsa_exception_fp_ieee_underflow 0
		.amdhsa_exception_fp_ieee_inexact 0
		.amdhsa_exception_int_div_zero 0
	.end_amdhsa_kernel
	.section	.text._ZN7rocprim17ROCPRIM_400000_NS6detail17trampoline_kernelINS0_14default_configENS1_27scan_by_key_config_selectorIitEEZZNS1_16scan_by_key_implILNS1_25lookback_scan_determinismE0ELb0ES3_N6thrust23THRUST_200600_302600_NS6detail15normal_iteratorINS9_10device_ptrIiEEEENSB_INSC_ItEEEESG_tNS9_4plusIvEENS9_8equal_toIvEEtEE10hipError_tPvRmT2_T3_T4_T5_mT6_T7_P12ihipStream_tbENKUlT_T0_E_clISt17integral_constantIbLb1EES10_IbLb0EEEEDaSW_SX_EUlSW_E_NS1_11comp_targetILNS1_3genE9ELNS1_11target_archE1100ELNS1_3gpuE3ELNS1_3repE0EEENS1_30default_config_static_selectorELNS0_4arch9wavefront6targetE1EEEvT1_,"axG",@progbits,_ZN7rocprim17ROCPRIM_400000_NS6detail17trampoline_kernelINS0_14default_configENS1_27scan_by_key_config_selectorIitEEZZNS1_16scan_by_key_implILNS1_25lookback_scan_determinismE0ELb0ES3_N6thrust23THRUST_200600_302600_NS6detail15normal_iteratorINS9_10device_ptrIiEEEENSB_INSC_ItEEEESG_tNS9_4plusIvEENS9_8equal_toIvEEtEE10hipError_tPvRmT2_T3_T4_T5_mT6_T7_P12ihipStream_tbENKUlT_T0_E_clISt17integral_constantIbLb1EES10_IbLb0EEEEDaSW_SX_EUlSW_E_NS1_11comp_targetILNS1_3genE9ELNS1_11target_archE1100ELNS1_3gpuE3ELNS1_3repE0EEENS1_30default_config_static_selectorELNS0_4arch9wavefront6targetE1EEEvT1_,comdat
.Lfunc_end1296:
	.size	_ZN7rocprim17ROCPRIM_400000_NS6detail17trampoline_kernelINS0_14default_configENS1_27scan_by_key_config_selectorIitEEZZNS1_16scan_by_key_implILNS1_25lookback_scan_determinismE0ELb0ES3_N6thrust23THRUST_200600_302600_NS6detail15normal_iteratorINS9_10device_ptrIiEEEENSB_INSC_ItEEEESG_tNS9_4plusIvEENS9_8equal_toIvEEtEE10hipError_tPvRmT2_T3_T4_T5_mT6_T7_P12ihipStream_tbENKUlT_T0_E_clISt17integral_constantIbLb1EES10_IbLb0EEEEDaSW_SX_EUlSW_E_NS1_11comp_targetILNS1_3genE9ELNS1_11target_archE1100ELNS1_3gpuE3ELNS1_3repE0EEENS1_30default_config_static_selectorELNS0_4arch9wavefront6targetE1EEEvT1_, .Lfunc_end1296-_ZN7rocprim17ROCPRIM_400000_NS6detail17trampoline_kernelINS0_14default_configENS1_27scan_by_key_config_selectorIitEEZZNS1_16scan_by_key_implILNS1_25lookback_scan_determinismE0ELb0ES3_N6thrust23THRUST_200600_302600_NS6detail15normal_iteratorINS9_10device_ptrIiEEEENSB_INSC_ItEEEESG_tNS9_4plusIvEENS9_8equal_toIvEEtEE10hipError_tPvRmT2_T3_T4_T5_mT6_T7_P12ihipStream_tbENKUlT_T0_E_clISt17integral_constantIbLb1EES10_IbLb0EEEEDaSW_SX_EUlSW_E_NS1_11comp_targetILNS1_3genE9ELNS1_11target_archE1100ELNS1_3gpuE3ELNS1_3repE0EEENS1_30default_config_static_selectorELNS0_4arch9wavefront6targetE1EEEvT1_
                                        ; -- End function
	.section	.AMDGPU.csdata,"",@progbits
; Kernel info:
; codeLenInByte = 0
; NumSgprs: 6
; NumVgprs: 0
; NumAgprs: 0
; TotalNumVgprs: 0
; ScratchSize: 0
; MemoryBound: 0
; FloatMode: 240
; IeeeMode: 1
; LDSByteSize: 0 bytes/workgroup (compile time only)
; SGPRBlocks: 0
; VGPRBlocks: 0
; NumSGPRsForWavesPerEU: 6
; NumVGPRsForWavesPerEU: 1
; AccumOffset: 4
; Occupancy: 8
; WaveLimiterHint : 0
; COMPUTE_PGM_RSRC2:SCRATCH_EN: 0
; COMPUTE_PGM_RSRC2:USER_SGPR: 2
; COMPUTE_PGM_RSRC2:TRAP_HANDLER: 0
; COMPUTE_PGM_RSRC2:TGID_X_EN: 1
; COMPUTE_PGM_RSRC2:TGID_Y_EN: 0
; COMPUTE_PGM_RSRC2:TGID_Z_EN: 0
; COMPUTE_PGM_RSRC2:TIDIG_COMP_CNT: 0
; COMPUTE_PGM_RSRC3_GFX90A:ACCUM_OFFSET: 0
; COMPUTE_PGM_RSRC3_GFX90A:TG_SPLIT: 0
	.section	.text._ZN7rocprim17ROCPRIM_400000_NS6detail17trampoline_kernelINS0_14default_configENS1_27scan_by_key_config_selectorIitEEZZNS1_16scan_by_key_implILNS1_25lookback_scan_determinismE0ELb0ES3_N6thrust23THRUST_200600_302600_NS6detail15normal_iteratorINS9_10device_ptrIiEEEENSB_INSC_ItEEEESG_tNS9_4plusIvEENS9_8equal_toIvEEtEE10hipError_tPvRmT2_T3_T4_T5_mT6_T7_P12ihipStream_tbENKUlT_T0_E_clISt17integral_constantIbLb1EES10_IbLb0EEEEDaSW_SX_EUlSW_E_NS1_11comp_targetILNS1_3genE8ELNS1_11target_archE1030ELNS1_3gpuE2ELNS1_3repE0EEENS1_30default_config_static_selectorELNS0_4arch9wavefront6targetE1EEEvT1_,"axG",@progbits,_ZN7rocprim17ROCPRIM_400000_NS6detail17trampoline_kernelINS0_14default_configENS1_27scan_by_key_config_selectorIitEEZZNS1_16scan_by_key_implILNS1_25lookback_scan_determinismE0ELb0ES3_N6thrust23THRUST_200600_302600_NS6detail15normal_iteratorINS9_10device_ptrIiEEEENSB_INSC_ItEEEESG_tNS9_4plusIvEENS9_8equal_toIvEEtEE10hipError_tPvRmT2_T3_T4_T5_mT6_T7_P12ihipStream_tbENKUlT_T0_E_clISt17integral_constantIbLb1EES10_IbLb0EEEEDaSW_SX_EUlSW_E_NS1_11comp_targetILNS1_3genE8ELNS1_11target_archE1030ELNS1_3gpuE2ELNS1_3repE0EEENS1_30default_config_static_selectorELNS0_4arch9wavefront6targetE1EEEvT1_,comdat
	.protected	_ZN7rocprim17ROCPRIM_400000_NS6detail17trampoline_kernelINS0_14default_configENS1_27scan_by_key_config_selectorIitEEZZNS1_16scan_by_key_implILNS1_25lookback_scan_determinismE0ELb0ES3_N6thrust23THRUST_200600_302600_NS6detail15normal_iteratorINS9_10device_ptrIiEEEENSB_INSC_ItEEEESG_tNS9_4plusIvEENS9_8equal_toIvEEtEE10hipError_tPvRmT2_T3_T4_T5_mT6_T7_P12ihipStream_tbENKUlT_T0_E_clISt17integral_constantIbLb1EES10_IbLb0EEEEDaSW_SX_EUlSW_E_NS1_11comp_targetILNS1_3genE8ELNS1_11target_archE1030ELNS1_3gpuE2ELNS1_3repE0EEENS1_30default_config_static_selectorELNS0_4arch9wavefront6targetE1EEEvT1_ ; -- Begin function _ZN7rocprim17ROCPRIM_400000_NS6detail17trampoline_kernelINS0_14default_configENS1_27scan_by_key_config_selectorIitEEZZNS1_16scan_by_key_implILNS1_25lookback_scan_determinismE0ELb0ES3_N6thrust23THRUST_200600_302600_NS6detail15normal_iteratorINS9_10device_ptrIiEEEENSB_INSC_ItEEEESG_tNS9_4plusIvEENS9_8equal_toIvEEtEE10hipError_tPvRmT2_T3_T4_T5_mT6_T7_P12ihipStream_tbENKUlT_T0_E_clISt17integral_constantIbLb1EES10_IbLb0EEEEDaSW_SX_EUlSW_E_NS1_11comp_targetILNS1_3genE8ELNS1_11target_archE1030ELNS1_3gpuE2ELNS1_3repE0EEENS1_30default_config_static_selectorELNS0_4arch9wavefront6targetE1EEEvT1_
	.globl	_ZN7rocprim17ROCPRIM_400000_NS6detail17trampoline_kernelINS0_14default_configENS1_27scan_by_key_config_selectorIitEEZZNS1_16scan_by_key_implILNS1_25lookback_scan_determinismE0ELb0ES3_N6thrust23THRUST_200600_302600_NS6detail15normal_iteratorINS9_10device_ptrIiEEEENSB_INSC_ItEEEESG_tNS9_4plusIvEENS9_8equal_toIvEEtEE10hipError_tPvRmT2_T3_T4_T5_mT6_T7_P12ihipStream_tbENKUlT_T0_E_clISt17integral_constantIbLb1EES10_IbLb0EEEEDaSW_SX_EUlSW_E_NS1_11comp_targetILNS1_3genE8ELNS1_11target_archE1030ELNS1_3gpuE2ELNS1_3repE0EEENS1_30default_config_static_selectorELNS0_4arch9wavefront6targetE1EEEvT1_
	.p2align	8
	.type	_ZN7rocprim17ROCPRIM_400000_NS6detail17trampoline_kernelINS0_14default_configENS1_27scan_by_key_config_selectorIitEEZZNS1_16scan_by_key_implILNS1_25lookback_scan_determinismE0ELb0ES3_N6thrust23THRUST_200600_302600_NS6detail15normal_iteratorINS9_10device_ptrIiEEEENSB_INSC_ItEEEESG_tNS9_4plusIvEENS9_8equal_toIvEEtEE10hipError_tPvRmT2_T3_T4_T5_mT6_T7_P12ihipStream_tbENKUlT_T0_E_clISt17integral_constantIbLb1EES10_IbLb0EEEEDaSW_SX_EUlSW_E_NS1_11comp_targetILNS1_3genE8ELNS1_11target_archE1030ELNS1_3gpuE2ELNS1_3repE0EEENS1_30default_config_static_selectorELNS0_4arch9wavefront6targetE1EEEvT1_,@function
_ZN7rocprim17ROCPRIM_400000_NS6detail17trampoline_kernelINS0_14default_configENS1_27scan_by_key_config_selectorIitEEZZNS1_16scan_by_key_implILNS1_25lookback_scan_determinismE0ELb0ES3_N6thrust23THRUST_200600_302600_NS6detail15normal_iteratorINS9_10device_ptrIiEEEENSB_INSC_ItEEEESG_tNS9_4plusIvEENS9_8equal_toIvEEtEE10hipError_tPvRmT2_T3_T4_T5_mT6_T7_P12ihipStream_tbENKUlT_T0_E_clISt17integral_constantIbLb1EES10_IbLb0EEEEDaSW_SX_EUlSW_E_NS1_11comp_targetILNS1_3genE8ELNS1_11target_archE1030ELNS1_3gpuE2ELNS1_3repE0EEENS1_30default_config_static_selectorELNS0_4arch9wavefront6targetE1EEEvT1_: ; @_ZN7rocprim17ROCPRIM_400000_NS6detail17trampoline_kernelINS0_14default_configENS1_27scan_by_key_config_selectorIitEEZZNS1_16scan_by_key_implILNS1_25lookback_scan_determinismE0ELb0ES3_N6thrust23THRUST_200600_302600_NS6detail15normal_iteratorINS9_10device_ptrIiEEEENSB_INSC_ItEEEESG_tNS9_4plusIvEENS9_8equal_toIvEEtEE10hipError_tPvRmT2_T3_T4_T5_mT6_T7_P12ihipStream_tbENKUlT_T0_E_clISt17integral_constantIbLb1EES10_IbLb0EEEEDaSW_SX_EUlSW_E_NS1_11comp_targetILNS1_3genE8ELNS1_11target_archE1030ELNS1_3gpuE2ELNS1_3repE0EEENS1_30default_config_static_selectorELNS0_4arch9wavefront6targetE1EEEvT1_
; %bb.0:
	.section	.rodata,"a",@progbits
	.p2align	6, 0x0
	.amdhsa_kernel _ZN7rocprim17ROCPRIM_400000_NS6detail17trampoline_kernelINS0_14default_configENS1_27scan_by_key_config_selectorIitEEZZNS1_16scan_by_key_implILNS1_25lookback_scan_determinismE0ELb0ES3_N6thrust23THRUST_200600_302600_NS6detail15normal_iteratorINS9_10device_ptrIiEEEENSB_INSC_ItEEEESG_tNS9_4plusIvEENS9_8equal_toIvEEtEE10hipError_tPvRmT2_T3_T4_T5_mT6_T7_P12ihipStream_tbENKUlT_T0_E_clISt17integral_constantIbLb1EES10_IbLb0EEEEDaSW_SX_EUlSW_E_NS1_11comp_targetILNS1_3genE8ELNS1_11target_archE1030ELNS1_3gpuE2ELNS1_3repE0EEENS1_30default_config_static_selectorELNS0_4arch9wavefront6targetE1EEEvT1_
		.amdhsa_group_segment_fixed_size 0
		.amdhsa_private_segment_fixed_size 0
		.amdhsa_kernarg_size 112
		.amdhsa_user_sgpr_count 2
		.amdhsa_user_sgpr_dispatch_ptr 0
		.amdhsa_user_sgpr_queue_ptr 0
		.amdhsa_user_sgpr_kernarg_segment_ptr 1
		.amdhsa_user_sgpr_dispatch_id 0
		.amdhsa_user_sgpr_kernarg_preload_length 0
		.amdhsa_user_sgpr_kernarg_preload_offset 0
		.amdhsa_user_sgpr_private_segment_size 0
		.amdhsa_uses_dynamic_stack 0
		.amdhsa_enable_private_segment 0
		.amdhsa_system_sgpr_workgroup_id_x 1
		.amdhsa_system_sgpr_workgroup_id_y 0
		.amdhsa_system_sgpr_workgroup_id_z 0
		.amdhsa_system_sgpr_workgroup_info 0
		.amdhsa_system_vgpr_workitem_id 0
		.amdhsa_next_free_vgpr 1
		.amdhsa_next_free_sgpr 0
		.amdhsa_accum_offset 4
		.amdhsa_reserve_vcc 0
		.amdhsa_float_round_mode_32 0
		.amdhsa_float_round_mode_16_64 0
		.amdhsa_float_denorm_mode_32 3
		.amdhsa_float_denorm_mode_16_64 3
		.amdhsa_dx10_clamp 1
		.amdhsa_ieee_mode 1
		.amdhsa_fp16_overflow 0
		.amdhsa_tg_split 0
		.amdhsa_exception_fp_ieee_invalid_op 0
		.amdhsa_exception_fp_denorm_src 0
		.amdhsa_exception_fp_ieee_div_zero 0
		.amdhsa_exception_fp_ieee_overflow 0
		.amdhsa_exception_fp_ieee_underflow 0
		.amdhsa_exception_fp_ieee_inexact 0
		.amdhsa_exception_int_div_zero 0
	.end_amdhsa_kernel
	.section	.text._ZN7rocprim17ROCPRIM_400000_NS6detail17trampoline_kernelINS0_14default_configENS1_27scan_by_key_config_selectorIitEEZZNS1_16scan_by_key_implILNS1_25lookback_scan_determinismE0ELb0ES3_N6thrust23THRUST_200600_302600_NS6detail15normal_iteratorINS9_10device_ptrIiEEEENSB_INSC_ItEEEESG_tNS9_4plusIvEENS9_8equal_toIvEEtEE10hipError_tPvRmT2_T3_T4_T5_mT6_T7_P12ihipStream_tbENKUlT_T0_E_clISt17integral_constantIbLb1EES10_IbLb0EEEEDaSW_SX_EUlSW_E_NS1_11comp_targetILNS1_3genE8ELNS1_11target_archE1030ELNS1_3gpuE2ELNS1_3repE0EEENS1_30default_config_static_selectorELNS0_4arch9wavefront6targetE1EEEvT1_,"axG",@progbits,_ZN7rocprim17ROCPRIM_400000_NS6detail17trampoline_kernelINS0_14default_configENS1_27scan_by_key_config_selectorIitEEZZNS1_16scan_by_key_implILNS1_25lookback_scan_determinismE0ELb0ES3_N6thrust23THRUST_200600_302600_NS6detail15normal_iteratorINS9_10device_ptrIiEEEENSB_INSC_ItEEEESG_tNS9_4plusIvEENS9_8equal_toIvEEtEE10hipError_tPvRmT2_T3_T4_T5_mT6_T7_P12ihipStream_tbENKUlT_T0_E_clISt17integral_constantIbLb1EES10_IbLb0EEEEDaSW_SX_EUlSW_E_NS1_11comp_targetILNS1_3genE8ELNS1_11target_archE1030ELNS1_3gpuE2ELNS1_3repE0EEENS1_30default_config_static_selectorELNS0_4arch9wavefront6targetE1EEEvT1_,comdat
.Lfunc_end1297:
	.size	_ZN7rocprim17ROCPRIM_400000_NS6detail17trampoline_kernelINS0_14default_configENS1_27scan_by_key_config_selectorIitEEZZNS1_16scan_by_key_implILNS1_25lookback_scan_determinismE0ELb0ES3_N6thrust23THRUST_200600_302600_NS6detail15normal_iteratorINS9_10device_ptrIiEEEENSB_INSC_ItEEEESG_tNS9_4plusIvEENS9_8equal_toIvEEtEE10hipError_tPvRmT2_T3_T4_T5_mT6_T7_P12ihipStream_tbENKUlT_T0_E_clISt17integral_constantIbLb1EES10_IbLb0EEEEDaSW_SX_EUlSW_E_NS1_11comp_targetILNS1_3genE8ELNS1_11target_archE1030ELNS1_3gpuE2ELNS1_3repE0EEENS1_30default_config_static_selectorELNS0_4arch9wavefront6targetE1EEEvT1_, .Lfunc_end1297-_ZN7rocprim17ROCPRIM_400000_NS6detail17trampoline_kernelINS0_14default_configENS1_27scan_by_key_config_selectorIitEEZZNS1_16scan_by_key_implILNS1_25lookback_scan_determinismE0ELb0ES3_N6thrust23THRUST_200600_302600_NS6detail15normal_iteratorINS9_10device_ptrIiEEEENSB_INSC_ItEEEESG_tNS9_4plusIvEENS9_8equal_toIvEEtEE10hipError_tPvRmT2_T3_T4_T5_mT6_T7_P12ihipStream_tbENKUlT_T0_E_clISt17integral_constantIbLb1EES10_IbLb0EEEEDaSW_SX_EUlSW_E_NS1_11comp_targetILNS1_3genE8ELNS1_11target_archE1030ELNS1_3gpuE2ELNS1_3repE0EEENS1_30default_config_static_selectorELNS0_4arch9wavefront6targetE1EEEvT1_
                                        ; -- End function
	.section	.AMDGPU.csdata,"",@progbits
; Kernel info:
; codeLenInByte = 0
; NumSgprs: 6
; NumVgprs: 0
; NumAgprs: 0
; TotalNumVgprs: 0
; ScratchSize: 0
; MemoryBound: 0
; FloatMode: 240
; IeeeMode: 1
; LDSByteSize: 0 bytes/workgroup (compile time only)
; SGPRBlocks: 0
; VGPRBlocks: 0
; NumSGPRsForWavesPerEU: 6
; NumVGPRsForWavesPerEU: 1
; AccumOffset: 4
; Occupancy: 8
; WaveLimiterHint : 0
; COMPUTE_PGM_RSRC2:SCRATCH_EN: 0
; COMPUTE_PGM_RSRC2:USER_SGPR: 2
; COMPUTE_PGM_RSRC2:TRAP_HANDLER: 0
; COMPUTE_PGM_RSRC2:TGID_X_EN: 1
; COMPUTE_PGM_RSRC2:TGID_Y_EN: 0
; COMPUTE_PGM_RSRC2:TGID_Z_EN: 0
; COMPUTE_PGM_RSRC2:TIDIG_COMP_CNT: 0
; COMPUTE_PGM_RSRC3_GFX90A:ACCUM_OFFSET: 0
; COMPUTE_PGM_RSRC3_GFX90A:TG_SPLIT: 0
	.section	.text._ZN7rocprim17ROCPRIM_400000_NS6detail30init_device_scan_by_key_kernelINS1_19lookback_scan_stateINS0_5tupleIJtbEEELb0ELb1EEEN6thrust23THRUST_200600_302600_NS6detail15normal_iteratorINS8_10device_ptrIiEEEEjNS1_16block_id_wrapperIjLb1EEEEEvT_jjPNSG_10value_typeET0_PNSt15iterator_traitsISJ_E10value_typeEmT1_T2_,"axG",@progbits,_ZN7rocprim17ROCPRIM_400000_NS6detail30init_device_scan_by_key_kernelINS1_19lookback_scan_stateINS0_5tupleIJtbEEELb0ELb1EEEN6thrust23THRUST_200600_302600_NS6detail15normal_iteratorINS8_10device_ptrIiEEEEjNS1_16block_id_wrapperIjLb1EEEEEvT_jjPNSG_10value_typeET0_PNSt15iterator_traitsISJ_E10value_typeEmT1_T2_,comdat
	.protected	_ZN7rocprim17ROCPRIM_400000_NS6detail30init_device_scan_by_key_kernelINS1_19lookback_scan_stateINS0_5tupleIJtbEEELb0ELb1EEEN6thrust23THRUST_200600_302600_NS6detail15normal_iteratorINS8_10device_ptrIiEEEEjNS1_16block_id_wrapperIjLb1EEEEEvT_jjPNSG_10value_typeET0_PNSt15iterator_traitsISJ_E10value_typeEmT1_T2_ ; -- Begin function _ZN7rocprim17ROCPRIM_400000_NS6detail30init_device_scan_by_key_kernelINS1_19lookback_scan_stateINS0_5tupleIJtbEEELb0ELb1EEEN6thrust23THRUST_200600_302600_NS6detail15normal_iteratorINS8_10device_ptrIiEEEEjNS1_16block_id_wrapperIjLb1EEEEEvT_jjPNSG_10value_typeET0_PNSt15iterator_traitsISJ_E10value_typeEmT1_T2_
	.globl	_ZN7rocprim17ROCPRIM_400000_NS6detail30init_device_scan_by_key_kernelINS1_19lookback_scan_stateINS0_5tupleIJtbEEELb0ELb1EEEN6thrust23THRUST_200600_302600_NS6detail15normal_iteratorINS8_10device_ptrIiEEEEjNS1_16block_id_wrapperIjLb1EEEEEvT_jjPNSG_10value_typeET0_PNSt15iterator_traitsISJ_E10value_typeEmT1_T2_
	.p2align	8
	.type	_ZN7rocprim17ROCPRIM_400000_NS6detail30init_device_scan_by_key_kernelINS1_19lookback_scan_stateINS0_5tupleIJtbEEELb0ELb1EEEN6thrust23THRUST_200600_302600_NS6detail15normal_iteratorINS8_10device_ptrIiEEEEjNS1_16block_id_wrapperIjLb1EEEEEvT_jjPNSG_10value_typeET0_PNSt15iterator_traitsISJ_E10value_typeEmT1_T2_,@function
_ZN7rocprim17ROCPRIM_400000_NS6detail30init_device_scan_by_key_kernelINS1_19lookback_scan_stateINS0_5tupleIJtbEEELb0ELb1EEEN6thrust23THRUST_200600_302600_NS6detail15normal_iteratorINS8_10device_ptrIiEEEEjNS1_16block_id_wrapperIjLb1EEEEEvT_jjPNSG_10value_typeET0_PNSt15iterator_traitsISJ_E10value_typeEmT1_T2_: ; @_ZN7rocprim17ROCPRIM_400000_NS6detail30init_device_scan_by_key_kernelINS1_19lookback_scan_stateINS0_5tupleIJtbEEELb0ELb1EEEN6thrust23THRUST_200600_302600_NS6detail15normal_iteratorINS8_10device_ptrIiEEEEjNS1_16block_id_wrapperIjLb1EEEEEvT_jjPNSG_10value_typeET0_PNSt15iterator_traitsISJ_E10value_typeEmT1_T2_
; %bb.0:
	s_load_dword s3, s[0:1], 0x4c
	s_load_dwordx8 s[4:11], s[0:1], 0x0
	s_load_dword s14, s[0:1], 0x40
	s_waitcnt lgkmcnt(0)
	s_and_b32 s15, s3, 0xffff
	s_mul_i32 s2, s2, s15
	s_cmp_eq_u64 s[8:9], 0
	v_add_u32_e32 v0, s2, v0
	s_cbranch_scc1 .LBB1298_6
; %bb.1:
	s_cmp_lt_u32 s7, s6
	s_cselect_b32 s2, s7, 0
	s_mov_b32 s13, 0
	v_cmp_eq_u32_e32 vcc, s2, v0
	s_and_saveexec_b64 s[2:3], vcc
	s_cbranch_execz .LBB1298_5
; %bb.2:
	s_add_i32 s12, s7, 64
	s_lshl_b64 s[12:13], s[12:13], 3
	s_add_u32 s12, s4, s12
	s_addc_u32 s13, s5, s13
	v_mov_b32_e32 v4, 0
	global_load_dwordx2 v[2:3], v4, s[12:13] sc1
	s_waitcnt vmcnt(0)
	v_and_b32_e32 v5, 0xff, v3
	v_cmp_ne_u64_e32 vcc, 0, v[4:5]
	s_cbranch_vccnz .LBB1298_4
.LBB1298_3:                             ; =>This Inner Loop Header: Depth=1
	global_load_dwordx2 v[2:3], v4, s[12:13] sc1
	s_waitcnt vmcnt(0)
	v_and_b32_e32 v5, 0xff, v3
	v_cmp_eq_u64_e32 vcc, 0, v[4:5]
	s_cbranch_vccnz .LBB1298_3
.LBB1298_4:
	v_mov_b32_e32 v1, 0
	global_store_short v1, v2, s[8:9]
	global_store_byte_d16_hi v1, v2, s[8:9] offset:2
.LBB1298_5:
	s_or_b64 exec, exec, s[2:3]
.LBB1298_6:
	v_cmp_eq_u32_e32 vcc, 0, v0
	s_and_saveexec_b64 s[2:3], vcc
	s_cbranch_execz .LBB1298_8
; %bb.7:
	s_load_dwordx2 s[8:9], s[0:1], 0x38
	v_mov_b32_e32 v1, 0
	s_waitcnt lgkmcnt(0)
	global_store_dword v1, v1, s[8:9]
.LBB1298_8:
	s_or_b64 exec, exec, s[2:3]
	v_cmp_gt_u32_e32 vcc, s6, v0
	s_and_saveexec_b64 s[2:3], vcc
	s_cbranch_execz .LBB1298_10
; %bb.9:
	v_add_u32_e32 v2, 64, v0
	v_mov_b32_e32 v3, 0
	v_lshl_add_u64 v[4:5], v[2:3], 3, s[4:5]
	v_mov_b32_e32 v2, v3
	global_store_dwordx2 v[4:5], v[2:3], off
.LBB1298_10:
	s_or_b64 exec, exec, s[2:3]
	v_cmp_gt_u32_e32 vcc, 64, v0
	v_mov_b32_e32 v1, 0
	s_and_saveexec_b64 s[2:3], vcc
	s_cbranch_execz .LBB1298_12
; %bb.11:
	v_lshl_add_u64 v[2:3], v[0:1], 3, s[4:5]
	v_mov_b32_e32 v5, 0xff
	v_mov_b32_e32 v4, v1
	global_store_dwordx2 v[2:3], v[4:5], off
.LBB1298_12:
	s_or_b64 exec, exec, s[2:3]
	s_load_dwordx2 s[2:3], s[0:1], 0x28
	s_waitcnt lgkmcnt(0)
	v_cmp_gt_u64_e32 vcc, s[2:3], v[0:1]
	s_and_saveexec_b64 s[4:5], vcc
	s_cbranch_execz .LBB1298_15
; %bb.13:
	s_load_dword s12, s[0:1], 0x30
	s_load_dwordx2 s[6:7], s[0:1], 0x20
	s_mov_b32 s5, 0
	s_mov_b32 s1, s5
	s_mul_i32 s0, s14, s15
	s_waitcnt lgkmcnt(0)
	s_add_i32 s4, s12, -1
	s_lshl_b64 s[4:5], s[4:5], 2
	s_add_u32 s4, s10, s4
	v_mad_u64_u32 v[2:3], s[8:9], s12, v0, 0
	s_addc_u32 s5, s11, s5
	v_lshl_add_u64 v[2:3], v[2:3], 2, s[4:5]
	s_mul_hi_u32 s5, s12, s0
	s_mul_i32 s4, s12, s0
	s_lshl_b64 s[4:5], s[4:5], 2
	v_lshl_add_u64 v[4:5], v[0:1], 2, s[6:7]
	s_lshl_b64 s[6:7], s[0:1], 2
	s_mov_b64 s[8:9], 0
.LBB1298_14:                            ; =>This Inner Loop Header: Depth=1
	global_load_dword v6, v[2:3], off
	v_lshl_add_u64 v[0:1], v[0:1], 0, s[0:1]
	v_cmp_le_u64_e32 vcc, s[2:3], v[0:1]
	v_lshl_add_u64 v[2:3], v[2:3], 0, s[4:5]
	s_or_b64 s[8:9], vcc, s[8:9]
	s_waitcnt vmcnt(0)
	global_store_dword v[4:5], v6, off
	v_lshl_add_u64 v[4:5], v[4:5], 0, s[6:7]
	s_andn2_b64 exec, exec, s[8:9]
	s_cbranch_execnz .LBB1298_14
.LBB1298_15:
	s_endpgm
	.section	.rodata,"a",@progbits
	.p2align	6, 0x0
	.amdhsa_kernel _ZN7rocprim17ROCPRIM_400000_NS6detail30init_device_scan_by_key_kernelINS1_19lookback_scan_stateINS0_5tupleIJtbEEELb0ELb1EEEN6thrust23THRUST_200600_302600_NS6detail15normal_iteratorINS8_10device_ptrIiEEEEjNS1_16block_id_wrapperIjLb1EEEEEvT_jjPNSG_10value_typeET0_PNSt15iterator_traitsISJ_E10value_typeEmT1_T2_
		.amdhsa_group_segment_fixed_size 0
		.amdhsa_private_segment_fixed_size 0
		.amdhsa_kernarg_size 320
		.amdhsa_user_sgpr_count 2
		.amdhsa_user_sgpr_dispatch_ptr 0
		.amdhsa_user_sgpr_queue_ptr 0
		.amdhsa_user_sgpr_kernarg_segment_ptr 1
		.amdhsa_user_sgpr_dispatch_id 0
		.amdhsa_user_sgpr_kernarg_preload_length 0
		.amdhsa_user_sgpr_kernarg_preload_offset 0
		.amdhsa_user_sgpr_private_segment_size 0
		.amdhsa_uses_dynamic_stack 0
		.amdhsa_enable_private_segment 0
		.amdhsa_system_sgpr_workgroup_id_x 1
		.amdhsa_system_sgpr_workgroup_id_y 0
		.amdhsa_system_sgpr_workgroup_id_z 0
		.amdhsa_system_sgpr_workgroup_info 0
		.amdhsa_system_vgpr_workitem_id 0
		.amdhsa_next_free_vgpr 7
		.amdhsa_next_free_sgpr 16
		.amdhsa_accum_offset 8
		.amdhsa_reserve_vcc 1
		.amdhsa_float_round_mode_32 0
		.amdhsa_float_round_mode_16_64 0
		.amdhsa_float_denorm_mode_32 3
		.amdhsa_float_denorm_mode_16_64 3
		.amdhsa_dx10_clamp 1
		.amdhsa_ieee_mode 1
		.amdhsa_fp16_overflow 0
		.amdhsa_tg_split 0
		.amdhsa_exception_fp_ieee_invalid_op 0
		.amdhsa_exception_fp_denorm_src 0
		.amdhsa_exception_fp_ieee_div_zero 0
		.amdhsa_exception_fp_ieee_overflow 0
		.amdhsa_exception_fp_ieee_underflow 0
		.amdhsa_exception_fp_ieee_inexact 0
		.amdhsa_exception_int_div_zero 0
	.end_amdhsa_kernel
	.section	.text._ZN7rocprim17ROCPRIM_400000_NS6detail30init_device_scan_by_key_kernelINS1_19lookback_scan_stateINS0_5tupleIJtbEEELb0ELb1EEEN6thrust23THRUST_200600_302600_NS6detail15normal_iteratorINS8_10device_ptrIiEEEEjNS1_16block_id_wrapperIjLb1EEEEEvT_jjPNSG_10value_typeET0_PNSt15iterator_traitsISJ_E10value_typeEmT1_T2_,"axG",@progbits,_ZN7rocprim17ROCPRIM_400000_NS6detail30init_device_scan_by_key_kernelINS1_19lookback_scan_stateINS0_5tupleIJtbEEELb0ELb1EEEN6thrust23THRUST_200600_302600_NS6detail15normal_iteratorINS8_10device_ptrIiEEEEjNS1_16block_id_wrapperIjLb1EEEEEvT_jjPNSG_10value_typeET0_PNSt15iterator_traitsISJ_E10value_typeEmT1_T2_,comdat
.Lfunc_end1298:
	.size	_ZN7rocprim17ROCPRIM_400000_NS6detail30init_device_scan_by_key_kernelINS1_19lookback_scan_stateINS0_5tupleIJtbEEELb0ELb1EEEN6thrust23THRUST_200600_302600_NS6detail15normal_iteratorINS8_10device_ptrIiEEEEjNS1_16block_id_wrapperIjLb1EEEEEvT_jjPNSG_10value_typeET0_PNSt15iterator_traitsISJ_E10value_typeEmT1_T2_, .Lfunc_end1298-_ZN7rocprim17ROCPRIM_400000_NS6detail30init_device_scan_by_key_kernelINS1_19lookback_scan_stateINS0_5tupleIJtbEEELb0ELb1EEEN6thrust23THRUST_200600_302600_NS6detail15normal_iteratorINS8_10device_ptrIiEEEEjNS1_16block_id_wrapperIjLb1EEEEEvT_jjPNSG_10value_typeET0_PNSt15iterator_traitsISJ_E10value_typeEmT1_T2_
                                        ; -- End function
	.section	.AMDGPU.csdata,"",@progbits
; Kernel info:
; codeLenInByte = 488
; NumSgprs: 22
; NumVgprs: 7
; NumAgprs: 0
; TotalNumVgprs: 7
; ScratchSize: 0
; MemoryBound: 0
; FloatMode: 240
; IeeeMode: 1
; LDSByteSize: 0 bytes/workgroup (compile time only)
; SGPRBlocks: 2
; VGPRBlocks: 0
; NumSGPRsForWavesPerEU: 22
; NumVGPRsForWavesPerEU: 7
; AccumOffset: 8
; Occupancy: 8
; WaveLimiterHint : 0
; COMPUTE_PGM_RSRC2:SCRATCH_EN: 0
; COMPUTE_PGM_RSRC2:USER_SGPR: 2
; COMPUTE_PGM_RSRC2:TRAP_HANDLER: 0
; COMPUTE_PGM_RSRC2:TGID_X_EN: 1
; COMPUTE_PGM_RSRC2:TGID_Y_EN: 0
; COMPUTE_PGM_RSRC2:TGID_Z_EN: 0
; COMPUTE_PGM_RSRC2:TIDIG_COMP_CNT: 0
; COMPUTE_PGM_RSRC3_GFX90A:ACCUM_OFFSET: 1
; COMPUTE_PGM_RSRC3_GFX90A:TG_SPLIT: 0
	.section	.text._ZN7rocprim17ROCPRIM_400000_NS6detail30init_device_scan_by_key_kernelINS1_19lookback_scan_stateINS0_5tupleIJtbEEELb0ELb1EEENS1_16block_id_wrapperIjLb1EEEEEvT_jjPNS9_10value_typeET0_,"axG",@progbits,_ZN7rocprim17ROCPRIM_400000_NS6detail30init_device_scan_by_key_kernelINS1_19lookback_scan_stateINS0_5tupleIJtbEEELb0ELb1EEENS1_16block_id_wrapperIjLb1EEEEEvT_jjPNS9_10value_typeET0_,comdat
	.protected	_ZN7rocprim17ROCPRIM_400000_NS6detail30init_device_scan_by_key_kernelINS1_19lookback_scan_stateINS0_5tupleIJtbEEELb0ELb1EEENS1_16block_id_wrapperIjLb1EEEEEvT_jjPNS9_10value_typeET0_ ; -- Begin function _ZN7rocprim17ROCPRIM_400000_NS6detail30init_device_scan_by_key_kernelINS1_19lookback_scan_stateINS0_5tupleIJtbEEELb0ELb1EEENS1_16block_id_wrapperIjLb1EEEEEvT_jjPNS9_10value_typeET0_
	.globl	_ZN7rocprim17ROCPRIM_400000_NS6detail30init_device_scan_by_key_kernelINS1_19lookback_scan_stateINS0_5tupleIJtbEEELb0ELb1EEENS1_16block_id_wrapperIjLb1EEEEEvT_jjPNS9_10value_typeET0_
	.p2align	8
	.type	_ZN7rocprim17ROCPRIM_400000_NS6detail30init_device_scan_by_key_kernelINS1_19lookback_scan_stateINS0_5tupleIJtbEEELb0ELb1EEENS1_16block_id_wrapperIjLb1EEEEEvT_jjPNS9_10value_typeET0_,@function
_ZN7rocprim17ROCPRIM_400000_NS6detail30init_device_scan_by_key_kernelINS1_19lookback_scan_stateINS0_5tupleIJtbEEELb0ELb1EEENS1_16block_id_wrapperIjLb1EEEEEvT_jjPNS9_10value_typeET0_: ; @_ZN7rocprim17ROCPRIM_400000_NS6detail30init_device_scan_by_key_kernelINS1_19lookback_scan_stateINS0_5tupleIJtbEEELb0ELb1EEENS1_16block_id_wrapperIjLb1EEEEEvT_jjPNS9_10value_typeET0_
; %bb.0:
	s_load_dword s3, s[0:1], 0x2c
	s_load_dwordx8 s[4:11], s[0:1], 0x0
	s_waitcnt lgkmcnt(0)
	s_and_b32 s0, s3, 0xffff
	s_mul_i32 s2, s2, s0
	s_cmp_eq_u64 s[8:9], 0
	v_add_u32_e32 v0, s2, v0
	s_cbranch_scc1 .LBB1299_6
; %bb.1:
	s_cmp_lt_u32 s7, s6
	s_cselect_b32 s0, s7, 0
	s_mov_b32 s3, 0
	v_cmp_eq_u32_e32 vcc, s0, v0
	s_and_saveexec_b64 s[0:1], vcc
	s_cbranch_execz .LBB1299_5
; %bb.2:
	s_add_i32 s2, s7, 64
	s_lshl_b64 s[2:3], s[2:3], 3
	s_add_u32 s2, s4, s2
	s_addc_u32 s3, s5, s3
	v_mov_b32_e32 v4, 0
	global_load_dwordx2 v[2:3], v4, s[2:3] sc1
	s_waitcnt vmcnt(0)
	v_and_b32_e32 v5, 0xff, v3
	v_cmp_ne_u64_e32 vcc, 0, v[4:5]
	s_cbranch_vccnz .LBB1299_4
.LBB1299_3:                             ; =>This Inner Loop Header: Depth=1
	global_load_dwordx2 v[2:3], v4, s[2:3] sc1
	s_waitcnt vmcnt(0)
	v_and_b32_e32 v5, 0xff, v3
	v_cmp_eq_u64_e32 vcc, 0, v[4:5]
	s_cbranch_vccnz .LBB1299_3
.LBB1299_4:
	v_mov_b32_e32 v1, 0
	global_store_short v1, v2, s[8:9]
	global_store_byte_d16_hi v1, v2, s[8:9] offset:2
.LBB1299_5:
	s_or_b64 exec, exec, s[0:1]
.LBB1299_6:
	v_cmp_eq_u32_e32 vcc, 0, v0
	s_and_saveexec_b64 s[0:1], vcc
	s_cbranch_execnz .LBB1299_10
; %bb.7:
	s_or_b64 exec, exec, s[0:1]
	v_cmp_gt_u32_e32 vcc, s6, v0
	s_and_saveexec_b64 s[0:1], vcc
	s_cbranch_execnz .LBB1299_11
.LBB1299_8:
	s_or_b64 exec, exec, s[0:1]
	v_cmp_gt_u32_e32 vcc, 64, v0
	s_and_saveexec_b64 s[0:1], vcc
	s_cbranch_execnz .LBB1299_12
.LBB1299_9:
	s_endpgm
.LBB1299_10:
	v_mov_b32_e32 v1, 0
	global_store_dword v1, v1, s[10:11]
	s_or_b64 exec, exec, s[0:1]
	v_cmp_gt_u32_e32 vcc, s6, v0
	s_and_saveexec_b64 s[0:1], vcc
	s_cbranch_execz .LBB1299_8
.LBB1299_11:
	v_add_u32_e32 v2, 64, v0
	v_mov_b32_e32 v3, 0
	v_lshl_add_u64 v[4:5], v[2:3], 3, s[4:5]
	v_mov_b32_e32 v2, v3
	global_store_dwordx2 v[4:5], v[2:3], off
	s_or_b64 exec, exec, s[0:1]
	v_cmp_gt_u32_e32 vcc, 64, v0
	s_and_saveexec_b64 s[0:1], vcc
	s_cbranch_execz .LBB1299_9
.LBB1299_12:
	v_mov_b32_e32 v1, 0
	v_lshl_add_u64 v[2:3], v[0:1], 3, s[4:5]
	v_mov_b32_e32 v5, 0xff
	v_mov_b32_e32 v4, v1
	global_store_dwordx2 v[2:3], v[4:5], off
	s_endpgm
	.section	.rodata,"a",@progbits
	.p2align	6, 0x0
	.amdhsa_kernel _ZN7rocprim17ROCPRIM_400000_NS6detail30init_device_scan_by_key_kernelINS1_19lookback_scan_stateINS0_5tupleIJtbEEELb0ELb1EEENS1_16block_id_wrapperIjLb1EEEEEvT_jjPNS9_10value_typeET0_
		.amdhsa_group_segment_fixed_size 0
		.amdhsa_private_segment_fixed_size 0
		.amdhsa_kernarg_size 288
		.amdhsa_user_sgpr_count 2
		.amdhsa_user_sgpr_dispatch_ptr 0
		.amdhsa_user_sgpr_queue_ptr 0
		.amdhsa_user_sgpr_kernarg_segment_ptr 1
		.amdhsa_user_sgpr_dispatch_id 0
		.amdhsa_user_sgpr_kernarg_preload_length 0
		.amdhsa_user_sgpr_kernarg_preload_offset 0
		.amdhsa_user_sgpr_private_segment_size 0
		.amdhsa_uses_dynamic_stack 0
		.amdhsa_enable_private_segment 0
		.amdhsa_system_sgpr_workgroup_id_x 1
		.amdhsa_system_sgpr_workgroup_id_y 0
		.amdhsa_system_sgpr_workgroup_id_z 0
		.amdhsa_system_sgpr_workgroup_info 0
		.amdhsa_system_vgpr_workitem_id 0
		.amdhsa_next_free_vgpr 6
		.amdhsa_next_free_sgpr 12
		.amdhsa_accum_offset 8
		.amdhsa_reserve_vcc 1
		.amdhsa_float_round_mode_32 0
		.amdhsa_float_round_mode_16_64 0
		.amdhsa_float_denorm_mode_32 3
		.amdhsa_float_denorm_mode_16_64 3
		.amdhsa_dx10_clamp 1
		.amdhsa_ieee_mode 1
		.amdhsa_fp16_overflow 0
		.amdhsa_tg_split 0
		.amdhsa_exception_fp_ieee_invalid_op 0
		.amdhsa_exception_fp_denorm_src 0
		.amdhsa_exception_fp_ieee_div_zero 0
		.amdhsa_exception_fp_ieee_overflow 0
		.amdhsa_exception_fp_ieee_underflow 0
		.amdhsa_exception_fp_ieee_inexact 0
		.amdhsa_exception_int_div_zero 0
	.end_amdhsa_kernel
	.section	.text._ZN7rocprim17ROCPRIM_400000_NS6detail30init_device_scan_by_key_kernelINS1_19lookback_scan_stateINS0_5tupleIJtbEEELb0ELb1EEENS1_16block_id_wrapperIjLb1EEEEEvT_jjPNS9_10value_typeET0_,"axG",@progbits,_ZN7rocprim17ROCPRIM_400000_NS6detail30init_device_scan_by_key_kernelINS1_19lookback_scan_stateINS0_5tupleIJtbEEELb0ELb1EEENS1_16block_id_wrapperIjLb1EEEEEvT_jjPNS9_10value_typeET0_,comdat
.Lfunc_end1299:
	.size	_ZN7rocprim17ROCPRIM_400000_NS6detail30init_device_scan_by_key_kernelINS1_19lookback_scan_stateINS0_5tupleIJtbEEELb0ELb1EEENS1_16block_id_wrapperIjLb1EEEEEvT_jjPNS9_10value_typeET0_, .Lfunc_end1299-_ZN7rocprim17ROCPRIM_400000_NS6detail30init_device_scan_by_key_kernelINS1_19lookback_scan_stateINS0_5tupleIJtbEEELb0ELb1EEENS1_16block_id_wrapperIjLb1EEEEEvT_jjPNS9_10value_typeET0_
                                        ; -- End function
	.section	.AMDGPU.csdata,"",@progbits
; Kernel info:
; codeLenInByte = 324
; NumSgprs: 18
; NumVgprs: 6
; NumAgprs: 0
; TotalNumVgprs: 6
; ScratchSize: 0
; MemoryBound: 0
; FloatMode: 240
; IeeeMode: 1
; LDSByteSize: 0 bytes/workgroup (compile time only)
; SGPRBlocks: 2
; VGPRBlocks: 0
; NumSGPRsForWavesPerEU: 18
; NumVGPRsForWavesPerEU: 6
; AccumOffset: 8
; Occupancy: 8
; WaveLimiterHint : 0
; COMPUTE_PGM_RSRC2:SCRATCH_EN: 0
; COMPUTE_PGM_RSRC2:USER_SGPR: 2
; COMPUTE_PGM_RSRC2:TRAP_HANDLER: 0
; COMPUTE_PGM_RSRC2:TGID_X_EN: 1
; COMPUTE_PGM_RSRC2:TGID_Y_EN: 0
; COMPUTE_PGM_RSRC2:TGID_Z_EN: 0
; COMPUTE_PGM_RSRC2:TIDIG_COMP_CNT: 0
; COMPUTE_PGM_RSRC3_GFX90A:ACCUM_OFFSET: 1
; COMPUTE_PGM_RSRC3_GFX90A:TG_SPLIT: 0
	.section	.text._ZN7rocprim17ROCPRIM_400000_NS6detail17trampoline_kernelINS0_14default_configENS1_27scan_by_key_config_selectorIitEEZZNS1_16scan_by_key_implILNS1_25lookback_scan_determinismE0ELb0ES3_N6thrust23THRUST_200600_302600_NS6detail15normal_iteratorINS9_10device_ptrIiEEEENSB_INSC_ItEEEESG_tNS9_4plusIvEENS9_8equal_toIvEEtEE10hipError_tPvRmT2_T3_T4_T5_mT6_T7_P12ihipStream_tbENKUlT_T0_E_clISt17integral_constantIbLb0EES10_IbLb1EEEEDaSW_SX_EUlSW_E_NS1_11comp_targetILNS1_3genE0ELNS1_11target_archE4294967295ELNS1_3gpuE0ELNS1_3repE0EEENS1_30default_config_static_selectorELNS0_4arch9wavefront6targetE1EEEvT1_,"axG",@progbits,_ZN7rocprim17ROCPRIM_400000_NS6detail17trampoline_kernelINS0_14default_configENS1_27scan_by_key_config_selectorIitEEZZNS1_16scan_by_key_implILNS1_25lookback_scan_determinismE0ELb0ES3_N6thrust23THRUST_200600_302600_NS6detail15normal_iteratorINS9_10device_ptrIiEEEENSB_INSC_ItEEEESG_tNS9_4plusIvEENS9_8equal_toIvEEtEE10hipError_tPvRmT2_T3_T4_T5_mT6_T7_P12ihipStream_tbENKUlT_T0_E_clISt17integral_constantIbLb0EES10_IbLb1EEEEDaSW_SX_EUlSW_E_NS1_11comp_targetILNS1_3genE0ELNS1_11target_archE4294967295ELNS1_3gpuE0ELNS1_3repE0EEENS1_30default_config_static_selectorELNS0_4arch9wavefront6targetE1EEEvT1_,comdat
	.protected	_ZN7rocprim17ROCPRIM_400000_NS6detail17trampoline_kernelINS0_14default_configENS1_27scan_by_key_config_selectorIitEEZZNS1_16scan_by_key_implILNS1_25lookback_scan_determinismE0ELb0ES3_N6thrust23THRUST_200600_302600_NS6detail15normal_iteratorINS9_10device_ptrIiEEEENSB_INSC_ItEEEESG_tNS9_4plusIvEENS9_8equal_toIvEEtEE10hipError_tPvRmT2_T3_T4_T5_mT6_T7_P12ihipStream_tbENKUlT_T0_E_clISt17integral_constantIbLb0EES10_IbLb1EEEEDaSW_SX_EUlSW_E_NS1_11comp_targetILNS1_3genE0ELNS1_11target_archE4294967295ELNS1_3gpuE0ELNS1_3repE0EEENS1_30default_config_static_selectorELNS0_4arch9wavefront6targetE1EEEvT1_ ; -- Begin function _ZN7rocprim17ROCPRIM_400000_NS6detail17trampoline_kernelINS0_14default_configENS1_27scan_by_key_config_selectorIitEEZZNS1_16scan_by_key_implILNS1_25lookback_scan_determinismE0ELb0ES3_N6thrust23THRUST_200600_302600_NS6detail15normal_iteratorINS9_10device_ptrIiEEEENSB_INSC_ItEEEESG_tNS9_4plusIvEENS9_8equal_toIvEEtEE10hipError_tPvRmT2_T3_T4_T5_mT6_T7_P12ihipStream_tbENKUlT_T0_E_clISt17integral_constantIbLb0EES10_IbLb1EEEEDaSW_SX_EUlSW_E_NS1_11comp_targetILNS1_3genE0ELNS1_11target_archE4294967295ELNS1_3gpuE0ELNS1_3repE0EEENS1_30default_config_static_selectorELNS0_4arch9wavefront6targetE1EEEvT1_
	.globl	_ZN7rocprim17ROCPRIM_400000_NS6detail17trampoline_kernelINS0_14default_configENS1_27scan_by_key_config_selectorIitEEZZNS1_16scan_by_key_implILNS1_25lookback_scan_determinismE0ELb0ES3_N6thrust23THRUST_200600_302600_NS6detail15normal_iteratorINS9_10device_ptrIiEEEENSB_INSC_ItEEEESG_tNS9_4plusIvEENS9_8equal_toIvEEtEE10hipError_tPvRmT2_T3_T4_T5_mT6_T7_P12ihipStream_tbENKUlT_T0_E_clISt17integral_constantIbLb0EES10_IbLb1EEEEDaSW_SX_EUlSW_E_NS1_11comp_targetILNS1_3genE0ELNS1_11target_archE4294967295ELNS1_3gpuE0ELNS1_3repE0EEENS1_30default_config_static_selectorELNS0_4arch9wavefront6targetE1EEEvT1_
	.p2align	8
	.type	_ZN7rocprim17ROCPRIM_400000_NS6detail17trampoline_kernelINS0_14default_configENS1_27scan_by_key_config_selectorIitEEZZNS1_16scan_by_key_implILNS1_25lookback_scan_determinismE0ELb0ES3_N6thrust23THRUST_200600_302600_NS6detail15normal_iteratorINS9_10device_ptrIiEEEENSB_INSC_ItEEEESG_tNS9_4plusIvEENS9_8equal_toIvEEtEE10hipError_tPvRmT2_T3_T4_T5_mT6_T7_P12ihipStream_tbENKUlT_T0_E_clISt17integral_constantIbLb0EES10_IbLb1EEEEDaSW_SX_EUlSW_E_NS1_11comp_targetILNS1_3genE0ELNS1_11target_archE4294967295ELNS1_3gpuE0ELNS1_3repE0EEENS1_30default_config_static_selectorELNS0_4arch9wavefront6targetE1EEEvT1_,@function
_ZN7rocprim17ROCPRIM_400000_NS6detail17trampoline_kernelINS0_14default_configENS1_27scan_by_key_config_selectorIitEEZZNS1_16scan_by_key_implILNS1_25lookback_scan_determinismE0ELb0ES3_N6thrust23THRUST_200600_302600_NS6detail15normal_iteratorINS9_10device_ptrIiEEEENSB_INSC_ItEEEESG_tNS9_4plusIvEENS9_8equal_toIvEEtEE10hipError_tPvRmT2_T3_T4_T5_mT6_T7_P12ihipStream_tbENKUlT_T0_E_clISt17integral_constantIbLb0EES10_IbLb1EEEEDaSW_SX_EUlSW_E_NS1_11comp_targetILNS1_3genE0ELNS1_11target_archE4294967295ELNS1_3gpuE0ELNS1_3repE0EEENS1_30default_config_static_selectorELNS0_4arch9wavefront6targetE1EEEvT1_: ; @_ZN7rocprim17ROCPRIM_400000_NS6detail17trampoline_kernelINS0_14default_configENS1_27scan_by_key_config_selectorIitEEZZNS1_16scan_by_key_implILNS1_25lookback_scan_determinismE0ELb0ES3_N6thrust23THRUST_200600_302600_NS6detail15normal_iteratorINS9_10device_ptrIiEEEENSB_INSC_ItEEEESG_tNS9_4plusIvEENS9_8equal_toIvEEtEE10hipError_tPvRmT2_T3_T4_T5_mT6_T7_P12ihipStream_tbENKUlT_T0_E_clISt17integral_constantIbLb0EES10_IbLb1EEEEDaSW_SX_EUlSW_E_NS1_11comp_targetILNS1_3genE0ELNS1_11target_archE4294967295ELNS1_3gpuE0ELNS1_3repE0EEENS1_30default_config_static_selectorELNS0_4arch9wavefront6targetE1EEEvT1_
; %bb.0:
	.section	.rodata,"a",@progbits
	.p2align	6, 0x0
	.amdhsa_kernel _ZN7rocprim17ROCPRIM_400000_NS6detail17trampoline_kernelINS0_14default_configENS1_27scan_by_key_config_selectorIitEEZZNS1_16scan_by_key_implILNS1_25lookback_scan_determinismE0ELb0ES3_N6thrust23THRUST_200600_302600_NS6detail15normal_iteratorINS9_10device_ptrIiEEEENSB_INSC_ItEEEESG_tNS9_4plusIvEENS9_8equal_toIvEEtEE10hipError_tPvRmT2_T3_T4_T5_mT6_T7_P12ihipStream_tbENKUlT_T0_E_clISt17integral_constantIbLb0EES10_IbLb1EEEEDaSW_SX_EUlSW_E_NS1_11comp_targetILNS1_3genE0ELNS1_11target_archE4294967295ELNS1_3gpuE0ELNS1_3repE0EEENS1_30default_config_static_selectorELNS0_4arch9wavefront6targetE1EEEvT1_
		.amdhsa_group_segment_fixed_size 0
		.amdhsa_private_segment_fixed_size 0
		.amdhsa_kernarg_size 112
		.amdhsa_user_sgpr_count 2
		.amdhsa_user_sgpr_dispatch_ptr 0
		.amdhsa_user_sgpr_queue_ptr 0
		.amdhsa_user_sgpr_kernarg_segment_ptr 1
		.amdhsa_user_sgpr_dispatch_id 0
		.amdhsa_user_sgpr_kernarg_preload_length 0
		.amdhsa_user_sgpr_kernarg_preload_offset 0
		.amdhsa_user_sgpr_private_segment_size 0
		.amdhsa_uses_dynamic_stack 0
		.amdhsa_enable_private_segment 0
		.amdhsa_system_sgpr_workgroup_id_x 1
		.amdhsa_system_sgpr_workgroup_id_y 0
		.amdhsa_system_sgpr_workgroup_id_z 0
		.amdhsa_system_sgpr_workgroup_info 0
		.amdhsa_system_vgpr_workitem_id 0
		.amdhsa_next_free_vgpr 1
		.amdhsa_next_free_sgpr 0
		.amdhsa_accum_offset 4
		.amdhsa_reserve_vcc 0
		.amdhsa_float_round_mode_32 0
		.amdhsa_float_round_mode_16_64 0
		.amdhsa_float_denorm_mode_32 3
		.amdhsa_float_denorm_mode_16_64 3
		.amdhsa_dx10_clamp 1
		.amdhsa_ieee_mode 1
		.amdhsa_fp16_overflow 0
		.amdhsa_tg_split 0
		.amdhsa_exception_fp_ieee_invalid_op 0
		.amdhsa_exception_fp_denorm_src 0
		.amdhsa_exception_fp_ieee_div_zero 0
		.amdhsa_exception_fp_ieee_overflow 0
		.amdhsa_exception_fp_ieee_underflow 0
		.amdhsa_exception_fp_ieee_inexact 0
		.amdhsa_exception_int_div_zero 0
	.end_amdhsa_kernel
	.section	.text._ZN7rocprim17ROCPRIM_400000_NS6detail17trampoline_kernelINS0_14default_configENS1_27scan_by_key_config_selectorIitEEZZNS1_16scan_by_key_implILNS1_25lookback_scan_determinismE0ELb0ES3_N6thrust23THRUST_200600_302600_NS6detail15normal_iteratorINS9_10device_ptrIiEEEENSB_INSC_ItEEEESG_tNS9_4plusIvEENS9_8equal_toIvEEtEE10hipError_tPvRmT2_T3_T4_T5_mT6_T7_P12ihipStream_tbENKUlT_T0_E_clISt17integral_constantIbLb0EES10_IbLb1EEEEDaSW_SX_EUlSW_E_NS1_11comp_targetILNS1_3genE0ELNS1_11target_archE4294967295ELNS1_3gpuE0ELNS1_3repE0EEENS1_30default_config_static_selectorELNS0_4arch9wavefront6targetE1EEEvT1_,"axG",@progbits,_ZN7rocprim17ROCPRIM_400000_NS6detail17trampoline_kernelINS0_14default_configENS1_27scan_by_key_config_selectorIitEEZZNS1_16scan_by_key_implILNS1_25lookback_scan_determinismE0ELb0ES3_N6thrust23THRUST_200600_302600_NS6detail15normal_iteratorINS9_10device_ptrIiEEEENSB_INSC_ItEEEESG_tNS9_4plusIvEENS9_8equal_toIvEEtEE10hipError_tPvRmT2_T3_T4_T5_mT6_T7_P12ihipStream_tbENKUlT_T0_E_clISt17integral_constantIbLb0EES10_IbLb1EEEEDaSW_SX_EUlSW_E_NS1_11comp_targetILNS1_3genE0ELNS1_11target_archE4294967295ELNS1_3gpuE0ELNS1_3repE0EEENS1_30default_config_static_selectorELNS0_4arch9wavefront6targetE1EEEvT1_,comdat
.Lfunc_end1300:
	.size	_ZN7rocprim17ROCPRIM_400000_NS6detail17trampoline_kernelINS0_14default_configENS1_27scan_by_key_config_selectorIitEEZZNS1_16scan_by_key_implILNS1_25lookback_scan_determinismE0ELb0ES3_N6thrust23THRUST_200600_302600_NS6detail15normal_iteratorINS9_10device_ptrIiEEEENSB_INSC_ItEEEESG_tNS9_4plusIvEENS9_8equal_toIvEEtEE10hipError_tPvRmT2_T3_T4_T5_mT6_T7_P12ihipStream_tbENKUlT_T0_E_clISt17integral_constantIbLb0EES10_IbLb1EEEEDaSW_SX_EUlSW_E_NS1_11comp_targetILNS1_3genE0ELNS1_11target_archE4294967295ELNS1_3gpuE0ELNS1_3repE0EEENS1_30default_config_static_selectorELNS0_4arch9wavefront6targetE1EEEvT1_, .Lfunc_end1300-_ZN7rocprim17ROCPRIM_400000_NS6detail17trampoline_kernelINS0_14default_configENS1_27scan_by_key_config_selectorIitEEZZNS1_16scan_by_key_implILNS1_25lookback_scan_determinismE0ELb0ES3_N6thrust23THRUST_200600_302600_NS6detail15normal_iteratorINS9_10device_ptrIiEEEENSB_INSC_ItEEEESG_tNS9_4plusIvEENS9_8equal_toIvEEtEE10hipError_tPvRmT2_T3_T4_T5_mT6_T7_P12ihipStream_tbENKUlT_T0_E_clISt17integral_constantIbLb0EES10_IbLb1EEEEDaSW_SX_EUlSW_E_NS1_11comp_targetILNS1_3genE0ELNS1_11target_archE4294967295ELNS1_3gpuE0ELNS1_3repE0EEENS1_30default_config_static_selectorELNS0_4arch9wavefront6targetE1EEEvT1_
                                        ; -- End function
	.section	.AMDGPU.csdata,"",@progbits
; Kernel info:
; codeLenInByte = 0
; NumSgprs: 6
; NumVgprs: 0
; NumAgprs: 0
; TotalNumVgprs: 0
; ScratchSize: 0
; MemoryBound: 0
; FloatMode: 240
; IeeeMode: 1
; LDSByteSize: 0 bytes/workgroup (compile time only)
; SGPRBlocks: 0
; VGPRBlocks: 0
; NumSGPRsForWavesPerEU: 6
; NumVGPRsForWavesPerEU: 1
; AccumOffset: 4
; Occupancy: 8
; WaveLimiterHint : 0
; COMPUTE_PGM_RSRC2:SCRATCH_EN: 0
; COMPUTE_PGM_RSRC2:USER_SGPR: 2
; COMPUTE_PGM_RSRC2:TRAP_HANDLER: 0
; COMPUTE_PGM_RSRC2:TGID_X_EN: 1
; COMPUTE_PGM_RSRC2:TGID_Y_EN: 0
; COMPUTE_PGM_RSRC2:TGID_Z_EN: 0
; COMPUTE_PGM_RSRC2:TIDIG_COMP_CNT: 0
; COMPUTE_PGM_RSRC3_GFX90A:ACCUM_OFFSET: 0
; COMPUTE_PGM_RSRC3_GFX90A:TG_SPLIT: 0
	.section	.text._ZN7rocprim17ROCPRIM_400000_NS6detail17trampoline_kernelINS0_14default_configENS1_27scan_by_key_config_selectorIitEEZZNS1_16scan_by_key_implILNS1_25lookback_scan_determinismE0ELb0ES3_N6thrust23THRUST_200600_302600_NS6detail15normal_iteratorINS9_10device_ptrIiEEEENSB_INSC_ItEEEESG_tNS9_4plusIvEENS9_8equal_toIvEEtEE10hipError_tPvRmT2_T3_T4_T5_mT6_T7_P12ihipStream_tbENKUlT_T0_E_clISt17integral_constantIbLb0EES10_IbLb1EEEEDaSW_SX_EUlSW_E_NS1_11comp_targetILNS1_3genE10ELNS1_11target_archE1201ELNS1_3gpuE5ELNS1_3repE0EEENS1_30default_config_static_selectorELNS0_4arch9wavefront6targetE1EEEvT1_,"axG",@progbits,_ZN7rocprim17ROCPRIM_400000_NS6detail17trampoline_kernelINS0_14default_configENS1_27scan_by_key_config_selectorIitEEZZNS1_16scan_by_key_implILNS1_25lookback_scan_determinismE0ELb0ES3_N6thrust23THRUST_200600_302600_NS6detail15normal_iteratorINS9_10device_ptrIiEEEENSB_INSC_ItEEEESG_tNS9_4plusIvEENS9_8equal_toIvEEtEE10hipError_tPvRmT2_T3_T4_T5_mT6_T7_P12ihipStream_tbENKUlT_T0_E_clISt17integral_constantIbLb0EES10_IbLb1EEEEDaSW_SX_EUlSW_E_NS1_11comp_targetILNS1_3genE10ELNS1_11target_archE1201ELNS1_3gpuE5ELNS1_3repE0EEENS1_30default_config_static_selectorELNS0_4arch9wavefront6targetE1EEEvT1_,comdat
	.protected	_ZN7rocprim17ROCPRIM_400000_NS6detail17trampoline_kernelINS0_14default_configENS1_27scan_by_key_config_selectorIitEEZZNS1_16scan_by_key_implILNS1_25lookback_scan_determinismE0ELb0ES3_N6thrust23THRUST_200600_302600_NS6detail15normal_iteratorINS9_10device_ptrIiEEEENSB_INSC_ItEEEESG_tNS9_4plusIvEENS9_8equal_toIvEEtEE10hipError_tPvRmT2_T3_T4_T5_mT6_T7_P12ihipStream_tbENKUlT_T0_E_clISt17integral_constantIbLb0EES10_IbLb1EEEEDaSW_SX_EUlSW_E_NS1_11comp_targetILNS1_3genE10ELNS1_11target_archE1201ELNS1_3gpuE5ELNS1_3repE0EEENS1_30default_config_static_selectorELNS0_4arch9wavefront6targetE1EEEvT1_ ; -- Begin function _ZN7rocprim17ROCPRIM_400000_NS6detail17trampoline_kernelINS0_14default_configENS1_27scan_by_key_config_selectorIitEEZZNS1_16scan_by_key_implILNS1_25lookback_scan_determinismE0ELb0ES3_N6thrust23THRUST_200600_302600_NS6detail15normal_iteratorINS9_10device_ptrIiEEEENSB_INSC_ItEEEESG_tNS9_4plusIvEENS9_8equal_toIvEEtEE10hipError_tPvRmT2_T3_T4_T5_mT6_T7_P12ihipStream_tbENKUlT_T0_E_clISt17integral_constantIbLb0EES10_IbLb1EEEEDaSW_SX_EUlSW_E_NS1_11comp_targetILNS1_3genE10ELNS1_11target_archE1201ELNS1_3gpuE5ELNS1_3repE0EEENS1_30default_config_static_selectorELNS0_4arch9wavefront6targetE1EEEvT1_
	.globl	_ZN7rocprim17ROCPRIM_400000_NS6detail17trampoline_kernelINS0_14default_configENS1_27scan_by_key_config_selectorIitEEZZNS1_16scan_by_key_implILNS1_25lookback_scan_determinismE0ELb0ES3_N6thrust23THRUST_200600_302600_NS6detail15normal_iteratorINS9_10device_ptrIiEEEENSB_INSC_ItEEEESG_tNS9_4plusIvEENS9_8equal_toIvEEtEE10hipError_tPvRmT2_T3_T4_T5_mT6_T7_P12ihipStream_tbENKUlT_T0_E_clISt17integral_constantIbLb0EES10_IbLb1EEEEDaSW_SX_EUlSW_E_NS1_11comp_targetILNS1_3genE10ELNS1_11target_archE1201ELNS1_3gpuE5ELNS1_3repE0EEENS1_30default_config_static_selectorELNS0_4arch9wavefront6targetE1EEEvT1_
	.p2align	8
	.type	_ZN7rocprim17ROCPRIM_400000_NS6detail17trampoline_kernelINS0_14default_configENS1_27scan_by_key_config_selectorIitEEZZNS1_16scan_by_key_implILNS1_25lookback_scan_determinismE0ELb0ES3_N6thrust23THRUST_200600_302600_NS6detail15normal_iteratorINS9_10device_ptrIiEEEENSB_INSC_ItEEEESG_tNS9_4plusIvEENS9_8equal_toIvEEtEE10hipError_tPvRmT2_T3_T4_T5_mT6_T7_P12ihipStream_tbENKUlT_T0_E_clISt17integral_constantIbLb0EES10_IbLb1EEEEDaSW_SX_EUlSW_E_NS1_11comp_targetILNS1_3genE10ELNS1_11target_archE1201ELNS1_3gpuE5ELNS1_3repE0EEENS1_30default_config_static_selectorELNS0_4arch9wavefront6targetE1EEEvT1_,@function
_ZN7rocprim17ROCPRIM_400000_NS6detail17trampoline_kernelINS0_14default_configENS1_27scan_by_key_config_selectorIitEEZZNS1_16scan_by_key_implILNS1_25lookback_scan_determinismE0ELb0ES3_N6thrust23THRUST_200600_302600_NS6detail15normal_iteratorINS9_10device_ptrIiEEEENSB_INSC_ItEEEESG_tNS9_4plusIvEENS9_8equal_toIvEEtEE10hipError_tPvRmT2_T3_T4_T5_mT6_T7_P12ihipStream_tbENKUlT_T0_E_clISt17integral_constantIbLb0EES10_IbLb1EEEEDaSW_SX_EUlSW_E_NS1_11comp_targetILNS1_3genE10ELNS1_11target_archE1201ELNS1_3gpuE5ELNS1_3repE0EEENS1_30default_config_static_selectorELNS0_4arch9wavefront6targetE1EEEvT1_: ; @_ZN7rocprim17ROCPRIM_400000_NS6detail17trampoline_kernelINS0_14default_configENS1_27scan_by_key_config_selectorIitEEZZNS1_16scan_by_key_implILNS1_25lookback_scan_determinismE0ELb0ES3_N6thrust23THRUST_200600_302600_NS6detail15normal_iteratorINS9_10device_ptrIiEEEENSB_INSC_ItEEEESG_tNS9_4plusIvEENS9_8equal_toIvEEtEE10hipError_tPvRmT2_T3_T4_T5_mT6_T7_P12ihipStream_tbENKUlT_T0_E_clISt17integral_constantIbLb0EES10_IbLb1EEEEDaSW_SX_EUlSW_E_NS1_11comp_targetILNS1_3genE10ELNS1_11target_archE1201ELNS1_3gpuE5ELNS1_3repE0EEENS1_30default_config_static_selectorELNS0_4arch9wavefront6targetE1EEEvT1_
; %bb.0:
	.section	.rodata,"a",@progbits
	.p2align	6, 0x0
	.amdhsa_kernel _ZN7rocprim17ROCPRIM_400000_NS6detail17trampoline_kernelINS0_14default_configENS1_27scan_by_key_config_selectorIitEEZZNS1_16scan_by_key_implILNS1_25lookback_scan_determinismE0ELb0ES3_N6thrust23THRUST_200600_302600_NS6detail15normal_iteratorINS9_10device_ptrIiEEEENSB_INSC_ItEEEESG_tNS9_4plusIvEENS9_8equal_toIvEEtEE10hipError_tPvRmT2_T3_T4_T5_mT6_T7_P12ihipStream_tbENKUlT_T0_E_clISt17integral_constantIbLb0EES10_IbLb1EEEEDaSW_SX_EUlSW_E_NS1_11comp_targetILNS1_3genE10ELNS1_11target_archE1201ELNS1_3gpuE5ELNS1_3repE0EEENS1_30default_config_static_selectorELNS0_4arch9wavefront6targetE1EEEvT1_
		.amdhsa_group_segment_fixed_size 0
		.amdhsa_private_segment_fixed_size 0
		.amdhsa_kernarg_size 112
		.amdhsa_user_sgpr_count 2
		.amdhsa_user_sgpr_dispatch_ptr 0
		.amdhsa_user_sgpr_queue_ptr 0
		.amdhsa_user_sgpr_kernarg_segment_ptr 1
		.amdhsa_user_sgpr_dispatch_id 0
		.amdhsa_user_sgpr_kernarg_preload_length 0
		.amdhsa_user_sgpr_kernarg_preload_offset 0
		.amdhsa_user_sgpr_private_segment_size 0
		.amdhsa_uses_dynamic_stack 0
		.amdhsa_enable_private_segment 0
		.amdhsa_system_sgpr_workgroup_id_x 1
		.amdhsa_system_sgpr_workgroup_id_y 0
		.amdhsa_system_sgpr_workgroup_id_z 0
		.amdhsa_system_sgpr_workgroup_info 0
		.amdhsa_system_vgpr_workitem_id 0
		.amdhsa_next_free_vgpr 1
		.amdhsa_next_free_sgpr 0
		.amdhsa_accum_offset 4
		.amdhsa_reserve_vcc 0
		.amdhsa_float_round_mode_32 0
		.amdhsa_float_round_mode_16_64 0
		.amdhsa_float_denorm_mode_32 3
		.amdhsa_float_denorm_mode_16_64 3
		.amdhsa_dx10_clamp 1
		.amdhsa_ieee_mode 1
		.amdhsa_fp16_overflow 0
		.amdhsa_tg_split 0
		.amdhsa_exception_fp_ieee_invalid_op 0
		.amdhsa_exception_fp_denorm_src 0
		.amdhsa_exception_fp_ieee_div_zero 0
		.amdhsa_exception_fp_ieee_overflow 0
		.amdhsa_exception_fp_ieee_underflow 0
		.amdhsa_exception_fp_ieee_inexact 0
		.amdhsa_exception_int_div_zero 0
	.end_amdhsa_kernel
	.section	.text._ZN7rocprim17ROCPRIM_400000_NS6detail17trampoline_kernelINS0_14default_configENS1_27scan_by_key_config_selectorIitEEZZNS1_16scan_by_key_implILNS1_25lookback_scan_determinismE0ELb0ES3_N6thrust23THRUST_200600_302600_NS6detail15normal_iteratorINS9_10device_ptrIiEEEENSB_INSC_ItEEEESG_tNS9_4plusIvEENS9_8equal_toIvEEtEE10hipError_tPvRmT2_T3_T4_T5_mT6_T7_P12ihipStream_tbENKUlT_T0_E_clISt17integral_constantIbLb0EES10_IbLb1EEEEDaSW_SX_EUlSW_E_NS1_11comp_targetILNS1_3genE10ELNS1_11target_archE1201ELNS1_3gpuE5ELNS1_3repE0EEENS1_30default_config_static_selectorELNS0_4arch9wavefront6targetE1EEEvT1_,"axG",@progbits,_ZN7rocprim17ROCPRIM_400000_NS6detail17trampoline_kernelINS0_14default_configENS1_27scan_by_key_config_selectorIitEEZZNS1_16scan_by_key_implILNS1_25lookback_scan_determinismE0ELb0ES3_N6thrust23THRUST_200600_302600_NS6detail15normal_iteratorINS9_10device_ptrIiEEEENSB_INSC_ItEEEESG_tNS9_4plusIvEENS9_8equal_toIvEEtEE10hipError_tPvRmT2_T3_T4_T5_mT6_T7_P12ihipStream_tbENKUlT_T0_E_clISt17integral_constantIbLb0EES10_IbLb1EEEEDaSW_SX_EUlSW_E_NS1_11comp_targetILNS1_3genE10ELNS1_11target_archE1201ELNS1_3gpuE5ELNS1_3repE0EEENS1_30default_config_static_selectorELNS0_4arch9wavefront6targetE1EEEvT1_,comdat
.Lfunc_end1301:
	.size	_ZN7rocprim17ROCPRIM_400000_NS6detail17trampoline_kernelINS0_14default_configENS1_27scan_by_key_config_selectorIitEEZZNS1_16scan_by_key_implILNS1_25lookback_scan_determinismE0ELb0ES3_N6thrust23THRUST_200600_302600_NS6detail15normal_iteratorINS9_10device_ptrIiEEEENSB_INSC_ItEEEESG_tNS9_4plusIvEENS9_8equal_toIvEEtEE10hipError_tPvRmT2_T3_T4_T5_mT6_T7_P12ihipStream_tbENKUlT_T0_E_clISt17integral_constantIbLb0EES10_IbLb1EEEEDaSW_SX_EUlSW_E_NS1_11comp_targetILNS1_3genE10ELNS1_11target_archE1201ELNS1_3gpuE5ELNS1_3repE0EEENS1_30default_config_static_selectorELNS0_4arch9wavefront6targetE1EEEvT1_, .Lfunc_end1301-_ZN7rocprim17ROCPRIM_400000_NS6detail17trampoline_kernelINS0_14default_configENS1_27scan_by_key_config_selectorIitEEZZNS1_16scan_by_key_implILNS1_25lookback_scan_determinismE0ELb0ES3_N6thrust23THRUST_200600_302600_NS6detail15normal_iteratorINS9_10device_ptrIiEEEENSB_INSC_ItEEEESG_tNS9_4plusIvEENS9_8equal_toIvEEtEE10hipError_tPvRmT2_T3_T4_T5_mT6_T7_P12ihipStream_tbENKUlT_T0_E_clISt17integral_constantIbLb0EES10_IbLb1EEEEDaSW_SX_EUlSW_E_NS1_11comp_targetILNS1_3genE10ELNS1_11target_archE1201ELNS1_3gpuE5ELNS1_3repE0EEENS1_30default_config_static_selectorELNS0_4arch9wavefront6targetE1EEEvT1_
                                        ; -- End function
	.section	.AMDGPU.csdata,"",@progbits
; Kernel info:
; codeLenInByte = 0
; NumSgprs: 6
; NumVgprs: 0
; NumAgprs: 0
; TotalNumVgprs: 0
; ScratchSize: 0
; MemoryBound: 0
; FloatMode: 240
; IeeeMode: 1
; LDSByteSize: 0 bytes/workgroup (compile time only)
; SGPRBlocks: 0
; VGPRBlocks: 0
; NumSGPRsForWavesPerEU: 6
; NumVGPRsForWavesPerEU: 1
; AccumOffset: 4
; Occupancy: 8
; WaveLimiterHint : 0
; COMPUTE_PGM_RSRC2:SCRATCH_EN: 0
; COMPUTE_PGM_RSRC2:USER_SGPR: 2
; COMPUTE_PGM_RSRC2:TRAP_HANDLER: 0
; COMPUTE_PGM_RSRC2:TGID_X_EN: 1
; COMPUTE_PGM_RSRC2:TGID_Y_EN: 0
; COMPUTE_PGM_RSRC2:TGID_Z_EN: 0
; COMPUTE_PGM_RSRC2:TIDIG_COMP_CNT: 0
; COMPUTE_PGM_RSRC3_GFX90A:ACCUM_OFFSET: 0
; COMPUTE_PGM_RSRC3_GFX90A:TG_SPLIT: 0
	.section	.text._ZN7rocprim17ROCPRIM_400000_NS6detail17trampoline_kernelINS0_14default_configENS1_27scan_by_key_config_selectorIitEEZZNS1_16scan_by_key_implILNS1_25lookback_scan_determinismE0ELb0ES3_N6thrust23THRUST_200600_302600_NS6detail15normal_iteratorINS9_10device_ptrIiEEEENSB_INSC_ItEEEESG_tNS9_4plusIvEENS9_8equal_toIvEEtEE10hipError_tPvRmT2_T3_T4_T5_mT6_T7_P12ihipStream_tbENKUlT_T0_E_clISt17integral_constantIbLb0EES10_IbLb1EEEEDaSW_SX_EUlSW_E_NS1_11comp_targetILNS1_3genE5ELNS1_11target_archE942ELNS1_3gpuE9ELNS1_3repE0EEENS1_30default_config_static_selectorELNS0_4arch9wavefront6targetE1EEEvT1_,"axG",@progbits,_ZN7rocprim17ROCPRIM_400000_NS6detail17trampoline_kernelINS0_14default_configENS1_27scan_by_key_config_selectorIitEEZZNS1_16scan_by_key_implILNS1_25lookback_scan_determinismE0ELb0ES3_N6thrust23THRUST_200600_302600_NS6detail15normal_iteratorINS9_10device_ptrIiEEEENSB_INSC_ItEEEESG_tNS9_4plusIvEENS9_8equal_toIvEEtEE10hipError_tPvRmT2_T3_T4_T5_mT6_T7_P12ihipStream_tbENKUlT_T0_E_clISt17integral_constantIbLb0EES10_IbLb1EEEEDaSW_SX_EUlSW_E_NS1_11comp_targetILNS1_3genE5ELNS1_11target_archE942ELNS1_3gpuE9ELNS1_3repE0EEENS1_30default_config_static_selectorELNS0_4arch9wavefront6targetE1EEEvT1_,comdat
	.protected	_ZN7rocprim17ROCPRIM_400000_NS6detail17trampoline_kernelINS0_14default_configENS1_27scan_by_key_config_selectorIitEEZZNS1_16scan_by_key_implILNS1_25lookback_scan_determinismE0ELb0ES3_N6thrust23THRUST_200600_302600_NS6detail15normal_iteratorINS9_10device_ptrIiEEEENSB_INSC_ItEEEESG_tNS9_4plusIvEENS9_8equal_toIvEEtEE10hipError_tPvRmT2_T3_T4_T5_mT6_T7_P12ihipStream_tbENKUlT_T0_E_clISt17integral_constantIbLb0EES10_IbLb1EEEEDaSW_SX_EUlSW_E_NS1_11comp_targetILNS1_3genE5ELNS1_11target_archE942ELNS1_3gpuE9ELNS1_3repE0EEENS1_30default_config_static_selectorELNS0_4arch9wavefront6targetE1EEEvT1_ ; -- Begin function _ZN7rocprim17ROCPRIM_400000_NS6detail17trampoline_kernelINS0_14default_configENS1_27scan_by_key_config_selectorIitEEZZNS1_16scan_by_key_implILNS1_25lookback_scan_determinismE0ELb0ES3_N6thrust23THRUST_200600_302600_NS6detail15normal_iteratorINS9_10device_ptrIiEEEENSB_INSC_ItEEEESG_tNS9_4plusIvEENS9_8equal_toIvEEtEE10hipError_tPvRmT2_T3_T4_T5_mT6_T7_P12ihipStream_tbENKUlT_T0_E_clISt17integral_constantIbLb0EES10_IbLb1EEEEDaSW_SX_EUlSW_E_NS1_11comp_targetILNS1_3genE5ELNS1_11target_archE942ELNS1_3gpuE9ELNS1_3repE0EEENS1_30default_config_static_selectorELNS0_4arch9wavefront6targetE1EEEvT1_
	.globl	_ZN7rocprim17ROCPRIM_400000_NS6detail17trampoline_kernelINS0_14default_configENS1_27scan_by_key_config_selectorIitEEZZNS1_16scan_by_key_implILNS1_25lookback_scan_determinismE0ELb0ES3_N6thrust23THRUST_200600_302600_NS6detail15normal_iteratorINS9_10device_ptrIiEEEENSB_INSC_ItEEEESG_tNS9_4plusIvEENS9_8equal_toIvEEtEE10hipError_tPvRmT2_T3_T4_T5_mT6_T7_P12ihipStream_tbENKUlT_T0_E_clISt17integral_constantIbLb0EES10_IbLb1EEEEDaSW_SX_EUlSW_E_NS1_11comp_targetILNS1_3genE5ELNS1_11target_archE942ELNS1_3gpuE9ELNS1_3repE0EEENS1_30default_config_static_selectorELNS0_4arch9wavefront6targetE1EEEvT1_
	.p2align	8
	.type	_ZN7rocprim17ROCPRIM_400000_NS6detail17trampoline_kernelINS0_14default_configENS1_27scan_by_key_config_selectorIitEEZZNS1_16scan_by_key_implILNS1_25lookback_scan_determinismE0ELb0ES3_N6thrust23THRUST_200600_302600_NS6detail15normal_iteratorINS9_10device_ptrIiEEEENSB_INSC_ItEEEESG_tNS9_4plusIvEENS9_8equal_toIvEEtEE10hipError_tPvRmT2_T3_T4_T5_mT6_T7_P12ihipStream_tbENKUlT_T0_E_clISt17integral_constantIbLb0EES10_IbLb1EEEEDaSW_SX_EUlSW_E_NS1_11comp_targetILNS1_3genE5ELNS1_11target_archE942ELNS1_3gpuE9ELNS1_3repE0EEENS1_30default_config_static_selectorELNS0_4arch9wavefront6targetE1EEEvT1_,@function
_ZN7rocprim17ROCPRIM_400000_NS6detail17trampoline_kernelINS0_14default_configENS1_27scan_by_key_config_selectorIitEEZZNS1_16scan_by_key_implILNS1_25lookback_scan_determinismE0ELb0ES3_N6thrust23THRUST_200600_302600_NS6detail15normal_iteratorINS9_10device_ptrIiEEEENSB_INSC_ItEEEESG_tNS9_4plusIvEENS9_8equal_toIvEEtEE10hipError_tPvRmT2_T3_T4_T5_mT6_T7_P12ihipStream_tbENKUlT_T0_E_clISt17integral_constantIbLb0EES10_IbLb1EEEEDaSW_SX_EUlSW_E_NS1_11comp_targetILNS1_3genE5ELNS1_11target_archE942ELNS1_3gpuE9ELNS1_3repE0EEENS1_30default_config_static_selectorELNS0_4arch9wavefront6targetE1EEEvT1_: ; @_ZN7rocprim17ROCPRIM_400000_NS6detail17trampoline_kernelINS0_14default_configENS1_27scan_by_key_config_selectorIitEEZZNS1_16scan_by_key_implILNS1_25lookback_scan_determinismE0ELb0ES3_N6thrust23THRUST_200600_302600_NS6detail15normal_iteratorINS9_10device_ptrIiEEEENSB_INSC_ItEEEESG_tNS9_4plusIvEENS9_8equal_toIvEEtEE10hipError_tPvRmT2_T3_T4_T5_mT6_T7_P12ihipStream_tbENKUlT_T0_E_clISt17integral_constantIbLb0EES10_IbLb1EEEEDaSW_SX_EUlSW_E_NS1_11comp_targetILNS1_3genE5ELNS1_11target_archE942ELNS1_3gpuE9ELNS1_3repE0EEENS1_30default_config_static_selectorELNS0_4arch9wavefront6targetE1EEEvT1_
; %bb.0:
	s_load_dwordx4 s[76:79], s[0:1], 0x28
	s_load_dwordx2 s[80:81], s[0:1], 0x38
	v_cmp_ne_u32_e64 s[4:5], 0, v0
	v_cmp_eq_u32_e64 s[56:57], 0, v0
	s_and_saveexec_b64 s[2:3], s[56:57]
	s_cbranch_execz .LBB1302_4
; %bb.1:
	s_mov_b64 s[8:9], exec
	v_mbcnt_lo_u32_b32 v1, s8, 0
	v_mbcnt_hi_u32_b32 v1, s9, v1
	v_cmp_eq_u32_e32 vcc, 0, v1
                                        ; implicit-def: $vgpr2
	s_and_saveexec_b64 s[6:7], vcc
	s_cbranch_execz .LBB1302_3
; %bb.2:
	s_load_dwordx2 s[10:11], s[0:1], 0x68
	s_bcnt1_i32_b64 s8, s[8:9]
	v_mov_b32_e32 v2, 0
	v_mov_b32_e32 v3, s8
	s_waitcnt lgkmcnt(0)
	global_atomic_add v2, v2, v3, s[10:11] sc0
.LBB1302_3:
	s_or_b64 exec, exec, s[6:7]
	s_waitcnt vmcnt(0)
	v_readfirstlane_b32 s6, v2
	v_mov_b32_e32 v2, 0
	s_nop 0
	v_add_u32_e32 v1, s6, v1
	ds_write_b32 v2, v1
.LBB1302_4:
	s_or_b64 exec, exec, s[2:3]
	s_load_dwordx8 s[60:67], s[0:1], 0x0
	s_load_dword s2, s[0:1], 0x40
	s_load_dwordx8 s[68:75], s[0:1], 0x48
	v_mov_b32_e32 v1, 0
	s_waitcnt lgkmcnt(0)
	s_barrier
	ds_read_b32 v1, v1
	s_lshl_b64 s[0:1], s[62:63], 2
	s_add_u32 s6, s60, s0
	s_addc_u32 s7, s61, s1
	s_lshl_b64 s[58:59], s[62:63], 1
	s_add_u32 s8, s64, s58
	s_mul_i32 s0, s81, s2
	s_mul_hi_u32 s1, s80, s2
	s_addc_u32 s9, s65, s59
	s_add_i32 s10, s1, s0
	s_waitcnt lgkmcnt(0)
	v_readfirstlane_b32 s79, v1
	s_cmp_lg_u64 s[72:73], 0
	s_mov_b32 s1, 0
	s_mul_i32 s0, s79, 0x1800
	s_mul_i32 s11, s80, s2
	s_cselect_b64 s[72:73], -1, 0
	s_lshl_b64 s[2:3], s[0:1], 2
	s_add_u32 s64, s6, s2
	s_addc_u32 s65, s7, s3
	s_lshl_b64 s[60:61], s[0:1], 1
	s_add_u32 s62, s8, s60
	s_addc_u32 s63, s9, s61
	s_add_u32 s82, s11, s79
	s_addc_u32 s83, s10, 0
	s_add_u32 s0, s68, -1
	s_addc_u32 s1, s69, -1
	v_mov_b64_e32 v[2:3], s[0:1]
	v_cmp_ge_u64_e64 s[2:3], s[82:83], v[2:3]
	s_mov_b64 s[12:13], 0
	s_mov_b64 s[6:7], -1
	s_and_b64 vcc, exec, s[2:3]
	s_mul_i32 s33, s0, 0xffffe800
	s_barrier
	s_barrier
	s_cbranch_vccz .LBB1302_131
; %bb.5:
	v_mov_b64_e32 v[2:3], s[64:65]
	flat_load_dword v2, v[2:3]
	s_add_i32 s86, s33, s78
	v_cmp_gt_u32_e64 s[6:7], s86, v0
	s_waitcnt vmcnt(0) lgkmcnt(0)
	v_mov_b32_e32 v3, v2
	s_and_saveexec_b64 s[0:1], s[6:7]
	s_cbranch_execz .LBB1302_7
; %bb.6:
	v_lshlrev_b32_e32 v4, 2, v0
	v_mov_b32_e32 v5, 0
	v_lshl_add_u64 v[4:5], s[64:65], 0, v[4:5]
	flat_load_dword v3, v[4:5]
.LBB1302_7:
	s_or_b64 exec, exec, s[0:1]
	v_or_b32_e32 v1, 0x100, v0
	v_cmp_gt_u32_e64 s[8:9], s86, v1
	v_mov_b32_e32 v19, v2
	s_and_saveexec_b64 s[0:1], s[8:9]
	s_cbranch_execz .LBB1302_9
; %bb.8:
	v_lshlrev_b32_e32 v4, 2, v0
	v_mov_b32_e32 v5, 0
	v_lshl_add_u64 v[4:5], s[64:65], 0, v[4:5]
	flat_load_dword v19, v[4:5] offset:1024
.LBB1302_9:
	s_or_b64 exec, exec, s[0:1]
	v_or_b32_e32 v1, 0x200, v0
	v_cmp_gt_u32_e64 s[10:11], s86, v1
	v_mov_b32_e32 v20, v2
	s_and_saveexec_b64 s[0:1], s[10:11]
	s_cbranch_execz .LBB1302_11
; %bb.10:
	v_lshlrev_b32_e32 v4, 2, v0
	v_mov_b32_e32 v5, 0
	v_lshl_add_u64 v[4:5], s[64:65], 0, v[4:5]
	flat_load_dword v20, v[4:5] offset:2048
.LBB1302_11:
	;; [unrolled: 12-line block ×3, first 2 shown]
	s_or_b64 exec, exec, s[0:1]
	v_or_b32_e32 v1, 0x400, v0
	v_cmp_gt_u32_e64 s[14:15], s86, v1
	v_mov_b32_e32 v22, v2
	s_and_saveexec_b64 s[0:1], s[14:15]
	s_cbranch_execz .LBB1302_15
; %bb.14:
	v_lshlrev_b32_e32 v4, 2, v1
	v_mov_b32_e32 v5, 0
	v_lshl_add_u64 v[4:5], s[64:65], 0, v[4:5]
	flat_load_dword v22, v[4:5]
.LBB1302_15:
	s_or_b64 exec, exec, s[0:1]
	v_or_b32_e32 v1, 0x500, v0
	v_cmp_gt_u32_e64 s[16:17], s86, v1
	v_mov_b32_e32 v23, v2
	s_and_saveexec_b64 s[0:1], s[16:17]
	s_cbranch_execz .LBB1302_17
; %bb.16:
	v_lshlrev_b32_e32 v4, 2, v1
	v_mov_b32_e32 v5, 0
	v_lshl_add_u64 v[4:5], s[64:65], 0, v[4:5]
	flat_load_dword v23, v[4:5]
.LBB1302_17:
	;; [unrolled: 12-line block ×19, first 2 shown]
	s_or_b64 exec, exec, s[0:1]
	v_or_b32_e32 v18, 0x1700, v0
	v_cmp_gt_u32_e64 s[54:55], s86, v18
	s_and_saveexec_b64 s[0:1], s[54:55]
	s_cbranch_execz .LBB1302_53
; %bb.52:
	v_lshlrev_b32_e32 v42, 2, v18
	v_mov_b32_e32 v43, 0
	v_lshl_add_u64 v[42:43], s[64:65], 0, v[42:43]
	flat_load_dword v2, v[42:43]
.LBB1302_53:
	s_or_b64 exec, exec, s[0:1]
	v_lshlrev_b32_e32 v41, 2, v0
	s_movk_i32 s0, 0x5c
	s_waitcnt vmcnt(0) lgkmcnt(0)
	ds_write2st64_b32 v41, v3, v19 offset1:4
	ds_write2st64_b32 v41, v20, v21 offset0:8 offset1:12
	ds_write2st64_b32 v41, v22, v23 offset0:16 offset1:20
	;; [unrolled: 1-line block ×11, first 2 shown]
	v_mad_u32_u24 v2, v0, s0, v41
	s_waitcnt lgkmcnt(0)
	s_barrier
	ds_read_b128 v[42:45], v2
	ds_read_b128 v[38:41], v2 offset:16
	ds_read_b128 v[34:37], v2 offset:32
	;; [unrolled: 1-line block ×5, first 2 shown]
	s_cmp_eq_u64 s[82:83], 0
	s_mov_b64 s[0:1], s[64:65]
	s_cbranch_scc1 .LBB1302_57
; %bb.54:
	s_andn2_b64 vcc, exec, s[72:73]
	s_cbranch_vccnz .LBB1302_317
; %bb.55:
	s_lshl_b64 s[0:1], s[82:83], 2
	s_add_u32 s0, s74, s0
	s_addc_u32 s1, s75, s1
	s_add_u32 s0, s0, -4
	s_addc_u32 s1, s1, -1
	s_cbranch_execnz .LBB1302_57
.LBB1302_56:
	s_add_u32 s0, s64, -4
	s_addc_u32 s1, s65, -1
.LBB1302_57:
	v_mov_b64_e32 v[20:21], s[0:1]
	flat_load_dword v46, v[20:21]
	s_movk_i32 s0, 0xffa4
	v_mad_i32_i24 v19, v0, s0, v2
	s_waitcnt lgkmcnt(0)
	ds_write_b32 v19, v25 offset:24576
	s_waitcnt lgkmcnt(0)
	s_barrier
	s_and_saveexec_b64 s[0:1], s[4:5]
	s_cbranch_execz .LBB1302_59
; %bb.58:
	s_waitcnt vmcnt(0)
	ds_read_b32 v46, v19 offset:24572
.LBB1302_59:
	s_or_b64 exec, exec, s[0:1]
	v_mov_b32_e32 v3, 0
	s_waitcnt lgkmcnt(0)
	s_barrier
	s_waitcnt lgkmcnt(0)
                                        ; implicit-def: $vgpr2
	s_and_saveexec_b64 s[0:1], s[6:7]
	s_cbranch_execnz .LBB1302_294
; %bb.60:
	s_or_b64 exec, exec, s[0:1]
                                        ; implicit-def: $vgpr3
	s_and_saveexec_b64 s[0:1], s[8:9]
	s_cbranch_execnz .LBB1302_295
.LBB1302_61:
	s_or_b64 exec, exec, s[0:1]
                                        ; implicit-def: $vgpr20
	s_and_saveexec_b64 s[0:1], s[10:11]
	s_cbranch_execnz .LBB1302_296
.LBB1302_62:
	s_or_b64 exec, exec, s[0:1]
                                        ; implicit-def: $vgpr21
	s_and_saveexec_b64 s[0:1], s[12:13]
	s_cbranch_execnz .LBB1302_297
.LBB1302_63:
	s_or_b64 exec, exec, s[0:1]
                                        ; implicit-def: $vgpr47
	s_and_saveexec_b64 s[0:1], s[14:15]
	s_cbranch_execnz .LBB1302_298
.LBB1302_64:
	s_or_b64 exec, exec, s[0:1]
                                        ; implicit-def: $vgpr48
	s_and_saveexec_b64 s[0:1], s[16:17]
	s_cbranch_execnz .LBB1302_299
.LBB1302_65:
	s_or_b64 exec, exec, s[0:1]
                                        ; implicit-def: $vgpr49
	s_and_saveexec_b64 s[0:1], s[18:19]
	s_cbranch_execnz .LBB1302_300
.LBB1302_66:
	s_or_b64 exec, exec, s[0:1]
                                        ; implicit-def: $vgpr50
	s_and_saveexec_b64 s[0:1], s[20:21]
	s_cbranch_execnz .LBB1302_301
.LBB1302_67:
	s_or_b64 exec, exec, s[0:1]
                                        ; implicit-def: $vgpr51
	s_and_saveexec_b64 s[0:1], s[22:23]
	s_cbranch_execnz .LBB1302_302
.LBB1302_68:
	s_or_b64 exec, exec, s[0:1]
                                        ; implicit-def: $vgpr1
	s_and_saveexec_b64 s[0:1], s[24:25]
	s_cbranch_execnz .LBB1302_303
.LBB1302_69:
	s_or_b64 exec, exec, s[0:1]
                                        ; implicit-def: $vgpr4
	s_and_saveexec_b64 s[0:1], s[26:27]
	s_cbranch_execnz .LBB1302_304
.LBB1302_70:
	s_or_b64 exec, exec, s[0:1]
                                        ; implicit-def: $vgpr5
	s_and_saveexec_b64 s[0:1], s[28:29]
	s_cbranch_execnz .LBB1302_305
.LBB1302_71:
	s_or_b64 exec, exec, s[0:1]
                                        ; implicit-def: $vgpr6
	s_and_saveexec_b64 s[0:1], s[30:31]
	s_cbranch_execnz .LBB1302_306
.LBB1302_72:
	s_or_b64 exec, exec, s[0:1]
                                        ; implicit-def: $vgpr7
	s_and_saveexec_b64 s[0:1], s[34:35]
	s_cbranch_execnz .LBB1302_307
.LBB1302_73:
	s_or_b64 exec, exec, s[0:1]
                                        ; implicit-def: $vgpr8
	s_and_saveexec_b64 s[0:1], s[36:37]
	s_cbranch_execnz .LBB1302_308
.LBB1302_74:
	s_or_b64 exec, exec, s[0:1]
                                        ; implicit-def: $vgpr9
	s_and_saveexec_b64 s[0:1], s[38:39]
	s_cbranch_execnz .LBB1302_309
.LBB1302_75:
	s_or_b64 exec, exec, s[0:1]
                                        ; implicit-def: $vgpr10
	s_and_saveexec_b64 s[0:1], s[40:41]
	s_cbranch_execnz .LBB1302_310
.LBB1302_76:
	s_or_b64 exec, exec, s[0:1]
                                        ; implicit-def: $vgpr11
	s_and_saveexec_b64 s[0:1], s[42:43]
	s_cbranch_execnz .LBB1302_311
.LBB1302_77:
	s_or_b64 exec, exec, s[0:1]
                                        ; implicit-def: $vgpr12
	s_and_saveexec_b64 s[0:1], s[44:45]
	s_cbranch_execnz .LBB1302_312
.LBB1302_78:
	s_or_b64 exec, exec, s[0:1]
                                        ; implicit-def: $vgpr13
	s_and_saveexec_b64 s[0:1], s[46:47]
	s_cbranch_execnz .LBB1302_313
.LBB1302_79:
	s_or_b64 exec, exec, s[0:1]
                                        ; implicit-def: $vgpr14
	s_and_saveexec_b64 s[0:1], s[48:49]
	s_cbranch_execnz .LBB1302_314
.LBB1302_80:
	s_or_b64 exec, exec, s[0:1]
                                        ; implicit-def: $vgpr15
	s_and_saveexec_b64 s[0:1], s[50:51]
	s_cbranch_execnz .LBB1302_315
.LBB1302_81:
	s_or_b64 exec, exec, s[0:1]
                                        ; implicit-def: $vgpr16
	s_and_saveexec_b64 s[0:1], s[52:53]
	s_cbranch_execnz .LBB1302_316
.LBB1302_82:
	s_or_b64 exec, exec, s[0:1]
                                        ; implicit-def: $vgpr17
	s_and_saveexec_b64 s[0:1], s[54:55]
	s_cbranch_execz .LBB1302_84
.LBB1302_83:
	v_lshlrev_b32_e32 v52, 1, v18
	v_mov_b32_e32 v53, 0
	v_lshl_add_u64 v[52:53], s[62:63], 0, v[52:53]
	flat_load_ushort v17, v[52:53]
.LBB1302_84:
	s_or_b64 exec, exec, s[0:1]
	v_lshlrev_b32_e32 v18, 1, v0
	s_mov_b32 s8, 0
	v_sub_u32_e32 v54, v19, v18
	s_mov_b32 s9, s8
	s_mov_b32 s24, s8
	s_mov_b32 s25, s8
	v_mul_u32_u24_e32 v53, 24, v0
	s_waitcnt vmcnt(0) lgkmcnt(0)
	ds_write_b16 v54, v2
	ds_write_b16 v54, v3 offset:512
	ds_write_b16 v54, v20 offset:1024
	;; [unrolled: 1-line block ×23, first 2 shown]
	s_mov_b32 s10, s8
	s_mov_b32 s11, s8
	;; [unrolled: 1-line block ×18, first 2 shown]
	v_mov_b64_e32 v[18:19], s[24:25]
	v_mov_b64_e32 v[2:3], s[8:9]
	v_cmp_gt_u32_e32 vcc, s86, v53
	s_mov_b64 s[6:7], 0
	v_mov_b64_e32 v[50:51], s[0:1]
	v_mov_b64_e32 v[20:21], s[26:27]
	v_mov_b64_e32 v[4:5], s[10:11]
	v_mov_b64_e32 v[6:7], s[12:13]
	v_mov_b64_e32 v[8:9], s[14:15]
	v_mov_b64_e32 v[10:11], s[16:17]
	v_mov_b64_e32 v[12:13], s[18:19]
	v_mov_b64_e32 v[14:15], s[20:21]
	v_mov_b64_e32 v[16:17], s[22:23]
	v_mov_b32_e32 v1, 0
	s_mov_b64 s[12:13], 0
	s_waitcnt lgkmcnt(0)
	s_barrier
	s_waitcnt lgkmcnt(0)
                                        ; implicit-def: $sgpr0_sgpr1
                                        ; implicit-def: $vgpr52
	s_and_saveexec_b64 s[10:11], vcc
	s_cbranch_execz .LBB1302_130
; %bb.85:
	v_mad_u32_u24 v1, v0, 46, v54
	ds_read_u16 v1, v1
	v_cmp_ne_u32_e32 vcc, v46, v42
	s_mov_b32 s12, 0
	v_or_b32_e32 v2, 1, v53
	v_cndmask_b32_e64 v3, 0, 1, vcc
	s_mov_b32 s13, s12
	s_mov_b32 s28, s12
	;; [unrolled: 1-line block ×3, first 2 shown]
	v_cmp_gt_u32_e32 vcc, s86, v2
	s_waitcnt lgkmcnt(0)
	v_lshl_or_b32 v1, v3, 16, v1
	s_mov_b32 s14, s12
	s_mov_b32 s15, s12
	;; [unrolled: 1-line block ×18, first 2 shown]
	v_mov_b64_e32 v[18:19], s[28:29]
	v_mov_b64_e32 v[2:3], s[12:13]
	s_mov_b64 s[36:37], 0
	v_mov_b64_e32 v[50:51], s[0:1]
	v_mov_b64_e32 v[20:21], s[30:31]
	;; [unrolled: 1-line block ×9, first 2 shown]
                                        ; implicit-def: $sgpr38_sgpr39
                                        ; implicit-def: $vgpr52
	s_and_saveexec_b64 s[34:35], vcc
	s_cbranch_execz .LBB1302_129
; %bb.86:
	v_mul_u32_u24_e32 v2, 46, v0
	v_add_u32_e32 v54, v54, v2
	ds_read_b128 v[46:49], v54 offset:2
	v_or_b32_e32 v2, 2, v53
	v_cmp_ne_u32_e32 vcc, v42, v43
	v_mov_b64_e32 v[18:19], s[28:29]
	v_mov_b32_e32 v51, 0
	v_cndmask_b32_e64 v3, 0, 1, vcc
	v_cmp_gt_u32_e32 vcc, s86, v2
	s_waitcnt lgkmcnt(0)
	v_and_b32_e32 v2, 0xffff, v46
	v_lshl_or_b32 v50, v3, 16, v2
	v_mov_b64_e32 v[2:3], s[12:13]
	s_mov_b64 s[0:1], 0
	v_mov_b64_e32 v[20:21], s[30:31]
	v_mov_b64_e32 v[4:5], s[14:15]
	;; [unrolled: 1-line block ×8, first 2 shown]
                                        ; implicit-def: $sgpr12_sgpr13
                                        ; implicit-def: $vgpr52
	s_and_saveexec_b64 s[28:29], vcc
	s_cbranch_execz .LBB1302_128
; %bb.87:
	v_cmp_ne_u32_e32 vcc, v43, v44
	s_mov_b32 s12, 0
	v_or_b32_e32 v2, 3, v53
	v_cndmask_b32_e64 v3, 0, 1, vcc
	s_mov_b32 s13, s12
	s_mov_b32 s36, s12
	;; [unrolled: 1-line block ×3, first 2 shown]
	v_alignbit_b32 v51, v3, v46, 16
	v_cmp_gt_u32_e32 vcc, s86, v2
	s_mov_b32 s14, s12
	s_mov_b32 s15, s12
	s_mov_b32 s16, s12
	s_mov_b32 s17, s12
	s_mov_b32 s18, s12
	s_mov_b32 s19, s12
	s_mov_b32 s20, s12
	s_mov_b32 s21, s12
	s_mov_b32 s22, s12
	s_mov_b32 s23, s12
	s_mov_b32 s24, s12
	s_mov_b32 s25, s12
	s_mov_b32 s26, s12
	s_mov_b32 s27, s12
	s_mov_b32 s38, s12
	s_mov_b32 s39, s12
	v_mov_b64_e32 v[18:19], s[36:37]
	v_mov_b64_e32 v[2:3], s[12:13]
	;; [unrolled: 1-line block ×10, first 2 shown]
                                        ; implicit-def: $sgpr36_sgpr37
                                        ; implicit-def: $vgpr52
	s_and_saveexec_b64 s[30:31], vcc
	s_cbranch_execz .LBB1302_127
; %bb.88:
	v_cmp_ne_u32_e32 vcc, v44, v45
	v_and_b32_e32 v2, 0xffff, v47
	v_or_b32_e32 v3, 4, v53
	v_cndmask_b32_e64 v4, 0, 1, vcc
	v_lshl_or_b32 v18, v4, 16, v2
	v_cmp_gt_u32_e32 vcc, s86, v3
	v_mov_b32_e32 v20, 0
	v_mov_b64_e32 v[2:3], s[12:13]
	v_mov_b32_e32 v19, v20
	v_mov_b32_e32 v21, v20
	v_mov_b64_e32 v[4:5], s[14:15]
	v_mov_b64_e32 v[6:7], s[16:17]
	;; [unrolled: 1-line block ×7, first 2 shown]
                                        ; implicit-def: $sgpr12_sgpr13
                                        ; implicit-def: $vgpr52
	s_and_saveexec_b64 s[36:37], vcc
	s_cbranch_execz .LBB1302_126
; %bb.89:
	v_cmp_ne_u32_e32 vcc, v45, v38
	s_mov_b32 s12, 0
	v_or_b32_e32 v2, 5, v53
	v_cndmask_b32_e64 v3, 0, 1, vcc
	s_mov_b32 s13, s12
	v_alignbit_b32 v19, v3, v47, 16
	v_cmp_gt_u32_e32 vcc, s86, v2
	s_mov_b32 s14, s12
	s_mov_b32 s15, s12
	;; [unrolled: 1-line block ×14, first 2 shown]
	v_mov_b64_e32 v[2:3], s[12:13]
	v_mov_b32_e32 v21, v20
	v_mov_b64_e32 v[4:5], s[14:15]
	v_mov_b64_e32 v[6:7], s[16:17]
	;; [unrolled: 1-line block ×7, first 2 shown]
                                        ; implicit-def: $sgpr40_sgpr41
                                        ; implicit-def: $vgpr52
	s_and_saveexec_b64 s[38:39], vcc
	s_cbranch_execz .LBB1302_125
; %bb.90:
	v_cmp_ne_u32_e32 vcc, v38, v39
	v_and_b32_e32 v2, 0xffff, v48
	v_or_b32_e32 v3, 6, v53
	v_cndmask_b32_e64 v4, 0, 1, vcc
	v_lshl_or_b32 v20, v4, 16, v2
	v_cmp_gt_u32_e32 vcc, s86, v3
	v_mov_b64_e32 v[2:3], s[12:13]
	v_mov_b32_e32 v21, s12
	v_mov_b64_e32 v[4:5], s[14:15]
	v_mov_b64_e32 v[6:7], s[16:17]
	;; [unrolled: 1-line block ×7, first 2 shown]
                                        ; implicit-def: $sgpr12_sgpr13
                                        ; implicit-def: $vgpr52
	s_and_saveexec_b64 s[40:41], vcc
	s_cbranch_execz .LBB1302_124
; %bb.91:
	v_cmp_ne_u32_e32 vcc, v39, v40
	s_mov_b32 s12, 0
	v_or_b32_e32 v2, 7, v53
	v_cndmask_b32_e64 v3, 0, 1, vcc
	s_mov_b32 s13, s12
	v_alignbit_b32 v21, v3, v48, 16
	v_cmp_gt_u32_e32 vcc, s86, v2
	s_mov_b32 s14, s12
	s_mov_b32 s15, s12
	;; [unrolled: 1-line block ×14, first 2 shown]
	v_mov_b64_e32 v[2:3], s[12:13]
	v_mov_b64_e32 v[4:5], s[14:15]
	;; [unrolled: 1-line block ×8, first 2 shown]
                                        ; implicit-def: $sgpr14_sgpr15
                                        ; implicit-def: $vgpr52
	s_and_saveexec_b64 s[12:13], vcc
	s_cbranch_execz .LBB1302_123
; %bb.92:
	v_cmp_ne_u32_e32 vcc, v40, v41
	v_and_b32_e32 v2, 0xffff, v49
	v_add_u32_e32 v3, 8, v53
	v_cndmask_b32_e64 v4, 0, 1, vcc
	v_lshl_or_b32 v2, v4, 16, v2
	v_mov_b32_e32 v4, 0
	v_cmp_gt_u32_e32 vcc, s86, v3
	v_mov_b32_e32 v3, v4
	v_mov_b32_e32 v5, v4
	v_mov_b32_e32 v6, v4
	v_mov_b32_e32 v7, v4
	v_mov_b32_e32 v8, v4
	v_mov_b32_e32 v9, v4
	v_mov_b32_e32 v10, v4
	v_mov_b32_e32 v11, v4
	v_mov_b32_e32 v12, v4
	v_mov_b32_e32 v13, v4
	v_mov_b32_e32 v14, v4
	v_mov_b32_e32 v15, v4
	v_mov_b32_e32 v16, v4
	v_mov_b32_e32 v17, v4
                                        ; implicit-def: $sgpr16_sgpr17
                                        ; implicit-def: $vgpr52
	s_and_saveexec_b64 s[14:15], vcc
	s_cbranch_execz .LBB1302_122
; %bb.93:
	v_cmp_ne_u32_e32 vcc, v41, v34
	v_add_u32_e32 v5, 9, v53
	v_mov_b32_e32 v6, v4
	v_cndmask_b32_e64 v3, 0, 1, vcc
	v_alignbit_b32 v3, v3, v49, 16
	v_cmp_gt_u32_e32 vcc, s86, v5
	v_mov_b32_e32 v5, v4
	v_mov_b32_e32 v7, v4
	;; [unrolled: 1-line block ×12, first 2 shown]
                                        ; implicit-def: $sgpr18_sgpr19
                                        ; implicit-def: $vgpr52
	s_and_saveexec_b64 s[16:17], vcc
	s_cbranch_execz .LBB1302_121
; %bb.94:
	ds_read_b128 v[38:41], v54 offset:18
	v_add_u32_e32 v4, 10, v53
	v_cmp_ne_u32_e32 vcc, v34, v35
	v_mov_b32_e32 v6, 0
	v_mov_b32_e32 v7, v6
	v_cndmask_b32_e64 v5, 0, 1, vcc
	v_cmp_gt_u32_e32 vcc, s86, v4
	s_waitcnt lgkmcnt(0)
	v_and_b32_e32 v4, 0xffff, v38
	v_lshl_or_b32 v4, v5, 16, v4
	v_mov_b32_e32 v5, v6
	v_mov_b32_e32 v8, v6
	;; [unrolled: 1-line block ×11, first 2 shown]
                                        ; implicit-def: $sgpr20_sgpr21
                                        ; implicit-def: $vgpr52
	s_and_saveexec_b64 s[18:19], vcc
	s_cbranch_execz .LBB1302_120
; %bb.95:
	v_cmp_ne_u32_e32 vcc, v35, v36
	v_add_u32_e32 v7, 11, v53
	v_mov_b32_e32 v8, v6
	v_cndmask_b32_e64 v5, 0, 1, vcc
	v_alignbit_b32 v5, v5, v38, 16
	v_cmp_gt_u32_e32 vcc, s86, v7
	v_mov_b32_e32 v7, v6
	v_mov_b32_e32 v9, v6
	v_mov_b32_e32 v10, v6
	v_mov_b32_e32 v11, v6
	v_mov_b32_e32 v12, v6
	v_mov_b32_e32 v13, v6
	v_mov_b32_e32 v14, v6
	v_mov_b32_e32 v15, v6
	v_mov_b32_e32 v16, v6
	v_mov_b32_e32 v17, v6
                                        ; implicit-def: $sgpr22_sgpr23
                                        ; implicit-def: $vgpr52
	s_and_saveexec_b64 s[20:21], vcc
	s_cbranch_execz .LBB1302_119
; %bb.96:
	v_cmp_ne_u32_e32 vcc, v36, v37
	v_and_b32_e32 v6, 0xffff, v39
	v_add_u32_e32 v7, 12, v53
	v_cndmask_b32_e64 v8, 0, 1, vcc
	v_lshl_or_b32 v6, v8, 16, v6
	v_mov_b32_e32 v8, 0
	v_cmp_gt_u32_e32 vcc, s86, v7
	v_mov_b32_e32 v7, v8
	v_mov_b32_e32 v9, v8
	;; [unrolled: 1-line block ×10, first 2 shown]
                                        ; implicit-def: $sgpr24_sgpr25
                                        ; implicit-def: $vgpr52
	s_and_saveexec_b64 s[22:23], vcc
	s_cbranch_execz .LBB1302_118
; %bb.97:
	v_cmp_ne_u32_e32 vcc, v37, v30
	v_add_u32_e32 v9, 13, v53
	v_mov_b32_e32 v10, v8
	v_cndmask_b32_e64 v7, 0, 1, vcc
	v_alignbit_b32 v7, v7, v39, 16
	v_cmp_gt_u32_e32 vcc, s86, v9
	v_mov_b32_e32 v9, v8
	v_mov_b32_e32 v11, v8
	;; [unrolled: 1-line block ×8, first 2 shown]
                                        ; implicit-def: $sgpr26_sgpr27
                                        ; implicit-def: $vgpr52
	s_and_saveexec_b64 s[24:25], vcc
	s_cbranch_execz .LBB1302_117
; %bb.98:
	v_cmp_ne_u32_e32 vcc, v30, v31
	v_and_b32_e32 v8, 0xffff, v40
	v_add_u32_e32 v9, 14, v53
	v_cndmask_b32_e64 v10, 0, 1, vcc
	v_lshl_or_b32 v8, v10, 16, v8
	v_mov_b32_e32 v10, 0
	v_cmp_gt_u32_e32 vcc, s86, v9
	v_mov_b32_e32 v9, v10
	v_mov_b32_e32 v11, v10
	;; [unrolled: 1-line block ×8, first 2 shown]
                                        ; implicit-def: $sgpr42_sgpr43
                                        ; implicit-def: $vgpr52
	s_and_saveexec_b64 s[26:27], vcc
	s_cbranch_execz .LBB1302_116
; %bb.99:
	v_cmp_ne_u32_e32 vcc, v31, v32
	v_add_u32_e32 v11, 15, v53
	v_mov_b32_e32 v12, v10
	v_cndmask_b32_e64 v9, 0, 1, vcc
	v_alignbit_b32 v9, v9, v40, 16
	v_cmp_gt_u32_e32 vcc, s86, v11
	v_mov_b32_e32 v11, v10
	v_mov_b32_e32 v13, v10
	;; [unrolled: 1-line block ×6, first 2 shown]
                                        ; implicit-def: $sgpr44_sgpr45
                                        ; implicit-def: $vgpr52
	s_and_saveexec_b64 s[42:43], vcc
	s_cbranch_execz .LBB1302_115
; %bb.100:
	v_cmp_ne_u32_e32 vcc, v32, v33
	v_and_b32_e32 v10, 0xffff, v41
	v_add_u32_e32 v11, 16, v53
	v_cndmask_b32_e64 v12, 0, 1, vcc
	v_lshl_or_b32 v10, v12, 16, v10
	v_mov_b32_e32 v12, 0
	v_cmp_gt_u32_e32 vcc, s86, v11
	v_mov_b32_e32 v11, v12
	v_mov_b32_e32 v13, v12
	;; [unrolled: 1-line block ×6, first 2 shown]
                                        ; implicit-def: $sgpr46_sgpr47
                                        ; implicit-def: $vgpr52
	s_and_saveexec_b64 s[44:45], vcc
	s_cbranch_execz .LBB1302_114
; %bb.101:
	v_cmp_ne_u32_e32 vcc, v33, v26
	v_add_u32_e32 v13, 17, v53
	v_mov_b32_e32 v14, v12
	v_cndmask_b32_e64 v11, 0, 1, vcc
	v_alignbit_b32 v11, v11, v41, 16
	v_cmp_gt_u32_e32 vcc, s86, v13
	v_mov_b32_e32 v13, v12
	v_mov_b32_e32 v15, v12
	v_mov_b32_e32 v16, v12
	v_mov_b32_e32 v17, v12
                                        ; implicit-def: $sgpr48_sgpr49
                                        ; implicit-def: $vgpr52
	s_and_saveexec_b64 s[46:47], vcc
	s_cbranch_execz .LBB1302_113
; %bb.102:
	ds_read_b96 v[30:32], v54 offset:34
	v_add_u32_e32 v12, 18, v53
	v_cmp_ne_u32_e32 vcc, v26, v27
	v_mov_b32_e32 v14, 0
	v_mov_b32_e32 v15, v14
	v_cndmask_b32_e64 v13, 0, 1, vcc
	v_cmp_gt_u32_e32 vcc, s86, v12
	s_waitcnt lgkmcnt(0)
	v_and_b32_e32 v12, 0xffff, v30
	v_lshl_or_b32 v12, v13, 16, v12
	v_mov_b32_e32 v13, v14
	v_mov_b32_e32 v16, v14
	;; [unrolled: 1-line block ×3, first 2 shown]
                                        ; implicit-def: $sgpr50_sgpr51
                                        ; implicit-def: $vgpr52
	s_and_saveexec_b64 s[48:49], vcc
	s_cbranch_execz .LBB1302_112
; %bb.103:
	v_cmp_ne_u32_e32 vcc, v27, v28
	v_add_u32_e32 v15, 19, v53
	v_mov_b32_e32 v16, v14
	v_cndmask_b32_e64 v13, 0, 1, vcc
	v_alignbit_b32 v13, v13, v30, 16
	v_cmp_gt_u32_e32 vcc, s86, v15
	v_mov_b32_e32 v15, v14
	v_mov_b32_e32 v17, v14
                                        ; implicit-def: $sgpr52_sgpr53
                                        ; implicit-def: $vgpr52
	s_and_saveexec_b64 s[50:51], vcc
	s_cbranch_execz .LBB1302_111
; %bb.104:
	v_cmp_ne_u32_e32 vcc, v28, v29
	v_and_b32_e32 v14, 0xffff, v31
	v_add_u32_e32 v15, 20, v53
	v_cndmask_b32_e64 v16, 0, 1, vcc
	v_lshl_or_b32 v14, v16, 16, v14
	v_mov_b32_e32 v16, 0
	v_cmp_gt_u32_e32 vcc, s86, v15
	v_mov_b32_e32 v15, v16
	v_mov_b32_e32 v17, v16
                                        ; implicit-def: $sgpr54_sgpr55
                                        ; implicit-def: $vgpr52
	s_and_saveexec_b64 s[52:53], vcc
	s_cbranch_execz .LBB1302_110
; %bb.105:
	v_cmp_ne_u32_e32 vcc, v29, v22
	v_add_u32_e32 v17, 21, v53
	s_mov_b32 s9, 0
	v_cndmask_b32_e64 v15, 0, 1, vcc
	v_alignbit_b32 v15, v15, v31, 16
	v_cmp_gt_u32_e32 vcc, s86, v17
	v_mov_b32_e32 v17, v16
                                        ; implicit-def: $sgpr68_sgpr69
                                        ; implicit-def: $vgpr52
	s_and_saveexec_b64 s[54:55], vcc
	s_cbranch_execz .LBB1302_109
; %bb.106:
	v_cmp_ne_u32_e32 vcc, v22, v23
	v_and_b32_e32 v16, 0xffff, v32
	v_add_u32_e32 v17, 22, v53
	v_cndmask_b32_e64 v22, 0, 1, vcc
	v_lshl_or_b32 v16, v22, 16, v16
	v_cmp_gt_u32_e32 vcc, s86, v17
	v_mov_b32_e32 v17, s9
                                        ; implicit-def: $sgpr68_sgpr69
                                        ; implicit-def: $vgpr52
	s_and_saveexec_b64 s[84:85], vcc
	s_xor_b64 s[84:85], exec, s[84:85]
	s_cbranch_execz .LBB1302_108
; %bb.107:
	ds_read_u16 v52, v54 offset:46
	v_add_u32_e32 v22, 23, v53
	v_cmp_ne_u32_e64 s[0:1], v23, v24
	v_cmp_ne_u32_e32 vcc, v24, v25
	s_and_b64 s[68:69], vcc, exec
	v_cndmask_b32_e64 v17, 0, 1, s[0:1]
	v_cmp_gt_u32_e64 s[0:1], s86, v22
	v_alignbit_b32 v17, v17, v32, 16
	s_and_b64 s[0:1], s[0:1], exec
.LBB1302_108:
	s_or_b64 exec, exec, s[84:85]
	s_and_b64 s[68:69], s[68:69], exec
	s_and_b64 s[0:1], s[0:1], exec
.LBB1302_109:
	s_or_b64 exec, exec, s[54:55]
	s_and_b64 s[54:55], s[68:69], exec
	s_and_b64 s[0:1], s[0:1], exec
.LBB1302_110:
	s_or_b64 exec, exec, s[52:53]
	s_and_b64 s[52:53], s[54:55], exec
	s_and_b64 s[0:1], s[0:1], exec
.LBB1302_111:
	s_or_b64 exec, exec, s[50:51]
	s_and_b64 s[50:51], s[52:53], exec
	s_and_b64 s[0:1], s[0:1], exec
.LBB1302_112:
	s_or_b64 exec, exec, s[48:49]
	s_and_b64 s[48:49], s[50:51], exec
	s_and_b64 s[0:1], s[0:1], exec
.LBB1302_113:
	s_or_b64 exec, exec, s[46:47]
	s_and_b64 s[46:47], s[48:49], exec
	s_and_b64 s[0:1], s[0:1], exec
.LBB1302_114:
	s_or_b64 exec, exec, s[44:45]
	s_and_b64 s[44:45], s[46:47], exec
	s_and_b64 s[0:1], s[0:1], exec
.LBB1302_115:
	s_or_b64 exec, exec, s[42:43]
	s_and_b64 s[42:43], s[44:45], exec
	s_and_b64 s[0:1], s[0:1], exec
.LBB1302_116:
	s_or_b64 exec, exec, s[26:27]
	s_and_b64 s[26:27], s[42:43], exec
	s_and_b64 s[0:1], s[0:1], exec
.LBB1302_117:
	s_or_b64 exec, exec, s[24:25]
	s_and_b64 s[24:25], s[26:27], exec
	s_and_b64 s[0:1], s[0:1], exec
.LBB1302_118:
	s_or_b64 exec, exec, s[22:23]
	s_and_b64 s[22:23], s[24:25], exec
	s_and_b64 s[0:1], s[0:1], exec
.LBB1302_119:
	s_or_b64 exec, exec, s[20:21]
	s_and_b64 s[20:21], s[22:23], exec
	s_and_b64 s[0:1], s[0:1], exec
.LBB1302_120:
	s_or_b64 exec, exec, s[18:19]
	s_and_b64 s[18:19], s[20:21], exec
	s_and_b64 s[0:1], s[0:1], exec
.LBB1302_121:
	s_or_b64 exec, exec, s[16:17]
	s_and_b64 s[16:17], s[18:19], exec
	s_and_b64 s[0:1], s[0:1], exec
.LBB1302_122:
	s_or_b64 exec, exec, s[14:15]
	s_and_b64 s[14:15], s[16:17], exec
	s_and_b64 s[0:1], s[0:1], exec
.LBB1302_123:
	s_or_b64 exec, exec, s[12:13]
	s_and_b64 s[12:13], s[14:15], exec
	s_and_b64 s[0:1], s[0:1], exec
.LBB1302_124:
	s_or_b64 exec, exec, s[40:41]
	s_and_b64 s[40:41], s[12:13], exec
	s_and_b64 s[0:1], s[0:1], exec
.LBB1302_125:
	s_or_b64 exec, exec, s[38:39]
	s_and_b64 s[12:13], s[40:41], exec
	s_and_b64 s[0:1], s[0:1], exec
.LBB1302_126:
	s_or_b64 exec, exec, s[36:37]
	s_and_b64 s[36:37], s[12:13], exec
	s_and_b64 s[0:1], s[0:1], exec
.LBB1302_127:
	s_or_b64 exec, exec, s[30:31]
	s_and_b64 s[12:13], s[36:37], exec
	s_and_b64 s[0:1], s[0:1], exec
.LBB1302_128:
	s_or_b64 exec, exec, s[28:29]
	s_and_b64 s[38:39], s[12:13], exec
	s_and_b64 s[36:37], s[0:1], exec
.LBB1302_129:
	s_or_b64 exec, exec, s[34:35]
	s_and_b64 s[0:1], s[38:39], exec
	s_and_b64 s[12:13], s[36:37], exec
.LBB1302_130:
	s_or_b64 exec, exec, s[10:11]
	s_and_b64 vcc, exec, s[6:7]
	s_cbranch_vccnz .LBB1302_132
	s_branch .LBB1302_140
.LBB1302_131:
                                        ; implicit-def: $sgpr0_sgpr1
                                        ; implicit-def: $vgpr50_vgpr51
                                        ; implicit-def: $vgpr18_vgpr19_vgpr20_vgpr21
                                        ; implicit-def: $vgpr2_vgpr3_vgpr4_vgpr5_vgpr6_vgpr7_vgpr8_vgpr9_vgpr10_vgpr11_vgpr12_vgpr13_vgpr14_vgpr15_vgpr16_vgpr17
                                        ; implicit-def: $vgpr52
                                        ; implicit-def: $vgpr1
                                        ; implicit-def: $sgpr8
	s_and_b64 vcc, exec, s[6:7]
	s_cbranch_vccz .LBB1302_140
.LBB1302_132:
	v_mov_b32_e32 v3, 0
	v_lshlrev_b32_e32 v2, 2, v0
	v_lshl_add_u64 v[4:5], s[64:65], 0, v[2:3]
	v_add_co_u32_e32 v6, vcc, 0x1000, v4
	s_movk_i32 s0, 0x5c
	s_nop 0
	v_addc_co_u32_e32 v7, vcc, 0, v5, vcc
	flat_load_dword v3, v[4:5]
	flat_load_dword v10, v[4:5] offset:1024
	flat_load_dword v11, v[4:5] offset:2048
	;; [unrolled: 1-line block ×3, first 2 shown]
	flat_load_dword v13, v[6:7]
	flat_load_dword v14, v[6:7] offset:1024
	flat_load_dword v15, v[6:7] offset:2048
	;; [unrolled: 1-line block ×3, first 2 shown]
	v_add_co_u32_e32 v6, vcc, 0x2000, v4
	v_mad_u32_u24 v1, v0, s0, v2
	s_nop 0
	v_addc_co_u32_e32 v7, vcc, 0, v5, vcc
	v_add_co_u32_e32 v8, vcc, 0x3000, v4
	s_cmp_eq_u64 s[82:83], 0
	s_nop 0
	v_addc_co_u32_e32 v9, vcc, 0, v5, vcc
	flat_load_dword v17, v[6:7]
	flat_load_dword v18, v[6:7] offset:1024
	flat_load_dword v19, v[6:7] offset:2048
	;; [unrolled: 1-line block ×3, first 2 shown]
	flat_load_dword v21, v[8:9]
	flat_load_dword v22, v[8:9] offset:1024
	flat_load_dword v23, v[8:9] offset:2048
	;; [unrolled: 1-line block ×3, first 2 shown]
	v_add_co_u32_e32 v6, vcc, 0x4000, v4
	s_nop 1
	v_addc_co_u32_e32 v7, vcc, 0, v5, vcc
	v_add_co_u32_e32 v4, vcc, 0x5000, v4
	s_nop 1
	v_addc_co_u32_e32 v5, vcc, 0, v5, vcc
	flat_load_dword v8, v[6:7]
	flat_load_dword v9, v[6:7] offset:1024
	flat_load_dword v25, v[6:7] offset:2048
	;; [unrolled: 1-line block ×3, first 2 shown]
	flat_load_dword v27, v[4:5]
	flat_load_dword v28, v[4:5] offset:1024
	flat_load_dword v29, v[4:5] offset:2048
	;; [unrolled: 1-line block ×3, first 2 shown]
	s_waitcnt vmcnt(0) lgkmcnt(0)
	ds_write2st64_b32 v2, v3, v10 offset1:4
	ds_write2st64_b32 v2, v11, v12 offset0:8 offset1:12
	ds_write2st64_b32 v2, v13, v14 offset0:16 offset1:20
	;; [unrolled: 1-line block ×11, first 2 shown]
	s_waitcnt lgkmcnt(0)
	s_barrier
	ds_read2_b64 v[2:5], v1 offset1:11
	ds_read2_b64 v[34:37], v1 offset0:9 offset1:10
	ds_read2_b64 v[30:33], v1 offset0:7 offset1:8
	;; [unrolled: 1-line block ×5, first 2 shown]
	s_cbranch_scc1 .LBB1302_137
; %bb.133:
	s_andn2_b64 vcc, exec, s[72:73]
	s_cbranch_vccnz .LBB1302_318
; %bb.134:
	s_lshl_b64 s[0:1], s[82:83], 2
	s_add_u32 s0, s74, s0
	s_addc_u32 s1, s75, s1
	s_add_u32 s0, s0, -4
	s_addc_u32 s1, s1, -1
	s_cbranch_execnz .LBB1302_136
.LBB1302_135:
	s_add_u32 s0, s64, -4
	s_addc_u32 s1, s65, -1
.LBB1302_136:
	s_mov_b64 s[64:65], s[0:1]
.LBB1302_137:
	v_mov_b64_e32 v[10:11], s[64:65]
	flat_load_dword v10, v[10:11]
	s_movk_i32 s0, 0xffa4
	v_mad_i32_i24 v1, v0, s0, v1
	s_waitcnt lgkmcnt(0)
	ds_write_b32 v1, v5 offset:24576
	s_waitcnt lgkmcnt(0)
	s_barrier
	s_and_saveexec_b64 s[0:1], s[4:5]
	s_cbranch_execz .LBB1302_139
; %bb.138:
	s_waitcnt vmcnt(0)
	ds_read_b32 v10, v1 offset:24572
.LBB1302_139:
	s_or_b64 exec, exec, s[0:1]
	v_lshlrev_b32_e32 v12, 1, v0
	v_mov_b32_e32 v13, 0
	v_lshl_add_u64 v[14:15], s[62:63], 0, v[12:13]
	s_movk_i32 s0, 0x1000
	v_add_co_u32_e32 v16, vcc, s0, v14
	s_movk_i32 s0, 0x2000
	s_nop 0
	v_addc_co_u32_e32 v17, vcc, 0, v15, vcc
	s_waitcnt lgkmcnt(0)
	s_barrier
	flat_load_ushort v11, v[14:15]
	flat_load_ushort v13, v[14:15] offset:512
	flat_load_ushort v18, v[14:15] offset:1024
	;; [unrolled: 1-line block ×7, first 2 shown]
	v_add_co_u32_e32 v14, vcc, s0, v14
	flat_load_ushort v40, v[16:17]
	flat_load_ushort v41, v[16:17] offset:512
	flat_load_ushort v42, v[16:17] offset:1024
	;; [unrolled: 1-line block ×7, first 2 shown]
	v_addc_co_u32_e32 v15, vcc, 0, v15, vcc
	flat_load_ushort v16, v[14:15]
	flat_load_ushort v17, v[14:15] offset:512
	flat_load_ushort v48, v[14:15] offset:1024
	flat_load_ushort v49, v[14:15] offset:1536
	flat_load_ushort v50, v[14:15] offset:2048
	flat_load_ushort v51, v[14:15] offset:2560
	flat_load_ushort v52, v[14:15] offset:3072
	flat_load_ushort v53, v[14:15] offset:3584
	s_waitcnt vmcnt(0)
	v_cmp_ne_u32_e32 vcc, v10, v2
	v_sub_u32_e32 v1, v1, v12
	v_cmp_ne_u32_e64 s[0:1], v4, v5
	v_cndmask_b32_e64 v5, 0, 1, vcc
	v_cmp_ne_u32_e32 vcc, v3, v6
	v_mad_u32_u24 v55, v0, 46, v1
	s_mov_b64 s[12:13], -1
	v_cndmask_b32_e64 v54, 0, 1, vcc
	v_cmp_ne_u32_e32 vcc, v2, v3
                                        ; implicit-def: $sgpr8
	s_waitcnt lgkmcnt(0)
	ds_write_b16 v1, v11
	ds_write_b16 v1, v13 offset:512
	ds_write_b16 v1, v18 offset:1024
	;; [unrolled: 1-line block ×23, first 2 shown]
	s_waitcnt lgkmcnt(0)
	s_barrier
	ds_read_u16 v1, v55
	ds_read_b96 v[14:16], v55 offset:2
	ds_read_b128 v[38:41], v55 offset:14
	ds_read_b128 v[10:13], v55 offset:30
	ds_read_u16 v52, v55 offset:46
	v_cndmask_b32_e64 v2, 0, 1, vcc
	v_cmp_ne_u32_e32 vcc, v9, v22
	s_waitcnt lgkmcnt(4)
	v_lshl_or_b32 v1, v5, 16, v1
	s_waitcnt lgkmcnt(3)
	v_and_b32_e32 v5, 0xffff, v14
	v_cndmask_b32_e64 v3, 0, 1, vcc
	v_cmp_ne_u32_e32 vcc, v7, v8
	v_lshl_or_b32 v50, v2, 16, v5
	v_and_b32_e32 v17, 0xffff, v16
	v_cndmask_b32_e64 v2, 0, 1, vcc
	v_cmp_ne_u32_e32 vcc, v8, v9
	v_alignbit_b32 v19, v2, v15, 16
	v_alignbit_b32 v21, v3, v16, 16
	v_cndmask_b32_e64 v2, 0, 1, vcc
	v_cmp_ne_u32_e32 vcc, v6, v7
	v_lshl_or_b32 v20, v2, 16, v17
	v_alignbit_b32 v51, v54, v14, 16
	v_cndmask_b32_e64 v2, 0, 1, vcc
	v_cmp_ne_u32_e32 vcc, v37, v4
	v_and_b32_e32 v14, 0xffff, v15
	s_waitcnt lgkmcnt(1)
	v_and_b32_e32 v16, 0xffff, v13
	v_cndmask_b32_e64 v3, 0, 1, vcc
	v_cmp_ne_u32_e32 vcc, v35, v36
	v_alignbit_b32 v17, v3, v13, 16
	v_and_b32_e32 v44, 0xffff, v11
	v_cndmask_b32_e64 v3, 0, 1, vcc
	v_cmp_ne_u32_e32 vcc, v33, v34
	v_alignbit_b32 v15, v3, v12, 16
	v_lshl_or_b32 v18, v2, 16, v14
	v_cndmask_b32_e64 v3, 0, 1, vcc
	v_cmp_ne_u32_e32 vcc, v31, v32
	v_alignbit_b32 v13, v3, v11, 16
	v_and_b32_e32 v14, 0xffff, v12
	v_cndmask_b32_e64 v3, 0, 1, vcc
	v_cmp_ne_u32_e32 vcc, v29, v30
	v_alignbit_b32 v11, v3, v10, 16
	v_and_b32_e32 v43, 0xffff, v10
	;; [unrolled: 4-line block ×5, first 2 shown]
	v_cndmask_b32_e64 v3, 0, 1, vcc
	v_cmp_ne_u32_e32 vcc, v36, v37
	v_and_b32_e32 v42, 0xffff, v39
	v_alignbit_b32 v3, v3, v38, 16
	v_cndmask_b32_e64 v4, 0, 1, vcc
	v_cmp_ne_u32_e32 vcc, v34, v35
	v_lshl_or_b32 v16, v4, 16, v16
	s_nop 0
	v_cndmask_b32_e64 v4, 0, 1, vcc
	v_cmp_ne_u32_e32 vcc, v32, v33
	v_lshl_or_b32 v14, v4, 16, v14
	s_nop 0
	;; [unrolled: 4-line block ×7, first 2 shown]
	v_cndmask_b32_e64 v22, 0, 1, vcc
	v_lshl_or_b32 v2, v22, 16, v2
.LBB1302_140:
	v_mov_b32_e32 v32, s8
	s_and_saveexec_b64 s[6:7], s[12:13]
	s_cbranch_execz .LBB1302_142
; %bb.141:
	v_mov_b32_e32 v22, 0x10000
	v_cndmask_b32_e64 v22, 0, v22, s[0:1]
	s_waitcnt lgkmcnt(0)
	v_or_b32_sdwa v32, v22, v52 dst_sel:DWORD dst_unused:UNUSED_PAD src0_sel:DWORD src1_sel:WORD_0
.LBB1302_142:
	s_or_b64 exec, exec, s[6:7]
	s_cmp_lg_u32 s79, 0
	v_mbcnt_lo_u32_b32 v33, -1, 0
	s_waitcnt lgkmcnt(0)
	s_barrier
	s_cbranch_scc0 .LBB1302_209
; %bb.143:
	s_mov_b32 s0, 0x10000
	v_cmp_gt_u32_e64 s[6:7], s0, v50
	v_cmp_gt_u32_e64 s[8:9], s0, v51
	v_cmp_gt_u32_e64 s[10:11], s0, v18
	v_cndmask_b32_e64 v22, 0, v1, s[6:7]
	v_add_u16_e32 v22, v22, v50
	v_cndmask_b32_e64 v22, 0, v22, s[8:9]
	v_add_u16_e32 v22, v22, v51
	v_cndmask_b32_e64 v22, 0, v22, s[10:11]
	v_add_u16_e32 v22, v22, v18
	v_cmp_gt_u32_e64 s[12:13], s0, v19
	v_cmp_gt_u32_e64 s[14:15], s0, v20
	v_cmp_gt_u32_e64 s[16:17], s0, v21
	v_cndmask_b32_e64 v22, 0, v22, s[12:13]
	v_add_u16_e32 v22, v22, v19
	v_cndmask_b32_e64 v22, 0, v22, s[14:15]
	v_add_u16_e32 v22, v22, v20
	v_cndmask_b32_e64 v22, 0, v22, s[16:17]
	v_add_u16_e32 v22, v22, v21
	v_cmp_gt_u32_e64 s[18:19], s0, v2
	v_cmp_gt_u32_e64 s[20:21], s0, v3
	v_cmp_gt_u32_e64 s[22:23], s0, v4
	v_cndmask_b32_e64 v22, 0, v22, s[18:19]
	v_add_u16_e32 v22, v22, v2
	v_cndmask_b32_e64 v22, 0, v22, s[20:21]
	v_add_u16_e32 v22, v22, v3
	v_cndmask_b32_e64 v22, 0, v22, s[22:23]
	v_add_u16_e32 v22, v22, v4
	v_cmp_gt_u32_e64 s[24:25], s0, v5
	v_cmp_gt_u32_e64 s[26:27], s0, v6
	v_cmp_gt_u32_e64 s[28:29], s0, v7
	v_cndmask_b32_e64 v22, 0, v22, s[24:25]
	v_add_u16_e32 v22, v22, v5
	v_cndmask_b32_e64 v22, 0, v22, s[26:27]
	v_add_u16_e32 v22, v22, v6
	v_cndmask_b32_e64 v22, 0, v22, s[28:29]
	v_add_u16_e32 v22, v22, v7
	v_cmp_gt_u32_e64 s[30:31], s0, v8
	v_cmp_gt_u32_e64 s[34:35], s0, v9
	v_cmp_gt_u32_e64 s[36:37], s0, v10
	v_cndmask_b32_e64 v22, 0, v22, s[30:31]
	v_add_u16_e32 v22, v22, v8
	v_cndmask_b32_e64 v22, 0, v22, s[34:35]
	v_add_u16_e32 v22, v22, v9
	v_cndmask_b32_e64 v22, 0, v22, s[36:37]
	v_add_u16_e32 v22, v22, v10
	v_cmp_gt_u32_e64 s[38:39], s0, v11
	v_cmp_gt_u32_e64 s[40:41], s0, v12
	v_or3_b32 v23, v32, v17, v16
	v_cndmask_b32_e64 v22, 0, v22, s[38:39]
	v_add_u16_e32 v22, v22, v11
	v_cndmask_b32_e64 v22, 0, v22, s[40:41]
	v_add_u16_e32 v22, v22, v12
	v_cmp_gt_u32_e64 s[42:43], s0, v13
	v_or3_b32 v23, v23, v15, v14
	v_or3_b32 v23, v23, v13, v12
	v_cndmask_b32_e64 v22, 0, v22, s[42:43]
	v_add_u16_e32 v22, v22, v13
	v_cmp_gt_u32_e64 s[44:45], s0, v14
	v_or3_b32 v23, v23, v11, v10
	v_or3_b32 v23, v23, v9, v8
	;; [unrolled: 5-line block ×5, first 2 shown]
	v_cndmask_b32_e64 v22, 0, v22, s[50:51]
	v_add_u16_e32 v22, v22, v17
	v_cmp_gt_u32_e64 s[52:53], s0, v32
	v_and_b32_e32 v23, 0x10000, v23
	v_lshrrev_b32_e32 v34, 16, v1
	v_cndmask_b32_e64 v24, 0, v22, s[52:53]
	v_cmp_eq_u32_e32 vcc, 0, v23
	v_add_u16_e32 v22, v24, v32
	v_mbcnt_hi_u32_b32 v25, -1, v33
	v_cndmask_b32_e32 v23, 1, v34, vcc
	v_add_u16_e32 v24, v24, v32
	v_and_b32_e32 v27, 15, v25
	v_lshl_or_b32 v24, v23, 16, v24
	v_cmp_ne_u32_e32 vcc, 0, v27
	s_nop 0
	v_mov_b32_dpp v26, v24 row_shr:1 row_mask:0xf bank_mask:0xf
	s_and_saveexec_b64 s[0:1], vcc
	s_cbranch_execz .LBB1302_145
; %bb.144:
	v_cmp_eq_u32_e32 vcc, 0, v23
	v_and_b32_e32 v23, 1, v23
	v_mov_b32_e32 v29, 1
	v_cndmask_b32_e32 v24, 0, v26, vcc
	v_and_b32_sdwa v26, v26, v29 dst_sel:DWORD dst_unused:UNUSED_PAD src0_sel:WORD_1 src1_sel:DWORD
	v_cmp_eq_u32_e32 vcc, 1, v23
	v_add_u16_e32 v28, v24, v22
	v_add_u16_e32 v22, v24, v22
	v_cndmask_b32_e64 v23, v26, 1, vcc
	v_lshlrev_b32_e32 v26, 16, v23
	v_or_b32_e32 v24, v26, v22
	v_mov_b32_e32 v22, v28
.LBB1302_145:
	s_or_b64 exec, exec, s[0:1]
	v_lshrrev_b32_e32 v26, 16, v24
	v_mov_b32_dpp v28, v24 row_shr:2 row_mask:0xf bank_mask:0xf
	v_cmp_lt_u32_e32 vcc, 1, v27
	s_and_saveexec_b64 s[0:1], vcc
	s_cbranch_execz .LBB1302_147
; %bb.146:
	s_mov_b32 s54, 0x10000
	v_cmp_gt_u32_e32 vcc, s54, v24
	v_and_b32_e32 v23, 0x10000, v24
	v_mov_b32_e32 v24, 1
	v_cndmask_b32_e32 v26, 0, v28, vcc
	v_and_b32_sdwa v24, v28, v24 dst_sel:DWORD dst_unused:UNUSED_PAD src0_sel:WORD_1 src1_sel:DWORD
	v_cmp_ne_u32_e32 vcc, 0, v23
	v_add_u16_e32 v29, v26, v22
	v_add_u16_e32 v22, v26, v22
	v_cndmask_b32_e64 v23, v24, 1, vcc
	v_lshlrev_b32_e32 v24, 16, v23
	v_or_b32_e32 v24, v24, v22
	v_mov_b32_e32 v26, v23
	v_mov_b32_e32 v22, v29
.LBB1302_147:
	s_or_b64 exec, exec, s[0:1]
	v_mov_b32_dpp v28, v24 row_shr:4 row_mask:0xf bank_mask:0xf
	v_cmp_lt_u32_e32 vcc, 3, v27
	s_and_saveexec_b64 s[0:1], vcc
	s_cbranch_execz .LBB1302_149
; %bb.148:
	v_mov_b32_e32 v23, 0
	v_cmp_eq_u16_sdwa vcc, v26, v23 src0_sel:BYTE_0 src1_sel:DWORD
	v_and_b32_e32 v23, 1, v26
	v_mov_b32_e32 v26, 1
	v_cndmask_b32_e32 v24, 0, v28, vcc
	v_and_b32_sdwa v26, v28, v26 dst_sel:DWORD dst_unused:UNUSED_PAD src0_sel:WORD_1 src1_sel:DWORD
	v_cmp_eq_u32_e32 vcc, 1, v23
	v_add_u16_e32 v29, v24, v22
	v_add_u16_e32 v22, v24, v22
	v_cndmask_b32_e64 v23, v26, 1, vcc
	v_lshlrev_b32_e32 v26, 16, v23
	v_or_b32_e32 v24, v26, v22
	v_mov_b32_e32 v26, v23
	v_mov_b32_e32 v22, v29
.LBB1302_149:
	s_or_b64 exec, exec, s[0:1]
	v_mov_b32_dpp v28, v24 row_shr:8 row_mask:0xf bank_mask:0xf
	v_cmp_lt_u32_e32 vcc, 7, v27
	s_and_saveexec_b64 s[0:1], vcc
	s_cbranch_execz .LBB1302_151
; %bb.150:
	v_mov_b32_e32 v23, 0
	v_cmp_eq_u16_sdwa vcc, v26, v23 src0_sel:BYTE_0 src1_sel:DWORD
	v_and_b32_e32 v23, 1, v26
	v_mov_b32_e32 v26, 1
	v_cndmask_b32_e32 v24, 0, v28, vcc
	v_and_b32_sdwa v26, v28, v26 dst_sel:DWORD dst_unused:UNUSED_PAD src0_sel:WORD_1 src1_sel:DWORD
	v_cmp_eq_u32_e32 vcc, 1, v23
	v_add_u16_e32 v27, v24, v22
	v_add_u16_e32 v22, v24, v22
	v_cndmask_b32_e64 v23, v26, 1, vcc
	v_lshlrev_b32_e32 v26, 16, v23
	v_or_b32_e32 v24, v26, v22
	v_mov_b32_e32 v26, v23
	v_mov_b32_e32 v22, v27
.LBB1302_151:
	s_or_b64 exec, exec, s[0:1]
	v_and_b32_e32 v28, 16, v25
	v_mov_b32_dpp v27, v24 row_bcast:15 row_mask:0xf bank_mask:0xf
	v_cmp_ne_u32_e32 vcc, 0, v28
	s_and_saveexec_b64 s[0:1], vcc
	s_cbranch_execz .LBB1302_153
; %bb.152:
	v_mov_b32_e32 v23, 0
	v_cmp_eq_u16_sdwa vcc, v26, v23 src0_sel:BYTE_0 src1_sel:DWORD
	v_and_b32_e32 v23, 1, v26
	v_mov_b32_e32 v26, 1
	v_cndmask_b32_e32 v24, 0, v27, vcc
	v_and_b32_sdwa v26, v27, v26 dst_sel:DWORD dst_unused:UNUSED_PAD src0_sel:WORD_1 src1_sel:DWORD
	v_cmp_eq_u32_e32 vcc, 1, v23
	v_add_u16_e32 v28, v24, v22
	v_add_u16_e32 v22, v24, v22
	v_cndmask_b32_e64 v23, v26, 1, vcc
	v_lshlrev_b32_e32 v26, 16, v23
	v_or_b32_e32 v24, v26, v22
	v_mov_b32_e32 v22, v28
	v_mov_b32_e32 v26, v23
.LBB1302_153:
	s_or_b64 exec, exec, s[0:1]
	v_mov_b32_dpp v24, v24 row_bcast:31 row_mask:0xf bank_mask:0xf
	v_cmp_lt_u32_e32 vcc, 31, v25
	s_and_saveexec_b64 s[0:1], vcc
; %bb.154:
	v_mov_b32_e32 v23, 0
	v_cmp_eq_u16_sdwa vcc, v26, v23 src0_sel:BYTE_0 src1_sel:DWORD
	s_nop 1
	v_cndmask_b32_e32 v23, 0, v24, vcc
	v_add_u16_e32 v22, v23, v22
	v_and_b32_e32 v23, 1, v26
	v_mov_b32_e32 v26, 1
	v_and_b32_sdwa v24, v24, v26 dst_sel:DWORD dst_unused:UNUSED_PAD src0_sel:WORD_1 src1_sel:DWORD
	v_cmp_eq_u32_e32 vcc, 1, v23
	s_nop 1
	v_cndmask_b32_e64 v23, v24, 1, vcc
; %bb.155:
	s_or_b64 exec, exec, s[0:1]
	v_or_b32_e32 v26, 63, v0
	v_lshrrev_b32_e32 v24, 6, v0
	v_cmp_eq_u32_e32 vcc, v26, v0
	s_and_saveexec_b64 s[0:1], vcc
	s_cbranch_execz .LBB1302_157
; %bb.156:
	v_lshlrev_b32_e32 v26, 2, v24
	ds_write_b16 v26, v22
	ds_write_b8 v26, v23 offset:2
.LBB1302_157:
	s_or_b64 exec, exec, s[0:1]
	v_cmp_gt_u32_e32 vcc, 4, v0
	s_waitcnt lgkmcnt(0)
	s_barrier
	s_and_saveexec_b64 s[0:1], vcc
	s_cbranch_execz .LBB1302_163
; %bb.158:
	v_lshlrev_b32_e32 v26, 2, v0
	ds_read_b32 v27, v26
	v_and_b32_e32 v30, 3, v25
	v_cmp_ne_u32_e32 vcc, 0, v30
	s_waitcnt lgkmcnt(0)
	v_lshrrev_b32_e32 v29, 16, v27
	v_mov_b32_dpp v31, v27 row_shr:1 row_mask:0xf bank_mask:0xf
	v_mov_b32_e32 v28, v27
	s_and_saveexec_b64 s[54:55], vcc
	s_cbranch_execz .LBB1302_160
; %bb.159:
	v_mov_b32_e32 v28, 0
	v_cmp_eq_u16_sdwa vcc, v29, v28 src0_sel:BYTE_0 src1_sel:DWORD
	v_and_b32_e32 v29, 0x10000, v27
	v_mov_b32_e32 v37, 1
	v_cndmask_b32_e32 v36, 0, v31, vcc
	v_and_b32_sdwa v31, v31, v37 dst_sel:DWORD dst_unused:UNUSED_PAD src0_sel:WORD_1 src1_sel:DWORD
	v_cmp_ne_u32_e32 vcc, 0, v29
	v_and_b32_e32 v35, 0xff000000, v27
	v_add_u16_e32 v28, v36, v27
	v_cndmask_b32_e64 v29, v31, 1, vcc
	v_lshlrev_b32_e32 v31, 16, v29
	v_add_u16_e32 v27, v36, v27
	v_or3_b32 v27, v31, v35, v27
.LBB1302_160:
	s_or_b64 exec, exec, s[54:55]
	s_nop 0
	v_mov_b32_dpp v31, v27 row_shr:2 row_mask:0xf bank_mask:0xf
	v_cmp_lt_u32_e32 vcc, 1, v30
	s_and_saveexec_b64 s[54:55], vcc
; %bb.161:
	v_and_b32_e32 v29, 0xff0000, v27
	v_cmp_eq_u32_e32 vcc, 0, v29
	v_and_b32_e32 v27, 0x10000, v27
	s_nop 0
	v_cndmask_b32_e32 v29, 0, v31, vcc
	v_add_u16_e32 v28, v29, v28
	v_mov_b32_e32 v29, 1
	v_and_b32_sdwa v29, v31, v29 dst_sel:DWORD dst_unused:UNUSED_PAD src0_sel:WORD_1 src1_sel:DWORD
	v_cmp_eq_u32_e32 vcc, 0, v27
	s_nop 1
	v_cndmask_b32_e32 v29, 1, v29, vcc
; %bb.162:
	s_or_b64 exec, exec, s[54:55]
	ds_write_b16 v26, v28
	ds_write_b8 v26, v29 offset:2
.LBB1302_163:
	s_or_b64 exec, exec, s[0:1]
	v_cmp_gt_u32_e32 vcc, 64, v0
	v_cmp_lt_u32_e64 s[0:1], 63, v0
	v_mov_b32_e32 v35, 0
	v_mov_b32_e32 v36, 0
	s_waitcnt lgkmcnt(0)
	s_barrier
	s_and_saveexec_b64 s[54:55], s[0:1]
	s_cbranch_execz .LBB1302_165
; %bb.164:
	v_lshl_add_u32 v24, v24, 2, -4
	ds_read_u16 v35, v24
	ds_read_u8 v36, v24 offset:2
	v_mov_b32_e32 v26, 0
	v_and_b32_e32 v27, 1, v23
	v_cmp_eq_u16_sdwa s[0:1], v23, v26 src0_sel:BYTE_0 src1_sel:DWORD
	s_waitcnt lgkmcnt(1)
	s_nop 0
	v_cndmask_b32_e64 v23, 0, v35, s[0:1]
	v_cmp_eq_u32_e64 s[0:1], 1, v27
	v_add_u16_e32 v22, v23, v22
	s_waitcnt lgkmcnt(0)
	v_cndmask_b32_e64 v23, v36, 1, s[0:1]
.LBB1302_165:
	s_or_b64 exec, exec, s[54:55]
	v_and_b32_e32 v23, 0xff, v23
	v_and_b32_e32 v22, 0xffff, v22
	v_lshl_or_b32 v22, v23, 16, v22
	v_add_u32_e32 v23, -1, v25
	v_and_b32_e32 v24, 64, v25
	v_cmp_lt_i32_e64 s[0:1], v23, v24
	v_cmp_eq_u32_e64 s[54:55], 0, v25
	s_nop 0
	v_cndmask_b32_e64 v23, v23, v25, s[0:1]
	v_lshlrev_b32_e32 v23, 2, v23
	ds_bpermute_b32 v37, v23, v22
	s_and_saveexec_b64 s[0:1], vcc
	s_cbranch_execz .LBB1302_208
; %bb.166:
	v_mov_b32_e32 v29, 0
	ds_read_b32 v22, v29 offset:12
	s_and_saveexec_b64 s[62:63], s[54:55]
	s_cbranch_execz .LBB1302_168
; %bb.167:
	s_add_i32 s64, s79, 64
	s_mov_b32 s65, 0
	s_lshl_b64 s[64:65], s[64:65], 3
	s_add_u32 s64, s76, s64
	v_mov_b32_e32 v23, 1
	s_addc_u32 s65, s77, s65
	s_waitcnt lgkmcnt(0)
	global_store_dwordx2 v29, v[22:23], s[64:65] sc1
.LBB1302_168:
	s_or_b64 exec, exec, s[62:63]
	v_xad_u32 v24, v25, -1, s79
	v_add_u32_e32 v28, 64, v24
	v_lshl_add_u64 v[30:31], v[28:29], 3, s[76:77]
	global_load_dwordx2 v[26:27], v[30:31], off sc1
	s_waitcnt vmcnt(0)
	v_cmp_eq_u16_sdwa s[64:65], v27, v29 src0_sel:BYTE_0 src1_sel:DWORD
	s_and_saveexec_b64 s[62:63], s[64:65]
	s_cbranch_execz .LBB1302_172
; %bb.169:
	s_mov_b64 s[64:65], 0
	v_mov_b32_e32 v23, 0
.LBB1302_170:                           ; =>This Inner Loop Header: Depth=1
	global_load_dwordx2 v[26:27], v[30:31], off sc1
	s_waitcnt vmcnt(0)
	v_cmp_ne_u16_sdwa s[68:69], v27, v23 src0_sel:BYTE_0 src1_sel:DWORD
	s_or_b64 s[64:65], s[68:69], s[64:65]
	s_andn2_b64 exec, exec, s[64:65]
	s_cbranch_execnz .LBB1302_170
; %bb.171:
	s_or_b64 exec, exec, s[64:65]
.LBB1302_172:
	s_or_b64 exec, exec, s[62:63]
	v_mov_b32_e32 v23, 2
	v_cmp_eq_u16_sdwa s[62:63], v27, v23 src0_sel:BYTE_0 src1_sel:DWORD
	v_lshlrev_b64 v[28:29], v25, -1
	v_and_b32_e32 v49, 0xffffff, v26
	v_and_b32_e32 v23, s63, v29
	v_or_b32_e32 v23, 0x80000000, v23
	v_ffbl_b32_e32 v23, v23
	v_add_u32_e32 v31, 32, v23
	v_and_b32_e32 v23, 63, v25
	v_cmp_ne_u32_e32 vcc, 63, v23
	v_and_b32_e32 v30, s62, v28
	v_ffbl_b32_e32 v30, v30
	v_addc_co_u32_e32 v38, vcc, 0, v25, vcc
	v_lshlrev_b32_e32 v38, 2, v38
	ds_bpermute_b32 v39, v38, v49
	v_min_u32_e32 v31, v30, v31
	v_lshrrev_b32_e32 v30, 16, v26
	v_cmp_lt_u32_e32 vcc, v23, v31
	v_bfe_u32 v47, v26, 16, 8
	s_and_saveexec_b64 s[62:63], vcc
	s_cbranch_execz .LBB1302_174
; %bb.173:
	v_and_b32_e32 v30, 0xff0000, v26
	v_cmp_eq_u32_e32 vcc, 0, v30
	v_and_b32_e32 v30, 0x10000, v30
	v_mov_b32_e32 v42, 1
	s_waitcnt lgkmcnt(0)
	v_cndmask_b32_e32 v40, 0, v39, vcc
	v_and_b32_sdwa v39, v39, v42 dst_sel:DWORD dst_unused:UNUSED_PAD src0_sel:WORD_1 src1_sel:DWORD
	v_cmp_ne_u32_e32 vcc, 0, v30
	v_add_u16_e32 v41, v40, v26
	v_add_u16_e32 v26, v40, v26
	v_cndmask_b32_e64 v30, v39, 1, vcc
	v_lshlrev_b32_e32 v39, 16, v30
	v_or_b32_e32 v49, v39, v26
	v_mov_b32_e32 v26, v41
	v_mov_b32_e32 v47, v30
.LBB1302_174:
	s_or_b64 exec, exec, s[62:63]
	v_cmp_gt_u32_e32 vcc, 62, v23
	v_add_u32_e32 v40, 2, v23
	s_waitcnt lgkmcnt(0)
	v_cndmask_b32_e64 v39, 0, 1, vcc
	v_lshlrev_b32_e32 v39, 1, v39
	v_add_lshl_u32 v39, v39, v25, 2
	ds_bpermute_b32 v41, v39, v49
	v_cmp_le_u32_e32 vcc, v40, v31
	s_and_saveexec_b64 s[62:63], vcc
	s_cbranch_execz .LBB1302_176
; %bb.175:
	v_cmp_eq_u16_e32 vcc, 0, v47
	v_and_b32_e32 v30, 1, v47
	v_mov_b32_e32 v44, 1
	s_waitcnt lgkmcnt(0)
	v_cndmask_b32_e32 v42, 0, v41, vcc
	v_and_b32_sdwa v41, v41, v44 dst_sel:DWORD dst_unused:UNUSED_PAD src0_sel:WORD_1 src1_sel:DWORD
	v_cmp_eq_u32_e32 vcc, 1, v30
	v_add_u16_e32 v43, v42, v26
	v_add_u16_e32 v26, v42, v26
	v_cndmask_b32_e64 v30, v41, 1, vcc
	v_lshlrev_b32_e32 v41, 16, v30
	v_or_b32_e32 v49, v41, v26
	v_mov_b32_e32 v26, v43
	v_mov_b32_e32 v47, v30
.LBB1302_176:
	s_or_b64 exec, exec, s[62:63]
	v_cmp_gt_u32_e32 vcc, 60, v23
	v_add_u32_e32 v42, 4, v23
	s_waitcnt lgkmcnt(0)
	v_cndmask_b32_e64 v41, 0, 1, vcc
	v_lshlrev_b32_e32 v41, 2, v41
	v_add_lshl_u32 v41, v41, v25, 2
	ds_bpermute_b32 v43, v41, v49
	v_cmp_le_u32_e32 vcc, v42, v31
	s_and_saveexec_b64 s[62:63], vcc
	s_cbranch_execz .LBB1302_178
; %bb.177:
	v_cmp_eq_u16_e32 vcc, 0, v47
	v_and_b32_e32 v30, 1, v47
	v_mov_b32_e32 v46, 1
	s_waitcnt lgkmcnt(0)
	v_cndmask_b32_e32 v44, 0, v43, vcc
	v_and_b32_sdwa v43, v43, v46 dst_sel:DWORD dst_unused:UNUSED_PAD src0_sel:WORD_1 src1_sel:DWORD
	v_cmp_eq_u32_e32 vcc, 1, v30
	v_add_u16_e32 v45, v44, v26
	v_add_u16_e32 v26, v44, v26
	v_cndmask_b32_e64 v30, v43, 1, vcc
	v_lshlrev_b32_e32 v43, 16, v30
	v_or_b32_e32 v49, v43, v26
	v_mov_b32_e32 v26, v45
	v_mov_b32_e32 v47, v30
.LBB1302_178:
	;; [unrolled: 27-line block ×4, first 2 shown]
	s_or_b64 exec, exec, s[62:63]
	v_cmp_gt_u32_e32 vcc, 32, v23
	s_waitcnt lgkmcnt(0)
	s_nop 0
	v_cndmask_b32_e64 v48, 0, 1, vcc
	v_lshlrev_b32_e32 v48, 5, v48
	v_add_lshl_u32 v48, v48, v25, 2
	ds_bpermute_b32 v25, v48, v49
	v_add_u32_e32 v49, 32, v23
	v_cmp_le_u32_e32 vcc, v49, v31
	s_and_saveexec_b64 s[62:63], vcc
	s_cbranch_execz .LBB1302_184
; %bb.183:
	v_cmp_eq_u16_e32 vcc, 0, v47
	v_mov_b32_e32 v31, 1
	s_waitcnt lgkmcnt(0)
	v_cndmask_b32_e32 v30, 0, v25, vcc
	v_add_u16_e32 v26, v30, v26
	v_and_b32_e32 v30, 1, v47
	v_and_b32_sdwa v25, v25, v31 dst_sel:DWORD dst_unused:UNUSED_PAD src0_sel:WORD_1 src1_sel:DWORD
	v_cmp_eq_u32_e32 vcc, 1, v30
	s_nop 1
	v_cndmask_b32_e64 v30, v25, 1, vcc
.LBB1302_184:
	s_or_b64 exec, exec, s[62:63]
	s_waitcnt lgkmcnt(0)
	v_mov_b32_e32 v25, 0
	v_mov_b32_e32 v53, 2
	;; [unrolled: 1-line block ×3, first 2 shown]
	s_branch .LBB1302_186
.LBB1302_185:                           ;   in Loop: Header=BB1302_186 Depth=1
	s_or_b64 exec, exec, s[62:63]
	v_cmp_eq_u16_sdwa vcc, v47, v25 src0_sel:BYTE_0 src1_sel:DWORD
	v_and_b32_e32 v30, 1, v47
	v_and_b32_e32 v31, 1, v31
	v_cndmask_b32_e32 v26, 0, v26, vcc
	v_cmp_eq_u32_e32 vcc, 1, v30
	v_subrev_u32_e32 v24, 64, v24
	v_add_u16_e32 v26, v26, v52
	v_cndmask_b32_e64 v30, v31, 1, vcc
.LBB1302_186:                           ; =>This Loop Header: Depth=1
                                        ;     Child Loop BB1302_189 Depth 2
	v_cmp_ne_u16_sdwa s[62:63], v27, v53 src0_sel:BYTE_0 src1_sel:DWORD
	v_mov_b32_e32 v47, v30
	v_mov_b32_e32 v52, v26
	v_cndmask_b32_e64 v27, 0, 1, s[62:63]
	;;#ASMSTART
	;;#ASMEND
	s_nop 0
	v_cmp_ne_u32_e32 vcc, 0, v27
	s_cmp_lg_u64 vcc, exec
	s_cbranch_scc1 .LBB1302_203
; %bb.187:                              ;   in Loop: Header=BB1302_186 Depth=1
	v_lshl_add_u64 v[30:31], v[24:25], 3, s[76:77]
	global_load_dwordx2 v[26:27], v[30:31], off sc1
	s_waitcnt vmcnt(0)
	v_cmp_eq_u16_sdwa s[64:65], v27, v25 src0_sel:BYTE_0 src1_sel:DWORD
	s_and_saveexec_b64 s[62:63], s[64:65]
	s_cbranch_execz .LBB1302_191
; %bb.188:                              ;   in Loop: Header=BB1302_186 Depth=1
	s_mov_b64 s[64:65], 0
.LBB1302_189:                           ;   Parent Loop BB1302_186 Depth=1
                                        ; =>  This Inner Loop Header: Depth=2
	global_load_dwordx2 v[26:27], v[30:31], off sc1
	s_waitcnt vmcnt(0)
	v_cmp_ne_u16_sdwa s[68:69], v27, v25 src0_sel:BYTE_0 src1_sel:DWORD
	s_or_b64 s[64:65], s[68:69], s[64:65]
	s_andn2_b64 exec, exec, s[64:65]
	s_cbranch_execnz .LBB1302_189
; %bb.190:                              ;   in Loop: Header=BB1302_186 Depth=1
	s_or_b64 exec, exec, s[64:65]
.LBB1302_191:                           ;   in Loop: Header=BB1302_186 Depth=1
	s_or_b64 exec, exec, s[62:63]
	v_cmp_eq_u16_sdwa s[62:63], v27, v53 src0_sel:BYTE_0 src1_sel:DWORD
	s_waitcnt lgkmcnt(0)
	v_and_b32_e32 v56, 0xffffff, v26
	ds_bpermute_b32 v57, v38, v56
	v_and_b32_e32 v30, s63, v29
	v_or_b32_e32 v30, 0x80000000, v30
	v_and_b32_e32 v31, s62, v28
	v_ffbl_b32_e32 v30, v30
	v_add_u32_e32 v30, 32, v30
	v_ffbl_b32_e32 v31, v31
	v_min_u32_e32 v30, v31, v30
	v_lshrrev_b32_e32 v31, 16, v26
	v_cmp_lt_u32_e32 vcc, v23, v30
	v_bfe_u32 v55, v26, 16, 8
	s_and_saveexec_b64 s[62:63], vcc
	s_cbranch_execz .LBB1302_193
; %bb.192:                              ;   in Loop: Header=BB1302_186 Depth=1
	v_and_b32_e32 v31, 0xff0000, v26
	v_cmp_eq_u32_e32 vcc, 0, v31
	v_and_b32_e32 v31, 0x10000, v31
	s_waitcnt lgkmcnt(0)
	v_and_b32_sdwa v56, v57, v54 dst_sel:DWORD dst_unused:UNUSED_PAD src0_sel:WORD_1 src1_sel:DWORD
	v_cndmask_b32_e32 v55, 0, v57, vcc
	v_cmp_ne_u32_e32 vcc, 0, v31
	v_add_u16_e32 v58, v55, v26
	v_add_u16_e32 v26, v55, v26
	v_cndmask_b32_e64 v31, v56, 1, vcc
	v_lshlrev_b32_e32 v56, 16, v31
	v_or_b32_e32 v56, v56, v26
	v_mov_b32_e32 v26, v58
	v_mov_b32_e32 v55, v31
.LBB1302_193:                           ;   in Loop: Header=BB1302_186 Depth=1
	s_or_b64 exec, exec, s[62:63]
	s_waitcnt lgkmcnt(0)
	ds_bpermute_b32 v57, v39, v56
	v_cmp_le_u32_e32 vcc, v40, v30
	s_and_saveexec_b64 s[62:63], vcc
	s_cbranch_execz .LBB1302_195
; %bb.194:                              ;   in Loop: Header=BB1302_186 Depth=1
	v_cmp_eq_u16_e32 vcc, 0, v55
	v_and_b32_e32 v31, 1, v55
	s_waitcnt lgkmcnt(0)
	v_and_b32_sdwa v55, v57, v54 dst_sel:DWORD dst_unused:UNUSED_PAD src0_sel:WORD_1 src1_sel:DWORD
	v_cndmask_b32_e32 v56, 0, v57, vcc
	v_cmp_eq_u32_e32 vcc, 1, v31
	v_add_u16_e32 v58, v56, v26
	v_add_u16_e32 v26, v56, v26
	v_cndmask_b32_e64 v31, v55, 1, vcc
	v_lshlrev_b32_e32 v55, 16, v31
	v_or_b32_e32 v56, v55, v26
	v_mov_b32_e32 v26, v58
	v_mov_b32_e32 v55, v31
.LBB1302_195:                           ;   in Loop: Header=BB1302_186 Depth=1
	s_or_b64 exec, exec, s[62:63]
	s_waitcnt lgkmcnt(0)
	ds_bpermute_b32 v57, v41, v56
	v_cmp_le_u32_e32 vcc, v42, v30
	s_and_saveexec_b64 s[62:63], vcc
	s_cbranch_execz .LBB1302_197
; %bb.196:                              ;   in Loop: Header=BB1302_186 Depth=1
	v_cmp_eq_u16_e32 vcc, 0, v55
	v_and_b32_e32 v31, 1, v55
	s_waitcnt lgkmcnt(0)
	v_and_b32_sdwa v55, v57, v54 dst_sel:DWORD dst_unused:UNUSED_PAD src0_sel:WORD_1 src1_sel:DWORD
	v_cndmask_b32_e32 v56, 0, v57, vcc
	v_cmp_eq_u32_e32 vcc, 1, v31
	v_add_u16_e32 v58, v56, v26
	v_add_u16_e32 v26, v56, v26
	v_cndmask_b32_e64 v31, v55, 1, vcc
	v_lshlrev_b32_e32 v55, 16, v31
	v_or_b32_e32 v56, v55, v26
	v_mov_b32_e32 v26, v58
	v_mov_b32_e32 v55, v31
.LBB1302_197:                           ;   in Loop: Header=BB1302_186 Depth=1
	;; [unrolled: 21-line block ×4, first 2 shown]
	s_or_b64 exec, exec, s[62:63]
	ds_bpermute_b32 v56, v48, v56
	v_cmp_le_u32_e32 vcc, v49, v30
	s_and_saveexec_b64 s[62:63], vcc
	s_cbranch_execz .LBB1302_185
; %bb.202:                              ;   in Loop: Header=BB1302_186 Depth=1
	v_cmp_eq_u16_e32 vcc, 0, v55
	s_waitcnt lgkmcnt(0)
	v_lshrrev_b32_e32 v31, 16, v56
	v_cndmask_b32_e32 v30, 0, v56, vcc
	v_add_u16_e32 v26, v30, v26
	v_and_b32_e32 v30, 1, v55
	v_cmp_eq_u32_e32 vcc, 1, v30
	s_nop 1
	v_cndmask_b32_e64 v31, v31, 1, vcc
	s_branch .LBB1302_185
.LBB1302_203:                           ;   in Loop: Header=BB1302_186 Depth=1
                                        ; implicit-def: $vgpr30
                                        ; implicit-def: $vgpr26
	s_cbranch_execz .LBB1302_186
; %bb.204:
	s_and_saveexec_b64 s[62:63], s[54:55]
	s_cbranch_execz .LBB1302_206
; %bb.205:
	v_and_b32_e32 v23, 0xff0000, v22
	s_mov_b32 s65, 0
	v_cmp_eq_u32_e32 vcc, 0, v23
	v_and_b32_e32 v24, 0x10000, v22
	v_mov_b32_e32 v25, 1
	s_add_i32 s64, s79, 64
	v_cndmask_b32_e32 v23, 0, v52, vcc
	v_and_b32_sdwa v25, v47, v25 dst_sel:WORD_1 dst_unused:UNUSED_PAD src0_sel:DWORD src1_sel:DWORD
	v_mov_b32_e32 v26, 0x10000
	v_cmp_eq_u32_e32 vcc, 0, v24
	s_lshl_b64 s[64:65], s[64:65], 3
	s_add_u32 s64, s76, s64
	v_cndmask_b32_e32 v24, v26, v25, vcc
	v_add_u16_e32 v22, v23, v22
	s_addc_u32 s65, s77, s65
	v_mov_b32_e32 v25, 0
	v_or_b32_e32 v22, v24, v22
	v_mov_b32_e32 v23, 2
	global_store_dwordx2 v25, v[22:23], s[64:65] sc1
.LBB1302_206:
	s_or_b64 exec, exec, s[62:63]
	s_and_b64 exec, exec, s[56:57]
	s_cbranch_execz .LBB1302_208
; %bb.207:
	v_mov_b32_e32 v22, 0
	ds_write_b16 v22, v52 offset:12
	ds_write_b8 v22, v47 offset:14
.LBB1302_208:
	s_or_b64 exec, exec, s[0:1]
	s_waitcnt lgkmcnt(0)
	v_lshrrev_b32_e32 v22, 16, v37
	v_mov_b32_e32 v24, 0
	s_mov_b32 s0, 0x10000
	v_cndmask_b32_e64 v22, v22, v36, s[54:55]
	v_cndmask_b32_e64 v23, v37, v35, s[54:55]
	s_barrier
	ds_read_b32 v25, v24 offset:12
	v_cmp_gt_u32_e32 vcc, s0, v1
	v_and_b32_e32 v26, 0x10000, v1
	v_and_b32_e32 v22, 1, v22
	v_cndmask_b32_e32 v23, 0, v23, vcc
	v_cmp_ne_u32_e32 vcc, 0, v26
	v_cndmask_b32_e64 v23, v23, 0, s[56:57]
	v_add_u16_e32 v23, v23, v1
	v_cndmask_b32_e64 v22, v22, 1, vcc
	v_cndmask_b32_e64 v22, v22, v34, s[56:57]
	v_cmp_eq_u16_sdwa vcc, v22, v24 src0_sel:BYTE_0 src1_sel:DWORD
	s_waitcnt lgkmcnt(0)
	s_nop 0
	v_cndmask_b32_e32 v22, 0, v25, vcc
	v_add_u16_e32 v47, v23, v22
	v_cndmask_b32_e64 v22, 0, v47, s[6:7]
	v_add_u16_e32 v22, v22, v50
	v_cndmask_b32_e64 v23, 0, v22, s[8:9]
	;; [unrolled: 2-line block ×23, first 2 shown]
	v_add_u16_e32 v46, v46, v32
	s_branch .LBB1302_239
.LBB1302_209:
                                        ; implicit-def: $vgpr47
                                        ; implicit-def: $vgpr22
                                        ; implicit-def: $vgpr23
                                        ; implicit-def: $vgpr24
                                        ; implicit-def: $vgpr25
                                        ; implicit-def: $vgpr26
                                        ; implicit-def: $vgpr27
                                        ; implicit-def: $vgpr29
                                        ; implicit-def: $vgpr28
                                        ; implicit-def: $vgpr30
                                        ; implicit-def: $vgpr31
                                        ; implicit-def: $vgpr34
                                        ; implicit-def: $vgpr35
                                        ; implicit-def: $vgpr36
                                        ; implicit-def: $vgpr37
                                        ; implicit-def: $vgpr39
                                        ; implicit-def: $vgpr38
                                        ; implicit-def: $vgpr40
                                        ; implicit-def: $vgpr41
                                        ; implicit-def: $vgpr42
                                        ; implicit-def: $vgpr43
                                        ; implicit-def: $vgpr44
                                        ; implicit-def: $vgpr45
                                        ; implicit-def: $vgpr46
	s_cbranch_execz .LBB1302_239
; %bb.210:
	s_cmp_lg_u64 s[80:81], 0
	s_cselect_b32 s7, s71, 0
	s_cselect_b32 s6, s70, 0
	s_cmp_lg_u64 s[6:7], 0
	s_cselect_b64 s[0:1], -1, 0
	s_and_b64 s[8:9], s[56:57], s[0:1]
	s_and_saveexec_b64 s[0:1], s[8:9]
	s_cbranch_execz .LBB1302_212
; %bb.211:
	v_mov_b32_e32 v22, 0
	global_load_ushort v23, v22, s[6:7]
	global_load_ubyte v24, v22, s[6:7] offset:2
	s_mov_b32 s6, 0x10000
	v_and_b32_e32 v22, 0x10000, v1
	v_mov_b32_e32 v25, 1
	v_cmp_gt_u32_e32 vcc, s6, v1
	v_mov_b32_e32 v26, 0x10000
	s_waitcnt vmcnt(0)
	v_and_b32_sdwa v24, v24, v25 dst_sel:WORD_1 dst_unused:UNUSED_PAD src0_sel:DWORD src1_sel:DWORD
	v_cndmask_b32_e32 v23, 0, v23, vcc
	v_cmp_eq_u32_e32 vcc, 0, v22
	v_add_u16_e32 v1, v23, v1
	s_nop 0
	v_cndmask_b32_e32 v22, v26, v24, vcc
	v_or_b32_e32 v1, v22, v1
.LBB1302_212:
	s_or_b64 exec, exec, s[0:1]
	s_mov_b32 s0, 0x10000
	v_cmp_gt_u32_e32 vcc, s0, v50
	v_cmp_gt_u32_e64 s[6:7], s0, v51
	v_cmp_gt_u32_e64 s[8:9], s0, v18
	v_cndmask_b32_e32 v22, 0, v1, vcc
	v_add_u16_e32 v22, v22, v50
	v_cndmask_b32_e64 v23, 0, v22, s[6:7]
	v_add_u16_e32 v23, v23, v51
	v_cndmask_b32_e64 v24, 0, v23, s[8:9]
	v_add_u16_e32 v24, v24, v18
	v_cmp_gt_u32_e64 s[10:11], s0, v19
	v_cmp_gt_u32_e64 s[12:13], s0, v20
	v_bfe_u32 v28, v19, 16, 1
	v_cndmask_b32_e64 v25, 0, v24, s[10:11]
	v_add_u16_e32 v25, v25, v19
	v_mov_b32_e32 v52, 1
	v_cndmask_b32_e64 v26, 0, v25, s[12:13]
	v_lshlrev_b16_e32 v28, 1, v28
	v_and_b32_sdwa v29, v18, v52 dst_sel:DWORD dst_unused:UNUSED_PAD src0_sel:WORD_1 src1_sel:DWORD
	v_add_u16_e32 v26, v26, v20
	v_cmp_gt_u32_e64 s[14:15], s0, v21
	v_or_b32_e32 v28, v29, v28
	v_bfe_u32 v29, v21, 16, 1
	v_and_b32_sdwa v30, v20, v52 dst_sel:DWORD dst_unused:UNUSED_PAD src0_sel:WORD_1 src1_sel:DWORD
	v_cndmask_b32_e64 v27, 0, v26, s[14:15]
	v_lshlrev_b16_e32 v29, 3, v29
	v_lshlrev_b16_e32 v30, 2, v30
	v_add_u16_e32 v27, v27, v21
	v_or_b32_e32 v29, v29, v30
	v_cmp_gt_u32_e64 s[16:17], s0, v2
	v_or_b32_e32 v46, v28, v29
	v_cmp_gt_u32_e64 s[18:19], s0, v3
	v_cndmask_b32_e64 v28, 0, v27, s[16:17]
	v_add_u16_e32 v29, v28, v2
	v_cndmask_b32_e64 v28, 0, v29, s[18:19]
	v_bfe_u32 v48, v11, 16, 1
	v_add_u16_e32 v28, v28, v3
	v_cmp_gt_u32_e64 s[20:21], s0, v4
	v_lshlrev_b16_e32 v48, 1, v48
	v_and_b32_sdwa v49, v10, v52 dst_sel:DWORD dst_unused:UNUSED_PAD src0_sel:WORD_1 src1_sel:DWORD
	v_cndmask_b32_e64 v30, 0, v28, s[20:21]
	v_or_b32_e32 v48, v49, v48
	v_bfe_u32 v49, v13, 16, 1
	v_and_b32_sdwa v53, v12, v52 dst_sel:DWORD dst_unused:UNUSED_PAD src0_sel:WORD_1 src1_sel:DWORD
	v_add_u16_e32 v30, v30, v4
	v_cmp_gt_u32_e64 s[22:23], s0, v5
	v_lshlrev_b16_e32 v49, 3, v49
	v_lshlrev_b16_e32 v53, 2, v53
	v_cndmask_b32_e64 v31, 0, v30, s[22:23]
	v_or_b32_e32 v49, v49, v53
	v_add_u16_e32 v31, v31, v5
	v_cmp_gt_u32_e64 s[24:25], s0, v6
	v_or_b32_sdwa v48, v48, v49 dst_sel:BYTE_1 dst_unused:UNUSED_PAD src0_sel:DWORD src1_sel:DWORD
	v_bfe_u32 v49, v15, 16, 1
	v_cndmask_b32_e64 v34, 0, v31, s[24:25]
	v_lshlrev_b16_e32 v49, 1, v49
	v_and_b32_sdwa v53, v14, v52 dst_sel:DWORD dst_unused:UNUSED_PAD src0_sel:WORD_1 src1_sel:DWORD
	v_add_u16_e32 v34, v34, v6
	v_cmp_gt_u32_e64 s[26:27], s0, v7
	v_or_b32_e32 v49, v53, v49
	v_bfe_u32 v53, v17, 16, 1
	v_and_b32_sdwa v54, v16, v52 dst_sel:DWORD dst_unused:UNUSED_PAD src0_sel:WORD_1 src1_sel:DWORD
	v_cndmask_b32_e64 v35, 0, v34, s[26:27]
	v_lshlrev_b16_e32 v53, 3, v53
	v_lshlrev_b16_e32 v54, 2, v54
	v_add_u16_e32 v35, v35, v7
	v_cmp_gt_u32_e64 s[28:29], s0, v8
	v_or_b32_e32 v53, v53, v54
	v_or_b32_e32 v49, v49, v53
	v_cndmask_b32_e64 v36, 0, v35, s[28:29]
	v_add_u16_e32 v36, v36, v8
	v_cmp_gt_u32_e64 s[30:31], s0, v9
	v_lshlrev_b16_e32 v49, 12, v49
	v_or_b32_e32 v48, v49, v48
	v_cndmask_b32_e64 v37, 0, v36, s[30:31]
	v_bfe_u32 v49, v3, 16, 1
	v_add_u16_e32 v37, v37, v9
	v_cmp_gt_u32_e64 s[34:35], s0, v10
	v_lshlrev_b16_e32 v49, 1, v49
	v_and_b32_sdwa v53, v2, v52 dst_sel:DWORD dst_unused:UNUSED_PAD src0_sel:WORD_1 src1_sel:DWORD
	v_cndmask_b32_e64 v38, 0, v37, s[34:35]
	v_or_b32_e32 v49, v53, v49
	v_bfe_u32 v53, v5, 16, 1
	v_and_b32_sdwa v54, v4, v52 dst_sel:DWORD dst_unused:UNUSED_PAD src0_sel:WORD_1 src1_sel:DWORD
	v_add_u16_e32 v39, v38, v10
	v_cmp_gt_u32_e64 s[36:37], s0, v11
	v_lshlrev_b16_e32 v53, 3, v53
	v_lshlrev_b16_e32 v54, 2, v54
	v_cndmask_b32_e64 v38, 0, v39, s[36:37]
	v_or_b32_e32 v53, v53, v54
	v_add_u16_e32 v38, v38, v11
	v_cmp_gt_u32_e64 s[38:39], s0, v12
	v_or_b32_e32 v49, v49, v53
	v_bfe_u32 v53, v7, 16, 1
	v_cndmask_b32_e64 v40, 0, v38, s[38:39]
	v_lshlrev_b16_e32 v53, 1, v53
	v_and_b32_sdwa v54, v6, v52 dst_sel:DWORD dst_unused:UNUSED_PAD src0_sel:WORD_1 src1_sel:DWORD
	v_add_u16_e32 v40, v40, v12
	v_cmp_gt_u32_e64 s[40:41], s0, v13
	v_or_b32_e32 v53, v54, v53
	v_bfe_u32 v54, v9, 16, 1
	v_and_b32_sdwa v55, v8, v52 dst_sel:DWORD dst_unused:UNUSED_PAD src0_sel:WORD_1 src1_sel:DWORD
	v_cndmask_b32_e64 v41, 0, v40, s[40:41]
	v_lshlrev_b16_e32 v54, 3, v54
	v_lshlrev_b16_e32 v55, 2, v55
	v_add_u16_e32 v41, v41, v13
	v_cmp_gt_u32_e64 s[42:43], s0, v14
	v_or_b32_e32 v54, v54, v55
	v_or_b32_e32 v53, v53, v54
	v_cndmask_b32_e64 v42, 0, v41, s[42:43]
	v_add_u16_e32 v42, v42, v14
	v_cmp_gt_u32_e64 s[44:45], s0, v15
	v_lshlrev_b16_e32 v53, 4, v53
	v_or_b32_e32 v49, v49, v53
	v_cndmask_b32_e64 v43, 0, v42, s[44:45]
	v_add_u16_e32 v43, v43, v15
	v_cmp_gt_u32_e64 s[46:47], s0, v16
	v_or_b32_sdwa v49, v49, v48 dst_sel:DWORD dst_unused:UNUSED_PAD src0_sel:BYTE_0 src1_sel:DWORD
	v_or_b32_e32 v46, v49, v46
	v_cndmask_b32_e64 v44, 0, v43, s[46:47]
	v_add_u16_e32 v44, v44, v16
	v_cmp_gt_u32_e64 s[48:49], s0, v17
	v_cmp_gt_u32_e64 s[50:51], s0, v32
	v_cmp_ne_u16_e64 s[0:1], 0, v46
	v_or3_b32 v46, v51, v50, v32
	v_cndmask_b32_e64 v45, 0, v44, s[48:49]
	v_and_b32_e32 v46, 0x10000, v46
	v_add_u16_e32 v45, v45, v17
	v_cmp_ne_u32_e64 s[52:53], 0, v46
	v_lshrrev_b32_e32 v47, 16, v1
	v_cndmask_b32_e64 v53, 0, v45, s[50:51]
	s_or_b64 s[0:1], s[52:53], s[0:1]
	v_cndmask_b32_e64 v49, v47, 1, s[0:1]
	v_mbcnt_hi_u32_b32 v33, -1, v33
	v_add_u16_e32 v46, v53, v32
	v_add_u16_e32 v48, v53, v32
	v_and_b32_e32 v54, 15, v33
	v_lshl_or_b32 v53, v49, 16, v46
	v_cmp_ne_u32_e64 s[0:1], 0, v54
	s_nop 0
	v_mov_b32_dpp v55, v53 row_shr:1 row_mask:0xf bank_mask:0xf
	s_and_saveexec_b64 s[52:53], s[0:1]
; %bb.213:
	v_cmp_eq_u32_e64 s[0:1], 0, v49
	v_and_b32_e32 v49, 1, v49
	v_and_b32_sdwa v52, v55, v52 dst_sel:DWORD dst_unused:UNUSED_PAD src0_sel:WORD_1 src1_sel:DWORD
	v_cndmask_b32_e64 v53, 0, v55, s[0:1]
	v_cmp_eq_u32_e64 s[0:1], 1, v49
	v_add_u16_e32 v56, v48, v53
	v_add_u16_e32 v48, v48, v53
	v_cndmask_b32_e64 v49, v52, 1, s[0:1]
	v_lshlrev_b32_e32 v52, 16, v49
	v_or_b32_e32 v53, v52, v48
	v_mov_b32_e32 v48, v56
; %bb.214:
	s_or_b64 exec, exec, s[52:53]
	v_lshrrev_b32_e32 v52, 16, v53
	v_mov_b32_dpp v55, v53 row_shr:2 row_mask:0xf bank_mask:0xf
	v_cmp_lt_u32_e64 s[0:1], 1, v54
	s_and_saveexec_b64 s[52:53], s[0:1]
	s_cbranch_execz .LBB1302_216
; %bb.215:
	s_mov_b32 s0, 0x10000
	v_cmp_gt_u32_e64 s[0:1], s0, v53
	v_and_b32_e32 v49, 0x10000, v53
	v_mov_b32_e32 v53, 1
	v_cndmask_b32_e64 v52, 0, v55, s[0:1]
	v_and_b32_sdwa v53, v55, v53 dst_sel:DWORD dst_unused:UNUSED_PAD src0_sel:WORD_1 src1_sel:DWORD
	v_cmp_ne_u32_e64 s[0:1], 0, v49
	v_add_u16_e32 v56, v52, v48
	v_add_u16_e32 v48, v52, v48
	v_cndmask_b32_e64 v49, v53, 1, s[0:1]
	v_lshlrev_b32_e32 v53, 16, v49
	v_or_b32_e32 v53, v53, v48
	v_mov_b32_e32 v52, v49
	v_mov_b32_e32 v48, v56
.LBB1302_216:
	s_or_b64 exec, exec, s[52:53]
	v_mov_b32_dpp v55, v53 row_shr:4 row_mask:0xf bank_mask:0xf
	v_cmp_lt_u32_e64 s[0:1], 3, v54
	s_and_saveexec_b64 s[52:53], s[0:1]
	s_cbranch_execz .LBB1302_218
; %bb.217:
	v_mov_b32_e32 v49, 0
	v_cmp_eq_u16_sdwa s[0:1], v52, v49 src0_sel:BYTE_0 src1_sel:DWORD
	v_and_b32_e32 v49, 1, v52
	v_mov_b32_e32 v52, 1
	v_cndmask_b32_e64 v53, 0, v55, s[0:1]
	v_and_b32_sdwa v52, v55, v52 dst_sel:DWORD dst_unused:UNUSED_PAD src0_sel:WORD_1 src1_sel:DWORD
	v_cmp_eq_u32_e64 s[0:1], 1, v49
	v_add_u16_e32 v56, v53, v48
	v_add_u16_e32 v48, v53, v48
	v_cndmask_b32_e64 v49, v52, 1, s[0:1]
	v_lshlrev_b32_e32 v52, 16, v49
	v_or_b32_e32 v53, v52, v48
	v_mov_b32_e32 v52, v49
	v_mov_b32_e32 v48, v56
.LBB1302_218:
	s_or_b64 exec, exec, s[52:53]
	v_mov_b32_dpp v55, v53 row_shr:8 row_mask:0xf bank_mask:0xf
	v_cmp_lt_u32_e64 s[0:1], 7, v54
	s_and_saveexec_b64 s[52:53], s[0:1]
	s_cbranch_execz .LBB1302_220
; %bb.219:
	v_mov_b32_e32 v49, 0
	v_cmp_eq_u16_sdwa s[0:1], v52, v49 src0_sel:BYTE_0 src1_sel:DWORD
	v_and_b32_e32 v49, 1, v52
	v_mov_b32_e32 v52, 1
	v_cndmask_b32_e64 v53, 0, v55, s[0:1]
	v_and_b32_sdwa v52, v55, v52 dst_sel:DWORD dst_unused:UNUSED_PAD src0_sel:WORD_1 src1_sel:DWORD
	v_cmp_eq_u32_e64 s[0:1], 1, v49
	v_add_u16_e32 v54, v53, v48
	v_add_u16_e32 v48, v53, v48
	v_cndmask_b32_e64 v49, v52, 1, s[0:1]
	v_lshlrev_b32_e32 v52, 16, v49
	v_or_b32_e32 v53, v52, v48
	v_mov_b32_e32 v52, v49
	v_mov_b32_e32 v48, v54
.LBB1302_220:
	s_or_b64 exec, exec, s[52:53]
	v_and_b32_e32 v55, 16, v33
	v_mov_b32_dpp v54, v53 row_bcast:15 row_mask:0xf bank_mask:0xf
	v_cmp_ne_u32_e64 s[0:1], 0, v55
	s_and_saveexec_b64 s[52:53], s[0:1]
	s_cbranch_execz .LBB1302_222
; %bb.221:
	v_mov_b32_e32 v49, 0
	v_cmp_eq_u16_sdwa s[0:1], v52, v49 src0_sel:BYTE_0 src1_sel:DWORD
	v_and_b32_e32 v49, 1, v52
	v_mov_b32_e32 v52, 1
	v_cndmask_b32_e64 v53, 0, v54, s[0:1]
	v_and_b32_sdwa v52, v54, v52 dst_sel:DWORD dst_unused:UNUSED_PAD src0_sel:WORD_1 src1_sel:DWORD
	v_cmp_eq_u32_e64 s[0:1], 1, v49
	v_add_u16_e32 v55, v53, v48
	v_add_u16_e32 v48, v53, v48
	v_cndmask_b32_e64 v49, v52, 1, s[0:1]
	v_lshlrev_b32_e32 v52, 16, v49
	v_or_b32_e32 v53, v52, v48
	v_mov_b32_e32 v48, v55
	v_mov_b32_e32 v52, v49
.LBB1302_222:
	s_or_b64 exec, exec, s[52:53]
	v_mov_b32_dpp v53, v53 row_bcast:31 row_mask:0xf bank_mask:0xf
	v_cmp_lt_u32_e64 s[0:1], 31, v33
	s_and_saveexec_b64 s[52:53], s[0:1]
; %bb.223:
	v_mov_b32_e32 v49, 0
	v_cmp_eq_u16_sdwa s[0:1], v52, v49 src0_sel:BYTE_0 src1_sel:DWORD
	s_nop 1
	v_cndmask_b32_e64 v49, 0, v53, s[0:1]
	v_add_u16_e32 v48, v49, v48
	v_and_b32_e32 v49, 1, v52
	v_mov_b32_e32 v52, 1
	v_and_b32_sdwa v52, v53, v52 dst_sel:DWORD dst_unused:UNUSED_PAD src0_sel:WORD_1 src1_sel:DWORD
	v_cmp_eq_u32_e64 s[0:1], 1, v49
	s_nop 1
	v_cndmask_b32_e64 v49, v52, 1, s[0:1]
; %bb.224:
	s_or_b64 exec, exec, s[52:53]
	v_or_b32_e32 v53, 63, v0
	v_lshrrev_b32_e32 v52, 6, v0
	v_cmp_eq_u32_e64 s[0:1], v53, v0
	s_and_saveexec_b64 s[52:53], s[0:1]
	s_cbranch_execz .LBB1302_226
; %bb.225:
	v_lshlrev_b32_e32 v53, 2, v52
	ds_write_b16 v53, v48
	ds_write_b8 v53, v49 offset:2
.LBB1302_226:
	s_or_b64 exec, exec, s[52:53]
	v_cmp_gt_u32_e64 s[0:1], 4, v0
	s_waitcnt lgkmcnt(0)
	s_barrier
	s_and_saveexec_b64 s[52:53], s[0:1]
	s_cbranch_execz .LBB1302_232
; %bb.227:
	v_lshlrev_b32_e32 v53, 2, v0
	ds_read_b32 v54, v53
	v_and_b32_e32 v57, 3, v33
	v_cmp_ne_u32_e64 s[0:1], 0, v57
	s_waitcnt lgkmcnt(0)
	v_lshrrev_b32_e32 v56, 16, v54
	v_mov_b32_dpp v58, v54 row_shr:1 row_mask:0xf bank_mask:0xf
	v_mov_b32_e32 v55, v54
	s_and_saveexec_b64 s[54:55], s[0:1]
	s_cbranch_execz .LBB1302_229
; %bb.228:
	v_mov_b32_e32 v55, 0
	v_cmp_eq_u16_sdwa s[0:1], v56, v55 src0_sel:BYTE_0 src1_sel:DWORD
	v_and_b32_e32 v56, 0x10000, v54
	v_mov_b32_e32 v61, 1
	v_cndmask_b32_e64 v60, 0, v58, s[0:1]
	v_and_b32_sdwa v58, v58, v61 dst_sel:DWORD dst_unused:UNUSED_PAD src0_sel:WORD_1 src1_sel:DWORD
	v_cmp_ne_u32_e64 s[0:1], 0, v56
	v_and_b32_e32 v59, 0xff000000, v54
	v_add_u16_e32 v55, v60, v54
	v_cndmask_b32_e64 v56, v58, 1, s[0:1]
	v_lshlrev_b32_e32 v58, 16, v56
	v_add_u16_e32 v54, v60, v54
	v_or3_b32 v54, v58, v59, v54
.LBB1302_229:
	s_or_b64 exec, exec, s[54:55]
	s_nop 0
	v_mov_b32_dpp v58, v54 row_shr:2 row_mask:0xf bank_mask:0xf
	v_cmp_lt_u32_e64 s[0:1], 1, v57
	s_and_saveexec_b64 s[54:55], s[0:1]
; %bb.230:
	v_and_b32_e32 v56, 0xff0000, v54
	v_cmp_eq_u32_e64 s[0:1], 0, v56
	v_and_b32_e32 v54, 0x10000, v54
	s_nop 0
	v_cndmask_b32_e64 v56, 0, v58, s[0:1]
	v_add_u16_e32 v55, v56, v55
	v_mov_b32_e32 v56, 1
	v_and_b32_sdwa v56, v58, v56 dst_sel:DWORD dst_unused:UNUSED_PAD src0_sel:WORD_1 src1_sel:DWORD
	v_cmp_eq_u32_e64 s[0:1], 0, v54
	s_nop 1
	v_cndmask_b32_e64 v56, 1, v56, s[0:1]
; %bb.231:
	s_or_b64 exec, exec, s[54:55]
	ds_write_b16 v53, v55
	ds_write_b8 v53, v56 offset:2
.LBB1302_232:
	s_or_b64 exec, exec, s[52:53]
	v_cmp_lt_u32_e64 s[0:1], 63, v0
	v_mov_b32_e32 v53, 0
	s_waitcnt lgkmcnt(0)
	s_barrier
	s_and_saveexec_b64 s[52:53], s[0:1]
	s_cbranch_execz .LBB1302_234
; %bb.233:
	v_lshl_add_u32 v52, v52, 2, -4
	ds_read_u16 v53, v52
	ds_read_u8 v52, v52 offset:2
	v_mov_b32_e32 v54, 0
	v_and_b32_e32 v55, 1, v49
	v_cmp_eq_u16_sdwa s[0:1], v49, v54 src0_sel:BYTE_0 src1_sel:DWORD
	s_waitcnt lgkmcnt(1)
	s_nop 0
	v_cndmask_b32_e64 v49, 0, v53, s[0:1]
	v_cmp_eq_u32_e64 s[0:1], 1, v55
	v_add_u16_e32 v48, v49, v48
	s_waitcnt lgkmcnt(0)
	v_cndmask_b32_e64 v49, v52, 1, s[0:1]
.LBB1302_234:
	s_or_b64 exec, exec, s[52:53]
	v_and_b32_e32 v49, 0xff, v49
	v_and_b32_e32 v48, 0xffff, v48
	v_lshl_or_b32 v48, v49, 16, v48
	v_add_u32_e32 v49, -1, v33
	v_and_b32_e32 v52, 64, v33
	v_cmp_lt_i32_e64 s[0:1], v49, v52
	s_nop 1
	v_cndmask_b32_e64 v49, v49, v33, s[0:1]
	v_lshlrev_b32_e32 v49, 2, v49
	ds_bpermute_b32 v48, v49, v48
	s_and_saveexec_b64 s[52:53], s[4:5]
	s_cbranch_execz .LBB1302_236
; %bb.235:
	v_cmp_eq_u32_e64 s[0:1], 0, v33
	v_and_b32_e32 v23, 0xff0000, v1
	v_mov_b32_e32 v47, 0
	s_waitcnt lgkmcnt(0)
	v_cndmask_b32_e64 v22, v48, v53, s[0:1]
	v_and_b32_e32 v22, 0xffff, v22
	v_cmp_eq_u32_e64 s[0:1], 0, v23
	;;#ASMSTART
	;;#ASMEND
	s_nop 1
	v_cndmask_b32_e64 v22, 0, v22, s[0:1]
	v_add_u32_e32 v1, v22, v1
	v_cndmask_b32_e32 v22, 0, v1, vcc
	v_add_u16_e32 v22, v22, v50
	v_cndmask_b32_e64 v23, 0, v22, s[6:7]
	v_add_u16_e32 v23, v23, v51
	v_cndmask_b32_e64 v24, 0, v23, s[8:9]
	;; [unrolled: 2-line block ×22, first 2 shown]
	v_add_u16_e32 v46, v2, v32
.LBB1302_236:
	s_or_b64 exec, exec, s[52:53]
	s_and_saveexec_b64 s[0:1], s[56:57]
	s_cbranch_execz .LBB1302_238
; %bb.237:
	v_mov_b32_e32 v4, 0
	ds_read_u8 v2, v4 offset:14
	ds_read_u16 v3, v4 offset:12
	s_waitcnt lgkmcnt(1)
	v_lshlrev_b32_e32 v2, 16, v2
	s_waitcnt lgkmcnt(0)
	v_or_b32_e32 v2, v2, v3
	v_mov_b32_e32 v3, 2
	global_store_dwordx2 v4, v[2:3], s[76:77] offset:512 sc1
.LBB1302_238:
	s_or_b64 exec, exec, s[0:1]
	v_lshl_or_b32 v47, v47, 16, v1
.LBB1302_239:
	s_add_u32 s0, s66, s58
	s_addc_u32 s1, s67, s59
	s_add_u32 s0, s0, s60
	s_addc_u32 s1, s1, s61
	s_and_b64 vcc, exec, s[2:3]
	v_mul_u32_u24_e32 v6, 24, v0
	s_cbranch_vccz .LBB1302_289
; %bb.240:
	s_add_i32 s33, s33, s78
	v_cmp_le_u32_e32 vcc, s33, v6
	v_or_b32_e32 v8, 1, v6
	v_or_b32_e32 v7, 2, v6
	;; [unrolled: 1-line block ×7, first 2 shown]
	s_and_saveexec_b64 s[2:3], vcc
	s_xor_b64 s[2:3], exec, s[2:3]
; %bb.241:
	v_or_b32_e32 v8, 1, v6
	v_or_b32_e32 v7, 2, v6
	;; [unrolled: 1-line block ×7, first 2 shown]
; %bb.242:
	s_andn2_saveexec_b64 s[2:3], s[2:3]
	s_or_b64 exec, exec, s[2:3]
	v_lshlrev_b32_e32 v50, 1, v6
	v_lshlrev_b32_e32 v8, 1, v8
	;; [unrolled: 1-line block ×7, first 2 shown]
	s_mov_b32 s2, 0x5040100
	s_waitcnt lgkmcnt(0)
	s_barrier
	ds_write_b16 v50, v47
	ds_write_b16 v8, v22
	;; [unrolled: 1-line block ×7, first 2 shown]
	v_lshlrev_b32_e32 v1, 1, v1
	v_perm_b32 v5, v39, v37, s2
	v_perm_b32 v4, v36, v35, s2
	;; [unrolled: 1-line block ×4, first 2 shown]
	ds_write_b16 v1, v29
	ds_write_b128 v50, v[2:5] offset:16
	v_perm_b32 v5, v46, v45, s2
	v_perm_b32 v4, v44, v43, s2
	;; [unrolled: 1-line block ×4, first 2 shown]
	s_movk_i32 s2, 0xffd2
	ds_write_b128 v50, v[2:5] offset:32
	v_mad_i32_i24 v2, v0, s2, v50
	s_waitcnt lgkmcnt(0)
	s_barrier
	ds_read_u16 v53, v2 offset:512
	ds_read_u16 v52, v2 offset:1024
	;; [unrolled: 1-line block ×23, first 2 shown]
	v_mov_b32_e32 v3, 0
	v_lshlrev_b32_e32 v2, 1, v0
	v_lshl_add_u64 v[4:5], s[0:1], 0, v[2:3]
	v_cmp_gt_u32_e32 vcc, s33, v0
	s_and_saveexec_b64 s[2:3], vcc
	s_cbranch_execz .LBB1302_244
; %bb.243:
	v_mul_i32_i24_e32 v2, 0xffffffd2, v0
	v_add_u32_e32 v2, v50, v2
	ds_read_u16 v2, v2
	s_waitcnt lgkmcnt(0)
	flat_store_short v[4:5], v2
.LBB1302_244:
	s_or_b64 exec, exec, s[2:3]
	v_or_b32_e32 v2, 0x100, v0
	v_cmp_gt_u32_e32 vcc, s33, v2
	s_and_saveexec_b64 s[2:3], vcc
	s_cbranch_execz .LBB1302_246
; %bb.245:
	s_waitcnt lgkmcnt(0)
	flat_store_short v[4:5], v53 offset:512
.LBB1302_246:
	s_or_b64 exec, exec, s[2:3]
	v_or_b32_e32 v2, 0x200, v0
	v_cmp_gt_u32_e32 vcc, s33, v2
	s_and_saveexec_b64 s[2:3], vcc
	s_cbranch_execz .LBB1302_248
; %bb.247:
	s_waitcnt lgkmcnt(0)
	flat_store_short v[4:5], v52 offset:1024
.LBB1302_248:
	;; [unrolled: 9-line block ×7, first 2 shown]
	s_or_b64 exec, exec, s[2:3]
	v_or_b32_e32 v2, 0x800, v0
	v_cmp_gt_u32_e32 vcc, s33, v2
	s_and_saveexec_b64 s[2:3], vcc
	s_cbranch_execz .LBB1302_260
; %bb.259:
	s_waitcnt lgkmcnt(0)
	v_add_co_u32_e32 v32, vcc, 0x1000, v4
	s_nop 1
	v_addc_co_u32_e32 v33, vcc, 0, v5, vcc
	flat_store_short v[32:33], v21
.LBB1302_260:
	s_or_b64 exec, exec, s[2:3]
	v_or_b32_e32 v2, 0x900, v0
	v_cmp_gt_u32_e32 vcc, s33, v2
	s_and_saveexec_b64 s[2:3], vcc
	s_cbranch_execz .LBB1302_262
; %bb.261:
	s_waitcnt lgkmcnt(0)
	v_add_co_u32_e32 v32, vcc, 0x1000, v4
	s_nop 1
	v_addc_co_u32_e32 v33, vcc, 0, v5, vcc
	flat_store_short v[32:33], v20 offset:512
.LBB1302_262:
	s_or_b64 exec, exec, s[2:3]
	v_or_b32_e32 v2, 0xa00, v0
	v_cmp_gt_u32_e32 vcc, s33, v2
	s_and_saveexec_b64 s[2:3], vcc
	s_cbranch_execz .LBB1302_264
; %bb.263:
	s_waitcnt lgkmcnt(0)
	v_add_co_u32_e32 v20, vcc, 0x1000, v4
	s_nop 1
	v_addc_co_u32_e32 v21, vcc, 0, v5, vcc
	flat_store_short v[20:21], v19 offset:1024
.LBB1302_264:
	;; [unrolled: 12-line block ×7, first 2 shown]
	s_or_b64 exec, exec, s[2:3]
	v_or_b32_e32 v2, 0x1000, v0
	v_cmp_gt_u32_e32 vcc, s33, v2
	s_and_saveexec_b64 s[2:3], vcc
	s_cbranch_execz .LBB1302_276
; %bb.275:
	s_waitcnt lgkmcnt(0)
	v_add_co_u32_e32 v14, vcc, 0x2000, v4
	s_nop 1
	v_addc_co_u32_e32 v15, vcc, 0, v5, vcc
	flat_store_short v[14:15], v13
.LBB1302_276:
	s_or_b64 exec, exec, s[2:3]
	v_or_b32_e32 v2, 0x1100, v0
	v_cmp_gt_u32_e32 vcc, s33, v2
	s_and_saveexec_b64 s[2:3], vcc
	s_cbranch_execz .LBB1302_278
; %bb.277:
	s_waitcnt lgkmcnt(0)
	v_add_co_u32_e32 v14, vcc, 0x2000, v4
	s_nop 1
	v_addc_co_u32_e32 v15, vcc, 0, v5, vcc
	flat_store_short v[14:15], v12 offset:512
.LBB1302_278:
	s_or_b64 exec, exec, s[2:3]
	v_or_b32_e32 v2, 0x1200, v0
	v_cmp_gt_u32_e32 vcc, s33, v2
	s_and_saveexec_b64 s[2:3], vcc
	s_cbranch_execz .LBB1302_280
; %bb.279:
	s_waitcnt lgkmcnt(0)
	v_add_co_u32_e32 v12, vcc, 0x2000, v4
	s_nop 1
	v_addc_co_u32_e32 v13, vcc, 0, v5, vcc
	flat_store_short v[12:13], v11 offset:1024
.LBB1302_280:
	;; [unrolled: 12-line block ×5, first 2 shown]
	s_or_b64 exec, exec, s[2:3]
	v_or_b32_e32 v2, 0x1600, v0
	v_cmp_gt_u32_e32 vcc, s33, v2
	s_and_saveexec_b64 s[2:3], vcc
	s_cbranch_execz .LBB1302_288
; %bb.287:
	v_add_co_u32_e32 v4, vcc, 0x2000, v4
	s_nop 1
	v_addc_co_u32_e32 v5, vcc, 0, v5, vcc
	s_waitcnt lgkmcnt(0)
	flat_store_short v[4:5], v1 offset:3072
.LBB1302_288:
	s_or_b64 exec, exec, s[2:3]
	v_or_b32_e32 v2, 0x1700, v0
	s_waitcnt lgkmcnt(0)
	v_mov_b32_e32 v1, v3
	v_cmp_gt_u32_e64 s[2:3], s33, v2
	s_branch .LBB1302_291
.LBB1302_289:
	s_mov_b64 s[2:3], 0
                                        ; implicit-def: $vgpr7
	s_cbranch_execz .LBB1302_291
; %bb.290:
	s_mov_b32 s4, 0x5040100
	v_lshlrev_b32_e32 v6, 1, v6
	v_perm_b32 v5, v29, v27, s4
	v_perm_b32 v4, v26, v25, s4
	;; [unrolled: 1-line block ×4, first 2 shown]
	s_waitcnt lgkmcnt(0)
	s_barrier
	ds_write_b128 v6, v[2:5]
	v_perm_b32 v5, v39, v37, s4
	v_perm_b32 v4, v36, v35, s4
	;; [unrolled: 1-line block ×4, first 2 shown]
	ds_write_b128 v6, v[2:5] offset:16
	v_perm_b32 v4, v44, v43, s4
	v_perm_b32 v3, v42, v41, s4
	;; [unrolled: 1-line block ×4, first 2 shown]
	s_movk_i32 s4, 0xffd2
	ds_write_b128 v6, v[2:5] offset:32
	v_mov_b32_e32 v1, 0
	v_mad_i32_i24 v2, v0, s4, v6
	s_waitcnt lgkmcnt(0)
	s_barrier
	ds_read_u16 v4, v2
	ds_read_u16 v5, v2 offset:512
	ds_read_u16 v6, v2 offset:1024
	;; [unrolled: 1-line block ×23, first 2 shown]
	v_lshlrev_b32_e32 v2, 1, v0
	v_mov_b32_e32 v3, v1
	v_lshl_add_u64 v[2:3], s[0:1], 0, v[2:3]
	s_movk_i32 s4, 0x1000
	s_waitcnt lgkmcnt(0)
	flat_store_short v[2:3], v4
	flat_store_short v[2:3], v5 offset:512
	flat_store_short v[2:3], v6 offset:1024
	;; [unrolled: 1-line block ×7, first 2 shown]
	v_add_co_u32_e32 v4, vcc, s4, v2
	s_or_b64 s[2:3], s[2:3], exec
	s_nop 0
	v_addc_co_u32_e32 v5, vcc, 0, v3, vcc
	v_add_co_u32_e32 v2, vcc, 0x2000, v2
	flat_store_short v[4:5], v13
	flat_store_short v[4:5], v14 offset:512
	flat_store_short v[4:5], v15 offset:1024
	;; [unrolled: 1-line block ×7, first 2 shown]
	v_addc_co_u32_e32 v3, vcc, 0, v3, vcc
	flat_store_short v[2:3], v21
	flat_store_short v[2:3], v22 offset:512
	flat_store_short v[2:3], v23 offset:1024
	;; [unrolled: 1-line block ×6, first 2 shown]
.LBB1302_291:
	s_and_saveexec_b64 s[4:5], s[2:3]
	s_cbranch_execnz .LBB1302_293
; %bb.292:
	s_endpgm
.LBB1302_293:
	v_lshl_add_u64 v[0:1], v[0:1], 1, s[0:1]
	v_add_co_u32_e32 v0, vcc, 0x2000, v0
	s_nop 1
	v_addc_co_u32_e32 v1, vcc, 0, v1, vcc
	flat_store_short v[0:1], v7 offset:3584
	s_endpgm
.LBB1302_294:
	v_lshlrev_b32_e32 v2, 1, v0
	v_lshl_add_u64 v[2:3], s[62:63], 0, v[2:3]
	flat_load_ushort v2, v[2:3]
	s_or_b64 exec, exec, s[0:1]
                                        ; implicit-def: $vgpr3
	s_and_saveexec_b64 s[0:1], s[8:9]
	s_cbranch_execz .LBB1302_61
.LBB1302_295:
	v_lshlrev_b32_e32 v20, 1, v0
	v_mov_b32_e32 v21, 0
	v_lshl_add_u64 v[20:21], s[62:63], 0, v[20:21]
	flat_load_ushort v3, v[20:21] offset:512
	s_or_b64 exec, exec, s[0:1]
                                        ; implicit-def: $vgpr20
	s_and_saveexec_b64 s[0:1], s[10:11]
	s_cbranch_execz .LBB1302_62
.LBB1302_296:
	v_lshlrev_b32_e32 v20, 1, v0
	v_mov_b32_e32 v21, 0
	v_lshl_add_u64 v[20:21], s[62:63], 0, v[20:21]
	flat_load_ushort v20, v[20:21] offset:1024
	s_or_b64 exec, exec, s[0:1]
                                        ; implicit-def: $vgpr21
	s_and_saveexec_b64 s[0:1], s[12:13]
	s_cbranch_execz .LBB1302_63
.LBB1302_297:
	v_lshlrev_b32_e32 v48, 1, v0
	v_mov_b32_e32 v49, 0
	v_lshl_add_u64 v[48:49], s[62:63], 0, v[48:49]
	flat_load_ushort v21, v[48:49] offset:1536
	s_or_b64 exec, exec, s[0:1]
                                        ; implicit-def: $vgpr47
	s_and_saveexec_b64 s[0:1], s[14:15]
	s_cbranch_execz .LBB1302_64
.LBB1302_298:
	v_lshlrev_b32_e32 v48, 1, v0
	v_mov_b32_e32 v49, 0
	v_lshl_add_u64 v[48:49], s[62:63], 0, v[48:49]
	flat_load_ushort v47, v[48:49] offset:2048
	s_or_b64 exec, exec, s[0:1]
                                        ; implicit-def: $vgpr48
	s_and_saveexec_b64 s[0:1], s[16:17]
	s_cbranch_execz .LBB1302_65
.LBB1302_299:
	v_lshlrev_b32_e32 v48, 1, v0
	v_mov_b32_e32 v49, 0
	v_lshl_add_u64 v[48:49], s[62:63], 0, v[48:49]
	flat_load_ushort v48, v[48:49] offset:2560
	s_or_b64 exec, exec, s[0:1]
                                        ; implicit-def: $vgpr49
	s_and_saveexec_b64 s[0:1], s[18:19]
	s_cbranch_execz .LBB1302_66
.LBB1302_300:
	v_lshlrev_b32_e32 v50, 1, v0
	v_mov_b32_e32 v51, 0
	v_lshl_add_u64 v[50:51], s[62:63], 0, v[50:51]
	flat_load_ushort v49, v[50:51] offset:3072
	s_or_b64 exec, exec, s[0:1]
                                        ; implicit-def: $vgpr50
	s_and_saveexec_b64 s[0:1], s[20:21]
	s_cbranch_execz .LBB1302_67
.LBB1302_301:
	v_lshlrev_b32_e32 v50, 1, v0
	v_mov_b32_e32 v51, 0
	v_lshl_add_u64 v[50:51], s[62:63], 0, v[50:51]
	flat_load_ushort v50, v[50:51] offset:3584
	s_or_b64 exec, exec, s[0:1]
                                        ; implicit-def: $vgpr51
	s_and_saveexec_b64 s[0:1], s[22:23]
	s_cbranch_execz .LBB1302_68
.LBB1302_302:
	v_lshlrev_b32_e32 v52, 1, v1
	v_mov_b32_e32 v53, 0
	v_lshl_add_u64 v[52:53], s[62:63], 0, v[52:53]
	flat_load_ushort v51, v[52:53]
	s_or_b64 exec, exec, s[0:1]
                                        ; implicit-def: $vgpr1
	s_and_saveexec_b64 s[0:1], s[24:25]
	s_cbranch_execz .LBB1302_69
.LBB1302_303:
	v_lshlrev_b32_e32 v52, 1, v4
	v_mov_b32_e32 v53, 0
	v_lshl_add_u64 v[52:53], s[62:63], 0, v[52:53]
	flat_load_ushort v1, v[52:53]
	s_or_b64 exec, exec, s[0:1]
                                        ; implicit-def: $vgpr4
	s_and_saveexec_b64 s[0:1], s[26:27]
	s_cbranch_execz .LBB1302_70
.LBB1302_304:
	v_lshlrev_b32_e32 v4, 1, v5
	v_mov_b32_e32 v5, 0
	v_lshl_add_u64 v[4:5], s[62:63], 0, v[4:5]
	flat_load_ushort v4, v[4:5]
	s_or_b64 exec, exec, s[0:1]
                                        ; implicit-def: $vgpr5
	s_and_saveexec_b64 s[0:1], s[28:29]
	s_cbranch_execz .LBB1302_71
.LBB1302_305:
	v_lshlrev_b32_e32 v52, 1, v6
	v_mov_b32_e32 v53, 0
	v_lshl_add_u64 v[52:53], s[62:63], 0, v[52:53]
	flat_load_ushort v5, v[52:53]
	s_or_b64 exec, exec, s[0:1]
                                        ; implicit-def: $vgpr6
	s_and_saveexec_b64 s[0:1], s[30:31]
	s_cbranch_execz .LBB1302_72
.LBB1302_306:
	v_lshlrev_b32_e32 v6, 1, v7
	v_mov_b32_e32 v7, 0
	v_lshl_add_u64 v[6:7], s[62:63], 0, v[6:7]
	flat_load_ushort v6, v[6:7]
	s_or_b64 exec, exec, s[0:1]
                                        ; implicit-def: $vgpr7
	s_and_saveexec_b64 s[0:1], s[34:35]
	s_cbranch_execz .LBB1302_73
.LBB1302_307:
	v_lshlrev_b32_e32 v52, 1, v8
	v_mov_b32_e32 v53, 0
	v_lshl_add_u64 v[52:53], s[62:63], 0, v[52:53]
	flat_load_ushort v7, v[52:53]
	s_or_b64 exec, exec, s[0:1]
                                        ; implicit-def: $vgpr8
	s_and_saveexec_b64 s[0:1], s[36:37]
	s_cbranch_execz .LBB1302_74
.LBB1302_308:
	v_lshlrev_b32_e32 v8, 1, v9
	v_mov_b32_e32 v9, 0
	v_lshl_add_u64 v[8:9], s[62:63], 0, v[8:9]
	flat_load_ushort v8, v[8:9]
	s_or_b64 exec, exec, s[0:1]
                                        ; implicit-def: $vgpr9
	s_and_saveexec_b64 s[0:1], s[38:39]
	s_cbranch_execz .LBB1302_75
.LBB1302_309:
	v_lshlrev_b32_e32 v52, 1, v10
	v_mov_b32_e32 v53, 0
	v_lshl_add_u64 v[52:53], s[62:63], 0, v[52:53]
	flat_load_ushort v9, v[52:53]
	s_or_b64 exec, exec, s[0:1]
                                        ; implicit-def: $vgpr10
	s_and_saveexec_b64 s[0:1], s[40:41]
	s_cbranch_execz .LBB1302_76
.LBB1302_310:
	v_lshlrev_b32_e32 v10, 1, v11
	v_mov_b32_e32 v11, 0
	v_lshl_add_u64 v[10:11], s[62:63], 0, v[10:11]
	flat_load_ushort v10, v[10:11]
	s_or_b64 exec, exec, s[0:1]
                                        ; implicit-def: $vgpr11
	s_and_saveexec_b64 s[0:1], s[42:43]
	s_cbranch_execz .LBB1302_77
.LBB1302_311:
	v_lshlrev_b32_e32 v52, 1, v12
	v_mov_b32_e32 v53, 0
	v_lshl_add_u64 v[52:53], s[62:63], 0, v[52:53]
	flat_load_ushort v11, v[52:53]
	s_or_b64 exec, exec, s[0:1]
                                        ; implicit-def: $vgpr12
	s_and_saveexec_b64 s[0:1], s[44:45]
	s_cbranch_execz .LBB1302_78
.LBB1302_312:
	v_lshlrev_b32_e32 v12, 1, v13
	v_mov_b32_e32 v13, 0
	v_lshl_add_u64 v[12:13], s[62:63], 0, v[12:13]
	flat_load_ushort v12, v[12:13]
	s_or_b64 exec, exec, s[0:1]
                                        ; implicit-def: $vgpr13
	s_and_saveexec_b64 s[0:1], s[46:47]
	s_cbranch_execz .LBB1302_79
.LBB1302_313:
	v_lshlrev_b32_e32 v52, 1, v14
	v_mov_b32_e32 v53, 0
	v_lshl_add_u64 v[52:53], s[62:63], 0, v[52:53]
	flat_load_ushort v13, v[52:53]
	s_or_b64 exec, exec, s[0:1]
                                        ; implicit-def: $vgpr14
	s_and_saveexec_b64 s[0:1], s[48:49]
	s_cbranch_execz .LBB1302_80
.LBB1302_314:
	v_lshlrev_b32_e32 v14, 1, v15
	v_mov_b32_e32 v15, 0
	v_lshl_add_u64 v[14:15], s[62:63], 0, v[14:15]
	flat_load_ushort v14, v[14:15]
	s_or_b64 exec, exec, s[0:1]
                                        ; implicit-def: $vgpr15
	s_and_saveexec_b64 s[0:1], s[50:51]
	s_cbranch_execz .LBB1302_81
.LBB1302_315:
	v_lshlrev_b32_e32 v52, 1, v16
	v_mov_b32_e32 v53, 0
	v_lshl_add_u64 v[52:53], s[62:63], 0, v[52:53]
	flat_load_ushort v15, v[52:53]
	s_or_b64 exec, exec, s[0:1]
                                        ; implicit-def: $vgpr16
	s_and_saveexec_b64 s[0:1], s[52:53]
	s_cbranch_execz .LBB1302_82
.LBB1302_316:
	v_lshlrev_b32_e32 v16, 1, v17
	v_mov_b32_e32 v17, 0
	v_lshl_add_u64 v[16:17], s[62:63], 0, v[16:17]
	flat_load_ushort v16, v[16:17]
	s_or_b64 exec, exec, s[0:1]
                                        ; implicit-def: $vgpr17
	s_and_saveexec_b64 s[0:1], s[54:55]
	s_cbranch_execnz .LBB1302_83
	s_branch .LBB1302_84
.LBB1302_317:
                                        ; implicit-def: $sgpr0_sgpr1
	s_branch .LBB1302_56
.LBB1302_318:
                                        ; implicit-def: $sgpr0_sgpr1
	s_branch .LBB1302_135
	.section	.rodata,"a",@progbits
	.p2align	6, 0x0
	.amdhsa_kernel _ZN7rocprim17ROCPRIM_400000_NS6detail17trampoline_kernelINS0_14default_configENS1_27scan_by_key_config_selectorIitEEZZNS1_16scan_by_key_implILNS1_25lookback_scan_determinismE0ELb0ES3_N6thrust23THRUST_200600_302600_NS6detail15normal_iteratorINS9_10device_ptrIiEEEENSB_INSC_ItEEEESG_tNS9_4plusIvEENS9_8equal_toIvEEtEE10hipError_tPvRmT2_T3_T4_T5_mT6_T7_P12ihipStream_tbENKUlT_T0_E_clISt17integral_constantIbLb0EES10_IbLb1EEEEDaSW_SX_EUlSW_E_NS1_11comp_targetILNS1_3genE5ELNS1_11target_archE942ELNS1_3gpuE9ELNS1_3repE0EEENS1_30default_config_static_selectorELNS0_4arch9wavefront6targetE1EEEvT1_
		.amdhsa_group_segment_fixed_size 26624
		.amdhsa_private_segment_fixed_size 0
		.amdhsa_kernarg_size 112
		.amdhsa_user_sgpr_count 2
		.amdhsa_user_sgpr_dispatch_ptr 0
		.amdhsa_user_sgpr_queue_ptr 0
		.amdhsa_user_sgpr_kernarg_segment_ptr 1
		.amdhsa_user_sgpr_dispatch_id 0
		.amdhsa_user_sgpr_kernarg_preload_length 0
		.amdhsa_user_sgpr_kernarg_preload_offset 0
		.amdhsa_user_sgpr_private_segment_size 0
		.amdhsa_uses_dynamic_stack 0
		.amdhsa_enable_private_segment 0
		.amdhsa_system_sgpr_workgroup_id_x 1
		.amdhsa_system_sgpr_workgroup_id_y 0
		.amdhsa_system_sgpr_workgroup_id_z 0
		.amdhsa_system_sgpr_workgroup_info 0
		.amdhsa_system_vgpr_workitem_id 0
		.amdhsa_next_free_vgpr 62
		.amdhsa_next_free_sgpr 87
		.amdhsa_accum_offset 64
		.amdhsa_reserve_vcc 1
		.amdhsa_float_round_mode_32 0
		.amdhsa_float_round_mode_16_64 0
		.amdhsa_float_denorm_mode_32 3
		.amdhsa_float_denorm_mode_16_64 3
		.amdhsa_dx10_clamp 1
		.amdhsa_ieee_mode 1
		.amdhsa_fp16_overflow 0
		.amdhsa_tg_split 0
		.amdhsa_exception_fp_ieee_invalid_op 0
		.amdhsa_exception_fp_denorm_src 0
		.amdhsa_exception_fp_ieee_div_zero 0
		.amdhsa_exception_fp_ieee_overflow 0
		.amdhsa_exception_fp_ieee_underflow 0
		.amdhsa_exception_fp_ieee_inexact 0
		.amdhsa_exception_int_div_zero 0
	.end_amdhsa_kernel
	.section	.text._ZN7rocprim17ROCPRIM_400000_NS6detail17trampoline_kernelINS0_14default_configENS1_27scan_by_key_config_selectorIitEEZZNS1_16scan_by_key_implILNS1_25lookback_scan_determinismE0ELb0ES3_N6thrust23THRUST_200600_302600_NS6detail15normal_iteratorINS9_10device_ptrIiEEEENSB_INSC_ItEEEESG_tNS9_4plusIvEENS9_8equal_toIvEEtEE10hipError_tPvRmT2_T3_T4_T5_mT6_T7_P12ihipStream_tbENKUlT_T0_E_clISt17integral_constantIbLb0EES10_IbLb1EEEEDaSW_SX_EUlSW_E_NS1_11comp_targetILNS1_3genE5ELNS1_11target_archE942ELNS1_3gpuE9ELNS1_3repE0EEENS1_30default_config_static_selectorELNS0_4arch9wavefront6targetE1EEEvT1_,"axG",@progbits,_ZN7rocprim17ROCPRIM_400000_NS6detail17trampoline_kernelINS0_14default_configENS1_27scan_by_key_config_selectorIitEEZZNS1_16scan_by_key_implILNS1_25lookback_scan_determinismE0ELb0ES3_N6thrust23THRUST_200600_302600_NS6detail15normal_iteratorINS9_10device_ptrIiEEEENSB_INSC_ItEEEESG_tNS9_4plusIvEENS9_8equal_toIvEEtEE10hipError_tPvRmT2_T3_T4_T5_mT6_T7_P12ihipStream_tbENKUlT_T0_E_clISt17integral_constantIbLb0EES10_IbLb1EEEEDaSW_SX_EUlSW_E_NS1_11comp_targetILNS1_3genE5ELNS1_11target_archE942ELNS1_3gpuE9ELNS1_3repE0EEENS1_30default_config_static_selectorELNS0_4arch9wavefront6targetE1EEEvT1_,comdat
.Lfunc_end1302:
	.size	_ZN7rocprim17ROCPRIM_400000_NS6detail17trampoline_kernelINS0_14default_configENS1_27scan_by_key_config_selectorIitEEZZNS1_16scan_by_key_implILNS1_25lookback_scan_determinismE0ELb0ES3_N6thrust23THRUST_200600_302600_NS6detail15normal_iteratorINS9_10device_ptrIiEEEENSB_INSC_ItEEEESG_tNS9_4plusIvEENS9_8equal_toIvEEtEE10hipError_tPvRmT2_T3_T4_T5_mT6_T7_P12ihipStream_tbENKUlT_T0_E_clISt17integral_constantIbLb0EES10_IbLb1EEEEDaSW_SX_EUlSW_E_NS1_11comp_targetILNS1_3genE5ELNS1_11target_archE942ELNS1_3gpuE9ELNS1_3repE0EEENS1_30default_config_static_selectorELNS0_4arch9wavefront6targetE1EEEvT1_, .Lfunc_end1302-_ZN7rocprim17ROCPRIM_400000_NS6detail17trampoline_kernelINS0_14default_configENS1_27scan_by_key_config_selectorIitEEZZNS1_16scan_by_key_implILNS1_25lookback_scan_determinismE0ELb0ES3_N6thrust23THRUST_200600_302600_NS6detail15normal_iteratorINS9_10device_ptrIiEEEENSB_INSC_ItEEEESG_tNS9_4plusIvEENS9_8equal_toIvEEtEE10hipError_tPvRmT2_T3_T4_T5_mT6_T7_P12ihipStream_tbENKUlT_T0_E_clISt17integral_constantIbLb0EES10_IbLb1EEEEDaSW_SX_EUlSW_E_NS1_11comp_targetILNS1_3genE5ELNS1_11target_archE942ELNS1_3gpuE9ELNS1_3repE0EEENS1_30default_config_static_selectorELNS0_4arch9wavefront6targetE1EEEvT1_
                                        ; -- End function
	.section	.AMDGPU.csdata,"",@progbits
; Kernel info:
; codeLenInByte = 16256
; NumSgprs: 93
; NumVgprs: 62
; NumAgprs: 0
; TotalNumVgprs: 62
; ScratchSize: 0
; MemoryBound: 0
; FloatMode: 240
; IeeeMode: 1
; LDSByteSize: 26624 bytes/workgroup (compile time only)
; SGPRBlocks: 11
; VGPRBlocks: 7
; NumSGPRsForWavesPerEU: 93
; NumVGPRsForWavesPerEU: 62
; AccumOffset: 64
; Occupancy: 2
; WaveLimiterHint : 1
; COMPUTE_PGM_RSRC2:SCRATCH_EN: 0
; COMPUTE_PGM_RSRC2:USER_SGPR: 2
; COMPUTE_PGM_RSRC2:TRAP_HANDLER: 0
; COMPUTE_PGM_RSRC2:TGID_X_EN: 1
; COMPUTE_PGM_RSRC2:TGID_Y_EN: 0
; COMPUTE_PGM_RSRC2:TGID_Z_EN: 0
; COMPUTE_PGM_RSRC2:TIDIG_COMP_CNT: 0
; COMPUTE_PGM_RSRC3_GFX90A:ACCUM_OFFSET: 15
; COMPUTE_PGM_RSRC3_GFX90A:TG_SPLIT: 0
	.section	.text._ZN7rocprim17ROCPRIM_400000_NS6detail17trampoline_kernelINS0_14default_configENS1_27scan_by_key_config_selectorIitEEZZNS1_16scan_by_key_implILNS1_25lookback_scan_determinismE0ELb0ES3_N6thrust23THRUST_200600_302600_NS6detail15normal_iteratorINS9_10device_ptrIiEEEENSB_INSC_ItEEEESG_tNS9_4plusIvEENS9_8equal_toIvEEtEE10hipError_tPvRmT2_T3_T4_T5_mT6_T7_P12ihipStream_tbENKUlT_T0_E_clISt17integral_constantIbLb0EES10_IbLb1EEEEDaSW_SX_EUlSW_E_NS1_11comp_targetILNS1_3genE4ELNS1_11target_archE910ELNS1_3gpuE8ELNS1_3repE0EEENS1_30default_config_static_selectorELNS0_4arch9wavefront6targetE1EEEvT1_,"axG",@progbits,_ZN7rocprim17ROCPRIM_400000_NS6detail17trampoline_kernelINS0_14default_configENS1_27scan_by_key_config_selectorIitEEZZNS1_16scan_by_key_implILNS1_25lookback_scan_determinismE0ELb0ES3_N6thrust23THRUST_200600_302600_NS6detail15normal_iteratorINS9_10device_ptrIiEEEENSB_INSC_ItEEEESG_tNS9_4plusIvEENS9_8equal_toIvEEtEE10hipError_tPvRmT2_T3_T4_T5_mT6_T7_P12ihipStream_tbENKUlT_T0_E_clISt17integral_constantIbLb0EES10_IbLb1EEEEDaSW_SX_EUlSW_E_NS1_11comp_targetILNS1_3genE4ELNS1_11target_archE910ELNS1_3gpuE8ELNS1_3repE0EEENS1_30default_config_static_selectorELNS0_4arch9wavefront6targetE1EEEvT1_,comdat
	.protected	_ZN7rocprim17ROCPRIM_400000_NS6detail17trampoline_kernelINS0_14default_configENS1_27scan_by_key_config_selectorIitEEZZNS1_16scan_by_key_implILNS1_25lookback_scan_determinismE0ELb0ES3_N6thrust23THRUST_200600_302600_NS6detail15normal_iteratorINS9_10device_ptrIiEEEENSB_INSC_ItEEEESG_tNS9_4plusIvEENS9_8equal_toIvEEtEE10hipError_tPvRmT2_T3_T4_T5_mT6_T7_P12ihipStream_tbENKUlT_T0_E_clISt17integral_constantIbLb0EES10_IbLb1EEEEDaSW_SX_EUlSW_E_NS1_11comp_targetILNS1_3genE4ELNS1_11target_archE910ELNS1_3gpuE8ELNS1_3repE0EEENS1_30default_config_static_selectorELNS0_4arch9wavefront6targetE1EEEvT1_ ; -- Begin function _ZN7rocprim17ROCPRIM_400000_NS6detail17trampoline_kernelINS0_14default_configENS1_27scan_by_key_config_selectorIitEEZZNS1_16scan_by_key_implILNS1_25lookback_scan_determinismE0ELb0ES3_N6thrust23THRUST_200600_302600_NS6detail15normal_iteratorINS9_10device_ptrIiEEEENSB_INSC_ItEEEESG_tNS9_4plusIvEENS9_8equal_toIvEEtEE10hipError_tPvRmT2_T3_T4_T5_mT6_T7_P12ihipStream_tbENKUlT_T0_E_clISt17integral_constantIbLb0EES10_IbLb1EEEEDaSW_SX_EUlSW_E_NS1_11comp_targetILNS1_3genE4ELNS1_11target_archE910ELNS1_3gpuE8ELNS1_3repE0EEENS1_30default_config_static_selectorELNS0_4arch9wavefront6targetE1EEEvT1_
	.globl	_ZN7rocprim17ROCPRIM_400000_NS6detail17trampoline_kernelINS0_14default_configENS1_27scan_by_key_config_selectorIitEEZZNS1_16scan_by_key_implILNS1_25lookback_scan_determinismE0ELb0ES3_N6thrust23THRUST_200600_302600_NS6detail15normal_iteratorINS9_10device_ptrIiEEEENSB_INSC_ItEEEESG_tNS9_4plusIvEENS9_8equal_toIvEEtEE10hipError_tPvRmT2_T3_T4_T5_mT6_T7_P12ihipStream_tbENKUlT_T0_E_clISt17integral_constantIbLb0EES10_IbLb1EEEEDaSW_SX_EUlSW_E_NS1_11comp_targetILNS1_3genE4ELNS1_11target_archE910ELNS1_3gpuE8ELNS1_3repE0EEENS1_30default_config_static_selectorELNS0_4arch9wavefront6targetE1EEEvT1_
	.p2align	8
	.type	_ZN7rocprim17ROCPRIM_400000_NS6detail17trampoline_kernelINS0_14default_configENS1_27scan_by_key_config_selectorIitEEZZNS1_16scan_by_key_implILNS1_25lookback_scan_determinismE0ELb0ES3_N6thrust23THRUST_200600_302600_NS6detail15normal_iteratorINS9_10device_ptrIiEEEENSB_INSC_ItEEEESG_tNS9_4plusIvEENS9_8equal_toIvEEtEE10hipError_tPvRmT2_T3_T4_T5_mT6_T7_P12ihipStream_tbENKUlT_T0_E_clISt17integral_constantIbLb0EES10_IbLb1EEEEDaSW_SX_EUlSW_E_NS1_11comp_targetILNS1_3genE4ELNS1_11target_archE910ELNS1_3gpuE8ELNS1_3repE0EEENS1_30default_config_static_selectorELNS0_4arch9wavefront6targetE1EEEvT1_,@function
_ZN7rocprim17ROCPRIM_400000_NS6detail17trampoline_kernelINS0_14default_configENS1_27scan_by_key_config_selectorIitEEZZNS1_16scan_by_key_implILNS1_25lookback_scan_determinismE0ELb0ES3_N6thrust23THRUST_200600_302600_NS6detail15normal_iteratorINS9_10device_ptrIiEEEENSB_INSC_ItEEEESG_tNS9_4plusIvEENS9_8equal_toIvEEtEE10hipError_tPvRmT2_T3_T4_T5_mT6_T7_P12ihipStream_tbENKUlT_T0_E_clISt17integral_constantIbLb0EES10_IbLb1EEEEDaSW_SX_EUlSW_E_NS1_11comp_targetILNS1_3genE4ELNS1_11target_archE910ELNS1_3gpuE8ELNS1_3repE0EEENS1_30default_config_static_selectorELNS0_4arch9wavefront6targetE1EEEvT1_: ; @_ZN7rocprim17ROCPRIM_400000_NS6detail17trampoline_kernelINS0_14default_configENS1_27scan_by_key_config_selectorIitEEZZNS1_16scan_by_key_implILNS1_25lookback_scan_determinismE0ELb0ES3_N6thrust23THRUST_200600_302600_NS6detail15normal_iteratorINS9_10device_ptrIiEEEENSB_INSC_ItEEEESG_tNS9_4plusIvEENS9_8equal_toIvEEtEE10hipError_tPvRmT2_T3_T4_T5_mT6_T7_P12ihipStream_tbENKUlT_T0_E_clISt17integral_constantIbLb0EES10_IbLb1EEEEDaSW_SX_EUlSW_E_NS1_11comp_targetILNS1_3genE4ELNS1_11target_archE910ELNS1_3gpuE8ELNS1_3repE0EEENS1_30default_config_static_selectorELNS0_4arch9wavefront6targetE1EEEvT1_
; %bb.0:
	.section	.rodata,"a",@progbits
	.p2align	6, 0x0
	.amdhsa_kernel _ZN7rocprim17ROCPRIM_400000_NS6detail17trampoline_kernelINS0_14default_configENS1_27scan_by_key_config_selectorIitEEZZNS1_16scan_by_key_implILNS1_25lookback_scan_determinismE0ELb0ES3_N6thrust23THRUST_200600_302600_NS6detail15normal_iteratorINS9_10device_ptrIiEEEENSB_INSC_ItEEEESG_tNS9_4plusIvEENS9_8equal_toIvEEtEE10hipError_tPvRmT2_T3_T4_T5_mT6_T7_P12ihipStream_tbENKUlT_T0_E_clISt17integral_constantIbLb0EES10_IbLb1EEEEDaSW_SX_EUlSW_E_NS1_11comp_targetILNS1_3genE4ELNS1_11target_archE910ELNS1_3gpuE8ELNS1_3repE0EEENS1_30default_config_static_selectorELNS0_4arch9wavefront6targetE1EEEvT1_
		.amdhsa_group_segment_fixed_size 0
		.amdhsa_private_segment_fixed_size 0
		.amdhsa_kernarg_size 112
		.amdhsa_user_sgpr_count 2
		.amdhsa_user_sgpr_dispatch_ptr 0
		.amdhsa_user_sgpr_queue_ptr 0
		.amdhsa_user_sgpr_kernarg_segment_ptr 1
		.amdhsa_user_sgpr_dispatch_id 0
		.amdhsa_user_sgpr_kernarg_preload_length 0
		.amdhsa_user_sgpr_kernarg_preload_offset 0
		.amdhsa_user_sgpr_private_segment_size 0
		.amdhsa_uses_dynamic_stack 0
		.amdhsa_enable_private_segment 0
		.amdhsa_system_sgpr_workgroup_id_x 1
		.amdhsa_system_sgpr_workgroup_id_y 0
		.amdhsa_system_sgpr_workgroup_id_z 0
		.amdhsa_system_sgpr_workgroup_info 0
		.amdhsa_system_vgpr_workitem_id 0
		.amdhsa_next_free_vgpr 1
		.amdhsa_next_free_sgpr 0
		.amdhsa_accum_offset 4
		.amdhsa_reserve_vcc 0
		.amdhsa_float_round_mode_32 0
		.amdhsa_float_round_mode_16_64 0
		.amdhsa_float_denorm_mode_32 3
		.amdhsa_float_denorm_mode_16_64 3
		.amdhsa_dx10_clamp 1
		.amdhsa_ieee_mode 1
		.amdhsa_fp16_overflow 0
		.amdhsa_tg_split 0
		.amdhsa_exception_fp_ieee_invalid_op 0
		.amdhsa_exception_fp_denorm_src 0
		.amdhsa_exception_fp_ieee_div_zero 0
		.amdhsa_exception_fp_ieee_overflow 0
		.amdhsa_exception_fp_ieee_underflow 0
		.amdhsa_exception_fp_ieee_inexact 0
		.amdhsa_exception_int_div_zero 0
	.end_amdhsa_kernel
	.section	.text._ZN7rocprim17ROCPRIM_400000_NS6detail17trampoline_kernelINS0_14default_configENS1_27scan_by_key_config_selectorIitEEZZNS1_16scan_by_key_implILNS1_25lookback_scan_determinismE0ELb0ES3_N6thrust23THRUST_200600_302600_NS6detail15normal_iteratorINS9_10device_ptrIiEEEENSB_INSC_ItEEEESG_tNS9_4plusIvEENS9_8equal_toIvEEtEE10hipError_tPvRmT2_T3_T4_T5_mT6_T7_P12ihipStream_tbENKUlT_T0_E_clISt17integral_constantIbLb0EES10_IbLb1EEEEDaSW_SX_EUlSW_E_NS1_11comp_targetILNS1_3genE4ELNS1_11target_archE910ELNS1_3gpuE8ELNS1_3repE0EEENS1_30default_config_static_selectorELNS0_4arch9wavefront6targetE1EEEvT1_,"axG",@progbits,_ZN7rocprim17ROCPRIM_400000_NS6detail17trampoline_kernelINS0_14default_configENS1_27scan_by_key_config_selectorIitEEZZNS1_16scan_by_key_implILNS1_25lookback_scan_determinismE0ELb0ES3_N6thrust23THRUST_200600_302600_NS6detail15normal_iteratorINS9_10device_ptrIiEEEENSB_INSC_ItEEEESG_tNS9_4plusIvEENS9_8equal_toIvEEtEE10hipError_tPvRmT2_T3_T4_T5_mT6_T7_P12ihipStream_tbENKUlT_T0_E_clISt17integral_constantIbLb0EES10_IbLb1EEEEDaSW_SX_EUlSW_E_NS1_11comp_targetILNS1_3genE4ELNS1_11target_archE910ELNS1_3gpuE8ELNS1_3repE0EEENS1_30default_config_static_selectorELNS0_4arch9wavefront6targetE1EEEvT1_,comdat
.Lfunc_end1303:
	.size	_ZN7rocprim17ROCPRIM_400000_NS6detail17trampoline_kernelINS0_14default_configENS1_27scan_by_key_config_selectorIitEEZZNS1_16scan_by_key_implILNS1_25lookback_scan_determinismE0ELb0ES3_N6thrust23THRUST_200600_302600_NS6detail15normal_iteratorINS9_10device_ptrIiEEEENSB_INSC_ItEEEESG_tNS9_4plusIvEENS9_8equal_toIvEEtEE10hipError_tPvRmT2_T3_T4_T5_mT6_T7_P12ihipStream_tbENKUlT_T0_E_clISt17integral_constantIbLb0EES10_IbLb1EEEEDaSW_SX_EUlSW_E_NS1_11comp_targetILNS1_3genE4ELNS1_11target_archE910ELNS1_3gpuE8ELNS1_3repE0EEENS1_30default_config_static_selectorELNS0_4arch9wavefront6targetE1EEEvT1_, .Lfunc_end1303-_ZN7rocprim17ROCPRIM_400000_NS6detail17trampoline_kernelINS0_14default_configENS1_27scan_by_key_config_selectorIitEEZZNS1_16scan_by_key_implILNS1_25lookback_scan_determinismE0ELb0ES3_N6thrust23THRUST_200600_302600_NS6detail15normal_iteratorINS9_10device_ptrIiEEEENSB_INSC_ItEEEESG_tNS9_4plusIvEENS9_8equal_toIvEEtEE10hipError_tPvRmT2_T3_T4_T5_mT6_T7_P12ihipStream_tbENKUlT_T0_E_clISt17integral_constantIbLb0EES10_IbLb1EEEEDaSW_SX_EUlSW_E_NS1_11comp_targetILNS1_3genE4ELNS1_11target_archE910ELNS1_3gpuE8ELNS1_3repE0EEENS1_30default_config_static_selectorELNS0_4arch9wavefront6targetE1EEEvT1_
                                        ; -- End function
	.section	.AMDGPU.csdata,"",@progbits
; Kernel info:
; codeLenInByte = 0
; NumSgprs: 6
; NumVgprs: 0
; NumAgprs: 0
; TotalNumVgprs: 0
; ScratchSize: 0
; MemoryBound: 0
; FloatMode: 240
; IeeeMode: 1
; LDSByteSize: 0 bytes/workgroup (compile time only)
; SGPRBlocks: 0
; VGPRBlocks: 0
; NumSGPRsForWavesPerEU: 6
; NumVGPRsForWavesPerEU: 1
; AccumOffset: 4
; Occupancy: 8
; WaveLimiterHint : 0
; COMPUTE_PGM_RSRC2:SCRATCH_EN: 0
; COMPUTE_PGM_RSRC2:USER_SGPR: 2
; COMPUTE_PGM_RSRC2:TRAP_HANDLER: 0
; COMPUTE_PGM_RSRC2:TGID_X_EN: 1
; COMPUTE_PGM_RSRC2:TGID_Y_EN: 0
; COMPUTE_PGM_RSRC2:TGID_Z_EN: 0
; COMPUTE_PGM_RSRC2:TIDIG_COMP_CNT: 0
; COMPUTE_PGM_RSRC3_GFX90A:ACCUM_OFFSET: 0
; COMPUTE_PGM_RSRC3_GFX90A:TG_SPLIT: 0
	.section	.text._ZN7rocprim17ROCPRIM_400000_NS6detail17trampoline_kernelINS0_14default_configENS1_27scan_by_key_config_selectorIitEEZZNS1_16scan_by_key_implILNS1_25lookback_scan_determinismE0ELb0ES3_N6thrust23THRUST_200600_302600_NS6detail15normal_iteratorINS9_10device_ptrIiEEEENSB_INSC_ItEEEESG_tNS9_4plusIvEENS9_8equal_toIvEEtEE10hipError_tPvRmT2_T3_T4_T5_mT6_T7_P12ihipStream_tbENKUlT_T0_E_clISt17integral_constantIbLb0EES10_IbLb1EEEEDaSW_SX_EUlSW_E_NS1_11comp_targetILNS1_3genE3ELNS1_11target_archE908ELNS1_3gpuE7ELNS1_3repE0EEENS1_30default_config_static_selectorELNS0_4arch9wavefront6targetE1EEEvT1_,"axG",@progbits,_ZN7rocprim17ROCPRIM_400000_NS6detail17trampoline_kernelINS0_14default_configENS1_27scan_by_key_config_selectorIitEEZZNS1_16scan_by_key_implILNS1_25lookback_scan_determinismE0ELb0ES3_N6thrust23THRUST_200600_302600_NS6detail15normal_iteratorINS9_10device_ptrIiEEEENSB_INSC_ItEEEESG_tNS9_4plusIvEENS9_8equal_toIvEEtEE10hipError_tPvRmT2_T3_T4_T5_mT6_T7_P12ihipStream_tbENKUlT_T0_E_clISt17integral_constantIbLb0EES10_IbLb1EEEEDaSW_SX_EUlSW_E_NS1_11comp_targetILNS1_3genE3ELNS1_11target_archE908ELNS1_3gpuE7ELNS1_3repE0EEENS1_30default_config_static_selectorELNS0_4arch9wavefront6targetE1EEEvT1_,comdat
	.protected	_ZN7rocprim17ROCPRIM_400000_NS6detail17trampoline_kernelINS0_14default_configENS1_27scan_by_key_config_selectorIitEEZZNS1_16scan_by_key_implILNS1_25lookback_scan_determinismE0ELb0ES3_N6thrust23THRUST_200600_302600_NS6detail15normal_iteratorINS9_10device_ptrIiEEEENSB_INSC_ItEEEESG_tNS9_4plusIvEENS9_8equal_toIvEEtEE10hipError_tPvRmT2_T3_T4_T5_mT6_T7_P12ihipStream_tbENKUlT_T0_E_clISt17integral_constantIbLb0EES10_IbLb1EEEEDaSW_SX_EUlSW_E_NS1_11comp_targetILNS1_3genE3ELNS1_11target_archE908ELNS1_3gpuE7ELNS1_3repE0EEENS1_30default_config_static_selectorELNS0_4arch9wavefront6targetE1EEEvT1_ ; -- Begin function _ZN7rocprim17ROCPRIM_400000_NS6detail17trampoline_kernelINS0_14default_configENS1_27scan_by_key_config_selectorIitEEZZNS1_16scan_by_key_implILNS1_25lookback_scan_determinismE0ELb0ES3_N6thrust23THRUST_200600_302600_NS6detail15normal_iteratorINS9_10device_ptrIiEEEENSB_INSC_ItEEEESG_tNS9_4plusIvEENS9_8equal_toIvEEtEE10hipError_tPvRmT2_T3_T4_T5_mT6_T7_P12ihipStream_tbENKUlT_T0_E_clISt17integral_constantIbLb0EES10_IbLb1EEEEDaSW_SX_EUlSW_E_NS1_11comp_targetILNS1_3genE3ELNS1_11target_archE908ELNS1_3gpuE7ELNS1_3repE0EEENS1_30default_config_static_selectorELNS0_4arch9wavefront6targetE1EEEvT1_
	.globl	_ZN7rocprim17ROCPRIM_400000_NS6detail17trampoline_kernelINS0_14default_configENS1_27scan_by_key_config_selectorIitEEZZNS1_16scan_by_key_implILNS1_25lookback_scan_determinismE0ELb0ES3_N6thrust23THRUST_200600_302600_NS6detail15normal_iteratorINS9_10device_ptrIiEEEENSB_INSC_ItEEEESG_tNS9_4plusIvEENS9_8equal_toIvEEtEE10hipError_tPvRmT2_T3_T4_T5_mT6_T7_P12ihipStream_tbENKUlT_T0_E_clISt17integral_constantIbLb0EES10_IbLb1EEEEDaSW_SX_EUlSW_E_NS1_11comp_targetILNS1_3genE3ELNS1_11target_archE908ELNS1_3gpuE7ELNS1_3repE0EEENS1_30default_config_static_selectorELNS0_4arch9wavefront6targetE1EEEvT1_
	.p2align	8
	.type	_ZN7rocprim17ROCPRIM_400000_NS6detail17trampoline_kernelINS0_14default_configENS1_27scan_by_key_config_selectorIitEEZZNS1_16scan_by_key_implILNS1_25lookback_scan_determinismE0ELb0ES3_N6thrust23THRUST_200600_302600_NS6detail15normal_iteratorINS9_10device_ptrIiEEEENSB_INSC_ItEEEESG_tNS9_4plusIvEENS9_8equal_toIvEEtEE10hipError_tPvRmT2_T3_T4_T5_mT6_T7_P12ihipStream_tbENKUlT_T0_E_clISt17integral_constantIbLb0EES10_IbLb1EEEEDaSW_SX_EUlSW_E_NS1_11comp_targetILNS1_3genE3ELNS1_11target_archE908ELNS1_3gpuE7ELNS1_3repE0EEENS1_30default_config_static_selectorELNS0_4arch9wavefront6targetE1EEEvT1_,@function
_ZN7rocprim17ROCPRIM_400000_NS6detail17trampoline_kernelINS0_14default_configENS1_27scan_by_key_config_selectorIitEEZZNS1_16scan_by_key_implILNS1_25lookback_scan_determinismE0ELb0ES3_N6thrust23THRUST_200600_302600_NS6detail15normal_iteratorINS9_10device_ptrIiEEEENSB_INSC_ItEEEESG_tNS9_4plusIvEENS9_8equal_toIvEEtEE10hipError_tPvRmT2_T3_T4_T5_mT6_T7_P12ihipStream_tbENKUlT_T0_E_clISt17integral_constantIbLb0EES10_IbLb1EEEEDaSW_SX_EUlSW_E_NS1_11comp_targetILNS1_3genE3ELNS1_11target_archE908ELNS1_3gpuE7ELNS1_3repE0EEENS1_30default_config_static_selectorELNS0_4arch9wavefront6targetE1EEEvT1_: ; @_ZN7rocprim17ROCPRIM_400000_NS6detail17trampoline_kernelINS0_14default_configENS1_27scan_by_key_config_selectorIitEEZZNS1_16scan_by_key_implILNS1_25lookback_scan_determinismE0ELb0ES3_N6thrust23THRUST_200600_302600_NS6detail15normal_iteratorINS9_10device_ptrIiEEEENSB_INSC_ItEEEESG_tNS9_4plusIvEENS9_8equal_toIvEEtEE10hipError_tPvRmT2_T3_T4_T5_mT6_T7_P12ihipStream_tbENKUlT_T0_E_clISt17integral_constantIbLb0EES10_IbLb1EEEEDaSW_SX_EUlSW_E_NS1_11comp_targetILNS1_3genE3ELNS1_11target_archE908ELNS1_3gpuE7ELNS1_3repE0EEENS1_30default_config_static_selectorELNS0_4arch9wavefront6targetE1EEEvT1_
; %bb.0:
	.section	.rodata,"a",@progbits
	.p2align	6, 0x0
	.amdhsa_kernel _ZN7rocprim17ROCPRIM_400000_NS6detail17trampoline_kernelINS0_14default_configENS1_27scan_by_key_config_selectorIitEEZZNS1_16scan_by_key_implILNS1_25lookback_scan_determinismE0ELb0ES3_N6thrust23THRUST_200600_302600_NS6detail15normal_iteratorINS9_10device_ptrIiEEEENSB_INSC_ItEEEESG_tNS9_4plusIvEENS9_8equal_toIvEEtEE10hipError_tPvRmT2_T3_T4_T5_mT6_T7_P12ihipStream_tbENKUlT_T0_E_clISt17integral_constantIbLb0EES10_IbLb1EEEEDaSW_SX_EUlSW_E_NS1_11comp_targetILNS1_3genE3ELNS1_11target_archE908ELNS1_3gpuE7ELNS1_3repE0EEENS1_30default_config_static_selectorELNS0_4arch9wavefront6targetE1EEEvT1_
		.amdhsa_group_segment_fixed_size 0
		.amdhsa_private_segment_fixed_size 0
		.amdhsa_kernarg_size 112
		.amdhsa_user_sgpr_count 2
		.amdhsa_user_sgpr_dispatch_ptr 0
		.amdhsa_user_sgpr_queue_ptr 0
		.amdhsa_user_sgpr_kernarg_segment_ptr 1
		.amdhsa_user_sgpr_dispatch_id 0
		.amdhsa_user_sgpr_kernarg_preload_length 0
		.amdhsa_user_sgpr_kernarg_preload_offset 0
		.amdhsa_user_sgpr_private_segment_size 0
		.amdhsa_uses_dynamic_stack 0
		.amdhsa_enable_private_segment 0
		.amdhsa_system_sgpr_workgroup_id_x 1
		.amdhsa_system_sgpr_workgroup_id_y 0
		.amdhsa_system_sgpr_workgroup_id_z 0
		.amdhsa_system_sgpr_workgroup_info 0
		.amdhsa_system_vgpr_workitem_id 0
		.amdhsa_next_free_vgpr 1
		.amdhsa_next_free_sgpr 0
		.amdhsa_accum_offset 4
		.amdhsa_reserve_vcc 0
		.amdhsa_float_round_mode_32 0
		.amdhsa_float_round_mode_16_64 0
		.amdhsa_float_denorm_mode_32 3
		.amdhsa_float_denorm_mode_16_64 3
		.amdhsa_dx10_clamp 1
		.amdhsa_ieee_mode 1
		.amdhsa_fp16_overflow 0
		.amdhsa_tg_split 0
		.amdhsa_exception_fp_ieee_invalid_op 0
		.amdhsa_exception_fp_denorm_src 0
		.amdhsa_exception_fp_ieee_div_zero 0
		.amdhsa_exception_fp_ieee_overflow 0
		.amdhsa_exception_fp_ieee_underflow 0
		.amdhsa_exception_fp_ieee_inexact 0
		.amdhsa_exception_int_div_zero 0
	.end_amdhsa_kernel
	.section	.text._ZN7rocprim17ROCPRIM_400000_NS6detail17trampoline_kernelINS0_14default_configENS1_27scan_by_key_config_selectorIitEEZZNS1_16scan_by_key_implILNS1_25lookback_scan_determinismE0ELb0ES3_N6thrust23THRUST_200600_302600_NS6detail15normal_iteratorINS9_10device_ptrIiEEEENSB_INSC_ItEEEESG_tNS9_4plusIvEENS9_8equal_toIvEEtEE10hipError_tPvRmT2_T3_T4_T5_mT6_T7_P12ihipStream_tbENKUlT_T0_E_clISt17integral_constantIbLb0EES10_IbLb1EEEEDaSW_SX_EUlSW_E_NS1_11comp_targetILNS1_3genE3ELNS1_11target_archE908ELNS1_3gpuE7ELNS1_3repE0EEENS1_30default_config_static_selectorELNS0_4arch9wavefront6targetE1EEEvT1_,"axG",@progbits,_ZN7rocprim17ROCPRIM_400000_NS6detail17trampoline_kernelINS0_14default_configENS1_27scan_by_key_config_selectorIitEEZZNS1_16scan_by_key_implILNS1_25lookback_scan_determinismE0ELb0ES3_N6thrust23THRUST_200600_302600_NS6detail15normal_iteratorINS9_10device_ptrIiEEEENSB_INSC_ItEEEESG_tNS9_4plusIvEENS9_8equal_toIvEEtEE10hipError_tPvRmT2_T3_T4_T5_mT6_T7_P12ihipStream_tbENKUlT_T0_E_clISt17integral_constantIbLb0EES10_IbLb1EEEEDaSW_SX_EUlSW_E_NS1_11comp_targetILNS1_3genE3ELNS1_11target_archE908ELNS1_3gpuE7ELNS1_3repE0EEENS1_30default_config_static_selectorELNS0_4arch9wavefront6targetE1EEEvT1_,comdat
.Lfunc_end1304:
	.size	_ZN7rocprim17ROCPRIM_400000_NS6detail17trampoline_kernelINS0_14default_configENS1_27scan_by_key_config_selectorIitEEZZNS1_16scan_by_key_implILNS1_25lookback_scan_determinismE0ELb0ES3_N6thrust23THRUST_200600_302600_NS6detail15normal_iteratorINS9_10device_ptrIiEEEENSB_INSC_ItEEEESG_tNS9_4plusIvEENS9_8equal_toIvEEtEE10hipError_tPvRmT2_T3_T4_T5_mT6_T7_P12ihipStream_tbENKUlT_T0_E_clISt17integral_constantIbLb0EES10_IbLb1EEEEDaSW_SX_EUlSW_E_NS1_11comp_targetILNS1_3genE3ELNS1_11target_archE908ELNS1_3gpuE7ELNS1_3repE0EEENS1_30default_config_static_selectorELNS0_4arch9wavefront6targetE1EEEvT1_, .Lfunc_end1304-_ZN7rocprim17ROCPRIM_400000_NS6detail17trampoline_kernelINS0_14default_configENS1_27scan_by_key_config_selectorIitEEZZNS1_16scan_by_key_implILNS1_25lookback_scan_determinismE0ELb0ES3_N6thrust23THRUST_200600_302600_NS6detail15normal_iteratorINS9_10device_ptrIiEEEENSB_INSC_ItEEEESG_tNS9_4plusIvEENS9_8equal_toIvEEtEE10hipError_tPvRmT2_T3_T4_T5_mT6_T7_P12ihipStream_tbENKUlT_T0_E_clISt17integral_constantIbLb0EES10_IbLb1EEEEDaSW_SX_EUlSW_E_NS1_11comp_targetILNS1_3genE3ELNS1_11target_archE908ELNS1_3gpuE7ELNS1_3repE0EEENS1_30default_config_static_selectorELNS0_4arch9wavefront6targetE1EEEvT1_
                                        ; -- End function
	.section	.AMDGPU.csdata,"",@progbits
; Kernel info:
; codeLenInByte = 0
; NumSgprs: 6
; NumVgprs: 0
; NumAgprs: 0
; TotalNumVgprs: 0
; ScratchSize: 0
; MemoryBound: 0
; FloatMode: 240
; IeeeMode: 1
; LDSByteSize: 0 bytes/workgroup (compile time only)
; SGPRBlocks: 0
; VGPRBlocks: 0
; NumSGPRsForWavesPerEU: 6
; NumVGPRsForWavesPerEU: 1
; AccumOffset: 4
; Occupancy: 8
; WaveLimiterHint : 0
; COMPUTE_PGM_RSRC2:SCRATCH_EN: 0
; COMPUTE_PGM_RSRC2:USER_SGPR: 2
; COMPUTE_PGM_RSRC2:TRAP_HANDLER: 0
; COMPUTE_PGM_RSRC2:TGID_X_EN: 1
; COMPUTE_PGM_RSRC2:TGID_Y_EN: 0
; COMPUTE_PGM_RSRC2:TGID_Z_EN: 0
; COMPUTE_PGM_RSRC2:TIDIG_COMP_CNT: 0
; COMPUTE_PGM_RSRC3_GFX90A:ACCUM_OFFSET: 0
; COMPUTE_PGM_RSRC3_GFX90A:TG_SPLIT: 0
	.section	.text._ZN7rocprim17ROCPRIM_400000_NS6detail17trampoline_kernelINS0_14default_configENS1_27scan_by_key_config_selectorIitEEZZNS1_16scan_by_key_implILNS1_25lookback_scan_determinismE0ELb0ES3_N6thrust23THRUST_200600_302600_NS6detail15normal_iteratorINS9_10device_ptrIiEEEENSB_INSC_ItEEEESG_tNS9_4plusIvEENS9_8equal_toIvEEtEE10hipError_tPvRmT2_T3_T4_T5_mT6_T7_P12ihipStream_tbENKUlT_T0_E_clISt17integral_constantIbLb0EES10_IbLb1EEEEDaSW_SX_EUlSW_E_NS1_11comp_targetILNS1_3genE2ELNS1_11target_archE906ELNS1_3gpuE6ELNS1_3repE0EEENS1_30default_config_static_selectorELNS0_4arch9wavefront6targetE1EEEvT1_,"axG",@progbits,_ZN7rocprim17ROCPRIM_400000_NS6detail17trampoline_kernelINS0_14default_configENS1_27scan_by_key_config_selectorIitEEZZNS1_16scan_by_key_implILNS1_25lookback_scan_determinismE0ELb0ES3_N6thrust23THRUST_200600_302600_NS6detail15normal_iteratorINS9_10device_ptrIiEEEENSB_INSC_ItEEEESG_tNS9_4plusIvEENS9_8equal_toIvEEtEE10hipError_tPvRmT2_T3_T4_T5_mT6_T7_P12ihipStream_tbENKUlT_T0_E_clISt17integral_constantIbLb0EES10_IbLb1EEEEDaSW_SX_EUlSW_E_NS1_11comp_targetILNS1_3genE2ELNS1_11target_archE906ELNS1_3gpuE6ELNS1_3repE0EEENS1_30default_config_static_selectorELNS0_4arch9wavefront6targetE1EEEvT1_,comdat
	.protected	_ZN7rocprim17ROCPRIM_400000_NS6detail17trampoline_kernelINS0_14default_configENS1_27scan_by_key_config_selectorIitEEZZNS1_16scan_by_key_implILNS1_25lookback_scan_determinismE0ELb0ES3_N6thrust23THRUST_200600_302600_NS6detail15normal_iteratorINS9_10device_ptrIiEEEENSB_INSC_ItEEEESG_tNS9_4plusIvEENS9_8equal_toIvEEtEE10hipError_tPvRmT2_T3_T4_T5_mT6_T7_P12ihipStream_tbENKUlT_T0_E_clISt17integral_constantIbLb0EES10_IbLb1EEEEDaSW_SX_EUlSW_E_NS1_11comp_targetILNS1_3genE2ELNS1_11target_archE906ELNS1_3gpuE6ELNS1_3repE0EEENS1_30default_config_static_selectorELNS0_4arch9wavefront6targetE1EEEvT1_ ; -- Begin function _ZN7rocprim17ROCPRIM_400000_NS6detail17trampoline_kernelINS0_14default_configENS1_27scan_by_key_config_selectorIitEEZZNS1_16scan_by_key_implILNS1_25lookback_scan_determinismE0ELb0ES3_N6thrust23THRUST_200600_302600_NS6detail15normal_iteratorINS9_10device_ptrIiEEEENSB_INSC_ItEEEESG_tNS9_4plusIvEENS9_8equal_toIvEEtEE10hipError_tPvRmT2_T3_T4_T5_mT6_T7_P12ihipStream_tbENKUlT_T0_E_clISt17integral_constantIbLb0EES10_IbLb1EEEEDaSW_SX_EUlSW_E_NS1_11comp_targetILNS1_3genE2ELNS1_11target_archE906ELNS1_3gpuE6ELNS1_3repE0EEENS1_30default_config_static_selectorELNS0_4arch9wavefront6targetE1EEEvT1_
	.globl	_ZN7rocprim17ROCPRIM_400000_NS6detail17trampoline_kernelINS0_14default_configENS1_27scan_by_key_config_selectorIitEEZZNS1_16scan_by_key_implILNS1_25lookback_scan_determinismE0ELb0ES3_N6thrust23THRUST_200600_302600_NS6detail15normal_iteratorINS9_10device_ptrIiEEEENSB_INSC_ItEEEESG_tNS9_4plusIvEENS9_8equal_toIvEEtEE10hipError_tPvRmT2_T3_T4_T5_mT6_T7_P12ihipStream_tbENKUlT_T0_E_clISt17integral_constantIbLb0EES10_IbLb1EEEEDaSW_SX_EUlSW_E_NS1_11comp_targetILNS1_3genE2ELNS1_11target_archE906ELNS1_3gpuE6ELNS1_3repE0EEENS1_30default_config_static_selectorELNS0_4arch9wavefront6targetE1EEEvT1_
	.p2align	8
	.type	_ZN7rocprim17ROCPRIM_400000_NS6detail17trampoline_kernelINS0_14default_configENS1_27scan_by_key_config_selectorIitEEZZNS1_16scan_by_key_implILNS1_25lookback_scan_determinismE0ELb0ES3_N6thrust23THRUST_200600_302600_NS6detail15normal_iteratorINS9_10device_ptrIiEEEENSB_INSC_ItEEEESG_tNS9_4plusIvEENS9_8equal_toIvEEtEE10hipError_tPvRmT2_T3_T4_T5_mT6_T7_P12ihipStream_tbENKUlT_T0_E_clISt17integral_constantIbLb0EES10_IbLb1EEEEDaSW_SX_EUlSW_E_NS1_11comp_targetILNS1_3genE2ELNS1_11target_archE906ELNS1_3gpuE6ELNS1_3repE0EEENS1_30default_config_static_selectorELNS0_4arch9wavefront6targetE1EEEvT1_,@function
_ZN7rocprim17ROCPRIM_400000_NS6detail17trampoline_kernelINS0_14default_configENS1_27scan_by_key_config_selectorIitEEZZNS1_16scan_by_key_implILNS1_25lookback_scan_determinismE0ELb0ES3_N6thrust23THRUST_200600_302600_NS6detail15normal_iteratorINS9_10device_ptrIiEEEENSB_INSC_ItEEEESG_tNS9_4plusIvEENS9_8equal_toIvEEtEE10hipError_tPvRmT2_T3_T4_T5_mT6_T7_P12ihipStream_tbENKUlT_T0_E_clISt17integral_constantIbLb0EES10_IbLb1EEEEDaSW_SX_EUlSW_E_NS1_11comp_targetILNS1_3genE2ELNS1_11target_archE906ELNS1_3gpuE6ELNS1_3repE0EEENS1_30default_config_static_selectorELNS0_4arch9wavefront6targetE1EEEvT1_: ; @_ZN7rocprim17ROCPRIM_400000_NS6detail17trampoline_kernelINS0_14default_configENS1_27scan_by_key_config_selectorIitEEZZNS1_16scan_by_key_implILNS1_25lookback_scan_determinismE0ELb0ES3_N6thrust23THRUST_200600_302600_NS6detail15normal_iteratorINS9_10device_ptrIiEEEENSB_INSC_ItEEEESG_tNS9_4plusIvEENS9_8equal_toIvEEtEE10hipError_tPvRmT2_T3_T4_T5_mT6_T7_P12ihipStream_tbENKUlT_T0_E_clISt17integral_constantIbLb0EES10_IbLb1EEEEDaSW_SX_EUlSW_E_NS1_11comp_targetILNS1_3genE2ELNS1_11target_archE906ELNS1_3gpuE6ELNS1_3repE0EEENS1_30default_config_static_selectorELNS0_4arch9wavefront6targetE1EEEvT1_
; %bb.0:
	.section	.rodata,"a",@progbits
	.p2align	6, 0x0
	.amdhsa_kernel _ZN7rocprim17ROCPRIM_400000_NS6detail17trampoline_kernelINS0_14default_configENS1_27scan_by_key_config_selectorIitEEZZNS1_16scan_by_key_implILNS1_25lookback_scan_determinismE0ELb0ES3_N6thrust23THRUST_200600_302600_NS6detail15normal_iteratorINS9_10device_ptrIiEEEENSB_INSC_ItEEEESG_tNS9_4plusIvEENS9_8equal_toIvEEtEE10hipError_tPvRmT2_T3_T4_T5_mT6_T7_P12ihipStream_tbENKUlT_T0_E_clISt17integral_constantIbLb0EES10_IbLb1EEEEDaSW_SX_EUlSW_E_NS1_11comp_targetILNS1_3genE2ELNS1_11target_archE906ELNS1_3gpuE6ELNS1_3repE0EEENS1_30default_config_static_selectorELNS0_4arch9wavefront6targetE1EEEvT1_
		.amdhsa_group_segment_fixed_size 0
		.amdhsa_private_segment_fixed_size 0
		.amdhsa_kernarg_size 112
		.amdhsa_user_sgpr_count 2
		.amdhsa_user_sgpr_dispatch_ptr 0
		.amdhsa_user_sgpr_queue_ptr 0
		.amdhsa_user_sgpr_kernarg_segment_ptr 1
		.amdhsa_user_sgpr_dispatch_id 0
		.amdhsa_user_sgpr_kernarg_preload_length 0
		.amdhsa_user_sgpr_kernarg_preload_offset 0
		.amdhsa_user_sgpr_private_segment_size 0
		.amdhsa_uses_dynamic_stack 0
		.amdhsa_enable_private_segment 0
		.amdhsa_system_sgpr_workgroup_id_x 1
		.amdhsa_system_sgpr_workgroup_id_y 0
		.amdhsa_system_sgpr_workgroup_id_z 0
		.amdhsa_system_sgpr_workgroup_info 0
		.amdhsa_system_vgpr_workitem_id 0
		.amdhsa_next_free_vgpr 1
		.amdhsa_next_free_sgpr 0
		.amdhsa_accum_offset 4
		.amdhsa_reserve_vcc 0
		.amdhsa_float_round_mode_32 0
		.amdhsa_float_round_mode_16_64 0
		.amdhsa_float_denorm_mode_32 3
		.amdhsa_float_denorm_mode_16_64 3
		.amdhsa_dx10_clamp 1
		.amdhsa_ieee_mode 1
		.amdhsa_fp16_overflow 0
		.amdhsa_tg_split 0
		.amdhsa_exception_fp_ieee_invalid_op 0
		.amdhsa_exception_fp_denorm_src 0
		.amdhsa_exception_fp_ieee_div_zero 0
		.amdhsa_exception_fp_ieee_overflow 0
		.amdhsa_exception_fp_ieee_underflow 0
		.amdhsa_exception_fp_ieee_inexact 0
		.amdhsa_exception_int_div_zero 0
	.end_amdhsa_kernel
	.section	.text._ZN7rocprim17ROCPRIM_400000_NS6detail17trampoline_kernelINS0_14default_configENS1_27scan_by_key_config_selectorIitEEZZNS1_16scan_by_key_implILNS1_25lookback_scan_determinismE0ELb0ES3_N6thrust23THRUST_200600_302600_NS6detail15normal_iteratorINS9_10device_ptrIiEEEENSB_INSC_ItEEEESG_tNS9_4plusIvEENS9_8equal_toIvEEtEE10hipError_tPvRmT2_T3_T4_T5_mT6_T7_P12ihipStream_tbENKUlT_T0_E_clISt17integral_constantIbLb0EES10_IbLb1EEEEDaSW_SX_EUlSW_E_NS1_11comp_targetILNS1_3genE2ELNS1_11target_archE906ELNS1_3gpuE6ELNS1_3repE0EEENS1_30default_config_static_selectorELNS0_4arch9wavefront6targetE1EEEvT1_,"axG",@progbits,_ZN7rocprim17ROCPRIM_400000_NS6detail17trampoline_kernelINS0_14default_configENS1_27scan_by_key_config_selectorIitEEZZNS1_16scan_by_key_implILNS1_25lookback_scan_determinismE0ELb0ES3_N6thrust23THRUST_200600_302600_NS6detail15normal_iteratorINS9_10device_ptrIiEEEENSB_INSC_ItEEEESG_tNS9_4plusIvEENS9_8equal_toIvEEtEE10hipError_tPvRmT2_T3_T4_T5_mT6_T7_P12ihipStream_tbENKUlT_T0_E_clISt17integral_constantIbLb0EES10_IbLb1EEEEDaSW_SX_EUlSW_E_NS1_11comp_targetILNS1_3genE2ELNS1_11target_archE906ELNS1_3gpuE6ELNS1_3repE0EEENS1_30default_config_static_selectorELNS0_4arch9wavefront6targetE1EEEvT1_,comdat
.Lfunc_end1305:
	.size	_ZN7rocprim17ROCPRIM_400000_NS6detail17trampoline_kernelINS0_14default_configENS1_27scan_by_key_config_selectorIitEEZZNS1_16scan_by_key_implILNS1_25lookback_scan_determinismE0ELb0ES3_N6thrust23THRUST_200600_302600_NS6detail15normal_iteratorINS9_10device_ptrIiEEEENSB_INSC_ItEEEESG_tNS9_4plusIvEENS9_8equal_toIvEEtEE10hipError_tPvRmT2_T3_T4_T5_mT6_T7_P12ihipStream_tbENKUlT_T0_E_clISt17integral_constantIbLb0EES10_IbLb1EEEEDaSW_SX_EUlSW_E_NS1_11comp_targetILNS1_3genE2ELNS1_11target_archE906ELNS1_3gpuE6ELNS1_3repE0EEENS1_30default_config_static_selectorELNS0_4arch9wavefront6targetE1EEEvT1_, .Lfunc_end1305-_ZN7rocprim17ROCPRIM_400000_NS6detail17trampoline_kernelINS0_14default_configENS1_27scan_by_key_config_selectorIitEEZZNS1_16scan_by_key_implILNS1_25lookback_scan_determinismE0ELb0ES3_N6thrust23THRUST_200600_302600_NS6detail15normal_iteratorINS9_10device_ptrIiEEEENSB_INSC_ItEEEESG_tNS9_4plusIvEENS9_8equal_toIvEEtEE10hipError_tPvRmT2_T3_T4_T5_mT6_T7_P12ihipStream_tbENKUlT_T0_E_clISt17integral_constantIbLb0EES10_IbLb1EEEEDaSW_SX_EUlSW_E_NS1_11comp_targetILNS1_3genE2ELNS1_11target_archE906ELNS1_3gpuE6ELNS1_3repE0EEENS1_30default_config_static_selectorELNS0_4arch9wavefront6targetE1EEEvT1_
                                        ; -- End function
	.section	.AMDGPU.csdata,"",@progbits
; Kernel info:
; codeLenInByte = 0
; NumSgprs: 6
; NumVgprs: 0
; NumAgprs: 0
; TotalNumVgprs: 0
; ScratchSize: 0
; MemoryBound: 0
; FloatMode: 240
; IeeeMode: 1
; LDSByteSize: 0 bytes/workgroup (compile time only)
; SGPRBlocks: 0
; VGPRBlocks: 0
; NumSGPRsForWavesPerEU: 6
; NumVGPRsForWavesPerEU: 1
; AccumOffset: 4
; Occupancy: 8
; WaveLimiterHint : 0
; COMPUTE_PGM_RSRC2:SCRATCH_EN: 0
; COMPUTE_PGM_RSRC2:USER_SGPR: 2
; COMPUTE_PGM_RSRC2:TRAP_HANDLER: 0
; COMPUTE_PGM_RSRC2:TGID_X_EN: 1
; COMPUTE_PGM_RSRC2:TGID_Y_EN: 0
; COMPUTE_PGM_RSRC2:TGID_Z_EN: 0
; COMPUTE_PGM_RSRC2:TIDIG_COMP_CNT: 0
; COMPUTE_PGM_RSRC3_GFX90A:ACCUM_OFFSET: 0
; COMPUTE_PGM_RSRC3_GFX90A:TG_SPLIT: 0
	.section	.text._ZN7rocprim17ROCPRIM_400000_NS6detail17trampoline_kernelINS0_14default_configENS1_27scan_by_key_config_selectorIitEEZZNS1_16scan_by_key_implILNS1_25lookback_scan_determinismE0ELb0ES3_N6thrust23THRUST_200600_302600_NS6detail15normal_iteratorINS9_10device_ptrIiEEEENSB_INSC_ItEEEESG_tNS9_4plusIvEENS9_8equal_toIvEEtEE10hipError_tPvRmT2_T3_T4_T5_mT6_T7_P12ihipStream_tbENKUlT_T0_E_clISt17integral_constantIbLb0EES10_IbLb1EEEEDaSW_SX_EUlSW_E_NS1_11comp_targetILNS1_3genE10ELNS1_11target_archE1200ELNS1_3gpuE4ELNS1_3repE0EEENS1_30default_config_static_selectorELNS0_4arch9wavefront6targetE1EEEvT1_,"axG",@progbits,_ZN7rocprim17ROCPRIM_400000_NS6detail17trampoline_kernelINS0_14default_configENS1_27scan_by_key_config_selectorIitEEZZNS1_16scan_by_key_implILNS1_25lookback_scan_determinismE0ELb0ES3_N6thrust23THRUST_200600_302600_NS6detail15normal_iteratorINS9_10device_ptrIiEEEENSB_INSC_ItEEEESG_tNS9_4plusIvEENS9_8equal_toIvEEtEE10hipError_tPvRmT2_T3_T4_T5_mT6_T7_P12ihipStream_tbENKUlT_T0_E_clISt17integral_constantIbLb0EES10_IbLb1EEEEDaSW_SX_EUlSW_E_NS1_11comp_targetILNS1_3genE10ELNS1_11target_archE1200ELNS1_3gpuE4ELNS1_3repE0EEENS1_30default_config_static_selectorELNS0_4arch9wavefront6targetE1EEEvT1_,comdat
	.protected	_ZN7rocprim17ROCPRIM_400000_NS6detail17trampoline_kernelINS0_14default_configENS1_27scan_by_key_config_selectorIitEEZZNS1_16scan_by_key_implILNS1_25lookback_scan_determinismE0ELb0ES3_N6thrust23THRUST_200600_302600_NS6detail15normal_iteratorINS9_10device_ptrIiEEEENSB_INSC_ItEEEESG_tNS9_4plusIvEENS9_8equal_toIvEEtEE10hipError_tPvRmT2_T3_T4_T5_mT6_T7_P12ihipStream_tbENKUlT_T0_E_clISt17integral_constantIbLb0EES10_IbLb1EEEEDaSW_SX_EUlSW_E_NS1_11comp_targetILNS1_3genE10ELNS1_11target_archE1200ELNS1_3gpuE4ELNS1_3repE0EEENS1_30default_config_static_selectorELNS0_4arch9wavefront6targetE1EEEvT1_ ; -- Begin function _ZN7rocprim17ROCPRIM_400000_NS6detail17trampoline_kernelINS0_14default_configENS1_27scan_by_key_config_selectorIitEEZZNS1_16scan_by_key_implILNS1_25lookback_scan_determinismE0ELb0ES3_N6thrust23THRUST_200600_302600_NS6detail15normal_iteratorINS9_10device_ptrIiEEEENSB_INSC_ItEEEESG_tNS9_4plusIvEENS9_8equal_toIvEEtEE10hipError_tPvRmT2_T3_T4_T5_mT6_T7_P12ihipStream_tbENKUlT_T0_E_clISt17integral_constantIbLb0EES10_IbLb1EEEEDaSW_SX_EUlSW_E_NS1_11comp_targetILNS1_3genE10ELNS1_11target_archE1200ELNS1_3gpuE4ELNS1_3repE0EEENS1_30default_config_static_selectorELNS0_4arch9wavefront6targetE1EEEvT1_
	.globl	_ZN7rocprim17ROCPRIM_400000_NS6detail17trampoline_kernelINS0_14default_configENS1_27scan_by_key_config_selectorIitEEZZNS1_16scan_by_key_implILNS1_25lookback_scan_determinismE0ELb0ES3_N6thrust23THRUST_200600_302600_NS6detail15normal_iteratorINS9_10device_ptrIiEEEENSB_INSC_ItEEEESG_tNS9_4plusIvEENS9_8equal_toIvEEtEE10hipError_tPvRmT2_T3_T4_T5_mT6_T7_P12ihipStream_tbENKUlT_T0_E_clISt17integral_constantIbLb0EES10_IbLb1EEEEDaSW_SX_EUlSW_E_NS1_11comp_targetILNS1_3genE10ELNS1_11target_archE1200ELNS1_3gpuE4ELNS1_3repE0EEENS1_30default_config_static_selectorELNS0_4arch9wavefront6targetE1EEEvT1_
	.p2align	8
	.type	_ZN7rocprim17ROCPRIM_400000_NS6detail17trampoline_kernelINS0_14default_configENS1_27scan_by_key_config_selectorIitEEZZNS1_16scan_by_key_implILNS1_25lookback_scan_determinismE0ELb0ES3_N6thrust23THRUST_200600_302600_NS6detail15normal_iteratorINS9_10device_ptrIiEEEENSB_INSC_ItEEEESG_tNS9_4plusIvEENS9_8equal_toIvEEtEE10hipError_tPvRmT2_T3_T4_T5_mT6_T7_P12ihipStream_tbENKUlT_T0_E_clISt17integral_constantIbLb0EES10_IbLb1EEEEDaSW_SX_EUlSW_E_NS1_11comp_targetILNS1_3genE10ELNS1_11target_archE1200ELNS1_3gpuE4ELNS1_3repE0EEENS1_30default_config_static_selectorELNS0_4arch9wavefront6targetE1EEEvT1_,@function
_ZN7rocprim17ROCPRIM_400000_NS6detail17trampoline_kernelINS0_14default_configENS1_27scan_by_key_config_selectorIitEEZZNS1_16scan_by_key_implILNS1_25lookback_scan_determinismE0ELb0ES3_N6thrust23THRUST_200600_302600_NS6detail15normal_iteratorINS9_10device_ptrIiEEEENSB_INSC_ItEEEESG_tNS9_4plusIvEENS9_8equal_toIvEEtEE10hipError_tPvRmT2_T3_T4_T5_mT6_T7_P12ihipStream_tbENKUlT_T0_E_clISt17integral_constantIbLb0EES10_IbLb1EEEEDaSW_SX_EUlSW_E_NS1_11comp_targetILNS1_3genE10ELNS1_11target_archE1200ELNS1_3gpuE4ELNS1_3repE0EEENS1_30default_config_static_selectorELNS0_4arch9wavefront6targetE1EEEvT1_: ; @_ZN7rocprim17ROCPRIM_400000_NS6detail17trampoline_kernelINS0_14default_configENS1_27scan_by_key_config_selectorIitEEZZNS1_16scan_by_key_implILNS1_25lookback_scan_determinismE0ELb0ES3_N6thrust23THRUST_200600_302600_NS6detail15normal_iteratorINS9_10device_ptrIiEEEENSB_INSC_ItEEEESG_tNS9_4plusIvEENS9_8equal_toIvEEtEE10hipError_tPvRmT2_T3_T4_T5_mT6_T7_P12ihipStream_tbENKUlT_T0_E_clISt17integral_constantIbLb0EES10_IbLb1EEEEDaSW_SX_EUlSW_E_NS1_11comp_targetILNS1_3genE10ELNS1_11target_archE1200ELNS1_3gpuE4ELNS1_3repE0EEENS1_30default_config_static_selectorELNS0_4arch9wavefront6targetE1EEEvT1_
; %bb.0:
	.section	.rodata,"a",@progbits
	.p2align	6, 0x0
	.amdhsa_kernel _ZN7rocprim17ROCPRIM_400000_NS6detail17trampoline_kernelINS0_14default_configENS1_27scan_by_key_config_selectorIitEEZZNS1_16scan_by_key_implILNS1_25lookback_scan_determinismE0ELb0ES3_N6thrust23THRUST_200600_302600_NS6detail15normal_iteratorINS9_10device_ptrIiEEEENSB_INSC_ItEEEESG_tNS9_4plusIvEENS9_8equal_toIvEEtEE10hipError_tPvRmT2_T3_T4_T5_mT6_T7_P12ihipStream_tbENKUlT_T0_E_clISt17integral_constantIbLb0EES10_IbLb1EEEEDaSW_SX_EUlSW_E_NS1_11comp_targetILNS1_3genE10ELNS1_11target_archE1200ELNS1_3gpuE4ELNS1_3repE0EEENS1_30default_config_static_selectorELNS0_4arch9wavefront6targetE1EEEvT1_
		.amdhsa_group_segment_fixed_size 0
		.amdhsa_private_segment_fixed_size 0
		.amdhsa_kernarg_size 112
		.amdhsa_user_sgpr_count 2
		.amdhsa_user_sgpr_dispatch_ptr 0
		.amdhsa_user_sgpr_queue_ptr 0
		.amdhsa_user_sgpr_kernarg_segment_ptr 1
		.amdhsa_user_sgpr_dispatch_id 0
		.amdhsa_user_sgpr_kernarg_preload_length 0
		.amdhsa_user_sgpr_kernarg_preload_offset 0
		.amdhsa_user_sgpr_private_segment_size 0
		.amdhsa_uses_dynamic_stack 0
		.amdhsa_enable_private_segment 0
		.amdhsa_system_sgpr_workgroup_id_x 1
		.amdhsa_system_sgpr_workgroup_id_y 0
		.amdhsa_system_sgpr_workgroup_id_z 0
		.amdhsa_system_sgpr_workgroup_info 0
		.amdhsa_system_vgpr_workitem_id 0
		.amdhsa_next_free_vgpr 1
		.amdhsa_next_free_sgpr 0
		.amdhsa_accum_offset 4
		.amdhsa_reserve_vcc 0
		.amdhsa_float_round_mode_32 0
		.amdhsa_float_round_mode_16_64 0
		.amdhsa_float_denorm_mode_32 3
		.amdhsa_float_denorm_mode_16_64 3
		.amdhsa_dx10_clamp 1
		.amdhsa_ieee_mode 1
		.amdhsa_fp16_overflow 0
		.amdhsa_tg_split 0
		.amdhsa_exception_fp_ieee_invalid_op 0
		.amdhsa_exception_fp_denorm_src 0
		.amdhsa_exception_fp_ieee_div_zero 0
		.amdhsa_exception_fp_ieee_overflow 0
		.amdhsa_exception_fp_ieee_underflow 0
		.amdhsa_exception_fp_ieee_inexact 0
		.amdhsa_exception_int_div_zero 0
	.end_amdhsa_kernel
	.section	.text._ZN7rocprim17ROCPRIM_400000_NS6detail17trampoline_kernelINS0_14default_configENS1_27scan_by_key_config_selectorIitEEZZNS1_16scan_by_key_implILNS1_25lookback_scan_determinismE0ELb0ES3_N6thrust23THRUST_200600_302600_NS6detail15normal_iteratorINS9_10device_ptrIiEEEENSB_INSC_ItEEEESG_tNS9_4plusIvEENS9_8equal_toIvEEtEE10hipError_tPvRmT2_T3_T4_T5_mT6_T7_P12ihipStream_tbENKUlT_T0_E_clISt17integral_constantIbLb0EES10_IbLb1EEEEDaSW_SX_EUlSW_E_NS1_11comp_targetILNS1_3genE10ELNS1_11target_archE1200ELNS1_3gpuE4ELNS1_3repE0EEENS1_30default_config_static_selectorELNS0_4arch9wavefront6targetE1EEEvT1_,"axG",@progbits,_ZN7rocprim17ROCPRIM_400000_NS6detail17trampoline_kernelINS0_14default_configENS1_27scan_by_key_config_selectorIitEEZZNS1_16scan_by_key_implILNS1_25lookback_scan_determinismE0ELb0ES3_N6thrust23THRUST_200600_302600_NS6detail15normal_iteratorINS9_10device_ptrIiEEEENSB_INSC_ItEEEESG_tNS9_4plusIvEENS9_8equal_toIvEEtEE10hipError_tPvRmT2_T3_T4_T5_mT6_T7_P12ihipStream_tbENKUlT_T0_E_clISt17integral_constantIbLb0EES10_IbLb1EEEEDaSW_SX_EUlSW_E_NS1_11comp_targetILNS1_3genE10ELNS1_11target_archE1200ELNS1_3gpuE4ELNS1_3repE0EEENS1_30default_config_static_selectorELNS0_4arch9wavefront6targetE1EEEvT1_,comdat
.Lfunc_end1306:
	.size	_ZN7rocprim17ROCPRIM_400000_NS6detail17trampoline_kernelINS0_14default_configENS1_27scan_by_key_config_selectorIitEEZZNS1_16scan_by_key_implILNS1_25lookback_scan_determinismE0ELb0ES3_N6thrust23THRUST_200600_302600_NS6detail15normal_iteratorINS9_10device_ptrIiEEEENSB_INSC_ItEEEESG_tNS9_4plusIvEENS9_8equal_toIvEEtEE10hipError_tPvRmT2_T3_T4_T5_mT6_T7_P12ihipStream_tbENKUlT_T0_E_clISt17integral_constantIbLb0EES10_IbLb1EEEEDaSW_SX_EUlSW_E_NS1_11comp_targetILNS1_3genE10ELNS1_11target_archE1200ELNS1_3gpuE4ELNS1_3repE0EEENS1_30default_config_static_selectorELNS0_4arch9wavefront6targetE1EEEvT1_, .Lfunc_end1306-_ZN7rocprim17ROCPRIM_400000_NS6detail17trampoline_kernelINS0_14default_configENS1_27scan_by_key_config_selectorIitEEZZNS1_16scan_by_key_implILNS1_25lookback_scan_determinismE0ELb0ES3_N6thrust23THRUST_200600_302600_NS6detail15normal_iteratorINS9_10device_ptrIiEEEENSB_INSC_ItEEEESG_tNS9_4plusIvEENS9_8equal_toIvEEtEE10hipError_tPvRmT2_T3_T4_T5_mT6_T7_P12ihipStream_tbENKUlT_T0_E_clISt17integral_constantIbLb0EES10_IbLb1EEEEDaSW_SX_EUlSW_E_NS1_11comp_targetILNS1_3genE10ELNS1_11target_archE1200ELNS1_3gpuE4ELNS1_3repE0EEENS1_30default_config_static_selectorELNS0_4arch9wavefront6targetE1EEEvT1_
                                        ; -- End function
	.section	.AMDGPU.csdata,"",@progbits
; Kernel info:
; codeLenInByte = 0
; NumSgprs: 6
; NumVgprs: 0
; NumAgprs: 0
; TotalNumVgprs: 0
; ScratchSize: 0
; MemoryBound: 0
; FloatMode: 240
; IeeeMode: 1
; LDSByteSize: 0 bytes/workgroup (compile time only)
; SGPRBlocks: 0
; VGPRBlocks: 0
; NumSGPRsForWavesPerEU: 6
; NumVGPRsForWavesPerEU: 1
; AccumOffset: 4
; Occupancy: 8
; WaveLimiterHint : 0
; COMPUTE_PGM_RSRC2:SCRATCH_EN: 0
; COMPUTE_PGM_RSRC2:USER_SGPR: 2
; COMPUTE_PGM_RSRC2:TRAP_HANDLER: 0
; COMPUTE_PGM_RSRC2:TGID_X_EN: 1
; COMPUTE_PGM_RSRC2:TGID_Y_EN: 0
; COMPUTE_PGM_RSRC2:TGID_Z_EN: 0
; COMPUTE_PGM_RSRC2:TIDIG_COMP_CNT: 0
; COMPUTE_PGM_RSRC3_GFX90A:ACCUM_OFFSET: 0
; COMPUTE_PGM_RSRC3_GFX90A:TG_SPLIT: 0
	.section	.text._ZN7rocprim17ROCPRIM_400000_NS6detail17trampoline_kernelINS0_14default_configENS1_27scan_by_key_config_selectorIitEEZZNS1_16scan_by_key_implILNS1_25lookback_scan_determinismE0ELb0ES3_N6thrust23THRUST_200600_302600_NS6detail15normal_iteratorINS9_10device_ptrIiEEEENSB_INSC_ItEEEESG_tNS9_4plusIvEENS9_8equal_toIvEEtEE10hipError_tPvRmT2_T3_T4_T5_mT6_T7_P12ihipStream_tbENKUlT_T0_E_clISt17integral_constantIbLb0EES10_IbLb1EEEEDaSW_SX_EUlSW_E_NS1_11comp_targetILNS1_3genE9ELNS1_11target_archE1100ELNS1_3gpuE3ELNS1_3repE0EEENS1_30default_config_static_selectorELNS0_4arch9wavefront6targetE1EEEvT1_,"axG",@progbits,_ZN7rocprim17ROCPRIM_400000_NS6detail17trampoline_kernelINS0_14default_configENS1_27scan_by_key_config_selectorIitEEZZNS1_16scan_by_key_implILNS1_25lookback_scan_determinismE0ELb0ES3_N6thrust23THRUST_200600_302600_NS6detail15normal_iteratorINS9_10device_ptrIiEEEENSB_INSC_ItEEEESG_tNS9_4plusIvEENS9_8equal_toIvEEtEE10hipError_tPvRmT2_T3_T4_T5_mT6_T7_P12ihipStream_tbENKUlT_T0_E_clISt17integral_constantIbLb0EES10_IbLb1EEEEDaSW_SX_EUlSW_E_NS1_11comp_targetILNS1_3genE9ELNS1_11target_archE1100ELNS1_3gpuE3ELNS1_3repE0EEENS1_30default_config_static_selectorELNS0_4arch9wavefront6targetE1EEEvT1_,comdat
	.protected	_ZN7rocprim17ROCPRIM_400000_NS6detail17trampoline_kernelINS0_14default_configENS1_27scan_by_key_config_selectorIitEEZZNS1_16scan_by_key_implILNS1_25lookback_scan_determinismE0ELb0ES3_N6thrust23THRUST_200600_302600_NS6detail15normal_iteratorINS9_10device_ptrIiEEEENSB_INSC_ItEEEESG_tNS9_4plusIvEENS9_8equal_toIvEEtEE10hipError_tPvRmT2_T3_T4_T5_mT6_T7_P12ihipStream_tbENKUlT_T0_E_clISt17integral_constantIbLb0EES10_IbLb1EEEEDaSW_SX_EUlSW_E_NS1_11comp_targetILNS1_3genE9ELNS1_11target_archE1100ELNS1_3gpuE3ELNS1_3repE0EEENS1_30default_config_static_selectorELNS0_4arch9wavefront6targetE1EEEvT1_ ; -- Begin function _ZN7rocprim17ROCPRIM_400000_NS6detail17trampoline_kernelINS0_14default_configENS1_27scan_by_key_config_selectorIitEEZZNS1_16scan_by_key_implILNS1_25lookback_scan_determinismE0ELb0ES3_N6thrust23THRUST_200600_302600_NS6detail15normal_iteratorINS9_10device_ptrIiEEEENSB_INSC_ItEEEESG_tNS9_4plusIvEENS9_8equal_toIvEEtEE10hipError_tPvRmT2_T3_T4_T5_mT6_T7_P12ihipStream_tbENKUlT_T0_E_clISt17integral_constantIbLb0EES10_IbLb1EEEEDaSW_SX_EUlSW_E_NS1_11comp_targetILNS1_3genE9ELNS1_11target_archE1100ELNS1_3gpuE3ELNS1_3repE0EEENS1_30default_config_static_selectorELNS0_4arch9wavefront6targetE1EEEvT1_
	.globl	_ZN7rocprim17ROCPRIM_400000_NS6detail17trampoline_kernelINS0_14default_configENS1_27scan_by_key_config_selectorIitEEZZNS1_16scan_by_key_implILNS1_25lookback_scan_determinismE0ELb0ES3_N6thrust23THRUST_200600_302600_NS6detail15normal_iteratorINS9_10device_ptrIiEEEENSB_INSC_ItEEEESG_tNS9_4plusIvEENS9_8equal_toIvEEtEE10hipError_tPvRmT2_T3_T4_T5_mT6_T7_P12ihipStream_tbENKUlT_T0_E_clISt17integral_constantIbLb0EES10_IbLb1EEEEDaSW_SX_EUlSW_E_NS1_11comp_targetILNS1_3genE9ELNS1_11target_archE1100ELNS1_3gpuE3ELNS1_3repE0EEENS1_30default_config_static_selectorELNS0_4arch9wavefront6targetE1EEEvT1_
	.p2align	8
	.type	_ZN7rocprim17ROCPRIM_400000_NS6detail17trampoline_kernelINS0_14default_configENS1_27scan_by_key_config_selectorIitEEZZNS1_16scan_by_key_implILNS1_25lookback_scan_determinismE0ELb0ES3_N6thrust23THRUST_200600_302600_NS6detail15normal_iteratorINS9_10device_ptrIiEEEENSB_INSC_ItEEEESG_tNS9_4plusIvEENS9_8equal_toIvEEtEE10hipError_tPvRmT2_T3_T4_T5_mT6_T7_P12ihipStream_tbENKUlT_T0_E_clISt17integral_constantIbLb0EES10_IbLb1EEEEDaSW_SX_EUlSW_E_NS1_11comp_targetILNS1_3genE9ELNS1_11target_archE1100ELNS1_3gpuE3ELNS1_3repE0EEENS1_30default_config_static_selectorELNS0_4arch9wavefront6targetE1EEEvT1_,@function
_ZN7rocprim17ROCPRIM_400000_NS6detail17trampoline_kernelINS0_14default_configENS1_27scan_by_key_config_selectorIitEEZZNS1_16scan_by_key_implILNS1_25lookback_scan_determinismE0ELb0ES3_N6thrust23THRUST_200600_302600_NS6detail15normal_iteratorINS9_10device_ptrIiEEEENSB_INSC_ItEEEESG_tNS9_4plusIvEENS9_8equal_toIvEEtEE10hipError_tPvRmT2_T3_T4_T5_mT6_T7_P12ihipStream_tbENKUlT_T0_E_clISt17integral_constantIbLb0EES10_IbLb1EEEEDaSW_SX_EUlSW_E_NS1_11comp_targetILNS1_3genE9ELNS1_11target_archE1100ELNS1_3gpuE3ELNS1_3repE0EEENS1_30default_config_static_selectorELNS0_4arch9wavefront6targetE1EEEvT1_: ; @_ZN7rocprim17ROCPRIM_400000_NS6detail17trampoline_kernelINS0_14default_configENS1_27scan_by_key_config_selectorIitEEZZNS1_16scan_by_key_implILNS1_25lookback_scan_determinismE0ELb0ES3_N6thrust23THRUST_200600_302600_NS6detail15normal_iteratorINS9_10device_ptrIiEEEENSB_INSC_ItEEEESG_tNS9_4plusIvEENS9_8equal_toIvEEtEE10hipError_tPvRmT2_T3_T4_T5_mT6_T7_P12ihipStream_tbENKUlT_T0_E_clISt17integral_constantIbLb0EES10_IbLb1EEEEDaSW_SX_EUlSW_E_NS1_11comp_targetILNS1_3genE9ELNS1_11target_archE1100ELNS1_3gpuE3ELNS1_3repE0EEENS1_30default_config_static_selectorELNS0_4arch9wavefront6targetE1EEEvT1_
; %bb.0:
	.section	.rodata,"a",@progbits
	.p2align	6, 0x0
	.amdhsa_kernel _ZN7rocprim17ROCPRIM_400000_NS6detail17trampoline_kernelINS0_14default_configENS1_27scan_by_key_config_selectorIitEEZZNS1_16scan_by_key_implILNS1_25lookback_scan_determinismE0ELb0ES3_N6thrust23THRUST_200600_302600_NS6detail15normal_iteratorINS9_10device_ptrIiEEEENSB_INSC_ItEEEESG_tNS9_4plusIvEENS9_8equal_toIvEEtEE10hipError_tPvRmT2_T3_T4_T5_mT6_T7_P12ihipStream_tbENKUlT_T0_E_clISt17integral_constantIbLb0EES10_IbLb1EEEEDaSW_SX_EUlSW_E_NS1_11comp_targetILNS1_3genE9ELNS1_11target_archE1100ELNS1_3gpuE3ELNS1_3repE0EEENS1_30default_config_static_selectorELNS0_4arch9wavefront6targetE1EEEvT1_
		.amdhsa_group_segment_fixed_size 0
		.amdhsa_private_segment_fixed_size 0
		.amdhsa_kernarg_size 112
		.amdhsa_user_sgpr_count 2
		.amdhsa_user_sgpr_dispatch_ptr 0
		.amdhsa_user_sgpr_queue_ptr 0
		.amdhsa_user_sgpr_kernarg_segment_ptr 1
		.amdhsa_user_sgpr_dispatch_id 0
		.amdhsa_user_sgpr_kernarg_preload_length 0
		.amdhsa_user_sgpr_kernarg_preload_offset 0
		.amdhsa_user_sgpr_private_segment_size 0
		.amdhsa_uses_dynamic_stack 0
		.amdhsa_enable_private_segment 0
		.amdhsa_system_sgpr_workgroup_id_x 1
		.amdhsa_system_sgpr_workgroup_id_y 0
		.amdhsa_system_sgpr_workgroup_id_z 0
		.amdhsa_system_sgpr_workgroup_info 0
		.amdhsa_system_vgpr_workitem_id 0
		.amdhsa_next_free_vgpr 1
		.amdhsa_next_free_sgpr 0
		.amdhsa_accum_offset 4
		.amdhsa_reserve_vcc 0
		.amdhsa_float_round_mode_32 0
		.amdhsa_float_round_mode_16_64 0
		.amdhsa_float_denorm_mode_32 3
		.amdhsa_float_denorm_mode_16_64 3
		.amdhsa_dx10_clamp 1
		.amdhsa_ieee_mode 1
		.amdhsa_fp16_overflow 0
		.amdhsa_tg_split 0
		.amdhsa_exception_fp_ieee_invalid_op 0
		.amdhsa_exception_fp_denorm_src 0
		.amdhsa_exception_fp_ieee_div_zero 0
		.amdhsa_exception_fp_ieee_overflow 0
		.amdhsa_exception_fp_ieee_underflow 0
		.amdhsa_exception_fp_ieee_inexact 0
		.amdhsa_exception_int_div_zero 0
	.end_amdhsa_kernel
	.section	.text._ZN7rocprim17ROCPRIM_400000_NS6detail17trampoline_kernelINS0_14default_configENS1_27scan_by_key_config_selectorIitEEZZNS1_16scan_by_key_implILNS1_25lookback_scan_determinismE0ELb0ES3_N6thrust23THRUST_200600_302600_NS6detail15normal_iteratorINS9_10device_ptrIiEEEENSB_INSC_ItEEEESG_tNS9_4plusIvEENS9_8equal_toIvEEtEE10hipError_tPvRmT2_T3_T4_T5_mT6_T7_P12ihipStream_tbENKUlT_T0_E_clISt17integral_constantIbLb0EES10_IbLb1EEEEDaSW_SX_EUlSW_E_NS1_11comp_targetILNS1_3genE9ELNS1_11target_archE1100ELNS1_3gpuE3ELNS1_3repE0EEENS1_30default_config_static_selectorELNS0_4arch9wavefront6targetE1EEEvT1_,"axG",@progbits,_ZN7rocprim17ROCPRIM_400000_NS6detail17trampoline_kernelINS0_14default_configENS1_27scan_by_key_config_selectorIitEEZZNS1_16scan_by_key_implILNS1_25lookback_scan_determinismE0ELb0ES3_N6thrust23THRUST_200600_302600_NS6detail15normal_iteratorINS9_10device_ptrIiEEEENSB_INSC_ItEEEESG_tNS9_4plusIvEENS9_8equal_toIvEEtEE10hipError_tPvRmT2_T3_T4_T5_mT6_T7_P12ihipStream_tbENKUlT_T0_E_clISt17integral_constantIbLb0EES10_IbLb1EEEEDaSW_SX_EUlSW_E_NS1_11comp_targetILNS1_3genE9ELNS1_11target_archE1100ELNS1_3gpuE3ELNS1_3repE0EEENS1_30default_config_static_selectorELNS0_4arch9wavefront6targetE1EEEvT1_,comdat
.Lfunc_end1307:
	.size	_ZN7rocprim17ROCPRIM_400000_NS6detail17trampoline_kernelINS0_14default_configENS1_27scan_by_key_config_selectorIitEEZZNS1_16scan_by_key_implILNS1_25lookback_scan_determinismE0ELb0ES3_N6thrust23THRUST_200600_302600_NS6detail15normal_iteratorINS9_10device_ptrIiEEEENSB_INSC_ItEEEESG_tNS9_4plusIvEENS9_8equal_toIvEEtEE10hipError_tPvRmT2_T3_T4_T5_mT6_T7_P12ihipStream_tbENKUlT_T0_E_clISt17integral_constantIbLb0EES10_IbLb1EEEEDaSW_SX_EUlSW_E_NS1_11comp_targetILNS1_3genE9ELNS1_11target_archE1100ELNS1_3gpuE3ELNS1_3repE0EEENS1_30default_config_static_selectorELNS0_4arch9wavefront6targetE1EEEvT1_, .Lfunc_end1307-_ZN7rocprim17ROCPRIM_400000_NS6detail17trampoline_kernelINS0_14default_configENS1_27scan_by_key_config_selectorIitEEZZNS1_16scan_by_key_implILNS1_25lookback_scan_determinismE0ELb0ES3_N6thrust23THRUST_200600_302600_NS6detail15normal_iteratorINS9_10device_ptrIiEEEENSB_INSC_ItEEEESG_tNS9_4plusIvEENS9_8equal_toIvEEtEE10hipError_tPvRmT2_T3_T4_T5_mT6_T7_P12ihipStream_tbENKUlT_T0_E_clISt17integral_constantIbLb0EES10_IbLb1EEEEDaSW_SX_EUlSW_E_NS1_11comp_targetILNS1_3genE9ELNS1_11target_archE1100ELNS1_3gpuE3ELNS1_3repE0EEENS1_30default_config_static_selectorELNS0_4arch9wavefront6targetE1EEEvT1_
                                        ; -- End function
	.section	.AMDGPU.csdata,"",@progbits
; Kernel info:
; codeLenInByte = 0
; NumSgprs: 6
; NumVgprs: 0
; NumAgprs: 0
; TotalNumVgprs: 0
; ScratchSize: 0
; MemoryBound: 0
; FloatMode: 240
; IeeeMode: 1
; LDSByteSize: 0 bytes/workgroup (compile time only)
; SGPRBlocks: 0
; VGPRBlocks: 0
; NumSGPRsForWavesPerEU: 6
; NumVGPRsForWavesPerEU: 1
; AccumOffset: 4
; Occupancy: 8
; WaveLimiterHint : 0
; COMPUTE_PGM_RSRC2:SCRATCH_EN: 0
; COMPUTE_PGM_RSRC2:USER_SGPR: 2
; COMPUTE_PGM_RSRC2:TRAP_HANDLER: 0
; COMPUTE_PGM_RSRC2:TGID_X_EN: 1
; COMPUTE_PGM_RSRC2:TGID_Y_EN: 0
; COMPUTE_PGM_RSRC2:TGID_Z_EN: 0
; COMPUTE_PGM_RSRC2:TIDIG_COMP_CNT: 0
; COMPUTE_PGM_RSRC3_GFX90A:ACCUM_OFFSET: 0
; COMPUTE_PGM_RSRC3_GFX90A:TG_SPLIT: 0
	.section	.text._ZN7rocprim17ROCPRIM_400000_NS6detail17trampoline_kernelINS0_14default_configENS1_27scan_by_key_config_selectorIitEEZZNS1_16scan_by_key_implILNS1_25lookback_scan_determinismE0ELb0ES3_N6thrust23THRUST_200600_302600_NS6detail15normal_iteratorINS9_10device_ptrIiEEEENSB_INSC_ItEEEESG_tNS9_4plusIvEENS9_8equal_toIvEEtEE10hipError_tPvRmT2_T3_T4_T5_mT6_T7_P12ihipStream_tbENKUlT_T0_E_clISt17integral_constantIbLb0EES10_IbLb1EEEEDaSW_SX_EUlSW_E_NS1_11comp_targetILNS1_3genE8ELNS1_11target_archE1030ELNS1_3gpuE2ELNS1_3repE0EEENS1_30default_config_static_selectorELNS0_4arch9wavefront6targetE1EEEvT1_,"axG",@progbits,_ZN7rocprim17ROCPRIM_400000_NS6detail17trampoline_kernelINS0_14default_configENS1_27scan_by_key_config_selectorIitEEZZNS1_16scan_by_key_implILNS1_25lookback_scan_determinismE0ELb0ES3_N6thrust23THRUST_200600_302600_NS6detail15normal_iteratorINS9_10device_ptrIiEEEENSB_INSC_ItEEEESG_tNS9_4plusIvEENS9_8equal_toIvEEtEE10hipError_tPvRmT2_T3_T4_T5_mT6_T7_P12ihipStream_tbENKUlT_T0_E_clISt17integral_constantIbLb0EES10_IbLb1EEEEDaSW_SX_EUlSW_E_NS1_11comp_targetILNS1_3genE8ELNS1_11target_archE1030ELNS1_3gpuE2ELNS1_3repE0EEENS1_30default_config_static_selectorELNS0_4arch9wavefront6targetE1EEEvT1_,comdat
	.protected	_ZN7rocprim17ROCPRIM_400000_NS6detail17trampoline_kernelINS0_14default_configENS1_27scan_by_key_config_selectorIitEEZZNS1_16scan_by_key_implILNS1_25lookback_scan_determinismE0ELb0ES3_N6thrust23THRUST_200600_302600_NS6detail15normal_iteratorINS9_10device_ptrIiEEEENSB_INSC_ItEEEESG_tNS9_4plusIvEENS9_8equal_toIvEEtEE10hipError_tPvRmT2_T3_T4_T5_mT6_T7_P12ihipStream_tbENKUlT_T0_E_clISt17integral_constantIbLb0EES10_IbLb1EEEEDaSW_SX_EUlSW_E_NS1_11comp_targetILNS1_3genE8ELNS1_11target_archE1030ELNS1_3gpuE2ELNS1_3repE0EEENS1_30default_config_static_selectorELNS0_4arch9wavefront6targetE1EEEvT1_ ; -- Begin function _ZN7rocprim17ROCPRIM_400000_NS6detail17trampoline_kernelINS0_14default_configENS1_27scan_by_key_config_selectorIitEEZZNS1_16scan_by_key_implILNS1_25lookback_scan_determinismE0ELb0ES3_N6thrust23THRUST_200600_302600_NS6detail15normal_iteratorINS9_10device_ptrIiEEEENSB_INSC_ItEEEESG_tNS9_4plusIvEENS9_8equal_toIvEEtEE10hipError_tPvRmT2_T3_T4_T5_mT6_T7_P12ihipStream_tbENKUlT_T0_E_clISt17integral_constantIbLb0EES10_IbLb1EEEEDaSW_SX_EUlSW_E_NS1_11comp_targetILNS1_3genE8ELNS1_11target_archE1030ELNS1_3gpuE2ELNS1_3repE0EEENS1_30default_config_static_selectorELNS0_4arch9wavefront6targetE1EEEvT1_
	.globl	_ZN7rocprim17ROCPRIM_400000_NS6detail17trampoline_kernelINS0_14default_configENS1_27scan_by_key_config_selectorIitEEZZNS1_16scan_by_key_implILNS1_25lookback_scan_determinismE0ELb0ES3_N6thrust23THRUST_200600_302600_NS6detail15normal_iteratorINS9_10device_ptrIiEEEENSB_INSC_ItEEEESG_tNS9_4plusIvEENS9_8equal_toIvEEtEE10hipError_tPvRmT2_T3_T4_T5_mT6_T7_P12ihipStream_tbENKUlT_T0_E_clISt17integral_constantIbLb0EES10_IbLb1EEEEDaSW_SX_EUlSW_E_NS1_11comp_targetILNS1_3genE8ELNS1_11target_archE1030ELNS1_3gpuE2ELNS1_3repE0EEENS1_30default_config_static_selectorELNS0_4arch9wavefront6targetE1EEEvT1_
	.p2align	8
	.type	_ZN7rocprim17ROCPRIM_400000_NS6detail17trampoline_kernelINS0_14default_configENS1_27scan_by_key_config_selectorIitEEZZNS1_16scan_by_key_implILNS1_25lookback_scan_determinismE0ELb0ES3_N6thrust23THRUST_200600_302600_NS6detail15normal_iteratorINS9_10device_ptrIiEEEENSB_INSC_ItEEEESG_tNS9_4plusIvEENS9_8equal_toIvEEtEE10hipError_tPvRmT2_T3_T4_T5_mT6_T7_P12ihipStream_tbENKUlT_T0_E_clISt17integral_constantIbLb0EES10_IbLb1EEEEDaSW_SX_EUlSW_E_NS1_11comp_targetILNS1_3genE8ELNS1_11target_archE1030ELNS1_3gpuE2ELNS1_3repE0EEENS1_30default_config_static_selectorELNS0_4arch9wavefront6targetE1EEEvT1_,@function
_ZN7rocprim17ROCPRIM_400000_NS6detail17trampoline_kernelINS0_14default_configENS1_27scan_by_key_config_selectorIitEEZZNS1_16scan_by_key_implILNS1_25lookback_scan_determinismE0ELb0ES3_N6thrust23THRUST_200600_302600_NS6detail15normal_iteratorINS9_10device_ptrIiEEEENSB_INSC_ItEEEESG_tNS9_4plusIvEENS9_8equal_toIvEEtEE10hipError_tPvRmT2_T3_T4_T5_mT6_T7_P12ihipStream_tbENKUlT_T0_E_clISt17integral_constantIbLb0EES10_IbLb1EEEEDaSW_SX_EUlSW_E_NS1_11comp_targetILNS1_3genE8ELNS1_11target_archE1030ELNS1_3gpuE2ELNS1_3repE0EEENS1_30default_config_static_selectorELNS0_4arch9wavefront6targetE1EEEvT1_: ; @_ZN7rocprim17ROCPRIM_400000_NS6detail17trampoline_kernelINS0_14default_configENS1_27scan_by_key_config_selectorIitEEZZNS1_16scan_by_key_implILNS1_25lookback_scan_determinismE0ELb0ES3_N6thrust23THRUST_200600_302600_NS6detail15normal_iteratorINS9_10device_ptrIiEEEENSB_INSC_ItEEEESG_tNS9_4plusIvEENS9_8equal_toIvEEtEE10hipError_tPvRmT2_T3_T4_T5_mT6_T7_P12ihipStream_tbENKUlT_T0_E_clISt17integral_constantIbLb0EES10_IbLb1EEEEDaSW_SX_EUlSW_E_NS1_11comp_targetILNS1_3genE8ELNS1_11target_archE1030ELNS1_3gpuE2ELNS1_3repE0EEENS1_30default_config_static_selectorELNS0_4arch9wavefront6targetE1EEEvT1_
; %bb.0:
	.section	.rodata,"a",@progbits
	.p2align	6, 0x0
	.amdhsa_kernel _ZN7rocprim17ROCPRIM_400000_NS6detail17trampoline_kernelINS0_14default_configENS1_27scan_by_key_config_selectorIitEEZZNS1_16scan_by_key_implILNS1_25lookback_scan_determinismE0ELb0ES3_N6thrust23THRUST_200600_302600_NS6detail15normal_iteratorINS9_10device_ptrIiEEEENSB_INSC_ItEEEESG_tNS9_4plusIvEENS9_8equal_toIvEEtEE10hipError_tPvRmT2_T3_T4_T5_mT6_T7_P12ihipStream_tbENKUlT_T0_E_clISt17integral_constantIbLb0EES10_IbLb1EEEEDaSW_SX_EUlSW_E_NS1_11comp_targetILNS1_3genE8ELNS1_11target_archE1030ELNS1_3gpuE2ELNS1_3repE0EEENS1_30default_config_static_selectorELNS0_4arch9wavefront6targetE1EEEvT1_
		.amdhsa_group_segment_fixed_size 0
		.amdhsa_private_segment_fixed_size 0
		.amdhsa_kernarg_size 112
		.amdhsa_user_sgpr_count 2
		.amdhsa_user_sgpr_dispatch_ptr 0
		.amdhsa_user_sgpr_queue_ptr 0
		.amdhsa_user_sgpr_kernarg_segment_ptr 1
		.amdhsa_user_sgpr_dispatch_id 0
		.amdhsa_user_sgpr_kernarg_preload_length 0
		.amdhsa_user_sgpr_kernarg_preload_offset 0
		.amdhsa_user_sgpr_private_segment_size 0
		.amdhsa_uses_dynamic_stack 0
		.amdhsa_enable_private_segment 0
		.amdhsa_system_sgpr_workgroup_id_x 1
		.amdhsa_system_sgpr_workgroup_id_y 0
		.amdhsa_system_sgpr_workgroup_id_z 0
		.amdhsa_system_sgpr_workgroup_info 0
		.amdhsa_system_vgpr_workitem_id 0
		.amdhsa_next_free_vgpr 1
		.amdhsa_next_free_sgpr 0
		.amdhsa_accum_offset 4
		.amdhsa_reserve_vcc 0
		.amdhsa_float_round_mode_32 0
		.amdhsa_float_round_mode_16_64 0
		.amdhsa_float_denorm_mode_32 3
		.amdhsa_float_denorm_mode_16_64 3
		.amdhsa_dx10_clamp 1
		.amdhsa_ieee_mode 1
		.amdhsa_fp16_overflow 0
		.amdhsa_tg_split 0
		.amdhsa_exception_fp_ieee_invalid_op 0
		.amdhsa_exception_fp_denorm_src 0
		.amdhsa_exception_fp_ieee_div_zero 0
		.amdhsa_exception_fp_ieee_overflow 0
		.amdhsa_exception_fp_ieee_underflow 0
		.amdhsa_exception_fp_ieee_inexact 0
		.amdhsa_exception_int_div_zero 0
	.end_amdhsa_kernel
	.section	.text._ZN7rocprim17ROCPRIM_400000_NS6detail17trampoline_kernelINS0_14default_configENS1_27scan_by_key_config_selectorIitEEZZNS1_16scan_by_key_implILNS1_25lookback_scan_determinismE0ELb0ES3_N6thrust23THRUST_200600_302600_NS6detail15normal_iteratorINS9_10device_ptrIiEEEENSB_INSC_ItEEEESG_tNS9_4plusIvEENS9_8equal_toIvEEtEE10hipError_tPvRmT2_T3_T4_T5_mT6_T7_P12ihipStream_tbENKUlT_T0_E_clISt17integral_constantIbLb0EES10_IbLb1EEEEDaSW_SX_EUlSW_E_NS1_11comp_targetILNS1_3genE8ELNS1_11target_archE1030ELNS1_3gpuE2ELNS1_3repE0EEENS1_30default_config_static_selectorELNS0_4arch9wavefront6targetE1EEEvT1_,"axG",@progbits,_ZN7rocprim17ROCPRIM_400000_NS6detail17trampoline_kernelINS0_14default_configENS1_27scan_by_key_config_selectorIitEEZZNS1_16scan_by_key_implILNS1_25lookback_scan_determinismE0ELb0ES3_N6thrust23THRUST_200600_302600_NS6detail15normal_iteratorINS9_10device_ptrIiEEEENSB_INSC_ItEEEESG_tNS9_4plusIvEENS9_8equal_toIvEEtEE10hipError_tPvRmT2_T3_T4_T5_mT6_T7_P12ihipStream_tbENKUlT_T0_E_clISt17integral_constantIbLb0EES10_IbLb1EEEEDaSW_SX_EUlSW_E_NS1_11comp_targetILNS1_3genE8ELNS1_11target_archE1030ELNS1_3gpuE2ELNS1_3repE0EEENS1_30default_config_static_selectorELNS0_4arch9wavefront6targetE1EEEvT1_,comdat
.Lfunc_end1308:
	.size	_ZN7rocprim17ROCPRIM_400000_NS6detail17trampoline_kernelINS0_14default_configENS1_27scan_by_key_config_selectorIitEEZZNS1_16scan_by_key_implILNS1_25lookback_scan_determinismE0ELb0ES3_N6thrust23THRUST_200600_302600_NS6detail15normal_iteratorINS9_10device_ptrIiEEEENSB_INSC_ItEEEESG_tNS9_4plusIvEENS9_8equal_toIvEEtEE10hipError_tPvRmT2_T3_T4_T5_mT6_T7_P12ihipStream_tbENKUlT_T0_E_clISt17integral_constantIbLb0EES10_IbLb1EEEEDaSW_SX_EUlSW_E_NS1_11comp_targetILNS1_3genE8ELNS1_11target_archE1030ELNS1_3gpuE2ELNS1_3repE0EEENS1_30default_config_static_selectorELNS0_4arch9wavefront6targetE1EEEvT1_, .Lfunc_end1308-_ZN7rocprim17ROCPRIM_400000_NS6detail17trampoline_kernelINS0_14default_configENS1_27scan_by_key_config_selectorIitEEZZNS1_16scan_by_key_implILNS1_25lookback_scan_determinismE0ELb0ES3_N6thrust23THRUST_200600_302600_NS6detail15normal_iteratorINS9_10device_ptrIiEEEENSB_INSC_ItEEEESG_tNS9_4plusIvEENS9_8equal_toIvEEtEE10hipError_tPvRmT2_T3_T4_T5_mT6_T7_P12ihipStream_tbENKUlT_T0_E_clISt17integral_constantIbLb0EES10_IbLb1EEEEDaSW_SX_EUlSW_E_NS1_11comp_targetILNS1_3genE8ELNS1_11target_archE1030ELNS1_3gpuE2ELNS1_3repE0EEENS1_30default_config_static_selectorELNS0_4arch9wavefront6targetE1EEEvT1_
                                        ; -- End function
	.section	.AMDGPU.csdata,"",@progbits
; Kernel info:
; codeLenInByte = 0
; NumSgprs: 6
; NumVgprs: 0
; NumAgprs: 0
; TotalNumVgprs: 0
; ScratchSize: 0
; MemoryBound: 0
; FloatMode: 240
; IeeeMode: 1
; LDSByteSize: 0 bytes/workgroup (compile time only)
; SGPRBlocks: 0
; VGPRBlocks: 0
; NumSGPRsForWavesPerEU: 6
; NumVGPRsForWavesPerEU: 1
; AccumOffset: 4
; Occupancy: 8
; WaveLimiterHint : 0
; COMPUTE_PGM_RSRC2:SCRATCH_EN: 0
; COMPUTE_PGM_RSRC2:USER_SGPR: 2
; COMPUTE_PGM_RSRC2:TRAP_HANDLER: 0
; COMPUTE_PGM_RSRC2:TGID_X_EN: 1
; COMPUTE_PGM_RSRC2:TGID_Y_EN: 0
; COMPUTE_PGM_RSRC2:TGID_Z_EN: 0
; COMPUTE_PGM_RSRC2:TIDIG_COMP_CNT: 0
; COMPUTE_PGM_RSRC3_GFX90A:ACCUM_OFFSET: 0
; COMPUTE_PGM_RSRC3_GFX90A:TG_SPLIT: 0
	.section	.text._ZN6thrust23THRUST_200600_302600_NS11hip_rocprim14__parallel_for6kernelILj256ENS1_11__transform17unary_transform_fINS0_7pointerIiNS1_3tagENS0_11use_defaultES8_EENS0_10device_ptrIxEENS4_14no_stencil_tagENS0_8identityIiEENS4_21always_true_predicateEEElLj1EEEvT0_T1_SI_,"axG",@progbits,_ZN6thrust23THRUST_200600_302600_NS11hip_rocprim14__parallel_for6kernelILj256ENS1_11__transform17unary_transform_fINS0_7pointerIiNS1_3tagENS0_11use_defaultES8_EENS0_10device_ptrIxEENS4_14no_stencil_tagENS0_8identityIiEENS4_21always_true_predicateEEElLj1EEEvT0_T1_SI_,comdat
	.protected	_ZN6thrust23THRUST_200600_302600_NS11hip_rocprim14__parallel_for6kernelILj256ENS1_11__transform17unary_transform_fINS0_7pointerIiNS1_3tagENS0_11use_defaultES8_EENS0_10device_ptrIxEENS4_14no_stencil_tagENS0_8identityIiEENS4_21always_true_predicateEEElLj1EEEvT0_T1_SI_ ; -- Begin function _ZN6thrust23THRUST_200600_302600_NS11hip_rocprim14__parallel_for6kernelILj256ENS1_11__transform17unary_transform_fINS0_7pointerIiNS1_3tagENS0_11use_defaultES8_EENS0_10device_ptrIxEENS4_14no_stencil_tagENS0_8identityIiEENS4_21always_true_predicateEEElLj1EEEvT0_T1_SI_
	.globl	_ZN6thrust23THRUST_200600_302600_NS11hip_rocprim14__parallel_for6kernelILj256ENS1_11__transform17unary_transform_fINS0_7pointerIiNS1_3tagENS0_11use_defaultES8_EENS0_10device_ptrIxEENS4_14no_stencil_tagENS0_8identityIiEENS4_21always_true_predicateEEElLj1EEEvT0_T1_SI_
	.p2align	8
	.type	_ZN6thrust23THRUST_200600_302600_NS11hip_rocprim14__parallel_for6kernelILj256ENS1_11__transform17unary_transform_fINS0_7pointerIiNS1_3tagENS0_11use_defaultES8_EENS0_10device_ptrIxEENS4_14no_stencil_tagENS0_8identityIiEENS4_21always_true_predicateEEElLj1EEEvT0_T1_SI_,@function
_ZN6thrust23THRUST_200600_302600_NS11hip_rocprim14__parallel_for6kernelILj256ENS1_11__transform17unary_transform_fINS0_7pointerIiNS1_3tagENS0_11use_defaultES8_EENS0_10device_ptrIxEENS4_14no_stencil_tagENS0_8identityIiEENS4_21always_true_predicateEEElLj1EEEvT0_T1_SI_: ; @_ZN6thrust23THRUST_200600_302600_NS11hip_rocprim14__parallel_for6kernelILj256ENS1_11__transform17unary_transform_fINS0_7pointerIiNS1_3tagENS0_11use_defaultES8_EENS0_10device_ptrIxEENS4_14no_stencil_tagENS0_8identityIiEENS4_21always_true_predicateEEElLj1EEEvT0_T1_SI_
; %bb.0:
	s_load_dwordx4 s[8:11], s[0:1], 0x18
	s_load_dwordx4 s[4:7], s[0:1], 0x0
	s_lshl_b32 s0, s2, 8
	v_mov_b64_e32 v[2:3], 0x100
	s_waitcnt lgkmcnt(0)
	s_add_u32 s0, s0, s10
	s_addc_u32 s1, 0, s11
	s_sub_u32 s2, s8, s0
	s_subb_u32 s3, s9, s1
	v_cmp_lt_i64_e32 vcc, s[2:3], v[2:3]
	s_and_b64 s[8:9], vcc, exec
	s_cselect_b32 s8, s2, 0x100
	s_cmpk_lg_i32 s8, 0x100
	s_mov_b64 s[2:3], -1
	s_cbranch_scc1 .LBB1309_3
; %bb.1:
	s_andn2_b64 vcc, exec, s[2:3]
	s_cbranch_vccz .LBB1309_6
.LBB1309_2:
	s_endpgm
.LBB1309_3:
	v_cmp_gt_u32_e32 vcc, s8, v0
	s_and_saveexec_b64 s[2:3], vcc
	s_cbranch_execz .LBB1309_5
; %bb.4:
	v_mov_b32_e32 v1, 0
	v_lshl_add_u64 v[2:3], s[0:1], 0, v[0:1]
	v_lshl_add_u64 v[4:5], v[2:3], 2, s[4:5]
	flat_load_dword v4, v[4:5]
	v_lshl_add_u64 v[2:3], v[2:3], 3, s[6:7]
	s_waitcnt vmcnt(0) lgkmcnt(0)
	v_ashrrev_i32_e32 v5, 31, v4
	flat_store_dwordx2 v[2:3], v[4:5]
.LBB1309_5:
	s_or_b64 exec, exec, s[2:3]
	s_cbranch_execnz .LBB1309_2
.LBB1309_6:
	v_mov_b32_e32 v1, 0
	v_lshl_add_u64 v[0:1], s[0:1], 0, v[0:1]
	v_lshl_add_u64 v[2:3], v[0:1], 2, s[4:5]
	flat_load_dword v2, v[2:3]
	v_lshl_add_u64 v[0:1], v[0:1], 3, s[6:7]
	s_waitcnt vmcnt(0) lgkmcnt(0)
	v_ashrrev_i32_e32 v3, 31, v2
	flat_store_dwordx2 v[0:1], v[2:3]
	s_endpgm
	.section	.rodata,"a",@progbits
	.p2align	6, 0x0
	.amdhsa_kernel _ZN6thrust23THRUST_200600_302600_NS11hip_rocprim14__parallel_for6kernelILj256ENS1_11__transform17unary_transform_fINS0_7pointerIiNS1_3tagENS0_11use_defaultES8_EENS0_10device_ptrIxEENS4_14no_stencil_tagENS0_8identityIiEENS4_21always_true_predicateEEElLj1EEEvT0_T1_SI_
		.amdhsa_group_segment_fixed_size 0
		.amdhsa_private_segment_fixed_size 0
		.amdhsa_kernarg_size 40
		.amdhsa_user_sgpr_count 2
		.amdhsa_user_sgpr_dispatch_ptr 0
		.amdhsa_user_sgpr_queue_ptr 0
		.amdhsa_user_sgpr_kernarg_segment_ptr 1
		.amdhsa_user_sgpr_dispatch_id 0
		.amdhsa_user_sgpr_kernarg_preload_length 0
		.amdhsa_user_sgpr_kernarg_preload_offset 0
		.amdhsa_user_sgpr_private_segment_size 0
		.amdhsa_uses_dynamic_stack 0
		.amdhsa_enable_private_segment 0
		.amdhsa_system_sgpr_workgroup_id_x 1
		.amdhsa_system_sgpr_workgroup_id_y 0
		.amdhsa_system_sgpr_workgroup_id_z 0
		.amdhsa_system_sgpr_workgroup_info 0
		.amdhsa_system_vgpr_workitem_id 0
		.amdhsa_next_free_vgpr 6
		.amdhsa_next_free_sgpr 12
		.amdhsa_accum_offset 8
		.amdhsa_reserve_vcc 1
		.amdhsa_float_round_mode_32 0
		.amdhsa_float_round_mode_16_64 0
		.amdhsa_float_denorm_mode_32 3
		.amdhsa_float_denorm_mode_16_64 3
		.amdhsa_dx10_clamp 1
		.amdhsa_ieee_mode 1
		.amdhsa_fp16_overflow 0
		.amdhsa_tg_split 0
		.amdhsa_exception_fp_ieee_invalid_op 0
		.amdhsa_exception_fp_denorm_src 0
		.amdhsa_exception_fp_ieee_div_zero 0
		.amdhsa_exception_fp_ieee_overflow 0
		.amdhsa_exception_fp_ieee_underflow 0
		.amdhsa_exception_fp_ieee_inexact 0
		.amdhsa_exception_int_div_zero 0
	.end_amdhsa_kernel
	.section	.text._ZN6thrust23THRUST_200600_302600_NS11hip_rocprim14__parallel_for6kernelILj256ENS1_11__transform17unary_transform_fINS0_7pointerIiNS1_3tagENS0_11use_defaultES8_EENS0_10device_ptrIxEENS4_14no_stencil_tagENS0_8identityIiEENS4_21always_true_predicateEEElLj1EEEvT0_T1_SI_,"axG",@progbits,_ZN6thrust23THRUST_200600_302600_NS11hip_rocprim14__parallel_for6kernelILj256ENS1_11__transform17unary_transform_fINS0_7pointerIiNS1_3tagENS0_11use_defaultES8_EENS0_10device_ptrIxEENS4_14no_stencil_tagENS0_8identityIiEENS4_21always_true_predicateEEElLj1EEEvT0_T1_SI_,comdat
.Lfunc_end1309:
	.size	_ZN6thrust23THRUST_200600_302600_NS11hip_rocprim14__parallel_for6kernelILj256ENS1_11__transform17unary_transform_fINS0_7pointerIiNS1_3tagENS0_11use_defaultES8_EENS0_10device_ptrIxEENS4_14no_stencil_tagENS0_8identityIiEENS4_21always_true_predicateEEElLj1EEEvT0_T1_SI_, .Lfunc_end1309-_ZN6thrust23THRUST_200600_302600_NS11hip_rocprim14__parallel_for6kernelILj256ENS1_11__transform17unary_transform_fINS0_7pointerIiNS1_3tagENS0_11use_defaultES8_EENS0_10device_ptrIxEENS4_14no_stencil_tagENS0_8identityIiEENS4_21always_true_predicateEEElLj1EEEvT0_T1_SI_
                                        ; -- End function
	.section	.AMDGPU.csdata,"",@progbits
; Kernel info:
; codeLenInByte = 216
; NumSgprs: 18
; NumVgprs: 6
; NumAgprs: 0
; TotalNumVgprs: 6
; ScratchSize: 0
; MemoryBound: 0
; FloatMode: 240
; IeeeMode: 1
; LDSByteSize: 0 bytes/workgroup (compile time only)
; SGPRBlocks: 2
; VGPRBlocks: 0
; NumSGPRsForWavesPerEU: 18
; NumVGPRsForWavesPerEU: 6
; AccumOffset: 8
; Occupancy: 8
; WaveLimiterHint : 0
; COMPUTE_PGM_RSRC2:SCRATCH_EN: 0
; COMPUTE_PGM_RSRC2:USER_SGPR: 2
; COMPUTE_PGM_RSRC2:TRAP_HANDLER: 0
; COMPUTE_PGM_RSRC2:TGID_X_EN: 1
; COMPUTE_PGM_RSRC2:TGID_Y_EN: 0
; COMPUTE_PGM_RSRC2:TGID_Z_EN: 0
; COMPUTE_PGM_RSRC2:TIDIG_COMP_CNT: 0
; COMPUTE_PGM_RSRC3_GFX90A:ACCUM_OFFSET: 1
; COMPUTE_PGM_RSRC3_GFX90A:TG_SPLIT: 0
	.section	.text._ZN7rocprim17ROCPRIM_400000_NS6detail30init_device_scan_by_key_kernelINS1_19lookback_scan_stateINS0_5tupleIJxbEEELb0ELb0EEEN6thrust23THRUST_200600_302600_NS6detail15normal_iteratorINS8_10device_ptrIiEEEEjNS1_16block_id_wrapperIjLb0EEEEEvT_jjPNSG_10value_typeET0_PNSt15iterator_traitsISJ_E10value_typeEmT1_T2_,"axG",@progbits,_ZN7rocprim17ROCPRIM_400000_NS6detail30init_device_scan_by_key_kernelINS1_19lookback_scan_stateINS0_5tupleIJxbEEELb0ELb0EEEN6thrust23THRUST_200600_302600_NS6detail15normal_iteratorINS8_10device_ptrIiEEEEjNS1_16block_id_wrapperIjLb0EEEEEvT_jjPNSG_10value_typeET0_PNSt15iterator_traitsISJ_E10value_typeEmT1_T2_,comdat
	.protected	_ZN7rocprim17ROCPRIM_400000_NS6detail30init_device_scan_by_key_kernelINS1_19lookback_scan_stateINS0_5tupleIJxbEEELb0ELb0EEEN6thrust23THRUST_200600_302600_NS6detail15normal_iteratorINS8_10device_ptrIiEEEEjNS1_16block_id_wrapperIjLb0EEEEEvT_jjPNSG_10value_typeET0_PNSt15iterator_traitsISJ_E10value_typeEmT1_T2_ ; -- Begin function _ZN7rocprim17ROCPRIM_400000_NS6detail30init_device_scan_by_key_kernelINS1_19lookback_scan_stateINS0_5tupleIJxbEEELb0ELb0EEEN6thrust23THRUST_200600_302600_NS6detail15normal_iteratorINS8_10device_ptrIiEEEEjNS1_16block_id_wrapperIjLb0EEEEEvT_jjPNSG_10value_typeET0_PNSt15iterator_traitsISJ_E10value_typeEmT1_T2_
	.globl	_ZN7rocprim17ROCPRIM_400000_NS6detail30init_device_scan_by_key_kernelINS1_19lookback_scan_stateINS0_5tupleIJxbEEELb0ELb0EEEN6thrust23THRUST_200600_302600_NS6detail15normal_iteratorINS8_10device_ptrIiEEEEjNS1_16block_id_wrapperIjLb0EEEEEvT_jjPNSG_10value_typeET0_PNSt15iterator_traitsISJ_E10value_typeEmT1_T2_
	.p2align	8
	.type	_ZN7rocprim17ROCPRIM_400000_NS6detail30init_device_scan_by_key_kernelINS1_19lookback_scan_stateINS0_5tupleIJxbEEELb0ELb0EEEN6thrust23THRUST_200600_302600_NS6detail15normal_iteratorINS8_10device_ptrIiEEEEjNS1_16block_id_wrapperIjLb0EEEEEvT_jjPNSG_10value_typeET0_PNSt15iterator_traitsISJ_E10value_typeEmT1_T2_,@function
_ZN7rocprim17ROCPRIM_400000_NS6detail30init_device_scan_by_key_kernelINS1_19lookback_scan_stateINS0_5tupleIJxbEEELb0ELb0EEEN6thrust23THRUST_200600_302600_NS6detail15normal_iteratorINS8_10device_ptrIiEEEEjNS1_16block_id_wrapperIjLb0EEEEEvT_jjPNSG_10value_typeET0_PNSt15iterator_traitsISJ_E10value_typeEmT1_T2_: ; @_ZN7rocprim17ROCPRIM_400000_NS6detail30init_device_scan_by_key_kernelINS1_19lookback_scan_stateINS0_5tupleIJxbEEELb0ELb0EEEN6thrust23THRUST_200600_302600_NS6detail15normal_iteratorINS8_10device_ptrIiEEEEjNS1_16block_id_wrapperIjLb0EEEEEvT_jjPNSG_10value_typeET0_PNSt15iterator_traitsISJ_E10value_typeEmT1_T2_
; %bb.0:
	s_load_dword s3, s[0:1], 0x54
	s_load_dwordx8 s[4:11], s[0:1], 0x10
	s_load_dword s20, s[0:1], 0x48
	s_waitcnt lgkmcnt(0)
	s_and_b32 s21, s3, 0xffff
	s_mul_i32 s2, s2, s21
	s_cmp_eq_u64 s[8:9], 0
	v_add_u32_e32 v0, s2, v0
	s_cbranch_scc1 .LBB1310_7
; %bb.1:
	s_cmp_lt_u32 s7, s6
	s_cselect_b32 s2, s7, 0
	s_mov_b32 s17, 0
	v_cmp_eq_u32_e32 vcc, s2, v0
	s_and_saveexec_b64 s[2:3], vcc
	s_cbranch_execz .LBB1310_6
; %bb.2:
	s_add_i32 s16, s7, 64
	v_mov_b32_e32 v1, s16
	global_load_ubyte v1, v1, s[4:5] sc1
	s_load_dwordx4 s[12:15], s[0:1], 0x0
	s_add_u32 s18, s4, s16
	s_addc_u32 s19, s5, 0
	s_waitcnt vmcnt(0)
	v_cmp_ne_u16_e32 vcc, 0, v1
	v_readfirstlane_b32 s7, v1
	s_cbranch_vccnz .LBB1310_5
; %bb.3:
	v_mov_b32_e32 v1, 0
.LBB1310_4:                             ; =>This Inner Loop Header: Depth=1
	global_load_ubyte v2, v1, s[18:19] sc1
	s_waitcnt vmcnt(0)
	v_cmp_eq_u16_e32 vcc, 0, v2
	v_readfirstlane_b32 s7, v2
	s_cbranch_vccnz .LBB1310_4
.LBB1310_5:
	s_and_b32 s7, 0xffff, s7
	s_cmp_eq_u32 s7, 1
	s_waitcnt lgkmcnt(0)
	s_cselect_b32 s7, s13, s15
	s_cselect_b32 s14, s12, s14
	s_lshl_b64 s[12:13], s[16:17], 4
	s_add_u32 s12, s14, s12
	s_addc_u32 s13, s7, s13
	v_mov_b32_e32 v1, 0
	s_waitcnt vmcnt(0)
	global_load_dword v2, v1, s[12:13] sc1
	global_load_dword v3, v1, s[12:13] offset:4 sc1
	global_load_dword v4, v1, s[12:13] offset:8 sc1
	;; [unrolled: 1-line block ×3, first 2 shown]
	s_waitcnt vmcnt(2)
	global_store_dwordx2 v1, v[2:3], s[8:9]
	s_waitcnt vmcnt(2)
	global_store_byte v1, v4, s[8:9] offset:8
.LBB1310_6:
	s_or_b64 exec, exec, s[2:3]
.LBB1310_7:
	v_cmp_gt_u32_e32 vcc, s6, v0
	s_and_saveexec_b64 s[2:3], vcc
	s_cbranch_execz .LBB1310_9
; %bb.8:
	v_add_u32_e32 v1, 64, v0
	v_mov_b32_e32 v2, 0
	global_store_byte v1, v2, s[4:5]
.LBB1310_9:
	s_or_b64 exec, exec, s[2:3]
	v_cmp_gt_u32_e32 vcc, 64, v0
	v_mov_b32_e32 v1, 0
	s_and_saveexec_b64 s[2:3], vcc
	s_cbranch_execz .LBB1310_11
; %bb.10:
	v_lshl_add_u64 v[2:3], s[4:5], 0, v[0:1]
	v_mov_b32_e32 v4, 0xff
	global_store_byte v[2:3], v4, off
.LBB1310_11:
	s_or_b64 exec, exec, s[2:3]
	s_load_dwordx2 s[2:3], s[0:1], 0x38
	s_waitcnt lgkmcnt(0)
	v_cmp_gt_u64_e32 vcc, s[2:3], v[0:1]
	s_and_saveexec_b64 s[4:5], vcc
	s_cbranch_execz .LBB1310_14
; %bb.12:
	s_load_dword s12, s[0:1], 0x40
	s_load_dwordx2 s[6:7], s[0:1], 0x30
	s_mov_b32 s5, 0
	s_mov_b32 s1, s5
	s_mul_i32 s0, s20, s21
	s_waitcnt lgkmcnt(0)
	s_add_i32 s4, s12, -1
	s_lshl_b64 s[4:5], s[4:5], 2
	s_add_u32 s4, s10, s4
	v_mad_u64_u32 v[2:3], s[8:9], s12, v0, 0
	s_addc_u32 s5, s11, s5
	v_lshl_add_u64 v[2:3], v[2:3], 2, s[4:5]
	s_mul_hi_u32 s5, s12, s0
	s_mul_i32 s4, s12, s0
	s_lshl_b64 s[4:5], s[4:5], 2
	s_waitcnt vmcnt(2)
	v_lshl_add_u64 v[4:5], v[0:1], 2, s[6:7]
	s_lshl_b64 s[6:7], s[0:1], 2
	s_mov_b64 s[8:9], 0
.LBB1310_13:                            ; =>This Inner Loop Header: Depth=1
	global_load_dword v6, v[2:3], off
	v_lshl_add_u64 v[0:1], v[0:1], 0, s[0:1]
	v_cmp_le_u64_e32 vcc, s[2:3], v[0:1]
	v_lshl_add_u64 v[2:3], v[2:3], 0, s[4:5]
	s_or_b64 s[8:9], vcc, s[8:9]
	s_waitcnt vmcnt(0)
	global_store_dword v[4:5], v6, off
	v_lshl_add_u64 v[4:5], v[4:5], 0, s[6:7]
	s_andn2_b64 exec, exec, s[8:9]
	s_cbranch_execnz .LBB1310_13
.LBB1310_14:
	s_endpgm
	.section	.rodata,"a",@progbits
	.p2align	6, 0x0
	.amdhsa_kernel _ZN7rocprim17ROCPRIM_400000_NS6detail30init_device_scan_by_key_kernelINS1_19lookback_scan_stateINS0_5tupleIJxbEEELb0ELb0EEEN6thrust23THRUST_200600_302600_NS6detail15normal_iteratorINS8_10device_ptrIiEEEEjNS1_16block_id_wrapperIjLb0EEEEEvT_jjPNSG_10value_typeET0_PNSt15iterator_traitsISJ_E10value_typeEmT1_T2_
		.amdhsa_group_segment_fixed_size 0
		.amdhsa_private_segment_fixed_size 0
		.amdhsa_kernarg_size 328
		.amdhsa_user_sgpr_count 2
		.amdhsa_user_sgpr_dispatch_ptr 0
		.amdhsa_user_sgpr_queue_ptr 0
		.amdhsa_user_sgpr_kernarg_segment_ptr 1
		.amdhsa_user_sgpr_dispatch_id 0
		.amdhsa_user_sgpr_kernarg_preload_length 0
		.amdhsa_user_sgpr_kernarg_preload_offset 0
		.amdhsa_user_sgpr_private_segment_size 0
		.amdhsa_uses_dynamic_stack 0
		.amdhsa_enable_private_segment 0
		.amdhsa_system_sgpr_workgroup_id_x 1
		.amdhsa_system_sgpr_workgroup_id_y 0
		.amdhsa_system_sgpr_workgroup_id_z 0
		.amdhsa_system_sgpr_workgroup_info 0
		.amdhsa_system_vgpr_workitem_id 0
		.amdhsa_next_free_vgpr 7
		.amdhsa_next_free_sgpr 22
		.amdhsa_accum_offset 8
		.amdhsa_reserve_vcc 1
		.amdhsa_float_round_mode_32 0
		.amdhsa_float_round_mode_16_64 0
		.amdhsa_float_denorm_mode_32 3
		.amdhsa_float_denorm_mode_16_64 3
		.amdhsa_dx10_clamp 1
		.amdhsa_ieee_mode 1
		.amdhsa_fp16_overflow 0
		.amdhsa_tg_split 0
		.amdhsa_exception_fp_ieee_invalid_op 0
		.amdhsa_exception_fp_denorm_src 0
		.amdhsa_exception_fp_ieee_div_zero 0
		.amdhsa_exception_fp_ieee_overflow 0
		.amdhsa_exception_fp_ieee_underflow 0
		.amdhsa_exception_fp_ieee_inexact 0
		.amdhsa_exception_int_div_zero 0
	.end_amdhsa_kernel
	.section	.text._ZN7rocprim17ROCPRIM_400000_NS6detail30init_device_scan_by_key_kernelINS1_19lookback_scan_stateINS0_5tupleIJxbEEELb0ELb0EEEN6thrust23THRUST_200600_302600_NS6detail15normal_iteratorINS8_10device_ptrIiEEEEjNS1_16block_id_wrapperIjLb0EEEEEvT_jjPNSG_10value_typeET0_PNSt15iterator_traitsISJ_E10value_typeEmT1_T2_,"axG",@progbits,_ZN7rocprim17ROCPRIM_400000_NS6detail30init_device_scan_by_key_kernelINS1_19lookback_scan_stateINS0_5tupleIJxbEEELb0ELb0EEEN6thrust23THRUST_200600_302600_NS6detail15normal_iteratorINS8_10device_ptrIiEEEEjNS1_16block_id_wrapperIjLb0EEEEEvT_jjPNSG_10value_typeET0_PNSt15iterator_traitsISJ_E10value_typeEmT1_T2_,comdat
.Lfunc_end1310:
	.size	_ZN7rocprim17ROCPRIM_400000_NS6detail30init_device_scan_by_key_kernelINS1_19lookback_scan_stateINS0_5tupleIJxbEEELb0ELb0EEEN6thrust23THRUST_200600_302600_NS6detail15normal_iteratorINS8_10device_ptrIiEEEEjNS1_16block_id_wrapperIjLb0EEEEEvT_jjPNSG_10value_typeET0_PNSt15iterator_traitsISJ_E10value_typeEmT1_T2_, .Lfunc_end1310-_ZN7rocprim17ROCPRIM_400000_NS6detail30init_device_scan_by_key_kernelINS1_19lookback_scan_stateINS0_5tupleIJxbEEELb0ELb0EEEN6thrust23THRUST_200600_302600_NS6detail15normal_iteratorINS8_10device_ptrIiEEEEjNS1_16block_id_wrapperIjLb0EEEEEvT_jjPNSG_10value_typeET0_PNSt15iterator_traitsISJ_E10value_typeEmT1_T2_
                                        ; -- End function
	.section	.AMDGPU.csdata,"",@progbits
; Kernel info:
; codeLenInByte = 516
; NumSgprs: 28
; NumVgprs: 7
; NumAgprs: 0
; TotalNumVgprs: 7
; ScratchSize: 0
; MemoryBound: 0
; FloatMode: 240
; IeeeMode: 1
; LDSByteSize: 0 bytes/workgroup (compile time only)
; SGPRBlocks: 3
; VGPRBlocks: 0
; NumSGPRsForWavesPerEU: 28
; NumVGPRsForWavesPerEU: 7
; AccumOffset: 8
; Occupancy: 8
; WaveLimiterHint : 0
; COMPUTE_PGM_RSRC2:SCRATCH_EN: 0
; COMPUTE_PGM_RSRC2:USER_SGPR: 2
; COMPUTE_PGM_RSRC2:TRAP_HANDLER: 0
; COMPUTE_PGM_RSRC2:TGID_X_EN: 1
; COMPUTE_PGM_RSRC2:TGID_Y_EN: 0
; COMPUTE_PGM_RSRC2:TGID_Z_EN: 0
; COMPUTE_PGM_RSRC2:TIDIG_COMP_CNT: 0
; COMPUTE_PGM_RSRC3_GFX90A:ACCUM_OFFSET: 1
; COMPUTE_PGM_RSRC3_GFX90A:TG_SPLIT: 0
	.section	.text._ZN7rocprim17ROCPRIM_400000_NS6detail17trampoline_kernelINS0_14default_configENS1_27scan_by_key_config_selectorIixEEZZNS1_16scan_by_key_implILNS1_25lookback_scan_determinismE0ELb0ES3_N6thrust23THRUST_200600_302600_NS6detail15normal_iteratorINS9_10device_ptrIiEEEENSB_INSC_IxEEEESG_xNS9_4plusIvEENS9_8equal_toIvEExEE10hipError_tPvRmT2_T3_T4_T5_mT6_T7_P12ihipStream_tbENKUlT_T0_E_clISt17integral_constantIbLb0EES11_EEDaSW_SX_EUlSW_E_NS1_11comp_targetILNS1_3genE0ELNS1_11target_archE4294967295ELNS1_3gpuE0ELNS1_3repE0EEENS1_30default_config_static_selectorELNS0_4arch9wavefront6targetE1EEEvT1_,"axG",@progbits,_ZN7rocprim17ROCPRIM_400000_NS6detail17trampoline_kernelINS0_14default_configENS1_27scan_by_key_config_selectorIixEEZZNS1_16scan_by_key_implILNS1_25lookback_scan_determinismE0ELb0ES3_N6thrust23THRUST_200600_302600_NS6detail15normal_iteratorINS9_10device_ptrIiEEEENSB_INSC_IxEEEESG_xNS9_4plusIvEENS9_8equal_toIvEExEE10hipError_tPvRmT2_T3_T4_T5_mT6_T7_P12ihipStream_tbENKUlT_T0_E_clISt17integral_constantIbLb0EES11_EEDaSW_SX_EUlSW_E_NS1_11comp_targetILNS1_3genE0ELNS1_11target_archE4294967295ELNS1_3gpuE0ELNS1_3repE0EEENS1_30default_config_static_selectorELNS0_4arch9wavefront6targetE1EEEvT1_,comdat
	.protected	_ZN7rocprim17ROCPRIM_400000_NS6detail17trampoline_kernelINS0_14default_configENS1_27scan_by_key_config_selectorIixEEZZNS1_16scan_by_key_implILNS1_25lookback_scan_determinismE0ELb0ES3_N6thrust23THRUST_200600_302600_NS6detail15normal_iteratorINS9_10device_ptrIiEEEENSB_INSC_IxEEEESG_xNS9_4plusIvEENS9_8equal_toIvEExEE10hipError_tPvRmT2_T3_T4_T5_mT6_T7_P12ihipStream_tbENKUlT_T0_E_clISt17integral_constantIbLb0EES11_EEDaSW_SX_EUlSW_E_NS1_11comp_targetILNS1_3genE0ELNS1_11target_archE4294967295ELNS1_3gpuE0ELNS1_3repE0EEENS1_30default_config_static_selectorELNS0_4arch9wavefront6targetE1EEEvT1_ ; -- Begin function _ZN7rocprim17ROCPRIM_400000_NS6detail17trampoline_kernelINS0_14default_configENS1_27scan_by_key_config_selectorIixEEZZNS1_16scan_by_key_implILNS1_25lookback_scan_determinismE0ELb0ES3_N6thrust23THRUST_200600_302600_NS6detail15normal_iteratorINS9_10device_ptrIiEEEENSB_INSC_IxEEEESG_xNS9_4plusIvEENS9_8equal_toIvEExEE10hipError_tPvRmT2_T3_T4_T5_mT6_T7_P12ihipStream_tbENKUlT_T0_E_clISt17integral_constantIbLb0EES11_EEDaSW_SX_EUlSW_E_NS1_11comp_targetILNS1_3genE0ELNS1_11target_archE4294967295ELNS1_3gpuE0ELNS1_3repE0EEENS1_30default_config_static_selectorELNS0_4arch9wavefront6targetE1EEEvT1_
	.globl	_ZN7rocprim17ROCPRIM_400000_NS6detail17trampoline_kernelINS0_14default_configENS1_27scan_by_key_config_selectorIixEEZZNS1_16scan_by_key_implILNS1_25lookback_scan_determinismE0ELb0ES3_N6thrust23THRUST_200600_302600_NS6detail15normal_iteratorINS9_10device_ptrIiEEEENSB_INSC_IxEEEESG_xNS9_4plusIvEENS9_8equal_toIvEExEE10hipError_tPvRmT2_T3_T4_T5_mT6_T7_P12ihipStream_tbENKUlT_T0_E_clISt17integral_constantIbLb0EES11_EEDaSW_SX_EUlSW_E_NS1_11comp_targetILNS1_3genE0ELNS1_11target_archE4294967295ELNS1_3gpuE0ELNS1_3repE0EEENS1_30default_config_static_selectorELNS0_4arch9wavefront6targetE1EEEvT1_
	.p2align	8
	.type	_ZN7rocprim17ROCPRIM_400000_NS6detail17trampoline_kernelINS0_14default_configENS1_27scan_by_key_config_selectorIixEEZZNS1_16scan_by_key_implILNS1_25lookback_scan_determinismE0ELb0ES3_N6thrust23THRUST_200600_302600_NS6detail15normal_iteratorINS9_10device_ptrIiEEEENSB_INSC_IxEEEESG_xNS9_4plusIvEENS9_8equal_toIvEExEE10hipError_tPvRmT2_T3_T4_T5_mT6_T7_P12ihipStream_tbENKUlT_T0_E_clISt17integral_constantIbLb0EES11_EEDaSW_SX_EUlSW_E_NS1_11comp_targetILNS1_3genE0ELNS1_11target_archE4294967295ELNS1_3gpuE0ELNS1_3repE0EEENS1_30default_config_static_selectorELNS0_4arch9wavefront6targetE1EEEvT1_,@function
_ZN7rocprim17ROCPRIM_400000_NS6detail17trampoline_kernelINS0_14default_configENS1_27scan_by_key_config_selectorIixEEZZNS1_16scan_by_key_implILNS1_25lookback_scan_determinismE0ELb0ES3_N6thrust23THRUST_200600_302600_NS6detail15normal_iteratorINS9_10device_ptrIiEEEENSB_INSC_IxEEEESG_xNS9_4plusIvEENS9_8equal_toIvEExEE10hipError_tPvRmT2_T3_T4_T5_mT6_T7_P12ihipStream_tbENKUlT_T0_E_clISt17integral_constantIbLb0EES11_EEDaSW_SX_EUlSW_E_NS1_11comp_targetILNS1_3genE0ELNS1_11target_archE4294967295ELNS1_3gpuE0ELNS1_3repE0EEENS1_30default_config_static_selectorELNS0_4arch9wavefront6targetE1EEEvT1_: ; @_ZN7rocprim17ROCPRIM_400000_NS6detail17trampoline_kernelINS0_14default_configENS1_27scan_by_key_config_selectorIixEEZZNS1_16scan_by_key_implILNS1_25lookback_scan_determinismE0ELb0ES3_N6thrust23THRUST_200600_302600_NS6detail15normal_iteratorINS9_10device_ptrIiEEEENSB_INSC_IxEEEESG_xNS9_4plusIvEENS9_8equal_toIvEExEE10hipError_tPvRmT2_T3_T4_T5_mT6_T7_P12ihipStream_tbENKUlT_T0_E_clISt17integral_constantIbLb0EES11_EEDaSW_SX_EUlSW_E_NS1_11comp_targetILNS1_3genE0ELNS1_11target_archE4294967295ELNS1_3gpuE0ELNS1_3repE0EEENS1_30default_config_static_selectorELNS0_4arch9wavefront6targetE1EEEvT1_
; %bb.0:
	.section	.rodata,"a",@progbits
	.p2align	6, 0x0
	.amdhsa_kernel _ZN7rocprim17ROCPRIM_400000_NS6detail17trampoline_kernelINS0_14default_configENS1_27scan_by_key_config_selectorIixEEZZNS1_16scan_by_key_implILNS1_25lookback_scan_determinismE0ELb0ES3_N6thrust23THRUST_200600_302600_NS6detail15normal_iteratorINS9_10device_ptrIiEEEENSB_INSC_IxEEEESG_xNS9_4plusIvEENS9_8equal_toIvEExEE10hipError_tPvRmT2_T3_T4_T5_mT6_T7_P12ihipStream_tbENKUlT_T0_E_clISt17integral_constantIbLb0EES11_EEDaSW_SX_EUlSW_E_NS1_11comp_targetILNS1_3genE0ELNS1_11target_archE4294967295ELNS1_3gpuE0ELNS1_3repE0EEENS1_30default_config_static_selectorELNS0_4arch9wavefront6targetE1EEEvT1_
		.amdhsa_group_segment_fixed_size 0
		.amdhsa_private_segment_fixed_size 0
		.amdhsa_kernarg_size 136
		.amdhsa_user_sgpr_count 2
		.amdhsa_user_sgpr_dispatch_ptr 0
		.amdhsa_user_sgpr_queue_ptr 0
		.amdhsa_user_sgpr_kernarg_segment_ptr 1
		.amdhsa_user_sgpr_dispatch_id 0
		.amdhsa_user_sgpr_kernarg_preload_length 0
		.amdhsa_user_sgpr_kernarg_preload_offset 0
		.amdhsa_user_sgpr_private_segment_size 0
		.amdhsa_uses_dynamic_stack 0
		.amdhsa_enable_private_segment 0
		.amdhsa_system_sgpr_workgroup_id_x 1
		.amdhsa_system_sgpr_workgroup_id_y 0
		.amdhsa_system_sgpr_workgroup_id_z 0
		.amdhsa_system_sgpr_workgroup_info 0
		.amdhsa_system_vgpr_workitem_id 0
		.amdhsa_next_free_vgpr 1
		.amdhsa_next_free_sgpr 0
		.amdhsa_accum_offset 4
		.amdhsa_reserve_vcc 0
		.amdhsa_float_round_mode_32 0
		.amdhsa_float_round_mode_16_64 0
		.amdhsa_float_denorm_mode_32 3
		.amdhsa_float_denorm_mode_16_64 3
		.amdhsa_dx10_clamp 1
		.amdhsa_ieee_mode 1
		.amdhsa_fp16_overflow 0
		.amdhsa_tg_split 0
		.amdhsa_exception_fp_ieee_invalid_op 0
		.amdhsa_exception_fp_denorm_src 0
		.amdhsa_exception_fp_ieee_div_zero 0
		.amdhsa_exception_fp_ieee_overflow 0
		.amdhsa_exception_fp_ieee_underflow 0
		.amdhsa_exception_fp_ieee_inexact 0
		.amdhsa_exception_int_div_zero 0
	.end_amdhsa_kernel
	.section	.text._ZN7rocprim17ROCPRIM_400000_NS6detail17trampoline_kernelINS0_14default_configENS1_27scan_by_key_config_selectorIixEEZZNS1_16scan_by_key_implILNS1_25lookback_scan_determinismE0ELb0ES3_N6thrust23THRUST_200600_302600_NS6detail15normal_iteratorINS9_10device_ptrIiEEEENSB_INSC_IxEEEESG_xNS9_4plusIvEENS9_8equal_toIvEExEE10hipError_tPvRmT2_T3_T4_T5_mT6_T7_P12ihipStream_tbENKUlT_T0_E_clISt17integral_constantIbLb0EES11_EEDaSW_SX_EUlSW_E_NS1_11comp_targetILNS1_3genE0ELNS1_11target_archE4294967295ELNS1_3gpuE0ELNS1_3repE0EEENS1_30default_config_static_selectorELNS0_4arch9wavefront6targetE1EEEvT1_,"axG",@progbits,_ZN7rocprim17ROCPRIM_400000_NS6detail17trampoline_kernelINS0_14default_configENS1_27scan_by_key_config_selectorIixEEZZNS1_16scan_by_key_implILNS1_25lookback_scan_determinismE0ELb0ES3_N6thrust23THRUST_200600_302600_NS6detail15normal_iteratorINS9_10device_ptrIiEEEENSB_INSC_IxEEEESG_xNS9_4plusIvEENS9_8equal_toIvEExEE10hipError_tPvRmT2_T3_T4_T5_mT6_T7_P12ihipStream_tbENKUlT_T0_E_clISt17integral_constantIbLb0EES11_EEDaSW_SX_EUlSW_E_NS1_11comp_targetILNS1_3genE0ELNS1_11target_archE4294967295ELNS1_3gpuE0ELNS1_3repE0EEENS1_30default_config_static_selectorELNS0_4arch9wavefront6targetE1EEEvT1_,comdat
.Lfunc_end1311:
	.size	_ZN7rocprim17ROCPRIM_400000_NS6detail17trampoline_kernelINS0_14default_configENS1_27scan_by_key_config_selectorIixEEZZNS1_16scan_by_key_implILNS1_25lookback_scan_determinismE0ELb0ES3_N6thrust23THRUST_200600_302600_NS6detail15normal_iteratorINS9_10device_ptrIiEEEENSB_INSC_IxEEEESG_xNS9_4plusIvEENS9_8equal_toIvEExEE10hipError_tPvRmT2_T3_T4_T5_mT6_T7_P12ihipStream_tbENKUlT_T0_E_clISt17integral_constantIbLb0EES11_EEDaSW_SX_EUlSW_E_NS1_11comp_targetILNS1_3genE0ELNS1_11target_archE4294967295ELNS1_3gpuE0ELNS1_3repE0EEENS1_30default_config_static_selectorELNS0_4arch9wavefront6targetE1EEEvT1_, .Lfunc_end1311-_ZN7rocprim17ROCPRIM_400000_NS6detail17trampoline_kernelINS0_14default_configENS1_27scan_by_key_config_selectorIixEEZZNS1_16scan_by_key_implILNS1_25lookback_scan_determinismE0ELb0ES3_N6thrust23THRUST_200600_302600_NS6detail15normal_iteratorINS9_10device_ptrIiEEEENSB_INSC_IxEEEESG_xNS9_4plusIvEENS9_8equal_toIvEExEE10hipError_tPvRmT2_T3_T4_T5_mT6_T7_P12ihipStream_tbENKUlT_T0_E_clISt17integral_constantIbLb0EES11_EEDaSW_SX_EUlSW_E_NS1_11comp_targetILNS1_3genE0ELNS1_11target_archE4294967295ELNS1_3gpuE0ELNS1_3repE0EEENS1_30default_config_static_selectorELNS0_4arch9wavefront6targetE1EEEvT1_
                                        ; -- End function
	.section	.AMDGPU.csdata,"",@progbits
; Kernel info:
; codeLenInByte = 0
; NumSgprs: 6
; NumVgprs: 0
; NumAgprs: 0
; TotalNumVgprs: 0
; ScratchSize: 0
; MemoryBound: 0
; FloatMode: 240
; IeeeMode: 1
; LDSByteSize: 0 bytes/workgroup (compile time only)
; SGPRBlocks: 0
; VGPRBlocks: 0
; NumSGPRsForWavesPerEU: 6
; NumVGPRsForWavesPerEU: 1
; AccumOffset: 4
; Occupancy: 8
; WaveLimiterHint : 0
; COMPUTE_PGM_RSRC2:SCRATCH_EN: 0
; COMPUTE_PGM_RSRC2:USER_SGPR: 2
; COMPUTE_PGM_RSRC2:TRAP_HANDLER: 0
; COMPUTE_PGM_RSRC2:TGID_X_EN: 1
; COMPUTE_PGM_RSRC2:TGID_Y_EN: 0
; COMPUTE_PGM_RSRC2:TGID_Z_EN: 0
; COMPUTE_PGM_RSRC2:TIDIG_COMP_CNT: 0
; COMPUTE_PGM_RSRC3_GFX90A:ACCUM_OFFSET: 0
; COMPUTE_PGM_RSRC3_GFX90A:TG_SPLIT: 0
	.section	.text._ZN7rocprim17ROCPRIM_400000_NS6detail17trampoline_kernelINS0_14default_configENS1_27scan_by_key_config_selectorIixEEZZNS1_16scan_by_key_implILNS1_25lookback_scan_determinismE0ELb0ES3_N6thrust23THRUST_200600_302600_NS6detail15normal_iteratorINS9_10device_ptrIiEEEENSB_INSC_IxEEEESG_xNS9_4plusIvEENS9_8equal_toIvEExEE10hipError_tPvRmT2_T3_T4_T5_mT6_T7_P12ihipStream_tbENKUlT_T0_E_clISt17integral_constantIbLb0EES11_EEDaSW_SX_EUlSW_E_NS1_11comp_targetILNS1_3genE10ELNS1_11target_archE1201ELNS1_3gpuE5ELNS1_3repE0EEENS1_30default_config_static_selectorELNS0_4arch9wavefront6targetE1EEEvT1_,"axG",@progbits,_ZN7rocprim17ROCPRIM_400000_NS6detail17trampoline_kernelINS0_14default_configENS1_27scan_by_key_config_selectorIixEEZZNS1_16scan_by_key_implILNS1_25lookback_scan_determinismE0ELb0ES3_N6thrust23THRUST_200600_302600_NS6detail15normal_iteratorINS9_10device_ptrIiEEEENSB_INSC_IxEEEESG_xNS9_4plusIvEENS9_8equal_toIvEExEE10hipError_tPvRmT2_T3_T4_T5_mT6_T7_P12ihipStream_tbENKUlT_T0_E_clISt17integral_constantIbLb0EES11_EEDaSW_SX_EUlSW_E_NS1_11comp_targetILNS1_3genE10ELNS1_11target_archE1201ELNS1_3gpuE5ELNS1_3repE0EEENS1_30default_config_static_selectorELNS0_4arch9wavefront6targetE1EEEvT1_,comdat
	.protected	_ZN7rocprim17ROCPRIM_400000_NS6detail17trampoline_kernelINS0_14default_configENS1_27scan_by_key_config_selectorIixEEZZNS1_16scan_by_key_implILNS1_25lookback_scan_determinismE0ELb0ES3_N6thrust23THRUST_200600_302600_NS6detail15normal_iteratorINS9_10device_ptrIiEEEENSB_INSC_IxEEEESG_xNS9_4plusIvEENS9_8equal_toIvEExEE10hipError_tPvRmT2_T3_T4_T5_mT6_T7_P12ihipStream_tbENKUlT_T0_E_clISt17integral_constantIbLb0EES11_EEDaSW_SX_EUlSW_E_NS1_11comp_targetILNS1_3genE10ELNS1_11target_archE1201ELNS1_3gpuE5ELNS1_3repE0EEENS1_30default_config_static_selectorELNS0_4arch9wavefront6targetE1EEEvT1_ ; -- Begin function _ZN7rocprim17ROCPRIM_400000_NS6detail17trampoline_kernelINS0_14default_configENS1_27scan_by_key_config_selectorIixEEZZNS1_16scan_by_key_implILNS1_25lookback_scan_determinismE0ELb0ES3_N6thrust23THRUST_200600_302600_NS6detail15normal_iteratorINS9_10device_ptrIiEEEENSB_INSC_IxEEEESG_xNS9_4plusIvEENS9_8equal_toIvEExEE10hipError_tPvRmT2_T3_T4_T5_mT6_T7_P12ihipStream_tbENKUlT_T0_E_clISt17integral_constantIbLb0EES11_EEDaSW_SX_EUlSW_E_NS1_11comp_targetILNS1_3genE10ELNS1_11target_archE1201ELNS1_3gpuE5ELNS1_3repE0EEENS1_30default_config_static_selectorELNS0_4arch9wavefront6targetE1EEEvT1_
	.globl	_ZN7rocprim17ROCPRIM_400000_NS6detail17trampoline_kernelINS0_14default_configENS1_27scan_by_key_config_selectorIixEEZZNS1_16scan_by_key_implILNS1_25lookback_scan_determinismE0ELb0ES3_N6thrust23THRUST_200600_302600_NS6detail15normal_iteratorINS9_10device_ptrIiEEEENSB_INSC_IxEEEESG_xNS9_4plusIvEENS9_8equal_toIvEExEE10hipError_tPvRmT2_T3_T4_T5_mT6_T7_P12ihipStream_tbENKUlT_T0_E_clISt17integral_constantIbLb0EES11_EEDaSW_SX_EUlSW_E_NS1_11comp_targetILNS1_3genE10ELNS1_11target_archE1201ELNS1_3gpuE5ELNS1_3repE0EEENS1_30default_config_static_selectorELNS0_4arch9wavefront6targetE1EEEvT1_
	.p2align	8
	.type	_ZN7rocprim17ROCPRIM_400000_NS6detail17trampoline_kernelINS0_14default_configENS1_27scan_by_key_config_selectorIixEEZZNS1_16scan_by_key_implILNS1_25lookback_scan_determinismE0ELb0ES3_N6thrust23THRUST_200600_302600_NS6detail15normal_iteratorINS9_10device_ptrIiEEEENSB_INSC_IxEEEESG_xNS9_4plusIvEENS9_8equal_toIvEExEE10hipError_tPvRmT2_T3_T4_T5_mT6_T7_P12ihipStream_tbENKUlT_T0_E_clISt17integral_constantIbLb0EES11_EEDaSW_SX_EUlSW_E_NS1_11comp_targetILNS1_3genE10ELNS1_11target_archE1201ELNS1_3gpuE5ELNS1_3repE0EEENS1_30default_config_static_selectorELNS0_4arch9wavefront6targetE1EEEvT1_,@function
_ZN7rocprim17ROCPRIM_400000_NS6detail17trampoline_kernelINS0_14default_configENS1_27scan_by_key_config_selectorIixEEZZNS1_16scan_by_key_implILNS1_25lookback_scan_determinismE0ELb0ES3_N6thrust23THRUST_200600_302600_NS6detail15normal_iteratorINS9_10device_ptrIiEEEENSB_INSC_IxEEEESG_xNS9_4plusIvEENS9_8equal_toIvEExEE10hipError_tPvRmT2_T3_T4_T5_mT6_T7_P12ihipStream_tbENKUlT_T0_E_clISt17integral_constantIbLb0EES11_EEDaSW_SX_EUlSW_E_NS1_11comp_targetILNS1_3genE10ELNS1_11target_archE1201ELNS1_3gpuE5ELNS1_3repE0EEENS1_30default_config_static_selectorELNS0_4arch9wavefront6targetE1EEEvT1_: ; @_ZN7rocprim17ROCPRIM_400000_NS6detail17trampoline_kernelINS0_14default_configENS1_27scan_by_key_config_selectorIixEEZZNS1_16scan_by_key_implILNS1_25lookback_scan_determinismE0ELb0ES3_N6thrust23THRUST_200600_302600_NS6detail15normal_iteratorINS9_10device_ptrIiEEEENSB_INSC_IxEEEESG_xNS9_4plusIvEENS9_8equal_toIvEExEE10hipError_tPvRmT2_T3_T4_T5_mT6_T7_P12ihipStream_tbENKUlT_T0_E_clISt17integral_constantIbLb0EES11_EEDaSW_SX_EUlSW_E_NS1_11comp_targetILNS1_3genE10ELNS1_11target_archE1201ELNS1_3gpuE5ELNS1_3repE0EEENS1_30default_config_static_selectorELNS0_4arch9wavefront6targetE1EEEvT1_
; %bb.0:
	.section	.rodata,"a",@progbits
	.p2align	6, 0x0
	.amdhsa_kernel _ZN7rocprim17ROCPRIM_400000_NS6detail17trampoline_kernelINS0_14default_configENS1_27scan_by_key_config_selectorIixEEZZNS1_16scan_by_key_implILNS1_25lookback_scan_determinismE0ELb0ES3_N6thrust23THRUST_200600_302600_NS6detail15normal_iteratorINS9_10device_ptrIiEEEENSB_INSC_IxEEEESG_xNS9_4plusIvEENS9_8equal_toIvEExEE10hipError_tPvRmT2_T3_T4_T5_mT6_T7_P12ihipStream_tbENKUlT_T0_E_clISt17integral_constantIbLb0EES11_EEDaSW_SX_EUlSW_E_NS1_11comp_targetILNS1_3genE10ELNS1_11target_archE1201ELNS1_3gpuE5ELNS1_3repE0EEENS1_30default_config_static_selectorELNS0_4arch9wavefront6targetE1EEEvT1_
		.amdhsa_group_segment_fixed_size 0
		.amdhsa_private_segment_fixed_size 0
		.amdhsa_kernarg_size 136
		.amdhsa_user_sgpr_count 2
		.amdhsa_user_sgpr_dispatch_ptr 0
		.amdhsa_user_sgpr_queue_ptr 0
		.amdhsa_user_sgpr_kernarg_segment_ptr 1
		.amdhsa_user_sgpr_dispatch_id 0
		.amdhsa_user_sgpr_kernarg_preload_length 0
		.amdhsa_user_sgpr_kernarg_preload_offset 0
		.amdhsa_user_sgpr_private_segment_size 0
		.amdhsa_uses_dynamic_stack 0
		.amdhsa_enable_private_segment 0
		.amdhsa_system_sgpr_workgroup_id_x 1
		.amdhsa_system_sgpr_workgroup_id_y 0
		.amdhsa_system_sgpr_workgroup_id_z 0
		.amdhsa_system_sgpr_workgroup_info 0
		.amdhsa_system_vgpr_workitem_id 0
		.amdhsa_next_free_vgpr 1
		.amdhsa_next_free_sgpr 0
		.amdhsa_accum_offset 4
		.amdhsa_reserve_vcc 0
		.amdhsa_float_round_mode_32 0
		.amdhsa_float_round_mode_16_64 0
		.amdhsa_float_denorm_mode_32 3
		.amdhsa_float_denorm_mode_16_64 3
		.amdhsa_dx10_clamp 1
		.amdhsa_ieee_mode 1
		.amdhsa_fp16_overflow 0
		.amdhsa_tg_split 0
		.amdhsa_exception_fp_ieee_invalid_op 0
		.amdhsa_exception_fp_denorm_src 0
		.amdhsa_exception_fp_ieee_div_zero 0
		.amdhsa_exception_fp_ieee_overflow 0
		.amdhsa_exception_fp_ieee_underflow 0
		.amdhsa_exception_fp_ieee_inexact 0
		.amdhsa_exception_int_div_zero 0
	.end_amdhsa_kernel
	.section	.text._ZN7rocprim17ROCPRIM_400000_NS6detail17trampoline_kernelINS0_14default_configENS1_27scan_by_key_config_selectorIixEEZZNS1_16scan_by_key_implILNS1_25lookback_scan_determinismE0ELb0ES3_N6thrust23THRUST_200600_302600_NS6detail15normal_iteratorINS9_10device_ptrIiEEEENSB_INSC_IxEEEESG_xNS9_4plusIvEENS9_8equal_toIvEExEE10hipError_tPvRmT2_T3_T4_T5_mT6_T7_P12ihipStream_tbENKUlT_T0_E_clISt17integral_constantIbLb0EES11_EEDaSW_SX_EUlSW_E_NS1_11comp_targetILNS1_3genE10ELNS1_11target_archE1201ELNS1_3gpuE5ELNS1_3repE0EEENS1_30default_config_static_selectorELNS0_4arch9wavefront6targetE1EEEvT1_,"axG",@progbits,_ZN7rocprim17ROCPRIM_400000_NS6detail17trampoline_kernelINS0_14default_configENS1_27scan_by_key_config_selectorIixEEZZNS1_16scan_by_key_implILNS1_25lookback_scan_determinismE0ELb0ES3_N6thrust23THRUST_200600_302600_NS6detail15normal_iteratorINS9_10device_ptrIiEEEENSB_INSC_IxEEEESG_xNS9_4plusIvEENS9_8equal_toIvEExEE10hipError_tPvRmT2_T3_T4_T5_mT6_T7_P12ihipStream_tbENKUlT_T0_E_clISt17integral_constantIbLb0EES11_EEDaSW_SX_EUlSW_E_NS1_11comp_targetILNS1_3genE10ELNS1_11target_archE1201ELNS1_3gpuE5ELNS1_3repE0EEENS1_30default_config_static_selectorELNS0_4arch9wavefront6targetE1EEEvT1_,comdat
.Lfunc_end1312:
	.size	_ZN7rocprim17ROCPRIM_400000_NS6detail17trampoline_kernelINS0_14default_configENS1_27scan_by_key_config_selectorIixEEZZNS1_16scan_by_key_implILNS1_25lookback_scan_determinismE0ELb0ES3_N6thrust23THRUST_200600_302600_NS6detail15normal_iteratorINS9_10device_ptrIiEEEENSB_INSC_IxEEEESG_xNS9_4plusIvEENS9_8equal_toIvEExEE10hipError_tPvRmT2_T3_T4_T5_mT6_T7_P12ihipStream_tbENKUlT_T0_E_clISt17integral_constantIbLb0EES11_EEDaSW_SX_EUlSW_E_NS1_11comp_targetILNS1_3genE10ELNS1_11target_archE1201ELNS1_3gpuE5ELNS1_3repE0EEENS1_30default_config_static_selectorELNS0_4arch9wavefront6targetE1EEEvT1_, .Lfunc_end1312-_ZN7rocprim17ROCPRIM_400000_NS6detail17trampoline_kernelINS0_14default_configENS1_27scan_by_key_config_selectorIixEEZZNS1_16scan_by_key_implILNS1_25lookback_scan_determinismE0ELb0ES3_N6thrust23THRUST_200600_302600_NS6detail15normal_iteratorINS9_10device_ptrIiEEEENSB_INSC_IxEEEESG_xNS9_4plusIvEENS9_8equal_toIvEExEE10hipError_tPvRmT2_T3_T4_T5_mT6_T7_P12ihipStream_tbENKUlT_T0_E_clISt17integral_constantIbLb0EES11_EEDaSW_SX_EUlSW_E_NS1_11comp_targetILNS1_3genE10ELNS1_11target_archE1201ELNS1_3gpuE5ELNS1_3repE0EEENS1_30default_config_static_selectorELNS0_4arch9wavefront6targetE1EEEvT1_
                                        ; -- End function
	.section	.AMDGPU.csdata,"",@progbits
; Kernel info:
; codeLenInByte = 0
; NumSgprs: 6
; NumVgprs: 0
; NumAgprs: 0
; TotalNumVgprs: 0
; ScratchSize: 0
; MemoryBound: 0
; FloatMode: 240
; IeeeMode: 1
; LDSByteSize: 0 bytes/workgroup (compile time only)
; SGPRBlocks: 0
; VGPRBlocks: 0
; NumSGPRsForWavesPerEU: 6
; NumVGPRsForWavesPerEU: 1
; AccumOffset: 4
; Occupancy: 8
; WaveLimiterHint : 0
; COMPUTE_PGM_RSRC2:SCRATCH_EN: 0
; COMPUTE_PGM_RSRC2:USER_SGPR: 2
; COMPUTE_PGM_RSRC2:TRAP_HANDLER: 0
; COMPUTE_PGM_RSRC2:TGID_X_EN: 1
; COMPUTE_PGM_RSRC2:TGID_Y_EN: 0
; COMPUTE_PGM_RSRC2:TGID_Z_EN: 0
; COMPUTE_PGM_RSRC2:TIDIG_COMP_CNT: 0
; COMPUTE_PGM_RSRC3_GFX90A:ACCUM_OFFSET: 0
; COMPUTE_PGM_RSRC3_GFX90A:TG_SPLIT: 0
	.section	.text._ZN7rocprim17ROCPRIM_400000_NS6detail17trampoline_kernelINS0_14default_configENS1_27scan_by_key_config_selectorIixEEZZNS1_16scan_by_key_implILNS1_25lookback_scan_determinismE0ELb0ES3_N6thrust23THRUST_200600_302600_NS6detail15normal_iteratorINS9_10device_ptrIiEEEENSB_INSC_IxEEEESG_xNS9_4plusIvEENS9_8equal_toIvEExEE10hipError_tPvRmT2_T3_T4_T5_mT6_T7_P12ihipStream_tbENKUlT_T0_E_clISt17integral_constantIbLb0EES11_EEDaSW_SX_EUlSW_E_NS1_11comp_targetILNS1_3genE5ELNS1_11target_archE942ELNS1_3gpuE9ELNS1_3repE0EEENS1_30default_config_static_selectorELNS0_4arch9wavefront6targetE1EEEvT1_,"axG",@progbits,_ZN7rocprim17ROCPRIM_400000_NS6detail17trampoline_kernelINS0_14default_configENS1_27scan_by_key_config_selectorIixEEZZNS1_16scan_by_key_implILNS1_25lookback_scan_determinismE0ELb0ES3_N6thrust23THRUST_200600_302600_NS6detail15normal_iteratorINS9_10device_ptrIiEEEENSB_INSC_IxEEEESG_xNS9_4plusIvEENS9_8equal_toIvEExEE10hipError_tPvRmT2_T3_T4_T5_mT6_T7_P12ihipStream_tbENKUlT_T0_E_clISt17integral_constantIbLb0EES11_EEDaSW_SX_EUlSW_E_NS1_11comp_targetILNS1_3genE5ELNS1_11target_archE942ELNS1_3gpuE9ELNS1_3repE0EEENS1_30default_config_static_selectorELNS0_4arch9wavefront6targetE1EEEvT1_,comdat
	.protected	_ZN7rocprim17ROCPRIM_400000_NS6detail17trampoline_kernelINS0_14default_configENS1_27scan_by_key_config_selectorIixEEZZNS1_16scan_by_key_implILNS1_25lookback_scan_determinismE0ELb0ES3_N6thrust23THRUST_200600_302600_NS6detail15normal_iteratorINS9_10device_ptrIiEEEENSB_INSC_IxEEEESG_xNS9_4plusIvEENS9_8equal_toIvEExEE10hipError_tPvRmT2_T3_T4_T5_mT6_T7_P12ihipStream_tbENKUlT_T0_E_clISt17integral_constantIbLb0EES11_EEDaSW_SX_EUlSW_E_NS1_11comp_targetILNS1_3genE5ELNS1_11target_archE942ELNS1_3gpuE9ELNS1_3repE0EEENS1_30default_config_static_selectorELNS0_4arch9wavefront6targetE1EEEvT1_ ; -- Begin function _ZN7rocprim17ROCPRIM_400000_NS6detail17trampoline_kernelINS0_14default_configENS1_27scan_by_key_config_selectorIixEEZZNS1_16scan_by_key_implILNS1_25lookback_scan_determinismE0ELb0ES3_N6thrust23THRUST_200600_302600_NS6detail15normal_iteratorINS9_10device_ptrIiEEEENSB_INSC_IxEEEESG_xNS9_4plusIvEENS9_8equal_toIvEExEE10hipError_tPvRmT2_T3_T4_T5_mT6_T7_P12ihipStream_tbENKUlT_T0_E_clISt17integral_constantIbLb0EES11_EEDaSW_SX_EUlSW_E_NS1_11comp_targetILNS1_3genE5ELNS1_11target_archE942ELNS1_3gpuE9ELNS1_3repE0EEENS1_30default_config_static_selectorELNS0_4arch9wavefront6targetE1EEEvT1_
	.globl	_ZN7rocprim17ROCPRIM_400000_NS6detail17trampoline_kernelINS0_14default_configENS1_27scan_by_key_config_selectorIixEEZZNS1_16scan_by_key_implILNS1_25lookback_scan_determinismE0ELb0ES3_N6thrust23THRUST_200600_302600_NS6detail15normal_iteratorINS9_10device_ptrIiEEEENSB_INSC_IxEEEESG_xNS9_4plusIvEENS9_8equal_toIvEExEE10hipError_tPvRmT2_T3_T4_T5_mT6_T7_P12ihipStream_tbENKUlT_T0_E_clISt17integral_constantIbLb0EES11_EEDaSW_SX_EUlSW_E_NS1_11comp_targetILNS1_3genE5ELNS1_11target_archE942ELNS1_3gpuE9ELNS1_3repE0EEENS1_30default_config_static_selectorELNS0_4arch9wavefront6targetE1EEEvT1_
	.p2align	8
	.type	_ZN7rocprim17ROCPRIM_400000_NS6detail17trampoline_kernelINS0_14default_configENS1_27scan_by_key_config_selectorIixEEZZNS1_16scan_by_key_implILNS1_25lookback_scan_determinismE0ELb0ES3_N6thrust23THRUST_200600_302600_NS6detail15normal_iteratorINS9_10device_ptrIiEEEENSB_INSC_IxEEEESG_xNS9_4plusIvEENS9_8equal_toIvEExEE10hipError_tPvRmT2_T3_T4_T5_mT6_T7_P12ihipStream_tbENKUlT_T0_E_clISt17integral_constantIbLb0EES11_EEDaSW_SX_EUlSW_E_NS1_11comp_targetILNS1_3genE5ELNS1_11target_archE942ELNS1_3gpuE9ELNS1_3repE0EEENS1_30default_config_static_selectorELNS0_4arch9wavefront6targetE1EEEvT1_,@function
_ZN7rocprim17ROCPRIM_400000_NS6detail17trampoline_kernelINS0_14default_configENS1_27scan_by_key_config_selectorIixEEZZNS1_16scan_by_key_implILNS1_25lookback_scan_determinismE0ELb0ES3_N6thrust23THRUST_200600_302600_NS6detail15normal_iteratorINS9_10device_ptrIiEEEENSB_INSC_IxEEEESG_xNS9_4plusIvEENS9_8equal_toIvEExEE10hipError_tPvRmT2_T3_T4_T5_mT6_T7_P12ihipStream_tbENKUlT_T0_E_clISt17integral_constantIbLb0EES11_EEDaSW_SX_EUlSW_E_NS1_11comp_targetILNS1_3genE5ELNS1_11target_archE942ELNS1_3gpuE9ELNS1_3repE0EEENS1_30default_config_static_selectorELNS0_4arch9wavefront6targetE1EEEvT1_: ; @_ZN7rocprim17ROCPRIM_400000_NS6detail17trampoline_kernelINS0_14default_configENS1_27scan_by_key_config_selectorIixEEZZNS1_16scan_by_key_implILNS1_25lookback_scan_determinismE0ELb0ES3_N6thrust23THRUST_200600_302600_NS6detail15normal_iteratorINS9_10device_ptrIiEEEENSB_INSC_IxEEEESG_xNS9_4plusIvEENS9_8equal_toIvEExEE10hipError_tPvRmT2_T3_T4_T5_mT6_T7_P12ihipStream_tbENKUlT_T0_E_clISt17integral_constantIbLb0EES11_EEDaSW_SX_EUlSW_E_NS1_11comp_targetILNS1_3genE5ELNS1_11target_archE942ELNS1_3gpuE9ELNS1_3repE0EEENS1_30default_config_static_selectorELNS0_4arch9wavefront6targetE1EEEvT1_
; %bb.0:
	s_load_dwordx8 s[92:99], s[0:1], 0x0
	s_load_dwordx8 s[84:91], s[0:1], 0x30
	s_load_dwordx2 s[4:5], s[0:1], 0x50
	s_load_dword s3, s[0:1], 0x58
	s_load_dwordx8 s[16:23], s[0:1], 0x60
	s_waitcnt lgkmcnt(0)
	s_lshl_b64 s[0:1], s[94:95], 2
	s_add_u32 s8, s92, s0
	s_addc_u32 s9, s93, s1
	s_lshl_b64 s[92:93], s[94:95], 3
	s_add_u32 s10, s96, s92
	s_addc_u32 s11, s97, s93
	s_mov_b64 s[96:97], s[4:5]
	s_mul_i32 s0, s97, s3
	s_mul_hi_u32 s1, s96, s3
	s_add_i32 s12, s1, s0
	s_cmp_lg_u64 s[20:21], 0
	s_mul_i32 s0, s2, 0x1500
	s_mov_b32 s1, 0
	s_cselect_b64 s[52:53], -1, 0
	s_lshl_b64 s[4:5], s[0:1], 2
	s_add_u32 s50, s8, s4
	s_addc_u32 s51, s9, s5
	s_lshl_b64 s[94:95], s[0:1], 3
	s_add_u32 s48, s10, s94
	s_mul_i32 s3, s96, s3
	s_addc_u32 s49, s11, s95
	s_add_u32 s54, s3, s2
	s_addc_u32 s55, s12, 0
	s_mov_b64 s[14:15], s[18:19]
	s_mov_b64 s[18:19], s[22:23]
                                        ; implicit-def: $vgpr131 : SGPR spill to VGPR lane
	s_add_u32 s4, s16, -1
	v_writelane_b32 v131, s12, 0
	s_addc_u32 s5, s17, -1
	v_mov_b64_e32 v[2:3], s[4:5]
	v_writelane_b32 v131, s13, 1
	v_writelane_b32 v131, s14, 2
	;; [unrolled: 1-line block ×5, first 2 shown]
	v_cmp_ge_u64_e64 s[0:1], s[54:55], v[2:3]
	s_mov_b64 s[6:7], 0
	s_mov_b64 s[10:11], -1
	v_writelane_b32 v131, s18, 6
	s_and_b64 vcc, exec, s[0:1]
	s_mul_i32 s33, s4, 0xffffeb00
	s_barrier
	v_writelane_b32 v131, s19, 7
	s_cbranch_vccz .LBB1313_112
; %bb.1:
	v_mov_b64_e32 v[2:3], s[50:51]
	flat_load_dword v2, v[2:3]
	s_add_i32 s64, s33, s90
	v_cmp_gt_u32_e64 s[46:47], s64, v0
	s_waitcnt vmcnt(0) lgkmcnt(0)
	v_mov_b32_e32 v4, v2
	s_and_saveexec_b64 s[4:5], s[46:47]
	s_cbranch_execz .LBB1313_3
; %bb.2:
	v_lshlrev_b32_e32 v4, 2, v0
	v_mov_b32_e32 v5, 0
	v_lshl_add_u64 v[4:5], s[50:51], 0, v[4:5]
	flat_load_dword v4, v[4:5]
.LBB1313_3:
	s_or_b64 exec, exec, s[4:5]
	v_or_b32_e32 v1, 0x100, v0
	v_cmp_gt_u32_e64 s[4:5], s64, v1
	v_mov_b32_e32 v5, v2
	s_and_saveexec_b64 s[6:7], s[4:5]
	s_cbranch_execz .LBB1313_5
; %bb.4:
	v_lshlrev_b32_e32 v6, 2, v0
	v_mov_b32_e32 v7, 0
	v_lshl_add_u64 v[6:7], s[50:51], 0, v[6:7]
	flat_load_dword v5, v[6:7] offset:1024
.LBB1313_5:
	s_or_b64 exec, exec, s[6:7]
	v_or_b32_e32 v1, 0x200, v0
	v_cmp_gt_u32_e64 s[6:7], s64, v1
	v_mov_b32_e32 v6, v2
	s_and_saveexec_b64 s[8:9], s[6:7]
	s_cbranch_execz .LBB1313_7
; %bb.6:
	v_lshlrev_b32_e32 v6, 2, v0
	v_mov_b32_e32 v7, 0
	v_lshl_add_u64 v[6:7], s[50:51], 0, v[6:7]
	flat_load_dword v6, v[6:7] offset:2048
.LBB1313_7:
	;; [unrolled: 12-line block ×3, first 2 shown]
	s_or_b64 exec, exec, s[10:11]
	v_or_b32_e32 v18, 0x400, v0
	v_cmp_gt_u32_e64 s[10:11], s64, v18
	v_mov_b32_e32 v8, v2
	s_and_saveexec_b64 s[12:13], s[10:11]
	s_cbranch_execz .LBB1313_11
; %bb.10:
	v_lshlrev_b32_e32 v8, 2, v18
	v_mov_b32_e32 v9, 0
	v_lshl_add_u64 v[8:9], s[50:51], 0, v[8:9]
	flat_load_dword v8, v[8:9]
.LBB1313_11:
	s_or_b64 exec, exec, s[12:13]
	v_or_b32_e32 v22, 0x500, v0
	v_cmp_gt_u32_e64 s[12:13], s64, v22
	v_mov_b32_e32 v9, v2
	s_and_saveexec_b64 s[14:15], s[12:13]
	s_cbranch_execz .LBB1313_13
; %bb.12:
	v_lshlrev_b32_e32 v10, 2, v22
	v_mov_b32_e32 v11, 0
	v_lshl_add_u64 v[10:11], s[50:51], 0, v[10:11]
	flat_load_dword v9, v[10:11]
.LBB1313_13:
	;; [unrolled: 12-line block ×16, first 2 shown]
	s_or_b64 exec, exec, s[44:45]
	v_or_b32_e32 v65, 0x1400, v0
	v_cmp_gt_u32_e64 s[44:45], s64, v65
	v_mov_b32_e32 v3, 0
	s_and_saveexec_b64 s[56:57], s[44:45]
	s_cbranch_execz .LBB1313_43
; %bb.42:
	v_lshlrev_b32_e32 v2, 2, v65
	v_lshl_add_u64 v[2:3], s[50:51], 0, v[2:3]
	flat_load_dword v2, v[2:3]
.LBB1313_43:
	s_or_b64 exec, exec, s[56:57]
	v_lshlrev_b32_e32 v3, 2, v0
	s_movk_i32 s3, 0x50
	s_waitcnt vmcnt(0) lgkmcnt(0)
	ds_write2st64_b32 v3, v4, v5 offset1:4
	ds_write2st64_b32 v3, v6, v7 offset0:8 offset1:12
	ds_write2st64_b32 v3, v8, v9 offset0:16 offset1:20
	;; [unrolled: 1-line block ×9, first 2 shown]
	ds_write_b32 v3, v2 offset:20480
	v_mad_u32_u24 v2, v0, s3, v3
	s_waitcnt lgkmcnt(0)
	s_barrier
	ds_read2_b32 v[40:41], v2 offset0:7 offset1:8
	ds_read2_b32 v[44:45], v2 offset0:5 offset1:6
	;; [unrolled: 1-line block ×3, first 2 shown]
	ds_read2_b32 v[36:37], v2 offset1:1
	ds_read2_b32 v[32:33], v2 offset0:4 offset1:9
	ds_read2_b32 v[8:9], v2 offset0:15 offset1:16
	ds_read_b32 v64, v2 offset:56
	ds_read2_b32 v[20:21], v2 offset0:12 offset1:13
	ds_read2_b32 v[24:25], v2 offset0:10 offset1:11
	;; [unrolled: 1-line block ×4, first 2 shown]
	s_cmp_eq_u64 s[54:55], 0
	s_mov_b64 s[56:57], s[50:51]
	s_cbranch_scc1 .LBB1313_47
; %bb.44:
	s_andn2_b64 vcc, exec, s[52:53]
	s_cbranch_vccnz .LBB1313_287
; %bb.45:
	v_readlane_b32 s68, v131, 0
	v_readlane_b32 s74, v131, 6
	v_readlane_b32 s75, v131, 7
	s_lshl_b64 s[56:57], s[54:55], 2
	s_mov_b64 s[62:63], s[74:75]
	s_add_u32 s3, s62, s56
	s_addc_u32 s57, s63, s57
	s_add_u32 s56, s3, -4
	s_addc_u32 s57, s57, -1
	v_readlane_b32 s69, v131, 1
	v_readlane_b32 s70, v131, 2
	;; [unrolled: 1-line block ×5, first 2 shown]
	s_cbranch_execnz .LBB1313_47
.LBB1313_46:
	s_add_u32 s56, s50, -4
	s_addc_u32 s57, s51, -1
.LBB1313_47:
	v_mov_b64_e32 v[6:7], s[56:57]
	flat_load_dword v68, v[6:7]
	s_movk_i32 s3, 0xffb0
	v_mad_i32_i24 v66, v0, s3, v2
	v_cmp_ne_u32_e32 vcc, 0, v0
	s_waitcnt lgkmcnt(0)
	ds_write_b32 v66, v5 offset:21504
	s_waitcnt lgkmcnt(0)
	s_barrier
	s_and_saveexec_b64 s[56:57], vcc
	s_cbranch_execz .LBB1313_49
; %bb.48:
	s_waitcnt vmcnt(0)
	ds_read_b32 v68, v66 offset:21500
.LBB1313_49:
	s_or_b64 exec, exec, s[56:57]
	v_mov_b32_e32 v7, 0
	s_waitcnt lgkmcnt(0)
	s_barrier
	s_waitcnt lgkmcnt(0)
                                        ; implicit-def: $vgpr2_vgpr3
	s_and_saveexec_b64 s[56:57], s[46:47]
	s_cbranch_execnz .LBB1313_267
; %bb.50:
	s_or_b64 exec, exec, s[56:57]
                                        ; implicit-def: $vgpr6_vgpr7
	s_and_saveexec_b64 s[46:47], s[4:5]
	s_cbranch_execnz .LBB1313_268
.LBB1313_51:
	s_or_b64 exec, exec, s[46:47]
                                        ; implicit-def: $vgpr10_vgpr11
	s_and_saveexec_b64 s[4:5], s[6:7]
	s_cbranch_execnz .LBB1313_269
.LBB1313_52:
	s_or_b64 exec, exec, s[4:5]
                                        ; implicit-def: $vgpr14_vgpr15
	s_and_saveexec_b64 s[4:5], s[8:9]
	s_cbranch_execnz .LBB1313_270
.LBB1313_53:
	s_or_b64 exec, exec, s[4:5]
                                        ; implicit-def: $vgpr16_vgpr17
	s_and_saveexec_b64 s[4:5], s[10:11]
	s_cbranch_execnz .LBB1313_271
.LBB1313_54:
	s_or_b64 exec, exec, s[4:5]
                                        ; implicit-def: $vgpr18_vgpr19
	s_and_saveexec_b64 s[4:5], s[12:13]
	s_cbranch_execnz .LBB1313_272
.LBB1313_55:
	s_or_b64 exec, exec, s[4:5]
                                        ; implicit-def: $vgpr22_vgpr23
	s_and_saveexec_b64 s[4:5], s[14:15]
	s_cbranch_execnz .LBB1313_273
.LBB1313_56:
	s_or_b64 exec, exec, s[4:5]
                                        ; implicit-def: $vgpr26_vgpr27
	s_and_saveexec_b64 s[4:5], s[16:17]
	s_cbranch_execnz .LBB1313_274
.LBB1313_57:
	s_or_b64 exec, exec, s[4:5]
                                        ; implicit-def: $vgpr30_vgpr31
	s_and_saveexec_b64 s[4:5], s[18:19]
	s_cbranch_execnz .LBB1313_275
.LBB1313_58:
	s_or_b64 exec, exec, s[4:5]
                                        ; implicit-def: $vgpr34_vgpr35
	s_and_saveexec_b64 s[4:5], s[20:21]
	s_cbranch_execnz .LBB1313_276
.LBB1313_59:
	s_or_b64 exec, exec, s[4:5]
                                        ; implicit-def: $vgpr38_vgpr39
	s_and_saveexec_b64 s[4:5], s[22:23]
	s_cbranch_execnz .LBB1313_277
.LBB1313_60:
	s_or_b64 exec, exec, s[4:5]
                                        ; implicit-def: $vgpr42_vgpr43
	s_and_saveexec_b64 s[4:5], s[24:25]
	s_cbranch_execnz .LBB1313_278
.LBB1313_61:
	s_or_b64 exec, exec, s[4:5]
                                        ; implicit-def: $vgpr46_vgpr47
	s_and_saveexec_b64 s[4:5], s[26:27]
	s_cbranch_execnz .LBB1313_279
.LBB1313_62:
	s_or_b64 exec, exec, s[4:5]
                                        ; implicit-def: $vgpr48_vgpr49
	s_and_saveexec_b64 s[4:5], s[28:29]
	s_cbranch_execnz .LBB1313_280
.LBB1313_63:
	s_or_b64 exec, exec, s[4:5]
                                        ; implicit-def: $vgpr50_vgpr51
	s_and_saveexec_b64 s[4:5], s[30:31]
	s_cbranch_execnz .LBB1313_281
.LBB1313_64:
	s_or_b64 exec, exec, s[4:5]
                                        ; implicit-def: $vgpr52_vgpr53
	s_and_saveexec_b64 s[4:5], s[34:35]
	s_cbranch_execnz .LBB1313_282
.LBB1313_65:
	s_or_b64 exec, exec, s[4:5]
                                        ; implicit-def: $vgpr54_vgpr55
	s_and_saveexec_b64 s[4:5], s[36:37]
	s_cbranch_execnz .LBB1313_283
.LBB1313_66:
	s_or_b64 exec, exec, s[4:5]
                                        ; implicit-def: $vgpr56_vgpr57
	s_and_saveexec_b64 s[4:5], s[38:39]
	s_cbranch_execnz .LBB1313_284
.LBB1313_67:
	s_or_b64 exec, exec, s[4:5]
                                        ; implicit-def: $vgpr58_vgpr59
	s_and_saveexec_b64 s[4:5], s[40:41]
	s_cbranch_execnz .LBB1313_285
.LBB1313_68:
	s_or_b64 exec, exec, s[4:5]
                                        ; implicit-def: $vgpr60_vgpr61
	s_and_saveexec_b64 s[4:5], s[42:43]
	s_cbranch_execnz .LBB1313_286
.LBB1313_69:
	s_or_b64 exec, exec, s[4:5]
                                        ; implicit-def: $vgpr62_vgpr63
	s_and_saveexec_b64 s[4:5], s[44:45]
	s_cbranch_execz .LBB1313_71
.LBB1313_70:
	v_lshlrev_b32_e32 v62, 3, v65
	v_mov_b32_e32 v63, 0
	v_lshl_add_u64 v[62:63], s[48:49], 0, v[62:63]
	flat_load_dwordx2 v[62:63], v[62:63]
.LBB1313_71:
	s_or_b64 exec, exec, s[4:5]
	v_lshl_add_u32 v69, v0, 2, v66
	v_mul_u32_u24_e32 v65, 21, v0
	s_waitcnt vmcnt(0) lgkmcnt(0)
	ds_write2st64_b64 v69, v[2:3], v[6:7] offset1:4
	ds_write2st64_b64 v69, v[10:11], v[14:15] offset0:8 offset1:12
	ds_write2st64_b64 v69, v[16:17], v[18:19] offset0:16 offset1:20
	;; [unrolled: 1-line block ×9, first 2 shown]
	ds_write_b64 v69, v[62:63] offset:40960
	v_mov_b64_e32 v[10:11], 0
	v_cmp_gt_u32_e32 vcc, s64, v65
	s_mov_b64 s[6:7], 0
	s_mov_b64 s[10:11], 0
	s_mov_b32 s3, 0
	v_mov_b32_e32 v128, 0
	v_mov_b32_e32 v122, 0
	;; [unrolled: 1-line block ×5, first 2 shown]
	v_mov_b64_e32 v[70:71], v[10:11]
	v_mov_b64_e32 v[78:79], v[10:11]
	;; [unrolled: 1-line block ×8, first 2 shown]
	v_mov_b32_e32 v124, 0
	v_mov_b64_e32 v[38:39], v[10:11]
	v_mov_b64_e32 v[50:51], v[10:11]
	;; [unrolled: 1-line block ×5, first 2 shown]
	v_mov_b32_e32 v123, 0
	v_mov_b64_e32 v[34:35], v[10:11]
	v_mov_b64_e32 v[18:19], v[10:11]
	;; [unrolled: 1-line block ×5, first 2 shown]
	v_mov_b32_e32 v1, 0
	v_mov_b64_e32 v[2:3], v[10:11]
	s_waitcnt lgkmcnt(0)
	s_barrier
	s_waitcnt lgkmcnt(0)
                                        ; implicit-def: $sgpr4_sgpr5
                                        ; implicit-def: $vgpr83
                                        ; implicit-def: $vgpr82
                                        ; implicit-def: $vgpr84
                                        ; implicit-def: $vgpr85
	s_and_saveexec_b64 s[12:13], vcc
	s_cbranch_execz .LBB1313_111
; %bb.72:
	s_movk_i32 s4, 0xa0
	v_mad_u32_u24 v2, v0, s4, v69
	ds_read_b64 v[2:3], v2
	v_cmp_ne_u32_e32 vcc, v68, v36
	v_add_u32_e32 v6, 1, v65
	v_mov_b64_e32 v[10:11], 0
	v_cndmask_b32_e64 v1, 0, 1, vcc
	v_cmp_gt_u32_e32 vcc, s64, v6
	s_mov_b64 s[18:19], 0
	v_mov_b32_e32 v128, 0
	v_mov_b32_e32 v122, 0
	;; [unrolled: 1-line block ×5, first 2 shown]
	v_mov_b64_e32 v[70:71], v[10:11]
	v_mov_b64_e32 v[78:79], v[10:11]
	;; [unrolled: 1-line block ×8, first 2 shown]
	v_mov_b32_e32 v124, 0
	v_mov_b64_e32 v[38:39], v[10:11]
	v_mov_b64_e32 v[50:51], v[10:11]
	;; [unrolled: 1-line block ×5, first 2 shown]
	v_mov_b32_e32 v123, 0
	v_mov_b64_e32 v[34:35], v[10:11]
	v_mov_b64_e32 v[18:19], v[10:11]
	;; [unrolled: 1-line block ×5, first 2 shown]
                                        ; implicit-def: $sgpr4_sgpr5
                                        ; implicit-def: $vgpr83
                                        ; implicit-def: $vgpr82
                                        ; implicit-def: $vgpr84
                                        ; implicit-def: $vgpr85
	s_and_saveexec_b64 s[14:15], vcc
	s_cbranch_execz .LBB1313_110
; %bb.73:
	v_mul_u32_u24_e32 v6, 0xa0, v0
	v_add_u32_e32 v48, v69, v6
	ds_read2_b64 v[14:17], v48 offset0:1 offset1:2
	v_cmp_ne_u32_e64 s[8:9], v36, v37
	v_add_u32_e32 v6, 2, v65
	v_mov_b64_e32 v[10:11], 0
	v_cmp_ne_u32_e32 vcc, v28, v29
	v_cmp_ne_u32_e64 s[6:7], v29, v32
	v_cmp_ne_u32_e64 s[4:5], v37, v28
	v_cndmask_b32_e64 v128, 0, 1, s[8:9]
	v_cmp_gt_u32_e64 s[8:9], s64, v6
	s_mov_b64 s[20:21], 0
	v_mov_b32_e32 v127, 0
	v_mov_b32_e32 v122, 0
	;; [unrolled: 1-line block ×4, first 2 shown]
	v_mov_b64_e32 v[70:71], v[10:11]
	v_mov_b64_e32 v[78:79], v[10:11]
	;; [unrolled: 1-line block ×8, first 2 shown]
	v_mov_b32_e32 v124, 0
	v_mov_b64_e32 v[38:39], v[10:11]
	v_mov_b64_e32 v[50:51], v[10:11]
	;; [unrolled: 1-line block ×5, first 2 shown]
	v_mov_b32_e32 v123, 0
	v_mov_b64_e32 v[34:35], v[10:11]
	v_mov_b64_e32 v[18:19], v[10:11]
	;; [unrolled: 1-line block ×4, first 2 shown]
                                        ; implicit-def: $sgpr22_sgpr23
                                        ; implicit-def: $vgpr83
                                        ; implicit-def: $vgpr82
                                        ; implicit-def: $vgpr84
                                        ; implicit-def: $vgpr85
	s_and_saveexec_b64 s[16:17], s[8:9]
	s_cbranch_execz .LBB1313_109
; %bb.74:
	v_cndmask_b32_e64 v6, 0, 1, s[4:5]
	v_cndmask_b32_e64 v7, 0, 1, s[6:7]
	v_lshlrev_b16_e32 v6, 8, v6
	v_lshlrev_b16_e32 v7, 8, v7
	v_cndmask_b32_e64 v10, 0, 1, vcc
	v_or_b32_e32 v6, v128, v6
	v_or_b32_sdwa v7, v10, v7 dst_sel:WORD_1 dst_unused:UNUSED_PAD src0_sel:DWORD src1_sel:DWORD
	v_add_u32_e32 v10, 3, v65
	v_or_b32_sdwa v83, v6, v7 dst_sel:DWORD dst_unused:UNUSED_PAD src0_sel:WORD_0 src1_sel:DWORD
	v_cmp_gt_u32_e32 vcc, s64, v10
	v_mov_b64_e32 v[10:11], 0
	v_and_b32_e32 v128, 0xffff, v83
	s_waitcnt lgkmcnt(0)
	v_mov_b32_e32 v6, v16
	v_mov_b32_e32 v7, v17
	s_mov_b64 s[4:5], 0
	v_mov_b32_e32 v127, 0
	v_mov_b32_e32 v122, 0
	;; [unrolled: 1-line block ×4, first 2 shown]
	v_mov_b64_e32 v[70:71], v[10:11]
	v_mov_b64_e32 v[78:79], v[10:11]
	;; [unrolled: 1-line block ×8, first 2 shown]
	v_mov_b32_e32 v124, 0
	v_mov_b64_e32 v[38:39], v[10:11]
	v_mov_b64_e32 v[50:51], v[10:11]
	;; [unrolled: 1-line block ×5, first 2 shown]
	v_mov_b32_e32 v123, 0
	v_mov_b64_e32 v[34:35], v[10:11]
	v_mov_b64_e32 v[18:19], v[10:11]
	;; [unrolled: 1-line block ×3, first 2 shown]
                                        ; implicit-def: $sgpr6_sgpr7
                                        ; implicit-def: $vgpr82
                                        ; implicit-def: $vgpr84
                                        ; implicit-def: $vgpr85
	s_and_saveexec_b64 s[18:19], vcc
	s_cbranch_execz .LBB1313_108
; %bb.75:
	ds_read2_b64 v[26:29], v48 offset0:3 offset1:4
	v_add_u32_e32 v10, 4, v65
	v_cmp_gt_u32_e32 vcc, s64, v10
	v_mov_b64_e32 v[10:11], 0
	v_and_b32_e32 v128, 0xffffff, v83
	s_mov_b64 s[6:7], 0
	v_mov_b32_e32 v127, 0
	v_mov_b32_e32 v122, 0
	;; [unrolled: 1-line block ×4, first 2 shown]
	v_mov_b64_e32 v[70:71], v[10:11]
	v_mov_b64_e32 v[78:79], v[10:11]
	;; [unrolled: 1-line block ×8, first 2 shown]
	v_mov_b32_e32 v124, 0
	v_mov_b64_e32 v[38:39], v[10:11]
	v_mov_b64_e32 v[50:51], v[10:11]
	v_mov_b64_e32 v[30:31], v[10:11]
	v_mov_b64_e32 v[42:43], v[10:11]
	v_mov_b64_e32 v[22:23], v[10:11]
	v_mov_b32_e32 v123, 0
	v_mov_b64_e32 v[34:35], v[10:11]
	v_mov_b64_e32 v[18:19], v[10:11]
                                        ; implicit-def: $sgpr8_sgpr9
                                        ; implicit-def: $vgpr82
                                        ; implicit-def: $vgpr84
                                        ; implicit-def: $vgpr85
	s_and_saveexec_b64 s[20:21], vcc
	s_cbranch_execz .LBB1313_107
; %bb.76:
	v_add_u32_e32 v10, 5, v65
	v_cmp_gt_u32_e32 vcc, s64, v10
	v_mov_b64_e32 v[10:11], 0
	s_waitcnt lgkmcnt(0)
	v_mov_b32_e32 v18, v28
	v_mov_b32_e32 v19, v29
	;; [unrolled: 1-line block ×6, first 2 shown]
	v_mov_b64_e32 v[70:71], v[10:11]
	v_mov_b64_e32 v[78:79], v[10:11]
	;; [unrolled: 1-line block ×8, first 2 shown]
	v_mov_b32_e32 v124, 0
	v_mov_b64_e32 v[38:39], v[10:11]
	v_mov_b64_e32 v[50:51], v[10:11]
	;; [unrolled: 1-line block ×5, first 2 shown]
	v_mov_b32_e32 v123, 0
	v_mov_b64_e32 v[34:35], v[10:11]
                                        ; implicit-def: $sgpr8_sgpr9
                                        ; implicit-def: $vgpr82
                                        ; implicit-def: $vgpr84
                                        ; implicit-def: $vgpr85
	s_and_saveexec_b64 s[22:23], vcc
	s_cbranch_execz .LBB1313_106
; %bb.77:
	ds_read2_b64 v[34:37], v48 offset0:5 offset1:6
	v_cmp_ne_u32_e32 vcc, v32, v44
	v_add_u32_e32 v10, 6, v65
	s_mov_b64 s[28:29], 0
	v_cndmask_b32_e64 v123, 0, 1, vcc
	v_cmp_gt_u32_e32 vcc, s64, v10
	v_mov_b64_e32 v[10:11], 0
	v_mov_b32_e32 v127, 0
	v_mov_b32_e32 v122, 0
	;; [unrolled: 1-line block ×4, first 2 shown]
	v_mov_b64_e32 v[70:71], v[10:11]
	v_mov_b64_e32 v[78:79], v[10:11]
	;; [unrolled: 1-line block ×8, first 2 shown]
	v_mov_b32_e32 v124, 0
	v_mov_b64_e32 v[38:39], v[10:11]
	v_mov_b64_e32 v[50:51], v[10:11]
	;; [unrolled: 1-line block ×5, first 2 shown]
                                        ; implicit-def: $sgpr6_sgpr7
                                        ; implicit-def: $vgpr82
                                        ; implicit-def: $vgpr84
                                        ; implicit-def: $vgpr85
	s_and_saveexec_b64 s[24:25], vcc
	s_cbranch_execz .LBB1313_105
; %bb.78:
	v_cmp_ne_u32_e64 s[8:9], v44, v45
	v_add_u32_e32 v10, 7, v65
	s_waitcnt lgkmcnt(0)
	v_mov_b32_e32 v22, v36
	v_cndmask_b32_e64 v127, 0, 1, s[8:9]
	v_cmp_gt_u32_e64 s[8:9], s64, v10
	v_mov_b64_e32 v[10:11], 0
	v_mov_b32_e32 v23, v37
	v_cmp_ne_u32_e32 vcc, v40, v41
	v_cmp_ne_u32_e64 s[6:7], v41, v33
	v_cmp_ne_u32_e64 s[4:5], v45, v40
	s_mov_b64 s[30:31], 0
	v_mov_b32_e32 v126, 0
	v_mov_b32_e32 v122, 0
	;; [unrolled: 1-line block ×3, first 2 shown]
	v_mov_b64_e32 v[70:71], v[10:11]
	v_mov_b64_e32 v[78:79], v[10:11]
	;; [unrolled: 1-line block ×8, first 2 shown]
	v_mov_b32_e32 v124, 0
	v_mov_b64_e32 v[38:39], v[10:11]
	v_mov_b64_e32 v[50:51], v[10:11]
	;; [unrolled: 1-line block ×4, first 2 shown]
                                        ; implicit-def: $sgpr34_sgpr35
                                        ; implicit-def: $vgpr82
                                        ; implicit-def: $vgpr84
                                        ; implicit-def: $vgpr85
	s_and_saveexec_b64 s[26:27], s[8:9]
	s_cbranch_execz .LBB1313_104
; %bb.79:
	v_cndmask_b32_e64 v10, 0, 1, s[4:5]
	v_cndmask_b32_e64 v11, 0, 1, s[6:7]
	v_lshlrev_b16_e32 v10, 8, v10
	v_lshlrev_b16_e32 v11, 8, v11
	v_cndmask_b32_e64 v16, 0, 1, vcc
	ds_read2_b64 v[42:45], v48 offset0:7 offset1:8
	v_or_b32_e32 v10, v127, v10
	v_or_b32_sdwa v11, v16, v11 dst_sel:WORD_1 dst_unused:UNUSED_PAD src0_sel:DWORD src1_sel:DWORD
	s_mov_b64 s[4:5], 0
	v_or_b32_sdwa v82, v10, v11 dst_sel:DWORD dst_unused:UNUSED_PAD src0_sel:WORD_0 src1_sel:DWORD
	v_add_u32_e32 v10, 8, v65
	v_cmp_gt_u32_e32 vcc, s64, v10
	v_mov_b64_e32 v[10:11], 0
	v_and_b32_e32 v127, 0xffff, v82
	v_mov_b32_e32 v126, 0
	v_mov_b32_e32 v122, 0
	;; [unrolled: 1-line block ×3, first 2 shown]
	v_mov_b64_e32 v[70:71], v[10:11]
	v_mov_b64_e32 v[78:79], v[10:11]
	;; [unrolled: 1-line block ×8, first 2 shown]
	v_mov_b32_e32 v124, 0
	v_mov_b64_e32 v[38:39], v[10:11]
	v_mov_b64_e32 v[50:51], v[10:11]
	;; [unrolled: 1-line block ×3, first 2 shown]
                                        ; implicit-def: $sgpr6_sgpr7
                                        ; implicit-def: $vgpr84
                                        ; implicit-def: $vgpr85
	s_and_saveexec_b64 s[28:29], vcc
	s_cbranch_execz .LBB1313_103
; %bb.80:
	v_add_u32_e32 v10, 9, v65
	v_cmp_gt_u32_e32 vcc, s64, v10
	v_mov_b64_e32 v[10:11], 0
	s_waitcnt lgkmcnt(0)
	v_mov_b32_e32 v30, v44
	v_mov_b32_e32 v31, v45
	v_and_b32_e32 v127, 0xffffff, v82
	s_mov_b64 s[6:7], 0
	v_mov_b32_e32 v126, 0
	v_mov_b32_e32 v122, 0
	;; [unrolled: 1-line block ×3, first 2 shown]
	v_mov_b64_e32 v[70:71], v[10:11]
	v_mov_b64_e32 v[78:79], v[10:11]
	;; [unrolled: 1-line block ×8, first 2 shown]
	v_mov_b32_e32 v124, 0
	v_mov_b64_e32 v[38:39], v[10:11]
	v_mov_b64_e32 v[50:51], v[10:11]
                                        ; implicit-def: $sgpr8_sgpr9
                                        ; implicit-def: $vgpr84
                                        ; implicit-def: $vgpr85
	s_and_saveexec_b64 s[30:31], vcc
	s_cbranch_execz .LBB1313_102
; %bb.81:
	ds_read2_b64 v[50:53], v48 offset0:9 offset1:10
	v_add_u32_e32 v10, 10, v65
	v_cmp_gt_u32_e32 vcc, s64, v10
	v_mov_b64_e32 v[10:11], 0
	v_mov_b32_e32 v126, 0
	v_mov_b32_e32 v122, 0
	;; [unrolled: 1-line block ×3, first 2 shown]
	v_mov_b64_e32 v[70:71], v[10:11]
	v_mov_b64_e32 v[78:79], v[10:11]
	;; [unrolled: 1-line block ×8, first 2 shown]
	v_mov_b32_e32 v124, 0
	v_mov_b64_e32 v[38:39], v[10:11]
                                        ; implicit-def: $sgpr8_sgpr9
                                        ; implicit-def: $vgpr84
                                        ; implicit-def: $vgpr85
	s_and_saveexec_b64 s[34:35], vcc
	s_cbranch_execz .LBB1313_101
; %bb.82:
	v_cmp_ne_u32_e32 vcc, v33, v24
	v_add_u32_e32 v10, 11, v65
	s_waitcnt lgkmcnt(0)
	v_mov_b32_e32 v38, v52
	v_cndmask_b32_e64 v124, 0, 1, vcc
	v_cmp_gt_u32_e32 vcc, s64, v10
	v_mov_b64_e32 v[10:11], 0
	v_mov_b32_e32 v39, v53
	s_mov_b64 s[40:41], 0
	v_mov_b32_e32 v126, 0
	v_mov_b32_e32 v122, 0
	;; [unrolled: 1-line block ×3, first 2 shown]
	v_mov_b64_e32 v[70:71], v[10:11]
	v_mov_b64_e32 v[78:79], v[10:11]
	v_mov_b64_e32 v[62:63], v[10:11]
	v_mov_b64_e32 v[74:75], v[10:11]
	v_mov_b64_e32 v[54:55], v[10:11]
	v_mov_b64_e32 v[66:67], v[10:11]
	v_mov_b64_e32 v[46:47], v[10:11]
	v_mov_b64_e32 v[58:59], v[10:11]
                                        ; implicit-def: $sgpr6_sgpr7
                                        ; implicit-def: $vgpr84
                                        ; implicit-def: $vgpr85
	s_and_saveexec_b64 s[36:37], vcc
	s_cbranch_execz .LBB1313_100
; %bb.83:
	ds_read2_b64 v[58:61], v48 offset0:11 offset1:12
	v_cmp_ne_u32_e64 s[8:9], v24, v25
	v_add_u32_e32 v10, 12, v65
	v_cmp_ne_u32_e32 vcc, v20, v21
	v_cndmask_b32_e64 v126, 0, 1, s[8:9]
	v_cmp_gt_u32_e64 s[8:9], s64, v10
	v_mov_b64_e32 v[10:11], 0
	v_cmp_ne_u32_e64 s[6:7], v21, v64
	v_cmp_ne_u32_e64 s[4:5], v25, v20
	s_mov_b64 s[42:43], 0
	v_mov_b32_e32 v125, 0
	v_mov_b32_e32 v122, 0
	v_mov_b64_e32 v[70:71], v[10:11]
	v_mov_b64_e32 v[78:79], v[10:11]
	;; [unrolled: 1-line block ×7, first 2 shown]
                                        ; implicit-def: $sgpr44_sgpr45
                                        ; implicit-def: $vgpr84
                                        ; implicit-def: $vgpr85
	s_and_saveexec_b64 s[38:39], s[8:9]
	s_cbranch_execz .LBB1313_99
; %bb.84:
	v_cndmask_b32_e64 v10, 0, 1, s[4:5]
	v_cndmask_b32_e64 v11, 0, 1, s[6:7]
	v_lshlrev_b16_e32 v10, 8, v10
	v_lshlrev_b16_e32 v11, 8, v11
	v_cndmask_b32_e64 v16, 0, 1, vcc
	v_or_b32_e32 v10, v126, v10
	v_or_b32_sdwa v11, v16, v11 dst_sel:WORD_1 dst_unused:UNUSED_PAD src0_sel:DWORD src1_sel:DWORD
	s_waitcnt lgkmcnt(0)
	v_mov_b32_e32 v46, v60
	v_or_b32_sdwa v84, v10, v11 dst_sel:DWORD dst_unused:UNUSED_PAD src0_sel:WORD_0 src1_sel:DWORD
	v_add_u32_e32 v10, 13, v65
	v_cmp_gt_u32_e32 vcc, s64, v10
	v_mov_b64_e32 v[10:11], 0
	v_and_b32_e32 v126, 0xffff, v84
	v_mov_b32_e32 v47, v61
	s_mov_b64 s[4:5], 0
	v_mov_b32_e32 v125, 0
	v_mov_b32_e32 v122, 0
	v_mov_b64_e32 v[70:71], v[10:11]
	v_mov_b64_e32 v[78:79], v[10:11]
	;; [unrolled: 1-line block ×6, first 2 shown]
                                        ; implicit-def: $sgpr6_sgpr7
                                        ; implicit-def: $vgpr85
	s_and_saveexec_b64 s[40:41], vcc
	s_cbranch_execz .LBB1313_98
; %bb.85:
	ds_read2_b64 v[66:69], v48 offset0:13 offset1:14
	v_add_u32_e32 v10, 14, v65
	v_cmp_gt_u32_e32 vcc, s64, v10
	v_mov_b64_e32 v[10:11], 0
	v_and_b32_e32 v126, 0xffffff, v84
	s_mov_b64 s[6:7], 0
	v_mov_b32_e32 v125, 0
	v_mov_b32_e32 v122, 0
	v_mov_b64_e32 v[70:71], v[10:11]
	v_mov_b64_e32 v[78:79], v[10:11]
	;; [unrolled: 1-line block ×5, first 2 shown]
                                        ; implicit-def: $sgpr8_sgpr9
                                        ; implicit-def: $vgpr85
	s_and_saveexec_b64 s[42:43], vcc
	s_cbranch_execz .LBB1313_97
; %bb.86:
	v_add_u32_e32 v10, 15, v65
	v_cmp_gt_u32_e32 vcc, s64, v10
	v_mov_b64_e32 v[10:11], 0
	s_waitcnt lgkmcnt(0)
	v_mov_b32_e32 v54, v68
	v_mov_b32_e32 v55, v69
	;; [unrolled: 1-line block ×4, first 2 shown]
	v_mov_b64_e32 v[70:71], v[10:11]
	v_mov_b64_e32 v[78:79], v[10:11]
	;; [unrolled: 1-line block ×4, first 2 shown]
                                        ; implicit-def: $sgpr8_sgpr9
                                        ; implicit-def: $vgpr85
	s_and_saveexec_b64 s[44:45], vcc
	s_cbranch_execz .LBB1313_96
; %bb.87:
	ds_read2_b64 v[74:77], v48 offset0:15 offset1:16
	v_cmp_ne_u32_e32 vcc, v64, v8
	v_add_u32_e32 v10, 16, v65
	s_mov_b64 s[58:59], 0
	v_cndmask_b32_e64 v122, 0, 1, vcc
	v_cmp_gt_u32_e32 vcc, s64, v10
	v_mov_b64_e32 v[10:11], 0
	v_mov_b32_e32 v125, 0
	v_mov_b64_e32 v[70:71], v[10:11]
	v_mov_b64_e32 v[78:79], v[10:11]
	;; [unrolled: 1-line block ×3, first 2 shown]
                                        ; implicit-def: $sgpr6_sgpr7
                                        ; implicit-def: $vgpr85
	s_and_saveexec_b64 s[46:47], vcc
	s_cbranch_execz .LBB1313_95
; %bb.88:
	v_cmp_ne_u32_e64 s[8:9], v8, v9
	v_add_u32_e32 v8, 17, v65
	v_mov_b64_e32 v[10:11], 0
	s_waitcnt lgkmcnt(0)
	v_mov_b32_e32 v62, v76
	v_mov_b32_e32 v63, v77
	v_cmp_ne_u32_e32 vcc, v12, v13
	v_cmp_ne_u32_e64 s[6:7], v13, v4
	v_cmp_ne_u32_e64 s[4:5], v9, v12
	v_cndmask_b32_e64 v125, 0, 1, s[8:9]
	v_cmp_gt_u32_e64 s[8:9], s64, v8
	s_mov_b64 s[60:61], 0
	v_mov_b64_e32 v[70:71], v[10:11]
	v_mov_b64_e32 v[78:79], v[10:11]
                                        ; implicit-def: $sgpr62_sgpr63
                                        ; implicit-def: $vgpr85
	s_and_saveexec_b64 s[56:57], s[8:9]
	s_cbranch_execz .LBB1313_94
; %bb.89:
	v_cndmask_b32_e64 v8, 0, 1, s[4:5]
	v_cndmask_b32_e64 v9, 0, 1, s[6:7]
	ds_read2_b64 v[78:81], v48 offset0:17 offset1:18
	v_lshlrev_b16_e32 v8, 8, v8
	v_lshlrev_b16_e32 v9, 8, v9
	v_cndmask_b32_e64 v10, 0, 1, vcc
	v_or_b32_e32 v8, v125, v8
	v_or_b32_sdwa v9, v10, v9 dst_sel:WORD_1 dst_unused:UNUSED_PAD src0_sel:DWORD src1_sel:DWORD
	v_mov_b64_e32 v[10:11], 0
	v_or_b32_sdwa v85, v8, v9 dst_sel:DWORD dst_unused:UNUSED_PAD src0_sel:WORD_0 src1_sel:DWORD
	v_add_u32_e32 v8, 18, v65
	v_and_b32_e32 v125, 0xffff, v85
	v_cmp_gt_u32_e32 vcc, s64, v8
	s_mov_b64 s[4:5], 0
	v_mov_b64_e32 v[70:71], v[10:11]
                                        ; implicit-def: $sgpr8_sgpr9
	s_and_saveexec_b64 s[6:7], vcc
	s_cbranch_execz .LBB1313_93
; %bb.90:
	v_add_u32_e32 v8, 19, v65
	s_waitcnt lgkmcnt(0)
	v_mov_b32_e32 v70, v80
	v_mov_b32_e32 v71, v81
	v_cmp_gt_u32_e32 vcc, s64, v8
	v_and_b32_e32 v125, 0xffffff, v85
	v_mov_b64_e32 v[10:11], 0
                                        ; implicit-def: $sgpr8_sgpr9
	s_and_saveexec_b64 s[58:59], vcc
	s_xor_b64 s[58:59], exec, s[58:59]
	s_cbranch_execz .LBB1313_92
; %bb.91:
	ds_read2_b64 v[10:13], v48 offset0:19 offset1:20
	v_cmp_ne_u32_e32 vcc, v4, v5
	v_add_u32_e32 v4, 20, v65
	v_cmp_gt_u32_e64 s[4:5], s64, v4
	s_and_b64 s[8:9], vcc, exec
	s_and_b64 s[4:5], s[4:5], exec
	s_waitcnt lgkmcnt(0)
	v_mov_b64_e32 v[72:73], v[10:11]
	v_mov_b32_e32 v125, v85
.LBB1313_92:
	s_or_b64 exec, exec, s[58:59]
	s_and_b64 s[8:9], s[8:9], exec
	s_and_b64 s[60:61], s[4:5], exec
.LBB1313_93:
	s_or_b64 exec, exec, s[6:7]
	s_and_b64 s[62:63], s[8:9], exec
	s_and_b64 s[58:59], s[60:61], exec
	s_waitcnt lgkmcnt(0)
	v_mov_b64_e32 v[64:65], v[78:79]
	v_mov_b64_e32 v[56:57], v[74:75]
	;; [unrolled: 1-line block ×9, first 2 shown]
.LBB1313_94:
	s_or_b64 exec, exec, s[56:57]
	s_and_b64 s[6:7], s[62:63], exec
	s_and_b64 s[4:5], s[58:59], exec
.LBB1313_95:
	s_or_b64 exec, exec, s[46:47]
	s_and_b64 s[8:9], s[6:7], exec
	s_and_b64 s[6:7], s[4:5], exec
.LBB1313_96:
	s_or_b64 exec, exec, s[44:45]
	s_and_b64 s[8:9], s[8:9], exec
	s_and_b64 s[4:5], s[6:7], exec
	v_mov_b32_e32 v126, v84
.LBB1313_97:
	s_or_b64 exec, exec, s[42:43]
	s_and_b64 s[6:7], s[8:9], exec
	s_and_b64 s[42:43], s[4:5], exec
.LBB1313_98:
	s_or_b64 exec, exec, s[40:41]
	s_and_b64 s[44:45], s[6:7], exec
	s_and_b64 s[40:41], s[42:43], exec
.LBB1313_99:
	s_or_b64 exec, exec, s[38:39]
	s_and_b64 s[6:7], s[44:45], exec
	s_and_b64 s[4:5], s[40:41], exec
.LBB1313_100:
	s_or_b64 exec, exec, s[36:37]
	s_and_b64 s[8:9], s[6:7], exec
	s_and_b64 s[6:7], s[4:5], exec
.LBB1313_101:
	s_or_b64 exec, exec, s[34:35]
	s_and_b64 s[8:9], s[8:9], exec
	s_and_b64 s[4:5], s[6:7], exec
	v_mov_b32_e32 v127, v82
.LBB1313_102:
	s_or_b64 exec, exec, s[30:31]
	s_and_b64 s[6:7], s[8:9], exec
	s_and_b64 s[30:31], s[4:5], exec
.LBB1313_103:
	s_or_b64 exec, exec, s[28:29]
	s_and_b64 s[34:35], s[6:7], exec
	s_and_b64 s[28:29], s[30:31], exec
.LBB1313_104:
	s_or_b64 exec, exec, s[26:27]
	s_and_b64 s[6:7], s[34:35], exec
	s_and_b64 s[4:5], s[28:29], exec
.LBB1313_105:
	s_or_b64 exec, exec, s[24:25]
	s_and_b64 s[8:9], s[6:7], exec
	s_and_b64 s[6:7], s[4:5], exec
.LBB1313_106:
	s_or_b64 exec, exec, s[22:23]
	s_and_b64 s[8:9], s[8:9], exec
	s_and_b64 s[4:5], s[6:7], exec
	v_mov_b32_e32 v128, v83
.LBB1313_107:
	s_or_b64 exec, exec, s[20:21]
	s_and_b64 s[6:7], s[8:9], exec
	s_and_b64 s[20:21], s[4:5], exec
.LBB1313_108:
	s_or_b64 exec, exec, s[18:19]
	s_and_b64 s[22:23], s[6:7], exec
	s_and_b64 s[18:19], s[20:21], exec
.LBB1313_109:
	s_or_b64 exec, exec, s[16:17]
	s_and_b64 s[4:5], s[22:23], exec
	s_and_b64 s[6:7], s[18:19], exec
.LBB1313_110:
	s_or_b64 exec, exec, s[14:15]
	s_and_b64 s[4:5], s[4:5], exec
	s_and_b64 s[6:7], s[6:7], exec
.LBB1313_111:
	s_or_b64 exec, exec, s[12:13]
	s_mov_b64 s[8:9], 0
	s_and_b64 vcc, exec, s[10:11]
	s_cbranch_vccnz .LBB1313_113
	s_branch .LBB1313_121
.LBB1313_112:
                                        ; implicit-def: $sgpr4_sgpr5
                                        ; implicit-def: $vgpr83
                                        ; implicit-def: $vgpr82
                                        ; implicit-def: $vgpr84
                                        ; implicit-def: $vgpr85
                                        ; implicit-def: $vgpr12_vgpr13
                                        ; implicit-def: $vgpr72_vgpr73
                                        ; implicit-def: $vgpr64_vgpr65
                                        ; implicit-def: $vgpr122
                                        ; implicit-def: $vgpr56_vgpr57
                                        ; implicit-def: $vgpr48_vgpr49
                                        ; implicit-def: $vgpr40_vgpr41
                                        ; implicit-def: $vgpr124
                                        ; implicit-def: $vgpr32_vgpr33
                                        ; implicit-def: $vgpr24_vgpr25
                                        ; implicit-def: $vgpr123
                                        ; implicit-def: $vgpr20_vgpr21
                                        ; implicit-def: $vgpr8_vgpr9
                                        ; implicit-def: $vgpr4_vgpr5
                                        ; implicit-def: $vgpr1
                                        ; implicit-def: $vgpr128
                                        ; implicit-def: $vgpr127
                                        ; implicit-def: $vgpr126
                                        ; implicit-def: $vgpr125
                                        ; implicit-def: $sgpr3
                                        ; implicit-def: $sgpr8_sgpr9
                                        ; implicit-def: $vgpr78_vgpr79
                                        ; implicit-def: $vgpr74_vgpr75
                                        ; implicit-def: $vgpr66_vgpr67
                                        ; implicit-def: $vgpr58_vgpr59
                                        ; implicit-def: $vgpr50_vgpr51
                                        ; implicit-def: $vgpr42_vgpr43
                                        ; implicit-def: $vgpr34_vgpr35
                                        ; implicit-def: $vgpr26_vgpr27
                                        ; implicit-def: $vgpr14_vgpr15
	s_and_b64 vcc, exec, s[10:11]
	s_cbranch_vccz .LBB1313_121
.LBB1313_113:
	s_waitcnt lgkmcnt(0)
	v_mov_b32_e32 v3, 0
	v_lshlrev_b32_e32 v2, 2, v0
	v_lshl_add_u64 v[4:5], s[50:51], 0, v[2:3]
	v_add_co_u32_e32 v6, vcc, 0x1000, v4
	s_movk_i32 s3, 0x50
	s_nop 0
	v_addc_co_u32_e32 v7, vcc, 0, v5, vcc
	flat_load_dword v1, v[4:5]
	flat_load_dword v3, v[4:5] offset:1024
	flat_load_dword v10, v[4:5] offset:2048
	;; [unrolled: 1-line block ×3, first 2 shown]
	flat_load_dword v12, v[6:7]
	flat_load_dword v13, v[6:7] offset:1024
	flat_load_dword v14, v[6:7] offset:2048
	;; [unrolled: 1-line block ×3, first 2 shown]
	v_add_co_u32_e32 v6, vcc, 0x2000, v4
	v_mad_u32_u24 v23, v0, s3, v2
	s_nop 0
	v_addc_co_u32_e32 v7, vcc, 0, v5, vcc
	v_add_co_u32_e32 v8, vcc, 0x3000, v4
	s_cmp_eq_u64 s[54:55], 0
	s_nop 0
	v_addc_co_u32_e32 v9, vcc, 0, v5, vcc
	flat_load_dword v16, v[6:7]
	flat_load_dword v17, v[6:7] offset:1024
	flat_load_dword v18, v[6:7] offset:2048
	;; [unrolled: 1-line block ×3, first 2 shown]
	flat_load_dword v20, v[8:9]
	flat_load_dword v21, v[8:9] offset:1024
	flat_load_dword v22, v[8:9] offset:2048
	;; [unrolled: 1-line block ×3, first 2 shown]
	v_add_co_u32_e32 v6, vcc, 0x4000, v4
	s_nop 1
	v_addc_co_u32_e32 v7, vcc, 0, v5, vcc
	v_add_co_u32_e32 v4, vcc, 0x5000, v4
	s_nop 1
	v_addc_co_u32_e32 v5, vcc, 0, v5, vcc
	flat_load_dword v8, v[6:7]
	flat_load_dword v9, v[6:7] offset:1024
	flat_load_dword v25, v[6:7] offset:2048
	;; [unrolled: 1-line block ×3, first 2 shown]
	flat_load_dword v27, v[4:5]
	s_waitcnt vmcnt(0) lgkmcnt(0)
	ds_write2st64_b32 v2, v1, v3 offset1:4
	ds_write2st64_b32 v2, v10, v11 offset0:8 offset1:12
	ds_write2st64_b32 v2, v12, v13 offset0:16 offset1:20
	;; [unrolled: 1-line block ×9, first 2 shown]
	ds_write_b32 v2, v27 offset:20480
	s_waitcnt lgkmcnt(0)
	s_barrier
	ds_read2_b32 v[8:9], v23 offset0:7 offset1:8
	ds_read2_b32 v[6:7], v23 offset0:5 offset1:6
	;; [unrolled: 1-line block ×3, first 2 shown]
	ds_read2_b32 v[10:11], v23 offset1:1
	ds_read2_b32 v[4:5], v23 offset0:4 offset1:9
	ds_read2_b32 v[16:17], v23 offset0:15 offset1:16
	ds_read_b32 v22, v23 offset:56
	ds_read2_b32 v[14:15], v23 offset0:12 offset1:13
	ds_read2_b32 v[12:13], v23 offset0:10 offset1:11
	;; [unrolled: 1-line block ×4, first 2 shown]
	s_cbranch_scc1 .LBB1313_118
; %bb.114:
	s_andn2_b64 vcc, exec, s[52:53]
	s_cbranch_vccnz .LBB1313_288
; %bb.115:
	v_readlane_b32 s8, v131, 0
	v_readlane_b32 s10, v131, 2
	v_readlane_b32 s11, v131, 3
	v_readlane_b32 s14, v131, 6
	v_readlane_b32 s15, v131, 7
	s_lshl_b64 s[4:5], s[54:55], 2
	s_mov_b64 s[10:11], s[14:15]
	s_add_u32 s3, s10, s4
	s_addc_u32 s5, s11, s5
	s_add_u32 s4, s3, -4
	s_addc_u32 s5, s5, -1
	v_readlane_b32 s9, v131, 1
	v_readlane_b32 s12, v131, 4
	;; [unrolled: 1-line block ×3, first 2 shown]
	s_cbranch_execnz .LBB1313_117
.LBB1313_116:
	s_add_u32 s4, s50, -4
	s_addc_u32 s5, s51, -1
.LBB1313_117:
	s_mov_b64 s[50:51], s[4:5]
.LBB1313_118:
	v_mov_b64_e32 v[24:25], s[50:51]
	flat_load_dword v1, v[24:25]
	s_movk_i32 s3, 0xffb0
	v_mad_i32_i24 v23, v0, s3, v23
	v_cmp_ne_u32_e32 vcc, 0, v0
	s_waitcnt lgkmcnt(0)
	ds_write_b32 v23, v21 offset:21504
	s_waitcnt lgkmcnt(0)
	s_barrier
	s_and_saveexec_b64 s[4:5], vcc
	s_cbranch_execz .LBB1313_120
; %bb.119:
	s_waitcnt vmcnt(0)
	ds_read_b32 v1, v23 offset:21500
.LBB1313_120:
	s_or_b64 exec, exec, s[4:5]
	v_lshlrev_b32_e32 v24, 3, v0
	v_mov_b32_e32 v25, 0
	v_lshl_add_u64 v[24:25], s[48:49], 0, v[24:25]
	s_movk_i32 s3, 0x1000
	v_add_co_u32_e32 v26, vcc, s3, v24
	s_movk_i32 s3, 0x2000
	s_nop 0
	v_addc_co_u32_e32 v27, vcc, 0, v25, vcc
	s_waitcnt lgkmcnt(0)
	s_barrier
	flat_load_dwordx2 v[28:29], v[24:25]
	flat_load_dwordx2 v[30:31], v[24:25] offset:2048
	flat_load_dwordx2 v[32:33], v[26:27]
	flat_load_dwordx2 v[34:35], v[26:27] offset:2048
	v_add_co_u32_e32 v26, vcc, s3, v24
	s_movk_i32 s3, 0x3000
	s_nop 0
	v_addc_co_u32_e32 v27, vcc, 0, v25, vcc
	v_add_co_u32_e32 v36, vcc, s3, v24
	s_movk_i32 s3, 0x4000
	s_nop 0
	v_addc_co_u32_e32 v37, vcc, 0, v25, vcc
	flat_load_dwordx2 v[38:39], v[26:27]
	flat_load_dwordx2 v[40:41], v[26:27] offset:2048
	flat_load_dwordx2 v[42:43], v[36:37]
	flat_load_dwordx2 v[44:45], v[36:37] offset:2048
	v_add_co_u32_e32 v26, vcc, s3, v24
	s_movk_i32 s3, 0x5000
	s_nop 0
	v_addc_co_u32_e32 v27, vcc, 0, v25, vcc
	v_add_co_u32_e32 v36, vcc, s3, v24
	s_movk_i32 s3, 0x6000
	s_nop 0
	v_addc_co_u32_e32 v37, vcc, 0, v25, vcc
	flat_load_dwordx2 v[46:47], v[26:27]
	flat_load_dwordx2 v[48:49], v[26:27] offset:2048
	flat_load_dwordx2 v[50:51], v[36:37]
	flat_load_dwordx2 v[52:53], v[36:37] offset:2048
	v_add_co_u32_e32 v26, vcc, s3, v24
	s_movk_i32 s3, 0x7000
	s_nop 0
	v_addc_co_u32_e32 v27, vcc, 0, v25, vcc
	v_add_co_u32_e32 v36, vcc, s3, v24
	s_mov_b32 s3, 0x8000
	s_nop 0
	v_addc_co_u32_e32 v37, vcc, 0, v25, vcc
	flat_load_dwordx2 v[54:55], v[26:27]
	flat_load_dwordx2 v[56:57], v[26:27] offset:2048
	flat_load_dwordx2 v[58:59], v[36:37]
	flat_load_dwordx2 v[60:61], v[36:37] offset:2048
	v_add_co_u32_e32 v26, vcc, s3, v24
	s_mov_b32 s3, 0x9000
	s_nop 0
	v_addc_co_u32_e32 v27, vcc, 0, v25, vcc
	v_add_co_u32_e32 v36, vcc, s3, v24
	s_mov_b32 s3, 0xa000
	s_nop 0
	v_addc_co_u32_e32 v37, vcc, 0, v25, vcc
	flat_load_dwordx2 v[62:63], v[26:27]
	flat_load_dwordx2 v[64:65], v[26:27] offset:2048
	flat_load_dwordx2 v[66:67], v[36:37]
	flat_load_dwordx2 v[68:69], v[36:37] offset:2048
	v_add_co_u32_e32 v24, vcc, s3, v24
	v_cmp_ne_u32_e64 s[4:5], v20, v21
	s_nop 0
	v_addc_co_u32_e32 v25, vcc, 0, v25, vcc
	flat_load_dwordx2 v[24:25], v[24:25]
	v_cmp_ne_u32_e32 vcc, v17, v18
	s_movk_i32 s3, 0xa0
	s_mov_b64 s[6:7], -1
	v_cndmask_b32_e64 v21, 0, 1, vcc
	v_cmp_ne_u32_e32 vcc, v16, v17
	v_lshlrev_b16_e32 v21, 8, v21
                                        ; implicit-def: $vgpr128
                                        ; implicit-def: $vgpr127
                                        ; implicit-def: $vgpr126
                                        ; implicit-def: $vgpr125
                                        ; implicit-def: $sgpr8_sgpr9
                                        ; implicit-def: $vgpr78_vgpr79
                                        ; implicit-def: $vgpr74_vgpr75
                                        ; implicit-def: $vgpr26_vgpr27
	s_nop 0
	v_cndmask_b32_e64 v17, 0, 1, vcc
	v_cmp_ne_u32_e32 vcc, v19, v20
	v_or_b32_e32 v17, v17, v21
	s_nop 0
	v_cndmask_b32_e64 v20, 0, 1, vcc
	v_cmp_ne_u32_e32 vcc, v18, v19
	v_lshlrev_b16_e32 v20, 8, v20
	s_nop 0
	v_cndmask_b32_e64 v18, 0, 1, vcc
	v_cmp_ne_u32_e32 vcc, v22, v16
	v_or_b32_sdwa v18, v18, v20 dst_sel:WORD_1 dst_unused:UNUSED_PAD src0_sel:DWORD src1_sel:DWORD
	s_nop 0
	v_cndmask_b32_e64 v122, 0, 1, vcc
	v_cmp_ne_u32_e32 vcc, v13, v14
	v_or_b32_sdwa v85, v17, v18 dst_sel:DWORD dst_unused:UNUSED_PAD src0_sel:WORD_0 src1_sel:DWORD
	s_nop 0
	v_cndmask_b32_e64 v16, 0, 1, vcc
	v_cmp_ne_u32_e32 vcc, v12, v13
	v_lshlrev_b16_e32 v16, 8, v16
	s_nop 0
	v_cndmask_b32_e64 v13, 0, 1, vcc
	v_cmp_ne_u32_e32 vcc, v15, v22
	v_or_b32_e32 v13, v13, v16
	s_nop 0
	v_cndmask_b32_e64 v16, 0, 1, vcc
	v_cmp_ne_u32_e32 vcc, v14, v15
	v_lshlrev_b16_e32 v16, 8, v16
	s_nop 0
	v_cndmask_b32_e64 v14, 0, 1, vcc
	v_cmp_ne_u32_e32 vcc, v5, v12
	v_or_b32_sdwa v14, v14, v16 dst_sel:WORD_1 dst_unused:UNUSED_PAD src0_sel:DWORD src1_sel:DWORD
	s_nop 0
	v_cndmask_b32_e64 v124, 0, 1, vcc
	v_cmp_ne_u32_e32 vcc, v7, v8
	v_or_b32_sdwa v84, v13, v14 dst_sel:DWORD dst_unused:UNUSED_PAD src0_sel:WORD_0 src1_sel:DWORD
	s_nop 0
	v_cndmask_b32_e64 v12, 0, 1, vcc
	v_cmp_ne_u32_e32 vcc, v6, v7
	v_lshlrev_b16_e32 v12, 8, v12
	;; [unrolled: 20-line block ×3, first 2 shown]
	s_nop 0
	v_cndmask_b32_e64 v6, 0, 1, vcc
	v_cmp_ne_u32_e32 vcc, v3, v4
	v_or_b32_e32 v11, v6, v5
	s_nop 0
	v_cndmask_b32_e64 v4, 0, 1, vcc
	v_cmp_ne_u32_e32 vcc, v2, v3
	v_lshlrev_b16_e32 v4, 8, v4
	s_nop 0
	v_cndmask_b32_e64 v2, 0, 1, vcc
	v_or_b32_sdwa v14, v2, v4 dst_sel:WORD_1 dst_unused:UNUSED_PAD src0_sel:DWORD src1_sel:DWORD
	v_lshl_add_u32 v2, v0, 2, v23
	v_mad_u32_u24 v12, v0, s3, v2
	s_waitcnt vmcnt(0) lgkmcnt(0)
	ds_write2st64_b64 v2, v[28:29], v[30:31] offset1:4
	ds_write2st64_b64 v2, v[32:33], v[34:35] offset0:8 offset1:12
	ds_write2st64_b64 v2, v[38:39], v[40:41] offset0:16 offset1:20
	;; [unrolled: 1-line block ×9, first 2 shown]
	ds_write_b64 v2, v[24:25] offset:40960
	s_waitcnt lgkmcnt(0)
	s_barrier
	ds_read2_b64 v[2:5], v12 offset1:1
	ds_read2_b64 v[6:9], v12 offset0:2 offset1:3
	ds_read2_b64 v[18:21], v12 offset0:4 offset1:5
	;; [unrolled: 1-line block ×9, first 2 shown]
	ds_read_b64 v[12:13], v12 offset:160
	v_cmp_ne_u32_e32 vcc, v1, v10
	v_or_b32_sdwa v83, v11, v14 dst_sel:DWORD dst_unused:UNUSED_PAD src0_sel:WORD_0 src1_sel:DWORD
                                        ; implicit-def: $sgpr3
                                        ; implicit-def: $vgpr66_vgpr67
                                        ; implicit-def: $vgpr58_vgpr59
                                        ; implicit-def: $vgpr50_vgpr51
                                        ; implicit-def: $vgpr42_vgpr43
                                        ; implicit-def: $vgpr34_vgpr35
                                        ; implicit-def: $vgpr14_vgpr15
	s_nop 0
	v_cndmask_b32_e64 v1, 0, 1, vcc
.LBB1313_121:
	s_waitcnt lgkmcnt(0)
	v_mov_b64_e32 v[16:17], s[8:9]
	v_mov_b32_e32 v28, s3
	s_and_saveexec_b64 s[8:9], s[6:7]
	s_cbranch_execz .LBB1313_123
; %bb.122:
	v_cndmask_b32_e64 v28, 0, 1, s[4:5]
	v_mov_b64_e32 v[14:15], v[4:5]
	v_mov_b64_e32 v[26:27], v[8:9]
	;; [unrolled: 1-line block ×11, first 2 shown]
	v_mov_b32_e32 v125, v85
	v_mov_b32_e32 v126, v84
	;; [unrolled: 1-line block ×4, first 2 shown]
.LBB1313_123:
	s_or_b64 exec, exec, s[8:9]
	v_and_b32_e32 v129, 1, v123
	v_and_b32_e32 v37, 1, v124
	;; [unrolled: 1-line block ×4, first 2 shown]
	s_cmp_lg_u32 s2, 0
	v_lshrrev_b32_e32 v130, 8, v128
	v_cmp_eq_u32_e32 vcc, 1, v129
	v_lshrrev_b32_e32 v41, 8, v127
	v_cmp_eq_u32_e64 s[44:45], 1, v37
	v_lshrrev_b32_e32 v40, 8, v126
	v_cmp_eq_u32_e64 s[46:47], 1, v33
	;; [unrolled: 2-line block ×3, first 2 shown]
	v_mbcnt_lo_u32_b32 v29, -1, 0
	s_barrier
	s_cbranch_scc0 .LBB1313_190
; %bb.124:
	v_mov_b32_e32 v8, 0
	v_cmp_eq_u16_sdwa s[64:65], v128, v8 src0_sel:BYTE_0 src1_sel:DWORD
	v_and_b32_e32 v9, 1, v128
	s_movk_i32 s3, 0xff
	v_cndmask_b32_e64 v5, 0, v3, s[64:65]
	v_cndmask_b32_e64 v4, 0, v2, s[64:65]
	v_cmp_eq_u32_e64 s[48:49], 1, v9
	v_and_b32_e32 v9, 0x100, v128
	v_lshl_add_u64 v[4:5], v[4:5], 0, v[14:15]
	v_cmp_eq_u16_sdwa s[4:5], v130, v8 src0_sel:BYTE_0 src1_sel:DWORD
	v_cmp_ne_u32_e64 s[52:53], 0, v9
	v_and_b32_sdwa v9, v128, s3 dst_sel:DWORD dst_unused:UNUSED_PAD src0_sel:WORD_1 src1_sel:DWORD
	v_cndmask_b32_e64 v5, 0, v5, s[4:5]
	v_cndmask_b32_e64 v4, 0, v4, s[4:5]
	v_cmp_eq_u16_e64 s[6:7], 0, v9
	v_and_b32_e32 v9, 0x10000, v128
	v_lshl_add_u64 v[4:5], v[4:5], 0, v[6:7]
	v_cmp_ne_u32_e64 s[54:55], 0, v9
	v_and_b32_e32 v9, 0x1000000, v128
	v_cndmask_b32_e64 v5, 0, v5, s[6:7]
	v_cndmask_b32_e64 v4, 0, v4, s[6:7]
	v_cmp_ne_u32_e64 s[56:57], 0, v9
	v_and_b32_e32 v9, 1, v127
	v_lshl_add_u64 v[4:5], v[4:5], 0, v[26:27]
	v_cmp_eq_u16_sdwa s[8:9], v128, v8 src0_sel:BYTE_3 src1_sel:DWORD
	v_cmp_eq_u32_e64 s[58:59], 1, v9
	v_and_b32_e32 v9, 0x100, v127
	v_cndmask_b32_e64 v5, 0, v5, s[8:9]
	v_cndmask_b32_e64 v4, 0, v4, s[8:9]
	v_cmp_ne_u32_e64 s[60:61], 0, v9
	v_and_b32_sdwa v9, v127, s3 dst_sel:DWORD dst_unused:UNUSED_PAD src0_sel:WORD_1 src1_sel:DWORD
	v_lshl_add_u64 v[4:5], v[4:5], 0, v[18:19]
	v_cmp_eq_u16_sdwa s[10:11], v123, v8 src0_sel:BYTE_0 src1_sel:DWORD
	v_cmp_eq_u16_e64 s[16:17], 0, v9
	v_and_b32_e32 v9, 0x10000, v127
	v_cndmask_b32_e64 v5, 0, v5, s[10:11]
	v_cndmask_b32_e64 v4, 0, v4, s[10:11]
	v_cmp_ne_u32_e64 s[62:63], 0, v9
	v_and_b32_e32 v9, 0x1000000, v127
	v_lshl_add_u64 v[4:5], v[4:5], 0, v[34:35]
	v_cmp_eq_u16_sdwa s[12:13], v127, v8 src0_sel:BYTE_0 src1_sel:DWORD
	v_cmp_ne_u32_e64 s[66:67], 0, v9
	v_and_b32_e32 v9, 1, v126
	v_cndmask_b32_e64 v5, 0, v5, s[12:13]
	v_cndmask_b32_e64 v4, 0, v4, s[12:13]
	v_cmp_eq_u32_e64 s[68:69], 1, v9
	v_and_b32_e32 v9, 0x100, v126
	v_lshl_add_u64 v[4:5], v[4:5], 0, v[22:23]
	v_cmp_eq_u16_sdwa s[14:15], v41, v8 src0_sel:BYTE_0 src1_sel:DWORD
	v_cmp_ne_u32_e64 s[70:71], 0, v9
	v_and_b32_sdwa v9, v126, s3 dst_sel:DWORD dst_unused:UNUSED_PAD src0_sel:WORD_1 src1_sel:DWORD
	v_cndmask_b32_e64 v5, 0, v5, s[14:15]
	v_cndmask_b32_e64 v4, 0, v4, s[14:15]
	v_cmp_eq_u16_e64 s[26:27], 0, v9
	v_and_b32_e32 v9, 0x10000, v126
	v_lshl_add_u64 v[4:5], v[4:5], 0, v[42:43]
	v_cmp_ne_u32_e64 s[72:73], 0, v9
	v_and_b32_e32 v9, 0x1000000, v126
	v_cndmask_b32_e64 v5, 0, v5, s[16:17]
	v_cndmask_b32_e64 v4, 0, v4, s[16:17]
	v_cmp_ne_u32_e64 s[74:75], 0, v9
	v_and_b32_e32 v9, 1, v125
	v_lshl_add_u64 v[4:5], v[4:5], 0, v[30:31]
	v_cmp_eq_u16_sdwa s[18:19], v127, v8 src0_sel:BYTE_3 src1_sel:DWORD
	v_cmp_eq_u32_e64 s[76:77], 1, v9
	v_and_b32_e32 v9, 0x100, v125
	v_cndmask_b32_e64 v5, 0, v5, s[18:19]
	v_cndmask_b32_e64 v4, 0, v4, s[18:19]
	v_cmp_ne_u32_e64 s[78:79], 0, v9
	v_and_b32_sdwa v9, v125, s3 dst_sel:DWORD dst_unused:UNUSED_PAD src0_sel:WORD_1 src1_sel:DWORD
	v_lshl_add_u64 v[4:5], v[4:5], 0, v[50:51]
	v_cmp_eq_u16_sdwa s[20:21], v124, v8 src0_sel:BYTE_0 src1_sel:DWORD
	v_cmp_eq_u16_e64 s[38:39], 0, v9
	v_and_b32_e32 v9, 0x10000, v125
	v_cndmask_b32_e64 v5, 0, v5, s[20:21]
	v_cndmask_b32_e64 v4, 0, v4, s[20:21]
	v_cmp_ne_u32_e64 s[80:81], 0, v9
	v_and_b32_e32 v9, 0x1000000, v125
	v_lshl_add_u64 v[4:5], v[4:5], 0, v[38:39]
	v_cmp_eq_u16_sdwa s[22:23], v126, v8 src0_sel:BYTE_0 src1_sel:DWORD
	v_cmp_ne_u32_e64 s[82:83], 0, v9
	s_or_b64 s[50:51], s[50:51], s[82:83]
	v_cndmask_b32_e64 v5, 0, v5, s[22:23]
	v_cndmask_b32_e64 v4, 0, v4, s[22:23]
	v_lshl_add_u64 v[4:5], v[4:5], 0, v[58:59]
	v_cmp_eq_u16_sdwa s[24:25], v40, v8 src0_sel:BYTE_0 src1_sel:DWORD
	s_or_b64 s[50:51], s[50:51], s[80:81]
	s_or_b64 s[50:51], s[50:51], s[78:79]
	v_cndmask_b32_e64 v5, 0, v5, s[24:25]
	v_cndmask_b32_e64 v4, 0, v4, s[24:25]
	v_lshl_add_u64 v[4:5], v[4:5], 0, v[46:47]
	s_or_b64 s[50:51], s[50:51], s[76:77]
	v_cndmask_b32_e64 v5, 0, v5, s[26:27]
	v_cndmask_b32_e64 v4, 0, v4, s[26:27]
	s_or_b64 s[46:47], s[50:51], s[46:47]
	v_lshl_add_u64 v[4:5], v[4:5], 0, v[66:67]
	v_cmp_eq_u16_sdwa s[28:29], v126, v8 src0_sel:BYTE_3 src1_sel:DWORD
	s_or_b64 s[46:47], s[46:47], s[74:75]
	s_or_b64 s[46:47], s[46:47], s[72:73]
	v_cndmask_b32_e64 v5, 0, v5, s[28:29]
	v_cndmask_b32_e64 v4, 0, v4, s[28:29]
	v_lshl_add_u64 v[4:5], v[4:5], 0, v[54:55]
	v_cmp_eq_u16_sdwa s[30:31], v122, v8 src0_sel:BYTE_0 src1_sel:DWORD
	s_or_b64 s[46:47], s[46:47], s[70:71]
	s_or_b64 s[46:47], s[46:47], s[68:69]
	v_cndmask_b32_e64 v5, 0, v5, s[30:31]
	v_cndmask_b32_e64 v4, 0, v4, s[30:31]
	v_lshl_add_u64 v[4:5], v[4:5], 0, v[74:75]
	v_cmp_eq_u16_sdwa s[34:35], v125, v8 src0_sel:BYTE_0 src1_sel:DWORD
	;; [unrolled: 6-line block ×3, first 2 shown]
	s_or_b64 s[44:45], s[44:45], s[62:63]
	s_or_b64 s[44:45], s[44:45], s[60:61]
	v_cndmask_b32_e64 v5, 0, v5, s[36:37]
	v_cndmask_b32_e64 v4, 0, v4, s[36:37]
	v_lshl_add_u64 v[4:5], v[4:5], 0, v[78:79]
	s_or_b64 s[44:45], s[44:45], s[58:59]
	v_cndmask_b32_e64 v5, 0, v5, s[38:39]
	v_cndmask_b32_e64 v4, 0, v4, s[38:39]
	s_or_b64 s[44:45], s[44:45], vcc
	v_lshl_add_u64 v[4:5], v[4:5], 0, v[70:71]
	v_cmp_eq_u16_sdwa s[40:41], v125, v8 src0_sel:BYTE_3 src1_sel:DWORD
	s_or_b64 s[44:45], s[44:45], s[56:57]
	s_or_b64 s[44:45], s[44:45], s[54:55]
	v_cndmask_b32_e64 v5, 0, v5, s[40:41]
	v_cndmask_b32_e64 v4, 0, v4, s[40:41]
	v_lshl_add_u64 v[4:5], v[4:5], 0, v[10:11]
	v_cmp_eq_u16_sdwa s[42:43], v28, v8 src0_sel:BYTE_0 src1_sel:DWORD
	s_or_b64 s[44:45], s[44:45], s[52:53]
	v_and_b32_e32 v12, 0xff, v1
	v_cndmask_b32_e64 v5, 0, v5, s[42:43]
	v_cndmask_b32_e64 v4, 0, v4, s[42:43]
	s_or_b64 s[44:45], s[44:45], s[48:49]
	v_mbcnt_hi_u32_b32 v52, -1, v29
	v_lshl_add_u64 v[8:9], v[4:5], 0, v[16:17]
	v_cndmask_b32_e64 v12, v12, 1, s[44:45]
	v_and_b32_e32 v4, 15, v52
	v_mov_b32_dpp v13, v8 row_shr:1 row_mask:0xf bank_mask:0xf
	v_mov_b32_dpp v20, v9 row_shr:1 row_mask:0xf bank_mask:0xf
	;; [unrolled: 1-line block ×3, first 2 shown]
	v_cmp_ne_u32_e32 vcc, 0, v4
	s_and_saveexec_b64 s[44:45], vcc
; %bb.125:
	v_cmp_eq_u32_e32 vcc, 0, v12
	v_and_or_b32 v12, v5, 1, v12
	s_nop 0
	v_cndmask_b32_e32 v21, 0, v20, vcc
	v_cndmask_b32_e32 v20, 0, v13, vcc
	v_lshl_add_u64 v[8:9], v[20:21], 0, v[8:9]
; %bb.126:
	s_or_b64 exec, exec, s[44:45]
	s_nop 0
	v_mov_b32_dpp v13, v8 row_shr:2 row_mask:0xf bank_mask:0xf
	v_mov_b32_dpp v20, v9 row_shr:2 row_mask:0xf bank_mask:0xf
	v_mov_b32_dpp v5, v12 row_shr:2 row_mask:0xf bank_mask:0xf
	v_cmp_lt_u32_e32 vcc, 1, v4
	s_and_saveexec_b64 s[44:45], vcc
; %bb.127:
	v_cmp_eq_u32_e32 vcc, 0, v12
	v_or_b32_e32 v5, v5, v12
	v_and_b32_e32 v12, 1, v5
	v_cndmask_b32_e32 v21, 0, v20, vcc
	v_cndmask_b32_e32 v20, 0, v13, vcc
	v_lshl_add_u64 v[8:9], v[20:21], 0, v[8:9]
; %bb.128:
	s_or_b64 exec, exec, s[44:45]
	s_nop 0
	v_mov_b32_dpp v13, v8 row_shr:4 row_mask:0xf bank_mask:0xf
	v_mov_b32_dpp v20, v9 row_shr:4 row_mask:0xf bank_mask:0xf
	v_mov_b32_dpp v5, v12 row_shr:4 row_mask:0xf bank_mask:0xf
	v_cmp_lt_u32_e32 vcc, 3, v4
	s_and_saveexec_b64 s[44:45], vcc
; %bb.129:
	v_cmp_eq_u32_e32 vcc, 0, v12
	v_or_b32_e32 v5, v5, v12
	v_and_b32_e32 v12, 1, v5
	;; [unrolled: 15-line block ×3, first 2 shown]
	v_cndmask_b32_e32 v21, 0, v20, vcc
	v_cndmask_b32_e32 v20, 0, v13, vcc
	v_lshl_add_u64 v[8:9], v[20:21], 0, v[8:9]
; %bb.132:
	s_or_b64 exec, exec, s[44:45]
	v_and_b32_e32 v20, 16, v52
	v_mov_b32_dpp v5, v8 row_bcast:15 row_mask:0xf bank_mask:0xf
	v_mov_b32_dpp v13, v9 row_bcast:15 row_mask:0xf bank_mask:0xf
	;; [unrolled: 1-line block ×3, first 2 shown]
	v_cmp_ne_u32_e32 vcc, 0, v20
	s_and_saveexec_b64 s[44:45], vcc
; %bb.133:
	v_cmp_eq_u32_e32 vcc, 0, v12
	v_or_b32_e32 v4, v4, v12
	v_and_b32_e32 v12, 1, v4
	v_cndmask_b32_e32 v21, 0, v13, vcc
	v_cndmask_b32_e32 v20, 0, v5, vcc
	v_lshl_add_u64 v[8:9], v[20:21], 0, v[8:9]
; %bb.134:
	s_or_b64 exec, exec, s[44:45]
	s_nop 0
	v_mov_b32_dpp v13, v8 row_bcast:31 row_mask:0xf bank_mask:0xf
	v_mov_b32_dpp v20, v9 row_bcast:31 row_mask:0xf bank_mask:0xf
	;; [unrolled: 1-line block ×3, first 2 shown]
	v_cmp_lt_u32_e32 vcc, 31, v52
	v_mov_b32_e32 v4, v12
	s_and_saveexec_b64 s[44:45], vcc
; %bb.135:
	v_cmp_eq_u32_e32 vcc, 0, v12
	v_or_b32_e32 v5, v5, v12
	v_and_b32_e32 v4, 1, v5
	v_cndmask_b32_e32 v21, 0, v20, vcc
	v_cndmask_b32_e32 v20, 0, v13, vcc
	v_lshl_add_u64 v[8:9], v[20:21], 0, v[8:9]
	v_and_b32_e32 v12, 1, v5
; %bb.136:
	s_or_b64 exec, exec, s[44:45]
	v_or_b32_e32 v5, 63, v0
	v_lshrrev_b32_e32 v13, 6, v0
	v_cmp_eq_u32_e32 vcc, v5, v0
	s_and_saveexec_b64 s[44:45], vcc
	s_cbranch_execz .LBB1313_138
; %bb.137:
	v_lshlrev_b32_e32 v5, 4, v13
	ds_write_b64 v5, v[8:9]
	ds_write_b8 v5, v4 offset:8
.LBB1313_138:
	s_or_b64 exec, exec, s[44:45]
	v_cmp_gt_u32_e32 vcc, 4, v0
	s_waitcnt lgkmcnt(0)
	s_barrier
	s_and_saveexec_b64 s[46:47], vcc
	s_cbranch_execz .LBB1313_144
; %bb.139:
	v_lshlrev_b32_e32 v20, 4, v0
	ds_read_b64 v[4:5], v20
	ds_read_b32 v21, v20 offset:8
	v_and_b32_e32 v24, 3, v52
	v_cmp_ne_u32_e32 vcc, 0, v24
	s_waitcnt lgkmcnt(1)
	v_mov_b32_dpp v48, v4 row_shr:1 row_mask:0xf bank_mask:0xf
	v_mov_b32_dpp v49, v5 row_shr:1 row_mask:0xf bank_mask:0xf
	s_waitcnt lgkmcnt(0)
	v_mov_b32_dpp v45, v21 row_shr:1 row_mask:0xf bank_mask:0xf
	v_mov_b32_e32 v25, v21
	v_mov_b32_e32 v44, v21
	s_and_saveexec_b64 s[44:45], vcc
; %bb.140:
	v_mov_b32_e32 v25, 0
	v_cmp_eq_u16_sdwa vcc, v21, v25 src0_sel:BYTE_0 src1_sel:DWORD
	v_or_b32_e32 v44, v45, v21
	v_and_b32_e32 v25, 1, v44
	v_cndmask_b32_e32 v49, 0, v49, vcc
	v_cndmask_b32_e32 v48, 0, v48, vcc
	v_and_b32_e32 v44, 1, v44
	s_movk_i32 s3, 0xff00
	v_lshl_add_u64 v[4:5], v[48:49], 0, v[4:5]
	v_and_or_b32 v21, v21, s3, v44
; %bb.141:
	s_or_b64 exec, exec, s[44:45]
	v_mov_b32_dpp v45, v4 row_shr:2 row_mask:0xf bank_mask:0xf
	v_mov_b32_dpp v48, v5 row_shr:2 row_mask:0xf bank_mask:0xf
	v_mov_b32_dpp v21, v21 row_shr:2 row_mask:0xf bank_mask:0xf
	v_cmp_lt_u32_e32 vcc, 1, v24
	s_and_saveexec_b64 s[48:49], vcc
; %bb.142:
	v_mov_b32_e32 v24, 0
	v_cmp_eq_u16_sdwa vcc, v44, v24 src0_sel:BYTE_0 src1_sel:DWORD
	v_and_b32_e32 v21, 1, v21
	v_cmp_eq_u32_e64 s[44:45], 1, v21
	v_cndmask_b32_e32 v25, 0, v48, vcc
	v_cndmask_b32_e32 v24, 0, v45, vcc
	v_lshl_add_u64 v[4:5], v[24:25], 0, v[4:5]
	v_and_b32_e32 v24, 1, v44
	v_cmp_eq_u32_e32 vcc, 1, v24
	s_or_b64 s[44:45], vcc, s[44:45]
	v_cndmask_b32_e64 v25, 0, 1, s[44:45]
; %bb.143:
	s_or_b64 exec, exec, s[48:49]
	ds_write_b64 v20, v[4:5]
	ds_write_b8 v20, v25 offset:8
.LBB1313_144:
	s_or_b64 exec, exec, s[46:47]
	v_cmp_gt_u32_e32 vcc, 64, v0
	v_cmp_lt_u32_e64 s[44:45], 63, v0
	v_mov_b32_e32 v44, 0
	v_mov_b64_e32 v[4:5], 0
	s_waitcnt lgkmcnt(0)
	s_barrier
	s_and_saveexec_b64 s[46:47], s[44:45]
	s_cbranch_execz .LBB1313_146
; %bb.145:
	v_lshl_add_u32 v13, v13, 4, -16
	ds_read_b64 v[4:5], v13
	ds_read_u8 v44, v13 offset:8
	v_and_b32_e32 v20, 1, v12
	v_cmp_eq_u32_e64 s[44:45], 0, v12
	s_waitcnt lgkmcnt(1)
	s_nop 0
	v_cndmask_b32_e64 v13, 0, v5, s[44:45]
	v_cndmask_b32_e64 v12, 0, v4, s[44:45]
	v_cmp_eq_u32_e64 s[44:45], 1, v20
	v_lshl_add_u64 v[8:9], v[12:13], 0, v[8:9]
	s_waitcnt lgkmcnt(0)
	v_cndmask_b32_e64 v12, v44, 1, s[44:45]
.LBB1313_146:
	s_or_b64 exec, exec, s[46:47]
	v_add_u32_e32 v13, -1, v52
	v_and_b32_e32 v20, 64, v52
	v_cmp_lt_i32_e64 s[44:45], v13, v20
	s_nop 1
	v_cndmask_b32_e64 v13, v13, v52, s[44:45]
	v_lshlrev_b32_e32 v13, 2, v13
	ds_bpermute_b32 v45, v13, v8
	ds_bpermute_b32 v48, v13, v9
	;; [unrolled: 1-line block ×3, first 2 shown]
	v_cmp_eq_u32_e64 s[44:45], 0, v52
	s_and_saveexec_b64 s[48:49], vcc
	s_cbranch_execz .LBB1313_189
; %bb.147:
	v_mov_b32_e32 v13, 0
	ds_read2_b64 v[80:83], v13 offset0:6 offset1:7
	s_and_saveexec_b64 s[46:47], s[44:45]
	s_cbranch_execz .LBB1313_149
; %bb.148:
	s_add_i32 s50, s2, 64
	s_mov_b32 s51, 0
	s_lshl_b64 s[52:53], s[50:51], 4
	s_add_u32 s52, s84, s52
	s_addc_u32 s53, s85, s53
	v_mov_b32_e32 v8, s50
	v_mov_b32_e32 v9, 1
	s_waitcnt lgkmcnt(0)
	global_store_dword v13, v80, s[52:53] sc1
	global_store_dword v13, v81, s[52:53] offset:4 sc1
	global_store_dword v13, v82, s[52:53] offset:8 sc1
	;; [unrolled: 1-line block ×3, first 2 shown]
	s_waitcnt vmcnt(0)
	global_store_byte v8, v9, s[88:89] sc1
.LBB1313_149:
	s_or_b64 exec, exec, s[46:47]
	v_xad_u32 v8, v52, -1, s2
	v_add_u32_e32 v12, 64, v8
	global_load_ubyte v53, v12, s[88:89] sc1
	s_waitcnt vmcnt(0)
	v_cmp_eq_u16_e32 vcc, 0, v53
	s_and_saveexec_b64 s[46:47], vcc
	s_cbranch_execz .LBB1313_153
; %bb.150:
	v_lshl_add_u64 v[20:21], s[88:89], 0, v[12:13]
	s_mov_b64 s[50:51], 0
.LBB1313_151:                           ; =>This Inner Loop Header: Depth=1
	global_load_ubyte v53, v[20:21], off sc1
	s_waitcnt vmcnt(0)
	v_cmp_ne_u16_e32 vcc, 0, v53
	s_or_b64 s[50:51], vcc, s[50:51]
	s_andn2_b64 exec, exec, s[50:51]
	s_cbranch_execnz .LBB1313_151
; %bb.152:
	s_or_b64 exec, exec, s[50:51]
.LBB1313_153:
	s_or_b64 exec, exec, s[46:47]
	v_mov_b32_e32 v9, s87
	v_mov_b32_e32 v20, s85
	v_cmp_eq_u16_e32 vcc, 1, v53
	s_waitcnt vmcnt(0) lgkmcnt(0)
	s_nop 0
	v_cndmask_b32_e32 v21, v9, v20, vcc
	v_mov_b32_e32 v9, s86
	v_mov_b32_e32 v20, s84
	v_cndmask_b32_e32 v20, v9, v20, vcc
	v_lshl_add_u64 v[12:13], v[12:13], 4, v[20:21]
	global_load_dword v24, v[12:13], off sc1
	global_load_dword v25, v[12:13], off offset:4 sc1
	global_load_dword v84, v[12:13], off offset:8 sc1
	global_load_dword v9, v[12:13], off offset:12 sc1
	v_cmp_eq_u16_e32 vcc, 2, v53
	v_lshlrev_b64 v[12:13], v52, -1
	v_and_b32_e32 v56, 63, v52
	s_waitcnt vmcnt(0)
	v_and_b32_e32 v9, vcc_hi, v13
	v_and_b32_e32 v64, vcc_lo, v12
	v_cmp_ne_u32_e32 vcc, 63, v56
	v_or_b32_e32 v9, 0x80000000, v9
	v_ffbl_b32_e32 v9, v9
	v_addc_co_u32_e32 v20, vcc, 0, v52, vcc
	v_lshlrev_b32_e32 v57, 2, v20
	v_add_u32_e32 v9, 32, v9
	v_ffbl_b32_e32 v64, v64
	v_min_u32_e32 v9, v64, v9
	v_cmp_lt_u32_e32 vcc, v56, v9
	ds_bpermute_b32 v60, v57, v24
	ds_bpermute_b32 v61, v57, v25
	v_and_b32_e32 v20, 0xff, v84
	ds_bpermute_b32 v21, v57, v20
	s_and_saveexec_b64 s[46:47], vcc
	s_cbranch_execz .LBB1313_155
; %bb.154:
	v_mov_b32_e32 v20, 0
	v_cmp_eq_u16_sdwa vcc, v84, v20 src0_sel:BYTE_0 src1_sel:DWORD
	s_waitcnt lgkmcnt(0)
	v_or_b32_e32 v20, v21, v84
	v_and_b32_e32 v84, 1, v20
	v_cndmask_b32_e32 v61, 0, v61, vcc
	v_cndmask_b32_e32 v60, 0, v60, vcc
	v_lshl_add_u64 v[24:25], v[60:61], 0, v[24:25]
	v_and_b32_e32 v20, 1, v20
.LBB1313_155:
	s_or_b64 exec, exec, s[46:47]
	v_cmp_gt_u32_e32 vcc, 62, v56
	s_waitcnt lgkmcnt(1)
	v_add_u32_e32 v61, 2, v56
	s_waitcnt lgkmcnt(0)
	v_cndmask_b32_e64 v21, 0, 1, vcc
	v_lshlrev_b32_e32 v21, 1, v21
	v_add_lshl_u32 v60, v21, v52, 2
	ds_bpermute_b32 v64, v60, v24
	ds_bpermute_b32 v65, v60, v25
	ds_bpermute_b32 v21, v60, v20
	v_cmp_le_u32_e32 vcc, v61, v9
	s_and_saveexec_b64 s[50:51], vcc
	s_cbranch_execz .LBB1313_157
; %bb.156:
	v_mov_b32_e32 v20, 0
	v_cmp_eq_u16_sdwa vcc, v84, v20 src0_sel:BYTE_0 src1_sel:DWORD
	v_and_b32_e32 v20, 1, v84
	s_waitcnt lgkmcnt(1)
	v_cndmask_b32_e32 v65, 0, v65, vcc
	v_cndmask_b32_e32 v64, 0, v64, vcc
	v_cmp_eq_u32_e32 vcc, 1, v20
	s_waitcnt lgkmcnt(0)
	v_and_b32_e32 v20, 1, v21
	v_cmp_eq_u32_e64 s[46:47], 1, v20
	s_or_b64 s[46:47], vcc, s[46:47]
	v_lshl_add_u64 v[24:25], v[64:65], 0, v[24:25]
	v_cndmask_b32_e64 v84, 0, 1, s[46:47]
	v_cndmask_b32_e64 v20, 0, 1, s[46:47]
.LBB1313_157:
	s_or_b64 exec, exec, s[50:51]
	v_cmp_gt_u32_e32 vcc, 60, v56
	s_waitcnt lgkmcnt(1)
	v_add_u32_e32 v65, 4, v56
	s_waitcnt lgkmcnt(0)
	v_cndmask_b32_e64 v21, 0, 1, vcc
	v_lshlrev_b32_e32 v21, 2, v21
	v_add_lshl_u32 v64, v21, v52, 2
	ds_bpermute_b32 v68, v64, v24
	ds_bpermute_b32 v69, v64, v25
	ds_bpermute_b32 v21, v64, v20
	v_cmp_le_u32_e32 vcc, v65, v9
	s_and_saveexec_b64 s[50:51], vcc
	s_cbranch_execz .LBB1313_159
; %bb.158:
	v_mov_b32_e32 v20, 0
	v_cmp_eq_u16_sdwa vcc, v84, v20 src0_sel:BYTE_0 src1_sel:DWORD
	v_and_b32_e32 v20, 1, v84
	s_waitcnt lgkmcnt(1)
	v_cndmask_b32_e32 v69, 0, v69, vcc
	v_cndmask_b32_e32 v68, 0, v68, vcc
	v_cmp_eq_u32_e32 vcc, 1, v20
	s_waitcnt lgkmcnt(0)
	v_and_b32_e32 v20, 1, v21
	v_cmp_eq_u32_e64 s[46:47], 1, v20
	s_or_b64 s[46:47], vcc, s[46:47]
	v_lshl_add_u64 v[24:25], v[68:69], 0, v[24:25]
	v_cndmask_b32_e64 v84, 0, 1, s[46:47]
	v_cndmask_b32_e64 v20, 0, 1, s[46:47]
.LBB1313_159:
	;; [unrolled: 30-line block ×4, first 2 shown]
	s_or_b64 exec, exec, s[50:51]
	v_cmp_gt_u32_e32 vcc, 32, v56
	s_waitcnt lgkmcnt(1)
	v_add_u32_e32 v77, 32, v56
	s_waitcnt lgkmcnt(0)
	v_cndmask_b32_e64 v21, 0, 1, vcc
	v_lshlrev_b32_e32 v21, 5, v21
	v_add_lshl_u32 v76, v21, v52, 2
	ds_bpermute_b32 v21, v76, v24
	ds_bpermute_b32 v52, v76, v25
	ds_bpermute_b32 v20, v76, v20
	v_cmp_le_u32_e32 vcc, v77, v9
	s_and_saveexec_b64 s[50:51], vcc
	s_cbranch_execz .LBB1313_165
; %bb.164:
	v_mov_b32_e32 v9, 0
	v_cmp_eq_u16_sdwa vcc, v84, v9 src0_sel:BYTE_0 src1_sel:DWORD
	v_and_b32_e32 v9, 1, v84
	s_waitcnt lgkmcnt(1)
	v_cndmask_b32_e32 v87, 0, v52, vcc
	v_cndmask_b32_e32 v86, 0, v21, vcc
	v_cmp_eq_u32_e32 vcc, 1, v9
	s_waitcnt lgkmcnt(0)
	v_and_b32_e32 v9, 1, v20
	v_cmp_eq_u32_e64 s[46:47], 1, v9
	s_or_b64 s[46:47], vcc, s[46:47]
	v_lshl_add_u64 v[24:25], v[86:87], 0, v[24:25]
	v_cndmask_b32_e64 v84, 0, 1, s[46:47]
.LBB1313_165:
	s_or_b64 exec, exec, s[50:51]
	v_mov_b32_e32 v9, 0
	v_mov_b32_e32 v83, 2
	s_branch .LBB1313_167
.LBB1313_166:                           ;   in Loop: Header=BB1313_167 Depth=1
	s_or_b64 exec, exec, s[52:53]
	v_cmp_eq_u16_sdwa vcc, v52, v9 src0_sel:BYTE_0 src1_sel:DWORD
	v_and_b32_e32 v84, 1, v52
	v_subrev_u32_e32 v8, 64, v8
	v_cndmask_b32_e32 v25, 0, v25, vcc
	v_cndmask_b32_e32 v24, 0, v24, vcc
	v_cmp_eq_u32_e32 vcc, 1, v84
	s_or_b64 s[46:47], vcc, s[50:51]
	v_lshl_add_u64 v[24:25], v[24:25], 0, v[20:21]
	v_cndmask_b32_e64 v84, 0, 1, s[46:47]
.LBB1313_167:                           ; =>This Loop Header: Depth=1
                                        ;     Child Loop BB1313_170 Depth 2
	v_cmp_ne_u16_sdwa s[46:47], v53, v83 src0_sel:BYTE_0 src1_sel:DWORD
	s_waitcnt lgkmcnt(1)
	v_mov_b32_e32 v52, v84
	s_waitcnt lgkmcnt(0)
	v_cndmask_b32_e64 v20, 0, 1, s[46:47]
	;;#ASMSTART
	;;#ASMEND
	s_nop 0
	v_cmp_ne_u32_e32 vcc, 0, v20
	s_cmp_lg_u64 vcc, exec
	v_mov_b64_e32 v[20:21], v[24:25]
	s_cbranch_scc1 .LBB1313_184
; %bb.168:                              ;   in Loop: Header=BB1313_167 Depth=1
	global_load_ubyte v53, v8, s[88:89] sc1
	s_waitcnt vmcnt(0)
	v_cmp_eq_u16_e32 vcc, 0, v53
	s_and_saveexec_b64 s[46:47], vcc
	s_cbranch_execz .LBB1313_172
; %bb.169:                              ;   in Loop: Header=BB1313_167 Depth=1
	v_lshl_add_u64 v[24:25], s[88:89], 0, v[8:9]
	s_mov_b64 s[50:51], 0
.LBB1313_170:                           ;   Parent Loop BB1313_167 Depth=1
                                        ; =>  This Inner Loop Header: Depth=2
	global_load_ubyte v53, v[24:25], off sc1
	s_waitcnt vmcnt(0)
	v_cmp_ne_u16_e32 vcc, 0, v53
	s_or_b64 s[50:51], vcc, s[50:51]
	s_andn2_b64 exec, exec, s[50:51]
	s_cbranch_execnz .LBB1313_170
; %bb.171:                              ;   in Loop: Header=BB1313_167 Depth=1
	s_or_b64 exec, exec, s[50:51]
.LBB1313_172:                           ;   in Loop: Header=BB1313_167 Depth=1
	s_or_b64 exec, exec, s[46:47]
	v_mov_b32_e32 v24, s87
	v_mov_b32_e32 v25, s85
	v_cmp_eq_u16_e32 vcc, 1, v53
	v_mov_b32_e32 v84, s84
	s_waitcnt vmcnt(0)
	v_cndmask_b32_e32 v25, v24, v25, vcc
	v_mov_b32_e32 v24, s86
	v_cndmask_b32_e32 v24, v24, v84, vcc
	v_lshl_add_u64 v[86:87], v[8:9], 4, v[24:25]
	global_load_dword v24, v[86:87], off sc1
	global_load_dword v25, v[86:87], off offset:4 sc1
	global_load_dword v84, v[86:87], off offset:8 sc1
	;; [unrolled: 1-line block ×3, first 2 shown]
	v_cmp_eq_u16_e32 vcc, 2, v53
	s_waitcnt vmcnt(3)
	ds_bpermute_b32 v88, v57, v24
	s_waitcnt vmcnt(0)
	v_and_b32_e32 v85, vcc_hi, v13
	v_and_b32_e32 v86, 0xff, v84
	v_or_b32_e32 v85, 0x80000000, v85
	ds_bpermute_b32 v89, v57, v25
	ds_bpermute_b32 v87, v57, v86
	v_and_b32_e32 v90, vcc_lo, v12
	v_ffbl_b32_e32 v85, v85
	v_add_u32_e32 v85, 32, v85
	v_ffbl_b32_e32 v90, v90
	v_min_u32_e32 v85, v90, v85
	v_cmp_lt_u32_e32 vcc, v56, v85
	s_and_saveexec_b64 s[46:47], vcc
	s_cbranch_execz .LBB1313_174
; %bb.173:                              ;   in Loop: Header=BB1313_167 Depth=1
	v_cmp_eq_u16_sdwa vcc, v84, v9 src0_sel:BYTE_0 src1_sel:DWORD
	s_waitcnt lgkmcnt(0)
	v_or_b32_e32 v86, v87, v84
	v_and_b32_e32 v84, 1, v86
	v_cndmask_b32_e32 v89, 0, v89, vcc
	v_cndmask_b32_e32 v88, 0, v88, vcc
	v_lshl_add_u64 v[24:25], v[88:89], 0, v[24:25]
	v_and_b32_e32 v86, 1, v86
.LBB1313_174:                           ;   in Loop: Header=BB1313_167 Depth=1
	s_or_b64 exec, exec, s[46:47]
	s_waitcnt lgkmcnt(2)
	ds_bpermute_b32 v88, v60, v24
	s_waitcnt lgkmcnt(2)
	ds_bpermute_b32 v89, v60, v25
	s_waitcnt lgkmcnt(2)
	ds_bpermute_b32 v87, v60, v86
	v_and_b32_e32 v90, 1, v84
	v_cmp_le_u32_e32 vcc, v61, v85
	v_cmp_eq_u32_e64 s[50:51], 1, v90
	s_and_saveexec_b64 s[46:47], vcc
	s_cbranch_execz .LBB1313_176
; %bb.175:                              ;   in Loop: Header=BB1313_167 Depth=1
	v_cmp_eq_u16_sdwa vcc, v84, v9 src0_sel:BYTE_0 src1_sel:DWORD
	s_waitcnt lgkmcnt(0)
	v_and_b32_e32 v84, 1, v87
	v_cndmask_b32_e32 v89, 0, v89, vcc
	v_cndmask_b32_e32 v88, 0, v88, vcc
	v_cmp_eq_u32_e32 vcc, 1, v84
	s_or_b64 s[52:53], s[50:51], vcc
	v_cndmask_b32_e64 v84, 0, 1, s[52:53]
	v_cndmask_b32_e64 v86, 0, 1, s[52:53]
	s_andn2_b64 s[50:51], s[50:51], exec
	s_and_b64 s[52:53], s[52:53], exec
	v_lshl_add_u64 v[24:25], v[88:89], 0, v[24:25]
	s_or_b64 s[50:51], s[50:51], s[52:53]
.LBB1313_176:                           ;   in Loop: Header=BB1313_167 Depth=1
	s_or_b64 exec, exec, s[46:47]
	s_waitcnt lgkmcnt(2)
	ds_bpermute_b32 v88, v64, v24
	s_waitcnt lgkmcnt(2)
	ds_bpermute_b32 v89, v64, v25
	s_waitcnt lgkmcnt(2)
	ds_bpermute_b32 v87, v64, v86
	v_cmp_le_u32_e32 vcc, v65, v85
	s_and_saveexec_b64 s[52:53], vcc
	s_cbranch_execz .LBB1313_178
; %bb.177:                              ;   in Loop: Header=BB1313_167 Depth=1
	v_cmp_eq_u16_sdwa vcc, v84, v9 src0_sel:BYTE_0 src1_sel:DWORD
	v_and_b32_e32 v84, 1, v84
	s_andn2_b64 s[50:51], s[50:51], exec
	s_waitcnt lgkmcnt(1)
	v_cndmask_b32_e32 v89, 0, v89, vcc
	v_cndmask_b32_e32 v88, 0, v88, vcc
	v_cmp_eq_u32_e32 vcc, 1, v84
	s_waitcnt lgkmcnt(0)
	v_and_b32_e32 v84, 1, v87
	v_cmp_eq_u32_e64 s[46:47], 1, v84
	s_or_b64 s[46:47], vcc, s[46:47]
	v_lshl_add_u64 v[24:25], v[88:89], 0, v[24:25]
	v_cndmask_b32_e64 v84, 0, 1, s[46:47]
	v_cndmask_b32_e64 v86, 0, 1, s[46:47]
	s_and_b64 s[46:47], s[46:47], exec
	s_or_b64 s[50:51], s[50:51], s[46:47]
.LBB1313_178:                           ;   in Loop: Header=BB1313_167 Depth=1
	s_or_b64 exec, exec, s[52:53]
	s_waitcnt lgkmcnt(2)
	ds_bpermute_b32 v88, v68, v24
	s_waitcnt lgkmcnt(2)
	ds_bpermute_b32 v89, v68, v25
	s_waitcnt lgkmcnt(2)
	ds_bpermute_b32 v87, v68, v86
	v_cmp_le_u32_e32 vcc, v69, v85
	s_and_saveexec_b64 s[52:53], vcc
	s_cbranch_execz .LBB1313_180
; %bb.179:                              ;   in Loop: Header=BB1313_167 Depth=1
	v_cmp_eq_u16_sdwa vcc, v84, v9 src0_sel:BYTE_0 src1_sel:DWORD
	v_and_b32_e32 v84, 1, v84
	s_andn2_b64 s[50:51], s[50:51], exec
	s_waitcnt lgkmcnt(1)
	v_cndmask_b32_e32 v89, 0, v89, vcc
	v_cndmask_b32_e32 v88, 0, v88, vcc
	v_cmp_eq_u32_e32 vcc, 1, v84
	s_waitcnt lgkmcnt(0)
	v_and_b32_e32 v84, 1, v87
	v_cmp_eq_u32_e64 s[46:47], 1, v84
	s_or_b64 s[46:47], vcc, s[46:47]
	v_lshl_add_u64 v[24:25], v[88:89], 0, v[24:25]
	v_cndmask_b32_e64 v84, 0, 1, s[46:47]
	v_cndmask_b32_e64 v86, 0, 1, s[46:47]
	s_and_b64 s[46:47], s[46:47], exec
	s_or_b64 s[50:51], s[50:51], s[46:47]
.LBB1313_180:                           ;   in Loop: Header=BB1313_167 Depth=1
	;; [unrolled: 28-line block ×3, first 2 shown]
	s_or_b64 exec, exec, s[52:53]
	s_waitcnt lgkmcnt(0)
	ds_bpermute_b32 v87, v76, v24
	ds_bpermute_b32 v88, v76, v25
	;; [unrolled: 1-line block ×3, first 2 shown]
	v_cmp_le_u32_e32 vcc, v77, v85
	s_and_saveexec_b64 s[52:53], vcc
	s_cbranch_execz .LBB1313_166
; %bb.183:                              ;   in Loop: Header=BB1313_167 Depth=1
	v_cmp_eq_u16_sdwa vcc, v84, v9 src0_sel:BYTE_0 src1_sel:DWORD
	v_and_b32_e32 v84, 1, v84
	s_andn2_b64 s[50:51], s[50:51], exec
	s_waitcnt lgkmcnt(1)
	v_cndmask_b32_e32 v89, 0, v88, vcc
	v_cndmask_b32_e32 v88, 0, v87, vcc
	v_cmp_eq_u32_e32 vcc, 1, v84
	s_waitcnt lgkmcnt(0)
	v_and_b32_e32 v84, 1, v86
	v_cmp_eq_u32_e64 s[46:47], 1, v84
	s_or_b64 s[46:47], vcc, s[46:47]
	s_and_b64 s[46:47], s[46:47], exec
	v_lshl_add_u64 v[24:25], v[88:89], 0, v[24:25]
	s_or_b64 s[50:51], s[50:51], s[46:47]
	s_branch .LBB1313_166
.LBB1313_184:                           ;   in Loop: Header=BB1313_167 Depth=1
                                        ; implicit-def: $vgpr84
                                        ; implicit-def: $vgpr24_vgpr25
                                        ; implicit-def: $vgpr53
	s_cbranch_execz .LBB1313_167
; %bb.185:
	s_and_saveexec_b64 s[46:47], s[44:45]
	s_cbranch_execz .LBB1313_187
; %bb.186:
	s_mov_b32 s3, 0
	v_mov_b32_e32 v12, 0
	s_add_i32 s2, s2, 64
	v_cmp_eq_u32_sdwa vcc, v82, v12 src0_sel:BYTE_0 src1_sel:DWORD
	s_lshl_b64 s[50:51], s[2:3], 4
	v_and_b32_e32 v13, 1, v82
	v_cndmask_b32_e32 v9, 0, v21, vcc
	v_cndmask_b32_e32 v8, 0, v20, vcc
	s_add_u32 s50, s86, s50
	v_lshl_add_u64 v[8:9], v[8:9], 0, v[80:81]
	v_and_b32_e32 v24, 1, v52
	v_cmp_eq_u32_e32 vcc, 1, v13
	s_addc_u32 s51, s87, s51
	s_nop 0
	v_cndmask_b32_e64 v13, v24, 1, vcc
	global_store_dword v12, v8, s[50:51] sc1
	global_store_dword v12, v9, s[50:51] offset:4 sc1
	global_store_dword v12, v13, s[50:51] offset:8 sc1
	;; [unrolled: 1-line block ×3, first 2 shown]
	v_mov_b32_e32 v8, s2
	v_mov_b32_e32 v9, 2
	s_waitcnt vmcnt(0) lgkmcnt(0)
	global_store_byte v8, v9, s[88:89] sc1
.LBB1313_187:
	s_or_b64 exec, exec, s[46:47]
	v_cmp_eq_u32_e32 vcc, 0, v0
	s_and_b64 exec, exec, vcc
	s_cbranch_execz .LBB1313_189
; %bb.188:
	v_mov_b32_e32 v8, 0
	ds_write_b64 v8, v[20:21] offset:48
	ds_write_b8 v8, v52 offset:56
.LBB1313_189:
	s_or_b64 exec, exec, s[48:49]
	s_waitcnt lgkmcnt(0)
	v_cndmask_b32_e64 v8, v49, v44, s[44:45]
	v_mov_b32_e32 v13, 0
	v_cndmask_b32_e64 v9, v48, v5, s[44:45]
	v_cndmask_b32_e64 v12, v45, v4, s[44:45]
	v_cmp_eq_u16_sdwa vcc, v1, v13 src0_sel:BYTE_0 src1_sel:DWORD
	v_and_b32_e32 v20, 1, v1
	v_and_b32_e32 v8, 1, v8
	s_barrier
	ds_read_b64 v[4:5], v13 offset:48
	v_cndmask_b32_e32 v12, 0, v12, vcc
	v_cndmask_b32_e32 v9, 0, v9, vcc
	v_cmp_eq_u32_e32 vcc, 1, v20
	v_cmp_eq_u32_e64 s[2:3], 1, v8
	s_or_b64 s[2:3], vcc, s[2:3]
	v_cmp_eq_u32_e32 vcc, 0, v0
	v_cndmask_b32_e64 v8, 0, 1, s[2:3]
	s_nop 0
	v_cndmask_b32_e32 v20, v8, v1, vcc
	v_cndmask_b32_e64 v9, v9, 0, vcc
	v_cndmask_b32_e64 v8, v12, 0, vcc
	v_cmp_eq_u16_sdwa vcc, v20, v13 src0_sel:BYTE_0 src1_sel:DWORD
	v_lshl_add_u64 v[8:9], v[8:9], 0, v[2:3]
	s_waitcnt lgkmcnt(0)
	v_cndmask_b32_e32 v5, 0, v5, vcc
	v_cndmask_b32_e32 v4, 0, v4, vcc
	v_lshl_add_u64 v[114:115], v[8:9], 0, v[4:5]
	v_cndmask_b32_e64 v5, 0, v115, s[64:65]
	v_cndmask_b32_e64 v4, 0, v114, s[64:65]
	v_lshl_add_u64 v[44:45], v[4:5], 0, v[14:15]
	v_cndmask_b32_e64 v5, 0, v45, s[4:5]
	v_cndmask_b32_e64 v4, 0, v44, s[4:5]
	;; [unrolled: 3-line block ×20, first 2 shown]
	v_lshl_add_u64 v[120:121], v[4:5], 0, v[16:17]
	s_branch .LBB1313_220
.LBB1313_190:
                                        ; implicit-def: $vgpr112_vgpr113_vgpr114_vgpr115
                                        ; implicit-def: $vgpr120_vgpr121
                                        ; implicit-def: $vgpr118_vgpr119
                                        ; implicit-def: $vgpr76_vgpr77
                                        ; implicit-def: $vgpr72_vgpr73
                                        ; implicit-def: $vgpr68_vgpr69
                                        ; implicit-def: $vgpr64_vgpr65
                                        ; implicit-def: $vgpr60_vgpr61
                                        ; implicit-def: $vgpr56_vgpr57
                                        ; implicit-def: $vgpr52_vgpr53
                                        ; implicit-def: $vgpr48_vgpr49
                                        ; implicit-def: $vgpr44_vgpr45
                                        ; implicit-def: $vgpr108_vgpr109_vgpr110_vgpr111
                                        ; implicit-def: $vgpr104_vgpr105_vgpr106_vgpr107
                                        ; implicit-def: $vgpr100_vgpr101_vgpr102_vgpr103
                                        ; implicit-def: $vgpr96_vgpr97_vgpr98_vgpr99
                                        ; implicit-def: $vgpr92_vgpr93_vgpr94_vgpr95
                                        ; implicit-def: $vgpr88_vgpr89_vgpr90_vgpr91
                                        ; implicit-def: $vgpr84_vgpr85_vgpr86_vgpr87
                                        ; implicit-def: $vgpr80_vgpr81_vgpr82_vgpr83
                                        ; implicit-def: $vgpr114_vgpr115_vgpr116_vgpr117
	s_cbranch_execz .LBB1313_220
; %bb.191:
	v_readlane_b32 s4, v131, 0
	v_readlane_b32 s6, v131, 2
	;; [unrolled: 1-line block ×3, first 2 shown]
	s_cmp_lg_u64 s[96:97], 0
	v_readlane_b32 s5, v131, 1
	s_mov_b64 s[2:3], s[6:7]
	s_cselect_b32 s5, s3, 0
	s_cselect_b32 s4, s2, 0
	s_cmp_lg_u64 s[4:5], 0
	v_readlane_b32 s8, v131, 4
	v_readlane_b32 s9, v131, 5
	s_cselect_b64 s[6:7], -1, 0
	v_cmp_eq_u32_e32 vcc, 0, v0
	v_cmp_ne_u32_e64 s[2:3], 0, v0
	s_and_b64 s[8:9], vcc, s[6:7]
	v_readlane_b32 s10, v131, 6
	v_readlane_b32 s11, v131, 7
	s_and_saveexec_b64 s[6:7], s[8:9]
	s_cbranch_execz .LBB1313_193
; %bb.192:
	v_mov_b32_e32 v8, 0
	global_load_dwordx2 v[4:5], v8, s[4:5]
	global_load_ubyte v9, v8, s[4:5] offset:8
	v_cmp_eq_u16_sdwa s[4:5], v1, v8 src0_sel:BYTE_0 src1_sel:DWORD
	s_waitcnt vmcnt(0)
	v_or_b32_e32 v1, v1, v9
	v_cndmask_b32_e64 v5, 0, v5, s[4:5]
	v_cndmask_b32_e64 v4, 0, v4, s[4:5]
	v_lshl_add_u64 v[2:3], v[4:5], 0, v[2:3]
	v_and_b32_e32 v1, 1, v1
.LBB1313_193:
	s_or_b64 exec, exec, s[6:7]
	v_mov_b32_e32 v9, 0
	v_cmp_eq_u16_sdwa s[4:5], v128, v9 src0_sel:BYTE_0 src1_sel:DWORD
	v_cmp_eq_u16_sdwa s[6:7], v130, v9 src0_sel:BYTE_0 src1_sel:DWORD
	s_movk_i32 s40, 0xff
	v_cndmask_b32_e64 v5, 0, v3, s[4:5]
	v_cndmask_b32_e64 v4, 0, v2, s[4:5]
	v_lshl_add_u64 v[44:45], v[4:5], 0, v[14:15]
	v_cndmask_b32_e64 v5, 0, v45, s[6:7]
	v_cndmask_b32_e64 v4, 0, v44, s[6:7]
	v_lshl_add_u64 v[80:81], v[4:5], 0, v[6:7]
	v_and_b32_sdwa v4, v128, s40 dst_sel:DWORD dst_unused:UNUSED_PAD src0_sel:WORD_1 src1_sel:DWORD
	v_cmp_eq_u16_e64 s[8:9], 0, v4
	v_cmp_eq_u16_sdwa s[10:11], v128, v9 src0_sel:BYTE_3 src1_sel:DWORD
	v_cmp_eq_u16_sdwa s[12:13], v123, v9 src0_sel:BYTE_0 src1_sel:DWORD
	v_cndmask_b32_e64 v5, 0, v81, s[8:9]
	v_cndmask_b32_e64 v4, 0, v80, s[8:9]
	v_lshl_add_u64 v[48:49], v[4:5], 0, v[26:27]
	v_cndmask_b32_e64 v5, 0, v49, s[10:11]
	v_cndmask_b32_e64 v4, 0, v48, s[10:11]
	v_lshl_add_u64 v[84:85], v[4:5], 0, v[18:19]
	;; [unrolled: 3-line block ×3, first 2 shown]
	v_cmp_eq_u16_sdwa s[14:15], v127, v9 src0_sel:BYTE_0 src1_sel:DWORD
	v_cmp_eq_u16_sdwa s[16:17], v41, v9 src0_sel:BYTE_0 src1_sel:DWORD
	v_cmp_eq_u16_sdwa s[20:21], v127, v9 src0_sel:BYTE_3 src1_sel:DWORD
	v_cndmask_b32_e64 v5, 0, v53, s[14:15]
	v_cndmask_b32_e64 v4, 0, v52, s[14:15]
	v_lshl_add_u64 v[88:89], v[4:5], 0, v[22:23]
	v_cndmask_b32_e64 v5, 0, v89, s[16:17]
	v_cndmask_b32_e64 v4, 0, v88, s[16:17]
	v_lshl_add_u64 v[56:57], v[4:5], 0, v[42:43]
	v_and_b32_sdwa v4, v127, s40 dst_sel:DWORD dst_unused:UNUSED_PAD src0_sel:WORD_1 src1_sel:DWORD
	v_cmp_eq_u16_e64 s[18:19], 0, v4
	v_cmp_eq_u16_sdwa s[22:23], v124, v9 src0_sel:BYTE_0 src1_sel:DWORD
	v_cmp_eq_u16_sdwa s[24:25], v126, v9 src0_sel:BYTE_0 src1_sel:DWORD
	v_cndmask_b32_e64 v5, 0, v57, s[18:19]
	v_cndmask_b32_e64 v4, 0, v56, s[18:19]
	v_lshl_add_u64 v[92:93], v[4:5], 0, v[30:31]
	v_cndmask_b32_e64 v5, 0, v93, s[20:21]
	v_cndmask_b32_e64 v4, 0, v92, s[20:21]
	v_lshl_add_u64 v[60:61], v[4:5], 0, v[50:51]
	;; [unrolled: 3-line block ×4, first 2 shown]
	v_cmp_eq_u16_sdwa s[26:27], v40, v9 src0_sel:BYTE_0 src1_sel:DWORD
	v_cmp_eq_u16_sdwa s[30:31], v126, v9 src0_sel:BYTE_3 src1_sel:DWORD
	v_cmp_eq_u16_sdwa s[34:35], v122, v9 src0_sel:BYTE_0 src1_sel:DWORD
	v_cndmask_b32_e64 v5, 0, v65, s[26:27]
	v_cndmask_b32_e64 v4, 0, v64, s[26:27]
	v_lshl_add_u64 v[100:101], v[4:5], 0, v[46:47]
	v_and_b32_sdwa v4, v126, s40 dst_sel:DWORD dst_unused:UNUSED_PAD src0_sel:WORD_1 src1_sel:DWORD
	v_cmp_eq_u16_e64 s[28:29], 0, v4
	v_cmp_eq_u16_sdwa s[36:37], v125, v9 src0_sel:BYTE_0 src1_sel:DWORD
	v_cmp_eq_u16_sdwa s[38:39], v36, v9 src0_sel:BYTE_0 src1_sel:DWORD
	v_cndmask_b32_e64 v5, 0, v101, s[28:29]
	v_cndmask_b32_e64 v4, 0, v100, s[28:29]
	v_lshl_add_u64 v[68:69], v[4:5], 0, v[66:67]
	v_cndmask_b32_e64 v5, 0, v69, s[30:31]
	v_cndmask_b32_e64 v4, 0, v68, s[30:31]
	v_lshl_add_u64 v[104:105], v[4:5], 0, v[54:55]
	;; [unrolled: 3-line block ×5, first 2 shown]
	v_and_b32_sdwa v4, v125, s40 dst_sel:DWORD dst_unused:UNUSED_PAD src0_sel:WORD_1 src1_sel:DWORD
	v_cmp_eq_u16_e64 s[40:41], 0, v4
	v_cmp_eq_u16_sdwa s[42:43], v125, v9 src0_sel:BYTE_3 src1_sel:DWORD
	v_cmp_eq_u16_sdwa s[44:45], v28, v9 src0_sel:BYTE_0 src1_sel:DWORD
	v_cndmask_b32_e64 v5, 0, v77, s[40:41]
	v_cndmask_b32_e64 v4, 0, v76, s[40:41]
	v_lshl_add_u64 v[112:113], v[4:5], 0, v[70:71]
	v_cndmask_b32_e64 v5, 0, v113, s[42:43]
	v_cndmask_b32_e64 v4, 0, v112, s[42:43]
	v_lshl_add_u64 v[118:119], v[4:5], 0, v[10:11]
	;; [unrolled: 3-line block ×3, first 2 shown]
	v_or_b32_e32 v4, v125, v126
	v_or3_b32 v4, v4, v127, v128
	v_lshrrev_b16_e32 v9, 7, v4
	v_and_b32_e32 v5, 1, v4
	v_and_b32_e32 v9, 2, v9
	v_or_b32_e32 v5, v5, v9
	v_lshrrev_b32_e32 v9, 23, v4
	v_mov_b32_e32 v12, 1
	v_and_b32_e32 v9, 2, v9
	v_and_b32_sdwa v4, v4, v12 dst_sel:DWORD dst_unused:UNUSED_PAD src0_sel:WORD_1 src1_sel:DWORD
	v_or_b32_e32 v4, v4, v9
	v_lshlrev_b16_e32 v4, 2, v4
	v_or_b32_e32 v4, v5, v4
	v_cmp_eq_u32_e64 s[52:53], 1, v32
	v_cmp_ne_u16_e64 s[54:55], 0, v4
	v_cmp_eq_u32_e64 s[50:51], 1, v33
	s_or_b64 s[52:53], s[54:55], s[52:53]
	v_cmp_eq_u32_e64 s[48:49], 1, v37
	s_or_b64 s[50:51], s[52:53], s[50:51]
	;; [unrolled: 2-line block ×3, first 2 shown]
	v_and_b32_e32 v8, 0xff, v1
	s_or_b64 s[46:47], s[48:49], s[46:47]
	v_mbcnt_hi_u32_b32 v12, -1, v29
	v_cndmask_b32_e64 v13, v8, 1, s[46:47]
	v_and_b32_e32 v20, 15, v12
	v_mov_b32_dpp v24, v120 row_shr:1 row_mask:0xf bank_mask:0xf
	v_mov_b32_dpp v25, v121 row_shr:1 row_mask:0xf bank_mask:0xf
	;; [unrolled: 1-line block ×3, first 2 shown]
	v_cmp_ne_u32_e64 s[46:47], 0, v20
	v_mov_b64_e32 v[4:5], v[120:121]
	v_mov_b32_e32 v9, v121
	v_mov_b32_e32 v8, v120
	s_and_saveexec_b64 s[48:49], s[46:47]
; %bb.194:
	v_cmp_eq_u32_e64 s[46:47], 0, v13
	v_and_or_b32 v13, v21, 1, v13
	s_nop 0
	v_cndmask_b32_e64 v5, 0, v25, s[46:47]
	v_cndmask_b32_e64 v4, 0, v24, s[46:47]
	v_lshl_add_u64 v[4:5], v[120:121], 0, v[4:5]
	v_mov_b32_e32 v9, v5
	v_mov_b32_e32 v8, v4
; %bb.195:
	s_or_b64 exec, exec, s[48:49]
	s_nop 0
	v_mov_b32_dpp v24, v8 row_shr:2 row_mask:0xf bank_mask:0xf
	v_mov_b32_dpp v25, v9 row_shr:2 row_mask:0xf bank_mask:0xf
	v_mov_b32_dpp v21, v13 row_shr:2 row_mask:0xf bank_mask:0xf
	v_cmp_lt_u32_e64 s[46:47], 1, v20
	s_and_saveexec_b64 s[48:49], s[46:47]
; %bb.196:
	v_cmp_eq_u32_e64 s[46:47], 0, v13
	s_nop 1
	v_cndmask_b32_e64 v9, 0, v25, s[46:47]
	v_cndmask_b32_e64 v8, 0, v24, s[46:47]
	v_lshl_add_u64 v[8:9], v[8:9], 0, v[4:5]
	v_or_b32_e32 v4, v21, v13
	v_and_b32_e32 v13, 1, v4
	v_mov_b64_e32 v[4:5], v[8:9]
; %bb.197:
	s_or_b64 exec, exec, s[48:49]
	v_mov_b32_dpp v24, v8 row_shr:4 row_mask:0xf bank_mask:0xf
	v_mov_b32_dpp v25, v9 row_shr:4 row_mask:0xf bank_mask:0xf
	v_mov_b32_dpp v21, v13 row_shr:4 row_mask:0xf bank_mask:0xf
	v_cmp_lt_u32_e64 s[46:47], 3, v20
	s_and_saveexec_b64 s[48:49], s[46:47]
; %bb.198:
	v_cmp_eq_u32_e64 s[46:47], 0, v13
	s_nop 1
	v_cndmask_b32_e64 v9, 0, v25, s[46:47]
	v_cndmask_b32_e64 v8, 0, v24, s[46:47]
	v_lshl_add_u64 v[8:9], v[8:9], 0, v[4:5]
	v_or_b32_e32 v4, v21, v13
	v_and_b32_e32 v13, 1, v4
	v_mov_b64_e32 v[4:5], v[8:9]
; %bb.199:
	s_or_b64 exec, exec, s[48:49]
	;; [unrolled: 16-line block ×3, first 2 shown]
	v_and_b32_e32 v25, 16, v12
	v_mov_b32_dpp v21, v8 row_bcast:15 row_mask:0xf bank_mask:0xf
	v_mov_b32_dpp v24, v9 row_bcast:15 row_mask:0xf bank_mask:0xf
	;; [unrolled: 1-line block ×3, first 2 shown]
	v_cmp_ne_u32_e64 s[46:47], 0, v25
	s_and_saveexec_b64 s[48:49], s[46:47]
; %bb.202:
	v_cmp_eq_u32_e64 s[46:47], 0, v13
	s_nop 1
	v_cndmask_b32_e64 v9, 0, v24, s[46:47]
	v_cndmask_b32_e64 v8, 0, v21, s[46:47]
	v_lshl_add_u64 v[4:5], v[8:9], 0, v[4:5]
	v_or_b32_e32 v8, v20, v13
	v_and_b32_e32 v13, 1, v8
	v_mov_b32_e32 v9, v5
	v_mov_b32_e32 v8, v4
; %bb.203:
	s_or_b64 exec, exec, s[48:49]
	s_nop 0
	v_mov_b32_dpp v20, v8 row_bcast:31 row_mask:0xf bank_mask:0xf
	v_mov_b32_dpp v21, v9 row_bcast:31 row_mask:0xf bank_mask:0xf
	;; [unrolled: 1-line block ×3, first 2 shown]
	v_cmp_lt_u32_e64 s[46:47], 31, v12
	v_mov_b32_e32 v8, v13
	s_and_saveexec_b64 s[48:49], s[46:47]
; %bb.204:
	v_cmp_eq_u32_e64 s[46:47], 0, v13
	v_or_b32_e32 v9, v9, v13
	v_and_b32_e32 v8, 1, v9
	v_cndmask_b32_e64 v21, 0, v21, s[46:47]
	v_cndmask_b32_e64 v20, 0, v20, s[46:47]
	v_lshl_add_u64 v[4:5], v[20:21], 0, v[4:5]
	v_and_b32_e32 v13, 1, v9
; %bb.205:
	s_or_b64 exec, exec, s[48:49]
	v_or_b32_e32 v9, 63, v0
	v_lshrrev_b32_e32 v20, 6, v0
	v_cmp_eq_u32_e64 s[46:47], v9, v0
	s_and_saveexec_b64 s[48:49], s[46:47]
	s_cbranch_execz .LBB1313_207
; %bb.206:
	v_lshlrev_b32_e32 v9, 4, v20
	ds_write_b64 v9, v[4:5]
	ds_write_b8 v9, v8 offset:8
.LBB1313_207:
	s_or_b64 exec, exec, s[48:49]
	v_cmp_gt_u32_e64 s[46:47], 4, v0
	s_waitcnt lgkmcnt(0)
	s_barrier
	s_and_saveexec_b64 s[50:51], s[46:47]
	s_cbranch_execz .LBB1313_213
; %bb.208:
	v_lshlrev_b32_e32 v21, 4, v0
	ds_read_b64 v[8:9], v21
	ds_read_b32 v24, v21 offset:8
	v_and_b32_e32 v25, 3, v12
	v_cmp_ne_u32_e64 s[46:47], 0, v25
	s_waitcnt lgkmcnt(1)
	v_mov_b32_dpp v33, v8 row_shr:1 row_mask:0xf bank_mask:0xf
	v_mov_b32_dpp v36, v9 row_shr:1 row_mask:0xf bank_mask:0xf
	s_waitcnt lgkmcnt(0)
	v_mov_b32_dpp v32, v24 row_shr:1 row_mask:0xf bank_mask:0xf
	v_mov_b32_e32 v28, v24
	v_mov_b32_e32 v29, v24
	s_and_saveexec_b64 s[48:49], s[46:47]
; %bb.209:
	v_mov_b32_e32 v28, 0
	v_cmp_eq_u16_sdwa s[46:47], v24, v28 src0_sel:BYTE_0 src1_sel:DWORD
	s_nop 1
	v_cndmask_b32_e64 v29, 0, v36, s[46:47]
	v_cndmask_b32_e64 v28, 0, v33, s[46:47]
	v_lshl_add_u64 v[8:9], v[28:29], 0, v[8:9]
	v_or_b32_e32 v29, v32, v24
	v_and_b32_e32 v28, 1, v29
	v_and_b32_e32 v29, 1, v29
	s_movk_i32 s46, 0xff00
	v_and_or_b32 v24, v24, s46, v29
; %bb.210:
	s_or_b64 exec, exec, s[48:49]
	v_mov_b32_dpp v32, v8 row_shr:2 row_mask:0xf bank_mask:0xf
	v_mov_b32_dpp v33, v9 row_shr:2 row_mask:0xf bank_mask:0xf
	;; [unrolled: 1-line block ×3, first 2 shown]
	v_cmp_lt_u32_e64 s[46:47], 1, v25
	s_and_saveexec_b64 s[52:53], s[46:47]
; %bb.211:
	v_mov_b32_e32 v25, 0
	v_cmp_eq_u16_sdwa s[46:47], v29, v25 src0_sel:BYTE_0 src1_sel:DWORD
	v_and_b32_e32 v25, 1, v29
	v_and_b32_e32 v24, 1, v24
	v_cndmask_b32_e64 v33, 0, v33, s[46:47]
	v_cndmask_b32_e64 v32, 0, v32, s[46:47]
	v_cmp_eq_u32_e64 s[46:47], 1, v25
	v_cmp_eq_u32_e64 s[48:49], 1, v24
	s_or_b64 s[46:47], s[46:47], s[48:49]
	v_lshl_add_u64 v[8:9], v[32:33], 0, v[8:9]
	v_cndmask_b32_e64 v28, 0, 1, s[46:47]
; %bb.212:
	s_or_b64 exec, exec, s[52:53]
	ds_write_b64 v21, v[8:9]
	ds_write_b8 v21, v28 offset:8
.LBB1313_213:
	s_or_b64 exec, exec, s[50:51]
	v_cmp_lt_u32_e64 s[46:47], 63, v0
	v_mov_b64_e32 v[8:9], 0
	s_waitcnt lgkmcnt(0)
	s_barrier
	s_and_saveexec_b64 s[48:49], s[46:47]
	s_cbranch_execz .LBB1313_215
; %bb.214:
	v_lshl_add_u32 v8, v20, 4, -16
	ds_read_b64 v[8:9], v8
	v_cmp_eq_u32_e64 s[46:47], 0, v13
	s_waitcnt lgkmcnt(0)
	s_nop 0
	v_cndmask_b32_e64 v21, 0, v9, s[46:47]
	v_cndmask_b32_e64 v20, 0, v8, s[46:47]
	v_lshl_add_u64 v[4:5], v[20:21], 0, v[4:5]
.LBB1313_215:
	s_or_b64 exec, exec, s[48:49]
	v_add_u32_e32 v13, -1, v12
	v_and_b32_e32 v20, 64, v12
	v_cmp_lt_i32_e64 s[46:47], v13, v20
	s_nop 1
	v_cndmask_b32_e64 v13, v13, v12, s[46:47]
	v_lshlrev_b32_e32 v13, 2, v13
	ds_bpermute_b32 v4, v13, v4
	ds_bpermute_b32 v5, v13, v5
	s_and_saveexec_b64 s[46:47], s[2:3]
	s_cbranch_execz .LBB1313_217
; %bb.216:
	v_cmp_eq_u32_e64 s[2:3], 0, v12
	;;#ASMSTART
	;;#ASMEND
	s_waitcnt lgkmcnt(1)
	s_nop 0
	v_cndmask_b32_e64 v4, v4, v8, s[2:3]
	v_mov_b32_e32 v8, 0
	s_waitcnt lgkmcnt(0)
	v_cndmask_b32_e64 v5, v5, v9, s[2:3]
	v_cmp_eq_u16_sdwa s[2:3], v1, v8 src0_sel:BYTE_0 src1_sel:DWORD
	s_nop 1
	v_cndmask_b32_e64 v5, 0, v5, s[2:3]
	v_cndmask_b32_e64 v4, 0, v4, s[2:3]
	v_lshl_add_u64 v[2:3], v[4:5], 0, v[2:3]
	v_cndmask_b32_e64 v5, 0, v3, s[4:5]
	v_cndmask_b32_e64 v4, 0, v2, s[4:5]
	v_lshl_add_u64 v[44:45], v[4:5], 0, v[14:15]
	;; [unrolled: 3-line block ×21, first 2 shown]
.LBB1313_217:
	s_or_b64 exec, exec, s[46:47]
	s_and_saveexec_b64 s[2:3], vcc
	s_cbranch_execz .LBB1313_219
; %bb.218:
	v_mov_b32_e32 v1, 0
	s_waitcnt lgkmcnt(0)
	ds_read_b64 v[4:5], v1 offset:48
	ds_read_u8 v6, v1 offset:56
	s_waitcnt lgkmcnt(1)
	global_store_dword v1, v4, s[86:87] offset:1024 sc1
	global_store_dword v1, v5, s[86:87] offset:1028 sc1
	s_waitcnt lgkmcnt(0)
	global_store_dword v1, v6, s[86:87] offset:1032 sc1
	global_store_dword v1, v1, s[86:87] offset:1036 sc1
	v_mov_b32_e32 v4, 2
	s_waitcnt vmcnt(0)
	global_store_byte v1, v4, s[88:89] offset:64 sc1
.LBB1313_219:
	s_or_b64 exec, exec, s[2:3]
	v_mov_b64_e32 v[114:115], v[2:3]
.LBB1313_220:
	s_add_u32 s2, s98, s92
	s_addc_u32 s3, s99, s93
	s_add_u32 s2, s2, s94
	s_addc_u32 s3, s3, s95
	s_and_b64 vcc, exec, s[0:1]
	v_lshlrev_b32_e32 v42, 3, v0
	s_cbranch_vccz .LBB1313_262
; %bb.221:
	s_movk_i32 s0, 0xa8
	v_mul_i32_i24_e32 v50, 0xffffff60, v0
	v_mul_u32_u24_e32 v1, 0xa8, v0
	v_mad_u32_u24 v2, v0, s0, v50
	s_waitcnt lgkmcnt(0)
	s_barrier
	ds_write2_b64 v1, v[114:115], v[44:45] offset1:1
	ds_write2_b64 v1, v[80:81], v[48:49] offset0:2 offset1:3
	ds_write2_b64 v1, v[84:85], v[52:53] offset0:4 offset1:5
	;; [unrolled: 1-line block ×9, first 2 shown]
	ds_write_b64 v1, v[120:121] offset:160
	s_waitcnt lgkmcnt(0)
	s_barrier
	ds_read2st64_b64 v[38:41], v2 offset0:4 offset1:8
	ds_read2st64_b64 v[34:37], v2 offset0:12 offset1:16
	;; [unrolled: 1-line block ×10, first 2 shown]
	s_add_i32 s33, s33, s90
	v_mov_b32_e32 v43, 0
	v_lshl_add_u64 v[46:47], s[2:3], 0, v[42:43]
	v_cmp_gt_u32_e32 vcc, s33, v0
	s_and_saveexec_b64 s[0:1], vcc
	s_cbranch_execz .LBB1313_223
; %bb.222:
	v_add_u32_e32 v1, v1, v50
	ds_read_b64 v[50:51], v1
	s_waitcnt lgkmcnt(0)
	flat_store_dwordx2 v[46:47], v[50:51]
.LBB1313_223:
	s_or_b64 exec, exec, s[0:1]
	v_or_b32_e32 v1, 0x100, v0
	v_cmp_gt_u32_e32 vcc, s33, v1
	s_and_saveexec_b64 s[0:1], vcc
	s_cbranch_execz .LBB1313_225
; %bb.224:
	s_waitcnt lgkmcnt(0)
	flat_store_dwordx2 v[46:47], v[38:39] offset:2048
.LBB1313_225:
	s_or_b64 exec, exec, s[0:1]
	v_or_b32_e32 v1, 0x200, v0
	v_cmp_gt_u32_e32 vcc, s33, v1
	s_and_saveexec_b64 s[0:1], vcc
	s_cbranch_execz .LBB1313_227
; %bb.226:
	s_waitcnt lgkmcnt(0)
	v_add_co_u32_e32 v38, vcc, 0x1000, v46
	s_nop 1
	v_addc_co_u32_e32 v39, vcc, 0, v47, vcc
	flat_store_dwordx2 v[38:39], v[40:41]
.LBB1313_227:
	s_or_b64 exec, exec, s[0:1]
	v_or_b32_e32 v1, 0x300, v0
	v_cmp_gt_u32_e32 vcc, s33, v1
	s_and_saveexec_b64 s[0:1], vcc
	s_cbranch_execz .LBB1313_229
; %bb.228:
	s_waitcnt lgkmcnt(0)
	v_add_co_u32_e32 v38, vcc, 0x1000, v46
	s_nop 1
	v_addc_co_u32_e32 v39, vcc, 0, v47, vcc
	flat_store_dwordx2 v[38:39], v[34:35] offset:2048
.LBB1313_229:
	s_or_b64 exec, exec, s[0:1]
	v_or_b32_e32 v1, 0x400, v0
	v_cmp_gt_u32_e32 vcc, s33, v1
	s_and_saveexec_b64 s[0:1], vcc
	s_cbranch_execz .LBB1313_231
; %bb.230:
	s_waitcnt lgkmcnt(0)
	v_add_co_u32_e32 v34, vcc, 0x2000, v46
	s_nop 1
	v_addc_co_u32_e32 v35, vcc, 0, v47, vcc
	flat_store_dwordx2 v[34:35], v[36:37]
.LBB1313_231:
	s_or_b64 exec, exec, s[0:1]
	v_or_b32_e32 v1, 0x500, v0
	v_cmp_gt_u32_e32 vcc, s33, v1
	s_and_saveexec_b64 s[0:1], vcc
	s_cbranch_execz .LBB1313_233
; %bb.232:
	s_waitcnt lgkmcnt(0)
	v_add_co_u32_e32 v34, vcc, 0x2000, v46
	s_nop 1
	v_addc_co_u32_e32 v35, vcc, 0, v47, vcc
	flat_store_dwordx2 v[34:35], v[30:31] offset:2048
.LBB1313_233:
	s_or_b64 exec, exec, s[0:1]
	v_or_b32_e32 v1, 0x600, v0
	v_cmp_gt_u32_e32 vcc, s33, v1
	s_and_saveexec_b64 s[0:1], vcc
	s_cbranch_execz .LBB1313_235
; %bb.234:
	s_waitcnt lgkmcnt(0)
	v_add_co_u32_e32 v30, vcc, 0x3000, v46
	s_nop 1
	v_addc_co_u32_e32 v31, vcc, 0, v47, vcc
	flat_store_dwordx2 v[30:31], v[32:33]
.LBB1313_235:
	s_or_b64 exec, exec, s[0:1]
	v_or_b32_e32 v1, 0x700, v0
	v_cmp_gt_u32_e32 vcc, s33, v1
	s_and_saveexec_b64 s[0:1], vcc
	s_cbranch_execz .LBB1313_237
; %bb.236:
	s_waitcnt lgkmcnt(0)
	v_add_co_u32_e32 v30, vcc, 0x3000, v46
	s_nop 1
	v_addc_co_u32_e32 v31, vcc, 0, v47, vcc
	flat_store_dwordx2 v[30:31], v[26:27] offset:2048
.LBB1313_237:
	s_or_b64 exec, exec, s[0:1]
	v_or_b32_e32 v1, 0x800, v0
	v_cmp_gt_u32_e32 vcc, s33, v1
	s_and_saveexec_b64 s[0:1], vcc
	s_cbranch_execz .LBB1313_239
; %bb.238:
	s_waitcnt lgkmcnt(0)
	v_add_co_u32_e32 v26, vcc, 0x4000, v46
	s_nop 1
	v_addc_co_u32_e32 v27, vcc, 0, v47, vcc
	flat_store_dwordx2 v[26:27], v[28:29]
.LBB1313_239:
	s_or_b64 exec, exec, s[0:1]
	v_or_b32_e32 v1, 0x900, v0
	v_cmp_gt_u32_e32 vcc, s33, v1
	s_and_saveexec_b64 s[0:1], vcc
	s_cbranch_execz .LBB1313_241
; %bb.240:
	s_waitcnt lgkmcnt(0)
	v_add_co_u32_e32 v26, vcc, 0x4000, v46
	s_nop 1
	v_addc_co_u32_e32 v27, vcc, 0, v47, vcc
	flat_store_dwordx2 v[26:27], v[22:23] offset:2048
.LBB1313_241:
	s_or_b64 exec, exec, s[0:1]
	v_or_b32_e32 v1, 0xa00, v0
	v_cmp_gt_u32_e32 vcc, s33, v1
	s_and_saveexec_b64 s[0:1], vcc
	s_cbranch_execz .LBB1313_243
; %bb.242:
	s_waitcnt lgkmcnt(0)
	v_add_co_u32_e32 v22, vcc, 0x5000, v46
	s_nop 1
	v_addc_co_u32_e32 v23, vcc, 0, v47, vcc
	flat_store_dwordx2 v[22:23], v[24:25]
.LBB1313_243:
	s_or_b64 exec, exec, s[0:1]
	v_or_b32_e32 v1, 0xb00, v0
	v_cmp_gt_u32_e32 vcc, s33, v1
	s_and_saveexec_b64 s[0:1], vcc
	s_cbranch_execz .LBB1313_245
; %bb.244:
	s_waitcnt lgkmcnt(0)
	v_add_co_u32_e32 v22, vcc, 0x5000, v46
	s_nop 1
	v_addc_co_u32_e32 v23, vcc, 0, v47, vcc
	flat_store_dwordx2 v[22:23], v[18:19] offset:2048
.LBB1313_245:
	s_or_b64 exec, exec, s[0:1]
	v_or_b32_e32 v1, 0xc00, v0
	v_cmp_gt_u32_e32 vcc, s33, v1
	s_and_saveexec_b64 s[0:1], vcc
	s_cbranch_execz .LBB1313_247
; %bb.246:
	s_waitcnt lgkmcnt(0)
	v_add_co_u32_e32 v18, vcc, 0x6000, v46
	s_nop 1
	v_addc_co_u32_e32 v19, vcc, 0, v47, vcc
	flat_store_dwordx2 v[18:19], v[20:21]
.LBB1313_247:
	s_or_b64 exec, exec, s[0:1]
	v_or_b32_e32 v1, 0xd00, v0
	v_cmp_gt_u32_e32 vcc, s33, v1
	s_and_saveexec_b64 s[0:1], vcc
	s_cbranch_execz .LBB1313_249
; %bb.248:
	s_waitcnt lgkmcnt(0)
	v_add_co_u32_e32 v18, vcc, 0x6000, v46
	s_nop 1
	v_addc_co_u32_e32 v19, vcc, 0, v47, vcc
	flat_store_dwordx2 v[18:19], v[14:15] offset:2048
.LBB1313_249:
	s_or_b64 exec, exec, s[0:1]
	v_or_b32_e32 v1, 0xe00, v0
	v_cmp_gt_u32_e32 vcc, s33, v1
	s_and_saveexec_b64 s[0:1], vcc
	s_cbranch_execz .LBB1313_251
; %bb.250:
	s_waitcnt lgkmcnt(0)
	v_add_co_u32_e32 v14, vcc, 0x7000, v46
	s_nop 1
	v_addc_co_u32_e32 v15, vcc, 0, v47, vcc
	flat_store_dwordx2 v[14:15], v[16:17]
.LBB1313_251:
	s_or_b64 exec, exec, s[0:1]
	v_or_b32_e32 v1, 0xf00, v0
	v_cmp_gt_u32_e32 vcc, s33, v1
	s_and_saveexec_b64 s[0:1], vcc
	s_cbranch_execz .LBB1313_253
; %bb.252:
	s_waitcnt lgkmcnt(0)
	v_add_co_u32_e32 v14, vcc, 0x7000, v46
	s_nop 1
	v_addc_co_u32_e32 v15, vcc, 0, v47, vcc
	flat_store_dwordx2 v[14:15], v[10:11] offset:2048
.LBB1313_253:
	s_or_b64 exec, exec, s[0:1]
	v_or_b32_e32 v1, 0x1000, v0
	v_cmp_gt_u32_e32 vcc, s33, v1
	s_and_saveexec_b64 s[0:1], vcc
	s_cbranch_execz .LBB1313_255
; %bb.254:
	s_waitcnt lgkmcnt(0)
	v_add_co_u32_e32 v10, vcc, 0x8000, v46
	s_nop 1
	v_addc_co_u32_e32 v11, vcc, 0, v47, vcc
	flat_store_dwordx2 v[10:11], v[12:13]
.LBB1313_255:
	s_or_b64 exec, exec, s[0:1]
	v_or_b32_e32 v1, 0x1100, v0
	v_cmp_gt_u32_e32 vcc, s33, v1
	s_and_saveexec_b64 s[0:1], vcc
	s_cbranch_execz .LBB1313_257
; %bb.256:
	s_waitcnt lgkmcnt(0)
	v_add_co_u32_e32 v10, vcc, 0x8000, v46
	s_nop 1
	v_addc_co_u32_e32 v11, vcc, 0, v47, vcc
	flat_store_dwordx2 v[10:11], v[6:7] offset:2048
.LBB1313_257:
	s_or_b64 exec, exec, s[0:1]
	v_or_b32_e32 v1, 0x1200, v0
	v_cmp_gt_u32_e32 vcc, s33, v1
	s_and_saveexec_b64 s[0:1], vcc
	s_cbranch_execz .LBB1313_259
; %bb.258:
	s_waitcnt lgkmcnt(0)
	v_add_co_u32_e32 v6, vcc, 0x9000, v46
	s_nop 1
	v_addc_co_u32_e32 v7, vcc, 0, v47, vcc
	flat_store_dwordx2 v[6:7], v[8:9]
.LBB1313_259:
	s_or_b64 exec, exec, s[0:1]
	v_or_b32_e32 v1, 0x1300, v0
	v_cmp_gt_u32_e32 vcc, s33, v1
	s_and_saveexec_b64 s[0:1], vcc
	s_cbranch_execz .LBB1313_261
; %bb.260:
	s_waitcnt lgkmcnt(0)
	v_add_co_u32_e32 v6, vcc, 0x9000, v46
	s_nop 1
	v_addc_co_u32_e32 v7, vcc, 0, v47, vcc
	flat_store_dwordx2 v[6:7], v[2:3] offset:2048
.LBB1313_261:
	s_or_b64 exec, exec, s[0:1]
	s_waitcnt lgkmcnt(0)
	v_or_b32_e32 v2, 0x1400, v0
	v_mov_b32_e32 v1, v43
	v_cmp_gt_u32_e64 s[0:1], s33, v2
	s_branch .LBB1313_264
.LBB1313_262:
	s_mov_b64 s[0:1], 0
                                        ; implicit-def: $vgpr4_vgpr5
	s_cbranch_execz .LBB1313_264
; %bb.263:
	v_mul_u32_u24_e32 v1, 0xa8, v0
	s_waitcnt lgkmcnt(0)
	s_barrier
	s_movk_i32 s4, 0xa8
	ds_write2_b64 v1, v[114:115], v[44:45] offset1:1
	ds_write2_b64 v1, v[80:81], v[48:49] offset0:2 offset1:3
	ds_write2_b64 v1, v[84:85], v[52:53] offset0:4 offset1:5
	;; [unrolled: 1-line block ×9, first 2 shown]
	ds_write_b64 v1, v[120:121] offset:160
	v_mov_b32_e32 v1, 0
	v_mul_i32_i24_e32 v2, 0xffffff60, v0
	v_mad_u32_u24 v2, v0, s4, v2
	v_mov_b32_e32 v43, v1
	s_waitcnt lgkmcnt(0)
	s_barrier
	ds_read2st64_b64 v[6:9], v2 offset1:4
	ds_read2st64_b64 v[10:13], v2 offset0:8 offset1:12
	ds_read2st64_b64 v[14:17], v2 offset0:16 offset1:20
	;; [unrolled: 1-line block ×9, first 2 shown]
	ds_read_b64 v[4:5], v2 offset:40960
	v_lshl_add_u64 v[2:3], s[2:3], 0, v[42:43]
	s_movk_i32 s4, 0x1000
	s_waitcnt lgkmcnt(0)
	flat_store_dwordx2 v[2:3], v[6:7]
	flat_store_dwordx2 v[2:3], v[8:9] offset:2048
	v_add_co_u32_e32 v6, vcc, s4, v2
	s_movk_i32 s4, 0x2000
	s_nop 0
	v_addc_co_u32_e32 v7, vcc, 0, v3, vcc
	flat_store_dwordx2 v[6:7], v[10:11]
	flat_store_dwordx2 v[6:7], v[12:13] offset:2048
	v_add_co_u32_e32 v6, vcc, s4, v2
	s_movk_i32 s4, 0x3000
	s_nop 0
	v_addc_co_u32_e32 v7, vcc, 0, v3, vcc
	;; [unrolled: 6-line block ×6, first 2 shown]
	flat_store_dwordx2 v[6:7], v[30:31]
	flat_store_dwordx2 v[6:7], v[32:33] offset:2048
	v_add_co_u32_e32 v6, vcc, s4, v2
	s_or_b64 s[0:1], s[0:1], exec
	s_nop 0
	v_addc_co_u32_e32 v7, vcc, 0, v3, vcc
	flat_store_dwordx2 v[6:7], v[34:35]
	flat_store_dwordx2 v[6:7], v[36:37] offset:2048
	v_add_co_u32_e32 v6, vcc, 0x8000, v2
	s_nop 1
	v_addc_co_u32_e32 v7, vcc, 0, v3, vcc
	v_add_co_u32_e32 v2, vcc, 0x9000, v2
	flat_store_dwordx2 v[6:7], v[38:39]
	flat_store_dwordx2 v[6:7], v[40:41] offset:2048
	v_addc_co_u32_e32 v3, vcc, 0, v3, vcc
	flat_store_dwordx2 v[2:3], v[44:45]
	flat_store_dwordx2 v[2:3], v[46:47] offset:2048
.LBB1313_264:
	s_and_saveexec_b64 s[4:5], s[0:1]
	s_cbranch_execnz .LBB1313_266
; %bb.265:
	s_endpgm
.LBB1313_266:
	v_lshl_add_u64 v[0:1], v[0:1], 3, s[2:3]
	v_add_co_u32_e32 v0, vcc, 0xa000, v0
	s_nop 1
	v_addc_co_u32_e32 v1, vcc, 0, v1, vcc
	s_waitcnt lgkmcnt(0)
	flat_store_dwordx2 v[0:1], v[4:5]
	s_endpgm
.LBB1313_267:
	v_lshlrev_b32_e32 v6, 3, v0
	v_lshl_add_u64 v[2:3], s[48:49], 0, v[6:7]
	flat_load_dwordx2 v[2:3], v[2:3]
	s_or_b64 exec, exec, s[56:57]
                                        ; implicit-def: $vgpr6_vgpr7
	s_and_saveexec_b64 s[46:47], s[4:5]
	s_cbranch_execz .LBB1313_51
.LBB1313_268:
	v_lshlrev_b32_e32 v6, 3, v0
	v_mov_b32_e32 v7, 0
	v_lshl_add_u64 v[6:7], s[48:49], 0, v[6:7]
	flat_load_dwordx2 v[6:7], v[6:7] offset:2048
	s_or_b64 exec, exec, s[46:47]
                                        ; implicit-def: $vgpr10_vgpr11
	s_and_saveexec_b64 s[4:5], s[6:7]
	s_cbranch_execz .LBB1313_52
.LBB1313_269:
	v_lshlrev_b32_e32 v10, 3, v1
	v_mov_b32_e32 v11, 0
	v_lshl_add_u64 v[10:11], s[48:49], 0, v[10:11]
	flat_load_dwordx2 v[10:11], v[10:11]
	s_or_b64 exec, exec, s[4:5]
                                        ; implicit-def: $vgpr14_vgpr15
	s_and_saveexec_b64 s[4:5], s[8:9]
	s_cbranch_execz .LBB1313_53
.LBB1313_270:
	v_lshlrev_b32_e32 v14, 3, v16
	v_mov_b32_e32 v15, 0
	v_lshl_add_u64 v[14:15], s[48:49], 0, v[14:15]
	flat_load_dwordx2 v[14:15], v[14:15]
	s_or_b64 exec, exec, s[4:5]
                                        ; implicit-def: $vgpr16_vgpr17
	s_and_saveexec_b64 s[4:5], s[10:11]
	s_cbranch_execz .LBB1313_54
.LBB1313_271:
	v_lshlrev_b32_e32 v16, 3, v18
	v_mov_b32_e32 v17, 0
	v_lshl_add_u64 v[16:17], s[48:49], 0, v[16:17]
	flat_load_dwordx2 v[16:17], v[16:17]
	s_or_b64 exec, exec, s[4:5]
                                        ; implicit-def: $vgpr18_vgpr19
	s_and_saveexec_b64 s[4:5], s[12:13]
	s_cbranch_execz .LBB1313_55
.LBB1313_272:
	v_lshlrev_b32_e32 v18, 3, v22
	v_mov_b32_e32 v19, 0
	v_lshl_add_u64 v[18:19], s[48:49], 0, v[18:19]
	flat_load_dwordx2 v[18:19], v[18:19]
	s_or_b64 exec, exec, s[4:5]
                                        ; implicit-def: $vgpr22_vgpr23
	s_and_saveexec_b64 s[4:5], s[14:15]
	s_cbranch_execz .LBB1313_56
.LBB1313_273:
	v_lshlrev_b32_e32 v22, 3, v26
	v_mov_b32_e32 v23, 0
	v_lshl_add_u64 v[22:23], s[48:49], 0, v[22:23]
	flat_load_dwordx2 v[22:23], v[22:23]
	s_or_b64 exec, exec, s[4:5]
                                        ; implicit-def: $vgpr26_vgpr27
	s_and_saveexec_b64 s[4:5], s[16:17]
	s_cbranch_execz .LBB1313_57
.LBB1313_274:
	v_lshlrev_b32_e32 v26, 3, v30
	v_mov_b32_e32 v27, 0
	v_lshl_add_u64 v[26:27], s[48:49], 0, v[26:27]
	flat_load_dwordx2 v[26:27], v[26:27]
	s_or_b64 exec, exec, s[4:5]
                                        ; implicit-def: $vgpr30_vgpr31
	s_and_saveexec_b64 s[4:5], s[18:19]
	s_cbranch_execz .LBB1313_58
.LBB1313_275:
	v_lshlrev_b32_e32 v30, 3, v34
	v_mov_b32_e32 v31, 0
	v_lshl_add_u64 v[30:31], s[48:49], 0, v[30:31]
	flat_load_dwordx2 v[30:31], v[30:31]
	s_or_b64 exec, exec, s[4:5]
                                        ; implicit-def: $vgpr34_vgpr35
	s_and_saveexec_b64 s[4:5], s[20:21]
	s_cbranch_execz .LBB1313_59
.LBB1313_276:
	v_lshlrev_b32_e32 v34, 3, v38
	v_mov_b32_e32 v35, 0
	v_lshl_add_u64 v[34:35], s[48:49], 0, v[34:35]
	flat_load_dwordx2 v[34:35], v[34:35]
	s_or_b64 exec, exec, s[4:5]
                                        ; implicit-def: $vgpr38_vgpr39
	s_and_saveexec_b64 s[4:5], s[22:23]
	s_cbranch_execz .LBB1313_60
.LBB1313_277:
	v_lshlrev_b32_e32 v38, 3, v42
	v_mov_b32_e32 v39, 0
	v_lshl_add_u64 v[38:39], s[48:49], 0, v[38:39]
	flat_load_dwordx2 v[38:39], v[38:39]
	s_or_b64 exec, exec, s[4:5]
                                        ; implicit-def: $vgpr42_vgpr43
	s_and_saveexec_b64 s[4:5], s[24:25]
	s_cbranch_execz .LBB1313_61
.LBB1313_278:
	v_lshlrev_b32_e32 v42, 3, v46
	v_mov_b32_e32 v43, 0
	v_lshl_add_u64 v[42:43], s[48:49], 0, v[42:43]
	flat_load_dwordx2 v[42:43], v[42:43]
	s_or_b64 exec, exec, s[4:5]
                                        ; implicit-def: $vgpr46_vgpr47
	s_and_saveexec_b64 s[4:5], s[26:27]
	s_cbranch_execz .LBB1313_62
.LBB1313_279:
	v_lshlrev_b32_e32 v46, 3, v48
	v_mov_b32_e32 v47, 0
	v_lshl_add_u64 v[46:47], s[48:49], 0, v[46:47]
	flat_load_dwordx2 v[46:47], v[46:47]
	s_or_b64 exec, exec, s[4:5]
                                        ; implicit-def: $vgpr48_vgpr49
	s_and_saveexec_b64 s[4:5], s[28:29]
	s_cbranch_execz .LBB1313_63
.LBB1313_280:
	v_lshlrev_b32_e32 v48, 3, v50
	v_mov_b32_e32 v49, 0
	v_lshl_add_u64 v[48:49], s[48:49], 0, v[48:49]
	flat_load_dwordx2 v[48:49], v[48:49]
	s_or_b64 exec, exec, s[4:5]
                                        ; implicit-def: $vgpr50_vgpr51
	s_and_saveexec_b64 s[4:5], s[30:31]
	s_cbranch_execz .LBB1313_64
.LBB1313_281:
	v_lshlrev_b32_e32 v50, 3, v52
	v_mov_b32_e32 v51, 0
	v_lshl_add_u64 v[50:51], s[48:49], 0, v[50:51]
	flat_load_dwordx2 v[50:51], v[50:51]
	s_or_b64 exec, exec, s[4:5]
                                        ; implicit-def: $vgpr52_vgpr53
	s_and_saveexec_b64 s[4:5], s[34:35]
	s_cbranch_execz .LBB1313_65
.LBB1313_282:
	v_lshlrev_b32_e32 v52, 3, v54
	v_mov_b32_e32 v53, 0
	v_lshl_add_u64 v[52:53], s[48:49], 0, v[52:53]
	flat_load_dwordx2 v[52:53], v[52:53]
	s_or_b64 exec, exec, s[4:5]
                                        ; implicit-def: $vgpr54_vgpr55
	s_and_saveexec_b64 s[4:5], s[36:37]
	s_cbranch_execz .LBB1313_66
.LBB1313_283:
	v_lshlrev_b32_e32 v54, 3, v56
	v_mov_b32_e32 v55, 0
	v_lshl_add_u64 v[54:55], s[48:49], 0, v[54:55]
	flat_load_dwordx2 v[54:55], v[54:55]
	s_or_b64 exec, exec, s[4:5]
                                        ; implicit-def: $vgpr56_vgpr57
	s_and_saveexec_b64 s[4:5], s[38:39]
	s_cbranch_execz .LBB1313_67
.LBB1313_284:
	v_lshlrev_b32_e32 v56, 3, v58
	v_mov_b32_e32 v57, 0
	v_lshl_add_u64 v[56:57], s[48:49], 0, v[56:57]
	flat_load_dwordx2 v[56:57], v[56:57]
	s_or_b64 exec, exec, s[4:5]
                                        ; implicit-def: $vgpr58_vgpr59
	s_and_saveexec_b64 s[4:5], s[40:41]
	s_cbranch_execz .LBB1313_68
.LBB1313_285:
	v_lshlrev_b32_e32 v58, 3, v60
	v_mov_b32_e32 v59, 0
	v_lshl_add_u64 v[58:59], s[48:49], 0, v[58:59]
	flat_load_dwordx2 v[58:59], v[58:59]
	s_or_b64 exec, exec, s[4:5]
                                        ; implicit-def: $vgpr60_vgpr61
	s_and_saveexec_b64 s[4:5], s[42:43]
	s_cbranch_execz .LBB1313_69
.LBB1313_286:
	v_lshlrev_b32_e32 v60, 3, v62
	v_mov_b32_e32 v61, 0
	v_lshl_add_u64 v[60:61], s[48:49], 0, v[60:61]
	flat_load_dwordx2 v[60:61], v[60:61]
	s_or_b64 exec, exec, s[4:5]
                                        ; implicit-def: $vgpr62_vgpr63
	s_and_saveexec_b64 s[4:5], s[44:45]
	s_cbranch_execnz .LBB1313_70
	s_branch .LBB1313_71
.LBB1313_287:
                                        ; implicit-def: $sgpr56_sgpr57
	s_branch .LBB1313_46
.LBB1313_288:
                                        ; implicit-def: $sgpr4_sgpr5
	s_branch .LBB1313_116
	.section	.rodata,"a",@progbits
	.p2align	6, 0x0
	.amdhsa_kernel _ZN7rocprim17ROCPRIM_400000_NS6detail17trampoline_kernelINS0_14default_configENS1_27scan_by_key_config_selectorIixEEZZNS1_16scan_by_key_implILNS1_25lookback_scan_determinismE0ELb0ES3_N6thrust23THRUST_200600_302600_NS6detail15normal_iteratorINS9_10device_ptrIiEEEENSB_INSC_IxEEEESG_xNS9_4plusIvEENS9_8equal_toIvEExEE10hipError_tPvRmT2_T3_T4_T5_mT6_T7_P12ihipStream_tbENKUlT_T0_E_clISt17integral_constantIbLb0EES11_EEDaSW_SX_EUlSW_E_NS1_11comp_targetILNS1_3genE5ELNS1_11target_archE942ELNS1_3gpuE9ELNS1_3repE0EEENS1_30default_config_static_selectorELNS0_4arch9wavefront6targetE1EEEvT1_
		.amdhsa_group_segment_fixed_size 43008
		.amdhsa_private_segment_fixed_size 0
		.amdhsa_kernarg_size 136
		.amdhsa_user_sgpr_count 2
		.amdhsa_user_sgpr_dispatch_ptr 0
		.amdhsa_user_sgpr_queue_ptr 0
		.amdhsa_user_sgpr_kernarg_segment_ptr 1
		.amdhsa_user_sgpr_dispatch_id 0
		.amdhsa_user_sgpr_kernarg_preload_length 0
		.amdhsa_user_sgpr_kernarg_preload_offset 0
		.amdhsa_user_sgpr_private_segment_size 0
		.amdhsa_uses_dynamic_stack 0
		.amdhsa_enable_private_segment 0
		.amdhsa_system_sgpr_workgroup_id_x 1
		.amdhsa_system_sgpr_workgroup_id_y 0
		.amdhsa_system_sgpr_workgroup_id_z 0
		.amdhsa_system_sgpr_workgroup_info 0
		.amdhsa_system_vgpr_workitem_id 0
		.amdhsa_next_free_vgpr 132
		.amdhsa_next_free_sgpr 100
		.amdhsa_accum_offset 132
		.amdhsa_reserve_vcc 1
		.amdhsa_float_round_mode_32 0
		.amdhsa_float_round_mode_16_64 0
		.amdhsa_float_denorm_mode_32 3
		.amdhsa_float_denorm_mode_16_64 3
		.amdhsa_dx10_clamp 1
		.amdhsa_ieee_mode 1
		.amdhsa_fp16_overflow 0
		.amdhsa_tg_split 0
		.amdhsa_exception_fp_ieee_invalid_op 0
		.amdhsa_exception_fp_denorm_src 0
		.amdhsa_exception_fp_ieee_div_zero 0
		.amdhsa_exception_fp_ieee_overflow 0
		.amdhsa_exception_fp_ieee_underflow 0
		.amdhsa_exception_fp_ieee_inexact 0
		.amdhsa_exception_int_div_zero 0
	.end_amdhsa_kernel
	.section	.text._ZN7rocprim17ROCPRIM_400000_NS6detail17trampoline_kernelINS0_14default_configENS1_27scan_by_key_config_selectorIixEEZZNS1_16scan_by_key_implILNS1_25lookback_scan_determinismE0ELb0ES3_N6thrust23THRUST_200600_302600_NS6detail15normal_iteratorINS9_10device_ptrIiEEEENSB_INSC_IxEEEESG_xNS9_4plusIvEENS9_8equal_toIvEExEE10hipError_tPvRmT2_T3_T4_T5_mT6_T7_P12ihipStream_tbENKUlT_T0_E_clISt17integral_constantIbLb0EES11_EEDaSW_SX_EUlSW_E_NS1_11comp_targetILNS1_3genE5ELNS1_11target_archE942ELNS1_3gpuE9ELNS1_3repE0EEENS1_30default_config_static_selectorELNS0_4arch9wavefront6targetE1EEEvT1_,"axG",@progbits,_ZN7rocprim17ROCPRIM_400000_NS6detail17trampoline_kernelINS0_14default_configENS1_27scan_by_key_config_selectorIixEEZZNS1_16scan_by_key_implILNS1_25lookback_scan_determinismE0ELb0ES3_N6thrust23THRUST_200600_302600_NS6detail15normal_iteratorINS9_10device_ptrIiEEEENSB_INSC_IxEEEESG_xNS9_4plusIvEENS9_8equal_toIvEExEE10hipError_tPvRmT2_T3_T4_T5_mT6_T7_P12ihipStream_tbENKUlT_T0_E_clISt17integral_constantIbLb0EES11_EEDaSW_SX_EUlSW_E_NS1_11comp_targetILNS1_3genE5ELNS1_11target_archE942ELNS1_3gpuE9ELNS1_3repE0EEENS1_30default_config_static_selectorELNS0_4arch9wavefront6targetE1EEEvT1_,comdat
.Lfunc_end1313:
	.size	_ZN7rocprim17ROCPRIM_400000_NS6detail17trampoline_kernelINS0_14default_configENS1_27scan_by_key_config_selectorIixEEZZNS1_16scan_by_key_implILNS1_25lookback_scan_determinismE0ELb0ES3_N6thrust23THRUST_200600_302600_NS6detail15normal_iteratorINS9_10device_ptrIiEEEENSB_INSC_IxEEEESG_xNS9_4plusIvEENS9_8equal_toIvEExEE10hipError_tPvRmT2_T3_T4_T5_mT6_T7_P12ihipStream_tbENKUlT_T0_E_clISt17integral_constantIbLb0EES11_EEDaSW_SX_EUlSW_E_NS1_11comp_targetILNS1_3genE5ELNS1_11target_archE942ELNS1_3gpuE9ELNS1_3repE0EEENS1_30default_config_static_selectorELNS0_4arch9wavefront6targetE1EEEvT1_, .Lfunc_end1313-_ZN7rocprim17ROCPRIM_400000_NS6detail17trampoline_kernelINS0_14default_configENS1_27scan_by_key_config_selectorIixEEZZNS1_16scan_by_key_implILNS1_25lookback_scan_determinismE0ELb0ES3_N6thrust23THRUST_200600_302600_NS6detail15normal_iteratorINS9_10device_ptrIiEEEENSB_INSC_IxEEEESG_xNS9_4plusIvEENS9_8equal_toIvEExEE10hipError_tPvRmT2_T3_T4_T5_mT6_T7_P12ihipStream_tbENKUlT_T0_E_clISt17integral_constantIbLb0EES11_EEDaSW_SX_EUlSW_E_NS1_11comp_targetILNS1_3genE5ELNS1_11target_archE942ELNS1_3gpuE9ELNS1_3repE0EEENS1_30default_config_static_selectorELNS0_4arch9wavefront6targetE1EEEvT1_
                                        ; -- End function
	.section	.AMDGPU.csdata,"",@progbits
; Kernel info:
; codeLenInByte = 16972
; NumSgprs: 106
; NumVgprs: 132
; NumAgprs: 0
; TotalNumVgprs: 132
; ScratchSize: 0
; MemoryBound: 0
; FloatMode: 240
; IeeeMode: 1
; LDSByteSize: 43008 bytes/workgroup (compile time only)
; SGPRBlocks: 13
; VGPRBlocks: 16
; NumSGPRsForWavesPerEU: 106
; NumVGPRsForWavesPerEU: 132
; AccumOffset: 132
; Occupancy: 1
; WaveLimiterHint : 1
; COMPUTE_PGM_RSRC2:SCRATCH_EN: 0
; COMPUTE_PGM_RSRC2:USER_SGPR: 2
; COMPUTE_PGM_RSRC2:TRAP_HANDLER: 0
; COMPUTE_PGM_RSRC2:TGID_X_EN: 1
; COMPUTE_PGM_RSRC2:TGID_Y_EN: 0
; COMPUTE_PGM_RSRC2:TGID_Z_EN: 0
; COMPUTE_PGM_RSRC2:TIDIG_COMP_CNT: 0
; COMPUTE_PGM_RSRC3_GFX90A:ACCUM_OFFSET: 32
; COMPUTE_PGM_RSRC3_GFX90A:TG_SPLIT: 0
	.section	.text._ZN7rocprim17ROCPRIM_400000_NS6detail17trampoline_kernelINS0_14default_configENS1_27scan_by_key_config_selectorIixEEZZNS1_16scan_by_key_implILNS1_25lookback_scan_determinismE0ELb0ES3_N6thrust23THRUST_200600_302600_NS6detail15normal_iteratorINS9_10device_ptrIiEEEENSB_INSC_IxEEEESG_xNS9_4plusIvEENS9_8equal_toIvEExEE10hipError_tPvRmT2_T3_T4_T5_mT6_T7_P12ihipStream_tbENKUlT_T0_E_clISt17integral_constantIbLb0EES11_EEDaSW_SX_EUlSW_E_NS1_11comp_targetILNS1_3genE4ELNS1_11target_archE910ELNS1_3gpuE8ELNS1_3repE0EEENS1_30default_config_static_selectorELNS0_4arch9wavefront6targetE1EEEvT1_,"axG",@progbits,_ZN7rocprim17ROCPRIM_400000_NS6detail17trampoline_kernelINS0_14default_configENS1_27scan_by_key_config_selectorIixEEZZNS1_16scan_by_key_implILNS1_25lookback_scan_determinismE0ELb0ES3_N6thrust23THRUST_200600_302600_NS6detail15normal_iteratorINS9_10device_ptrIiEEEENSB_INSC_IxEEEESG_xNS9_4plusIvEENS9_8equal_toIvEExEE10hipError_tPvRmT2_T3_T4_T5_mT6_T7_P12ihipStream_tbENKUlT_T0_E_clISt17integral_constantIbLb0EES11_EEDaSW_SX_EUlSW_E_NS1_11comp_targetILNS1_3genE4ELNS1_11target_archE910ELNS1_3gpuE8ELNS1_3repE0EEENS1_30default_config_static_selectorELNS0_4arch9wavefront6targetE1EEEvT1_,comdat
	.protected	_ZN7rocprim17ROCPRIM_400000_NS6detail17trampoline_kernelINS0_14default_configENS1_27scan_by_key_config_selectorIixEEZZNS1_16scan_by_key_implILNS1_25lookback_scan_determinismE0ELb0ES3_N6thrust23THRUST_200600_302600_NS6detail15normal_iteratorINS9_10device_ptrIiEEEENSB_INSC_IxEEEESG_xNS9_4plusIvEENS9_8equal_toIvEExEE10hipError_tPvRmT2_T3_T4_T5_mT6_T7_P12ihipStream_tbENKUlT_T0_E_clISt17integral_constantIbLb0EES11_EEDaSW_SX_EUlSW_E_NS1_11comp_targetILNS1_3genE4ELNS1_11target_archE910ELNS1_3gpuE8ELNS1_3repE0EEENS1_30default_config_static_selectorELNS0_4arch9wavefront6targetE1EEEvT1_ ; -- Begin function _ZN7rocprim17ROCPRIM_400000_NS6detail17trampoline_kernelINS0_14default_configENS1_27scan_by_key_config_selectorIixEEZZNS1_16scan_by_key_implILNS1_25lookback_scan_determinismE0ELb0ES3_N6thrust23THRUST_200600_302600_NS6detail15normal_iteratorINS9_10device_ptrIiEEEENSB_INSC_IxEEEESG_xNS9_4plusIvEENS9_8equal_toIvEExEE10hipError_tPvRmT2_T3_T4_T5_mT6_T7_P12ihipStream_tbENKUlT_T0_E_clISt17integral_constantIbLb0EES11_EEDaSW_SX_EUlSW_E_NS1_11comp_targetILNS1_3genE4ELNS1_11target_archE910ELNS1_3gpuE8ELNS1_3repE0EEENS1_30default_config_static_selectorELNS0_4arch9wavefront6targetE1EEEvT1_
	.globl	_ZN7rocprim17ROCPRIM_400000_NS6detail17trampoline_kernelINS0_14default_configENS1_27scan_by_key_config_selectorIixEEZZNS1_16scan_by_key_implILNS1_25lookback_scan_determinismE0ELb0ES3_N6thrust23THRUST_200600_302600_NS6detail15normal_iteratorINS9_10device_ptrIiEEEENSB_INSC_IxEEEESG_xNS9_4plusIvEENS9_8equal_toIvEExEE10hipError_tPvRmT2_T3_T4_T5_mT6_T7_P12ihipStream_tbENKUlT_T0_E_clISt17integral_constantIbLb0EES11_EEDaSW_SX_EUlSW_E_NS1_11comp_targetILNS1_3genE4ELNS1_11target_archE910ELNS1_3gpuE8ELNS1_3repE0EEENS1_30default_config_static_selectorELNS0_4arch9wavefront6targetE1EEEvT1_
	.p2align	8
	.type	_ZN7rocprim17ROCPRIM_400000_NS6detail17trampoline_kernelINS0_14default_configENS1_27scan_by_key_config_selectorIixEEZZNS1_16scan_by_key_implILNS1_25lookback_scan_determinismE0ELb0ES3_N6thrust23THRUST_200600_302600_NS6detail15normal_iteratorINS9_10device_ptrIiEEEENSB_INSC_IxEEEESG_xNS9_4plusIvEENS9_8equal_toIvEExEE10hipError_tPvRmT2_T3_T4_T5_mT6_T7_P12ihipStream_tbENKUlT_T0_E_clISt17integral_constantIbLb0EES11_EEDaSW_SX_EUlSW_E_NS1_11comp_targetILNS1_3genE4ELNS1_11target_archE910ELNS1_3gpuE8ELNS1_3repE0EEENS1_30default_config_static_selectorELNS0_4arch9wavefront6targetE1EEEvT1_,@function
_ZN7rocprim17ROCPRIM_400000_NS6detail17trampoline_kernelINS0_14default_configENS1_27scan_by_key_config_selectorIixEEZZNS1_16scan_by_key_implILNS1_25lookback_scan_determinismE0ELb0ES3_N6thrust23THRUST_200600_302600_NS6detail15normal_iteratorINS9_10device_ptrIiEEEENSB_INSC_IxEEEESG_xNS9_4plusIvEENS9_8equal_toIvEExEE10hipError_tPvRmT2_T3_T4_T5_mT6_T7_P12ihipStream_tbENKUlT_T0_E_clISt17integral_constantIbLb0EES11_EEDaSW_SX_EUlSW_E_NS1_11comp_targetILNS1_3genE4ELNS1_11target_archE910ELNS1_3gpuE8ELNS1_3repE0EEENS1_30default_config_static_selectorELNS0_4arch9wavefront6targetE1EEEvT1_: ; @_ZN7rocprim17ROCPRIM_400000_NS6detail17trampoline_kernelINS0_14default_configENS1_27scan_by_key_config_selectorIixEEZZNS1_16scan_by_key_implILNS1_25lookback_scan_determinismE0ELb0ES3_N6thrust23THRUST_200600_302600_NS6detail15normal_iteratorINS9_10device_ptrIiEEEENSB_INSC_IxEEEESG_xNS9_4plusIvEENS9_8equal_toIvEExEE10hipError_tPvRmT2_T3_T4_T5_mT6_T7_P12ihipStream_tbENKUlT_T0_E_clISt17integral_constantIbLb0EES11_EEDaSW_SX_EUlSW_E_NS1_11comp_targetILNS1_3genE4ELNS1_11target_archE910ELNS1_3gpuE8ELNS1_3repE0EEENS1_30default_config_static_selectorELNS0_4arch9wavefront6targetE1EEEvT1_
; %bb.0:
	.section	.rodata,"a",@progbits
	.p2align	6, 0x0
	.amdhsa_kernel _ZN7rocprim17ROCPRIM_400000_NS6detail17trampoline_kernelINS0_14default_configENS1_27scan_by_key_config_selectorIixEEZZNS1_16scan_by_key_implILNS1_25lookback_scan_determinismE0ELb0ES3_N6thrust23THRUST_200600_302600_NS6detail15normal_iteratorINS9_10device_ptrIiEEEENSB_INSC_IxEEEESG_xNS9_4plusIvEENS9_8equal_toIvEExEE10hipError_tPvRmT2_T3_T4_T5_mT6_T7_P12ihipStream_tbENKUlT_T0_E_clISt17integral_constantIbLb0EES11_EEDaSW_SX_EUlSW_E_NS1_11comp_targetILNS1_3genE4ELNS1_11target_archE910ELNS1_3gpuE8ELNS1_3repE0EEENS1_30default_config_static_selectorELNS0_4arch9wavefront6targetE1EEEvT1_
		.amdhsa_group_segment_fixed_size 0
		.amdhsa_private_segment_fixed_size 0
		.amdhsa_kernarg_size 136
		.amdhsa_user_sgpr_count 2
		.amdhsa_user_sgpr_dispatch_ptr 0
		.amdhsa_user_sgpr_queue_ptr 0
		.amdhsa_user_sgpr_kernarg_segment_ptr 1
		.amdhsa_user_sgpr_dispatch_id 0
		.amdhsa_user_sgpr_kernarg_preload_length 0
		.amdhsa_user_sgpr_kernarg_preload_offset 0
		.amdhsa_user_sgpr_private_segment_size 0
		.amdhsa_uses_dynamic_stack 0
		.amdhsa_enable_private_segment 0
		.amdhsa_system_sgpr_workgroup_id_x 1
		.amdhsa_system_sgpr_workgroup_id_y 0
		.amdhsa_system_sgpr_workgroup_id_z 0
		.amdhsa_system_sgpr_workgroup_info 0
		.amdhsa_system_vgpr_workitem_id 0
		.amdhsa_next_free_vgpr 1
		.amdhsa_next_free_sgpr 0
		.amdhsa_accum_offset 4
		.amdhsa_reserve_vcc 0
		.amdhsa_float_round_mode_32 0
		.amdhsa_float_round_mode_16_64 0
		.amdhsa_float_denorm_mode_32 3
		.amdhsa_float_denorm_mode_16_64 3
		.amdhsa_dx10_clamp 1
		.amdhsa_ieee_mode 1
		.amdhsa_fp16_overflow 0
		.amdhsa_tg_split 0
		.amdhsa_exception_fp_ieee_invalid_op 0
		.amdhsa_exception_fp_denorm_src 0
		.amdhsa_exception_fp_ieee_div_zero 0
		.amdhsa_exception_fp_ieee_overflow 0
		.amdhsa_exception_fp_ieee_underflow 0
		.amdhsa_exception_fp_ieee_inexact 0
		.amdhsa_exception_int_div_zero 0
	.end_amdhsa_kernel
	.section	.text._ZN7rocprim17ROCPRIM_400000_NS6detail17trampoline_kernelINS0_14default_configENS1_27scan_by_key_config_selectorIixEEZZNS1_16scan_by_key_implILNS1_25lookback_scan_determinismE0ELb0ES3_N6thrust23THRUST_200600_302600_NS6detail15normal_iteratorINS9_10device_ptrIiEEEENSB_INSC_IxEEEESG_xNS9_4plusIvEENS9_8equal_toIvEExEE10hipError_tPvRmT2_T3_T4_T5_mT6_T7_P12ihipStream_tbENKUlT_T0_E_clISt17integral_constantIbLb0EES11_EEDaSW_SX_EUlSW_E_NS1_11comp_targetILNS1_3genE4ELNS1_11target_archE910ELNS1_3gpuE8ELNS1_3repE0EEENS1_30default_config_static_selectorELNS0_4arch9wavefront6targetE1EEEvT1_,"axG",@progbits,_ZN7rocprim17ROCPRIM_400000_NS6detail17trampoline_kernelINS0_14default_configENS1_27scan_by_key_config_selectorIixEEZZNS1_16scan_by_key_implILNS1_25lookback_scan_determinismE0ELb0ES3_N6thrust23THRUST_200600_302600_NS6detail15normal_iteratorINS9_10device_ptrIiEEEENSB_INSC_IxEEEESG_xNS9_4plusIvEENS9_8equal_toIvEExEE10hipError_tPvRmT2_T3_T4_T5_mT6_T7_P12ihipStream_tbENKUlT_T0_E_clISt17integral_constantIbLb0EES11_EEDaSW_SX_EUlSW_E_NS1_11comp_targetILNS1_3genE4ELNS1_11target_archE910ELNS1_3gpuE8ELNS1_3repE0EEENS1_30default_config_static_selectorELNS0_4arch9wavefront6targetE1EEEvT1_,comdat
.Lfunc_end1314:
	.size	_ZN7rocprim17ROCPRIM_400000_NS6detail17trampoline_kernelINS0_14default_configENS1_27scan_by_key_config_selectorIixEEZZNS1_16scan_by_key_implILNS1_25lookback_scan_determinismE0ELb0ES3_N6thrust23THRUST_200600_302600_NS6detail15normal_iteratorINS9_10device_ptrIiEEEENSB_INSC_IxEEEESG_xNS9_4plusIvEENS9_8equal_toIvEExEE10hipError_tPvRmT2_T3_T4_T5_mT6_T7_P12ihipStream_tbENKUlT_T0_E_clISt17integral_constantIbLb0EES11_EEDaSW_SX_EUlSW_E_NS1_11comp_targetILNS1_3genE4ELNS1_11target_archE910ELNS1_3gpuE8ELNS1_3repE0EEENS1_30default_config_static_selectorELNS0_4arch9wavefront6targetE1EEEvT1_, .Lfunc_end1314-_ZN7rocprim17ROCPRIM_400000_NS6detail17trampoline_kernelINS0_14default_configENS1_27scan_by_key_config_selectorIixEEZZNS1_16scan_by_key_implILNS1_25lookback_scan_determinismE0ELb0ES3_N6thrust23THRUST_200600_302600_NS6detail15normal_iteratorINS9_10device_ptrIiEEEENSB_INSC_IxEEEESG_xNS9_4plusIvEENS9_8equal_toIvEExEE10hipError_tPvRmT2_T3_T4_T5_mT6_T7_P12ihipStream_tbENKUlT_T0_E_clISt17integral_constantIbLb0EES11_EEDaSW_SX_EUlSW_E_NS1_11comp_targetILNS1_3genE4ELNS1_11target_archE910ELNS1_3gpuE8ELNS1_3repE0EEENS1_30default_config_static_selectorELNS0_4arch9wavefront6targetE1EEEvT1_
                                        ; -- End function
	.section	.AMDGPU.csdata,"",@progbits
; Kernel info:
; codeLenInByte = 0
; NumSgprs: 6
; NumVgprs: 0
; NumAgprs: 0
; TotalNumVgprs: 0
; ScratchSize: 0
; MemoryBound: 0
; FloatMode: 240
; IeeeMode: 1
; LDSByteSize: 0 bytes/workgroup (compile time only)
; SGPRBlocks: 0
; VGPRBlocks: 0
; NumSGPRsForWavesPerEU: 6
; NumVGPRsForWavesPerEU: 1
; AccumOffset: 4
; Occupancy: 8
; WaveLimiterHint : 0
; COMPUTE_PGM_RSRC2:SCRATCH_EN: 0
; COMPUTE_PGM_RSRC2:USER_SGPR: 2
; COMPUTE_PGM_RSRC2:TRAP_HANDLER: 0
; COMPUTE_PGM_RSRC2:TGID_X_EN: 1
; COMPUTE_PGM_RSRC2:TGID_Y_EN: 0
; COMPUTE_PGM_RSRC2:TGID_Z_EN: 0
; COMPUTE_PGM_RSRC2:TIDIG_COMP_CNT: 0
; COMPUTE_PGM_RSRC3_GFX90A:ACCUM_OFFSET: 0
; COMPUTE_PGM_RSRC3_GFX90A:TG_SPLIT: 0
	.section	.text._ZN7rocprim17ROCPRIM_400000_NS6detail17trampoline_kernelINS0_14default_configENS1_27scan_by_key_config_selectorIixEEZZNS1_16scan_by_key_implILNS1_25lookback_scan_determinismE0ELb0ES3_N6thrust23THRUST_200600_302600_NS6detail15normal_iteratorINS9_10device_ptrIiEEEENSB_INSC_IxEEEESG_xNS9_4plusIvEENS9_8equal_toIvEExEE10hipError_tPvRmT2_T3_T4_T5_mT6_T7_P12ihipStream_tbENKUlT_T0_E_clISt17integral_constantIbLb0EES11_EEDaSW_SX_EUlSW_E_NS1_11comp_targetILNS1_3genE3ELNS1_11target_archE908ELNS1_3gpuE7ELNS1_3repE0EEENS1_30default_config_static_selectorELNS0_4arch9wavefront6targetE1EEEvT1_,"axG",@progbits,_ZN7rocprim17ROCPRIM_400000_NS6detail17trampoline_kernelINS0_14default_configENS1_27scan_by_key_config_selectorIixEEZZNS1_16scan_by_key_implILNS1_25lookback_scan_determinismE0ELb0ES3_N6thrust23THRUST_200600_302600_NS6detail15normal_iteratorINS9_10device_ptrIiEEEENSB_INSC_IxEEEESG_xNS9_4plusIvEENS9_8equal_toIvEExEE10hipError_tPvRmT2_T3_T4_T5_mT6_T7_P12ihipStream_tbENKUlT_T0_E_clISt17integral_constantIbLb0EES11_EEDaSW_SX_EUlSW_E_NS1_11comp_targetILNS1_3genE3ELNS1_11target_archE908ELNS1_3gpuE7ELNS1_3repE0EEENS1_30default_config_static_selectorELNS0_4arch9wavefront6targetE1EEEvT1_,comdat
	.protected	_ZN7rocprim17ROCPRIM_400000_NS6detail17trampoline_kernelINS0_14default_configENS1_27scan_by_key_config_selectorIixEEZZNS1_16scan_by_key_implILNS1_25lookback_scan_determinismE0ELb0ES3_N6thrust23THRUST_200600_302600_NS6detail15normal_iteratorINS9_10device_ptrIiEEEENSB_INSC_IxEEEESG_xNS9_4plusIvEENS9_8equal_toIvEExEE10hipError_tPvRmT2_T3_T4_T5_mT6_T7_P12ihipStream_tbENKUlT_T0_E_clISt17integral_constantIbLb0EES11_EEDaSW_SX_EUlSW_E_NS1_11comp_targetILNS1_3genE3ELNS1_11target_archE908ELNS1_3gpuE7ELNS1_3repE0EEENS1_30default_config_static_selectorELNS0_4arch9wavefront6targetE1EEEvT1_ ; -- Begin function _ZN7rocprim17ROCPRIM_400000_NS6detail17trampoline_kernelINS0_14default_configENS1_27scan_by_key_config_selectorIixEEZZNS1_16scan_by_key_implILNS1_25lookback_scan_determinismE0ELb0ES3_N6thrust23THRUST_200600_302600_NS6detail15normal_iteratorINS9_10device_ptrIiEEEENSB_INSC_IxEEEESG_xNS9_4plusIvEENS9_8equal_toIvEExEE10hipError_tPvRmT2_T3_T4_T5_mT6_T7_P12ihipStream_tbENKUlT_T0_E_clISt17integral_constantIbLb0EES11_EEDaSW_SX_EUlSW_E_NS1_11comp_targetILNS1_3genE3ELNS1_11target_archE908ELNS1_3gpuE7ELNS1_3repE0EEENS1_30default_config_static_selectorELNS0_4arch9wavefront6targetE1EEEvT1_
	.globl	_ZN7rocprim17ROCPRIM_400000_NS6detail17trampoline_kernelINS0_14default_configENS1_27scan_by_key_config_selectorIixEEZZNS1_16scan_by_key_implILNS1_25lookback_scan_determinismE0ELb0ES3_N6thrust23THRUST_200600_302600_NS6detail15normal_iteratorINS9_10device_ptrIiEEEENSB_INSC_IxEEEESG_xNS9_4plusIvEENS9_8equal_toIvEExEE10hipError_tPvRmT2_T3_T4_T5_mT6_T7_P12ihipStream_tbENKUlT_T0_E_clISt17integral_constantIbLb0EES11_EEDaSW_SX_EUlSW_E_NS1_11comp_targetILNS1_3genE3ELNS1_11target_archE908ELNS1_3gpuE7ELNS1_3repE0EEENS1_30default_config_static_selectorELNS0_4arch9wavefront6targetE1EEEvT1_
	.p2align	8
	.type	_ZN7rocprim17ROCPRIM_400000_NS6detail17trampoline_kernelINS0_14default_configENS1_27scan_by_key_config_selectorIixEEZZNS1_16scan_by_key_implILNS1_25lookback_scan_determinismE0ELb0ES3_N6thrust23THRUST_200600_302600_NS6detail15normal_iteratorINS9_10device_ptrIiEEEENSB_INSC_IxEEEESG_xNS9_4plusIvEENS9_8equal_toIvEExEE10hipError_tPvRmT2_T3_T4_T5_mT6_T7_P12ihipStream_tbENKUlT_T0_E_clISt17integral_constantIbLb0EES11_EEDaSW_SX_EUlSW_E_NS1_11comp_targetILNS1_3genE3ELNS1_11target_archE908ELNS1_3gpuE7ELNS1_3repE0EEENS1_30default_config_static_selectorELNS0_4arch9wavefront6targetE1EEEvT1_,@function
_ZN7rocprim17ROCPRIM_400000_NS6detail17trampoline_kernelINS0_14default_configENS1_27scan_by_key_config_selectorIixEEZZNS1_16scan_by_key_implILNS1_25lookback_scan_determinismE0ELb0ES3_N6thrust23THRUST_200600_302600_NS6detail15normal_iteratorINS9_10device_ptrIiEEEENSB_INSC_IxEEEESG_xNS9_4plusIvEENS9_8equal_toIvEExEE10hipError_tPvRmT2_T3_T4_T5_mT6_T7_P12ihipStream_tbENKUlT_T0_E_clISt17integral_constantIbLb0EES11_EEDaSW_SX_EUlSW_E_NS1_11comp_targetILNS1_3genE3ELNS1_11target_archE908ELNS1_3gpuE7ELNS1_3repE0EEENS1_30default_config_static_selectorELNS0_4arch9wavefront6targetE1EEEvT1_: ; @_ZN7rocprim17ROCPRIM_400000_NS6detail17trampoline_kernelINS0_14default_configENS1_27scan_by_key_config_selectorIixEEZZNS1_16scan_by_key_implILNS1_25lookback_scan_determinismE0ELb0ES3_N6thrust23THRUST_200600_302600_NS6detail15normal_iteratorINS9_10device_ptrIiEEEENSB_INSC_IxEEEESG_xNS9_4plusIvEENS9_8equal_toIvEExEE10hipError_tPvRmT2_T3_T4_T5_mT6_T7_P12ihipStream_tbENKUlT_T0_E_clISt17integral_constantIbLb0EES11_EEDaSW_SX_EUlSW_E_NS1_11comp_targetILNS1_3genE3ELNS1_11target_archE908ELNS1_3gpuE7ELNS1_3repE0EEENS1_30default_config_static_selectorELNS0_4arch9wavefront6targetE1EEEvT1_
; %bb.0:
	.section	.rodata,"a",@progbits
	.p2align	6, 0x0
	.amdhsa_kernel _ZN7rocprim17ROCPRIM_400000_NS6detail17trampoline_kernelINS0_14default_configENS1_27scan_by_key_config_selectorIixEEZZNS1_16scan_by_key_implILNS1_25lookback_scan_determinismE0ELb0ES3_N6thrust23THRUST_200600_302600_NS6detail15normal_iteratorINS9_10device_ptrIiEEEENSB_INSC_IxEEEESG_xNS9_4plusIvEENS9_8equal_toIvEExEE10hipError_tPvRmT2_T3_T4_T5_mT6_T7_P12ihipStream_tbENKUlT_T0_E_clISt17integral_constantIbLb0EES11_EEDaSW_SX_EUlSW_E_NS1_11comp_targetILNS1_3genE3ELNS1_11target_archE908ELNS1_3gpuE7ELNS1_3repE0EEENS1_30default_config_static_selectorELNS0_4arch9wavefront6targetE1EEEvT1_
		.amdhsa_group_segment_fixed_size 0
		.amdhsa_private_segment_fixed_size 0
		.amdhsa_kernarg_size 136
		.amdhsa_user_sgpr_count 2
		.amdhsa_user_sgpr_dispatch_ptr 0
		.amdhsa_user_sgpr_queue_ptr 0
		.amdhsa_user_sgpr_kernarg_segment_ptr 1
		.amdhsa_user_sgpr_dispatch_id 0
		.amdhsa_user_sgpr_kernarg_preload_length 0
		.amdhsa_user_sgpr_kernarg_preload_offset 0
		.amdhsa_user_sgpr_private_segment_size 0
		.amdhsa_uses_dynamic_stack 0
		.amdhsa_enable_private_segment 0
		.amdhsa_system_sgpr_workgroup_id_x 1
		.amdhsa_system_sgpr_workgroup_id_y 0
		.amdhsa_system_sgpr_workgroup_id_z 0
		.amdhsa_system_sgpr_workgroup_info 0
		.amdhsa_system_vgpr_workitem_id 0
		.amdhsa_next_free_vgpr 1
		.amdhsa_next_free_sgpr 0
		.amdhsa_accum_offset 4
		.amdhsa_reserve_vcc 0
		.amdhsa_float_round_mode_32 0
		.amdhsa_float_round_mode_16_64 0
		.amdhsa_float_denorm_mode_32 3
		.amdhsa_float_denorm_mode_16_64 3
		.amdhsa_dx10_clamp 1
		.amdhsa_ieee_mode 1
		.amdhsa_fp16_overflow 0
		.amdhsa_tg_split 0
		.amdhsa_exception_fp_ieee_invalid_op 0
		.amdhsa_exception_fp_denorm_src 0
		.amdhsa_exception_fp_ieee_div_zero 0
		.amdhsa_exception_fp_ieee_overflow 0
		.amdhsa_exception_fp_ieee_underflow 0
		.amdhsa_exception_fp_ieee_inexact 0
		.amdhsa_exception_int_div_zero 0
	.end_amdhsa_kernel
	.section	.text._ZN7rocprim17ROCPRIM_400000_NS6detail17trampoline_kernelINS0_14default_configENS1_27scan_by_key_config_selectorIixEEZZNS1_16scan_by_key_implILNS1_25lookback_scan_determinismE0ELb0ES3_N6thrust23THRUST_200600_302600_NS6detail15normal_iteratorINS9_10device_ptrIiEEEENSB_INSC_IxEEEESG_xNS9_4plusIvEENS9_8equal_toIvEExEE10hipError_tPvRmT2_T3_T4_T5_mT6_T7_P12ihipStream_tbENKUlT_T0_E_clISt17integral_constantIbLb0EES11_EEDaSW_SX_EUlSW_E_NS1_11comp_targetILNS1_3genE3ELNS1_11target_archE908ELNS1_3gpuE7ELNS1_3repE0EEENS1_30default_config_static_selectorELNS0_4arch9wavefront6targetE1EEEvT1_,"axG",@progbits,_ZN7rocprim17ROCPRIM_400000_NS6detail17trampoline_kernelINS0_14default_configENS1_27scan_by_key_config_selectorIixEEZZNS1_16scan_by_key_implILNS1_25lookback_scan_determinismE0ELb0ES3_N6thrust23THRUST_200600_302600_NS6detail15normal_iteratorINS9_10device_ptrIiEEEENSB_INSC_IxEEEESG_xNS9_4plusIvEENS9_8equal_toIvEExEE10hipError_tPvRmT2_T3_T4_T5_mT6_T7_P12ihipStream_tbENKUlT_T0_E_clISt17integral_constantIbLb0EES11_EEDaSW_SX_EUlSW_E_NS1_11comp_targetILNS1_3genE3ELNS1_11target_archE908ELNS1_3gpuE7ELNS1_3repE0EEENS1_30default_config_static_selectorELNS0_4arch9wavefront6targetE1EEEvT1_,comdat
.Lfunc_end1315:
	.size	_ZN7rocprim17ROCPRIM_400000_NS6detail17trampoline_kernelINS0_14default_configENS1_27scan_by_key_config_selectorIixEEZZNS1_16scan_by_key_implILNS1_25lookback_scan_determinismE0ELb0ES3_N6thrust23THRUST_200600_302600_NS6detail15normal_iteratorINS9_10device_ptrIiEEEENSB_INSC_IxEEEESG_xNS9_4plusIvEENS9_8equal_toIvEExEE10hipError_tPvRmT2_T3_T4_T5_mT6_T7_P12ihipStream_tbENKUlT_T0_E_clISt17integral_constantIbLb0EES11_EEDaSW_SX_EUlSW_E_NS1_11comp_targetILNS1_3genE3ELNS1_11target_archE908ELNS1_3gpuE7ELNS1_3repE0EEENS1_30default_config_static_selectorELNS0_4arch9wavefront6targetE1EEEvT1_, .Lfunc_end1315-_ZN7rocprim17ROCPRIM_400000_NS6detail17trampoline_kernelINS0_14default_configENS1_27scan_by_key_config_selectorIixEEZZNS1_16scan_by_key_implILNS1_25lookback_scan_determinismE0ELb0ES3_N6thrust23THRUST_200600_302600_NS6detail15normal_iteratorINS9_10device_ptrIiEEEENSB_INSC_IxEEEESG_xNS9_4plusIvEENS9_8equal_toIvEExEE10hipError_tPvRmT2_T3_T4_T5_mT6_T7_P12ihipStream_tbENKUlT_T0_E_clISt17integral_constantIbLb0EES11_EEDaSW_SX_EUlSW_E_NS1_11comp_targetILNS1_3genE3ELNS1_11target_archE908ELNS1_3gpuE7ELNS1_3repE0EEENS1_30default_config_static_selectorELNS0_4arch9wavefront6targetE1EEEvT1_
                                        ; -- End function
	.section	.AMDGPU.csdata,"",@progbits
; Kernel info:
; codeLenInByte = 0
; NumSgprs: 6
; NumVgprs: 0
; NumAgprs: 0
; TotalNumVgprs: 0
; ScratchSize: 0
; MemoryBound: 0
; FloatMode: 240
; IeeeMode: 1
; LDSByteSize: 0 bytes/workgroup (compile time only)
; SGPRBlocks: 0
; VGPRBlocks: 0
; NumSGPRsForWavesPerEU: 6
; NumVGPRsForWavesPerEU: 1
; AccumOffset: 4
; Occupancy: 8
; WaveLimiterHint : 0
; COMPUTE_PGM_RSRC2:SCRATCH_EN: 0
; COMPUTE_PGM_RSRC2:USER_SGPR: 2
; COMPUTE_PGM_RSRC2:TRAP_HANDLER: 0
; COMPUTE_PGM_RSRC2:TGID_X_EN: 1
; COMPUTE_PGM_RSRC2:TGID_Y_EN: 0
; COMPUTE_PGM_RSRC2:TGID_Z_EN: 0
; COMPUTE_PGM_RSRC2:TIDIG_COMP_CNT: 0
; COMPUTE_PGM_RSRC3_GFX90A:ACCUM_OFFSET: 0
; COMPUTE_PGM_RSRC3_GFX90A:TG_SPLIT: 0
	.section	.text._ZN7rocprim17ROCPRIM_400000_NS6detail17trampoline_kernelINS0_14default_configENS1_27scan_by_key_config_selectorIixEEZZNS1_16scan_by_key_implILNS1_25lookback_scan_determinismE0ELb0ES3_N6thrust23THRUST_200600_302600_NS6detail15normal_iteratorINS9_10device_ptrIiEEEENSB_INSC_IxEEEESG_xNS9_4plusIvEENS9_8equal_toIvEExEE10hipError_tPvRmT2_T3_T4_T5_mT6_T7_P12ihipStream_tbENKUlT_T0_E_clISt17integral_constantIbLb0EES11_EEDaSW_SX_EUlSW_E_NS1_11comp_targetILNS1_3genE2ELNS1_11target_archE906ELNS1_3gpuE6ELNS1_3repE0EEENS1_30default_config_static_selectorELNS0_4arch9wavefront6targetE1EEEvT1_,"axG",@progbits,_ZN7rocprim17ROCPRIM_400000_NS6detail17trampoline_kernelINS0_14default_configENS1_27scan_by_key_config_selectorIixEEZZNS1_16scan_by_key_implILNS1_25lookback_scan_determinismE0ELb0ES3_N6thrust23THRUST_200600_302600_NS6detail15normal_iteratorINS9_10device_ptrIiEEEENSB_INSC_IxEEEESG_xNS9_4plusIvEENS9_8equal_toIvEExEE10hipError_tPvRmT2_T3_T4_T5_mT6_T7_P12ihipStream_tbENKUlT_T0_E_clISt17integral_constantIbLb0EES11_EEDaSW_SX_EUlSW_E_NS1_11comp_targetILNS1_3genE2ELNS1_11target_archE906ELNS1_3gpuE6ELNS1_3repE0EEENS1_30default_config_static_selectorELNS0_4arch9wavefront6targetE1EEEvT1_,comdat
	.protected	_ZN7rocprim17ROCPRIM_400000_NS6detail17trampoline_kernelINS0_14default_configENS1_27scan_by_key_config_selectorIixEEZZNS1_16scan_by_key_implILNS1_25lookback_scan_determinismE0ELb0ES3_N6thrust23THRUST_200600_302600_NS6detail15normal_iteratorINS9_10device_ptrIiEEEENSB_INSC_IxEEEESG_xNS9_4plusIvEENS9_8equal_toIvEExEE10hipError_tPvRmT2_T3_T4_T5_mT6_T7_P12ihipStream_tbENKUlT_T0_E_clISt17integral_constantIbLb0EES11_EEDaSW_SX_EUlSW_E_NS1_11comp_targetILNS1_3genE2ELNS1_11target_archE906ELNS1_3gpuE6ELNS1_3repE0EEENS1_30default_config_static_selectorELNS0_4arch9wavefront6targetE1EEEvT1_ ; -- Begin function _ZN7rocprim17ROCPRIM_400000_NS6detail17trampoline_kernelINS0_14default_configENS1_27scan_by_key_config_selectorIixEEZZNS1_16scan_by_key_implILNS1_25lookback_scan_determinismE0ELb0ES3_N6thrust23THRUST_200600_302600_NS6detail15normal_iteratorINS9_10device_ptrIiEEEENSB_INSC_IxEEEESG_xNS9_4plusIvEENS9_8equal_toIvEExEE10hipError_tPvRmT2_T3_T4_T5_mT6_T7_P12ihipStream_tbENKUlT_T0_E_clISt17integral_constantIbLb0EES11_EEDaSW_SX_EUlSW_E_NS1_11comp_targetILNS1_3genE2ELNS1_11target_archE906ELNS1_3gpuE6ELNS1_3repE0EEENS1_30default_config_static_selectorELNS0_4arch9wavefront6targetE1EEEvT1_
	.globl	_ZN7rocprim17ROCPRIM_400000_NS6detail17trampoline_kernelINS0_14default_configENS1_27scan_by_key_config_selectorIixEEZZNS1_16scan_by_key_implILNS1_25lookback_scan_determinismE0ELb0ES3_N6thrust23THRUST_200600_302600_NS6detail15normal_iteratorINS9_10device_ptrIiEEEENSB_INSC_IxEEEESG_xNS9_4plusIvEENS9_8equal_toIvEExEE10hipError_tPvRmT2_T3_T4_T5_mT6_T7_P12ihipStream_tbENKUlT_T0_E_clISt17integral_constantIbLb0EES11_EEDaSW_SX_EUlSW_E_NS1_11comp_targetILNS1_3genE2ELNS1_11target_archE906ELNS1_3gpuE6ELNS1_3repE0EEENS1_30default_config_static_selectorELNS0_4arch9wavefront6targetE1EEEvT1_
	.p2align	8
	.type	_ZN7rocprim17ROCPRIM_400000_NS6detail17trampoline_kernelINS0_14default_configENS1_27scan_by_key_config_selectorIixEEZZNS1_16scan_by_key_implILNS1_25lookback_scan_determinismE0ELb0ES3_N6thrust23THRUST_200600_302600_NS6detail15normal_iteratorINS9_10device_ptrIiEEEENSB_INSC_IxEEEESG_xNS9_4plusIvEENS9_8equal_toIvEExEE10hipError_tPvRmT2_T3_T4_T5_mT6_T7_P12ihipStream_tbENKUlT_T0_E_clISt17integral_constantIbLb0EES11_EEDaSW_SX_EUlSW_E_NS1_11comp_targetILNS1_3genE2ELNS1_11target_archE906ELNS1_3gpuE6ELNS1_3repE0EEENS1_30default_config_static_selectorELNS0_4arch9wavefront6targetE1EEEvT1_,@function
_ZN7rocprim17ROCPRIM_400000_NS6detail17trampoline_kernelINS0_14default_configENS1_27scan_by_key_config_selectorIixEEZZNS1_16scan_by_key_implILNS1_25lookback_scan_determinismE0ELb0ES3_N6thrust23THRUST_200600_302600_NS6detail15normal_iteratorINS9_10device_ptrIiEEEENSB_INSC_IxEEEESG_xNS9_4plusIvEENS9_8equal_toIvEExEE10hipError_tPvRmT2_T3_T4_T5_mT6_T7_P12ihipStream_tbENKUlT_T0_E_clISt17integral_constantIbLb0EES11_EEDaSW_SX_EUlSW_E_NS1_11comp_targetILNS1_3genE2ELNS1_11target_archE906ELNS1_3gpuE6ELNS1_3repE0EEENS1_30default_config_static_selectorELNS0_4arch9wavefront6targetE1EEEvT1_: ; @_ZN7rocprim17ROCPRIM_400000_NS6detail17trampoline_kernelINS0_14default_configENS1_27scan_by_key_config_selectorIixEEZZNS1_16scan_by_key_implILNS1_25lookback_scan_determinismE0ELb0ES3_N6thrust23THRUST_200600_302600_NS6detail15normal_iteratorINS9_10device_ptrIiEEEENSB_INSC_IxEEEESG_xNS9_4plusIvEENS9_8equal_toIvEExEE10hipError_tPvRmT2_T3_T4_T5_mT6_T7_P12ihipStream_tbENKUlT_T0_E_clISt17integral_constantIbLb0EES11_EEDaSW_SX_EUlSW_E_NS1_11comp_targetILNS1_3genE2ELNS1_11target_archE906ELNS1_3gpuE6ELNS1_3repE0EEENS1_30default_config_static_selectorELNS0_4arch9wavefront6targetE1EEEvT1_
; %bb.0:
	.section	.rodata,"a",@progbits
	.p2align	6, 0x0
	.amdhsa_kernel _ZN7rocprim17ROCPRIM_400000_NS6detail17trampoline_kernelINS0_14default_configENS1_27scan_by_key_config_selectorIixEEZZNS1_16scan_by_key_implILNS1_25lookback_scan_determinismE0ELb0ES3_N6thrust23THRUST_200600_302600_NS6detail15normal_iteratorINS9_10device_ptrIiEEEENSB_INSC_IxEEEESG_xNS9_4plusIvEENS9_8equal_toIvEExEE10hipError_tPvRmT2_T3_T4_T5_mT6_T7_P12ihipStream_tbENKUlT_T0_E_clISt17integral_constantIbLb0EES11_EEDaSW_SX_EUlSW_E_NS1_11comp_targetILNS1_3genE2ELNS1_11target_archE906ELNS1_3gpuE6ELNS1_3repE0EEENS1_30default_config_static_selectorELNS0_4arch9wavefront6targetE1EEEvT1_
		.amdhsa_group_segment_fixed_size 0
		.amdhsa_private_segment_fixed_size 0
		.amdhsa_kernarg_size 136
		.amdhsa_user_sgpr_count 2
		.amdhsa_user_sgpr_dispatch_ptr 0
		.amdhsa_user_sgpr_queue_ptr 0
		.amdhsa_user_sgpr_kernarg_segment_ptr 1
		.amdhsa_user_sgpr_dispatch_id 0
		.amdhsa_user_sgpr_kernarg_preload_length 0
		.amdhsa_user_sgpr_kernarg_preload_offset 0
		.amdhsa_user_sgpr_private_segment_size 0
		.amdhsa_uses_dynamic_stack 0
		.amdhsa_enable_private_segment 0
		.amdhsa_system_sgpr_workgroup_id_x 1
		.amdhsa_system_sgpr_workgroup_id_y 0
		.amdhsa_system_sgpr_workgroup_id_z 0
		.amdhsa_system_sgpr_workgroup_info 0
		.amdhsa_system_vgpr_workitem_id 0
		.amdhsa_next_free_vgpr 1
		.amdhsa_next_free_sgpr 0
		.amdhsa_accum_offset 4
		.amdhsa_reserve_vcc 0
		.amdhsa_float_round_mode_32 0
		.amdhsa_float_round_mode_16_64 0
		.amdhsa_float_denorm_mode_32 3
		.amdhsa_float_denorm_mode_16_64 3
		.amdhsa_dx10_clamp 1
		.amdhsa_ieee_mode 1
		.amdhsa_fp16_overflow 0
		.amdhsa_tg_split 0
		.amdhsa_exception_fp_ieee_invalid_op 0
		.amdhsa_exception_fp_denorm_src 0
		.amdhsa_exception_fp_ieee_div_zero 0
		.amdhsa_exception_fp_ieee_overflow 0
		.amdhsa_exception_fp_ieee_underflow 0
		.amdhsa_exception_fp_ieee_inexact 0
		.amdhsa_exception_int_div_zero 0
	.end_amdhsa_kernel
	.section	.text._ZN7rocprim17ROCPRIM_400000_NS6detail17trampoline_kernelINS0_14default_configENS1_27scan_by_key_config_selectorIixEEZZNS1_16scan_by_key_implILNS1_25lookback_scan_determinismE0ELb0ES3_N6thrust23THRUST_200600_302600_NS6detail15normal_iteratorINS9_10device_ptrIiEEEENSB_INSC_IxEEEESG_xNS9_4plusIvEENS9_8equal_toIvEExEE10hipError_tPvRmT2_T3_T4_T5_mT6_T7_P12ihipStream_tbENKUlT_T0_E_clISt17integral_constantIbLb0EES11_EEDaSW_SX_EUlSW_E_NS1_11comp_targetILNS1_3genE2ELNS1_11target_archE906ELNS1_3gpuE6ELNS1_3repE0EEENS1_30default_config_static_selectorELNS0_4arch9wavefront6targetE1EEEvT1_,"axG",@progbits,_ZN7rocprim17ROCPRIM_400000_NS6detail17trampoline_kernelINS0_14default_configENS1_27scan_by_key_config_selectorIixEEZZNS1_16scan_by_key_implILNS1_25lookback_scan_determinismE0ELb0ES3_N6thrust23THRUST_200600_302600_NS6detail15normal_iteratorINS9_10device_ptrIiEEEENSB_INSC_IxEEEESG_xNS9_4plusIvEENS9_8equal_toIvEExEE10hipError_tPvRmT2_T3_T4_T5_mT6_T7_P12ihipStream_tbENKUlT_T0_E_clISt17integral_constantIbLb0EES11_EEDaSW_SX_EUlSW_E_NS1_11comp_targetILNS1_3genE2ELNS1_11target_archE906ELNS1_3gpuE6ELNS1_3repE0EEENS1_30default_config_static_selectorELNS0_4arch9wavefront6targetE1EEEvT1_,comdat
.Lfunc_end1316:
	.size	_ZN7rocprim17ROCPRIM_400000_NS6detail17trampoline_kernelINS0_14default_configENS1_27scan_by_key_config_selectorIixEEZZNS1_16scan_by_key_implILNS1_25lookback_scan_determinismE0ELb0ES3_N6thrust23THRUST_200600_302600_NS6detail15normal_iteratorINS9_10device_ptrIiEEEENSB_INSC_IxEEEESG_xNS9_4plusIvEENS9_8equal_toIvEExEE10hipError_tPvRmT2_T3_T4_T5_mT6_T7_P12ihipStream_tbENKUlT_T0_E_clISt17integral_constantIbLb0EES11_EEDaSW_SX_EUlSW_E_NS1_11comp_targetILNS1_3genE2ELNS1_11target_archE906ELNS1_3gpuE6ELNS1_3repE0EEENS1_30default_config_static_selectorELNS0_4arch9wavefront6targetE1EEEvT1_, .Lfunc_end1316-_ZN7rocprim17ROCPRIM_400000_NS6detail17trampoline_kernelINS0_14default_configENS1_27scan_by_key_config_selectorIixEEZZNS1_16scan_by_key_implILNS1_25lookback_scan_determinismE0ELb0ES3_N6thrust23THRUST_200600_302600_NS6detail15normal_iteratorINS9_10device_ptrIiEEEENSB_INSC_IxEEEESG_xNS9_4plusIvEENS9_8equal_toIvEExEE10hipError_tPvRmT2_T3_T4_T5_mT6_T7_P12ihipStream_tbENKUlT_T0_E_clISt17integral_constantIbLb0EES11_EEDaSW_SX_EUlSW_E_NS1_11comp_targetILNS1_3genE2ELNS1_11target_archE906ELNS1_3gpuE6ELNS1_3repE0EEENS1_30default_config_static_selectorELNS0_4arch9wavefront6targetE1EEEvT1_
                                        ; -- End function
	.section	.AMDGPU.csdata,"",@progbits
; Kernel info:
; codeLenInByte = 0
; NumSgprs: 6
; NumVgprs: 0
; NumAgprs: 0
; TotalNumVgprs: 0
; ScratchSize: 0
; MemoryBound: 0
; FloatMode: 240
; IeeeMode: 1
; LDSByteSize: 0 bytes/workgroup (compile time only)
; SGPRBlocks: 0
; VGPRBlocks: 0
; NumSGPRsForWavesPerEU: 6
; NumVGPRsForWavesPerEU: 1
; AccumOffset: 4
; Occupancy: 8
; WaveLimiterHint : 0
; COMPUTE_PGM_RSRC2:SCRATCH_EN: 0
; COMPUTE_PGM_RSRC2:USER_SGPR: 2
; COMPUTE_PGM_RSRC2:TRAP_HANDLER: 0
; COMPUTE_PGM_RSRC2:TGID_X_EN: 1
; COMPUTE_PGM_RSRC2:TGID_Y_EN: 0
; COMPUTE_PGM_RSRC2:TGID_Z_EN: 0
; COMPUTE_PGM_RSRC2:TIDIG_COMP_CNT: 0
; COMPUTE_PGM_RSRC3_GFX90A:ACCUM_OFFSET: 0
; COMPUTE_PGM_RSRC3_GFX90A:TG_SPLIT: 0
	.section	.text._ZN7rocprim17ROCPRIM_400000_NS6detail17trampoline_kernelINS0_14default_configENS1_27scan_by_key_config_selectorIixEEZZNS1_16scan_by_key_implILNS1_25lookback_scan_determinismE0ELb0ES3_N6thrust23THRUST_200600_302600_NS6detail15normal_iteratorINS9_10device_ptrIiEEEENSB_INSC_IxEEEESG_xNS9_4plusIvEENS9_8equal_toIvEExEE10hipError_tPvRmT2_T3_T4_T5_mT6_T7_P12ihipStream_tbENKUlT_T0_E_clISt17integral_constantIbLb0EES11_EEDaSW_SX_EUlSW_E_NS1_11comp_targetILNS1_3genE10ELNS1_11target_archE1200ELNS1_3gpuE4ELNS1_3repE0EEENS1_30default_config_static_selectorELNS0_4arch9wavefront6targetE1EEEvT1_,"axG",@progbits,_ZN7rocprim17ROCPRIM_400000_NS6detail17trampoline_kernelINS0_14default_configENS1_27scan_by_key_config_selectorIixEEZZNS1_16scan_by_key_implILNS1_25lookback_scan_determinismE0ELb0ES3_N6thrust23THRUST_200600_302600_NS6detail15normal_iteratorINS9_10device_ptrIiEEEENSB_INSC_IxEEEESG_xNS9_4plusIvEENS9_8equal_toIvEExEE10hipError_tPvRmT2_T3_T4_T5_mT6_T7_P12ihipStream_tbENKUlT_T0_E_clISt17integral_constantIbLb0EES11_EEDaSW_SX_EUlSW_E_NS1_11comp_targetILNS1_3genE10ELNS1_11target_archE1200ELNS1_3gpuE4ELNS1_3repE0EEENS1_30default_config_static_selectorELNS0_4arch9wavefront6targetE1EEEvT1_,comdat
	.protected	_ZN7rocprim17ROCPRIM_400000_NS6detail17trampoline_kernelINS0_14default_configENS1_27scan_by_key_config_selectorIixEEZZNS1_16scan_by_key_implILNS1_25lookback_scan_determinismE0ELb0ES3_N6thrust23THRUST_200600_302600_NS6detail15normal_iteratorINS9_10device_ptrIiEEEENSB_INSC_IxEEEESG_xNS9_4plusIvEENS9_8equal_toIvEExEE10hipError_tPvRmT2_T3_T4_T5_mT6_T7_P12ihipStream_tbENKUlT_T0_E_clISt17integral_constantIbLb0EES11_EEDaSW_SX_EUlSW_E_NS1_11comp_targetILNS1_3genE10ELNS1_11target_archE1200ELNS1_3gpuE4ELNS1_3repE0EEENS1_30default_config_static_selectorELNS0_4arch9wavefront6targetE1EEEvT1_ ; -- Begin function _ZN7rocprim17ROCPRIM_400000_NS6detail17trampoline_kernelINS0_14default_configENS1_27scan_by_key_config_selectorIixEEZZNS1_16scan_by_key_implILNS1_25lookback_scan_determinismE0ELb0ES3_N6thrust23THRUST_200600_302600_NS6detail15normal_iteratorINS9_10device_ptrIiEEEENSB_INSC_IxEEEESG_xNS9_4plusIvEENS9_8equal_toIvEExEE10hipError_tPvRmT2_T3_T4_T5_mT6_T7_P12ihipStream_tbENKUlT_T0_E_clISt17integral_constantIbLb0EES11_EEDaSW_SX_EUlSW_E_NS1_11comp_targetILNS1_3genE10ELNS1_11target_archE1200ELNS1_3gpuE4ELNS1_3repE0EEENS1_30default_config_static_selectorELNS0_4arch9wavefront6targetE1EEEvT1_
	.globl	_ZN7rocprim17ROCPRIM_400000_NS6detail17trampoline_kernelINS0_14default_configENS1_27scan_by_key_config_selectorIixEEZZNS1_16scan_by_key_implILNS1_25lookback_scan_determinismE0ELb0ES3_N6thrust23THRUST_200600_302600_NS6detail15normal_iteratorINS9_10device_ptrIiEEEENSB_INSC_IxEEEESG_xNS9_4plusIvEENS9_8equal_toIvEExEE10hipError_tPvRmT2_T3_T4_T5_mT6_T7_P12ihipStream_tbENKUlT_T0_E_clISt17integral_constantIbLb0EES11_EEDaSW_SX_EUlSW_E_NS1_11comp_targetILNS1_3genE10ELNS1_11target_archE1200ELNS1_3gpuE4ELNS1_3repE0EEENS1_30default_config_static_selectorELNS0_4arch9wavefront6targetE1EEEvT1_
	.p2align	8
	.type	_ZN7rocprim17ROCPRIM_400000_NS6detail17trampoline_kernelINS0_14default_configENS1_27scan_by_key_config_selectorIixEEZZNS1_16scan_by_key_implILNS1_25lookback_scan_determinismE0ELb0ES3_N6thrust23THRUST_200600_302600_NS6detail15normal_iteratorINS9_10device_ptrIiEEEENSB_INSC_IxEEEESG_xNS9_4plusIvEENS9_8equal_toIvEExEE10hipError_tPvRmT2_T3_T4_T5_mT6_T7_P12ihipStream_tbENKUlT_T0_E_clISt17integral_constantIbLb0EES11_EEDaSW_SX_EUlSW_E_NS1_11comp_targetILNS1_3genE10ELNS1_11target_archE1200ELNS1_3gpuE4ELNS1_3repE0EEENS1_30default_config_static_selectorELNS0_4arch9wavefront6targetE1EEEvT1_,@function
_ZN7rocprim17ROCPRIM_400000_NS6detail17trampoline_kernelINS0_14default_configENS1_27scan_by_key_config_selectorIixEEZZNS1_16scan_by_key_implILNS1_25lookback_scan_determinismE0ELb0ES3_N6thrust23THRUST_200600_302600_NS6detail15normal_iteratorINS9_10device_ptrIiEEEENSB_INSC_IxEEEESG_xNS9_4plusIvEENS9_8equal_toIvEExEE10hipError_tPvRmT2_T3_T4_T5_mT6_T7_P12ihipStream_tbENKUlT_T0_E_clISt17integral_constantIbLb0EES11_EEDaSW_SX_EUlSW_E_NS1_11comp_targetILNS1_3genE10ELNS1_11target_archE1200ELNS1_3gpuE4ELNS1_3repE0EEENS1_30default_config_static_selectorELNS0_4arch9wavefront6targetE1EEEvT1_: ; @_ZN7rocprim17ROCPRIM_400000_NS6detail17trampoline_kernelINS0_14default_configENS1_27scan_by_key_config_selectorIixEEZZNS1_16scan_by_key_implILNS1_25lookback_scan_determinismE0ELb0ES3_N6thrust23THRUST_200600_302600_NS6detail15normal_iteratorINS9_10device_ptrIiEEEENSB_INSC_IxEEEESG_xNS9_4plusIvEENS9_8equal_toIvEExEE10hipError_tPvRmT2_T3_T4_T5_mT6_T7_P12ihipStream_tbENKUlT_T0_E_clISt17integral_constantIbLb0EES11_EEDaSW_SX_EUlSW_E_NS1_11comp_targetILNS1_3genE10ELNS1_11target_archE1200ELNS1_3gpuE4ELNS1_3repE0EEENS1_30default_config_static_selectorELNS0_4arch9wavefront6targetE1EEEvT1_
; %bb.0:
	.section	.rodata,"a",@progbits
	.p2align	6, 0x0
	.amdhsa_kernel _ZN7rocprim17ROCPRIM_400000_NS6detail17trampoline_kernelINS0_14default_configENS1_27scan_by_key_config_selectorIixEEZZNS1_16scan_by_key_implILNS1_25lookback_scan_determinismE0ELb0ES3_N6thrust23THRUST_200600_302600_NS6detail15normal_iteratorINS9_10device_ptrIiEEEENSB_INSC_IxEEEESG_xNS9_4plusIvEENS9_8equal_toIvEExEE10hipError_tPvRmT2_T3_T4_T5_mT6_T7_P12ihipStream_tbENKUlT_T0_E_clISt17integral_constantIbLb0EES11_EEDaSW_SX_EUlSW_E_NS1_11comp_targetILNS1_3genE10ELNS1_11target_archE1200ELNS1_3gpuE4ELNS1_3repE0EEENS1_30default_config_static_selectorELNS0_4arch9wavefront6targetE1EEEvT1_
		.amdhsa_group_segment_fixed_size 0
		.amdhsa_private_segment_fixed_size 0
		.amdhsa_kernarg_size 136
		.amdhsa_user_sgpr_count 2
		.amdhsa_user_sgpr_dispatch_ptr 0
		.amdhsa_user_sgpr_queue_ptr 0
		.amdhsa_user_sgpr_kernarg_segment_ptr 1
		.amdhsa_user_sgpr_dispatch_id 0
		.amdhsa_user_sgpr_kernarg_preload_length 0
		.amdhsa_user_sgpr_kernarg_preload_offset 0
		.amdhsa_user_sgpr_private_segment_size 0
		.amdhsa_uses_dynamic_stack 0
		.amdhsa_enable_private_segment 0
		.amdhsa_system_sgpr_workgroup_id_x 1
		.amdhsa_system_sgpr_workgroup_id_y 0
		.amdhsa_system_sgpr_workgroup_id_z 0
		.amdhsa_system_sgpr_workgroup_info 0
		.amdhsa_system_vgpr_workitem_id 0
		.amdhsa_next_free_vgpr 1
		.amdhsa_next_free_sgpr 0
		.amdhsa_accum_offset 4
		.amdhsa_reserve_vcc 0
		.amdhsa_float_round_mode_32 0
		.amdhsa_float_round_mode_16_64 0
		.amdhsa_float_denorm_mode_32 3
		.amdhsa_float_denorm_mode_16_64 3
		.amdhsa_dx10_clamp 1
		.amdhsa_ieee_mode 1
		.amdhsa_fp16_overflow 0
		.amdhsa_tg_split 0
		.amdhsa_exception_fp_ieee_invalid_op 0
		.amdhsa_exception_fp_denorm_src 0
		.amdhsa_exception_fp_ieee_div_zero 0
		.amdhsa_exception_fp_ieee_overflow 0
		.amdhsa_exception_fp_ieee_underflow 0
		.amdhsa_exception_fp_ieee_inexact 0
		.amdhsa_exception_int_div_zero 0
	.end_amdhsa_kernel
	.section	.text._ZN7rocprim17ROCPRIM_400000_NS6detail17trampoline_kernelINS0_14default_configENS1_27scan_by_key_config_selectorIixEEZZNS1_16scan_by_key_implILNS1_25lookback_scan_determinismE0ELb0ES3_N6thrust23THRUST_200600_302600_NS6detail15normal_iteratorINS9_10device_ptrIiEEEENSB_INSC_IxEEEESG_xNS9_4plusIvEENS9_8equal_toIvEExEE10hipError_tPvRmT2_T3_T4_T5_mT6_T7_P12ihipStream_tbENKUlT_T0_E_clISt17integral_constantIbLb0EES11_EEDaSW_SX_EUlSW_E_NS1_11comp_targetILNS1_3genE10ELNS1_11target_archE1200ELNS1_3gpuE4ELNS1_3repE0EEENS1_30default_config_static_selectorELNS0_4arch9wavefront6targetE1EEEvT1_,"axG",@progbits,_ZN7rocprim17ROCPRIM_400000_NS6detail17trampoline_kernelINS0_14default_configENS1_27scan_by_key_config_selectorIixEEZZNS1_16scan_by_key_implILNS1_25lookback_scan_determinismE0ELb0ES3_N6thrust23THRUST_200600_302600_NS6detail15normal_iteratorINS9_10device_ptrIiEEEENSB_INSC_IxEEEESG_xNS9_4plusIvEENS9_8equal_toIvEExEE10hipError_tPvRmT2_T3_T4_T5_mT6_T7_P12ihipStream_tbENKUlT_T0_E_clISt17integral_constantIbLb0EES11_EEDaSW_SX_EUlSW_E_NS1_11comp_targetILNS1_3genE10ELNS1_11target_archE1200ELNS1_3gpuE4ELNS1_3repE0EEENS1_30default_config_static_selectorELNS0_4arch9wavefront6targetE1EEEvT1_,comdat
.Lfunc_end1317:
	.size	_ZN7rocprim17ROCPRIM_400000_NS6detail17trampoline_kernelINS0_14default_configENS1_27scan_by_key_config_selectorIixEEZZNS1_16scan_by_key_implILNS1_25lookback_scan_determinismE0ELb0ES3_N6thrust23THRUST_200600_302600_NS6detail15normal_iteratorINS9_10device_ptrIiEEEENSB_INSC_IxEEEESG_xNS9_4plusIvEENS9_8equal_toIvEExEE10hipError_tPvRmT2_T3_T4_T5_mT6_T7_P12ihipStream_tbENKUlT_T0_E_clISt17integral_constantIbLb0EES11_EEDaSW_SX_EUlSW_E_NS1_11comp_targetILNS1_3genE10ELNS1_11target_archE1200ELNS1_3gpuE4ELNS1_3repE0EEENS1_30default_config_static_selectorELNS0_4arch9wavefront6targetE1EEEvT1_, .Lfunc_end1317-_ZN7rocprim17ROCPRIM_400000_NS6detail17trampoline_kernelINS0_14default_configENS1_27scan_by_key_config_selectorIixEEZZNS1_16scan_by_key_implILNS1_25lookback_scan_determinismE0ELb0ES3_N6thrust23THRUST_200600_302600_NS6detail15normal_iteratorINS9_10device_ptrIiEEEENSB_INSC_IxEEEESG_xNS9_4plusIvEENS9_8equal_toIvEExEE10hipError_tPvRmT2_T3_T4_T5_mT6_T7_P12ihipStream_tbENKUlT_T0_E_clISt17integral_constantIbLb0EES11_EEDaSW_SX_EUlSW_E_NS1_11comp_targetILNS1_3genE10ELNS1_11target_archE1200ELNS1_3gpuE4ELNS1_3repE0EEENS1_30default_config_static_selectorELNS0_4arch9wavefront6targetE1EEEvT1_
                                        ; -- End function
	.section	.AMDGPU.csdata,"",@progbits
; Kernel info:
; codeLenInByte = 0
; NumSgprs: 6
; NumVgprs: 0
; NumAgprs: 0
; TotalNumVgprs: 0
; ScratchSize: 0
; MemoryBound: 0
; FloatMode: 240
; IeeeMode: 1
; LDSByteSize: 0 bytes/workgroup (compile time only)
; SGPRBlocks: 0
; VGPRBlocks: 0
; NumSGPRsForWavesPerEU: 6
; NumVGPRsForWavesPerEU: 1
; AccumOffset: 4
; Occupancy: 8
; WaveLimiterHint : 0
; COMPUTE_PGM_RSRC2:SCRATCH_EN: 0
; COMPUTE_PGM_RSRC2:USER_SGPR: 2
; COMPUTE_PGM_RSRC2:TRAP_HANDLER: 0
; COMPUTE_PGM_RSRC2:TGID_X_EN: 1
; COMPUTE_PGM_RSRC2:TGID_Y_EN: 0
; COMPUTE_PGM_RSRC2:TGID_Z_EN: 0
; COMPUTE_PGM_RSRC2:TIDIG_COMP_CNT: 0
; COMPUTE_PGM_RSRC3_GFX90A:ACCUM_OFFSET: 0
; COMPUTE_PGM_RSRC3_GFX90A:TG_SPLIT: 0
	.section	.text._ZN7rocprim17ROCPRIM_400000_NS6detail17trampoline_kernelINS0_14default_configENS1_27scan_by_key_config_selectorIixEEZZNS1_16scan_by_key_implILNS1_25lookback_scan_determinismE0ELb0ES3_N6thrust23THRUST_200600_302600_NS6detail15normal_iteratorINS9_10device_ptrIiEEEENSB_INSC_IxEEEESG_xNS9_4plusIvEENS9_8equal_toIvEExEE10hipError_tPvRmT2_T3_T4_T5_mT6_T7_P12ihipStream_tbENKUlT_T0_E_clISt17integral_constantIbLb0EES11_EEDaSW_SX_EUlSW_E_NS1_11comp_targetILNS1_3genE9ELNS1_11target_archE1100ELNS1_3gpuE3ELNS1_3repE0EEENS1_30default_config_static_selectorELNS0_4arch9wavefront6targetE1EEEvT1_,"axG",@progbits,_ZN7rocprim17ROCPRIM_400000_NS6detail17trampoline_kernelINS0_14default_configENS1_27scan_by_key_config_selectorIixEEZZNS1_16scan_by_key_implILNS1_25lookback_scan_determinismE0ELb0ES3_N6thrust23THRUST_200600_302600_NS6detail15normal_iteratorINS9_10device_ptrIiEEEENSB_INSC_IxEEEESG_xNS9_4plusIvEENS9_8equal_toIvEExEE10hipError_tPvRmT2_T3_T4_T5_mT6_T7_P12ihipStream_tbENKUlT_T0_E_clISt17integral_constantIbLb0EES11_EEDaSW_SX_EUlSW_E_NS1_11comp_targetILNS1_3genE9ELNS1_11target_archE1100ELNS1_3gpuE3ELNS1_3repE0EEENS1_30default_config_static_selectorELNS0_4arch9wavefront6targetE1EEEvT1_,comdat
	.protected	_ZN7rocprim17ROCPRIM_400000_NS6detail17trampoline_kernelINS0_14default_configENS1_27scan_by_key_config_selectorIixEEZZNS1_16scan_by_key_implILNS1_25lookback_scan_determinismE0ELb0ES3_N6thrust23THRUST_200600_302600_NS6detail15normal_iteratorINS9_10device_ptrIiEEEENSB_INSC_IxEEEESG_xNS9_4plusIvEENS9_8equal_toIvEExEE10hipError_tPvRmT2_T3_T4_T5_mT6_T7_P12ihipStream_tbENKUlT_T0_E_clISt17integral_constantIbLb0EES11_EEDaSW_SX_EUlSW_E_NS1_11comp_targetILNS1_3genE9ELNS1_11target_archE1100ELNS1_3gpuE3ELNS1_3repE0EEENS1_30default_config_static_selectorELNS0_4arch9wavefront6targetE1EEEvT1_ ; -- Begin function _ZN7rocprim17ROCPRIM_400000_NS6detail17trampoline_kernelINS0_14default_configENS1_27scan_by_key_config_selectorIixEEZZNS1_16scan_by_key_implILNS1_25lookback_scan_determinismE0ELb0ES3_N6thrust23THRUST_200600_302600_NS6detail15normal_iteratorINS9_10device_ptrIiEEEENSB_INSC_IxEEEESG_xNS9_4plusIvEENS9_8equal_toIvEExEE10hipError_tPvRmT2_T3_T4_T5_mT6_T7_P12ihipStream_tbENKUlT_T0_E_clISt17integral_constantIbLb0EES11_EEDaSW_SX_EUlSW_E_NS1_11comp_targetILNS1_3genE9ELNS1_11target_archE1100ELNS1_3gpuE3ELNS1_3repE0EEENS1_30default_config_static_selectorELNS0_4arch9wavefront6targetE1EEEvT1_
	.globl	_ZN7rocprim17ROCPRIM_400000_NS6detail17trampoline_kernelINS0_14default_configENS1_27scan_by_key_config_selectorIixEEZZNS1_16scan_by_key_implILNS1_25lookback_scan_determinismE0ELb0ES3_N6thrust23THRUST_200600_302600_NS6detail15normal_iteratorINS9_10device_ptrIiEEEENSB_INSC_IxEEEESG_xNS9_4plusIvEENS9_8equal_toIvEExEE10hipError_tPvRmT2_T3_T4_T5_mT6_T7_P12ihipStream_tbENKUlT_T0_E_clISt17integral_constantIbLb0EES11_EEDaSW_SX_EUlSW_E_NS1_11comp_targetILNS1_3genE9ELNS1_11target_archE1100ELNS1_3gpuE3ELNS1_3repE0EEENS1_30default_config_static_selectorELNS0_4arch9wavefront6targetE1EEEvT1_
	.p2align	8
	.type	_ZN7rocprim17ROCPRIM_400000_NS6detail17trampoline_kernelINS0_14default_configENS1_27scan_by_key_config_selectorIixEEZZNS1_16scan_by_key_implILNS1_25lookback_scan_determinismE0ELb0ES3_N6thrust23THRUST_200600_302600_NS6detail15normal_iteratorINS9_10device_ptrIiEEEENSB_INSC_IxEEEESG_xNS9_4plusIvEENS9_8equal_toIvEExEE10hipError_tPvRmT2_T3_T4_T5_mT6_T7_P12ihipStream_tbENKUlT_T0_E_clISt17integral_constantIbLb0EES11_EEDaSW_SX_EUlSW_E_NS1_11comp_targetILNS1_3genE9ELNS1_11target_archE1100ELNS1_3gpuE3ELNS1_3repE0EEENS1_30default_config_static_selectorELNS0_4arch9wavefront6targetE1EEEvT1_,@function
_ZN7rocprim17ROCPRIM_400000_NS6detail17trampoline_kernelINS0_14default_configENS1_27scan_by_key_config_selectorIixEEZZNS1_16scan_by_key_implILNS1_25lookback_scan_determinismE0ELb0ES3_N6thrust23THRUST_200600_302600_NS6detail15normal_iteratorINS9_10device_ptrIiEEEENSB_INSC_IxEEEESG_xNS9_4plusIvEENS9_8equal_toIvEExEE10hipError_tPvRmT2_T3_T4_T5_mT6_T7_P12ihipStream_tbENKUlT_T0_E_clISt17integral_constantIbLb0EES11_EEDaSW_SX_EUlSW_E_NS1_11comp_targetILNS1_3genE9ELNS1_11target_archE1100ELNS1_3gpuE3ELNS1_3repE0EEENS1_30default_config_static_selectorELNS0_4arch9wavefront6targetE1EEEvT1_: ; @_ZN7rocprim17ROCPRIM_400000_NS6detail17trampoline_kernelINS0_14default_configENS1_27scan_by_key_config_selectorIixEEZZNS1_16scan_by_key_implILNS1_25lookback_scan_determinismE0ELb0ES3_N6thrust23THRUST_200600_302600_NS6detail15normal_iteratorINS9_10device_ptrIiEEEENSB_INSC_IxEEEESG_xNS9_4plusIvEENS9_8equal_toIvEExEE10hipError_tPvRmT2_T3_T4_T5_mT6_T7_P12ihipStream_tbENKUlT_T0_E_clISt17integral_constantIbLb0EES11_EEDaSW_SX_EUlSW_E_NS1_11comp_targetILNS1_3genE9ELNS1_11target_archE1100ELNS1_3gpuE3ELNS1_3repE0EEENS1_30default_config_static_selectorELNS0_4arch9wavefront6targetE1EEEvT1_
; %bb.0:
	.section	.rodata,"a",@progbits
	.p2align	6, 0x0
	.amdhsa_kernel _ZN7rocprim17ROCPRIM_400000_NS6detail17trampoline_kernelINS0_14default_configENS1_27scan_by_key_config_selectorIixEEZZNS1_16scan_by_key_implILNS1_25lookback_scan_determinismE0ELb0ES3_N6thrust23THRUST_200600_302600_NS6detail15normal_iteratorINS9_10device_ptrIiEEEENSB_INSC_IxEEEESG_xNS9_4plusIvEENS9_8equal_toIvEExEE10hipError_tPvRmT2_T3_T4_T5_mT6_T7_P12ihipStream_tbENKUlT_T0_E_clISt17integral_constantIbLb0EES11_EEDaSW_SX_EUlSW_E_NS1_11comp_targetILNS1_3genE9ELNS1_11target_archE1100ELNS1_3gpuE3ELNS1_3repE0EEENS1_30default_config_static_selectorELNS0_4arch9wavefront6targetE1EEEvT1_
		.amdhsa_group_segment_fixed_size 0
		.amdhsa_private_segment_fixed_size 0
		.amdhsa_kernarg_size 136
		.amdhsa_user_sgpr_count 2
		.amdhsa_user_sgpr_dispatch_ptr 0
		.amdhsa_user_sgpr_queue_ptr 0
		.amdhsa_user_sgpr_kernarg_segment_ptr 1
		.amdhsa_user_sgpr_dispatch_id 0
		.amdhsa_user_sgpr_kernarg_preload_length 0
		.amdhsa_user_sgpr_kernarg_preload_offset 0
		.amdhsa_user_sgpr_private_segment_size 0
		.amdhsa_uses_dynamic_stack 0
		.amdhsa_enable_private_segment 0
		.amdhsa_system_sgpr_workgroup_id_x 1
		.amdhsa_system_sgpr_workgroup_id_y 0
		.amdhsa_system_sgpr_workgroup_id_z 0
		.amdhsa_system_sgpr_workgroup_info 0
		.amdhsa_system_vgpr_workitem_id 0
		.amdhsa_next_free_vgpr 1
		.amdhsa_next_free_sgpr 0
		.amdhsa_accum_offset 4
		.amdhsa_reserve_vcc 0
		.amdhsa_float_round_mode_32 0
		.amdhsa_float_round_mode_16_64 0
		.amdhsa_float_denorm_mode_32 3
		.amdhsa_float_denorm_mode_16_64 3
		.amdhsa_dx10_clamp 1
		.amdhsa_ieee_mode 1
		.amdhsa_fp16_overflow 0
		.amdhsa_tg_split 0
		.amdhsa_exception_fp_ieee_invalid_op 0
		.amdhsa_exception_fp_denorm_src 0
		.amdhsa_exception_fp_ieee_div_zero 0
		.amdhsa_exception_fp_ieee_overflow 0
		.amdhsa_exception_fp_ieee_underflow 0
		.amdhsa_exception_fp_ieee_inexact 0
		.amdhsa_exception_int_div_zero 0
	.end_amdhsa_kernel
	.section	.text._ZN7rocprim17ROCPRIM_400000_NS6detail17trampoline_kernelINS0_14default_configENS1_27scan_by_key_config_selectorIixEEZZNS1_16scan_by_key_implILNS1_25lookback_scan_determinismE0ELb0ES3_N6thrust23THRUST_200600_302600_NS6detail15normal_iteratorINS9_10device_ptrIiEEEENSB_INSC_IxEEEESG_xNS9_4plusIvEENS9_8equal_toIvEExEE10hipError_tPvRmT2_T3_T4_T5_mT6_T7_P12ihipStream_tbENKUlT_T0_E_clISt17integral_constantIbLb0EES11_EEDaSW_SX_EUlSW_E_NS1_11comp_targetILNS1_3genE9ELNS1_11target_archE1100ELNS1_3gpuE3ELNS1_3repE0EEENS1_30default_config_static_selectorELNS0_4arch9wavefront6targetE1EEEvT1_,"axG",@progbits,_ZN7rocprim17ROCPRIM_400000_NS6detail17trampoline_kernelINS0_14default_configENS1_27scan_by_key_config_selectorIixEEZZNS1_16scan_by_key_implILNS1_25lookback_scan_determinismE0ELb0ES3_N6thrust23THRUST_200600_302600_NS6detail15normal_iteratorINS9_10device_ptrIiEEEENSB_INSC_IxEEEESG_xNS9_4plusIvEENS9_8equal_toIvEExEE10hipError_tPvRmT2_T3_T4_T5_mT6_T7_P12ihipStream_tbENKUlT_T0_E_clISt17integral_constantIbLb0EES11_EEDaSW_SX_EUlSW_E_NS1_11comp_targetILNS1_3genE9ELNS1_11target_archE1100ELNS1_3gpuE3ELNS1_3repE0EEENS1_30default_config_static_selectorELNS0_4arch9wavefront6targetE1EEEvT1_,comdat
.Lfunc_end1318:
	.size	_ZN7rocprim17ROCPRIM_400000_NS6detail17trampoline_kernelINS0_14default_configENS1_27scan_by_key_config_selectorIixEEZZNS1_16scan_by_key_implILNS1_25lookback_scan_determinismE0ELb0ES3_N6thrust23THRUST_200600_302600_NS6detail15normal_iteratorINS9_10device_ptrIiEEEENSB_INSC_IxEEEESG_xNS9_4plusIvEENS9_8equal_toIvEExEE10hipError_tPvRmT2_T3_T4_T5_mT6_T7_P12ihipStream_tbENKUlT_T0_E_clISt17integral_constantIbLb0EES11_EEDaSW_SX_EUlSW_E_NS1_11comp_targetILNS1_3genE9ELNS1_11target_archE1100ELNS1_3gpuE3ELNS1_3repE0EEENS1_30default_config_static_selectorELNS0_4arch9wavefront6targetE1EEEvT1_, .Lfunc_end1318-_ZN7rocprim17ROCPRIM_400000_NS6detail17trampoline_kernelINS0_14default_configENS1_27scan_by_key_config_selectorIixEEZZNS1_16scan_by_key_implILNS1_25lookback_scan_determinismE0ELb0ES3_N6thrust23THRUST_200600_302600_NS6detail15normal_iteratorINS9_10device_ptrIiEEEENSB_INSC_IxEEEESG_xNS9_4plusIvEENS9_8equal_toIvEExEE10hipError_tPvRmT2_T3_T4_T5_mT6_T7_P12ihipStream_tbENKUlT_T0_E_clISt17integral_constantIbLb0EES11_EEDaSW_SX_EUlSW_E_NS1_11comp_targetILNS1_3genE9ELNS1_11target_archE1100ELNS1_3gpuE3ELNS1_3repE0EEENS1_30default_config_static_selectorELNS0_4arch9wavefront6targetE1EEEvT1_
                                        ; -- End function
	.section	.AMDGPU.csdata,"",@progbits
; Kernel info:
; codeLenInByte = 0
; NumSgprs: 6
; NumVgprs: 0
; NumAgprs: 0
; TotalNumVgprs: 0
; ScratchSize: 0
; MemoryBound: 0
; FloatMode: 240
; IeeeMode: 1
; LDSByteSize: 0 bytes/workgroup (compile time only)
; SGPRBlocks: 0
; VGPRBlocks: 0
; NumSGPRsForWavesPerEU: 6
; NumVGPRsForWavesPerEU: 1
; AccumOffset: 4
; Occupancy: 8
; WaveLimiterHint : 0
; COMPUTE_PGM_RSRC2:SCRATCH_EN: 0
; COMPUTE_PGM_RSRC2:USER_SGPR: 2
; COMPUTE_PGM_RSRC2:TRAP_HANDLER: 0
; COMPUTE_PGM_RSRC2:TGID_X_EN: 1
; COMPUTE_PGM_RSRC2:TGID_Y_EN: 0
; COMPUTE_PGM_RSRC2:TGID_Z_EN: 0
; COMPUTE_PGM_RSRC2:TIDIG_COMP_CNT: 0
; COMPUTE_PGM_RSRC3_GFX90A:ACCUM_OFFSET: 0
; COMPUTE_PGM_RSRC3_GFX90A:TG_SPLIT: 0
	.section	.text._ZN7rocprim17ROCPRIM_400000_NS6detail17trampoline_kernelINS0_14default_configENS1_27scan_by_key_config_selectorIixEEZZNS1_16scan_by_key_implILNS1_25lookback_scan_determinismE0ELb0ES3_N6thrust23THRUST_200600_302600_NS6detail15normal_iteratorINS9_10device_ptrIiEEEENSB_INSC_IxEEEESG_xNS9_4plusIvEENS9_8equal_toIvEExEE10hipError_tPvRmT2_T3_T4_T5_mT6_T7_P12ihipStream_tbENKUlT_T0_E_clISt17integral_constantIbLb0EES11_EEDaSW_SX_EUlSW_E_NS1_11comp_targetILNS1_3genE8ELNS1_11target_archE1030ELNS1_3gpuE2ELNS1_3repE0EEENS1_30default_config_static_selectorELNS0_4arch9wavefront6targetE1EEEvT1_,"axG",@progbits,_ZN7rocprim17ROCPRIM_400000_NS6detail17trampoline_kernelINS0_14default_configENS1_27scan_by_key_config_selectorIixEEZZNS1_16scan_by_key_implILNS1_25lookback_scan_determinismE0ELb0ES3_N6thrust23THRUST_200600_302600_NS6detail15normal_iteratorINS9_10device_ptrIiEEEENSB_INSC_IxEEEESG_xNS9_4plusIvEENS9_8equal_toIvEExEE10hipError_tPvRmT2_T3_T4_T5_mT6_T7_P12ihipStream_tbENKUlT_T0_E_clISt17integral_constantIbLb0EES11_EEDaSW_SX_EUlSW_E_NS1_11comp_targetILNS1_3genE8ELNS1_11target_archE1030ELNS1_3gpuE2ELNS1_3repE0EEENS1_30default_config_static_selectorELNS0_4arch9wavefront6targetE1EEEvT1_,comdat
	.protected	_ZN7rocprim17ROCPRIM_400000_NS6detail17trampoline_kernelINS0_14default_configENS1_27scan_by_key_config_selectorIixEEZZNS1_16scan_by_key_implILNS1_25lookback_scan_determinismE0ELb0ES3_N6thrust23THRUST_200600_302600_NS6detail15normal_iteratorINS9_10device_ptrIiEEEENSB_INSC_IxEEEESG_xNS9_4plusIvEENS9_8equal_toIvEExEE10hipError_tPvRmT2_T3_T4_T5_mT6_T7_P12ihipStream_tbENKUlT_T0_E_clISt17integral_constantIbLb0EES11_EEDaSW_SX_EUlSW_E_NS1_11comp_targetILNS1_3genE8ELNS1_11target_archE1030ELNS1_3gpuE2ELNS1_3repE0EEENS1_30default_config_static_selectorELNS0_4arch9wavefront6targetE1EEEvT1_ ; -- Begin function _ZN7rocprim17ROCPRIM_400000_NS6detail17trampoline_kernelINS0_14default_configENS1_27scan_by_key_config_selectorIixEEZZNS1_16scan_by_key_implILNS1_25lookback_scan_determinismE0ELb0ES3_N6thrust23THRUST_200600_302600_NS6detail15normal_iteratorINS9_10device_ptrIiEEEENSB_INSC_IxEEEESG_xNS9_4plusIvEENS9_8equal_toIvEExEE10hipError_tPvRmT2_T3_T4_T5_mT6_T7_P12ihipStream_tbENKUlT_T0_E_clISt17integral_constantIbLb0EES11_EEDaSW_SX_EUlSW_E_NS1_11comp_targetILNS1_3genE8ELNS1_11target_archE1030ELNS1_3gpuE2ELNS1_3repE0EEENS1_30default_config_static_selectorELNS0_4arch9wavefront6targetE1EEEvT1_
	.globl	_ZN7rocprim17ROCPRIM_400000_NS6detail17trampoline_kernelINS0_14default_configENS1_27scan_by_key_config_selectorIixEEZZNS1_16scan_by_key_implILNS1_25lookback_scan_determinismE0ELb0ES3_N6thrust23THRUST_200600_302600_NS6detail15normal_iteratorINS9_10device_ptrIiEEEENSB_INSC_IxEEEESG_xNS9_4plusIvEENS9_8equal_toIvEExEE10hipError_tPvRmT2_T3_T4_T5_mT6_T7_P12ihipStream_tbENKUlT_T0_E_clISt17integral_constantIbLb0EES11_EEDaSW_SX_EUlSW_E_NS1_11comp_targetILNS1_3genE8ELNS1_11target_archE1030ELNS1_3gpuE2ELNS1_3repE0EEENS1_30default_config_static_selectorELNS0_4arch9wavefront6targetE1EEEvT1_
	.p2align	8
	.type	_ZN7rocprim17ROCPRIM_400000_NS6detail17trampoline_kernelINS0_14default_configENS1_27scan_by_key_config_selectorIixEEZZNS1_16scan_by_key_implILNS1_25lookback_scan_determinismE0ELb0ES3_N6thrust23THRUST_200600_302600_NS6detail15normal_iteratorINS9_10device_ptrIiEEEENSB_INSC_IxEEEESG_xNS9_4plusIvEENS9_8equal_toIvEExEE10hipError_tPvRmT2_T3_T4_T5_mT6_T7_P12ihipStream_tbENKUlT_T0_E_clISt17integral_constantIbLb0EES11_EEDaSW_SX_EUlSW_E_NS1_11comp_targetILNS1_3genE8ELNS1_11target_archE1030ELNS1_3gpuE2ELNS1_3repE0EEENS1_30default_config_static_selectorELNS0_4arch9wavefront6targetE1EEEvT1_,@function
_ZN7rocprim17ROCPRIM_400000_NS6detail17trampoline_kernelINS0_14default_configENS1_27scan_by_key_config_selectorIixEEZZNS1_16scan_by_key_implILNS1_25lookback_scan_determinismE0ELb0ES3_N6thrust23THRUST_200600_302600_NS6detail15normal_iteratorINS9_10device_ptrIiEEEENSB_INSC_IxEEEESG_xNS9_4plusIvEENS9_8equal_toIvEExEE10hipError_tPvRmT2_T3_T4_T5_mT6_T7_P12ihipStream_tbENKUlT_T0_E_clISt17integral_constantIbLb0EES11_EEDaSW_SX_EUlSW_E_NS1_11comp_targetILNS1_3genE8ELNS1_11target_archE1030ELNS1_3gpuE2ELNS1_3repE0EEENS1_30default_config_static_selectorELNS0_4arch9wavefront6targetE1EEEvT1_: ; @_ZN7rocprim17ROCPRIM_400000_NS6detail17trampoline_kernelINS0_14default_configENS1_27scan_by_key_config_selectorIixEEZZNS1_16scan_by_key_implILNS1_25lookback_scan_determinismE0ELb0ES3_N6thrust23THRUST_200600_302600_NS6detail15normal_iteratorINS9_10device_ptrIiEEEENSB_INSC_IxEEEESG_xNS9_4plusIvEENS9_8equal_toIvEExEE10hipError_tPvRmT2_T3_T4_T5_mT6_T7_P12ihipStream_tbENKUlT_T0_E_clISt17integral_constantIbLb0EES11_EEDaSW_SX_EUlSW_E_NS1_11comp_targetILNS1_3genE8ELNS1_11target_archE1030ELNS1_3gpuE2ELNS1_3repE0EEENS1_30default_config_static_selectorELNS0_4arch9wavefront6targetE1EEEvT1_
; %bb.0:
	.section	.rodata,"a",@progbits
	.p2align	6, 0x0
	.amdhsa_kernel _ZN7rocprim17ROCPRIM_400000_NS6detail17trampoline_kernelINS0_14default_configENS1_27scan_by_key_config_selectorIixEEZZNS1_16scan_by_key_implILNS1_25lookback_scan_determinismE0ELb0ES3_N6thrust23THRUST_200600_302600_NS6detail15normal_iteratorINS9_10device_ptrIiEEEENSB_INSC_IxEEEESG_xNS9_4plusIvEENS9_8equal_toIvEExEE10hipError_tPvRmT2_T3_T4_T5_mT6_T7_P12ihipStream_tbENKUlT_T0_E_clISt17integral_constantIbLb0EES11_EEDaSW_SX_EUlSW_E_NS1_11comp_targetILNS1_3genE8ELNS1_11target_archE1030ELNS1_3gpuE2ELNS1_3repE0EEENS1_30default_config_static_selectorELNS0_4arch9wavefront6targetE1EEEvT1_
		.amdhsa_group_segment_fixed_size 0
		.amdhsa_private_segment_fixed_size 0
		.amdhsa_kernarg_size 136
		.amdhsa_user_sgpr_count 2
		.amdhsa_user_sgpr_dispatch_ptr 0
		.amdhsa_user_sgpr_queue_ptr 0
		.amdhsa_user_sgpr_kernarg_segment_ptr 1
		.amdhsa_user_sgpr_dispatch_id 0
		.amdhsa_user_sgpr_kernarg_preload_length 0
		.amdhsa_user_sgpr_kernarg_preload_offset 0
		.amdhsa_user_sgpr_private_segment_size 0
		.amdhsa_uses_dynamic_stack 0
		.amdhsa_enable_private_segment 0
		.amdhsa_system_sgpr_workgroup_id_x 1
		.amdhsa_system_sgpr_workgroup_id_y 0
		.amdhsa_system_sgpr_workgroup_id_z 0
		.amdhsa_system_sgpr_workgroup_info 0
		.amdhsa_system_vgpr_workitem_id 0
		.amdhsa_next_free_vgpr 1
		.amdhsa_next_free_sgpr 0
		.amdhsa_accum_offset 4
		.amdhsa_reserve_vcc 0
		.amdhsa_float_round_mode_32 0
		.amdhsa_float_round_mode_16_64 0
		.amdhsa_float_denorm_mode_32 3
		.amdhsa_float_denorm_mode_16_64 3
		.amdhsa_dx10_clamp 1
		.amdhsa_ieee_mode 1
		.amdhsa_fp16_overflow 0
		.amdhsa_tg_split 0
		.amdhsa_exception_fp_ieee_invalid_op 0
		.amdhsa_exception_fp_denorm_src 0
		.amdhsa_exception_fp_ieee_div_zero 0
		.amdhsa_exception_fp_ieee_overflow 0
		.amdhsa_exception_fp_ieee_underflow 0
		.amdhsa_exception_fp_ieee_inexact 0
		.amdhsa_exception_int_div_zero 0
	.end_amdhsa_kernel
	.section	.text._ZN7rocprim17ROCPRIM_400000_NS6detail17trampoline_kernelINS0_14default_configENS1_27scan_by_key_config_selectorIixEEZZNS1_16scan_by_key_implILNS1_25lookback_scan_determinismE0ELb0ES3_N6thrust23THRUST_200600_302600_NS6detail15normal_iteratorINS9_10device_ptrIiEEEENSB_INSC_IxEEEESG_xNS9_4plusIvEENS9_8equal_toIvEExEE10hipError_tPvRmT2_T3_T4_T5_mT6_T7_P12ihipStream_tbENKUlT_T0_E_clISt17integral_constantIbLb0EES11_EEDaSW_SX_EUlSW_E_NS1_11comp_targetILNS1_3genE8ELNS1_11target_archE1030ELNS1_3gpuE2ELNS1_3repE0EEENS1_30default_config_static_selectorELNS0_4arch9wavefront6targetE1EEEvT1_,"axG",@progbits,_ZN7rocprim17ROCPRIM_400000_NS6detail17trampoline_kernelINS0_14default_configENS1_27scan_by_key_config_selectorIixEEZZNS1_16scan_by_key_implILNS1_25lookback_scan_determinismE0ELb0ES3_N6thrust23THRUST_200600_302600_NS6detail15normal_iteratorINS9_10device_ptrIiEEEENSB_INSC_IxEEEESG_xNS9_4plusIvEENS9_8equal_toIvEExEE10hipError_tPvRmT2_T3_T4_T5_mT6_T7_P12ihipStream_tbENKUlT_T0_E_clISt17integral_constantIbLb0EES11_EEDaSW_SX_EUlSW_E_NS1_11comp_targetILNS1_3genE8ELNS1_11target_archE1030ELNS1_3gpuE2ELNS1_3repE0EEENS1_30default_config_static_selectorELNS0_4arch9wavefront6targetE1EEEvT1_,comdat
.Lfunc_end1319:
	.size	_ZN7rocprim17ROCPRIM_400000_NS6detail17trampoline_kernelINS0_14default_configENS1_27scan_by_key_config_selectorIixEEZZNS1_16scan_by_key_implILNS1_25lookback_scan_determinismE0ELb0ES3_N6thrust23THRUST_200600_302600_NS6detail15normal_iteratorINS9_10device_ptrIiEEEENSB_INSC_IxEEEESG_xNS9_4plusIvEENS9_8equal_toIvEExEE10hipError_tPvRmT2_T3_T4_T5_mT6_T7_P12ihipStream_tbENKUlT_T0_E_clISt17integral_constantIbLb0EES11_EEDaSW_SX_EUlSW_E_NS1_11comp_targetILNS1_3genE8ELNS1_11target_archE1030ELNS1_3gpuE2ELNS1_3repE0EEENS1_30default_config_static_selectorELNS0_4arch9wavefront6targetE1EEEvT1_, .Lfunc_end1319-_ZN7rocprim17ROCPRIM_400000_NS6detail17trampoline_kernelINS0_14default_configENS1_27scan_by_key_config_selectorIixEEZZNS1_16scan_by_key_implILNS1_25lookback_scan_determinismE0ELb0ES3_N6thrust23THRUST_200600_302600_NS6detail15normal_iteratorINS9_10device_ptrIiEEEENSB_INSC_IxEEEESG_xNS9_4plusIvEENS9_8equal_toIvEExEE10hipError_tPvRmT2_T3_T4_T5_mT6_T7_P12ihipStream_tbENKUlT_T0_E_clISt17integral_constantIbLb0EES11_EEDaSW_SX_EUlSW_E_NS1_11comp_targetILNS1_3genE8ELNS1_11target_archE1030ELNS1_3gpuE2ELNS1_3repE0EEENS1_30default_config_static_selectorELNS0_4arch9wavefront6targetE1EEEvT1_
                                        ; -- End function
	.section	.AMDGPU.csdata,"",@progbits
; Kernel info:
; codeLenInByte = 0
; NumSgprs: 6
; NumVgprs: 0
; NumAgprs: 0
; TotalNumVgprs: 0
; ScratchSize: 0
; MemoryBound: 0
; FloatMode: 240
; IeeeMode: 1
; LDSByteSize: 0 bytes/workgroup (compile time only)
; SGPRBlocks: 0
; VGPRBlocks: 0
; NumSGPRsForWavesPerEU: 6
; NumVGPRsForWavesPerEU: 1
; AccumOffset: 4
; Occupancy: 8
; WaveLimiterHint : 0
; COMPUTE_PGM_RSRC2:SCRATCH_EN: 0
; COMPUTE_PGM_RSRC2:USER_SGPR: 2
; COMPUTE_PGM_RSRC2:TRAP_HANDLER: 0
; COMPUTE_PGM_RSRC2:TGID_X_EN: 1
; COMPUTE_PGM_RSRC2:TGID_Y_EN: 0
; COMPUTE_PGM_RSRC2:TGID_Z_EN: 0
; COMPUTE_PGM_RSRC2:TIDIG_COMP_CNT: 0
; COMPUTE_PGM_RSRC3_GFX90A:ACCUM_OFFSET: 0
; COMPUTE_PGM_RSRC3_GFX90A:TG_SPLIT: 0
	.section	.text._ZN7rocprim17ROCPRIM_400000_NS6detail30init_device_scan_by_key_kernelINS1_19lookback_scan_stateINS0_5tupleIJxbEEELb1ELb0EEEN6thrust23THRUST_200600_302600_NS6detail15normal_iteratorINS8_10device_ptrIiEEEEjNS1_16block_id_wrapperIjLb1EEEEEvT_jjPNSG_10value_typeET0_PNSt15iterator_traitsISJ_E10value_typeEmT1_T2_,"axG",@progbits,_ZN7rocprim17ROCPRIM_400000_NS6detail30init_device_scan_by_key_kernelINS1_19lookback_scan_stateINS0_5tupleIJxbEEELb1ELb0EEEN6thrust23THRUST_200600_302600_NS6detail15normal_iteratorINS8_10device_ptrIiEEEEjNS1_16block_id_wrapperIjLb1EEEEEvT_jjPNSG_10value_typeET0_PNSt15iterator_traitsISJ_E10value_typeEmT1_T2_,comdat
	.protected	_ZN7rocprim17ROCPRIM_400000_NS6detail30init_device_scan_by_key_kernelINS1_19lookback_scan_stateINS0_5tupleIJxbEEELb1ELb0EEEN6thrust23THRUST_200600_302600_NS6detail15normal_iteratorINS8_10device_ptrIiEEEEjNS1_16block_id_wrapperIjLb1EEEEEvT_jjPNSG_10value_typeET0_PNSt15iterator_traitsISJ_E10value_typeEmT1_T2_ ; -- Begin function _ZN7rocprim17ROCPRIM_400000_NS6detail30init_device_scan_by_key_kernelINS1_19lookback_scan_stateINS0_5tupleIJxbEEELb1ELb0EEEN6thrust23THRUST_200600_302600_NS6detail15normal_iteratorINS8_10device_ptrIiEEEEjNS1_16block_id_wrapperIjLb1EEEEEvT_jjPNSG_10value_typeET0_PNSt15iterator_traitsISJ_E10value_typeEmT1_T2_
	.globl	_ZN7rocprim17ROCPRIM_400000_NS6detail30init_device_scan_by_key_kernelINS1_19lookback_scan_stateINS0_5tupleIJxbEEELb1ELb0EEEN6thrust23THRUST_200600_302600_NS6detail15normal_iteratorINS8_10device_ptrIiEEEEjNS1_16block_id_wrapperIjLb1EEEEEvT_jjPNSG_10value_typeET0_PNSt15iterator_traitsISJ_E10value_typeEmT1_T2_
	.p2align	8
	.type	_ZN7rocprim17ROCPRIM_400000_NS6detail30init_device_scan_by_key_kernelINS1_19lookback_scan_stateINS0_5tupleIJxbEEELb1ELb0EEEN6thrust23THRUST_200600_302600_NS6detail15normal_iteratorINS8_10device_ptrIiEEEEjNS1_16block_id_wrapperIjLb1EEEEEvT_jjPNSG_10value_typeET0_PNSt15iterator_traitsISJ_E10value_typeEmT1_T2_,@function
_ZN7rocprim17ROCPRIM_400000_NS6detail30init_device_scan_by_key_kernelINS1_19lookback_scan_stateINS0_5tupleIJxbEEELb1ELb0EEEN6thrust23THRUST_200600_302600_NS6detail15normal_iteratorINS8_10device_ptrIiEEEEjNS1_16block_id_wrapperIjLb1EEEEEvT_jjPNSG_10value_typeET0_PNSt15iterator_traitsISJ_E10value_typeEmT1_T2_: ; @_ZN7rocprim17ROCPRIM_400000_NS6detail30init_device_scan_by_key_kernelINS1_19lookback_scan_stateINS0_5tupleIJxbEEELb1ELb0EEEN6thrust23THRUST_200600_302600_NS6detail15normal_iteratorINS8_10device_ptrIiEEEEjNS1_16block_id_wrapperIjLb1EEEEEvT_jjPNSG_10value_typeET0_PNSt15iterator_traitsISJ_E10value_typeEmT1_T2_
; %bb.0:
	s_load_dword s3, s[0:1], 0x5c
	s_load_dwordx8 s[4:11], s[0:1], 0x10
	s_load_dword s20, s[0:1], 0x50
	s_waitcnt lgkmcnt(0)
	s_and_b32 s21, s3, 0xffff
	s_mul_i32 s2, s2, s21
	s_cmp_eq_u64 s[8:9], 0
	v_add_u32_e32 v0, s2, v0
	s_cbranch_scc1 .LBB1320_11
; %bb.1:
	s_cmp_lt_u32 s7, s6
	s_cselect_b32 s2, s7, 0
	s_mov_b32 s17, 0
	v_cmp_eq_u32_e32 vcc, s2, v0
	s_and_saveexec_b64 s[2:3], vcc
	s_cbranch_execz .LBB1320_10
; %bb.2:
	s_add_i32 s16, s7, 64
	v_mov_b32_e32 v1, s16
	global_load_ubyte v1, v1, s[4:5] sc1
	s_load_dwordx4 s[12:15], s[0:1], 0x0
	s_add_u32 s18, s4, s16
	s_addc_u32 s19, s5, 0
	s_waitcnt vmcnt(0)
	v_cmp_ne_u16_e32 vcc, 0, v1
	v_readfirstlane_b32 s7, v1
	s_cbranch_vccz .LBB1320_4
; %bb.3:
	s_and_b32 s7, 0xffff, s7
	s_branch .LBB1320_9
.LBB1320_4:
	s_mov_b32 s7, 1
	v_mov_b32_e32 v1, 0
.LBB1320_5:                             ; =>This Loop Header: Depth=1
                                        ;     Child Loop BB1320_6 Depth 2
	s_max_u32 s22, s7, 1
.LBB1320_6:                             ;   Parent Loop BB1320_5 Depth=1
                                        ; =>  This Inner Loop Header: Depth=2
	s_add_i32 s22, s22, -1
	s_cmp_eq_u32 s22, 0
	s_sleep 1
	s_cbranch_scc0 .LBB1320_6
; %bb.7:                                ;   in Loop: Header=BB1320_5 Depth=1
	global_load_ubyte v2, v1, s[18:19] sc1
	s_cmp_lt_u32 s7, 32
	s_cselect_b64 s[22:23], -1, 0
	s_cmp_lg_u64 s[22:23], 0
	s_addc_u32 s7, s7, 0
	s_waitcnt vmcnt(0)
	v_cmp_ne_u16_e32 vcc, 0, v2
	v_readfirstlane_b32 s22, v2
	s_cbranch_vccz .LBB1320_5
; %bb.8:
	s_and_b32 s7, 0xffff, s22
.LBB1320_9:
	s_cmp_eq_u32 s7, 1
	s_waitcnt lgkmcnt(0)
	s_cselect_b32 s7, s13, s15
	s_cselect_b32 s14, s12, s14
	s_lshl_b64 s[12:13], s[16:17], 4
	s_add_u32 s12, s14, s12
	s_addc_u32 s13, s7, s13
	v_mov_b32_e32 v1, 0
	s_waitcnt vmcnt(0)
	global_load_dword v2, v1, s[12:13] sc1
	global_load_dword v3, v1, s[12:13] offset:4 sc1
	global_load_dword v4, v1, s[12:13] offset:8 sc1
	;; [unrolled: 1-line block ×3, first 2 shown]
	s_waitcnt vmcnt(2)
	global_store_dwordx2 v1, v[2:3], s[8:9]
	s_waitcnt vmcnt(2)
	global_store_byte v1, v4, s[8:9] offset:8
.LBB1320_10:
	s_or_b64 exec, exec, s[2:3]
.LBB1320_11:
	v_cmp_eq_u32_e32 vcc, 0, v0
	s_and_saveexec_b64 s[2:3], vcc
	s_cbranch_execz .LBB1320_13
; %bb.12:
	s_load_dwordx2 s[8:9], s[0:1], 0x48
	v_mov_b32_e32 v1, 0
	s_waitcnt lgkmcnt(0)
	global_store_dword v1, v1, s[8:9]
.LBB1320_13:
	s_or_b64 exec, exec, s[2:3]
	v_cmp_gt_u32_e32 vcc, s6, v0
	s_and_saveexec_b64 s[2:3], vcc
	s_cbranch_execz .LBB1320_15
; %bb.14:
	v_add_u32_e32 v1, 64, v0
	v_mov_b32_e32 v2, 0
	global_store_byte v1, v2, s[4:5]
.LBB1320_15:
	s_or_b64 exec, exec, s[2:3]
	v_cmp_gt_u32_e32 vcc, 64, v0
	v_mov_b32_e32 v1, 0
	s_and_saveexec_b64 s[2:3], vcc
	s_cbranch_execz .LBB1320_17
; %bb.16:
	v_lshl_add_u64 v[2:3], s[4:5], 0, v[0:1]
	v_mov_b32_e32 v4, 0xff
	global_store_byte v[2:3], v4, off
.LBB1320_17:
	s_or_b64 exec, exec, s[2:3]
	s_load_dwordx2 s[2:3], s[0:1], 0x38
	s_waitcnt lgkmcnt(0)
	v_cmp_gt_u64_e32 vcc, s[2:3], v[0:1]
	s_and_saveexec_b64 s[4:5], vcc
	s_cbranch_execz .LBB1320_20
; %bb.18:
	s_load_dword s12, s[0:1], 0x40
	s_load_dwordx2 s[6:7], s[0:1], 0x30
	s_mov_b32 s5, 0
	s_mov_b32 s1, s5
	s_mul_i32 s0, s20, s21
	s_waitcnt lgkmcnt(0)
	s_add_i32 s4, s12, -1
	s_lshl_b64 s[4:5], s[4:5], 2
	s_add_u32 s4, s10, s4
	v_mad_u64_u32 v[2:3], s[8:9], s12, v0, 0
	s_addc_u32 s5, s11, s5
	v_lshl_add_u64 v[2:3], v[2:3], 2, s[4:5]
	s_mul_hi_u32 s5, s12, s0
	s_mul_i32 s4, s12, s0
	s_lshl_b64 s[4:5], s[4:5], 2
	s_waitcnt vmcnt(2)
	v_lshl_add_u64 v[4:5], v[0:1], 2, s[6:7]
	s_lshl_b64 s[6:7], s[0:1], 2
	s_mov_b64 s[8:9], 0
.LBB1320_19:                            ; =>This Inner Loop Header: Depth=1
	global_load_dword v6, v[2:3], off
	v_lshl_add_u64 v[0:1], v[0:1], 0, s[0:1]
	v_cmp_le_u64_e32 vcc, s[2:3], v[0:1]
	v_lshl_add_u64 v[2:3], v[2:3], 0, s[4:5]
	s_or_b64 s[8:9], vcc, s[8:9]
	s_waitcnt vmcnt(0)
	global_store_dword v[4:5], v6, off
	v_lshl_add_u64 v[4:5], v[4:5], 0, s[6:7]
	s_andn2_b64 exec, exec, s[8:9]
	s_cbranch_execnz .LBB1320_19
.LBB1320_20:
	s_endpgm
	.section	.rodata,"a",@progbits
	.p2align	6, 0x0
	.amdhsa_kernel _ZN7rocprim17ROCPRIM_400000_NS6detail30init_device_scan_by_key_kernelINS1_19lookback_scan_stateINS0_5tupleIJxbEEELb1ELb0EEEN6thrust23THRUST_200600_302600_NS6detail15normal_iteratorINS8_10device_ptrIiEEEEjNS1_16block_id_wrapperIjLb1EEEEEvT_jjPNSG_10value_typeET0_PNSt15iterator_traitsISJ_E10value_typeEmT1_T2_
		.amdhsa_group_segment_fixed_size 0
		.amdhsa_private_segment_fixed_size 0
		.amdhsa_kernarg_size 336
		.amdhsa_user_sgpr_count 2
		.amdhsa_user_sgpr_dispatch_ptr 0
		.amdhsa_user_sgpr_queue_ptr 0
		.amdhsa_user_sgpr_kernarg_segment_ptr 1
		.amdhsa_user_sgpr_dispatch_id 0
		.amdhsa_user_sgpr_kernarg_preload_length 0
		.amdhsa_user_sgpr_kernarg_preload_offset 0
		.amdhsa_user_sgpr_private_segment_size 0
		.amdhsa_uses_dynamic_stack 0
		.amdhsa_enable_private_segment 0
		.amdhsa_system_sgpr_workgroup_id_x 1
		.amdhsa_system_sgpr_workgroup_id_y 0
		.amdhsa_system_sgpr_workgroup_id_z 0
		.amdhsa_system_sgpr_workgroup_info 0
		.amdhsa_system_vgpr_workitem_id 0
		.amdhsa_next_free_vgpr 7
		.amdhsa_next_free_sgpr 24
		.amdhsa_accum_offset 8
		.amdhsa_reserve_vcc 1
		.amdhsa_float_round_mode_32 0
		.amdhsa_float_round_mode_16_64 0
		.amdhsa_float_denorm_mode_32 3
		.amdhsa_float_denorm_mode_16_64 3
		.amdhsa_dx10_clamp 1
		.amdhsa_ieee_mode 1
		.amdhsa_fp16_overflow 0
		.amdhsa_tg_split 0
		.amdhsa_exception_fp_ieee_invalid_op 0
		.amdhsa_exception_fp_denorm_src 0
		.amdhsa_exception_fp_ieee_div_zero 0
		.amdhsa_exception_fp_ieee_overflow 0
		.amdhsa_exception_fp_ieee_underflow 0
		.amdhsa_exception_fp_ieee_inexact 0
		.amdhsa_exception_int_div_zero 0
	.end_amdhsa_kernel
	.section	.text._ZN7rocprim17ROCPRIM_400000_NS6detail30init_device_scan_by_key_kernelINS1_19lookback_scan_stateINS0_5tupleIJxbEEELb1ELb0EEEN6thrust23THRUST_200600_302600_NS6detail15normal_iteratorINS8_10device_ptrIiEEEEjNS1_16block_id_wrapperIjLb1EEEEEvT_jjPNSG_10value_typeET0_PNSt15iterator_traitsISJ_E10value_typeEmT1_T2_,"axG",@progbits,_ZN7rocprim17ROCPRIM_400000_NS6detail30init_device_scan_by_key_kernelINS1_19lookback_scan_stateINS0_5tupleIJxbEEELb1ELb0EEEN6thrust23THRUST_200600_302600_NS6detail15normal_iteratorINS8_10device_ptrIiEEEEjNS1_16block_id_wrapperIjLb1EEEEEvT_jjPNSG_10value_typeET0_PNSt15iterator_traitsISJ_E10value_typeEmT1_T2_,comdat
.Lfunc_end1320:
	.size	_ZN7rocprim17ROCPRIM_400000_NS6detail30init_device_scan_by_key_kernelINS1_19lookback_scan_stateINS0_5tupleIJxbEEELb1ELb0EEEN6thrust23THRUST_200600_302600_NS6detail15normal_iteratorINS8_10device_ptrIiEEEEjNS1_16block_id_wrapperIjLb1EEEEEvT_jjPNSG_10value_typeET0_PNSt15iterator_traitsISJ_E10value_typeEmT1_T2_, .Lfunc_end1320-_ZN7rocprim17ROCPRIM_400000_NS6detail30init_device_scan_by_key_kernelINS1_19lookback_scan_stateINS0_5tupleIJxbEEELb1ELb0EEEN6thrust23THRUST_200600_302600_NS6detail15normal_iteratorINS8_10device_ptrIiEEEEjNS1_16block_id_wrapperIjLb1EEEEEvT_jjPNSG_10value_typeET0_PNSt15iterator_traitsISJ_E10value_typeEmT1_T2_
                                        ; -- End function
	.section	.AMDGPU.csdata,"",@progbits
; Kernel info:
; codeLenInByte = 608
; NumSgprs: 30
; NumVgprs: 7
; NumAgprs: 0
; TotalNumVgprs: 7
; ScratchSize: 0
; MemoryBound: 0
; FloatMode: 240
; IeeeMode: 1
; LDSByteSize: 0 bytes/workgroup (compile time only)
; SGPRBlocks: 3
; VGPRBlocks: 0
; NumSGPRsForWavesPerEU: 30
; NumVGPRsForWavesPerEU: 7
; AccumOffset: 8
; Occupancy: 8
; WaveLimiterHint : 0
; COMPUTE_PGM_RSRC2:SCRATCH_EN: 0
; COMPUTE_PGM_RSRC2:USER_SGPR: 2
; COMPUTE_PGM_RSRC2:TRAP_HANDLER: 0
; COMPUTE_PGM_RSRC2:TGID_X_EN: 1
; COMPUTE_PGM_RSRC2:TGID_Y_EN: 0
; COMPUTE_PGM_RSRC2:TGID_Z_EN: 0
; COMPUTE_PGM_RSRC2:TIDIG_COMP_CNT: 0
; COMPUTE_PGM_RSRC3_GFX90A:ACCUM_OFFSET: 1
; COMPUTE_PGM_RSRC3_GFX90A:TG_SPLIT: 0
	.section	.text._ZN7rocprim17ROCPRIM_400000_NS6detail17trampoline_kernelINS0_14default_configENS1_27scan_by_key_config_selectorIixEEZZNS1_16scan_by_key_implILNS1_25lookback_scan_determinismE0ELb0ES3_N6thrust23THRUST_200600_302600_NS6detail15normal_iteratorINS9_10device_ptrIiEEEENSB_INSC_IxEEEESG_xNS9_4plusIvEENS9_8equal_toIvEExEE10hipError_tPvRmT2_T3_T4_T5_mT6_T7_P12ihipStream_tbENKUlT_T0_E_clISt17integral_constantIbLb1EES11_EEDaSW_SX_EUlSW_E_NS1_11comp_targetILNS1_3genE0ELNS1_11target_archE4294967295ELNS1_3gpuE0ELNS1_3repE0EEENS1_30default_config_static_selectorELNS0_4arch9wavefront6targetE1EEEvT1_,"axG",@progbits,_ZN7rocprim17ROCPRIM_400000_NS6detail17trampoline_kernelINS0_14default_configENS1_27scan_by_key_config_selectorIixEEZZNS1_16scan_by_key_implILNS1_25lookback_scan_determinismE0ELb0ES3_N6thrust23THRUST_200600_302600_NS6detail15normal_iteratorINS9_10device_ptrIiEEEENSB_INSC_IxEEEESG_xNS9_4plusIvEENS9_8equal_toIvEExEE10hipError_tPvRmT2_T3_T4_T5_mT6_T7_P12ihipStream_tbENKUlT_T0_E_clISt17integral_constantIbLb1EES11_EEDaSW_SX_EUlSW_E_NS1_11comp_targetILNS1_3genE0ELNS1_11target_archE4294967295ELNS1_3gpuE0ELNS1_3repE0EEENS1_30default_config_static_selectorELNS0_4arch9wavefront6targetE1EEEvT1_,comdat
	.protected	_ZN7rocprim17ROCPRIM_400000_NS6detail17trampoline_kernelINS0_14default_configENS1_27scan_by_key_config_selectorIixEEZZNS1_16scan_by_key_implILNS1_25lookback_scan_determinismE0ELb0ES3_N6thrust23THRUST_200600_302600_NS6detail15normal_iteratorINS9_10device_ptrIiEEEENSB_INSC_IxEEEESG_xNS9_4plusIvEENS9_8equal_toIvEExEE10hipError_tPvRmT2_T3_T4_T5_mT6_T7_P12ihipStream_tbENKUlT_T0_E_clISt17integral_constantIbLb1EES11_EEDaSW_SX_EUlSW_E_NS1_11comp_targetILNS1_3genE0ELNS1_11target_archE4294967295ELNS1_3gpuE0ELNS1_3repE0EEENS1_30default_config_static_selectorELNS0_4arch9wavefront6targetE1EEEvT1_ ; -- Begin function _ZN7rocprim17ROCPRIM_400000_NS6detail17trampoline_kernelINS0_14default_configENS1_27scan_by_key_config_selectorIixEEZZNS1_16scan_by_key_implILNS1_25lookback_scan_determinismE0ELb0ES3_N6thrust23THRUST_200600_302600_NS6detail15normal_iteratorINS9_10device_ptrIiEEEENSB_INSC_IxEEEESG_xNS9_4plusIvEENS9_8equal_toIvEExEE10hipError_tPvRmT2_T3_T4_T5_mT6_T7_P12ihipStream_tbENKUlT_T0_E_clISt17integral_constantIbLb1EES11_EEDaSW_SX_EUlSW_E_NS1_11comp_targetILNS1_3genE0ELNS1_11target_archE4294967295ELNS1_3gpuE0ELNS1_3repE0EEENS1_30default_config_static_selectorELNS0_4arch9wavefront6targetE1EEEvT1_
	.globl	_ZN7rocprim17ROCPRIM_400000_NS6detail17trampoline_kernelINS0_14default_configENS1_27scan_by_key_config_selectorIixEEZZNS1_16scan_by_key_implILNS1_25lookback_scan_determinismE0ELb0ES3_N6thrust23THRUST_200600_302600_NS6detail15normal_iteratorINS9_10device_ptrIiEEEENSB_INSC_IxEEEESG_xNS9_4plusIvEENS9_8equal_toIvEExEE10hipError_tPvRmT2_T3_T4_T5_mT6_T7_P12ihipStream_tbENKUlT_T0_E_clISt17integral_constantIbLb1EES11_EEDaSW_SX_EUlSW_E_NS1_11comp_targetILNS1_3genE0ELNS1_11target_archE4294967295ELNS1_3gpuE0ELNS1_3repE0EEENS1_30default_config_static_selectorELNS0_4arch9wavefront6targetE1EEEvT1_
	.p2align	8
	.type	_ZN7rocprim17ROCPRIM_400000_NS6detail17trampoline_kernelINS0_14default_configENS1_27scan_by_key_config_selectorIixEEZZNS1_16scan_by_key_implILNS1_25lookback_scan_determinismE0ELb0ES3_N6thrust23THRUST_200600_302600_NS6detail15normal_iteratorINS9_10device_ptrIiEEEENSB_INSC_IxEEEESG_xNS9_4plusIvEENS9_8equal_toIvEExEE10hipError_tPvRmT2_T3_T4_T5_mT6_T7_P12ihipStream_tbENKUlT_T0_E_clISt17integral_constantIbLb1EES11_EEDaSW_SX_EUlSW_E_NS1_11comp_targetILNS1_3genE0ELNS1_11target_archE4294967295ELNS1_3gpuE0ELNS1_3repE0EEENS1_30default_config_static_selectorELNS0_4arch9wavefront6targetE1EEEvT1_,@function
_ZN7rocprim17ROCPRIM_400000_NS6detail17trampoline_kernelINS0_14default_configENS1_27scan_by_key_config_selectorIixEEZZNS1_16scan_by_key_implILNS1_25lookback_scan_determinismE0ELb0ES3_N6thrust23THRUST_200600_302600_NS6detail15normal_iteratorINS9_10device_ptrIiEEEENSB_INSC_IxEEEESG_xNS9_4plusIvEENS9_8equal_toIvEExEE10hipError_tPvRmT2_T3_T4_T5_mT6_T7_P12ihipStream_tbENKUlT_T0_E_clISt17integral_constantIbLb1EES11_EEDaSW_SX_EUlSW_E_NS1_11comp_targetILNS1_3genE0ELNS1_11target_archE4294967295ELNS1_3gpuE0ELNS1_3repE0EEENS1_30default_config_static_selectorELNS0_4arch9wavefront6targetE1EEEvT1_: ; @_ZN7rocprim17ROCPRIM_400000_NS6detail17trampoline_kernelINS0_14default_configENS1_27scan_by_key_config_selectorIixEEZZNS1_16scan_by_key_implILNS1_25lookback_scan_determinismE0ELb0ES3_N6thrust23THRUST_200600_302600_NS6detail15normal_iteratorINS9_10device_ptrIiEEEENSB_INSC_IxEEEESG_xNS9_4plusIvEENS9_8equal_toIvEExEE10hipError_tPvRmT2_T3_T4_T5_mT6_T7_P12ihipStream_tbENKUlT_T0_E_clISt17integral_constantIbLb1EES11_EEDaSW_SX_EUlSW_E_NS1_11comp_targetILNS1_3genE0ELNS1_11target_archE4294967295ELNS1_3gpuE0ELNS1_3repE0EEENS1_30default_config_static_selectorELNS0_4arch9wavefront6targetE1EEEvT1_
; %bb.0:
	.section	.rodata,"a",@progbits
	.p2align	6, 0x0
	.amdhsa_kernel _ZN7rocprim17ROCPRIM_400000_NS6detail17trampoline_kernelINS0_14default_configENS1_27scan_by_key_config_selectorIixEEZZNS1_16scan_by_key_implILNS1_25lookback_scan_determinismE0ELb0ES3_N6thrust23THRUST_200600_302600_NS6detail15normal_iteratorINS9_10device_ptrIiEEEENSB_INSC_IxEEEESG_xNS9_4plusIvEENS9_8equal_toIvEExEE10hipError_tPvRmT2_T3_T4_T5_mT6_T7_P12ihipStream_tbENKUlT_T0_E_clISt17integral_constantIbLb1EES11_EEDaSW_SX_EUlSW_E_NS1_11comp_targetILNS1_3genE0ELNS1_11target_archE4294967295ELNS1_3gpuE0ELNS1_3repE0EEENS1_30default_config_static_selectorELNS0_4arch9wavefront6targetE1EEEvT1_
		.amdhsa_group_segment_fixed_size 0
		.amdhsa_private_segment_fixed_size 0
		.amdhsa_kernarg_size 136
		.amdhsa_user_sgpr_count 2
		.amdhsa_user_sgpr_dispatch_ptr 0
		.amdhsa_user_sgpr_queue_ptr 0
		.amdhsa_user_sgpr_kernarg_segment_ptr 1
		.amdhsa_user_sgpr_dispatch_id 0
		.amdhsa_user_sgpr_kernarg_preload_length 0
		.amdhsa_user_sgpr_kernarg_preload_offset 0
		.amdhsa_user_sgpr_private_segment_size 0
		.amdhsa_uses_dynamic_stack 0
		.amdhsa_enable_private_segment 0
		.amdhsa_system_sgpr_workgroup_id_x 1
		.amdhsa_system_sgpr_workgroup_id_y 0
		.amdhsa_system_sgpr_workgroup_id_z 0
		.amdhsa_system_sgpr_workgroup_info 0
		.amdhsa_system_vgpr_workitem_id 0
		.amdhsa_next_free_vgpr 1
		.amdhsa_next_free_sgpr 0
		.amdhsa_accum_offset 4
		.amdhsa_reserve_vcc 0
		.amdhsa_float_round_mode_32 0
		.amdhsa_float_round_mode_16_64 0
		.amdhsa_float_denorm_mode_32 3
		.amdhsa_float_denorm_mode_16_64 3
		.amdhsa_dx10_clamp 1
		.amdhsa_ieee_mode 1
		.amdhsa_fp16_overflow 0
		.amdhsa_tg_split 0
		.amdhsa_exception_fp_ieee_invalid_op 0
		.amdhsa_exception_fp_denorm_src 0
		.amdhsa_exception_fp_ieee_div_zero 0
		.amdhsa_exception_fp_ieee_overflow 0
		.amdhsa_exception_fp_ieee_underflow 0
		.amdhsa_exception_fp_ieee_inexact 0
		.amdhsa_exception_int_div_zero 0
	.end_amdhsa_kernel
	.section	.text._ZN7rocprim17ROCPRIM_400000_NS6detail17trampoline_kernelINS0_14default_configENS1_27scan_by_key_config_selectorIixEEZZNS1_16scan_by_key_implILNS1_25lookback_scan_determinismE0ELb0ES3_N6thrust23THRUST_200600_302600_NS6detail15normal_iteratorINS9_10device_ptrIiEEEENSB_INSC_IxEEEESG_xNS9_4plusIvEENS9_8equal_toIvEExEE10hipError_tPvRmT2_T3_T4_T5_mT6_T7_P12ihipStream_tbENKUlT_T0_E_clISt17integral_constantIbLb1EES11_EEDaSW_SX_EUlSW_E_NS1_11comp_targetILNS1_3genE0ELNS1_11target_archE4294967295ELNS1_3gpuE0ELNS1_3repE0EEENS1_30default_config_static_selectorELNS0_4arch9wavefront6targetE1EEEvT1_,"axG",@progbits,_ZN7rocprim17ROCPRIM_400000_NS6detail17trampoline_kernelINS0_14default_configENS1_27scan_by_key_config_selectorIixEEZZNS1_16scan_by_key_implILNS1_25lookback_scan_determinismE0ELb0ES3_N6thrust23THRUST_200600_302600_NS6detail15normal_iteratorINS9_10device_ptrIiEEEENSB_INSC_IxEEEESG_xNS9_4plusIvEENS9_8equal_toIvEExEE10hipError_tPvRmT2_T3_T4_T5_mT6_T7_P12ihipStream_tbENKUlT_T0_E_clISt17integral_constantIbLb1EES11_EEDaSW_SX_EUlSW_E_NS1_11comp_targetILNS1_3genE0ELNS1_11target_archE4294967295ELNS1_3gpuE0ELNS1_3repE0EEENS1_30default_config_static_selectorELNS0_4arch9wavefront6targetE1EEEvT1_,comdat
.Lfunc_end1321:
	.size	_ZN7rocprim17ROCPRIM_400000_NS6detail17trampoline_kernelINS0_14default_configENS1_27scan_by_key_config_selectorIixEEZZNS1_16scan_by_key_implILNS1_25lookback_scan_determinismE0ELb0ES3_N6thrust23THRUST_200600_302600_NS6detail15normal_iteratorINS9_10device_ptrIiEEEENSB_INSC_IxEEEESG_xNS9_4plusIvEENS9_8equal_toIvEExEE10hipError_tPvRmT2_T3_T4_T5_mT6_T7_P12ihipStream_tbENKUlT_T0_E_clISt17integral_constantIbLb1EES11_EEDaSW_SX_EUlSW_E_NS1_11comp_targetILNS1_3genE0ELNS1_11target_archE4294967295ELNS1_3gpuE0ELNS1_3repE0EEENS1_30default_config_static_selectorELNS0_4arch9wavefront6targetE1EEEvT1_, .Lfunc_end1321-_ZN7rocprim17ROCPRIM_400000_NS6detail17trampoline_kernelINS0_14default_configENS1_27scan_by_key_config_selectorIixEEZZNS1_16scan_by_key_implILNS1_25lookback_scan_determinismE0ELb0ES3_N6thrust23THRUST_200600_302600_NS6detail15normal_iteratorINS9_10device_ptrIiEEEENSB_INSC_IxEEEESG_xNS9_4plusIvEENS9_8equal_toIvEExEE10hipError_tPvRmT2_T3_T4_T5_mT6_T7_P12ihipStream_tbENKUlT_T0_E_clISt17integral_constantIbLb1EES11_EEDaSW_SX_EUlSW_E_NS1_11comp_targetILNS1_3genE0ELNS1_11target_archE4294967295ELNS1_3gpuE0ELNS1_3repE0EEENS1_30default_config_static_selectorELNS0_4arch9wavefront6targetE1EEEvT1_
                                        ; -- End function
	.section	.AMDGPU.csdata,"",@progbits
; Kernel info:
; codeLenInByte = 0
; NumSgprs: 6
; NumVgprs: 0
; NumAgprs: 0
; TotalNumVgprs: 0
; ScratchSize: 0
; MemoryBound: 0
; FloatMode: 240
; IeeeMode: 1
; LDSByteSize: 0 bytes/workgroup (compile time only)
; SGPRBlocks: 0
; VGPRBlocks: 0
; NumSGPRsForWavesPerEU: 6
; NumVGPRsForWavesPerEU: 1
; AccumOffset: 4
; Occupancy: 8
; WaveLimiterHint : 0
; COMPUTE_PGM_RSRC2:SCRATCH_EN: 0
; COMPUTE_PGM_RSRC2:USER_SGPR: 2
; COMPUTE_PGM_RSRC2:TRAP_HANDLER: 0
; COMPUTE_PGM_RSRC2:TGID_X_EN: 1
; COMPUTE_PGM_RSRC2:TGID_Y_EN: 0
; COMPUTE_PGM_RSRC2:TGID_Z_EN: 0
; COMPUTE_PGM_RSRC2:TIDIG_COMP_CNT: 0
; COMPUTE_PGM_RSRC3_GFX90A:ACCUM_OFFSET: 0
; COMPUTE_PGM_RSRC3_GFX90A:TG_SPLIT: 0
	.section	.text._ZN7rocprim17ROCPRIM_400000_NS6detail17trampoline_kernelINS0_14default_configENS1_27scan_by_key_config_selectorIixEEZZNS1_16scan_by_key_implILNS1_25lookback_scan_determinismE0ELb0ES3_N6thrust23THRUST_200600_302600_NS6detail15normal_iteratorINS9_10device_ptrIiEEEENSB_INSC_IxEEEESG_xNS9_4plusIvEENS9_8equal_toIvEExEE10hipError_tPvRmT2_T3_T4_T5_mT6_T7_P12ihipStream_tbENKUlT_T0_E_clISt17integral_constantIbLb1EES11_EEDaSW_SX_EUlSW_E_NS1_11comp_targetILNS1_3genE10ELNS1_11target_archE1201ELNS1_3gpuE5ELNS1_3repE0EEENS1_30default_config_static_selectorELNS0_4arch9wavefront6targetE1EEEvT1_,"axG",@progbits,_ZN7rocprim17ROCPRIM_400000_NS6detail17trampoline_kernelINS0_14default_configENS1_27scan_by_key_config_selectorIixEEZZNS1_16scan_by_key_implILNS1_25lookback_scan_determinismE0ELb0ES3_N6thrust23THRUST_200600_302600_NS6detail15normal_iteratorINS9_10device_ptrIiEEEENSB_INSC_IxEEEESG_xNS9_4plusIvEENS9_8equal_toIvEExEE10hipError_tPvRmT2_T3_T4_T5_mT6_T7_P12ihipStream_tbENKUlT_T0_E_clISt17integral_constantIbLb1EES11_EEDaSW_SX_EUlSW_E_NS1_11comp_targetILNS1_3genE10ELNS1_11target_archE1201ELNS1_3gpuE5ELNS1_3repE0EEENS1_30default_config_static_selectorELNS0_4arch9wavefront6targetE1EEEvT1_,comdat
	.protected	_ZN7rocprim17ROCPRIM_400000_NS6detail17trampoline_kernelINS0_14default_configENS1_27scan_by_key_config_selectorIixEEZZNS1_16scan_by_key_implILNS1_25lookback_scan_determinismE0ELb0ES3_N6thrust23THRUST_200600_302600_NS6detail15normal_iteratorINS9_10device_ptrIiEEEENSB_INSC_IxEEEESG_xNS9_4plusIvEENS9_8equal_toIvEExEE10hipError_tPvRmT2_T3_T4_T5_mT6_T7_P12ihipStream_tbENKUlT_T0_E_clISt17integral_constantIbLb1EES11_EEDaSW_SX_EUlSW_E_NS1_11comp_targetILNS1_3genE10ELNS1_11target_archE1201ELNS1_3gpuE5ELNS1_3repE0EEENS1_30default_config_static_selectorELNS0_4arch9wavefront6targetE1EEEvT1_ ; -- Begin function _ZN7rocprim17ROCPRIM_400000_NS6detail17trampoline_kernelINS0_14default_configENS1_27scan_by_key_config_selectorIixEEZZNS1_16scan_by_key_implILNS1_25lookback_scan_determinismE0ELb0ES3_N6thrust23THRUST_200600_302600_NS6detail15normal_iteratorINS9_10device_ptrIiEEEENSB_INSC_IxEEEESG_xNS9_4plusIvEENS9_8equal_toIvEExEE10hipError_tPvRmT2_T3_T4_T5_mT6_T7_P12ihipStream_tbENKUlT_T0_E_clISt17integral_constantIbLb1EES11_EEDaSW_SX_EUlSW_E_NS1_11comp_targetILNS1_3genE10ELNS1_11target_archE1201ELNS1_3gpuE5ELNS1_3repE0EEENS1_30default_config_static_selectorELNS0_4arch9wavefront6targetE1EEEvT1_
	.globl	_ZN7rocprim17ROCPRIM_400000_NS6detail17trampoline_kernelINS0_14default_configENS1_27scan_by_key_config_selectorIixEEZZNS1_16scan_by_key_implILNS1_25lookback_scan_determinismE0ELb0ES3_N6thrust23THRUST_200600_302600_NS6detail15normal_iteratorINS9_10device_ptrIiEEEENSB_INSC_IxEEEESG_xNS9_4plusIvEENS9_8equal_toIvEExEE10hipError_tPvRmT2_T3_T4_T5_mT6_T7_P12ihipStream_tbENKUlT_T0_E_clISt17integral_constantIbLb1EES11_EEDaSW_SX_EUlSW_E_NS1_11comp_targetILNS1_3genE10ELNS1_11target_archE1201ELNS1_3gpuE5ELNS1_3repE0EEENS1_30default_config_static_selectorELNS0_4arch9wavefront6targetE1EEEvT1_
	.p2align	8
	.type	_ZN7rocprim17ROCPRIM_400000_NS6detail17trampoline_kernelINS0_14default_configENS1_27scan_by_key_config_selectorIixEEZZNS1_16scan_by_key_implILNS1_25lookback_scan_determinismE0ELb0ES3_N6thrust23THRUST_200600_302600_NS6detail15normal_iteratorINS9_10device_ptrIiEEEENSB_INSC_IxEEEESG_xNS9_4plusIvEENS9_8equal_toIvEExEE10hipError_tPvRmT2_T3_T4_T5_mT6_T7_P12ihipStream_tbENKUlT_T0_E_clISt17integral_constantIbLb1EES11_EEDaSW_SX_EUlSW_E_NS1_11comp_targetILNS1_3genE10ELNS1_11target_archE1201ELNS1_3gpuE5ELNS1_3repE0EEENS1_30default_config_static_selectorELNS0_4arch9wavefront6targetE1EEEvT1_,@function
_ZN7rocprim17ROCPRIM_400000_NS6detail17trampoline_kernelINS0_14default_configENS1_27scan_by_key_config_selectorIixEEZZNS1_16scan_by_key_implILNS1_25lookback_scan_determinismE0ELb0ES3_N6thrust23THRUST_200600_302600_NS6detail15normal_iteratorINS9_10device_ptrIiEEEENSB_INSC_IxEEEESG_xNS9_4plusIvEENS9_8equal_toIvEExEE10hipError_tPvRmT2_T3_T4_T5_mT6_T7_P12ihipStream_tbENKUlT_T0_E_clISt17integral_constantIbLb1EES11_EEDaSW_SX_EUlSW_E_NS1_11comp_targetILNS1_3genE10ELNS1_11target_archE1201ELNS1_3gpuE5ELNS1_3repE0EEENS1_30default_config_static_selectorELNS0_4arch9wavefront6targetE1EEEvT1_: ; @_ZN7rocprim17ROCPRIM_400000_NS6detail17trampoline_kernelINS0_14default_configENS1_27scan_by_key_config_selectorIixEEZZNS1_16scan_by_key_implILNS1_25lookback_scan_determinismE0ELb0ES3_N6thrust23THRUST_200600_302600_NS6detail15normal_iteratorINS9_10device_ptrIiEEEENSB_INSC_IxEEEESG_xNS9_4plusIvEENS9_8equal_toIvEExEE10hipError_tPvRmT2_T3_T4_T5_mT6_T7_P12ihipStream_tbENKUlT_T0_E_clISt17integral_constantIbLb1EES11_EEDaSW_SX_EUlSW_E_NS1_11comp_targetILNS1_3genE10ELNS1_11target_archE1201ELNS1_3gpuE5ELNS1_3repE0EEENS1_30default_config_static_selectorELNS0_4arch9wavefront6targetE1EEEvT1_
; %bb.0:
	.section	.rodata,"a",@progbits
	.p2align	6, 0x0
	.amdhsa_kernel _ZN7rocprim17ROCPRIM_400000_NS6detail17trampoline_kernelINS0_14default_configENS1_27scan_by_key_config_selectorIixEEZZNS1_16scan_by_key_implILNS1_25lookback_scan_determinismE0ELb0ES3_N6thrust23THRUST_200600_302600_NS6detail15normal_iteratorINS9_10device_ptrIiEEEENSB_INSC_IxEEEESG_xNS9_4plusIvEENS9_8equal_toIvEExEE10hipError_tPvRmT2_T3_T4_T5_mT6_T7_P12ihipStream_tbENKUlT_T0_E_clISt17integral_constantIbLb1EES11_EEDaSW_SX_EUlSW_E_NS1_11comp_targetILNS1_3genE10ELNS1_11target_archE1201ELNS1_3gpuE5ELNS1_3repE0EEENS1_30default_config_static_selectorELNS0_4arch9wavefront6targetE1EEEvT1_
		.amdhsa_group_segment_fixed_size 0
		.amdhsa_private_segment_fixed_size 0
		.amdhsa_kernarg_size 136
		.amdhsa_user_sgpr_count 2
		.amdhsa_user_sgpr_dispatch_ptr 0
		.amdhsa_user_sgpr_queue_ptr 0
		.amdhsa_user_sgpr_kernarg_segment_ptr 1
		.amdhsa_user_sgpr_dispatch_id 0
		.amdhsa_user_sgpr_kernarg_preload_length 0
		.amdhsa_user_sgpr_kernarg_preload_offset 0
		.amdhsa_user_sgpr_private_segment_size 0
		.amdhsa_uses_dynamic_stack 0
		.amdhsa_enable_private_segment 0
		.amdhsa_system_sgpr_workgroup_id_x 1
		.amdhsa_system_sgpr_workgroup_id_y 0
		.amdhsa_system_sgpr_workgroup_id_z 0
		.amdhsa_system_sgpr_workgroup_info 0
		.amdhsa_system_vgpr_workitem_id 0
		.amdhsa_next_free_vgpr 1
		.amdhsa_next_free_sgpr 0
		.amdhsa_accum_offset 4
		.amdhsa_reserve_vcc 0
		.amdhsa_float_round_mode_32 0
		.amdhsa_float_round_mode_16_64 0
		.amdhsa_float_denorm_mode_32 3
		.amdhsa_float_denorm_mode_16_64 3
		.amdhsa_dx10_clamp 1
		.amdhsa_ieee_mode 1
		.amdhsa_fp16_overflow 0
		.amdhsa_tg_split 0
		.amdhsa_exception_fp_ieee_invalid_op 0
		.amdhsa_exception_fp_denorm_src 0
		.amdhsa_exception_fp_ieee_div_zero 0
		.amdhsa_exception_fp_ieee_overflow 0
		.amdhsa_exception_fp_ieee_underflow 0
		.amdhsa_exception_fp_ieee_inexact 0
		.amdhsa_exception_int_div_zero 0
	.end_amdhsa_kernel
	.section	.text._ZN7rocprim17ROCPRIM_400000_NS6detail17trampoline_kernelINS0_14default_configENS1_27scan_by_key_config_selectorIixEEZZNS1_16scan_by_key_implILNS1_25lookback_scan_determinismE0ELb0ES3_N6thrust23THRUST_200600_302600_NS6detail15normal_iteratorINS9_10device_ptrIiEEEENSB_INSC_IxEEEESG_xNS9_4plusIvEENS9_8equal_toIvEExEE10hipError_tPvRmT2_T3_T4_T5_mT6_T7_P12ihipStream_tbENKUlT_T0_E_clISt17integral_constantIbLb1EES11_EEDaSW_SX_EUlSW_E_NS1_11comp_targetILNS1_3genE10ELNS1_11target_archE1201ELNS1_3gpuE5ELNS1_3repE0EEENS1_30default_config_static_selectorELNS0_4arch9wavefront6targetE1EEEvT1_,"axG",@progbits,_ZN7rocprim17ROCPRIM_400000_NS6detail17trampoline_kernelINS0_14default_configENS1_27scan_by_key_config_selectorIixEEZZNS1_16scan_by_key_implILNS1_25lookback_scan_determinismE0ELb0ES3_N6thrust23THRUST_200600_302600_NS6detail15normal_iteratorINS9_10device_ptrIiEEEENSB_INSC_IxEEEESG_xNS9_4plusIvEENS9_8equal_toIvEExEE10hipError_tPvRmT2_T3_T4_T5_mT6_T7_P12ihipStream_tbENKUlT_T0_E_clISt17integral_constantIbLb1EES11_EEDaSW_SX_EUlSW_E_NS1_11comp_targetILNS1_3genE10ELNS1_11target_archE1201ELNS1_3gpuE5ELNS1_3repE0EEENS1_30default_config_static_selectorELNS0_4arch9wavefront6targetE1EEEvT1_,comdat
.Lfunc_end1322:
	.size	_ZN7rocprim17ROCPRIM_400000_NS6detail17trampoline_kernelINS0_14default_configENS1_27scan_by_key_config_selectorIixEEZZNS1_16scan_by_key_implILNS1_25lookback_scan_determinismE0ELb0ES3_N6thrust23THRUST_200600_302600_NS6detail15normal_iteratorINS9_10device_ptrIiEEEENSB_INSC_IxEEEESG_xNS9_4plusIvEENS9_8equal_toIvEExEE10hipError_tPvRmT2_T3_T4_T5_mT6_T7_P12ihipStream_tbENKUlT_T0_E_clISt17integral_constantIbLb1EES11_EEDaSW_SX_EUlSW_E_NS1_11comp_targetILNS1_3genE10ELNS1_11target_archE1201ELNS1_3gpuE5ELNS1_3repE0EEENS1_30default_config_static_selectorELNS0_4arch9wavefront6targetE1EEEvT1_, .Lfunc_end1322-_ZN7rocprim17ROCPRIM_400000_NS6detail17trampoline_kernelINS0_14default_configENS1_27scan_by_key_config_selectorIixEEZZNS1_16scan_by_key_implILNS1_25lookback_scan_determinismE0ELb0ES3_N6thrust23THRUST_200600_302600_NS6detail15normal_iteratorINS9_10device_ptrIiEEEENSB_INSC_IxEEEESG_xNS9_4plusIvEENS9_8equal_toIvEExEE10hipError_tPvRmT2_T3_T4_T5_mT6_T7_P12ihipStream_tbENKUlT_T0_E_clISt17integral_constantIbLb1EES11_EEDaSW_SX_EUlSW_E_NS1_11comp_targetILNS1_3genE10ELNS1_11target_archE1201ELNS1_3gpuE5ELNS1_3repE0EEENS1_30default_config_static_selectorELNS0_4arch9wavefront6targetE1EEEvT1_
                                        ; -- End function
	.section	.AMDGPU.csdata,"",@progbits
; Kernel info:
; codeLenInByte = 0
; NumSgprs: 6
; NumVgprs: 0
; NumAgprs: 0
; TotalNumVgprs: 0
; ScratchSize: 0
; MemoryBound: 0
; FloatMode: 240
; IeeeMode: 1
; LDSByteSize: 0 bytes/workgroup (compile time only)
; SGPRBlocks: 0
; VGPRBlocks: 0
; NumSGPRsForWavesPerEU: 6
; NumVGPRsForWavesPerEU: 1
; AccumOffset: 4
; Occupancy: 8
; WaveLimiterHint : 0
; COMPUTE_PGM_RSRC2:SCRATCH_EN: 0
; COMPUTE_PGM_RSRC2:USER_SGPR: 2
; COMPUTE_PGM_RSRC2:TRAP_HANDLER: 0
; COMPUTE_PGM_RSRC2:TGID_X_EN: 1
; COMPUTE_PGM_RSRC2:TGID_Y_EN: 0
; COMPUTE_PGM_RSRC2:TGID_Z_EN: 0
; COMPUTE_PGM_RSRC2:TIDIG_COMP_CNT: 0
; COMPUTE_PGM_RSRC3_GFX90A:ACCUM_OFFSET: 0
; COMPUTE_PGM_RSRC3_GFX90A:TG_SPLIT: 0
	.section	.text._ZN7rocprim17ROCPRIM_400000_NS6detail17trampoline_kernelINS0_14default_configENS1_27scan_by_key_config_selectorIixEEZZNS1_16scan_by_key_implILNS1_25lookback_scan_determinismE0ELb0ES3_N6thrust23THRUST_200600_302600_NS6detail15normal_iteratorINS9_10device_ptrIiEEEENSB_INSC_IxEEEESG_xNS9_4plusIvEENS9_8equal_toIvEExEE10hipError_tPvRmT2_T3_T4_T5_mT6_T7_P12ihipStream_tbENKUlT_T0_E_clISt17integral_constantIbLb1EES11_EEDaSW_SX_EUlSW_E_NS1_11comp_targetILNS1_3genE5ELNS1_11target_archE942ELNS1_3gpuE9ELNS1_3repE0EEENS1_30default_config_static_selectorELNS0_4arch9wavefront6targetE1EEEvT1_,"axG",@progbits,_ZN7rocprim17ROCPRIM_400000_NS6detail17trampoline_kernelINS0_14default_configENS1_27scan_by_key_config_selectorIixEEZZNS1_16scan_by_key_implILNS1_25lookback_scan_determinismE0ELb0ES3_N6thrust23THRUST_200600_302600_NS6detail15normal_iteratorINS9_10device_ptrIiEEEENSB_INSC_IxEEEESG_xNS9_4plusIvEENS9_8equal_toIvEExEE10hipError_tPvRmT2_T3_T4_T5_mT6_T7_P12ihipStream_tbENKUlT_T0_E_clISt17integral_constantIbLb1EES11_EEDaSW_SX_EUlSW_E_NS1_11comp_targetILNS1_3genE5ELNS1_11target_archE942ELNS1_3gpuE9ELNS1_3repE0EEENS1_30default_config_static_selectorELNS0_4arch9wavefront6targetE1EEEvT1_,comdat
	.protected	_ZN7rocprim17ROCPRIM_400000_NS6detail17trampoline_kernelINS0_14default_configENS1_27scan_by_key_config_selectorIixEEZZNS1_16scan_by_key_implILNS1_25lookback_scan_determinismE0ELb0ES3_N6thrust23THRUST_200600_302600_NS6detail15normal_iteratorINS9_10device_ptrIiEEEENSB_INSC_IxEEEESG_xNS9_4plusIvEENS9_8equal_toIvEExEE10hipError_tPvRmT2_T3_T4_T5_mT6_T7_P12ihipStream_tbENKUlT_T0_E_clISt17integral_constantIbLb1EES11_EEDaSW_SX_EUlSW_E_NS1_11comp_targetILNS1_3genE5ELNS1_11target_archE942ELNS1_3gpuE9ELNS1_3repE0EEENS1_30default_config_static_selectorELNS0_4arch9wavefront6targetE1EEEvT1_ ; -- Begin function _ZN7rocprim17ROCPRIM_400000_NS6detail17trampoline_kernelINS0_14default_configENS1_27scan_by_key_config_selectorIixEEZZNS1_16scan_by_key_implILNS1_25lookback_scan_determinismE0ELb0ES3_N6thrust23THRUST_200600_302600_NS6detail15normal_iteratorINS9_10device_ptrIiEEEENSB_INSC_IxEEEESG_xNS9_4plusIvEENS9_8equal_toIvEExEE10hipError_tPvRmT2_T3_T4_T5_mT6_T7_P12ihipStream_tbENKUlT_T0_E_clISt17integral_constantIbLb1EES11_EEDaSW_SX_EUlSW_E_NS1_11comp_targetILNS1_3genE5ELNS1_11target_archE942ELNS1_3gpuE9ELNS1_3repE0EEENS1_30default_config_static_selectorELNS0_4arch9wavefront6targetE1EEEvT1_
	.globl	_ZN7rocprim17ROCPRIM_400000_NS6detail17trampoline_kernelINS0_14default_configENS1_27scan_by_key_config_selectorIixEEZZNS1_16scan_by_key_implILNS1_25lookback_scan_determinismE0ELb0ES3_N6thrust23THRUST_200600_302600_NS6detail15normal_iteratorINS9_10device_ptrIiEEEENSB_INSC_IxEEEESG_xNS9_4plusIvEENS9_8equal_toIvEExEE10hipError_tPvRmT2_T3_T4_T5_mT6_T7_P12ihipStream_tbENKUlT_T0_E_clISt17integral_constantIbLb1EES11_EEDaSW_SX_EUlSW_E_NS1_11comp_targetILNS1_3genE5ELNS1_11target_archE942ELNS1_3gpuE9ELNS1_3repE0EEENS1_30default_config_static_selectorELNS0_4arch9wavefront6targetE1EEEvT1_
	.p2align	8
	.type	_ZN7rocprim17ROCPRIM_400000_NS6detail17trampoline_kernelINS0_14default_configENS1_27scan_by_key_config_selectorIixEEZZNS1_16scan_by_key_implILNS1_25lookback_scan_determinismE0ELb0ES3_N6thrust23THRUST_200600_302600_NS6detail15normal_iteratorINS9_10device_ptrIiEEEENSB_INSC_IxEEEESG_xNS9_4plusIvEENS9_8equal_toIvEExEE10hipError_tPvRmT2_T3_T4_T5_mT6_T7_P12ihipStream_tbENKUlT_T0_E_clISt17integral_constantIbLb1EES11_EEDaSW_SX_EUlSW_E_NS1_11comp_targetILNS1_3genE5ELNS1_11target_archE942ELNS1_3gpuE9ELNS1_3repE0EEENS1_30default_config_static_selectorELNS0_4arch9wavefront6targetE1EEEvT1_,@function
_ZN7rocprim17ROCPRIM_400000_NS6detail17trampoline_kernelINS0_14default_configENS1_27scan_by_key_config_selectorIixEEZZNS1_16scan_by_key_implILNS1_25lookback_scan_determinismE0ELb0ES3_N6thrust23THRUST_200600_302600_NS6detail15normal_iteratorINS9_10device_ptrIiEEEENSB_INSC_IxEEEESG_xNS9_4plusIvEENS9_8equal_toIvEExEE10hipError_tPvRmT2_T3_T4_T5_mT6_T7_P12ihipStream_tbENKUlT_T0_E_clISt17integral_constantIbLb1EES11_EEDaSW_SX_EUlSW_E_NS1_11comp_targetILNS1_3genE5ELNS1_11target_archE942ELNS1_3gpuE9ELNS1_3repE0EEENS1_30default_config_static_selectorELNS0_4arch9wavefront6targetE1EEEvT1_: ; @_ZN7rocprim17ROCPRIM_400000_NS6detail17trampoline_kernelINS0_14default_configENS1_27scan_by_key_config_selectorIixEEZZNS1_16scan_by_key_implILNS1_25lookback_scan_determinismE0ELb0ES3_N6thrust23THRUST_200600_302600_NS6detail15normal_iteratorINS9_10device_ptrIiEEEENSB_INSC_IxEEEESG_xNS9_4plusIvEENS9_8equal_toIvEExEE10hipError_tPvRmT2_T3_T4_T5_mT6_T7_P12ihipStream_tbENKUlT_T0_E_clISt17integral_constantIbLb1EES11_EEDaSW_SX_EUlSW_E_NS1_11comp_targetILNS1_3genE5ELNS1_11target_archE942ELNS1_3gpuE9ELNS1_3repE0EEENS1_30default_config_static_selectorELNS0_4arch9wavefront6targetE1EEEvT1_
; %bb.0:
	s_load_dwordx8 s[4:11], s[0:1], 0x30
                                        ; implicit-def: $vgpr131 : SGPR spill to VGPR lane
	s_load_dwordx2 s[14:15], s[0:1], 0x50
	v_cmp_eq_u32_e64 s[68:69], 0, v0
	s_waitcnt lgkmcnt(0)
	v_writelane_b32 v131, s4, 0
	s_nop 1
	v_writelane_b32 v131, s5, 1
	v_writelane_b32 v131, s6, 2
	;; [unrolled: 1-line block ×7, first 2 shown]
	v_cmp_ne_u32_e64 s[4:5], 0, v0
	s_and_saveexec_b64 s[2:3], s[68:69]
	s_cbranch_execz .LBB1323_4
; %bb.1:
	s_mov_b64 s[8:9], exec
	v_mbcnt_lo_u32_b32 v1, s8, 0
	v_mbcnt_hi_u32_b32 v1, s9, v1
	v_cmp_eq_u32_e32 vcc, 0, v1
                                        ; implicit-def: $vgpr2
	s_and_saveexec_b64 s[6:7], vcc
	s_cbranch_execz .LBB1323_3
; %bb.2:
	s_load_dwordx2 s[10:11], s[0:1], 0x80
	s_bcnt1_i32_b64 s8, s[8:9]
	v_mov_b32_e32 v2, 0
	v_mov_b32_e32 v3, s8
	s_waitcnt lgkmcnt(0)
	global_atomic_add v2, v2, v3, s[10:11] sc0
.LBB1323_3:
	s_or_b64 exec, exec, s[6:7]
	s_waitcnt vmcnt(0)
	v_readfirstlane_b32 s6, v2
	v_mov_b32_e32 v2, 0
	s_nop 0
	v_add_u32_e32 v1, s6, v1
	ds_write_b32 v2, v1
.LBB1323_4:
	s_or_b64 exec, exec, s[2:3]
	s_load_dwordx8 s[72:79], s[0:1], 0x0
	s_load_dword s2, s[0:1], 0x58
	s_load_dwordx8 s[60:67], s[0:1], 0x60
	v_mov_b32_e32 v1, 0
	s_waitcnt lgkmcnt(0)
	s_barrier
	ds_read_b32 v1, v1
	s_lshl_b64 s[0:1], s[74:75], 2
	s_add_u32 s8, s72, s0
	s_addc_u32 s9, s73, s1
	s_lshl_b64 s[88:89], s[74:75], 3
	s_add_u32 s10, s76, s88
	s_mul_i32 s0, s15, s2
	s_mul_hi_u32 s1, s14, s2
	s_addc_u32 s11, s77, s89
	s_add_i32 s12, s1, s0
	s_waitcnt lgkmcnt(0)
	v_readfirstlane_b32 s92, v1
	s_cmp_lg_u64 s[64:65], 0
	s_mov_b32 s1, 0
	s_mul_i32 s0, s92, 0x1500
	v_writelane_b32 v131, s14, 8
	s_mul_i32 s13, s14, s2
	s_cselect_b64 s[54:55], -1, 0
	s_lshl_b64 s[2:3], s[0:1], 2
	s_add_u32 s52, s8, s2
	s_addc_u32 s53, s9, s3
	s_lshl_b64 s[2:3], s[0:1], 3
	s_add_u32 s50, s10, s2
	s_addc_u32 s51, s11, s3
	s_add_u32 s56, s13, s92
	s_addc_u32 s57, s12, 0
	s_add_u32 s0, s60, -1
	s_addc_u32 s1, s61, -1
	v_mov_b64_e32 v[2:3], s[0:1]
	v_cmp_ge_u64_e64 s[60:61], s[56:57], v[2:3]
	s_mov_b64 s[6:7], 0
	s_mov_b64 s[10:11], -1
	s_and_b64 vcc, exec, s[60:61]
	s_mul_i32 s33, s0, 0xffffeb00
	v_writelane_b32 v131, s15, 9
	s_barrier
	s_barrier
	s_cbranch_vccz .LBB1323_116
; %bb.5:
	v_mov_b64_e32 v[2:3], s[52:53]
	flat_load_dword v2, v[2:3]
	v_readlane_b32 s8, v131, 0
	v_readlane_b32 s14, v131, 6
	s_add_i32 s65, s33, s14
	v_cmp_gt_u32_e64 s[6:7], s65, v0
	v_readlane_b32 s9, v131, 1
	v_readlane_b32 s10, v131, 2
	;; [unrolled: 1-line block ×6, first 2 shown]
	s_waitcnt vmcnt(0) lgkmcnt(0)
	v_mov_b32_e32 v4, v2
	s_and_saveexec_b64 s[0:1], s[6:7]
	s_cbranch_execz .LBB1323_7
; %bb.6:
	v_lshlrev_b32_e32 v4, 2, v0
	v_mov_b32_e32 v5, 0
	v_lshl_add_u64 v[4:5], s[52:53], 0, v[4:5]
	flat_load_dword v4, v[4:5]
.LBB1323_7:
	s_or_b64 exec, exec, s[0:1]
	v_or_b32_e32 v1, 0x100, v0
	v_cmp_gt_u32_e64 s[8:9], s65, v1
	v_mov_b32_e32 v5, v2
	s_and_saveexec_b64 s[0:1], s[8:9]
	s_cbranch_execz .LBB1323_9
; %bb.8:
	v_lshlrev_b32_e32 v6, 2, v0
	v_mov_b32_e32 v7, 0
	v_lshl_add_u64 v[6:7], s[52:53], 0, v[6:7]
	flat_load_dword v5, v[6:7] offset:1024
.LBB1323_9:
	s_or_b64 exec, exec, s[0:1]
	v_or_b32_e32 v1, 0x200, v0
	v_cmp_gt_u32_e64 s[10:11], s65, v1
	v_mov_b32_e32 v6, v2
	s_and_saveexec_b64 s[0:1], s[10:11]
	s_cbranch_execz .LBB1323_11
; %bb.10:
	v_lshlrev_b32_e32 v6, 2, v0
	v_mov_b32_e32 v7, 0
	v_lshl_add_u64 v[6:7], s[52:53], 0, v[6:7]
	flat_load_dword v6, v[6:7] offset:2048
.LBB1323_11:
	;; [unrolled: 12-line block ×3, first 2 shown]
	s_or_b64 exec, exec, s[0:1]
	v_or_b32_e32 v18, 0x400, v0
	v_cmp_gt_u32_e64 s[14:15], s65, v18
	v_mov_b32_e32 v8, v2
	s_and_saveexec_b64 s[0:1], s[14:15]
	s_cbranch_execz .LBB1323_15
; %bb.14:
	v_lshlrev_b32_e32 v8, 2, v18
	v_mov_b32_e32 v9, 0
	v_lshl_add_u64 v[8:9], s[52:53], 0, v[8:9]
	flat_load_dword v8, v[8:9]
.LBB1323_15:
	s_or_b64 exec, exec, s[0:1]
	v_or_b32_e32 v22, 0x500, v0
	v_cmp_gt_u32_e64 s[16:17], s65, v22
	v_mov_b32_e32 v9, v2
	s_and_saveexec_b64 s[0:1], s[16:17]
	s_cbranch_execz .LBB1323_17
; %bb.16:
	v_lshlrev_b32_e32 v10, 2, v22
	v_mov_b32_e32 v11, 0
	v_lshl_add_u64 v[10:11], s[52:53], 0, v[10:11]
	flat_load_dword v9, v[10:11]
.LBB1323_17:
	s_or_b64 exec, exec, s[0:1]
	v_or_b32_e32 v26, 0x600, v0
	v_cmp_gt_u32_e64 s[18:19], s65, v26
	v_mov_b32_e32 v10, v2
	s_and_saveexec_b64 s[0:1], s[18:19]
	s_cbranch_execz .LBB1323_19
; %bb.18:
	v_lshlrev_b32_e32 v10, 2, v26
	v_mov_b32_e32 v11, 0
	v_lshl_add_u64 v[10:11], s[52:53], 0, v[10:11]
	flat_load_dword v10, v[10:11]
.LBB1323_19:
	s_or_b64 exec, exec, s[0:1]
	v_or_b32_e32 v30, 0x700, v0
	v_cmp_gt_u32_e64 s[20:21], s65, v30
	v_mov_b32_e32 v11, v2
	s_and_saveexec_b64 s[0:1], s[20:21]
	s_cbranch_execz .LBB1323_21
; %bb.20:
	v_lshlrev_b32_e32 v12, 2, v30
	v_mov_b32_e32 v13, 0
	v_lshl_add_u64 v[12:13], s[52:53], 0, v[12:13]
	flat_load_dword v11, v[12:13]
.LBB1323_21:
	s_or_b64 exec, exec, s[0:1]
	v_or_b32_e32 v34, 0x800, v0
	v_cmp_gt_u32_e64 s[22:23], s65, v34
	v_mov_b32_e32 v12, v2
	s_and_saveexec_b64 s[0:1], s[22:23]
	s_cbranch_execz .LBB1323_23
; %bb.22:
	v_lshlrev_b32_e32 v12, 2, v34
	v_mov_b32_e32 v13, 0
	v_lshl_add_u64 v[12:13], s[52:53], 0, v[12:13]
	flat_load_dword v12, v[12:13]
.LBB1323_23:
	s_or_b64 exec, exec, s[0:1]
	v_or_b32_e32 v38, 0x900, v0
	v_cmp_gt_u32_e64 s[24:25], s65, v38
	v_mov_b32_e32 v13, v2
	s_and_saveexec_b64 s[0:1], s[24:25]
	s_cbranch_execz .LBB1323_25
; %bb.24:
	v_lshlrev_b32_e32 v14, 2, v38
	v_mov_b32_e32 v15, 0
	v_lshl_add_u64 v[14:15], s[52:53], 0, v[14:15]
	flat_load_dword v13, v[14:15]
.LBB1323_25:
	s_or_b64 exec, exec, s[0:1]
	v_or_b32_e32 v42, 0xa00, v0
	v_cmp_gt_u32_e64 s[26:27], s65, v42
	v_mov_b32_e32 v14, v2
	s_and_saveexec_b64 s[0:1], s[26:27]
	s_cbranch_execz .LBB1323_27
; %bb.26:
	v_lshlrev_b32_e32 v14, 2, v42
	v_mov_b32_e32 v15, 0
	v_lshl_add_u64 v[14:15], s[52:53], 0, v[14:15]
	flat_load_dword v14, v[14:15]
.LBB1323_27:
	s_or_b64 exec, exec, s[0:1]
	v_or_b32_e32 v46, 0xb00, v0
	v_cmp_gt_u32_e64 s[28:29], s65, v46
	v_mov_b32_e32 v15, v2
	s_and_saveexec_b64 s[0:1], s[28:29]
	s_cbranch_execz .LBB1323_29
; %bb.28:
	v_lshlrev_b32_e32 v20, 2, v46
	v_mov_b32_e32 v21, 0
	v_lshl_add_u64 v[20:21], s[52:53], 0, v[20:21]
	flat_load_dword v15, v[20:21]
.LBB1323_29:
	s_or_b64 exec, exec, s[0:1]
	v_or_b32_e32 v48, 0xc00, v0
	v_cmp_gt_u32_e64 s[30:31], s65, v48
	v_mov_b32_e32 v17, v2
	s_and_saveexec_b64 s[0:1], s[30:31]
	s_cbranch_execz .LBB1323_31
; %bb.30:
	v_lshlrev_b32_e32 v20, 2, v48
	v_mov_b32_e32 v21, 0
	v_lshl_add_u64 v[20:21], s[52:53], 0, v[20:21]
	flat_load_dword v17, v[20:21]
.LBB1323_31:
	s_or_b64 exec, exec, s[0:1]
	v_or_b32_e32 v50, 0xd00, v0
	v_cmp_gt_u32_e64 s[34:35], s65, v50
	v_mov_b32_e32 v19, v2
	s_and_saveexec_b64 s[0:1], s[34:35]
	s_cbranch_execz .LBB1323_33
; %bb.32:
	v_lshlrev_b32_e32 v20, 2, v50
	v_mov_b32_e32 v21, 0
	v_lshl_add_u64 v[20:21], s[52:53], 0, v[20:21]
	flat_load_dword v19, v[20:21]
.LBB1323_33:
	s_or_b64 exec, exec, s[0:1]
	v_or_b32_e32 v52, 0xe00, v0
	v_cmp_gt_u32_e64 s[36:37], s65, v52
	v_mov_b32_e32 v20, v2
	s_and_saveexec_b64 s[0:1], s[36:37]
	s_cbranch_execz .LBB1323_35
; %bb.34:
	v_lshlrev_b32_e32 v20, 2, v52
	v_mov_b32_e32 v21, 0
	v_lshl_add_u64 v[20:21], s[52:53], 0, v[20:21]
	flat_load_dword v20, v[20:21]
.LBB1323_35:
	s_or_b64 exec, exec, s[0:1]
	v_or_b32_e32 v54, 0xf00, v0
	v_cmp_gt_u32_e64 s[38:39], s65, v54
	v_mov_b32_e32 v21, v2
	s_and_saveexec_b64 s[0:1], s[38:39]
	s_cbranch_execz .LBB1323_37
; %bb.36:
	v_lshlrev_b32_e32 v24, 2, v54
	v_mov_b32_e32 v25, 0
	v_lshl_add_u64 v[24:25], s[52:53], 0, v[24:25]
	flat_load_dword v21, v[24:25]
.LBB1323_37:
	s_or_b64 exec, exec, s[0:1]
	v_or_b32_e32 v56, 0x1000, v0
	v_cmp_gt_u32_e64 s[40:41], s65, v56
	v_mov_b32_e32 v23, v2
	s_and_saveexec_b64 s[0:1], s[40:41]
	s_cbranch_execz .LBB1323_39
; %bb.38:
	v_lshlrev_b32_e32 v24, 2, v56
	v_mov_b32_e32 v25, 0
	v_lshl_add_u64 v[24:25], s[52:53], 0, v[24:25]
	flat_load_dword v23, v[24:25]
.LBB1323_39:
	s_or_b64 exec, exec, s[0:1]
	v_or_b32_e32 v58, 0x1100, v0
	v_cmp_gt_u32_e64 s[42:43], s65, v58
	v_mov_b32_e32 v24, v2
	s_and_saveexec_b64 s[0:1], s[42:43]
	s_cbranch_execz .LBB1323_41
; %bb.40:
	v_lshlrev_b32_e32 v24, 2, v58
	v_mov_b32_e32 v25, 0
	v_lshl_add_u64 v[24:25], s[52:53], 0, v[24:25]
	flat_load_dword v24, v[24:25]
.LBB1323_41:
	s_or_b64 exec, exec, s[0:1]
	v_or_b32_e32 v60, 0x1200, v0
	v_cmp_gt_u32_e64 s[44:45], s65, v60
	v_mov_b32_e32 v25, v2
	s_and_saveexec_b64 s[0:1], s[44:45]
	s_cbranch_execz .LBB1323_43
; %bb.42:
	v_lshlrev_b32_e32 v28, 2, v60
	v_mov_b32_e32 v29, 0
	v_lshl_add_u64 v[28:29], s[52:53], 0, v[28:29]
	flat_load_dword v25, v[28:29]
.LBB1323_43:
	s_or_b64 exec, exec, s[0:1]
	v_or_b32_e32 v62, 0x1300, v0
	v_cmp_gt_u32_e64 s[46:47], s65, v62
	v_mov_b32_e32 v27, v2
	s_and_saveexec_b64 s[0:1], s[46:47]
	s_cbranch_execz .LBB1323_45
; %bb.44:
	v_lshlrev_b32_e32 v28, 2, v62
	v_mov_b32_e32 v29, 0
	v_lshl_add_u64 v[28:29], s[52:53], 0, v[28:29]
	flat_load_dword v27, v[28:29]
.LBB1323_45:
	s_or_b64 exec, exec, s[0:1]
	v_or_b32_e32 v65, 0x1400, v0
	v_cmp_gt_u32_e64 s[48:49], s65, v65
	v_mov_b32_e32 v3, 0
	s_and_saveexec_b64 s[0:1], s[48:49]
	s_cbranch_execz .LBB1323_47
; %bb.46:
	v_lshlrev_b32_e32 v2, 2, v65
	v_lshl_add_u64 v[2:3], s[52:53], 0, v[2:3]
	flat_load_dword v2, v[2:3]
.LBB1323_47:
	s_or_b64 exec, exec, s[0:1]
	v_lshlrev_b32_e32 v3, 2, v0
	s_movk_i32 s0, 0x50
	s_waitcnt vmcnt(0) lgkmcnt(0)
	ds_write2st64_b32 v3, v4, v5 offset1:4
	ds_write2st64_b32 v3, v6, v7 offset0:8 offset1:12
	ds_write2st64_b32 v3, v8, v9 offset0:16 offset1:20
	;; [unrolled: 1-line block ×9, first 2 shown]
	ds_write_b32 v3, v2 offset:20480
	v_mad_u32_u24 v2, v0, s0, v3
	s_waitcnt lgkmcnt(0)
	s_barrier
	ds_read2_b32 v[40:41], v2 offset0:7 offset1:8
	ds_read2_b32 v[44:45], v2 offset0:5 offset1:6
	;; [unrolled: 1-line block ×3, first 2 shown]
	ds_read2_b32 v[36:37], v2 offset1:1
	ds_read2_b32 v[32:33], v2 offset0:4 offset1:9
	ds_read2_b32 v[8:9], v2 offset0:15 offset1:16
	ds_read_b32 v64, v2 offset:56
	ds_read2_b32 v[20:21], v2 offset0:12 offset1:13
	ds_read2_b32 v[24:25], v2 offset0:10 offset1:11
	ds_read2_b32 v[12:13], v2 offset0:17 offset1:18
	ds_read2_b32 v[4:5], v2 offset0:19 offset1:20
	s_cmp_eq_u64 s[56:57], 0
	s_mov_b64 s[0:1], s[52:53]
	s_cbranch_scc1 .LBB1323_51
; %bb.48:
	s_andn2_b64 vcc, exec, s[54:55]
	s_cbranch_vccnz .LBB1323_295
; %bb.49:
	s_lshl_b64 s[0:1], s[56:57], 2
	s_add_u32 s0, s66, s0
	s_addc_u32 s1, s67, s1
	s_add_u32 s0, s0, -4
	s_addc_u32 s1, s1, -1
	s_cbranch_execnz .LBB1323_51
.LBB1323_50:
	s_add_u32 s0, s52, -4
	s_addc_u32 s1, s53, -1
.LBB1323_51:
	v_mov_b64_e32 v[6:7], s[0:1]
	flat_load_dword v68, v[6:7]
	s_movk_i32 s0, 0xffb0
	v_mad_i32_i24 v66, v0, s0, v2
	s_waitcnt lgkmcnt(0)
	ds_write_b32 v66, v5 offset:21504
	s_waitcnt lgkmcnt(0)
	s_barrier
	s_and_saveexec_b64 s[0:1], s[4:5]
	s_cbranch_execz .LBB1323_53
; %bb.52:
	s_waitcnt vmcnt(0)
	ds_read_b32 v68, v66 offset:21500
.LBB1323_53:
	s_or_b64 exec, exec, s[0:1]
	v_mov_b32_e32 v7, 0
	s_waitcnt lgkmcnt(0)
	s_barrier
	s_waitcnt lgkmcnt(0)
                                        ; implicit-def: $vgpr2_vgpr3
	s_and_saveexec_b64 s[0:1], s[6:7]
	s_cbranch_execnz .LBB1323_275
; %bb.54:
	s_or_b64 exec, exec, s[0:1]
                                        ; implicit-def: $vgpr6_vgpr7
	s_and_saveexec_b64 s[0:1], s[8:9]
	s_cbranch_execnz .LBB1323_276
.LBB1323_55:
	s_or_b64 exec, exec, s[0:1]
                                        ; implicit-def: $vgpr10_vgpr11
	s_and_saveexec_b64 s[0:1], s[10:11]
	s_cbranch_execnz .LBB1323_277
.LBB1323_56:
	s_or_b64 exec, exec, s[0:1]
                                        ; implicit-def: $vgpr14_vgpr15
	s_and_saveexec_b64 s[0:1], s[12:13]
	s_cbranch_execnz .LBB1323_278
.LBB1323_57:
	s_or_b64 exec, exec, s[0:1]
                                        ; implicit-def: $vgpr16_vgpr17
	s_and_saveexec_b64 s[0:1], s[14:15]
	s_cbranch_execnz .LBB1323_279
.LBB1323_58:
	s_or_b64 exec, exec, s[0:1]
                                        ; implicit-def: $vgpr18_vgpr19
	s_and_saveexec_b64 s[0:1], s[16:17]
	s_cbranch_execnz .LBB1323_280
.LBB1323_59:
	s_or_b64 exec, exec, s[0:1]
                                        ; implicit-def: $vgpr22_vgpr23
	s_and_saveexec_b64 s[0:1], s[18:19]
	s_cbranch_execnz .LBB1323_281
.LBB1323_60:
	s_or_b64 exec, exec, s[0:1]
                                        ; implicit-def: $vgpr26_vgpr27
	s_and_saveexec_b64 s[0:1], s[20:21]
	s_cbranch_execnz .LBB1323_282
.LBB1323_61:
	s_or_b64 exec, exec, s[0:1]
                                        ; implicit-def: $vgpr30_vgpr31
	s_and_saveexec_b64 s[0:1], s[22:23]
	s_cbranch_execnz .LBB1323_283
.LBB1323_62:
	s_or_b64 exec, exec, s[0:1]
                                        ; implicit-def: $vgpr34_vgpr35
	s_and_saveexec_b64 s[0:1], s[24:25]
	s_cbranch_execnz .LBB1323_284
.LBB1323_63:
	s_or_b64 exec, exec, s[0:1]
                                        ; implicit-def: $vgpr38_vgpr39
	s_and_saveexec_b64 s[0:1], s[26:27]
	s_cbranch_execnz .LBB1323_285
.LBB1323_64:
	s_or_b64 exec, exec, s[0:1]
                                        ; implicit-def: $vgpr42_vgpr43
	s_and_saveexec_b64 s[0:1], s[28:29]
	s_cbranch_execnz .LBB1323_286
.LBB1323_65:
	s_or_b64 exec, exec, s[0:1]
                                        ; implicit-def: $vgpr46_vgpr47
	s_and_saveexec_b64 s[0:1], s[30:31]
	s_cbranch_execnz .LBB1323_287
.LBB1323_66:
	s_or_b64 exec, exec, s[0:1]
                                        ; implicit-def: $vgpr48_vgpr49
	s_and_saveexec_b64 s[0:1], s[34:35]
	s_cbranch_execnz .LBB1323_288
.LBB1323_67:
	s_or_b64 exec, exec, s[0:1]
                                        ; implicit-def: $vgpr50_vgpr51
	s_and_saveexec_b64 s[0:1], s[36:37]
	s_cbranch_execnz .LBB1323_289
.LBB1323_68:
	s_or_b64 exec, exec, s[0:1]
                                        ; implicit-def: $vgpr52_vgpr53
	s_and_saveexec_b64 s[0:1], s[38:39]
	s_cbranch_execnz .LBB1323_290
.LBB1323_69:
	s_or_b64 exec, exec, s[0:1]
                                        ; implicit-def: $vgpr54_vgpr55
	s_and_saveexec_b64 s[0:1], s[40:41]
	s_cbranch_execnz .LBB1323_291
.LBB1323_70:
	s_or_b64 exec, exec, s[0:1]
                                        ; implicit-def: $vgpr56_vgpr57
	s_and_saveexec_b64 s[0:1], s[42:43]
	s_cbranch_execnz .LBB1323_292
.LBB1323_71:
	s_or_b64 exec, exec, s[0:1]
                                        ; implicit-def: $vgpr58_vgpr59
	s_and_saveexec_b64 s[0:1], s[44:45]
	s_cbranch_execnz .LBB1323_293
.LBB1323_72:
	s_or_b64 exec, exec, s[0:1]
                                        ; implicit-def: $vgpr60_vgpr61
	s_and_saveexec_b64 s[0:1], s[46:47]
	s_cbranch_execnz .LBB1323_294
.LBB1323_73:
	s_or_b64 exec, exec, s[0:1]
                                        ; implicit-def: $vgpr62_vgpr63
	s_and_saveexec_b64 s[0:1], s[48:49]
	s_cbranch_execz .LBB1323_75
.LBB1323_74:
	v_lshlrev_b32_e32 v62, 3, v65
	v_mov_b32_e32 v63, 0
	v_lshl_add_u64 v[62:63], s[50:51], 0, v[62:63]
	flat_load_dwordx2 v[62:63], v[62:63]
.LBB1323_75:
	s_or_b64 exec, exec, s[0:1]
	v_lshl_add_u32 v69, v0, 2, v66
	v_mul_u32_u24_e32 v65, 21, v0
	s_waitcnt vmcnt(0) lgkmcnt(0)
	ds_write2st64_b64 v69, v[2:3], v[6:7] offset1:4
	ds_write2st64_b64 v69, v[10:11], v[14:15] offset0:8 offset1:12
	ds_write2st64_b64 v69, v[16:17], v[18:19] offset0:16 offset1:20
	;; [unrolled: 1-line block ×9, first 2 shown]
	ds_write_b64 v69, v[62:63] offset:40960
	v_mov_b64_e32 v[10:11], 0
	v_cmp_gt_u32_e32 vcc, s65, v65
	s_mov_b64 s[6:7], 0
	s_mov_b64 s[10:11], 0
	s_mov_b32 s64, 0
	v_mov_b32_e32 v128, 0
	v_mov_b32_e32 v122, 0
	;; [unrolled: 1-line block ×5, first 2 shown]
	v_mov_b64_e32 v[70:71], v[10:11]
	v_mov_b64_e32 v[78:79], v[10:11]
	;; [unrolled: 1-line block ×8, first 2 shown]
	v_mov_b32_e32 v124, 0
	v_mov_b64_e32 v[38:39], v[10:11]
	v_mov_b64_e32 v[50:51], v[10:11]
	v_mov_b64_e32 v[30:31], v[10:11]
	v_mov_b64_e32 v[42:43], v[10:11]
	v_mov_b64_e32 v[22:23], v[10:11]
	v_mov_b32_e32 v123, 0
	v_mov_b64_e32 v[34:35], v[10:11]
	v_mov_b64_e32 v[18:19], v[10:11]
	;; [unrolled: 1-line block ×5, first 2 shown]
	v_mov_b32_e32 v1, 0
	v_mov_b64_e32 v[2:3], v[10:11]
	s_waitcnt lgkmcnt(0)
	s_barrier
	s_waitcnt lgkmcnt(0)
                                        ; implicit-def: $sgpr0_sgpr1
                                        ; implicit-def: $vgpr83
                                        ; implicit-def: $vgpr82
                                        ; implicit-def: $vgpr84
                                        ; implicit-def: $vgpr85
	s_and_saveexec_b64 s[12:13], vcc
	s_cbranch_execz .LBB1323_115
; %bb.76:
	s_movk_i32 s0, 0xa0
	v_mad_u32_u24 v2, v0, s0, v69
	ds_read_b64 v[2:3], v2
	v_cmp_ne_u32_e32 vcc, v68, v36
	v_add_u32_e32 v6, 1, v65
	v_mov_b64_e32 v[10:11], 0
	v_cndmask_b32_e64 v1, 0, 1, vcc
	v_cmp_gt_u32_e32 vcc, s65, v6
	s_mov_b64 s[18:19], 0
	v_mov_b32_e32 v128, 0
	v_mov_b32_e32 v122, 0
	;; [unrolled: 1-line block ×5, first 2 shown]
	v_mov_b64_e32 v[70:71], v[10:11]
	v_mov_b64_e32 v[78:79], v[10:11]
	;; [unrolled: 1-line block ×8, first 2 shown]
	v_mov_b32_e32 v124, 0
	v_mov_b64_e32 v[38:39], v[10:11]
	v_mov_b64_e32 v[50:51], v[10:11]
	;; [unrolled: 1-line block ×5, first 2 shown]
	v_mov_b32_e32 v123, 0
	v_mov_b64_e32 v[34:35], v[10:11]
	v_mov_b64_e32 v[18:19], v[10:11]
	;; [unrolled: 1-line block ×5, first 2 shown]
                                        ; implicit-def: $sgpr0_sgpr1
                                        ; implicit-def: $vgpr83
                                        ; implicit-def: $vgpr82
                                        ; implicit-def: $vgpr84
                                        ; implicit-def: $vgpr85
	s_and_saveexec_b64 s[14:15], vcc
	s_cbranch_execz .LBB1323_114
; %bb.77:
	v_mul_u32_u24_e32 v6, 0xa0, v0
	v_add_u32_e32 v48, v69, v6
	ds_read2_b64 v[14:17], v48 offset0:1 offset1:2
	v_cmp_ne_u32_e64 s[0:1], v36, v37
	v_add_u32_e32 v6, 2, v65
	v_mov_b64_e32 v[10:11], 0
	v_cmp_ne_u32_e32 vcc, v28, v29
	v_cmp_ne_u32_e64 s[6:7], v29, v32
	v_cmp_ne_u32_e64 s[8:9], v37, v28
	v_cndmask_b32_e64 v128, 0, 1, s[0:1]
	v_cmp_gt_u32_e64 s[0:1], s65, v6
	s_mov_b64 s[20:21], 0
	v_mov_b32_e32 v127, 0
	v_mov_b32_e32 v122, 0
	v_mov_b32_e32 v126, 0
	v_mov_b32_e32 v125, 0
	v_mov_b64_e32 v[70:71], v[10:11]
	v_mov_b64_e32 v[78:79], v[10:11]
	;; [unrolled: 1-line block ×8, first 2 shown]
	v_mov_b32_e32 v124, 0
	v_mov_b64_e32 v[38:39], v[10:11]
	v_mov_b64_e32 v[50:51], v[10:11]
	;; [unrolled: 1-line block ×5, first 2 shown]
	v_mov_b32_e32 v123, 0
	v_mov_b64_e32 v[34:35], v[10:11]
	v_mov_b64_e32 v[18:19], v[10:11]
	;; [unrolled: 1-line block ×4, first 2 shown]
                                        ; implicit-def: $sgpr22_sgpr23
                                        ; implicit-def: $vgpr83
                                        ; implicit-def: $vgpr82
                                        ; implicit-def: $vgpr84
                                        ; implicit-def: $vgpr85
	s_and_saveexec_b64 s[16:17], s[0:1]
	s_cbranch_execz .LBB1323_113
; %bb.78:
	v_cndmask_b32_e64 v6, 0, 1, s[8:9]
	v_cndmask_b32_e64 v7, 0, 1, s[6:7]
	v_lshlrev_b16_e32 v6, 8, v6
	v_lshlrev_b16_e32 v7, 8, v7
	v_cndmask_b32_e64 v10, 0, 1, vcc
	v_or_b32_e32 v6, v128, v6
	v_or_b32_sdwa v7, v10, v7 dst_sel:WORD_1 dst_unused:UNUSED_PAD src0_sel:DWORD src1_sel:DWORD
	v_add_u32_e32 v10, 3, v65
	v_or_b32_sdwa v83, v6, v7 dst_sel:DWORD dst_unused:UNUSED_PAD src0_sel:WORD_0 src1_sel:DWORD
	v_cmp_gt_u32_e32 vcc, s65, v10
	v_mov_b64_e32 v[10:11], 0
	v_and_b32_e32 v128, 0xffff, v83
	s_waitcnt lgkmcnt(0)
	v_mov_b32_e32 v6, v16
	v_mov_b32_e32 v7, v17
	s_mov_b64 s[0:1], 0
	v_mov_b32_e32 v127, 0
	v_mov_b32_e32 v122, 0
	;; [unrolled: 1-line block ×4, first 2 shown]
	v_mov_b64_e32 v[70:71], v[10:11]
	v_mov_b64_e32 v[78:79], v[10:11]
	;; [unrolled: 1-line block ×8, first 2 shown]
	v_mov_b32_e32 v124, 0
	v_mov_b64_e32 v[38:39], v[10:11]
	v_mov_b64_e32 v[50:51], v[10:11]
	;; [unrolled: 1-line block ×5, first 2 shown]
	v_mov_b32_e32 v123, 0
	v_mov_b64_e32 v[34:35], v[10:11]
	v_mov_b64_e32 v[18:19], v[10:11]
	v_mov_b64_e32 v[26:27], v[10:11]
                                        ; implicit-def: $sgpr6_sgpr7
                                        ; implicit-def: $vgpr82
                                        ; implicit-def: $vgpr84
                                        ; implicit-def: $vgpr85
	s_and_saveexec_b64 s[18:19], vcc
	s_cbranch_execz .LBB1323_112
; %bb.79:
	ds_read2_b64 v[26:29], v48 offset0:3 offset1:4
	v_add_u32_e32 v10, 4, v65
	v_cmp_gt_u32_e32 vcc, s65, v10
	v_mov_b64_e32 v[10:11], 0
	v_and_b32_e32 v128, 0xffffff, v83
	s_mov_b64 s[6:7], 0
	v_mov_b32_e32 v127, 0
	v_mov_b32_e32 v122, 0
	;; [unrolled: 1-line block ×4, first 2 shown]
	v_mov_b64_e32 v[70:71], v[10:11]
	v_mov_b64_e32 v[78:79], v[10:11]
	;; [unrolled: 1-line block ×8, first 2 shown]
	v_mov_b32_e32 v124, 0
	v_mov_b64_e32 v[38:39], v[10:11]
	v_mov_b64_e32 v[50:51], v[10:11]
	;; [unrolled: 1-line block ×5, first 2 shown]
	v_mov_b32_e32 v123, 0
	v_mov_b64_e32 v[34:35], v[10:11]
	v_mov_b64_e32 v[18:19], v[10:11]
                                        ; implicit-def: $sgpr8_sgpr9
                                        ; implicit-def: $vgpr82
                                        ; implicit-def: $vgpr84
                                        ; implicit-def: $vgpr85
	s_and_saveexec_b64 s[20:21], vcc
	s_cbranch_execz .LBB1323_111
; %bb.80:
	v_add_u32_e32 v10, 5, v65
	v_cmp_gt_u32_e32 vcc, s65, v10
	v_mov_b64_e32 v[10:11], 0
	s_waitcnt lgkmcnt(0)
	v_mov_b32_e32 v18, v28
	v_mov_b32_e32 v19, v29
	;; [unrolled: 1-line block ×6, first 2 shown]
	v_mov_b64_e32 v[70:71], v[10:11]
	v_mov_b64_e32 v[78:79], v[10:11]
	v_mov_b64_e32 v[62:63], v[10:11]
	v_mov_b64_e32 v[74:75], v[10:11]
	v_mov_b64_e32 v[54:55], v[10:11]
	v_mov_b64_e32 v[66:67], v[10:11]
	v_mov_b64_e32 v[46:47], v[10:11]
	v_mov_b64_e32 v[58:59], v[10:11]
	v_mov_b32_e32 v124, 0
	v_mov_b64_e32 v[38:39], v[10:11]
	v_mov_b64_e32 v[50:51], v[10:11]
	;; [unrolled: 1-line block ×5, first 2 shown]
	v_mov_b32_e32 v123, 0
	v_mov_b64_e32 v[34:35], v[10:11]
                                        ; implicit-def: $sgpr8_sgpr9
                                        ; implicit-def: $vgpr82
                                        ; implicit-def: $vgpr84
                                        ; implicit-def: $vgpr85
	s_and_saveexec_b64 s[22:23], vcc
	s_cbranch_execz .LBB1323_110
; %bb.81:
	ds_read2_b64 v[34:37], v48 offset0:5 offset1:6
	v_cmp_ne_u32_e32 vcc, v32, v44
	v_add_u32_e32 v10, 6, v65
	s_mov_b64 s[28:29], 0
	v_cndmask_b32_e64 v123, 0, 1, vcc
	v_cmp_gt_u32_e32 vcc, s65, v10
	v_mov_b64_e32 v[10:11], 0
	v_mov_b32_e32 v127, 0
	v_mov_b32_e32 v122, 0
	;; [unrolled: 1-line block ×4, first 2 shown]
	v_mov_b64_e32 v[70:71], v[10:11]
	v_mov_b64_e32 v[78:79], v[10:11]
	;; [unrolled: 1-line block ×8, first 2 shown]
	v_mov_b32_e32 v124, 0
	v_mov_b64_e32 v[38:39], v[10:11]
	v_mov_b64_e32 v[50:51], v[10:11]
	;; [unrolled: 1-line block ×5, first 2 shown]
                                        ; implicit-def: $sgpr6_sgpr7
                                        ; implicit-def: $vgpr82
                                        ; implicit-def: $vgpr84
                                        ; implicit-def: $vgpr85
	s_and_saveexec_b64 s[24:25], vcc
	s_cbranch_execz .LBB1323_109
; %bb.82:
	v_cmp_ne_u32_e64 s[0:1], v44, v45
	v_add_u32_e32 v10, 7, v65
	s_waitcnt lgkmcnt(0)
	v_mov_b32_e32 v22, v36
	v_cndmask_b32_e64 v127, 0, 1, s[0:1]
	v_cmp_gt_u32_e64 s[0:1], s65, v10
	v_mov_b64_e32 v[10:11], 0
	v_mov_b32_e32 v23, v37
	v_cmp_ne_u32_e32 vcc, v40, v41
	v_cmp_ne_u32_e64 s[6:7], v41, v33
	v_cmp_ne_u32_e64 s[8:9], v45, v40
	s_mov_b64 s[30:31], 0
	v_mov_b32_e32 v126, 0
	v_mov_b32_e32 v122, 0
	;; [unrolled: 1-line block ×3, first 2 shown]
	v_mov_b64_e32 v[70:71], v[10:11]
	v_mov_b64_e32 v[78:79], v[10:11]
	;; [unrolled: 1-line block ×8, first 2 shown]
	v_mov_b32_e32 v124, 0
	v_mov_b64_e32 v[38:39], v[10:11]
	v_mov_b64_e32 v[50:51], v[10:11]
	;; [unrolled: 1-line block ×4, first 2 shown]
                                        ; implicit-def: $sgpr34_sgpr35
                                        ; implicit-def: $vgpr82
                                        ; implicit-def: $vgpr84
                                        ; implicit-def: $vgpr85
	s_and_saveexec_b64 s[26:27], s[0:1]
	s_cbranch_execz .LBB1323_108
; %bb.83:
	v_cndmask_b32_e64 v10, 0, 1, s[8:9]
	v_cndmask_b32_e64 v11, 0, 1, s[6:7]
	v_lshlrev_b16_e32 v10, 8, v10
	v_lshlrev_b16_e32 v11, 8, v11
	v_cndmask_b32_e64 v16, 0, 1, vcc
	ds_read2_b64 v[42:45], v48 offset0:7 offset1:8
	v_or_b32_e32 v10, v127, v10
	v_or_b32_sdwa v11, v16, v11 dst_sel:WORD_1 dst_unused:UNUSED_PAD src0_sel:DWORD src1_sel:DWORD
	s_mov_b64 s[0:1], 0
	v_or_b32_sdwa v82, v10, v11 dst_sel:DWORD dst_unused:UNUSED_PAD src0_sel:WORD_0 src1_sel:DWORD
	v_add_u32_e32 v10, 8, v65
	v_cmp_gt_u32_e32 vcc, s65, v10
	v_mov_b64_e32 v[10:11], 0
	v_and_b32_e32 v127, 0xffff, v82
	v_mov_b32_e32 v126, 0
	v_mov_b32_e32 v122, 0
	;; [unrolled: 1-line block ×3, first 2 shown]
	v_mov_b64_e32 v[70:71], v[10:11]
	v_mov_b64_e32 v[78:79], v[10:11]
	;; [unrolled: 1-line block ×8, first 2 shown]
	v_mov_b32_e32 v124, 0
	v_mov_b64_e32 v[38:39], v[10:11]
	v_mov_b64_e32 v[50:51], v[10:11]
	v_mov_b64_e32 v[30:31], v[10:11]
                                        ; implicit-def: $sgpr6_sgpr7
                                        ; implicit-def: $vgpr84
                                        ; implicit-def: $vgpr85
	s_and_saveexec_b64 s[28:29], vcc
	s_cbranch_execz .LBB1323_107
; %bb.84:
	v_add_u32_e32 v10, 9, v65
	v_cmp_gt_u32_e32 vcc, s65, v10
	v_mov_b64_e32 v[10:11], 0
	s_waitcnt lgkmcnt(0)
	v_mov_b32_e32 v30, v44
	v_mov_b32_e32 v31, v45
	v_and_b32_e32 v127, 0xffffff, v82
	s_mov_b64 s[6:7], 0
	v_mov_b32_e32 v126, 0
	v_mov_b32_e32 v122, 0
	;; [unrolled: 1-line block ×3, first 2 shown]
	v_mov_b64_e32 v[70:71], v[10:11]
	v_mov_b64_e32 v[78:79], v[10:11]
	;; [unrolled: 1-line block ×8, first 2 shown]
	v_mov_b32_e32 v124, 0
	v_mov_b64_e32 v[38:39], v[10:11]
	v_mov_b64_e32 v[50:51], v[10:11]
                                        ; implicit-def: $sgpr8_sgpr9
                                        ; implicit-def: $vgpr84
                                        ; implicit-def: $vgpr85
	s_and_saveexec_b64 s[30:31], vcc
	s_cbranch_execz .LBB1323_106
; %bb.85:
	ds_read2_b64 v[50:53], v48 offset0:9 offset1:10
	v_add_u32_e32 v10, 10, v65
	v_cmp_gt_u32_e32 vcc, s65, v10
	v_mov_b64_e32 v[10:11], 0
	v_mov_b32_e32 v126, 0
	v_mov_b32_e32 v122, 0
	;; [unrolled: 1-line block ×3, first 2 shown]
	v_mov_b64_e32 v[70:71], v[10:11]
	v_mov_b64_e32 v[78:79], v[10:11]
	;; [unrolled: 1-line block ×8, first 2 shown]
	v_mov_b32_e32 v124, 0
	v_mov_b64_e32 v[38:39], v[10:11]
                                        ; implicit-def: $sgpr8_sgpr9
                                        ; implicit-def: $vgpr84
                                        ; implicit-def: $vgpr85
	s_and_saveexec_b64 s[34:35], vcc
	s_cbranch_execz .LBB1323_105
; %bb.86:
	v_cmp_ne_u32_e32 vcc, v33, v24
	v_add_u32_e32 v10, 11, v65
	s_waitcnt lgkmcnt(0)
	v_mov_b32_e32 v38, v52
	v_cndmask_b32_e64 v124, 0, 1, vcc
	v_cmp_gt_u32_e32 vcc, s65, v10
	v_mov_b64_e32 v[10:11], 0
	v_mov_b32_e32 v39, v53
	s_mov_b64 s[40:41], 0
	v_mov_b32_e32 v126, 0
	v_mov_b32_e32 v122, 0
	v_mov_b32_e32 v125, 0
	v_mov_b64_e32 v[70:71], v[10:11]
	v_mov_b64_e32 v[78:79], v[10:11]
	;; [unrolled: 1-line block ×8, first 2 shown]
                                        ; implicit-def: $sgpr6_sgpr7
                                        ; implicit-def: $vgpr84
                                        ; implicit-def: $vgpr85
	s_and_saveexec_b64 s[36:37], vcc
	s_cbranch_execz .LBB1323_104
; %bb.87:
	ds_read2_b64 v[58:61], v48 offset0:11 offset1:12
	v_cmp_ne_u32_e64 s[0:1], v24, v25
	v_add_u32_e32 v10, 12, v65
	v_cmp_ne_u32_e32 vcc, v20, v21
	v_cndmask_b32_e64 v126, 0, 1, s[0:1]
	v_cmp_gt_u32_e64 s[0:1], s65, v10
	v_mov_b64_e32 v[10:11], 0
	v_cmp_ne_u32_e64 s[6:7], v21, v64
	v_cmp_ne_u32_e64 s[8:9], v25, v20
	s_mov_b64 s[42:43], 0
	v_mov_b32_e32 v125, 0
	v_mov_b32_e32 v122, 0
	v_mov_b64_e32 v[70:71], v[10:11]
	v_mov_b64_e32 v[78:79], v[10:11]
	v_mov_b64_e32 v[62:63], v[10:11]
	v_mov_b64_e32 v[74:75], v[10:11]
	v_mov_b64_e32 v[54:55], v[10:11]
	v_mov_b64_e32 v[66:67], v[10:11]
	v_mov_b64_e32 v[46:47], v[10:11]
                                        ; implicit-def: $sgpr44_sgpr45
                                        ; implicit-def: $vgpr84
                                        ; implicit-def: $vgpr85
	s_and_saveexec_b64 s[38:39], s[0:1]
	s_cbranch_execz .LBB1323_103
; %bb.88:
	v_cndmask_b32_e64 v10, 0, 1, s[8:9]
	v_cndmask_b32_e64 v11, 0, 1, s[6:7]
	v_lshlrev_b16_e32 v10, 8, v10
	v_lshlrev_b16_e32 v11, 8, v11
	v_cndmask_b32_e64 v16, 0, 1, vcc
	v_or_b32_e32 v10, v126, v10
	v_or_b32_sdwa v11, v16, v11 dst_sel:WORD_1 dst_unused:UNUSED_PAD src0_sel:DWORD src1_sel:DWORD
	s_mov_b64 s[72:73], s[60:61]
	v_or_b32_sdwa v84, v10, v11 dst_sel:DWORD dst_unused:UNUSED_PAD src0_sel:WORD_0 src1_sel:DWORD
	v_add_u32_e32 v10, 13, v65
	v_cmp_gt_u32_e32 vcc, s65, v10
	v_mov_b64_e32 v[10:11], 0
	s_mov_b64 s[70:71], s[66:67]
	s_mov_b64 s[66:67], s[62:63]
	v_and_b32_e32 v126, 0xffff, v84
	s_waitcnt lgkmcnt(0)
	v_mov_b32_e32 v46, v60
	v_mov_b32_e32 v47, v61
	s_mov_b64 s[0:1], 0
	v_mov_b32_e32 v125, 0
	v_mov_b32_e32 v122, 0
	v_mov_b64_e32 v[70:71], v[10:11]
	v_mov_b64_e32 v[78:79], v[10:11]
	;; [unrolled: 1-line block ×6, first 2 shown]
                                        ; implicit-def: $sgpr6_sgpr7
                                        ; implicit-def: $vgpr85
	s_and_saveexec_b64 s[40:41], vcc
	s_cbranch_execz .LBB1323_102
; %bb.89:
	ds_read2_b64 v[66:69], v48 offset0:13 offset1:14
	v_add_u32_e32 v10, 14, v65
	v_cmp_gt_u32_e32 vcc, s65, v10
	v_mov_b64_e32 v[10:11], 0
	v_and_b32_e32 v126, 0xffffff, v84
	s_mov_b64 s[6:7], 0
	v_mov_b32_e32 v125, 0
	v_mov_b32_e32 v122, 0
	v_mov_b64_e32 v[70:71], v[10:11]
	v_mov_b64_e32 v[78:79], v[10:11]
	;; [unrolled: 1-line block ×5, first 2 shown]
                                        ; implicit-def: $sgpr8_sgpr9
                                        ; implicit-def: $vgpr85
	s_and_saveexec_b64 s[42:43], vcc
	s_cbranch_execz .LBB1323_101
; %bb.90:
	v_add_u32_e32 v10, 15, v65
	v_cmp_gt_u32_e32 vcc, s65, v10
	v_mov_b64_e32 v[10:11], 0
	s_waitcnt lgkmcnt(0)
	v_mov_b32_e32 v54, v68
	v_mov_b32_e32 v55, v69
	;; [unrolled: 1-line block ×4, first 2 shown]
	v_mov_b64_e32 v[70:71], v[10:11]
	v_mov_b64_e32 v[78:79], v[10:11]
	;; [unrolled: 1-line block ×4, first 2 shown]
                                        ; implicit-def: $sgpr8_sgpr9
                                        ; implicit-def: $vgpr85
	s_and_saveexec_b64 s[44:45], vcc
	s_cbranch_execz .LBB1323_100
; %bb.91:
	ds_read2_b64 v[74:77], v48 offset0:15 offset1:16
	v_cmp_ne_u32_e32 vcc, v64, v8
	v_add_u32_e32 v10, 16, v65
	s_mov_b64 s[58:59], 0
	v_cndmask_b32_e64 v122, 0, 1, vcc
	v_cmp_gt_u32_e32 vcc, s65, v10
	v_mov_b64_e32 v[10:11], 0
	v_mov_b32_e32 v125, 0
	v_mov_b64_e32 v[70:71], v[10:11]
	v_mov_b64_e32 v[78:79], v[10:11]
	;; [unrolled: 1-line block ×3, first 2 shown]
                                        ; implicit-def: $sgpr6_sgpr7
                                        ; implicit-def: $vgpr85
	s_and_saveexec_b64 s[46:47], vcc
	s_cbranch_execz .LBB1323_99
; %bb.92:
	v_cmp_ne_u32_e64 s[0:1], v8, v9
	v_add_u32_e32 v8, 17, v65
	v_mov_b64_e32 v[10:11], 0
	s_waitcnt lgkmcnt(0)
	v_mov_b32_e32 v62, v76
	v_mov_b32_e32 v63, v77
	v_cmp_ne_u32_e32 vcc, v12, v13
	v_cmp_ne_u32_e64 s[6:7], v13, v4
	v_cmp_ne_u32_e64 s[8:9], v9, v12
	v_cndmask_b32_e64 v125, 0, 1, s[0:1]
	v_cmp_gt_u32_e64 s[0:1], s65, v8
	s_mov_b64 s[60:61], 0
	v_mov_b64_e32 v[70:71], v[10:11]
	v_mov_b64_e32 v[78:79], v[10:11]
                                        ; implicit-def: $sgpr62_sgpr63
                                        ; implicit-def: $vgpr85
	s_and_saveexec_b64 s[48:49], s[0:1]
	s_cbranch_execz .LBB1323_98
; %bb.93:
	v_cndmask_b32_e64 v8, 0, 1, s[8:9]
	v_cndmask_b32_e64 v9, 0, 1, s[6:7]
	ds_read2_b64 v[78:81], v48 offset0:17 offset1:18
	v_lshlrev_b16_e32 v8, 8, v8
	v_lshlrev_b16_e32 v9, 8, v9
	v_cndmask_b32_e64 v10, 0, 1, vcc
	v_or_b32_e32 v8, v125, v8
	v_or_b32_sdwa v9, v10, v9 dst_sel:WORD_1 dst_unused:UNUSED_PAD src0_sel:DWORD src1_sel:DWORD
	v_mov_b64_e32 v[10:11], 0
	v_or_b32_sdwa v85, v8, v9 dst_sel:DWORD dst_unused:UNUSED_PAD src0_sel:WORD_0 src1_sel:DWORD
	v_add_u32_e32 v8, 18, v65
	v_and_b32_e32 v125, 0xffff, v85
	v_cmp_gt_u32_e32 vcc, s65, v8
	s_mov_b64 s[0:1], 0
	v_mov_b64_e32 v[70:71], v[10:11]
                                        ; implicit-def: $sgpr8_sgpr9
	s_and_saveexec_b64 s[6:7], vcc
	s_cbranch_execz .LBB1323_97
; %bb.94:
	v_add_u32_e32 v8, 19, v65
	s_waitcnt lgkmcnt(0)
	v_mov_b32_e32 v70, v80
	v_mov_b32_e32 v71, v81
	v_cmp_gt_u32_e32 vcc, s65, v8
	v_and_b32_e32 v125, 0xffffff, v85
	v_mov_b64_e32 v[10:11], 0
                                        ; implicit-def: $sgpr8_sgpr9
	s_and_saveexec_b64 s[58:59], vcc
	s_xor_b64 s[58:59], exec, s[58:59]
	s_cbranch_execz .LBB1323_96
; %bb.95:
	ds_read2_b64 v[10:13], v48 offset0:19 offset1:20
	v_cmp_ne_u32_e32 vcc, v4, v5
	v_add_u32_e32 v4, 20, v65
	v_cmp_gt_u32_e64 s[0:1], s65, v4
	s_and_b64 s[8:9], vcc, exec
	s_and_b64 s[0:1], s[0:1], exec
	s_waitcnt lgkmcnt(0)
	v_mov_b64_e32 v[72:73], v[10:11]
	v_mov_b32_e32 v125, v85
.LBB1323_96:
	s_or_b64 exec, exec, s[58:59]
	s_and_b64 s[8:9], s[8:9], exec
	s_and_b64 s[60:61], s[0:1], exec
.LBB1323_97:
	s_or_b64 exec, exec, s[6:7]
	s_and_b64 s[62:63], s[8:9], exec
	s_and_b64 s[58:59], s[60:61], exec
	s_waitcnt lgkmcnt(0)
	v_mov_b64_e32 v[64:65], v[78:79]
	v_mov_b64_e32 v[56:57], v[74:75]
	v_mov_b64_e32 v[48:49], v[66:67]
	v_mov_b64_e32 v[40:41], v[58:59]
	v_mov_b64_e32 v[32:33], v[50:51]
	v_mov_b64_e32 v[24:25], v[42:43]
	v_mov_b64_e32 v[20:21], v[34:35]
	v_mov_b64_e32 v[8:9], v[26:27]
	v_mov_b64_e32 v[4:5], v[14:15]
.LBB1323_98:
	s_or_b64 exec, exec, s[48:49]
	s_and_b64 s[6:7], s[62:63], exec
	s_and_b64 s[0:1], s[58:59], exec
.LBB1323_99:
	s_or_b64 exec, exec, s[46:47]
	s_and_b64 s[8:9], s[6:7], exec
	s_and_b64 s[6:7], s[0:1], exec
.LBB1323_100:
	s_or_b64 exec, exec, s[44:45]
	s_and_b64 s[8:9], s[8:9], exec
	s_and_b64 s[0:1], s[6:7], exec
	v_mov_b32_e32 v126, v84
.LBB1323_101:
	s_or_b64 exec, exec, s[42:43]
	s_and_b64 s[6:7], s[8:9], exec
	s_and_b64 s[42:43], s[0:1], exec
.LBB1323_102:
	s_or_b64 exec, exec, s[40:41]
	s_and_b64 s[44:45], s[6:7], exec
	s_and_b64 s[40:41], s[42:43], exec
	s_mov_b64 s[62:63], s[66:67]
	s_mov_b64 s[66:67], s[70:71]
	;; [unrolled: 1-line block ×3, first 2 shown]
.LBB1323_103:
	s_or_b64 exec, exec, s[38:39]
	s_and_b64 s[6:7], s[44:45], exec
	s_and_b64 s[0:1], s[40:41], exec
.LBB1323_104:
	s_or_b64 exec, exec, s[36:37]
	s_and_b64 s[8:9], s[6:7], exec
	s_and_b64 s[6:7], s[0:1], exec
.LBB1323_105:
	s_or_b64 exec, exec, s[34:35]
	s_and_b64 s[8:9], s[8:9], exec
	s_and_b64 s[0:1], s[6:7], exec
	v_mov_b32_e32 v127, v82
.LBB1323_106:
	s_or_b64 exec, exec, s[30:31]
	s_and_b64 s[6:7], s[8:9], exec
	s_and_b64 s[30:31], s[0:1], exec
.LBB1323_107:
	s_or_b64 exec, exec, s[28:29]
	s_and_b64 s[34:35], s[6:7], exec
	s_and_b64 s[28:29], s[30:31], exec
.LBB1323_108:
	s_or_b64 exec, exec, s[26:27]
	s_and_b64 s[6:7], s[34:35], exec
	s_and_b64 s[0:1], s[28:29], exec
.LBB1323_109:
	s_or_b64 exec, exec, s[24:25]
	s_and_b64 s[8:9], s[6:7], exec
	s_and_b64 s[6:7], s[0:1], exec
.LBB1323_110:
	s_or_b64 exec, exec, s[22:23]
	s_and_b64 s[8:9], s[8:9], exec
	s_and_b64 s[0:1], s[6:7], exec
	v_mov_b32_e32 v128, v83
.LBB1323_111:
	s_or_b64 exec, exec, s[20:21]
	s_and_b64 s[6:7], s[8:9], exec
	s_and_b64 s[20:21], s[0:1], exec
.LBB1323_112:
	s_or_b64 exec, exec, s[18:19]
	s_and_b64 s[22:23], s[6:7], exec
	s_and_b64 s[18:19], s[20:21], exec
.LBB1323_113:
	s_or_b64 exec, exec, s[16:17]
	s_and_b64 s[0:1], s[22:23], exec
	s_and_b64 s[6:7], s[18:19], exec
.LBB1323_114:
	s_or_b64 exec, exec, s[14:15]
	s_and_b64 s[0:1], s[0:1], exec
	s_and_b64 s[6:7], s[6:7], exec
.LBB1323_115:
	s_or_b64 exec, exec, s[12:13]
	s_mov_b64 s[8:9], 0
	s_and_b64 vcc, exec, s[10:11]
	s_cbranch_vccnz .LBB1323_117
	s_branch .LBB1323_125
.LBB1323_116:
                                        ; implicit-def: $sgpr0_sgpr1
                                        ; implicit-def: $vgpr83
                                        ; implicit-def: $vgpr82
                                        ; implicit-def: $vgpr84
                                        ; implicit-def: $vgpr85
                                        ; implicit-def: $vgpr12_vgpr13
                                        ; implicit-def: $vgpr72_vgpr73
                                        ; implicit-def: $vgpr64_vgpr65
                                        ; implicit-def: $vgpr122
                                        ; implicit-def: $vgpr56_vgpr57
                                        ; implicit-def: $vgpr48_vgpr49
                                        ; implicit-def: $vgpr40_vgpr41
                                        ; implicit-def: $vgpr124
                                        ; implicit-def: $vgpr32_vgpr33
                                        ; implicit-def: $vgpr24_vgpr25
                                        ; implicit-def: $vgpr123
                                        ; implicit-def: $vgpr20_vgpr21
                                        ; implicit-def: $vgpr8_vgpr9
                                        ; implicit-def: $vgpr4_vgpr5
                                        ; implicit-def: $vgpr1
                                        ; implicit-def: $vgpr128
                                        ; implicit-def: $vgpr127
                                        ; implicit-def: $vgpr126
                                        ; implicit-def: $vgpr125
                                        ; implicit-def: $sgpr64
                                        ; implicit-def: $sgpr8_sgpr9
                                        ; implicit-def: $vgpr78_vgpr79
                                        ; implicit-def: $vgpr74_vgpr75
                                        ; implicit-def: $vgpr66_vgpr67
                                        ; implicit-def: $vgpr58_vgpr59
                                        ; implicit-def: $vgpr50_vgpr51
                                        ; implicit-def: $vgpr42_vgpr43
                                        ; implicit-def: $vgpr34_vgpr35
                                        ; implicit-def: $vgpr26_vgpr27
                                        ; implicit-def: $vgpr14_vgpr15
	s_and_b64 vcc, exec, s[10:11]
	s_cbranch_vccz .LBB1323_125
.LBB1323_117:
	s_waitcnt lgkmcnt(0)
	v_mov_b32_e32 v3, 0
	v_lshlrev_b32_e32 v2, 2, v0
	v_lshl_add_u64 v[4:5], s[52:53], 0, v[2:3]
	v_add_co_u32_e32 v6, vcc, 0x1000, v4
	s_movk_i32 s0, 0x50
	s_nop 0
	v_addc_co_u32_e32 v7, vcc, 0, v5, vcc
	flat_load_dword v1, v[4:5]
	flat_load_dword v3, v[4:5] offset:1024
	flat_load_dword v10, v[4:5] offset:2048
	;; [unrolled: 1-line block ×3, first 2 shown]
	flat_load_dword v12, v[6:7]
	flat_load_dword v13, v[6:7] offset:1024
	flat_load_dword v14, v[6:7] offset:2048
	;; [unrolled: 1-line block ×3, first 2 shown]
	v_add_co_u32_e32 v6, vcc, 0x2000, v4
	v_mad_u32_u24 v23, v0, s0, v2
	s_nop 0
	v_addc_co_u32_e32 v7, vcc, 0, v5, vcc
	v_add_co_u32_e32 v8, vcc, 0x3000, v4
	s_cmp_eq_u64 s[56:57], 0
	s_nop 0
	v_addc_co_u32_e32 v9, vcc, 0, v5, vcc
	flat_load_dword v16, v[6:7]
	flat_load_dword v17, v[6:7] offset:1024
	flat_load_dword v18, v[6:7] offset:2048
	;; [unrolled: 1-line block ×3, first 2 shown]
	flat_load_dword v20, v[8:9]
	flat_load_dword v21, v[8:9] offset:1024
	flat_load_dword v22, v[8:9] offset:2048
	;; [unrolled: 1-line block ×3, first 2 shown]
	v_add_co_u32_e32 v6, vcc, 0x4000, v4
	s_nop 1
	v_addc_co_u32_e32 v7, vcc, 0, v5, vcc
	v_add_co_u32_e32 v4, vcc, 0x5000, v4
	s_nop 1
	v_addc_co_u32_e32 v5, vcc, 0, v5, vcc
	flat_load_dword v8, v[6:7]
	flat_load_dword v9, v[6:7] offset:1024
	flat_load_dword v25, v[6:7] offset:2048
	;; [unrolled: 1-line block ×3, first 2 shown]
	flat_load_dword v27, v[4:5]
	s_waitcnt vmcnt(0) lgkmcnt(0)
	ds_write2st64_b32 v2, v1, v3 offset1:4
	ds_write2st64_b32 v2, v10, v11 offset0:8 offset1:12
	ds_write2st64_b32 v2, v12, v13 offset0:16 offset1:20
	;; [unrolled: 1-line block ×9, first 2 shown]
	ds_write_b32 v2, v27 offset:20480
	s_waitcnt lgkmcnt(0)
	s_barrier
	ds_read2_b32 v[8:9], v23 offset0:7 offset1:8
	ds_read2_b32 v[6:7], v23 offset0:5 offset1:6
	;; [unrolled: 1-line block ×3, first 2 shown]
	ds_read2_b32 v[10:11], v23 offset1:1
	ds_read2_b32 v[4:5], v23 offset0:4 offset1:9
	ds_read2_b32 v[16:17], v23 offset0:15 offset1:16
	ds_read_b32 v22, v23 offset:56
	ds_read2_b32 v[14:15], v23 offset0:12 offset1:13
	ds_read2_b32 v[12:13], v23 offset0:10 offset1:11
	;; [unrolled: 1-line block ×4, first 2 shown]
	s_cbranch_scc1 .LBB1323_122
; %bb.118:
	s_andn2_b64 vcc, exec, s[54:55]
	s_cbranch_vccnz .LBB1323_296
; %bb.119:
	s_lshl_b64 s[0:1], s[56:57], 2
	s_add_u32 s0, s66, s0
	s_addc_u32 s1, s67, s1
	s_add_u32 s0, s0, -4
	s_addc_u32 s1, s1, -1
	s_cbranch_execnz .LBB1323_121
.LBB1323_120:
	s_add_u32 s0, s52, -4
	s_addc_u32 s1, s53, -1
.LBB1323_121:
	s_mov_b64 s[52:53], s[0:1]
.LBB1323_122:
	v_mov_b64_e32 v[24:25], s[52:53]
	flat_load_dword v1, v[24:25]
	s_movk_i32 s0, 0xffb0
	v_mad_i32_i24 v23, v0, s0, v23
	s_waitcnt lgkmcnt(0)
	ds_write_b32 v23, v21 offset:21504
	s_waitcnt lgkmcnt(0)
	s_barrier
	s_and_saveexec_b64 s[0:1], s[4:5]
	s_cbranch_execz .LBB1323_124
; %bb.123:
	s_waitcnt vmcnt(0)
	ds_read_b32 v1, v23 offset:21500
.LBB1323_124:
	s_or_b64 exec, exec, s[0:1]
	v_lshlrev_b32_e32 v24, 3, v0
	v_mov_b32_e32 v25, 0
	v_lshl_add_u64 v[24:25], s[50:51], 0, v[24:25]
	s_movk_i32 s0, 0x1000
	v_add_co_u32_e32 v26, vcc, s0, v24
	s_movk_i32 s0, 0x2000
	s_nop 0
	v_addc_co_u32_e32 v27, vcc, 0, v25, vcc
	s_waitcnt lgkmcnt(0)
	s_barrier
	flat_load_dwordx2 v[28:29], v[24:25]
	flat_load_dwordx2 v[30:31], v[24:25] offset:2048
	flat_load_dwordx2 v[32:33], v[26:27]
	flat_load_dwordx2 v[34:35], v[26:27] offset:2048
	v_add_co_u32_e32 v26, vcc, s0, v24
	s_movk_i32 s0, 0x3000
	s_nop 0
	v_addc_co_u32_e32 v27, vcc, 0, v25, vcc
	v_add_co_u32_e32 v36, vcc, s0, v24
	s_movk_i32 s0, 0x4000
	s_nop 0
	v_addc_co_u32_e32 v37, vcc, 0, v25, vcc
	flat_load_dwordx2 v[38:39], v[26:27]
	flat_load_dwordx2 v[40:41], v[26:27] offset:2048
	flat_load_dwordx2 v[42:43], v[36:37]
	flat_load_dwordx2 v[44:45], v[36:37] offset:2048
	v_add_co_u32_e32 v26, vcc, s0, v24
	s_movk_i32 s0, 0x5000
	s_nop 0
	v_addc_co_u32_e32 v27, vcc, 0, v25, vcc
	v_add_co_u32_e32 v36, vcc, s0, v24
	s_movk_i32 s0, 0x6000
	s_nop 0
	v_addc_co_u32_e32 v37, vcc, 0, v25, vcc
	flat_load_dwordx2 v[46:47], v[26:27]
	flat_load_dwordx2 v[48:49], v[26:27] offset:2048
	flat_load_dwordx2 v[50:51], v[36:37]
	flat_load_dwordx2 v[52:53], v[36:37] offset:2048
	v_add_co_u32_e32 v26, vcc, s0, v24
	s_movk_i32 s0, 0x7000
	s_nop 0
	v_addc_co_u32_e32 v27, vcc, 0, v25, vcc
	v_add_co_u32_e32 v36, vcc, s0, v24
	s_mov_b32 s0, 0x8000
	s_nop 0
	v_addc_co_u32_e32 v37, vcc, 0, v25, vcc
	flat_load_dwordx2 v[54:55], v[26:27]
	flat_load_dwordx2 v[56:57], v[26:27] offset:2048
	flat_load_dwordx2 v[58:59], v[36:37]
	flat_load_dwordx2 v[60:61], v[36:37] offset:2048
	v_add_co_u32_e32 v26, vcc, s0, v24
	s_mov_b32 s0, 0x9000
	s_nop 0
	v_addc_co_u32_e32 v27, vcc, 0, v25, vcc
	v_add_co_u32_e32 v36, vcc, s0, v24
	s_mov_b32 s0, 0xa000
	s_nop 0
	v_addc_co_u32_e32 v37, vcc, 0, v25, vcc
	flat_load_dwordx2 v[62:63], v[26:27]
	flat_load_dwordx2 v[64:65], v[26:27] offset:2048
	flat_load_dwordx2 v[66:67], v[36:37]
	flat_load_dwordx2 v[68:69], v[36:37] offset:2048
	v_add_co_u32_e32 v24, vcc, s0, v24
	v_cmp_ne_u32_e64 s[0:1], v20, v21
	s_nop 0
	v_addc_co_u32_e32 v25, vcc, 0, v25, vcc
	flat_load_dwordx2 v[24:25], v[24:25]
	v_cmp_ne_u32_e32 vcc, v17, v18
	s_movk_i32 s6, 0xa0
                                        ; implicit-def: $vgpr128
                                        ; implicit-def: $vgpr127
                                        ; implicit-def: $vgpr126
                                        ; implicit-def: $vgpr125
                                        ; implicit-def: $sgpr64
                                        ; implicit-def: $sgpr8_sgpr9
                                        ; implicit-def: $vgpr78_vgpr79
                                        ; implicit-def: $vgpr74_vgpr75
                                        ; implicit-def: $vgpr26_vgpr27
	s_nop 0
	v_cndmask_b32_e64 v21, 0, 1, vcc
	v_cmp_ne_u32_e32 vcc, v16, v17
	v_lshlrev_b16_e32 v21, 8, v21
	s_nop 0
	v_cndmask_b32_e64 v17, 0, 1, vcc
	v_cmp_ne_u32_e32 vcc, v19, v20
	v_or_b32_e32 v17, v17, v21
	s_nop 0
	v_cndmask_b32_e64 v20, 0, 1, vcc
	v_cmp_ne_u32_e32 vcc, v18, v19
	v_lshlrev_b16_e32 v20, 8, v20
	s_nop 0
	v_cndmask_b32_e64 v18, 0, 1, vcc
	v_cmp_ne_u32_e32 vcc, v22, v16
	v_or_b32_sdwa v18, v18, v20 dst_sel:WORD_1 dst_unused:UNUSED_PAD src0_sel:DWORD src1_sel:DWORD
	s_nop 0
	v_cndmask_b32_e64 v122, 0, 1, vcc
	v_cmp_ne_u32_e32 vcc, v13, v14
	v_or_b32_sdwa v85, v17, v18 dst_sel:DWORD dst_unused:UNUSED_PAD src0_sel:WORD_0 src1_sel:DWORD
	s_nop 0
	v_cndmask_b32_e64 v16, 0, 1, vcc
	v_cmp_ne_u32_e32 vcc, v12, v13
	v_lshlrev_b16_e32 v16, 8, v16
	s_nop 0
	v_cndmask_b32_e64 v13, 0, 1, vcc
	v_cmp_ne_u32_e32 vcc, v15, v22
	v_or_b32_e32 v13, v13, v16
	s_nop 0
	v_cndmask_b32_e64 v16, 0, 1, vcc
	v_cmp_ne_u32_e32 vcc, v14, v15
	v_lshlrev_b16_e32 v16, 8, v16
	s_nop 0
	v_cndmask_b32_e64 v14, 0, 1, vcc
	v_cmp_ne_u32_e32 vcc, v5, v12
	v_or_b32_sdwa v14, v14, v16 dst_sel:WORD_1 dst_unused:UNUSED_PAD src0_sel:DWORD src1_sel:DWORD
	s_nop 0
	v_cndmask_b32_e64 v124, 0, 1, vcc
	v_cmp_ne_u32_e32 vcc, v7, v8
	v_or_b32_sdwa v84, v13, v14 dst_sel:DWORD dst_unused:UNUSED_PAD src0_sel:WORD_0 src1_sel:DWORD
	;; [unrolled: 20-line block ×3, first 2 shown]
	s_nop 0
	v_cndmask_b32_e64 v5, 0, 1, vcc
	v_cmp_ne_u32_e32 vcc, v10, v11
	v_lshlrev_b16_e32 v5, 8, v5
	s_nop 0
	v_cndmask_b32_e64 v6, 0, 1, vcc
	v_cmp_ne_u32_e32 vcc, v3, v4
	v_or_b32_e32 v11, v6, v5
	s_nop 0
	v_cndmask_b32_e64 v4, 0, 1, vcc
	v_cmp_ne_u32_e32 vcc, v2, v3
	v_lshlrev_b16_e32 v4, 8, v4
	s_nop 0
	v_cndmask_b32_e64 v2, 0, 1, vcc
	v_or_b32_sdwa v14, v2, v4 dst_sel:WORD_1 dst_unused:UNUSED_PAD src0_sel:DWORD src1_sel:DWORD
	v_lshl_add_u32 v2, v0, 2, v23
	v_mad_u32_u24 v12, v0, s6, v2
	s_waitcnt vmcnt(0) lgkmcnt(0)
	ds_write2st64_b64 v2, v[28:29], v[30:31] offset1:4
	ds_write2st64_b64 v2, v[32:33], v[34:35] offset0:8 offset1:12
	ds_write2st64_b64 v2, v[38:39], v[40:41] offset0:16 offset1:20
	;; [unrolled: 1-line block ×9, first 2 shown]
	ds_write_b64 v2, v[24:25] offset:40960
	s_waitcnt lgkmcnt(0)
	s_barrier
	ds_read2_b64 v[2:5], v12 offset1:1
	ds_read2_b64 v[6:9], v12 offset0:2 offset1:3
	ds_read2_b64 v[18:21], v12 offset0:4 offset1:5
	;; [unrolled: 1-line block ×9, first 2 shown]
	ds_read_b64 v[12:13], v12 offset:160
	v_cmp_ne_u32_e32 vcc, v1, v10
	v_or_b32_sdwa v83, v11, v14 dst_sel:DWORD dst_unused:UNUSED_PAD src0_sel:WORD_0 src1_sel:DWORD
	s_mov_b64 s[6:7], -1
	v_cndmask_b32_e64 v1, 0, 1, vcc
                                        ; implicit-def: $vgpr66_vgpr67
                                        ; implicit-def: $vgpr58_vgpr59
                                        ; implicit-def: $vgpr50_vgpr51
                                        ; implicit-def: $vgpr42_vgpr43
                                        ; implicit-def: $vgpr34_vgpr35
                                        ; implicit-def: $vgpr14_vgpr15
.LBB1323_125:
	s_mov_b64 s[90:91], s[62:63]
	s_waitcnt lgkmcnt(0)
	v_mov_b64_e32 v[16:17], s[8:9]
	v_mov_b32_e32 v28, s64
	s_and_saveexec_b64 s[8:9], s[6:7]
	s_cbranch_execz .LBB1323_127
; %bb.126:
	v_cndmask_b32_e64 v28, 0, 1, s[0:1]
	v_mov_b64_e32 v[14:15], v[4:5]
	v_mov_b64_e32 v[26:27], v[8:9]
	;; [unrolled: 1-line block ×11, first 2 shown]
	v_mov_b32_e32 v125, v85
	v_mov_b32_e32 v126, v84
	;; [unrolled: 1-line block ×4, first 2 shown]
.LBB1323_127:
	s_or_b64 exec, exec, s[8:9]
	v_and_b32_e32 v129, 1, v123
	v_and_b32_e32 v37, 1, v124
	;; [unrolled: 1-line block ×4, first 2 shown]
	s_cmp_lg_u32 s92, 0
	v_lshrrev_b32_e32 v130, 8, v128
	v_cmp_eq_u32_e32 vcc, 1, v129
	v_lshrrev_b32_e32 v41, 8, v127
	v_cmp_eq_u32_e64 s[48:49], 1, v37
	v_lshrrev_b32_e32 v40, 8, v126
	v_cmp_eq_u32_e64 s[50:51], 1, v33
	;; [unrolled: 2-line block ×3, first 2 shown]
	v_mbcnt_lo_u32_b32 v29, -1, 0
	s_barrier
	s_cbranch_scc0 .LBB1323_198
; %bb.128:
	v_mov_b32_e32 v8, 0
	v_cmp_eq_u16_sdwa s[6:7], v128, v8 src0_sel:BYTE_0 src1_sel:DWORD
	v_and_b32_e32 v9, 1, v128
	s_movk_i32 s42, 0xff
	v_cndmask_b32_e64 v5, 0, v3, s[6:7]
	v_cndmask_b32_e64 v4, 0, v2, s[6:7]
	v_cmp_eq_u32_e64 s[52:53], 1, v9
	v_and_b32_e32 v9, 0x100, v128
	v_lshl_add_u64 v[4:5], v[4:5], 0, v[14:15]
	v_cmp_eq_u16_sdwa s[8:9], v130, v8 src0_sel:BYTE_0 src1_sel:DWORD
	v_cmp_ne_u32_e64 s[56:57], 0, v9
	v_and_b32_sdwa v9, v128, s42 dst_sel:DWORD dst_unused:UNUSED_PAD src0_sel:WORD_1 src1_sel:DWORD
	v_cndmask_b32_e64 v5, 0, v5, s[8:9]
	v_cndmask_b32_e64 v4, 0, v4, s[8:9]
	v_cmp_eq_u16_e64 s[10:11], 0, v9
	v_and_b32_e32 v9, 0x10000, v128
	v_lshl_add_u64 v[4:5], v[4:5], 0, v[6:7]
	v_cmp_ne_u32_e64 s[58:59], 0, v9
	v_and_b32_e32 v9, 0x1000000, v128
	s_mov_b64 s[86:87], s[4:5]
	s_mov_b64 s[4:5], s[60:61]
	v_cndmask_b32_e64 v5, 0, v5, s[10:11]
	v_cndmask_b32_e64 v4, 0, v4, s[10:11]
	v_cmp_ne_u32_e64 s[60:61], 0, v9
	v_and_b32_e32 v9, 1, v127
	v_lshl_add_u64 v[4:5], v[4:5], 0, v[26:27]
	v_cmp_eq_u16_sdwa s[12:13], v128, v8 src0_sel:BYTE_3 src1_sel:DWORD
	v_cmp_eq_u32_e64 s[62:63], 1, v9
	v_and_b32_e32 v9, 0x100, v127
	v_cndmask_b32_e64 v5, 0, v5, s[12:13]
	v_cndmask_b32_e64 v4, 0, v4, s[12:13]
	v_cmp_ne_u32_e64 s[64:65], 0, v9
	v_and_b32_sdwa v9, v127, s42 dst_sel:DWORD dst_unused:UNUSED_PAD src0_sel:WORD_1 src1_sel:DWORD
	v_lshl_add_u64 v[4:5], v[4:5], 0, v[18:19]
	v_cmp_eq_u16_sdwa s[14:15], v123, v8 src0_sel:BYTE_0 src1_sel:DWORD
	v_cmp_eq_u16_e64 s[20:21], 0, v9
	v_and_b32_e32 v9, 0x10000, v127
	v_cndmask_b32_e64 v5, 0, v5, s[14:15]
	v_cndmask_b32_e64 v4, 0, v4, s[14:15]
	v_cmp_ne_u32_e64 s[66:67], 0, v9
	v_and_b32_e32 v9, 0x1000000, v127
	v_lshl_add_u64 v[4:5], v[4:5], 0, v[34:35]
	v_cmp_eq_u16_sdwa s[16:17], v127, v8 src0_sel:BYTE_0 src1_sel:DWORD
	v_cmp_ne_u32_e64 s[0:1], 0, v9
	v_and_b32_e32 v9, 1, v126
	v_cndmask_b32_e64 v5, 0, v5, s[16:17]
	v_cndmask_b32_e64 v4, 0, v4, s[16:17]
	v_cmp_eq_u32_e64 s[70:71], 1, v9
	v_and_b32_e32 v9, 0x100, v126
	v_lshl_add_u64 v[4:5], v[4:5], 0, v[22:23]
	v_cmp_eq_u16_sdwa s[18:19], v41, v8 src0_sel:BYTE_0 src1_sel:DWORD
	v_cmp_ne_u32_e64 s[72:73], 0, v9
	v_and_b32_sdwa v9, v126, s42 dst_sel:DWORD dst_unused:UNUSED_PAD src0_sel:WORD_1 src1_sel:DWORD
	v_cndmask_b32_e64 v5, 0, v5, s[18:19]
	v_cndmask_b32_e64 v4, 0, v4, s[18:19]
	v_cmp_eq_u16_e64 s[30:31], 0, v9
	v_and_b32_e32 v9, 0x10000, v126
	v_lshl_add_u64 v[4:5], v[4:5], 0, v[42:43]
	v_cmp_ne_u32_e64 s[74:75], 0, v9
	v_and_b32_e32 v9, 0x1000000, v126
	v_cndmask_b32_e64 v5, 0, v5, s[20:21]
	v_cndmask_b32_e64 v4, 0, v4, s[20:21]
	v_cmp_ne_u32_e64 s[76:77], 0, v9
	v_and_b32_e32 v9, 1, v125
	s_mov_b64 s[98:99], s[78:79]
	v_lshl_add_u64 v[4:5], v[4:5], 0, v[30:31]
	v_cmp_eq_u16_sdwa s[22:23], v127, v8 src0_sel:BYTE_3 src1_sel:DWORD
	v_cmp_eq_u32_e64 s[78:79], 1, v9
	v_and_b32_e32 v9, 0x100, v125
	v_cndmask_b32_e64 v5, 0, v5, s[22:23]
	v_cndmask_b32_e64 v4, 0, v4, s[22:23]
	v_cmp_ne_u32_e64 s[80:81], 0, v9
	v_and_b32_sdwa v9, v125, s42 dst_sel:DWORD dst_unused:UNUSED_PAD src0_sel:WORD_1 src1_sel:DWORD
	v_lshl_add_u64 v[4:5], v[4:5], 0, v[50:51]
	v_cmp_eq_u16_sdwa s[24:25], v124, v8 src0_sel:BYTE_0 src1_sel:DWORD
	v_cmp_eq_u16_e64 s[42:43], 0, v9
	v_and_b32_e32 v9, 0x10000, v125
	v_cndmask_b32_e64 v5, 0, v5, s[24:25]
	v_cndmask_b32_e64 v4, 0, v4, s[24:25]
	v_cmp_ne_u32_e64 s[82:83], 0, v9
	v_and_b32_e32 v9, 0x1000000, v125
	v_lshl_add_u64 v[4:5], v[4:5], 0, v[38:39]
	v_cmp_eq_u16_sdwa s[26:27], v126, v8 src0_sel:BYTE_0 src1_sel:DWORD
	v_cmp_ne_u32_e64 s[84:85], 0, v9
	s_or_b64 s[54:55], s[54:55], s[84:85]
	v_cndmask_b32_e64 v5, 0, v5, s[26:27]
	v_cndmask_b32_e64 v4, 0, v4, s[26:27]
	v_lshl_add_u64 v[4:5], v[4:5], 0, v[58:59]
	v_cmp_eq_u16_sdwa s[28:29], v40, v8 src0_sel:BYTE_0 src1_sel:DWORD
	s_or_b64 s[54:55], s[54:55], s[82:83]
	s_or_b64 s[54:55], s[54:55], s[80:81]
	v_cndmask_b32_e64 v5, 0, v5, s[28:29]
	v_cndmask_b32_e64 v4, 0, v4, s[28:29]
	v_lshl_add_u64 v[4:5], v[4:5], 0, v[46:47]
	s_or_b64 s[54:55], s[54:55], s[78:79]
	v_cndmask_b32_e64 v5, 0, v5, s[30:31]
	v_cndmask_b32_e64 v4, 0, v4, s[30:31]
	s_or_b64 s[50:51], s[54:55], s[50:51]
	v_lshl_add_u64 v[4:5], v[4:5], 0, v[66:67]
	v_cmp_eq_u16_sdwa s[34:35], v126, v8 src0_sel:BYTE_3 src1_sel:DWORD
	s_or_b64 s[50:51], s[50:51], s[76:77]
	s_or_b64 s[50:51], s[50:51], s[74:75]
	v_cndmask_b32_e64 v5, 0, v5, s[34:35]
	v_cndmask_b32_e64 v4, 0, v4, s[34:35]
	v_lshl_add_u64 v[4:5], v[4:5], 0, v[54:55]
	v_cmp_eq_u16_sdwa s[36:37], v122, v8 src0_sel:BYTE_0 src1_sel:DWORD
	s_or_b64 s[50:51], s[50:51], s[72:73]
	s_or_b64 s[50:51], s[50:51], s[70:71]
	v_cndmask_b32_e64 v5, 0, v5, s[36:37]
	v_cndmask_b32_e64 v4, 0, v4, s[36:37]
	v_lshl_add_u64 v[4:5], v[4:5], 0, v[74:75]
	v_cmp_eq_u16_sdwa s[38:39], v125, v8 src0_sel:BYTE_0 src1_sel:DWORD
	;; [unrolled: 6-line block ×3, first 2 shown]
	s_or_b64 s[0:1], s[0:1], s[66:67]
	s_or_b64 s[0:1], s[0:1], s[64:65]
	v_cndmask_b32_e64 v5, 0, v5, s[40:41]
	v_cndmask_b32_e64 v4, 0, v4, s[40:41]
	v_lshl_add_u64 v[4:5], v[4:5], 0, v[78:79]
	s_or_b64 s[0:1], s[0:1], s[62:63]
	v_cndmask_b32_e64 v5, 0, v5, s[42:43]
	v_cndmask_b32_e64 v4, 0, v4, s[42:43]
	s_or_b64 s[0:1], s[0:1], vcc
	v_lshl_add_u64 v[4:5], v[4:5], 0, v[70:71]
	v_cmp_eq_u16_sdwa s[44:45], v125, v8 src0_sel:BYTE_3 src1_sel:DWORD
	s_or_b64 s[0:1], s[0:1], s[60:61]
	s_or_b64 s[0:1], s[0:1], s[58:59]
	v_cndmask_b32_e64 v5, 0, v5, s[44:45]
	v_cndmask_b32_e64 v4, 0, v4, s[44:45]
	v_lshl_add_u64 v[4:5], v[4:5], 0, v[10:11]
	v_cmp_eq_u16_sdwa s[46:47], v28, v8 src0_sel:BYTE_0 src1_sel:DWORD
	s_or_b64 s[0:1], s[0:1], s[56:57]
	v_and_b32_e32 v12, 0xff, v1
	v_cndmask_b32_e64 v5, 0, v5, s[46:47]
	v_cndmask_b32_e64 v4, 0, v4, s[46:47]
	s_or_b64 s[0:1], s[0:1], s[52:53]
	v_mbcnt_hi_u32_b32 v52, -1, v29
	v_lshl_add_u64 v[8:9], v[4:5], 0, v[16:17]
	v_cndmask_b32_e64 v12, v12, 1, s[0:1]
	v_and_b32_e32 v4, 15, v52
	v_mov_b32_dpp v13, v8 row_shr:1 row_mask:0xf bank_mask:0xf
	v_mov_b32_dpp v20, v9 row_shr:1 row_mask:0xf bank_mask:0xf
	;; [unrolled: 1-line block ×3, first 2 shown]
	v_cmp_ne_u32_e32 vcc, 0, v4
	s_and_saveexec_b64 s[0:1], vcc
; %bb.129:
	v_cmp_eq_u32_e32 vcc, 0, v12
	v_and_or_b32 v12, v5, 1, v12
	s_nop 0
	v_cndmask_b32_e32 v21, 0, v20, vcc
	v_cndmask_b32_e32 v20, 0, v13, vcc
	v_lshl_add_u64 v[8:9], v[20:21], 0, v[8:9]
; %bb.130:
	s_or_b64 exec, exec, s[0:1]
	s_nop 0
	v_mov_b32_dpp v13, v8 row_shr:2 row_mask:0xf bank_mask:0xf
	v_mov_b32_dpp v20, v9 row_shr:2 row_mask:0xf bank_mask:0xf
	;; [unrolled: 1-line block ×3, first 2 shown]
	v_cmp_lt_u32_e32 vcc, 1, v4
	s_and_saveexec_b64 s[0:1], vcc
; %bb.131:
	v_cmp_eq_u32_e32 vcc, 0, v12
	v_or_b32_e32 v5, v5, v12
	v_and_b32_e32 v12, 1, v5
	v_cndmask_b32_e32 v21, 0, v20, vcc
	v_cndmask_b32_e32 v20, 0, v13, vcc
	v_lshl_add_u64 v[8:9], v[20:21], 0, v[8:9]
; %bb.132:
	s_or_b64 exec, exec, s[0:1]
	s_nop 0
	v_mov_b32_dpp v13, v8 row_shr:4 row_mask:0xf bank_mask:0xf
	v_mov_b32_dpp v20, v9 row_shr:4 row_mask:0xf bank_mask:0xf
	;; [unrolled: 1-line block ×3, first 2 shown]
	v_cmp_lt_u32_e32 vcc, 3, v4
	s_and_saveexec_b64 s[0:1], vcc
	s_mov_b64 s[58:59], s[90:91]
	s_mov_b64 s[60:61], s[4:5]
	;; [unrolled: 1-line block ×4, first 2 shown]
; %bb.133:
	v_cmp_eq_u32_e32 vcc, 0, v12
	v_or_b32_e32 v5, v5, v12
	v_and_b32_e32 v12, 1, v5
	v_cndmask_b32_e32 v21, 0, v20, vcc
	v_cndmask_b32_e32 v20, 0, v13, vcc
	v_lshl_add_u64 v[8:9], v[20:21], 0, v[8:9]
; %bb.134:
	s_or_b64 exec, exec, s[0:1]
	s_nop 0
	v_mov_b32_dpp v13, v8 row_shr:8 row_mask:0xf bank_mask:0xf
	v_mov_b32_dpp v20, v9 row_shr:8 row_mask:0xf bank_mask:0xf
	;; [unrolled: 1-line block ×3, first 2 shown]
	v_cmp_lt_u32_e32 vcc, 7, v4
	s_and_saveexec_b64 s[0:1], vcc
; %bb.135:
	v_cmp_eq_u32_e32 vcc, 0, v12
	v_or_b32_e32 v4, v5, v12
	v_and_b32_e32 v12, 1, v4
	v_cndmask_b32_e32 v21, 0, v20, vcc
	v_cndmask_b32_e32 v20, 0, v13, vcc
	v_lshl_add_u64 v[8:9], v[20:21], 0, v[8:9]
; %bb.136:
	s_or_b64 exec, exec, s[0:1]
	v_and_b32_e32 v20, 16, v52
	v_mov_b32_dpp v5, v8 row_bcast:15 row_mask:0xf bank_mask:0xf
	v_mov_b32_dpp v13, v9 row_bcast:15 row_mask:0xf bank_mask:0xf
	v_mov_b32_dpp v4, v12 row_bcast:15 row_mask:0xf bank_mask:0xf
	v_cmp_ne_u32_e32 vcc, 0, v20
	s_and_saveexec_b64 s[0:1], vcc
; %bb.137:
	v_cmp_eq_u32_e32 vcc, 0, v12
	v_or_b32_e32 v4, v4, v12
	v_and_b32_e32 v12, 1, v4
	v_cndmask_b32_e32 v21, 0, v13, vcc
	v_cndmask_b32_e32 v20, 0, v5, vcc
	v_lshl_add_u64 v[8:9], v[20:21], 0, v[8:9]
; %bb.138:
	s_or_b64 exec, exec, s[0:1]
	s_nop 0
	v_mov_b32_dpp v13, v8 row_bcast:31 row_mask:0xf bank_mask:0xf
	v_mov_b32_dpp v20, v9 row_bcast:31 row_mask:0xf bank_mask:0xf
	;; [unrolled: 1-line block ×3, first 2 shown]
	v_cmp_lt_u32_e32 vcc, 31, v52
	v_mov_b32_e32 v4, v12
	s_and_saveexec_b64 s[0:1], vcc
; %bb.139:
	v_cmp_eq_u32_e32 vcc, 0, v12
	v_or_b32_e32 v5, v5, v12
	v_and_b32_e32 v4, 1, v5
	v_cndmask_b32_e32 v21, 0, v20, vcc
	v_cndmask_b32_e32 v20, 0, v13, vcc
	v_lshl_add_u64 v[8:9], v[20:21], 0, v[8:9]
	v_and_b32_e32 v12, 1, v5
; %bb.140:
	s_or_b64 exec, exec, s[0:1]
	v_or_b32_e32 v5, 63, v0
	v_lshrrev_b32_e32 v13, 6, v0
	v_cmp_eq_u32_e32 vcc, v5, v0
	s_and_saveexec_b64 s[0:1], vcc
	s_cbranch_execz .LBB1323_142
; %bb.141:
	v_lshlrev_b32_e32 v5, 4, v13
	ds_write_b64 v5, v[8:9]
	ds_write_b8 v5, v4 offset:8
.LBB1323_142:
	s_or_b64 exec, exec, s[0:1]
	v_cmp_gt_u32_e32 vcc, 4, v0
	s_waitcnt lgkmcnt(0)
	s_barrier
	s_and_saveexec_b64 s[48:49], vcc
	s_cbranch_execz .LBB1323_148
; %bb.143:
	v_lshlrev_b32_e32 v20, 4, v0
	ds_read_b64 v[4:5], v20
	ds_read_b32 v21, v20 offset:8
	v_and_b32_e32 v24, 3, v52
	v_cmp_ne_u32_e32 vcc, 0, v24
	s_waitcnt lgkmcnt(1)
	v_mov_b32_dpp v48, v4 row_shr:1 row_mask:0xf bank_mask:0xf
	v_mov_b32_dpp v49, v5 row_shr:1 row_mask:0xf bank_mask:0xf
	s_waitcnt lgkmcnt(0)
	v_mov_b32_dpp v45, v21 row_shr:1 row_mask:0xf bank_mask:0xf
	v_mov_b32_e32 v25, v21
	v_mov_b32_e32 v44, v21
	s_and_saveexec_b64 s[0:1], vcc
; %bb.144:
	v_mov_b32_e32 v25, 0
	v_cmp_eq_u16_sdwa vcc, v21, v25 src0_sel:BYTE_0 src1_sel:DWORD
	v_or_b32_e32 v44, v45, v21
	v_and_b32_e32 v25, 1, v44
	v_cndmask_b32_e32 v49, 0, v49, vcc
	v_cndmask_b32_e32 v48, 0, v48, vcc
	v_and_b32_e32 v44, 1, v44
	s_movk_i32 s50, 0xff00
	v_lshl_add_u64 v[4:5], v[48:49], 0, v[4:5]
	v_and_or_b32 v21, v21, s50, v44
; %bb.145:
	s_or_b64 exec, exec, s[0:1]
	v_mov_b32_dpp v45, v4 row_shr:2 row_mask:0xf bank_mask:0xf
	v_mov_b32_dpp v48, v5 row_shr:2 row_mask:0xf bank_mask:0xf
	;; [unrolled: 1-line block ×3, first 2 shown]
	v_cmp_lt_u32_e32 vcc, 1, v24
	s_and_saveexec_b64 s[50:51], vcc
; %bb.146:
	v_mov_b32_e32 v24, 0
	v_cmp_eq_u16_sdwa vcc, v44, v24 src0_sel:BYTE_0 src1_sel:DWORD
	v_and_b32_e32 v21, 1, v21
	v_cmp_eq_u32_e64 s[0:1], 1, v21
	v_cndmask_b32_e32 v25, 0, v48, vcc
	v_cndmask_b32_e32 v24, 0, v45, vcc
	v_lshl_add_u64 v[4:5], v[24:25], 0, v[4:5]
	v_and_b32_e32 v24, 1, v44
	v_cmp_eq_u32_e32 vcc, 1, v24
	s_or_b64 s[0:1], vcc, s[0:1]
	v_cndmask_b32_e64 v25, 0, 1, s[0:1]
; %bb.147:
	s_or_b64 exec, exec, s[50:51]
	ds_write_b64 v20, v[4:5]
	ds_write_b8 v20, v25 offset:8
.LBB1323_148:
	s_or_b64 exec, exec, s[48:49]
	v_cmp_gt_u32_e32 vcc, 64, v0
	v_cmp_lt_u32_e64 s[0:1], 63, v0
	v_mov_b32_e32 v44, 0
	v_mov_b64_e32 v[4:5], 0
	s_waitcnt lgkmcnt(0)
	s_barrier
	s_and_saveexec_b64 s[48:49], s[0:1]
	s_cbranch_execz .LBB1323_150
; %bb.149:
	v_lshl_add_u32 v13, v13, 4, -16
	ds_read_b64 v[4:5], v13
	ds_read_u8 v44, v13 offset:8
	v_and_b32_e32 v20, 1, v12
	v_cmp_eq_u32_e64 s[0:1], 0, v12
	s_waitcnt lgkmcnt(1)
	s_nop 0
	v_cndmask_b32_e64 v13, 0, v5, s[0:1]
	v_cndmask_b32_e64 v12, 0, v4, s[0:1]
	v_cmp_eq_u32_e64 s[0:1], 1, v20
	v_lshl_add_u64 v[8:9], v[12:13], 0, v[8:9]
	s_waitcnt lgkmcnt(0)
	v_cndmask_b32_e64 v12, v44, 1, s[0:1]
.LBB1323_150:
	s_or_b64 exec, exec, s[48:49]
	v_add_u32_e32 v13, -1, v52
	v_and_b32_e32 v20, 64, v52
	v_cmp_lt_i32_e64 s[0:1], v13, v20
	v_cmp_eq_u32_e64 s[48:49], 0, v52
	s_nop 0
	v_cndmask_b32_e64 v13, v13, v52, s[0:1]
	v_lshlrev_b32_e32 v13, 2, v13
	ds_bpermute_b32 v45, v13, v8
	ds_bpermute_b32 v48, v13, v9
	;; [unrolled: 1-line block ×3, first 2 shown]
	s_and_saveexec_b64 s[50:51], vcc
	s_cbranch_execz .LBB1323_197
; %bb.151:
	v_mov_b32_e32 v13, 0
	ds_read2_b64 v[80:83], v13 offset0:6 offset1:7
	s_and_saveexec_b64 s[0:1], s[48:49]
	s_cbranch_execz .LBB1323_153
; %bb.152:
	s_add_i32 s52, s92, 64
	s_mov_b32 s53, 0
	s_lshl_b64 s[54:55], s[52:53], 4
	v_readlane_b32 s80, v131, 0
	v_readlane_b32 s81, v131, 1
	s_add_u32 s54, s80, s54
	v_readlane_b32 s84, v131, 4
	v_readlane_b32 s85, v131, 5
	s_addc_u32 s55, s81, s55
	v_mov_b32_e32 v8, s52
	v_mov_b32_e32 v9, 1
	v_readlane_b32 s82, v131, 2
	v_readlane_b32 s83, v131, 3
	;; [unrolled: 1-line block ×4, first 2 shown]
	s_waitcnt lgkmcnt(0)
	global_store_dword v13, v80, s[54:55] sc1
	global_store_dword v13, v81, s[54:55] offset:4 sc1
	global_store_dword v13, v82, s[54:55] offset:8 sc1
	;; [unrolled: 1-line block ×3, first 2 shown]
	s_waitcnt vmcnt(0)
	global_store_byte v8, v9, s[84:85] sc1
.LBB1323_153:
	s_or_b64 exec, exec, s[0:1]
	v_xad_u32 v8, v52, -1, s92
	v_readlane_b32 s80, v131, 0
	v_add_u32_e32 v12, 64, v8
	v_readlane_b32 s84, v131, 4
	v_readlane_b32 s85, v131, 5
	;; [unrolled: 1-line block ×7, first 2 shown]
	global_load_ubyte v53, v12, s[84:85] sc1
	s_waitcnt vmcnt(0)
	v_cmp_eq_u16_e32 vcc, 0, v53
	s_and_saveexec_b64 s[0:1], vcc
	s_cbranch_execz .LBB1323_159
; %bb.154:
	v_readlane_b32 s80, v131, 0
	v_readlane_b32 s84, v131, 4
	;; [unrolled: 1-line block ×3, first 2 shown]
	s_mov_b32 s54, 1
	s_mov_b64 s[52:53], 0
	v_lshl_add_u64 v[20:21], s[84:85], 0, v[12:13]
	v_readlane_b32 s81, v131, 1
	v_readlane_b32 s82, v131, 2
	;; [unrolled: 1-line block ×5, first 2 shown]
.LBB1323_155:                           ; =>This Loop Header: Depth=1
                                        ;     Child Loop BB1323_156 Depth 2
	s_max_u32 s55, s54, 1
.LBB1323_156:                           ;   Parent Loop BB1323_155 Depth=1
                                        ; =>  This Inner Loop Header: Depth=2
	s_add_i32 s55, s55, -1
	s_cmp_eq_u32 s55, 0
	s_sleep 1
	s_cbranch_scc0 .LBB1323_156
; %bb.157:                              ;   in Loop: Header=BB1323_155 Depth=1
	global_load_ubyte v53, v[20:21], off sc1
	s_cmp_lt_u32 s54, 32
	s_cselect_b64 s[56:57], -1, 0
	s_cmp_lg_u64 s[56:57], 0
	s_addc_u32 s54, s54, 0
	s_waitcnt vmcnt(0)
	v_cmp_ne_u16_e32 vcc, 0, v53
	s_or_b64 s[52:53], vcc, s[52:53]
	s_andn2_b64 exec, exec, s[52:53]
	s_cbranch_execnz .LBB1323_155
; %bb.158:
	s_or_b64 exec, exec, s[52:53]
.LBB1323_159:
	s_or_b64 exec, exec, s[0:1]
	v_readlane_b32 s80, v131, 0
	v_readlane_b32 s81, v131, 1
	;; [unrolled: 1-line block ×4, first 2 shown]
	v_mov_b32_e32 v20, s81
	v_mov_b32_e32 v9, s83
	v_cmp_eq_u16_e32 vcc, 1, v53
	s_waitcnt vmcnt(0) lgkmcnt(0)
	s_nop 0
	v_cndmask_b32_e32 v21, v9, v20, vcc
	v_mov_b32_e32 v9, s82
	v_mov_b32_e32 v20, s80
	v_cndmask_b32_e32 v20, v9, v20, vcc
	v_lshl_add_u64 v[12:13], v[12:13], 4, v[20:21]
	global_load_dword v24, v[12:13], off sc1
	global_load_dword v25, v[12:13], off offset:4 sc1
	global_load_dword v84, v[12:13], off offset:8 sc1
	;; [unrolled: 1-line block ×3, first 2 shown]
	v_cmp_eq_u16_e32 vcc, 2, v53
	v_lshlrev_b64 v[12:13], v52, -1
	v_and_b32_e32 v56, 63, v52
	s_waitcnt vmcnt(0)
	v_and_b32_e32 v9, vcc_hi, v13
	v_and_b32_e32 v64, vcc_lo, v12
	v_cmp_ne_u32_e32 vcc, 63, v56
	v_or_b32_e32 v9, 0x80000000, v9
	v_ffbl_b32_e32 v9, v9
	v_addc_co_u32_e32 v20, vcc, 0, v52, vcc
	v_lshlrev_b32_e32 v57, 2, v20
	v_add_u32_e32 v9, 32, v9
	v_ffbl_b32_e32 v64, v64
	v_min_u32_e32 v9, v64, v9
	v_cmp_lt_u32_e32 vcc, v56, v9
	v_readlane_b32 s84, v131, 4
	v_readlane_b32 s85, v131, 5
	;; [unrolled: 1-line block ×4, first 2 shown]
	ds_bpermute_b32 v60, v57, v24
	ds_bpermute_b32 v61, v57, v25
	v_and_b32_e32 v20, 0xff, v84
	ds_bpermute_b32 v21, v57, v20
	s_and_saveexec_b64 s[0:1], vcc
	s_cbranch_execz .LBB1323_161
; %bb.160:
	v_mov_b32_e32 v20, 0
	v_cmp_eq_u16_sdwa vcc, v84, v20 src0_sel:BYTE_0 src1_sel:DWORD
	s_waitcnt lgkmcnt(0)
	v_or_b32_e32 v20, v21, v84
	v_and_b32_e32 v84, 1, v20
	v_cndmask_b32_e32 v61, 0, v61, vcc
	v_cndmask_b32_e32 v60, 0, v60, vcc
	v_lshl_add_u64 v[24:25], v[60:61], 0, v[24:25]
	v_and_b32_e32 v20, 1, v20
.LBB1323_161:
	s_or_b64 exec, exec, s[0:1]
	v_cmp_gt_u32_e32 vcc, 62, v56
	s_waitcnt lgkmcnt(1)
	v_add_u32_e32 v61, 2, v56
	s_waitcnt lgkmcnt(0)
	v_cndmask_b32_e64 v21, 0, 1, vcc
	v_lshlrev_b32_e32 v21, 1, v21
	v_add_lshl_u32 v60, v21, v52, 2
	ds_bpermute_b32 v64, v60, v24
	ds_bpermute_b32 v65, v60, v25
	ds_bpermute_b32 v21, v60, v20
	v_cmp_le_u32_e32 vcc, v61, v9
	s_and_saveexec_b64 s[52:53], vcc
	s_cbranch_execz .LBB1323_163
; %bb.162:
	v_mov_b32_e32 v20, 0
	v_cmp_eq_u16_sdwa vcc, v84, v20 src0_sel:BYTE_0 src1_sel:DWORD
	v_and_b32_e32 v20, 1, v84
	s_waitcnt lgkmcnt(1)
	v_cndmask_b32_e32 v65, 0, v65, vcc
	v_cndmask_b32_e32 v64, 0, v64, vcc
	v_cmp_eq_u32_e32 vcc, 1, v20
	s_waitcnt lgkmcnt(0)
	v_and_b32_e32 v20, 1, v21
	v_cmp_eq_u32_e64 s[0:1], 1, v20
	s_or_b64 s[0:1], vcc, s[0:1]
	v_lshl_add_u64 v[24:25], v[64:65], 0, v[24:25]
	v_cndmask_b32_e64 v84, 0, 1, s[0:1]
	v_cndmask_b32_e64 v20, 0, 1, s[0:1]
.LBB1323_163:
	s_or_b64 exec, exec, s[52:53]
	v_cmp_gt_u32_e32 vcc, 60, v56
	s_waitcnt lgkmcnt(1)
	v_add_u32_e32 v65, 4, v56
	s_waitcnt lgkmcnt(0)
	v_cndmask_b32_e64 v21, 0, 1, vcc
	v_lshlrev_b32_e32 v21, 2, v21
	v_add_lshl_u32 v64, v21, v52, 2
	ds_bpermute_b32 v68, v64, v24
	ds_bpermute_b32 v69, v64, v25
	ds_bpermute_b32 v21, v64, v20
	v_cmp_le_u32_e32 vcc, v65, v9
	s_and_saveexec_b64 s[52:53], vcc
	s_cbranch_execz .LBB1323_165
; %bb.164:
	v_mov_b32_e32 v20, 0
	v_cmp_eq_u16_sdwa vcc, v84, v20 src0_sel:BYTE_0 src1_sel:DWORD
	v_and_b32_e32 v20, 1, v84
	s_waitcnt lgkmcnt(1)
	v_cndmask_b32_e32 v69, 0, v69, vcc
	v_cndmask_b32_e32 v68, 0, v68, vcc
	v_cmp_eq_u32_e32 vcc, 1, v20
	s_waitcnt lgkmcnt(0)
	v_and_b32_e32 v20, 1, v21
	v_cmp_eq_u32_e64 s[0:1], 1, v20
	s_or_b64 s[0:1], vcc, s[0:1]
	v_lshl_add_u64 v[24:25], v[68:69], 0, v[24:25]
	v_cndmask_b32_e64 v84, 0, 1, s[0:1]
	v_cndmask_b32_e64 v20, 0, 1, s[0:1]
.LBB1323_165:
	;; [unrolled: 30-line block ×4, first 2 shown]
	s_or_b64 exec, exec, s[52:53]
	v_cmp_gt_u32_e32 vcc, 32, v56
	s_waitcnt lgkmcnt(1)
	v_add_u32_e32 v77, 32, v56
	s_waitcnt lgkmcnt(0)
	v_cndmask_b32_e64 v21, 0, 1, vcc
	v_lshlrev_b32_e32 v21, 5, v21
	v_add_lshl_u32 v76, v21, v52, 2
	ds_bpermute_b32 v21, v76, v24
	ds_bpermute_b32 v52, v76, v25
	ds_bpermute_b32 v20, v76, v20
	v_cmp_le_u32_e32 vcc, v77, v9
	s_and_saveexec_b64 s[52:53], vcc
	s_cbranch_execz .LBB1323_171
; %bb.170:
	v_mov_b32_e32 v9, 0
	v_cmp_eq_u16_sdwa vcc, v84, v9 src0_sel:BYTE_0 src1_sel:DWORD
	v_and_b32_e32 v9, 1, v84
	s_waitcnt lgkmcnt(1)
	v_cndmask_b32_e32 v87, 0, v52, vcc
	v_cndmask_b32_e32 v86, 0, v21, vcc
	v_cmp_eq_u32_e32 vcc, 1, v9
	s_waitcnt lgkmcnt(0)
	v_and_b32_e32 v9, 1, v20
	v_cmp_eq_u32_e64 s[0:1], 1, v9
	s_or_b64 s[0:1], vcc, s[0:1]
	v_lshl_add_u64 v[24:25], v[86:87], 0, v[24:25]
	v_cndmask_b32_e64 v84, 0, 1, s[0:1]
.LBB1323_171:
	s_or_b64 exec, exec, s[52:53]
	v_mov_b32_e32 v9, 0
	v_mov_b32_e32 v83, 2
	s_branch .LBB1323_173
.LBB1323_172:                           ;   in Loop: Header=BB1323_173 Depth=1
	s_or_b64 exec, exec, s[54:55]
	v_cmp_eq_u16_sdwa vcc, v52, v9 src0_sel:BYTE_0 src1_sel:DWORD
	v_and_b32_e32 v84, 1, v52
	v_subrev_u32_e32 v8, 64, v8
	v_cndmask_b32_e32 v25, 0, v25, vcc
	v_cndmask_b32_e32 v24, 0, v24, vcc
	v_cmp_eq_u32_e32 vcc, 1, v84
	s_or_b64 s[0:1], vcc, s[52:53]
	v_lshl_add_u64 v[24:25], v[24:25], 0, v[20:21]
	v_cndmask_b32_e64 v84, 0, 1, s[0:1]
.LBB1323_173:                           ; =>This Loop Header: Depth=1
                                        ;     Child Loop BB1323_176 Depth 2
                                        ;       Child Loop BB1323_177 Depth 3
	v_cmp_ne_u16_sdwa s[0:1], v53, v83 src0_sel:BYTE_0 src1_sel:DWORD
	s_waitcnt lgkmcnt(1)
	v_mov_b32_e32 v52, v84
	s_waitcnt lgkmcnt(0)
	v_cndmask_b32_e64 v20, 0, 1, s[0:1]
	;;#ASMSTART
	;;#ASMEND
	s_nop 0
	v_cmp_ne_u32_e32 vcc, 0, v20
	s_cmp_lg_u64 vcc, exec
	v_mov_b64_e32 v[20:21], v[24:25]
	s_cbranch_scc1 .LBB1323_192
; %bb.174:                              ;   in Loop: Header=BB1323_173 Depth=1
	v_readlane_b32 s80, v131, 0
	v_readlane_b32 s84, v131, 4
	;; [unrolled: 1-line block ×8, first 2 shown]
	global_load_ubyte v53, v8, s[84:85] sc1
	s_waitcnt vmcnt(0)
	v_cmp_eq_u16_e32 vcc, 0, v53
	s_and_saveexec_b64 s[0:1], vcc
	s_cbranch_execz .LBB1323_180
; %bb.175:                              ;   in Loop: Header=BB1323_173 Depth=1
	v_readlane_b32 s80, v131, 0
	v_readlane_b32 s84, v131, 4
	;; [unrolled: 1-line block ×3, first 2 shown]
	s_mov_b32 s54, 1
	s_mov_b64 s[52:53], 0
	v_lshl_add_u64 v[24:25], s[84:85], 0, v[8:9]
	v_readlane_b32 s81, v131, 1
	v_readlane_b32 s82, v131, 2
	;; [unrolled: 1-line block ×5, first 2 shown]
.LBB1323_176:                           ;   Parent Loop BB1323_173 Depth=1
                                        ; =>  This Loop Header: Depth=2
                                        ;       Child Loop BB1323_177 Depth 3
	s_max_u32 s55, s54, 1
.LBB1323_177:                           ;   Parent Loop BB1323_173 Depth=1
                                        ;     Parent Loop BB1323_176 Depth=2
                                        ; =>    This Inner Loop Header: Depth=3
	s_add_i32 s55, s55, -1
	s_cmp_eq_u32 s55, 0
	s_sleep 1
	s_cbranch_scc0 .LBB1323_177
; %bb.178:                              ;   in Loop: Header=BB1323_176 Depth=2
	global_load_ubyte v53, v[24:25], off sc1
	s_cmp_lt_u32 s54, 32
	s_cselect_b64 s[56:57], -1, 0
	s_cmp_lg_u64 s[56:57], 0
	s_addc_u32 s54, s54, 0
	s_waitcnt vmcnt(0)
	v_cmp_ne_u16_e32 vcc, 0, v53
	s_or_b64 s[52:53], vcc, s[52:53]
	s_andn2_b64 exec, exec, s[52:53]
	s_cbranch_execnz .LBB1323_176
; %bb.179:                              ;   in Loop: Header=BB1323_173 Depth=1
	s_or_b64 exec, exec, s[52:53]
.LBB1323_180:                           ;   in Loop: Header=BB1323_173 Depth=1
	s_or_b64 exec, exec, s[0:1]
	v_readlane_b32 s80, v131, 0
	v_readlane_b32 s81, v131, 1
	;; [unrolled: 1-line block ×4, first 2 shown]
	v_mov_b32_e32 v25, s81
	v_mov_b32_e32 v24, s83
	v_cmp_eq_u16_e32 vcc, 1, v53
	v_mov_b32_e32 v84, s80
	s_waitcnt vmcnt(0)
	v_cndmask_b32_e32 v25, v24, v25, vcc
	v_mov_b32_e32 v24, s82
	v_cndmask_b32_e32 v24, v24, v84, vcc
	v_lshl_add_u64 v[86:87], v[8:9], 4, v[24:25]
	global_load_dword v24, v[86:87], off sc1
	global_load_dword v25, v[86:87], off offset:4 sc1
	global_load_dword v84, v[86:87], off offset:8 sc1
	;; [unrolled: 1-line block ×3, first 2 shown]
	v_cmp_eq_u16_e32 vcc, 2, v53
	v_readlane_b32 s84, v131, 4
	v_readlane_b32 s85, v131, 5
	s_waitcnt vmcnt(0)
	v_and_b32_e32 v85, vcc_hi, v13
	v_or_b32_e32 v85, 0x80000000, v85
	v_and_b32_e32 v90, vcc_lo, v12
	v_ffbl_b32_e32 v85, v85
	v_add_u32_e32 v85, 32, v85
	v_ffbl_b32_e32 v90, v90
	v_min_u32_e32 v85, v90, v85
	v_cmp_lt_u32_e32 vcc, v56, v85
	v_readlane_b32 s86, v131, 6
	v_readlane_b32 s87, v131, 7
	ds_bpermute_b32 v88, v57, v24
	ds_bpermute_b32 v89, v57, v25
	v_and_b32_e32 v86, 0xff, v84
	ds_bpermute_b32 v87, v57, v86
	s_and_saveexec_b64 s[0:1], vcc
	s_cbranch_execz .LBB1323_182
; %bb.181:                              ;   in Loop: Header=BB1323_173 Depth=1
	v_cmp_eq_u16_sdwa vcc, v84, v9 src0_sel:BYTE_0 src1_sel:DWORD
	s_waitcnt lgkmcnt(0)
	v_or_b32_e32 v86, v87, v84
	v_and_b32_e32 v84, 1, v86
	v_cndmask_b32_e32 v89, 0, v89, vcc
	v_cndmask_b32_e32 v88, 0, v88, vcc
	v_lshl_add_u64 v[24:25], v[88:89], 0, v[24:25]
	v_and_b32_e32 v86, 1, v86
.LBB1323_182:                           ;   in Loop: Header=BB1323_173 Depth=1
	s_or_b64 exec, exec, s[0:1]
	s_waitcnt lgkmcnt(2)
	ds_bpermute_b32 v88, v60, v24
	s_waitcnt lgkmcnt(2)
	ds_bpermute_b32 v89, v60, v25
	;; [unrolled: 2-line block ×3, first 2 shown]
	v_and_b32_e32 v90, 1, v84
	v_cmp_le_u32_e32 vcc, v61, v85
	v_cmp_eq_u32_e64 s[52:53], 1, v90
	s_and_saveexec_b64 s[0:1], vcc
	s_cbranch_execz .LBB1323_184
; %bb.183:                              ;   in Loop: Header=BB1323_173 Depth=1
	v_cmp_eq_u16_sdwa vcc, v84, v9 src0_sel:BYTE_0 src1_sel:DWORD
	s_waitcnt lgkmcnt(0)
	v_and_b32_e32 v84, 1, v87
	v_cndmask_b32_e32 v89, 0, v89, vcc
	v_cndmask_b32_e32 v88, 0, v88, vcc
	v_cmp_eq_u32_e32 vcc, 1, v84
	s_or_b64 s[54:55], s[52:53], vcc
	v_cndmask_b32_e64 v84, 0, 1, s[54:55]
	v_cndmask_b32_e64 v86, 0, 1, s[54:55]
	s_andn2_b64 s[52:53], s[52:53], exec
	s_and_b64 s[54:55], s[54:55], exec
	v_lshl_add_u64 v[24:25], v[88:89], 0, v[24:25]
	s_or_b64 s[52:53], s[52:53], s[54:55]
.LBB1323_184:                           ;   in Loop: Header=BB1323_173 Depth=1
	s_or_b64 exec, exec, s[0:1]
	s_waitcnt lgkmcnt(2)
	ds_bpermute_b32 v88, v64, v24
	s_waitcnt lgkmcnt(2)
	ds_bpermute_b32 v89, v64, v25
	s_waitcnt lgkmcnt(2)
	ds_bpermute_b32 v87, v64, v86
	v_cmp_le_u32_e32 vcc, v65, v85
	s_and_saveexec_b64 s[54:55], vcc
	s_cbranch_execz .LBB1323_186
; %bb.185:                              ;   in Loop: Header=BB1323_173 Depth=1
	v_cmp_eq_u16_sdwa vcc, v84, v9 src0_sel:BYTE_0 src1_sel:DWORD
	v_and_b32_e32 v84, 1, v84
	s_andn2_b64 s[52:53], s[52:53], exec
	s_waitcnt lgkmcnt(1)
	v_cndmask_b32_e32 v89, 0, v89, vcc
	v_cndmask_b32_e32 v88, 0, v88, vcc
	v_cmp_eq_u32_e32 vcc, 1, v84
	s_waitcnt lgkmcnt(0)
	v_and_b32_e32 v84, 1, v87
	v_cmp_eq_u32_e64 s[0:1], 1, v84
	s_or_b64 s[0:1], vcc, s[0:1]
	v_lshl_add_u64 v[24:25], v[88:89], 0, v[24:25]
	v_cndmask_b32_e64 v84, 0, 1, s[0:1]
	v_cndmask_b32_e64 v86, 0, 1, s[0:1]
	s_and_b64 s[0:1], s[0:1], exec
	s_or_b64 s[52:53], s[52:53], s[0:1]
.LBB1323_186:                           ;   in Loop: Header=BB1323_173 Depth=1
	s_or_b64 exec, exec, s[54:55]
	s_waitcnt lgkmcnt(2)
	ds_bpermute_b32 v88, v68, v24
	s_waitcnt lgkmcnt(2)
	ds_bpermute_b32 v89, v68, v25
	s_waitcnt lgkmcnt(2)
	ds_bpermute_b32 v87, v68, v86
	v_cmp_le_u32_e32 vcc, v69, v85
	s_and_saveexec_b64 s[54:55], vcc
	s_cbranch_execz .LBB1323_188
; %bb.187:                              ;   in Loop: Header=BB1323_173 Depth=1
	v_cmp_eq_u16_sdwa vcc, v84, v9 src0_sel:BYTE_0 src1_sel:DWORD
	v_and_b32_e32 v84, 1, v84
	s_andn2_b64 s[52:53], s[52:53], exec
	s_waitcnt lgkmcnt(1)
	v_cndmask_b32_e32 v89, 0, v89, vcc
	v_cndmask_b32_e32 v88, 0, v88, vcc
	v_cmp_eq_u32_e32 vcc, 1, v84
	s_waitcnt lgkmcnt(0)
	v_and_b32_e32 v84, 1, v87
	v_cmp_eq_u32_e64 s[0:1], 1, v84
	s_or_b64 s[0:1], vcc, s[0:1]
	v_lshl_add_u64 v[24:25], v[88:89], 0, v[24:25]
	v_cndmask_b32_e64 v84, 0, 1, s[0:1]
	v_cndmask_b32_e64 v86, 0, 1, s[0:1]
	s_and_b64 s[0:1], s[0:1], exec
	s_or_b64 s[52:53], s[52:53], s[0:1]
.LBB1323_188:                           ;   in Loop: Header=BB1323_173 Depth=1
	;; [unrolled: 28-line block ×3, first 2 shown]
	s_or_b64 exec, exec, s[54:55]
	s_waitcnt lgkmcnt(0)
	ds_bpermute_b32 v87, v76, v24
	ds_bpermute_b32 v88, v76, v25
	;; [unrolled: 1-line block ×3, first 2 shown]
	v_cmp_le_u32_e32 vcc, v77, v85
	s_and_saveexec_b64 s[54:55], vcc
	s_cbranch_execz .LBB1323_172
; %bb.191:                              ;   in Loop: Header=BB1323_173 Depth=1
	v_cmp_eq_u16_sdwa vcc, v84, v9 src0_sel:BYTE_0 src1_sel:DWORD
	v_and_b32_e32 v84, 1, v84
	s_andn2_b64 s[52:53], s[52:53], exec
	s_waitcnt lgkmcnt(1)
	v_cndmask_b32_e32 v89, 0, v88, vcc
	v_cndmask_b32_e32 v88, 0, v87, vcc
	v_cmp_eq_u32_e32 vcc, 1, v84
	s_waitcnt lgkmcnt(0)
	v_and_b32_e32 v84, 1, v86
	v_cmp_eq_u32_e64 s[0:1], 1, v84
	s_or_b64 s[0:1], vcc, s[0:1]
	s_and_b64 s[0:1], s[0:1], exec
	v_lshl_add_u64 v[24:25], v[88:89], 0, v[24:25]
	s_or_b64 s[52:53], s[52:53], s[0:1]
	s_branch .LBB1323_172
.LBB1323_192:                           ;   in Loop: Header=BB1323_173 Depth=1
                                        ; implicit-def: $vgpr84
                                        ; implicit-def: $vgpr24_vgpr25
                                        ; implicit-def: $vgpr53
	s_cbranch_execz .LBB1323_173
; %bb.193:
	s_and_saveexec_b64 s[0:1], s[48:49]
	s_cbranch_execz .LBB1323_195
; %bb.194:
	v_readlane_b32 s80, v131, 0
	s_mov_b32 s53, 0
	v_mov_b32_e32 v12, 0
	s_add_i32 s52, s92, 64
	v_readlane_b32 s82, v131, 2
	v_readlane_b32 s83, v131, 3
	v_cmp_eq_u32_sdwa vcc, v82, v12 src0_sel:BYTE_0 src1_sel:DWORD
	s_lshl_b64 s[54:55], s[52:53], 4
	s_mov_b64 s[62:63], s[82:83]
	v_cndmask_b32_e32 v9, 0, v21, vcc
	v_cndmask_b32_e32 v8, 0, v20, vcc
	v_and_b32_e32 v13, 1, v82
	s_add_u32 s54, s62, s54
	v_lshl_add_u64 v[8:9], v[8:9], 0, v[80:81]
	v_and_b32_e32 v24, 1, v52
	v_cmp_eq_u32_e32 vcc, 1, v13
	v_readlane_b32 s84, v131, 4
	v_readlane_b32 s85, v131, 5
	s_addc_u32 s55, s63, s55
	v_cndmask_b32_e64 v13, v24, 1, vcc
	v_readlane_b32 s86, v131, 6
	s_mov_b64 s[64:65], s[84:85]
	global_store_dword v12, v8, s[54:55] sc1
	global_store_dword v12, v9, s[54:55] offset:4 sc1
	global_store_dword v12, v13, s[54:55] offset:8 sc1
	;; [unrolled: 1-line block ×3, first 2 shown]
	v_mov_b32_e32 v8, s52
	v_mov_b32_e32 v9, 2
	v_readlane_b32 s81, v131, 1
	v_readlane_b32 s87, v131, 7
	s_mov_b32 s66, s86
	s_waitcnt vmcnt(0) lgkmcnt(0)
	global_store_byte v8, v9, s[64:65] sc1
.LBB1323_195:
	s_or_b64 exec, exec, s[0:1]
	s_and_b64 exec, exec, s[68:69]
	s_cbranch_execz .LBB1323_197
; %bb.196:
	v_mov_b32_e32 v8, 0
	ds_write_b64 v8, v[20:21] offset:48
	ds_write_b8 v8, v52 offset:56
.LBB1323_197:
	s_or_b64 exec, exec, s[50:51]
	s_waitcnt lgkmcnt(0)
	v_cndmask_b32_e64 v8, v49, v44, s[48:49]
	v_mov_b32_e32 v13, 0
	v_cndmask_b32_e64 v9, v48, v5, s[48:49]
	v_cndmask_b32_e64 v12, v45, v4, s[48:49]
	v_cmp_eq_u16_sdwa vcc, v1, v13 src0_sel:BYTE_0 src1_sel:DWORD
	v_and_b32_e32 v20, 1, v1
	v_and_b32_e32 v8, 1, v8
	s_barrier
	ds_read_b64 v[4:5], v13 offset:48
	v_cndmask_b32_e32 v12, 0, v12, vcc
	v_cndmask_b32_e32 v9, 0, v9, vcc
	v_cmp_eq_u32_e32 vcc, 1, v20
	v_cmp_eq_u32_e64 s[0:1], 1, v8
	s_or_b64 s[0:1], vcc, s[0:1]
	v_cndmask_b32_e64 v9, v9, 0, s[68:69]
	v_cndmask_b32_e64 v8, 0, 1, s[0:1]
	v_cndmask_b32_e64 v20, v8, v1, s[68:69]
	v_cndmask_b32_e64 v8, v12, 0, s[68:69]
	v_cmp_eq_u16_sdwa vcc, v20, v13 src0_sel:BYTE_0 src1_sel:DWORD
	v_lshl_add_u64 v[8:9], v[8:9], 0, v[2:3]
	s_waitcnt lgkmcnt(0)
	v_cndmask_b32_e32 v5, 0, v5, vcc
	v_cndmask_b32_e32 v4, 0, v4, vcc
	v_lshl_add_u64 v[114:115], v[8:9], 0, v[4:5]
	v_cndmask_b32_e64 v5, 0, v115, s[6:7]
	v_cndmask_b32_e64 v4, 0, v114, s[6:7]
	v_lshl_add_u64 v[44:45], v[4:5], 0, v[14:15]
	v_cndmask_b32_e64 v5, 0, v45, s[8:9]
	v_cndmask_b32_e64 v4, 0, v44, s[8:9]
	;; [unrolled: 3-line block ×20, first 2 shown]
	v_lshl_add_u64 v[120:121], v[4:5], 0, v[16:17]
	s_branch .LBB1323_228
.LBB1323_198:
                                        ; implicit-def: $vgpr112_vgpr113_vgpr114_vgpr115
                                        ; implicit-def: $vgpr120_vgpr121
                                        ; implicit-def: $vgpr118_vgpr119
                                        ; implicit-def: $vgpr76_vgpr77
                                        ; implicit-def: $vgpr72_vgpr73
                                        ; implicit-def: $vgpr68_vgpr69
                                        ; implicit-def: $vgpr64_vgpr65
                                        ; implicit-def: $vgpr60_vgpr61
                                        ; implicit-def: $vgpr56_vgpr57
                                        ; implicit-def: $vgpr52_vgpr53
                                        ; implicit-def: $vgpr48_vgpr49
                                        ; implicit-def: $vgpr44_vgpr45
                                        ; implicit-def: $vgpr108_vgpr109_vgpr110_vgpr111
                                        ; implicit-def: $vgpr104_vgpr105_vgpr106_vgpr107
                                        ; implicit-def: $vgpr100_vgpr101_vgpr102_vgpr103
                                        ; implicit-def: $vgpr96_vgpr97_vgpr98_vgpr99
                                        ; implicit-def: $vgpr92_vgpr93_vgpr94_vgpr95
                                        ; implicit-def: $vgpr88_vgpr89_vgpr90_vgpr91
                                        ; implicit-def: $vgpr84_vgpr85_vgpr86_vgpr87
                                        ; implicit-def: $vgpr80_vgpr81_vgpr82_vgpr83
                                        ; implicit-def: $vgpr114_vgpr115_vgpr116_vgpr117
	s_mov_b64 s[58:59], s[90:91]
	s_cbranch_execz .LBB1323_228
; %bb.199:
	v_readlane_b32 s0, v131, 8
	v_readlane_b32 s1, v131, 9
	s_cmp_lg_u64 s[0:1], 0
	s_cselect_b32 s7, s59, 0
	s_cselect_b32 s6, s58, 0
	s_cmp_lg_u64 s[6:7], 0
	s_cselect_b64 s[0:1], -1, 0
	s_and_b64 s[8:9], s[68:69], s[0:1]
	s_and_saveexec_b64 s[0:1], s[8:9]
	s_cbranch_execz .LBB1323_201
; %bb.200:
	v_mov_b32_e32 v8, 0
	global_load_dwordx2 v[4:5], v8, s[6:7]
	global_load_ubyte v9, v8, s[6:7] offset:8
	v_cmp_eq_u16_sdwa vcc, v1, v8 src0_sel:BYTE_0 src1_sel:DWORD
	s_waitcnt vmcnt(0)
	v_or_b32_e32 v1, v1, v9
	v_cndmask_b32_e32 v5, 0, v5, vcc
	v_cndmask_b32_e32 v4, 0, v4, vcc
	v_lshl_add_u64 v[2:3], v[4:5], 0, v[2:3]
	v_and_b32_e32 v1, 1, v1
.LBB1323_201:
	s_or_b64 exec, exec, s[0:1]
	v_mov_b32_e32 v9, 0
	v_cmp_eq_u16_sdwa vcc, v128, v9 src0_sel:BYTE_0 src1_sel:DWORD
	v_cmp_eq_u16_sdwa s[6:7], v130, v9 src0_sel:BYTE_0 src1_sel:DWORD
	s_movk_i32 s40, 0xff
	v_cndmask_b32_e32 v5, 0, v3, vcc
	v_cndmask_b32_e32 v4, 0, v2, vcc
	v_lshl_add_u64 v[44:45], v[4:5], 0, v[14:15]
	v_cndmask_b32_e64 v5, 0, v45, s[6:7]
	v_cndmask_b32_e64 v4, 0, v44, s[6:7]
	v_lshl_add_u64 v[80:81], v[4:5], 0, v[6:7]
	v_and_b32_sdwa v4, v128, s40 dst_sel:DWORD dst_unused:UNUSED_PAD src0_sel:WORD_1 src1_sel:DWORD
	v_cmp_eq_u16_e64 s[8:9], 0, v4
	v_cmp_eq_u16_sdwa s[10:11], v128, v9 src0_sel:BYTE_3 src1_sel:DWORD
	v_cmp_eq_u16_sdwa s[12:13], v123, v9 src0_sel:BYTE_0 src1_sel:DWORD
	v_cndmask_b32_e64 v5, 0, v81, s[8:9]
	v_cndmask_b32_e64 v4, 0, v80, s[8:9]
	v_lshl_add_u64 v[48:49], v[4:5], 0, v[26:27]
	v_cndmask_b32_e64 v5, 0, v49, s[10:11]
	v_cndmask_b32_e64 v4, 0, v48, s[10:11]
	v_lshl_add_u64 v[84:85], v[4:5], 0, v[18:19]
	;; [unrolled: 3-line block ×3, first 2 shown]
	v_cmp_eq_u16_sdwa s[14:15], v127, v9 src0_sel:BYTE_0 src1_sel:DWORD
	v_cmp_eq_u16_sdwa s[16:17], v41, v9 src0_sel:BYTE_0 src1_sel:DWORD
	v_cmp_eq_u16_sdwa s[20:21], v127, v9 src0_sel:BYTE_3 src1_sel:DWORD
	v_cndmask_b32_e64 v5, 0, v53, s[14:15]
	v_cndmask_b32_e64 v4, 0, v52, s[14:15]
	v_lshl_add_u64 v[88:89], v[4:5], 0, v[22:23]
	v_cndmask_b32_e64 v5, 0, v89, s[16:17]
	v_cndmask_b32_e64 v4, 0, v88, s[16:17]
	v_lshl_add_u64 v[56:57], v[4:5], 0, v[42:43]
	v_and_b32_sdwa v4, v127, s40 dst_sel:DWORD dst_unused:UNUSED_PAD src0_sel:WORD_1 src1_sel:DWORD
	v_cmp_eq_u16_e64 s[18:19], 0, v4
	v_cmp_eq_u16_sdwa s[22:23], v124, v9 src0_sel:BYTE_0 src1_sel:DWORD
	v_cmp_eq_u16_sdwa s[24:25], v126, v9 src0_sel:BYTE_0 src1_sel:DWORD
	v_cndmask_b32_e64 v5, 0, v57, s[18:19]
	v_cndmask_b32_e64 v4, 0, v56, s[18:19]
	v_lshl_add_u64 v[92:93], v[4:5], 0, v[30:31]
	v_cndmask_b32_e64 v5, 0, v93, s[20:21]
	v_cndmask_b32_e64 v4, 0, v92, s[20:21]
	v_lshl_add_u64 v[60:61], v[4:5], 0, v[50:51]
	;; [unrolled: 3-line block ×4, first 2 shown]
	v_cmp_eq_u16_sdwa s[26:27], v40, v9 src0_sel:BYTE_0 src1_sel:DWORD
	v_cmp_eq_u16_sdwa s[30:31], v126, v9 src0_sel:BYTE_3 src1_sel:DWORD
	v_cmp_eq_u16_sdwa s[34:35], v122, v9 src0_sel:BYTE_0 src1_sel:DWORD
	v_cndmask_b32_e64 v5, 0, v65, s[26:27]
	v_cndmask_b32_e64 v4, 0, v64, s[26:27]
	v_lshl_add_u64 v[100:101], v[4:5], 0, v[46:47]
	v_and_b32_sdwa v4, v126, s40 dst_sel:DWORD dst_unused:UNUSED_PAD src0_sel:WORD_1 src1_sel:DWORD
	v_cmp_eq_u16_e64 s[28:29], 0, v4
	v_cmp_eq_u16_sdwa s[36:37], v125, v9 src0_sel:BYTE_0 src1_sel:DWORD
	v_cmp_eq_u16_sdwa s[38:39], v36, v9 src0_sel:BYTE_0 src1_sel:DWORD
	v_cndmask_b32_e64 v5, 0, v101, s[28:29]
	v_cndmask_b32_e64 v4, 0, v100, s[28:29]
	v_lshl_add_u64 v[68:69], v[4:5], 0, v[66:67]
	v_cndmask_b32_e64 v5, 0, v69, s[30:31]
	v_cndmask_b32_e64 v4, 0, v68, s[30:31]
	v_lshl_add_u64 v[104:105], v[4:5], 0, v[54:55]
	;; [unrolled: 3-line block ×5, first 2 shown]
	v_and_b32_sdwa v4, v125, s40 dst_sel:DWORD dst_unused:UNUSED_PAD src0_sel:WORD_1 src1_sel:DWORD
	v_cmp_eq_u16_e64 s[40:41], 0, v4
	v_cmp_eq_u16_sdwa s[42:43], v125, v9 src0_sel:BYTE_3 src1_sel:DWORD
	v_cmp_eq_u16_sdwa s[44:45], v28, v9 src0_sel:BYTE_0 src1_sel:DWORD
	v_cndmask_b32_e64 v5, 0, v77, s[40:41]
	v_cndmask_b32_e64 v4, 0, v76, s[40:41]
	v_lshl_add_u64 v[112:113], v[4:5], 0, v[70:71]
	v_cndmask_b32_e64 v5, 0, v113, s[42:43]
	v_cndmask_b32_e64 v4, 0, v112, s[42:43]
	v_lshl_add_u64 v[118:119], v[4:5], 0, v[10:11]
	;; [unrolled: 3-line block ×3, first 2 shown]
	v_or_b32_e32 v4, v125, v126
	v_or3_b32 v4, v4, v127, v128
	v_lshrrev_b16_e32 v9, 7, v4
	v_and_b32_e32 v5, 1, v4
	v_and_b32_e32 v9, 2, v9
	v_or_b32_e32 v5, v5, v9
	v_lshrrev_b32_e32 v9, 23, v4
	v_mov_b32_e32 v12, 1
	v_and_b32_e32 v9, 2, v9
	v_and_b32_sdwa v4, v4, v12 dst_sel:DWORD dst_unused:UNUSED_PAD src0_sel:WORD_1 src1_sel:DWORD
	v_or_b32_e32 v4, v4, v9
	v_lshlrev_b16_e32 v4, 2, v4
	v_or_b32_e32 v4, v5, v4
	v_cmp_eq_u32_e64 s[50:51], 1, v32
	v_cmp_ne_u16_e64 s[52:53], 0, v4
	v_cmp_eq_u32_e64 s[48:49], 1, v33
	s_or_b64 s[50:51], s[52:53], s[50:51]
	v_cmp_eq_u32_e64 s[0:1], 1, v37
	s_or_b64 s[48:49], s[50:51], s[48:49]
	;; [unrolled: 2-line block ×3, first 2 shown]
	v_and_b32_e32 v8, 0xff, v1
	s_or_b64 s[0:1], s[0:1], s[46:47]
	v_mbcnt_hi_u32_b32 v12, -1, v29
	v_cndmask_b32_e64 v13, v8, 1, s[0:1]
	v_and_b32_e32 v20, 15, v12
	v_mov_b32_dpp v24, v120 row_shr:1 row_mask:0xf bank_mask:0xf
	v_mov_b32_dpp v25, v121 row_shr:1 row_mask:0xf bank_mask:0xf
	;; [unrolled: 1-line block ×3, first 2 shown]
	v_cmp_ne_u32_e64 s[0:1], 0, v20
	v_mov_b64_e32 v[4:5], v[120:121]
	v_mov_b32_e32 v9, v121
	v_mov_b32_e32 v8, v120
	s_and_saveexec_b64 s[46:47], s[0:1]
; %bb.202:
	v_cmp_eq_u32_e64 s[0:1], 0, v13
	v_and_or_b32 v13, v21, 1, v13
	s_nop 0
	v_cndmask_b32_e64 v5, 0, v25, s[0:1]
	v_cndmask_b32_e64 v4, 0, v24, s[0:1]
	v_lshl_add_u64 v[4:5], v[120:121], 0, v[4:5]
	v_mov_b32_e32 v9, v5
	v_mov_b32_e32 v8, v4
; %bb.203:
	s_or_b64 exec, exec, s[46:47]
	s_nop 0
	v_mov_b32_dpp v24, v8 row_shr:2 row_mask:0xf bank_mask:0xf
	v_mov_b32_dpp v25, v9 row_shr:2 row_mask:0xf bank_mask:0xf
	v_mov_b32_dpp v21, v13 row_shr:2 row_mask:0xf bank_mask:0xf
	v_cmp_lt_u32_e64 s[0:1], 1, v20
	s_and_saveexec_b64 s[46:47], s[0:1]
; %bb.204:
	v_cmp_eq_u32_e64 s[0:1], 0, v13
	s_nop 1
	v_cndmask_b32_e64 v9, 0, v25, s[0:1]
	v_cndmask_b32_e64 v8, 0, v24, s[0:1]
	v_lshl_add_u64 v[8:9], v[8:9], 0, v[4:5]
	v_or_b32_e32 v4, v21, v13
	v_and_b32_e32 v13, 1, v4
	v_mov_b64_e32 v[4:5], v[8:9]
; %bb.205:
	s_or_b64 exec, exec, s[46:47]
	v_mov_b32_dpp v24, v8 row_shr:4 row_mask:0xf bank_mask:0xf
	v_mov_b32_dpp v25, v9 row_shr:4 row_mask:0xf bank_mask:0xf
	v_mov_b32_dpp v21, v13 row_shr:4 row_mask:0xf bank_mask:0xf
	v_cmp_lt_u32_e64 s[0:1], 3, v20
	s_and_saveexec_b64 s[46:47], s[0:1]
; %bb.206:
	v_cmp_eq_u32_e64 s[0:1], 0, v13
	s_nop 1
	v_cndmask_b32_e64 v9, 0, v25, s[0:1]
	v_cndmask_b32_e64 v8, 0, v24, s[0:1]
	v_lshl_add_u64 v[8:9], v[8:9], 0, v[4:5]
	v_or_b32_e32 v4, v21, v13
	v_and_b32_e32 v13, 1, v4
	v_mov_b64_e32 v[4:5], v[8:9]
; %bb.207:
	s_or_b64 exec, exec, s[46:47]
	;; [unrolled: 16-line block ×3, first 2 shown]
	v_and_b32_e32 v25, 16, v12
	v_mov_b32_dpp v21, v8 row_bcast:15 row_mask:0xf bank_mask:0xf
	v_mov_b32_dpp v24, v9 row_bcast:15 row_mask:0xf bank_mask:0xf
	;; [unrolled: 1-line block ×3, first 2 shown]
	v_cmp_ne_u32_e64 s[0:1], 0, v25
	s_and_saveexec_b64 s[46:47], s[0:1]
; %bb.210:
	v_cmp_eq_u32_e64 s[0:1], 0, v13
	s_nop 1
	v_cndmask_b32_e64 v9, 0, v24, s[0:1]
	v_cndmask_b32_e64 v8, 0, v21, s[0:1]
	v_lshl_add_u64 v[4:5], v[8:9], 0, v[4:5]
	v_or_b32_e32 v8, v20, v13
	v_and_b32_e32 v13, 1, v8
	v_mov_b32_e32 v9, v5
	v_mov_b32_e32 v8, v4
; %bb.211:
	s_or_b64 exec, exec, s[46:47]
	s_nop 0
	v_mov_b32_dpp v20, v8 row_bcast:31 row_mask:0xf bank_mask:0xf
	v_mov_b32_dpp v21, v9 row_bcast:31 row_mask:0xf bank_mask:0xf
	;; [unrolled: 1-line block ×3, first 2 shown]
	v_cmp_lt_u32_e64 s[0:1], 31, v12
	v_mov_b32_e32 v8, v13
	s_and_saveexec_b64 s[46:47], s[0:1]
; %bb.212:
	v_cmp_eq_u32_e64 s[0:1], 0, v13
	v_or_b32_e32 v9, v9, v13
	v_and_b32_e32 v8, 1, v9
	v_cndmask_b32_e64 v21, 0, v21, s[0:1]
	v_cndmask_b32_e64 v20, 0, v20, s[0:1]
	v_lshl_add_u64 v[4:5], v[20:21], 0, v[4:5]
	v_and_b32_e32 v13, 1, v9
; %bb.213:
	s_or_b64 exec, exec, s[46:47]
	v_or_b32_e32 v9, 63, v0
	v_lshrrev_b32_e32 v20, 6, v0
	v_cmp_eq_u32_e64 s[0:1], v9, v0
	s_and_saveexec_b64 s[46:47], s[0:1]
	s_cbranch_execz .LBB1323_215
; %bb.214:
	v_lshlrev_b32_e32 v9, 4, v20
	ds_write_b64 v9, v[4:5]
	ds_write_b8 v9, v8 offset:8
.LBB1323_215:
	s_or_b64 exec, exec, s[46:47]
	v_cmp_gt_u32_e64 s[0:1], 4, v0
	s_waitcnt lgkmcnt(0)
	s_barrier
	s_and_saveexec_b64 s[48:49], s[0:1]
	s_cbranch_execz .LBB1323_221
; %bb.216:
	v_lshlrev_b32_e32 v21, 4, v0
	ds_read_b64 v[8:9], v21
	ds_read_b32 v24, v21 offset:8
	v_and_b32_e32 v25, 3, v12
	v_cmp_ne_u32_e64 s[0:1], 0, v25
	s_waitcnt lgkmcnt(1)
	v_mov_b32_dpp v33, v8 row_shr:1 row_mask:0xf bank_mask:0xf
	v_mov_b32_dpp v36, v9 row_shr:1 row_mask:0xf bank_mask:0xf
	s_waitcnt lgkmcnt(0)
	v_mov_b32_dpp v32, v24 row_shr:1 row_mask:0xf bank_mask:0xf
	v_mov_b32_e32 v28, v24
	v_mov_b32_e32 v29, v24
	s_and_saveexec_b64 s[46:47], s[0:1]
; %bb.217:
	v_mov_b32_e32 v28, 0
	v_cmp_eq_u16_sdwa s[0:1], v24, v28 src0_sel:BYTE_0 src1_sel:DWORD
	s_nop 1
	v_cndmask_b32_e64 v29, 0, v36, s[0:1]
	v_cndmask_b32_e64 v28, 0, v33, s[0:1]
	v_lshl_add_u64 v[8:9], v[28:29], 0, v[8:9]
	v_or_b32_e32 v29, v32, v24
	v_and_b32_e32 v28, 1, v29
	v_and_b32_e32 v29, 1, v29
	s_movk_i32 s0, 0xff00
	v_and_or_b32 v24, v24, s0, v29
; %bb.218:
	s_or_b64 exec, exec, s[46:47]
	v_mov_b32_dpp v32, v8 row_shr:2 row_mask:0xf bank_mask:0xf
	v_mov_b32_dpp v33, v9 row_shr:2 row_mask:0xf bank_mask:0xf
	;; [unrolled: 1-line block ×3, first 2 shown]
	v_cmp_lt_u32_e64 s[0:1], 1, v25
	s_and_saveexec_b64 s[50:51], s[0:1]
; %bb.219:
	v_mov_b32_e32 v25, 0
	v_cmp_eq_u16_sdwa s[0:1], v29, v25 src0_sel:BYTE_0 src1_sel:DWORD
	v_and_b32_e32 v25, 1, v29
	v_and_b32_e32 v24, 1, v24
	v_cndmask_b32_e64 v33, 0, v33, s[0:1]
	v_cndmask_b32_e64 v32, 0, v32, s[0:1]
	v_cmp_eq_u32_e64 s[0:1], 1, v25
	v_cmp_eq_u32_e64 s[46:47], 1, v24
	s_or_b64 s[0:1], s[0:1], s[46:47]
	v_lshl_add_u64 v[8:9], v[32:33], 0, v[8:9]
	v_cndmask_b32_e64 v28, 0, 1, s[0:1]
; %bb.220:
	s_or_b64 exec, exec, s[50:51]
	ds_write_b64 v21, v[8:9]
	ds_write_b8 v21, v28 offset:8
.LBB1323_221:
	s_or_b64 exec, exec, s[48:49]
	v_cmp_lt_u32_e64 s[0:1], 63, v0
	v_mov_b64_e32 v[8:9], 0
	s_waitcnt lgkmcnt(0)
	s_barrier
	s_and_saveexec_b64 s[46:47], s[0:1]
	s_cbranch_execz .LBB1323_223
; %bb.222:
	v_lshl_add_u32 v8, v20, 4, -16
	ds_read_b64 v[8:9], v8
	v_cmp_eq_u32_e64 s[0:1], 0, v13
	s_waitcnt lgkmcnt(0)
	s_nop 0
	v_cndmask_b32_e64 v21, 0, v9, s[0:1]
	v_cndmask_b32_e64 v20, 0, v8, s[0:1]
	v_lshl_add_u64 v[4:5], v[20:21], 0, v[4:5]
.LBB1323_223:
	s_or_b64 exec, exec, s[46:47]
	v_add_u32_e32 v13, -1, v12
	v_and_b32_e32 v20, 64, v12
	v_cmp_lt_i32_e64 s[0:1], v13, v20
	s_nop 1
	v_cndmask_b32_e64 v13, v13, v12, s[0:1]
	v_lshlrev_b32_e32 v13, 2, v13
	ds_bpermute_b32 v4, v13, v4
	ds_bpermute_b32 v5, v13, v5
	s_and_saveexec_b64 s[46:47], s[4:5]
	s_cbranch_execz .LBB1323_225
; %bb.224:
	v_cmp_eq_u32_e64 s[0:1], 0, v12
	;;#ASMSTART
	;;#ASMEND
	s_waitcnt lgkmcnt(1)
	s_nop 0
	v_cndmask_b32_e64 v4, v4, v8, s[0:1]
	v_mov_b32_e32 v8, 0
	s_waitcnt lgkmcnt(0)
	v_cndmask_b32_e64 v5, v5, v9, s[0:1]
	v_cmp_eq_u16_sdwa s[0:1], v1, v8 src0_sel:BYTE_0 src1_sel:DWORD
	s_nop 1
	v_cndmask_b32_e64 v5, 0, v5, s[0:1]
	v_cndmask_b32_e64 v4, 0, v4, s[0:1]
	v_lshl_add_u64 v[2:3], v[4:5], 0, v[2:3]
	v_cndmask_b32_e32 v5, 0, v3, vcc
	v_cndmask_b32_e32 v4, 0, v2, vcc
	v_lshl_add_u64 v[44:45], v[4:5], 0, v[14:15]
	v_cndmask_b32_e64 v5, 0, v45, s[6:7]
	v_cndmask_b32_e64 v4, 0, v44, s[6:7]
	v_lshl_add_u64 v[80:81], v[4:5], 0, v[6:7]
	v_cndmask_b32_e64 v5, 0, v81, s[8:9]
	v_cndmask_b32_e64 v4, 0, v80, s[8:9]
	;; [unrolled: 3-line block ×19, first 2 shown]
	v_lshl_add_u64 v[120:121], v[4:5], 0, v[16:17]
.LBB1323_225:
	s_or_b64 exec, exec, s[46:47]
	s_and_saveexec_b64 s[0:1], s[68:69]
	s_cbranch_execz .LBB1323_227
; %bb.226:
	v_mov_b32_e32 v1, 0
	s_waitcnt lgkmcnt(0)
	ds_read_b64 v[4:5], v1 offset:48
	ds_read_u8 v6, v1 offset:56
	v_readlane_b32 s4, v131, 0
	v_readlane_b32 s6, v131, 2
	;; [unrolled: 1-line block ×5, first 2 shown]
	s_waitcnt lgkmcnt(1)
	s_nop 1
	global_store_dword v1, v4, s[6:7] offset:1024 sc1
	global_store_dword v1, v5, s[6:7] offset:1028 sc1
	s_waitcnt lgkmcnt(0)
	global_store_dword v1, v6, s[6:7] offset:1032 sc1
	global_store_dword v1, v1, s[6:7] offset:1036 sc1
	v_mov_b32_e32 v4, 2
	v_readlane_b32 s5, v131, 1
	v_readlane_b32 s10, v131, 6
	;; [unrolled: 1-line block ×3, first 2 shown]
	s_waitcnt vmcnt(0)
	global_store_byte v1, v4, s[8:9] offset:64 sc1
.LBB1323_227:
	s_or_b64 exec, exec, s[0:1]
	v_mov_b64_e32 v[114:115], v[2:3]
.LBB1323_228:
	s_add_u32 s0, s78, s88
	s_addc_u32 s1, s79, s89
	s_add_u32 s0, s0, s2
	s_addc_u32 s1, s1, s3
	s_and_b64 vcc, exec, s[60:61]
	v_lshlrev_b32_e32 v42, 3, v0
	s_cbranch_vccz .LBB1323_270
; %bb.229:
	s_movk_i32 s2, 0xa8
	v_mul_i32_i24_e32 v50, 0xffffff60, v0
	v_mul_u32_u24_e32 v1, 0xa8, v0
	v_mad_u32_u24 v2, v0, s2, v50
	s_waitcnt lgkmcnt(0)
	s_barrier
	ds_write2_b64 v1, v[114:115], v[44:45] offset1:1
	ds_write2_b64 v1, v[80:81], v[48:49] offset0:2 offset1:3
	ds_write2_b64 v1, v[84:85], v[52:53] offset0:4 offset1:5
	;; [unrolled: 1-line block ×9, first 2 shown]
	ds_write_b64 v1, v[120:121] offset:160
	s_waitcnt lgkmcnt(0)
	s_barrier
	ds_read2st64_b64 v[38:41], v2 offset0:4 offset1:8
	ds_read2st64_b64 v[34:37], v2 offset0:12 offset1:16
	ds_read2st64_b64 v[30:33], v2 offset0:20 offset1:24
	ds_read2st64_b64 v[26:29], v2 offset0:28 offset1:32
	ds_read2st64_b64 v[22:25], v2 offset0:36 offset1:40
	ds_read2st64_b64 v[18:21], v2 offset0:44 offset1:48
	ds_read2st64_b64 v[14:17], v2 offset0:52 offset1:56
	ds_read2st64_b64 v[10:13], v2 offset0:60 offset1:64
	ds_read2st64_b64 v[6:9], v2 offset0:68 offset1:72
	ds_read2st64_b64 v[2:5], v2 offset0:76 offset1:80
	v_readlane_b32 s4, v131, 0
	v_readlane_b32 s10, v131, 6
	s_add_i32 s33, s33, s10
	v_mov_b32_e32 v43, 0
	v_lshl_add_u64 v[46:47], s[0:1], 0, v[42:43]
	v_cmp_gt_u32_e32 vcc, s33, v0
	v_readlane_b32 s5, v131, 1
	v_readlane_b32 s6, v131, 2
	;; [unrolled: 1-line block ×6, first 2 shown]
	s_and_saveexec_b64 s[2:3], vcc
	s_cbranch_execz .LBB1323_231
; %bb.230:
	v_add_u32_e32 v1, v1, v50
	ds_read_b64 v[50:51], v1
	s_waitcnt lgkmcnt(0)
	flat_store_dwordx2 v[46:47], v[50:51]
.LBB1323_231:
	s_or_b64 exec, exec, s[2:3]
	v_or_b32_e32 v1, 0x100, v0
	v_cmp_gt_u32_e32 vcc, s33, v1
	s_and_saveexec_b64 s[2:3], vcc
	s_cbranch_execz .LBB1323_233
; %bb.232:
	s_waitcnt lgkmcnt(0)
	flat_store_dwordx2 v[46:47], v[38:39] offset:2048
.LBB1323_233:
	s_or_b64 exec, exec, s[2:3]
	v_or_b32_e32 v1, 0x200, v0
	v_cmp_gt_u32_e32 vcc, s33, v1
	s_and_saveexec_b64 s[2:3], vcc
	s_cbranch_execz .LBB1323_235
; %bb.234:
	s_waitcnt lgkmcnt(0)
	v_add_co_u32_e32 v38, vcc, 0x1000, v46
	s_nop 1
	v_addc_co_u32_e32 v39, vcc, 0, v47, vcc
	flat_store_dwordx2 v[38:39], v[40:41]
.LBB1323_235:
	s_or_b64 exec, exec, s[2:3]
	v_or_b32_e32 v1, 0x300, v0
	v_cmp_gt_u32_e32 vcc, s33, v1
	s_and_saveexec_b64 s[2:3], vcc
	s_cbranch_execz .LBB1323_237
; %bb.236:
	s_waitcnt lgkmcnt(0)
	v_add_co_u32_e32 v38, vcc, 0x1000, v46
	s_nop 1
	v_addc_co_u32_e32 v39, vcc, 0, v47, vcc
	flat_store_dwordx2 v[38:39], v[34:35] offset:2048
.LBB1323_237:
	s_or_b64 exec, exec, s[2:3]
	v_or_b32_e32 v1, 0x400, v0
	v_cmp_gt_u32_e32 vcc, s33, v1
	s_and_saveexec_b64 s[2:3], vcc
	s_cbranch_execz .LBB1323_239
; %bb.238:
	s_waitcnt lgkmcnt(0)
	v_add_co_u32_e32 v34, vcc, 0x2000, v46
	s_nop 1
	v_addc_co_u32_e32 v35, vcc, 0, v47, vcc
	flat_store_dwordx2 v[34:35], v[36:37]
.LBB1323_239:
	s_or_b64 exec, exec, s[2:3]
	v_or_b32_e32 v1, 0x500, v0
	v_cmp_gt_u32_e32 vcc, s33, v1
	s_and_saveexec_b64 s[2:3], vcc
	s_cbranch_execz .LBB1323_241
; %bb.240:
	s_waitcnt lgkmcnt(0)
	v_add_co_u32_e32 v34, vcc, 0x2000, v46
	s_nop 1
	v_addc_co_u32_e32 v35, vcc, 0, v47, vcc
	flat_store_dwordx2 v[34:35], v[30:31] offset:2048
.LBB1323_241:
	;; [unrolled: 24-line block ×9, first 2 shown]
	s_or_b64 exec, exec, s[2:3]
	s_waitcnt lgkmcnt(0)
	v_or_b32_e32 v2, 0x1400, v0
	v_mov_b32_e32 v1, v43
	v_cmp_gt_u32_e64 s[2:3], s33, v2
	s_branch .LBB1323_272
.LBB1323_270:
	s_mov_b64 s[2:3], 0
                                        ; implicit-def: $vgpr4_vgpr5
	s_cbranch_execz .LBB1323_272
; %bb.271:
	v_mul_u32_u24_e32 v1, 0xa8, v0
	s_waitcnt lgkmcnt(0)
	s_barrier
	s_movk_i32 s4, 0xa8
	ds_write2_b64 v1, v[114:115], v[44:45] offset1:1
	ds_write2_b64 v1, v[80:81], v[48:49] offset0:2 offset1:3
	ds_write2_b64 v1, v[84:85], v[52:53] offset0:4 offset1:5
	;; [unrolled: 1-line block ×9, first 2 shown]
	ds_write_b64 v1, v[120:121] offset:160
	v_mov_b32_e32 v1, 0
	v_mul_i32_i24_e32 v2, 0xffffff60, v0
	v_mad_u32_u24 v2, v0, s4, v2
	v_mov_b32_e32 v43, v1
	s_waitcnt lgkmcnt(0)
	s_barrier
	ds_read2st64_b64 v[6:9], v2 offset1:4
	ds_read2st64_b64 v[10:13], v2 offset0:8 offset1:12
	ds_read2st64_b64 v[14:17], v2 offset0:16 offset1:20
	;; [unrolled: 1-line block ×9, first 2 shown]
	ds_read_b64 v[4:5], v2 offset:40960
	v_lshl_add_u64 v[2:3], s[0:1], 0, v[42:43]
	s_movk_i32 s4, 0x1000
	s_waitcnt lgkmcnt(0)
	flat_store_dwordx2 v[2:3], v[6:7]
	flat_store_dwordx2 v[2:3], v[8:9] offset:2048
	v_add_co_u32_e32 v6, vcc, s4, v2
	s_movk_i32 s4, 0x2000
	s_nop 0
	v_addc_co_u32_e32 v7, vcc, 0, v3, vcc
	flat_store_dwordx2 v[6:7], v[10:11]
	flat_store_dwordx2 v[6:7], v[12:13] offset:2048
	v_add_co_u32_e32 v6, vcc, s4, v2
	s_movk_i32 s4, 0x3000
	s_nop 0
	v_addc_co_u32_e32 v7, vcc, 0, v3, vcc
	;; [unrolled: 6-line block ×6, first 2 shown]
	flat_store_dwordx2 v[6:7], v[30:31]
	flat_store_dwordx2 v[6:7], v[32:33] offset:2048
	v_add_co_u32_e32 v6, vcc, s4, v2
	s_or_b64 s[2:3], s[2:3], exec
	s_nop 0
	v_addc_co_u32_e32 v7, vcc, 0, v3, vcc
	flat_store_dwordx2 v[6:7], v[34:35]
	flat_store_dwordx2 v[6:7], v[36:37] offset:2048
	v_add_co_u32_e32 v6, vcc, 0x8000, v2
	s_nop 1
	v_addc_co_u32_e32 v7, vcc, 0, v3, vcc
	v_add_co_u32_e32 v2, vcc, 0x9000, v2
	flat_store_dwordx2 v[6:7], v[38:39]
	flat_store_dwordx2 v[6:7], v[40:41] offset:2048
	v_addc_co_u32_e32 v3, vcc, 0, v3, vcc
	flat_store_dwordx2 v[2:3], v[44:45]
	flat_store_dwordx2 v[2:3], v[46:47] offset:2048
.LBB1323_272:
	s_and_saveexec_b64 s[4:5], s[2:3]
	s_cbranch_execnz .LBB1323_274
; %bb.273:
	s_endpgm
.LBB1323_274:
	v_lshl_add_u64 v[0:1], v[0:1], 3, s[0:1]
	v_add_co_u32_e32 v0, vcc, 0xa000, v0
	s_nop 1
	v_addc_co_u32_e32 v1, vcc, 0, v1, vcc
	s_waitcnt lgkmcnt(0)
	flat_store_dwordx2 v[0:1], v[4:5]
	s_endpgm
.LBB1323_275:
	v_lshlrev_b32_e32 v6, 3, v0
	v_lshl_add_u64 v[2:3], s[50:51], 0, v[6:7]
	flat_load_dwordx2 v[2:3], v[2:3]
	s_or_b64 exec, exec, s[0:1]
                                        ; implicit-def: $vgpr6_vgpr7
	s_and_saveexec_b64 s[0:1], s[8:9]
	s_cbranch_execz .LBB1323_55
.LBB1323_276:
	v_lshlrev_b32_e32 v6, 3, v0
	v_mov_b32_e32 v7, 0
	v_lshl_add_u64 v[6:7], s[50:51], 0, v[6:7]
	flat_load_dwordx2 v[6:7], v[6:7] offset:2048
	s_or_b64 exec, exec, s[0:1]
                                        ; implicit-def: $vgpr10_vgpr11
	s_and_saveexec_b64 s[0:1], s[10:11]
	s_cbranch_execz .LBB1323_56
.LBB1323_277:
	v_lshlrev_b32_e32 v10, 3, v1
	v_mov_b32_e32 v11, 0
	v_lshl_add_u64 v[10:11], s[50:51], 0, v[10:11]
	flat_load_dwordx2 v[10:11], v[10:11]
	s_or_b64 exec, exec, s[0:1]
                                        ; implicit-def: $vgpr14_vgpr15
	s_and_saveexec_b64 s[0:1], s[12:13]
	s_cbranch_execz .LBB1323_57
.LBB1323_278:
	v_lshlrev_b32_e32 v14, 3, v16
	v_mov_b32_e32 v15, 0
	v_lshl_add_u64 v[14:15], s[50:51], 0, v[14:15]
	flat_load_dwordx2 v[14:15], v[14:15]
	s_or_b64 exec, exec, s[0:1]
                                        ; implicit-def: $vgpr16_vgpr17
	s_and_saveexec_b64 s[0:1], s[14:15]
	s_cbranch_execz .LBB1323_58
.LBB1323_279:
	v_lshlrev_b32_e32 v16, 3, v18
	v_mov_b32_e32 v17, 0
	v_lshl_add_u64 v[16:17], s[50:51], 0, v[16:17]
	flat_load_dwordx2 v[16:17], v[16:17]
	s_or_b64 exec, exec, s[0:1]
                                        ; implicit-def: $vgpr18_vgpr19
	s_and_saveexec_b64 s[0:1], s[16:17]
	s_cbranch_execz .LBB1323_59
.LBB1323_280:
	v_lshlrev_b32_e32 v18, 3, v22
	v_mov_b32_e32 v19, 0
	v_lshl_add_u64 v[18:19], s[50:51], 0, v[18:19]
	flat_load_dwordx2 v[18:19], v[18:19]
	s_or_b64 exec, exec, s[0:1]
                                        ; implicit-def: $vgpr22_vgpr23
	s_and_saveexec_b64 s[0:1], s[18:19]
	s_cbranch_execz .LBB1323_60
.LBB1323_281:
	v_lshlrev_b32_e32 v22, 3, v26
	v_mov_b32_e32 v23, 0
	v_lshl_add_u64 v[22:23], s[50:51], 0, v[22:23]
	flat_load_dwordx2 v[22:23], v[22:23]
	s_or_b64 exec, exec, s[0:1]
                                        ; implicit-def: $vgpr26_vgpr27
	s_and_saveexec_b64 s[0:1], s[20:21]
	s_cbranch_execz .LBB1323_61
.LBB1323_282:
	v_lshlrev_b32_e32 v26, 3, v30
	v_mov_b32_e32 v27, 0
	v_lshl_add_u64 v[26:27], s[50:51], 0, v[26:27]
	flat_load_dwordx2 v[26:27], v[26:27]
	s_or_b64 exec, exec, s[0:1]
                                        ; implicit-def: $vgpr30_vgpr31
	s_and_saveexec_b64 s[0:1], s[22:23]
	s_cbranch_execz .LBB1323_62
.LBB1323_283:
	v_lshlrev_b32_e32 v30, 3, v34
	v_mov_b32_e32 v31, 0
	v_lshl_add_u64 v[30:31], s[50:51], 0, v[30:31]
	flat_load_dwordx2 v[30:31], v[30:31]
	s_or_b64 exec, exec, s[0:1]
                                        ; implicit-def: $vgpr34_vgpr35
	s_and_saveexec_b64 s[0:1], s[24:25]
	s_cbranch_execz .LBB1323_63
.LBB1323_284:
	v_lshlrev_b32_e32 v34, 3, v38
	v_mov_b32_e32 v35, 0
	v_lshl_add_u64 v[34:35], s[50:51], 0, v[34:35]
	flat_load_dwordx2 v[34:35], v[34:35]
	s_or_b64 exec, exec, s[0:1]
                                        ; implicit-def: $vgpr38_vgpr39
	s_and_saveexec_b64 s[0:1], s[26:27]
	s_cbranch_execz .LBB1323_64
.LBB1323_285:
	v_lshlrev_b32_e32 v38, 3, v42
	v_mov_b32_e32 v39, 0
	v_lshl_add_u64 v[38:39], s[50:51], 0, v[38:39]
	flat_load_dwordx2 v[38:39], v[38:39]
	s_or_b64 exec, exec, s[0:1]
                                        ; implicit-def: $vgpr42_vgpr43
	s_and_saveexec_b64 s[0:1], s[28:29]
	s_cbranch_execz .LBB1323_65
.LBB1323_286:
	v_lshlrev_b32_e32 v42, 3, v46
	v_mov_b32_e32 v43, 0
	v_lshl_add_u64 v[42:43], s[50:51], 0, v[42:43]
	flat_load_dwordx2 v[42:43], v[42:43]
	s_or_b64 exec, exec, s[0:1]
                                        ; implicit-def: $vgpr46_vgpr47
	s_and_saveexec_b64 s[0:1], s[30:31]
	s_cbranch_execz .LBB1323_66
.LBB1323_287:
	v_lshlrev_b32_e32 v46, 3, v48
	v_mov_b32_e32 v47, 0
	v_lshl_add_u64 v[46:47], s[50:51], 0, v[46:47]
	flat_load_dwordx2 v[46:47], v[46:47]
	s_or_b64 exec, exec, s[0:1]
                                        ; implicit-def: $vgpr48_vgpr49
	s_and_saveexec_b64 s[0:1], s[34:35]
	s_cbranch_execz .LBB1323_67
.LBB1323_288:
	v_lshlrev_b32_e32 v48, 3, v50
	v_mov_b32_e32 v49, 0
	v_lshl_add_u64 v[48:49], s[50:51], 0, v[48:49]
	flat_load_dwordx2 v[48:49], v[48:49]
	s_or_b64 exec, exec, s[0:1]
                                        ; implicit-def: $vgpr50_vgpr51
	s_and_saveexec_b64 s[0:1], s[36:37]
	s_cbranch_execz .LBB1323_68
.LBB1323_289:
	v_lshlrev_b32_e32 v50, 3, v52
	v_mov_b32_e32 v51, 0
	v_lshl_add_u64 v[50:51], s[50:51], 0, v[50:51]
	flat_load_dwordx2 v[50:51], v[50:51]
	s_or_b64 exec, exec, s[0:1]
                                        ; implicit-def: $vgpr52_vgpr53
	s_and_saveexec_b64 s[0:1], s[38:39]
	s_cbranch_execz .LBB1323_69
.LBB1323_290:
	v_lshlrev_b32_e32 v52, 3, v54
	v_mov_b32_e32 v53, 0
	v_lshl_add_u64 v[52:53], s[50:51], 0, v[52:53]
	flat_load_dwordx2 v[52:53], v[52:53]
	s_or_b64 exec, exec, s[0:1]
                                        ; implicit-def: $vgpr54_vgpr55
	s_and_saveexec_b64 s[0:1], s[40:41]
	s_cbranch_execz .LBB1323_70
.LBB1323_291:
	v_lshlrev_b32_e32 v54, 3, v56
	v_mov_b32_e32 v55, 0
	v_lshl_add_u64 v[54:55], s[50:51], 0, v[54:55]
	flat_load_dwordx2 v[54:55], v[54:55]
	s_or_b64 exec, exec, s[0:1]
                                        ; implicit-def: $vgpr56_vgpr57
	s_and_saveexec_b64 s[0:1], s[42:43]
	s_cbranch_execz .LBB1323_71
.LBB1323_292:
	v_lshlrev_b32_e32 v56, 3, v58
	v_mov_b32_e32 v57, 0
	v_lshl_add_u64 v[56:57], s[50:51], 0, v[56:57]
	flat_load_dwordx2 v[56:57], v[56:57]
	s_or_b64 exec, exec, s[0:1]
                                        ; implicit-def: $vgpr58_vgpr59
	s_and_saveexec_b64 s[0:1], s[44:45]
	s_cbranch_execz .LBB1323_72
.LBB1323_293:
	v_lshlrev_b32_e32 v58, 3, v60
	v_mov_b32_e32 v59, 0
	v_lshl_add_u64 v[58:59], s[50:51], 0, v[58:59]
	flat_load_dwordx2 v[58:59], v[58:59]
	s_or_b64 exec, exec, s[0:1]
                                        ; implicit-def: $vgpr60_vgpr61
	s_and_saveexec_b64 s[0:1], s[46:47]
	s_cbranch_execz .LBB1323_73
.LBB1323_294:
	v_lshlrev_b32_e32 v60, 3, v62
	v_mov_b32_e32 v61, 0
	v_lshl_add_u64 v[60:61], s[50:51], 0, v[60:61]
	flat_load_dwordx2 v[60:61], v[60:61]
	s_or_b64 exec, exec, s[0:1]
                                        ; implicit-def: $vgpr62_vgpr63
	s_and_saveexec_b64 s[0:1], s[48:49]
	s_cbranch_execnz .LBB1323_74
	s_branch .LBB1323_75
.LBB1323_295:
                                        ; implicit-def: $sgpr0_sgpr1
	s_branch .LBB1323_50
.LBB1323_296:
                                        ; implicit-def: $sgpr0_sgpr1
	s_branch .LBB1323_120
	.section	.rodata,"a",@progbits
	.p2align	6, 0x0
	.amdhsa_kernel _ZN7rocprim17ROCPRIM_400000_NS6detail17trampoline_kernelINS0_14default_configENS1_27scan_by_key_config_selectorIixEEZZNS1_16scan_by_key_implILNS1_25lookback_scan_determinismE0ELb0ES3_N6thrust23THRUST_200600_302600_NS6detail15normal_iteratorINS9_10device_ptrIiEEEENSB_INSC_IxEEEESG_xNS9_4plusIvEENS9_8equal_toIvEExEE10hipError_tPvRmT2_T3_T4_T5_mT6_T7_P12ihipStream_tbENKUlT_T0_E_clISt17integral_constantIbLb1EES11_EEDaSW_SX_EUlSW_E_NS1_11comp_targetILNS1_3genE5ELNS1_11target_archE942ELNS1_3gpuE9ELNS1_3repE0EEENS1_30default_config_static_selectorELNS0_4arch9wavefront6targetE1EEEvT1_
		.amdhsa_group_segment_fixed_size 43008
		.amdhsa_private_segment_fixed_size 0
		.amdhsa_kernarg_size 136
		.amdhsa_user_sgpr_count 2
		.amdhsa_user_sgpr_dispatch_ptr 0
		.amdhsa_user_sgpr_queue_ptr 0
		.amdhsa_user_sgpr_kernarg_segment_ptr 1
		.amdhsa_user_sgpr_dispatch_id 0
		.amdhsa_user_sgpr_kernarg_preload_length 0
		.amdhsa_user_sgpr_kernarg_preload_offset 0
		.amdhsa_user_sgpr_private_segment_size 0
		.amdhsa_uses_dynamic_stack 0
		.amdhsa_enable_private_segment 0
		.amdhsa_system_sgpr_workgroup_id_x 1
		.amdhsa_system_sgpr_workgroup_id_y 0
		.amdhsa_system_sgpr_workgroup_id_z 0
		.amdhsa_system_sgpr_workgroup_info 0
		.amdhsa_system_vgpr_workitem_id 0
		.amdhsa_next_free_vgpr 132
		.amdhsa_next_free_sgpr 100
		.amdhsa_accum_offset 132
		.amdhsa_reserve_vcc 1
		.amdhsa_float_round_mode_32 0
		.amdhsa_float_round_mode_16_64 0
		.amdhsa_float_denorm_mode_32 3
		.amdhsa_float_denorm_mode_16_64 3
		.amdhsa_dx10_clamp 1
		.amdhsa_ieee_mode 1
		.amdhsa_fp16_overflow 0
		.amdhsa_tg_split 0
		.amdhsa_exception_fp_ieee_invalid_op 0
		.amdhsa_exception_fp_denorm_src 0
		.amdhsa_exception_fp_ieee_div_zero 0
		.amdhsa_exception_fp_ieee_overflow 0
		.amdhsa_exception_fp_ieee_underflow 0
		.amdhsa_exception_fp_ieee_inexact 0
		.amdhsa_exception_int_div_zero 0
	.end_amdhsa_kernel
	.section	.text._ZN7rocprim17ROCPRIM_400000_NS6detail17trampoline_kernelINS0_14default_configENS1_27scan_by_key_config_selectorIixEEZZNS1_16scan_by_key_implILNS1_25lookback_scan_determinismE0ELb0ES3_N6thrust23THRUST_200600_302600_NS6detail15normal_iteratorINS9_10device_ptrIiEEEENSB_INSC_IxEEEESG_xNS9_4plusIvEENS9_8equal_toIvEExEE10hipError_tPvRmT2_T3_T4_T5_mT6_T7_P12ihipStream_tbENKUlT_T0_E_clISt17integral_constantIbLb1EES11_EEDaSW_SX_EUlSW_E_NS1_11comp_targetILNS1_3genE5ELNS1_11target_archE942ELNS1_3gpuE9ELNS1_3repE0EEENS1_30default_config_static_selectorELNS0_4arch9wavefront6targetE1EEEvT1_,"axG",@progbits,_ZN7rocprim17ROCPRIM_400000_NS6detail17trampoline_kernelINS0_14default_configENS1_27scan_by_key_config_selectorIixEEZZNS1_16scan_by_key_implILNS1_25lookback_scan_determinismE0ELb0ES3_N6thrust23THRUST_200600_302600_NS6detail15normal_iteratorINS9_10device_ptrIiEEEENSB_INSC_IxEEEESG_xNS9_4plusIvEENS9_8equal_toIvEExEE10hipError_tPvRmT2_T3_T4_T5_mT6_T7_P12ihipStream_tbENKUlT_T0_E_clISt17integral_constantIbLb1EES11_EEDaSW_SX_EUlSW_E_NS1_11comp_targetILNS1_3genE5ELNS1_11target_archE942ELNS1_3gpuE9ELNS1_3repE0EEENS1_30default_config_static_selectorELNS0_4arch9wavefront6targetE1EEEvT1_,comdat
.Lfunc_end1323:
	.size	_ZN7rocprim17ROCPRIM_400000_NS6detail17trampoline_kernelINS0_14default_configENS1_27scan_by_key_config_selectorIixEEZZNS1_16scan_by_key_implILNS1_25lookback_scan_determinismE0ELb0ES3_N6thrust23THRUST_200600_302600_NS6detail15normal_iteratorINS9_10device_ptrIiEEEENSB_INSC_IxEEEESG_xNS9_4plusIvEENS9_8equal_toIvEExEE10hipError_tPvRmT2_T3_T4_T5_mT6_T7_P12ihipStream_tbENKUlT_T0_E_clISt17integral_constantIbLb1EES11_EEDaSW_SX_EUlSW_E_NS1_11comp_targetILNS1_3genE5ELNS1_11target_archE942ELNS1_3gpuE9ELNS1_3repE0EEENS1_30default_config_static_selectorELNS0_4arch9wavefront6targetE1EEEvT1_, .Lfunc_end1323-_ZN7rocprim17ROCPRIM_400000_NS6detail17trampoline_kernelINS0_14default_configENS1_27scan_by_key_config_selectorIixEEZZNS1_16scan_by_key_implILNS1_25lookback_scan_determinismE0ELb0ES3_N6thrust23THRUST_200600_302600_NS6detail15normal_iteratorINS9_10device_ptrIiEEEENSB_INSC_IxEEEESG_xNS9_4plusIvEENS9_8equal_toIvEExEE10hipError_tPvRmT2_T3_T4_T5_mT6_T7_P12ihipStream_tbENKUlT_T0_E_clISt17integral_constantIbLb1EES11_EEDaSW_SX_EUlSW_E_NS1_11comp_targetILNS1_3genE5ELNS1_11target_archE942ELNS1_3gpuE9ELNS1_3repE0EEENS1_30default_config_static_selectorELNS0_4arch9wavefront6targetE1EEEvT1_
                                        ; -- End function
	.section	.AMDGPU.csdata,"",@progbits
; Kernel info:
; codeLenInByte = 17748
; NumSgprs: 106
; NumVgprs: 132
; NumAgprs: 0
; TotalNumVgprs: 132
; ScratchSize: 0
; MemoryBound: 0
; FloatMode: 240
; IeeeMode: 1
; LDSByteSize: 43008 bytes/workgroup (compile time only)
; SGPRBlocks: 13
; VGPRBlocks: 16
; NumSGPRsForWavesPerEU: 106
; NumVGPRsForWavesPerEU: 132
; AccumOffset: 132
; Occupancy: 1
; WaveLimiterHint : 1
; COMPUTE_PGM_RSRC2:SCRATCH_EN: 0
; COMPUTE_PGM_RSRC2:USER_SGPR: 2
; COMPUTE_PGM_RSRC2:TRAP_HANDLER: 0
; COMPUTE_PGM_RSRC2:TGID_X_EN: 1
; COMPUTE_PGM_RSRC2:TGID_Y_EN: 0
; COMPUTE_PGM_RSRC2:TGID_Z_EN: 0
; COMPUTE_PGM_RSRC2:TIDIG_COMP_CNT: 0
; COMPUTE_PGM_RSRC3_GFX90A:ACCUM_OFFSET: 32
; COMPUTE_PGM_RSRC3_GFX90A:TG_SPLIT: 0
	.section	.text._ZN7rocprim17ROCPRIM_400000_NS6detail17trampoline_kernelINS0_14default_configENS1_27scan_by_key_config_selectorIixEEZZNS1_16scan_by_key_implILNS1_25lookback_scan_determinismE0ELb0ES3_N6thrust23THRUST_200600_302600_NS6detail15normal_iteratorINS9_10device_ptrIiEEEENSB_INSC_IxEEEESG_xNS9_4plusIvEENS9_8equal_toIvEExEE10hipError_tPvRmT2_T3_T4_T5_mT6_T7_P12ihipStream_tbENKUlT_T0_E_clISt17integral_constantIbLb1EES11_EEDaSW_SX_EUlSW_E_NS1_11comp_targetILNS1_3genE4ELNS1_11target_archE910ELNS1_3gpuE8ELNS1_3repE0EEENS1_30default_config_static_selectorELNS0_4arch9wavefront6targetE1EEEvT1_,"axG",@progbits,_ZN7rocprim17ROCPRIM_400000_NS6detail17trampoline_kernelINS0_14default_configENS1_27scan_by_key_config_selectorIixEEZZNS1_16scan_by_key_implILNS1_25lookback_scan_determinismE0ELb0ES3_N6thrust23THRUST_200600_302600_NS6detail15normal_iteratorINS9_10device_ptrIiEEEENSB_INSC_IxEEEESG_xNS9_4plusIvEENS9_8equal_toIvEExEE10hipError_tPvRmT2_T3_T4_T5_mT6_T7_P12ihipStream_tbENKUlT_T0_E_clISt17integral_constantIbLb1EES11_EEDaSW_SX_EUlSW_E_NS1_11comp_targetILNS1_3genE4ELNS1_11target_archE910ELNS1_3gpuE8ELNS1_3repE0EEENS1_30default_config_static_selectorELNS0_4arch9wavefront6targetE1EEEvT1_,comdat
	.protected	_ZN7rocprim17ROCPRIM_400000_NS6detail17trampoline_kernelINS0_14default_configENS1_27scan_by_key_config_selectorIixEEZZNS1_16scan_by_key_implILNS1_25lookback_scan_determinismE0ELb0ES3_N6thrust23THRUST_200600_302600_NS6detail15normal_iteratorINS9_10device_ptrIiEEEENSB_INSC_IxEEEESG_xNS9_4plusIvEENS9_8equal_toIvEExEE10hipError_tPvRmT2_T3_T4_T5_mT6_T7_P12ihipStream_tbENKUlT_T0_E_clISt17integral_constantIbLb1EES11_EEDaSW_SX_EUlSW_E_NS1_11comp_targetILNS1_3genE4ELNS1_11target_archE910ELNS1_3gpuE8ELNS1_3repE0EEENS1_30default_config_static_selectorELNS0_4arch9wavefront6targetE1EEEvT1_ ; -- Begin function _ZN7rocprim17ROCPRIM_400000_NS6detail17trampoline_kernelINS0_14default_configENS1_27scan_by_key_config_selectorIixEEZZNS1_16scan_by_key_implILNS1_25lookback_scan_determinismE0ELb0ES3_N6thrust23THRUST_200600_302600_NS6detail15normal_iteratorINS9_10device_ptrIiEEEENSB_INSC_IxEEEESG_xNS9_4plusIvEENS9_8equal_toIvEExEE10hipError_tPvRmT2_T3_T4_T5_mT6_T7_P12ihipStream_tbENKUlT_T0_E_clISt17integral_constantIbLb1EES11_EEDaSW_SX_EUlSW_E_NS1_11comp_targetILNS1_3genE4ELNS1_11target_archE910ELNS1_3gpuE8ELNS1_3repE0EEENS1_30default_config_static_selectorELNS0_4arch9wavefront6targetE1EEEvT1_
	.globl	_ZN7rocprim17ROCPRIM_400000_NS6detail17trampoline_kernelINS0_14default_configENS1_27scan_by_key_config_selectorIixEEZZNS1_16scan_by_key_implILNS1_25lookback_scan_determinismE0ELb0ES3_N6thrust23THRUST_200600_302600_NS6detail15normal_iteratorINS9_10device_ptrIiEEEENSB_INSC_IxEEEESG_xNS9_4plusIvEENS9_8equal_toIvEExEE10hipError_tPvRmT2_T3_T4_T5_mT6_T7_P12ihipStream_tbENKUlT_T0_E_clISt17integral_constantIbLb1EES11_EEDaSW_SX_EUlSW_E_NS1_11comp_targetILNS1_3genE4ELNS1_11target_archE910ELNS1_3gpuE8ELNS1_3repE0EEENS1_30default_config_static_selectorELNS0_4arch9wavefront6targetE1EEEvT1_
	.p2align	8
	.type	_ZN7rocprim17ROCPRIM_400000_NS6detail17trampoline_kernelINS0_14default_configENS1_27scan_by_key_config_selectorIixEEZZNS1_16scan_by_key_implILNS1_25lookback_scan_determinismE0ELb0ES3_N6thrust23THRUST_200600_302600_NS6detail15normal_iteratorINS9_10device_ptrIiEEEENSB_INSC_IxEEEESG_xNS9_4plusIvEENS9_8equal_toIvEExEE10hipError_tPvRmT2_T3_T4_T5_mT6_T7_P12ihipStream_tbENKUlT_T0_E_clISt17integral_constantIbLb1EES11_EEDaSW_SX_EUlSW_E_NS1_11comp_targetILNS1_3genE4ELNS1_11target_archE910ELNS1_3gpuE8ELNS1_3repE0EEENS1_30default_config_static_selectorELNS0_4arch9wavefront6targetE1EEEvT1_,@function
_ZN7rocprim17ROCPRIM_400000_NS6detail17trampoline_kernelINS0_14default_configENS1_27scan_by_key_config_selectorIixEEZZNS1_16scan_by_key_implILNS1_25lookback_scan_determinismE0ELb0ES3_N6thrust23THRUST_200600_302600_NS6detail15normal_iteratorINS9_10device_ptrIiEEEENSB_INSC_IxEEEESG_xNS9_4plusIvEENS9_8equal_toIvEExEE10hipError_tPvRmT2_T3_T4_T5_mT6_T7_P12ihipStream_tbENKUlT_T0_E_clISt17integral_constantIbLb1EES11_EEDaSW_SX_EUlSW_E_NS1_11comp_targetILNS1_3genE4ELNS1_11target_archE910ELNS1_3gpuE8ELNS1_3repE0EEENS1_30default_config_static_selectorELNS0_4arch9wavefront6targetE1EEEvT1_: ; @_ZN7rocprim17ROCPRIM_400000_NS6detail17trampoline_kernelINS0_14default_configENS1_27scan_by_key_config_selectorIixEEZZNS1_16scan_by_key_implILNS1_25lookback_scan_determinismE0ELb0ES3_N6thrust23THRUST_200600_302600_NS6detail15normal_iteratorINS9_10device_ptrIiEEEENSB_INSC_IxEEEESG_xNS9_4plusIvEENS9_8equal_toIvEExEE10hipError_tPvRmT2_T3_T4_T5_mT6_T7_P12ihipStream_tbENKUlT_T0_E_clISt17integral_constantIbLb1EES11_EEDaSW_SX_EUlSW_E_NS1_11comp_targetILNS1_3genE4ELNS1_11target_archE910ELNS1_3gpuE8ELNS1_3repE0EEENS1_30default_config_static_selectorELNS0_4arch9wavefront6targetE1EEEvT1_
; %bb.0:
	.section	.rodata,"a",@progbits
	.p2align	6, 0x0
	.amdhsa_kernel _ZN7rocprim17ROCPRIM_400000_NS6detail17trampoline_kernelINS0_14default_configENS1_27scan_by_key_config_selectorIixEEZZNS1_16scan_by_key_implILNS1_25lookback_scan_determinismE0ELb0ES3_N6thrust23THRUST_200600_302600_NS6detail15normal_iteratorINS9_10device_ptrIiEEEENSB_INSC_IxEEEESG_xNS9_4plusIvEENS9_8equal_toIvEExEE10hipError_tPvRmT2_T3_T4_T5_mT6_T7_P12ihipStream_tbENKUlT_T0_E_clISt17integral_constantIbLb1EES11_EEDaSW_SX_EUlSW_E_NS1_11comp_targetILNS1_3genE4ELNS1_11target_archE910ELNS1_3gpuE8ELNS1_3repE0EEENS1_30default_config_static_selectorELNS0_4arch9wavefront6targetE1EEEvT1_
		.amdhsa_group_segment_fixed_size 0
		.amdhsa_private_segment_fixed_size 0
		.amdhsa_kernarg_size 136
		.amdhsa_user_sgpr_count 2
		.amdhsa_user_sgpr_dispatch_ptr 0
		.amdhsa_user_sgpr_queue_ptr 0
		.amdhsa_user_sgpr_kernarg_segment_ptr 1
		.amdhsa_user_sgpr_dispatch_id 0
		.amdhsa_user_sgpr_kernarg_preload_length 0
		.amdhsa_user_sgpr_kernarg_preload_offset 0
		.amdhsa_user_sgpr_private_segment_size 0
		.amdhsa_uses_dynamic_stack 0
		.amdhsa_enable_private_segment 0
		.amdhsa_system_sgpr_workgroup_id_x 1
		.amdhsa_system_sgpr_workgroup_id_y 0
		.amdhsa_system_sgpr_workgroup_id_z 0
		.amdhsa_system_sgpr_workgroup_info 0
		.amdhsa_system_vgpr_workitem_id 0
		.amdhsa_next_free_vgpr 1
		.amdhsa_next_free_sgpr 0
		.amdhsa_accum_offset 4
		.amdhsa_reserve_vcc 0
		.amdhsa_float_round_mode_32 0
		.amdhsa_float_round_mode_16_64 0
		.amdhsa_float_denorm_mode_32 3
		.amdhsa_float_denorm_mode_16_64 3
		.amdhsa_dx10_clamp 1
		.amdhsa_ieee_mode 1
		.amdhsa_fp16_overflow 0
		.amdhsa_tg_split 0
		.amdhsa_exception_fp_ieee_invalid_op 0
		.amdhsa_exception_fp_denorm_src 0
		.amdhsa_exception_fp_ieee_div_zero 0
		.amdhsa_exception_fp_ieee_overflow 0
		.amdhsa_exception_fp_ieee_underflow 0
		.amdhsa_exception_fp_ieee_inexact 0
		.amdhsa_exception_int_div_zero 0
	.end_amdhsa_kernel
	.section	.text._ZN7rocprim17ROCPRIM_400000_NS6detail17trampoline_kernelINS0_14default_configENS1_27scan_by_key_config_selectorIixEEZZNS1_16scan_by_key_implILNS1_25lookback_scan_determinismE0ELb0ES3_N6thrust23THRUST_200600_302600_NS6detail15normal_iteratorINS9_10device_ptrIiEEEENSB_INSC_IxEEEESG_xNS9_4plusIvEENS9_8equal_toIvEExEE10hipError_tPvRmT2_T3_T4_T5_mT6_T7_P12ihipStream_tbENKUlT_T0_E_clISt17integral_constantIbLb1EES11_EEDaSW_SX_EUlSW_E_NS1_11comp_targetILNS1_3genE4ELNS1_11target_archE910ELNS1_3gpuE8ELNS1_3repE0EEENS1_30default_config_static_selectorELNS0_4arch9wavefront6targetE1EEEvT1_,"axG",@progbits,_ZN7rocprim17ROCPRIM_400000_NS6detail17trampoline_kernelINS0_14default_configENS1_27scan_by_key_config_selectorIixEEZZNS1_16scan_by_key_implILNS1_25lookback_scan_determinismE0ELb0ES3_N6thrust23THRUST_200600_302600_NS6detail15normal_iteratorINS9_10device_ptrIiEEEENSB_INSC_IxEEEESG_xNS9_4plusIvEENS9_8equal_toIvEExEE10hipError_tPvRmT2_T3_T4_T5_mT6_T7_P12ihipStream_tbENKUlT_T0_E_clISt17integral_constantIbLb1EES11_EEDaSW_SX_EUlSW_E_NS1_11comp_targetILNS1_3genE4ELNS1_11target_archE910ELNS1_3gpuE8ELNS1_3repE0EEENS1_30default_config_static_selectorELNS0_4arch9wavefront6targetE1EEEvT1_,comdat
.Lfunc_end1324:
	.size	_ZN7rocprim17ROCPRIM_400000_NS6detail17trampoline_kernelINS0_14default_configENS1_27scan_by_key_config_selectorIixEEZZNS1_16scan_by_key_implILNS1_25lookback_scan_determinismE0ELb0ES3_N6thrust23THRUST_200600_302600_NS6detail15normal_iteratorINS9_10device_ptrIiEEEENSB_INSC_IxEEEESG_xNS9_4plusIvEENS9_8equal_toIvEExEE10hipError_tPvRmT2_T3_T4_T5_mT6_T7_P12ihipStream_tbENKUlT_T0_E_clISt17integral_constantIbLb1EES11_EEDaSW_SX_EUlSW_E_NS1_11comp_targetILNS1_3genE4ELNS1_11target_archE910ELNS1_3gpuE8ELNS1_3repE0EEENS1_30default_config_static_selectorELNS0_4arch9wavefront6targetE1EEEvT1_, .Lfunc_end1324-_ZN7rocprim17ROCPRIM_400000_NS6detail17trampoline_kernelINS0_14default_configENS1_27scan_by_key_config_selectorIixEEZZNS1_16scan_by_key_implILNS1_25lookback_scan_determinismE0ELb0ES3_N6thrust23THRUST_200600_302600_NS6detail15normal_iteratorINS9_10device_ptrIiEEEENSB_INSC_IxEEEESG_xNS9_4plusIvEENS9_8equal_toIvEExEE10hipError_tPvRmT2_T3_T4_T5_mT6_T7_P12ihipStream_tbENKUlT_T0_E_clISt17integral_constantIbLb1EES11_EEDaSW_SX_EUlSW_E_NS1_11comp_targetILNS1_3genE4ELNS1_11target_archE910ELNS1_3gpuE8ELNS1_3repE0EEENS1_30default_config_static_selectorELNS0_4arch9wavefront6targetE1EEEvT1_
                                        ; -- End function
	.section	.AMDGPU.csdata,"",@progbits
; Kernel info:
; codeLenInByte = 0
; NumSgprs: 6
; NumVgprs: 0
; NumAgprs: 0
; TotalNumVgprs: 0
; ScratchSize: 0
; MemoryBound: 0
; FloatMode: 240
; IeeeMode: 1
; LDSByteSize: 0 bytes/workgroup (compile time only)
; SGPRBlocks: 0
; VGPRBlocks: 0
; NumSGPRsForWavesPerEU: 6
; NumVGPRsForWavesPerEU: 1
; AccumOffset: 4
; Occupancy: 8
; WaveLimiterHint : 0
; COMPUTE_PGM_RSRC2:SCRATCH_EN: 0
; COMPUTE_PGM_RSRC2:USER_SGPR: 2
; COMPUTE_PGM_RSRC2:TRAP_HANDLER: 0
; COMPUTE_PGM_RSRC2:TGID_X_EN: 1
; COMPUTE_PGM_RSRC2:TGID_Y_EN: 0
; COMPUTE_PGM_RSRC2:TGID_Z_EN: 0
; COMPUTE_PGM_RSRC2:TIDIG_COMP_CNT: 0
; COMPUTE_PGM_RSRC3_GFX90A:ACCUM_OFFSET: 0
; COMPUTE_PGM_RSRC3_GFX90A:TG_SPLIT: 0
	.section	.text._ZN7rocprim17ROCPRIM_400000_NS6detail17trampoline_kernelINS0_14default_configENS1_27scan_by_key_config_selectorIixEEZZNS1_16scan_by_key_implILNS1_25lookback_scan_determinismE0ELb0ES3_N6thrust23THRUST_200600_302600_NS6detail15normal_iteratorINS9_10device_ptrIiEEEENSB_INSC_IxEEEESG_xNS9_4plusIvEENS9_8equal_toIvEExEE10hipError_tPvRmT2_T3_T4_T5_mT6_T7_P12ihipStream_tbENKUlT_T0_E_clISt17integral_constantIbLb1EES11_EEDaSW_SX_EUlSW_E_NS1_11comp_targetILNS1_3genE3ELNS1_11target_archE908ELNS1_3gpuE7ELNS1_3repE0EEENS1_30default_config_static_selectorELNS0_4arch9wavefront6targetE1EEEvT1_,"axG",@progbits,_ZN7rocprim17ROCPRIM_400000_NS6detail17trampoline_kernelINS0_14default_configENS1_27scan_by_key_config_selectorIixEEZZNS1_16scan_by_key_implILNS1_25lookback_scan_determinismE0ELb0ES3_N6thrust23THRUST_200600_302600_NS6detail15normal_iteratorINS9_10device_ptrIiEEEENSB_INSC_IxEEEESG_xNS9_4plusIvEENS9_8equal_toIvEExEE10hipError_tPvRmT2_T3_T4_T5_mT6_T7_P12ihipStream_tbENKUlT_T0_E_clISt17integral_constantIbLb1EES11_EEDaSW_SX_EUlSW_E_NS1_11comp_targetILNS1_3genE3ELNS1_11target_archE908ELNS1_3gpuE7ELNS1_3repE0EEENS1_30default_config_static_selectorELNS0_4arch9wavefront6targetE1EEEvT1_,comdat
	.protected	_ZN7rocprim17ROCPRIM_400000_NS6detail17trampoline_kernelINS0_14default_configENS1_27scan_by_key_config_selectorIixEEZZNS1_16scan_by_key_implILNS1_25lookback_scan_determinismE0ELb0ES3_N6thrust23THRUST_200600_302600_NS6detail15normal_iteratorINS9_10device_ptrIiEEEENSB_INSC_IxEEEESG_xNS9_4plusIvEENS9_8equal_toIvEExEE10hipError_tPvRmT2_T3_T4_T5_mT6_T7_P12ihipStream_tbENKUlT_T0_E_clISt17integral_constantIbLb1EES11_EEDaSW_SX_EUlSW_E_NS1_11comp_targetILNS1_3genE3ELNS1_11target_archE908ELNS1_3gpuE7ELNS1_3repE0EEENS1_30default_config_static_selectorELNS0_4arch9wavefront6targetE1EEEvT1_ ; -- Begin function _ZN7rocprim17ROCPRIM_400000_NS6detail17trampoline_kernelINS0_14default_configENS1_27scan_by_key_config_selectorIixEEZZNS1_16scan_by_key_implILNS1_25lookback_scan_determinismE0ELb0ES3_N6thrust23THRUST_200600_302600_NS6detail15normal_iteratorINS9_10device_ptrIiEEEENSB_INSC_IxEEEESG_xNS9_4plusIvEENS9_8equal_toIvEExEE10hipError_tPvRmT2_T3_T4_T5_mT6_T7_P12ihipStream_tbENKUlT_T0_E_clISt17integral_constantIbLb1EES11_EEDaSW_SX_EUlSW_E_NS1_11comp_targetILNS1_3genE3ELNS1_11target_archE908ELNS1_3gpuE7ELNS1_3repE0EEENS1_30default_config_static_selectorELNS0_4arch9wavefront6targetE1EEEvT1_
	.globl	_ZN7rocprim17ROCPRIM_400000_NS6detail17trampoline_kernelINS0_14default_configENS1_27scan_by_key_config_selectorIixEEZZNS1_16scan_by_key_implILNS1_25lookback_scan_determinismE0ELb0ES3_N6thrust23THRUST_200600_302600_NS6detail15normal_iteratorINS9_10device_ptrIiEEEENSB_INSC_IxEEEESG_xNS9_4plusIvEENS9_8equal_toIvEExEE10hipError_tPvRmT2_T3_T4_T5_mT6_T7_P12ihipStream_tbENKUlT_T0_E_clISt17integral_constantIbLb1EES11_EEDaSW_SX_EUlSW_E_NS1_11comp_targetILNS1_3genE3ELNS1_11target_archE908ELNS1_3gpuE7ELNS1_3repE0EEENS1_30default_config_static_selectorELNS0_4arch9wavefront6targetE1EEEvT1_
	.p2align	8
	.type	_ZN7rocprim17ROCPRIM_400000_NS6detail17trampoline_kernelINS0_14default_configENS1_27scan_by_key_config_selectorIixEEZZNS1_16scan_by_key_implILNS1_25lookback_scan_determinismE0ELb0ES3_N6thrust23THRUST_200600_302600_NS6detail15normal_iteratorINS9_10device_ptrIiEEEENSB_INSC_IxEEEESG_xNS9_4plusIvEENS9_8equal_toIvEExEE10hipError_tPvRmT2_T3_T4_T5_mT6_T7_P12ihipStream_tbENKUlT_T0_E_clISt17integral_constantIbLb1EES11_EEDaSW_SX_EUlSW_E_NS1_11comp_targetILNS1_3genE3ELNS1_11target_archE908ELNS1_3gpuE7ELNS1_3repE0EEENS1_30default_config_static_selectorELNS0_4arch9wavefront6targetE1EEEvT1_,@function
_ZN7rocprim17ROCPRIM_400000_NS6detail17trampoline_kernelINS0_14default_configENS1_27scan_by_key_config_selectorIixEEZZNS1_16scan_by_key_implILNS1_25lookback_scan_determinismE0ELb0ES3_N6thrust23THRUST_200600_302600_NS6detail15normal_iteratorINS9_10device_ptrIiEEEENSB_INSC_IxEEEESG_xNS9_4plusIvEENS9_8equal_toIvEExEE10hipError_tPvRmT2_T3_T4_T5_mT6_T7_P12ihipStream_tbENKUlT_T0_E_clISt17integral_constantIbLb1EES11_EEDaSW_SX_EUlSW_E_NS1_11comp_targetILNS1_3genE3ELNS1_11target_archE908ELNS1_3gpuE7ELNS1_3repE0EEENS1_30default_config_static_selectorELNS0_4arch9wavefront6targetE1EEEvT1_: ; @_ZN7rocprim17ROCPRIM_400000_NS6detail17trampoline_kernelINS0_14default_configENS1_27scan_by_key_config_selectorIixEEZZNS1_16scan_by_key_implILNS1_25lookback_scan_determinismE0ELb0ES3_N6thrust23THRUST_200600_302600_NS6detail15normal_iteratorINS9_10device_ptrIiEEEENSB_INSC_IxEEEESG_xNS9_4plusIvEENS9_8equal_toIvEExEE10hipError_tPvRmT2_T3_T4_T5_mT6_T7_P12ihipStream_tbENKUlT_T0_E_clISt17integral_constantIbLb1EES11_EEDaSW_SX_EUlSW_E_NS1_11comp_targetILNS1_3genE3ELNS1_11target_archE908ELNS1_3gpuE7ELNS1_3repE0EEENS1_30default_config_static_selectorELNS0_4arch9wavefront6targetE1EEEvT1_
; %bb.0:
	.section	.rodata,"a",@progbits
	.p2align	6, 0x0
	.amdhsa_kernel _ZN7rocprim17ROCPRIM_400000_NS6detail17trampoline_kernelINS0_14default_configENS1_27scan_by_key_config_selectorIixEEZZNS1_16scan_by_key_implILNS1_25lookback_scan_determinismE0ELb0ES3_N6thrust23THRUST_200600_302600_NS6detail15normal_iteratorINS9_10device_ptrIiEEEENSB_INSC_IxEEEESG_xNS9_4plusIvEENS9_8equal_toIvEExEE10hipError_tPvRmT2_T3_T4_T5_mT6_T7_P12ihipStream_tbENKUlT_T0_E_clISt17integral_constantIbLb1EES11_EEDaSW_SX_EUlSW_E_NS1_11comp_targetILNS1_3genE3ELNS1_11target_archE908ELNS1_3gpuE7ELNS1_3repE0EEENS1_30default_config_static_selectorELNS0_4arch9wavefront6targetE1EEEvT1_
		.amdhsa_group_segment_fixed_size 0
		.amdhsa_private_segment_fixed_size 0
		.amdhsa_kernarg_size 136
		.amdhsa_user_sgpr_count 2
		.amdhsa_user_sgpr_dispatch_ptr 0
		.amdhsa_user_sgpr_queue_ptr 0
		.amdhsa_user_sgpr_kernarg_segment_ptr 1
		.amdhsa_user_sgpr_dispatch_id 0
		.amdhsa_user_sgpr_kernarg_preload_length 0
		.amdhsa_user_sgpr_kernarg_preload_offset 0
		.amdhsa_user_sgpr_private_segment_size 0
		.amdhsa_uses_dynamic_stack 0
		.amdhsa_enable_private_segment 0
		.amdhsa_system_sgpr_workgroup_id_x 1
		.amdhsa_system_sgpr_workgroup_id_y 0
		.amdhsa_system_sgpr_workgroup_id_z 0
		.amdhsa_system_sgpr_workgroup_info 0
		.amdhsa_system_vgpr_workitem_id 0
		.amdhsa_next_free_vgpr 1
		.amdhsa_next_free_sgpr 0
		.amdhsa_accum_offset 4
		.amdhsa_reserve_vcc 0
		.amdhsa_float_round_mode_32 0
		.amdhsa_float_round_mode_16_64 0
		.amdhsa_float_denorm_mode_32 3
		.amdhsa_float_denorm_mode_16_64 3
		.amdhsa_dx10_clamp 1
		.amdhsa_ieee_mode 1
		.amdhsa_fp16_overflow 0
		.amdhsa_tg_split 0
		.amdhsa_exception_fp_ieee_invalid_op 0
		.amdhsa_exception_fp_denorm_src 0
		.amdhsa_exception_fp_ieee_div_zero 0
		.amdhsa_exception_fp_ieee_overflow 0
		.amdhsa_exception_fp_ieee_underflow 0
		.amdhsa_exception_fp_ieee_inexact 0
		.amdhsa_exception_int_div_zero 0
	.end_amdhsa_kernel
	.section	.text._ZN7rocprim17ROCPRIM_400000_NS6detail17trampoline_kernelINS0_14default_configENS1_27scan_by_key_config_selectorIixEEZZNS1_16scan_by_key_implILNS1_25lookback_scan_determinismE0ELb0ES3_N6thrust23THRUST_200600_302600_NS6detail15normal_iteratorINS9_10device_ptrIiEEEENSB_INSC_IxEEEESG_xNS9_4plusIvEENS9_8equal_toIvEExEE10hipError_tPvRmT2_T3_T4_T5_mT6_T7_P12ihipStream_tbENKUlT_T0_E_clISt17integral_constantIbLb1EES11_EEDaSW_SX_EUlSW_E_NS1_11comp_targetILNS1_3genE3ELNS1_11target_archE908ELNS1_3gpuE7ELNS1_3repE0EEENS1_30default_config_static_selectorELNS0_4arch9wavefront6targetE1EEEvT1_,"axG",@progbits,_ZN7rocprim17ROCPRIM_400000_NS6detail17trampoline_kernelINS0_14default_configENS1_27scan_by_key_config_selectorIixEEZZNS1_16scan_by_key_implILNS1_25lookback_scan_determinismE0ELb0ES3_N6thrust23THRUST_200600_302600_NS6detail15normal_iteratorINS9_10device_ptrIiEEEENSB_INSC_IxEEEESG_xNS9_4plusIvEENS9_8equal_toIvEExEE10hipError_tPvRmT2_T3_T4_T5_mT6_T7_P12ihipStream_tbENKUlT_T0_E_clISt17integral_constantIbLb1EES11_EEDaSW_SX_EUlSW_E_NS1_11comp_targetILNS1_3genE3ELNS1_11target_archE908ELNS1_3gpuE7ELNS1_3repE0EEENS1_30default_config_static_selectorELNS0_4arch9wavefront6targetE1EEEvT1_,comdat
.Lfunc_end1325:
	.size	_ZN7rocprim17ROCPRIM_400000_NS6detail17trampoline_kernelINS0_14default_configENS1_27scan_by_key_config_selectorIixEEZZNS1_16scan_by_key_implILNS1_25lookback_scan_determinismE0ELb0ES3_N6thrust23THRUST_200600_302600_NS6detail15normal_iteratorINS9_10device_ptrIiEEEENSB_INSC_IxEEEESG_xNS9_4plusIvEENS9_8equal_toIvEExEE10hipError_tPvRmT2_T3_T4_T5_mT6_T7_P12ihipStream_tbENKUlT_T0_E_clISt17integral_constantIbLb1EES11_EEDaSW_SX_EUlSW_E_NS1_11comp_targetILNS1_3genE3ELNS1_11target_archE908ELNS1_3gpuE7ELNS1_3repE0EEENS1_30default_config_static_selectorELNS0_4arch9wavefront6targetE1EEEvT1_, .Lfunc_end1325-_ZN7rocprim17ROCPRIM_400000_NS6detail17trampoline_kernelINS0_14default_configENS1_27scan_by_key_config_selectorIixEEZZNS1_16scan_by_key_implILNS1_25lookback_scan_determinismE0ELb0ES3_N6thrust23THRUST_200600_302600_NS6detail15normal_iteratorINS9_10device_ptrIiEEEENSB_INSC_IxEEEESG_xNS9_4plusIvEENS9_8equal_toIvEExEE10hipError_tPvRmT2_T3_T4_T5_mT6_T7_P12ihipStream_tbENKUlT_T0_E_clISt17integral_constantIbLb1EES11_EEDaSW_SX_EUlSW_E_NS1_11comp_targetILNS1_3genE3ELNS1_11target_archE908ELNS1_3gpuE7ELNS1_3repE0EEENS1_30default_config_static_selectorELNS0_4arch9wavefront6targetE1EEEvT1_
                                        ; -- End function
	.section	.AMDGPU.csdata,"",@progbits
; Kernel info:
; codeLenInByte = 0
; NumSgprs: 6
; NumVgprs: 0
; NumAgprs: 0
; TotalNumVgprs: 0
; ScratchSize: 0
; MemoryBound: 0
; FloatMode: 240
; IeeeMode: 1
; LDSByteSize: 0 bytes/workgroup (compile time only)
; SGPRBlocks: 0
; VGPRBlocks: 0
; NumSGPRsForWavesPerEU: 6
; NumVGPRsForWavesPerEU: 1
; AccumOffset: 4
; Occupancy: 8
; WaveLimiterHint : 0
; COMPUTE_PGM_RSRC2:SCRATCH_EN: 0
; COMPUTE_PGM_RSRC2:USER_SGPR: 2
; COMPUTE_PGM_RSRC2:TRAP_HANDLER: 0
; COMPUTE_PGM_RSRC2:TGID_X_EN: 1
; COMPUTE_PGM_RSRC2:TGID_Y_EN: 0
; COMPUTE_PGM_RSRC2:TGID_Z_EN: 0
; COMPUTE_PGM_RSRC2:TIDIG_COMP_CNT: 0
; COMPUTE_PGM_RSRC3_GFX90A:ACCUM_OFFSET: 0
; COMPUTE_PGM_RSRC3_GFX90A:TG_SPLIT: 0
	.section	.text._ZN7rocprim17ROCPRIM_400000_NS6detail17trampoline_kernelINS0_14default_configENS1_27scan_by_key_config_selectorIixEEZZNS1_16scan_by_key_implILNS1_25lookback_scan_determinismE0ELb0ES3_N6thrust23THRUST_200600_302600_NS6detail15normal_iteratorINS9_10device_ptrIiEEEENSB_INSC_IxEEEESG_xNS9_4plusIvEENS9_8equal_toIvEExEE10hipError_tPvRmT2_T3_T4_T5_mT6_T7_P12ihipStream_tbENKUlT_T0_E_clISt17integral_constantIbLb1EES11_EEDaSW_SX_EUlSW_E_NS1_11comp_targetILNS1_3genE2ELNS1_11target_archE906ELNS1_3gpuE6ELNS1_3repE0EEENS1_30default_config_static_selectorELNS0_4arch9wavefront6targetE1EEEvT1_,"axG",@progbits,_ZN7rocprim17ROCPRIM_400000_NS6detail17trampoline_kernelINS0_14default_configENS1_27scan_by_key_config_selectorIixEEZZNS1_16scan_by_key_implILNS1_25lookback_scan_determinismE0ELb0ES3_N6thrust23THRUST_200600_302600_NS6detail15normal_iteratorINS9_10device_ptrIiEEEENSB_INSC_IxEEEESG_xNS9_4plusIvEENS9_8equal_toIvEExEE10hipError_tPvRmT2_T3_T4_T5_mT6_T7_P12ihipStream_tbENKUlT_T0_E_clISt17integral_constantIbLb1EES11_EEDaSW_SX_EUlSW_E_NS1_11comp_targetILNS1_3genE2ELNS1_11target_archE906ELNS1_3gpuE6ELNS1_3repE0EEENS1_30default_config_static_selectorELNS0_4arch9wavefront6targetE1EEEvT1_,comdat
	.protected	_ZN7rocprim17ROCPRIM_400000_NS6detail17trampoline_kernelINS0_14default_configENS1_27scan_by_key_config_selectorIixEEZZNS1_16scan_by_key_implILNS1_25lookback_scan_determinismE0ELb0ES3_N6thrust23THRUST_200600_302600_NS6detail15normal_iteratorINS9_10device_ptrIiEEEENSB_INSC_IxEEEESG_xNS9_4plusIvEENS9_8equal_toIvEExEE10hipError_tPvRmT2_T3_T4_T5_mT6_T7_P12ihipStream_tbENKUlT_T0_E_clISt17integral_constantIbLb1EES11_EEDaSW_SX_EUlSW_E_NS1_11comp_targetILNS1_3genE2ELNS1_11target_archE906ELNS1_3gpuE6ELNS1_3repE0EEENS1_30default_config_static_selectorELNS0_4arch9wavefront6targetE1EEEvT1_ ; -- Begin function _ZN7rocprim17ROCPRIM_400000_NS6detail17trampoline_kernelINS0_14default_configENS1_27scan_by_key_config_selectorIixEEZZNS1_16scan_by_key_implILNS1_25lookback_scan_determinismE0ELb0ES3_N6thrust23THRUST_200600_302600_NS6detail15normal_iteratorINS9_10device_ptrIiEEEENSB_INSC_IxEEEESG_xNS9_4plusIvEENS9_8equal_toIvEExEE10hipError_tPvRmT2_T3_T4_T5_mT6_T7_P12ihipStream_tbENKUlT_T0_E_clISt17integral_constantIbLb1EES11_EEDaSW_SX_EUlSW_E_NS1_11comp_targetILNS1_3genE2ELNS1_11target_archE906ELNS1_3gpuE6ELNS1_3repE0EEENS1_30default_config_static_selectorELNS0_4arch9wavefront6targetE1EEEvT1_
	.globl	_ZN7rocprim17ROCPRIM_400000_NS6detail17trampoline_kernelINS0_14default_configENS1_27scan_by_key_config_selectorIixEEZZNS1_16scan_by_key_implILNS1_25lookback_scan_determinismE0ELb0ES3_N6thrust23THRUST_200600_302600_NS6detail15normal_iteratorINS9_10device_ptrIiEEEENSB_INSC_IxEEEESG_xNS9_4plusIvEENS9_8equal_toIvEExEE10hipError_tPvRmT2_T3_T4_T5_mT6_T7_P12ihipStream_tbENKUlT_T0_E_clISt17integral_constantIbLb1EES11_EEDaSW_SX_EUlSW_E_NS1_11comp_targetILNS1_3genE2ELNS1_11target_archE906ELNS1_3gpuE6ELNS1_3repE0EEENS1_30default_config_static_selectorELNS0_4arch9wavefront6targetE1EEEvT1_
	.p2align	8
	.type	_ZN7rocprim17ROCPRIM_400000_NS6detail17trampoline_kernelINS0_14default_configENS1_27scan_by_key_config_selectorIixEEZZNS1_16scan_by_key_implILNS1_25lookback_scan_determinismE0ELb0ES3_N6thrust23THRUST_200600_302600_NS6detail15normal_iteratorINS9_10device_ptrIiEEEENSB_INSC_IxEEEESG_xNS9_4plusIvEENS9_8equal_toIvEExEE10hipError_tPvRmT2_T3_T4_T5_mT6_T7_P12ihipStream_tbENKUlT_T0_E_clISt17integral_constantIbLb1EES11_EEDaSW_SX_EUlSW_E_NS1_11comp_targetILNS1_3genE2ELNS1_11target_archE906ELNS1_3gpuE6ELNS1_3repE0EEENS1_30default_config_static_selectorELNS0_4arch9wavefront6targetE1EEEvT1_,@function
_ZN7rocprim17ROCPRIM_400000_NS6detail17trampoline_kernelINS0_14default_configENS1_27scan_by_key_config_selectorIixEEZZNS1_16scan_by_key_implILNS1_25lookback_scan_determinismE0ELb0ES3_N6thrust23THRUST_200600_302600_NS6detail15normal_iteratorINS9_10device_ptrIiEEEENSB_INSC_IxEEEESG_xNS9_4plusIvEENS9_8equal_toIvEExEE10hipError_tPvRmT2_T3_T4_T5_mT6_T7_P12ihipStream_tbENKUlT_T0_E_clISt17integral_constantIbLb1EES11_EEDaSW_SX_EUlSW_E_NS1_11comp_targetILNS1_3genE2ELNS1_11target_archE906ELNS1_3gpuE6ELNS1_3repE0EEENS1_30default_config_static_selectorELNS0_4arch9wavefront6targetE1EEEvT1_: ; @_ZN7rocprim17ROCPRIM_400000_NS6detail17trampoline_kernelINS0_14default_configENS1_27scan_by_key_config_selectorIixEEZZNS1_16scan_by_key_implILNS1_25lookback_scan_determinismE0ELb0ES3_N6thrust23THRUST_200600_302600_NS6detail15normal_iteratorINS9_10device_ptrIiEEEENSB_INSC_IxEEEESG_xNS9_4plusIvEENS9_8equal_toIvEExEE10hipError_tPvRmT2_T3_T4_T5_mT6_T7_P12ihipStream_tbENKUlT_T0_E_clISt17integral_constantIbLb1EES11_EEDaSW_SX_EUlSW_E_NS1_11comp_targetILNS1_3genE2ELNS1_11target_archE906ELNS1_3gpuE6ELNS1_3repE0EEENS1_30default_config_static_selectorELNS0_4arch9wavefront6targetE1EEEvT1_
; %bb.0:
	.section	.rodata,"a",@progbits
	.p2align	6, 0x0
	.amdhsa_kernel _ZN7rocprim17ROCPRIM_400000_NS6detail17trampoline_kernelINS0_14default_configENS1_27scan_by_key_config_selectorIixEEZZNS1_16scan_by_key_implILNS1_25lookback_scan_determinismE0ELb0ES3_N6thrust23THRUST_200600_302600_NS6detail15normal_iteratorINS9_10device_ptrIiEEEENSB_INSC_IxEEEESG_xNS9_4plusIvEENS9_8equal_toIvEExEE10hipError_tPvRmT2_T3_T4_T5_mT6_T7_P12ihipStream_tbENKUlT_T0_E_clISt17integral_constantIbLb1EES11_EEDaSW_SX_EUlSW_E_NS1_11comp_targetILNS1_3genE2ELNS1_11target_archE906ELNS1_3gpuE6ELNS1_3repE0EEENS1_30default_config_static_selectorELNS0_4arch9wavefront6targetE1EEEvT1_
		.amdhsa_group_segment_fixed_size 0
		.amdhsa_private_segment_fixed_size 0
		.amdhsa_kernarg_size 136
		.amdhsa_user_sgpr_count 2
		.amdhsa_user_sgpr_dispatch_ptr 0
		.amdhsa_user_sgpr_queue_ptr 0
		.amdhsa_user_sgpr_kernarg_segment_ptr 1
		.amdhsa_user_sgpr_dispatch_id 0
		.amdhsa_user_sgpr_kernarg_preload_length 0
		.amdhsa_user_sgpr_kernarg_preload_offset 0
		.amdhsa_user_sgpr_private_segment_size 0
		.amdhsa_uses_dynamic_stack 0
		.amdhsa_enable_private_segment 0
		.amdhsa_system_sgpr_workgroup_id_x 1
		.amdhsa_system_sgpr_workgroup_id_y 0
		.amdhsa_system_sgpr_workgroup_id_z 0
		.amdhsa_system_sgpr_workgroup_info 0
		.amdhsa_system_vgpr_workitem_id 0
		.amdhsa_next_free_vgpr 1
		.amdhsa_next_free_sgpr 0
		.amdhsa_accum_offset 4
		.amdhsa_reserve_vcc 0
		.amdhsa_float_round_mode_32 0
		.amdhsa_float_round_mode_16_64 0
		.amdhsa_float_denorm_mode_32 3
		.amdhsa_float_denorm_mode_16_64 3
		.amdhsa_dx10_clamp 1
		.amdhsa_ieee_mode 1
		.amdhsa_fp16_overflow 0
		.amdhsa_tg_split 0
		.amdhsa_exception_fp_ieee_invalid_op 0
		.amdhsa_exception_fp_denorm_src 0
		.amdhsa_exception_fp_ieee_div_zero 0
		.amdhsa_exception_fp_ieee_overflow 0
		.amdhsa_exception_fp_ieee_underflow 0
		.amdhsa_exception_fp_ieee_inexact 0
		.amdhsa_exception_int_div_zero 0
	.end_amdhsa_kernel
	.section	.text._ZN7rocprim17ROCPRIM_400000_NS6detail17trampoline_kernelINS0_14default_configENS1_27scan_by_key_config_selectorIixEEZZNS1_16scan_by_key_implILNS1_25lookback_scan_determinismE0ELb0ES3_N6thrust23THRUST_200600_302600_NS6detail15normal_iteratorINS9_10device_ptrIiEEEENSB_INSC_IxEEEESG_xNS9_4plusIvEENS9_8equal_toIvEExEE10hipError_tPvRmT2_T3_T4_T5_mT6_T7_P12ihipStream_tbENKUlT_T0_E_clISt17integral_constantIbLb1EES11_EEDaSW_SX_EUlSW_E_NS1_11comp_targetILNS1_3genE2ELNS1_11target_archE906ELNS1_3gpuE6ELNS1_3repE0EEENS1_30default_config_static_selectorELNS0_4arch9wavefront6targetE1EEEvT1_,"axG",@progbits,_ZN7rocprim17ROCPRIM_400000_NS6detail17trampoline_kernelINS0_14default_configENS1_27scan_by_key_config_selectorIixEEZZNS1_16scan_by_key_implILNS1_25lookback_scan_determinismE0ELb0ES3_N6thrust23THRUST_200600_302600_NS6detail15normal_iteratorINS9_10device_ptrIiEEEENSB_INSC_IxEEEESG_xNS9_4plusIvEENS9_8equal_toIvEExEE10hipError_tPvRmT2_T3_T4_T5_mT6_T7_P12ihipStream_tbENKUlT_T0_E_clISt17integral_constantIbLb1EES11_EEDaSW_SX_EUlSW_E_NS1_11comp_targetILNS1_3genE2ELNS1_11target_archE906ELNS1_3gpuE6ELNS1_3repE0EEENS1_30default_config_static_selectorELNS0_4arch9wavefront6targetE1EEEvT1_,comdat
.Lfunc_end1326:
	.size	_ZN7rocprim17ROCPRIM_400000_NS6detail17trampoline_kernelINS0_14default_configENS1_27scan_by_key_config_selectorIixEEZZNS1_16scan_by_key_implILNS1_25lookback_scan_determinismE0ELb0ES3_N6thrust23THRUST_200600_302600_NS6detail15normal_iteratorINS9_10device_ptrIiEEEENSB_INSC_IxEEEESG_xNS9_4plusIvEENS9_8equal_toIvEExEE10hipError_tPvRmT2_T3_T4_T5_mT6_T7_P12ihipStream_tbENKUlT_T0_E_clISt17integral_constantIbLb1EES11_EEDaSW_SX_EUlSW_E_NS1_11comp_targetILNS1_3genE2ELNS1_11target_archE906ELNS1_3gpuE6ELNS1_3repE0EEENS1_30default_config_static_selectorELNS0_4arch9wavefront6targetE1EEEvT1_, .Lfunc_end1326-_ZN7rocprim17ROCPRIM_400000_NS6detail17trampoline_kernelINS0_14default_configENS1_27scan_by_key_config_selectorIixEEZZNS1_16scan_by_key_implILNS1_25lookback_scan_determinismE0ELb0ES3_N6thrust23THRUST_200600_302600_NS6detail15normal_iteratorINS9_10device_ptrIiEEEENSB_INSC_IxEEEESG_xNS9_4plusIvEENS9_8equal_toIvEExEE10hipError_tPvRmT2_T3_T4_T5_mT6_T7_P12ihipStream_tbENKUlT_T0_E_clISt17integral_constantIbLb1EES11_EEDaSW_SX_EUlSW_E_NS1_11comp_targetILNS1_3genE2ELNS1_11target_archE906ELNS1_3gpuE6ELNS1_3repE0EEENS1_30default_config_static_selectorELNS0_4arch9wavefront6targetE1EEEvT1_
                                        ; -- End function
	.section	.AMDGPU.csdata,"",@progbits
; Kernel info:
; codeLenInByte = 0
; NumSgprs: 6
; NumVgprs: 0
; NumAgprs: 0
; TotalNumVgprs: 0
; ScratchSize: 0
; MemoryBound: 0
; FloatMode: 240
; IeeeMode: 1
; LDSByteSize: 0 bytes/workgroup (compile time only)
; SGPRBlocks: 0
; VGPRBlocks: 0
; NumSGPRsForWavesPerEU: 6
; NumVGPRsForWavesPerEU: 1
; AccumOffset: 4
; Occupancy: 8
; WaveLimiterHint : 0
; COMPUTE_PGM_RSRC2:SCRATCH_EN: 0
; COMPUTE_PGM_RSRC2:USER_SGPR: 2
; COMPUTE_PGM_RSRC2:TRAP_HANDLER: 0
; COMPUTE_PGM_RSRC2:TGID_X_EN: 1
; COMPUTE_PGM_RSRC2:TGID_Y_EN: 0
; COMPUTE_PGM_RSRC2:TGID_Z_EN: 0
; COMPUTE_PGM_RSRC2:TIDIG_COMP_CNT: 0
; COMPUTE_PGM_RSRC3_GFX90A:ACCUM_OFFSET: 0
; COMPUTE_PGM_RSRC3_GFX90A:TG_SPLIT: 0
	.section	.text._ZN7rocprim17ROCPRIM_400000_NS6detail17trampoline_kernelINS0_14default_configENS1_27scan_by_key_config_selectorIixEEZZNS1_16scan_by_key_implILNS1_25lookback_scan_determinismE0ELb0ES3_N6thrust23THRUST_200600_302600_NS6detail15normal_iteratorINS9_10device_ptrIiEEEENSB_INSC_IxEEEESG_xNS9_4plusIvEENS9_8equal_toIvEExEE10hipError_tPvRmT2_T3_T4_T5_mT6_T7_P12ihipStream_tbENKUlT_T0_E_clISt17integral_constantIbLb1EES11_EEDaSW_SX_EUlSW_E_NS1_11comp_targetILNS1_3genE10ELNS1_11target_archE1200ELNS1_3gpuE4ELNS1_3repE0EEENS1_30default_config_static_selectorELNS0_4arch9wavefront6targetE1EEEvT1_,"axG",@progbits,_ZN7rocprim17ROCPRIM_400000_NS6detail17trampoline_kernelINS0_14default_configENS1_27scan_by_key_config_selectorIixEEZZNS1_16scan_by_key_implILNS1_25lookback_scan_determinismE0ELb0ES3_N6thrust23THRUST_200600_302600_NS6detail15normal_iteratorINS9_10device_ptrIiEEEENSB_INSC_IxEEEESG_xNS9_4plusIvEENS9_8equal_toIvEExEE10hipError_tPvRmT2_T3_T4_T5_mT6_T7_P12ihipStream_tbENKUlT_T0_E_clISt17integral_constantIbLb1EES11_EEDaSW_SX_EUlSW_E_NS1_11comp_targetILNS1_3genE10ELNS1_11target_archE1200ELNS1_3gpuE4ELNS1_3repE0EEENS1_30default_config_static_selectorELNS0_4arch9wavefront6targetE1EEEvT1_,comdat
	.protected	_ZN7rocprim17ROCPRIM_400000_NS6detail17trampoline_kernelINS0_14default_configENS1_27scan_by_key_config_selectorIixEEZZNS1_16scan_by_key_implILNS1_25lookback_scan_determinismE0ELb0ES3_N6thrust23THRUST_200600_302600_NS6detail15normal_iteratorINS9_10device_ptrIiEEEENSB_INSC_IxEEEESG_xNS9_4plusIvEENS9_8equal_toIvEExEE10hipError_tPvRmT2_T3_T4_T5_mT6_T7_P12ihipStream_tbENKUlT_T0_E_clISt17integral_constantIbLb1EES11_EEDaSW_SX_EUlSW_E_NS1_11comp_targetILNS1_3genE10ELNS1_11target_archE1200ELNS1_3gpuE4ELNS1_3repE0EEENS1_30default_config_static_selectorELNS0_4arch9wavefront6targetE1EEEvT1_ ; -- Begin function _ZN7rocprim17ROCPRIM_400000_NS6detail17trampoline_kernelINS0_14default_configENS1_27scan_by_key_config_selectorIixEEZZNS1_16scan_by_key_implILNS1_25lookback_scan_determinismE0ELb0ES3_N6thrust23THRUST_200600_302600_NS6detail15normal_iteratorINS9_10device_ptrIiEEEENSB_INSC_IxEEEESG_xNS9_4plusIvEENS9_8equal_toIvEExEE10hipError_tPvRmT2_T3_T4_T5_mT6_T7_P12ihipStream_tbENKUlT_T0_E_clISt17integral_constantIbLb1EES11_EEDaSW_SX_EUlSW_E_NS1_11comp_targetILNS1_3genE10ELNS1_11target_archE1200ELNS1_3gpuE4ELNS1_3repE0EEENS1_30default_config_static_selectorELNS0_4arch9wavefront6targetE1EEEvT1_
	.globl	_ZN7rocprim17ROCPRIM_400000_NS6detail17trampoline_kernelINS0_14default_configENS1_27scan_by_key_config_selectorIixEEZZNS1_16scan_by_key_implILNS1_25lookback_scan_determinismE0ELb0ES3_N6thrust23THRUST_200600_302600_NS6detail15normal_iteratorINS9_10device_ptrIiEEEENSB_INSC_IxEEEESG_xNS9_4plusIvEENS9_8equal_toIvEExEE10hipError_tPvRmT2_T3_T4_T5_mT6_T7_P12ihipStream_tbENKUlT_T0_E_clISt17integral_constantIbLb1EES11_EEDaSW_SX_EUlSW_E_NS1_11comp_targetILNS1_3genE10ELNS1_11target_archE1200ELNS1_3gpuE4ELNS1_3repE0EEENS1_30default_config_static_selectorELNS0_4arch9wavefront6targetE1EEEvT1_
	.p2align	8
	.type	_ZN7rocprim17ROCPRIM_400000_NS6detail17trampoline_kernelINS0_14default_configENS1_27scan_by_key_config_selectorIixEEZZNS1_16scan_by_key_implILNS1_25lookback_scan_determinismE0ELb0ES3_N6thrust23THRUST_200600_302600_NS6detail15normal_iteratorINS9_10device_ptrIiEEEENSB_INSC_IxEEEESG_xNS9_4plusIvEENS9_8equal_toIvEExEE10hipError_tPvRmT2_T3_T4_T5_mT6_T7_P12ihipStream_tbENKUlT_T0_E_clISt17integral_constantIbLb1EES11_EEDaSW_SX_EUlSW_E_NS1_11comp_targetILNS1_3genE10ELNS1_11target_archE1200ELNS1_3gpuE4ELNS1_3repE0EEENS1_30default_config_static_selectorELNS0_4arch9wavefront6targetE1EEEvT1_,@function
_ZN7rocprim17ROCPRIM_400000_NS6detail17trampoline_kernelINS0_14default_configENS1_27scan_by_key_config_selectorIixEEZZNS1_16scan_by_key_implILNS1_25lookback_scan_determinismE0ELb0ES3_N6thrust23THRUST_200600_302600_NS6detail15normal_iteratorINS9_10device_ptrIiEEEENSB_INSC_IxEEEESG_xNS9_4plusIvEENS9_8equal_toIvEExEE10hipError_tPvRmT2_T3_T4_T5_mT6_T7_P12ihipStream_tbENKUlT_T0_E_clISt17integral_constantIbLb1EES11_EEDaSW_SX_EUlSW_E_NS1_11comp_targetILNS1_3genE10ELNS1_11target_archE1200ELNS1_3gpuE4ELNS1_3repE0EEENS1_30default_config_static_selectorELNS0_4arch9wavefront6targetE1EEEvT1_: ; @_ZN7rocprim17ROCPRIM_400000_NS6detail17trampoline_kernelINS0_14default_configENS1_27scan_by_key_config_selectorIixEEZZNS1_16scan_by_key_implILNS1_25lookback_scan_determinismE0ELb0ES3_N6thrust23THRUST_200600_302600_NS6detail15normal_iteratorINS9_10device_ptrIiEEEENSB_INSC_IxEEEESG_xNS9_4plusIvEENS9_8equal_toIvEExEE10hipError_tPvRmT2_T3_T4_T5_mT6_T7_P12ihipStream_tbENKUlT_T0_E_clISt17integral_constantIbLb1EES11_EEDaSW_SX_EUlSW_E_NS1_11comp_targetILNS1_3genE10ELNS1_11target_archE1200ELNS1_3gpuE4ELNS1_3repE0EEENS1_30default_config_static_selectorELNS0_4arch9wavefront6targetE1EEEvT1_
; %bb.0:
	.section	.rodata,"a",@progbits
	.p2align	6, 0x0
	.amdhsa_kernel _ZN7rocprim17ROCPRIM_400000_NS6detail17trampoline_kernelINS0_14default_configENS1_27scan_by_key_config_selectorIixEEZZNS1_16scan_by_key_implILNS1_25lookback_scan_determinismE0ELb0ES3_N6thrust23THRUST_200600_302600_NS6detail15normal_iteratorINS9_10device_ptrIiEEEENSB_INSC_IxEEEESG_xNS9_4plusIvEENS9_8equal_toIvEExEE10hipError_tPvRmT2_T3_T4_T5_mT6_T7_P12ihipStream_tbENKUlT_T0_E_clISt17integral_constantIbLb1EES11_EEDaSW_SX_EUlSW_E_NS1_11comp_targetILNS1_3genE10ELNS1_11target_archE1200ELNS1_3gpuE4ELNS1_3repE0EEENS1_30default_config_static_selectorELNS0_4arch9wavefront6targetE1EEEvT1_
		.amdhsa_group_segment_fixed_size 0
		.amdhsa_private_segment_fixed_size 0
		.amdhsa_kernarg_size 136
		.amdhsa_user_sgpr_count 2
		.amdhsa_user_sgpr_dispatch_ptr 0
		.amdhsa_user_sgpr_queue_ptr 0
		.amdhsa_user_sgpr_kernarg_segment_ptr 1
		.amdhsa_user_sgpr_dispatch_id 0
		.amdhsa_user_sgpr_kernarg_preload_length 0
		.amdhsa_user_sgpr_kernarg_preload_offset 0
		.amdhsa_user_sgpr_private_segment_size 0
		.amdhsa_uses_dynamic_stack 0
		.amdhsa_enable_private_segment 0
		.amdhsa_system_sgpr_workgroup_id_x 1
		.amdhsa_system_sgpr_workgroup_id_y 0
		.amdhsa_system_sgpr_workgroup_id_z 0
		.amdhsa_system_sgpr_workgroup_info 0
		.amdhsa_system_vgpr_workitem_id 0
		.amdhsa_next_free_vgpr 1
		.amdhsa_next_free_sgpr 0
		.amdhsa_accum_offset 4
		.amdhsa_reserve_vcc 0
		.amdhsa_float_round_mode_32 0
		.amdhsa_float_round_mode_16_64 0
		.amdhsa_float_denorm_mode_32 3
		.amdhsa_float_denorm_mode_16_64 3
		.amdhsa_dx10_clamp 1
		.amdhsa_ieee_mode 1
		.amdhsa_fp16_overflow 0
		.amdhsa_tg_split 0
		.amdhsa_exception_fp_ieee_invalid_op 0
		.amdhsa_exception_fp_denorm_src 0
		.amdhsa_exception_fp_ieee_div_zero 0
		.amdhsa_exception_fp_ieee_overflow 0
		.amdhsa_exception_fp_ieee_underflow 0
		.amdhsa_exception_fp_ieee_inexact 0
		.amdhsa_exception_int_div_zero 0
	.end_amdhsa_kernel
	.section	.text._ZN7rocprim17ROCPRIM_400000_NS6detail17trampoline_kernelINS0_14default_configENS1_27scan_by_key_config_selectorIixEEZZNS1_16scan_by_key_implILNS1_25lookback_scan_determinismE0ELb0ES3_N6thrust23THRUST_200600_302600_NS6detail15normal_iteratorINS9_10device_ptrIiEEEENSB_INSC_IxEEEESG_xNS9_4plusIvEENS9_8equal_toIvEExEE10hipError_tPvRmT2_T3_T4_T5_mT6_T7_P12ihipStream_tbENKUlT_T0_E_clISt17integral_constantIbLb1EES11_EEDaSW_SX_EUlSW_E_NS1_11comp_targetILNS1_3genE10ELNS1_11target_archE1200ELNS1_3gpuE4ELNS1_3repE0EEENS1_30default_config_static_selectorELNS0_4arch9wavefront6targetE1EEEvT1_,"axG",@progbits,_ZN7rocprim17ROCPRIM_400000_NS6detail17trampoline_kernelINS0_14default_configENS1_27scan_by_key_config_selectorIixEEZZNS1_16scan_by_key_implILNS1_25lookback_scan_determinismE0ELb0ES3_N6thrust23THRUST_200600_302600_NS6detail15normal_iteratorINS9_10device_ptrIiEEEENSB_INSC_IxEEEESG_xNS9_4plusIvEENS9_8equal_toIvEExEE10hipError_tPvRmT2_T3_T4_T5_mT6_T7_P12ihipStream_tbENKUlT_T0_E_clISt17integral_constantIbLb1EES11_EEDaSW_SX_EUlSW_E_NS1_11comp_targetILNS1_3genE10ELNS1_11target_archE1200ELNS1_3gpuE4ELNS1_3repE0EEENS1_30default_config_static_selectorELNS0_4arch9wavefront6targetE1EEEvT1_,comdat
.Lfunc_end1327:
	.size	_ZN7rocprim17ROCPRIM_400000_NS6detail17trampoline_kernelINS0_14default_configENS1_27scan_by_key_config_selectorIixEEZZNS1_16scan_by_key_implILNS1_25lookback_scan_determinismE0ELb0ES3_N6thrust23THRUST_200600_302600_NS6detail15normal_iteratorINS9_10device_ptrIiEEEENSB_INSC_IxEEEESG_xNS9_4plusIvEENS9_8equal_toIvEExEE10hipError_tPvRmT2_T3_T4_T5_mT6_T7_P12ihipStream_tbENKUlT_T0_E_clISt17integral_constantIbLb1EES11_EEDaSW_SX_EUlSW_E_NS1_11comp_targetILNS1_3genE10ELNS1_11target_archE1200ELNS1_3gpuE4ELNS1_3repE0EEENS1_30default_config_static_selectorELNS0_4arch9wavefront6targetE1EEEvT1_, .Lfunc_end1327-_ZN7rocprim17ROCPRIM_400000_NS6detail17trampoline_kernelINS0_14default_configENS1_27scan_by_key_config_selectorIixEEZZNS1_16scan_by_key_implILNS1_25lookback_scan_determinismE0ELb0ES3_N6thrust23THRUST_200600_302600_NS6detail15normal_iteratorINS9_10device_ptrIiEEEENSB_INSC_IxEEEESG_xNS9_4plusIvEENS9_8equal_toIvEExEE10hipError_tPvRmT2_T3_T4_T5_mT6_T7_P12ihipStream_tbENKUlT_T0_E_clISt17integral_constantIbLb1EES11_EEDaSW_SX_EUlSW_E_NS1_11comp_targetILNS1_3genE10ELNS1_11target_archE1200ELNS1_3gpuE4ELNS1_3repE0EEENS1_30default_config_static_selectorELNS0_4arch9wavefront6targetE1EEEvT1_
                                        ; -- End function
	.section	.AMDGPU.csdata,"",@progbits
; Kernel info:
; codeLenInByte = 0
; NumSgprs: 6
; NumVgprs: 0
; NumAgprs: 0
; TotalNumVgprs: 0
; ScratchSize: 0
; MemoryBound: 0
; FloatMode: 240
; IeeeMode: 1
; LDSByteSize: 0 bytes/workgroup (compile time only)
; SGPRBlocks: 0
; VGPRBlocks: 0
; NumSGPRsForWavesPerEU: 6
; NumVGPRsForWavesPerEU: 1
; AccumOffset: 4
; Occupancy: 8
; WaveLimiterHint : 0
; COMPUTE_PGM_RSRC2:SCRATCH_EN: 0
; COMPUTE_PGM_RSRC2:USER_SGPR: 2
; COMPUTE_PGM_RSRC2:TRAP_HANDLER: 0
; COMPUTE_PGM_RSRC2:TGID_X_EN: 1
; COMPUTE_PGM_RSRC2:TGID_Y_EN: 0
; COMPUTE_PGM_RSRC2:TGID_Z_EN: 0
; COMPUTE_PGM_RSRC2:TIDIG_COMP_CNT: 0
; COMPUTE_PGM_RSRC3_GFX90A:ACCUM_OFFSET: 0
; COMPUTE_PGM_RSRC3_GFX90A:TG_SPLIT: 0
	.section	.text._ZN7rocprim17ROCPRIM_400000_NS6detail17trampoline_kernelINS0_14default_configENS1_27scan_by_key_config_selectorIixEEZZNS1_16scan_by_key_implILNS1_25lookback_scan_determinismE0ELb0ES3_N6thrust23THRUST_200600_302600_NS6detail15normal_iteratorINS9_10device_ptrIiEEEENSB_INSC_IxEEEESG_xNS9_4plusIvEENS9_8equal_toIvEExEE10hipError_tPvRmT2_T3_T4_T5_mT6_T7_P12ihipStream_tbENKUlT_T0_E_clISt17integral_constantIbLb1EES11_EEDaSW_SX_EUlSW_E_NS1_11comp_targetILNS1_3genE9ELNS1_11target_archE1100ELNS1_3gpuE3ELNS1_3repE0EEENS1_30default_config_static_selectorELNS0_4arch9wavefront6targetE1EEEvT1_,"axG",@progbits,_ZN7rocprim17ROCPRIM_400000_NS6detail17trampoline_kernelINS0_14default_configENS1_27scan_by_key_config_selectorIixEEZZNS1_16scan_by_key_implILNS1_25lookback_scan_determinismE0ELb0ES3_N6thrust23THRUST_200600_302600_NS6detail15normal_iteratorINS9_10device_ptrIiEEEENSB_INSC_IxEEEESG_xNS9_4plusIvEENS9_8equal_toIvEExEE10hipError_tPvRmT2_T3_T4_T5_mT6_T7_P12ihipStream_tbENKUlT_T0_E_clISt17integral_constantIbLb1EES11_EEDaSW_SX_EUlSW_E_NS1_11comp_targetILNS1_3genE9ELNS1_11target_archE1100ELNS1_3gpuE3ELNS1_3repE0EEENS1_30default_config_static_selectorELNS0_4arch9wavefront6targetE1EEEvT1_,comdat
	.protected	_ZN7rocprim17ROCPRIM_400000_NS6detail17trampoline_kernelINS0_14default_configENS1_27scan_by_key_config_selectorIixEEZZNS1_16scan_by_key_implILNS1_25lookback_scan_determinismE0ELb0ES3_N6thrust23THRUST_200600_302600_NS6detail15normal_iteratorINS9_10device_ptrIiEEEENSB_INSC_IxEEEESG_xNS9_4plusIvEENS9_8equal_toIvEExEE10hipError_tPvRmT2_T3_T4_T5_mT6_T7_P12ihipStream_tbENKUlT_T0_E_clISt17integral_constantIbLb1EES11_EEDaSW_SX_EUlSW_E_NS1_11comp_targetILNS1_3genE9ELNS1_11target_archE1100ELNS1_3gpuE3ELNS1_3repE0EEENS1_30default_config_static_selectorELNS0_4arch9wavefront6targetE1EEEvT1_ ; -- Begin function _ZN7rocprim17ROCPRIM_400000_NS6detail17trampoline_kernelINS0_14default_configENS1_27scan_by_key_config_selectorIixEEZZNS1_16scan_by_key_implILNS1_25lookback_scan_determinismE0ELb0ES3_N6thrust23THRUST_200600_302600_NS6detail15normal_iteratorINS9_10device_ptrIiEEEENSB_INSC_IxEEEESG_xNS9_4plusIvEENS9_8equal_toIvEExEE10hipError_tPvRmT2_T3_T4_T5_mT6_T7_P12ihipStream_tbENKUlT_T0_E_clISt17integral_constantIbLb1EES11_EEDaSW_SX_EUlSW_E_NS1_11comp_targetILNS1_3genE9ELNS1_11target_archE1100ELNS1_3gpuE3ELNS1_3repE0EEENS1_30default_config_static_selectorELNS0_4arch9wavefront6targetE1EEEvT1_
	.globl	_ZN7rocprim17ROCPRIM_400000_NS6detail17trampoline_kernelINS0_14default_configENS1_27scan_by_key_config_selectorIixEEZZNS1_16scan_by_key_implILNS1_25lookback_scan_determinismE0ELb0ES3_N6thrust23THRUST_200600_302600_NS6detail15normal_iteratorINS9_10device_ptrIiEEEENSB_INSC_IxEEEESG_xNS9_4plusIvEENS9_8equal_toIvEExEE10hipError_tPvRmT2_T3_T4_T5_mT6_T7_P12ihipStream_tbENKUlT_T0_E_clISt17integral_constantIbLb1EES11_EEDaSW_SX_EUlSW_E_NS1_11comp_targetILNS1_3genE9ELNS1_11target_archE1100ELNS1_3gpuE3ELNS1_3repE0EEENS1_30default_config_static_selectorELNS0_4arch9wavefront6targetE1EEEvT1_
	.p2align	8
	.type	_ZN7rocprim17ROCPRIM_400000_NS6detail17trampoline_kernelINS0_14default_configENS1_27scan_by_key_config_selectorIixEEZZNS1_16scan_by_key_implILNS1_25lookback_scan_determinismE0ELb0ES3_N6thrust23THRUST_200600_302600_NS6detail15normal_iteratorINS9_10device_ptrIiEEEENSB_INSC_IxEEEESG_xNS9_4plusIvEENS9_8equal_toIvEExEE10hipError_tPvRmT2_T3_T4_T5_mT6_T7_P12ihipStream_tbENKUlT_T0_E_clISt17integral_constantIbLb1EES11_EEDaSW_SX_EUlSW_E_NS1_11comp_targetILNS1_3genE9ELNS1_11target_archE1100ELNS1_3gpuE3ELNS1_3repE0EEENS1_30default_config_static_selectorELNS0_4arch9wavefront6targetE1EEEvT1_,@function
_ZN7rocprim17ROCPRIM_400000_NS6detail17trampoline_kernelINS0_14default_configENS1_27scan_by_key_config_selectorIixEEZZNS1_16scan_by_key_implILNS1_25lookback_scan_determinismE0ELb0ES3_N6thrust23THRUST_200600_302600_NS6detail15normal_iteratorINS9_10device_ptrIiEEEENSB_INSC_IxEEEESG_xNS9_4plusIvEENS9_8equal_toIvEExEE10hipError_tPvRmT2_T3_T4_T5_mT6_T7_P12ihipStream_tbENKUlT_T0_E_clISt17integral_constantIbLb1EES11_EEDaSW_SX_EUlSW_E_NS1_11comp_targetILNS1_3genE9ELNS1_11target_archE1100ELNS1_3gpuE3ELNS1_3repE0EEENS1_30default_config_static_selectorELNS0_4arch9wavefront6targetE1EEEvT1_: ; @_ZN7rocprim17ROCPRIM_400000_NS6detail17trampoline_kernelINS0_14default_configENS1_27scan_by_key_config_selectorIixEEZZNS1_16scan_by_key_implILNS1_25lookback_scan_determinismE0ELb0ES3_N6thrust23THRUST_200600_302600_NS6detail15normal_iteratorINS9_10device_ptrIiEEEENSB_INSC_IxEEEESG_xNS9_4plusIvEENS9_8equal_toIvEExEE10hipError_tPvRmT2_T3_T4_T5_mT6_T7_P12ihipStream_tbENKUlT_T0_E_clISt17integral_constantIbLb1EES11_EEDaSW_SX_EUlSW_E_NS1_11comp_targetILNS1_3genE9ELNS1_11target_archE1100ELNS1_3gpuE3ELNS1_3repE0EEENS1_30default_config_static_selectorELNS0_4arch9wavefront6targetE1EEEvT1_
; %bb.0:
	.section	.rodata,"a",@progbits
	.p2align	6, 0x0
	.amdhsa_kernel _ZN7rocprim17ROCPRIM_400000_NS6detail17trampoline_kernelINS0_14default_configENS1_27scan_by_key_config_selectorIixEEZZNS1_16scan_by_key_implILNS1_25lookback_scan_determinismE0ELb0ES3_N6thrust23THRUST_200600_302600_NS6detail15normal_iteratorINS9_10device_ptrIiEEEENSB_INSC_IxEEEESG_xNS9_4plusIvEENS9_8equal_toIvEExEE10hipError_tPvRmT2_T3_T4_T5_mT6_T7_P12ihipStream_tbENKUlT_T0_E_clISt17integral_constantIbLb1EES11_EEDaSW_SX_EUlSW_E_NS1_11comp_targetILNS1_3genE9ELNS1_11target_archE1100ELNS1_3gpuE3ELNS1_3repE0EEENS1_30default_config_static_selectorELNS0_4arch9wavefront6targetE1EEEvT1_
		.amdhsa_group_segment_fixed_size 0
		.amdhsa_private_segment_fixed_size 0
		.amdhsa_kernarg_size 136
		.amdhsa_user_sgpr_count 2
		.amdhsa_user_sgpr_dispatch_ptr 0
		.amdhsa_user_sgpr_queue_ptr 0
		.amdhsa_user_sgpr_kernarg_segment_ptr 1
		.amdhsa_user_sgpr_dispatch_id 0
		.amdhsa_user_sgpr_kernarg_preload_length 0
		.amdhsa_user_sgpr_kernarg_preload_offset 0
		.amdhsa_user_sgpr_private_segment_size 0
		.amdhsa_uses_dynamic_stack 0
		.amdhsa_enable_private_segment 0
		.amdhsa_system_sgpr_workgroup_id_x 1
		.amdhsa_system_sgpr_workgroup_id_y 0
		.amdhsa_system_sgpr_workgroup_id_z 0
		.amdhsa_system_sgpr_workgroup_info 0
		.amdhsa_system_vgpr_workitem_id 0
		.amdhsa_next_free_vgpr 1
		.amdhsa_next_free_sgpr 0
		.amdhsa_accum_offset 4
		.amdhsa_reserve_vcc 0
		.amdhsa_float_round_mode_32 0
		.amdhsa_float_round_mode_16_64 0
		.amdhsa_float_denorm_mode_32 3
		.amdhsa_float_denorm_mode_16_64 3
		.amdhsa_dx10_clamp 1
		.amdhsa_ieee_mode 1
		.amdhsa_fp16_overflow 0
		.amdhsa_tg_split 0
		.amdhsa_exception_fp_ieee_invalid_op 0
		.amdhsa_exception_fp_denorm_src 0
		.amdhsa_exception_fp_ieee_div_zero 0
		.amdhsa_exception_fp_ieee_overflow 0
		.amdhsa_exception_fp_ieee_underflow 0
		.amdhsa_exception_fp_ieee_inexact 0
		.amdhsa_exception_int_div_zero 0
	.end_amdhsa_kernel
	.section	.text._ZN7rocprim17ROCPRIM_400000_NS6detail17trampoline_kernelINS0_14default_configENS1_27scan_by_key_config_selectorIixEEZZNS1_16scan_by_key_implILNS1_25lookback_scan_determinismE0ELb0ES3_N6thrust23THRUST_200600_302600_NS6detail15normal_iteratorINS9_10device_ptrIiEEEENSB_INSC_IxEEEESG_xNS9_4plusIvEENS9_8equal_toIvEExEE10hipError_tPvRmT2_T3_T4_T5_mT6_T7_P12ihipStream_tbENKUlT_T0_E_clISt17integral_constantIbLb1EES11_EEDaSW_SX_EUlSW_E_NS1_11comp_targetILNS1_3genE9ELNS1_11target_archE1100ELNS1_3gpuE3ELNS1_3repE0EEENS1_30default_config_static_selectorELNS0_4arch9wavefront6targetE1EEEvT1_,"axG",@progbits,_ZN7rocprim17ROCPRIM_400000_NS6detail17trampoline_kernelINS0_14default_configENS1_27scan_by_key_config_selectorIixEEZZNS1_16scan_by_key_implILNS1_25lookback_scan_determinismE0ELb0ES3_N6thrust23THRUST_200600_302600_NS6detail15normal_iteratorINS9_10device_ptrIiEEEENSB_INSC_IxEEEESG_xNS9_4plusIvEENS9_8equal_toIvEExEE10hipError_tPvRmT2_T3_T4_T5_mT6_T7_P12ihipStream_tbENKUlT_T0_E_clISt17integral_constantIbLb1EES11_EEDaSW_SX_EUlSW_E_NS1_11comp_targetILNS1_3genE9ELNS1_11target_archE1100ELNS1_3gpuE3ELNS1_3repE0EEENS1_30default_config_static_selectorELNS0_4arch9wavefront6targetE1EEEvT1_,comdat
.Lfunc_end1328:
	.size	_ZN7rocprim17ROCPRIM_400000_NS6detail17trampoline_kernelINS0_14default_configENS1_27scan_by_key_config_selectorIixEEZZNS1_16scan_by_key_implILNS1_25lookback_scan_determinismE0ELb0ES3_N6thrust23THRUST_200600_302600_NS6detail15normal_iteratorINS9_10device_ptrIiEEEENSB_INSC_IxEEEESG_xNS9_4plusIvEENS9_8equal_toIvEExEE10hipError_tPvRmT2_T3_T4_T5_mT6_T7_P12ihipStream_tbENKUlT_T0_E_clISt17integral_constantIbLb1EES11_EEDaSW_SX_EUlSW_E_NS1_11comp_targetILNS1_3genE9ELNS1_11target_archE1100ELNS1_3gpuE3ELNS1_3repE0EEENS1_30default_config_static_selectorELNS0_4arch9wavefront6targetE1EEEvT1_, .Lfunc_end1328-_ZN7rocprim17ROCPRIM_400000_NS6detail17trampoline_kernelINS0_14default_configENS1_27scan_by_key_config_selectorIixEEZZNS1_16scan_by_key_implILNS1_25lookback_scan_determinismE0ELb0ES3_N6thrust23THRUST_200600_302600_NS6detail15normal_iteratorINS9_10device_ptrIiEEEENSB_INSC_IxEEEESG_xNS9_4plusIvEENS9_8equal_toIvEExEE10hipError_tPvRmT2_T3_T4_T5_mT6_T7_P12ihipStream_tbENKUlT_T0_E_clISt17integral_constantIbLb1EES11_EEDaSW_SX_EUlSW_E_NS1_11comp_targetILNS1_3genE9ELNS1_11target_archE1100ELNS1_3gpuE3ELNS1_3repE0EEENS1_30default_config_static_selectorELNS0_4arch9wavefront6targetE1EEEvT1_
                                        ; -- End function
	.section	.AMDGPU.csdata,"",@progbits
; Kernel info:
; codeLenInByte = 0
; NumSgprs: 6
; NumVgprs: 0
; NumAgprs: 0
; TotalNumVgprs: 0
; ScratchSize: 0
; MemoryBound: 0
; FloatMode: 240
; IeeeMode: 1
; LDSByteSize: 0 bytes/workgroup (compile time only)
; SGPRBlocks: 0
; VGPRBlocks: 0
; NumSGPRsForWavesPerEU: 6
; NumVGPRsForWavesPerEU: 1
; AccumOffset: 4
; Occupancy: 8
; WaveLimiterHint : 0
; COMPUTE_PGM_RSRC2:SCRATCH_EN: 0
; COMPUTE_PGM_RSRC2:USER_SGPR: 2
; COMPUTE_PGM_RSRC2:TRAP_HANDLER: 0
; COMPUTE_PGM_RSRC2:TGID_X_EN: 1
; COMPUTE_PGM_RSRC2:TGID_Y_EN: 0
; COMPUTE_PGM_RSRC2:TGID_Z_EN: 0
; COMPUTE_PGM_RSRC2:TIDIG_COMP_CNT: 0
; COMPUTE_PGM_RSRC3_GFX90A:ACCUM_OFFSET: 0
; COMPUTE_PGM_RSRC3_GFX90A:TG_SPLIT: 0
	.section	.text._ZN7rocprim17ROCPRIM_400000_NS6detail17trampoline_kernelINS0_14default_configENS1_27scan_by_key_config_selectorIixEEZZNS1_16scan_by_key_implILNS1_25lookback_scan_determinismE0ELb0ES3_N6thrust23THRUST_200600_302600_NS6detail15normal_iteratorINS9_10device_ptrIiEEEENSB_INSC_IxEEEESG_xNS9_4plusIvEENS9_8equal_toIvEExEE10hipError_tPvRmT2_T3_T4_T5_mT6_T7_P12ihipStream_tbENKUlT_T0_E_clISt17integral_constantIbLb1EES11_EEDaSW_SX_EUlSW_E_NS1_11comp_targetILNS1_3genE8ELNS1_11target_archE1030ELNS1_3gpuE2ELNS1_3repE0EEENS1_30default_config_static_selectorELNS0_4arch9wavefront6targetE1EEEvT1_,"axG",@progbits,_ZN7rocprim17ROCPRIM_400000_NS6detail17trampoline_kernelINS0_14default_configENS1_27scan_by_key_config_selectorIixEEZZNS1_16scan_by_key_implILNS1_25lookback_scan_determinismE0ELb0ES3_N6thrust23THRUST_200600_302600_NS6detail15normal_iteratorINS9_10device_ptrIiEEEENSB_INSC_IxEEEESG_xNS9_4plusIvEENS9_8equal_toIvEExEE10hipError_tPvRmT2_T3_T4_T5_mT6_T7_P12ihipStream_tbENKUlT_T0_E_clISt17integral_constantIbLb1EES11_EEDaSW_SX_EUlSW_E_NS1_11comp_targetILNS1_3genE8ELNS1_11target_archE1030ELNS1_3gpuE2ELNS1_3repE0EEENS1_30default_config_static_selectorELNS0_4arch9wavefront6targetE1EEEvT1_,comdat
	.protected	_ZN7rocprim17ROCPRIM_400000_NS6detail17trampoline_kernelINS0_14default_configENS1_27scan_by_key_config_selectorIixEEZZNS1_16scan_by_key_implILNS1_25lookback_scan_determinismE0ELb0ES3_N6thrust23THRUST_200600_302600_NS6detail15normal_iteratorINS9_10device_ptrIiEEEENSB_INSC_IxEEEESG_xNS9_4plusIvEENS9_8equal_toIvEExEE10hipError_tPvRmT2_T3_T4_T5_mT6_T7_P12ihipStream_tbENKUlT_T0_E_clISt17integral_constantIbLb1EES11_EEDaSW_SX_EUlSW_E_NS1_11comp_targetILNS1_3genE8ELNS1_11target_archE1030ELNS1_3gpuE2ELNS1_3repE0EEENS1_30default_config_static_selectorELNS0_4arch9wavefront6targetE1EEEvT1_ ; -- Begin function _ZN7rocprim17ROCPRIM_400000_NS6detail17trampoline_kernelINS0_14default_configENS1_27scan_by_key_config_selectorIixEEZZNS1_16scan_by_key_implILNS1_25lookback_scan_determinismE0ELb0ES3_N6thrust23THRUST_200600_302600_NS6detail15normal_iteratorINS9_10device_ptrIiEEEENSB_INSC_IxEEEESG_xNS9_4plusIvEENS9_8equal_toIvEExEE10hipError_tPvRmT2_T3_T4_T5_mT6_T7_P12ihipStream_tbENKUlT_T0_E_clISt17integral_constantIbLb1EES11_EEDaSW_SX_EUlSW_E_NS1_11comp_targetILNS1_3genE8ELNS1_11target_archE1030ELNS1_3gpuE2ELNS1_3repE0EEENS1_30default_config_static_selectorELNS0_4arch9wavefront6targetE1EEEvT1_
	.globl	_ZN7rocprim17ROCPRIM_400000_NS6detail17trampoline_kernelINS0_14default_configENS1_27scan_by_key_config_selectorIixEEZZNS1_16scan_by_key_implILNS1_25lookback_scan_determinismE0ELb0ES3_N6thrust23THRUST_200600_302600_NS6detail15normal_iteratorINS9_10device_ptrIiEEEENSB_INSC_IxEEEESG_xNS9_4plusIvEENS9_8equal_toIvEExEE10hipError_tPvRmT2_T3_T4_T5_mT6_T7_P12ihipStream_tbENKUlT_T0_E_clISt17integral_constantIbLb1EES11_EEDaSW_SX_EUlSW_E_NS1_11comp_targetILNS1_3genE8ELNS1_11target_archE1030ELNS1_3gpuE2ELNS1_3repE0EEENS1_30default_config_static_selectorELNS0_4arch9wavefront6targetE1EEEvT1_
	.p2align	8
	.type	_ZN7rocprim17ROCPRIM_400000_NS6detail17trampoline_kernelINS0_14default_configENS1_27scan_by_key_config_selectorIixEEZZNS1_16scan_by_key_implILNS1_25lookback_scan_determinismE0ELb0ES3_N6thrust23THRUST_200600_302600_NS6detail15normal_iteratorINS9_10device_ptrIiEEEENSB_INSC_IxEEEESG_xNS9_4plusIvEENS9_8equal_toIvEExEE10hipError_tPvRmT2_T3_T4_T5_mT6_T7_P12ihipStream_tbENKUlT_T0_E_clISt17integral_constantIbLb1EES11_EEDaSW_SX_EUlSW_E_NS1_11comp_targetILNS1_3genE8ELNS1_11target_archE1030ELNS1_3gpuE2ELNS1_3repE0EEENS1_30default_config_static_selectorELNS0_4arch9wavefront6targetE1EEEvT1_,@function
_ZN7rocprim17ROCPRIM_400000_NS6detail17trampoline_kernelINS0_14default_configENS1_27scan_by_key_config_selectorIixEEZZNS1_16scan_by_key_implILNS1_25lookback_scan_determinismE0ELb0ES3_N6thrust23THRUST_200600_302600_NS6detail15normal_iteratorINS9_10device_ptrIiEEEENSB_INSC_IxEEEESG_xNS9_4plusIvEENS9_8equal_toIvEExEE10hipError_tPvRmT2_T3_T4_T5_mT6_T7_P12ihipStream_tbENKUlT_T0_E_clISt17integral_constantIbLb1EES11_EEDaSW_SX_EUlSW_E_NS1_11comp_targetILNS1_3genE8ELNS1_11target_archE1030ELNS1_3gpuE2ELNS1_3repE0EEENS1_30default_config_static_selectorELNS0_4arch9wavefront6targetE1EEEvT1_: ; @_ZN7rocprim17ROCPRIM_400000_NS6detail17trampoline_kernelINS0_14default_configENS1_27scan_by_key_config_selectorIixEEZZNS1_16scan_by_key_implILNS1_25lookback_scan_determinismE0ELb0ES3_N6thrust23THRUST_200600_302600_NS6detail15normal_iteratorINS9_10device_ptrIiEEEENSB_INSC_IxEEEESG_xNS9_4plusIvEENS9_8equal_toIvEExEE10hipError_tPvRmT2_T3_T4_T5_mT6_T7_P12ihipStream_tbENKUlT_T0_E_clISt17integral_constantIbLb1EES11_EEDaSW_SX_EUlSW_E_NS1_11comp_targetILNS1_3genE8ELNS1_11target_archE1030ELNS1_3gpuE2ELNS1_3repE0EEENS1_30default_config_static_selectorELNS0_4arch9wavefront6targetE1EEEvT1_
; %bb.0:
	.section	.rodata,"a",@progbits
	.p2align	6, 0x0
	.amdhsa_kernel _ZN7rocprim17ROCPRIM_400000_NS6detail17trampoline_kernelINS0_14default_configENS1_27scan_by_key_config_selectorIixEEZZNS1_16scan_by_key_implILNS1_25lookback_scan_determinismE0ELb0ES3_N6thrust23THRUST_200600_302600_NS6detail15normal_iteratorINS9_10device_ptrIiEEEENSB_INSC_IxEEEESG_xNS9_4plusIvEENS9_8equal_toIvEExEE10hipError_tPvRmT2_T3_T4_T5_mT6_T7_P12ihipStream_tbENKUlT_T0_E_clISt17integral_constantIbLb1EES11_EEDaSW_SX_EUlSW_E_NS1_11comp_targetILNS1_3genE8ELNS1_11target_archE1030ELNS1_3gpuE2ELNS1_3repE0EEENS1_30default_config_static_selectorELNS0_4arch9wavefront6targetE1EEEvT1_
		.amdhsa_group_segment_fixed_size 0
		.amdhsa_private_segment_fixed_size 0
		.amdhsa_kernarg_size 136
		.amdhsa_user_sgpr_count 2
		.amdhsa_user_sgpr_dispatch_ptr 0
		.amdhsa_user_sgpr_queue_ptr 0
		.amdhsa_user_sgpr_kernarg_segment_ptr 1
		.amdhsa_user_sgpr_dispatch_id 0
		.amdhsa_user_sgpr_kernarg_preload_length 0
		.amdhsa_user_sgpr_kernarg_preload_offset 0
		.amdhsa_user_sgpr_private_segment_size 0
		.amdhsa_uses_dynamic_stack 0
		.amdhsa_enable_private_segment 0
		.amdhsa_system_sgpr_workgroup_id_x 1
		.amdhsa_system_sgpr_workgroup_id_y 0
		.amdhsa_system_sgpr_workgroup_id_z 0
		.amdhsa_system_sgpr_workgroup_info 0
		.amdhsa_system_vgpr_workitem_id 0
		.amdhsa_next_free_vgpr 1
		.amdhsa_next_free_sgpr 0
		.amdhsa_accum_offset 4
		.amdhsa_reserve_vcc 0
		.amdhsa_float_round_mode_32 0
		.amdhsa_float_round_mode_16_64 0
		.amdhsa_float_denorm_mode_32 3
		.amdhsa_float_denorm_mode_16_64 3
		.amdhsa_dx10_clamp 1
		.amdhsa_ieee_mode 1
		.amdhsa_fp16_overflow 0
		.amdhsa_tg_split 0
		.amdhsa_exception_fp_ieee_invalid_op 0
		.amdhsa_exception_fp_denorm_src 0
		.amdhsa_exception_fp_ieee_div_zero 0
		.amdhsa_exception_fp_ieee_overflow 0
		.amdhsa_exception_fp_ieee_underflow 0
		.amdhsa_exception_fp_ieee_inexact 0
		.amdhsa_exception_int_div_zero 0
	.end_amdhsa_kernel
	.section	.text._ZN7rocprim17ROCPRIM_400000_NS6detail17trampoline_kernelINS0_14default_configENS1_27scan_by_key_config_selectorIixEEZZNS1_16scan_by_key_implILNS1_25lookback_scan_determinismE0ELb0ES3_N6thrust23THRUST_200600_302600_NS6detail15normal_iteratorINS9_10device_ptrIiEEEENSB_INSC_IxEEEESG_xNS9_4plusIvEENS9_8equal_toIvEExEE10hipError_tPvRmT2_T3_T4_T5_mT6_T7_P12ihipStream_tbENKUlT_T0_E_clISt17integral_constantIbLb1EES11_EEDaSW_SX_EUlSW_E_NS1_11comp_targetILNS1_3genE8ELNS1_11target_archE1030ELNS1_3gpuE2ELNS1_3repE0EEENS1_30default_config_static_selectorELNS0_4arch9wavefront6targetE1EEEvT1_,"axG",@progbits,_ZN7rocprim17ROCPRIM_400000_NS6detail17trampoline_kernelINS0_14default_configENS1_27scan_by_key_config_selectorIixEEZZNS1_16scan_by_key_implILNS1_25lookback_scan_determinismE0ELb0ES3_N6thrust23THRUST_200600_302600_NS6detail15normal_iteratorINS9_10device_ptrIiEEEENSB_INSC_IxEEEESG_xNS9_4plusIvEENS9_8equal_toIvEExEE10hipError_tPvRmT2_T3_T4_T5_mT6_T7_P12ihipStream_tbENKUlT_T0_E_clISt17integral_constantIbLb1EES11_EEDaSW_SX_EUlSW_E_NS1_11comp_targetILNS1_3genE8ELNS1_11target_archE1030ELNS1_3gpuE2ELNS1_3repE0EEENS1_30default_config_static_selectorELNS0_4arch9wavefront6targetE1EEEvT1_,comdat
.Lfunc_end1329:
	.size	_ZN7rocprim17ROCPRIM_400000_NS6detail17trampoline_kernelINS0_14default_configENS1_27scan_by_key_config_selectorIixEEZZNS1_16scan_by_key_implILNS1_25lookback_scan_determinismE0ELb0ES3_N6thrust23THRUST_200600_302600_NS6detail15normal_iteratorINS9_10device_ptrIiEEEENSB_INSC_IxEEEESG_xNS9_4plusIvEENS9_8equal_toIvEExEE10hipError_tPvRmT2_T3_T4_T5_mT6_T7_P12ihipStream_tbENKUlT_T0_E_clISt17integral_constantIbLb1EES11_EEDaSW_SX_EUlSW_E_NS1_11comp_targetILNS1_3genE8ELNS1_11target_archE1030ELNS1_3gpuE2ELNS1_3repE0EEENS1_30default_config_static_selectorELNS0_4arch9wavefront6targetE1EEEvT1_, .Lfunc_end1329-_ZN7rocprim17ROCPRIM_400000_NS6detail17trampoline_kernelINS0_14default_configENS1_27scan_by_key_config_selectorIixEEZZNS1_16scan_by_key_implILNS1_25lookback_scan_determinismE0ELb0ES3_N6thrust23THRUST_200600_302600_NS6detail15normal_iteratorINS9_10device_ptrIiEEEENSB_INSC_IxEEEESG_xNS9_4plusIvEENS9_8equal_toIvEExEE10hipError_tPvRmT2_T3_T4_T5_mT6_T7_P12ihipStream_tbENKUlT_T0_E_clISt17integral_constantIbLb1EES11_EEDaSW_SX_EUlSW_E_NS1_11comp_targetILNS1_3genE8ELNS1_11target_archE1030ELNS1_3gpuE2ELNS1_3repE0EEENS1_30default_config_static_selectorELNS0_4arch9wavefront6targetE1EEEvT1_
                                        ; -- End function
	.section	.AMDGPU.csdata,"",@progbits
; Kernel info:
; codeLenInByte = 0
; NumSgprs: 6
; NumVgprs: 0
; NumAgprs: 0
; TotalNumVgprs: 0
; ScratchSize: 0
; MemoryBound: 0
; FloatMode: 240
; IeeeMode: 1
; LDSByteSize: 0 bytes/workgroup (compile time only)
; SGPRBlocks: 0
; VGPRBlocks: 0
; NumSGPRsForWavesPerEU: 6
; NumVGPRsForWavesPerEU: 1
; AccumOffset: 4
; Occupancy: 8
; WaveLimiterHint : 0
; COMPUTE_PGM_RSRC2:SCRATCH_EN: 0
; COMPUTE_PGM_RSRC2:USER_SGPR: 2
; COMPUTE_PGM_RSRC2:TRAP_HANDLER: 0
; COMPUTE_PGM_RSRC2:TGID_X_EN: 1
; COMPUTE_PGM_RSRC2:TGID_Y_EN: 0
; COMPUTE_PGM_RSRC2:TGID_Z_EN: 0
; COMPUTE_PGM_RSRC2:TIDIG_COMP_CNT: 0
; COMPUTE_PGM_RSRC3_GFX90A:ACCUM_OFFSET: 0
; COMPUTE_PGM_RSRC3_GFX90A:TG_SPLIT: 0
	.section	.text._ZN7rocprim17ROCPRIM_400000_NS6detail30init_device_scan_by_key_kernelINS1_19lookback_scan_stateINS0_5tupleIJxbEEELb1ELb0EEEN6thrust23THRUST_200600_302600_NS6detail15normal_iteratorINS8_10device_ptrIiEEEEjNS1_16block_id_wrapperIjLb0EEEEEvT_jjPNSG_10value_typeET0_PNSt15iterator_traitsISJ_E10value_typeEmT1_T2_,"axG",@progbits,_ZN7rocprim17ROCPRIM_400000_NS6detail30init_device_scan_by_key_kernelINS1_19lookback_scan_stateINS0_5tupleIJxbEEELb1ELb0EEEN6thrust23THRUST_200600_302600_NS6detail15normal_iteratorINS8_10device_ptrIiEEEEjNS1_16block_id_wrapperIjLb0EEEEEvT_jjPNSG_10value_typeET0_PNSt15iterator_traitsISJ_E10value_typeEmT1_T2_,comdat
	.protected	_ZN7rocprim17ROCPRIM_400000_NS6detail30init_device_scan_by_key_kernelINS1_19lookback_scan_stateINS0_5tupleIJxbEEELb1ELb0EEEN6thrust23THRUST_200600_302600_NS6detail15normal_iteratorINS8_10device_ptrIiEEEEjNS1_16block_id_wrapperIjLb0EEEEEvT_jjPNSG_10value_typeET0_PNSt15iterator_traitsISJ_E10value_typeEmT1_T2_ ; -- Begin function _ZN7rocprim17ROCPRIM_400000_NS6detail30init_device_scan_by_key_kernelINS1_19lookback_scan_stateINS0_5tupleIJxbEEELb1ELb0EEEN6thrust23THRUST_200600_302600_NS6detail15normal_iteratorINS8_10device_ptrIiEEEEjNS1_16block_id_wrapperIjLb0EEEEEvT_jjPNSG_10value_typeET0_PNSt15iterator_traitsISJ_E10value_typeEmT1_T2_
	.globl	_ZN7rocprim17ROCPRIM_400000_NS6detail30init_device_scan_by_key_kernelINS1_19lookback_scan_stateINS0_5tupleIJxbEEELb1ELb0EEEN6thrust23THRUST_200600_302600_NS6detail15normal_iteratorINS8_10device_ptrIiEEEEjNS1_16block_id_wrapperIjLb0EEEEEvT_jjPNSG_10value_typeET0_PNSt15iterator_traitsISJ_E10value_typeEmT1_T2_
	.p2align	8
	.type	_ZN7rocprim17ROCPRIM_400000_NS6detail30init_device_scan_by_key_kernelINS1_19lookback_scan_stateINS0_5tupleIJxbEEELb1ELb0EEEN6thrust23THRUST_200600_302600_NS6detail15normal_iteratorINS8_10device_ptrIiEEEEjNS1_16block_id_wrapperIjLb0EEEEEvT_jjPNSG_10value_typeET0_PNSt15iterator_traitsISJ_E10value_typeEmT1_T2_,@function
_ZN7rocprim17ROCPRIM_400000_NS6detail30init_device_scan_by_key_kernelINS1_19lookback_scan_stateINS0_5tupleIJxbEEELb1ELb0EEEN6thrust23THRUST_200600_302600_NS6detail15normal_iteratorINS8_10device_ptrIiEEEEjNS1_16block_id_wrapperIjLb0EEEEEvT_jjPNSG_10value_typeET0_PNSt15iterator_traitsISJ_E10value_typeEmT1_T2_: ; @_ZN7rocprim17ROCPRIM_400000_NS6detail30init_device_scan_by_key_kernelINS1_19lookback_scan_stateINS0_5tupleIJxbEEELb1ELb0EEEN6thrust23THRUST_200600_302600_NS6detail15normal_iteratorINS8_10device_ptrIiEEEEjNS1_16block_id_wrapperIjLb0EEEEEvT_jjPNSG_10value_typeET0_PNSt15iterator_traitsISJ_E10value_typeEmT1_T2_
; %bb.0:
	s_load_dword s3, s[0:1], 0x54
	s_load_dwordx8 s[4:11], s[0:1], 0x10
	s_load_dword s20, s[0:1], 0x48
	s_waitcnt lgkmcnt(0)
	s_and_b32 s21, s3, 0xffff
	s_mul_i32 s2, s2, s21
	s_cmp_eq_u64 s[8:9], 0
	v_add_u32_e32 v0, s2, v0
	s_cbranch_scc1 .LBB1330_11
; %bb.1:
	s_cmp_lt_u32 s7, s6
	s_cselect_b32 s2, s7, 0
	s_mov_b32 s17, 0
	v_cmp_eq_u32_e32 vcc, s2, v0
	s_and_saveexec_b64 s[2:3], vcc
	s_cbranch_execz .LBB1330_10
; %bb.2:
	s_add_i32 s16, s7, 64
	v_mov_b32_e32 v1, s16
	global_load_ubyte v1, v1, s[4:5] sc1
	s_load_dwordx4 s[12:15], s[0:1], 0x0
	s_add_u32 s18, s4, s16
	s_addc_u32 s19, s5, 0
	s_waitcnt vmcnt(0)
	v_cmp_ne_u16_e32 vcc, 0, v1
	v_readfirstlane_b32 s7, v1
	s_cbranch_vccz .LBB1330_4
; %bb.3:
	s_and_b32 s7, 0xffff, s7
	s_branch .LBB1330_9
.LBB1330_4:
	s_mov_b32 s7, 1
	v_mov_b32_e32 v1, 0
.LBB1330_5:                             ; =>This Loop Header: Depth=1
                                        ;     Child Loop BB1330_6 Depth 2
	s_max_u32 s22, s7, 1
.LBB1330_6:                             ;   Parent Loop BB1330_5 Depth=1
                                        ; =>  This Inner Loop Header: Depth=2
	s_add_i32 s22, s22, -1
	s_cmp_eq_u32 s22, 0
	s_sleep 1
	s_cbranch_scc0 .LBB1330_6
; %bb.7:                                ;   in Loop: Header=BB1330_5 Depth=1
	global_load_ubyte v2, v1, s[18:19] sc1
	s_cmp_lt_u32 s7, 32
	s_cselect_b64 s[22:23], -1, 0
	s_cmp_lg_u64 s[22:23], 0
	s_addc_u32 s7, s7, 0
	s_waitcnt vmcnt(0)
	v_cmp_ne_u16_e32 vcc, 0, v2
	v_readfirstlane_b32 s22, v2
	s_cbranch_vccz .LBB1330_5
; %bb.8:
	s_and_b32 s7, 0xffff, s22
.LBB1330_9:
	s_cmp_eq_u32 s7, 1
	s_waitcnt lgkmcnt(0)
	s_cselect_b32 s7, s13, s15
	s_cselect_b32 s14, s12, s14
	s_lshl_b64 s[12:13], s[16:17], 4
	s_add_u32 s12, s14, s12
	s_addc_u32 s13, s7, s13
	v_mov_b32_e32 v1, 0
	s_waitcnt vmcnt(0)
	global_load_dword v2, v1, s[12:13] sc1
	global_load_dword v3, v1, s[12:13] offset:4 sc1
	global_load_dword v4, v1, s[12:13] offset:8 sc1
	;; [unrolled: 1-line block ×3, first 2 shown]
	s_waitcnt vmcnt(2)
	global_store_dwordx2 v1, v[2:3], s[8:9]
	s_waitcnt vmcnt(2)
	global_store_byte v1, v4, s[8:9] offset:8
.LBB1330_10:
	s_or_b64 exec, exec, s[2:3]
.LBB1330_11:
	v_cmp_gt_u32_e32 vcc, s6, v0
	s_and_saveexec_b64 s[2:3], vcc
	s_cbranch_execz .LBB1330_13
; %bb.12:
	v_add_u32_e32 v1, 64, v0
	v_mov_b32_e32 v2, 0
	global_store_byte v1, v2, s[4:5]
.LBB1330_13:
	s_or_b64 exec, exec, s[2:3]
	v_cmp_gt_u32_e32 vcc, 64, v0
	v_mov_b32_e32 v1, 0
	s_and_saveexec_b64 s[2:3], vcc
	s_cbranch_execz .LBB1330_15
; %bb.14:
	v_lshl_add_u64 v[2:3], s[4:5], 0, v[0:1]
	v_mov_b32_e32 v4, 0xff
	global_store_byte v[2:3], v4, off
.LBB1330_15:
	s_or_b64 exec, exec, s[2:3]
	s_load_dwordx2 s[2:3], s[0:1], 0x38
	s_waitcnt lgkmcnt(0)
	v_cmp_gt_u64_e32 vcc, s[2:3], v[0:1]
	s_and_saveexec_b64 s[4:5], vcc
	s_cbranch_execz .LBB1330_18
; %bb.16:
	s_load_dword s12, s[0:1], 0x40
	s_load_dwordx2 s[6:7], s[0:1], 0x30
	s_mov_b32 s5, 0
	s_mov_b32 s1, s5
	s_mul_i32 s0, s20, s21
	s_waitcnt lgkmcnt(0)
	s_add_i32 s4, s12, -1
	s_lshl_b64 s[4:5], s[4:5], 2
	s_add_u32 s4, s10, s4
	v_mad_u64_u32 v[2:3], s[8:9], s12, v0, 0
	s_addc_u32 s5, s11, s5
	v_lshl_add_u64 v[2:3], v[2:3], 2, s[4:5]
	s_mul_hi_u32 s5, s12, s0
	s_mul_i32 s4, s12, s0
	s_lshl_b64 s[4:5], s[4:5], 2
	s_waitcnt vmcnt(2)
	v_lshl_add_u64 v[4:5], v[0:1], 2, s[6:7]
	s_lshl_b64 s[6:7], s[0:1], 2
	s_mov_b64 s[8:9], 0
.LBB1330_17:                            ; =>This Inner Loop Header: Depth=1
	global_load_dword v6, v[2:3], off
	v_lshl_add_u64 v[0:1], v[0:1], 0, s[0:1]
	v_cmp_le_u64_e32 vcc, s[2:3], v[0:1]
	v_lshl_add_u64 v[2:3], v[2:3], 0, s[4:5]
	s_or_b64 s[8:9], vcc, s[8:9]
	s_waitcnt vmcnt(0)
	global_store_dword v[4:5], v6, off
	v_lshl_add_u64 v[4:5], v[4:5], 0, s[6:7]
	s_andn2_b64 exec, exec, s[8:9]
	s_cbranch_execnz .LBB1330_17
.LBB1330_18:
	s_endpgm
	.section	.rodata,"a",@progbits
	.p2align	6, 0x0
	.amdhsa_kernel _ZN7rocprim17ROCPRIM_400000_NS6detail30init_device_scan_by_key_kernelINS1_19lookback_scan_stateINS0_5tupleIJxbEEELb1ELb0EEEN6thrust23THRUST_200600_302600_NS6detail15normal_iteratorINS8_10device_ptrIiEEEEjNS1_16block_id_wrapperIjLb0EEEEEvT_jjPNSG_10value_typeET0_PNSt15iterator_traitsISJ_E10value_typeEmT1_T2_
		.amdhsa_group_segment_fixed_size 0
		.amdhsa_private_segment_fixed_size 0
		.amdhsa_kernarg_size 328
		.amdhsa_user_sgpr_count 2
		.amdhsa_user_sgpr_dispatch_ptr 0
		.amdhsa_user_sgpr_queue_ptr 0
		.amdhsa_user_sgpr_kernarg_segment_ptr 1
		.amdhsa_user_sgpr_dispatch_id 0
		.amdhsa_user_sgpr_kernarg_preload_length 0
		.amdhsa_user_sgpr_kernarg_preload_offset 0
		.amdhsa_user_sgpr_private_segment_size 0
		.amdhsa_uses_dynamic_stack 0
		.amdhsa_enable_private_segment 0
		.amdhsa_system_sgpr_workgroup_id_x 1
		.amdhsa_system_sgpr_workgroup_id_y 0
		.amdhsa_system_sgpr_workgroup_id_z 0
		.amdhsa_system_sgpr_workgroup_info 0
		.amdhsa_system_vgpr_workitem_id 0
		.amdhsa_next_free_vgpr 7
		.amdhsa_next_free_sgpr 24
		.amdhsa_accum_offset 8
		.amdhsa_reserve_vcc 1
		.amdhsa_float_round_mode_32 0
		.amdhsa_float_round_mode_16_64 0
		.amdhsa_float_denorm_mode_32 3
		.amdhsa_float_denorm_mode_16_64 3
		.amdhsa_dx10_clamp 1
		.amdhsa_ieee_mode 1
		.amdhsa_fp16_overflow 0
		.amdhsa_tg_split 0
		.amdhsa_exception_fp_ieee_invalid_op 0
		.amdhsa_exception_fp_denorm_src 0
		.amdhsa_exception_fp_ieee_div_zero 0
		.amdhsa_exception_fp_ieee_overflow 0
		.amdhsa_exception_fp_ieee_underflow 0
		.amdhsa_exception_fp_ieee_inexact 0
		.amdhsa_exception_int_div_zero 0
	.end_amdhsa_kernel
	.section	.text._ZN7rocprim17ROCPRIM_400000_NS6detail30init_device_scan_by_key_kernelINS1_19lookback_scan_stateINS0_5tupleIJxbEEELb1ELb0EEEN6thrust23THRUST_200600_302600_NS6detail15normal_iteratorINS8_10device_ptrIiEEEEjNS1_16block_id_wrapperIjLb0EEEEEvT_jjPNSG_10value_typeET0_PNSt15iterator_traitsISJ_E10value_typeEmT1_T2_,"axG",@progbits,_ZN7rocprim17ROCPRIM_400000_NS6detail30init_device_scan_by_key_kernelINS1_19lookback_scan_stateINS0_5tupleIJxbEEELb1ELb0EEEN6thrust23THRUST_200600_302600_NS6detail15normal_iteratorINS8_10device_ptrIiEEEEjNS1_16block_id_wrapperIjLb0EEEEEvT_jjPNSG_10value_typeET0_PNSt15iterator_traitsISJ_E10value_typeEmT1_T2_,comdat
.Lfunc_end1330:
	.size	_ZN7rocprim17ROCPRIM_400000_NS6detail30init_device_scan_by_key_kernelINS1_19lookback_scan_stateINS0_5tupleIJxbEEELb1ELb0EEEN6thrust23THRUST_200600_302600_NS6detail15normal_iteratorINS8_10device_ptrIiEEEEjNS1_16block_id_wrapperIjLb0EEEEEvT_jjPNSG_10value_typeET0_PNSt15iterator_traitsISJ_E10value_typeEmT1_T2_, .Lfunc_end1330-_ZN7rocprim17ROCPRIM_400000_NS6detail30init_device_scan_by_key_kernelINS1_19lookback_scan_stateINS0_5tupleIJxbEEELb1ELb0EEEN6thrust23THRUST_200600_302600_NS6detail15normal_iteratorINS8_10device_ptrIiEEEEjNS1_16block_id_wrapperIjLb0EEEEEvT_jjPNSG_10value_typeET0_PNSt15iterator_traitsISJ_E10value_typeEmT1_T2_
                                        ; -- End function
	.section	.AMDGPU.csdata,"",@progbits
; Kernel info:
; codeLenInByte = 568
; NumSgprs: 30
; NumVgprs: 7
; NumAgprs: 0
; TotalNumVgprs: 7
; ScratchSize: 0
; MemoryBound: 0
; FloatMode: 240
; IeeeMode: 1
; LDSByteSize: 0 bytes/workgroup (compile time only)
; SGPRBlocks: 3
; VGPRBlocks: 0
; NumSGPRsForWavesPerEU: 30
; NumVGPRsForWavesPerEU: 7
; AccumOffset: 8
; Occupancy: 8
; WaveLimiterHint : 0
; COMPUTE_PGM_RSRC2:SCRATCH_EN: 0
; COMPUTE_PGM_RSRC2:USER_SGPR: 2
; COMPUTE_PGM_RSRC2:TRAP_HANDLER: 0
; COMPUTE_PGM_RSRC2:TGID_X_EN: 1
; COMPUTE_PGM_RSRC2:TGID_Y_EN: 0
; COMPUTE_PGM_RSRC2:TGID_Z_EN: 0
; COMPUTE_PGM_RSRC2:TIDIG_COMP_CNT: 0
; COMPUTE_PGM_RSRC3_GFX90A:ACCUM_OFFSET: 1
; COMPUTE_PGM_RSRC3_GFX90A:TG_SPLIT: 0
	.section	.text._ZN7rocprim17ROCPRIM_400000_NS6detail17trampoline_kernelINS0_14default_configENS1_27scan_by_key_config_selectorIixEEZZNS1_16scan_by_key_implILNS1_25lookback_scan_determinismE0ELb0ES3_N6thrust23THRUST_200600_302600_NS6detail15normal_iteratorINS9_10device_ptrIiEEEENSB_INSC_IxEEEESG_xNS9_4plusIvEENS9_8equal_toIvEExEE10hipError_tPvRmT2_T3_T4_T5_mT6_T7_P12ihipStream_tbENKUlT_T0_E_clISt17integral_constantIbLb1EES10_IbLb0EEEEDaSW_SX_EUlSW_E_NS1_11comp_targetILNS1_3genE0ELNS1_11target_archE4294967295ELNS1_3gpuE0ELNS1_3repE0EEENS1_30default_config_static_selectorELNS0_4arch9wavefront6targetE1EEEvT1_,"axG",@progbits,_ZN7rocprim17ROCPRIM_400000_NS6detail17trampoline_kernelINS0_14default_configENS1_27scan_by_key_config_selectorIixEEZZNS1_16scan_by_key_implILNS1_25lookback_scan_determinismE0ELb0ES3_N6thrust23THRUST_200600_302600_NS6detail15normal_iteratorINS9_10device_ptrIiEEEENSB_INSC_IxEEEESG_xNS9_4plusIvEENS9_8equal_toIvEExEE10hipError_tPvRmT2_T3_T4_T5_mT6_T7_P12ihipStream_tbENKUlT_T0_E_clISt17integral_constantIbLb1EES10_IbLb0EEEEDaSW_SX_EUlSW_E_NS1_11comp_targetILNS1_3genE0ELNS1_11target_archE4294967295ELNS1_3gpuE0ELNS1_3repE0EEENS1_30default_config_static_selectorELNS0_4arch9wavefront6targetE1EEEvT1_,comdat
	.protected	_ZN7rocprim17ROCPRIM_400000_NS6detail17trampoline_kernelINS0_14default_configENS1_27scan_by_key_config_selectorIixEEZZNS1_16scan_by_key_implILNS1_25lookback_scan_determinismE0ELb0ES3_N6thrust23THRUST_200600_302600_NS6detail15normal_iteratorINS9_10device_ptrIiEEEENSB_INSC_IxEEEESG_xNS9_4plusIvEENS9_8equal_toIvEExEE10hipError_tPvRmT2_T3_T4_T5_mT6_T7_P12ihipStream_tbENKUlT_T0_E_clISt17integral_constantIbLb1EES10_IbLb0EEEEDaSW_SX_EUlSW_E_NS1_11comp_targetILNS1_3genE0ELNS1_11target_archE4294967295ELNS1_3gpuE0ELNS1_3repE0EEENS1_30default_config_static_selectorELNS0_4arch9wavefront6targetE1EEEvT1_ ; -- Begin function _ZN7rocprim17ROCPRIM_400000_NS6detail17trampoline_kernelINS0_14default_configENS1_27scan_by_key_config_selectorIixEEZZNS1_16scan_by_key_implILNS1_25lookback_scan_determinismE0ELb0ES3_N6thrust23THRUST_200600_302600_NS6detail15normal_iteratorINS9_10device_ptrIiEEEENSB_INSC_IxEEEESG_xNS9_4plusIvEENS9_8equal_toIvEExEE10hipError_tPvRmT2_T3_T4_T5_mT6_T7_P12ihipStream_tbENKUlT_T0_E_clISt17integral_constantIbLb1EES10_IbLb0EEEEDaSW_SX_EUlSW_E_NS1_11comp_targetILNS1_3genE0ELNS1_11target_archE4294967295ELNS1_3gpuE0ELNS1_3repE0EEENS1_30default_config_static_selectorELNS0_4arch9wavefront6targetE1EEEvT1_
	.globl	_ZN7rocprim17ROCPRIM_400000_NS6detail17trampoline_kernelINS0_14default_configENS1_27scan_by_key_config_selectorIixEEZZNS1_16scan_by_key_implILNS1_25lookback_scan_determinismE0ELb0ES3_N6thrust23THRUST_200600_302600_NS6detail15normal_iteratorINS9_10device_ptrIiEEEENSB_INSC_IxEEEESG_xNS9_4plusIvEENS9_8equal_toIvEExEE10hipError_tPvRmT2_T3_T4_T5_mT6_T7_P12ihipStream_tbENKUlT_T0_E_clISt17integral_constantIbLb1EES10_IbLb0EEEEDaSW_SX_EUlSW_E_NS1_11comp_targetILNS1_3genE0ELNS1_11target_archE4294967295ELNS1_3gpuE0ELNS1_3repE0EEENS1_30default_config_static_selectorELNS0_4arch9wavefront6targetE1EEEvT1_
	.p2align	8
	.type	_ZN7rocprim17ROCPRIM_400000_NS6detail17trampoline_kernelINS0_14default_configENS1_27scan_by_key_config_selectorIixEEZZNS1_16scan_by_key_implILNS1_25lookback_scan_determinismE0ELb0ES3_N6thrust23THRUST_200600_302600_NS6detail15normal_iteratorINS9_10device_ptrIiEEEENSB_INSC_IxEEEESG_xNS9_4plusIvEENS9_8equal_toIvEExEE10hipError_tPvRmT2_T3_T4_T5_mT6_T7_P12ihipStream_tbENKUlT_T0_E_clISt17integral_constantIbLb1EES10_IbLb0EEEEDaSW_SX_EUlSW_E_NS1_11comp_targetILNS1_3genE0ELNS1_11target_archE4294967295ELNS1_3gpuE0ELNS1_3repE0EEENS1_30default_config_static_selectorELNS0_4arch9wavefront6targetE1EEEvT1_,@function
_ZN7rocprim17ROCPRIM_400000_NS6detail17trampoline_kernelINS0_14default_configENS1_27scan_by_key_config_selectorIixEEZZNS1_16scan_by_key_implILNS1_25lookback_scan_determinismE0ELb0ES3_N6thrust23THRUST_200600_302600_NS6detail15normal_iteratorINS9_10device_ptrIiEEEENSB_INSC_IxEEEESG_xNS9_4plusIvEENS9_8equal_toIvEExEE10hipError_tPvRmT2_T3_T4_T5_mT6_T7_P12ihipStream_tbENKUlT_T0_E_clISt17integral_constantIbLb1EES10_IbLb0EEEEDaSW_SX_EUlSW_E_NS1_11comp_targetILNS1_3genE0ELNS1_11target_archE4294967295ELNS1_3gpuE0ELNS1_3repE0EEENS1_30default_config_static_selectorELNS0_4arch9wavefront6targetE1EEEvT1_: ; @_ZN7rocprim17ROCPRIM_400000_NS6detail17trampoline_kernelINS0_14default_configENS1_27scan_by_key_config_selectorIixEEZZNS1_16scan_by_key_implILNS1_25lookback_scan_determinismE0ELb0ES3_N6thrust23THRUST_200600_302600_NS6detail15normal_iteratorINS9_10device_ptrIiEEEENSB_INSC_IxEEEESG_xNS9_4plusIvEENS9_8equal_toIvEExEE10hipError_tPvRmT2_T3_T4_T5_mT6_T7_P12ihipStream_tbENKUlT_T0_E_clISt17integral_constantIbLb1EES10_IbLb0EEEEDaSW_SX_EUlSW_E_NS1_11comp_targetILNS1_3genE0ELNS1_11target_archE4294967295ELNS1_3gpuE0ELNS1_3repE0EEENS1_30default_config_static_selectorELNS0_4arch9wavefront6targetE1EEEvT1_
; %bb.0:
	.section	.rodata,"a",@progbits
	.p2align	6, 0x0
	.amdhsa_kernel _ZN7rocprim17ROCPRIM_400000_NS6detail17trampoline_kernelINS0_14default_configENS1_27scan_by_key_config_selectorIixEEZZNS1_16scan_by_key_implILNS1_25lookback_scan_determinismE0ELb0ES3_N6thrust23THRUST_200600_302600_NS6detail15normal_iteratorINS9_10device_ptrIiEEEENSB_INSC_IxEEEESG_xNS9_4plusIvEENS9_8equal_toIvEExEE10hipError_tPvRmT2_T3_T4_T5_mT6_T7_P12ihipStream_tbENKUlT_T0_E_clISt17integral_constantIbLb1EES10_IbLb0EEEEDaSW_SX_EUlSW_E_NS1_11comp_targetILNS1_3genE0ELNS1_11target_archE4294967295ELNS1_3gpuE0ELNS1_3repE0EEENS1_30default_config_static_selectorELNS0_4arch9wavefront6targetE1EEEvT1_
		.amdhsa_group_segment_fixed_size 0
		.amdhsa_private_segment_fixed_size 0
		.amdhsa_kernarg_size 136
		.amdhsa_user_sgpr_count 2
		.amdhsa_user_sgpr_dispatch_ptr 0
		.amdhsa_user_sgpr_queue_ptr 0
		.amdhsa_user_sgpr_kernarg_segment_ptr 1
		.amdhsa_user_sgpr_dispatch_id 0
		.amdhsa_user_sgpr_kernarg_preload_length 0
		.amdhsa_user_sgpr_kernarg_preload_offset 0
		.amdhsa_user_sgpr_private_segment_size 0
		.amdhsa_uses_dynamic_stack 0
		.amdhsa_enable_private_segment 0
		.amdhsa_system_sgpr_workgroup_id_x 1
		.amdhsa_system_sgpr_workgroup_id_y 0
		.amdhsa_system_sgpr_workgroup_id_z 0
		.amdhsa_system_sgpr_workgroup_info 0
		.amdhsa_system_vgpr_workitem_id 0
		.amdhsa_next_free_vgpr 1
		.amdhsa_next_free_sgpr 0
		.amdhsa_accum_offset 4
		.amdhsa_reserve_vcc 0
		.amdhsa_float_round_mode_32 0
		.amdhsa_float_round_mode_16_64 0
		.amdhsa_float_denorm_mode_32 3
		.amdhsa_float_denorm_mode_16_64 3
		.amdhsa_dx10_clamp 1
		.amdhsa_ieee_mode 1
		.amdhsa_fp16_overflow 0
		.amdhsa_tg_split 0
		.amdhsa_exception_fp_ieee_invalid_op 0
		.amdhsa_exception_fp_denorm_src 0
		.amdhsa_exception_fp_ieee_div_zero 0
		.amdhsa_exception_fp_ieee_overflow 0
		.amdhsa_exception_fp_ieee_underflow 0
		.amdhsa_exception_fp_ieee_inexact 0
		.amdhsa_exception_int_div_zero 0
	.end_amdhsa_kernel
	.section	.text._ZN7rocprim17ROCPRIM_400000_NS6detail17trampoline_kernelINS0_14default_configENS1_27scan_by_key_config_selectorIixEEZZNS1_16scan_by_key_implILNS1_25lookback_scan_determinismE0ELb0ES3_N6thrust23THRUST_200600_302600_NS6detail15normal_iteratorINS9_10device_ptrIiEEEENSB_INSC_IxEEEESG_xNS9_4plusIvEENS9_8equal_toIvEExEE10hipError_tPvRmT2_T3_T4_T5_mT6_T7_P12ihipStream_tbENKUlT_T0_E_clISt17integral_constantIbLb1EES10_IbLb0EEEEDaSW_SX_EUlSW_E_NS1_11comp_targetILNS1_3genE0ELNS1_11target_archE4294967295ELNS1_3gpuE0ELNS1_3repE0EEENS1_30default_config_static_selectorELNS0_4arch9wavefront6targetE1EEEvT1_,"axG",@progbits,_ZN7rocprim17ROCPRIM_400000_NS6detail17trampoline_kernelINS0_14default_configENS1_27scan_by_key_config_selectorIixEEZZNS1_16scan_by_key_implILNS1_25lookback_scan_determinismE0ELb0ES3_N6thrust23THRUST_200600_302600_NS6detail15normal_iteratorINS9_10device_ptrIiEEEENSB_INSC_IxEEEESG_xNS9_4plusIvEENS9_8equal_toIvEExEE10hipError_tPvRmT2_T3_T4_T5_mT6_T7_P12ihipStream_tbENKUlT_T0_E_clISt17integral_constantIbLb1EES10_IbLb0EEEEDaSW_SX_EUlSW_E_NS1_11comp_targetILNS1_3genE0ELNS1_11target_archE4294967295ELNS1_3gpuE0ELNS1_3repE0EEENS1_30default_config_static_selectorELNS0_4arch9wavefront6targetE1EEEvT1_,comdat
.Lfunc_end1331:
	.size	_ZN7rocprim17ROCPRIM_400000_NS6detail17trampoline_kernelINS0_14default_configENS1_27scan_by_key_config_selectorIixEEZZNS1_16scan_by_key_implILNS1_25lookback_scan_determinismE0ELb0ES3_N6thrust23THRUST_200600_302600_NS6detail15normal_iteratorINS9_10device_ptrIiEEEENSB_INSC_IxEEEESG_xNS9_4plusIvEENS9_8equal_toIvEExEE10hipError_tPvRmT2_T3_T4_T5_mT6_T7_P12ihipStream_tbENKUlT_T0_E_clISt17integral_constantIbLb1EES10_IbLb0EEEEDaSW_SX_EUlSW_E_NS1_11comp_targetILNS1_3genE0ELNS1_11target_archE4294967295ELNS1_3gpuE0ELNS1_3repE0EEENS1_30default_config_static_selectorELNS0_4arch9wavefront6targetE1EEEvT1_, .Lfunc_end1331-_ZN7rocprim17ROCPRIM_400000_NS6detail17trampoline_kernelINS0_14default_configENS1_27scan_by_key_config_selectorIixEEZZNS1_16scan_by_key_implILNS1_25lookback_scan_determinismE0ELb0ES3_N6thrust23THRUST_200600_302600_NS6detail15normal_iteratorINS9_10device_ptrIiEEEENSB_INSC_IxEEEESG_xNS9_4plusIvEENS9_8equal_toIvEExEE10hipError_tPvRmT2_T3_T4_T5_mT6_T7_P12ihipStream_tbENKUlT_T0_E_clISt17integral_constantIbLb1EES10_IbLb0EEEEDaSW_SX_EUlSW_E_NS1_11comp_targetILNS1_3genE0ELNS1_11target_archE4294967295ELNS1_3gpuE0ELNS1_3repE0EEENS1_30default_config_static_selectorELNS0_4arch9wavefront6targetE1EEEvT1_
                                        ; -- End function
	.section	.AMDGPU.csdata,"",@progbits
; Kernel info:
; codeLenInByte = 0
; NumSgprs: 6
; NumVgprs: 0
; NumAgprs: 0
; TotalNumVgprs: 0
; ScratchSize: 0
; MemoryBound: 0
; FloatMode: 240
; IeeeMode: 1
; LDSByteSize: 0 bytes/workgroup (compile time only)
; SGPRBlocks: 0
; VGPRBlocks: 0
; NumSGPRsForWavesPerEU: 6
; NumVGPRsForWavesPerEU: 1
; AccumOffset: 4
; Occupancy: 8
; WaveLimiterHint : 0
; COMPUTE_PGM_RSRC2:SCRATCH_EN: 0
; COMPUTE_PGM_RSRC2:USER_SGPR: 2
; COMPUTE_PGM_RSRC2:TRAP_HANDLER: 0
; COMPUTE_PGM_RSRC2:TGID_X_EN: 1
; COMPUTE_PGM_RSRC2:TGID_Y_EN: 0
; COMPUTE_PGM_RSRC2:TGID_Z_EN: 0
; COMPUTE_PGM_RSRC2:TIDIG_COMP_CNT: 0
; COMPUTE_PGM_RSRC3_GFX90A:ACCUM_OFFSET: 0
; COMPUTE_PGM_RSRC3_GFX90A:TG_SPLIT: 0
	.section	.text._ZN7rocprim17ROCPRIM_400000_NS6detail17trampoline_kernelINS0_14default_configENS1_27scan_by_key_config_selectorIixEEZZNS1_16scan_by_key_implILNS1_25lookback_scan_determinismE0ELb0ES3_N6thrust23THRUST_200600_302600_NS6detail15normal_iteratorINS9_10device_ptrIiEEEENSB_INSC_IxEEEESG_xNS9_4plusIvEENS9_8equal_toIvEExEE10hipError_tPvRmT2_T3_T4_T5_mT6_T7_P12ihipStream_tbENKUlT_T0_E_clISt17integral_constantIbLb1EES10_IbLb0EEEEDaSW_SX_EUlSW_E_NS1_11comp_targetILNS1_3genE10ELNS1_11target_archE1201ELNS1_3gpuE5ELNS1_3repE0EEENS1_30default_config_static_selectorELNS0_4arch9wavefront6targetE1EEEvT1_,"axG",@progbits,_ZN7rocprim17ROCPRIM_400000_NS6detail17trampoline_kernelINS0_14default_configENS1_27scan_by_key_config_selectorIixEEZZNS1_16scan_by_key_implILNS1_25lookback_scan_determinismE0ELb0ES3_N6thrust23THRUST_200600_302600_NS6detail15normal_iteratorINS9_10device_ptrIiEEEENSB_INSC_IxEEEESG_xNS9_4plusIvEENS9_8equal_toIvEExEE10hipError_tPvRmT2_T3_T4_T5_mT6_T7_P12ihipStream_tbENKUlT_T0_E_clISt17integral_constantIbLb1EES10_IbLb0EEEEDaSW_SX_EUlSW_E_NS1_11comp_targetILNS1_3genE10ELNS1_11target_archE1201ELNS1_3gpuE5ELNS1_3repE0EEENS1_30default_config_static_selectorELNS0_4arch9wavefront6targetE1EEEvT1_,comdat
	.protected	_ZN7rocprim17ROCPRIM_400000_NS6detail17trampoline_kernelINS0_14default_configENS1_27scan_by_key_config_selectorIixEEZZNS1_16scan_by_key_implILNS1_25lookback_scan_determinismE0ELb0ES3_N6thrust23THRUST_200600_302600_NS6detail15normal_iteratorINS9_10device_ptrIiEEEENSB_INSC_IxEEEESG_xNS9_4plusIvEENS9_8equal_toIvEExEE10hipError_tPvRmT2_T3_T4_T5_mT6_T7_P12ihipStream_tbENKUlT_T0_E_clISt17integral_constantIbLb1EES10_IbLb0EEEEDaSW_SX_EUlSW_E_NS1_11comp_targetILNS1_3genE10ELNS1_11target_archE1201ELNS1_3gpuE5ELNS1_3repE0EEENS1_30default_config_static_selectorELNS0_4arch9wavefront6targetE1EEEvT1_ ; -- Begin function _ZN7rocprim17ROCPRIM_400000_NS6detail17trampoline_kernelINS0_14default_configENS1_27scan_by_key_config_selectorIixEEZZNS1_16scan_by_key_implILNS1_25lookback_scan_determinismE0ELb0ES3_N6thrust23THRUST_200600_302600_NS6detail15normal_iteratorINS9_10device_ptrIiEEEENSB_INSC_IxEEEESG_xNS9_4plusIvEENS9_8equal_toIvEExEE10hipError_tPvRmT2_T3_T4_T5_mT6_T7_P12ihipStream_tbENKUlT_T0_E_clISt17integral_constantIbLb1EES10_IbLb0EEEEDaSW_SX_EUlSW_E_NS1_11comp_targetILNS1_3genE10ELNS1_11target_archE1201ELNS1_3gpuE5ELNS1_3repE0EEENS1_30default_config_static_selectorELNS0_4arch9wavefront6targetE1EEEvT1_
	.globl	_ZN7rocprim17ROCPRIM_400000_NS6detail17trampoline_kernelINS0_14default_configENS1_27scan_by_key_config_selectorIixEEZZNS1_16scan_by_key_implILNS1_25lookback_scan_determinismE0ELb0ES3_N6thrust23THRUST_200600_302600_NS6detail15normal_iteratorINS9_10device_ptrIiEEEENSB_INSC_IxEEEESG_xNS9_4plusIvEENS9_8equal_toIvEExEE10hipError_tPvRmT2_T3_T4_T5_mT6_T7_P12ihipStream_tbENKUlT_T0_E_clISt17integral_constantIbLb1EES10_IbLb0EEEEDaSW_SX_EUlSW_E_NS1_11comp_targetILNS1_3genE10ELNS1_11target_archE1201ELNS1_3gpuE5ELNS1_3repE0EEENS1_30default_config_static_selectorELNS0_4arch9wavefront6targetE1EEEvT1_
	.p2align	8
	.type	_ZN7rocprim17ROCPRIM_400000_NS6detail17trampoline_kernelINS0_14default_configENS1_27scan_by_key_config_selectorIixEEZZNS1_16scan_by_key_implILNS1_25lookback_scan_determinismE0ELb0ES3_N6thrust23THRUST_200600_302600_NS6detail15normal_iteratorINS9_10device_ptrIiEEEENSB_INSC_IxEEEESG_xNS9_4plusIvEENS9_8equal_toIvEExEE10hipError_tPvRmT2_T3_T4_T5_mT6_T7_P12ihipStream_tbENKUlT_T0_E_clISt17integral_constantIbLb1EES10_IbLb0EEEEDaSW_SX_EUlSW_E_NS1_11comp_targetILNS1_3genE10ELNS1_11target_archE1201ELNS1_3gpuE5ELNS1_3repE0EEENS1_30default_config_static_selectorELNS0_4arch9wavefront6targetE1EEEvT1_,@function
_ZN7rocprim17ROCPRIM_400000_NS6detail17trampoline_kernelINS0_14default_configENS1_27scan_by_key_config_selectorIixEEZZNS1_16scan_by_key_implILNS1_25lookback_scan_determinismE0ELb0ES3_N6thrust23THRUST_200600_302600_NS6detail15normal_iteratorINS9_10device_ptrIiEEEENSB_INSC_IxEEEESG_xNS9_4plusIvEENS9_8equal_toIvEExEE10hipError_tPvRmT2_T3_T4_T5_mT6_T7_P12ihipStream_tbENKUlT_T0_E_clISt17integral_constantIbLb1EES10_IbLb0EEEEDaSW_SX_EUlSW_E_NS1_11comp_targetILNS1_3genE10ELNS1_11target_archE1201ELNS1_3gpuE5ELNS1_3repE0EEENS1_30default_config_static_selectorELNS0_4arch9wavefront6targetE1EEEvT1_: ; @_ZN7rocprim17ROCPRIM_400000_NS6detail17trampoline_kernelINS0_14default_configENS1_27scan_by_key_config_selectorIixEEZZNS1_16scan_by_key_implILNS1_25lookback_scan_determinismE0ELb0ES3_N6thrust23THRUST_200600_302600_NS6detail15normal_iteratorINS9_10device_ptrIiEEEENSB_INSC_IxEEEESG_xNS9_4plusIvEENS9_8equal_toIvEExEE10hipError_tPvRmT2_T3_T4_T5_mT6_T7_P12ihipStream_tbENKUlT_T0_E_clISt17integral_constantIbLb1EES10_IbLb0EEEEDaSW_SX_EUlSW_E_NS1_11comp_targetILNS1_3genE10ELNS1_11target_archE1201ELNS1_3gpuE5ELNS1_3repE0EEENS1_30default_config_static_selectorELNS0_4arch9wavefront6targetE1EEEvT1_
; %bb.0:
	.section	.rodata,"a",@progbits
	.p2align	6, 0x0
	.amdhsa_kernel _ZN7rocprim17ROCPRIM_400000_NS6detail17trampoline_kernelINS0_14default_configENS1_27scan_by_key_config_selectorIixEEZZNS1_16scan_by_key_implILNS1_25lookback_scan_determinismE0ELb0ES3_N6thrust23THRUST_200600_302600_NS6detail15normal_iteratorINS9_10device_ptrIiEEEENSB_INSC_IxEEEESG_xNS9_4plusIvEENS9_8equal_toIvEExEE10hipError_tPvRmT2_T3_T4_T5_mT6_T7_P12ihipStream_tbENKUlT_T0_E_clISt17integral_constantIbLb1EES10_IbLb0EEEEDaSW_SX_EUlSW_E_NS1_11comp_targetILNS1_3genE10ELNS1_11target_archE1201ELNS1_3gpuE5ELNS1_3repE0EEENS1_30default_config_static_selectorELNS0_4arch9wavefront6targetE1EEEvT1_
		.amdhsa_group_segment_fixed_size 0
		.amdhsa_private_segment_fixed_size 0
		.amdhsa_kernarg_size 136
		.amdhsa_user_sgpr_count 2
		.amdhsa_user_sgpr_dispatch_ptr 0
		.amdhsa_user_sgpr_queue_ptr 0
		.amdhsa_user_sgpr_kernarg_segment_ptr 1
		.amdhsa_user_sgpr_dispatch_id 0
		.amdhsa_user_sgpr_kernarg_preload_length 0
		.amdhsa_user_sgpr_kernarg_preload_offset 0
		.amdhsa_user_sgpr_private_segment_size 0
		.amdhsa_uses_dynamic_stack 0
		.amdhsa_enable_private_segment 0
		.amdhsa_system_sgpr_workgroup_id_x 1
		.amdhsa_system_sgpr_workgroup_id_y 0
		.amdhsa_system_sgpr_workgroup_id_z 0
		.amdhsa_system_sgpr_workgroup_info 0
		.amdhsa_system_vgpr_workitem_id 0
		.amdhsa_next_free_vgpr 1
		.amdhsa_next_free_sgpr 0
		.amdhsa_accum_offset 4
		.amdhsa_reserve_vcc 0
		.amdhsa_float_round_mode_32 0
		.amdhsa_float_round_mode_16_64 0
		.amdhsa_float_denorm_mode_32 3
		.amdhsa_float_denorm_mode_16_64 3
		.amdhsa_dx10_clamp 1
		.amdhsa_ieee_mode 1
		.amdhsa_fp16_overflow 0
		.amdhsa_tg_split 0
		.amdhsa_exception_fp_ieee_invalid_op 0
		.amdhsa_exception_fp_denorm_src 0
		.amdhsa_exception_fp_ieee_div_zero 0
		.amdhsa_exception_fp_ieee_overflow 0
		.amdhsa_exception_fp_ieee_underflow 0
		.amdhsa_exception_fp_ieee_inexact 0
		.amdhsa_exception_int_div_zero 0
	.end_amdhsa_kernel
	.section	.text._ZN7rocprim17ROCPRIM_400000_NS6detail17trampoline_kernelINS0_14default_configENS1_27scan_by_key_config_selectorIixEEZZNS1_16scan_by_key_implILNS1_25lookback_scan_determinismE0ELb0ES3_N6thrust23THRUST_200600_302600_NS6detail15normal_iteratorINS9_10device_ptrIiEEEENSB_INSC_IxEEEESG_xNS9_4plusIvEENS9_8equal_toIvEExEE10hipError_tPvRmT2_T3_T4_T5_mT6_T7_P12ihipStream_tbENKUlT_T0_E_clISt17integral_constantIbLb1EES10_IbLb0EEEEDaSW_SX_EUlSW_E_NS1_11comp_targetILNS1_3genE10ELNS1_11target_archE1201ELNS1_3gpuE5ELNS1_3repE0EEENS1_30default_config_static_selectorELNS0_4arch9wavefront6targetE1EEEvT1_,"axG",@progbits,_ZN7rocprim17ROCPRIM_400000_NS6detail17trampoline_kernelINS0_14default_configENS1_27scan_by_key_config_selectorIixEEZZNS1_16scan_by_key_implILNS1_25lookback_scan_determinismE0ELb0ES3_N6thrust23THRUST_200600_302600_NS6detail15normal_iteratorINS9_10device_ptrIiEEEENSB_INSC_IxEEEESG_xNS9_4plusIvEENS9_8equal_toIvEExEE10hipError_tPvRmT2_T3_T4_T5_mT6_T7_P12ihipStream_tbENKUlT_T0_E_clISt17integral_constantIbLb1EES10_IbLb0EEEEDaSW_SX_EUlSW_E_NS1_11comp_targetILNS1_3genE10ELNS1_11target_archE1201ELNS1_3gpuE5ELNS1_3repE0EEENS1_30default_config_static_selectorELNS0_4arch9wavefront6targetE1EEEvT1_,comdat
.Lfunc_end1332:
	.size	_ZN7rocprim17ROCPRIM_400000_NS6detail17trampoline_kernelINS0_14default_configENS1_27scan_by_key_config_selectorIixEEZZNS1_16scan_by_key_implILNS1_25lookback_scan_determinismE0ELb0ES3_N6thrust23THRUST_200600_302600_NS6detail15normal_iteratorINS9_10device_ptrIiEEEENSB_INSC_IxEEEESG_xNS9_4plusIvEENS9_8equal_toIvEExEE10hipError_tPvRmT2_T3_T4_T5_mT6_T7_P12ihipStream_tbENKUlT_T0_E_clISt17integral_constantIbLb1EES10_IbLb0EEEEDaSW_SX_EUlSW_E_NS1_11comp_targetILNS1_3genE10ELNS1_11target_archE1201ELNS1_3gpuE5ELNS1_3repE0EEENS1_30default_config_static_selectorELNS0_4arch9wavefront6targetE1EEEvT1_, .Lfunc_end1332-_ZN7rocprim17ROCPRIM_400000_NS6detail17trampoline_kernelINS0_14default_configENS1_27scan_by_key_config_selectorIixEEZZNS1_16scan_by_key_implILNS1_25lookback_scan_determinismE0ELb0ES3_N6thrust23THRUST_200600_302600_NS6detail15normal_iteratorINS9_10device_ptrIiEEEENSB_INSC_IxEEEESG_xNS9_4plusIvEENS9_8equal_toIvEExEE10hipError_tPvRmT2_T3_T4_T5_mT6_T7_P12ihipStream_tbENKUlT_T0_E_clISt17integral_constantIbLb1EES10_IbLb0EEEEDaSW_SX_EUlSW_E_NS1_11comp_targetILNS1_3genE10ELNS1_11target_archE1201ELNS1_3gpuE5ELNS1_3repE0EEENS1_30default_config_static_selectorELNS0_4arch9wavefront6targetE1EEEvT1_
                                        ; -- End function
	.section	.AMDGPU.csdata,"",@progbits
; Kernel info:
; codeLenInByte = 0
; NumSgprs: 6
; NumVgprs: 0
; NumAgprs: 0
; TotalNumVgprs: 0
; ScratchSize: 0
; MemoryBound: 0
; FloatMode: 240
; IeeeMode: 1
; LDSByteSize: 0 bytes/workgroup (compile time only)
; SGPRBlocks: 0
; VGPRBlocks: 0
; NumSGPRsForWavesPerEU: 6
; NumVGPRsForWavesPerEU: 1
; AccumOffset: 4
; Occupancy: 8
; WaveLimiterHint : 0
; COMPUTE_PGM_RSRC2:SCRATCH_EN: 0
; COMPUTE_PGM_RSRC2:USER_SGPR: 2
; COMPUTE_PGM_RSRC2:TRAP_HANDLER: 0
; COMPUTE_PGM_RSRC2:TGID_X_EN: 1
; COMPUTE_PGM_RSRC2:TGID_Y_EN: 0
; COMPUTE_PGM_RSRC2:TGID_Z_EN: 0
; COMPUTE_PGM_RSRC2:TIDIG_COMP_CNT: 0
; COMPUTE_PGM_RSRC3_GFX90A:ACCUM_OFFSET: 0
; COMPUTE_PGM_RSRC3_GFX90A:TG_SPLIT: 0
	.section	.text._ZN7rocprim17ROCPRIM_400000_NS6detail17trampoline_kernelINS0_14default_configENS1_27scan_by_key_config_selectorIixEEZZNS1_16scan_by_key_implILNS1_25lookback_scan_determinismE0ELb0ES3_N6thrust23THRUST_200600_302600_NS6detail15normal_iteratorINS9_10device_ptrIiEEEENSB_INSC_IxEEEESG_xNS9_4plusIvEENS9_8equal_toIvEExEE10hipError_tPvRmT2_T3_T4_T5_mT6_T7_P12ihipStream_tbENKUlT_T0_E_clISt17integral_constantIbLb1EES10_IbLb0EEEEDaSW_SX_EUlSW_E_NS1_11comp_targetILNS1_3genE5ELNS1_11target_archE942ELNS1_3gpuE9ELNS1_3repE0EEENS1_30default_config_static_selectorELNS0_4arch9wavefront6targetE1EEEvT1_,"axG",@progbits,_ZN7rocprim17ROCPRIM_400000_NS6detail17trampoline_kernelINS0_14default_configENS1_27scan_by_key_config_selectorIixEEZZNS1_16scan_by_key_implILNS1_25lookback_scan_determinismE0ELb0ES3_N6thrust23THRUST_200600_302600_NS6detail15normal_iteratorINS9_10device_ptrIiEEEENSB_INSC_IxEEEESG_xNS9_4plusIvEENS9_8equal_toIvEExEE10hipError_tPvRmT2_T3_T4_T5_mT6_T7_P12ihipStream_tbENKUlT_T0_E_clISt17integral_constantIbLb1EES10_IbLb0EEEEDaSW_SX_EUlSW_E_NS1_11comp_targetILNS1_3genE5ELNS1_11target_archE942ELNS1_3gpuE9ELNS1_3repE0EEENS1_30default_config_static_selectorELNS0_4arch9wavefront6targetE1EEEvT1_,comdat
	.protected	_ZN7rocprim17ROCPRIM_400000_NS6detail17trampoline_kernelINS0_14default_configENS1_27scan_by_key_config_selectorIixEEZZNS1_16scan_by_key_implILNS1_25lookback_scan_determinismE0ELb0ES3_N6thrust23THRUST_200600_302600_NS6detail15normal_iteratorINS9_10device_ptrIiEEEENSB_INSC_IxEEEESG_xNS9_4plusIvEENS9_8equal_toIvEExEE10hipError_tPvRmT2_T3_T4_T5_mT6_T7_P12ihipStream_tbENKUlT_T0_E_clISt17integral_constantIbLb1EES10_IbLb0EEEEDaSW_SX_EUlSW_E_NS1_11comp_targetILNS1_3genE5ELNS1_11target_archE942ELNS1_3gpuE9ELNS1_3repE0EEENS1_30default_config_static_selectorELNS0_4arch9wavefront6targetE1EEEvT1_ ; -- Begin function _ZN7rocprim17ROCPRIM_400000_NS6detail17trampoline_kernelINS0_14default_configENS1_27scan_by_key_config_selectorIixEEZZNS1_16scan_by_key_implILNS1_25lookback_scan_determinismE0ELb0ES3_N6thrust23THRUST_200600_302600_NS6detail15normal_iteratorINS9_10device_ptrIiEEEENSB_INSC_IxEEEESG_xNS9_4plusIvEENS9_8equal_toIvEExEE10hipError_tPvRmT2_T3_T4_T5_mT6_T7_P12ihipStream_tbENKUlT_T0_E_clISt17integral_constantIbLb1EES10_IbLb0EEEEDaSW_SX_EUlSW_E_NS1_11comp_targetILNS1_3genE5ELNS1_11target_archE942ELNS1_3gpuE9ELNS1_3repE0EEENS1_30default_config_static_selectorELNS0_4arch9wavefront6targetE1EEEvT1_
	.globl	_ZN7rocprim17ROCPRIM_400000_NS6detail17trampoline_kernelINS0_14default_configENS1_27scan_by_key_config_selectorIixEEZZNS1_16scan_by_key_implILNS1_25lookback_scan_determinismE0ELb0ES3_N6thrust23THRUST_200600_302600_NS6detail15normal_iteratorINS9_10device_ptrIiEEEENSB_INSC_IxEEEESG_xNS9_4plusIvEENS9_8equal_toIvEExEE10hipError_tPvRmT2_T3_T4_T5_mT6_T7_P12ihipStream_tbENKUlT_T0_E_clISt17integral_constantIbLb1EES10_IbLb0EEEEDaSW_SX_EUlSW_E_NS1_11comp_targetILNS1_3genE5ELNS1_11target_archE942ELNS1_3gpuE9ELNS1_3repE0EEENS1_30default_config_static_selectorELNS0_4arch9wavefront6targetE1EEEvT1_
	.p2align	8
	.type	_ZN7rocprim17ROCPRIM_400000_NS6detail17trampoline_kernelINS0_14default_configENS1_27scan_by_key_config_selectorIixEEZZNS1_16scan_by_key_implILNS1_25lookback_scan_determinismE0ELb0ES3_N6thrust23THRUST_200600_302600_NS6detail15normal_iteratorINS9_10device_ptrIiEEEENSB_INSC_IxEEEESG_xNS9_4plusIvEENS9_8equal_toIvEExEE10hipError_tPvRmT2_T3_T4_T5_mT6_T7_P12ihipStream_tbENKUlT_T0_E_clISt17integral_constantIbLb1EES10_IbLb0EEEEDaSW_SX_EUlSW_E_NS1_11comp_targetILNS1_3genE5ELNS1_11target_archE942ELNS1_3gpuE9ELNS1_3repE0EEENS1_30default_config_static_selectorELNS0_4arch9wavefront6targetE1EEEvT1_,@function
_ZN7rocprim17ROCPRIM_400000_NS6detail17trampoline_kernelINS0_14default_configENS1_27scan_by_key_config_selectorIixEEZZNS1_16scan_by_key_implILNS1_25lookback_scan_determinismE0ELb0ES3_N6thrust23THRUST_200600_302600_NS6detail15normal_iteratorINS9_10device_ptrIiEEEENSB_INSC_IxEEEESG_xNS9_4plusIvEENS9_8equal_toIvEExEE10hipError_tPvRmT2_T3_T4_T5_mT6_T7_P12ihipStream_tbENKUlT_T0_E_clISt17integral_constantIbLb1EES10_IbLb0EEEEDaSW_SX_EUlSW_E_NS1_11comp_targetILNS1_3genE5ELNS1_11target_archE942ELNS1_3gpuE9ELNS1_3repE0EEENS1_30default_config_static_selectorELNS0_4arch9wavefront6targetE1EEEvT1_: ; @_ZN7rocprim17ROCPRIM_400000_NS6detail17trampoline_kernelINS0_14default_configENS1_27scan_by_key_config_selectorIixEEZZNS1_16scan_by_key_implILNS1_25lookback_scan_determinismE0ELb0ES3_N6thrust23THRUST_200600_302600_NS6detail15normal_iteratorINS9_10device_ptrIiEEEENSB_INSC_IxEEEESG_xNS9_4plusIvEENS9_8equal_toIvEExEE10hipError_tPvRmT2_T3_T4_T5_mT6_T7_P12ihipStream_tbENKUlT_T0_E_clISt17integral_constantIbLb1EES10_IbLb0EEEEDaSW_SX_EUlSW_E_NS1_11comp_targetILNS1_3genE5ELNS1_11target_archE942ELNS1_3gpuE9ELNS1_3repE0EEENS1_30default_config_static_selectorELNS0_4arch9wavefront6targetE1EEEvT1_
; %bb.0:
	s_load_dwordx8 s[92:99], s[0:1], 0x0
	s_load_dwordx8 s[84:91], s[0:1], 0x30
	s_load_dwordx2 s[4:5], s[0:1], 0x50
	s_load_dword s3, s[0:1], 0x58
	s_load_dwordx8 s[16:23], s[0:1], 0x60
	s_waitcnt lgkmcnt(0)
	s_lshl_b64 s[0:1], s[94:95], 2
	s_add_u32 s8, s92, s0
	s_addc_u32 s9, s93, s1
	s_lshl_b64 s[92:93], s[94:95], 3
	s_add_u32 s10, s96, s92
	s_addc_u32 s11, s97, s93
	s_mov_b64 s[96:97], s[4:5]
	s_mul_i32 s0, s97, s3
	s_mul_hi_u32 s1, s96, s3
	s_add_i32 s12, s1, s0
	s_cmp_lg_u64 s[20:21], 0
	s_mul_i32 s0, s2, 0x1500
	s_mov_b32 s1, 0
	s_cselect_b64 s[52:53], -1, 0
	s_lshl_b64 s[4:5], s[0:1], 2
	s_add_u32 s50, s8, s4
	s_addc_u32 s51, s9, s5
	s_lshl_b64 s[94:95], s[0:1], 3
	s_add_u32 s48, s10, s94
	s_mul_i32 s3, s96, s3
	s_addc_u32 s49, s11, s95
	s_add_u32 s54, s3, s2
	s_addc_u32 s55, s12, 0
	s_mov_b64 s[14:15], s[18:19]
	s_mov_b64 s[18:19], s[22:23]
                                        ; implicit-def: $vgpr131 : SGPR spill to VGPR lane
	s_add_u32 s4, s16, -1
	v_writelane_b32 v131, s12, 0
	s_addc_u32 s5, s17, -1
	v_mov_b64_e32 v[2:3], s[4:5]
	v_writelane_b32 v131, s13, 1
	v_writelane_b32 v131, s14, 2
	;; [unrolled: 1-line block ×5, first 2 shown]
	v_cmp_ge_u64_e64 s[0:1], s[54:55], v[2:3]
	s_mov_b64 s[6:7], 0
	s_mov_b64 s[10:11], -1
	v_writelane_b32 v131, s18, 6
	s_and_b64 vcc, exec, s[0:1]
	s_mul_i32 s33, s4, 0xffffeb00
	s_barrier
	v_writelane_b32 v131, s19, 7
	s_cbranch_vccz .LBB1333_112
; %bb.1:
	v_mov_b64_e32 v[2:3], s[50:51]
	flat_load_dword v2, v[2:3]
	s_add_i32 s64, s33, s90
	v_cmp_gt_u32_e64 s[46:47], s64, v0
	s_waitcnt vmcnt(0) lgkmcnt(0)
	v_mov_b32_e32 v4, v2
	s_and_saveexec_b64 s[4:5], s[46:47]
	s_cbranch_execz .LBB1333_3
; %bb.2:
	v_lshlrev_b32_e32 v4, 2, v0
	v_mov_b32_e32 v5, 0
	v_lshl_add_u64 v[4:5], s[50:51], 0, v[4:5]
	flat_load_dword v4, v[4:5]
.LBB1333_3:
	s_or_b64 exec, exec, s[4:5]
	v_or_b32_e32 v1, 0x100, v0
	v_cmp_gt_u32_e64 s[4:5], s64, v1
	v_mov_b32_e32 v5, v2
	s_and_saveexec_b64 s[6:7], s[4:5]
	s_cbranch_execz .LBB1333_5
; %bb.4:
	v_lshlrev_b32_e32 v6, 2, v0
	v_mov_b32_e32 v7, 0
	v_lshl_add_u64 v[6:7], s[50:51], 0, v[6:7]
	flat_load_dword v5, v[6:7] offset:1024
.LBB1333_5:
	s_or_b64 exec, exec, s[6:7]
	v_or_b32_e32 v1, 0x200, v0
	v_cmp_gt_u32_e64 s[6:7], s64, v1
	v_mov_b32_e32 v6, v2
	s_and_saveexec_b64 s[8:9], s[6:7]
	s_cbranch_execz .LBB1333_7
; %bb.6:
	v_lshlrev_b32_e32 v6, 2, v0
	v_mov_b32_e32 v7, 0
	v_lshl_add_u64 v[6:7], s[50:51], 0, v[6:7]
	flat_load_dword v6, v[6:7] offset:2048
.LBB1333_7:
	;; [unrolled: 12-line block ×3, first 2 shown]
	s_or_b64 exec, exec, s[10:11]
	v_or_b32_e32 v18, 0x400, v0
	v_cmp_gt_u32_e64 s[10:11], s64, v18
	v_mov_b32_e32 v8, v2
	s_and_saveexec_b64 s[12:13], s[10:11]
	s_cbranch_execz .LBB1333_11
; %bb.10:
	v_lshlrev_b32_e32 v8, 2, v18
	v_mov_b32_e32 v9, 0
	v_lshl_add_u64 v[8:9], s[50:51], 0, v[8:9]
	flat_load_dword v8, v[8:9]
.LBB1333_11:
	s_or_b64 exec, exec, s[12:13]
	v_or_b32_e32 v22, 0x500, v0
	v_cmp_gt_u32_e64 s[12:13], s64, v22
	v_mov_b32_e32 v9, v2
	s_and_saveexec_b64 s[14:15], s[12:13]
	s_cbranch_execz .LBB1333_13
; %bb.12:
	v_lshlrev_b32_e32 v10, 2, v22
	v_mov_b32_e32 v11, 0
	v_lshl_add_u64 v[10:11], s[50:51], 0, v[10:11]
	flat_load_dword v9, v[10:11]
.LBB1333_13:
	;; [unrolled: 12-line block ×16, first 2 shown]
	s_or_b64 exec, exec, s[44:45]
	v_or_b32_e32 v65, 0x1400, v0
	v_cmp_gt_u32_e64 s[44:45], s64, v65
	v_mov_b32_e32 v3, 0
	s_and_saveexec_b64 s[56:57], s[44:45]
	s_cbranch_execz .LBB1333_43
; %bb.42:
	v_lshlrev_b32_e32 v2, 2, v65
	v_lshl_add_u64 v[2:3], s[50:51], 0, v[2:3]
	flat_load_dword v2, v[2:3]
.LBB1333_43:
	s_or_b64 exec, exec, s[56:57]
	v_lshlrev_b32_e32 v3, 2, v0
	s_movk_i32 s3, 0x50
	s_waitcnt vmcnt(0) lgkmcnt(0)
	ds_write2st64_b32 v3, v4, v5 offset1:4
	ds_write2st64_b32 v3, v6, v7 offset0:8 offset1:12
	ds_write2st64_b32 v3, v8, v9 offset0:16 offset1:20
	;; [unrolled: 1-line block ×9, first 2 shown]
	ds_write_b32 v3, v2 offset:20480
	v_mad_u32_u24 v2, v0, s3, v3
	s_waitcnt lgkmcnt(0)
	s_barrier
	ds_read2_b32 v[40:41], v2 offset0:7 offset1:8
	ds_read2_b32 v[44:45], v2 offset0:5 offset1:6
	;; [unrolled: 1-line block ×3, first 2 shown]
	ds_read2_b32 v[36:37], v2 offset1:1
	ds_read2_b32 v[32:33], v2 offset0:4 offset1:9
	ds_read2_b32 v[8:9], v2 offset0:15 offset1:16
	ds_read_b32 v64, v2 offset:56
	ds_read2_b32 v[20:21], v2 offset0:12 offset1:13
	ds_read2_b32 v[24:25], v2 offset0:10 offset1:11
	;; [unrolled: 1-line block ×4, first 2 shown]
	s_cmp_eq_u64 s[54:55], 0
	s_mov_b64 s[56:57], s[50:51]
	s_cbranch_scc1 .LBB1333_47
; %bb.44:
	s_andn2_b64 vcc, exec, s[52:53]
	s_cbranch_vccnz .LBB1333_291
; %bb.45:
	v_readlane_b32 s68, v131, 0
	v_readlane_b32 s74, v131, 6
	;; [unrolled: 1-line block ×3, first 2 shown]
	s_lshl_b64 s[56:57], s[54:55], 2
	s_mov_b64 s[62:63], s[74:75]
	s_add_u32 s3, s62, s56
	s_addc_u32 s57, s63, s57
	s_add_u32 s56, s3, -4
	s_addc_u32 s57, s57, -1
	v_readlane_b32 s69, v131, 1
	v_readlane_b32 s70, v131, 2
	v_readlane_b32 s71, v131, 3
	v_readlane_b32 s72, v131, 4
	v_readlane_b32 s73, v131, 5
	s_cbranch_execnz .LBB1333_47
.LBB1333_46:
	s_add_u32 s56, s50, -4
	s_addc_u32 s57, s51, -1
.LBB1333_47:
	v_mov_b64_e32 v[6:7], s[56:57]
	flat_load_dword v68, v[6:7]
	s_movk_i32 s3, 0xffb0
	v_mad_i32_i24 v66, v0, s3, v2
	v_cmp_ne_u32_e32 vcc, 0, v0
	s_waitcnt lgkmcnt(0)
	ds_write_b32 v66, v5 offset:21504
	s_waitcnt lgkmcnt(0)
	s_barrier
	s_and_saveexec_b64 s[56:57], vcc
	s_cbranch_execz .LBB1333_49
; %bb.48:
	s_waitcnt vmcnt(0)
	ds_read_b32 v68, v66 offset:21500
.LBB1333_49:
	s_or_b64 exec, exec, s[56:57]
	v_mov_b32_e32 v7, 0
	s_waitcnt lgkmcnt(0)
	s_barrier
	s_waitcnt lgkmcnt(0)
                                        ; implicit-def: $vgpr2_vgpr3
	s_and_saveexec_b64 s[56:57], s[46:47]
	s_cbranch_execnz .LBB1333_271
; %bb.50:
	s_or_b64 exec, exec, s[56:57]
                                        ; implicit-def: $vgpr6_vgpr7
	s_and_saveexec_b64 s[46:47], s[4:5]
	s_cbranch_execnz .LBB1333_272
.LBB1333_51:
	s_or_b64 exec, exec, s[46:47]
                                        ; implicit-def: $vgpr10_vgpr11
	s_and_saveexec_b64 s[4:5], s[6:7]
	s_cbranch_execnz .LBB1333_273
.LBB1333_52:
	s_or_b64 exec, exec, s[4:5]
                                        ; implicit-def: $vgpr14_vgpr15
	s_and_saveexec_b64 s[4:5], s[8:9]
	s_cbranch_execnz .LBB1333_274
.LBB1333_53:
	s_or_b64 exec, exec, s[4:5]
                                        ; implicit-def: $vgpr16_vgpr17
	s_and_saveexec_b64 s[4:5], s[10:11]
	s_cbranch_execnz .LBB1333_275
.LBB1333_54:
	s_or_b64 exec, exec, s[4:5]
                                        ; implicit-def: $vgpr18_vgpr19
	s_and_saveexec_b64 s[4:5], s[12:13]
	s_cbranch_execnz .LBB1333_276
.LBB1333_55:
	s_or_b64 exec, exec, s[4:5]
                                        ; implicit-def: $vgpr22_vgpr23
	s_and_saveexec_b64 s[4:5], s[14:15]
	s_cbranch_execnz .LBB1333_277
.LBB1333_56:
	s_or_b64 exec, exec, s[4:5]
                                        ; implicit-def: $vgpr26_vgpr27
	s_and_saveexec_b64 s[4:5], s[16:17]
	s_cbranch_execnz .LBB1333_278
.LBB1333_57:
	s_or_b64 exec, exec, s[4:5]
                                        ; implicit-def: $vgpr30_vgpr31
	s_and_saveexec_b64 s[4:5], s[18:19]
	s_cbranch_execnz .LBB1333_279
.LBB1333_58:
	s_or_b64 exec, exec, s[4:5]
                                        ; implicit-def: $vgpr34_vgpr35
	s_and_saveexec_b64 s[4:5], s[20:21]
	s_cbranch_execnz .LBB1333_280
.LBB1333_59:
	s_or_b64 exec, exec, s[4:5]
                                        ; implicit-def: $vgpr38_vgpr39
	s_and_saveexec_b64 s[4:5], s[22:23]
	s_cbranch_execnz .LBB1333_281
.LBB1333_60:
	s_or_b64 exec, exec, s[4:5]
                                        ; implicit-def: $vgpr42_vgpr43
	s_and_saveexec_b64 s[4:5], s[24:25]
	s_cbranch_execnz .LBB1333_282
.LBB1333_61:
	s_or_b64 exec, exec, s[4:5]
                                        ; implicit-def: $vgpr46_vgpr47
	s_and_saveexec_b64 s[4:5], s[26:27]
	s_cbranch_execnz .LBB1333_283
.LBB1333_62:
	s_or_b64 exec, exec, s[4:5]
                                        ; implicit-def: $vgpr48_vgpr49
	s_and_saveexec_b64 s[4:5], s[28:29]
	s_cbranch_execnz .LBB1333_284
.LBB1333_63:
	s_or_b64 exec, exec, s[4:5]
                                        ; implicit-def: $vgpr50_vgpr51
	s_and_saveexec_b64 s[4:5], s[30:31]
	s_cbranch_execnz .LBB1333_285
.LBB1333_64:
	s_or_b64 exec, exec, s[4:5]
                                        ; implicit-def: $vgpr52_vgpr53
	s_and_saveexec_b64 s[4:5], s[34:35]
	s_cbranch_execnz .LBB1333_286
.LBB1333_65:
	s_or_b64 exec, exec, s[4:5]
                                        ; implicit-def: $vgpr54_vgpr55
	s_and_saveexec_b64 s[4:5], s[36:37]
	s_cbranch_execnz .LBB1333_287
.LBB1333_66:
	s_or_b64 exec, exec, s[4:5]
                                        ; implicit-def: $vgpr56_vgpr57
	s_and_saveexec_b64 s[4:5], s[38:39]
	s_cbranch_execnz .LBB1333_288
.LBB1333_67:
	s_or_b64 exec, exec, s[4:5]
                                        ; implicit-def: $vgpr58_vgpr59
	s_and_saveexec_b64 s[4:5], s[40:41]
	s_cbranch_execnz .LBB1333_289
.LBB1333_68:
	s_or_b64 exec, exec, s[4:5]
                                        ; implicit-def: $vgpr60_vgpr61
	s_and_saveexec_b64 s[4:5], s[42:43]
	s_cbranch_execnz .LBB1333_290
.LBB1333_69:
	s_or_b64 exec, exec, s[4:5]
                                        ; implicit-def: $vgpr62_vgpr63
	s_and_saveexec_b64 s[4:5], s[44:45]
	s_cbranch_execz .LBB1333_71
.LBB1333_70:
	v_lshlrev_b32_e32 v62, 3, v65
	v_mov_b32_e32 v63, 0
	v_lshl_add_u64 v[62:63], s[48:49], 0, v[62:63]
	flat_load_dwordx2 v[62:63], v[62:63]
.LBB1333_71:
	s_or_b64 exec, exec, s[4:5]
	v_lshl_add_u32 v69, v0, 2, v66
	v_mul_u32_u24_e32 v65, 21, v0
	s_waitcnt vmcnt(0) lgkmcnt(0)
	ds_write2st64_b64 v69, v[2:3], v[6:7] offset1:4
	ds_write2st64_b64 v69, v[10:11], v[14:15] offset0:8 offset1:12
	ds_write2st64_b64 v69, v[16:17], v[18:19] offset0:16 offset1:20
	;; [unrolled: 1-line block ×9, first 2 shown]
	ds_write_b64 v69, v[62:63] offset:40960
	v_mov_b64_e32 v[10:11], 0
	v_cmp_gt_u32_e32 vcc, s64, v65
	s_mov_b64 s[6:7], 0
	s_mov_b64 s[10:11], 0
	s_mov_b32 s3, 0
	v_mov_b32_e32 v128, 0
	v_mov_b32_e32 v122, 0
	;; [unrolled: 1-line block ×5, first 2 shown]
	v_mov_b64_e32 v[70:71], v[10:11]
	v_mov_b64_e32 v[78:79], v[10:11]
	;; [unrolled: 1-line block ×8, first 2 shown]
	v_mov_b32_e32 v124, 0
	v_mov_b64_e32 v[38:39], v[10:11]
	v_mov_b64_e32 v[50:51], v[10:11]
	;; [unrolled: 1-line block ×5, first 2 shown]
	v_mov_b32_e32 v123, 0
	v_mov_b64_e32 v[34:35], v[10:11]
	v_mov_b64_e32 v[18:19], v[10:11]
	;; [unrolled: 1-line block ×5, first 2 shown]
	v_mov_b32_e32 v1, 0
	v_mov_b64_e32 v[2:3], v[10:11]
	s_waitcnt lgkmcnt(0)
	s_barrier
	s_waitcnt lgkmcnt(0)
                                        ; implicit-def: $sgpr4_sgpr5
                                        ; implicit-def: $vgpr83
                                        ; implicit-def: $vgpr82
                                        ; implicit-def: $vgpr84
                                        ; implicit-def: $vgpr85
	s_and_saveexec_b64 s[12:13], vcc
	s_cbranch_execz .LBB1333_111
; %bb.72:
	s_movk_i32 s4, 0xa0
	v_mad_u32_u24 v2, v0, s4, v69
	ds_read_b64 v[2:3], v2
	v_cmp_ne_u32_e32 vcc, v68, v36
	v_add_u32_e32 v6, 1, v65
	v_mov_b64_e32 v[10:11], 0
	v_cndmask_b32_e64 v1, 0, 1, vcc
	v_cmp_gt_u32_e32 vcc, s64, v6
	s_mov_b64 s[18:19], 0
	v_mov_b32_e32 v128, 0
	v_mov_b32_e32 v122, 0
	;; [unrolled: 1-line block ×5, first 2 shown]
	v_mov_b64_e32 v[70:71], v[10:11]
	v_mov_b64_e32 v[78:79], v[10:11]
	;; [unrolled: 1-line block ×8, first 2 shown]
	v_mov_b32_e32 v124, 0
	v_mov_b64_e32 v[38:39], v[10:11]
	v_mov_b64_e32 v[50:51], v[10:11]
	;; [unrolled: 1-line block ×5, first 2 shown]
	v_mov_b32_e32 v123, 0
	v_mov_b64_e32 v[34:35], v[10:11]
	v_mov_b64_e32 v[18:19], v[10:11]
	;; [unrolled: 1-line block ×5, first 2 shown]
                                        ; implicit-def: $sgpr4_sgpr5
                                        ; implicit-def: $vgpr83
                                        ; implicit-def: $vgpr82
                                        ; implicit-def: $vgpr84
                                        ; implicit-def: $vgpr85
	s_and_saveexec_b64 s[14:15], vcc
	s_cbranch_execz .LBB1333_110
; %bb.73:
	v_mul_u32_u24_e32 v6, 0xa0, v0
	v_add_u32_e32 v48, v69, v6
	ds_read2_b64 v[14:17], v48 offset0:1 offset1:2
	v_cmp_ne_u32_e64 s[8:9], v36, v37
	v_add_u32_e32 v6, 2, v65
	v_mov_b64_e32 v[10:11], 0
	v_cmp_ne_u32_e32 vcc, v28, v29
	v_cmp_ne_u32_e64 s[6:7], v29, v32
	v_cmp_ne_u32_e64 s[4:5], v37, v28
	v_cndmask_b32_e64 v128, 0, 1, s[8:9]
	v_cmp_gt_u32_e64 s[8:9], s64, v6
	s_mov_b64 s[20:21], 0
	v_mov_b32_e32 v127, 0
	v_mov_b32_e32 v122, 0
	;; [unrolled: 1-line block ×4, first 2 shown]
	v_mov_b64_e32 v[70:71], v[10:11]
	v_mov_b64_e32 v[78:79], v[10:11]
	;; [unrolled: 1-line block ×8, first 2 shown]
	v_mov_b32_e32 v124, 0
	v_mov_b64_e32 v[38:39], v[10:11]
	v_mov_b64_e32 v[50:51], v[10:11]
	;; [unrolled: 1-line block ×5, first 2 shown]
	v_mov_b32_e32 v123, 0
	v_mov_b64_e32 v[34:35], v[10:11]
	v_mov_b64_e32 v[18:19], v[10:11]
	;; [unrolled: 1-line block ×4, first 2 shown]
                                        ; implicit-def: $sgpr22_sgpr23
                                        ; implicit-def: $vgpr83
                                        ; implicit-def: $vgpr82
                                        ; implicit-def: $vgpr84
                                        ; implicit-def: $vgpr85
	s_and_saveexec_b64 s[16:17], s[8:9]
	s_cbranch_execz .LBB1333_109
; %bb.74:
	v_cndmask_b32_e64 v6, 0, 1, s[4:5]
	v_cndmask_b32_e64 v7, 0, 1, s[6:7]
	v_lshlrev_b16_e32 v6, 8, v6
	v_lshlrev_b16_e32 v7, 8, v7
	v_cndmask_b32_e64 v10, 0, 1, vcc
	v_or_b32_e32 v6, v128, v6
	v_or_b32_sdwa v7, v10, v7 dst_sel:WORD_1 dst_unused:UNUSED_PAD src0_sel:DWORD src1_sel:DWORD
	v_add_u32_e32 v10, 3, v65
	v_or_b32_sdwa v83, v6, v7 dst_sel:DWORD dst_unused:UNUSED_PAD src0_sel:WORD_0 src1_sel:DWORD
	v_cmp_gt_u32_e32 vcc, s64, v10
	v_mov_b64_e32 v[10:11], 0
	v_and_b32_e32 v128, 0xffff, v83
	s_waitcnt lgkmcnt(0)
	v_mov_b32_e32 v6, v16
	v_mov_b32_e32 v7, v17
	s_mov_b64 s[4:5], 0
	v_mov_b32_e32 v127, 0
	v_mov_b32_e32 v122, 0
	;; [unrolled: 1-line block ×4, first 2 shown]
	v_mov_b64_e32 v[70:71], v[10:11]
	v_mov_b64_e32 v[78:79], v[10:11]
	;; [unrolled: 1-line block ×8, first 2 shown]
	v_mov_b32_e32 v124, 0
	v_mov_b64_e32 v[38:39], v[10:11]
	v_mov_b64_e32 v[50:51], v[10:11]
	;; [unrolled: 1-line block ×5, first 2 shown]
	v_mov_b32_e32 v123, 0
	v_mov_b64_e32 v[34:35], v[10:11]
	v_mov_b64_e32 v[18:19], v[10:11]
	;; [unrolled: 1-line block ×3, first 2 shown]
                                        ; implicit-def: $sgpr6_sgpr7
                                        ; implicit-def: $vgpr82
                                        ; implicit-def: $vgpr84
                                        ; implicit-def: $vgpr85
	s_and_saveexec_b64 s[18:19], vcc
	s_cbranch_execz .LBB1333_108
; %bb.75:
	ds_read2_b64 v[26:29], v48 offset0:3 offset1:4
	v_add_u32_e32 v10, 4, v65
	v_cmp_gt_u32_e32 vcc, s64, v10
	v_mov_b64_e32 v[10:11], 0
	v_and_b32_e32 v128, 0xffffff, v83
	s_mov_b64 s[6:7], 0
	v_mov_b32_e32 v127, 0
	v_mov_b32_e32 v122, 0
	;; [unrolled: 1-line block ×4, first 2 shown]
	v_mov_b64_e32 v[70:71], v[10:11]
	v_mov_b64_e32 v[78:79], v[10:11]
	;; [unrolled: 1-line block ×8, first 2 shown]
	v_mov_b32_e32 v124, 0
	v_mov_b64_e32 v[38:39], v[10:11]
	v_mov_b64_e32 v[50:51], v[10:11]
	;; [unrolled: 1-line block ×5, first 2 shown]
	v_mov_b32_e32 v123, 0
	v_mov_b64_e32 v[34:35], v[10:11]
	v_mov_b64_e32 v[18:19], v[10:11]
                                        ; implicit-def: $sgpr8_sgpr9
                                        ; implicit-def: $vgpr82
                                        ; implicit-def: $vgpr84
                                        ; implicit-def: $vgpr85
	s_and_saveexec_b64 s[20:21], vcc
	s_cbranch_execz .LBB1333_107
; %bb.76:
	v_add_u32_e32 v10, 5, v65
	v_cmp_gt_u32_e32 vcc, s64, v10
	v_mov_b64_e32 v[10:11], 0
	s_waitcnt lgkmcnt(0)
	v_mov_b32_e32 v18, v28
	v_mov_b32_e32 v19, v29
	;; [unrolled: 1-line block ×6, first 2 shown]
	v_mov_b64_e32 v[70:71], v[10:11]
	v_mov_b64_e32 v[78:79], v[10:11]
	;; [unrolled: 1-line block ×8, first 2 shown]
	v_mov_b32_e32 v124, 0
	v_mov_b64_e32 v[38:39], v[10:11]
	v_mov_b64_e32 v[50:51], v[10:11]
	;; [unrolled: 1-line block ×5, first 2 shown]
	v_mov_b32_e32 v123, 0
	v_mov_b64_e32 v[34:35], v[10:11]
                                        ; implicit-def: $sgpr8_sgpr9
                                        ; implicit-def: $vgpr82
                                        ; implicit-def: $vgpr84
                                        ; implicit-def: $vgpr85
	s_and_saveexec_b64 s[22:23], vcc
	s_cbranch_execz .LBB1333_106
; %bb.77:
	ds_read2_b64 v[34:37], v48 offset0:5 offset1:6
	v_cmp_ne_u32_e32 vcc, v32, v44
	v_add_u32_e32 v10, 6, v65
	s_mov_b64 s[28:29], 0
	v_cndmask_b32_e64 v123, 0, 1, vcc
	v_cmp_gt_u32_e32 vcc, s64, v10
	v_mov_b64_e32 v[10:11], 0
	v_mov_b32_e32 v127, 0
	v_mov_b32_e32 v122, 0
	;; [unrolled: 1-line block ×4, first 2 shown]
	v_mov_b64_e32 v[70:71], v[10:11]
	v_mov_b64_e32 v[78:79], v[10:11]
	v_mov_b64_e32 v[62:63], v[10:11]
	v_mov_b64_e32 v[74:75], v[10:11]
	v_mov_b64_e32 v[54:55], v[10:11]
	v_mov_b64_e32 v[66:67], v[10:11]
	v_mov_b64_e32 v[46:47], v[10:11]
	v_mov_b64_e32 v[58:59], v[10:11]
	v_mov_b32_e32 v124, 0
	v_mov_b64_e32 v[38:39], v[10:11]
	v_mov_b64_e32 v[50:51], v[10:11]
	;; [unrolled: 1-line block ×5, first 2 shown]
                                        ; implicit-def: $sgpr6_sgpr7
                                        ; implicit-def: $vgpr82
                                        ; implicit-def: $vgpr84
                                        ; implicit-def: $vgpr85
	s_and_saveexec_b64 s[24:25], vcc
	s_cbranch_execz .LBB1333_105
; %bb.78:
	v_cmp_ne_u32_e64 s[8:9], v44, v45
	v_add_u32_e32 v10, 7, v65
	s_waitcnt lgkmcnt(0)
	v_mov_b32_e32 v22, v36
	v_cndmask_b32_e64 v127, 0, 1, s[8:9]
	v_cmp_gt_u32_e64 s[8:9], s64, v10
	v_mov_b64_e32 v[10:11], 0
	v_mov_b32_e32 v23, v37
	v_cmp_ne_u32_e32 vcc, v40, v41
	v_cmp_ne_u32_e64 s[6:7], v41, v33
	v_cmp_ne_u32_e64 s[4:5], v45, v40
	s_mov_b64 s[30:31], 0
	v_mov_b32_e32 v126, 0
	v_mov_b32_e32 v122, 0
	;; [unrolled: 1-line block ×3, first 2 shown]
	v_mov_b64_e32 v[70:71], v[10:11]
	v_mov_b64_e32 v[78:79], v[10:11]
	;; [unrolled: 1-line block ×8, first 2 shown]
	v_mov_b32_e32 v124, 0
	v_mov_b64_e32 v[38:39], v[10:11]
	v_mov_b64_e32 v[50:51], v[10:11]
	;; [unrolled: 1-line block ×4, first 2 shown]
                                        ; implicit-def: $sgpr34_sgpr35
                                        ; implicit-def: $vgpr82
                                        ; implicit-def: $vgpr84
                                        ; implicit-def: $vgpr85
	s_and_saveexec_b64 s[26:27], s[8:9]
	s_cbranch_execz .LBB1333_104
; %bb.79:
	v_cndmask_b32_e64 v10, 0, 1, s[4:5]
	v_cndmask_b32_e64 v11, 0, 1, s[6:7]
	v_lshlrev_b16_e32 v10, 8, v10
	v_lshlrev_b16_e32 v11, 8, v11
	v_cndmask_b32_e64 v16, 0, 1, vcc
	ds_read2_b64 v[42:45], v48 offset0:7 offset1:8
	v_or_b32_e32 v10, v127, v10
	v_or_b32_sdwa v11, v16, v11 dst_sel:WORD_1 dst_unused:UNUSED_PAD src0_sel:DWORD src1_sel:DWORD
	s_mov_b64 s[4:5], 0
	v_or_b32_sdwa v82, v10, v11 dst_sel:DWORD dst_unused:UNUSED_PAD src0_sel:WORD_0 src1_sel:DWORD
	v_add_u32_e32 v10, 8, v65
	v_cmp_gt_u32_e32 vcc, s64, v10
	v_mov_b64_e32 v[10:11], 0
	v_and_b32_e32 v127, 0xffff, v82
	v_mov_b32_e32 v126, 0
	v_mov_b32_e32 v122, 0
	;; [unrolled: 1-line block ×3, first 2 shown]
	v_mov_b64_e32 v[70:71], v[10:11]
	v_mov_b64_e32 v[78:79], v[10:11]
	v_mov_b64_e32 v[62:63], v[10:11]
	v_mov_b64_e32 v[74:75], v[10:11]
	v_mov_b64_e32 v[54:55], v[10:11]
	v_mov_b64_e32 v[66:67], v[10:11]
	v_mov_b64_e32 v[46:47], v[10:11]
	v_mov_b64_e32 v[58:59], v[10:11]
	v_mov_b32_e32 v124, 0
	v_mov_b64_e32 v[38:39], v[10:11]
	v_mov_b64_e32 v[50:51], v[10:11]
	;; [unrolled: 1-line block ×3, first 2 shown]
                                        ; implicit-def: $sgpr6_sgpr7
                                        ; implicit-def: $vgpr84
                                        ; implicit-def: $vgpr85
	s_and_saveexec_b64 s[28:29], vcc
	s_cbranch_execz .LBB1333_103
; %bb.80:
	v_add_u32_e32 v10, 9, v65
	v_cmp_gt_u32_e32 vcc, s64, v10
	v_mov_b64_e32 v[10:11], 0
	s_waitcnt lgkmcnt(0)
	v_mov_b32_e32 v30, v44
	v_mov_b32_e32 v31, v45
	v_and_b32_e32 v127, 0xffffff, v82
	s_mov_b64 s[6:7], 0
	v_mov_b32_e32 v126, 0
	v_mov_b32_e32 v122, 0
	;; [unrolled: 1-line block ×3, first 2 shown]
	v_mov_b64_e32 v[70:71], v[10:11]
	v_mov_b64_e32 v[78:79], v[10:11]
	;; [unrolled: 1-line block ×8, first 2 shown]
	v_mov_b32_e32 v124, 0
	v_mov_b64_e32 v[38:39], v[10:11]
	v_mov_b64_e32 v[50:51], v[10:11]
                                        ; implicit-def: $sgpr8_sgpr9
                                        ; implicit-def: $vgpr84
                                        ; implicit-def: $vgpr85
	s_and_saveexec_b64 s[30:31], vcc
	s_cbranch_execz .LBB1333_102
; %bb.81:
	ds_read2_b64 v[50:53], v48 offset0:9 offset1:10
	v_add_u32_e32 v10, 10, v65
	v_cmp_gt_u32_e32 vcc, s64, v10
	v_mov_b64_e32 v[10:11], 0
	v_mov_b32_e32 v126, 0
	v_mov_b32_e32 v122, 0
	;; [unrolled: 1-line block ×3, first 2 shown]
	v_mov_b64_e32 v[70:71], v[10:11]
	v_mov_b64_e32 v[78:79], v[10:11]
	;; [unrolled: 1-line block ×8, first 2 shown]
	v_mov_b32_e32 v124, 0
	v_mov_b64_e32 v[38:39], v[10:11]
                                        ; implicit-def: $sgpr8_sgpr9
                                        ; implicit-def: $vgpr84
                                        ; implicit-def: $vgpr85
	s_and_saveexec_b64 s[34:35], vcc
	s_cbranch_execz .LBB1333_101
; %bb.82:
	v_cmp_ne_u32_e32 vcc, v33, v24
	v_add_u32_e32 v10, 11, v65
	s_waitcnt lgkmcnt(0)
	v_mov_b32_e32 v38, v52
	v_cndmask_b32_e64 v124, 0, 1, vcc
	v_cmp_gt_u32_e32 vcc, s64, v10
	v_mov_b64_e32 v[10:11], 0
	v_mov_b32_e32 v39, v53
	s_mov_b64 s[40:41], 0
	v_mov_b32_e32 v126, 0
	v_mov_b32_e32 v122, 0
	;; [unrolled: 1-line block ×3, first 2 shown]
	v_mov_b64_e32 v[70:71], v[10:11]
	v_mov_b64_e32 v[78:79], v[10:11]
	;; [unrolled: 1-line block ×8, first 2 shown]
                                        ; implicit-def: $sgpr6_sgpr7
                                        ; implicit-def: $vgpr84
                                        ; implicit-def: $vgpr85
	s_and_saveexec_b64 s[36:37], vcc
	s_cbranch_execz .LBB1333_100
; %bb.83:
	ds_read2_b64 v[58:61], v48 offset0:11 offset1:12
	v_cmp_ne_u32_e64 s[8:9], v24, v25
	v_add_u32_e32 v10, 12, v65
	v_cmp_ne_u32_e32 vcc, v20, v21
	v_cndmask_b32_e64 v126, 0, 1, s[8:9]
	v_cmp_gt_u32_e64 s[8:9], s64, v10
	v_mov_b64_e32 v[10:11], 0
	v_cmp_ne_u32_e64 s[6:7], v21, v64
	v_cmp_ne_u32_e64 s[4:5], v25, v20
	s_mov_b64 s[42:43], 0
	v_mov_b32_e32 v125, 0
	v_mov_b32_e32 v122, 0
	v_mov_b64_e32 v[70:71], v[10:11]
	v_mov_b64_e32 v[78:79], v[10:11]
	;; [unrolled: 1-line block ×7, first 2 shown]
                                        ; implicit-def: $sgpr44_sgpr45
                                        ; implicit-def: $vgpr84
                                        ; implicit-def: $vgpr85
	s_and_saveexec_b64 s[38:39], s[8:9]
	s_cbranch_execz .LBB1333_99
; %bb.84:
	v_cndmask_b32_e64 v10, 0, 1, s[4:5]
	v_cndmask_b32_e64 v11, 0, 1, s[6:7]
	v_lshlrev_b16_e32 v10, 8, v10
	v_lshlrev_b16_e32 v11, 8, v11
	v_cndmask_b32_e64 v16, 0, 1, vcc
	v_or_b32_e32 v10, v126, v10
	v_or_b32_sdwa v11, v16, v11 dst_sel:WORD_1 dst_unused:UNUSED_PAD src0_sel:DWORD src1_sel:DWORD
	s_waitcnt lgkmcnt(0)
	v_mov_b32_e32 v46, v60
	v_or_b32_sdwa v84, v10, v11 dst_sel:DWORD dst_unused:UNUSED_PAD src0_sel:WORD_0 src1_sel:DWORD
	v_add_u32_e32 v10, 13, v65
	v_cmp_gt_u32_e32 vcc, s64, v10
	v_mov_b64_e32 v[10:11], 0
	v_and_b32_e32 v126, 0xffff, v84
	v_mov_b32_e32 v47, v61
	s_mov_b64 s[4:5], 0
	v_mov_b32_e32 v125, 0
	v_mov_b32_e32 v122, 0
	v_mov_b64_e32 v[70:71], v[10:11]
	v_mov_b64_e32 v[78:79], v[10:11]
	;; [unrolled: 1-line block ×6, first 2 shown]
                                        ; implicit-def: $sgpr6_sgpr7
                                        ; implicit-def: $vgpr85
	s_and_saveexec_b64 s[40:41], vcc
	s_cbranch_execz .LBB1333_98
; %bb.85:
	ds_read2_b64 v[66:69], v48 offset0:13 offset1:14
	v_add_u32_e32 v10, 14, v65
	v_cmp_gt_u32_e32 vcc, s64, v10
	v_mov_b64_e32 v[10:11], 0
	v_and_b32_e32 v126, 0xffffff, v84
	s_mov_b64 s[6:7], 0
	v_mov_b32_e32 v125, 0
	v_mov_b32_e32 v122, 0
	v_mov_b64_e32 v[70:71], v[10:11]
	v_mov_b64_e32 v[78:79], v[10:11]
	;; [unrolled: 1-line block ×5, first 2 shown]
                                        ; implicit-def: $sgpr8_sgpr9
                                        ; implicit-def: $vgpr85
	s_and_saveexec_b64 s[42:43], vcc
	s_cbranch_execz .LBB1333_97
; %bb.86:
	v_add_u32_e32 v10, 15, v65
	v_cmp_gt_u32_e32 vcc, s64, v10
	v_mov_b64_e32 v[10:11], 0
	s_waitcnt lgkmcnt(0)
	v_mov_b32_e32 v54, v68
	v_mov_b32_e32 v55, v69
	;; [unrolled: 1-line block ×4, first 2 shown]
	v_mov_b64_e32 v[70:71], v[10:11]
	v_mov_b64_e32 v[78:79], v[10:11]
	;; [unrolled: 1-line block ×4, first 2 shown]
                                        ; implicit-def: $sgpr8_sgpr9
                                        ; implicit-def: $vgpr85
	s_and_saveexec_b64 s[44:45], vcc
	s_cbranch_execz .LBB1333_96
; %bb.87:
	ds_read2_b64 v[74:77], v48 offset0:15 offset1:16
	v_cmp_ne_u32_e32 vcc, v64, v8
	v_add_u32_e32 v10, 16, v65
	s_mov_b64 s[58:59], 0
	v_cndmask_b32_e64 v122, 0, 1, vcc
	v_cmp_gt_u32_e32 vcc, s64, v10
	v_mov_b64_e32 v[10:11], 0
	v_mov_b32_e32 v125, 0
	v_mov_b64_e32 v[70:71], v[10:11]
	v_mov_b64_e32 v[78:79], v[10:11]
	;; [unrolled: 1-line block ×3, first 2 shown]
                                        ; implicit-def: $sgpr6_sgpr7
                                        ; implicit-def: $vgpr85
	s_and_saveexec_b64 s[46:47], vcc
	s_cbranch_execz .LBB1333_95
; %bb.88:
	v_cmp_ne_u32_e64 s[8:9], v8, v9
	v_add_u32_e32 v8, 17, v65
	v_mov_b64_e32 v[10:11], 0
	s_waitcnt lgkmcnt(0)
	v_mov_b32_e32 v62, v76
	v_mov_b32_e32 v63, v77
	v_cmp_ne_u32_e32 vcc, v12, v13
	v_cmp_ne_u32_e64 s[6:7], v13, v4
	v_cmp_ne_u32_e64 s[4:5], v9, v12
	v_cndmask_b32_e64 v125, 0, 1, s[8:9]
	v_cmp_gt_u32_e64 s[8:9], s64, v8
	s_mov_b64 s[60:61], 0
	v_mov_b64_e32 v[70:71], v[10:11]
	v_mov_b64_e32 v[78:79], v[10:11]
                                        ; implicit-def: $sgpr62_sgpr63
                                        ; implicit-def: $vgpr85
	s_and_saveexec_b64 s[56:57], s[8:9]
	s_cbranch_execz .LBB1333_94
; %bb.89:
	v_cndmask_b32_e64 v8, 0, 1, s[4:5]
	v_cndmask_b32_e64 v9, 0, 1, s[6:7]
	ds_read2_b64 v[78:81], v48 offset0:17 offset1:18
	v_lshlrev_b16_e32 v8, 8, v8
	v_lshlrev_b16_e32 v9, 8, v9
	v_cndmask_b32_e64 v10, 0, 1, vcc
	v_or_b32_e32 v8, v125, v8
	v_or_b32_sdwa v9, v10, v9 dst_sel:WORD_1 dst_unused:UNUSED_PAD src0_sel:DWORD src1_sel:DWORD
	v_mov_b64_e32 v[10:11], 0
	v_or_b32_sdwa v85, v8, v9 dst_sel:DWORD dst_unused:UNUSED_PAD src0_sel:WORD_0 src1_sel:DWORD
	v_add_u32_e32 v8, 18, v65
	v_and_b32_e32 v125, 0xffff, v85
	v_cmp_gt_u32_e32 vcc, s64, v8
	s_mov_b64 s[4:5], 0
	v_mov_b64_e32 v[70:71], v[10:11]
                                        ; implicit-def: $sgpr8_sgpr9
	s_and_saveexec_b64 s[6:7], vcc
	s_cbranch_execz .LBB1333_93
; %bb.90:
	v_add_u32_e32 v8, 19, v65
	s_waitcnt lgkmcnt(0)
	v_mov_b32_e32 v70, v80
	v_mov_b32_e32 v71, v81
	v_cmp_gt_u32_e32 vcc, s64, v8
	v_and_b32_e32 v125, 0xffffff, v85
	v_mov_b64_e32 v[10:11], 0
                                        ; implicit-def: $sgpr8_sgpr9
	s_and_saveexec_b64 s[58:59], vcc
	s_xor_b64 s[58:59], exec, s[58:59]
	s_cbranch_execz .LBB1333_92
; %bb.91:
	ds_read2_b64 v[10:13], v48 offset0:19 offset1:20
	v_cmp_ne_u32_e32 vcc, v4, v5
	v_add_u32_e32 v4, 20, v65
	v_cmp_gt_u32_e64 s[4:5], s64, v4
	s_and_b64 s[8:9], vcc, exec
	s_and_b64 s[4:5], s[4:5], exec
	s_waitcnt lgkmcnt(0)
	v_mov_b64_e32 v[72:73], v[10:11]
	v_mov_b32_e32 v125, v85
.LBB1333_92:
	s_or_b64 exec, exec, s[58:59]
	s_and_b64 s[8:9], s[8:9], exec
	s_and_b64 s[60:61], s[4:5], exec
.LBB1333_93:
	s_or_b64 exec, exec, s[6:7]
	s_and_b64 s[62:63], s[8:9], exec
	s_and_b64 s[58:59], s[60:61], exec
	s_waitcnt lgkmcnt(0)
	v_mov_b64_e32 v[64:65], v[78:79]
	v_mov_b64_e32 v[56:57], v[74:75]
	;; [unrolled: 1-line block ×9, first 2 shown]
.LBB1333_94:
	s_or_b64 exec, exec, s[56:57]
	s_and_b64 s[6:7], s[62:63], exec
	s_and_b64 s[4:5], s[58:59], exec
.LBB1333_95:
	s_or_b64 exec, exec, s[46:47]
	s_and_b64 s[8:9], s[6:7], exec
	s_and_b64 s[6:7], s[4:5], exec
.LBB1333_96:
	s_or_b64 exec, exec, s[44:45]
	s_and_b64 s[8:9], s[8:9], exec
	s_and_b64 s[4:5], s[6:7], exec
	v_mov_b32_e32 v126, v84
.LBB1333_97:
	s_or_b64 exec, exec, s[42:43]
	s_and_b64 s[6:7], s[8:9], exec
	s_and_b64 s[42:43], s[4:5], exec
.LBB1333_98:
	s_or_b64 exec, exec, s[40:41]
	s_and_b64 s[44:45], s[6:7], exec
	s_and_b64 s[40:41], s[42:43], exec
.LBB1333_99:
	s_or_b64 exec, exec, s[38:39]
	s_and_b64 s[6:7], s[44:45], exec
	s_and_b64 s[4:5], s[40:41], exec
.LBB1333_100:
	s_or_b64 exec, exec, s[36:37]
	s_and_b64 s[8:9], s[6:7], exec
	s_and_b64 s[6:7], s[4:5], exec
.LBB1333_101:
	s_or_b64 exec, exec, s[34:35]
	s_and_b64 s[8:9], s[8:9], exec
	s_and_b64 s[4:5], s[6:7], exec
	v_mov_b32_e32 v127, v82
.LBB1333_102:
	s_or_b64 exec, exec, s[30:31]
	s_and_b64 s[6:7], s[8:9], exec
	s_and_b64 s[30:31], s[4:5], exec
.LBB1333_103:
	s_or_b64 exec, exec, s[28:29]
	s_and_b64 s[34:35], s[6:7], exec
	s_and_b64 s[28:29], s[30:31], exec
.LBB1333_104:
	s_or_b64 exec, exec, s[26:27]
	s_and_b64 s[6:7], s[34:35], exec
	s_and_b64 s[4:5], s[28:29], exec
.LBB1333_105:
	s_or_b64 exec, exec, s[24:25]
	s_and_b64 s[8:9], s[6:7], exec
	s_and_b64 s[6:7], s[4:5], exec
.LBB1333_106:
	s_or_b64 exec, exec, s[22:23]
	s_and_b64 s[8:9], s[8:9], exec
	s_and_b64 s[4:5], s[6:7], exec
	v_mov_b32_e32 v128, v83
.LBB1333_107:
	s_or_b64 exec, exec, s[20:21]
	s_and_b64 s[6:7], s[8:9], exec
	s_and_b64 s[20:21], s[4:5], exec
.LBB1333_108:
	s_or_b64 exec, exec, s[18:19]
	s_and_b64 s[22:23], s[6:7], exec
	s_and_b64 s[18:19], s[20:21], exec
.LBB1333_109:
	s_or_b64 exec, exec, s[16:17]
	s_and_b64 s[4:5], s[22:23], exec
	s_and_b64 s[6:7], s[18:19], exec
.LBB1333_110:
	s_or_b64 exec, exec, s[14:15]
	s_and_b64 s[4:5], s[4:5], exec
	s_and_b64 s[6:7], s[6:7], exec
.LBB1333_111:
	s_or_b64 exec, exec, s[12:13]
	s_mov_b64 s[8:9], 0
	s_and_b64 vcc, exec, s[10:11]
	s_cbranch_vccnz .LBB1333_113
	s_branch .LBB1333_121
.LBB1333_112:
                                        ; implicit-def: $sgpr4_sgpr5
                                        ; implicit-def: $vgpr83
                                        ; implicit-def: $vgpr82
                                        ; implicit-def: $vgpr84
                                        ; implicit-def: $vgpr85
                                        ; implicit-def: $vgpr12_vgpr13
                                        ; implicit-def: $vgpr72_vgpr73
                                        ; implicit-def: $vgpr64_vgpr65
                                        ; implicit-def: $vgpr122
                                        ; implicit-def: $vgpr56_vgpr57
                                        ; implicit-def: $vgpr48_vgpr49
                                        ; implicit-def: $vgpr40_vgpr41
                                        ; implicit-def: $vgpr124
                                        ; implicit-def: $vgpr32_vgpr33
                                        ; implicit-def: $vgpr24_vgpr25
                                        ; implicit-def: $vgpr123
                                        ; implicit-def: $vgpr20_vgpr21
                                        ; implicit-def: $vgpr8_vgpr9
                                        ; implicit-def: $vgpr4_vgpr5
                                        ; implicit-def: $vgpr1
                                        ; implicit-def: $vgpr128
                                        ; implicit-def: $vgpr127
                                        ; implicit-def: $vgpr126
                                        ; implicit-def: $vgpr125
                                        ; implicit-def: $sgpr3
                                        ; implicit-def: $sgpr8_sgpr9
                                        ; implicit-def: $vgpr78_vgpr79
                                        ; implicit-def: $vgpr74_vgpr75
                                        ; implicit-def: $vgpr66_vgpr67
                                        ; implicit-def: $vgpr58_vgpr59
                                        ; implicit-def: $vgpr50_vgpr51
                                        ; implicit-def: $vgpr42_vgpr43
                                        ; implicit-def: $vgpr34_vgpr35
                                        ; implicit-def: $vgpr26_vgpr27
                                        ; implicit-def: $vgpr14_vgpr15
	s_and_b64 vcc, exec, s[10:11]
	s_cbranch_vccz .LBB1333_121
.LBB1333_113:
	s_waitcnt lgkmcnt(0)
	v_mov_b32_e32 v3, 0
	v_lshlrev_b32_e32 v2, 2, v0
	v_lshl_add_u64 v[4:5], s[50:51], 0, v[2:3]
	v_add_co_u32_e32 v6, vcc, 0x1000, v4
	s_movk_i32 s3, 0x50
	s_nop 0
	v_addc_co_u32_e32 v7, vcc, 0, v5, vcc
	flat_load_dword v1, v[4:5]
	flat_load_dword v3, v[4:5] offset:1024
	flat_load_dword v10, v[4:5] offset:2048
	;; [unrolled: 1-line block ×3, first 2 shown]
	flat_load_dword v12, v[6:7]
	flat_load_dword v13, v[6:7] offset:1024
	flat_load_dword v14, v[6:7] offset:2048
	;; [unrolled: 1-line block ×3, first 2 shown]
	v_add_co_u32_e32 v6, vcc, 0x2000, v4
	v_mad_u32_u24 v23, v0, s3, v2
	s_nop 0
	v_addc_co_u32_e32 v7, vcc, 0, v5, vcc
	v_add_co_u32_e32 v8, vcc, 0x3000, v4
	s_cmp_eq_u64 s[54:55], 0
	s_nop 0
	v_addc_co_u32_e32 v9, vcc, 0, v5, vcc
	flat_load_dword v16, v[6:7]
	flat_load_dword v17, v[6:7] offset:1024
	flat_load_dword v18, v[6:7] offset:2048
	;; [unrolled: 1-line block ×3, first 2 shown]
	flat_load_dword v20, v[8:9]
	flat_load_dword v21, v[8:9] offset:1024
	flat_load_dword v22, v[8:9] offset:2048
	;; [unrolled: 1-line block ×3, first 2 shown]
	v_add_co_u32_e32 v6, vcc, 0x4000, v4
	s_nop 1
	v_addc_co_u32_e32 v7, vcc, 0, v5, vcc
	v_add_co_u32_e32 v4, vcc, 0x5000, v4
	s_nop 1
	v_addc_co_u32_e32 v5, vcc, 0, v5, vcc
	flat_load_dword v8, v[6:7]
	flat_load_dword v9, v[6:7] offset:1024
	flat_load_dword v25, v[6:7] offset:2048
	;; [unrolled: 1-line block ×3, first 2 shown]
	flat_load_dword v27, v[4:5]
	s_waitcnt vmcnt(0) lgkmcnt(0)
	ds_write2st64_b32 v2, v1, v3 offset1:4
	ds_write2st64_b32 v2, v10, v11 offset0:8 offset1:12
	ds_write2st64_b32 v2, v12, v13 offset0:16 offset1:20
	;; [unrolled: 1-line block ×9, first 2 shown]
	ds_write_b32 v2, v27 offset:20480
	s_waitcnt lgkmcnt(0)
	s_barrier
	ds_read2_b32 v[8:9], v23 offset0:7 offset1:8
	ds_read2_b32 v[6:7], v23 offset0:5 offset1:6
	;; [unrolled: 1-line block ×3, first 2 shown]
	ds_read2_b32 v[10:11], v23 offset1:1
	ds_read2_b32 v[4:5], v23 offset0:4 offset1:9
	ds_read2_b32 v[16:17], v23 offset0:15 offset1:16
	ds_read_b32 v22, v23 offset:56
	ds_read2_b32 v[14:15], v23 offset0:12 offset1:13
	ds_read2_b32 v[12:13], v23 offset0:10 offset1:11
	;; [unrolled: 1-line block ×4, first 2 shown]
	s_cbranch_scc1 .LBB1333_118
; %bb.114:
	s_andn2_b64 vcc, exec, s[52:53]
	s_cbranch_vccnz .LBB1333_292
; %bb.115:
	v_readlane_b32 s8, v131, 0
	v_readlane_b32 s10, v131, 2
	;; [unrolled: 1-line block ×5, first 2 shown]
	s_lshl_b64 s[4:5], s[54:55], 2
	s_mov_b64 s[10:11], s[14:15]
	s_add_u32 s3, s10, s4
	s_addc_u32 s5, s11, s5
	s_add_u32 s4, s3, -4
	s_addc_u32 s5, s5, -1
	v_readlane_b32 s9, v131, 1
	v_readlane_b32 s12, v131, 4
	;; [unrolled: 1-line block ×3, first 2 shown]
	s_cbranch_execnz .LBB1333_117
.LBB1333_116:
	s_add_u32 s4, s50, -4
	s_addc_u32 s5, s51, -1
.LBB1333_117:
	s_mov_b64 s[50:51], s[4:5]
.LBB1333_118:
	v_mov_b64_e32 v[24:25], s[50:51]
	flat_load_dword v1, v[24:25]
	s_movk_i32 s3, 0xffb0
	v_mad_i32_i24 v23, v0, s3, v23
	v_cmp_ne_u32_e32 vcc, 0, v0
	s_waitcnt lgkmcnt(0)
	ds_write_b32 v23, v21 offset:21504
	s_waitcnt lgkmcnt(0)
	s_barrier
	s_and_saveexec_b64 s[4:5], vcc
	s_cbranch_execz .LBB1333_120
; %bb.119:
	s_waitcnt vmcnt(0)
	ds_read_b32 v1, v23 offset:21500
.LBB1333_120:
	s_or_b64 exec, exec, s[4:5]
	v_lshlrev_b32_e32 v24, 3, v0
	v_mov_b32_e32 v25, 0
	v_lshl_add_u64 v[24:25], s[48:49], 0, v[24:25]
	s_movk_i32 s3, 0x1000
	v_add_co_u32_e32 v26, vcc, s3, v24
	s_movk_i32 s3, 0x2000
	s_nop 0
	v_addc_co_u32_e32 v27, vcc, 0, v25, vcc
	s_waitcnt lgkmcnt(0)
	s_barrier
	flat_load_dwordx2 v[28:29], v[24:25]
	flat_load_dwordx2 v[30:31], v[24:25] offset:2048
	flat_load_dwordx2 v[32:33], v[26:27]
	flat_load_dwordx2 v[34:35], v[26:27] offset:2048
	v_add_co_u32_e32 v26, vcc, s3, v24
	s_movk_i32 s3, 0x3000
	s_nop 0
	v_addc_co_u32_e32 v27, vcc, 0, v25, vcc
	v_add_co_u32_e32 v36, vcc, s3, v24
	s_movk_i32 s3, 0x4000
	s_nop 0
	v_addc_co_u32_e32 v37, vcc, 0, v25, vcc
	flat_load_dwordx2 v[38:39], v[26:27]
	flat_load_dwordx2 v[40:41], v[26:27] offset:2048
	flat_load_dwordx2 v[42:43], v[36:37]
	flat_load_dwordx2 v[44:45], v[36:37] offset:2048
	v_add_co_u32_e32 v26, vcc, s3, v24
	s_movk_i32 s3, 0x5000
	s_nop 0
	v_addc_co_u32_e32 v27, vcc, 0, v25, vcc
	v_add_co_u32_e32 v36, vcc, s3, v24
	s_movk_i32 s3, 0x6000
	s_nop 0
	v_addc_co_u32_e32 v37, vcc, 0, v25, vcc
	flat_load_dwordx2 v[46:47], v[26:27]
	flat_load_dwordx2 v[48:49], v[26:27] offset:2048
	flat_load_dwordx2 v[50:51], v[36:37]
	flat_load_dwordx2 v[52:53], v[36:37] offset:2048
	v_add_co_u32_e32 v26, vcc, s3, v24
	s_movk_i32 s3, 0x7000
	s_nop 0
	v_addc_co_u32_e32 v27, vcc, 0, v25, vcc
	v_add_co_u32_e32 v36, vcc, s3, v24
	s_mov_b32 s3, 0x8000
	s_nop 0
	v_addc_co_u32_e32 v37, vcc, 0, v25, vcc
	flat_load_dwordx2 v[54:55], v[26:27]
	flat_load_dwordx2 v[56:57], v[26:27] offset:2048
	flat_load_dwordx2 v[58:59], v[36:37]
	flat_load_dwordx2 v[60:61], v[36:37] offset:2048
	v_add_co_u32_e32 v26, vcc, s3, v24
	s_mov_b32 s3, 0x9000
	s_nop 0
	v_addc_co_u32_e32 v27, vcc, 0, v25, vcc
	v_add_co_u32_e32 v36, vcc, s3, v24
	s_mov_b32 s3, 0xa000
	s_nop 0
	v_addc_co_u32_e32 v37, vcc, 0, v25, vcc
	flat_load_dwordx2 v[62:63], v[26:27]
	flat_load_dwordx2 v[64:65], v[26:27] offset:2048
	flat_load_dwordx2 v[66:67], v[36:37]
	flat_load_dwordx2 v[68:69], v[36:37] offset:2048
	v_add_co_u32_e32 v24, vcc, s3, v24
	v_cmp_ne_u32_e64 s[4:5], v20, v21
	s_nop 0
	v_addc_co_u32_e32 v25, vcc, 0, v25, vcc
	flat_load_dwordx2 v[24:25], v[24:25]
	v_cmp_ne_u32_e32 vcc, v17, v18
	s_movk_i32 s3, 0xa0
	s_mov_b64 s[6:7], -1
	v_cndmask_b32_e64 v21, 0, 1, vcc
	v_cmp_ne_u32_e32 vcc, v16, v17
	v_lshlrev_b16_e32 v21, 8, v21
                                        ; implicit-def: $vgpr128
                                        ; implicit-def: $vgpr127
                                        ; implicit-def: $vgpr126
                                        ; implicit-def: $vgpr125
                                        ; implicit-def: $sgpr8_sgpr9
                                        ; implicit-def: $vgpr78_vgpr79
                                        ; implicit-def: $vgpr74_vgpr75
                                        ; implicit-def: $vgpr26_vgpr27
	s_nop 0
	v_cndmask_b32_e64 v17, 0, 1, vcc
	v_cmp_ne_u32_e32 vcc, v19, v20
	v_or_b32_e32 v17, v17, v21
	s_nop 0
	v_cndmask_b32_e64 v20, 0, 1, vcc
	v_cmp_ne_u32_e32 vcc, v18, v19
	v_lshlrev_b16_e32 v20, 8, v20
	s_nop 0
	v_cndmask_b32_e64 v18, 0, 1, vcc
	v_cmp_ne_u32_e32 vcc, v22, v16
	v_or_b32_sdwa v18, v18, v20 dst_sel:WORD_1 dst_unused:UNUSED_PAD src0_sel:DWORD src1_sel:DWORD
	s_nop 0
	v_cndmask_b32_e64 v122, 0, 1, vcc
	v_cmp_ne_u32_e32 vcc, v13, v14
	v_or_b32_sdwa v85, v17, v18 dst_sel:DWORD dst_unused:UNUSED_PAD src0_sel:WORD_0 src1_sel:DWORD
	s_nop 0
	v_cndmask_b32_e64 v16, 0, 1, vcc
	v_cmp_ne_u32_e32 vcc, v12, v13
	v_lshlrev_b16_e32 v16, 8, v16
	s_nop 0
	v_cndmask_b32_e64 v13, 0, 1, vcc
	v_cmp_ne_u32_e32 vcc, v15, v22
	v_or_b32_e32 v13, v13, v16
	s_nop 0
	v_cndmask_b32_e64 v16, 0, 1, vcc
	v_cmp_ne_u32_e32 vcc, v14, v15
	v_lshlrev_b16_e32 v16, 8, v16
	s_nop 0
	v_cndmask_b32_e64 v14, 0, 1, vcc
	v_cmp_ne_u32_e32 vcc, v5, v12
	v_or_b32_sdwa v14, v14, v16 dst_sel:WORD_1 dst_unused:UNUSED_PAD src0_sel:DWORD src1_sel:DWORD
	s_nop 0
	v_cndmask_b32_e64 v124, 0, 1, vcc
	v_cmp_ne_u32_e32 vcc, v7, v8
	v_or_b32_sdwa v84, v13, v14 dst_sel:DWORD dst_unused:UNUSED_PAD src0_sel:WORD_0 src1_sel:DWORD
	s_nop 0
	v_cndmask_b32_e64 v12, 0, 1, vcc
	v_cmp_ne_u32_e32 vcc, v6, v7
	v_lshlrev_b16_e32 v12, 8, v12
	;; [unrolled: 20-line block ×3, first 2 shown]
	s_nop 0
	v_cndmask_b32_e64 v6, 0, 1, vcc
	v_cmp_ne_u32_e32 vcc, v3, v4
	v_or_b32_e32 v11, v6, v5
	s_nop 0
	v_cndmask_b32_e64 v4, 0, 1, vcc
	v_cmp_ne_u32_e32 vcc, v2, v3
	v_lshlrev_b16_e32 v4, 8, v4
	s_nop 0
	v_cndmask_b32_e64 v2, 0, 1, vcc
	v_or_b32_sdwa v14, v2, v4 dst_sel:WORD_1 dst_unused:UNUSED_PAD src0_sel:DWORD src1_sel:DWORD
	v_lshl_add_u32 v2, v0, 2, v23
	v_mad_u32_u24 v12, v0, s3, v2
	s_waitcnt vmcnt(0) lgkmcnt(0)
	ds_write2st64_b64 v2, v[28:29], v[30:31] offset1:4
	ds_write2st64_b64 v2, v[32:33], v[34:35] offset0:8 offset1:12
	ds_write2st64_b64 v2, v[38:39], v[40:41] offset0:16 offset1:20
	;; [unrolled: 1-line block ×9, first 2 shown]
	ds_write_b64 v2, v[24:25] offset:40960
	s_waitcnt lgkmcnt(0)
	s_barrier
	ds_read2_b64 v[2:5], v12 offset1:1
	ds_read2_b64 v[6:9], v12 offset0:2 offset1:3
	ds_read2_b64 v[18:21], v12 offset0:4 offset1:5
	;; [unrolled: 1-line block ×9, first 2 shown]
	ds_read_b64 v[12:13], v12 offset:160
	v_cmp_ne_u32_e32 vcc, v1, v10
	v_or_b32_sdwa v83, v11, v14 dst_sel:DWORD dst_unused:UNUSED_PAD src0_sel:WORD_0 src1_sel:DWORD
                                        ; implicit-def: $sgpr3
                                        ; implicit-def: $vgpr66_vgpr67
                                        ; implicit-def: $vgpr58_vgpr59
                                        ; implicit-def: $vgpr50_vgpr51
                                        ; implicit-def: $vgpr42_vgpr43
                                        ; implicit-def: $vgpr34_vgpr35
                                        ; implicit-def: $vgpr14_vgpr15
	s_nop 0
	v_cndmask_b32_e64 v1, 0, 1, vcc
.LBB1333_121:
	s_waitcnt lgkmcnt(0)
	v_mov_b64_e32 v[16:17], s[8:9]
	v_mov_b32_e32 v28, s3
	s_and_saveexec_b64 s[8:9], s[6:7]
	s_cbranch_execz .LBB1333_123
; %bb.122:
	v_cndmask_b32_e64 v28, 0, 1, s[4:5]
	v_mov_b64_e32 v[14:15], v[4:5]
	v_mov_b64_e32 v[26:27], v[8:9]
	;; [unrolled: 1-line block ×11, first 2 shown]
	v_mov_b32_e32 v125, v85
	v_mov_b32_e32 v126, v84
	;; [unrolled: 1-line block ×4, first 2 shown]
.LBB1333_123:
	s_or_b64 exec, exec, s[8:9]
	v_and_b32_e32 v129, 1, v123
	v_and_b32_e32 v37, 1, v124
	;; [unrolled: 1-line block ×4, first 2 shown]
	s_cmp_lg_u32 s2, 0
	v_lshrrev_b32_e32 v130, 8, v128
	v_cmp_eq_u32_e32 vcc, 1, v129
	v_lshrrev_b32_e32 v41, 8, v127
	v_cmp_eq_u32_e64 s[44:45], 1, v37
	v_lshrrev_b32_e32 v40, 8, v126
	v_cmp_eq_u32_e64 s[46:47], 1, v33
	;; [unrolled: 2-line block ×3, first 2 shown]
	v_mbcnt_lo_u32_b32 v29, -1, 0
	s_barrier
	s_cbranch_scc0 .LBB1333_194
; %bb.124:
	v_mov_b32_e32 v8, 0
	v_cmp_eq_u16_sdwa s[64:65], v128, v8 src0_sel:BYTE_0 src1_sel:DWORD
	v_and_b32_e32 v9, 1, v128
	s_movk_i32 s3, 0xff
	v_cndmask_b32_e64 v5, 0, v3, s[64:65]
	v_cndmask_b32_e64 v4, 0, v2, s[64:65]
	v_cmp_eq_u32_e64 s[48:49], 1, v9
	v_and_b32_e32 v9, 0x100, v128
	v_lshl_add_u64 v[4:5], v[4:5], 0, v[14:15]
	v_cmp_eq_u16_sdwa s[4:5], v130, v8 src0_sel:BYTE_0 src1_sel:DWORD
	v_cmp_ne_u32_e64 s[52:53], 0, v9
	v_and_b32_sdwa v9, v128, s3 dst_sel:DWORD dst_unused:UNUSED_PAD src0_sel:WORD_1 src1_sel:DWORD
	v_cndmask_b32_e64 v5, 0, v5, s[4:5]
	v_cndmask_b32_e64 v4, 0, v4, s[4:5]
	v_cmp_eq_u16_e64 s[6:7], 0, v9
	v_and_b32_e32 v9, 0x10000, v128
	v_lshl_add_u64 v[4:5], v[4:5], 0, v[6:7]
	v_cmp_ne_u32_e64 s[54:55], 0, v9
	v_and_b32_e32 v9, 0x1000000, v128
	v_cndmask_b32_e64 v5, 0, v5, s[6:7]
	v_cndmask_b32_e64 v4, 0, v4, s[6:7]
	v_cmp_ne_u32_e64 s[56:57], 0, v9
	v_and_b32_e32 v9, 1, v127
	v_lshl_add_u64 v[4:5], v[4:5], 0, v[26:27]
	v_cmp_eq_u16_sdwa s[8:9], v128, v8 src0_sel:BYTE_3 src1_sel:DWORD
	v_cmp_eq_u32_e64 s[58:59], 1, v9
	v_and_b32_e32 v9, 0x100, v127
	v_cndmask_b32_e64 v5, 0, v5, s[8:9]
	v_cndmask_b32_e64 v4, 0, v4, s[8:9]
	v_cmp_ne_u32_e64 s[60:61], 0, v9
	v_and_b32_sdwa v9, v127, s3 dst_sel:DWORD dst_unused:UNUSED_PAD src0_sel:WORD_1 src1_sel:DWORD
	v_lshl_add_u64 v[4:5], v[4:5], 0, v[18:19]
	v_cmp_eq_u16_sdwa s[10:11], v123, v8 src0_sel:BYTE_0 src1_sel:DWORD
	v_cmp_eq_u16_e64 s[16:17], 0, v9
	v_and_b32_e32 v9, 0x10000, v127
	v_cndmask_b32_e64 v5, 0, v5, s[10:11]
	v_cndmask_b32_e64 v4, 0, v4, s[10:11]
	v_cmp_ne_u32_e64 s[62:63], 0, v9
	v_and_b32_e32 v9, 0x1000000, v127
	v_lshl_add_u64 v[4:5], v[4:5], 0, v[34:35]
	v_cmp_eq_u16_sdwa s[12:13], v127, v8 src0_sel:BYTE_0 src1_sel:DWORD
	v_cmp_ne_u32_e64 s[66:67], 0, v9
	v_and_b32_e32 v9, 1, v126
	v_cndmask_b32_e64 v5, 0, v5, s[12:13]
	v_cndmask_b32_e64 v4, 0, v4, s[12:13]
	v_cmp_eq_u32_e64 s[68:69], 1, v9
	v_and_b32_e32 v9, 0x100, v126
	v_lshl_add_u64 v[4:5], v[4:5], 0, v[22:23]
	v_cmp_eq_u16_sdwa s[14:15], v41, v8 src0_sel:BYTE_0 src1_sel:DWORD
	v_cmp_ne_u32_e64 s[70:71], 0, v9
	v_and_b32_sdwa v9, v126, s3 dst_sel:DWORD dst_unused:UNUSED_PAD src0_sel:WORD_1 src1_sel:DWORD
	v_cndmask_b32_e64 v5, 0, v5, s[14:15]
	v_cndmask_b32_e64 v4, 0, v4, s[14:15]
	v_cmp_eq_u16_e64 s[26:27], 0, v9
	v_and_b32_e32 v9, 0x10000, v126
	v_lshl_add_u64 v[4:5], v[4:5], 0, v[42:43]
	v_cmp_ne_u32_e64 s[72:73], 0, v9
	v_and_b32_e32 v9, 0x1000000, v126
	v_cndmask_b32_e64 v5, 0, v5, s[16:17]
	v_cndmask_b32_e64 v4, 0, v4, s[16:17]
	v_cmp_ne_u32_e64 s[74:75], 0, v9
	v_and_b32_e32 v9, 1, v125
	v_lshl_add_u64 v[4:5], v[4:5], 0, v[30:31]
	v_cmp_eq_u16_sdwa s[18:19], v127, v8 src0_sel:BYTE_3 src1_sel:DWORD
	v_cmp_eq_u32_e64 s[76:77], 1, v9
	v_and_b32_e32 v9, 0x100, v125
	v_cndmask_b32_e64 v5, 0, v5, s[18:19]
	v_cndmask_b32_e64 v4, 0, v4, s[18:19]
	v_cmp_ne_u32_e64 s[78:79], 0, v9
	v_and_b32_sdwa v9, v125, s3 dst_sel:DWORD dst_unused:UNUSED_PAD src0_sel:WORD_1 src1_sel:DWORD
	v_lshl_add_u64 v[4:5], v[4:5], 0, v[50:51]
	v_cmp_eq_u16_sdwa s[20:21], v124, v8 src0_sel:BYTE_0 src1_sel:DWORD
	v_cmp_eq_u16_e64 s[38:39], 0, v9
	v_and_b32_e32 v9, 0x10000, v125
	v_cndmask_b32_e64 v5, 0, v5, s[20:21]
	v_cndmask_b32_e64 v4, 0, v4, s[20:21]
	v_cmp_ne_u32_e64 s[80:81], 0, v9
	v_and_b32_e32 v9, 0x1000000, v125
	v_lshl_add_u64 v[4:5], v[4:5], 0, v[38:39]
	v_cmp_eq_u16_sdwa s[22:23], v126, v8 src0_sel:BYTE_0 src1_sel:DWORD
	v_cmp_ne_u32_e64 s[82:83], 0, v9
	s_or_b64 s[50:51], s[50:51], s[82:83]
	v_cndmask_b32_e64 v5, 0, v5, s[22:23]
	v_cndmask_b32_e64 v4, 0, v4, s[22:23]
	v_lshl_add_u64 v[4:5], v[4:5], 0, v[58:59]
	v_cmp_eq_u16_sdwa s[24:25], v40, v8 src0_sel:BYTE_0 src1_sel:DWORD
	s_or_b64 s[50:51], s[50:51], s[80:81]
	s_or_b64 s[50:51], s[50:51], s[78:79]
	v_cndmask_b32_e64 v5, 0, v5, s[24:25]
	v_cndmask_b32_e64 v4, 0, v4, s[24:25]
	v_lshl_add_u64 v[4:5], v[4:5], 0, v[46:47]
	s_or_b64 s[50:51], s[50:51], s[76:77]
	v_cndmask_b32_e64 v5, 0, v5, s[26:27]
	v_cndmask_b32_e64 v4, 0, v4, s[26:27]
	s_or_b64 s[46:47], s[50:51], s[46:47]
	v_lshl_add_u64 v[4:5], v[4:5], 0, v[66:67]
	v_cmp_eq_u16_sdwa s[28:29], v126, v8 src0_sel:BYTE_3 src1_sel:DWORD
	s_or_b64 s[46:47], s[46:47], s[74:75]
	s_or_b64 s[46:47], s[46:47], s[72:73]
	v_cndmask_b32_e64 v5, 0, v5, s[28:29]
	v_cndmask_b32_e64 v4, 0, v4, s[28:29]
	v_lshl_add_u64 v[4:5], v[4:5], 0, v[54:55]
	v_cmp_eq_u16_sdwa s[30:31], v122, v8 src0_sel:BYTE_0 src1_sel:DWORD
	s_or_b64 s[46:47], s[46:47], s[70:71]
	s_or_b64 s[46:47], s[46:47], s[68:69]
	v_cndmask_b32_e64 v5, 0, v5, s[30:31]
	v_cndmask_b32_e64 v4, 0, v4, s[30:31]
	v_lshl_add_u64 v[4:5], v[4:5], 0, v[74:75]
	v_cmp_eq_u16_sdwa s[34:35], v125, v8 src0_sel:BYTE_0 src1_sel:DWORD
	;; [unrolled: 6-line block ×3, first 2 shown]
	s_or_b64 s[44:45], s[44:45], s[62:63]
	s_or_b64 s[44:45], s[44:45], s[60:61]
	v_cndmask_b32_e64 v5, 0, v5, s[36:37]
	v_cndmask_b32_e64 v4, 0, v4, s[36:37]
	v_lshl_add_u64 v[4:5], v[4:5], 0, v[78:79]
	s_or_b64 s[44:45], s[44:45], s[58:59]
	v_cndmask_b32_e64 v5, 0, v5, s[38:39]
	v_cndmask_b32_e64 v4, 0, v4, s[38:39]
	s_or_b64 s[44:45], s[44:45], vcc
	v_lshl_add_u64 v[4:5], v[4:5], 0, v[70:71]
	v_cmp_eq_u16_sdwa s[40:41], v125, v8 src0_sel:BYTE_3 src1_sel:DWORD
	s_or_b64 s[44:45], s[44:45], s[56:57]
	s_or_b64 s[44:45], s[44:45], s[54:55]
	v_cndmask_b32_e64 v5, 0, v5, s[40:41]
	v_cndmask_b32_e64 v4, 0, v4, s[40:41]
	v_lshl_add_u64 v[4:5], v[4:5], 0, v[10:11]
	v_cmp_eq_u16_sdwa s[42:43], v28, v8 src0_sel:BYTE_0 src1_sel:DWORD
	s_or_b64 s[44:45], s[44:45], s[52:53]
	v_and_b32_e32 v12, 0xff, v1
	v_cndmask_b32_e64 v5, 0, v5, s[42:43]
	v_cndmask_b32_e64 v4, 0, v4, s[42:43]
	s_or_b64 s[44:45], s[44:45], s[48:49]
	v_mbcnt_hi_u32_b32 v52, -1, v29
	v_lshl_add_u64 v[8:9], v[4:5], 0, v[16:17]
	v_cndmask_b32_e64 v12, v12, 1, s[44:45]
	v_and_b32_e32 v4, 15, v52
	v_mov_b32_dpp v13, v8 row_shr:1 row_mask:0xf bank_mask:0xf
	v_mov_b32_dpp v20, v9 row_shr:1 row_mask:0xf bank_mask:0xf
	;; [unrolled: 1-line block ×3, first 2 shown]
	v_cmp_ne_u32_e32 vcc, 0, v4
	s_and_saveexec_b64 s[44:45], vcc
; %bb.125:
	v_cmp_eq_u32_e32 vcc, 0, v12
	v_and_or_b32 v12, v5, 1, v12
	s_nop 0
	v_cndmask_b32_e32 v21, 0, v20, vcc
	v_cndmask_b32_e32 v20, 0, v13, vcc
	v_lshl_add_u64 v[8:9], v[20:21], 0, v[8:9]
; %bb.126:
	s_or_b64 exec, exec, s[44:45]
	s_nop 0
	v_mov_b32_dpp v13, v8 row_shr:2 row_mask:0xf bank_mask:0xf
	v_mov_b32_dpp v20, v9 row_shr:2 row_mask:0xf bank_mask:0xf
	v_mov_b32_dpp v5, v12 row_shr:2 row_mask:0xf bank_mask:0xf
	v_cmp_lt_u32_e32 vcc, 1, v4
	s_and_saveexec_b64 s[44:45], vcc
; %bb.127:
	v_cmp_eq_u32_e32 vcc, 0, v12
	v_or_b32_e32 v5, v5, v12
	v_and_b32_e32 v12, 1, v5
	v_cndmask_b32_e32 v21, 0, v20, vcc
	v_cndmask_b32_e32 v20, 0, v13, vcc
	v_lshl_add_u64 v[8:9], v[20:21], 0, v[8:9]
; %bb.128:
	s_or_b64 exec, exec, s[44:45]
	s_nop 0
	v_mov_b32_dpp v13, v8 row_shr:4 row_mask:0xf bank_mask:0xf
	v_mov_b32_dpp v20, v9 row_shr:4 row_mask:0xf bank_mask:0xf
	v_mov_b32_dpp v5, v12 row_shr:4 row_mask:0xf bank_mask:0xf
	v_cmp_lt_u32_e32 vcc, 3, v4
	s_and_saveexec_b64 s[44:45], vcc
; %bb.129:
	v_cmp_eq_u32_e32 vcc, 0, v12
	v_or_b32_e32 v5, v5, v12
	v_and_b32_e32 v12, 1, v5
	;; [unrolled: 15-line block ×3, first 2 shown]
	v_cndmask_b32_e32 v21, 0, v20, vcc
	v_cndmask_b32_e32 v20, 0, v13, vcc
	v_lshl_add_u64 v[8:9], v[20:21], 0, v[8:9]
; %bb.132:
	s_or_b64 exec, exec, s[44:45]
	v_and_b32_e32 v20, 16, v52
	v_mov_b32_dpp v5, v8 row_bcast:15 row_mask:0xf bank_mask:0xf
	v_mov_b32_dpp v13, v9 row_bcast:15 row_mask:0xf bank_mask:0xf
	;; [unrolled: 1-line block ×3, first 2 shown]
	v_cmp_ne_u32_e32 vcc, 0, v20
	s_and_saveexec_b64 s[44:45], vcc
; %bb.133:
	v_cmp_eq_u32_e32 vcc, 0, v12
	v_or_b32_e32 v4, v4, v12
	v_and_b32_e32 v12, 1, v4
	v_cndmask_b32_e32 v21, 0, v13, vcc
	v_cndmask_b32_e32 v20, 0, v5, vcc
	v_lshl_add_u64 v[8:9], v[20:21], 0, v[8:9]
; %bb.134:
	s_or_b64 exec, exec, s[44:45]
	s_nop 0
	v_mov_b32_dpp v13, v8 row_bcast:31 row_mask:0xf bank_mask:0xf
	v_mov_b32_dpp v20, v9 row_bcast:31 row_mask:0xf bank_mask:0xf
	;; [unrolled: 1-line block ×3, first 2 shown]
	v_cmp_lt_u32_e32 vcc, 31, v52
	v_mov_b32_e32 v4, v12
	s_and_saveexec_b64 s[44:45], vcc
; %bb.135:
	v_cmp_eq_u32_e32 vcc, 0, v12
	v_or_b32_e32 v5, v5, v12
	v_and_b32_e32 v4, 1, v5
	v_cndmask_b32_e32 v21, 0, v20, vcc
	v_cndmask_b32_e32 v20, 0, v13, vcc
	v_lshl_add_u64 v[8:9], v[20:21], 0, v[8:9]
	v_and_b32_e32 v12, 1, v5
; %bb.136:
	s_or_b64 exec, exec, s[44:45]
	v_or_b32_e32 v5, 63, v0
	v_lshrrev_b32_e32 v13, 6, v0
	v_cmp_eq_u32_e32 vcc, v5, v0
	s_and_saveexec_b64 s[44:45], vcc
	s_cbranch_execz .LBB1333_138
; %bb.137:
	v_lshlrev_b32_e32 v5, 4, v13
	ds_write_b64 v5, v[8:9]
	ds_write_b8 v5, v4 offset:8
.LBB1333_138:
	s_or_b64 exec, exec, s[44:45]
	v_cmp_gt_u32_e32 vcc, 4, v0
	s_waitcnt lgkmcnt(0)
	s_barrier
	s_and_saveexec_b64 s[46:47], vcc
	s_cbranch_execz .LBB1333_144
; %bb.139:
	v_lshlrev_b32_e32 v20, 4, v0
	ds_read_b64 v[4:5], v20
	ds_read_b32 v21, v20 offset:8
	v_and_b32_e32 v24, 3, v52
	v_cmp_ne_u32_e32 vcc, 0, v24
	s_waitcnt lgkmcnt(1)
	v_mov_b32_dpp v48, v4 row_shr:1 row_mask:0xf bank_mask:0xf
	v_mov_b32_dpp v49, v5 row_shr:1 row_mask:0xf bank_mask:0xf
	s_waitcnt lgkmcnt(0)
	v_mov_b32_dpp v45, v21 row_shr:1 row_mask:0xf bank_mask:0xf
	v_mov_b32_e32 v25, v21
	v_mov_b32_e32 v44, v21
	s_and_saveexec_b64 s[44:45], vcc
; %bb.140:
	v_mov_b32_e32 v25, 0
	v_cmp_eq_u16_sdwa vcc, v21, v25 src0_sel:BYTE_0 src1_sel:DWORD
	v_or_b32_e32 v44, v45, v21
	v_and_b32_e32 v25, 1, v44
	v_cndmask_b32_e32 v49, 0, v49, vcc
	v_cndmask_b32_e32 v48, 0, v48, vcc
	v_and_b32_e32 v44, 1, v44
	s_movk_i32 s3, 0xff00
	v_lshl_add_u64 v[4:5], v[48:49], 0, v[4:5]
	v_and_or_b32 v21, v21, s3, v44
; %bb.141:
	s_or_b64 exec, exec, s[44:45]
	v_mov_b32_dpp v45, v4 row_shr:2 row_mask:0xf bank_mask:0xf
	v_mov_b32_dpp v48, v5 row_shr:2 row_mask:0xf bank_mask:0xf
	;; [unrolled: 1-line block ×3, first 2 shown]
	v_cmp_lt_u32_e32 vcc, 1, v24
	s_and_saveexec_b64 s[48:49], vcc
; %bb.142:
	v_mov_b32_e32 v24, 0
	v_cmp_eq_u16_sdwa vcc, v44, v24 src0_sel:BYTE_0 src1_sel:DWORD
	v_and_b32_e32 v21, 1, v21
	v_cmp_eq_u32_e64 s[44:45], 1, v21
	v_cndmask_b32_e32 v25, 0, v48, vcc
	v_cndmask_b32_e32 v24, 0, v45, vcc
	v_lshl_add_u64 v[4:5], v[24:25], 0, v[4:5]
	v_and_b32_e32 v24, 1, v44
	v_cmp_eq_u32_e32 vcc, 1, v24
	s_or_b64 s[44:45], vcc, s[44:45]
	v_cndmask_b32_e64 v25, 0, 1, s[44:45]
; %bb.143:
	s_or_b64 exec, exec, s[48:49]
	ds_write_b64 v20, v[4:5]
	ds_write_b8 v20, v25 offset:8
.LBB1333_144:
	s_or_b64 exec, exec, s[46:47]
	v_cmp_gt_u32_e32 vcc, 64, v0
	v_cmp_lt_u32_e64 s[44:45], 63, v0
	v_mov_b32_e32 v44, 0
	v_mov_b64_e32 v[4:5], 0
	s_waitcnt lgkmcnt(0)
	s_barrier
	s_and_saveexec_b64 s[46:47], s[44:45]
	s_cbranch_execz .LBB1333_146
; %bb.145:
	v_lshl_add_u32 v13, v13, 4, -16
	ds_read_b64 v[4:5], v13
	ds_read_u8 v44, v13 offset:8
	v_and_b32_e32 v20, 1, v12
	v_cmp_eq_u32_e64 s[44:45], 0, v12
	s_waitcnt lgkmcnt(1)
	s_nop 0
	v_cndmask_b32_e64 v13, 0, v5, s[44:45]
	v_cndmask_b32_e64 v12, 0, v4, s[44:45]
	v_cmp_eq_u32_e64 s[44:45], 1, v20
	v_lshl_add_u64 v[8:9], v[12:13], 0, v[8:9]
	s_waitcnt lgkmcnt(0)
	v_cndmask_b32_e64 v12, v44, 1, s[44:45]
.LBB1333_146:
	s_or_b64 exec, exec, s[46:47]
	v_add_u32_e32 v13, -1, v52
	v_and_b32_e32 v20, 64, v52
	v_cmp_lt_i32_e64 s[44:45], v13, v20
	s_nop 1
	v_cndmask_b32_e64 v13, v13, v52, s[44:45]
	v_lshlrev_b32_e32 v13, 2, v13
	ds_bpermute_b32 v45, v13, v8
	ds_bpermute_b32 v48, v13, v9
	;; [unrolled: 1-line block ×3, first 2 shown]
	v_cmp_eq_u32_e64 s[44:45], 0, v52
	s_and_saveexec_b64 s[48:49], vcc
	s_cbranch_execz .LBB1333_193
; %bb.147:
	v_mov_b32_e32 v13, 0
	ds_read2_b64 v[80:83], v13 offset0:6 offset1:7
	s_and_saveexec_b64 s[46:47], s[44:45]
	s_cbranch_execz .LBB1333_149
; %bb.148:
	s_add_i32 s50, s2, 64
	s_mov_b32 s51, 0
	s_lshl_b64 s[52:53], s[50:51], 4
	s_add_u32 s52, s84, s52
	s_addc_u32 s53, s85, s53
	v_mov_b32_e32 v8, s50
	v_mov_b32_e32 v9, 1
	s_waitcnt lgkmcnt(0)
	global_store_dword v13, v80, s[52:53] sc1
	global_store_dword v13, v81, s[52:53] offset:4 sc1
	global_store_dword v13, v82, s[52:53] offset:8 sc1
	;; [unrolled: 1-line block ×3, first 2 shown]
	s_waitcnt vmcnt(0)
	global_store_byte v8, v9, s[88:89] sc1
.LBB1333_149:
	s_or_b64 exec, exec, s[46:47]
	v_xad_u32 v8, v52, -1, s2
	v_add_u32_e32 v12, 64, v8
	global_load_ubyte v53, v12, s[88:89] sc1
	s_waitcnt vmcnt(0)
	v_cmp_eq_u16_e32 vcc, 0, v53
	s_and_saveexec_b64 s[46:47], vcc
	s_cbranch_execz .LBB1333_155
; %bb.150:
	v_lshl_add_u64 v[20:21], s[88:89], 0, v[12:13]
	s_mov_b32 s3, 1
	s_mov_b64 s[50:51], 0
.LBB1333_151:                           ; =>This Loop Header: Depth=1
                                        ;     Child Loop BB1333_152 Depth 2
	s_max_u32 s52, s3, 1
.LBB1333_152:                           ;   Parent Loop BB1333_151 Depth=1
                                        ; =>  This Inner Loop Header: Depth=2
	s_add_i32 s52, s52, -1
	s_cmp_eq_u32 s52, 0
	s_sleep 1
	s_cbranch_scc0 .LBB1333_152
; %bb.153:                              ;   in Loop: Header=BB1333_151 Depth=1
	global_load_ubyte v53, v[20:21], off sc1
	s_cmp_lt_u32 s3, 32
	s_cselect_b64 s[52:53], -1, 0
	s_cmp_lg_u64 s[52:53], 0
	s_addc_u32 s3, s3, 0
	s_waitcnt vmcnt(0)
	v_cmp_ne_u16_e32 vcc, 0, v53
	s_or_b64 s[50:51], vcc, s[50:51]
	s_andn2_b64 exec, exec, s[50:51]
	s_cbranch_execnz .LBB1333_151
; %bb.154:
	s_or_b64 exec, exec, s[50:51]
.LBB1333_155:
	s_or_b64 exec, exec, s[46:47]
	v_mov_b32_e32 v9, s87
	v_mov_b32_e32 v20, s85
	v_cmp_eq_u16_e32 vcc, 1, v53
	s_waitcnt vmcnt(0) lgkmcnt(0)
	s_nop 0
	v_cndmask_b32_e32 v21, v9, v20, vcc
	v_mov_b32_e32 v9, s86
	v_mov_b32_e32 v20, s84
	v_cndmask_b32_e32 v20, v9, v20, vcc
	v_lshl_add_u64 v[12:13], v[12:13], 4, v[20:21]
	global_load_dword v24, v[12:13], off sc1
	global_load_dword v25, v[12:13], off offset:4 sc1
	global_load_dword v84, v[12:13], off offset:8 sc1
	;; [unrolled: 1-line block ×3, first 2 shown]
	v_cmp_eq_u16_e32 vcc, 2, v53
	v_lshlrev_b64 v[12:13], v52, -1
	v_and_b32_e32 v56, 63, v52
	s_waitcnt vmcnt(0)
	v_and_b32_e32 v9, vcc_hi, v13
	v_and_b32_e32 v64, vcc_lo, v12
	v_cmp_ne_u32_e32 vcc, 63, v56
	v_or_b32_e32 v9, 0x80000000, v9
	v_ffbl_b32_e32 v9, v9
	v_addc_co_u32_e32 v20, vcc, 0, v52, vcc
	v_lshlrev_b32_e32 v57, 2, v20
	v_add_u32_e32 v9, 32, v9
	v_ffbl_b32_e32 v64, v64
	v_min_u32_e32 v9, v64, v9
	v_cmp_lt_u32_e32 vcc, v56, v9
	ds_bpermute_b32 v60, v57, v24
	ds_bpermute_b32 v61, v57, v25
	v_and_b32_e32 v20, 0xff, v84
	ds_bpermute_b32 v21, v57, v20
	s_and_saveexec_b64 s[46:47], vcc
	s_cbranch_execz .LBB1333_157
; %bb.156:
	v_mov_b32_e32 v20, 0
	v_cmp_eq_u16_sdwa vcc, v84, v20 src0_sel:BYTE_0 src1_sel:DWORD
	s_waitcnt lgkmcnt(0)
	v_or_b32_e32 v20, v21, v84
	v_and_b32_e32 v84, 1, v20
	v_cndmask_b32_e32 v61, 0, v61, vcc
	v_cndmask_b32_e32 v60, 0, v60, vcc
	v_lshl_add_u64 v[24:25], v[60:61], 0, v[24:25]
	v_and_b32_e32 v20, 1, v20
.LBB1333_157:
	s_or_b64 exec, exec, s[46:47]
	v_cmp_gt_u32_e32 vcc, 62, v56
	s_waitcnt lgkmcnt(1)
	v_add_u32_e32 v61, 2, v56
	s_waitcnt lgkmcnt(0)
	v_cndmask_b32_e64 v21, 0, 1, vcc
	v_lshlrev_b32_e32 v21, 1, v21
	v_add_lshl_u32 v60, v21, v52, 2
	ds_bpermute_b32 v64, v60, v24
	ds_bpermute_b32 v65, v60, v25
	ds_bpermute_b32 v21, v60, v20
	v_cmp_le_u32_e32 vcc, v61, v9
	s_and_saveexec_b64 s[50:51], vcc
	s_cbranch_execz .LBB1333_159
; %bb.158:
	v_mov_b32_e32 v20, 0
	v_cmp_eq_u16_sdwa vcc, v84, v20 src0_sel:BYTE_0 src1_sel:DWORD
	v_and_b32_e32 v20, 1, v84
	s_waitcnt lgkmcnt(1)
	v_cndmask_b32_e32 v65, 0, v65, vcc
	v_cndmask_b32_e32 v64, 0, v64, vcc
	v_cmp_eq_u32_e32 vcc, 1, v20
	s_waitcnt lgkmcnt(0)
	v_and_b32_e32 v20, 1, v21
	v_cmp_eq_u32_e64 s[46:47], 1, v20
	s_or_b64 s[46:47], vcc, s[46:47]
	v_lshl_add_u64 v[24:25], v[64:65], 0, v[24:25]
	v_cndmask_b32_e64 v84, 0, 1, s[46:47]
	v_cndmask_b32_e64 v20, 0, 1, s[46:47]
.LBB1333_159:
	s_or_b64 exec, exec, s[50:51]
	v_cmp_gt_u32_e32 vcc, 60, v56
	s_waitcnt lgkmcnt(1)
	v_add_u32_e32 v65, 4, v56
	s_waitcnt lgkmcnt(0)
	v_cndmask_b32_e64 v21, 0, 1, vcc
	v_lshlrev_b32_e32 v21, 2, v21
	v_add_lshl_u32 v64, v21, v52, 2
	ds_bpermute_b32 v68, v64, v24
	ds_bpermute_b32 v69, v64, v25
	ds_bpermute_b32 v21, v64, v20
	v_cmp_le_u32_e32 vcc, v65, v9
	s_and_saveexec_b64 s[50:51], vcc
	s_cbranch_execz .LBB1333_161
; %bb.160:
	v_mov_b32_e32 v20, 0
	v_cmp_eq_u16_sdwa vcc, v84, v20 src0_sel:BYTE_0 src1_sel:DWORD
	v_and_b32_e32 v20, 1, v84
	s_waitcnt lgkmcnt(1)
	v_cndmask_b32_e32 v69, 0, v69, vcc
	v_cndmask_b32_e32 v68, 0, v68, vcc
	v_cmp_eq_u32_e32 vcc, 1, v20
	s_waitcnt lgkmcnt(0)
	v_and_b32_e32 v20, 1, v21
	v_cmp_eq_u32_e64 s[46:47], 1, v20
	s_or_b64 s[46:47], vcc, s[46:47]
	v_lshl_add_u64 v[24:25], v[68:69], 0, v[24:25]
	v_cndmask_b32_e64 v84, 0, 1, s[46:47]
	v_cndmask_b32_e64 v20, 0, 1, s[46:47]
.LBB1333_161:
	;; [unrolled: 30-line block ×4, first 2 shown]
	s_or_b64 exec, exec, s[50:51]
	v_cmp_gt_u32_e32 vcc, 32, v56
	s_waitcnt lgkmcnt(1)
	v_add_u32_e32 v77, 32, v56
	s_waitcnt lgkmcnt(0)
	v_cndmask_b32_e64 v21, 0, 1, vcc
	v_lshlrev_b32_e32 v21, 5, v21
	v_add_lshl_u32 v76, v21, v52, 2
	ds_bpermute_b32 v21, v76, v24
	ds_bpermute_b32 v52, v76, v25
	;; [unrolled: 1-line block ×3, first 2 shown]
	v_cmp_le_u32_e32 vcc, v77, v9
	s_and_saveexec_b64 s[50:51], vcc
	s_cbranch_execz .LBB1333_167
; %bb.166:
	v_mov_b32_e32 v9, 0
	v_cmp_eq_u16_sdwa vcc, v84, v9 src0_sel:BYTE_0 src1_sel:DWORD
	v_and_b32_e32 v9, 1, v84
	s_waitcnt lgkmcnt(1)
	v_cndmask_b32_e32 v87, 0, v52, vcc
	v_cndmask_b32_e32 v86, 0, v21, vcc
	v_cmp_eq_u32_e32 vcc, 1, v9
	s_waitcnt lgkmcnt(0)
	v_and_b32_e32 v9, 1, v20
	v_cmp_eq_u32_e64 s[46:47], 1, v9
	s_or_b64 s[46:47], vcc, s[46:47]
	v_lshl_add_u64 v[24:25], v[86:87], 0, v[24:25]
	v_cndmask_b32_e64 v84, 0, 1, s[46:47]
.LBB1333_167:
	s_or_b64 exec, exec, s[50:51]
	v_mov_b32_e32 v9, 0
	v_mov_b32_e32 v83, 2
	s_branch .LBB1333_169
.LBB1333_168:                           ;   in Loop: Header=BB1333_169 Depth=1
	s_or_b64 exec, exec, s[52:53]
	v_cmp_eq_u16_sdwa vcc, v52, v9 src0_sel:BYTE_0 src1_sel:DWORD
	v_and_b32_e32 v84, 1, v52
	v_subrev_u32_e32 v8, 64, v8
	v_cndmask_b32_e32 v25, 0, v25, vcc
	v_cndmask_b32_e32 v24, 0, v24, vcc
	v_cmp_eq_u32_e32 vcc, 1, v84
	s_or_b64 s[46:47], vcc, s[50:51]
	v_lshl_add_u64 v[24:25], v[24:25], 0, v[20:21]
	v_cndmask_b32_e64 v84, 0, 1, s[46:47]
.LBB1333_169:                           ; =>This Loop Header: Depth=1
                                        ;     Child Loop BB1333_172 Depth 2
                                        ;       Child Loop BB1333_173 Depth 3
	v_cmp_ne_u16_sdwa s[46:47], v53, v83 src0_sel:BYTE_0 src1_sel:DWORD
	s_waitcnt lgkmcnt(1)
	v_mov_b32_e32 v52, v84
	s_waitcnt lgkmcnt(0)
	v_cndmask_b32_e64 v20, 0, 1, s[46:47]
	;;#ASMSTART
	;;#ASMEND
	s_nop 0
	v_cmp_ne_u32_e32 vcc, 0, v20
	s_cmp_lg_u64 vcc, exec
	v_mov_b64_e32 v[20:21], v[24:25]
	s_cbranch_scc1 .LBB1333_188
; %bb.170:                              ;   in Loop: Header=BB1333_169 Depth=1
	global_load_ubyte v53, v8, s[88:89] sc1
	s_waitcnt vmcnt(0)
	v_cmp_eq_u16_e32 vcc, 0, v53
	s_and_saveexec_b64 s[46:47], vcc
	s_cbranch_execz .LBB1333_176
; %bb.171:                              ;   in Loop: Header=BB1333_169 Depth=1
	v_lshl_add_u64 v[24:25], s[88:89], 0, v[8:9]
	s_mov_b32 s3, 1
	s_mov_b64 s[50:51], 0
.LBB1333_172:                           ;   Parent Loop BB1333_169 Depth=1
                                        ; =>  This Loop Header: Depth=2
                                        ;       Child Loop BB1333_173 Depth 3
	s_max_u32 s52, s3, 1
.LBB1333_173:                           ;   Parent Loop BB1333_169 Depth=1
                                        ;     Parent Loop BB1333_172 Depth=2
                                        ; =>    This Inner Loop Header: Depth=3
	s_add_i32 s52, s52, -1
	s_cmp_eq_u32 s52, 0
	s_sleep 1
	s_cbranch_scc0 .LBB1333_173
; %bb.174:                              ;   in Loop: Header=BB1333_172 Depth=2
	global_load_ubyte v53, v[24:25], off sc1
	s_cmp_lt_u32 s3, 32
	s_cselect_b64 s[52:53], -1, 0
	s_cmp_lg_u64 s[52:53], 0
	s_addc_u32 s3, s3, 0
	s_waitcnt vmcnt(0)
	v_cmp_ne_u16_e32 vcc, 0, v53
	s_or_b64 s[50:51], vcc, s[50:51]
	s_andn2_b64 exec, exec, s[50:51]
	s_cbranch_execnz .LBB1333_172
; %bb.175:                              ;   in Loop: Header=BB1333_169 Depth=1
	s_or_b64 exec, exec, s[50:51]
.LBB1333_176:                           ;   in Loop: Header=BB1333_169 Depth=1
	s_or_b64 exec, exec, s[46:47]
	v_mov_b32_e32 v24, s87
	v_mov_b32_e32 v25, s85
	v_cmp_eq_u16_e32 vcc, 1, v53
	v_mov_b32_e32 v84, s84
	s_waitcnt vmcnt(0)
	v_cndmask_b32_e32 v25, v24, v25, vcc
	v_mov_b32_e32 v24, s86
	v_cndmask_b32_e32 v24, v24, v84, vcc
	v_lshl_add_u64 v[86:87], v[8:9], 4, v[24:25]
	global_load_dword v24, v[86:87], off sc1
	global_load_dword v25, v[86:87], off offset:4 sc1
	global_load_dword v84, v[86:87], off offset:8 sc1
	;; [unrolled: 1-line block ×3, first 2 shown]
	v_cmp_eq_u16_e32 vcc, 2, v53
	s_waitcnt vmcnt(3)
	ds_bpermute_b32 v88, v57, v24
	s_waitcnt vmcnt(0)
	v_and_b32_e32 v85, vcc_hi, v13
	v_and_b32_e32 v86, 0xff, v84
	v_or_b32_e32 v85, 0x80000000, v85
	ds_bpermute_b32 v89, v57, v25
	ds_bpermute_b32 v87, v57, v86
	v_and_b32_e32 v90, vcc_lo, v12
	v_ffbl_b32_e32 v85, v85
	v_add_u32_e32 v85, 32, v85
	v_ffbl_b32_e32 v90, v90
	v_min_u32_e32 v85, v90, v85
	v_cmp_lt_u32_e32 vcc, v56, v85
	s_and_saveexec_b64 s[46:47], vcc
	s_cbranch_execz .LBB1333_178
; %bb.177:                              ;   in Loop: Header=BB1333_169 Depth=1
	v_cmp_eq_u16_sdwa vcc, v84, v9 src0_sel:BYTE_0 src1_sel:DWORD
	s_waitcnt lgkmcnt(0)
	v_or_b32_e32 v86, v87, v84
	v_and_b32_e32 v84, 1, v86
	v_cndmask_b32_e32 v89, 0, v89, vcc
	v_cndmask_b32_e32 v88, 0, v88, vcc
	v_lshl_add_u64 v[24:25], v[88:89], 0, v[24:25]
	v_and_b32_e32 v86, 1, v86
.LBB1333_178:                           ;   in Loop: Header=BB1333_169 Depth=1
	s_or_b64 exec, exec, s[46:47]
	s_waitcnt lgkmcnt(2)
	ds_bpermute_b32 v88, v60, v24
	s_waitcnt lgkmcnt(2)
	ds_bpermute_b32 v89, v60, v25
	;; [unrolled: 2-line block ×3, first 2 shown]
	v_and_b32_e32 v90, 1, v84
	v_cmp_le_u32_e32 vcc, v61, v85
	v_cmp_eq_u32_e64 s[50:51], 1, v90
	s_and_saveexec_b64 s[46:47], vcc
	s_cbranch_execz .LBB1333_180
; %bb.179:                              ;   in Loop: Header=BB1333_169 Depth=1
	v_cmp_eq_u16_sdwa vcc, v84, v9 src0_sel:BYTE_0 src1_sel:DWORD
	s_waitcnt lgkmcnt(0)
	v_and_b32_e32 v84, 1, v87
	v_cndmask_b32_e32 v89, 0, v89, vcc
	v_cndmask_b32_e32 v88, 0, v88, vcc
	v_cmp_eq_u32_e32 vcc, 1, v84
	s_or_b64 s[52:53], s[50:51], vcc
	v_cndmask_b32_e64 v84, 0, 1, s[52:53]
	v_cndmask_b32_e64 v86, 0, 1, s[52:53]
	s_andn2_b64 s[50:51], s[50:51], exec
	s_and_b64 s[52:53], s[52:53], exec
	v_lshl_add_u64 v[24:25], v[88:89], 0, v[24:25]
	s_or_b64 s[50:51], s[50:51], s[52:53]
.LBB1333_180:                           ;   in Loop: Header=BB1333_169 Depth=1
	s_or_b64 exec, exec, s[46:47]
	s_waitcnt lgkmcnt(2)
	ds_bpermute_b32 v88, v64, v24
	s_waitcnt lgkmcnt(2)
	ds_bpermute_b32 v89, v64, v25
	s_waitcnt lgkmcnt(2)
	ds_bpermute_b32 v87, v64, v86
	v_cmp_le_u32_e32 vcc, v65, v85
	s_and_saveexec_b64 s[52:53], vcc
	s_cbranch_execz .LBB1333_182
; %bb.181:                              ;   in Loop: Header=BB1333_169 Depth=1
	v_cmp_eq_u16_sdwa vcc, v84, v9 src0_sel:BYTE_0 src1_sel:DWORD
	v_and_b32_e32 v84, 1, v84
	s_andn2_b64 s[50:51], s[50:51], exec
	s_waitcnt lgkmcnt(1)
	v_cndmask_b32_e32 v89, 0, v89, vcc
	v_cndmask_b32_e32 v88, 0, v88, vcc
	v_cmp_eq_u32_e32 vcc, 1, v84
	s_waitcnt lgkmcnt(0)
	v_and_b32_e32 v84, 1, v87
	v_cmp_eq_u32_e64 s[46:47], 1, v84
	s_or_b64 s[46:47], vcc, s[46:47]
	v_lshl_add_u64 v[24:25], v[88:89], 0, v[24:25]
	v_cndmask_b32_e64 v84, 0, 1, s[46:47]
	v_cndmask_b32_e64 v86, 0, 1, s[46:47]
	s_and_b64 s[46:47], s[46:47], exec
	s_or_b64 s[50:51], s[50:51], s[46:47]
.LBB1333_182:                           ;   in Loop: Header=BB1333_169 Depth=1
	s_or_b64 exec, exec, s[52:53]
	s_waitcnt lgkmcnt(2)
	ds_bpermute_b32 v88, v68, v24
	s_waitcnt lgkmcnt(2)
	ds_bpermute_b32 v89, v68, v25
	s_waitcnt lgkmcnt(2)
	ds_bpermute_b32 v87, v68, v86
	v_cmp_le_u32_e32 vcc, v69, v85
	s_and_saveexec_b64 s[52:53], vcc
	s_cbranch_execz .LBB1333_184
; %bb.183:                              ;   in Loop: Header=BB1333_169 Depth=1
	v_cmp_eq_u16_sdwa vcc, v84, v9 src0_sel:BYTE_0 src1_sel:DWORD
	v_and_b32_e32 v84, 1, v84
	s_andn2_b64 s[50:51], s[50:51], exec
	s_waitcnt lgkmcnt(1)
	v_cndmask_b32_e32 v89, 0, v89, vcc
	v_cndmask_b32_e32 v88, 0, v88, vcc
	v_cmp_eq_u32_e32 vcc, 1, v84
	s_waitcnt lgkmcnt(0)
	v_and_b32_e32 v84, 1, v87
	v_cmp_eq_u32_e64 s[46:47], 1, v84
	s_or_b64 s[46:47], vcc, s[46:47]
	v_lshl_add_u64 v[24:25], v[88:89], 0, v[24:25]
	v_cndmask_b32_e64 v84, 0, 1, s[46:47]
	v_cndmask_b32_e64 v86, 0, 1, s[46:47]
	s_and_b64 s[46:47], s[46:47], exec
	s_or_b64 s[50:51], s[50:51], s[46:47]
.LBB1333_184:                           ;   in Loop: Header=BB1333_169 Depth=1
	;; [unrolled: 28-line block ×3, first 2 shown]
	s_or_b64 exec, exec, s[52:53]
	s_waitcnt lgkmcnt(0)
	ds_bpermute_b32 v87, v76, v24
	ds_bpermute_b32 v88, v76, v25
	;; [unrolled: 1-line block ×3, first 2 shown]
	v_cmp_le_u32_e32 vcc, v77, v85
	s_and_saveexec_b64 s[52:53], vcc
	s_cbranch_execz .LBB1333_168
; %bb.187:                              ;   in Loop: Header=BB1333_169 Depth=1
	v_cmp_eq_u16_sdwa vcc, v84, v9 src0_sel:BYTE_0 src1_sel:DWORD
	v_and_b32_e32 v84, 1, v84
	s_andn2_b64 s[50:51], s[50:51], exec
	s_waitcnt lgkmcnt(1)
	v_cndmask_b32_e32 v89, 0, v88, vcc
	v_cndmask_b32_e32 v88, 0, v87, vcc
	v_cmp_eq_u32_e32 vcc, 1, v84
	s_waitcnt lgkmcnt(0)
	v_and_b32_e32 v84, 1, v86
	v_cmp_eq_u32_e64 s[46:47], 1, v84
	s_or_b64 s[46:47], vcc, s[46:47]
	s_and_b64 s[46:47], s[46:47], exec
	v_lshl_add_u64 v[24:25], v[88:89], 0, v[24:25]
	s_or_b64 s[50:51], s[50:51], s[46:47]
	s_branch .LBB1333_168
.LBB1333_188:                           ;   in Loop: Header=BB1333_169 Depth=1
                                        ; implicit-def: $vgpr84
                                        ; implicit-def: $vgpr24_vgpr25
                                        ; implicit-def: $vgpr53
	s_cbranch_execz .LBB1333_169
; %bb.189:
	s_and_saveexec_b64 s[46:47], s[44:45]
	s_cbranch_execz .LBB1333_191
; %bb.190:
	s_mov_b32 s3, 0
	v_mov_b32_e32 v12, 0
	s_add_i32 s2, s2, 64
	v_cmp_eq_u32_sdwa vcc, v82, v12 src0_sel:BYTE_0 src1_sel:DWORD
	s_lshl_b64 s[50:51], s[2:3], 4
	v_and_b32_e32 v13, 1, v82
	v_cndmask_b32_e32 v9, 0, v21, vcc
	v_cndmask_b32_e32 v8, 0, v20, vcc
	s_add_u32 s50, s86, s50
	v_lshl_add_u64 v[8:9], v[8:9], 0, v[80:81]
	v_and_b32_e32 v24, 1, v52
	v_cmp_eq_u32_e32 vcc, 1, v13
	s_addc_u32 s51, s87, s51
	s_nop 0
	v_cndmask_b32_e64 v13, v24, 1, vcc
	global_store_dword v12, v8, s[50:51] sc1
	global_store_dword v12, v9, s[50:51] offset:4 sc1
	global_store_dword v12, v13, s[50:51] offset:8 sc1
	;; [unrolled: 1-line block ×3, first 2 shown]
	v_mov_b32_e32 v8, s2
	v_mov_b32_e32 v9, 2
	s_waitcnt vmcnt(0) lgkmcnt(0)
	global_store_byte v8, v9, s[88:89] sc1
.LBB1333_191:
	s_or_b64 exec, exec, s[46:47]
	v_cmp_eq_u32_e32 vcc, 0, v0
	s_and_b64 exec, exec, vcc
	s_cbranch_execz .LBB1333_193
; %bb.192:
	v_mov_b32_e32 v8, 0
	ds_write_b64 v8, v[20:21] offset:48
	ds_write_b8 v8, v52 offset:56
.LBB1333_193:
	s_or_b64 exec, exec, s[48:49]
	s_waitcnt lgkmcnt(0)
	v_cndmask_b32_e64 v8, v49, v44, s[44:45]
	v_mov_b32_e32 v13, 0
	v_cndmask_b32_e64 v9, v48, v5, s[44:45]
	v_cndmask_b32_e64 v12, v45, v4, s[44:45]
	v_cmp_eq_u16_sdwa vcc, v1, v13 src0_sel:BYTE_0 src1_sel:DWORD
	v_and_b32_e32 v20, 1, v1
	v_and_b32_e32 v8, 1, v8
	s_barrier
	ds_read_b64 v[4:5], v13 offset:48
	v_cndmask_b32_e32 v12, 0, v12, vcc
	v_cndmask_b32_e32 v9, 0, v9, vcc
	v_cmp_eq_u32_e32 vcc, 1, v20
	v_cmp_eq_u32_e64 s[2:3], 1, v8
	s_or_b64 s[2:3], vcc, s[2:3]
	v_cmp_eq_u32_e32 vcc, 0, v0
	v_cndmask_b32_e64 v8, 0, 1, s[2:3]
	s_nop 0
	v_cndmask_b32_e32 v20, v8, v1, vcc
	v_cndmask_b32_e64 v9, v9, 0, vcc
	v_cndmask_b32_e64 v8, v12, 0, vcc
	v_cmp_eq_u16_sdwa vcc, v20, v13 src0_sel:BYTE_0 src1_sel:DWORD
	v_lshl_add_u64 v[8:9], v[8:9], 0, v[2:3]
	s_waitcnt lgkmcnt(0)
	v_cndmask_b32_e32 v5, 0, v5, vcc
	v_cndmask_b32_e32 v4, 0, v4, vcc
	v_lshl_add_u64 v[114:115], v[8:9], 0, v[4:5]
	v_cndmask_b32_e64 v5, 0, v115, s[64:65]
	v_cndmask_b32_e64 v4, 0, v114, s[64:65]
	v_lshl_add_u64 v[44:45], v[4:5], 0, v[14:15]
	v_cndmask_b32_e64 v5, 0, v45, s[4:5]
	v_cndmask_b32_e64 v4, 0, v44, s[4:5]
	;; [unrolled: 3-line block ×20, first 2 shown]
	v_lshl_add_u64 v[120:121], v[4:5], 0, v[16:17]
	s_branch .LBB1333_224
.LBB1333_194:
                                        ; implicit-def: $vgpr112_vgpr113_vgpr114_vgpr115
                                        ; implicit-def: $vgpr120_vgpr121
                                        ; implicit-def: $vgpr118_vgpr119
                                        ; implicit-def: $vgpr76_vgpr77
                                        ; implicit-def: $vgpr72_vgpr73
                                        ; implicit-def: $vgpr68_vgpr69
                                        ; implicit-def: $vgpr64_vgpr65
                                        ; implicit-def: $vgpr60_vgpr61
                                        ; implicit-def: $vgpr56_vgpr57
                                        ; implicit-def: $vgpr52_vgpr53
                                        ; implicit-def: $vgpr48_vgpr49
                                        ; implicit-def: $vgpr44_vgpr45
                                        ; implicit-def: $vgpr108_vgpr109_vgpr110_vgpr111
                                        ; implicit-def: $vgpr104_vgpr105_vgpr106_vgpr107
                                        ; implicit-def: $vgpr100_vgpr101_vgpr102_vgpr103
                                        ; implicit-def: $vgpr96_vgpr97_vgpr98_vgpr99
                                        ; implicit-def: $vgpr92_vgpr93_vgpr94_vgpr95
                                        ; implicit-def: $vgpr88_vgpr89_vgpr90_vgpr91
                                        ; implicit-def: $vgpr84_vgpr85_vgpr86_vgpr87
                                        ; implicit-def: $vgpr80_vgpr81_vgpr82_vgpr83
                                        ; implicit-def: $vgpr114_vgpr115_vgpr116_vgpr117
	s_cbranch_execz .LBB1333_224
; %bb.195:
	v_readlane_b32 s4, v131, 0
	v_readlane_b32 s6, v131, 2
	;; [unrolled: 1-line block ×3, first 2 shown]
	s_cmp_lg_u64 s[96:97], 0
	v_readlane_b32 s5, v131, 1
	s_mov_b64 s[2:3], s[6:7]
	s_cselect_b32 s5, s3, 0
	s_cselect_b32 s4, s2, 0
	s_cmp_lg_u64 s[4:5], 0
	v_readlane_b32 s8, v131, 4
	v_readlane_b32 s9, v131, 5
	s_cselect_b64 s[6:7], -1, 0
	v_cmp_eq_u32_e32 vcc, 0, v0
	v_cmp_ne_u32_e64 s[2:3], 0, v0
	s_and_b64 s[8:9], vcc, s[6:7]
	v_readlane_b32 s10, v131, 6
	v_readlane_b32 s11, v131, 7
	s_and_saveexec_b64 s[6:7], s[8:9]
	s_cbranch_execz .LBB1333_197
; %bb.196:
	v_mov_b32_e32 v8, 0
	global_load_dwordx2 v[4:5], v8, s[4:5]
	global_load_ubyte v9, v8, s[4:5] offset:8
	v_cmp_eq_u16_sdwa s[4:5], v1, v8 src0_sel:BYTE_0 src1_sel:DWORD
	s_waitcnt vmcnt(0)
	v_or_b32_e32 v1, v1, v9
	v_cndmask_b32_e64 v5, 0, v5, s[4:5]
	v_cndmask_b32_e64 v4, 0, v4, s[4:5]
	v_lshl_add_u64 v[2:3], v[4:5], 0, v[2:3]
	v_and_b32_e32 v1, 1, v1
.LBB1333_197:
	s_or_b64 exec, exec, s[6:7]
	v_mov_b32_e32 v9, 0
	v_cmp_eq_u16_sdwa s[4:5], v128, v9 src0_sel:BYTE_0 src1_sel:DWORD
	v_cmp_eq_u16_sdwa s[6:7], v130, v9 src0_sel:BYTE_0 src1_sel:DWORD
	s_movk_i32 s40, 0xff
	v_cndmask_b32_e64 v5, 0, v3, s[4:5]
	v_cndmask_b32_e64 v4, 0, v2, s[4:5]
	v_lshl_add_u64 v[44:45], v[4:5], 0, v[14:15]
	v_cndmask_b32_e64 v5, 0, v45, s[6:7]
	v_cndmask_b32_e64 v4, 0, v44, s[6:7]
	v_lshl_add_u64 v[80:81], v[4:5], 0, v[6:7]
	v_and_b32_sdwa v4, v128, s40 dst_sel:DWORD dst_unused:UNUSED_PAD src0_sel:WORD_1 src1_sel:DWORD
	v_cmp_eq_u16_e64 s[8:9], 0, v4
	v_cmp_eq_u16_sdwa s[10:11], v128, v9 src0_sel:BYTE_3 src1_sel:DWORD
	v_cmp_eq_u16_sdwa s[12:13], v123, v9 src0_sel:BYTE_0 src1_sel:DWORD
	v_cndmask_b32_e64 v5, 0, v81, s[8:9]
	v_cndmask_b32_e64 v4, 0, v80, s[8:9]
	v_lshl_add_u64 v[48:49], v[4:5], 0, v[26:27]
	v_cndmask_b32_e64 v5, 0, v49, s[10:11]
	v_cndmask_b32_e64 v4, 0, v48, s[10:11]
	v_lshl_add_u64 v[84:85], v[4:5], 0, v[18:19]
	v_cndmask_b32_e64 v5, 0, v85, s[12:13]
	v_cndmask_b32_e64 v4, 0, v84, s[12:13]
	v_lshl_add_u64 v[52:53], v[4:5], 0, v[34:35]
	v_cmp_eq_u16_sdwa s[14:15], v127, v9 src0_sel:BYTE_0 src1_sel:DWORD
	v_cmp_eq_u16_sdwa s[16:17], v41, v9 src0_sel:BYTE_0 src1_sel:DWORD
	v_cmp_eq_u16_sdwa s[20:21], v127, v9 src0_sel:BYTE_3 src1_sel:DWORD
	v_cndmask_b32_e64 v5, 0, v53, s[14:15]
	v_cndmask_b32_e64 v4, 0, v52, s[14:15]
	v_lshl_add_u64 v[88:89], v[4:5], 0, v[22:23]
	v_cndmask_b32_e64 v5, 0, v89, s[16:17]
	v_cndmask_b32_e64 v4, 0, v88, s[16:17]
	v_lshl_add_u64 v[56:57], v[4:5], 0, v[42:43]
	v_and_b32_sdwa v4, v127, s40 dst_sel:DWORD dst_unused:UNUSED_PAD src0_sel:WORD_1 src1_sel:DWORD
	v_cmp_eq_u16_e64 s[18:19], 0, v4
	v_cmp_eq_u16_sdwa s[22:23], v124, v9 src0_sel:BYTE_0 src1_sel:DWORD
	v_cmp_eq_u16_sdwa s[24:25], v126, v9 src0_sel:BYTE_0 src1_sel:DWORD
	v_cndmask_b32_e64 v5, 0, v57, s[18:19]
	v_cndmask_b32_e64 v4, 0, v56, s[18:19]
	v_lshl_add_u64 v[92:93], v[4:5], 0, v[30:31]
	v_cndmask_b32_e64 v5, 0, v93, s[20:21]
	v_cndmask_b32_e64 v4, 0, v92, s[20:21]
	v_lshl_add_u64 v[60:61], v[4:5], 0, v[50:51]
	;; [unrolled: 3-line block ×4, first 2 shown]
	v_cmp_eq_u16_sdwa s[26:27], v40, v9 src0_sel:BYTE_0 src1_sel:DWORD
	v_cmp_eq_u16_sdwa s[30:31], v126, v9 src0_sel:BYTE_3 src1_sel:DWORD
	v_cmp_eq_u16_sdwa s[34:35], v122, v9 src0_sel:BYTE_0 src1_sel:DWORD
	v_cndmask_b32_e64 v5, 0, v65, s[26:27]
	v_cndmask_b32_e64 v4, 0, v64, s[26:27]
	v_lshl_add_u64 v[100:101], v[4:5], 0, v[46:47]
	v_and_b32_sdwa v4, v126, s40 dst_sel:DWORD dst_unused:UNUSED_PAD src0_sel:WORD_1 src1_sel:DWORD
	v_cmp_eq_u16_e64 s[28:29], 0, v4
	v_cmp_eq_u16_sdwa s[36:37], v125, v9 src0_sel:BYTE_0 src1_sel:DWORD
	v_cmp_eq_u16_sdwa s[38:39], v36, v9 src0_sel:BYTE_0 src1_sel:DWORD
	v_cndmask_b32_e64 v5, 0, v101, s[28:29]
	v_cndmask_b32_e64 v4, 0, v100, s[28:29]
	v_lshl_add_u64 v[68:69], v[4:5], 0, v[66:67]
	v_cndmask_b32_e64 v5, 0, v69, s[30:31]
	v_cndmask_b32_e64 v4, 0, v68, s[30:31]
	v_lshl_add_u64 v[104:105], v[4:5], 0, v[54:55]
	;; [unrolled: 3-line block ×5, first 2 shown]
	v_and_b32_sdwa v4, v125, s40 dst_sel:DWORD dst_unused:UNUSED_PAD src0_sel:WORD_1 src1_sel:DWORD
	v_cmp_eq_u16_e64 s[40:41], 0, v4
	v_cmp_eq_u16_sdwa s[42:43], v125, v9 src0_sel:BYTE_3 src1_sel:DWORD
	v_cmp_eq_u16_sdwa s[44:45], v28, v9 src0_sel:BYTE_0 src1_sel:DWORD
	v_cndmask_b32_e64 v5, 0, v77, s[40:41]
	v_cndmask_b32_e64 v4, 0, v76, s[40:41]
	v_lshl_add_u64 v[112:113], v[4:5], 0, v[70:71]
	v_cndmask_b32_e64 v5, 0, v113, s[42:43]
	v_cndmask_b32_e64 v4, 0, v112, s[42:43]
	v_lshl_add_u64 v[118:119], v[4:5], 0, v[10:11]
	;; [unrolled: 3-line block ×3, first 2 shown]
	v_or_b32_e32 v4, v125, v126
	v_or3_b32 v4, v4, v127, v128
	v_lshrrev_b16_e32 v9, 7, v4
	v_and_b32_e32 v5, 1, v4
	v_and_b32_e32 v9, 2, v9
	v_or_b32_e32 v5, v5, v9
	v_lshrrev_b32_e32 v9, 23, v4
	v_mov_b32_e32 v12, 1
	v_and_b32_e32 v9, 2, v9
	v_and_b32_sdwa v4, v4, v12 dst_sel:DWORD dst_unused:UNUSED_PAD src0_sel:WORD_1 src1_sel:DWORD
	v_or_b32_e32 v4, v4, v9
	v_lshlrev_b16_e32 v4, 2, v4
	v_or_b32_e32 v4, v5, v4
	v_cmp_eq_u32_e64 s[52:53], 1, v32
	v_cmp_ne_u16_e64 s[54:55], 0, v4
	v_cmp_eq_u32_e64 s[50:51], 1, v33
	s_or_b64 s[52:53], s[54:55], s[52:53]
	v_cmp_eq_u32_e64 s[48:49], 1, v37
	s_or_b64 s[50:51], s[52:53], s[50:51]
	;; [unrolled: 2-line block ×3, first 2 shown]
	v_and_b32_e32 v8, 0xff, v1
	s_or_b64 s[46:47], s[48:49], s[46:47]
	v_mbcnt_hi_u32_b32 v12, -1, v29
	v_cndmask_b32_e64 v13, v8, 1, s[46:47]
	v_and_b32_e32 v20, 15, v12
	v_mov_b32_dpp v24, v120 row_shr:1 row_mask:0xf bank_mask:0xf
	v_mov_b32_dpp v25, v121 row_shr:1 row_mask:0xf bank_mask:0xf
	;; [unrolled: 1-line block ×3, first 2 shown]
	v_cmp_ne_u32_e64 s[46:47], 0, v20
	v_mov_b64_e32 v[4:5], v[120:121]
	v_mov_b32_e32 v9, v121
	v_mov_b32_e32 v8, v120
	s_and_saveexec_b64 s[48:49], s[46:47]
; %bb.198:
	v_cmp_eq_u32_e64 s[46:47], 0, v13
	v_and_or_b32 v13, v21, 1, v13
	s_nop 0
	v_cndmask_b32_e64 v5, 0, v25, s[46:47]
	v_cndmask_b32_e64 v4, 0, v24, s[46:47]
	v_lshl_add_u64 v[4:5], v[120:121], 0, v[4:5]
	v_mov_b32_e32 v9, v5
	v_mov_b32_e32 v8, v4
; %bb.199:
	s_or_b64 exec, exec, s[48:49]
	s_nop 0
	v_mov_b32_dpp v24, v8 row_shr:2 row_mask:0xf bank_mask:0xf
	v_mov_b32_dpp v25, v9 row_shr:2 row_mask:0xf bank_mask:0xf
	v_mov_b32_dpp v21, v13 row_shr:2 row_mask:0xf bank_mask:0xf
	v_cmp_lt_u32_e64 s[46:47], 1, v20
	s_and_saveexec_b64 s[48:49], s[46:47]
; %bb.200:
	v_cmp_eq_u32_e64 s[46:47], 0, v13
	s_nop 1
	v_cndmask_b32_e64 v9, 0, v25, s[46:47]
	v_cndmask_b32_e64 v8, 0, v24, s[46:47]
	v_lshl_add_u64 v[8:9], v[8:9], 0, v[4:5]
	v_or_b32_e32 v4, v21, v13
	v_and_b32_e32 v13, 1, v4
	v_mov_b64_e32 v[4:5], v[8:9]
; %bb.201:
	s_or_b64 exec, exec, s[48:49]
	v_mov_b32_dpp v24, v8 row_shr:4 row_mask:0xf bank_mask:0xf
	v_mov_b32_dpp v25, v9 row_shr:4 row_mask:0xf bank_mask:0xf
	v_mov_b32_dpp v21, v13 row_shr:4 row_mask:0xf bank_mask:0xf
	v_cmp_lt_u32_e64 s[46:47], 3, v20
	s_and_saveexec_b64 s[48:49], s[46:47]
; %bb.202:
	v_cmp_eq_u32_e64 s[46:47], 0, v13
	s_nop 1
	v_cndmask_b32_e64 v9, 0, v25, s[46:47]
	v_cndmask_b32_e64 v8, 0, v24, s[46:47]
	v_lshl_add_u64 v[8:9], v[8:9], 0, v[4:5]
	v_or_b32_e32 v4, v21, v13
	v_and_b32_e32 v13, 1, v4
	v_mov_b64_e32 v[4:5], v[8:9]
; %bb.203:
	s_or_b64 exec, exec, s[48:49]
	;; [unrolled: 16-line block ×3, first 2 shown]
	v_and_b32_e32 v25, 16, v12
	v_mov_b32_dpp v21, v8 row_bcast:15 row_mask:0xf bank_mask:0xf
	v_mov_b32_dpp v24, v9 row_bcast:15 row_mask:0xf bank_mask:0xf
	;; [unrolled: 1-line block ×3, first 2 shown]
	v_cmp_ne_u32_e64 s[46:47], 0, v25
	s_and_saveexec_b64 s[48:49], s[46:47]
; %bb.206:
	v_cmp_eq_u32_e64 s[46:47], 0, v13
	s_nop 1
	v_cndmask_b32_e64 v9, 0, v24, s[46:47]
	v_cndmask_b32_e64 v8, 0, v21, s[46:47]
	v_lshl_add_u64 v[4:5], v[8:9], 0, v[4:5]
	v_or_b32_e32 v8, v20, v13
	v_and_b32_e32 v13, 1, v8
	v_mov_b32_e32 v9, v5
	v_mov_b32_e32 v8, v4
; %bb.207:
	s_or_b64 exec, exec, s[48:49]
	s_nop 0
	v_mov_b32_dpp v20, v8 row_bcast:31 row_mask:0xf bank_mask:0xf
	v_mov_b32_dpp v21, v9 row_bcast:31 row_mask:0xf bank_mask:0xf
	;; [unrolled: 1-line block ×3, first 2 shown]
	v_cmp_lt_u32_e64 s[46:47], 31, v12
	v_mov_b32_e32 v8, v13
	s_and_saveexec_b64 s[48:49], s[46:47]
; %bb.208:
	v_cmp_eq_u32_e64 s[46:47], 0, v13
	v_or_b32_e32 v9, v9, v13
	v_and_b32_e32 v8, 1, v9
	v_cndmask_b32_e64 v21, 0, v21, s[46:47]
	v_cndmask_b32_e64 v20, 0, v20, s[46:47]
	v_lshl_add_u64 v[4:5], v[20:21], 0, v[4:5]
	v_and_b32_e32 v13, 1, v9
; %bb.209:
	s_or_b64 exec, exec, s[48:49]
	v_or_b32_e32 v9, 63, v0
	v_lshrrev_b32_e32 v20, 6, v0
	v_cmp_eq_u32_e64 s[46:47], v9, v0
	s_and_saveexec_b64 s[48:49], s[46:47]
	s_cbranch_execz .LBB1333_211
; %bb.210:
	v_lshlrev_b32_e32 v9, 4, v20
	ds_write_b64 v9, v[4:5]
	ds_write_b8 v9, v8 offset:8
.LBB1333_211:
	s_or_b64 exec, exec, s[48:49]
	v_cmp_gt_u32_e64 s[46:47], 4, v0
	s_waitcnt lgkmcnt(0)
	s_barrier
	s_and_saveexec_b64 s[50:51], s[46:47]
	s_cbranch_execz .LBB1333_217
; %bb.212:
	v_lshlrev_b32_e32 v21, 4, v0
	ds_read_b64 v[8:9], v21
	ds_read_b32 v24, v21 offset:8
	v_and_b32_e32 v25, 3, v12
	v_cmp_ne_u32_e64 s[46:47], 0, v25
	s_waitcnt lgkmcnt(1)
	v_mov_b32_dpp v33, v8 row_shr:1 row_mask:0xf bank_mask:0xf
	v_mov_b32_dpp v36, v9 row_shr:1 row_mask:0xf bank_mask:0xf
	s_waitcnt lgkmcnt(0)
	v_mov_b32_dpp v32, v24 row_shr:1 row_mask:0xf bank_mask:0xf
	v_mov_b32_e32 v28, v24
	v_mov_b32_e32 v29, v24
	s_and_saveexec_b64 s[48:49], s[46:47]
; %bb.213:
	v_mov_b32_e32 v28, 0
	v_cmp_eq_u16_sdwa s[46:47], v24, v28 src0_sel:BYTE_0 src1_sel:DWORD
	s_nop 1
	v_cndmask_b32_e64 v29, 0, v36, s[46:47]
	v_cndmask_b32_e64 v28, 0, v33, s[46:47]
	v_lshl_add_u64 v[8:9], v[28:29], 0, v[8:9]
	v_or_b32_e32 v29, v32, v24
	v_and_b32_e32 v28, 1, v29
	v_and_b32_e32 v29, 1, v29
	s_movk_i32 s46, 0xff00
	v_and_or_b32 v24, v24, s46, v29
; %bb.214:
	s_or_b64 exec, exec, s[48:49]
	v_mov_b32_dpp v32, v8 row_shr:2 row_mask:0xf bank_mask:0xf
	v_mov_b32_dpp v33, v9 row_shr:2 row_mask:0xf bank_mask:0xf
	;; [unrolled: 1-line block ×3, first 2 shown]
	v_cmp_lt_u32_e64 s[46:47], 1, v25
	s_and_saveexec_b64 s[52:53], s[46:47]
; %bb.215:
	v_mov_b32_e32 v25, 0
	v_cmp_eq_u16_sdwa s[46:47], v29, v25 src0_sel:BYTE_0 src1_sel:DWORD
	v_and_b32_e32 v25, 1, v29
	v_and_b32_e32 v24, 1, v24
	v_cndmask_b32_e64 v33, 0, v33, s[46:47]
	v_cndmask_b32_e64 v32, 0, v32, s[46:47]
	v_cmp_eq_u32_e64 s[46:47], 1, v25
	v_cmp_eq_u32_e64 s[48:49], 1, v24
	s_or_b64 s[46:47], s[46:47], s[48:49]
	v_lshl_add_u64 v[8:9], v[32:33], 0, v[8:9]
	v_cndmask_b32_e64 v28, 0, 1, s[46:47]
; %bb.216:
	s_or_b64 exec, exec, s[52:53]
	ds_write_b64 v21, v[8:9]
	ds_write_b8 v21, v28 offset:8
.LBB1333_217:
	s_or_b64 exec, exec, s[50:51]
	v_cmp_lt_u32_e64 s[46:47], 63, v0
	v_mov_b64_e32 v[8:9], 0
	s_waitcnt lgkmcnt(0)
	s_barrier
	s_and_saveexec_b64 s[48:49], s[46:47]
	s_cbranch_execz .LBB1333_219
; %bb.218:
	v_lshl_add_u32 v8, v20, 4, -16
	ds_read_b64 v[8:9], v8
	v_cmp_eq_u32_e64 s[46:47], 0, v13
	s_waitcnt lgkmcnt(0)
	s_nop 0
	v_cndmask_b32_e64 v21, 0, v9, s[46:47]
	v_cndmask_b32_e64 v20, 0, v8, s[46:47]
	v_lshl_add_u64 v[4:5], v[20:21], 0, v[4:5]
.LBB1333_219:
	s_or_b64 exec, exec, s[48:49]
	v_add_u32_e32 v13, -1, v12
	v_and_b32_e32 v20, 64, v12
	v_cmp_lt_i32_e64 s[46:47], v13, v20
	s_nop 1
	v_cndmask_b32_e64 v13, v13, v12, s[46:47]
	v_lshlrev_b32_e32 v13, 2, v13
	ds_bpermute_b32 v4, v13, v4
	ds_bpermute_b32 v5, v13, v5
	s_and_saveexec_b64 s[46:47], s[2:3]
	s_cbranch_execz .LBB1333_221
; %bb.220:
	v_cmp_eq_u32_e64 s[2:3], 0, v12
	;;#ASMSTART
	;;#ASMEND
	s_waitcnt lgkmcnt(1)
	s_nop 0
	v_cndmask_b32_e64 v4, v4, v8, s[2:3]
	v_mov_b32_e32 v8, 0
	s_waitcnt lgkmcnt(0)
	v_cndmask_b32_e64 v5, v5, v9, s[2:3]
	v_cmp_eq_u16_sdwa s[2:3], v1, v8 src0_sel:BYTE_0 src1_sel:DWORD
	s_nop 1
	v_cndmask_b32_e64 v5, 0, v5, s[2:3]
	v_cndmask_b32_e64 v4, 0, v4, s[2:3]
	v_lshl_add_u64 v[2:3], v[4:5], 0, v[2:3]
	v_cndmask_b32_e64 v5, 0, v3, s[4:5]
	v_cndmask_b32_e64 v4, 0, v2, s[4:5]
	v_lshl_add_u64 v[44:45], v[4:5], 0, v[14:15]
	v_cndmask_b32_e64 v5, 0, v45, s[6:7]
	v_cndmask_b32_e64 v4, 0, v44, s[6:7]
	v_lshl_add_u64 v[80:81], v[4:5], 0, v[6:7]
	v_cndmask_b32_e64 v5, 0, v81, s[8:9]
	v_cndmask_b32_e64 v4, 0, v80, s[8:9]
	v_lshl_add_u64 v[48:49], v[4:5], 0, v[26:27]
	v_cndmask_b32_e64 v5, 0, v49, s[10:11]
	v_cndmask_b32_e64 v4, 0, v48, s[10:11]
	v_lshl_add_u64 v[84:85], v[4:5], 0, v[18:19]
	v_cndmask_b32_e64 v5, 0, v85, s[12:13]
	v_cndmask_b32_e64 v4, 0, v84, s[12:13]
	v_lshl_add_u64 v[52:53], v[4:5], 0, v[34:35]
	v_cndmask_b32_e64 v5, 0, v53, s[14:15]
	v_cndmask_b32_e64 v4, 0, v52, s[14:15]
	v_lshl_add_u64 v[88:89], v[4:5], 0, v[22:23]
	v_cndmask_b32_e64 v5, 0, v89, s[16:17]
	v_cndmask_b32_e64 v4, 0, v88, s[16:17]
	v_lshl_add_u64 v[56:57], v[4:5], 0, v[42:43]
	v_cndmask_b32_e64 v5, 0, v57, s[18:19]
	v_cndmask_b32_e64 v4, 0, v56, s[18:19]
	v_lshl_add_u64 v[92:93], v[4:5], 0, v[30:31]
	v_cndmask_b32_e64 v5, 0, v93, s[20:21]
	v_cndmask_b32_e64 v4, 0, v92, s[20:21]
	v_lshl_add_u64 v[60:61], v[4:5], 0, v[50:51]
	v_cndmask_b32_e64 v5, 0, v61, s[22:23]
	v_cndmask_b32_e64 v4, 0, v60, s[22:23]
	v_lshl_add_u64 v[96:97], v[4:5], 0, v[38:39]
	v_cndmask_b32_e64 v5, 0, v97, s[24:25]
	v_cndmask_b32_e64 v4, 0, v96, s[24:25]
	v_lshl_add_u64 v[64:65], v[4:5], 0, v[58:59]
	v_cndmask_b32_e64 v5, 0, v65, s[26:27]
	v_cndmask_b32_e64 v4, 0, v64, s[26:27]
	v_lshl_add_u64 v[100:101], v[4:5], 0, v[46:47]
	v_cndmask_b32_e64 v5, 0, v101, s[28:29]
	v_cndmask_b32_e64 v4, 0, v100, s[28:29]
	v_lshl_add_u64 v[68:69], v[4:5], 0, v[66:67]
	v_cndmask_b32_e64 v5, 0, v69, s[30:31]
	v_cndmask_b32_e64 v4, 0, v68, s[30:31]
	v_lshl_add_u64 v[104:105], v[4:5], 0, v[54:55]
	v_cndmask_b32_e64 v5, 0, v105, s[34:35]
	v_cndmask_b32_e64 v4, 0, v104, s[34:35]
	v_lshl_add_u64 v[72:73], v[4:5], 0, v[74:75]
	v_cndmask_b32_e64 v5, 0, v73, s[36:37]
	v_cndmask_b32_e64 v4, 0, v72, s[36:37]
	v_lshl_add_u64 v[108:109], v[4:5], 0, v[62:63]
	v_cndmask_b32_e64 v5, 0, v109, s[38:39]
	v_cndmask_b32_e64 v4, 0, v108, s[38:39]
	v_lshl_add_u64 v[76:77], v[4:5], 0, v[78:79]
	v_cndmask_b32_e64 v5, 0, v77, s[40:41]
	v_cndmask_b32_e64 v4, 0, v76, s[40:41]
	v_lshl_add_u64 v[112:113], v[4:5], 0, v[70:71]
	v_cndmask_b32_e64 v5, 0, v113, s[42:43]
	v_cndmask_b32_e64 v4, 0, v112, s[42:43]
	v_lshl_add_u64 v[118:119], v[4:5], 0, v[10:11]
	v_cndmask_b32_e64 v5, 0, v119, s[44:45]
	v_cndmask_b32_e64 v4, 0, v118, s[44:45]
	v_lshl_add_u64 v[120:121], v[4:5], 0, v[16:17]
.LBB1333_221:
	s_or_b64 exec, exec, s[46:47]
	s_and_saveexec_b64 s[2:3], vcc
	s_cbranch_execz .LBB1333_223
; %bb.222:
	v_mov_b32_e32 v1, 0
	s_waitcnt lgkmcnt(0)
	ds_read_b64 v[4:5], v1 offset:48
	ds_read_u8 v6, v1 offset:56
	s_waitcnt lgkmcnt(1)
	global_store_dword v1, v4, s[86:87] offset:1024 sc1
	global_store_dword v1, v5, s[86:87] offset:1028 sc1
	s_waitcnt lgkmcnt(0)
	global_store_dword v1, v6, s[86:87] offset:1032 sc1
	global_store_dword v1, v1, s[86:87] offset:1036 sc1
	v_mov_b32_e32 v4, 2
	s_waitcnt vmcnt(0)
	global_store_byte v1, v4, s[88:89] offset:64 sc1
.LBB1333_223:
	s_or_b64 exec, exec, s[2:3]
	v_mov_b64_e32 v[114:115], v[2:3]
.LBB1333_224:
	s_add_u32 s2, s98, s92
	s_addc_u32 s3, s99, s93
	s_add_u32 s2, s2, s94
	s_addc_u32 s3, s3, s95
	s_and_b64 vcc, exec, s[0:1]
	v_lshlrev_b32_e32 v42, 3, v0
	s_cbranch_vccz .LBB1333_266
; %bb.225:
	s_movk_i32 s0, 0xa8
	v_mul_i32_i24_e32 v50, 0xffffff60, v0
	v_mul_u32_u24_e32 v1, 0xa8, v0
	v_mad_u32_u24 v2, v0, s0, v50
	s_waitcnt lgkmcnt(0)
	s_barrier
	ds_write2_b64 v1, v[114:115], v[44:45] offset1:1
	ds_write2_b64 v1, v[80:81], v[48:49] offset0:2 offset1:3
	ds_write2_b64 v1, v[84:85], v[52:53] offset0:4 offset1:5
	;; [unrolled: 1-line block ×9, first 2 shown]
	ds_write_b64 v1, v[120:121] offset:160
	s_waitcnt lgkmcnt(0)
	s_barrier
	ds_read2st64_b64 v[38:41], v2 offset0:4 offset1:8
	ds_read2st64_b64 v[34:37], v2 offset0:12 offset1:16
	;; [unrolled: 1-line block ×10, first 2 shown]
	s_add_i32 s33, s33, s90
	v_mov_b32_e32 v43, 0
	v_lshl_add_u64 v[46:47], s[2:3], 0, v[42:43]
	v_cmp_gt_u32_e32 vcc, s33, v0
	s_and_saveexec_b64 s[0:1], vcc
	s_cbranch_execz .LBB1333_227
; %bb.226:
	v_add_u32_e32 v1, v1, v50
	ds_read_b64 v[50:51], v1
	s_waitcnt lgkmcnt(0)
	flat_store_dwordx2 v[46:47], v[50:51]
.LBB1333_227:
	s_or_b64 exec, exec, s[0:1]
	v_or_b32_e32 v1, 0x100, v0
	v_cmp_gt_u32_e32 vcc, s33, v1
	s_and_saveexec_b64 s[0:1], vcc
	s_cbranch_execz .LBB1333_229
; %bb.228:
	s_waitcnt lgkmcnt(0)
	flat_store_dwordx2 v[46:47], v[38:39] offset:2048
.LBB1333_229:
	s_or_b64 exec, exec, s[0:1]
	v_or_b32_e32 v1, 0x200, v0
	v_cmp_gt_u32_e32 vcc, s33, v1
	s_and_saveexec_b64 s[0:1], vcc
	s_cbranch_execz .LBB1333_231
; %bb.230:
	s_waitcnt lgkmcnt(0)
	v_add_co_u32_e32 v38, vcc, 0x1000, v46
	s_nop 1
	v_addc_co_u32_e32 v39, vcc, 0, v47, vcc
	flat_store_dwordx2 v[38:39], v[40:41]
.LBB1333_231:
	s_or_b64 exec, exec, s[0:1]
	v_or_b32_e32 v1, 0x300, v0
	v_cmp_gt_u32_e32 vcc, s33, v1
	s_and_saveexec_b64 s[0:1], vcc
	s_cbranch_execz .LBB1333_233
; %bb.232:
	s_waitcnt lgkmcnt(0)
	v_add_co_u32_e32 v38, vcc, 0x1000, v46
	s_nop 1
	v_addc_co_u32_e32 v39, vcc, 0, v47, vcc
	flat_store_dwordx2 v[38:39], v[34:35] offset:2048
.LBB1333_233:
	s_or_b64 exec, exec, s[0:1]
	v_or_b32_e32 v1, 0x400, v0
	v_cmp_gt_u32_e32 vcc, s33, v1
	s_and_saveexec_b64 s[0:1], vcc
	s_cbranch_execz .LBB1333_235
; %bb.234:
	s_waitcnt lgkmcnt(0)
	v_add_co_u32_e32 v34, vcc, 0x2000, v46
	s_nop 1
	v_addc_co_u32_e32 v35, vcc, 0, v47, vcc
	flat_store_dwordx2 v[34:35], v[36:37]
.LBB1333_235:
	s_or_b64 exec, exec, s[0:1]
	v_or_b32_e32 v1, 0x500, v0
	v_cmp_gt_u32_e32 vcc, s33, v1
	s_and_saveexec_b64 s[0:1], vcc
	s_cbranch_execz .LBB1333_237
; %bb.236:
	s_waitcnt lgkmcnt(0)
	v_add_co_u32_e32 v34, vcc, 0x2000, v46
	s_nop 1
	v_addc_co_u32_e32 v35, vcc, 0, v47, vcc
	flat_store_dwordx2 v[34:35], v[30:31] offset:2048
.LBB1333_237:
	;; [unrolled: 24-line block ×9, first 2 shown]
	s_or_b64 exec, exec, s[0:1]
	s_waitcnt lgkmcnt(0)
	v_or_b32_e32 v2, 0x1400, v0
	v_mov_b32_e32 v1, v43
	v_cmp_gt_u32_e64 s[0:1], s33, v2
	s_branch .LBB1333_268
.LBB1333_266:
	s_mov_b64 s[0:1], 0
                                        ; implicit-def: $vgpr4_vgpr5
	s_cbranch_execz .LBB1333_268
; %bb.267:
	v_mul_u32_u24_e32 v1, 0xa8, v0
	s_waitcnt lgkmcnt(0)
	s_barrier
	s_movk_i32 s4, 0xa8
	ds_write2_b64 v1, v[114:115], v[44:45] offset1:1
	ds_write2_b64 v1, v[80:81], v[48:49] offset0:2 offset1:3
	ds_write2_b64 v1, v[84:85], v[52:53] offset0:4 offset1:5
	;; [unrolled: 1-line block ×9, first 2 shown]
	ds_write_b64 v1, v[120:121] offset:160
	v_mov_b32_e32 v1, 0
	v_mul_i32_i24_e32 v2, 0xffffff60, v0
	v_mad_u32_u24 v2, v0, s4, v2
	v_mov_b32_e32 v43, v1
	s_waitcnt lgkmcnt(0)
	s_barrier
	ds_read2st64_b64 v[6:9], v2 offset1:4
	ds_read2st64_b64 v[10:13], v2 offset0:8 offset1:12
	ds_read2st64_b64 v[14:17], v2 offset0:16 offset1:20
	ds_read2st64_b64 v[18:21], v2 offset0:24 offset1:28
	ds_read2st64_b64 v[22:25], v2 offset0:32 offset1:36
	ds_read2st64_b64 v[26:29], v2 offset0:40 offset1:44
	ds_read2st64_b64 v[30:33], v2 offset0:48 offset1:52
	ds_read2st64_b64 v[34:37], v2 offset0:56 offset1:60
	ds_read2st64_b64 v[38:41], v2 offset0:64 offset1:68
	ds_read2st64_b64 v[44:47], v2 offset0:72 offset1:76
	ds_read_b64 v[4:5], v2 offset:40960
	v_lshl_add_u64 v[2:3], s[2:3], 0, v[42:43]
	s_movk_i32 s4, 0x1000
	s_waitcnt lgkmcnt(0)
	flat_store_dwordx2 v[2:3], v[6:7]
	flat_store_dwordx2 v[2:3], v[8:9] offset:2048
	v_add_co_u32_e32 v6, vcc, s4, v2
	s_movk_i32 s4, 0x2000
	s_nop 0
	v_addc_co_u32_e32 v7, vcc, 0, v3, vcc
	flat_store_dwordx2 v[6:7], v[10:11]
	flat_store_dwordx2 v[6:7], v[12:13] offset:2048
	v_add_co_u32_e32 v6, vcc, s4, v2
	s_movk_i32 s4, 0x3000
	s_nop 0
	v_addc_co_u32_e32 v7, vcc, 0, v3, vcc
	;; [unrolled: 6-line block ×6, first 2 shown]
	flat_store_dwordx2 v[6:7], v[30:31]
	flat_store_dwordx2 v[6:7], v[32:33] offset:2048
	v_add_co_u32_e32 v6, vcc, s4, v2
	s_or_b64 s[0:1], s[0:1], exec
	s_nop 0
	v_addc_co_u32_e32 v7, vcc, 0, v3, vcc
	flat_store_dwordx2 v[6:7], v[34:35]
	flat_store_dwordx2 v[6:7], v[36:37] offset:2048
	v_add_co_u32_e32 v6, vcc, 0x8000, v2
	s_nop 1
	v_addc_co_u32_e32 v7, vcc, 0, v3, vcc
	v_add_co_u32_e32 v2, vcc, 0x9000, v2
	flat_store_dwordx2 v[6:7], v[38:39]
	flat_store_dwordx2 v[6:7], v[40:41] offset:2048
	v_addc_co_u32_e32 v3, vcc, 0, v3, vcc
	flat_store_dwordx2 v[2:3], v[44:45]
	flat_store_dwordx2 v[2:3], v[46:47] offset:2048
.LBB1333_268:
	s_and_saveexec_b64 s[4:5], s[0:1]
	s_cbranch_execnz .LBB1333_270
; %bb.269:
	s_endpgm
.LBB1333_270:
	v_lshl_add_u64 v[0:1], v[0:1], 3, s[2:3]
	v_add_co_u32_e32 v0, vcc, 0xa000, v0
	s_nop 1
	v_addc_co_u32_e32 v1, vcc, 0, v1, vcc
	s_waitcnt lgkmcnt(0)
	flat_store_dwordx2 v[0:1], v[4:5]
	s_endpgm
.LBB1333_271:
	v_lshlrev_b32_e32 v6, 3, v0
	v_lshl_add_u64 v[2:3], s[48:49], 0, v[6:7]
	flat_load_dwordx2 v[2:3], v[2:3]
	s_or_b64 exec, exec, s[56:57]
                                        ; implicit-def: $vgpr6_vgpr7
	s_and_saveexec_b64 s[46:47], s[4:5]
	s_cbranch_execz .LBB1333_51
.LBB1333_272:
	v_lshlrev_b32_e32 v6, 3, v0
	v_mov_b32_e32 v7, 0
	v_lshl_add_u64 v[6:7], s[48:49], 0, v[6:7]
	flat_load_dwordx2 v[6:7], v[6:7] offset:2048
	s_or_b64 exec, exec, s[46:47]
                                        ; implicit-def: $vgpr10_vgpr11
	s_and_saveexec_b64 s[4:5], s[6:7]
	s_cbranch_execz .LBB1333_52
.LBB1333_273:
	v_lshlrev_b32_e32 v10, 3, v1
	v_mov_b32_e32 v11, 0
	v_lshl_add_u64 v[10:11], s[48:49], 0, v[10:11]
	flat_load_dwordx2 v[10:11], v[10:11]
	s_or_b64 exec, exec, s[4:5]
                                        ; implicit-def: $vgpr14_vgpr15
	s_and_saveexec_b64 s[4:5], s[8:9]
	s_cbranch_execz .LBB1333_53
.LBB1333_274:
	v_lshlrev_b32_e32 v14, 3, v16
	v_mov_b32_e32 v15, 0
	v_lshl_add_u64 v[14:15], s[48:49], 0, v[14:15]
	flat_load_dwordx2 v[14:15], v[14:15]
	s_or_b64 exec, exec, s[4:5]
                                        ; implicit-def: $vgpr16_vgpr17
	s_and_saveexec_b64 s[4:5], s[10:11]
	s_cbranch_execz .LBB1333_54
.LBB1333_275:
	v_lshlrev_b32_e32 v16, 3, v18
	v_mov_b32_e32 v17, 0
	v_lshl_add_u64 v[16:17], s[48:49], 0, v[16:17]
	flat_load_dwordx2 v[16:17], v[16:17]
	s_or_b64 exec, exec, s[4:5]
                                        ; implicit-def: $vgpr18_vgpr19
	s_and_saveexec_b64 s[4:5], s[12:13]
	s_cbranch_execz .LBB1333_55
.LBB1333_276:
	v_lshlrev_b32_e32 v18, 3, v22
	v_mov_b32_e32 v19, 0
	v_lshl_add_u64 v[18:19], s[48:49], 0, v[18:19]
	flat_load_dwordx2 v[18:19], v[18:19]
	s_or_b64 exec, exec, s[4:5]
                                        ; implicit-def: $vgpr22_vgpr23
	s_and_saveexec_b64 s[4:5], s[14:15]
	s_cbranch_execz .LBB1333_56
.LBB1333_277:
	v_lshlrev_b32_e32 v22, 3, v26
	v_mov_b32_e32 v23, 0
	v_lshl_add_u64 v[22:23], s[48:49], 0, v[22:23]
	flat_load_dwordx2 v[22:23], v[22:23]
	s_or_b64 exec, exec, s[4:5]
                                        ; implicit-def: $vgpr26_vgpr27
	s_and_saveexec_b64 s[4:5], s[16:17]
	s_cbranch_execz .LBB1333_57
.LBB1333_278:
	v_lshlrev_b32_e32 v26, 3, v30
	v_mov_b32_e32 v27, 0
	v_lshl_add_u64 v[26:27], s[48:49], 0, v[26:27]
	flat_load_dwordx2 v[26:27], v[26:27]
	s_or_b64 exec, exec, s[4:5]
                                        ; implicit-def: $vgpr30_vgpr31
	s_and_saveexec_b64 s[4:5], s[18:19]
	s_cbranch_execz .LBB1333_58
.LBB1333_279:
	v_lshlrev_b32_e32 v30, 3, v34
	v_mov_b32_e32 v31, 0
	v_lshl_add_u64 v[30:31], s[48:49], 0, v[30:31]
	flat_load_dwordx2 v[30:31], v[30:31]
	s_or_b64 exec, exec, s[4:5]
                                        ; implicit-def: $vgpr34_vgpr35
	s_and_saveexec_b64 s[4:5], s[20:21]
	s_cbranch_execz .LBB1333_59
.LBB1333_280:
	v_lshlrev_b32_e32 v34, 3, v38
	v_mov_b32_e32 v35, 0
	v_lshl_add_u64 v[34:35], s[48:49], 0, v[34:35]
	flat_load_dwordx2 v[34:35], v[34:35]
	s_or_b64 exec, exec, s[4:5]
                                        ; implicit-def: $vgpr38_vgpr39
	s_and_saveexec_b64 s[4:5], s[22:23]
	s_cbranch_execz .LBB1333_60
.LBB1333_281:
	v_lshlrev_b32_e32 v38, 3, v42
	v_mov_b32_e32 v39, 0
	v_lshl_add_u64 v[38:39], s[48:49], 0, v[38:39]
	flat_load_dwordx2 v[38:39], v[38:39]
	s_or_b64 exec, exec, s[4:5]
                                        ; implicit-def: $vgpr42_vgpr43
	s_and_saveexec_b64 s[4:5], s[24:25]
	s_cbranch_execz .LBB1333_61
.LBB1333_282:
	v_lshlrev_b32_e32 v42, 3, v46
	v_mov_b32_e32 v43, 0
	v_lshl_add_u64 v[42:43], s[48:49], 0, v[42:43]
	flat_load_dwordx2 v[42:43], v[42:43]
	s_or_b64 exec, exec, s[4:5]
                                        ; implicit-def: $vgpr46_vgpr47
	s_and_saveexec_b64 s[4:5], s[26:27]
	s_cbranch_execz .LBB1333_62
.LBB1333_283:
	v_lshlrev_b32_e32 v46, 3, v48
	v_mov_b32_e32 v47, 0
	v_lshl_add_u64 v[46:47], s[48:49], 0, v[46:47]
	flat_load_dwordx2 v[46:47], v[46:47]
	s_or_b64 exec, exec, s[4:5]
                                        ; implicit-def: $vgpr48_vgpr49
	s_and_saveexec_b64 s[4:5], s[28:29]
	s_cbranch_execz .LBB1333_63
.LBB1333_284:
	v_lshlrev_b32_e32 v48, 3, v50
	v_mov_b32_e32 v49, 0
	v_lshl_add_u64 v[48:49], s[48:49], 0, v[48:49]
	flat_load_dwordx2 v[48:49], v[48:49]
	s_or_b64 exec, exec, s[4:5]
                                        ; implicit-def: $vgpr50_vgpr51
	s_and_saveexec_b64 s[4:5], s[30:31]
	s_cbranch_execz .LBB1333_64
.LBB1333_285:
	v_lshlrev_b32_e32 v50, 3, v52
	v_mov_b32_e32 v51, 0
	v_lshl_add_u64 v[50:51], s[48:49], 0, v[50:51]
	flat_load_dwordx2 v[50:51], v[50:51]
	s_or_b64 exec, exec, s[4:5]
                                        ; implicit-def: $vgpr52_vgpr53
	s_and_saveexec_b64 s[4:5], s[34:35]
	s_cbranch_execz .LBB1333_65
.LBB1333_286:
	v_lshlrev_b32_e32 v52, 3, v54
	v_mov_b32_e32 v53, 0
	v_lshl_add_u64 v[52:53], s[48:49], 0, v[52:53]
	flat_load_dwordx2 v[52:53], v[52:53]
	s_or_b64 exec, exec, s[4:5]
                                        ; implicit-def: $vgpr54_vgpr55
	s_and_saveexec_b64 s[4:5], s[36:37]
	s_cbranch_execz .LBB1333_66
.LBB1333_287:
	v_lshlrev_b32_e32 v54, 3, v56
	v_mov_b32_e32 v55, 0
	v_lshl_add_u64 v[54:55], s[48:49], 0, v[54:55]
	flat_load_dwordx2 v[54:55], v[54:55]
	s_or_b64 exec, exec, s[4:5]
                                        ; implicit-def: $vgpr56_vgpr57
	s_and_saveexec_b64 s[4:5], s[38:39]
	s_cbranch_execz .LBB1333_67
.LBB1333_288:
	v_lshlrev_b32_e32 v56, 3, v58
	v_mov_b32_e32 v57, 0
	v_lshl_add_u64 v[56:57], s[48:49], 0, v[56:57]
	flat_load_dwordx2 v[56:57], v[56:57]
	s_or_b64 exec, exec, s[4:5]
                                        ; implicit-def: $vgpr58_vgpr59
	s_and_saveexec_b64 s[4:5], s[40:41]
	s_cbranch_execz .LBB1333_68
.LBB1333_289:
	v_lshlrev_b32_e32 v58, 3, v60
	v_mov_b32_e32 v59, 0
	v_lshl_add_u64 v[58:59], s[48:49], 0, v[58:59]
	flat_load_dwordx2 v[58:59], v[58:59]
	s_or_b64 exec, exec, s[4:5]
                                        ; implicit-def: $vgpr60_vgpr61
	s_and_saveexec_b64 s[4:5], s[42:43]
	s_cbranch_execz .LBB1333_69
.LBB1333_290:
	v_lshlrev_b32_e32 v60, 3, v62
	v_mov_b32_e32 v61, 0
	v_lshl_add_u64 v[60:61], s[48:49], 0, v[60:61]
	flat_load_dwordx2 v[60:61], v[60:61]
	s_or_b64 exec, exec, s[4:5]
                                        ; implicit-def: $vgpr62_vgpr63
	s_and_saveexec_b64 s[4:5], s[44:45]
	s_cbranch_execnz .LBB1333_70
	s_branch .LBB1333_71
.LBB1333_291:
                                        ; implicit-def: $sgpr56_sgpr57
	s_branch .LBB1333_46
.LBB1333_292:
                                        ; implicit-def: $sgpr4_sgpr5
	s_branch .LBB1333_116
	.section	.rodata,"a",@progbits
	.p2align	6, 0x0
	.amdhsa_kernel _ZN7rocprim17ROCPRIM_400000_NS6detail17trampoline_kernelINS0_14default_configENS1_27scan_by_key_config_selectorIixEEZZNS1_16scan_by_key_implILNS1_25lookback_scan_determinismE0ELb0ES3_N6thrust23THRUST_200600_302600_NS6detail15normal_iteratorINS9_10device_ptrIiEEEENSB_INSC_IxEEEESG_xNS9_4plusIvEENS9_8equal_toIvEExEE10hipError_tPvRmT2_T3_T4_T5_mT6_T7_P12ihipStream_tbENKUlT_T0_E_clISt17integral_constantIbLb1EES10_IbLb0EEEEDaSW_SX_EUlSW_E_NS1_11comp_targetILNS1_3genE5ELNS1_11target_archE942ELNS1_3gpuE9ELNS1_3repE0EEENS1_30default_config_static_selectorELNS0_4arch9wavefront6targetE1EEEvT1_
		.amdhsa_group_segment_fixed_size 43008
		.amdhsa_private_segment_fixed_size 0
		.amdhsa_kernarg_size 136
		.amdhsa_user_sgpr_count 2
		.amdhsa_user_sgpr_dispatch_ptr 0
		.amdhsa_user_sgpr_queue_ptr 0
		.amdhsa_user_sgpr_kernarg_segment_ptr 1
		.amdhsa_user_sgpr_dispatch_id 0
		.amdhsa_user_sgpr_kernarg_preload_length 0
		.amdhsa_user_sgpr_kernarg_preload_offset 0
		.amdhsa_user_sgpr_private_segment_size 0
		.amdhsa_uses_dynamic_stack 0
		.amdhsa_enable_private_segment 0
		.amdhsa_system_sgpr_workgroup_id_x 1
		.amdhsa_system_sgpr_workgroup_id_y 0
		.amdhsa_system_sgpr_workgroup_id_z 0
		.amdhsa_system_sgpr_workgroup_info 0
		.amdhsa_system_vgpr_workitem_id 0
		.amdhsa_next_free_vgpr 132
		.amdhsa_next_free_sgpr 100
		.amdhsa_accum_offset 132
		.amdhsa_reserve_vcc 1
		.amdhsa_float_round_mode_32 0
		.amdhsa_float_round_mode_16_64 0
		.amdhsa_float_denorm_mode_32 3
		.amdhsa_float_denorm_mode_16_64 3
		.amdhsa_dx10_clamp 1
		.amdhsa_ieee_mode 1
		.amdhsa_fp16_overflow 0
		.amdhsa_tg_split 0
		.amdhsa_exception_fp_ieee_invalid_op 0
		.amdhsa_exception_fp_denorm_src 0
		.amdhsa_exception_fp_ieee_div_zero 0
		.amdhsa_exception_fp_ieee_overflow 0
		.amdhsa_exception_fp_ieee_underflow 0
		.amdhsa_exception_fp_ieee_inexact 0
		.amdhsa_exception_int_div_zero 0
	.end_amdhsa_kernel
	.section	.text._ZN7rocprim17ROCPRIM_400000_NS6detail17trampoline_kernelINS0_14default_configENS1_27scan_by_key_config_selectorIixEEZZNS1_16scan_by_key_implILNS1_25lookback_scan_determinismE0ELb0ES3_N6thrust23THRUST_200600_302600_NS6detail15normal_iteratorINS9_10device_ptrIiEEEENSB_INSC_IxEEEESG_xNS9_4plusIvEENS9_8equal_toIvEExEE10hipError_tPvRmT2_T3_T4_T5_mT6_T7_P12ihipStream_tbENKUlT_T0_E_clISt17integral_constantIbLb1EES10_IbLb0EEEEDaSW_SX_EUlSW_E_NS1_11comp_targetILNS1_3genE5ELNS1_11target_archE942ELNS1_3gpuE9ELNS1_3repE0EEENS1_30default_config_static_selectorELNS0_4arch9wavefront6targetE1EEEvT1_,"axG",@progbits,_ZN7rocprim17ROCPRIM_400000_NS6detail17trampoline_kernelINS0_14default_configENS1_27scan_by_key_config_selectorIixEEZZNS1_16scan_by_key_implILNS1_25lookback_scan_determinismE0ELb0ES3_N6thrust23THRUST_200600_302600_NS6detail15normal_iteratorINS9_10device_ptrIiEEEENSB_INSC_IxEEEESG_xNS9_4plusIvEENS9_8equal_toIvEExEE10hipError_tPvRmT2_T3_T4_T5_mT6_T7_P12ihipStream_tbENKUlT_T0_E_clISt17integral_constantIbLb1EES10_IbLb0EEEEDaSW_SX_EUlSW_E_NS1_11comp_targetILNS1_3genE5ELNS1_11target_archE942ELNS1_3gpuE9ELNS1_3repE0EEENS1_30default_config_static_selectorELNS0_4arch9wavefront6targetE1EEEvT1_,comdat
.Lfunc_end1333:
	.size	_ZN7rocprim17ROCPRIM_400000_NS6detail17trampoline_kernelINS0_14default_configENS1_27scan_by_key_config_selectorIixEEZZNS1_16scan_by_key_implILNS1_25lookback_scan_determinismE0ELb0ES3_N6thrust23THRUST_200600_302600_NS6detail15normal_iteratorINS9_10device_ptrIiEEEENSB_INSC_IxEEEESG_xNS9_4plusIvEENS9_8equal_toIvEExEE10hipError_tPvRmT2_T3_T4_T5_mT6_T7_P12ihipStream_tbENKUlT_T0_E_clISt17integral_constantIbLb1EES10_IbLb0EEEEDaSW_SX_EUlSW_E_NS1_11comp_targetILNS1_3genE5ELNS1_11target_archE942ELNS1_3gpuE9ELNS1_3repE0EEENS1_30default_config_static_selectorELNS0_4arch9wavefront6targetE1EEEvT1_, .Lfunc_end1333-_ZN7rocprim17ROCPRIM_400000_NS6detail17trampoline_kernelINS0_14default_configENS1_27scan_by_key_config_selectorIixEEZZNS1_16scan_by_key_implILNS1_25lookback_scan_determinismE0ELb0ES3_N6thrust23THRUST_200600_302600_NS6detail15normal_iteratorINS9_10device_ptrIiEEEENSB_INSC_IxEEEESG_xNS9_4plusIvEENS9_8equal_toIvEExEE10hipError_tPvRmT2_T3_T4_T5_mT6_T7_P12ihipStream_tbENKUlT_T0_E_clISt17integral_constantIbLb1EES10_IbLb0EEEEDaSW_SX_EUlSW_E_NS1_11comp_targetILNS1_3genE5ELNS1_11target_archE942ELNS1_3gpuE9ELNS1_3repE0EEENS1_30default_config_static_selectorELNS0_4arch9wavefront6targetE1EEEvT1_
                                        ; -- End function
	.section	.AMDGPU.csdata,"",@progbits
; Kernel info:
; codeLenInByte = 17052
; NumSgprs: 106
; NumVgprs: 132
; NumAgprs: 0
; TotalNumVgprs: 132
; ScratchSize: 0
; MemoryBound: 0
; FloatMode: 240
; IeeeMode: 1
; LDSByteSize: 43008 bytes/workgroup (compile time only)
; SGPRBlocks: 13
; VGPRBlocks: 16
; NumSGPRsForWavesPerEU: 106
; NumVGPRsForWavesPerEU: 132
; AccumOffset: 132
; Occupancy: 1
; WaveLimiterHint : 1
; COMPUTE_PGM_RSRC2:SCRATCH_EN: 0
; COMPUTE_PGM_RSRC2:USER_SGPR: 2
; COMPUTE_PGM_RSRC2:TRAP_HANDLER: 0
; COMPUTE_PGM_RSRC2:TGID_X_EN: 1
; COMPUTE_PGM_RSRC2:TGID_Y_EN: 0
; COMPUTE_PGM_RSRC2:TGID_Z_EN: 0
; COMPUTE_PGM_RSRC2:TIDIG_COMP_CNT: 0
; COMPUTE_PGM_RSRC3_GFX90A:ACCUM_OFFSET: 32
; COMPUTE_PGM_RSRC3_GFX90A:TG_SPLIT: 0
	.section	.text._ZN7rocprim17ROCPRIM_400000_NS6detail17trampoline_kernelINS0_14default_configENS1_27scan_by_key_config_selectorIixEEZZNS1_16scan_by_key_implILNS1_25lookback_scan_determinismE0ELb0ES3_N6thrust23THRUST_200600_302600_NS6detail15normal_iteratorINS9_10device_ptrIiEEEENSB_INSC_IxEEEESG_xNS9_4plusIvEENS9_8equal_toIvEExEE10hipError_tPvRmT2_T3_T4_T5_mT6_T7_P12ihipStream_tbENKUlT_T0_E_clISt17integral_constantIbLb1EES10_IbLb0EEEEDaSW_SX_EUlSW_E_NS1_11comp_targetILNS1_3genE4ELNS1_11target_archE910ELNS1_3gpuE8ELNS1_3repE0EEENS1_30default_config_static_selectorELNS0_4arch9wavefront6targetE1EEEvT1_,"axG",@progbits,_ZN7rocprim17ROCPRIM_400000_NS6detail17trampoline_kernelINS0_14default_configENS1_27scan_by_key_config_selectorIixEEZZNS1_16scan_by_key_implILNS1_25lookback_scan_determinismE0ELb0ES3_N6thrust23THRUST_200600_302600_NS6detail15normal_iteratorINS9_10device_ptrIiEEEENSB_INSC_IxEEEESG_xNS9_4plusIvEENS9_8equal_toIvEExEE10hipError_tPvRmT2_T3_T4_T5_mT6_T7_P12ihipStream_tbENKUlT_T0_E_clISt17integral_constantIbLb1EES10_IbLb0EEEEDaSW_SX_EUlSW_E_NS1_11comp_targetILNS1_3genE4ELNS1_11target_archE910ELNS1_3gpuE8ELNS1_3repE0EEENS1_30default_config_static_selectorELNS0_4arch9wavefront6targetE1EEEvT1_,comdat
	.protected	_ZN7rocprim17ROCPRIM_400000_NS6detail17trampoline_kernelINS0_14default_configENS1_27scan_by_key_config_selectorIixEEZZNS1_16scan_by_key_implILNS1_25lookback_scan_determinismE0ELb0ES3_N6thrust23THRUST_200600_302600_NS6detail15normal_iteratorINS9_10device_ptrIiEEEENSB_INSC_IxEEEESG_xNS9_4plusIvEENS9_8equal_toIvEExEE10hipError_tPvRmT2_T3_T4_T5_mT6_T7_P12ihipStream_tbENKUlT_T0_E_clISt17integral_constantIbLb1EES10_IbLb0EEEEDaSW_SX_EUlSW_E_NS1_11comp_targetILNS1_3genE4ELNS1_11target_archE910ELNS1_3gpuE8ELNS1_3repE0EEENS1_30default_config_static_selectorELNS0_4arch9wavefront6targetE1EEEvT1_ ; -- Begin function _ZN7rocprim17ROCPRIM_400000_NS6detail17trampoline_kernelINS0_14default_configENS1_27scan_by_key_config_selectorIixEEZZNS1_16scan_by_key_implILNS1_25lookback_scan_determinismE0ELb0ES3_N6thrust23THRUST_200600_302600_NS6detail15normal_iteratorINS9_10device_ptrIiEEEENSB_INSC_IxEEEESG_xNS9_4plusIvEENS9_8equal_toIvEExEE10hipError_tPvRmT2_T3_T4_T5_mT6_T7_P12ihipStream_tbENKUlT_T0_E_clISt17integral_constantIbLb1EES10_IbLb0EEEEDaSW_SX_EUlSW_E_NS1_11comp_targetILNS1_3genE4ELNS1_11target_archE910ELNS1_3gpuE8ELNS1_3repE0EEENS1_30default_config_static_selectorELNS0_4arch9wavefront6targetE1EEEvT1_
	.globl	_ZN7rocprim17ROCPRIM_400000_NS6detail17trampoline_kernelINS0_14default_configENS1_27scan_by_key_config_selectorIixEEZZNS1_16scan_by_key_implILNS1_25lookback_scan_determinismE0ELb0ES3_N6thrust23THRUST_200600_302600_NS6detail15normal_iteratorINS9_10device_ptrIiEEEENSB_INSC_IxEEEESG_xNS9_4plusIvEENS9_8equal_toIvEExEE10hipError_tPvRmT2_T3_T4_T5_mT6_T7_P12ihipStream_tbENKUlT_T0_E_clISt17integral_constantIbLb1EES10_IbLb0EEEEDaSW_SX_EUlSW_E_NS1_11comp_targetILNS1_3genE4ELNS1_11target_archE910ELNS1_3gpuE8ELNS1_3repE0EEENS1_30default_config_static_selectorELNS0_4arch9wavefront6targetE1EEEvT1_
	.p2align	8
	.type	_ZN7rocprim17ROCPRIM_400000_NS6detail17trampoline_kernelINS0_14default_configENS1_27scan_by_key_config_selectorIixEEZZNS1_16scan_by_key_implILNS1_25lookback_scan_determinismE0ELb0ES3_N6thrust23THRUST_200600_302600_NS6detail15normal_iteratorINS9_10device_ptrIiEEEENSB_INSC_IxEEEESG_xNS9_4plusIvEENS9_8equal_toIvEExEE10hipError_tPvRmT2_T3_T4_T5_mT6_T7_P12ihipStream_tbENKUlT_T0_E_clISt17integral_constantIbLb1EES10_IbLb0EEEEDaSW_SX_EUlSW_E_NS1_11comp_targetILNS1_3genE4ELNS1_11target_archE910ELNS1_3gpuE8ELNS1_3repE0EEENS1_30default_config_static_selectorELNS0_4arch9wavefront6targetE1EEEvT1_,@function
_ZN7rocprim17ROCPRIM_400000_NS6detail17trampoline_kernelINS0_14default_configENS1_27scan_by_key_config_selectorIixEEZZNS1_16scan_by_key_implILNS1_25lookback_scan_determinismE0ELb0ES3_N6thrust23THRUST_200600_302600_NS6detail15normal_iteratorINS9_10device_ptrIiEEEENSB_INSC_IxEEEESG_xNS9_4plusIvEENS9_8equal_toIvEExEE10hipError_tPvRmT2_T3_T4_T5_mT6_T7_P12ihipStream_tbENKUlT_T0_E_clISt17integral_constantIbLb1EES10_IbLb0EEEEDaSW_SX_EUlSW_E_NS1_11comp_targetILNS1_3genE4ELNS1_11target_archE910ELNS1_3gpuE8ELNS1_3repE0EEENS1_30default_config_static_selectorELNS0_4arch9wavefront6targetE1EEEvT1_: ; @_ZN7rocprim17ROCPRIM_400000_NS6detail17trampoline_kernelINS0_14default_configENS1_27scan_by_key_config_selectorIixEEZZNS1_16scan_by_key_implILNS1_25lookback_scan_determinismE0ELb0ES3_N6thrust23THRUST_200600_302600_NS6detail15normal_iteratorINS9_10device_ptrIiEEEENSB_INSC_IxEEEESG_xNS9_4plusIvEENS9_8equal_toIvEExEE10hipError_tPvRmT2_T3_T4_T5_mT6_T7_P12ihipStream_tbENKUlT_T0_E_clISt17integral_constantIbLb1EES10_IbLb0EEEEDaSW_SX_EUlSW_E_NS1_11comp_targetILNS1_3genE4ELNS1_11target_archE910ELNS1_3gpuE8ELNS1_3repE0EEENS1_30default_config_static_selectorELNS0_4arch9wavefront6targetE1EEEvT1_
; %bb.0:
	.section	.rodata,"a",@progbits
	.p2align	6, 0x0
	.amdhsa_kernel _ZN7rocprim17ROCPRIM_400000_NS6detail17trampoline_kernelINS0_14default_configENS1_27scan_by_key_config_selectorIixEEZZNS1_16scan_by_key_implILNS1_25lookback_scan_determinismE0ELb0ES3_N6thrust23THRUST_200600_302600_NS6detail15normal_iteratorINS9_10device_ptrIiEEEENSB_INSC_IxEEEESG_xNS9_4plusIvEENS9_8equal_toIvEExEE10hipError_tPvRmT2_T3_T4_T5_mT6_T7_P12ihipStream_tbENKUlT_T0_E_clISt17integral_constantIbLb1EES10_IbLb0EEEEDaSW_SX_EUlSW_E_NS1_11comp_targetILNS1_3genE4ELNS1_11target_archE910ELNS1_3gpuE8ELNS1_3repE0EEENS1_30default_config_static_selectorELNS0_4arch9wavefront6targetE1EEEvT1_
		.amdhsa_group_segment_fixed_size 0
		.amdhsa_private_segment_fixed_size 0
		.amdhsa_kernarg_size 136
		.amdhsa_user_sgpr_count 2
		.amdhsa_user_sgpr_dispatch_ptr 0
		.amdhsa_user_sgpr_queue_ptr 0
		.amdhsa_user_sgpr_kernarg_segment_ptr 1
		.amdhsa_user_sgpr_dispatch_id 0
		.amdhsa_user_sgpr_kernarg_preload_length 0
		.amdhsa_user_sgpr_kernarg_preload_offset 0
		.amdhsa_user_sgpr_private_segment_size 0
		.amdhsa_uses_dynamic_stack 0
		.amdhsa_enable_private_segment 0
		.amdhsa_system_sgpr_workgroup_id_x 1
		.amdhsa_system_sgpr_workgroup_id_y 0
		.amdhsa_system_sgpr_workgroup_id_z 0
		.amdhsa_system_sgpr_workgroup_info 0
		.amdhsa_system_vgpr_workitem_id 0
		.amdhsa_next_free_vgpr 1
		.amdhsa_next_free_sgpr 0
		.amdhsa_accum_offset 4
		.amdhsa_reserve_vcc 0
		.amdhsa_float_round_mode_32 0
		.amdhsa_float_round_mode_16_64 0
		.amdhsa_float_denorm_mode_32 3
		.amdhsa_float_denorm_mode_16_64 3
		.amdhsa_dx10_clamp 1
		.amdhsa_ieee_mode 1
		.amdhsa_fp16_overflow 0
		.amdhsa_tg_split 0
		.amdhsa_exception_fp_ieee_invalid_op 0
		.amdhsa_exception_fp_denorm_src 0
		.amdhsa_exception_fp_ieee_div_zero 0
		.amdhsa_exception_fp_ieee_overflow 0
		.amdhsa_exception_fp_ieee_underflow 0
		.amdhsa_exception_fp_ieee_inexact 0
		.amdhsa_exception_int_div_zero 0
	.end_amdhsa_kernel
	.section	.text._ZN7rocprim17ROCPRIM_400000_NS6detail17trampoline_kernelINS0_14default_configENS1_27scan_by_key_config_selectorIixEEZZNS1_16scan_by_key_implILNS1_25lookback_scan_determinismE0ELb0ES3_N6thrust23THRUST_200600_302600_NS6detail15normal_iteratorINS9_10device_ptrIiEEEENSB_INSC_IxEEEESG_xNS9_4plusIvEENS9_8equal_toIvEExEE10hipError_tPvRmT2_T3_T4_T5_mT6_T7_P12ihipStream_tbENKUlT_T0_E_clISt17integral_constantIbLb1EES10_IbLb0EEEEDaSW_SX_EUlSW_E_NS1_11comp_targetILNS1_3genE4ELNS1_11target_archE910ELNS1_3gpuE8ELNS1_3repE0EEENS1_30default_config_static_selectorELNS0_4arch9wavefront6targetE1EEEvT1_,"axG",@progbits,_ZN7rocprim17ROCPRIM_400000_NS6detail17trampoline_kernelINS0_14default_configENS1_27scan_by_key_config_selectorIixEEZZNS1_16scan_by_key_implILNS1_25lookback_scan_determinismE0ELb0ES3_N6thrust23THRUST_200600_302600_NS6detail15normal_iteratorINS9_10device_ptrIiEEEENSB_INSC_IxEEEESG_xNS9_4plusIvEENS9_8equal_toIvEExEE10hipError_tPvRmT2_T3_T4_T5_mT6_T7_P12ihipStream_tbENKUlT_T0_E_clISt17integral_constantIbLb1EES10_IbLb0EEEEDaSW_SX_EUlSW_E_NS1_11comp_targetILNS1_3genE4ELNS1_11target_archE910ELNS1_3gpuE8ELNS1_3repE0EEENS1_30default_config_static_selectorELNS0_4arch9wavefront6targetE1EEEvT1_,comdat
.Lfunc_end1334:
	.size	_ZN7rocprim17ROCPRIM_400000_NS6detail17trampoline_kernelINS0_14default_configENS1_27scan_by_key_config_selectorIixEEZZNS1_16scan_by_key_implILNS1_25lookback_scan_determinismE0ELb0ES3_N6thrust23THRUST_200600_302600_NS6detail15normal_iteratorINS9_10device_ptrIiEEEENSB_INSC_IxEEEESG_xNS9_4plusIvEENS9_8equal_toIvEExEE10hipError_tPvRmT2_T3_T4_T5_mT6_T7_P12ihipStream_tbENKUlT_T0_E_clISt17integral_constantIbLb1EES10_IbLb0EEEEDaSW_SX_EUlSW_E_NS1_11comp_targetILNS1_3genE4ELNS1_11target_archE910ELNS1_3gpuE8ELNS1_3repE0EEENS1_30default_config_static_selectorELNS0_4arch9wavefront6targetE1EEEvT1_, .Lfunc_end1334-_ZN7rocprim17ROCPRIM_400000_NS6detail17trampoline_kernelINS0_14default_configENS1_27scan_by_key_config_selectorIixEEZZNS1_16scan_by_key_implILNS1_25lookback_scan_determinismE0ELb0ES3_N6thrust23THRUST_200600_302600_NS6detail15normal_iteratorINS9_10device_ptrIiEEEENSB_INSC_IxEEEESG_xNS9_4plusIvEENS9_8equal_toIvEExEE10hipError_tPvRmT2_T3_T4_T5_mT6_T7_P12ihipStream_tbENKUlT_T0_E_clISt17integral_constantIbLb1EES10_IbLb0EEEEDaSW_SX_EUlSW_E_NS1_11comp_targetILNS1_3genE4ELNS1_11target_archE910ELNS1_3gpuE8ELNS1_3repE0EEENS1_30default_config_static_selectorELNS0_4arch9wavefront6targetE1EEEvT1_
                                        ; -- End function
	.section	.AMDGPU.csdata,"",@progbits
; Kernel info:
; codeLenInByte = 0
; NumSgprs: 6
; NumVgprs: 0
; NumAgprs: 0
; TotalNumVgprs: 0
; ScratchSize: 0
; MemoryBound: 0
; FloatMode: 240
; IeeeMode: 1
; LDSByteSize: 0 bytes/workgroup (compile time only)
; SGPRBlocks: 0
; VGPRBlocks: 0
; NumSGPRsForWavesPerEU: 6
; NumVGPRsForWavesPerEU: 1
; AccumOffset: 4
; Occupancy: 8
; WaveLimiterHint : 0
; COMPUTE_PGM_RSRC2:SCRATCH_EN: 0
; COMPUTE_PGM_RSRC2:USER_SGPR: 2
; COMPUTE_PGM_RSRC2:TRAP_HANDLER: 0
; COMPUTE_PGM_RSRC2:TGID_X_EN: 1
; COMPUTE_PGM_RSRC2:TGID_Y_EN: 0
; COMPUTE_PGM_RSRC2:TGID_Z_EN: 0
; COMPUTE_PGM_RSRC2:TIDIG_COMP_CNT: 0
; COMPUTE_PGM_RSRC3_GFX90A:ACCUM_OFFSET: 0
; COMPUTE_PGM_RSRC3_GFX90A:TG_SPLIT: 0
	.section	.text._ZN7rocprim17ROCPRIM_400000_NS6detail17trampoline_kernelINS0_14default_configENS1_27scan_by_key_config_selectorIixEEZZNS1_16scan_by_key_implILNS1_25lookback_scan_determinismE0ELb0ES3_N6thrust23THRUST_200600_302600_NS6detail15normal_iteratorINS9_10device_ptrIiEEEENSB_INSC_IxEEEESG_xNS9_4plusIvEENS9_8equal_toIvEExEE10hipError_tPvRmT2_T3_T4_T5_mT6_T7_P12ihipStream_tbENKUlT_T0_E_clISt17integral_constantIbLb1EES10_IbLb0EEEEDaSW_SX_EUlSW_E_NS1_11comp_targetILNS1_3genE3ELNS1_11target_archE908ELNS1_3gpuE7ELNS1_3repE0EEENS1_30default_config_static_selectorELNS0_4arch9wavefront6targetE1EEEvT1_,"axG",@progbits,_ZN7rocprim17ROCPRIM_400000_NS6detail17trampoline_kernelINS0_14default_configENS1_27scan_by_key_config_selectorIixEEZZNS1_16scan_by_key_implILNS1_25lookback_scan_determinismE0ELb0ES3_N6thrust23THRUST_200600_302600_NS6detail15normal_iteratorINS9_10device_ptrIiEEEENSB_INSC_IxEEEESG_xNS9_4plusIvEENS9_8equal_toIvEExEE10hipError_tPvRmT2_T3_T4_T5_mT6_T7_P12ihipStream_tbENKUlT_T0_E_clISt17integral_constantIbLb1EES10_IbLb0EEEEDaSW_SX_EUlSW_E_NS1_11comp_targetILNS1_3genE3ELNS1_11target_archE908ELNS1_3gpuE7ELNS1_3repE0EEENS1_30default_config_static_selectorELNS0_4arch9wavefront6targetE1EEEvT1_,comdat
	.protected	_ZN7rocprim17ROCPRIM_400000_NS6detail17trampoline_kernelINS0_14default_configENS1_27scan_by_key_config_selectorIixEEZZNS1_16scan_by_key_implILNS1_25lookback_scan_determinismE0ELb0ES3_N6thrust23THRUST_200600_302600_NS6detail15normal_iteratorINS9_10device_ptrIiEEEENSB_INSC_IxEEEESG_xNS9_4plusIvEENS9_8equal_toIvEExEE10hipError_tPvRmT2_T3_T4_T5_mT6_T7_P12ihipStream_tbENKUlT_T0_E_clISt17integral_constantIbLb1EES10_IbLb0EEEEDaSW_SX_EUlSW_E_NS1_11comp_targetILNS1_3genE3ELNS1_11target_archE908ELNS1_3gpuE7ELNS1_3repE0EEENS1_30default_config_static_selectorELNS0_4arch9wavefront6targetE1EEEvT1_ ; -- Begin function _ZN7rocprim17ROCPRIM_400000_NS6detail17trampoline_kernelINS0_14default_configENS1_27scan_by_key_config_selectorIixEEZZNS1_16scan_by_key_implILNS1_25lookback_scan_determinismE0ELb0ES3_N6thrust23THRUST_200600_302600_NS6detail15normal_iteratorINS9_10device_ptrIiEEEENSB_INSC_IxEEEESG_xNS9_4plusIvEENS9_8equal_toIvEExEE10hipError_tPvRmT2_T3_T4_T5_mT6_T7_P12ihipStream_tbENKUlT_T0_E_clISt17integral_constantIbLb1EES10_IbLb0EEEEDaSW_SX_EUlSW_E_NS1_11comp_targetILNS1_3genE3ELNS1_11target_archE908ELNS1_3gpuE7ELNS1_3repE0EEENS1_30default_config_static_selectorELNS0_4arch9wavefront6targetE1EEEvT1_
	.globl	_ZN7rocprim17ROCPRIM_400000_NS6detail17trampoline_kernelINS0_14default_configENS1_27scan_by_key_config_selectorIixEEZZNS1_16scan_by_key_implILNS1_25lookback_scan_determinismE0ELb0ES3_N6thrust23THRUST_200600_302600_NS6detail15normal_iteratorINS9_10device_ptrIiEEEENSB_INSC_IxEEEESG_xNS9_4plusIvEENS9_8equal_toIvEExEE10hipError_tPvRmT2_T3_T4_T5_mT6_T7_P12ihipStream_tbENKUlT_T0_E_clISt17integral_constantIbLb1EES10_IbLb0EEEEDaSW_SX_EUlSW_E_NS1_11comp_targetILNS1_3genE3ELNS1_11target_archE908ELNS1_3gpuE7ELNS1_3repE0EEENS1_30default_config_static_selectorELNS0_4arch9wavefront6targetE1EEEvT1_
	.p2align	8
	.type	_ZN7rocprim17ROCPRIM_400000_NS6detail17trampoline_kernelINS0_14default_configENS1_27scan_by_key_config_selectorIixEEZZNS1_16scan_by_key_implILNS1_25lookback_scan_determinismE0ELb0ES3_N6thrust23THRUST_200600_302600_NS6detail15normal_iteratorINS9_10device_ptrIiEEEENSB_INSC_IxEEEESG_xNS9_4plusIvEENS9_8equal_toIvEExEE10hipError_tPvRmT2_T3_T4_T5_mT6_T7_P12ihipStream_tbENKUlT_T0_E_clISt17integral_constantIbLb1EES10_IbLb0EEEEDaSW_SX_EUlSW_E_NS1_11comp_targetILNS1_3genE3ELNS1_11target_archE908ELNS1_3gpuE7ELNS1_3repE0EEENS1_30default_config_static_selectorELNS0_4arch9wavefront6targetE1EEEvT1_,@function
_ZN7rocprim17ROCPRIM_400000_NS6detail17trampoline_kernelINS0_14default_configENS1_27scan_by_key_config_selectorIixEEZZNS1_16scan_by_key_implILNS1_25lookback_scan_determinismE0ELb0ES3_N6thrust23THRUST_200600_302600_NS6detail15normal_iteratorINS9_10device_ptrIiEEEENSB_INSC_IxEEEESG_xNS9_4plusIvEENS9_8equal_toIvEExEE10hipError_tPvRmT2_T3_T4_T5_mT6_T7_P12ihipStream_tbENKUlT_T0_E_clISt17integral_constantIbLb1EES10_IbLb0EEEEDaSW_SX_EUlSW_E_NS1_11comp_targetILNS1_3genE3ELNS1_11target_archE908ELNS1_3gpuE7ELNS1_3repE0EEENS1_30default_config_static_selectorELNS0_4arch9wavefront6targetE1EEEvT1_: ; @_ZN7rocprim17ROCPRIM_400000_NS6detail17trampoline_kernelINS0_14default_configENS1_27scan_by_key_config_selectorIixEEZZNS1_16scan_by_key_implILNS1_25lookback_scan_determinismE0ELb0ES3_N6thrust23THRUST_200600_302600_NS6detail15normal_iteratorINS9_10device_ptrIiEEEENSB_INSC_IxEEEESG_xNS9_4plusIvEENS9_8equal_toIvEExEE10hipError_tPvRmT2_T3_T4_T5_mT6_T7_P12ihipStream_tbENKUlT_T0_E_clISt17integral_constantIbLb1EES10_IbLb0EEEEDaSW_SX_EUlSW_E_NS1_11comp_targetILNS1_3genE3ELNS1_11target_archE908ELNS1_3gpuE7ELNS1_3repE0EEENS1_30default_config_static_selectorELNS0_4arch9wavefront6targetE1EEEvT1_
; %bb.0:
	.section	.rodata,"a",@progbits
	.p2align	6, 0x0
	.amdhsa_kernel _ZN7rocprim17ROCPRIM_400000_NS6detail17trampoline_kernelINS0_14default_configENS1_27scan_by_key_config_selectorIixEEZZNS1_16scan_by_key_implILNS1_25lookback_scan_determinismE0ELb0ES3_N6thrust23THRUST_200600_302600_NS6detail15normal_iteratorINS9_10device_ptrIiEEEENSB_INSC_IxEEEESG_xNS9_4plusIvEENS9_8equal_toIvEExEE10hipError_tPvRmT2_T3_T4_T5_mT6_T7_P12ihipStream_tbENKUlT_T0_E_clISt17integral_constantIbLb1EES10_IbLb0EEEEDaSW_SX_EUlSW_E_NS1_11comp_targetILNS1_3genE3ELNS1_11target_archE908ELNS1_3gpuE7ELNS1_3repE0EEENS1_30default_config_static_selectorELNS0_4arch9wavefront6targetE1EEEvT1_
		.amdhsa_group_segment_fixed_size 0
		.amdhsa_private_segment_fixed_size 0
		.amdhsa_kernarg_size 136
		.amdhsa_user_sgpr_count 2
		.amdhsa_user_sgpr_dispatch_ptr 0
		.amdhsa_user_sgpr_queue_ptr 0
		.amdhsa_user_sgpr_kernarg_segment_ptr 1
		.amdhsa_user_sgpr_dispatch_id 0
		.amdhsa_user_sgpr_kernarg_preload_length 0
		.amdhsa_user_sgpr_kernarg_preload_offset 0
		.amdhsa_user_sgpr_private_segment_size 0
		.amdhsa_uses_dynamic_stack 0
		.amdhsa_enable_private_segment 0
		.amdhsa_system_sgpr_workgroup_id_x 1
		.amdhsa_system_sgpr_workgroup_id_y 0
		.amdhsa_system_sgpr_workgroup_id_z 0
		.amdhsa_system_sgpr_workgroup_info 0
		.amdhsa_system_vgpr_workitem_id 0
		.amdhsa_next_free_vgpr 1
		.amdhsa_next_free_sgpr 0
		.amdhsa_accum_offset 4
		.amdhsa_reserve_vcc 0
		.amdhsa_float_round_mode_32 0
		.amdhsa_float_round_mode_16_64 0
		.amdhsa_float_denorm_mode_32 3
		.amdhsa_float_denorm_mode_16_64 3
		.amdhsa_dx10_clamp 1
		.amdhsa_ieee_mode 1
		.amdhsa_fp16_overflow 0
		.amdhsa_tg_split 0
		.amdhsa_exception_fp_ieee_invalid_op 0
		.amdhsa_exception_fp_denorm_src 0
		.amdhsa_exception_fp_ieee_div_zero 0
		.amdhsa_exception_fp_ieee_overflow 0
		.amdhsa_exception_fp_ieee_underflow 0
		.amdhsa_exception_fp_ieee_inexact 0
		.amdhsa_exception_int_div_zero 0
	.end_amdhsa_kernel
	.section	.text._ZN7rocprim17ROCPRIM_400000_NS6detail17trampoline_kernelINS0_14default_configENS1_27scan_by_key_config_selectorIixEEZZNS1_16scan_by_key_implILNS1_25lookback_scan_determinismE0ELb0ES3_N6thrust23THRUST_200600_302600_NS6detail15normal_iteratorINS9_10device_ptrIiEEEENSB_INSC_IxEEEESG_xNS9_4plusIvEENS9_8equal_toIvEExEE10hipError_tPvRmT2_T3_T4_T5_mT6_T7_P12ihipStream_tbENKUlT_T0_E_clISt17integral_constantIbLb1EES10_IbLb0EEEEDaSW_SX_EUlSW_E_NS1_11comp_targetILNS1_3genE3ELNS1_11target_archE908ELNS1_3gpuE7ELNS1_3repE0EEENS1_30default_config_static_selectorELNS0_4arch9wavefront6targetE1EEEvT1_,"axG",@progbits,_ZN7rocprim17ROCPRIM_400000_NS6detail17trampoline_kernelINS0_14default_configENS1_27scan_by_key_config_selectorIixEEZZNS1_16scan_by_key_implILNS1_25lookback_scan_determinismE0ELb0ES3_N6thrust23THRUST_200600_302600_NS6detail15normal_iteratorINS9_10device_ptrIiEEEENSB_INSC_IxEEEESG_xNS9_4plusIvEENS9_8equal_toIvEExEE10hipError_tPvRmT2_T3_T4_T5_mT6_T7_P12ihipStream_tbENKUlT_T0_E_clISt17integral_constantIbLb1EES10_IbLb0EEEEDaSW_SX_EUlSW_E_NS1_11comp_targetILNS1_3genE3ELNS1_11target_archE908ELNS1_3gpuE7ELNS1_3repE0EEENS1_30default_config_static_selectorELNS0_4arch9wavefront6targetE1EEEvT1_,comdat
.Lfunc_end1335:
	.size	_ZN7rocprim17ROCPRIM_400000_NS6detail17trampoline_kernelINS0_14default_configENS1_27scan_by_key_config_selectorIixEEZZNS1_16scan_by_key_implILNS1_25lookback_scan_determinismE0ELb0ES3_N6thrust23THRUST_200600_302600_NS6detail15normal_iteratorINS9_10device_ptrIiEEEENSB_INSC_IxEEEESG_xNS9_4plusIvEENS9_8equal_toIvEExEE10hipError_tPvRmT2_T3_T4_T5_mT6_T7_P12ihipStream_tbENKUlT_T0_E_clISt17integral_constantIbLb1EES10_IbLb0EEEEDaSW_SX_EUlSW_E_NS1_11comp_targetILNS1_3genE3ELNS1_11target_archE908ELNS1_3gpuE7ELNS1_3repE0EEENS1_30default_config_static_selectorELNS0_4arch9wavefront6targetE1EEEvT1_, .Lfunc_end1335-_ZN7rocprim17ROCPRIM_400000_NS6detail17trampoline_kernelINS0_14default_configENS1_27scan_by_key_config_selectorIixEEZZNS1_16scan_by_key_implILNS1_25lookback_scan_determinismE0ELb0ES3_N6thrust23THRUST_200600_302600_NS6detail15normal_iteratorINS9_10device_ptrIiEEEENSB_INSC_IxEEEESG_xNS9_4plusIvEENS9_8equal_toIvEExEE10hipError_tPvRmT2_T3_T4_T5_mT6_T7_P12ihipStream_tbENKUlT_T0_E_clISt17integral_constantIbLb1EES10_IbLb0EEEEDaSW_SX_EUlSW_E_NS1_11comp_targetILNS1_3genE3ELNS1_11target_archE908ELNS1_3gpuE7ELNS1_3repE0EEENS1_30default_config_static_selectorELNS0_4arch9wavefront6targetE1EEEvT1_
                                        ; -- End function
	.section	.AMDGPU.csdata,"",@progbits
; Kernel info:
; codeLenInByte = 0
; NumSgprs: 6
; NumVgprs: 0
; NumAgprs: 0
; TotalNumVgprs: 0
; ScratchSize: 0
; MemoryBound: 0
; FloatMode: 240
; IeeeMode: 1
; LDSByteSize: 0 bytes/workgroup (compile time only)
; SGPRBlocks: 0
; VGPRBlocks: 0
; NumSGPRsForWavesPerEU: 6
; NumVGPRsForWavesPerEU: 1
; AccumOffset: 4
; Occupancy: 8
; WaveLimiterHint : 0
; COMPUTE_PGM_RSRC2:SCRATCH_EN: 0
; COMPUTE_PGM_RSRC2:USER_SGPR: 2
; COMPUTE_PGM_RSRC2:TRAP_HANDLER: 0
; COMPUTE_PGM_RSRC2:TGID_X_EN: 1
; COMPUTE_PGM_RSRC2:TGID_Y_EN: 0
; COMPUTE_PGM_RSRC2:TGID_Z_EN: 0
; COMPUTE_PGM_RSRC2:TIDIG_COMP_CNT: 0
; COMPUTE_PGM_RSRC3_GFX90A:ACCUM_OFFSET: 0
; COMPUTE_PGM_RSRC3_GFX90A:TG_SPLIT: 0
	.section	.text._ZN7rocprim17ROCPRIM_400000_NS6detail17trampoline_kernelINS0_14default_configENS1_27scan_by_key_config_selectorIixEEZZNS1_16scan_by_key_implILNS1_25lookback_scan_determinismE0ELb0ES3_N6thrust23THRUST_200600_302600_NS6detail15normal_iteratorINS9_10device_ptrIiEEEENSB_INSC_IxEEEESG_xNS9_4plusIvEENS9_8equal_toIvEExEE10hipError_tPvRmT2_T3_T4_T5_mT6_T7_P12ihipStream_tbENKUlT_T0_E_clISt17integral_constantIbLb1EES10_IbLb0EEEEDaSW_SX_EUlSW_E_NS1_11comp_targetILNS1_3genE2ELNS1_11target_archE906ELNS1_3gpuE6ELNS1_3repE0EEENS1_30default_config_static_selectorELNS0_4arch9wavefront6targetE1EEEvT1_,"axG",@progbits,_ZN7rocprim17ROCPRIM_400000_NS6detail17trampoline_kernelINS0_14default_configENS1_27scan_by_key_config_selectorIixEEZZNS1_16scan_by_key_implILNS1_25lookback_scan_determinismE0ELb0ES3_N6thrust23THRUST_200600_302600_NS6detail15normal_iteratorINS9_10device_ptrIiEEEENSB_INSC_IxEEEESG_xNS9_4plusIvEENS9_8equal_toIvEExEE10hipError_tPvRmT2_T3_T4_T5_mT6_T7_P12ihipStream_tbENKUlT_T0_E_clISt17integral_constantIbLb1EES10_IbLb0EEEEDaSW_SX_EUlSW_E_NS1_11comp_targetILNS1_3genE2ELNS1_11target_archE906ELNS1_3gpuE6ELNS1_3repE0EEENS1_30default_config_static_selectorELNS0_4arch9wavefront6targetE1EEEvT1_,comdat
	.protected	_ZN7rocprim17ROCPRIM_400000_NS6detail17trampoline_kernelINS0_14default_configENS1_27scan_by_key_config_selectorIixEEZZNS1_16scan_by_key_implILNS1_25lookback_scan_determinismE0ELb0ES3_N6thrust23THRUST_200600_302600_NS6detail15normal_iteratorINS9_10device_ptrIiEEEENSB_INSC_IxEEEESG_xNS9_4plusIvEENS9_8equal_toIvEExEE10hipError_tPvRmT2_T3_T4_T5_mT6_T7_P12ihipStream_tbENKUlT_T0_E_clISt17integral_constantIbLb1EES10_IbLb0EEEEDaSW_SX_EUlSW_E_NS1_11comp_targetILNS1_3genE2ELNS1_11target_archE906ELNS1_3gpuE6ELNS1_3repE0EEENS1_30default_config_static_selectorELNS0_4arch9wavefront6targetE1EEEvT1_ ; -- Begin function _ZN7rocprim17ROCPRIM_400000_NS6detail17trampoline_kernelINS0_14default_configENS1_27scan_by_key_config_selectorIixEEZZNS1_16scan_by_key_implILNS1_25lookback_scan_determinismE0ELb0ES3_N6thrust23THRUST_200600_302600_NS6detail15normal_iteratorINS9_10device_ptrIiEEEENSB_INSC_IxEEEESG_xNS9_4plusIvEENS9_8equal_toIvEExEE10hipError_tPvRmT2_T3_T4_T5_mT6_T7_P12ihipStream_tbENKUlT_T0_E_clISt17integral_constantIbLb1EES10_IbLb0EEEEDaSW_SX_EUlSW_E_NS1_11comp_targetILNS1_3genE2ELNS1_11target_archE906ELNS1_3gpuE6ELNS1_3repE0EEENS1_30default_config_static_selectorELNS0_4arch9wavefront6targetE1EEEvT1_
	.globl	_ZN7rocprim17ROCPRIM_400000_NS6detail17trampoline_kernelINS0_14default_configENS1_27scan_by_key_config_selectorIixEEZZNS1_16scan_by_key_implILNS1_25lookback_scan_determinismE0ELb0ES3_N6thrust23THRUST_200600_302600_NS6detail15normal_iteratorINS9_10device_ptrIiEEEENSB_INSC_IxEEEESG_xNS9_4plusIvEENS9_8equal_toIvEExEE10hipError_tPvRmT2_T3_T4_T5_mT6_T7_P12ihipStream_tbENKUlT_T0_E_clISt17integral_constantIbLb1EES10_IbLb0EEEEDaSW_SX_EUlSW_E_NS1_11comp_targetILNS1_3genE2ELNS1_11target_archE906ELNS1_3gpuE6ELNS1_3repE0EEENS1_30default_config_static_selectorELNS0_4arch9wavefront6targetE1EEEvT1_
	.p2align	8
	.type	_ZN7rocprim17ROCPRIM_400000_NS6detail17trampoline_kernelINS0_14default_configENS1_27scan_by_key_config_selectorIixEEZZNS1_16scan_by_key_implILNS1_25lookback_scan_determinismE0ELb0ES3_N6thrust23THRUST_200600_302600_NS6detail15normal_iteratorINS9_10device_ptrIiEEEENSB_INSC_IxEEEESG_xNS9_4plusIvEENS9_8equal_toIvEExEE10hipError_tPvRmT2_T3_T4_T5_mT6_T7_P12ihipStream_tbENKUlT_T0_E_clISt17integral_constantIbLb1EES10_IbLb0EEEEDaSW_SX_EUlSW_E_NS1_11comp_targetILNS1_3genE2ELNS1_11target_archE906ELNS1_3gpuE6ELNS1_3repE0EEENS1_30default_config_static_selectorELNS0_4arch9wavefront6targetE1EEEvT1_,@function
_ZN7rocprim17ROCPRIM_400000_NS6detail17trampoline_kernelINS0_14default_configENS1_27scan_by_key_config_selectorIixEEZZNS1_16scan_by_key_implILNS1_25lookback_scan_determinismE0ELb0ES3_N6thrust23THRUST_200600_302600_NS6detail15normal_iteratorINS9_10device_ptrIiEEEENSB_INSC_IxEEEESG_xNS9_4plusIvEENS9_8equal_toIvEExEE10hipError_tPvRmT2_T3_T4_T5_mT6_T7_P12ihipStream_tbENKUlT_T0_E_clISt17integral_constantIbLb1EES10_IbLb0EEEEDaSW_SX_EUlSW_E_NS1_11comp_targetILNS1_3genE2ELNS1_11target_archE906ELNS1_3gpuE6ELNS1_3repE0EEENS1_30default_config_static_selectorELNS0_4arch9wavefront6targetE1EEEvT1_: ; @_ZN7rocprim17ROCPRIM_400000_NS6detail17trampoline_kernelINS0_14default_configENS1_27scan_by_key_config_selectorIixEEZZNS1_16scan_by_key_implILNS1_25lookback_scan_determinismE0ELb0ES3_N6thrust23THRUST_200600_302600_NS6detail15normal_iteratorINS9_10device_ptrIiEEEENSB_INSC_IxEEEESG_xNS9_4plusIvEENS9_8equal_toIvEExEE10hipError_tPvRmT2_T3_T4_T5_mT6_T7_P12ihipStream_tbENKUlT_T0_E_clISt17integral_constantIbLb1EES10_IbLb0EEEEDaSW_SX_EUlSW_E_NS1_11comp_targetILNS1_3genE2ELNS1_11target_archE906ELNS1_3gpuE6ELNS1_3repE0EEENS1_30default_config_static_selectorELNS0_4arch9wavefront6targetE1EEEvT1_
; %bb.0:
	.section	.rodata,"a",@progbits
	.p2align	6, 0x0
	.amdhsa_kernel _ZN7rocprim17ROCPRIM_400000_NS6detail17trampoline_kernelINS0_14default_configENS1_27scan_by_key_config_selectorIixEEZZNS1_16scan_by_key_implILNS1_25lookback_scan_determinismE0ELb0ES3_N6thrust23THRUST_200600_302600_NS6detail15normal_iteratorINS9_10device_ptrIiEEEENSB_INSC_IxEEEESG_xNS9_4plusIvEENS9_8equal_toIvEExEE10hipError_tPvRmT2_T3_T4_T5_mT6_T7_P12ihipStream_tbENKUlT_T0_E_clISt17integral_constantIbLb1EES10_IbLb0EEEEDaSW_SX_EUlSW_E_NS1_11comp_targetILNS1_3genE2ELNS1_11target_archE906ELNS1_3gpuE6ELNS1_3repE0EEENS1_30default_config_static_selectorELNS0_4arch9wavefront6targetE1EEEvT1_
		.amdhsa_group_segment_fixed_size 0
		.amdhsa_private_segment_fixed_size 0
		.amdhsa_kernarg_size 136
		.amdhsa_user_sgpr_count 2
		.amdhsa_user_sgpr_dispatch_ptr 0
		.amdhsa_user_sgpr_queue_ptr 0
		.amdhsa_user_sgpr_kernarg_segment_ptr 1
		.amdhsa_user_sgpr_dispatch_id 0
		.amdhsa_user_sgpr_kernarg_preload_length 0
		.amdhsa_user_sgpr_kernarg_preload_offset 0
		.amdhsa_user_sgpr_private_segment_size 0
		.amdhsa_uses_dynamic_stack 0
		.amdhsa_enable_private_segment 0
		.amdhsa_system_sgpr_workgroup_id_x 1
		.amdhsa_system_sgpr_workgroup_id_y 0
		.amdhsa_system_sgpr_workgroup_id_z 0
		.amdhsa_system_sgpr_workgroup_info 0
		.amdhsa_system_vgpr_workitem_id 0
		.amdhsa_next_free_vgpr 1
		.amdhsa_next_free_sgpr 0
		.amdhsa_accum_offset 4
		.amdhsa_reserve_vcc 0
		.amdhsa_float_round_mode_32 0
		.amdhsa_float_round_mode_16_64 0
		.amdhsa_float_denorm_mode_32 3
		.amdhsa_float_denorm_mode_16_64 3
		.amdhsa_dx10_clamp 1
		.amdhsa_ieee_mode 1
		.amdhsa_fp16_overflow 0
		.amdhsa_tg_split 0
		.amdhsa_exception_fp_ieee_invalid_op 0
		.amdhsa_exception_fp_denorm_src 0
		.amdhsa_exception_fp_ieee_div_zero 0
		.amdhsa_exception_fp_ieee_overflow 0
		.amdhsa_exception_fp_ieee_underflow 0
		.amdhsa_exception_fp_ieee_inexact 0
		.amdhsa_exception_int_div_zero 0
	.end_amdhsa_kernel
	.section	.text._ZN7rocprim17ROCPRIM_400000_NS6detail17trampoline_kernelINS0_14default_configENS1_27scan_by_key_config_selectorIixEEZZNS1_16scan_by_key_implILNS1_25lookback_scan_determinismE0ELb0ES3_N6thrust23THRUST_200600_302600_NS6detail15normal_iteratorINS9_10device_ptrIiEEEENSB_INSC_IxEEEESG_xNS9_4plusIvEENS9_8equal_toIvEExEE10hipError_tPvRmT2_T3_T4_T5_mT6_T7_P12ihipStream_tbENKUlT_T0_E_clISt17integral_constantIbLb1EES10_IbLb0EEEEDaSW_SX_EUlSW_E_NS1_11comp_targetILNS1_3genE2ELNS1_11target_archE906ELNS1_3gpuE6ELNS1_3repE0EEENS1_30default_config_static_selectorELNS0_4arch9wavefront6targetE1EEEvT1_,"axG",@progbits,_ZN7rocprim17ROCPRIM_400000_NS6detail17trampoline_kernelINS0_14default_configENS1_27scan_by_key_config_selectorIixEEZZNS1_16scan_by_key_implILNS1_25lookback_scan_determinismE0ELb0ES3_N6thrust23THRUST_200600_302600_NS6detail15normal_iteratorINS9_10device_ptrIiEEEENSB_INSC_IxEEEESG_xNS9_4plusIvEENS9_8equal_toIvEExEE10hipError_tPvRmT2_T3_T4_T5_mT6_T7_P12ihipStream_tbENKUlT_T0_E_clISt17integral_constantIbLb1EES10_IbLb0EEEEDaSW_SX_EUlSW_E_NS1_11comp_targetILNS1_3genE2ELNS1_11target_archE906ELNS1_3gpuE6ELNS1_3repE0EEENS1_30default_config_static_selectorELNS0_4arch9wavefront6targetE1EEEvT1_,comdat
.Lfunc_end1336:
	.size	_ZN7rocprim17ROCPRIM_400000_NS6detail17trampoline_kernelINS0_14default_configENS1_27scan_by_key_config_selectorIixEEZZNS1_16scan_by_key_implILNS1_25lookback_scan_determinismE0ELb0ES3_N6thrust23THRUST_200600_302600_NS6detail15normal_iteratorINS9_10device_ptrIiEEEENSB_INSC_IxEEEESG_xNS9_4plusIvEENS9_8equal_toIvEExEE10hipError_tPvRmT2_T3_T4_T5_mT6_T7_P12ihipStream_tbENKUlT_T0_E_clISt17integral_constantIbLb1EES10_IbLb0EEEEDaSW_SX_EUlSW_E_NS1_11comp_targetILNS1_3genE2ELNS1_11target_archE906ELNS1_3gpuE6ELNS1_3repE0EEENS1_30default_config_static_selectorELNS0_4arch9wavefront6targetE1EEEvT1_, .Lfunc_end1336-_ZN7rocprim17ROCPRIM_400000_NS6detail17trampoline_kernelINS0_14default_configENS1_27scan_by_key_config_selectorIixEEZZNS1_16scan_by_key_implILNS1_25lookback_scan_determinismE0ELb0ES3_N6thrust23THRUST_200600_302600_NS6detail15normal_iteratorINS9_10device_ptrIiEEEENSB_INSC_IxEEEESG_xNS9_4plusIvEENS9_8equal_toIvEExEE10hipError_tPvRmT2_T3_T4_T5_mT6_T7_P12ihipStream_tbENKUlT_T0_E_clISt17integral_constantIbLb1EES10_IbLb0EEEEDaSW_SX_EUlSW_E_NS1_11comp_targetILNS1_3genE2ELNS1_11target_archE906ELNS1_3gpuE6ELNS1_3repE0EEENS1_30default_config_static_selectorELNS0_4arch9wavefront6targetE1EEEvT1_
                                        ; -- End function
	.section	.AMDGPU.csdata,"",@progbits
; Kernel info:
; codeLenInByte = 0
; NumSgprs: 6
; NumVgprs: 0
; NumAgprs: 0
; TotalNumVgprs: 0
; ScratchSize: 0
; MemoryBound: 0
; FloatMode: 240
; IeeeMode: 1
; LDSByteSize: 0 bytes/workgroup (compile time only)
; SGPRBlocks: 0
; VGPRBlocks: 0
; NumSGPRsForWavesPerEU: 6
; NumVGPRsForWavesPerEU: 1
; AccumOffset: 4
; Occupancy: 8
; WaveLimiterHint : 0
; COMPUTE_PGM_RSRC2:SCRATCH_EN: 0
; COMPUTE_PGM_RSRC2:USER_SGPR: 2
; COMPUTE_PGM_RSRC2:TRAP_HANDLER: 0
; COMPUTE_PGM_RSRC2:TGID_X_EN: 1
; COMPUTE_PGM_RSRC2:TGID_Y_EN: 0
; COMPUTE_PGM_RSRC2:TGID_Z_EN: 0
; COMPUTE_PGM_RSRC2:TIDIG_COMP_CNT: 0
; COMPUTE_PGM_RSRC3_GFX90A:ACCUM_OFFSET: 0
; COMPUTE_PGM_RSRC3_GFX90A:TG_SPLIT: 0
	.section	.text._ZN7rocprim17ROCPRIM_400000_NS6detail17trampoline_kernelINS0_14default_configENS1_27scan_by_key_config_selectorIixEEZZNS1_16scan_by_key_implILNS1_25lookback_scan_determinismE0ELb0ES3_N6thrust23THRUST_200600_302600_NS6detail15normal_iteratorINS9_10device_ptrIiEEEENSB_INSC_IxEEEESG_xNS9_4plusIvEENS9_8equal_toIvEExEE10hipError_tPvRmT2_T3_T4_T5_mT6_T7_P12ihipStream_tbENKUlT_T0_E_clISt17integral_constantIbLb1EES10_IbLb0EEEEDaSW_SX_EUlSW_E_NS1_11comp_targetILNS1_3genE10ELNS1_11target_archE1200ELNS1_3gpuE4ELNS1_3repE0EEENS1_30default_config_static_selectorELNS0_4arch9wavefront6targetE1EEEvT1_,"axG",@progbits,_ZN7rocprim17ROCPRIM_400000_NS6detail17trampoline_kernelINS0_14default_configENS1_27scan_by_key_config_selectorIixEEZZNS1_16scan_by_key_implILNS1_25lookback_scan_determinismE0ELb0ES3_N6thrust23THRUST_200600_302600_NS6detail15normal_iteratorINS9_10device_ptrIiEEEENSB_INSC_IxEEEESG_xNS9_4plusIvEENS9_8equal_toIvEExEE10hipError_tPvRmT2_T3_T4_T5_mT6_T7_P12ihipStream_tbENKUlT_T0_E_clISt17integral_constantIbLb1EES10_IbLb0EEEEDaSW_SX_EUlSW_E_NS1_11comp_targetILNS1_3genE10ELNS1_11target_archE1200ELNS1_3gpuE4ELNS1_3repE0EEENS1_30default_config_static_selectorELNS0_4arch9wavefront6targetE1EEEvT1_,comdat
	.protected	_ZN7rocprim17ROCPRIM_400000_NS6detail17trampoline_kernelINS0_14default_configENS1_27scan_by_key_config_selectorIixEEZZNS1_16scan_by_key_implILNS1_25lookback_scan_determinismE0ELb0ES3_N6thrust23THRUST_200600_302600_NS6detail15normal_iteratorINS9_10device_ptrIiEEEENSB_INSC_IxEEEESG_xNS9_4plusIvEENS9_8equal_toIvEExEE10hipError_tPvRmT2_T3_T4_T5_mT6_T7_P12ihipStream_tbENKUlT_T0_E_clISt17integral_constantIbLb1EES10_IbLb0EEEEDaSW_SX_EUlSW_E_NS1_11comp_targetILNS1_3genE10ELNS1_11target_archE1200ELNS1_3gpuE4ELNS1_3repE0EEENS1_30default_config_static_selectorELNS0_4arch9wavefront6targetE1EEEvT1_ ; -- Begin function _ZN7rocprim17ROCPRIM_400000_NS6detail17trampoline_kernelINS0_14default_configENS1_27scan_by_key_config_selectorIixEEZZNS1_16scan_by_key_implILNS1_25lookback_scan_determinismE0ELb0ES3_N6thrust23THRUST_200600_302600_NS6detail15normal_iteratorINS9_10device_ptrIiEEEENSB_INSC_IxEEEESG_xNS9_4plusIvEENS9_8equal_toIvEExEE10hipError_tPvRmT2_T3_T4_T5_mT6_T7_P12ihipStream_tbENKUlT_T0_E_clISt17integral_constantIbLb1EES10_IbLb0EEEEDaSW_SX_EUlSW_E_NS1_11comp_targetILNS1_3genE10ELNS1_11target_archE1200ELNS1_3gpuE4ELNS1_3repE0EEENS1_30default_config_static_selectorELNS0_4arch9wavefront6targetE1EEEvT1_
	.globl	_ZN7rocprim17ROCPRIM_400000_NS6detail17trampoline_kernelINS0_14default_configENS1_27scan_by_key_config_selectorIixEEZZNS1_16scan_by_key_implILNS1_25lookback_scan_determinismE0ELb0ES3_N6thrust23THRUST_200600_302600_NS6detail15normal_iteratorINS9_10device_ptrIiEEEENSB_INSC_IxEEEESG_xNS9_4plusIvEENS9_8equal_toIvEExEE10hipError_tPvRmT2_T3_T4_T5_mT6_T7_P12ihipStream_tbENKUlT_T0_E_clISt17integral_constantIbLb1EES10_IbLb0EEEEDaSW_SX_EUlSW_E_NS1_11comp_targetILNS1_3genE10ELNS1_11target_archE1200ELNS1_3gpuE4ELNS1_3repE0EEENS1_30default_config_static_selectorELNS0_4arch9wavefront6targetE1EEEvT1_
	.p2align	8
	.type	_ZN7rocprim17ROCPRIM_400000_NS6detail17trampoline_kernelINS0_14default_configENS1_27scan_by_key_config_selectorIixEEZZNS1_16scan_by_key_implILNS1_25lookback_scan_determinismE0ELb0ES3_N6thrust23THRUST_200600_302600_NS6detail15normal_iteratorINS9_10device_ptrIiEEEENSB_INSC_IxEEEESG_xNS9_4plusIvEENS9_8equal_toIvEExEE10hipError_tPvRmT2_T3_T4_T5_mT6_T7_P12ihipStream_tbENKUlT_T0_E_clISt17integral_constantIbLb1EES10_IbLb0EEEEDaSW_SX_EUlSW_E_NS1_11comp_targetILNS1_3genE10ELNS1_11target_archE1200ELNS1_3gpuE4ELNS1_3repE0EEENS1_30default_config_static_selectorELNS0_4arch9wavefront6targetE1EEEvT1_,@function
_ZN7rocprim17ROCPRIM_400000_NS6detail17trampoline_kernelINS0_14default_configENS1_27scan_by_key_config_selectorIixEEZZNS1_16scan_by_key_implILNS1_25lookback_scan_determinismE0ELb0ES3_N6thrust23THRUST_200600_302600_NS6detail15normal_iteratorINS9_10device_ptrIiEEEENSB_INSC_IxEEEESG_xNS9_4plusIvEENS9_8equal_toIvEExEE10hipError_tPvRmT2_T3_T4_T5_mT6_T7_P12ihipStream_tbENKUlT_T0_E_clISt17integral_constantIbLb1EES10_IbLb0EEEEDaSW_SX_EUlSW_E_NS1_11comp_targetILNS1_3genE10ELNS1_11target_archE1200ELNS1_3gpuE4ELNS1_3repE0EEENS1_30default_config_static_selectorELNS0_4arch9wavefront6targetE1EEEvT1_: ; @_ZN7rocprim17ROCPRIM_400000_NS6detail17trampoline_kernelINS0_14default_configENS1_27scan_by_key_config_selectorIixEEZZNS1_16scan_by_key_implILNS1_25lookback_scan_determinismE0ELb0ES3_N6thrust23THRUST_200600_302600_NS6detail15normal_iteratorINS9_10device_ptrIiEEEENSB_INSC_IxEEEESG_xNS9_4plusIvEENS9_8equal_toIvEExEE10hipError_tPvRmT2_T3_T4_T5_mT6_T7_P12ihipStream_tbENKUlT_T0_E_clISt17integral_constantIbLb1EES10_IbLb0EEEEDaSW_SX_EUlSW_E_NS1_11comp_targetILNS1_3genE10ELNS1_11target_archE1200ELNS1_3gpuE4ELNS1_3repE0EEENS1_30default_config_static_selectorELNS0_4arch9wavefront6targetE1EEEvT1_
; %bb.0:
	.section	.rodata,"a",@progbits
	.p2align	6, 0x0
	.amdhsa_kernel _ZN7rocprim17ROCPRIM_400000_NS6detail17trampoline_kernelINS0_14default_configENS1_27scan_by_key_config_selectorIixEEZZNS1_16scan_by_key_implILNS1_25lookback_scan_determinismE0ELb0ES3_N6thrust23THRUST_200600_302600_NS6detail15normal_iteratorINS9_10device_ptrIiEEEENSB_INSC_IxEEEESG_xNS9_4plusIvEENS9_8equal_toIvEExEE10hipError_tPvRmT2_T3_T4_T5_mT6_T7_P12ihipStream_tbENKUlT_T0_E_clISt17integral_constantIbLb1EES10_IbLb0EEEEDaSW_SX_EUlSW_E_NS1_11comp_targetILNS1_3genE10ELNS1_11target_archE1200ELNS1_3gpuE4ELNS1_3repE0EEENS1_30default_config_static_selectorELNS0_4arch9wavefront6targetE1EEEvT1_
		.amdhsa_group_segment_fixed_size 0
		.amdhsa_private_segment_fixed_size 0
		.amdhsa_kernarg_size 136
		.amdhsa_user_sgpr_count 2
		.amdhsa_user_sgpr_dispatch_ptr 0
		.amdhsa_user_sgpr_queue_ptr 0
		.amdhsa_user_sgpr_kernarg_segment_ptr 1
		.amdhsa_user_sgpr_dispatch_id 0
		.amdhsa_user_sgpr_kernarg_preload_length 0
		.amdhsa_user_sgpr_kernarg_preload_offset 0
		.amdhsa_user_sgpr_private_segment_size 0
		.amdhsa_uses_dynamic_stack 0
		.amdhsa_enable_private_segment 0
		.amdhsa_system_sgpr_workgroup_id_x 1
		.amdhsa_system_sgpr_workgroup_id_y 0
		.amdhsa_system_sgpr_workgroup_id_z 0
		.amdhsa_system_sgpr_workgroup_info 0
		.amdhsa_system_vgpr_workitem_id 0
		.amdhsa_next_free_vgpr 1
		.amdhsa_next_free_sgpr 0
		.amdhsa_accum_offset 4
		.amdhsa_reserve_vcc 0
		.amdhsa_float_round_mode_32 0
		.amdhsa_float_round_mode_16_64 0
		.amdhsa_float_denorm_mode_32 3
		.amdhsa_float_denorm_mode_16_64 3
		.amdhsa_dx10_clamp 1
		.amdhsa_ieee_mode 1
		.amdhsa_fp16_overflow 0
		.amdhsa_tg_split 0
		.amdhsa_exception_fp_ieee_invalid_op 0
		.amdhsa_exception_fp_denorm_src 0
		.amdhsa_exception_fp_ieee_div_zero 0
		.amdhsa_exception_fp_ieee_overflow 0
		.amdhsa_exception_fp_ieee_underflow 0
		.amdhsa_exception_fp_ieee_inexact 0
		.amdhsa_exception_int_div_zero 0
	.end_amdhsa_kernel
	.section	.text._ZN7rocprim17ROCPRIM_400000_NS6detail17trampoline_kernelINS0_14default_configENS1_27scan_by_key_config_selectorIixEEZZNS1_16scan_by_key_implILNS1_25lookback_scan_determinismE0ELb0ES3_N6thrust23THRUST_200600_302600_NS6detail15normal_iteratorINS9_10device_ptrIiEEEENSB_INSC_IxEEEESG_xNS9_4plusIvEENS9_8equal_toIvEExEE10hipError_tPvRmT2_T3_T4_T5_mT6_T7_P12ihipStream_tbENKUlT_T0_E_clISt17integral_constantIbLb1EES10_IbLb0EEEEDaSW_SX_EUlSW_E_NS1_11comp_targetILNS1_3genE10ELNS1_11target_archE1200ELNS1_3gpuE4ELNS1_3repE0EEENS1_30default_config_static_selectorELNS0_4arch9wavefront6targetE1EEEvT1_,"axG",@progbits,_ZN7rocprim17ROCPRIM_400000_NS6detail17trampoline_kernelINS0_14default_configENS1_27scan_by_key_config_selectorIixEEZZNS1_16scan_by_key_implILNS1_25lookback_scan_determinismE0ELb0ES3_N6thrust23THRUST_200600_302600_NS6detail15normal_iteratorINS9_10device_ptrIiEEEENSB_INSC_IxEEEESG_xNS9_4plusIvEENS9_8equal_toIvEExEE10hipError_tPvRmT2_T3_T4_T5_mT6_T7_P12ihipStream_tbENKUlT_T0_E_clISt17integral_constantIbLb1EES10_IbLb0EEEEDaSW_SX_EUlSW_E_NS1_11comp_targetILNS1_3genE10ELNS1_11target_archE1200ELNS1_3gpuE4ELNS1_3repE0EEENS1_30default_config_static_selectorELNS0_4arch9wavefront6targetE1EEEvT1_,comdat
.Lfunc_end1337:
	.size	_ZN7rocprim17ROCPRIM_400000_NS6detail17trampoline_kernelINS0_14default_configENS1_27scan_by_key_config_selectorIixEEZZNS1_16scan_by_key_implILNS1_25lookback_scan_determinismE0ELb0ES3_N6thrust23THRUST_200600_302600_NS6detail15normal_iteratorINS9_10device_ptrIiEEEENSB_INSC_IxEEEESG_xNS9_4plusIvEENS9_8equal_toIvEExEE10hipError_tPvRmT2_T3_T4_T5_mT6_T7_P12ihipStream_tbENKUlT_T0_E_clISt17integral_constantIbLb1EES10_IbLb0EEEEDaSW_SX_EUlSW_E_NS1_11comp_targetILNS1_3genE10ELNS1_11target_archE1200ELNS1_3gpuE4ELNS1_3repE0EEENS1_30default_config_static_selectorELNS0_4arch9wavefront6targetE1EEEvT1_, .Lfunc_end1337-_ZN7rocprim17ROCPRIM_400000_NS6detail17trampoline_kernelINS0_14default_configENS1_27scan_by_key_config_selectorIixEEZZNS1_16scan_by_key_implILNS1_25lookback_scan_determinismE0ELb0ES3_N6thrust23THRUST_200600_302600_NS6detail15normal_iteratorINS9_10device_ptrIiEEEENSB_INSC_IxEEEESG_xNS9_4plusIvEENS9_8equal_toIvEExEE10hipError_tPvRmT2_T3_T4_T5_mT6_T7_P12ihipStream_tbENKUlT_T0_E_clISt17integral_constantIbLb1EES10_IbLb0EEEEDaSW_SX_EUlSW_E_NS1_11comp_targetILNS1_3genE10ELNS1_11target_archE1200ELNS1_3gpuE4ELNS1_3repE0EEENS1_30default_config_static_selectorELNS0_4arch9wavefront6targetE1EEEvT1_
                                        ; -- End function
	.section	.AMDGPU.csdata,"",@progbits
; Kernel info:
; codeLenInByte = 0
; NumSgprs: 6
; NumVgprs: 0
; NumAgprs: 0
; TotalNumVgprs: 0
; ScratchSize: 0
; MemoryBound: 0
; FloatMode: 240
; IeeeMode: 1
; LDSByteSize: 0 bytes/workgroup (compile time only)
; SGPRBlocks: 0
; VGPRBlocks: 0
; NumSGPRsForWavesPerEU: 6
; NumVGPRsForWavesPerEU: 1
; AccumOffset: 4
; Occupancy: 8
; WaveLimiterHint : 0
; COMPUTE_PGM_RSRC2:SCRATCH_EN: 0
; COMPUTE_PGM_RSRC2:USER_SGPR: 2
; COMPUTE_PGM_RSRC2:TRAP_HANDLER: 0
; COMPUTE_PGM_RSRC2:TGID_X_EN: 1
; COMPUTE_PGM_RSRC2:TGID_Y_EN: 0
; COMPUTE_PGM_RSRC2:TGID_Z_EN: 0
; COMPUTE_PGM_RSRC2:TIDIG_COMP_CNT: 0
; COMPUTE_PGM_RSRC3_GFX90A:ACCUM_OFFSET: 0
; COMPUTE_PGM_RSRC3_GFX90A:TG_SPLIT: 0
	.section	.text._ZN7rocprim17ROCPRIM_400000_NS6detail17trampoline_kernelINS0_14default_configENS1_27scan_by_key_config_selectorIixEEZZNS1_16scan_by_key_implILNS1_25lookback_scan_determinismE0ELb0ES3_N6thrust23THRUST_200600_302600_NS6detail15normal_iteratorINS9_10device_ptrIiEEEENSB_INSC_IxEEEESG_xNS9_4plusIvEENS9_8equal_toIvEExEE10hipError_tPvRmT2_T3_T4_T5_mT6_T7_P12ihipStream_tbENKUlT_T0_E_clISt17integral_constantIbLb1EES10_IbLb0EEEEDaSW_SX_EUlSW_E_NS1_11comp_targetILNS1_3genE9ELNS1_11target_archE1100ELNS1_3gpuE3ELNS1_3repE0EEENS1_30default_config_static_selectorELNS0_4arch9wavefront6targetE1EEEvT1_,"axG",@progbits,_ZN7rocprim17ROCPRIM_400000_NS6detail17trampoline_kernelINS0_14default_configENS1_27scan_by_key_config_selectorIixEEZZNS1_16scan_by_key_implILNS1_25lookback_scan_determinismE0ELb0ES3_N6thrust23THRUST_200600_302600_NS6detail15normal_iteratorINS9_10device_ptrIiEEEENSB_INSC_IxEEEESG_xNS9_4plusIvEENS9_8equal_toIvEExEE10hipError_tPvRmT2_T3_T4_T5_mT6_T7_P12ihipStream_tbENKUlT_T0_E_clISt17integral_constantIbLb1EES10_IbLb0EEEEDaSW_SX_EUlSW_E_NS1_11comp_targetILNS1_3genE9ELNS1_11target_archE1100ELNS1_3gpuE3ELNS1_3repE0EEENS1_30default_config_static_selectorELNS0_4arch9wavefront6targetE1EEEvT1_,comdat
	.protected	_ZN7rocprim17ROCPRIM_400000_NS6detail17trampoline_kernelINS0_14default_configENS1_27scan_by_key_config_selectorIixEEZZNS1_16scan_by_key_implILNS1_25lookback_scan_determinismE0ELb0ES3_N6thrust23THRUST_200600_302600_NS6detail15normal_iteratorINS9_10device_ptrIiEEEENSB_INSC_IxEEEESG_xNS9_4plusIvEENS9_8equal_toIvEExEE10hipError_tPvRmT2_T3_T4_T5_mT6_T7_P12ihipStream_tbENKUlT_T0_E_clISt17integral_constantIbLb1EES10_IbLb0EEEEDaSW_SX_EUlSW_E_NS1_11comp_targetILNS1_3genE9ELNS1_11target_archE1100ELNS1_3gpuE3ELNS1_3repE0EEENS1_30default_config_static_selectorELNS0_4arch9wavefront6targetE1EEEvT1_ ; -- Begin function _ZN7rocprim17ROCPRIM_400000_NS6detail17trampoline_kernelINS0_14default_configENS1_27scan_by_key_config_selectorIixEEZZNS1_16scan_by_key_implILNS1_25lookback_scan_determinismE0ELb0ES3_N6thrust23THRUST_200600_302600_NS6detail15normal_iteratorINS9_10device_ptrIiEEEENSB_INSC_IxEEEESG_xNS9_4plusIvEENS9_8equal_toIvEExEE10hipError_tPvRmT2_T3_T4_T5_mT6_T7_P12ihipStream_tbENKUlT_T0_E_clISt17integral_constantIbLb1EES10_IbLb0EEEEDaSW_SX_EUlSW_E_NS1_11comp_targetILNS1_3genE9ELNS1_11target_archE1100ELNS1_3gpuE3ELNS1_3repE0EEENS1_30default_config_static_selectorELNS0_4arch9wavefront6targetE1EEEvT1_
	.globl	_ZN7rocprim17ROCPRIM_400000_NS6detail17trampoline_kernelINS0_14default_configENS1_27scan_by_key_config_selectorIixEEZZNS1_16scan_by_key_implILNS1_25lookback_scan_determinismE0ELb0ES3_N6thrust23THRUST_200600_302600_NS6detail15normal_iteratorINS9_10device_ptrIiEEEENSB_INSC_IxEEEESG_xNS9_4plusIvEENS9_8equal_toIvEExEE10hipError_tPvRmT2_T3_T4_T5_mT6_T7_P12ihipStream_tbENKUlT_T0_E_clISt17integral_constantIbLb1EES10_IbLb0EEEEDaSW_SX_EUlSW_E_NS1_11comp_targetILNS1_3genE9ELNS1_11target_archE1100ELNS1_3gpuE3ELNS1_3repE0EEENS1_30default_config_static_selectorELNS0_4arch9wavefront6targetE1EEEvT1_
	.p2align	8
	.type	_ZN7rocprim17ROCPRIM_400000_NS6detail17trampoline_kernelINS0_14default_configENS1_27scan_by_key_config_selectorIixEEZZNS1_16scan_by_key_implILNS1_25lookback_scan_determinismE0ELb0ES3_N6thrust23THRUST_200600_302600_NS6detail15normal_iteratorINS9_10device_ptrIiEEEENSB_INSC_IxEEEESG_xNS9_4plusIvEENS9_8equal_toIvEExEE10hipError_tPvRmT2_T3_T4_T5_mT6_T7_P12ihipStream_tbENKUlT_T0_E_clISt17integral_constantIbLb1EES10_IbLb0EEEEDaSW_SX_EUlSW_E_NS1_11comp_targetILNS1_3genE9ELNS1_11target_archE1100ELNS1_3gpuE3ELNS1_3repE0EEENS1_30default_config_static_selectorELNS0_4arch9wavefront6targetE1EEEvT1_,@function
_ZN7rocprim17ROCPRIM_400000_NS6detail17trampoline_kernelINS0_14default_configENS1_27scan_by_key_config_selectorIixEEZZNS1_16scan_by_key_implILNS1_25lookback_scan_determinismE0ELb0ES3_N6thrust23THRUST_200600_302600_NS6detail15normal_iteratorINS9_10device_ptrIiEEEENSB_INSC_IxEEEESG_xNS9_4plusIvEENS9_8equal_toIvEExEE10hipError_tPvRmT2_T3_T4_T5_mT6_T7_P12ihipStream_tbENKUlT_T0_E_clISt17integral_constantIbLb1EES10_IbLb0EEEEDaSW_SX_EUlSW_E_NS1_11comp_targetILNS1_3genE9ELNS1_11target_archE1100ELNS1_3gpuE3ELNS1_3repE0EEENS1_30default_config_static_selectorELNS0_4arch9wavefront6targetE1EEEvT1_: ; @_ZN7rocprim17ROCPRIM_400000_NS6detail17trampoline_kernelINS0_14default_configENS1_27scan_by_key_config_selectorIixEEZZNS1_16scan_by_key_implILNS1_25lookback_scan_determinismE0ELb0ES3_N6thrust23THRUST_200600_302600_NS6detail15normal_iteratorINS9_10device_ptrIiEEEENSB_INSC_IxEEEESG_xNS9_4plusIvEENS9_8equal_toIvEExEE10hipError_tPvRmT2_T3_T4_T5_mT6_T7_P12ihipStream_tbENKUlT_T0_E_clISt17integral_constantIbLb1EES10_IbLb0EEEEDaSW_SX_EUlSW_E_NS1_11comp_targetILNS1_3genE9ELNS1_11target_archE1100ELNS1_3gpuE3ELNS1_3repE0EEENS1_30default_config_static_selectorELNS0_4arch9wavefront6targetE1EEEvT1_
; %bb.0:
	.section	.rodata,"a",@progbits
	.p2align	6, 0x0
	.amdhsa_kernel _ZN7rocprim17ROCPRIM_400000_NS6detail17trampoline_kernelINS0_14default_configENS1_27scan_by_key_config_selectorIixEEZZNS1_16scan_by_key_implILNS1_25lookback_scan_determinismE0ELb0ES3_N6thrust23THRUST_200600_302600_NS6detail15normal_iteratorINS9_10device_ptrIiEEEENSB_INSC_IxEEEESG_xNS9_4plusIvEENS9_8equal_toIvEExEE10hipError_tPvRmT2_T3_T4_T5_mT6_T7_P12ihipStream_tbENKUlT_T0_E_clISt17integral_constantIbLb1EES10_IbLb0EEEEDaSW_SX_EUlSW_E_NS1_11comp_targetILNS1_3genE9ELNS1_11target_archE1100ELNS1_3gpuE3ELNS1_3repE0EEENS1_30default_config_static_selectorELNS0_4arch9wavefront6targetE1EEEvT1_
		.amdhsa_group_segment_fixed_size 0
		.amdhsa_private_segment_fixed_size 0
		.amdhsa_kernarg_size 136
		.amdhsa_user_sgpr_count 2
		.amdhsa_user_sgpr_dispatch_ptr 0
		.amdhsa_user_sgpr_queue_ptr 0
		.amdhsa_user_sgpr_kernarg_segment_ptr 1
		.amdhsa_user_sgpr_dispatch_id 0
		.amdhsa_user_sgpr_kernarg_preload_length 0
		.amdhsa_user_sgpr_kernarg_preload_offset 0
		.amdhsa_user_sgpr_private_segment_size 0
		.amdhsa_uses_dynamic_stack 0
		.amdhsa_enable_private_segment 0
		.amdhsa_system_sgpr_workgroup_id_x 1
		.amdhsa_system_sgpr_workgroup_id_y 0
		.amdhsa_system_sgpr_workgroup_id_z 0
		.amdhsa_system_sgpr_workgroup_info 0
		.amdhsa_system_vgpr_workitem_id 0
		.amdhsa_next_free_vgpr 1
		.amdhsa_next_free_sgpr 0
		.amdhsa_accum_offset 4
		.amdhsa_reserve_vcc 0
		.amdhsa_float_round_mode_32 0
		.amdhsa_float_round_mode_16_64 0
		.amdhsa_float_denorm_mode_32 3
		.amdhsa_float_denorm_mode_16_64 3
		.amdhsa_dx10_clamp 1
		.amdhsa_ieee_mode 1
		.amdhsa_fp16_overflow 0
		.amdhsa_tg_split 0
		.amdhsa_exception_fp_ieee_invalid_op 0
		.amdhsa_exception_fp_denorm_src 0
		.amdhsa_exception_fp_ieee_div_zero 0
		.amdhsa_exception_fp_ieee_overflow 0
		.amdhsa_exception_fp_ieee_underflow 0
		.amdhsa_exception_fp_ieee_inexact 0
		.amdhsa_exception_int_div_zero 0
	.end_amdhsa_kernel
	.section	.text._ZN7rocprim17ROCPRIM_400000_NS6detail17trampoline_kernelINS0_14default_configENS1_27scan_by_key_config_selectorIixEEZZNS1_16scan_by_key_implILNS1_25lookback_scan_determinismE0ELb0ES3_N6thrust23THRUST_200600_302600_NS6detail15normal_iteratorINS9_10device_ptrIiEEEENSB_INSC_IxEEEESG_xNS9_4plusIvEENS9_8equal_toIvEExEE10hipError_tPvRmT2_T3_T4_T5_mT6_T7_P12ihipStream_tbENKUlT_T0_E_clISt17integral_constantIbLb1EES10_IbLb0EEEEDaSW_SX_EUlSW_E_NS1_11comp_targetILNS1_3genE9ELNS1_11target_archE1100ELNS1_3gpuE3ELNS1_3repE0EEENS1_30default_config_static_selectorELNS0_4arch9wavefront6targetE1EEEvT1_,"axG",@progbits,_ZN7rocprim17ROCPRIM_400000_NS6detail17trampoline_kernelINS0_14default_configENS1_27scan_by_key_config_selectorIixEEZZNS1_16scan_by_key_implILNS1_25lookback_scan_determinismE0ELb0ES3_N6thrust23THRUST_200600_302600_NS6detail15normal_iteratorINS9_10device_ptrIiEEEENSB_INSC_IxEEEESG_xNS9_4plusIvEENS9_8equal_toIvEExEE10hipError_tPvRmT2_T3_T4_T5_mT6_T7_P12ihipStream_tbENKUlT_T0_E_clISt17integral_constantIbLb1EES10_IbLb0EEEEDaSW_SX_EUlSW_E_NS1_11comp_targetILNS1_3genE9ELNS1_11target_archE1100ELNS1_3gpuE3ELNS1_3repE0EEENS1_30default_config_static_selectorELNS0_4arch9wavefront6targetE1EEEvT1_,comdat
.Lfunc_end1338:
	.size	_ZN7rocprim17ROCPRIM_400000_NS6detail17trampoline_kernelINS0_14default_configENS1_27scan_by_key_config_selectorIixEEZZNS1_16scan_by_key_implILNS1_25lookback_scan_determinismE0ELb0ES3_N6thrust23THRUST_200600_302600_NS6detail15normal_iteratorINS9_10device_ptrIiEEEENSB_INSC_IxEEEESG_xNS9_4plusIvEENS9_8equal_toIvEExEE10hipError_tPvRmT2_T3_T4_T5_mT6_T7_P12ihipStream_tbENKUlT_T0_E_clISt17integral_constantIbLb1EES10_IbLb0EEEEDaSW_SX_EUlSW_E_NS1_11comp_targetILNS1_3genE9ELNS1_11target_archE1100ELNS1_3gpuE3ELNS1_3repE0EEENS1_30default_config_static_selectorELNS0_4arch9wavefront6targetE1EEEvT1_, .Lfunc_end1338-_ZN7rocprim17ROCPRIM_400000_NS6detail17trampoline_kernelINS0_14default_configENS1_27scan_by_key_config_selectorIixEEZZNS1_16scan_by_key_implILNS1_25lookback_scan_determinismE0ELb0ES3_N6thrust23THRUST_200600_302600_NS6detail15normal_iteratorINS9_10device_ptrIiEEEENSB_INSC_IxEEEESG_xNS9_4plusIvEENS9_8equal_toIvEExEE10hipError_tPvRmT2_T3_T4_T5_mT6_T7_P12ihipStream_tbENKUlT_T0_E_clISt17integral_constantIbLb1EES10_IbLb0EEEEDaSW_SX_EUlSW_E_NS1_11comp_targetILNS1_3genE9ELNS1_11target_archE1100ELNS1_3gpuE3ELNS1_3repE0EEENS1_30default_config_static_selectorELNS0_4arch9wavefront6targetE1EEEvT1_
                                        ; -- End function
	.section	.AMDGPU.csdata,"",@progbits
; Kernel info:
; codeLenInByte = 0
; NumSgprs: 6
; NumVgprs: 0
; NumAgprs: 0
; TotalNumVgprs: 0
; ScratchSize: 0
; MemoryBound: 0
; FloatMode: 240
; IeeeMode: 1
; LDSByteSize: 0 bytes/workgroup (compile time only)
; SGPRBlocks: 0
; VGPRBlocks: 0
; NumSGPRsForWavesPerEU: 6
; NumVGPRsForWavesPerEU: 1
; AccumOffset: 4
; Occupancy: 8
; WaveLimiterHint : 0
; COMPUTE_PGM_RSRC2:SCRATCH_EN: 0
; COMPUTE_PGM_RSRC2:USER_SGPR: 2
; COMPUTE_PGM_RSRC2:TRAP_HANDLER: 0
; COMPUTE_PGM_RSRC2:TGID_X_EN: 1
; COMPUTE_PGM_RSRC2:TGID_Y_EN: 0
; COMPUTE_PGM_RSRC2:TGID_Z_EN: 0
; COMPUTE_PGM_RSRC2:TIDIG_COMP_CNT: 0
; COMPUTE_PGM_RSRC3_GFX90A:ACCUM_OFFSET: 0
; COMPUTE_PGM_RSRC3_GFX90A:TG_SPLIT: 0
	.section	.text._ZN7rocprim17ROCPRIM_400000_NS6detail17trampoline_kernelINS0_14default_configENS1_27scan_by_key_config_selectorIixEEZZNS1_16scan_by_key_implILNS1_25lookback_scan_determinismE0ELb0ES3_N6thrust23THRUST_200600_302600_NS6detail15normal_iteratorINS9_10device_ptrIiEEEENSB_INSC_IxEEEESG_xNS9_4plusIvEENS9_8equal_toIvEExEE10hipError_tPvRmT2_T3_T4_T5_mT6_T7_P12ihipStream_tbENKUlT_T0_E_clISt17integral_constantIbLb1EES10_IbLb0EEEEDaSW_SX_EUlSW_E_NS1_11comp_targetILNS1_3genE8ELNS1_11target_archE1030ELNS1_3gpuE2ELNS1_3repE0EEENS1_30default_config_static_selectorELNS0_4arch9wavefront6targetE1EEEvT1_,"axG",@progbits,_ZN7rocprim17ROCPRIM_400000_NS6detail17trampoline_kernelINS0_14default_configENS1_27scan_by_key_config_selectorIixEEZZNS1_16scan_by_key_implILNS1_25lookback_scan_determinismE0ELb0ES3_N6thrust23THRUST_200600_302600_NS6detail15normal_iteratorINS9_10device_ptrIiEEEENSB_INSC_IxEEEESG_xNS9_4plusIvEENS9_8equal_toIvEExEE10hipError_tPvRmT2_T3_T4_T5_mT6_T7_P12ihipStream_tbENKUlT_T0_E_clISt17integral_constantIbLb1EES10_IbLb0EEEEDaSW_SX_EUlSW_E_NS1_11comp_targetILNS1_3genE8ELNS1_11target_archE1030ELNS1_3gpuE2ELNS1_3repE0EEENS1_30default_config_static_selectorELNS0_4arch9wavefront6targetE1EEEvT1_,comdat
	.protected	_ZN7rocprim17ROCPRIM_400000_NS6detail17trampoline_kernelINS0_14default_configENS1_27scan_by_key_config_selectorIixEEZZNS1_16scan_by_key_implILNS1_25lookback_scan_determinismE0ELb0ES3_N6thrust23THRUST_200600_302600_NS6detail15normal_iteratorINS9_10device_ptrIiEEEENSB_INSC_IxEEEESG_xNS9_4plusIvEENS9_8equal_toIvEExEE10hipError_tPvRmT2_T3_T4_T5_mT6_T7_P12ihipStream_tbENKUlT_T0_E_clISt17integral_constantIbLb1EES10_IbLb0EEEEDaSW_SX_EUlSW_E_NS1_11comp_targetILNS1_3genE8ELNS1_11target_archE1030ELNS1_3gpuE2ELNS1_3repE0EEENS1_30default_config_static_selectorELNS0_4arch9wavefront6targetE1EEEvT1_ ; -- Begin function _ZN7rocprim17ROCPRIM_400000_NS6detail17trampoline_kernelINS0_14default_configENS1_27scan_by_key_config_selectorIixEEZZNS1_16scan_by_key_implILNS1_25lookback_scan_determinismE0ELb0ES3_N6thrust23THRUST_200600_302600_NS6detail15normal_iteratorINS9_10device_ptrIiEEEENSB_INSC_IxEEEESG_xNS9_4plusIvEENS9_8equal_toIvEExEE10hipError_tPvRmT2_T3_T4_T5_mT6_T7_P12ihipStream_tbENKUlT_T0_E_clISt17integral_constantIbLb1EES10_IbLb0EEEEDaSW_SX_EUlSW_E_NS1_11comp_targetILNS1_3genE8ELNS1_11target_archE1030ELNS1_3gpuE2ELNS1_3repE0EEENS1_30default_config_static_selectorELNS0_4arch9wavefront6targetE1EEEvT1_
	.globl	_ZN7rocprim17ROCPRIM_400000_NS6detail17trampoline_kernelINS0_14default_configENS1_27scan_by_key_config_selectorIixEEZZNS1_16scan_by_key_implILNS1_25lookback_scan_determinismE0ELb0ES3_N6thrust23THRUST_200600_302600_NS6detail15normal_iteratorINS9_10device_ptrIiEEEENSB_INSC_IxEEEESG_xNS9_4plusIvEENS9_8equal_toIvEExEE10hipError_tPvRmT2_T3_T4_T5_mT6_T7_P12ihipStream_tbENKUlT_T0_E_clISt17integral_constantIbLb1EES10_IbLb0EEEEDaSW_SX_EUlSW_E_NS1_11comp_targetILNS1_3genE8ELNS1_11target_archE1030ELNS1_3gpuE2ELNS1_3repE0EEENS1_30default_config_static_selectorELNS0_4arch9wavefront6targetE1EEEvT1_
	.p2align	8
	.type	_ZN7rocprim17ROCPRIM_400000_NS6detail17trampoline_kernelINS0_14default_configENS1_27scan_by_key_config_selectorIixEEZZNS1_16scan_by_key_implILNS1_25lookback_scan_determinismE0ELb0ES3_N6thrust23THRUST_200600_302600_NS6detail15normal_iteratorINS9_10device_ptrIiEEEENSB_INSC_IxEEEESG_xNS9_4plusIvEENS9_8equal_toIvEExEE10hipError_tPvRmT2_T3_T4_T5_mT6_T7_P12ihipStream_tbENKUlT_T0_E_clISt17integral_constantIbLb1EES10_IbLb0EEEEDaSW_SX_EUlSW_E_NS1_11comp_targetILNS1_3genE8ELNS1_11target_archE1030ELNS1_3gpuE2ELNS1_3repE0EEENS1_30default_config_static_selectorELNS0_4arch9wavefront6targetE1EEEvT1_,@function
_ZN7rocprim17ROCPRIM_400000_NS6detail17trampoline_kernelINS0_14default_configENS1_27scan_by_key_config_selectorIixEEZZNS1_16scan_by_key_implILNS1_25lookback_scan_determinismE0ELb0ES3_N6thrust23THRUST_200600_302600_NS6detail15normal_iteratorINS9_10device_ptrIiEEEENSB_INSC_IxEEEESG_xNS9_4plusIvEENS9_8equal_toIvEExEE10hipError_tPvRmT2_T3_T4_T5_mT6_T7_P12ihipStream_tbENKUlT_T0_E_clISt17integral_constantIbLb1EES10_IbLb0EEEEDaSW_SX_EUlSW_E_NS1_11comp_targetILNS1_3genE8ELNS1_11target_archE1030ELNS1_3gpuE2ELNS1_3repE0EEENS1_30default_config_static_selectorELNS0_4arch9wavefront6targetE1EEEvT1_: ; @_ZN7rocprim17ROCPRIM_400000_NS6detail17trampoline_kernelINS0_14default_configENS1_27scan_by_key_config_selectorIixEEZZNS1_16scan_by_key_implILNS1_25lookback_scan_determinismE0ELb0ES3_N6thrust23THRUST_200600_302600_NS6detail15normal_iteratorINS9_10device_ptrIiEEEENSB_INSC_IxEEEESG_xNS9_4plusIvEENS9_8equal_toIvEExEE10hipError_tPvRmT2_T3_T4_T5_mT6_T7_P12ihipStream_tbENKUlT_T0_E_clISt17integral_constantIbLb1EES10_IbLb0EEEEDaSW_SX_EUlSW_E_NS1_11comp_targetILNS1_3genE8ELNS1_11target_archE1030ELNS1_3gpuE2ELNS1_3repE0EEENS1_30default_config_static_selectorELNS0_4arch9wavefront6targetE1EEEvT1_
; %bb.0:
	.section	.rodata,"a",@progbits
	.p2align	6, 0x0
	.amdhsa_kernel _ZN7rocprim17ROCPRIM_400000_NS6detail17trampoline_kernelINS0_14default_configENS1_27scan_by_key_config_selectorIixEEZZNS1_16scan_by_key_implILNS1_25lookback_scan_determinismE0ELb0ES3_N6thrust23THRUST_200600_302600_NS6detail15normal_iteratorINS9_10device_ptrIiEEEENSB_INSC_IxEEEESG_xNS9_4plusIvEENS9_8equal_toIvEExEE10hipError_tPvRmT2_T3_T4_T5_mT6_T7_P12ihipStream_tbENKUlT_T0_E_clISt17integral_constantIbLb1EES10_IbLb0EEEEDaSW_SX_EUlSW_E_NS1_11comp_targetILNS1_3genE8ELNS1_11target_archE1030ELNS1_3gpuE2ELNS1_3repE0EEENS1_30default_config_static_selectorELNS0_4arch9wavefront6targetE1EEEvT1_
		.amdhsa_group_segment_fixed_size 0
		.amdhsa_private_segment_fixed_size 0
		.amdhsa_kernarg_size 136
		.amdhsa_user_sgpr_count 2
		.amdhsa_user_sgpr_dispatch_ptr 0
		.amdhsa_user_sgpr_queue_ptr 0
		.amdhsa_user_sgpr_kernarg_segment_ptr 1
		.amdhsa_user_sgpr_dispatch_id 0
		.amdhsa_user_sgpr_kernarg_preload_length 0
		.amdhsa_user_sgpr_kernarg_preload_offset 0
		.amdhsa_user_sgpr_private_segment_size 0
		.amdhsa_uses_dynamic_stack 0
		.amdhsa_enable_private_segment 0
		.amdhsa_system_sgpr_workgroup_id_x 1
		.amdhsa_system_sgpr_workgroup_id_y 0
		.amdhsa_system_sgpr_workgroup_id_z 0
		.amdhsa_system_sgpr_workgroup_info 0
		.amdhsa_system_vgpr_workitem_id 0
		.amdhsa_next_free_vgpr 1
		.amdhsa_next_free_sgpr 0
		.amdhsa_accum_offset 4
		.amdhsa_reserve_vcc 0
		.amdhsa_float_round_mode_32 0
		.amdhsa_float_round_mode_16_64 0
		.amdhsa_float_denorm_mode_32 3
		.amdhsa_float_denorm_mode_16_64 3
		.amdhsa_dx10_clamp 1
		.amdhsa_ieee_mode 1
		.amdhsa_fp16_overflow 0
		.amdhsa_tg_split 0
		.amdhsa_exception_fp_ieee_invalid_op 0
		.amdhsa_exception_fp_denorm_src 0
		.amdhsa_exception_fp_ieee_div_zero 0
		.amdhsa_exception_fp_ieee_overflow 0
		.amdhsa_exception_fp_ieee_underflow 0
		.amdhsa_exception_fp_ieee_inexact 0
		.amdhsa_exception_int_div_zero 0
	.end_amdhsa_kernel
	.section	.text._ZN7rocprim17ROCPRIM_400000_NS6detail17trampoline_kernelINS0_14default_configENS1_27scan_by_key_config_selectorIixEEZZNS1_16scan_by_key_implILNS1_25lookback_scan_determinismE0ELb0ES3_N6thrust23THRUST_200600_302600_NS6detail15normal_iteratorINS9_10device_ptrIiEEEENSB_INSC_IxEEEESG_xNS9_4plusIvEENS9_8equal_toIvEExEE10hipError_tPvRmT2_T3_T4_T5_mT6_T7_P12ihipStream_tbENKUlT_T0_E_clISt17integral_constantIbLb1EES10_IbLb0EEEEDaSW_SX_EUlSW_E_NS1_11comp_targetILNS1_3genE8ELNS1_11target_archE1030ELNS1_3gpuE2ELNS1_3repE0EEENS1_30default_config_static_selectorELNS0_4arch9wavefront6targetE1EEEvT1_,"axG",@progbits,_ZN7rocprim17ROCPRIM_400000_NS6detail17trampoline_kernelINS0_14default_configENS1_27scan_by_key_config_selectorIixEEZZNS1_16scan_by_key_implILNS1_25lookback_scan_determinismE0ELb0ES3_N6thrust23THRUST_200600_302600_NS6detail15normal_iteratorINS9_10device_ptrIiEEEENSB_INSC_IxEEEESG_xNS9_4plusIvEENS9_8equal_toIvEExEE10hipError_tPvRmT2_T3_T4_T5_mT6_T7_P12ihipStream_tbENKUlT_T0_E_clISt17integral_constantIbLb1EES10_IbLb0EEEEDaSW_SX_EUlSW_E_NS1_11comp_targetILNS1_3genE8ELNS1_11target_archE1030ELNS1_3gpuE2ELNS1_3repE0EEENS1_30default_config_static_selectorELNS0_4arch9wavefront6targetE1EEEvT1_,comdat
.Lfunc_end1339:
	.size	_ZN7rocprim17ROCPRIM_400000_NS6detail17trampoline_kernelINS0_14default_configENS1_27scan_by_key_config_selectorIixEEZZNS1_16scan_by_key_implILNS1_25lookback_scan_determinismE0ELb0ES3_N6thrust23THRUST_200600_302600_NS6detail15normal_iteratorINS9_10device_ptrIiEEEENSB_INSC_IxEEEESG_xNS9_4plusIvEENS9_8equal_toIvEExEE10hipError_tPvRmT2_T3_T4_T5_mT6_T7_P12ihipStream_tbENKUlT_T0_E_clISt17integral_constantIbLb1EES10_IbLb0EEEEDaSW_SX_EUlSW_E_NS1_11comp_targetILNS1_3genE8ELNS1_11target_archE1030ELNS1_3gpuE2ELNS1_3repE0EEENS1_30default_config_static_selectorELNS0_4arch9wavefront6targetE1EEEvT1_, .Lfunc_end1339-_ZN7rocprim17ROCPRIM_400000_NS6detail17trampoline_kernelINS0_14default_configENS1_27scan_by_key_config_selectorIixEEZZNS1_16scan_by_key_implILNS1_25lookback_scan_determinismE0ELb0ES3_N6thrust23THRUST_200600_302600_NS6detail15normal_iteratorINS9_10device_ptrIiEEEENSB_INSC_IxEEEESG_xNS9_4plusIvEENS9_8equal_toIvEExEE10hipError_tPvRmT2_T3_T4_T5_mT6_T7_P12ihipStream_tbENKUlT_T0_E_clISt17integral_constantIbLb1EES10_IbLb0EEEEDaSW_SX_EUlSW_E_NS1_11comp_targetILNS1_3genE8ELNS1_11target_archE1030ELNS1_3gpuE2ELNS1_3repE0EEENS1_30default_config_static_selectorELNS0_4arch9wavefront6targetE1EEEvT1_
                                        ; -- End function
	.section	.AMDGPU.csdata,"",@progbits
; Kernel info:
; codeLenInByte = 0
; NumSgprs: 6
; NumVgprs: 0
; NumAgprs: 0
; TotalNumVgprs: 0
; ScratchSize: 0
; MemoryBound: 0
; FloatMode: 240
; IeeeMode: 1
; LDSByteSize: 0 bytes/workgroup (compile time only)
; SGPRBlocks: 0
; VGPRBlocks: 0
; NumSGPRsForWavesPerEU: 6
; NumVGPRsForWavesPerEU: 1
; AccumOffset: 4
; Occupancy: 8
; WaveLimiterHint : 0
; COMPUTE_PGM_RSRC2:SCRATCH_EN: 0
; COMPUTE_PGM_RSRC2:USER_SGPR: 2
; COMPUTE_PGM_RSRC2:TRAP_HANDLER: 0
; COMPUTE_PGM_RSRC2:TGID_X_EN: 1
; COMPUTE_PGM_RSRC2:TGID_Y_EN: 0
; COMPUTE_PGM_RSRC2:TGID_Z_EN: 0
; COMPUTE_PGM_RSRC2:TIDIG_COMP_CNT: 0
; COMPUTE_PGM_RSRC3_GFX90A:ACCUM_OFFSET: 0
; COMPUTE_PGM_RSRC3_GFX90A:TG_SPLIT: 0
	.section	.text._ZN7rocprim17ROCPRIM_400000_NS6detail30init_device_scan_by_key_kernelINS1_19lookback_scan_stateINS0_5tupleIJxbEEELb0ELb0EEEN6thrust23THRUST_200600_302600_NS6detail15normal_iteratorINS8_10device_ptrIiEEEEjNS1_16block_id_wrapperIjLb1EEEEEvT_jjPNSG_10value_typeET0_PNSt15iterator_traitsISJ_E10value_typeEmT1_T2_,"axG",@progbits,_ZN7rocprim17ROCPRIM_400000_NS6detail30init_device_scan_by_key_kernelINS1_19lookback_scan_stateINS0_5tupleIJxbEEELb0ELb0EEEN6thrust23THRUST_200600_302600_NS6detail15normal_iteratorINS8_10device_ptrIiEEEEjNS1_16block_id_wrapperIjLb1EEEEEvT_jjPNSG_10value_typeET0_PNSt15iterator_traitsISJ_E10value_typeEmT1_T2_,comdat
	.protected	_ZN7rocprim17ROCPRIM_400000_NS6detail30init_device_scan_by_key_kernelINS1_19lookback_scan_stateINS0_5tupleIJxbEEELb0ELb0EEEN6thrust23THRUST_200600_302600_NS6detail15normal_iteratorINS8_10device_ptrIiEEEEjNS1_16block_id_wrapperIjLb1EEEEEvT_jjPNSG_10value_typeET0_PNSt15iterator_traitsISJ_E10value_typeEmT1_T2_ ; -- Begin function _ZN7rocprim17ROCPRIM_400000_NS6detail30init_device_scan_by_key_kernelINS1_19lookback_scan_stateINS0_5tupleIJxbEEELb0ELb0EEEN6thrust23THRUST_200600_302600_NS6detail15normal_iteratorINS8_10device_ptrIiEEEEjNS1_16block_id_wrapperIjLb1EEEEEvT_jjPNSG_10value_typeET0_PNSt15iterator_traitsISJ_E10value_typeEmT1_T2_
	.globl	_ZN7rocprim17ROCPRIM_400000_NS6detail30init_device_scan_by_key_kernelINS1_19lookback_scan_stateINS0_5tupleIJxbEEELb0ELb0EEEN6thrust23THRUST_200600_302600_NS6detail15normal_iteratorINS8_10device_ptrIiEEEEjNS1_16block_id_wrapperIjLb1EEEEEvT_jjPNSG_10value_typeET0_PNSt15iterator_traitsISJ_E10value_typeEmT1_T2_
	.p2align	8
	.type	_ZN7rocprim17ROCPRIM_400000_NS6detail30init_device_scan_by_key_kernelINS1_19lookback_scan_stateINS0_5tupleIJxbEEELb0ELb0EEEN6thrust23THRUST_200600_302600_NS6detail15normal_iteratorINS8_10device_ptrIiEEEEjNS1_16block_id_wrapperIjLb1EEEEEvT_jjPNSG_10value_typeET0_PNSt15iterator_traitsISJ_E10value_typeEmT1_T2_,@function
_ZN7rocprim17ROCPRIM_400000_NS6detail30init_device_scan_by_key_kernelINS1_19lookback_scan_stateINS0_5tupleIJxbEEELb0ELb0EEEN6thrust23THRUST_200600_302600_NS6detail15normal_iteratorINS8_10device_ptrIiEEEEjNS1_16block_id_wrapperIjLb1EEEEEvT_jjPNSG_10value_typeET0_PNSt15iterator_traitsISJ_E10value_typeEmT1_T2_: ; @_ZN7rocprim17ROCPRIM_400000_NS6detail30init_device_scan_by_key_kernelINS1_19lookback_scan_stateINS0_5tupleIJxbEEELb0ELb0EEEN6thrust23THRUST_200600_302600_NS6detail15normal_iteratorINS8_10device_ptrIiEEEEjNS1_16block_id_wrapperIjLb1EEEEEvT_jjPNSG_10value_typeET0_PNSt15iterator_traitsISJ_E10value_typeEmT1_T2_
; %bb.0:
	s_load_dword s3, s[0:1], 0x5c
	s_load_dwordx8 s[4:11], s[0:1], 0x10
	s_load_dword s20, s[0:1], 0x50
	s_waitcnt lgkmcnt(0)
	s_and_b32 s21, s3, 0xffff
	s_mul_i32 s2, s2, s21
	s_cmp_eq_u64 s[8:9], 0
	v_add_u32_e32 v0, s2, v0
	s_cbranch_scc1 .LBB1340_7
; %bb.1:
	s_cmp_lt_u32 s7, s6
	s_cselect_b32 s2, s7, 0
	s_mov_b32 s17, 0
	v_cmp_eq_u32_e32 vcc, s2, v0
	s_and_saveexec_b64 s[2:3], vcc
	s_cbranch_execz .LBB1340_6
; %bb.2:
	s_add_i32 s16, s7, 64
	v_mov_b32_e32 v1, s16
	global_load_ubyte v1, v1, s[4:5] sc1
	s_load_dwordx4 s[12:15], s[0:1], 0x0
	s_add_u32 s18, s4, s16
	s_addc_u32 s19, s5, 0
	s_waitcnt vmcnt(0)
	v_cmp_ne_u16_e32 vcc, 0, v1
	v_readfirstlane_b32 s7, v1
	s_cbranch_vccnz .LBB1340_5
; %bb.3:
	v_mov_b32_e32 v1, 0
.LBB1340_4:                             ; =>This Inner Loop Header: Depth=1
	global_load_ubyte v2, v1, s[18:19] sc1
	s_waitcnt vmcnt(0)
	v_cmp_eq_u16_e32 vcc, 0, v2
	v_readfirstlane_b32 s7, v2
	s_cbranch_vccnz .LBB1340_4
.LBB1340_5:
	s_and_b32 s7, 0xffff, s7
	s_cmp_eq_u32 s7, 1
	s_waitcnt lgkmcnt(0)
	s_cselect_b32 s7, s13, s15
	s_cselect_b32 s14, s12, s14
	s_lshl_b64 s[12:13], s[16:17], 4
	s_add_u32 s12, s14, s12
	s_addc_u32 s13, s7, s13
	v_mov_b32_e32 v1, 0
	s_waitcnt vmcnt(0)
	global_load_dword v2, v1, s[12:13] sc1
	global_load_dword v3, v1, s[12:13] offset:4 sc1
	global_load_dword v4, v1, s[12:13] offset:8 sc1
	;; [unrolled: 1-line block ×3, first 2 shown]
	s_waitcnt vmcnt(2)
	global_store_dwordx2 v1, v[2:3], s[8:9]
	s_waitcnt vmcnt(2)
	global_store_byte v1, v4, s[8:9] offset:8
.LBB1340_6:
	s_or_b64 exec, exec, s[2:3]
.LBB1340_7:
	v_cmp_eq_u32_e32 vcc, 0, v0
	s_and_saveexec_b64 s[2:3], vcc
	s_cbranch_execz .LBB1340_9
; %bb.8:
	s_load_dwordx2 s[8:9], s[0:1], 0x48
	v_mov_b32_e32 v1, 0
	s_waitcnt lgkmcnt(0)
	global_store_dword v1, v1, s[8:9]
.LBB1340_9:
	s_or_b64 exec, exec, s[2:3]
	v_cmp_gt_u32_e32 vcc, s6, v0
	s_and_saveexec_b64 s[2:3], vcc
	s_cbranch_execz .LBB1340_11
; %bb.10:
	v_add_u32_e32 v1, 64, v0
	v_mov_b32_e32 v2, 0
	global_store_byte v1, v2, s[4:5]
.LBB1340_11:
	s_or_b64 exec, exec, s[2:3]
	v_cmp_gt_u32_e32 vcc, 64, v0
	v_mov_b32_e32 v1, 0
	s_and_saveexec_b64 s[2:3], vcc
	s_cbranch_execz .LBB1340_13
; %bb.12:
	v_lshl_add_u64 v[2:3], s[4:5], 0, v[0:1]
	v_mov_b32_e32 v4, 0xff
	global_store_byte v[2:3], v4, off
.LBB1340_13:
	s_or_b64 exec, exec, s[2:3]
	s_load_dwordx2 s[2:3], s[0:1], 0x38
	s_waitcnt lgkmcnt(0)
	v_cmp_gt_u64_e32 vcc, s[2:3], v[0:1]
	s_and_saveexec_b64 s[4:5], vcc
	s_cbranch_execz .LBB1340_16
; %bb.14:
	s_load_dword s12, s[0:1], 0x40
	s_load_dwordx2 s[6:7], s[0:1], 0x30
	s_mov_b32 s5, 0
	s_mov_b32 s1, s5
	s_mul_i32 s0, s20, s21
	s_waitcnt lgkmcnt(0)
	s_add_i32 s4, s12, -1
	s_lshl_b64 s[4:5], s[4:5], 2
	s_add_u32 s4, s10, s4
	v_mad_u64_u32 v[2:3], s[8:9], s12, v0, 0
	s_addc_u32 s5, s11, s5
	v_lshl_add_u64 v[2:3], v[2:3], 2, s[4:5]
	s_mul_hi_u32 s5, s12, s0
	s_mul_i32 s4, s12, s0
	s_lshl_b64 s[4:5], s[4:5], 2
	s_waitcnt vmcnt(2)
	v_lshl_add_u64 v[4:5], v[0:1], 2, s[6:7]
	s_lshl_b64 s[6:7], s[0:1], 2
	s_mov_b64 s[8:9], 0
.LBB1340_15:                            ; =>This Inner Loop Header: Depth=1
	global_load_dword v6, v[2:3], off
	v_lshl_add_u64 v[0:1], v[0:1], 0, s[0:1]
	v_cmp_le_u64_e32 vcc, s[2:3], v[0:1]
	v_lshl_add_u64 v[2:3], v[2:3], 0, s[4:5]
	s_or_b64 s[8:9], vcc, s[8:9]
	s_waitcnt vmcnt(0)
	global_store_dword v[4:5], v6, off
	v_lshl_add_u64 v[4:5], v[4:5], 0, s[6:7]
	s_andn2_b64 exec, exec, s[8:9]
	s_cbranch_execnz .LBB1340_15
.LBB1340_16:
	s_endpgm
	.section	.rodata,"a",@progbits
	.p2align	6, 0x0
	.amdhsa_kernel _ZN7rocprim17ROCPRIM_400000_NS6detail30init_device_scan_by_key_kernelINS1_19lookback_scan_stateINS0_5tupleIJxbEEELb0ELb0EEEN6thrust23THRUST_200600_302600_NS6detail15normal_iteratorINS8_10device_ptrIiEEEEjNS1_16block_id_wrapperIjLb1EEEEEvT_jjPNSG_10value_typeET0_PNSt15iterator_traitsISJ_E10value_typeEmT1_T2_
		.amdhsa_group_segment_fixed_size 0
		.amdhsa_private_segment_fixed_size 0
		.amdhsa_kernarg_size 336
		.amdhsa_user_sgpr_count 2
		.amdhsa_user_sgpr_dispatch_ptr 0
		.amdhsa_user_sgpr_queue_ptr 0
		.amdhsa_user_sgpr_kernarg_segment_ptr 1
		.amdhsa_user_sgpr_dispatch_id 0
		.amdhsa_user_sgpr_kernarg_preload_length 0
		.amdhsa_user_sgpr_kernarg_preload_offset 0
		.amdhsa_user_sgpr_private_segment_size 0
		.amdhsa_uses_dynamic_stack 0
		.amdhsa_enable_private_segment 0
		.amdhsa_system_sgpr_workgroup_id_x 1
		.amdhsa_system_sgpr_workgroup_id_y 0
		.amdhsa_system_sgpr_workgroup_id_z 0
		.amdhsa_system_sgpr_workgroup_info 0
		.amdhsa_system_vgpr_workitem_id 0
		.amdhsa_next_free_vgpr 7
		.amdhsa_next_free_sgpr 22
		.amdhsa_accum_offset 8
		.amdhsa_reserve_vcc 1
		.amdhsa_float_round_mode_32 0
		.amdhsa_float_round_mode_16_64 0
		.amdhsa_float_denorm_mode_32 3
		.amdhsa_float_denorm_mode_16_64 3
		.amdhsa_dx10_clamp 1
		.amdhsa_ieee_mode 1
		.amdhsa_fp16_overflow 0
		.amdhsa_tg_split 0
		.amdhsa_exception_fp_ieee_invalid_op 0
		.amdhsa_exception_fp_denorm_src 0
		.amdhsa_exception_fp_ieee_div_zero 0
		.amdhsa_exception_fp_ieee_overflow 0
		.amdhsa_exception_fp_ieee_underflow 0
		.amdhsa_exception_fp_ieee_inexact 0
		.amdhsa_exception_int_div_zero 0
	.end_amdhsa_kernel
	.section	.text._ZN7rocprim17ROCPRIM_400000_NS6detail30init_device_scan_by_key_kernelINS1_19lookback_scan_stateINS0_5tupleIJxbEEELb0ELb0EEEN6thrust23THRUST_200600_302600_NS6detail15normal_iteratorINS8_10device_ptrIiEEEEjNS1_16block_id_wrapperIjLb1EEEEEvT_jjPNSG_10value_typeET0_PNSt15iterator_traitsISJ_E10value_typeEmT1_T2_,"axG",@progbits,_ZN7rocprim17ROCPRIM_400000_NS6detail30init_device_scan_by_key_kernelINS1_19lookback_scan_stateINS0_5tupleIJxbEEELb0ELb0EEEN6thrust23THRUST_200600_302600_NS6detail15normal_iteratorINS8_10device_ptrIiEEEEjNS1_16block_id_wrapperIjLb1EEEEEvT_jjPNSG_10value_typeET0_PNSt15iterator_traitsISJ_E10value_typeEmT1_T2_,comdat
.Lfunc_end1340:
	.size	_ZN7rocprim17ROCPRIM_400000_NS6detail30init_device_scan_by_key_kernelINS1_19lookback_scan_stateINS0_5tupleIJxbEEELb0ELb0EEEN6thrust23THRUST_200600_302600_NS6detail15normal_iteratorINS8_10device_ptrIiEEEEjNS1_16block_id_wrapperIjLb1EEEEEvT_jjPNSG_10value_typeET0_PNSt15iterator_traitsISJ_E10value_typeEmT1_T2_, .Lfunc_end1340-_ZN7rocprim17ROCPRIM_400000_NS6detail30init_device_scan_by_key_kernelINS1_19lookback_scan_stateINS0_5tupleIJxbEEELb0ELb0EEEN6thrust23THRUST_200600_302600_NS6detail15normal_iteratorINS8_10device_ptrIiEEEEjNS1_16block_id_wrapperIjLb1EEEEEvT_jjPNSG_10value_typeET0_PNSt15iterator_traitsISJ_E10value_typeEmT1_T2_
                                        ; -- End function
	.section	.AMDGPU.csdata,"",@progbits
; Kernel info:
; codeLenInByte = 556
; NumSgprs: 28
; NumVgprs: 7
; NumAgprs: 0
; TotalNumVgprs: 7
; ScratchSize: 0
; MemoryBound: 0
; FloatMode: 240
; IeeeMode: 1
; LDSByteSize: 0 bytes/workgroup (compile time only)
; SGPRBlocks: 3
; VGPRBlocks: 0
; NumSGPRsForWavesPerEU: 28
; NumVGPRsForWavesPerEU: 7
; AccumOffset: 8
; Occupancy: 8
; WaveLimiterHint : 0
; COMPUTE_PGM_RSRC2:SCRATCH_EN: 0
; COMPUTE_PGM_RSRC2:USER_SGPR: 2
; COMPUTE_PGM_RSRC2:TRAP_HANDLER: 0
; COMPUTE_PGM_RSRC2:TGID_X_EN: 1
; COMPUTE_PGM_RSRC2:TGID_Y_EN: 0
; COMPUTE_PGM_RSRC2:TGID_Z_EN: 0
; COMPUTE_PGM_RSRC2:TIDIG_COMP_CNT: 0
; COMPUTE_PGM_RSRC3_GFX90A:ACCUM_OFFSET: 1
; COMPUTE_PGM_RSRC3_GFX90A:TG_SPLIT: 0
	.section	.text._ZN7rocprim17ROCPRIM_400000_NS6detail17trampoline_kernelINS0_14default_configENS1_27scan_by_key_config_selectorIixEEZZNS1_16scan_by_key_implILNS1_25lookback_scan_determinismE0ELb0ES3_N6thrust23THRUST_200600_302600_NS6detail15normal_iteratorINS9_10device_ptrIiEEEENSB_INSC_IxEEEESG_xNS9_4plusIvEENS9_8equal_toIvEExEE10hipError_tPvRmT2_T3_T4_T5_mT6_T7_P12ihipStream_tbENKUlT_T0_E_clISt17integral_constantIbLb0EES10_IbLb1EEEEDaSW_SX_EUlSW_E_NS1_11comp_targetILNS1_3genE0ELNS1_11target_archE4294967295ELNS1_3gpuE0ELNS1_3repE0EEENS1_30default_config_static_selectorELNS0_4arch9wavefront6targetE1EEEvT1_,"axG",@progbits,_ZN7rocprim17ROCPRIM_400000_NS6detail17trampoline_kernelINS0_14default_configENS1_27scan_by_key_config_selectorIixEEZZNS1_16scan_by_key_implILNS1_25lookback_scan_determinismE0ELb0ES3_N6thrust23THRUST_200600_302600_NS6detail15normal_iteratorINS9_10device_ptrIiEEEENSB_INSC_IxEEEESG_xNS9_4plusIvEENS9_8equal_toIvEExEE10hipError_tPvRmT2_T3_T4_T5_mT6_T7_P12ihipStream_tbENKUlT_T0_E_clISt17integral_constantIbLb0EES10_IbLb1EEEEDaSW_SX_EUlSW_E_NS1_11comp_targetILNS1_3genE0ELNS1_11target_archE4294967295ELNS1_3gpuE0ELNS1_3repE0EEENS1_30default_config_static_selectorELNS0_4arch9wavefront6targetE1EEEvT1_,comdat
	.protected	_ZN7rocprim17ROCPRIM_400000_NS6detail17trampoline_kernelINS0_14default_configENS1_27scan_by_key_config_selectorIixEEZZNS1_16scan_by_key_implILNS1_25lookback_scan_determinismE0ELb0ES3_N6thrust23THRUST_200600_302600_NS6detail15normal_iteratorINS9_10device_ptrIiEEEENSB_INSC_IxEEEESG_xNS9_4plusIvEENS9_8equal_toIvEExEE10hipError_tPvRmT2_T3_T4_T5_mT6_T7_P12ihipStream_tbENKUlT_T0_E_clISt17integral_constantIbLb0EES10_IbLb1EEEEDaSW_SX_EUlSW_E_NS1_11comp_targetILNS1_3genE0ELNS1_11target_archE4294967295ELNS1_3gpuE0ELNS1_3repE0EEENS1_30default_config_static_selectorELNS0_4arch9wavefront6targetE1EEEvT1_ ; -- Begin function _ZN7rocprim17ROCPRIM_400000_NS6detail17trampoline_kernelINS0_14default_configENS1_27scan_by_key_config_selectorIixEEZZNS1_16scan_by_key_implILNS1_25lookback_scan_determinismE0ELb0ES3_N6thrust23THRUST_200600_302600_NS6detail15normal_iteratorINS9_10device_ptrIiEEEENSB_INSC_IxEEEESG_xNS9_4plusIvEENS9_8equal_toIvEExEE10hipError_tPvRmT2_T3_T4_T5_mT6_T7_P12ihipStream_tbENKUlT_T0_E_clISt17integral_constantIbLb0EES10_IbLb1EEEEDaSW_SX_EUlSW_E_NS1_11comp_targetILNS1_3genE0ELNS1_11target_archE4294967295ELNS1_3gpuE0ELNS1_3repE0EEENS1_30default_config_static_selectorELNS0_4arch9wavefront6targetE1EEEvT1_
	.globl	_ZN7rocprim17ROCPRIM_400000_NS6detail17trampoline_kernelINS0_14default_configENS1_27scan_by_key_config_selectorIixEEZZNS1_16scan_by_key_implILNS1_25lookback_scan_determinismE0ELb0ES3_N6thrust23THRUST_200600_302600_NS6detail15normal_iteratorINS9_10device_ptrIiEEEENSB_INSC_IxEEEESG_xNS9_4plusIvEENS9_8equal_toIvEExEE10hipError_tPvRmT2_T3_T4_T5_mT6_T7_P12ihipStream_tbENKUlT_T0_E_clISt17integral_constantIbLb0EES10_IbLb1EEEEDaSW_SX_EUlSW_E_NS1_11comp_targetILNS1_3genE0ELNS1_11target_archE4294967295ELNS1_3gpuE0ELNS1_3repE0EEENS1_30default_config_static_selectorELNS0_4arch9wavefront6targetE1EEEvT1_
	.p2align	8
	.type	_ZN7rocprim17ROCPRIM_400000_NS6detail17trampoline_kernelINS0_14default_configENS1_27scan_by_key_config_selectorIixEEZZNS1_16scan_by_key_implILNS1_25lookback_scan_determinismE0ELb0ES3_N6thrust23THRUST_200600_302600_NS6detail15normal_iteratorINS9_10device_ptrIiEEEENSB_INSC_IxEEEESG_xNS9_4plusIvEENS9_8equal_toIvEExEE10hipError_tPvRmT2_T3_T4_T5_mT6_T7_P12ihipStream_tbENKUlT_T0_E_clISt17integral_constantIbLb0EES10_IbLb1EEEEDaSW_SX_EUlSW_E_NS1_11comp_targetILNS1_3genE0ELNS1_11target_archE4294967295ELNS1_3gpuE0ELNS1_3repE0EEENS1_30default_config_static_selectorELNS0_4arch9wavefront6targetE1EEEvT1_,@function
_ZN7rocprim17ROCPRIM_400000_NS6detail17trampoline_kernelINS0_14default_configENS1_27scan_by_key_config_selectorIixEEZZNS1_16scan_by_key_implILNS1_25lookback_scan_determinismE0ELb0ES3_N6thrust23THRUST_200600_302600_NS6detail15normal_iteratorINS9_10device_ptrIiEEEENSB_INSC_IxEEEESG_xNS9_4plusIvEENS9_8equal_toIvEExEE10hipError_tPvRmT2_T3_T4_T5_mT6_T7_P12ihipStream_tbENKUlT_T0_E_clISt17integral_constantIbLb0EES10_IbLb1EEEEDaSW_SX_EUlSW_E_NS1_11comp_targetILNS1_3genE0ELNS1_11target_archE4294967295ELNS1_3gpuE0ELNS1_3repE0EEENS1_30default_config_static_selectorELNS0_4arch9wavefront6targetE1EEEvT1_: ; @_ZN7rocprim17ROCPRIM_400000_NS6detail17trampoline_kernelINS0_14default_configENS1_27scan_by_key_config_selectorIixEEZZNS1_16scan_by_key_implILNS1_25lookback_scan_determinismE0ELb0ES3_N6thrust23THRUST_200600_302600_NS6detail15normal_iteratorINS9_10device_ptrIiEEEENSB_INSC_IxEEEESG_xNS9_4plusIvEENS9_8equal_toIvEExEE10hipError_tPvRmT2_T3_T4_T5_mT6_T7_P12ihipStream_tbENKUlT_T0_E_clISt17integral_constantIbLb0EES10_IbLb1EEEEDaSW_SX_EUlSW_E_NS1_11comp_targetILNS1_3genE0ELNS1_11target_archE4294967295ELNS1_3gpuE0ELNS1_3repE0EEENS1_30default_config_static_selectorELNS0_4arch9wavefront6targetE1EEEvT1_
; %bb.0:
	.section	.rodata,"a",@progbits
	.p2align	6, 0x0
	.amdhsa_kernel _ZN7rocprim17ROCPRIM_400000_NS6detail17trampoline_kernelINS0_14default_configENS1_27scan_by_key_config_selectorIixEEZZNS1_16scan_by_key_implILNS1_25lookback_scan_determinismE0ELb0ES3_N6thrust23THRUST_200600_302600_NS6detail15normal_iteratorINS9_10device_ptrIiEEEENSB_INSC_IxEEEESG_xNS9_4plusIvEENS9_8equal_toIvEExEE10hipError_tPvRmT2_T3_T4_T5_mT6_T7_P12ihipStream_tbENKUlT_T0_E_clISt17integral_constantIbLb0EES10_IbLb1EEEEDaSW_SX_EUlSW_E_NS1_11comp_targetILNS1_3genE0ELNS1_11target_archE4294967295ELNS1_3gpuE0ELNS1_3repE0EEENS1_30default_config_static_selectorELNS0_4arch9wavefront6targetE1EEEvT1_
		.amdhsa_group_segment_fixed_size 0
		.amdhsa_private_segment_fixed_size 0
		.amdhsa_kernarg_size 136
		.amdhsa_user_sgpr_count 2
		.amdhsa_user_sgpr_dispatch_ptr 0
		.amdhsa_user_sgpr_queue_ptr 0
		.amdhsa_user_sgpr_kernarg_segment_ptr 1
		.amdhsa_user_sgpr_dispatch_id 0
		.amdhsa_user_sgpr_kernarg_preload_length 0
		.amdhsa_user_sgpr_kernarg_preload_offset 0
		.amdhsa_user_sgpr_private_segment_size 0
		.amdhsa_uses_dynamic_stack 0
		.amdhsa_enable_private_segment 0
		.amdhsa_system_sgpr_workgroup_id_x 1
		.amdhsa_system_sgpr_workgroup_id_y 0
		.amdhsa_system_sgpr_workgroup_id_z 0
		.amdhsa_system_sgpr_workgroup_info 0
		.amdhsa_system_vgpr_workitem_id 0
		.amdhsa_next_free_vgpr 1
		.amdhsa_next_free_sgpr 0
		.amdhsa_accum_offset 4
		.amdhsa_reserve_vcc 0
		.amdhsa_float_round_mode_32 0
		.amdhsa_float_round_mode_16_64 0
		.amdhsa_float_denorm_mode_32 3
		.amdhsa_float_denorm_mode_16_64 3
		.amdhsa_dx10_clamp 1
		.amdhsa_ieee_mode 1
		.amdhsa_fp16_overflow 0
		.amdhsa_tg_split 0
		.amdhsa_exception_fp_ieee_invalid_op 0
		.amdhsa_exception_fp_denorm_src 0
		.amdhsa_exception_fp_ieee_div_zero 0
		.amdhsa_exception_fp_ieee_overflow 0
		.amdhsa_exception_fp_ieee_underflow 0
		.amdhsa_exception_fp_ieee_inexact 0
		.amdhsa_exception_int_div_zero 0
	.end_amdhsa_kernel
	.section	.text._ZN7rocprim17ROCPRIM_400000_NS6detail17trampoline_kernelINS0_14default_configENS1_27scan_by_key_config_selectorIixEEZZNS1_16scan_by_key_implILNS1_25lookback_scan_determinismE0ELb0ES3_N6thrust23THRUST_200600_302600_NS6detail15normal_iteratorINS9_10device_ptrIiEEEENSB_INSC_IxEEEESG_xNS9_4plusIvEENS9_8equal_toIvEExEE10hipError_tPvRmT2_T3_T4_T5_mT6_T7_P12ihipStream_tbENKUlT_T0_E_clISt17integral_constantIbLb0EES10_IbLb1EEEEDaSW_SX_EUlSW_E_NS1_11comp_targetILNS1_3genE0ELNS1_11target_archE4294967295ELNS1_3gpuE0ELNS1_3repE0EEENS1_30default_config_static_selectorELNS0_4arch9wavefront6targetE1EEEvT1_,"axG",@progbits,_ZN7rocprim17ROCPRIM_400000_NS6detail17trampoline_kernelINS0_14default_configENS1_27scan_by_key_config_selectorIixEEZZNS1_16scan_by_key_implILNS1_25lookback_scan_determinismE0ELb0ES3_N6thrust23THRUST_200600_302600_NS6detail15normal_iteratorINS9_10device_ptrIiEEEENSB_INSC_IxEEEESG_xNS9_4plusIvEENS9_8equal_toIvEExEE10hipError_tPvRmT2_T3_T4_T5_mT6_T7_P12ihipStream_tbENKUlT_T0_E_clISt17integral_constantIbLb0EES10_IbLb1EEEEDaSW_SX_EUlSW_E_NS1_11comp_targetILNS1_3genE0ELNS1_11target_archE4294967295ELNS1_3gpuE0ELNS1_3repE0EEENS1_30default_config_static_selectorELNS0_4arch9wavefront6targetE1EEEvT1_,comdat
.Lfunc_end1341:
	.size	_ZN7rocprim17ROCPRIM_400000_NS6detail17trampoline_kernelINS0_14default_configENS1_27scan_by_key_config_selectorIixEEZZNS1_16scan_by_key_implILNS1_25lookback_scan_determinismE0ELb0ES3_N6thrust23THRUST_200600_302600_NS6detail15normal_iteratorINS9_10device_ptrIiEEEENSB_INSC_IxEEEESG_xNS9_4plusIvEENS9_8equal_toIvEExEE10hipError_tPvRmT2_T3_T4_T5_mT6_T7_P12ihipStream_tbENKUlT_T0_E_clISt17integral_constantIbLb0EES10_IbLb1EEEEDaSW_SX_EUlSW_E_NS1_11comp_targetILNS1_3genE0ELNS1_11target_archE4294967295ELNS1_3gpuE0ELNS1_3repE0EEENS1_30default_config_static_selectorELNS0_4arch9wavefront6targetE1EEEvT1_, .Lfunc_end1341-_ZN7rocprim17ROCPRIM_400000_NS6detail17trampoline_kernelINS0_14default_configENS1_27scan_by_key_config_selectorIixEEZZNS1_16scan_by_key_implILNS1_25lookback_scan_determinismE0ELb0ES3_N6thrust23THRUST_200600_302600_NS6detail15normal_iteratorINS9_10device_ptrIiEEEENSB_INSC_IxEEEESG_xNS9_4plusIvEENS9_8equal_toIvEExEE10hipError_tPvRmT2_T3_T4_T5_mT6_T7_P12ihipStream_tbENKUlT_T0_E_clISt17integral_constantIbLb0EES10_IbLb1EEEEDaSW_SX_EUlSW_E_NS1_11comp_targetILNS1_3genE0ELNS1_11target_archE4294967295ELNS1_3gpuE0ELNS1_3repE0EEENS1_30default_config_static_selectorELNS0_4arch9wavefront6targetE1EEEvT1_
                                        ; -- End function
	.section	.AMDGPU.csdata,"",@progbits
; Kernel info:
; codeLenInByte = 0
; NumSgprs: 6
; NumVgprs: 0
; NumAgprs: 0
; TotalNumVgprs: 0
; ScratchSize: 0
; MemoryBound: 0
; FloatMode: 240
; IeeeMode: 1
; LDSByteSize: 0 bytes/workgroup (compile time only)
; SGPRBlocks: 0
; VGPRBlocks: 0
; NumSGPRsForWavesPerEU: 6
; NumVGPRsForWavesPerEU: 1
; AccumOffset: 4
; Occupancy: 8
; WaveLimiterHint : 0
; COMPUTE_PGM_RSRC2:SCRATCH_EN: 0
; COMPUTE_PGM_RSRC2:USER_SGPR: 2
; COMPUTE_PGM_RSRC2:TRAP_HANDLER: 0
; COMPUTE_PGM_RSRC2:TGID_X_EN: 1
; COMPUTE_PGM_RSRC2:TGID_Y_EN: 0
; COMPUTE_PGM_RSRC2:TGID_Z_EN: 0
; COMPUTE_PGM_RSRC2:TIDIG_COMP_CNT: 0
; COMPUTE_PGM_RSRC3_GFX90A:ACCUM_OFFSET: 0
; COMPUTE_PGM_RSRC3_GFX90A:TG_SPLIT: 0
	.section	.text._ZN7rocprim17ROCPRIM_400000_NS6detail17trampoline_kernelINS0_14default_configENS1_27scan_by_key_config_selectorIixEEZZNS1_16scan_by_key_implILNS1_25lookback_scan_determinismE0ELb0ES3_N6thrust23THRUST_200600_302600_NS6detail15normal_iteratorINS9_10device_ptrIiEEEENSB_INSC_IxEEEESG_xNS9_4plusIvEENS9_8equal_toIvEExEE10hipError_tPvRmT2_T3_T4_T5_mT6_T7_P12ihipStream_tbENKUlT_T0_E_clISt17integral_constantIbLb0EES10_IbLb1EEEEDaSW_SX_EUlSW_E_NS1_11comp_targetILNS1_3genE10ELNS1_11target_archE1201ELNS1_3gpuE5ELNS1_3repE0EEENS1_30default_config_static_selectorELNS0_4arch9wavefront6targetE1EEEvT1_,"axG",@progbits,_ZN7rocprim17ROCPRIM_400000_NS6detail17trampoline_kernelINS0_14default_configENS1_27scan_by_key_config_selectorIixEEZZNS1_16scan_by_key_implILNS1_25lookback_scan_determinismE0ELb0ES3_N6thrust23THRUST_200600_302600_NS6detail15normal_iteratorINS9_10device_ptrIiEEEENSB_INSC_IxEEEESG_xNS9_4plusIvEENS9_8equal_toIvEExEE10hipError_tPvRmT2_T3_T4_T5_mT6_T7_P12ihipStream_tbENKUlT_T0_E_clISt17integral_constantIbLb0EES10_IbLb1EEEEDaSW_SX_EUlSW_E_NS1_11comp_targetILNS1_3genE10ELNS1_11target_archE1201ELNS1_3gpuE5ELNS1_3repE0EEENS1_30default_config_static_selectorELNS0_4arch9wavefront6targetE1EEEvT1_,comdat
	.protected	_ZN7rocprim17ROCPRIM_400000_NS6detail17trampoline_kernelINS0_14default_configENS1_27scan_by_key_config_selectorIixEEZZNS1_16scan_by_key_implILNS1_25lookback_scan_determinismE0ELb0ES3_N6thrust23THRUST_200600_302600_NS6detail15normal_iteratorINS9_10device_ptrIiEEEENSB_INSC_IxEEEESG_xNS9_4plusIvEENS9_8equal_toIvEExEE10hipError_tPvRmT2_T3_T4_T5_mT6_T7_P12ihipStream_tbENKUlT_T0_E_clISt17integral_constantIbLb0EES10_IbLb1EEEEDaSW_SX_EUlSW_E_NS1_11comp_targetILNS1_3genE10ELNS1_11target_archE1201ELNS1_3gpuE5ELNS1_3repE0EEENS1_30default_config_static_selectorELNS0_4arch9wavefront6targetE1EEEvT1_ ; -- Begin function _ZN7rocprim17ROCPRIM_400000_NS6detail17trampoline_kernelINS0_14default_configENS1_27scan_by_key_config_selectorIixEEZZNS1_16scan_by_key_implILNS1_25lookback_scan_determinismE0ELb0ES3_N6thrust23THRUST_200600_302600_NS6detail15normal_iteratorINS9_10device_ptrIiEEEENSB_INSC_IxEEEESG_xNS9_4plusIvEENS9_8equal_toIvEExEE10hipError_tPvRmT2_T3_T4_T5_mT6_T7_P12ihipStream_tbENKUlT_T0_E_clISt17integral_constantIbLb0EES10_IbLb1EEEEDaSW_SX_EUlSW_E_NS1_11comp_targetILNS1_3genE10ELNS1_11target_archE1201ELNS1_3gpuE5ELNS1_3repE0EEENS1_30default_config_static_selectorELNS0_4arch9wavefront6targetE1EEEvT1_
	.globl	_ZN7rocprim17ROCPRIM_400000_NS6detail17trampoline_kernelINS0_14default_configENS1_27scan_by_key_config_selectorIixEEZZNS1_16scan_by_key_implILNS1_25lookback_scan_determinismE0ELb0ES3_N6thrust23THRUST_200600_302600_NS6detail15normal_iteratorINS9_10device_ptrIiEEEENSB_INSC_IxEEEESG_xNS9_4plusIvEENS9_8equal_toIvEExEE10hipError_tPvRmT2_T3_T4_T5_mT6_T7_P12ihipStream_tbENKUlT_T0_E_clISt17integral_constantIbLb0EES10_IbLb1EEEEDaSW_SX_EUlSW_E_NS1_11comp_targetILNS1_3genE10ELNS1_11target_archE1201ELNS1_3gpuE5ELNS1_3repE0EEENS1_30default_config_static_selectorELNS0_4arch9wavefront6targetE1EEEvT1_
	.p2align	8
	.type	_ZN7rocprim17ROCPRIM_400000_NS6detail17trampoline_kernelINS0_14default_configENS1_27scan_by_key_config_selectorIixEEZZNS1_16scan_by_key_implILNS1_25lookback_scan_determinismE0ELb0ES3_N6thrust23THRUST_200600_302600_NS6detail15normal_iteratorINS9_10device_ptrIiEEEENSB_INSC_IxEEEESG_xNS9_4plusIvEENS9_8equal_toIvEExEE10hipError_tPvRmT2_T3_T4_T5_mT6_T7_P12ihipStream_tbENKUlT_T0_E_clISt17integral_constantIbLb0EES10_IbLb1EEEEDaSW_SX_EUlSW_E_NS1_11comp_targetILNS1_3genE10ELNS1_11target_archE1201ELNS1_3gpuE5ELNS1_3repE0EEENS1_30default_config_static_selectorELNS0_4arch9wavefront6targetE1EEEvT1_,@function
_ZN7rocprim17ROCPRIM_400000_NS6detail17trampoline_kernelINS0_14default_configENS1_27scan_by_key_config_selectorIixEEZZNS1_16scan_by_key_implILNS1_25lookback_scan_determinismE0ELb0ES3_N6thrust23THRUST_200600_302600_NS6detail15normal_iteratorINS9_10device_ptrIiEEEENSB_INSC_IxEEEESG_xNS9_4plusIvEENS9_8equal_toIvEExEE10hipError_tPvRmT2_T3_T4_T5_mT6_T7_P12ihipStream_tbENKUlT_T0_E_clISt17integral_constantIbLb0EES10_IbLb1EEEEDaSW_SX_EUlSW_E_NS1_11comp_targetILNS1_3genE10ELNS1_11target_archE1201ELNS1_3gpuE5ELNS1_3repE0EEENS1_30default_config_static_selectorELNS0_4arch9wavefront6targetE1EEEvT1_: ; @_ZN7rocprim17ROCPRIM_400000_NS6detail17trampoline_kernelINS0_14default_configENS1_27scan_by_key_config_selectorIixEEZZNS1_16scan_by_key_implILNS1_25lookback_scan_determinismE0ELb0ES3_N6thrust23THRUST_200600_302600_NS6detail15normal_iteratorINS9_10device_ptrIiEEEENSB_INSC_IxEEEESG_xNS9_4plusIvEENS9_8equal_toIvEExEE10hipError_tPvRmT2_T3_T4_T5_mT6_T7_P12ihipStream_tbENKUlT_T0_E_clISt17integral_constantIbLb0EES10_IbLb1EEEEDaSW_SX_EUlSW_E_NS1_11comp_targetILNS1_3genE10ELNS1_11target_archE1201ELNS1_3gpuE5ELNS1_3repE0EEENS1_30default_config_static_selectorELNS0_4arch9wavefront6targetE1EEEvT1_
; %bb.0:
	.section	.rodata,"a",@progbits
	.p2align	6, 0x0
	.amdhsa_kernel _ZN7rocprim17ROCPRIM_400000_NS6detail17trampoline_kernelINS0_14default_configENS1_27scan_by_key_config_selectorIixEEZZNS1_16scan_by_key_implILNS1_25lookback_scan_determinismE0ELb0ES3_N6thrust23THRUST_200600_302600_NS6detail15normal_iteratorINS9_10device_ptrIiEEEENSB_INSC_IxEEEESG_xNS9_4plusIvEENS9_8equal_toIvEExEE10hipError_tPvRmT2_T3_T4_T5_mT6_T7_P12ihipStream_tbENKUlT_T0_E_clISt17integral_constantIbLb0EES10_IbLb1EEEEDaSW_SX_EUlSW_E_NS1_11comp_targetILNS1_3genE10ELNS1_11target_archE1201ELNS1_3gpuE5ELNS1_3repE0EEENS1_30default_config_static_selectorELNS0_4arch9wavefront6targetE1EEEvT1_
		.amdhsa_group_segment_fixed_size 0
		.amdhsa_private_segment_fixed_size 0
		.amdhsa_kernarg_size 136
		.amdhsa_user_sgpr_count 2
		.amdhsa_user_sgpr_dispatch_ptr 0
		.amdhsa_user_sgpr_queue_ptr 0
		.amdhsa_user_sgpr_kernarg_segment_ptr 1
		.amdhsa_user_sgpr_dispatch_id 0
		.amdhsa_user_sgpr_kernarg_preload_length 0
		.amdhsa_user_sgpr_kernarg_preload_offset 0
		.amdhsa_user_sgpr_private_segment_size 0
		.amdhsa_uses_dynamic_stack 0
		.amdhsa_enable_private_segment 0
		.amdhsa_system_sgpr_workgroup_id_x 1
		.amdhsa_system_sgpr_workgroup_id_y 0
		.amdhsa_system_sgpr_workgroup_id_z 0
		.amdhsa_system_sgpr_workgroup_info 0
		.amdhsa_system_vgpr_workitem_id 0
		.amdhsa_next_free_vgpr 1
		.amdhsa_next_free_sgpr 0
		.amdhsa_accum_offset 4
		.amdhsa_reserve_vcc 0
		.amdhsa_float_round_mode_32 0
		.amdhsa_float_round_mode_16_64 0
		.amdhsa_float_denorm_mode_32 3
		.amdhsa_float_denorm_mode_16_64 3
		.amdhsa_dx10_clamp 1
		.amdhsa_ieee_mode 1
		.amdhsa_fp16_overflow 0
		.amdhsa_tg_split 0
		.amdhsa_exception_fp_ieee_invalid_op 0
		.amdhsa_exception_fp_denorm_src 0
		.amdhsa_exception_fp_ieee_div_zero 0
		.amdhsa_exception_fp_ieee_overflow 0
		.amdhsa_exception_fp_ieee_underflow 0
		.amdhsa_exception_fp_ieee_inexact 0
		.amdhsa_exception_int_div_zero 0
	.end_amdhsa_kernel
	.section	.text._ZN7rocprim17ROCPRIM_400000_NS6detail17trampoline_kernelINS0_14default_configENS1_27scan_by_key_config_selectorIixEEZZNS1_16scan_by_key_implILNS1_25lookback_scan_determinismE0ELb0ES3_N6thrust23THRUST_200600_302600_NS6detail15normal_iteratorINS9_10device_ptrIiEEEENSB_INSC_IxEEEESG_xNS9_4plusIvEENS9_8equal_toIvEExEE10hipError_tPvRmT2_T3_T4_T5_mT6_T7_P12ihipStream_tbENKUlT_T0_E_clISt17integral_constantIbLb0EES10_IbLb1EEEEDaSW_SX_EUlSW_E_NS1_11comp_targetILNS1_3genE10ELNS1_11target_archE1201ELNS1_3gpuE5ELNS1_3repE0EEENS1_30default_config_static_selectorELNS0_4arch9wavefront6targetE1EEEvT1_,"axG",@progbits,_ZN7rocprim17ROCPRIM_400000_NS6detail17trampoline_kernelINS0_14default_configENS1_27scan_by_key_config_selectorIixEEZZNS1_16scan_by_key_implILNS1_25lookback_scan_determinismE0ELb0ES3_N6thrust23THRUST_200600_302600_NS6detail15normal_iteratorINS9_10device_ptrIiEEEENSB_INSC_IxEEEESG_xNS9_4plusIvEENS9_8equal_toIvEExEE10hipError_tPvRmT2_T3_T4_T5_mT6_T7_P12ihipStream_tbENKUlT_T0_E_clISt17integral_constantIbLb0EES10_IbLb1EEEEDaSW_SX_EUlSW_E_NS1_11comp_targetILNS1_3genE10ELNS1_11target_archE1201ELNS1_3gpuE5ELNS1_3repE0EEENS1_30default_config_static_selectorELNS0_4arch9wavefront6targetE1EEEvT1_,comdat
.Lfunc_end1342:
	.size	_ZN7rocprim17ROCPRIM_400000_NS6detail17trampoline_kernelINS0_14default_configENS1_27scan_by_key_config_selectorIixEEZZNS1_16scan_by_key_implILNS1_25lookback_scan_determinismE0ELb0ES3_N6thrust23THRUST_200600_302600_NS6detail15normal_iteratorINS9_10device_ptrIiEEEENSB_INSC_IxEEEESG_xNS9_4plusIvEENS9_8equal_toIvEExEE10hipError_tPvRmT2_T3_T4_T5_mT6_T7_P12ihipStream_tbENKUlT_T0_E_clISt17integral_constantIbLb0EES10_IbLb1EEEEDaSW_SX_EUlSW_E_NS1_11comp_targetILNS1_3genE10ELNS1_11target_archE1201ELNS1_3gpuE5ELNS1_3repE0EEENS1_30default_config_static_selectorELNS0_4arch9wavefront6targetE1EEEvT1_, .Lfunc_end1342-_ZN7rocprim17ROCPRIM_400000_NS6detail17trampoline_kernelINS0_14default_configENS1_27scan_by_key_config_selectorIixEEZZNS1_16scan_by_key_implILNS1_25lookback_scan_determinismE0ELb0ES3_N6thrust23THRUST_200600_302600_NS6detail15normal_iteratorINS9_10device_ptrIiEEEENSB_INSC_IxEEEESG_xNS9_4plusIvEENS9_8equal_toIvEExEE10hipError_tPvRmT2_T3_T4_T5_mT6_T7_P12ihipStream_tbENKUlT_T0_E_clISt17integral_constantIbLb0EES10_IbLb1EEEEDaSW_SX_EUlSW_E_NS1_11comp_targetILNS1_3genE10ELNS1_11target_archE1201ELNS1_3gpuE5ELNS1_3repE0EEENS1_30default_config_static_selectorELNS0_4arch9wavefront6targetE1EEEvT1_
                                        ; -- End function
	.section	.AMDGPU.csdata,"",@progbits
; Kernel info:
; codeLenInByte = 0
; NumSgprs: 6
; NumVgprs: 0
; NumAgprs: 0
; TotalNumVgprs: 0
; ScratchSize: 0
; MemoryBound: 0
; FloatMode: 240
; IeeeMode: 1
; LDSByteSize: 0 bytes/workgroup (compile time only)
; SGPRBlocks: 0
; VGPRBlocks: 0
; NumSGPRsForWavesPerEU: 6
; NumVGPRsForWavesPerEU: 1
; AccumOffset: 4
; Occupancy: 8
; WaveLimiterHint : 0
; COMPUTE_PGM_RSRC2:SCRATCH_EN: 0
; COMPUTE_PGM_RSRC2:USER_SGPR: 2
; COMPUTE_PGM_RSRC2:TRAP_HANDLER: 0
; COMPUTE_PGM_RSRC2:TGID_X_EN: 1
; COMPUTE_PGM_RSRC2:TGID_Y_EN: 0
; COMPUTE_PGM_RSRC2:TGID_Z_EN: 0
; COMPUTE_PGM_RSRC2:TIDIG_COMP_CNT: 0
; COMPUTE_PGM_RSRC3_GFX90A:ACCUM_OFFSET: 0
; COMPUTE_PGM_RSRC3_GFX90A:TG_SPLIT: 0
	.section	.text._ZN7rocprim17ROCPRIM_400000_NS6detail17trampoline_kernelINS0_14default_configENS1_27scan_by_key_config_selectorIixEEZZNS1_16scan_by_key_implILNS1_25lookback_scan_determinismE0ELb0ES3_N6thrust23THRUST_200600_302600_NS6detail15normal_iteratorINS9_10device_ptrIiEEEENSB_INSC_IxEEEESG_xNS9_4plusIvEENS9_8equal_toIvEExEE10hipError_tPvRmT2_T3_T4_T5_mT6_T7_P12ihipStream_tbENKUlT_T0_E_clISt17integral_constantIbLb0EES10_IbLb1EEEEDaSW_SX_EUlSW_E_NS1_11comp_targetILNS1_3genE5ELNS1_11target_archE942ELNS1_3gpuE9ELNS1_3repE0EEENS1_30default_config_static_selectorELNS0_4arch9wavefront6targetE1EEEvT1_,"axG",@progbits,_ZN7rocprim17ROCPRIM_400000_NS6detail17trampoline_kernelINS0_14default_configENS1_27scan_by_key_config_selectorIixEEZZNS1_16scan_by_key_implILNS1_25lookback_scan_determinismE0ELb0ES3_N6thrust23THRUST_200600_302600_NS6detail15normal_iteratorINS9_10device_ptrIiEEEENSB_INSC_IxEEEESG_xNS9_4plusIvEENS9_8equal_toIvEExEE10hipError_tPvRmT2_T3_T4_T5_mT6_T7_P12ihipStream_tbENKUlT_T0_E_clISt17integral_constantIbLb0EES10_IbLb1EEEEDaSW_SX_EUlSW_E_NS1_11comp_targetILNS1_3genE5ELNS1_11target_archE942ELNS1_3gpuE9ELNS1_3repE0EEENS1_30default_config_static_selectorELNS0_4arch9wavefront6targetE1EEEvT1_,comdat
	.protected	_ZN7rocprim17ROCPRIM_400000_NS6detail17trampoline_kernelINS0_14default_configENS1_27scan_by_key_config_selectorIixEEZZNS1_16scan_by_key_implILNS1_25lookback_scan_determinismE0ELb0ES3_N6thrust23THRUST_200600_302600_NS6detail15normal_iteratorINS9_10device_ptrIiEEEENSB_INSC_IxEEEESG_xNS9_4plusIvEENS9_8equal_toIvEExEE10hipError_tPvRmT2_T3_T4_T5_mT6_T7_P12ihipStream_tbENKUlT_T0_E_clISt17integral_constantIbLb0EES10_IbLb1EEEEDaSW_SX_EUlSW_E_NS1_11comp_targetILNS1_3genE5ELNS1_11target_archE942ELNS1_3gpuE9ELNS1_3repE0EEENS1_30default_config_static_selectorELNS0_4arch9wavefront6targetE1EEEvT1_ ; -- Begin function _ZN7rocprim17ROCPRIM_400000_NS6detail17trampoline_kernelINS0_14default_configENS1_27scan_by_key_config_selectorIixEEZZNS1_16scan_by_key_implILNS1_25lookback_scan_determinismE0ELb0ES3_N6thrust23THRUST_200600_302600_NS6detail15normal_iteratorINS9_10device_ptrIiEEEENSB_INSC_IxEEEESG_xNS9_4plusIvEENS9_8equal_toIvEExEE10hipError_tPvRmT2_T3_T4_T5_mT6_T7_P12ihipStream_tbENKUlT_T0_E_clISt17integral_constantIbLb0EES10_IbLb1EEEEDaSW_SX_EUlSW_E_NS1_11comp_targetILNS1_3genE5ELNS1_11target_archE942ELNS1_3gpuE9ELNS1_3repE0EEENS1_30default_config_static_selectorELNS0_4arch9wavefront6targetE1EEEvT1_
	.globl	_ZN7rocprim17ROCPRIM_400000_NS6detail17trampoline_kernelINS0_14default_configENS1_27scan_by_key_config_selectorIixEEZZNS1_16scan_by_key_implILNS1_25lookback_scan_determinismE0ELb0ES3_N6thrust23THRUST_200600_302600_NS6detail15normal_iteratorINS9_10device_ptrIiEEEENSB_INSC_IxEEEESG_xNS9_4plusIvEENS9_8equal_toIvEExEE10hipError_tPvRmT2_T3_T4_T5_mT6_T7_P12ihipStream_tbENKUlT_T0_E_clISt17integral_constantIbLb0EES10_IbLb1EEEEDaSW_SX_EUlSW_E_NS1_11comp_targetILNS1_3genE5ELNS1_11target_archE942ELNS1_3gpuE9ELNS1_3repE0EEENS1_30default_config_static_selectorELNS0_4arch9wavefront6targetE1EEEvT1_
	.p2align	8
	.type	_ZN7rocprim17ROCPRIM_400000_NS6detail17trampoline_kernelINS0_14default_configENS1_27scan_by_key_config_selectorIixEEZZNS1_16scan_by_key_implILNS1_25lookback_scan_determinismE0ELb0ES3_N6thrust23THRUST_200600_302600_NS6detail15normal_iteratorINS9_10device_ptrIiEEEENSB_INSC_IxEEEESG_xNS9_4plusIvEENS9_8equal_toIvEExEE10hipError_tPvRmT2_T3_T4_T5_mT6_T7_P12ihipStream_tbENKUlT_T0_E_clISt17integral_constantIbLb0EES10_IbLb1EEEEDaSW_SX_EUlSW_E_NS1_11comp_targetILNS1_3genE5ELNS1_11target_archE942ELNS1_3gpuE9ELNS1_3repE0EEENS1_30default_config_static_selectorELNS0_4arch9wavefront6targetE1EEEvT1_,@function
_ZN7rocprim17ROCPRIM_400000_NS6detail17trampoline_kernelINS0_14default_configENS1_27scan_by_key_config_selectorIixEEZZNS1_16scan_by_key_implILNS1_25lookback_scan_determinismE0ELb0ES3_N6thrust23THRUST_200600_302600_NS6detail15normal_iteratorINS9_10device_ptrIiEEEENSB_INSC_IxEEEESG_xNS9_4plusIvEENS9_8equal_toIvEExEE10hipError_tPvRmT2_T3_T4_T5_mT6_T7_P12ihipStream_tbENKUlT_T0_E_clISt17integral_constantIbLb0EES10_IbLb1EEEEDaSW_SX_EUlSW_E_NS1_11comp_targetILNS1_3genE5ELNS1_11target_archE942ELNS1_3gpuE9ELNS1_3repE0EEENS1_30default_config_static_selectorELNS0_4arch9wavefront6targetE1EEEvT1_: ; @_ZN7rocprim17ROCPRIM_400000_NS6detail17trampoline_kernelINS0_14default_configENS1_27scan_by_key_config_selectorIixEEZZNS1_16scan_by_key_implILNS1_25lookback_scan_determinismE0ELb0ES3_N6thrust23THRUST_200600_302600_NS6detail15normal_iteratorINS9_10device_ptrIiEEEENSB_INSC_IxEEEESG_xNS9_4plusIvEENS9_8equal_toIvEExEE10hipError_tPvRmT2_T3_T4_T5_mT6_T7_P12ihipStream_tbENKUlT_T0_E_clISt17integral_constantIbLb0EES10_IbLb1EEEEDaSW_SX_EUlSW_E_NS1_11comp_targetILNS1_3genE5ELNS1_11target_archE942ELNS1_3gpuE9ELNS1_3repE0EEENS1_30default_config_static_selectorELNS0_4arch9wavefront6targetE1EEEvT1_
; %bb.0:
	s_load_dwordx8 s[4:11], s[0:1], 0x30
                                        ; implicit-def: $vgpr131 : SGPR spill to VGPR lane
	s_load_dwordx2 s[14:15], s[0:1], 0x50
	v_cmp_eq_u32_e64 s[68:69], 0, v0
	s_waitcnt lgkmcnt(0)
	v_writelane_b32 v131, s4, 0
	s_nop 1
	v_writelane_b32 v131, s5, 1
	v_writelane_b32 v131, s6, 2
	;; [unrolled: 1-line block ×7, first 2 shown]
	v_cmp_ne_u32_e64 s[4:5], 0, v0
	s_and_saveexec_b64 s[2:3], s[68:69]
	s_cbranch_execz .LBB1343_4
; %bb.1:
	s_mov_b64 s[8:9], exec
	v_mbcnt_lo_u32_b32 v1, s8, 0
	v_mbcnt_hi_u32_b32 v1, s9, v1
	v_cmp_eq_u32_e32 vcc, 0, v1
                                        ; implicit-def: $vgpr2
	s_and_saveexec_b64 s[6:7], vcc
	s_cbranch_execz .LBB1343_3
; %bb.2:
	s_load_dwordx2 s[10:11], s[0:1], 0x80
	s_bcnt1_i32_b64 s8, s[8:9]
	v_mov_b32_e32 v2, 0
	v_mov_b32_e32 v3, s8
	s_waitcnt lgkmcnt(0)
	global_atomic_add v2, v2, v3, s[10:11] sc0
.LBB1343_3:
	s_or_b64 exec, exec, s[6:7]
	s_waitcnt vmcnt(0)
	v_readfirstlane_b32 s6, v2
	v_mov_b32_e32 v2, 0
	s_nop 0
	v_add_u32_e32 v1, s6, v1
	ds_write_b32 v2, v1
.LBB1343_4:
	s_or_b64 exec, exec, s[2:3]
	s_load_dwordx8 s[72:79], s[0:1], 0x0
	s_load_dword s2, s[0:1], 0x58
	s_load_dwordx8 s[60:67], s[0:1], 0x60
	v_mov_b32_e32 v1, 0
	s_waitcnt lgkmcnt(0)
	s_barrier
	ds_read_b32 v1, v1
	s_lshl_b64 s[0:1], s[74:75], 2
	s_add_u32 s8, s72, s0
	s_addc_u32 s9, s73, s1
	s_lshl_b64 s[88:89], s[74:75], 3
	s_add_u32 s10, s76, s88
	s_mul_i32 s0, s15, s2
	s_mul_hi_u32 s1, s14, s2
	s_addc_u32 s11, s77, s89
	s_add_i32 s12, s1, s0
	s_waitcnt lgkmcnt(0)
	v_readfirstlane_b32 s92, v1
	s_cmp_lg_u64 s[64:65], 0
	s_mov_b32 s1, 0
	s_mul_i32 s0, s92, 0x1500
	v_writelane_b32 v131, s14, 8
	s_mul_i32 s13, s14, s2
	s_cselect_b64 s[54:55], -1, 0
	s_lshl_b64 s[2:3], s[0:1], 2
	s_add_u32 s52, s8, s2
	s_addc_u32 s53, s9, s3
	s_lshl_b64 s[2:3], s[0:1], 3
	s_add_u32 s50, s10, s2
	s_addc_u32 s51, s11, s3
	s_add_u32 s56, s13, s92
	s_addc_u32 s57, s12, 0
	s_add_u32 s0, s60, -1
	s_addc_u32 s1, s61, -1
	v_mov_b64_e32 v[2:3], s[0:1]
	v_cmp_ge_u64_e64 s[60:61], s[56:57], v[2:3]
	s_mov_b64 s[6:7], 0
	s_mov_b64 s[10:11], -1
	s_and_b64 vcc, exec, s[60:61]
	s_mul_i32 s33, s0, 0xffffeb00
	v_writelane_b32 v131, s15, 9
	s_barrier
	s_barrier
	s_cbranch_vccz .LBB1343_116
; %bb.5:
	v_mov_b64_e32 v[2:3], s[52:53]
	flat_load_dword v2, v[2:3]
	v_readlane_b32 s8, v131, 0
	v_readlane_b32 s14, v131, 6
	s_add_i32 s65, s33, s14
	v_cmp_gt_u32_e64 s[6:7], s65, v0
	v_readlane_b32 s9, v131, 1
	v_readlane_b32 s10, v131, 2
	;; [unrolled: 1-line block ×6, first 2 shown]
	s_waitcnt vmcnt(0) lgkmcnt(0)
	v_mov_b32_e32 v4, v2
	s_and_saveexec_b64 s[0:1], s[6:7]
	s_cbranch_execz .LBB1343_7
; %bb.6:
	v_lshlrev_b32_e32 v4, 2, v0
	v_mov_b32_e32 v5, 0
	v_lshl_add_u64 v[4:5], s[52:53], 0, v[4:5]
	flat_load_dword v4, v[4:5]
.LBB1343_7:
	s_or_b64 exec, exec, s[0:1]
	v_or_b32_e32 v1, 0x100, v0
	v_cmp_gt_u32_e64 s[8:9], s65, v1
	v_mov_b32_e32 v5, v2
	s_and_saveexec_b64 s[0:1], s[8:9]
	s_cbranch_execz .LBB1343_9
; %bb.8:
	v_lshlrev_b32_e32 v6, 2, v0
	v_mov_b32_e32 v7, 0
	v_lshl_add_u64 v[6:7], s[52:53], 0, v[6:7]
	flat_load_dword v5, v[6:7] offset:1024
.LBB1343_9:
	s_or_b64 exec, exec, s[0:1]
	v_or_b32_e32 v1, 0x200, v0
	v_cmp_gt_u32_e64 s[10:11], s65, v1
	v_mov_b32_e32 v6, v2
	s_and_saveexec_b64 s[0:1], s[10:11]
	s_cbranch_execz .LBB1343_11
; %bb.10:
	v_lshlrev_b32_e32 v6, 2, v0
	v_mov_b32_e32 v7, 0
	v_lshl_add_u64 v[6:7], s[52:53], 0, v[6:7]
	flat_load_dword v6, v[6:7] offset:2048
.LBB1343_11:
	s_or_b64 exec, exec, s[0:1]
	v_or_b32_e32 v16, 0x300, v0
	v_cmp_gt_u32_e64 s[12:13], s65, v16
	v_mov_b32_e32 v7, v2
	s_and_saveexec_b64 s[0:1], s[12:13]
	s_cbranch_execz .LBB1343_13
; %bb.12:
	v_lshlrev_b32_e32 v8, 2, v0
	v_mov_b32_e32 v9, 0
	v_lshl_add_u64 v[8:9], s[52:53], 0, v[8:9]
	flat_load_dword v7, v[8:9] offset:3072
.LBB1343_13:
	s_or_b64 exec, exec, s[0:1]
	v_or_b32_e32 v18, 0x400, v0
	v_cmp_gt_u32_e64 s[14:15], s65, v18
	v_mov_b32_e32 v8, v2
	s_and_saveexec_b64 s[0:1], s[14:15]
	s_cbranch_execz .LBB1343_15
; %bb.14:
	v_lshlrev_b32_e32 v8, 2, v18
	v_mov_b32_e32 v9, 0
	v_lshl_add_u64 v[8:9], s[52:53], 0, v[8:9]
	flat_load_dword v8, v[8:9]
.LBB1343_15:
	s_or_b64 exec, exec, s[0:1]
	v_or_b32_e32 v22, 0x500, v0
	v_cmp_gt_u32_e64 s[16:17], s65, v22
	v_mov_b32_e32 v9, v2
	s_and_saveexec_b64 s[0:1], s[16:17]
	s_cbranch_execz .LBB1343_17
; %bb.16:
	v_lshlrev_b32_e32 v10, 2, v22
	v_mov_b32_e32 v11, 0
	v_lshl_add_u64 v[10:11], s[52:53], 0, v[10:11]
	flat_load_dword v9, v[10:11]
.LBB1343_17:
	;; [unrolled: 12-line block ×16, first 2 shown]
	s_or_b64 exec, exec, s[0:1]
	v_or_b32_e32 v65, 0x1400, v0
	v_cmp_gt_u32_e64 s[48:49], s65, v65
	v_mov_b32_e32 v3, 0
	s_and_saveexec_b64 s[0:1], s[48:49]
	s_cbranch_execz .LBB1343_47
; %bb.46:
	v_lshlrev_b32_e32 v2, 2, v65
	v_lshl_add_u64 v[2:3], s[52:53], 0, v[2:3]
	flat_load_dword v2, v[2:3]
.LBB1343_47:
	s_or_b64 exec, exec, s[0:1]
	v_lshlrev_b32_e32 v3, 2, v0
	s_movk_i32 s0, 0x50
	s_waitcnt vmcnt(0) lgkmcnt(0)
	ds_write2st64_b32 v3, v4, v5 offset1:4
	ds_write2st64_b32 v3, v6, v7 offset0:8 offset1:12
	ds_write2st64_b32 v3, v8, v9 offset0:16 offset1:20
	;; [unrolled: 1-line block ×9, first 2 shown]
	ds_write_b32 v3, v2 offset:20480
	v_mad_u32_u24 v2, v0, s0, v3
	s_waitcnt lgkmcnt(0)
	s_barrier
	ds_read2_b32 v[40:41], v2 offset0:7 offset1:8
	ds_read2_b32 v[44:45], v2 offset0:5 offset1:6
	;; [unrolled: 1-line block ×3, first 2 shown]
	ds_read2_b32 v[36:37], v2 offset1:1
	ds_read2_b32 v[32:33], v2 offset0:4 offset1:9
	ds_read2_b32 v[8:9], v2 offset0:15 offset1:16
	ds_read_b32 v64, v2 offset:56
	ds_read2_b32 v[20:21], v2 offset0:12 offset1:13
	ds_read2_b32 v[24:25], v2 offset0:10 offset1:11
	;; [unrolled: 1-line block ×4, first 2 shown]
	s_cmp_eq_u64 s[56:57], 0
	s_mov_b64 s[0:1], s[52:53]
	s_cbranch_scc1 .LBB1343_51
; %bb.48:
	s_andn2_b64 vcc, exec, s[54:55]
	s_cbranch_vccnz .LBB1343_291
; %bb.49:
	s_lshl_b64 s[0:1], s[56:57], 2
	s_add_u32 s0, s66, s0
	s_addc_u32 s1, s67, s1
	s_add_u32 s0, s0, -4
	s_addc_u32 s1, s1, -1
	s_cbranch_execnz .LBB1343_51
.LBB1343_50:
	s_add_u32 s0, s52, -4
	s_addc_u32 s1, s53, -1
.LBB1343_51:
	v_mov_b64_e32 v[6:7], s[0:1]
	flat_load_dword v68, v[6:7]
	s_movk_i32 s0, 0xffb0
	v_mad_i32_i24 v66, v0, s0, v2
	s_waitcnt lgkmcnt(0)
	ds_write_b32 v66, v5 offset:21504
	s_waitcnt lgkmcnt(0)
	s_barrier
	s_and_saveexec_b64 s[0:1], s[4:5]
	s_cbranch_execz .LBB1343_53
; %bb.52:
	s_waitcnt vmcnt(0)
	ds_read_b32 v68, v66 offset:21500
.LBB1343_53:
	s_or_b64 exec, exec, s[0:1]
	v_mov_b32_e32 v7, 0
	s_waitcnt lgkmcnt(0)
	s_barrier
	s_waitcnt lgkmcnt(0)
                                        ; implicit-def: $vgpr2_vgpr3
	s_and_saveexec_b64 s[0:1], s[6:7]
	s_cbranch_execnz .LBB1343_271
; %bb.54:
	s_or_b64 exec, exec, s[0:1]
                                        ; implicit-def: $vgpr6_vgpr7
	s_and_saveexec_b64 s[0:1], s[8:9]
	s_cbranch_execnz .LBB1343_272
.LBB1343_55:
	s_or_b64 exec, exec, s[0:1]
                                        ; implicit-def: $vgpr10_vgpr11
	s_and_saveexec_b64 s[0:1], s[10:11]
	s_cbranch_execnz .LBB1343_273
.LBB1343_56:
	s_or_b64 exec, exec, s[0:1]
                                        ; implicit-def: $vgpr14_vgpr15
	s_and_saveexec_b64 s[0:1], s[12:13]
	s_cbranch_execnz .LBB1343_274
.LBB1343_57:
	s_or_b64 exec, exec, s[0:1]
                                        ; implicit-def: $vgpr16_vgpr17
	s_and_saveexec_b64 s[0:1], s[14:15]
	s_cbranch_execnz .LBB1343_275
.LBB1343_58:
	s_or_b64 exec, exec, s[0:1]
                                        ; implicit-def: $vgpr18_vgpr19
	s_and_saveexec_b64 s[0:1], s[16:17]
	s_cbranch_execnz .LBB1343_276
.LBB1343_59:
	s_or_b64 exec, exec, s[0:1]
                                        ; implicit-def: $vgpr22_vgpr23
	s_and_saveexec_b64 s[0:1], s[18:19]
	s_cbranch_execnz .LBB1343_277
.LBB1343_60:
	s_or_b64 exec, exec, s[0:1]
                                        ; implicit-def: $vgpr26_vgpr27
	s_and_saveexec_b64 s[0:1], s[20:21]
	s_cbranch_execnz .LBB1343_278
.LBB1343_61:
	s_or_b64 exec, exec, s[0:1]
                                        ; implicit-def: $vgpr30_vgpr31
	s_and_saveexec_b64 s[0:1], s[22:23]
	s_cbranch_execnz .LBB1343_279
.LBB1343_62:
	s_or_b64 exec, exec, s[0:1]
                                        ; implicit-def: $vgpr34_vgpr35
	s_and_saveexec_b64 s[0:1], s[24:25]
	s_cbranch_execnz .LBB1343_280
.LBB1343_63:
	s_or_b64 exec, exec, s[0:1]
                                        ; implicit-def: $vgpr38_vgpr39
	s_and_saveexec_b64 s[0:1], s[26:27]
	s_cbranch_execnz .LBB1343_281
.LBB1343_64:
	s_or_b64 exec, exec, s[0:1]
                                        ; implicit-def: $vgpr42_vgpr43
	s_and_saveexec_b64 s[0:1], s[28:29]
	s_cbranch_execnz .LBB1343_282
.LBB1343_65:
	s_or_b64 exec, exec, s[0:1]
                                        ; implicit-def: $vgpr46_vgpr47
	s_and_saveexec_b64 s[0:1], s[30:31]
	s_cbranch_execnz .LBB1343_283
.LBB1343_66:
	s_or_b64 exec, exec, s[0:1]
                                        ; implicit-def: $vgpr48_vgpr49
	s_and_saveexec_b64 s[0:1], s[34:35]
	s_cbranch_execnz .LBB1343_284
.LBB1343_67:
	s_or_b64 exec, exec, s[0:1]
                                        ; implicit-def: $vgpr50_vgpr51
	s_and_saveexec_b64 s[0:1], s[36:37]
	s_cbranch_execnz .LBB1343_285
.LBB1343_68:
	s_or_b64 exec, exec, s[0:1]
                                        ; implicit-def: $vgpr52_vgpr53
	s_and_saveexec_b64 s[0:1], s[38:39]
	s_cbranch_execnz .LBB1343_286
.LBB1343_69:
	s_or_b64 exec, exec, s[0:1]
                                        ; implicit-def: $vgpr54_vgpr55
	s_and_saveexec_b64 s[0:1], s[40:41]
	s_cbranch_execnz .LBB1343_287
.LBB1343_70:
	s_or_b64 exec, exec, s[0:1]
                                        ; implicit-def: $vgpr56_vgpr57
	s_and_saveexec_b64 s[0:1], s[42:43]
	s_cbranch_execnz .LBB1343_288
.LBB1343_71:
	s_or_b64 exec, exec, s[0:1]
                                        ; implicit-def: $vgpr58_vgpr59
	s_and_saveexec_b64 s[0:1], s[44:45]
	s_cbranch_execnz .LBB1343_289
.LBB1343_72:
	s_or_b64 exec, exec, s[0:1]
                                        ; implicit-def: $vgpr60_vgpr61
	s_and_saveexec_b64 s[0:1], s[46:47]
	s_cbranch_execnz .LBB1343_290
.LBB1343_73:
	s_or_b64 exec, exec, s[0:1]
                                        ; implicit-def: $vgpr62_vgpr63
	s_and_saveexec_b64 s[0:1], s[48:49]
	s_cbranch_execz .LBB1343_75
.LBB1343_74:
	v_lshlrev_b32_e32 v62, 3, v65
	v_mov_b32_e32 v63, 0
	v_lshl_add_u64 v[62:63], s[50:51], 0, v[62:63]
	flat_load_dwordx2 v[62:63], v[62:63]
.LBB1343_75:
	s_or_b64 exec, exec, s[0:1]
	v_lshl_add_u32 v69, v0, 2, v66
	v_mul_u32_u24_e32 v65, 21, v0
	s_waitcnt vmcnt(0) lgkmcnt(0)
	ds_write2st64_b64 v69, v[2:3], v[6:7] offset1:4
	ds_write2st64_b64 v69, v[10:11], v[14:15] offset0:8 offset1:12
	ds_write2st64_b64 v69, v[16:17], v[18:19] offset0:16 offset1:20
	;; [unrolled: 1-line block ×9, first 2 shown]
	ds_write_b64 v69, v[62:63] offset:40960
	v_mov_b64_e32 v[10:11], 0
	v_cmp_gt_u32_e32 vcc, s65, v65
	s_mov_b64 s[6:7], 0
	s_mov_b64 s[10:11], 0
	s_mov_b32 s64, 0
	v_mov_b32_e32 v128, 0
	v_mov_b32_e32 v122, 0
	v_mov_b32_e32 v127, 0
	v_mov_b32_e32 v126, 0
	v_mov_b32_e32 v125, 0
	v_mov_b64_e32 v[70:71], v[10:11]
	v_mov_b64_e32 v[78:79], v[10:11]
	;; [unrolled: 1-line block ×8, first 2 shown]
	v_mov_b32_e32 v124, 0
	v_mov_b64_e32 v[38:39], v[10:11]
	v_mov_b64_e32 v[50:51], v[10:11]
	;; [unrolled: 1-line block ×5, first 2 shown]
	v_mov_b32_e32 v123, 0
	v_mov_b64_e32 v[34:35], v[10:11]
	v_mov_b64_e32 v[18:19], v[10:11]
	;; [unrolled: 1-line block ×5, first 2 shown]
	v_mov_b32_e32 v1, 0
	v_mov_b64_e32 v[2:3], v[10:11]
	s_waitcnt lgkmcnt(0)
	s_barrier
	s_waitcnt lgkmcnt(0)
                                        ; implicit-def: $sgpr0_sgpr1
                                        ; implicit-def: $vgpr83
                                        ; implicit-def: $vgpr82
                                        ; implicit-def: $vgpr84
                                        ; implicit-def: $vgpr85
	s_and_saveexec_b64 s[12:13], vcc
	s_cbranch_execz .LBB1343_115
; %bb.76:
	s_movk_i32 s0, 0xa0
	v_mad_u32_u24 v2, v0, s0, v69
	ds_read_b64 v[2:3], v2
	v_cmp_ne_u32_e32 vcc, v68, v36
	v_add_u32_e32 v6, 1, v65
	v_mov_b64_e32 v[10:11], 0
	v_cndmask_b32_e64 v1, 0, 1, vcc
	v_cmp_gt_u32_e32 vcc, s65, v6
	s_mov_b64 s[18:19], 0
	v_mov_b32_e32 v128, 0
	v_mov_b32_e32 v122, 0
	;; [unrolled: 1-line block ×5, first 2 shown]
	v_mov_b64_e32 v[70:71], v[10:11]
	v_mov_b64_e32 v[78:79], v[10:11]
	;; [unrolled: 1-line block ×8, first 2 shown]
	v_mov_b32_e32 v124, 0
	v_mov_b64_e32 v[38:39], v[10:11]
	v_mov_b64_e32 v[50:51], v[10:11]
	;; [unrolled: 1-line block ×5, first 2 shown]
	v_mov_b32_e32 v123, 0
	v_mov_b64_e32 v[34:35], v[10:11]
	v_mov_b64_e32 v[18:19], v[10:11]
	;; [unrolled: 1-line block ×5, first 2 shown]
                                        ; implicit-def: $sgpr0_sgpr1
                                        ; implicit-def: $vgpr83
                                        ; implicit-def: $vgpr82
                                        ; implicit-def: $vgpr84
                                        ; implicit-def: $vgpr85
	s_and_saveexec_b64 s[14:15], vcc
	s_cbranch_execz .LBB1343_114
; %bb.77:
	v_mul_u32_u24_e32 v6, 0xa0, v0
	v_add_u32_e32 v48, v69, v6
	ds_read2_b64 v[14:17], v48 offset0:1 offset1:2
	v_cmp_ne_u32_e64 s[0:1], v36, v37
	v_add_u32_e32 v6, 2, v65
	v_mov_b64_e32 v[10:11], 0
	v_cmp_ne_u32_e32 vcc, v28, v29
	v_cmp_ne_u32_e64 s[6:7], v29, v32
	v_cmp_ne_u32_e64 s[8:9], v37, v28
	v_cndmask_b32_e64 v128, 0, 1, s[0:1]
	v_cmp_gt_u32_e64 s[0:1], s65, v6
	s_mov_b64 s[20:21], 0
	v_mov_b32_e32 v127, 0
	v_mov_b32_e32 v122, 0
	;; [unrolled: 1-line block ×4, first 2 shown]
	v_mov_b64_e32 v[70:71], v[10:11]
	v_mov_b64_e32 v[78:79], v[10:11]
	;; [unrolled: 1-line block ×8, first 2 shown]
	v_mov_b32_e32 v124, 0
	v_mov_b64_e32 v[38:39], v[10:11]
	v_mov_b64_e32 v[50:51], v[10:11]
	;; [unrolled: 1-line block ×5, first 2 shown]
	v_mov_b32_e32 v123, 0
	v_mov_b64_e32 v[34:35], v[10:11]
	v_mov_b64_e32 v[18:19], v[10:11]
	;; [unrolled: 1-line block ×4, first 2 shown]
                                        ; implicit-def: $sgpr22_sgpr23
                                        ; implicit-def: $vgpr83
                                        ; implicit-def: $vgpr82
                                        ; implicit-def: $vgpr84
                                        ; implicit-def: $vgpr85
	s_and_saveexec_b64 s[16:17], s[0:1]
	s_cbranch_execz .LBB1343_113
; %bb.78:
	v_cndmask_b32_e64 v6, 0, 1, s[8:9]
	v_cndmask_b32_e64 v7, 0, 1, s[6:7]
	v_lshlrev_b16_e32 v6, 8, v6
	v_lshlrev_b16_e32 v7, 8, v7
	v_cndmask_b32_e64 v10, 0, 1, vcc
	v_or_b32_e32 v6, v128, v6
	v_or_b32_sdwa v7, v10, v7 dst_sel:WORD_1 dst_unused:UNUSED_PAD src0_sel:DWORD src1_sel:DWORD
	v_add_u32_e32 v10, 3, v65
	v_or_b32_sdwa v83, v6, v7 dst_sel:DWORD dst_unused:UNUSED_PAD src0_sel:WORD_0 src1_sel:DWORD
	v_cmp_gt_u32_e32 vcc, s65, v10
	v_mov_b64_e32 v[10:11], 0
	v_and_b32_e32 v128, 0xffff, v83
	s_waitcnt lgkmcnt(0)
	v_mov_b32_e32 v6, v16
	v_mov_b32_e32 v7, v17
	s_mov_b64 s[0:1], 0
	v_mov_b32_e32 v127, 0
	v_mov_b32_e32 v122, 0
	;; [unrolled: 1-line block ×4, first 2 shown]
	v_mov_b64_e32 v[70:71], v[10:11]
	v_mov_b64_e32 v[78:79], v[10:11]
	;; [unrolled: 1-line block ×8, first 2 shown]
	v_mov_b32_e32 v124, 0
	v_mov_b64_e32 v[38:39], v[10:11]
	v_mov_b64_e32 v[50:51], v[10:11]
	;; [unrolled: 1-line block ×5, first 2 shown]
	v_mov_b32_e32 v123, 0
	v_mov_b64_e32 v[34:35], v[10:11]
	v_mov_b64_e32 v[18:19], v[10:11]
	;; [unrolled: 1-line block ×3, first 2 shown]
                                        ; implicit-def: $sgpr6_sgpr7
                                        ; implicit-def: $vgpr82
                                        ; implicit-def: $vgpr84
                                        ; implicit-def: $vgpr85
	s_and_saveexec_b64 s[18:19], vcc
	s_cbranch_execz .LBB1343_112
; %bb.79:
	ds_read2_b64 v[26:29], v48 offset0:3 offset1:4
	v_add_u32_e32 v10, 4, v65
	v_cmp_gt_u32_e32 vcc, s65, v10
	v_mov_b64_e32 v[10:11], 0
	v_and_b32_e32 v128, 0xffffff, v83
	s_mov_b64 s[6:7], 0
	v_mov_b32_e32 v127, 0
	v_mov_b32_e32 v122, 0
	;; [unrolled: 1-line block ×4, first 2 shown]
	v_mov_b64_e32 v[70:71], v[10:11]
	v_mov_b64_e32 v[78:79], v[10:11]
	;; [unrolled: 1-line block ×8, first 2 shown]
	v_mov_b32_e32 v124, 0
	v_mov_b64_e32 v[38:39], v[10:11]
	v_mov_b64_e32 v[50:51], v[10:11]
	;; [unrolled: 1-line block ×5, first 2 shown]
	v_mov_b32_e32 v123, 0
	v_mov_b64_e32 v[34:35], v[10:11]
	v_mov_b64_e32 v[18:19], v[10:11]
                                        ; implicit-def: $sgpr8_sgpr9
                                        ; implicit-def: $vgpr82
                                        ; implicit-def: $vgpr84
                                        ; implicit-def: $vgpr85
	s_and_saveexec_b64 s[20:21], vcc
	s_cbranch_execz .LBB1343_111
; %bb.80:
	v_add_u32_e32 v10, 5, v65
	v_cmp_gt_u32_e32 vcc, s65, v10
	v_mov_b64_e32 v[10:11], 0
	s_waitcnt lgkmcnt(0)
	v_mov_b32_e32 v18, v28
	v_mov_b32_e32 v19, v29
	;; [unrolled: 1-line block ×6, first 2 shown]
	v_mov_b64_e32 v[70:71], v[10:11]
	v_mov_b64_e32 v[78:79], v[10:11]
	;; [unrolled: 1-line block ×8, first 2 shown]
	v_mov_b32_e32 v124, 0
	v_mov_b64_e32 v[38:39], v[10:11]
	v_mov_b64_e32 v[50:51], v[10:11]
	;; [unrolled: 1-line block ×5, first 2 shown]
	v_mov_b32_e32 v123, 0
	v_mov_b64_e32 v[34:35], v[10:11]
                                        ; implicit-def: $sgpr8_sgpr9
                                        ; implicit-def: $vgpr82
                                        ; implicit-def: $vgpr84
                                        ; implicit-def: $vgpr85
	s_and_saveexec_b64 s[22:23], vcc
	s_cbranch_execz .LBB1343_110
; %bb.81:
	ds_read2_b64 v[34:37], v48 offset0:5 offset1:6
	v_cmp_ne_u32_e32 vcc, v32, v44
	v_add_u32_e32 v10, 6, v65
	s_mov_b64 s[28:29], 0
	v_cndmask_b32_e64 v123, 0, 1, vcc
	v_cmp_gt_u32_e32 vcc, s65, v10
	v_mov_b64_e32 v[10:11], 0
	v_mov_b32_e32 v127, 0
	v_mov_b32_e32 v122, 0
	;; [unrolled: 1-line block ×4, first 2 shown]
	v_mov_b64_e32 v[70:71], v[10:11]
	v_mov_b64_e32 v[78:79], v[10:11]
	v_mov_b64_e32 v[62:63], v[10:11]
	v_mov_b64_e32 v[74:75], v[10:11]
	v_mov_b64_e32 v[54:55], v[10:11]
	v_mov_b64_e32 v[66:67], v[10:11]
	v_mov_b64_e32 v[46:47], v[10:11]
	v_mov_b64_e32 v[58:59], v[10:11]
	v_mov_b32_e32 v124, 0
	v_mov_b64_e32 v[38:39], v[10:11]
	v_mov_b64_e32 v[50:51], v[10:11]
	;; [unrolled: 1-line block ×5, first 2 shown]
                                        ; implicit-def: $sgpr6_sgpr7
                                        ; implicit-def: $vgpr82
                                        ; implicit-def: $vgpr84
                                        ; implicit-def: $vgpr85
	s_and_saveexec_b64 s[24:25], vcc
	s_cbranch_execz .LBB1343_109
; %bb.82:
	v_cmp_ne_u32_e64 s[0:1], v44, v45
	v_add_u32_e32 v10, 7, v65
	s_waitcnt lgkmcnt(0)
	v_mov_b32_e32 v22, v36
	v_cndmask_b32_e64 v127, 0, 1, s[0:1]
	v_cmp_gt_u32_e64 s[0:1], s65, v10
	v_mov_b64_e32 v[10:11], 0
	v_mov_b32_e32 v23, v37
	v_cmp_ne_u32_e32 vcc, v40, v41
	v_cmp_ne_u32_e64 s[6:7], v41, v33
	v_cmp_ne_u32_e64 s[8:9], v45, v40
	s_mov_b64 s[30:31], 0
	v_mov_b32_e32 v126, 0
	v_mov_b32_e32 v122, 0
	;; [unrolled: 1-line block ×3, first 2 shown]
	v_mov_b64_e32 v[70:71], v[10:11]
	v_mov_b64_e32 v[78:79], v[10:11]
	;; [unrolled: 1-line block ×8, first 2 shown]
	v_mov_b32_e32 v124, 0
	v_mov_b64_e32 v[38:39], v[10:11]
	v_mov_b64_e32 v[50:51], v[10:11]
	;; [unrolled: 1-line block ×4, first 2 shown]
                                        ; implicit-def: $sgpr34_sgpr35
                                        ; implicit-def: $vgpr82
                                        ; implicit-def: $vgpr84
                                        ; implicit-def: $vgpr85
	s_and_saveexec_b64 s[26:27], s[0:1]
	s_cbranch_execz .LBB1343_108
; %bb.83:
	v_cndmask_b32_e64 v10, 0, 1, s[8:9]
	v_cndmask_b32_e64 v11, 0, 1, s[6:7]
	v_lshlrev_b16_e32 v10, 8, v10
	v_lshlrev_b16_e32 v11, 8, v11
	v_cndmask_b32_e64 v16, 0, 1, vcc
	ds_read2_b64 v[42:45], v48 offset0:7 offset1:8
	v_or_b32_e32 v10, v127, v10
	v_or_b32_sdwa v11, v16, v11 dst_sel:WORD_1 dst_unused:UNUSED_PAD src0_sel:DWORD src1_sel:DWORD
	s_mov_b64 s[0:1], 0
	v_or_b32_sdwa v82, v10, v11 dst_sel:DWORD dst_unused:UNUSED_PAD src0_sel:WORD_0 src1_sel:DWORD
	v_add_u32_e32 v10, 8, v65
	v_cmp_gt_u32_e32 vcc, s65, v10
	v_mov_b64_e32 v[10:11], 0
	v_and_b32_e32 v127, 0xffff, v82
	v_mov_b32_e32 v126, 0
	v_mov_b32_e32 v122, 0
	;; [unrolled: 1-line block ×3, first 2 shown]
	v_mov_b64_e32 v[70:71], v[10:11]
	v_mov_b64_e32 v[78:79], v[10:11]
	;; [unrolled: 1-line block ×8, first 2 shown]
	v_mov_b32_e32 v124, 0
	v_mov_b64_e32 v[38:39], v[10:11]
	v_mov_b64_e32 v[50:51], v[10:11]
	;; [unrolled: 1-line block ×3, first 2 shown]
                                        ; implicit-def: $sgpr6_sgpr7
                                        ; implicit-def: $vgpr84
                                        ; implicit-def: $vgpr85
	s_and_saveexec_b64 s[28:29], vcc
	s_cbranch_execz .LBB1343_107
; %bb.84:
	v_add_u32_e32 v10, 9, v65
	v_cmp_gt_u32_e32 vcc, s65, v10
	v_mov_b64_e32 v[10:11], 0
	s_waitcnt lgkmcnt(0)
	v_mov_b32_e32 v30, v44
	v_mov_b32_e32 v31, v45
	v_and_b32_e32 v127, 0xffffff, v82
	s_mov_b64 s[6:7], 0
	v_mov_b32_e32 v126, 0
	v_mov_b32_e32 v122, 0
	;; [unrolled: 1-line block ×3, first 2 shown]
	v_mov_b64_e32 v[70:71], v[10:11]
	v_mov_b64_e32 v[78:79], v[10:11]
	;; [unrolled: 1-line block ×8, first 2 shown]
	v_mov_b32_e32 v124, 0
	v_mov_b64_e32 v[38:39], v[10:11]
	v_mov_b64_e32 v[50:51], v[10:11]
                                        ; implicit-def: $sgpr8_sgpr9
                                        ; implicit-def: $vgpr84
                                        ; implicit-def: $vgpr85
	s_and_saveexec_b64 s[30:31], vcc
	s_cbranch_execz .LBB1343_106
; %bb.85:
	ds_read2_b64 v[50:53], v48 offset0:9 offset1:10
	v_add_u32_e32 v10, 10, v65
	v_cmp_gt_u32_e32 vcc, s65, v10
	v_mov_b64_e32 v[10:11], 0
	v_mov_b32_e32 v126, 0
	v_mov_b32_e32 v122, 0
	;; [unrolled: 1-line block ×3, first 2 shown]
	v_mov_b64_e32 v[70:71], v[10:11]
	v_mov_b64_e32 v[78:79], v[10:11]
	;; [unrolled: 1-line block ×8, first 2 shown]
	v_mov_b32_e32 v124, 0
	v_mov_b64_e32 v[38:39], v[10:11]
                                        ; implicit-def: $sgpr8_sgpr9
                                        ; implicit-def: $vgpr84
                                        ; implicit-def: $vgpr85
	s_and_saveexec_b64 s[34:35], vcc
	s_cbranch_execz .LBB1343_105
; %bb.86:
	v_cmp_ne_u32_e32 vcc, v33, v24
	v_add_u32_e32 v10, 11, v65
	s_waitcnt lgkmcnt(0)
	v_mov_b32_e32 v38, v52
	v_cndmask_b32_e64 v124, 0, 1, vcc
	v_cmp_gt_u32_e32 vcc, s65, v10
	v_mov_b64_e32 v[10:11], 0
	v_mov_b32_e32 v39, v53
	s_mov_b64 s[40:41], 0
	v_mov_b32_e32 v126, 0
	v_mov_b32_e32 v122, 0
	v_mov_b32_e32 v125, 0
	v_mov_b64_e32 v[70:71], v[10:11]
	v_mov_b64_e32 v[78:79], v[10:11]
	;; [unrolled: 1-line block ×8, first 2 shown]
                                        ; implicit-def: $sgpr6_sgpr7
                                        ; implicit-def: $vgpr84
                                        ; implicit-def: $vgpr85
	s_and_saveexec_b64 s[36:37], vcc
	s_cbranch_execz .LBB1343_104
; %bb.87:
	ds_read2_b64 v[58:61], v48 offset0:11 offset1:12
	v_cmp_ne_u32_e64 s[0:1], v24, v25
	v_add_u32_e32 v10, 12, v65
	v_cmp_ne_u32_e32 vcc, v20, v21
	v_cndmask_b32_e64 v126, 0, 1, s[0:1]
	v_cmp_gt_u32_e64 s[0:1], s65, v10
	v_mov_b64_e32 v[10:11], 0
	v_cmp_ne_u32_e64 s[6:7], v21, v64
	v_cmp_ne_u32_e64 s[8:9], v25, v20
	s_mov_b64 s[42:43], 0
	v_mov_b32_e32 v125, 0
	v_mov_b32_e32 v122, 0
	v_mov_b64_e32 v[70:71], v[10:11]
	v_mov_b64_e32 v[78:79], v[10:11]
	;; [unrolled: 1-line block ×7, first 2 shown]
                                        ; implicit-def: $sgpr44_sgpr45
                                        ; implicit-def: $vgpr84
                                        ; implicit-def: $vgpr85
	s_and_saveexec_b64 s[38:39], s[0:1]
	s_cbranch_execz .LBB1343_103
; %bb.88:
	v_cndmask_b32_e64 v10, 0, 1, s[8:9]
	v_cndmask_b32_e64 v11, 0, 1, s[6:7]
	v_lshlrev_b16_e32 v10, 8, v10
	v_lshlrev_b16_e32 v11, 8, v11
	v_cndmask_b32_e64 v16, 0, 1, vcc
	v_or_b32_e32 v10, v126, v10
	v_or_b32_sdwa v11, v16, v11 dst_sel:WORD_1 dst_unused:UNUSED_PAD src0_sel:DWORD src1_sel:DWORD
	s_waitcnt lgkmcnt(0)
	v_mov_b32_e32 v46, v60
	v_or_b32_sdwa v84, v10, v11 dst_sel:DWORD dst_unused:UNUSED_PAD src0_sel:WORD_0 src1_sel:DWORD
	v_add_u32_e32 v10, 13, v65
	v_cmp_gt_u32_e32 vcc, s65, v10
	v_mov_b64_e32 v[10:11], 0
	v_and_b32_e32 v126, 0xffff, v84
	v_mov_b32_e32 v47, v61
	s_mov_b64 s[0:1], 0
	v_mov_b32_e32 v125, 0
	v_mov_b32_e32 v122, 0
	v_mov_b64_e32 v[70:71], v[10:11]
	v_mov_b64_e32 v[78:79], v[10:11]
	;; [unrolled: 1-line block ×6, first 2 shown]
                                        ; implicit-def: $sgpr6_sgpr7
                                        ; implicit-def: $vgpr85
	s_and_saveexec_b64 s[40:41], vcc
	s_cbranch_execz .LBB1343_102
; %bb.89:
	ds_read2_b64 v[66:69], v48 offset0:13 offset1:14
	v_add_u32_e32 v10, 14, v65
	v_cmp_gt_u32_e32 vcc, s65, v10
	v_mov_b64_e32 v[10:11], 0
	s_mov_b64 s[72:73], s[60:61]
	s_mov_b64 s[70:71], s[66:67]
	s_mov_b64 s[66:67], s[62:63]
	v_and_b32_e32 v126, 0xffffff, v84
	s_mov_b64 s[6:7], 0
	v_mov_b32_e32 v125, 0
	v_mov_b32_e32 v122, 0
	v_mov_b64_e32 v[70:71], v[10:11]
	v_mov_b64_e32 v[78:79], v[10:11]
	;; [unrolled: 1-line block ×5, first 2 shown]
                                        ; implicit-def: $sgpr8_sgpr9
                                        ; implicit-def: $vgpr85
	s_and_saveexec_b64 s[42:43], vcc
	s_cbranch_execz .LBB1343_101
; %bb.90:
	v_add_u32_e32 v10, 15, v65
	v_cmp_gt_u32_e32 vcc, s65, v10
	v_mov_b64_e32 v[10:11], 0
	s_waitcnt lgkmcnt(0)
	v_mov_b32_e32 v54, v68
	v_mov_b32_e32 v55, v69
	v_mov_b32_e32 v125, 0
	v_mov_b32_e32 v122, 0
	v_mov_b64_e32 v[70:71], v[10:11]
	v_mov_b64_e32 v[78:79], v[10:11]
	v_mov_b64_e32 v[62:63], v[10:11]
	v_mov_b64_e32 v[74:75], v[10:11]
                                        ; implicit-def: $sgpr8_sgpr9
                                        ; implicit-def: $vgpr85
	s_and_saveexec_b64 s[44:45], vcc
	s_cbranch_execz .LBB1343_100
; %bb.91:
	ds_read2_b64 v[74:77], v48 offset0:15 offset1:16
	v_cmp_ne_u32_e32 vcc, v64, v8
	v_add_u32_e32 v10, 16, v65
	s_mov_b64 s[58:59], 0
	v_cndmask_b32_e64 v122, 0, 1, vcc
	v_cmp_gt_u32_e32 vcc, s65, v10
	v_mov_b64_e32 v[10:11], 0
	v_mov_b32_e32 v125, 0
	v_mov_b64_e32 v[70:71], v[10:11]
	v_mov_b64_e32 v[78:79], v[10:11]
	;; [unrolled: 1-line block ×3, first 2 shown]
                                        ; implicit-def: $sgpr6_sgpr7
                                        ; implicit-def: $vgpr85
	s_and_saveexec_b64 s[46:47], vcc
	s_cbranch_execz .LBB1343_99
; %bb.92:
	v_cmp_ne_u32_e64 s[0:1], v8, v9
	v_add_u32_e32 v8, 17, v65
	v_mov_b64_e32 v[10:11], 0
	s_waitcnt lgkmcnt(0)
	v_mov_b32_e32 v62, v76
	v_mov_b32_e32 v63, v77
	v_cmp_ne_u32_e32 vcc, v12, v13
	v_cmp_ne_u32_e64 s[6:7], v13, v4
	v_cmp_ne_u32_e64 s[8:9], v9, v12
	v_cndmask_b32_e64 v125, 0, 1, s[0:1]
	v_cmp_gt_u32_e64 s[0:1], s65, v8
	s_mov_b64 s[60:61], 0
	v_mov_b64_e32 v[70:71], v[10:11]
	v_mov_b64_e32 v[78:79], v[10:11]
                                        ; implicit-def: $sgpr62_sgpr63
                                        ; implicit-def: $vgpr85
	s_and_saveexec_b64 s[48:49], s[0:1]
	s_cbranch_execz .LBB1343_98
; %bb.93:
	v_cndmask_b32_e64 v8, 0, 1, s[8:9]
	v_cndmask_b32_e64 v9, 0, 1, s[6:7]
	ds_read2_b64 v[78:81], v48 offset0:17 offset1:18
	v_lshlrev_b16_e32 v8, 8, v8
	v_lshlrev_b16_e32 v9, 8, v9
	v_cndmask_b32_e64 v10, 0, 1, vcc
	v_or_b32_e32 v8, v125, v8
	v_or_b32_sdwa v9, v10, v9 dst_sel:WORD_1 dst_unused:UNUSED_PAD src0_sel:DWORD src1_sel:DWORD
	v_mov_b64_e32 v[10:11], 0
	v_or_b32_sdwa v85, v8, v9 dst_sel:DWORD dst_unused:UNUSED_PAD src0_sel:WORD_0 src1_sel:DWORD
	v_add_u32_e32 v8, 18, v65
	v_and_b32_e32 v125, 0xffff, v85
	v_cmp_gt_u32_e32 vcc, s65, v8
	s_mov_b64 s[0:1], 0
	v_mov_b64_e32 v[70:71], v[10:11]
                                        ; implicit-def: $sgpr8_sgpr9
	s_and_saveexec_b64 s[6:7], vcc
	s_cbranch_execz .LBB1343_97
; %bb.94:
	v_add_u32_e32 v8, 19, v65
	s_waitcnt lgkmcnt(0)
	v_mov_b32_e32 v70, v80
	v_mov_b32_e32 v71, v81
	v_cmp_gt_u32_e32 vcc, s65, v8
	v_and_b32_e32 v125, 0xffffff, v85
	v_mov_b64_e32 v[10:11], 0
                                        ; implicit-def: $sgpr8_sgpr9
	s_and_saveexec_b64 s[58:59], vcc
	s_xor_b64 s[58:59], exec, s[58:59]
	s_cbranch_execz .LBB1343_96
; %bb.95:
	ds_read2_b64 v[10:13], v48 offset0:19 offset1:20
	v_cmp_ne_u32_e32 vcc, v4, v5
	v_add_u32_e32 v4, 20, v65
	v_cmp_gt_u32_e64 s[0:1], s65, v4
	s_and_b64 s[8:9], vcc, exec
	s_and_b64 s[0:1], s[0:1], exec
	s_waitcnt lgkmcnt(0)
	v_mov_b64_e32 v[72:73], v[10:11]
	v_mov_b32_e32 v125, v85
.LBB1343_96:
	s_or_b64 exec, exec, s[58:59]
	s_and_b64 s[8:9], s[8:9], exec
	s_and_b64 s[60:61], s[0:1], exec
.LBB1343_97:
	s_or_b64 exec, exec, s[6:7]
	s_and_b64 s[62:63], s[8:9], exec
	s_and_b64 s[58:59], s[60:61], exec
	s_waitcnt lgkmcnt(0)
	v_mov_b64_e32 v[64:65], v[78:79]
	v_mov_b64_e32 v[56:57], v[74:75]
	;; [unrolled: 1-line block ×9, first 2 shown]
.LBB1343_98:
	s_or_b64 exec, exec, s[48:49]
	s_and_b64 s[6:7], s[62:63], exec
	s_and_b64 s[0:1], s[58:59], exec
.LBB1343_99:
	s_or_b64 exec, exec, s[46:47]
	s_and_b64 s[8:9], s[6:7], exec
	s_and_b64 s[6:7], s[0:1], exec
.LBB1343_100:
	s_or_b64 exec, exec, s[44:45]
	s_and_b64 s[8:9], s[8:9], exec
	s_and_b64 s[0:1], s[6:7], exec
	v_mov_b32_e32 v126, v84
.LBB1343_101:
	s_or_b64 exec, exec, s[42:43]
	s_and_b64 s[6:7], s[8:9], exec
	s_and_b64 s[42:43], s[0:1], exec
	s_mov_b64 s[62:63], s[66:67]
	s_mov_b64 s[66:67], s[70:71]
	;; [unrolled: 1-line block ×3, first 2 shown]
.LBB1343_102:
	s_or_b64 exec, exec, s[40:41]
	s_and_b64 s[44:45], s[6:7], exec
	s_and_b64 s[40:41], s[42:43], exec
.LBB1343_103:
	s_or_b64 exec, exec, s[38:39]
	s_and_b64 s[6:7], s[44:45], exec
	s_and_b64 s[0:1], s[40:41], exec
.LBB1343_104:
	s_or_b64 exec, exec, s[36:37]
	s_and_b64 s[8:9], s[6:7], exec
	s_and_b64 s[6:7], s[0:1], exec
.LBB1343_105:
	s_or_b64 exec, exec, s[34:35]
	s_and_b64 s[8:9], s[8:9], exec
	s_and_b64 s[0:1], s[6:7], exec
	v_mov_b32_e32 v127, v82
.LBB1343_106:
	s_or_b64 exec, exec, s[30:31]
	s_and_b64 s[6:7], s[8:9], exec
	s_and_b64 s[30:31], s[0:1], exec
.LBB1343_107:
	s_or_b64 exec, exec, s[28:29]
	s_and_b64 s[34:35], s[6:7], exec
	s_and_b64 s[28:29], s[30:31], exec
.LBB1343_108:
	s_or_b64 exec, exec, s[26:27]
	s_and_b64 s[6:7], s[34:35], exec
	s_and_b64 s[0:1], s[28:29], exec
.LBB1343_109:
	s_or_b64 exec, exec, s[24:25]
	s_and_b64 s[8:9], s[6:7], exec
	s_and_b64 s[6:7], s[0:1], exec
.LBB1343_110:
	s_or_b64 exec, exec, s[22:23]
	s_and_b64 s[8:9], s[8:9], exec
	s_and_b64 s[0:1], s[6:7], exec
	v_mov_b32_e32 v128, v83
.LBB1343_111:
	s_or_b64 exec, exec, s[20:21]
	s_and_b64 s[6:7], s[8:9], exec
	s_and_b64 s[20:21], s[0:1], exec
.LBB1343_112:
	s_or_b64 exec, exec, s[18:19]
	s_and_b64 s[22:23], s[6:7], exec
	s_and_b64 s[18:19], s[20:21], exec
.LBB1343_113:
	s_or_b64 exec, exec, s[16:17]
	s_and_b64 s[0:1], s[22:23], exec
	s_and_b64 s[6:7], s[18:19], exec
.LBB1343_114:
	s_or_b64 exec, exec, s[14:15]
	s_and_b64 s[0:1], s[0:1], exec
	s_and_b64 s[6:7], s[6:7], exec
.LBB1343_115:
	s_or_b64 exec, exec, s[12:13]
	s_mov_b64 s[8:9], 0
	s_and_b64 vcc, exec, s[10:11]
	s_cbranch_vccnz .LBB1343_117
	s_branch .LBB1343_125
.LBB1343_116:
                                        ; implicit-def: $sgpr0_sgpr1
                                        ; implicit-def: $vgpr83
                                        ; implicit-def: $vgpr82
                                        ; implicit-def: $vgpr84
                                        ; implicit-def: $vgpr85
                                        ; implicit-def: $vgpr12_vgpr13
                                        ; implicit-def: $vgpr72_vgpr73
                                        ; implicit-def: $vgpr64_vgpr65
                                        ; implicit-def: $vgpr122
                                        ; implicit-def: $vgpr56_vgpr57
                                        ; implicit-def: $vgpr48_vgpr49
                                        ; implicit-def: $vgpr40_vgpr41
                                        ; implicit-def: $vgpr124
                                        ; implicit-def: $vgpr32_vgpr33
                                        ; implicit-def: $vgpr24_vgpr25
                                        ; implicit-def: $vgpr123
                                        ; implicit-def: $vgpr20_vgpr21
                                        ; implicit-def: $vgpr8_vgpr9
                                        ; implicit-def: $vgpr4_vgpr5
                                        ; implicit-def: $vgpr1
                                        ; implicit-def: $vgpr128
                                        ; implicit-def: $vgpr127
                                        ; implicit-def: $vgpr126
                                        ; implicit-def: $vgpr125
                                        ; implicit-def: $sgpr64
                                        ; implicit-def: $sgpr8_sgpr9
                                        ; implicit-def: $vgpr78_vgpr79
                                        ; implicit-def: $vgpr74_vgpr75
                                        ; implicit-def: $vgpr66_vgpr67
                                        ; implicit-def: $vgpr58_vgpr59
                                        ; implicit-def: $vgpr50_vgpr51
                                        ; implicit-def: $vgpr42_vgpr43
                                        ; implicit-def: $vgpr34_vgpr35
                                        ; implicit-def: $vgpr26_vgpr27
                                        ; implicit-def: $vgpr14_vgpr15
	s_and_b64 vcc, exec, s[10:11]
	s_cbranch_vccz .LBB1343_125
.LBB1343_117:
	s_waitcnt lgkmcnt(0)
	v_mov_b32_e32 v3, 0
	v_lshlrev_b32_e32 v2, 2, v0
	v_lshl_add_u64 v[4:5], s[52:53], 0, v[2:3]
	v_add_co_u32_e32 v6, vcc, 0x1000, v4
	s_movk_i32 s0, 0x50
	s_nop 0
	v_addc_co_u32_e32 v7, vcc, 0, v5, vcc
	flat_load_dword v1, v[4:5]
	flat_load_dword v3, v[4:5] offset:1024
	flat_load_dword v10, v[4:5] offset:2048
	;; [unrolled: 1-line block ×3, first 2 shown]
	flat_load_dword v12, v[6:7]
	flat_load_dword v13, v[6:7] offset:1024
	flat_load_dword v14, v[6:7] offset:2048
	;; [unrolled: 1-line block ×3, first 2 shown]
	v_add_co_u32_e32 v6, vcc, 0x2000, v4
	v_mad_u32_u24 v23, v0, s0, v2
	s_nop 0
	v_addc_co_u32_e32 v7, vcc, 0, v5, vcc
	v_add_co_u32_e32 v8, vcc, 0x3000, v4
	s_cmp_eq_u64 s[56:57], 0
	s_nop 0
	v_addc_co_u32_e32 v9, vcc, 0, v5, vcc
	flat_load_dword v16, v[6:7]
	flat_load_dword v17, v[6:7] offset:1024
	flat_load_dword v18, v[6:7] offset:2048
	;; [unrolled: 1-line block ×3, first 2 shown]
	flat_load_dword v20, v[8:9]
	flat_load_dword v21, v[8:9] offset:1024
	flat_load_dword v22, v[8:9] offset:2048
	;; [unrolled: 1-line block ×3, first 2 shown]
	v_add_co_u32_e32 v6, vcc, 0x4000, v4
	s_nop 1
	v_addc_co_u32_e32 v7, vcc, 0, v5, vcc
	v_add_co_u32_e32 v4, vcc, 0x5000, v4
	s_nop 1
	v_addc_co_u32_e32 v5, vcc, 0, v5, vcc
	flat_load_dword v8, v[6:7]
	flat_load_dword v9, v[6:7] offset:1024
	flat_load_dword v25, v[6:7] offset:2048
	;; [unrolled: 1-line block ×3, first 2 shown]
	flat_load_dword v27, v[4:5]
	s_waitcnt vmcnt(0) lgkmcnt(0)
	ds_write2st64_b32 v2, v1, v3 offset1:4
	ds_write2st64_b32 v2, v10, v11 offset0:8 offset1:12
	ds_write2st64_b32 v2, v12, v13 offset0:16 offset1:20
	;; [unrolled: 1-line block ×9, first 2 shown]
	ds_write_b32 v2, v27 offset:20480
	s_waitcnt lgkmcnt(0)
	s_barrier
	ds_read2_b32 v[8:9], v23 offset0:7 offset1:8
	ds_read2_b32 v[6:7], v23 offset0:5 offset1:6
	;; [unrolled: 1-line block ×3, first 2 shown]
	ds_read2_b32 v[10:11], v23 offset1:1
	ds_read2_b32 v[4:5], v23 offset0:4 offset1:9
	ds_read2_b32 v[16:17], v23 offset0:15 offset1:16
	ds_read_b32 v22, v23 offset:56
	ds_read2_b32 v[14:15], v23 offset0:12 offset1:13
	ds_read2_b32 v[12:13], v23 offset0:10 offset1:11
	;; [unrolled: 1-line block ×4, first 2 shown]
	s_cbranch_scc1 .LBB1343_122
; %bb.118:
	s_andn2_b64 vcc, exec, s[54:55]
	s_cbranch_vccnz .LBB1343_292
; %bb.119:
	s_lshl_b64 s[0:1], s[56:57], 2
	s_add_u32 s0, s66, s0
	s_addc_u32 s1, s67, s1
	s_add_u32 s0, s0, -4
	s_addc_u32 s1, s1, -1
	s_cbranch_execnz .LBB1343_121
.LBB1343_120:
	s_add_u32 s0, s52, -4
	s_addc_u32 s1, s53, -1
.LBB1343_121:
	s_mov_b64 s[52:53], s[0:1]
.LBB1343_122:
	v_mov_b64_e32 v[24:25], s[52:53]
	flat_load_dword v1, v[24:25]
	s_movk_i32 s0, 0xffb0
	v_mad_i32_i24 v23, v0, s0, v23
	s_waitcnt lgkmcnt(0)
	ds_write_b32 v23, v21 offset:21504
	s_waitcnt lgkmcnt(0)
	s_barrier
	s_and_saveexec_b64 s[0:1], s[4:5]
	s_cbranch_execz .LBB1343_124
; %bb.123:
	s_waitcnt vmcnt(0)
	ds_read_b32 v1, v23 offset:21500
.LBB1343_124:
	s_or_b64 exec, exec, s[0:1]
	v_lshlrev_b32_e32 v24, 3, v0
	v_mov_b32_e32 v25, 0
	v_lshl_add_u64 v[24:25], s[50:51], 0, v[24:25]
	s_movk_i32 s0, 0x1000
	v_add_co_u32_e32 v26, vcc, s0, v24
	s_movk_i32 s0, 0x2000
	s_nop 0
	v_addc_co_u32_e32 v27, vcc, 0, v25, vcc
	s_waitcnt lgkmcnt(0)
	s_barrier
	flat_load_dwordx2 v[28:29], v[24:25]
	flat_load_dwordx2 v[30:31], v[24:25] offset:2048
	flat_load_dwordx2 v[32:33], v[26:27]
	flat_load_dwordx2 v[34:35], v[26:27] offset:2048
	v_add_co_u32_e32 v26, vcc, s0, v24
	s_movk_i32 s0, 0x3000
	s_nop 0
	v_addc_co_u32_e32 v27, vcc, 0, v25, vcc
	v_add_co_u32_e32 v36, vcc, s0, v24
	s_movk_i32 s0, 0x4000
	s_nop 0
	v_addc_co_u32_e32 v37, vcc, 0, v25, vcc
	flat_load_dwordx2 v[38:39], v[26:27]
	flat_load_dwordx2 v[40:41], v[26:27] offset:2048
	flat_load_dwordx2 v[42:43], v[36:37]
	flat_load_dwordx2 v[44:45], v[36:37] offset:2048
	v_add_co_u32_e32 v26, vcc, s0, v24
	s_movk_i32 s0, 0x5000
	s_nop 0
	v_addc_co_u32_e32 v27, vcc, 0, v25, vcc
	v_add_co_u32_e32 v36, vcc, s0, v24
	s_movk_i32 s0, 0x6000
	s_nop 0
	v_addc_co_u32_e32 v37, vcc, 0, v25, vcc
	flat_load_dwordx2 v[46:47], v[26:27]
	flat_load_dwordx2 v[48:49], v[26:27] offset:2048
	flat_load_dwordx2 v[50:51], v[36:37]
	flat_load_dwordx2 v[52:53], v[36:37] offset:2048
	v_add_co_u32_e32 v26, vcc, s0, v24
	s_movk_i32 s0, 0x7000
	s_nop 0
	v_addc_co_u32_e32 v27, vcc, 0, v25, vcc
	v_add_co_u32_e32 v36, vcc, s0, v24
	s_mov_b32 s0, 0x8000
	s_nop 0
	v_addc_co_u32_e32 v37, vcc, 0, v25, vcc
	flat_load_dwordx2 v[54:55], v[26:27]
	flat_load_dwordx2 v[56:57], v[26:27] offset:2048
	flat_load_dwordx2 v[58:59], v[36:37]
	flat_load_dwordx2 v[60:61], v[36:37] offset:2048
	v_add_co_u32_e32 v26, vcc, s0, v24
	s_mov_b32 s0, 0x9000
	s_nop 0
	v_addc_co_u32_e32 v27, vcc, 0, v25, vcc
	v_add_co_u32_e32 v36, vcc, s0, v24
	s_mov_b32 s0, 0xa000
	s_nop 0
	v_addc_co_u32_e32 v37, vcc, 0, v25, vcc
	flat_load_dwordx2 v[62:63], v[26:27]
	flat_load_dwordx2 v[64:65], v[26:27] offset:2048
	flat_load_dwordx2 v[66:67], v[36:37]
	flat_load_dwordx2 v[68:69], v[36:37] offset:2048
	v_add_co_u32_e32 v24, vcc, s0, v24
	v_cmp_ne_u32_e64 s[0:1], v20, v21
	s_nop 0
	v_addc_co_u32_e32 v25, vcc, 0, v25, vcc
	flat_load_dwordx2 v[24:25], v[24:25]
	v_cmp_ne_u32_e32 vcc, v17, v18
	s_movk_i32 s6, 0xa0
                                        ; implicit-def: $vgpr128
                                        ; implicit-def: $vgpr127
                                        ; implicit-def: $vgpr126
                                        ; implicit-def: $vgpr125
                                        ; implicit-def: $sgpr64
                                        ; implicit-def: $sgpr8_sgpr9
                                        ; implicit-def: $vgpr78_vgpr79
                                        ; implicit-def: $vgpr74_vgpr75
                                        ; implicit-def: $vgpr26_vgpr27
	s_nop 0
	v_cndmask_b32_e64 v21, 0, 1, vcc
	v_cmp_ne_u32_e32 vcc, v16, v17
	v_lshlrev_b16_e32 v21, 8, v21
	s_nop 0
	v_cndmask_b32_e64 v17, 0, 1, vcc
	v_cmp_ne_u32_e32 vcc, v19, v20
	v_or_b32_e32 v17, v17, v21
	s_nop 0
	v_cndmask_b32_e64 v20, 0, 1, vcc
	v_cmp_ne_u32_e32 vcc, v18, v19
	v_lshlrev_b16_e32 v20, 8, v20
	s_nop 0
	v_cndmask_b32_e64 v18, 0, 1, vcc
	v_cmp_ne_u32_e32 vcc, v22, v16
	v_or_b32_sdwa v18, v18, v20 dst_sel:WORD_1 dst_unused:UNUSED_PAD src0_sel:DWORD src1_sel:DWORD
	s_nop 0
	v_cndmask_b32_e64 v122, 0, 1, vcc
	v_cmp_ne_u32_e32 vcc, v13, v14
	v_or_b32_sdwa v85, v17, v18 dst_sel:DWORD dst_unused:UNUSED_PAD src0_sel:WORD_0 src1_sel:DWORD
	s_nop 0
	v_cndmask_b32_e64 v16, 0, 1, vcc
	v_cmp_ne_u32_e32 vcc, v12, v13
	v_lshlrev_b16_e32 v16, 8, v16
	s_nop 0
	v_cndmask_b32_e64 v13, 0, 1, vcc
	v_cmp_ne_u32_e32 vcc, v15, v22
	v_or_b32_e32 v13, v13, v16
	s_nop 0
	v_cndmask_b32_e64 v16, 0, 1, vcc
	v_cmp_ne_u32_e32 vcc, v14, v15
	v_lshlrev_b16_e32 v16, 8, v16
	s_nop 0
	v_cndmask_b32_e64 v14, 0, 1, vcc
	v_cmp_ne_u32_e32 vcc, v5, v12
	v_or_b32_sdwa v14, v14, v16 dst_sel:WORD_1 dst_unused:UNUSED_PAD src0_sel:DWORD src1_sel:DWORD
	s_nop 0
	v_cndmask_b32_e64 v124, 0, 1, vcc
	v_cmp_ne_u32_e32 vcc, v7, v8
	v_or_b32_sdwa v84, v13, v14 dst_sel:DWORD dst_unused:UNUSED_PAD src0_sel:WORD_0 src1_sel:DWORD
	;; [unrolled: 20-line block ×3, first 2 shown]
	s_nop 0
	v_cndmask_b32_e64 v5, 0, 1, vcc
	v_cmp_ne_u32_e32 vcc, v10, v11
	v_lshlrev_b16_e32 v5, 8, v5
	s_nop 0
	v_cndmask_b32_e64 v6, 0, 1, vcc
	v_cmp_ne_u32_e32 vcc, v3, v4
	v_or_b32_e32 v11, v6, v5
	s_nop 0
	v_cndmask_b32_e64 v4, 0, 1, vcc
	v_cmp_ne_u32_e32 vcc, v2, v3
	v_lshlrev_b16_e32 v4, 8, v4
	s_nop 0
	v_cndmask_b32_e64 v2, 0, 1, vcc
	v_or_b32_sdwa v14, v2, v4 dst_sel:WORD_1 dst_unused:UNUSED_PAD src0_sel:DWORD src1_sel:DWORD
	v_lshl_add_u32 v2, v0, 2, v23
	v_mad_u32_u24 v12, v0, s6, v2
	s_waitcnt vmcnt(0) lgkmcnt(0)
	ds_write2st64_b64 v2, v[28:29], v[30:31] offset1:4
	ds_write2st64_b64 v2, v[32:33], v[34:35] offset0:8 offset1:12
	ds_write2st64_b64 v2, v[38:39], v[40:41] offset0:16 offset1:20
	;; [unrolled: 1-line block ×9, first 2 shown]
	ds_write_b64 v2, v[24:25] offset:40960
	s_waitcnt lgkmcnt(0)
	s_barrier
	ds_read2_b64 v[2:5], v12 offset1:1
	ds_read2_b64 v[6:9], v12 offset0:2 offset1:3
	ds_read2_b64 v[18:21], v12 offset0:4 offset1:5
	;; [unrolled: 1-line block ×9, first 2 shown]
	ds_read_b64 v[12:13], v12 offset:160
	v_cmp_ne_u32_e32 vcc, v1, v10
	v_or_b32_sdwa v83, v11, v14 dst_sel:DWORD dst_unused:UNUSED_PAD src0_sel:WORD_0 src1_sel:DWORD
	s_mov_b64 s[6:7], -1
	v_cndmask_b32_e64 v1, 0, 1, vcc
                                        ; implicit-def: $vgpr66_vgpr67
                                        ; implicit-def: $vgpr58_vgpr59
                                        ; implicit-def: $vgpr50_vgpr51
                                        ; implicit-def: $vgpr42_vgpr43
                                        ; implicit-def: $vgpr34_vgpr35
                                        ; implicit-def: $vgpr14_vgpr15
.LBB1343_125:
	s_mov_b64 s[90:91], s[62:63]
	s_waitcnt lgkmcnt(0)
	v_mov_b64_e32 v[16:17], s[8:9]
	v_mov_b32_e32 v28, s64
	s_and_saveexec_b64 s[8:9], s[6:7]
	s_cbranch_execz .LBB1343_127
; %bb.126:
	v_cndmask_b32_e64 v28, 0, 1, s[0:1]
	v_mov_b64_e32 v[14:15], v[4:5]
	v_mov_b64_e32 v[26:27], v[8:9]
	;; [unrolled: 1-line block ×11, first 2 shown]
	v_mov_b32_e32 v125, v85
	v_mov_b32_e32 v126, v84
	;; [unrolled: 1-line block ×4, first 2 shown]
.LBB1343_127:
	s_or_b64 exec, exec, s[8:9]
	v_and_b32_e32 v129, 1, v123
	v_and_b32_e32 v37, 1, v124
	;; [unrolled: 1-line block ×4, first 2 shown]
	s_cmp_lg_u32 s92, 0
	v_lshrrev_b32_e32 v130, 8, v128
	v_cmp_eq_u32_e32 vcc, 1, v129
	v_lshrrev_b32_e32 v41, 8, v127
	v_cmp_eq_u32_e64 s[48:49], 1, v37
	v_lshrrev_b32_e32 v40, 8, v126
	v_cmp_eq_u32_e64 s[50:51], 1, v33
	;; [unrolled: 2-line block ×3, first 2 shown]
	v_mbcnt_lo_u32_b32 v29, -1, 0
	s_barrier
	s_cbranch_scc0 .LBB1343_194
; %bb.128:
	v_mov_b32_e32 v8, 0
	v_cmp_eq_u16_sdwa s[6:7], v128, v8 src0_sel:BYTE_0 src1_sel:DWORD
	v_and_b32_e32 v9, 1, v128
	s_movk_i32 s42, 0xff
	v_cndmask_b32_e64 v5, 0, v3, s[6:7]
	v_cndmask_b32_e64 v4, 0, v2, s[6:7]
	v_cmp_eq_u32_e64 s[52:53], 1, v9
	v_and_b32_e32 v9, 0x100, v128
	v_lshl_add_u64 v[4:5], v[4:5], 0, v[14:15]
	v_cmp_eq_u16_sdwa s[8:9], v130, v8 src0_sel:BYTE_0 src1_sel:DWORD
	v_cmp_ne_u32_e64 s[56:57], 0, v9
	v_and_b32_sdwa v9, v128, s42 dst_sel:DWORD dst_unused:UNUSED_PAD src0_sel:WORD_1 src1_sel:DWORD
	v_cndmask_b32_e64 v5, 0, v5, s[8:9]
	v_cndmask_b32_e64 v4, 0, v4, s[8:9]
	v_cmp_eq_u16_e64 s[10:11], 0, v9
	v_and_b32_e32 v9, 0x10000, v128
	v_lshl_add_u64 v[4:5], v[4:5], 0, v[6:7]
	v_cmp_ne_u32_e64 s[58:59], 0, v9
	v_and_b32_e32 v9, 0x1000000, v128
	s_mov_b64 s[86:87], s[4:5]
	s_mov_b64 s[4:5], s[60:61]
	v_cndmask_b32_e64 v5, 0, v5, s[10:11]
	v_cndmask_b32_e64 v4, 0, v4, s[10:11]
	v_cmp_ne_u32_e64 s[60:61], 0, v9
	v_and_b32_e32 v9, 1, v127
	v_lshl_add_u64 v[4:5], v[4:5], 0, v[26:27]
	v_cmp_eq_u16_sdwa s[12:13], v128, v8 src0_sel:BYTE_3 src1_sel:DWORD
	v_cmp_eq_u32_e64 s[62:63], 1, v9
	v_and_b32_e32 v9, 0x100, v127
	v_cndmask_b32_e64 v5, 0, v5, s[12:13]
	v_cndmask_b32_e64 v4, 0, v4, s[12:13]
	v_cmp_ne_u32_e64 s[64:65], 0, v9
	v_and_b32_sdwa v9, v127, s42 dst_sel:DWORD dst_unused:UNUSED_PAD src0_sel:WORD_1 src1_sel:DWORD
	v_lshl_add_u64 v[4:5], v[4:5], 0, v[18:19]
	v_cmp_eq_u16_sdwa s[14:15], v123, v8 src0_sel:BYTE_0 src1_sel:DWORD
	v_cmp_eq_u16_e64 s[20:21], 0, v9
	v_and_b32_e32 v9, 0x10000, v127
	v_cndmask_b32_e64 v5, 0, v5, s[14:15]
	v_cndmask_b32_e64 v4, 0, v4, s[14:15]
	v_cmp_ne_u32_e64 s[66:67], 0, v9
	v_and_b32_e32 v9, 0x1000000, v127
	v_lshl_add_u64 v[4:5], v[4:5], 0, v[34:35]
	v_cmp_eq_u16_sdwa s[16:17], v127, v8 src0_sel:BYTE_0 src1_sel:DWORD
	v_cmp_ne_u32_e64 s[0:1], 0, v9
	v_and_b32_e32 v9, 1, v126
	v_cndmask_b32_e64 v5, 0, v5, s[16:17]
	v_cndmask_b32_e64 v4, 0, v4, s[16:17]
	v_cmp_eq_u32_e64 s[70:71], 1, v9
	v_and_b32_e32 v9, 0x100, v126
	v_lshl_add_u64 v[4:5], v[4:5], 0, v[22:23]
	v_cmp_eq_u16_sdwa s[18:19], v41, v8 src0_sel:BYTE_0 src1_sel:DWORD
	v_cmp_ne_u32_e64 s[72:73], 0, v9
	v_and_b32_sdwa v9, v126, s42 dst_sel:DWORD dst_unused:UNUSED_PAD src0_sel:WORD_1 src1_sel:DWORD
	v_cndmask_b32_e64 v5, 0, v5, s[18:19]
	v_cndmask_b32_e64 v4, 0, v4, s[18:19]
	v_cmp_eq_u16_e64 s[30:31], 0, v9
	v_and_b32_e32 v9, 0x10000, v126
	v_lshl_add_u64 v[4:5], v[4:5], 0, v[42:43]
	v_cmp_ne_u32_e64 s[74:75], 0, v9
	v_and_b32_e32 v9, 0x1000000, v126
	v_cndmask_b32_e64 v5, 0, v5, s[20:21]
	v_cndmask_b32_e64 v4, 0, v4, s[20:21]
	v_cmp_ne_u32_e64 s[76:77], 0, v9
	v_and_b32_e32 v9, 1, v125
	s_mov_b64 s[98:99], s[78:79]
	v_lshl_add_u64 v[4:5], v[4:5], 0, v[30:31]
	v_cmp_eq_u16_sdwa s[22:23], v127, v8 src0_sel:BYTE_3 src1_sel:DWORD
	v_cmp_eq_u32_e64 s[78:79], 1, v9
	v_and_b32_e32 v9, 0x100, v125
	v_cndmask_b32_e64 v5, 0, v5, s[22:23]
	v_cndmask_b32_e64 v4, 0, v4, s[22:23]
	v_cmp_ne_u32_e64 s[80:81], 0, v9
	v_and_b32_sdwa v9, v125, s42 dst_sel:DWORD dst_unused:UNUSED_PAD src0_sel:WORD_1 src1_sel:DWORD
	v_lshl_add_u64 v[4:5], v[4:5], 0, v[50:51]
	v_cmp_eq_u16_sdwa s[24:25], v124, v8 src0_sel:BYTE_0 src1_sel:DWORD
	v_cmp_eq_u16_e64 s[42:43], 0, v9
	v_and_b32_e32 v9, 0x10000, v125
	v_cndmask_b32_e64 v5, 0, v5, s[24:25]
	v_cndmask_b32_e64 v4, 0, v4, s[24:25]
	v_cmp_ne_u32_e64 s[82:83], 0, v9
	v_and_b32_e32 v9, 0x1000000, v125
	v_lshl_add_u64 v[4:5], v[4:5], 0, v[38:39]
	v_cmp_eq_u16_sdwa s[26:27], v126, v8 src0_sel:BYTE_0 src1_sel:DWORD
	v_cmp_ne_u32_e64 s[84:85], 0, v9
	s_or_b64 s[54:55], s[54:55], s[84:85]
	v_cndmask_b32_e64 v5, 0, v5, s[26:27]
	v_cndmask_b32_e64 v4, 0, v4, s[26:27]
	v_lshl_add_u64 v[4:5], v[4:5], 0, v[58:59]
	v_cmp_eq_u16_sdwa s[28:29], v40, v8 src0_sel:BYTE_0 src1_sel:DWORD
	s_or_b64 s[54:55], s[54:55], s[82:83]
	s_or_b64 s[54:55], s[54:55], s[80:81]
	v_cndmask_b32_e64 v5, 0, v5, s[28:29]
	v_cndmask_b32_e64 v4, 0, v4, s[28:29]
	v_lshl_add_u64 v[4:5], v[4:5], 0, v[46:47]
	s_or_b64 s[54:55], s[54:55], s[78:79]
	v_cndmask_b32_e64 v5, 0, v5, s[30:31]
	v_cndmask_b32_e64 v4, 0, v4, s[30:31]
	s_or_b64 s[50:51], s[54:55], s[50:51]
	v_lshl_add_u64 v[4:5], v[4:5], 0, v[66:67]
	v_cmp_eq_u16_sdwa s[34:35], v126, v8 src0_sel:BYTE_3 src1_sel:DWORD
	s_or_b64 s[50:51], s[50:51], s[76:77]
	s_or_b64 s[50:51], s[50:51], s[74:75]
	v_cndmask_b32_e64 v5, 0, v5, s[34:35]
	v_cndmask_b32_e64 v4, 0, v4, s[34:35]
	v_lshl_add_u64 v[4:5], v[4:5], 0, v[54:55]
	v_cmp_eq_u16_sdwa s[36:37], v122, v8 src0_sel:BYTE_0 src1_sel:DWORD
	s_or_b64 s[50:51], s[50:51], s[72:73]
	s_or_b64 s[50:51], s[50:51], s[70:71]
	v_cndmask_b32_e64 v5, 0, v5, s[36:37]
	v_cndmask_b32_e64 v4, 0, v4, s[36:37]
	v_lshl_add_u64 v[4:5], v[4:5], 0, v[74:75]
	v_cmp_eq_u16_sdwa s[38:39], v125, v8 src0_sel:BYTE_0 src1_sel:DWORD
	;; [unrolled: 6-line block ×3, first 2 shown]
	s_or_b64 s[0:1], s[0:1], s[66:67]
	s_or_b64 s[0:1], s[0:1], s[64:65]
	v_cndmask_b32_e64 v5, 0, v5, s[40:41]
	v_cndmask_b32_e64 v4, 0, v4, s[40:41]
	v_lshl_add_u64 v[4:5], v[4:5], 0, v[78:79]
	s_or_b64 s[0:1], s[0:1], s[62:63]
	v_cndmask_b32_e64 v5, 0, v5, s[42:43]
	v_cndmask_b32_e64 v4, 0, v4, s[42:43]
	s_or_b64 s[0:1], s[0:1], vcc
	v_lshl_add_u64 v[4:5], v[4:5], 0, v[70:71]
	v_cmp_eq_u16_sdwa s[44:45], v125, v8 src0_sel:BYTE_3 src1_sel:DWORD
	s_or_b64 s[0:1], s[0:1], s[60:61]
	s_or_b64 s[0:1], s[0:1], s[58:59]
	v_cndmask_b32_e64 v5, 0, v5, s[44:45]
	v_cndmask_b32_e64 v4, 0, v4, s[44:45]
	v_lshl_add_u64 v[4:5], v[4:5], 0, v[10:11]
	v_cmp_eq_u16_sdwa s[46:47], v28, v8 src0_sel:BYTE_0 src1_sel:DWORD
	s_or_b64 s[0:1], s[0:1], s[56:57]
	v_and_b32_e32 v12, 0xff, v1
	v_cndmask_b32_e64 v5, 0, v5, s[46:47]
	v_cndmask_b32_e64 v4, 0, v4, s[46:47]
	s_or_b64 s[0:1], s[0:1], s[52:53]
	v_mbcnt_hi_u32_b32 v52, -1, v29
	v_lshl_add_u64 v[8:9], v[4:5], 0, v[16:17]
	v_cndmask_b32_e64 v12, v12, 1, s[0:1]
	v_and_b32_e32 v4, 15, v52
	v_mov_b32_dpp v13, v8 row_shr:1 row_mask:0xf bank_mask:0xf
	v_mov_b32_dpp v20, v9 row_shr:1 row_mask:0xf bank_mask:0xf
	;; [unrolled: 1-line block ×3, first 2 shown]
	v_cmp_ne_u32_e32 vcc, 0, v4
	s_and_saveexec_b64 s[0:1], vcc
; %bb.129:
	v_cmp_eq_u32_e32 vcc, 0, v12
	v_and_or_b32 v12, v5, 1, v12
	s_nop 0
	v_cndmask_b32_e32 v21, 0, v20, vcc
	v_cndmask_b32_e32 v20, 0, v13, vcc
	v_lshl_add_u64 v[8:9], v[20:21], 0, v[8:9]
; %bb.130:
	s_or_b64 exec, exec, s[0:1]
	s_nop 0
	v_mov_b32_dpp v13, v8 row_shr:2 row_mask:0xf bank_mask:0xf
	v_mov_b32_dpp v20, v9 row_shr:2 row_mask:0xf bank_mask:0xf
	;; [unrolled: 1-line block ×3, first 2 shown]
	v_cmp_lt_u32_e32 vcc, 1, v4
	s_and_saveexec_b64 s[0:1], vcc
; %bb.131:
	v_cmp_eq_u32_e32 vcc, 0, v12
	v_or_b32_e32 v5, v5, v12
	v_and_b32_e32 v12, 1, v5
	v_cndmask_b32_e32 v21, 0, v20, vcc
	v_cndmask_b32_e32 v20, 0, v13, vcc
	v_lshl_add_u64 v[8:9], v[20:21], 0, v[8:9]
; %bb.132:
	s_or_b64 exec, exec, s[0:1]
	s_nop 0
	v_mov_b32_dpp v13, v8 row_shr:4 row_mask:0xf bank_mask:0xf
	v_mov_b32_dpp v20, v9 row_shr:4 row_mask:0xf bank_mask:0xf
	;; [unrolled: 1-line block ×3, first 2 shown]
	v_cmp_lt_u32_e32 vcc, 3, v4
	s_and_saveexec_b64 s[0:1], vcc
	s_mov_b64 s[58:59], s[90:91]
	s_mov_b64 s[60:61], s[4:5]
	s_mov_b64 s[4:5], s[86:87]
	s_mov_b64 s[78:79], s[98:99]
; %bb.133:
	v_cmp_eq_u32_e32 vcc, 0, v12
	v_or_b32_e32 v5, v5, v12
	v_and_b32_e32 v12, 1, v5
	v_cndmask_b32_e32 v21, 0, v20, vcc
	v_cndmask_b32_e32 v20, 0, v13, vcc
	v_lshl_add_u64 v[8:9], v[20:21], 0, v[8:9]
; %bb.134:
	s_or_b64 exec, exec, s[0:1]
	s_nop 0
	v_mov_b32_dpp v13, v8 row_shr:8 row_mask:0xf bank_mask:0xf
	v_mov_b32_dpp v20, v9 row_shr:8 row_mask:0xf bank_mask:0xf
	;; [unrolled: 1-line block ×3, first 2 shown]
	v_cmp_lt_u32_e32 vcc, 7, v4
	s_and_saveexec_b64 s[0:1], vcc
; %bb.135:
	v_cmp_eq_u32_e32 vcc, 0, v12
	v_or_b32_e32 v4, v5, v12
	v_and_b32_e32 v12, 1, v4
	v_cndmask_b32_e32 v21, 0, v20, vcc
	v_cndmask_b32_e32 v20, 0, v13, vcc
	v_lshl_add_u64 v[8:9], v[20:21], 0, v[8:9]
; %bb.136:
	s_or_b64 exec, exec, s[0:1]
	v_and_b32_e32 v20, 16, v52
	v_mov_b32_dpp v5, v8 row_bcast:15 row_mask:0xf bank_mask:0xf
	v_mov_b32_dpp v13, v9 row_bcast:15 row_mask:0xf bank_mask:0xf
	;; [unrolled: 1-line block ×3, first 2 shown]
	v_cmp_ne_u32_e32 vcc, 0, v20
	s_and_saveexec_b64 s[0:1], vcc
; %bb.137:
	v_cmp_eq_u32_e32 vcc, 0, v12
	v_or_b32_e32 v4, v4, v12
	v_and_b32_e32 v12, 1, v4
	v_cndmask_b32_e32 v21, 0, v13, vcc
	v_cndmask_b32_e32 v20, 0, v5, vcc
	v_lshl_add_u64 v[8:9], v[20:21], 0, v[8:9]
; %bb.138:
	s_or_b64 exec, exec, s[0:1]
	s_nop 0
	v_mov_b32_dpp v13, v8 row_bcast:31 row_mask:0xf bank_mask:0xf
	v_mov_b32_dpp v20, v9 row_bcast:31 row_mask:0xf bank_mask:0xf
	;; [unrolled: 1-line block ×3, first 2 shown]
	v_cmp_lt_u32_e32 vcc, 31, v52
	v_mov_b32_e32 v4, v12
	s_and_saveexec_b64 s[0:1], vcc
; %bb.139:
	v_cmp_eq_u32_e32 vcc, 0, v12
	v_or_b32_e32 v5, v5, v12
	v_and_b32_e32 v4, 1, v5
	v_cndmask_b32_e32 v21, 0, v20, vcc
	v_cndmask_b32_e32 v20, 0, v13, vcc
	v_lshl_add_u64 v[8:9], v[20:21], 0, v[8:9]
	v_and_b32_e32 v12, 1, v5
; %bb.140:
	s_or_b64 exec, exec, s[0:1]
	v_or_b32_e32 v5, 63, v0
	v_lshrrev_b32_e32 v13, 6, v0
	v_cmp_eq_u32_e32 vcc, v5, v0
	s_and_saveexec_b64 s[0:1], vcc
	s_cbranch_execz .LBB1343_142
; %bb.141:
	v_lshlrev_b32_e32 v5, 4, v13
	ds_write_b64 v5, v[8:9]
	ds_write_b8 v5, v4 offset:8
.LBB1343_142:
	s_or_b64 exec, exec, s[0:1]
	v_cmp_gt_u32_e32 vcc, 4, v0
	s_waitcnt lgkmcnt(0)
	s_barrier
	s_and_saveexec_b64 s[48:49], vcc
	s_cbranch_execz .LBB1343_148
; %bb.143:
	v_lshlrev_b32_e32 v20, 4, v0
	ds_read_b64 v[4:5], v20
	ds_read_b32 v21, v20 offset:8
	v_and_b32_e32 v24, 3, v52
	v_cmp_ne_u32_e32 vcc, 0, v24
	s_waitcnt lgkmcnt(1)
	v_mov_b32_dpp v48, v4 row_shr:1 row_mask:0xf bank_mask:0xf
	v_mov_b32_dpp v49, v5 row_shr:1 row_mask:0xf bank_mask:0xf
	s_waitcnt lgkmcnt(0)
	v_mov_b32_dpp v45, v21 row_shr:1 row_mask:0xf bank_mask:0xf
	v_mov_b32_e32 v25, v21
	v_mov_b32_e32 v44, v21
	s_and_saveexec_b64 s[0:1], vcc
; %bb.144:
	v_mov_b32_e32 v25, 0
	v_cmp_eq_u16_sdwa vcc, v21, v25 src0_sel:BYTE_0 src1_sel:DWORD
	v_or_b32_e32 v44, v45, v21
	v_and_b32_e32 v25, 1, v44
	v_cndmask_b32_e32 v49, 0, v49, vcc
	v_cndmask_b32_e32 v48, 0, v48, vcc
	v_and_b32_e32 v44, 1, v44
	s_movk_i32 s50, 0xff00
	v_lshl_add_u64 v[4:5], v[48:49], 0, v[4:5]
	v_and_or_b32 v21, v21, s50, v44
; %bb.145:
	s_or_b64 exec, exec, s[0:1]
	v_mov_b32_dpp v45, v4 row_shr:2 row_mask:0xf bank_mask:0xf
	v_mov_b32_dpp v48, v5 row_shr:2 row_mask:0xf bank_mask:0xf
	;; [unrolled: 1-line block ×3, first 2 shown]
	v_cmp_lt_u32_e32 vcc, 1, v24
	s_and_saveexec_b64 s[50:51], vcc
; %bb.146:
	v_mov_b32_e32 v24, 0
	v_cmp_eq_u16_sdwa vcc, v44, v24 src0_sel:BYTE_0 src1_sel:DWORD
	v_and_b32_e32 v21, 1, v21
	v_cmp_eq_u32_e64 s[0:1], 1, v21
	v_cndmask_b32_e32 v25, 0, v48, vcc
	v_cndmask_b32_e32 v24, 0, v45, vcc
	v_lshl_add_u64 v[4:5], v[24:25], 0, v[4:5]
	v_and_b32_e32 v24, 1, v44
	v_cmp_eq_u32_e32 vcc, 1, v24
	s_or_b64 s[0:1], vcc, s[0:1]
	v_cndmask_b32_e64 v25, 0, 1, s[0:1]
; %bb.147:
	s_or_b64 exec, exec, s[50:51]
	ds_write_b64 v20, v[4:5]
	ds_write_b8 v20, v25 offset:8
.LBB1343_148:
	s_or_b64 exec, exec, s[48:49]
	v_cmp_gt_u32_e32 vcc, 64, v0
	v_cmp_lt_u32_e64 s[0:1], 63, v0
	v_mov_b32_e32 v44, 0
	v_mov_b64_e32 v[4:5], 0
	s_waitcnt lgkmcnt(0)
	s_barrier
	s_and_saveexec_b64 s[48:49], s[0:1]
	s_cbranch_execz .LBB1343_150
; %bb.149:
	v_lshl_add_u32 v13, v13, 4, -16
	ds_read_b64 v[4:5], v13
	ds_read_u8 v44, v13 offset:8
	v_and_b32_e32 v20, 1, v12
	v_cmp_eq_u32_e64 s[0:1], 0, v12
	s_waitcnt lgkmcnt(1)
	s_nop 0
	v_cndmask_b32_e64 v13, 0, v5, s[0:1]
	v_cndmask_b32_e64 v12, 0, v4, s[0:1]
	v_cmp_eq_u32_e64 s[0:1], 1, v20
	v_lshl_add_u64 v[8:9], v[12:13], 0, v[8:9]
	s_waitcnt lgkmcnt(0)
	v_cndmask_b32_e64 v12, v44, 1, s[0:1]
.LBB1343_150:
	s_or_b64 exec, exec, s[48:49]
	v_add_u32_e32 v13, -1, v52
	v_and_b32_e32 v20, 64, v52
	v_cmp_lt_i32_e64 s[0:1], v13, v20
	v_cmp_eq_u32_e64 s[48:49], 0, v52
	s_nop 0
	v_cndmask_b32_e64 v13, v13, v52, s[0:1]
	v_lshlrev_b32_e32 v13, 2, v13
	ds_bpermute_b32 v45, v13, v8
	ds_bpermute_b32 v48, v13, v9
	;; [unrolled: 1-line block ×3, first 2 shown]
	s_and_saveexec_b64 s[50:51], vcc
	s_cbranch_execz .LBB1343_193
; %bb.151:
	v_mov_b32_e32 v13, 0
	ds_read2_b64 v[80:83], v13 offset0:6 offset1:7
	s_and_saveexec_b64 s[0:1], s[48:49]
	s_cbranch_execz .LBB1343_153
; %bb.152:
	s_add_i32 s52, s92, 64
	s_mov_b32 s53, 0
	s_lshl_b64 s[54:55], s[52:53], 4
	v_readlane_b32 s80, v131, 0
	v_readlane_b32 s81, v131, 1
	s_add_u32 s54, s80, s54
	v_readlane_b32 s84, v131, 4
	v_readlane_b32 s85, v131, 5
	s_addc_u32 s55, s81, s55
	v_mov_b32_e32 v8, s52
	v_mov_b32_e32 v9, 1
	v_readlane_b32 s82, v131, 2
	v_readlane_b32 s83, v131, 3
	;; [unrolled: 1-line block ×4, first 2 shown]
	s_waitcnt lgkmcnt(0)
	global_store_dword v13, v80, s[54:55] sc1
	global_store_dword v13, v81, s[54:55] offset:4 sc1
	global_store_dword v13, v82, s[54:55] offset:8 sc1
	;; [unrolled: 1-line block ×3, first 2 shown]
	s_waitcnt vmcnt(0)
	global_store_byte v8, v9, s[84:85] sc1
.LBB1343_153:
	s_or_b64 exec, exec, s[0:1]
	v_xad_u32 v8, v52, -1, s92
	v_readlane_b32 s80, v131, 0
	v_add_u32_e32 v12, 64, v8
	v_readlane_b32 s84, v131, 4
	v_readlane_b32 s85, v131, 5
	;; [unrolled: 1-line block ×7, first 2 shown]
	global_load_ubyte v53, v12, s[84:85] sc1
	s_waitcnt vmcnt(0)
	v_cmp_eq_u16_e32 vcc, 0, v53
	s_and_saveexec_b64 s[0:1], vcc
	s_cbranch_execz .LBB1343_157
; %bb.154:
	v_readlane_b32 s80, v131, 0
	v_readlane_b32 s84, v131, 4
	;; [unrolled: 1-line block ×3, first 2 shown]
	s_mov_b64 s[52:53], 0
	v_readlane_b32 s81, v131, 1
	v_lshl_add_u64 v[20:21], s[84:85], 0, v[12:13]
	v_readlane_b32 s82, v131, 2
	v_readlane_b32 s83, v131, 3
	;; [unrolled: 1-line block ×4, first 2 shown]
.LBB1343_155:                           ; =>This Inner Loop Header: Depth=1
	global_load_ubyte v53, v[20:21], off sc1
	s_waitcnt vmcnt(0)
	v_cmp_ne_u16_e32 vcc, 0, v53
	s_or_b64 s[52:53], vcc, s[52:53]
	s_andn2_b64 exec, exec, s[52:53]
	s_cbranch_execnz .LBB1343_155
; %bb.156:
	s_or_b64 exec, exec, s[52:53]
.LBB1343_157:
	s_or_b64 exec, exec, s[0:1]
	v_readlane_b32 s80, v131, 0
	v_readlane_b32 s81, v131, 1
	v_readlane_b32 s83, v131, 3
	v_readlane_b32 s82, v131, 2
	v_mov_b32_e32 v20, s81
	v_mov_b32_e32 v9, s83
	v_cmp_eq_u16_e32 vcc, 1, v53
	s_waitcnt vmcnt(0) lgkmcnt(0)
	s_nop 0
	v_cndmask_b32_e32 v21, v9, v20, vcc
	v_mov_b32_e32 v9, s82
	v_mov_b32_e32 v20, s80
	v_cndmask_b32_e32 v20, v9, v20, vcc
	v_lshl_add_u64 v[12:13], v[12:13], 4, v[20:21]
	global_load_dword v24, v[12:13], off sc1
	global_load_dword v25, v[12:13], off offset:4 sc1
	global_load_dword v84, v[12:13], off offset:8 sc1
	;; [unrolled: 1-line block ×3, first 2 shown]
	v_cmp_eq_u16_e32 vcc, 2, v53
	v_lshlrev_b64 v[12:13], v52, -1
	v_and_b32_e32 v56, 63, v52
	s_waitcnt vmcnt(0)
	v_and_b32_e32 v9, vcc_hi, v13
	v_and_b32_e32 v64, vcc_lo, v12
	v_cmp_ne_u32_e32 vcc, 63, v56
	v_or_b32_e32 v9, 0x80000000, v9
	v_ffbl_b32_e32 v9, v9
	v_addc_co_u32_e32 v20, vcc, 0, v52, vcc
	v_lshlrev_b32_e32 v57, 2, v20
	v_add_u32_e32 v9, 32, v9
	v_ffbl_b32_e32 v64, v64
	v_min_u32_e32 v9, v64, v9
	v_cmp_lt_u32_e32 vcc, v56, v9
	v_readlane_b32 s84, v131, 4
	v_readlane_b32 s85, v131, 5
	;; [unrolled: 1-line block ×4, first 2 shown]
	ds_bpermute_b32 v60, v57, v24
	ds_bpermute_b32 v61, v57, v25
	v_and_b32_e32 v20, 0xff, v84
	ds_bpermute_b32 v21, v57, v20
	s_and_saveexec_b64 s[0:1], vcc
	s_cbranch_execz .LBB1343_159
; %bb.158:
	v_mov_b32_e32 v20, 0
	v_cmp_eq_u16_sdwa vcc, v84, v20 src0_sel:BYTE_0 src1_sel:DWORD
	s_waitcnt lgkmcnt(0)
	v_or_b32_e32 v20, v21, v84
	v_and_b32_e32 v84, 1, v20
	v_cndmask_b32_e32 v61, 0, v61, vcc
	v_cndmask_b32_e32 v60, 0, v60, vcc
	v_lshl_add_u64 v[24:25], v[60:61], 0, v[24:25]
	v_and_b32_e32 v20, 1, v20
.LBB1343_159:
	s_or_b64 exec, exec, s[0:1]
	v_cmp_gt_u32_e32 vcc, 62, v56
	s_waitcnt lgkmcnt(1)
	v_add_u32_e32 v61, 2, v56
	s_waitcnt lgkmcnt(0)
	v_cndmask_b32_e64 v21, 0, 1, vcc
	v_lshlrev_b32_e32 v21, 1, v21
	v_add_lshl_u32 v60, v21, v52, 2
	ds_bpermute_b32 v64, v60, v24
	ds_bpermute_b32 v65, v60, v25
	ds_bpermute_b32 v21, v60, v20
	v_cmp_le_u32_e32 vcc, v61, v9
	s_and_saveexec_b64 s[52:53], vcc
	s_cbranch_execz .LBB1343_161
; %bb.160:
	v_mov_b32_e32 v20, 0
	v_cmp_eq_u16_sdwa vcc, v84, v20 src0_sel:BYTE_0 src1_sel:DWORD
	v_and_b32_e32 v20, 1, v84
	s_waitcnt lgkmcnt(1)
	v_cndmask_b32_e32 v65, 0, v65, vcc
	v_cndmask_b32_e32 v64, 0, v64, vcc
	v_cmp_eq_u32_e32 vcc, 1, v20
	s_waitcnt lgkmcnt(0)
	v_and_b32_e32 v20, 1, v21
	v_cmp_eq_u32_e64 s[0:1], 1, v20
	s_or_b64 s[0:1], vcc, s[0:1]
	v_lshl_add_u64 v[24:25], v[64:65], 0, v[24:25]
	v_cndmask_b32_e64 v84, 0, 1, s[0:1]
	v_cndmask_b32_e64 v20, 0, 1, s[0:1]
.LBB1343_161:
	s_or_b64 exec, exec, s[52:53]
	v_cmp_gt_u32_e32 vcc, 60, v56
	s_waitcnt lgkmcnt(1)
	v_add_u32_e32 v65, 4, v56
	s_waitcnt lgkmcnt(0)
	v_cndmask_b32_e64 v21, 0, 1, vcc
	v_lshlrev_b32_e32 v21, 2, v21
	v_add_lshl_u32 v64, v21, v52, 2
	ds_bpermute_b32 v68, v64, v24
	ds_bpermute_b32 v69, v64, v25
	ds_bpermute_b32 v21, v64, v20
	v_cmp_le_u32_e32 vcc, v65, v9
	s_and_saveexec_b64 s[52:53], vcc
	s_cbranch_execz .LBB1343_163
; %bb.162:
	v_mov_b32_e32 v20, 0
	v_cmp_eq_u16_sdwa vcc, v84, v20 src0_sel:BYTE_0 src1_sel:DWORD
	v_and_b32_e32 v20, 1, v84
	s_waitcnt lgkmcnt(1)
	v_cndmask_b32_e32 v69, 0, v69, vcc
	v_cndmask_b32_e32 v68, 0, v68, vcc
	v_cmp_eq_u32_e32 vcc, 1, v20
	s_waitcnt lgkmcnt(0)
	v_and_b32_e32 v20, 1, v21
	v_cmp_eq_u32_e64 s[0:1], 1, v20
	s_or_b64 s[0:1], vcc, s[0:1]
	v_lshl_add_u64 v[24:25], v[68:69], 0, v[24:25]
	v_cndmask_b32_e64 v84, 0, 1, s[0:1]
	v_cndmask_b32_e64 v20, 0, 1, s[0:1]
.LBB1343_163:
	;; [unrolled: 30-line block ×4, first 2 shown]
	s_or_b64 exec, exec, s[52:53]
	v_cmp_gt_u32_e32 vcc, 32, v56
	s_waitcnt lgkmcnt(1)
	v_add_u32_e32 v77, 32, v56
	s_waitcnt lgkmcnt(0)
	v_cndmask_b32_e64 v21, 0, 1, vcc
	v_lshlrev_b32_e32 v21, 5, v21
	v_add_lshl_u32 v76, v21, v52, 2
	ds_bpermute_b32 v21, v76, v24
	ds_bpermute_b32 v52, v76, v25
	;; [unrolled: 1-line block ×3, first 2 shown]
	v_cmp_le_u32_e32 vcc, v77, v9
	s_and_saveexec_b64 s[52:53], vcc
	s_cbranch_execz .LBB1343_169
; %bb.168:
	v_mov_b32_e32 v9, 0
	v_cmp_eq_u16_sdwa vcc, v84, v9 src0_sel:BYTE_0 src1_sel:DWORD
	v_and_b32_e32 v9, 1, v84
	s_waitcnt lgkmcnt(1)
	v_cndmask_b32_e32 v87, 0, v52, vcc
	v_cndmask_b32_e32 v86, 0, v21, vcc
	v_cmp_eq_u32_e32 vcc, 1, v9
	s_waitcnt lgkmcnt(0)
	v_and_b32_e32 v9, 1, v20
	v_cmp_eq_u32_e64 s[0:1], 1, v9
	s_or_b64 s[0:1], vcc, s[0:1]
	v_lshl_add_u64 v[24:25], v[86:87], 0, v[24:25]
	v_cndmask_b32_e64 v84, 0, 1, s[0:1]
.LBB1343_169:
	s_or_b64 exec, exec, s[52:53]
	v_mov_b32_e32 v9, 0
	v_mov_b32_e32 v83, 2
	s_branch .LBB1343_171
.LBB1343_170:                           ;   in Loop: Header=BB1343_171 Depth=1
	s_or_b64 exec, exec, s[54:55]
	v_cmp_eq_u16_sdwa vcc, v52, v9 src0_sel:BYTE_0 src1_sel:DWORD
	v_and_b32_e32 v84, 1, v52
	v_subrev_u32_e32 v8, 64, v8
	v_cndmask_b32_e32 v25, 0, v25, vcc
	v_cndmask_b32_e32 v24, 0, v24, vcc
	v_cmp_eq_u32_e32 vcc, 1, v84
	s_or_b64 s[0:1], vcc, s[52:53]
	v_lshl_add_u64 v[24:25], v[24:25], 0, v[20:21]
	v_cndmask_b32_e64 v84, 0, 1, s[0:1]
.LBB1343_171:                           ; =>This Loop Header: Depth=1
                                        ;     Child Loop BB1343_174 Depth 2
	v_cmp_ne_u16_sdwa s[0:1], v53, v83 src0_sel:BYTE_0 src1_sel:DWORD
	s_waitcnt lgkmcnt(1)
	v_mov_b32_e32 v52, v84
	s_waitcnt lgkmcnt(0)
	v_cndmask_b32_e64 v20, 0, 1, s[0:1]
	;;#ASMSTART
	;;#ASMEND
	s_nop 0
	v_cmp_ne_u32_e32 vcc, 0, v20
	s_cmp_lg_u64 vcc, exec
	v_mov_b64_e32 v[20:21], v[24:25]
	s_cbranch_scc1 .LBB1343_188
; %bb.172:                              ;   in Loop: Header=BB1343_171 Depth=1
	v_readlane_b32 s80, v131, 0
	v_readlane_b32 s84, v131, 4
	;; [unrolled: 1-line block ×8, first 2 shown]
	global_load_ubyte v53, v8, s[84:85] sc1
	s_waitcnt vmcnt(0)
	v_cmp_eq_u16_e32 vcc, 0, v53
	s_and_saveexec_b64 s[0:1], vcc
	s_cbranch_execz .LBB1343_176
; %bb.173:                              ;   in Loop: Header=BB1343_171 Depth=1
	v_readlane_b32 s80, v131, 0
	v_readlane_b32 s84, v131, 4
	;; [unrolled: 1-line block ×3, first 2 shown]
	s_mov_b64 s[52:53], 0
	v_readlane_b32 s81, v131, 1
	v_lshl_add_u64 v[24:25], s[84:85], 0, v[8:9]
	v_readlane_b32 s82, v131, 2
	v_readlane_b32 s83, v131, 3
	;; [unrolled: 1-line block ×4, first 2 shown]
.LBB1343_174:                           ;   Parent Loop BB1343_171 Depth=1
                                        ; =>  This Inner Loop Header: Depth=2
	global_load_ubyte v53, v[24:25], off sc1
	s_waitcnt vmcnt(0)
	v_cmp_ne_u16_e32 vcc, 0, v53
	s_or_b64 s[52:53], vcc, s[52:53]
	s_andn2_b64 exec, exec, s[52:53]
	s_cbranch_execnz .LBB1343_174
; %bb.175:                              ;   in Loop: Header=BB1343_171 Depth=1
	s_or_b64 exec, exec, s[52:53]
.LBB1343_176:                           ;   in Loop: Header=BB1343_171 Depth=1
	s_or_b64 exec, exec, s[0:1]
	v_readlane_b32 s80, v131, 0
	v_readlane_b32 s81, v131, 1
	;; [unrolled: 1-line block ×4, first 2 shown]
	v_mov_b32_e32 v25, s81
	v_mov_b32_e32 v24, s83
	v_cmp_eq_u16_e32 vcc, 1, v53
	v_mov_b32_e32 v84, s80
	s_waitcnt vmcnt(0)
	v_cndmask_b32_e32 v25, v24, v25, vcc
	v_mov_b32_e32 v24, s82
	v_cndmask_b32_e32 v24, v24, v84, vcc
	v_lshl_add_u64 v[86:87], v[8:9], 4, v[24:25]
	global_load_dword v24, v[86:87], off sc1
	global_load_dword v25, v[86:87], off offset:4 sc1
	global_load_dword v84, v[86:87], off offset:8 sc1
	;; [unrolled: 1-line block ×3, first 2 shown]
	v_cmp_eq_u16_e32 vcc, 2, v53
	v_readlane_b32 s84, v131, 4
	v_readlane_b32 s85, v131, 5
	s_waitcnt vmcnt(0)
	v_and_b32_e32 v85, vcc_hi, v13
	v_or_b32_e32 v85, 0x80000000, v85
	v_and_b32_e32 v90, vcc_lo, v12
	v_ffbl_b32_e32 v85, v85
	v_add_u32_e32 v85, 32, v85
	v_ffbl_b32_e32 v90, v90
	v_min_u32_e32 v85, v90, v85
	v_cmp_lt_u32_e32 vcc, v56, v85
	v_readlane_b32 s86, v131, 6
	v_readlane_b32 s87, v131, 7
	ds_bpermute_b32 v88, v57, v24
	ds_bpermute_b32 v89, v57, v25
	v_and_b32_e32 v86, 0xff, v84
	ds_bpermute_b32 v87, v57, v86
	s_and_saveexec_b64 s[0:1], vcc
	s_cbranch_execz .LBB1343_178
; %bb.177:                              ;   in Loop: Header=BB1343_171 Depth=1
	v_cmp_eq_u16_sdwa vcc, v84, v9 src0_sel:BYTE_0 src1_sel:DWORD
	s_waitcnt lgkmcnt(0)
	v_or_b32_e32 v86, v87, v84
	v_and_b32_e32 v84, 1, v86
	v_cndmask_b32_e32 v89, 0, v89, vcc
	v_cndmask_b32_e32 v88, 0, v88, vcc
	v_lshl_add_u64 v[24:25], v[88:89], 0, v[24:25]
	v_and_b32_e32 v86, 1, v86
.LBB1343_178:                           ;   in Loop: Header=BB1343_171 Depth=1
	s_or_b64 exec, exec, s[0:1]
	s_waitcnt lgkmcnt(2)
	ds_bpermute_b32 v88, v60, v24
	s_waitcnt lgkmcnt(2)
	ds_bpermute_b32 v89, v60, v25
	;; [unrolled: 2-line block ×3, first 2 shown]
	v_and_b32_e32 v90, 1, v84
	v_cmp_le_u32_e32 vcc, v61, v85
	v_cmp_eq_u32_e64 s[52:53], 1, v90
	s_and_saveexec_b64 s[0:1], vcc
	s_cbranch_execz .LBB1343_180
; %bb.179:                              ;   in Loop: Header=BB1343_171 Depth=1
	v_cmp_eq_u16_sdwa vcc, v84, v9 src0_sel:BYTE_0 src1_sel:DWORD
	s_waitcnt lgkmcnt(0)
	v_and_b32_e32 v84, 1, v87
	v_cndmask_b32_e32 v89, 0, v89, vcc
	v_cndmask_b32_e32 v88, 0, v88, vcc
	v_cmp_eq_u32_e32 vcc, 1, v84
	s_or_b64 s[54:55], s[52:53], vcc
	v_cndmask_b32_e64 v84, 0, 1, s[54:55]
	v_cndmask_b32_e64 v86, 0, 1, s[54:55]
	s_andn2_b64 s[52:53], s[52:53], exec
	s_and_b64 s[54:55], s[54:55], exec
	v_lshl_add_u64 v[24:25], v[88:89], 0, v[24:25]
	s_or_b64 s[52:53], s[52:53], s[54:55]
.LBB1343_180:                           ;   in Loop: Header=BB1343_171 Depth=1
	s_or_b64 exec, exec, s[0:1]
	s_waitcnt lgkmcnt(2)
	ds_bpermute_b32 v88, v64, v24
	s_waitcnt lgkmcnt(2)
	ds_bpermute_b32 v89, v64, v25
	s_waitcnt lgkmcnt(2)
	ds_bpermute_b32 v87, v64, v86
	v_cmp_le_u32_e32 vcc, v65, v85
	s_and_saveexec_b64 s[54:55], vcc
	s_cbranch_execz .LBB1343_182
; %bb.181:                              ;   in Loop: Header=BB1343_171 Depth=1
	v_cmp_eq_u16_sdwa vcc, v84, v9 src0_sel:BYTE_0 src1_sel:DWORD
	v_and_b32_e32 v84, 1, v84
	s_andn2_b64 s[52:53], s[52:53], exec
	s_waitcnt lgkmcnt(1)
	v_cndmask_b32_e32 v89, 0, v89, vcc
	v_cndmask_b32_e32 v88, 0, v88, vcc
	v_cmp_eq_u32_e32 vcc, 1, v84
	s_waitcnt lgkmcnt(0)
	v_and_b32_e32 v84, 1, v87
	v_cmp_eq_u32_e64 s[0:1], 1, v84
	s_or_b64 s[0:1], vcc, s[0:1]
	v_lshl_add_u64 v[24:25], v[88:89], 0, v[24:25]
	v_cndmask_b32_e64 v84, 0, 1, s[0:1]
	v_cndmask_b32_e64 v86, 0, 1, s[0:1]
	s_and_b64 s[0:1], s[0:1], exec
	s_or_b64 s[52:53], s[52:53], s[0:1]
.LBB1343_182:                           ;   in Loop: Header=BB1343_171 Depth=1
	s_or_b64 exec, exec, s[54:55]
	s_waitcnt lgkmcnt(2)
	ds_bpermute_b32 v88, v68, v24
	s_waitcnt lgkmcnt(2)
	ds_bpermute_b32 v89, v68, v25
	s_waitcnt lgkmcnt(2)
	ds_bpermute_b32 v87, v68, v86
	v_cmp_le_u32_e32 vcc, v69, v85
	s_and_saveexec_b64 s[54:55], vcc
	s_cbranch_execz .LBB1343_184
; %bb.183:                              ;   in Loop: Header=BB1343_171 Depth=1
	v_cmp_eq_u16_sdwa vcc, v84, v9 src0_sel:BYTE_0 src1_sel:DWORD
	v_and_b32_e32 v84, 1, v84
	s_andn2_b64 s[52:53], s[52:53], exec
	s_waitcnt lgkmcnt(1)
	v_cndmask_b32_e32 v89, 0, v89, vcc
	v_cndmask_b32_e32 v88, 0, v88, vcc
	v_cmp_eq_u32_e32 vcc, 1, v84
	s_waitcnt lgkmcnt(0)
	v_and_b32_e32 v84, 1, v87
	v_cmp_eq_u32_e64 s[0:1], 1, v84
	s_or_b64 s[0:1], vcc, s[0:1]
	v_lshl_add_u64 v[24:25], v[88:89], 0, v[24:25]
	v_cndmask_b32_e64 v84, 0, 1, s[0:1]
	v_cndmask_b32_e64 v86, 0, 1, s[0:1]
	s_and_b64 s[0:1], s[0:1], exec
	s_or_b64 s[52:53], s[52:53], s[0:1]
.LBB1343_184:                           ;   in Loop: Header=BB1343_171 Depth=1
	;; [unrolled: 28-line block ×3, first 2 shown]
	s_or_b64 exec, exec, s[54:55]
	s_waitcnt lgkmcnt(0)
	ds_bpermute_b32 v87, v76, v24
	ds_bpermute_b32 v88, v76, v25
	;; [unrolled: 1-line block ×3, first 2 shown]
	v_cmp_le_u32_e32 vcc, v77, v85
	s_and_saveexec_b64 s[54:55], vcc
	s_cbranch_execz .LBB1343_170
; %bb.187:                              ;   in Loop: Header=BB1343_171 Depth=1
	v_cmp_eq_u16_sdwa vcc, v84, v9 src0_sel:BYTE_0 src1_sel:DWORD
	v_and_b32_e32 v84, 1, v84
	s_andn2_b64 s[52:53], s[52:53], exec
	s_waitcnt lgkmcnt(1)
	v_cndmask_b32_e32 v89, 0, v88, vcc
	v_cndmask_b32_e32 v88, 0, v87, vcc
	v_cmp_eq_u32_e32 vcc, 1, v84
	s_waitcnt lgkmcnt(0)
	v_and_b32_e32 v84, 1, v86
	v_cmp_eq_u32_e64 s[0:1], 1, v84
	s_or_b64 s[0:1], vcc, s[0:1]
	s_and_b64 s[0:1], s[0:1], exec
	v_lshl_add_u64 v[24:25], v[88:89], 0, v[24:25]
	s_or_b64 s[52:53], s[52:53], s[0:1]
	s_branch .LBB1343_170
.LBB1343_188:                           ;   in Loop: Header=BB1343_171 Depth=1
                                        ; implicit-def: $vgpr84
                                        ; implicit-def: $vgpr24_vgpr25
                                        ; implicit-def: $vgpr53
	s_cbranch_execz .LBB1343_171
; %bb.189:
	s_and_saveexec_b64 s[0:1], s[48:49]
	s_cbranch_execz .LBB1343_191
; %bb.190:
	v_readlane_b32 s80, v131, 0
	s_mov_b32 s53, 0
	v_mov_b32_e32 v12, 0
	s_add_i32 s52, s92, 64
	v_readlane_b32 s82, v131, 2
	v_readlane_b32 s83, v131, 3
	v_cmp_eq_u32_sdwa vcc, v82, v12 src0_sel:BYTE_0 src1_sel:DWORD
	s_lshl_b64 s[54:55], s[52:53], 4
	s_mov_b64 s[62:63], s[82:83]
	v_cndmask_b32_e32 v9, 0, v21, vcc
	v_cndmask_b32_e32 v8, 0, v20, vcc
	v_and_b32_e32 v13, 1, v82
	s_add_u32 s54, s62, s54
	v_lshl_add_u64 v[8:9], v[8:9], 0, v[80:81]
	v_and_b32_e32 v24, 1, v52
	v_cmp_eq_u32_e32 vcc, 1, v13
	v_readlane_b32 s84, v131, 4
	v_readlane_b32 s85, v131, 5
	s_addc_u32 s55, s63, s55
	v_cndmask_b32_e64 v13, v24, 1, vcc
	v_readlane_b32 s86, v131, 6
	s_mov_b64 s[64:65], s[84:85]
	global_store_dword v12, v8, s[54:55] sc1
	global_store_dword v12, v9, s[54:55] offset:4 sc1
	global_store_dword v12, v13, s[54:55] offset:8 sc1
	;; [unrolled: 1-line block ×3, first 2 shown]
	v_mov_b32_e32 v8, s52
	v_mov_b32_e32 v9, 2
	v_readlane_b32 s81, v131, 1
	v_readlane_b32 s87, v131, 7
	s_mov_b32 s66, s86
	s_waitcnt vmcnt(0) lgkmcnt(0)
	global_store_byte v8, v9, s[64:65] sc1
.LBB1343_191:
	s_or_b64 exec, exec, s[0:1]
	s_and_b64 exec, exec, s[68:69]
	s_cbranch_execz .LBB1343_193
; %bb.192:
	v_mov_b32_e32 v8, 0
	ds_write_b64 v8, v[20:21] offset:48
	ds_write_b8 v8, v52 offset:56
.LBB1343_193:
	s_or_b64 exec, exec, s[50:51]
	s_waitcnt lgkmcnt(0)
	v_cndmask_b32_e64 v8, v49, v44, s[48:49]
	v_mov_b32_e32 v13, 0
	v_cndmask_b32_e64 v9, v48, v5, s[48:49]
	v_cndmask_b32_e64 v12, v45, v4, s[48:49]
	v_cmp_eq_u16_sdwa vcc, v1, v13 src0_sel:BYTE_0 src1_sel:DWORD
	v_and_b32_e32 v20, 1, v1
	v_and_b32_e32 v8, 1, v8
	s_barrier
	ds_read_b64 v[4:5], v13 offset:48
	v_cndmask_b32_e32 v12, 0, v12, vcc
	v_cndmask_b32_e32 v9, 0, v9, vcc
	v_cmp_eq_u32_e32 vcc, 1, v20
	v_cmp_eq_u32_e64 s[0:1], 1, v8
	s_or_b64 s[0:1], vcc, s[0:1]
	v_cndmask_b32_e64 v9, v9, 0, s[68:69]
	v_cndmask_b32_e64 v8, 0, 1, s[0:1]
	v_cndmask_b32_e64 v20, v8, v1, s[68:69]
	v_cndmask_b32_e64 v8, v12, 0, s[68:69]
	v_cmp_eq_u16_sdwa vcc, v20, v13 src0_sel:BYTE_0 src1_sel:DWORD
	v_lshl_add_u64 v[8:9], v[8:9], 0, v[2:3]
	s_waitcnt lgkmcnt(0)
	v_cndmask_b32_e32 v5, 0, v5, vcc
	v_cndmask_b32_e32 v4, 0, v4, vcc
	v_lshl_add_u64 v[114:115], v[8:9], 0, v[4:5]
	v_cndmask_b32_e64 v5, 0, v115, s[6:7]
	v_cndmask_b32_e64 v4, 0, v114, s[6:7]
	v_lshl_add_u64 v[44:45], v[4:5], 0, v[14:15]
	v_cndmask_b32_e64 v5, 0, v45, s[8:9]
	v_cndmask_b32_e64 v4, 0, v44, s[8:9]
	v_lshl_add_u64 v[80:81], v[4:5], 0, v[6:7]
	v_cndmask_b32_e64 v5, 0, v81, s[10:11]
	v_cndmask_b32_e64 v4, 0, v80, s[10:11]
	v_lshl_add_u64 v[48:49], v[4:5], 0, v[26:27]
	v_cndmask_b32_e64 v5, 0, v49, s[12:13]
	v_cndmask_b32_e64 v4, 0, v48, s[12:13]
	v_lshl_add_u64 v[84:85], v[4:5], 0, v[18:19]
	v_cndmask_b32_e64 v5, 0, v85, s[14:15]
	v_cndmask_b32_e64 v4, 0, v84, s[14:15]
	v_lshl_add_u64 v[52:53], v[4:5], 0, v[34:35]
	v_cndmask_b32_e64 v5, 0, v53, s[16:17]
	v_cndmask_b32_e64 v4, 0, v52, s[16:17]
	v_lshl_add_u64 v[88:89], v[4:5], 0, v[22:23]
	v_cndmask_b32_e64 v5, 0, v89, s[18:19]
	v_cndmask_b32_e64 v4, 0, v88, s[18:19]
	v_lshl_add_u64 v[56:57], v[4:5], 0, v[42:43]
	v_cndmask_b32_e64 v5, 0, v57, s[20:21]
	v_cndmask_b32_e64 v4, 0, v56, s[20:21]
	v_lshl_add_u64 v[92:93], v[4:5], 0, v[30:31]
	v_cndmask_b32_e64 v5, 0, v93, s[22:23]
	v_cndmask_b32_e64 v4, 0, v92, s[22:23]
	v_lshl_add_u64 v[60:61], v[4:5], 0, v[50:51]
	v_cndmask_b32_e64 v5, 0, v61, s[24:25]
	v_cndmask_b32_e64 v4, 0, v60, s[24:25]
	v_lshl_add_u64 v[96:97], v[4:5], 0, v[38:39]
	v_cndmask_b32_e64 v5, 0, v97, s[26:27]
	v_cndmask_b32_e64 v4, 0, v96, s[26:27]
	v_lshl_add_u64 v[64:65], v[4:5], 0, v[58:59]
	v_cndmask_b32_e64 v5, 0, v65, s[28:29]
	v_cndmask_b32_e64 v4, 0, v64, s[28:29]
	v_lshl_add_u64 v[100:101], v[4:5], 0, v[46:47]
	v_cndmask_b32_e64 v5, 0, v101, s[30:31]
	v_cndmask_b32_e64 v4, 0, v100, s[30:31]
	v_lshl_add_u64 v[68:69], v[4:5], 0, v[66:67]
	v_cndmask_b32_e64 v5, 0, v69, s[34:35]
	v_cndmask_b32_e64 v4, 0, v68, s[34:35]
	v_lshl_add_u64 v[104:105], v[4:5], 0, v[54:55]
	v_cndmask_b32_e64 v5, 0, v105, s[36:37]
	v_cndmask_b32_e64 v4, 0, v104, s[36:37]
	v_lshl_add_u64 v[72:73], v[4:5], 0, v[74:75]
	v_cndmask_b32_e64 v5, 0, v73, s[38:39]
	v_cndmask_b32_e64 v4, 0, v72, s[38:39]
	v_lshl_add_u64 v[108:109], v[4:5], 0, v[62:63]
	v_cndmask_b32_e64 v5, 0, v109, s[40:41]
	v_cndmask_b32_e64 v4, 0, v108, s[40:41]
	v_lshl_add_u64 v[76:77], v[4:5], 0, v[78:79]
	v_cndmask_b32_e64 v5, 0, v77, s[42:43]
	v_cndmask_b32_e64 v4, 0, v76, s[42:43]
	v_lshl_add_u64 v[112:113], v[4:5], 0, v[70:71]
	v_cndmask_b32_e64 v5, 0, v113, s[44:45]
	v_cndmask_b32_e64 v4, 0, v112, s[44:45]
	v_lshl_add_u64 v[118:119], v[4:5], 0, v[10:11]
	v_cndmask_b32_e64 v5, 0, v119, s[46:47]
	v_cndmask_b32_e64 v4, 0, v118, s[46:47]
	v_lshl_add_u64 v[120:121], v[4:5], 0, v[16:17]
	s_branch .LBB1343_224
.LBB1343_194:
                                        ; implicit-def: $vgpr112_vgpr113_vgpr114_vgpr115
                                        ; implicit-def: $vgpr120_vgpr121
                                        ; implicit-def: $vgpr118_vgpr119
                                        ; implicit-def: $vgpr76_vgpr77
                                        ; implicit-def: $vgpr72_vgpr73
                                        ; implicit-def: $vgpr68_vgpr69
                                        ; implicit-def: $vgpr64_vgpr65
                                        ; implicit-def: $vgpr60_vgpr61
                                        ; implicit-def: $vgpr56_vgpr57
                                        ; implicit-def: $vgpr52_vgpr53
                                        ; implicit-def: $vgpr48_vgpr49
                                        ; implicit-def: $vgpr44_vgpr45
                                        ; implicit-def: $vgpr108_vgpr109_vgpr110_vgpr111
                                        ; implicit-def: $vgpr104_vgpr105_vgpr106_vgpr107
                                        ; implicit-def: $vgpr100_vgpr101_vgpr102_vgpr103
                                        ; implicit-def: $vgpr96_vgpr97_vgpr98_vgpr99
                                        ; implicit-def: $vgpr92_vgpr93_vgpr94_vgpr95
                                        ; implicit-def: $vgpr88_vgpr89_vgpr90_vgpr91
                                        ; implicit-def: $vgpr84_vgpr85_vgpr86_vgpr87
                                        ; implicit-def: $vgpr80_vgpr81_vgpr82_vgpr83
                                        ; implicit-def: $vgpr114_vgpr115_vgpr116_vgpr117
	s_mov_b64 s[58:59], s[90:91]
	s_cbranch_execz .LBB1343_224
; %bb.195:
	v_readlane_b32 s0, v131, 8
	v_readlane_b32 s1, v131, 9
	s_cmp_lg_u64 s[0:1], 0
	s_cselect_b32 s7, s59, 0
	s_cselect_b32 s6, s58, 0
	s_cmp_lg_u64 s[6:7], 0
	s_cselect_b64 s[0:1], -1, 0
	s_and_b64 s[8:9], s[68:69], s[0:1]
	s_and_saveexec_b64 s[0:1], s[8:9]
	s_cbranch_execz .LBB1343_197
; %bb.196:
	v_mov_b32_e32 v8, 0
	global_load_dwordx2 v[4:5], v8, s[6:7]
	global_load_ubyte v9, v8, s[6:7] offset:8
	v_cmp_eq_u16_sdwa vcc, v1, v8 src0_sel:BYTE_0 src1_sel:DWORD
	s_waitcnt vmcnt(0)
	v_or_b32_e32 v1, v1, v9
	v_cndmask_b32_e32 v5, 0, v5, vcc
	v_cndmask_b32_e32 v4, 0, v4, vcc
	v_lshl_add_u64 v[2:3], v[4:5], 0, v[2:3]
	v_and_b32_e32 v1, 1, v1
.LBB1343_197:
	s_or_b64 exec, exec, s[0:1]
	v_mov_b32_e32 v9, 0
	v_cmp_eq_u16_sdwa vcc, v128, v9 src0_sel:BYTE_0 src1_sel:DWORD
	v_cmp_eq_u16_sdwa s[6:7], v130, v9 src0_sel:BYTE_0 src1_sel:DWORD
	s_movk_i32 s40, 0xff
	v_cndmask_b32_e32 v5, 0, v3, vcc
	v_cndmask_b32_e32 v4, 0, v2, vcc
	v_lshl_add_u64 v[44:45], v[4:5], 0, v[14:15]
	v_cndmask_b32_e64 v5, 0, v45, s[6:7]
	v_cndmask_b32_e64 v4, 0, v44, s[6:7]
	v_lshl_add_u64 v[80:81], v[4:5], 0, v[6:7]
	v_and_b32_sdwa v4, v128, s40 dst_sel:DWORD dst_unused:UNUSED_PAD src0_sel:WORD_1 src1_sel:DWORD
	v_cmp_eq_u16_e64 s[8:9], 0, v4
	v_cmp_eq_u16_sdwa s[10:11], v128, v9 src0_sel:BYTE_3 src1_sel:DWORD
	v_cmp_eq_u16_sdwa s[12:13], v123, v9 src0_sel:BYTE_0 src1_sel:DWORD
	v_cndmask_b32_e64 v5, 0, v81, s[8:9]
	v_cndmask_b32_e64 v4, 0, v80, s[8:9]
	v_lshl_add_u64 v[48:49], v[4:5], 0, v[26:27]
	v_cndmask_b32_e64 v5, 0, v49, s[10:11]
	v_cndmask_b32_e64 v4, 0, v48, s[10:11]
	v_lshl_add_u64 v[84:85], v[4:5], 0, v[18:19]
	;; [unrolled: 3-line block ×3, first 2 shown]
	v_cmp_eq_u16_sdwa s[14:15], v127, v9 src0_sel:BYTE_0 src1_sel:DWORD
	v_cmp_eq_u16_sdwa s[16:17], v41, v9 src0_sel:BYTE_0 src1_sel:DWORD
	v_cmp_eq_u16_sdwa s[20:21], v127, v9 src0_sel:BYTE_3 src1_sel:DWORD
	v_cndmask_b32_e64 v5, 0, v53, s[14:15]
	v_cndmask_b32_e64 v4, 0, v52, s[14:15]
	v_lshl_add_u64 v[88:89], v[4:5], 0, v[22:23]
	v_cndmask_b32_e64 v5, 0, v89, s[16:17]
	v_cndmask_b32_e64 v4, 0, v88, s[16:17]
	v_lshl_add_u64 v[56:57], v[4:5], 0, v[42:43]
	v_and_b32_sdwa v4, v127, s40 dst_sel:DWORD dst_unused:UNUSED_PAD src0_sel:WORD_1 src1_sel:DWORD
	v_cmp_eq_u16_e64 s[18:19], 0, v4
	v_cmp_eq_u16_sdwa s[22:23], v124, v9 src0_sel:BYTE_0 src1_sel:DWORD
	v_cmp_eq_u16_sdwa s[24:25], v126, v9 src0_sel:BYTE_0 src1_sel:DWORD
	v_cndmask_b32_e64 v5, 0, v57, s[18:19]
	v_cndmask_b32_e64 v4, 0, v56, s[18:19]
	v_lshl_add_u64 v[92:93], v[4:5], 0, v[30:31]
	v_cndmask_b32_e64 v5, 0, v93, s[20:21]
	v_cndmask_b32_e64 v4, 0, v92, s[20:21]
	v_lshl_add_u64 v[60:61], v[4:5], 0, v[50:51]
	;; [unrolled: 3-line block ×4, first 2 shown]
	v_cmp_eq_u16_sdwa s[26:27], v40, v9 src0_sel:BYTE_0 src1_sel:DWORD
	v_cmp_eq_u16_sdwa s[30:31], v126, v9 src0_sel:BYTE_3 src1_sel:DWORD
	v_cmp_eq_u16_sdwa s[34:35], v122, v9 src0_sel:BYTE_0 src1_sel:DWORD
	v_cndmask_b32_e64 v5, 0, v65, s[26:27]
	v_cndmask_b32_e64 v4, 0, v64, s[26:27]
	v_lshl_add_u64 v[100:101], v[4:5], 0, v[46:47]
	v_and_b32_sdwa v4, v126, s40 dst_sel:DWORD dst_unused:UNUSED_PAD src0_sel:WORD_1 src1_sel:DWORD
	v_cmp_eq_u16_e64 s[28:29], 0, v4
	v_cmp_eq_u16_sdwa s[36:37], v125, v9 src0_sel:BYTE_0 src1_sel:DWORD
	v_cmp_eq_u16_sdwa s[38:39], v36, v9 src0_sel:BYTE_0 src1_sel:DWORD
	v_cndmask_b32_e64 v5, 0, v101, s[28:29]
	v_cndmask_b32_e64 v4, 0, v100, s[28:29]
	v_lshl_add_u64 v[68:69], v[4:5], 0, v[66:67]
	v_cndmask_b32_e64 v5, 0, v69, s[30:31]
	v_cndmask_b32_e64 v4, 0, v68, s[30:31]
	v_lshl_add_u64 v[104:105], v[4:5], 0, v[54:55]
	;; [unrolled: 3-line block ×5, first 2 shown]
	v_and_b32_sdwa v4, v125, s40 dst_sel:DWORD dst_unused:UNUSED_PAD src0_sel:WORD_1 src1_sel:DWORD
	v_cmp_eq_u16_e64 s[40:41], 0, v4
	v_cmp_eq_u16_sdwa s[42:43], v125, v9 src0_sel:BYTE_3 src1_sel:DWORD
	v_cmp_eq_u16_sdwa s[44:45], v28, v9 src0_sel:BYTE_0 src1_sel:DWORD
	v_cndmask_b32_e64 v5, 0, v77, s[40:41]
	v_cndmask_b32_e64 v4, 0, v76, s[40:41]
	v_lshl_add_u64 v[112:113], v[4:5], 0, v[70:71]
	v_cndmask_b32_e64 v5, 0, v113, s[42:43]
	v_cndmask_b32_e64 v4, 0, v112, s[42:43]
	v_lshl_add_u64 v[118:119], v[4:5], 0, v[10:11]
	;; [unrolled: 3-line block ×3, first 2 shown]
	v_or_b32_e32 v4, v125, v126
	v_or3_b32 v4, v4, v127, v128
	v_lshrrev_b16_e32 v9, 7, v4
	v_and_b32_e32 v5, 1, v4
	v_and_b32_e32 v9, 2, v9
	v_or_b32_e32 v5, v5, v9
	v_lshrrev_b32_e32 v9, 23, v4
	v_mov_b32_e32 v12, 1
	v_and_b32_e32 v9, 2, v9
	v_and_b32_sdwa v4, v4, v12 dst_sel:DWORD dst_unused:UNUSED_PAD src0_sel:WORD_1 src1_sel:DWORD
	v_or_b32_e32 v4, v4, v9
	v_lshlrev_b16_e32 v4, 2, v4
	v_or_b32_e32 v4, v5, v4
	v_cmp_eq_u32_e64 s[50:51], 1, v32
	v_cmp_ne_u16_e64 s[52:53], 0, v4
	v_cmp_eq_u32_e64 s[48:49], 1, v33
	s_or_b64 s[50:51], s[52:53], s[50:51]
	v_cmp_eq_u32_e64 s[0:1], 1, v37
	s_or_b64 s[48:49], s[50:51], s[48:49]
	;; [unrolled: 2-line block ×3, first 2 shown]
	v_and_b32_e32 v8, 0xff, v1
	s_or_b64 s[0:1], s[0:1], s[46:47]
	v_mbcnt_hi_u32_b32 v12, -1, v29
	v_cndmask_b32_e64 v13, v8, 1, s[0:1]
	v_and_b32_e32 v20, 15, v12
	v_mov_b32_dpp v24, v120 row_shr:1 row_mask:0xf bank_mask:0xf
	v_mov_b32_dpp v25, v121 row_shr:1 row_mask:0xf bank_mask:0xf
	;; [unrolled: 1-line block ×3, first 2 shown]
	v_cmp_ne_u32_e64 s[0:1], 0, v20
	v_mov_b64_e32 v[4:5], v[120:121]
	v_mov_b32_e32 v9, v121
	v_mov_b32_e32 v8, v120
	s_and_saveexec_b64 s[46:47], s[0:1]
; %bb.198:
	v_cmp_eq_u32_e64 s[0:1], 0, v13
	v_and_or_b32 v13, v21, 1, v13
	s_nop 0
	v_cndmask_b32_e64 v5, 0, v25, s[0:1]
	v_cndmask_b32_e64 v4, 0, v24, s[0:1]
	v_lshl_add_u64 v[4:5], v[120:121], 0, v[4:5]
	v_mov_b32_e32 v9, v5
	v_mov_b32_e32 v8, v4
; %bb.199:
	s_or_b64 exec, exec, s[46:47]
	s_nop 0
	v_mov_b32_dpp v24, v8 row_shr:2 row_mask:0xf bank_mask:0xf
	v_mov_b32_dpp v25, v9 row_shr:2 row_mask:0xf bank_mask:0xf
	v_mov_b32_dpp v21, v13 row_shr:2 row_mask:0xf bank_mask:0xf
	v_cmp_lt_u32_e64 s[0:1], 1, v20
	s_and_saveexec_b64 s[46:47], s[0:1]
; %bb.200:
	v_cmp_eq_u32_e64 s[0:1], 0, v13
	s_nop 1
	v_cndmask_b32_e64 v9, 0, v25, s[0:1]
	v_cndmask_b32_e64 v8, 0, v24, s[0:1]
	v_lshl_add_u64 v[8:9], v[8:9], 0, v[4:5]
	v_or_b32_e32 v4, v21, v13
	v_and_b32_e32 v13, 1, v4
	v_mov_b64_e32 v[4:5], v[8:9]
; %bb.201:
	s_or_b64 exec, exec, s[46:47]
	v_mov_b32_dpp v24, v8 row_shr:4 row_mask:0xf bank_mask:0xf
	v_mov_b32_dpp v25, v9 row_shr:4 row_mask:0xf bank_mask:0xf
	v_mov_b32_dpp v21, v13 row_shr:4 row_mask:0xf bank_mask:0xf
	v_cmp_lt_u32_e64 s[0:1], 3, v20
	s_and_saveexec_b64 s[46:47], s[0:1]
; %bb.202:
	v_cmp_eq_u32_e64 s[0:1], 0, v13
	s_nop 1
	v_cndmask_b32_e64 v9, 0, v25, s[0:1]
	v_cndmask_b32_e64 v8, 0, v24, s[0:1]
	v_lshl_add_u64 v[8:9], v[8:9], 0, v[4:5]
	v_or_b32_e32 v4, v21, v13
	v_and_b32_e32 v13, 1, v4
	v_mov_b64_e32 v[4:5], v[8:9]
; %bb.203:
	s_or_b64 exec, exec, s[46:47]
	;; [unrolled: 16-line block ×3, first 2 shown]
	v_and_b32_e32 v25, 16, v12
	v_mov_b32_dpp v21, v8 row_bcast:15 row_mask:0xf bank_mask:0xf
	v_mov_b32_dpp v24, v9 row_bcast:15 row_mask:0xf bank_mask:0xf
	;; [unrolled: 1-line block ×3, first 2 shown]
	v_cmp_ne_u32_e64 s[0:1], 0, v25
	s_and_saveexec_b64 s[46:47], s[0:1]
; %bb.206:
	v_cmp_eq_u32_e64 s[0:1], 0, v13
	s_nop 1
	v_cndmask_b32_e64 v9, 0, v24, s[0:1]
	v_cndmask_b32_e64 v8, 0, v21, s[0:1]
	v_lshl_add_u64 v[4:5], v[8:9], 0, v[4:5]
	v_or_b32_e32 v8, v20, v13
	v_and_b32_e32 v13, 1, v8
	v_mov_b32_e32 v9, v5
	v_mov_b32_e32 v8, v4
; %bb.207:
	s_or_b64 exec, exec, s[46:47]
	s_nop 0
	v_mov_b32_dpp v20, v8 row_bcast:31 row_mask:0xf bank_mask:0xf
	v_mov_b32_dpp v21, v9 row_bcast:31 row_mask:0xf bank_mask:0xf
	;; [unrolled: 1-line block ×3, first 2 shown]
	v_cmp_lt_u32_e64 s[0:1], 31, v12
	v_mov_b32_e32 v8, v13
	s_and_saveexec_b64 s[46:47], s[0:1]
; %bb.208:
	v_cmp_eq_u32_e64 s[0:1], 0, v13
	v_or_b32_e32 v9, v9, v13
	v_and_b32_e32 v8, 1, v9
	v_cndmask_b32_e64 v21, 0, v21, s[0:1]
	v_cndmask_b32_e64 v20, 0, v20, s[0:1]
	v_lshl_add_u64 v[4:5], v[20:21], 0, v[4:5]
	v_and_b32_e32 v13, 1, v9
; %bb.209:
	s_or_b64 exec, exec, s[46:47]
	v_or_b32_e32 v9, 63, v0
	v_lshrrev_b32_e32 v20, 6, v0
	v_cmp_eq_u32_e64 s[0:1], v9, v0
	s_and_saveexec_b64 s[46:47], s[0:1]
	s_cbranch_execz .LBB1343_211
; %bb.210:
	v_lshlrev_b32_e32 v9, 4, v20
	ds_write_b64 v9, v[4:5]
	ds_write_b8 v9, v8 offset:8
.LBB1343_211:
	s_or_b64 exec, exec, s[46:47]
	v_cmp_gt_u32_e64 s[0:1], 4, v0
	s_waitcnt lgkmcnt(0)
	s_barrier
	s_and_saveexec_b64 s[48:49], s[0:1]
	s_cbranch_execz .LBB1343_217
; %bb.212:
	v_lshlrev_b32_e32 v21, 4, v0
	ds_read_b64 v[8:9], v21
	ds_read_b32 v24, v21 offset:8
	v_and_b32_e32 v25, 3, v12
	v_cmp_ne_u32_e64 s[0:1], 0, v25
	s_waitcnt lgkmcnt(1)
	v_mov_b32_dpp v33, v8 row_shr:1 row_mask:0xf bank_mask:0xf
	v_mov_b32_dpp v36, v9 row_shr:1 row_mask:0xf bank_mask:0xf
	s_waitcnt lgkmcnt(0)
	v_mov_b32_dpp v32, v24 row_shr:1 row_mask:0xf bank_mask:0xf
	v_mov_b32_e32 v28, v24
	v_mov_b32_e32 v29, v24
	s_and_saveexec_b64 s[46:47], s[0:1]
; %bb.213:
	v_mov_b32_e32 v28, 0
	v_cmp_eq_u16_sdwa s[0:1], v24, v28 src0_sel:BYTE_0 src1_sel:DWORD
	s_nop 1
	v_cndmask_b32_e64 v29, 0, v36, s[0:1]
	v_cndmask_b32_e64 v28, 0, v33, s[0:1]
	v_lshl_add_u64 v[8:9], v[28:29], 0, v[8:9]
	v_or_b32_e32 v29, v32, v24
	v_and_b32_e32 v28, 1, v29
	v_and_b32_e32 v29, 1, v29
	s_movk_i32 s0, 0xff00
	v_and_or_b32 v24, v24, s0, v29
; %bb.214:
	s_or_b64 exec, exec, s[46:47]
	v_mov_b32_dpp v32, v8 row_shr:2 row_mask:0xf bank_mask:0xf
	v_mov_b32_dpp v33, v9 row_shr:2 row_mask:0xf bank_mask:0xf
	;; [unrolled: 1-line block ×3, first 2 shown]
	v_cmp_lt_u32_e64 s[0:1], 1, v25
	s_and_saveexec_b64 s[50:51], s[0:1]
; %bb.215:
	v_mov_b32_e32 v25, 0
	v_cmp_eq_u16_sdwa s[0:1], v29, v25 src0_sel:BYTE_0 src1_sel:DWORD
	v_and_b32_e32 v25, 1, v29
	v_and_b32_e32 v24, 1, v24
	v_cndmask_b32_e64 v33, 0, v33, s[0:1]
	v_cndmask_b32_e64 v32, 0, v32, s[0:1]
	v_cmp_eq_u32_e64 s[0:1], 1, v25
	v_cmp_eq_u32_e64 s[46:47], 1, v24
	s_or_b64 s[0:1], s[0:1], s[46:47]
	v_lshl_add_u64 v[8:9], v[32:33], 0, v[8:9]
	v_cndmask_b32_e64 v28, 0, 1, s[0:1]
; %bb.216:
	s_or_b64 exec, exec, s[50:51]
	ds_write_b64 v21, v[8:9]
	ds_write_b8 v21, v28 offset:8
.LBB1343_217:
	s_or_b64 exec, exec, s[48:49]
	v_cmp_lt_u32_e64 s[0:1], 63, v0
	v_mov_b64_e32 v[8:9], 0
	s_waitcnt lgkmcnt(0)
	s_barrier
	s_and_saveexec_b64 s[46:47], s[0:1]
	s_cbranch_execz .LBB1343_219
; %bb.218:
	v_lshl_add_u32 v8, v20, 4, -16
	ds_read_b64 v[8:9], v8
	v_cmp_eq_u32_e64 s[0:1], 0, v13
	s_waitcnt lgkmcnt(0)
	s_nop 0
	v_cndmask_b32_e64 v21, 0, v9, s[0:1]
	v_cndmask_b32_e64 v20, 0, v8, s[0:1]
	v_lshl_add_u64 v[4:5], v[20:21], 0, v[4:5]
.LBB1343_219:
	s_or_b64 exec, exec, s[46:47]
	v_add_u32_e32 v13, -1, v12
	v_and_b32_e32 v20, 64, v12
	v_cmp_lt_i32_e64 s[0:1], v13, v20
	s_nop 1
	v_cndmask_b32_e64 v13, v13, v12, s[0:1]
	v_lshlrev_b32_e32 v13, 2, v13
	ds_bpermute_b32 v4, v13, v4
	ds_bpermute_b32 v5, v13, v5
	s_and_saveexec_b64 s[46:47], s[4:5]
	s_cbranch_execz .LBB1343_221
; %bb.220:
	v_cmp_eq_u32_e64 s[0:1], 0, v12
	;;#ASMSTART
	;;#ASMEND
	s_waitcnt lgkmcnt(1)
	s_nop 0
	v_cndmask_b32_e64 v4, v4, v8, s[0:1]
	v_mov_b32_e32 v8, 0
	s_waitcnt lgkmcnt(0)
	v_cndmask_b32_e64 v5, v5, v9, s[0:1]
	v_cmp_eq_u16_sdwa s[0:1], v1, v8 src0_sel:BYTE_0 src1_sel:DWORD
	s_nop 1
	v_cndmask_b32_e64 v5, 0, v5, s[0:1]
	v_cndmask_b32_e64 v4, 0, v4, s[0:1]
	v_lshl_add_u64 v[2:3], v[4:5], 0, v[2:3]
	v_cndmask_b32_e32 v5, 0, v3, vcc
	v_cndmask_b32_e32 v4, 0, v2, vcc
	v_lshl_add_u64 v[44:45], v[4:5], 0, v[14:15]
	v_cndmask_b32_e64 v5, 0, v45, s[6:7]
	v_cndmask_b32_e64 v4, 0, v44, s[6:7]
	v_lshl_add_u64 v[80:81], v[4:5], 0, v[6:7]
	v_cndmask_b32_e64 v5, 0, v81, s[8:9]
	v_cndmask_b32_e64 v4, 0, v80, s[8:9]
	;; [unrolled: 3-line block ×19, first 2 shown]
	v_lshl_add_u64 v[120:121], v[4:5], 0, v[16:17]
.LBB1343_221:
	s_or_b64 exec, exec, s[46:47]
	s_and_saveexec_b64 s[0:1], s[68:69]
	s_cbranch_execz .LBB1343_223
; %bb.222:
	v_mov_b32_e32 v1, 0
	s_waitcnt lgkmcnt(0)
	ds_read_b64 v[4:5], v1 offset:48
	ds_read_u8 v6, v1 offset:56
	v_readlane_b32 s4, v131, 0
	v_readlane_b32 s6, v131, 2
	;; [unrolled: 1-line block ×5, first 2 shown]
	s_waitcnt lgkmcnt(1)
	s_nop 1
	global_store_dword v1, v4, s[6:7] offset:1024 sc1
	global_store_dword v1, v5, s[6:7] offset:1028 sc1
	s_waitcnt lgkmcnt(0)
	global_store_dword v1, v6, s[6:7] offset:1032 sc1
	global_store_dword v1, v1, s[6:7] offset:1036 sc1
	v_mov_b32_e32 v4, 2
	v_readlane_b32 s5, v131, 1
	v_readlane_b32 s10, v131, 6
	;; [unrolled: 1-line block ×3, first 2 shown]
	s_waitcnt vmcnt(0)
	global_store_byte v1, v4, s[8:9] offset:64 sc1
.LBB1343_223:
	s_or_b64 exec, exec, s[0:1]
	v_mov_b64_e32 v[114:115], v[2:3]
.LBB1343_224:
	s_add_u32 s0, s78, s88
	s_addc_u32 s1, s79, s89
	s_add_u32 s0, s0, s2
	s_addc_u32 s1, s1, s3
	s_and_b64 vcc, exec, s[60:61]
	v_lshlrev_b32_e32 v42, 3, v0
	s_cbranch_vccz .LBB1343_266
; %bb.225:
	s_movk_i32 s2, 0xa8
	v_mul_i32_i24_e32 v50, 0xffffff60, v0
	v_mul_u32_u24_e32 v1, 0xa8, v0
	v_mad_u32_u24 v2, v0, s2, v50
	s_waitcnt lgkmcnt(0)
	s_barrier
	ds_write2_b64 v1, v[114:115], v[44:45] offset1:1
	ds_write2_b64 v1, v[80:81], v[48:49] offset0:2 offset1:3
	ds_write2_b64 v1, v[84:85], v[52:53] offset0:4 offset1:5
	;; [unrolled: 1-line block ×9, first 2 shown]
	ds_write_b64 v1, v[120:121] offset:160
	s_waitcnt lgkmcnt(0)
	s_barrier
	ds_read2st64_b64 v[38:41], v2 offset0:4 offset1:8
	ds_read2st64_b64 v[34:37], v2 offset0:12 offset1:16
	;; [unrolled: 1-line block ×10, first 2 shown]
	v_readlane_b32 s4, v131, 0
	v_readlane_b32 s10, v131, 6
	s_add_i32 s33, s33, s10
	v_mov_b32_e32 v43, 0
	v_lshl_add_u64 v[46:47], s[0:1], 0, v[42:43]
	v_cmp_gt_u32_e32 vcc, s33, v0
	v_readlane_b32 s5, v131, 1
	v_readlane_b32 s6, v131, 2
	;; [unrolled: 1-line block ×6, first 2 shown]
	s_and_saveexec_b64 s[2:3], vcc
	s_cbranch_execz .LBB1343_227
; %bb.226:
	v_add_u32_e32 v1, v1, v50
	ds_read_b64 v[50:51], v1
	s_waitcnt lgkmcnt(0)
	flat_store_dwordx2 v[46:47], v[50:51]
.LBB1343_227:
	s_or_b64 exec, exec, s[2:3]
	v_or_b32_e32 v1, 0x100, v0
	v_cmp_gt_u32_e32 vcc, s33, v1
	s_and_saveexec_b64 s[2:3], vcc
	s_cbranch_execz .LBB1343_229
; %bb.228:
	s_waitcnt lgkmcnt(0)
	flat_store_dwordx2 v[46:47], v[38:39] offset:2048
.LBB1343_229:
	s_or_b64 exec, exec, s[2:3]
	v_or_b32_e32 v1, 0x200, v0
	v_cmp_gt_u32_e32 vcc, s33, v1
	s_and_saveexec_b64 s[2:3], vcc
	s_cbranch_execz .LBB1343_231
; %bb.230:
	s_waitcnt lgkmcnt(0)
	v_add_co_u32_e32 v38, vcc, 0x1000, v46
	s_nop 1
	v_addc_co_u32_e32 v39, vcc, 0, v47, vcc
	flat_store_dwordx2 v[38:39], v[40:41]
.LBB1343_231:
	s_or_b64 exec, exec, s[2:3]
	v_or_b32_e32 v1, 0x300, v0
	v_cmp_gt_u32_e32 vcc, s33, v1
	s_and_saveexec_b64 s[2:3], vcc
	s_cbranch_execz .LBB1343_233
; %bb.232:
	s_waitcnt lgkmcnt(0)
	v_add_co_u32_e32 v38, vcc, 0x1000, v46
	s_nop 1
	v_addc_co_u32_e32 v39, vcc, 0, v47, vcc
	flat_store_dwordx2 v[38:39], v[34:35] offset:2048
.LBB1343_233:
	s_or_b64 exec, exec, s[2:3]
	v_or_b32_e32 v1, 0x400, v0
	v_cmp_gt_u32_e32 vcc, s33, v1
	s_and_saveexec_b64 s[2:3], vcc
	s_cbranch_execz .LBB1343_235
; %bb.234:
	s_waitcnt lgkmcnt(0)
	v_add_co_u32_e32 v34, vcc, 0x2000, v46
	s_nop 1
	v_addc_co_u32_e32 v35, vcc, 0, v47, vcc
	flat_store_dwordx2 v[34:35], v[36:37]
.LBB1343_235:
	s_or_b64 exec, exec, s[2:3]
	v_or_b32_e32 v1, 0x500, v0
	v_cmp_gt_u32_e32 vcc, s33, v1
	s_and_saveexec_b64 s[2:3], vcc
	s_cbranch_execz .LBB1343_237
; %bb.236:
	s_waitcnt lgkmcnt(0)
	v_add_co_u32_e32 v34, vcc, 0x2000, v46
	s_nop 1
	v_addc_co_u32_e32 v35, vcc, 0, v47, vcc
	flat_store_dwordx2 v[34:35], v[30:31] offset:2048
.LBB1343_237:
	;; [unrolled: 24-line block ×9, first 2 shown]
	s_or_b64 exec, exec, s[2:3]
	s_waitcnt lgkmcnt(0)
	v_or_b32_e32 v2, 0x1400, v0
	v_mov_b32_e32 v1, v43
	v_cmp_gt_u32_e64 s[2:3], s33, v2
	s_branch .LBB1343_268
.LBB1343_266:
	s_mov_b64 s[2:3], 0
                                        ; implicit-def: $vgpr4_vgpr5
	s_cbranch_execz .LBB1343_268
; %bb.267:
	v_mul_u32_u24_e32 v1, 0xa8, v0
	s_waitcnt lgkmcnt(0)
	s_barrier
	s_movk_i32 s4, 0xa8
	ds_write2_b64 v1, v[114:115], v[44:45] offset1:1
	ds_write2_b64 v1, v[80:81], v[48:49] offset0:2 offset1:3
	ds_write2_b64 v1, v[84:85], v[52:53] offset0:4 offset1:5
	;; [unrolled: 1-line block ×9, first 2 shown]
	ds_write_b64 v1, v[120:121] offset:160
	v_mov_b32_e32 v1, 0
	v_mul_i32_i24_e32 v2, 0xffffff60, v0
	v_mad_u32_u24 v2, v0, s4, v2
	v_mov_b32_e32 v43, v1
	s_waitcnt lgkmcnt(0)
	s_barrier
	ds_read2st64_b64 v[6:9], v2 offset1:4
	ds_read2st64_b64 v[10:13], v2 offset0:8 offset1:12
	ds_read2st64_b64 v[14:17], v2 offset0:16 offset1:20
	;; [unrolled: 1-line block ×9, first 2 shown]
	ds_read_b64 v[4:5], v2 offset:40960
	v_lshl_add_u64 v[2:3], s[0:1], 0, v[42:43]
	s_movk_i32 s4, 0x1000
	s_waitcnt lgkmcnt(0)
	flat_store_dwordx2 v[2:3], v[6:7]
	flat_store_dwordx2 v[2:3], v[8:9] offset:2048
	v_add_co_u32_e32 v6, vcc, s4, v2
	s_movk_i32 s4, 0x2000
	s_nop 0
	v_addc_co_u32_e32 v7, vcc, 0, v3, vcc
	flat_store_dwordx2 v[6:7], v[10:11]
	flat_store_dwordx2 v[6:7], v[12:13] offset:2048
	v_add_co_u32_e32 v6, vcc, s4, v2
	s_movk_i32 s4, 0x3000
	s_nop 0
	v_addc_co_u32_e32 v7, vcc, 0, v3, vcc
	;; [unrolled: 6-line block ×6, first 2 shown]
	flat_store_dwordx2 v[6:7], v[30:31]
	flat_store_dwordx2 v[6:7], v[32:33] offset:2048
	v_add_co_u32_e32 v6, vcc, s4, v2
	s_or_b64 s[2:3], s[2:3], exec
	s_nop 0
	v_addc_co_u32_e32 v7, vcc, 0, v3, vcc
	flat_store_dwordx2 v[6:7], v[34:35]
	flat_store_dwordx2 v[6:7], v[36:37] offset:2048
	v_add_co_u32_e32 v6, vcc, 0x8000, v2
	s_nop 1
	v_addc_co_u32_e32 v7, vcc, 0, v3, vcc
	v_add_co_u32_e32 v2, vcc, 0x9000, v2
	flat_store_dwordx2 v[6:7], v[38:39]
	flat_store_dwordx2 v[6:7], v[40:41] offset:2048
	v_addc_co_u32_e32 v3, vcc, 0, v3, vcc
	flat_store_dwordx2 v[2:3], v[44:45]
	flat_store_dwordx2 v[2:3], v[46:47] offset:2048
.LBB1343_268:
	s_and_saveexec_b64 s[4:5], s[2:3]
	s_cbranch_execnz .LBB1343_270
; %bb.269:
	s_endpgm
.LBB1343_270:
	v_lshl_add_u64 v[0:1], v[0:1], 3, s[0:1]
	v_add_co_u32_e32 v0, vcc, 0xa000, v0
	s_nop 1
	v_addc_co_u32_e32 v1, vcc, 0, v1, vcc
	s_waitcnt lgkmcnt(0)
	flat_store_dwordx2 v[0:1], v[4:5]
	s_endpgm
.LBB1343_271:
	v_lshlrev_b32_e32 v6, 3, v0
	v_lshl_add_u64 v[2:3], s[50:51], 0, v[6:7]
	flat_load_dwordx2 v[2:3], v[2:3]
	s_or_b64 exec, exec, s[0:1]
                                        ; implicit-def: $vgpr6_vgpr7
	s_and_saveexec_b64 s[0:1], s[8:9]
	s_cbranch_execz .LBB1343_55
.LBB1343_272:
	v_lshlrev_b32_e32 v6, 3, v0
	v_mov_b32_e32 v7, 0
	v_lshl_add_u64 v[6:7], s[50:51], 0, v[6:7]
	flat_load_dwordx2 v[6:7], v[6:7] offset:2048
	s_or_b64 exec, exec, s[0:1]
                                        ; implicit-def: $vgpr10_vgpr11
	s_and_saveexec_b64 s[0:1], s[10:11]
	s_cbranch_execz .LBB1343_56
.LBB1343_273:
	v_lshlrev_b32_e32 v10, 3, v1
	v_mov_b32_e32 v11, 0
	v_lshl_add_u64 v[10:11], s[50:51], 0, v[10:11]
	flat_load_dwordx2 v[10:11], v[10:11]
	s_or_b64 exec, exec, s[0:1]
                                        ; implicit-def: $vgpr14_vgpr15
	s_and_saveexec_b64 s[0:1], s[12:13]
	s_cbranch_execz .LBB1343_57
.LBB1343_274:
	v_lshlrev_b32_e32 v14, 3, v16
	v_mov_b32_e32 v15, 0
	v_lshl_add_u64 v[14:15], s[50:51], 0, v[14:15]
	flat_load_dwordx2 v[14:15], v[14:15]
	s_or_b64 exec, exec, s[0:1]
                                        ; implicit-def: $vgpr16_vgpr17
	s_and_saveexec_b64 s[0:1], s[14:15]
	s_cbranch_execz .LBB1343_58
.LBB1343_275:
	v_lshlrev_b32_e32 v16, 3, v18
	v_mov_b32_e32 v17, 0
	v_lshl_add_u64 v[16:17], s[50:51], 0, v[16:17]
	flat_load_dwordx2 v[16:17], v[16:17]
	s_or_b64 exec, exec, s[0:1]
                                        ; implicit-def: $vgpr18_vgpr19
	s_and_saveexec_b64 s[0:1], s[16:17]
	s_cbranch_execz .LBB1343_59
.LBB1343_276:
	v_lshlrev_b32_e32 v18, 3, v22
	v_mov_b32_e32 v19, 0
	v_lshl_add_u64 v[18:19], s[50:51], 0, v[18:19]
	flat_load_dwordx2 v[18:19], v[18:19]
	s_or_b64 exec, exec, s[0:1]
                                        ; implicit-def: $vgpr22_vgpr23
	s_and_saveexec_b64 s[0:1], s[18:19]
	s_cbranch_execz .LBB1343_60
.LBB1343_277:
	v_lshlrev_b32_e32 v22, 3, v26
	v_mov_b32_e32 v23, 0
	v_lshl_add_u64 v[22:23], s[50:51], 0, v[22:23]
	flat_load_dwordx2 v[22:23], v[22:23]
	s_or_b64 exec, exec, s[0:1]
                                        ; implicit-def: $vgpr26_vgpr27
	s_and_saveexec_b64 s[0:1], s[20:21]
	s_cbranch_execz .LBB1343_61
.LBB1343_278:
	v_lshlrev_b32_e32 v26, 3, v30
	v_mov_b32_e32 v27, 0
	v_lshl_add_u64 v[26:27], s[50:51], 0, v[26:27]
	flat_load_dwordx2 v[26:27], v[26:27]
	s_or_b64 exec, exec, s[0:1]
                                        ; implicit-def: $vgpr30_vgpr31
	s_and_saveexec_b64 s[0:1], s[22:23]
	s_cbranch_execz .LBB1343_62
.LBB1343_279:
	v_lshlrev_b32_e32 v30, 3, v34
	v_mov_b32_e32 v31, 0
	v_lshl_add_u64 v[30:31], s[50:51], 0, v[30:31]
	flat_load_dwordx2 v[30:31], v[30:31]
	s_or_b64 exec, exec, s[0:1]
                                        ; implicit-def: $vgpr34_vgpr35
	s_and_saveexec_b64 s[0:1], s[24:25]
	s_cbranch_execz .LBB1343_63
.LBB1343_280:
	v_lshlrev_b32_e32 v34, 3, v38
	v_mov_b32_e32 v35, 0
	v_lshl_add_u64 v[34:35], s[50:51], 0, v[34:35]
	flat_load_dwordx2 v[34:35], v[34:35]
	s_or_b64 exec, exec, s[0:1]
                                        ; implicit-def: $vgpr38_vgpr39
	s_and_saveexec_b64 s[0:1], s[26:27]
	s_cbranch_execz .LBB1343_64
.LBB1343_281:
	v_lshlrev_b32_e32 v38, 3, v42
	v_mov_b32_e32 v39, 0
	v_lshl_add_u64 v[38:39], s[50:51], 0, v[38:39]
	flat_load_dwordx2 v[38:39], v[38:39]
	s_or_b64 exec, exec, s[0:1]
                                        ; implicit-def: $vgpr42_vgpr43
	s_and_saveexec_b64 s[0:1], s[28:29]
	s_cbranch_execz .LBB1343_65
.LBB1343_282:
	v_lshlrev_b32_e32 v42, 3, v46
	v_mov_b32_e32 v43, 0
	v_lshl_add_u64 v[42:43], s[50:51], 0, v[42:43]
	flat_load_dwordx2 v[42:43], v[42:43]
	s_or_b64 exec, exec, s[0:1]
                                        ; implicit-def: $vgpr46_vgpr47
	s_and_saveexec_b64 s[0:1], s[30:31]
	s_cbranch_execz .LBB1343_66
.LBB1343_283:
	v_lshlrev_b32_e32 v46, 3, v48
	v_mov_b32_e32 v47, 0
	v_lshl_add_u64 v[46:47], s[50:51], 0, v[46:47]
	flat_load_dwordx2 v[46:47], v[46:47]
	s_or_b64 exec, exec, s[0:1]
                                        ; implicit-def: $vgpr48_vgpr49
	s_and_saveexec_b64 s[0:1], s[34:35]
	s_cbranch_execz .LBB1343_67
.LBB1343_284:
	v_lshlrev_b32_e32 v48, 3, v50
	v_mov_b32_e32 v49, 0
	v_lshl_add_u64 v[48:49], s[50:51], 0, v[48:49]
	flat_load_dwordx2 v[48:49], v[48:49]
	s_or_b64 exec, exec, s[0:1]
                                        ; implicit-def: $vgpr50_vgpr51
	s_and_saveexec_b64 s[0:1], s[36:37]
	s_cbranch_execz .LBB1343_68
.LBB1343_285:
	v_lshlrev_b32_e32 v50, 3, v52
	v_mov_b32_e32 v51, 0
	v_lshl_add_u64 v[50:51], s[50:51], 0, v[50:51]
	flat_load_dwordx2 v[50:51], v[50:51]
	s_or_b64 exec, exec, s[0:1]
                                        ; implicit-def: $vgpr52_vgpr53
	s_and_saveexec_b64 s[0:1], s[38:39]
	s_cbranch_execz .LBB1343_69
.LBB1343_286:
	v_lshlrev_b32_e32 v52, 3, v54
	v_mov_b32_e32 v53, 0
	v_lshl_add_u64 v[52:53], s[50:51], 0, v[52:53]
	flat_load_dwordx2 v[52:53], v[52:53]
	s_or_b64 exec, exec, s[0:1]
                                        ; implicit-def: $vgpr54_vgpr55
	s_and_saveexec_b64 s[0:1], s[40:41]
	s_cbranch_execz .LBB1343_70
.LBB1343_287:
	v_lshlrev_b32_e32 v54, 3, v56
	v_mov_b32_e32 v55, 0
	v_lshl_add_u64 v[54:55], s[50:51], 0, v[54:55]
	flat_load_dwordx2 v[54:55], v[54:55]
	s_or_b64 exec, exec, s[0:1]
                                        ; implicit-def: $vgpr56_vgpr57
	s_and_saveexec_b64 s[0:1], s[42:43]
	s_cbranch_execz .LBB1343_71
.LBB1343_288:
	v_lshlrev_b32_e32 v56, 3, v58
	v_mov_b32_e32 v57, 0
	v_lshl_add_u64 v[56:57], s[50:51], 0, v[56:57]
	flat_load_dwordx2 v[56:57], v[56:57]
	s_or_b64 exec, exec, s[0:1]
                                        ; implicit-def: $vgpr58_vgpr59
	s_and_saveexec_b64 s[0:1], s[44:45]
	s_cbranch_execz .LBB1343_72
.LBB1343_289:
	v_lshlrev_b32_e32 v58, 3, v60
	v_mov_b32_e32 v59, 0
	v_lshl_add_u64 v[58:59], s[50:51], 0, v[58:59]
	flat_load_dwordx2 v[58:59], v[58:59]
	s_or_b64 exec, exec, s[0:1]
                                        ; implicit-def: $vgpr60_vgpr61
	s_and_saveexec_b64 s[0:1], s[46:47]
	s_cbranch_execz .LBB1343_73
.LBB1343_290:
	v_lshlrev_b32_e32 v60, 3, v62
	v_mov_b32_e32 v61, 0
	v_lshl_add_u64 v[60:61], s[50:51], 0, v[60:61]
	flat_load_dwordx2 v[60:61], v[60:61]
	s_or_b64 exec, exec, s[0:1]
                                        ; implicit-def: $vgpr62_vgpr63
	s_and_saveexec_b64 s[0:1], s[48:49]
	s_cbranch_execnz .LBB1343_74
	s_branch .LBB1343_75
.LBB1343_291:
                                        ; implicit-def: $sgpr0_sgpr1
	s_branch .LBB1343_50
.LBB1343_292:
                                        ; implicit-def: $sgpr0_sgpr1
	s_branch .LBB1343_120
	.section	.rodata,"a",@progbits
	.p2align	6, 0x0
	.amdhsa_kernel _ZN7rocprim17ROCPRIM_400000_NS6detail17trampoline_kernelINS0_14default_configENS1_27scan_by_key_config_selectorIixEEZZNS1_16scan_by_key_implILNS1_25lookback_scan_determinismE0ELb0ES3_N6thrust23THRUST_200600_302600_NS6detail15normal_iteratorINS9_10device_ptrIiEEEENSB_INSC_IxEEEESG_xNS9_4plusIvEENS9_8equal_toIvEExEE10hipError_tPvRmT2_T3_T4_T5_mT6_T7_P12ihipStream_tbENKUlT_T0_E_clISt17integral_constantIbLb0EES10_IbLb1EEEEDaSW_SX_EUlSW_E_NS1_11comp_targetILNS1_3genE5ELNS1_11target_archE942ELNS1_3gpuE9ELNS1_3repE0EEENS1_30default_config_static_selectorELNS0_4arch9wavefront6targetE1EEEvT1_
		.amdhsa_group_segment_fixed_size 43008
		.amdhsa_private_segment_fixed_size 0
		.amdhsa_kernarg_size 136
		.amdhsa_user_sgpr_count 2
		.amdhsa_user_sgpr_dispatch_ptr 0
		.amdhsa_user_sgpr_queue_ptr 0
		.amdhsa_user_sgpr_kernarg_segment_ptr 1
		.amdhsa_user_sgpr_dispatch_id 0
		.amdhsa_user_sgpr_kernarg_preload_length 0
		.amdhsa_user_sgpr_kernarg_preload_offset 0
		.amdhsa_user_sgpr_private_segment_size 0
		.amdhsa_uses_dynamic_stack 0
		.amdhsa_enable_private_segment 0
		.amdhsa_system_sgpr_workgroup_id_x 1
		.amdhsa_system_sgpr_workgroup_id_y 0
		.amdhsa_system_sgpr_workgroup_id_z 0
		.amdhsa_system_sgpr_workgroup_info 0
		.amdhsa_system_vgpr_workitem_id 0
		.amdhsa_next_free_vgpr 132
		.amdhsa_next_free_sgpr 100
		.amdhsa_accum_offset 132
		.amdhsa_reserve_vcc 1
		.amdhsa_float_round_mode_32 0
		.amdhsa_float_round_mode_16_64 0
		.amdhsa_float_denorm_mode_32 3
		.amdhsa_float_denorm_mode_16_64 3
		.amdhsa_dx10_clamp 1
		.amdhsa_ieee_mode 1
		.amdhsa_fp16_overflow 0
		.amdhsa_tg_split 0
		.amdhsa_exception_fp_ieee_invalid_op 0
		.amdhsa_exception_fp_denorm_src 0
		.amdhsa_exception_fp_ieee_div_zero 0
		.amdhsa_exception_fp_ieee_overflow 0
		.amdhsa_exception_fp_ieee_underflow 0
		.amdhsa_exception_fp_ieee_inexact 0
		.amdhsa_exception_int_div_zero 0
	.end_amdhsa_kernel
	.section	.text._ZN7rocprim17ROCPRIM_400000_NS6detail17trampoline_kernelINS0_14default_configENS1_27scan_by_key_config_selectorIixEEZZNS1_16scan_by_key_implILNS1_25lookback_scan_determinismE0ELb0ES3_N6thrust23THRUST_200600_302600_NS6detail15normal_iteratorINS9_10device_ptrIiEEEENSB_INSC_IxEEEESG_xNS9_4plusIvEENS9_8equal_toIvEExEE10hipError_tPvRmT2_T3_T4_T5_mT6_T7_P12ihipStream_tbENKUlT_T0_E_clISt17integral_constantIbLb0EES10_IbLb1EEEEDaSW_SX_EUlSW_E_NS1_11comp_targetILNS1_3genE5ELNS1_11target_archE942ELNS1_3gpuE9ELNS1_3repE0EEENS1_30default_config_static_selectorELNS0_4arch9wavefront6targetE1EEEvT1_,"axG",@progbits,_ZN7rocprim17ROCPRIM_400000_NS6detail17trampoline_kernelINS0_14default_configENS1_27scan_by_key_config_selectorIixEEZZNS1_16scan_by_key_implILNS1_25lookback_scan_determinismE0ELb0ES3_N6thrust23THRUST_200600_302600_NS6detail15normal_iteratorINS9_10device_ptrIiEEEENSB_INSC_IxEEEESG_xNS9_4plusIvEENS9_8equal_toIvEExEE10hipError_tPvRmT2_T3_T4_T5_mT6_T7_P12ihipStream_tbENKUlT_T0_E_clISt17integral_constantIbLb0EES10_IbLb1EEEEDaSW_SX_EUlSW_E_NS1_11comp_targetILNS1_3genE5ELNS1_11target_archE942ELNS1_3gpuE9ELNS1_3repE0EEENS1_30default_config_static_selectorELNS0_4arch9wavefront6targetE1EEEvT1_,comdat
.Lfunc_end1343:
	.size	_ZN7rocprim17ROCPRIM_400000_NS6detail17trampoline_kernelINS0_14default_configENS1_27scan_by_key_config_selectorIixEEZZNS1_16scan_by_key_implILNS1_25lookback_scan_determinismE0ELb0ES3_N6thrust23THRUST_200600_302600_NS6detail15normal_iteratorINS9_10device_ptrIiEEEENSB_INSC_IxEEEESG_xNS9_4plusIvEENS9_8equal_toIvEExEE10hipError_tPvRmT2_T3_T4_T5_mT6_T7_P12ihipStream_tbENKUlT_T0_E_clISt17integral_constantIbLb0EES10_IbLb1EEEEDaSW_SX_EUlSW_E_NS1_11comp_targetILNS1_3genE5ELNS1_11target_archE942ELNS1_3gpuE9ELNS1_3repE0EEENS1_30default_config_static_selectorELNS0_4arch9wavefront6targetE1EEEvT1_, .Lfunc_end1343-_ZN7rocprim17ROCPRIM_400000_NS6detail17trampoline_kernelINS0_14default_configENS1_27scan_by_key_config_selectorIixEEZZNS1_16scan_by_key_implILNS1_25lookback_scan_determinismE0ELb0ES3_N6thrust23THRUST_200600_302600_NS6detail15normal_iteratorINS9_10device_ptrIiEEEENSB_INSC_IxEEEESG_xNS9_4plusIvEENS9_8equal_toIvEExEE10hipError_tPvRmT2_T3_T4_T5_mT6_T7_P12ihipStream_tbENKUlT_T0_E_clISt17integral_constantIbLb0EES10_IbLb1EEEEDaSW_SX_EUlSW_E_NS1_11comp_targetILNS1_3genE5ELNS1_11target_archE942ELNS1_3gpuE9ELNS1_3repE0EEENS1_30default_config_static_selectorELNS0_4arch9wavefront6targetE1EEEvT1_
                                        ; -- End function
	.section	.AMDGPU.csdata,"",@progbits
; Kernel info:
; codeLenInByte = 17668
; NumSgprs: 106
; NumVgprs: 132
; NumAgprs: 0
; TotalNumVgprs: 132
; ScratchSize: 0
; MemoryBound: 0
; FloatMode: 240
; IeeeMode: 1
; LDSByteSize: 43008 bytes/workgroup (compile time only)
; SGPRBlocks: 13
; VGPRBlocks: 16
; NumSGPRsForWavesPerEU: 106
; NumVGPRsForWavesPerEU: 132
; AccumOffset: 132
; Occupancy: 1
; WaveLimiterHint : 1
; COMPUTE_PGM_RSRC2:SCRATCH_EN: 0
; COMPUTE_PGM_RSRC2:USER_SGPR: 2
; COMPUTE_PGM_RSRC2:TRAP_HANDLER: 0
; COMPUTE_PGM_RSRC2:TGID_X_EN: 1
; COMPUTE_PGM_RSRC2:TGID_Y_EN: 0
; COMPUTE_PGM_RSRC2:TGID_Z_EN: 0
; COMPUTE_PGM_RSRC2:TIDIG_COMP_CNT: 0
; COMPUTE_PGM_RSRC3_GFX90A:ACCUM_OFFSET: 32
; COMPUTE_PGM_RSRC3_GFX90A:TG_SPLIT: 0
	.section	.text._ZN7rocprim17ROCPRIM_400000_NS6detail17trampoline_kernelINS0_14default_configENS1_27scan_by_key_config_selectorIixEEZZNS1_16scan_by_key_implILNS1_25lookback_scan_determinismE0ELb0ES3_N6thrust23THRUST_200600_302600_NS6detail15normal_iteratorINS9_10device_ptrIiEEEENSB_INSC_IxEEEESG_xNS9_4plusIvEENS9_8equal_toIvEExEE10hipError_tPvRmT2_T3_T4_T5_mT6_T7_P12ihipStream_tbENKUlT_T0_E_clISt17integral_constantIbLb0EES10_IbLb1EEEEDaSW_SX_EUlSW_E_NS1_11comp_targetILNS1_3genE4ELNS1_11target_archE910ELNS1_3gpuE8ELNS1_3repE0EEENS1_30default_config_static_selectorELNS0_4arch9wavefront6targetE1EEEvT1_,"axG",@progbits,_ZN7rocprim17ROCPRIM_400000_NS6detail17trampoline_kernelINS0_14default_configENS1_27scan_by_key_config_selectorIixEEZZNS1_16scan_by_key_implILNS1_25lookback_scan_determinismE0ELb0ES3_N6thrust23THRUST_200600_302600_NS6detail15normal_iteratorINS9_10device_ptrIiEEEENSB_INSC_IxEEEESG_xNS9_4plusIvEENS9_8equal_toIvEExEE10hipError_tPvRmT2_T3_T4_T5_mT6_T7_P12ihipStream_tbENKUlT_T0_E_clISt17integral_constantIbLb0EES10_IbLb1EEEEDaSW_SX_EUlSW_E_NS1_11comp_targetILNS1_3genE4ELNS1_11target_archE910ELNS1_3gpuE8ELNS1_3repE0EEENS1_30default_config_static_selectorELNS0_4arch9wavefront6targetE1EEEvT1_,comdat
	.protected	_ZN7rocprim17ROCPRIM_400000_NS6detail17trampoline_kernelINS0_14default_configENS1_27scan_by_key_config_selectorIixEEZZNS1_16scan_by_key_implILNS1_25lookback_scan_determinismE0ELb0ES3_N6thrust23THRUST_200600_302600_NS6detail15normal_iteratorINS9_10device_ptrIiEEEENSB_INSC_IxEEEESG_xNS9_4plusIvEENS9_8equal_toIvEExEE10hipError_tPvRmT2_T3_T4_T5_mT6_T7_P12ihipStream_tbENKUlT_T0_E_clISt17integral_constantIbLb0EES10_IbLb1EEEEDaSW_SX_EUlSW_E_NS1_11comp_targetILNS1_3genE4ELNS1_11target_archE910ELNS1_3gpuE8ELNS1_3repE0EEENS1_30default_config_static_selectorELNS0_4arch9wavefront6targetE1EEEvT1_ ; -- Begin function _ZN7rocprim17ROCPRIM_400000_NS6detail17trampoline_kernelINS0_14default_configENS1_27scan_by_key_config_selectorIixEEZZNS1_16scan_by_key_implILNS1_25lookback_scan_determinismE0ELb0ES3_N6thrust23THRUST_200600_302600_NS6detail15normal_iteratorINS9_10device_ptrIiEEEENSB_INSC_IxEEEESG_xNS9_4plusIvEENS9_8equal_toIvEExEE10hipError_tPvRmT2_T3_T4_T5_mT6_T7_P12ihipStream_tbENKUlT_T0_E_clISt17integral_constantIbLb0EES10_IbLb1EEEEDaSW_SX_EUlSW_E_NS1_11comp_targetILNS1_3genE4ELNS1_11target_archE910ELNS1_3gpuE8ELNS1_3repE0EEENS1_30default_config_static_selectorELNS0_4arch9wavefront6targetE1EEEvT1_
	.globl	_ZN7rocprim17ROCPRIM_400000_NS6detail17trampoline_kernelINS0_14default_configENS1_27scan_by_key_config_selectorIixEEZZNS1_16scan_by_key_implILNS1_25lookback_scan_determinismE0ELb0ES3_N6thrust23THRUST_200600_302600_NS6detail15normal_iteratorINS9_10device_ptrIiEEEENSB_INSC_IxEEEESG_xNS9_4plusIvEENS9_8equal_toIvEExEE10hipError_tPvRmT2_T3_T4_T5_mT6_T7_P12ihipStream_tbENKUlT_T0_E_clISt17integral_constantIbLb0EES10_IbLb1EEEEDaSW_SX_EUlSW_E_NS1_11comp_targetILNS1_3genE4ELNS1_11target_archE910ELNS1_3gpuE8ELNS1_3repE0EEENS1_30default_config_static_selectorELNS0_4arch9wavefront6targetE1EEEvT1_
	.p2align	8
	.type	_ZN7rocprim17ROCPRIM_400000_NS6detail17trampoline_kernelINS0_14default_configENS1_27scan_by_key_config_selectorIixEEZZNS1_16scan_by_key_implILNS1_25lookback_scan_determinismE0ELb0ES3_N6thrust23THRUST_200600_302600_NS6detail15normal_iteratorINS9_10device_ptrIiEEEENSB_INSC_IxEEEESG_xNS9_4plusIvEENS9_8equal_toIvEExEE10hipError_tPvRmT2_T3_T4_T5_mT6_T7_P12ihipStream_tbENKUlT_T0_E_clISt17integral_constantIbLb0EES10_IbLb1EEEEDaSW_SX_EUlSW_E_NS1_11comp_targetILNS1_3genE4ELNS1_11target_archE910ELNS1_3gpuE8ELNS1_3repE0EEENS1_30default_config_static_selectorELNS0_4arch9wavefront6targetE1EEEvT1_,@function
_ZN7rocprim17ROCPRIM_400000_NS6detail17trampoline_kernelINS0_14default_configENS1_27scan_by_key_config_selectorIixEEZZNS1_16scan_by_key_implILNS1_25lookback_scan_determinismE0ELb0ES3_N6thrust23THRUST_200600_302600_NS6detail15normal_iteratorINS9_10device_ptrIiEEEENSB_INSC_IxEEEESG_xNS9_4plusIvEENS9_8equal_toIvEExEE10hipError_tPvRmT2_T3_T4_T5_mT6_T7_P12ihipStream_tbENKUlT_T0_E_clISt17integral_constantIbLb0EES10_IbLb1EEEEDaSW_SX_EUlSW_E_NS1_11comp_targetILNS1_3genE4ELNS1_11target_archE910ELNS1_3gpuE8ELNS1_3repE0EEENS1_30default_config_static_selectorELNS0_4arch9wavefront6targetE1EEEvT1_: ; @_ZN7rocprim17ROCPRIM_400000_NS6detail17trampoline_kernelINS0_14default_configENS1_27scan_by_key_config_selectorIixEEZZNS1_16scan_by_key_implILNS1_25lookback_scan_determinismE0ELb0ES3_N6thrust23THRUST_200600_302600_NS6detail15normal_iteratorINS9_10device_ptrIiEEEENSB_INSC_IxEEEESG_xNS9_4plusIvEENS9_8equal_toIvEExEE10hipError_tPvRmT2_T3_T4_T5_mT6_T7_P12ihipStream_tbENKUlT_T0_E_clISt17integral_constantIbLb0EES10_IbLb1EEEEDaSW_SX_EUlSW_E_NS1_11comp_targetILNS1_3genE4ELNS1_11target_archE910ELNS1_3gpuE8ELNS1_3repE0EEENS1_30default_config_static_selectorELNS0_4arch9wavefront6targetE1EEEvT1_
; %bb.0:
	.section	.rodata,"a",@progbits
	.p2align	6, 0x0
	.amdhsa_kernel _ZN7rocprim17ROCPRIM_400000_NS6detail17trampoline_kernelINS0_14default_configENS1_27scan_by_key_config_selectorIixEEZZNS1_16scan_by_key_implILNS1_25lookback_scan_determinismE0ELb0ES3_N6thrust23THRUST_200600_302600_NS6detail15normal_iteratorINS9_10device_ptrIiEEEENSB_INSC_IxEEEESG_xNS9_4plusIvEENS9_8equal_toIvEExEE10hipError_tPvRmT2_T3_T4_T5_mT6_T7_P12ihipStream_tbENKUlT_T0_E_clISt17integral_constantIbLb0EES10_IbLb1EEEEDaSW_SX_EUlSW_E_NS1_11comp_targetILNS1_3genE4ELNS1_11target_archE910ELNS1_3gpuE8ELNS1_3repE0EEENS1_30default_config_static_selectorELNS0_4arch9wavefront6targetE1EEEvT1_
		.amdhsa_group_segment_fixed_size 0
		.amdhsa_private_segment_fixed_size 0
		.amdhsa_kernarg_size 136
		.amdhsa_user_sgpr_count 2
		.amdhsa_user_sgpr_dispatch_ptr 0
		.amdhsa_user_sgpr_queue_ptr 0
		.amdhsa_user_sgpr_kernarg_segment_ptr 1
		.amdhsa_user_sgpr_dispatch_id 0
		.amdhsa_user_sgpr_kernarg_preload_length 0
		.amdhsa_user_sgpr_kernarg_preload_offset 0
		.amdhsa_user_sgpr_private_segment_size 0
		.amdhsa_uses_dynamic_stack 0
		.amdhsa_enable_private_segment 0
		.amdhsa_system_sgpr_workgroup_id_x 1
		.amdhsa_system_sgpr_workgroup_id_y 0
		.amdhsa_system_sgpr_workgroup_id_z 0
		.amdhsa_system_sgpr_workgroup_info 0
		.amdhsa_system_vgpr_workitem_id 0
		.amdhsa_next_free_vgpr 1
		.amdhsa_next_free_sgpr 0
		.amdhsa_accum_offset 4
		.amdhsa_reserve_vcc 0
		.amdhsa_float_round_mode_32 0
		.amdhsa_float_round_mode_16_64 0
		.amdhsa_float_denorm_mode_32 3
		.amdhsa_float_denorm_mode_16_64 3
		.amdhsa_dx10_clamp 1
		.amdhsa_ieee_mode 1
		.amdhsa_fp16_overflow 0
		.amdhsa_tg_split 0
		.amdhsa_exception_fp_ieee_invalid_op 0
		.amdhsa_exception_fp_denorm_src 0
		.amdhsa_exception_fp_ieee_div_zero 0
		.amdhsa_exception_fp_ieee_overflow 0
		.amdhsa_exception_fp_ieee_underflow 0
		.amdhsa_exception_fp_ieee_inexact 0
		.amdhsa_exception_int_div_zero 0
	.end_amdhsa_kernel
	.section	.text._ZN7rocprim17ROCPRIM_400000_NS6detail17trampoline_kernelINS0_14default_configENS1_27scan_by_key_config_selectorIixEEZZNS1_16scan_by_key_implILNS1_25lookback_scan_determinismE0ELb0ES3_N6thrust23THRUST_200600_302600_NS6detail15normal_iteratorINS9_10device_ptrIiEEEENSB_INSC_IxEEEESG_xNS9_4plusIvEENS9_8equal_toIvEExEE10hipError_tPvRmT2_T3_T4_T5_mT6_T7_P12ihipStream_tbENKUlT_T0_E_clISt17integral_constantIbLb0EES10_IbLb1EEEEDaSW_SX_EUlSW_E_NS1_11comp_targetILNS1_3genE4ELNS1_11target_archE910ELNS1_3gpuE8ELNS1_3repE0EEENS1_30default_config_static_selectorELNS0_4arch9wavefront6targetE1EEEvT1_,"axG",@progbits,_ZN7rocprim17ROCPRIM_400000_NS6detail17trampoline_kernelINS0_14default_configENS1_27scan_by_key_config_selectorIixEEZZNS1_16scan_by_key_implILNS1_25lookback_scan_determinismE0ELb0ES3_N6thrust23THRUST_200600_302600_NS6detail15normal_iteratorINS9_10device_ptrIiEEEENSB_INSC_IxEEEESG_xNS9_4plusIvEENS9_8equal_toIvEExEE10hipError_tPvRmT2_T3_T4_T5_mT6_T7_P12ihipStream_tbENKUlT_T0_E_clISt17integral_constantIbLb0EES10_IbLb1EEEEDaSW_SX_EUlSW_E_NS1_11comp_targetILNS1_3genE4ELNS1_11target_archE910ELNS1_3gpuE8ELNS1_3repE0EEENS1_30default_config_static_selectorELNS0_4arch9wavefront6targetE1EEEvT1_,comdat
.Lfunc_end1344:
	.size	_ZN7rocprim17ROCPRIM_400000_NS6detail17trampoline_kernelINS0_14default_configENS1_27scan_by_key_config_selectorIixEEZZNS1_16scan_by_key_implILNS1_25lookback_scan_determinismE0ELb0ES3_N6thrust23THRUST_200600_302600_NS6detail15normal_iteratorINS9_10device_ptrIiEEEENSB_INSC_IxEEEESG_xNS9_4plusIvEENS9_8equal_toIvEExEE10hipError_tPvRmT2_T3_T4_T5_mT6_T7_P12ihipStream_tbENKUlT_T0_E_clISt17integral_constantIbLb0EES10_IbLb1EEEEDaSW_SX_EUlSW_E_NS1_11comp_targetILNS1_3genE4ELNS1_11target_archE910ELNS1_3gpuE8ELNS1_3repE0EEENS1_30default_config_static_selectorELNS0_4arch9wavefront6targetE1EEEvT1_, .Lfunc_end1344-_ZN7rocprim17ROCPRIM_400000_NS6detail17trampoline_kernelINS0_14default_configENS1_27scan_by_key_config_selectorIixEEZZNS1_16scan_by_key_implILNS1_25lookback_scan_determinismE0ELb0ES3_N6thrust23THRUST_200600_302600_NS6detail15normal_iteratorINS9_10device_ptrIiEEEENSB_INSC_IxEEEESG_xNS9_4plusIvEENS9_8equal_toIvEExEE10hipError_tPvRmT2_T3_T4_T5_mT6_T7_P12ihipStream_tbENKUlT_T0_E_clISt17integral_constantIbLb0EES10_IbLb1EEEEDaSW_SX_EUlSW_E_NS1_11comp_targetILNS1_3genE4ELNS1_11target_archE910ELNS1_3gpuE8ELNS1_3repE0EEENS1_30default_config_static_selectorELNS0_4arch9wavefront6targetE1EEEvT1_
                                        ; -- End function
	.section	.AMDGPU.csdata,"",@progbits
; Kernel info:
; codeLenInByte = 0
; NumSgprs: 6
; NumVgprs: 0
; NumAgprs: 0
; TotalNumVgprs: 0
; ScratchSize: 0
; MemoryBound: 0
; FloatMode: 240
; IeeeMode: 1
; LDSByteSize: 0 bytes/workgroup (compile time only)
; SGPRBlocks: 0
; VGPRBlocks: 0
; NumSGPRsForWavesPerEU: 6
; NumVGPRsForWavesPerEU: 1
; AccumOffset: 4
; Occupancy: 8
; WaveLimiterHint : 0
; COMPUTE_PGM_RSRC2:SCRATCH_EN: 0
; COMPUTE_PGM_RSRC2:USER_SGPR: 2
; COMPUTE_PGM_RSRC2:TRAP_HANDLER: 0
; COMPUTE_PGM_RSRC2:TGID_X_EN: 1
; COMPUTE_PGM_RSRC2:TGID_Y_EN: 0
; COMPUTE_PGM_RSRC2:TGID_Z_EN: 0
; COMPUTE_PGM_RSRC2:TIDIG_COMP_CNT: 0
; COMPUTE_PGM_RSRC3_GFX90A:ACCUM_OFFSET: 0
; COMPUTE_PGM_RSRC3_GFX90A:TG_SPLIT: 0
	.section	.text._ZN7rocprim17ROCPRIM_400000_NS6detail17trampoline_kernelINS0_14default_configENS1_27scan_by_key_config_selectorIixEEZZNS1_16scan_by_key_implILNS1_25lookback_scan_determinismE0ELb0ES3_N6thrust23THRUST_200600_302600_NS6detail15normal_iteratorINS9_10device_ptrIiEEEENSB_INSC_IxEEEESG_xNS9_4plusIvEENS9_8equal_toIvEExEE10hipError_tPvRmT2_T3_T4_T5_mT6_T7_P12ihipStream_tbENKUlT_T0_E_clISt17integral_constantIbLb0EES10_IbLb1EEEEDaSW_SX_EUlSW_E_NS1_11comp_targetILNS1_3genE3ELNS1_11target_archE908ELNS1_3gpuE7ELNS1_3repE0EEENS1_30default_config_static_selectorELNS0_4arch9wavefront6targetE1EEEvT1_,"axG",@progbits,_ZN7rocprim17ROCPRIM_400000_NS6detail17trampoline_kernelINS0_14default_configENS1_27scan_by_key_config_selectorIixEEZZNS1_16scan_by_key_implILNS1_25lookback_scan_determinismE0ELb0ES3_N6thrust23THRUST_200600_302600_NS6detail15normal_iteratorINS9_10device_ptrIiEEEENSB_INSC_IxEEEESG_xNS9_4plusIvEENS9_8equal_toIvEExEE10hipError_tPvRmT2_T3_T4_T5_mT6_T7_P12ihipStream_tbENKUlT_T0_E_clISt17integral_constantIbLb0EES10_IbLb1EEEEDaSW_SX_EUlSW_E_NS1_11comp_targetILNS1_3genE3ELNS1_11target_archE908ELNS1_3gpuE7ELNS1_3repE0EEENS1_30default_config_static_selectorELNS0_4arch9wavefront6targetE1EEEvT1_,comdat
	.protected	_ZN7rocprim17ROCPRIM_400000_NS6detail17trampoline_kernelINS0_14default_configENS1_27scan_by_key_config_selectorIixEEZZNS1_16scan_by_key_implILNS1_25lookback_scan_determinismE0ELb0ES3_N6thrust23THRUST_200600_302600_NS6detail15normal_iteratorINS9_10device_ptrIiEEEENSB_INSC_IxEEEESG_xNS9_4plusIvEENS9_8equal_toIvEExEE10hipError_tPvRmT2_T3_T4_T5_mT6_T7_P12ihipStream_tbENKUlT_T0_E_clISt17integral_constantIbLb0EES10_IbLb1EEEEDaSW_SX_EUlSW_E_NS1_11comp_targetILNS1_3genE3ELNS1_11target_archE908ELNS1_3gpuE7ELNS1_3repE0EEENS1_30default_config_static_selectorELNS0_4arch9wavefront6targetE1EEEvT1_ ; -- Begin function _ZN7rocprim17ROCPRIM_400000_NS6detail17trampoline_kernelINS0_14default_configENS1_27scan_by_key_config_selectorIixEEZZNS1_16scan_by_key_implILNS1_25lookback_scan_determinismE0ELb0ES3_N6thrust23THRUST_200600_302600_NS6detail15normal_iteratorINS9_10device_ptrIiEEEENSB_INSC_IxEEEESG_xNS9_4plusIvEENS9_8equal_toIvEExEE10hipError_tPvRmT2_T3_T4_T5_mT6_T7_P12ihipStream_tbENKUlT_T0_E_clISt17integral_constantIbLb0EES10_IbLb1EEEEDaSW_SX_EUlSW_E_NS1_11comp_targetILNS1_3genE3ELNS1_11target_archE908ELNS1_3gpuE7ELNS1_3repE0EEENS1_30default_config_static_selectorELNS0_4arch9wavefront6targetE1EEEvT1_
	.globl	_ZN7rocprim17ROCPRIM_400000_NS6detail17trampoline_kernelINS0_14default_configENS1_27scan_by_key_config_selectorIixEEZZNS1_16scan_by_key_implILNS1_25lookback_scan_determinismE0ELb0ES3_N6thrust23THRUST_200600_302600_NS6detail15normal_iteratorINS9_10device_ptrIiEEEENSB_INSC_IxEEEESG_xNS9_4plusIvEENS9_8equal_toIvEExEE10hipError_tPvRmT2_T3_T4_T5_mT6_T7_P12ihipStream_tbENKUlT_T0_E_clISt17integral_constantIbLb0EES10_IbLb1EEEEDaSW_SX_EUlSW_E_NS1_11comp_targetILNS1_3genE3ELNS1_11target_archE908ELNS1_3gpuE7ELNS1_3repE0EEENS1_30default_config_static_selectorELNS0_4arch9wavefront6targetE1EEEvT1_
	.p2align	8
	.type	_ZN7rocprim17ROCPRIM_400000_NS6detail17trampoline_kernelINS0_14default_configENS1_27scan_by_key_config_selectorIixEEZZNS1_16scan_by_key_implILNS1_25lookback_scan_determinismE0ELb0ES3_N6thrust23THRUST_200600_302600_NS6detail15normal_iteratorINS9_10device_ptrIiEEEENSB_INSC_IxEEEESG_xNS9_4plusIvEENS9_8equal_toIvEExEE10hipError_tPvRmT2_T3_T4_T5_mT6_T7_P12ihipStream_tbENKUlT_T0_E_clISt17integral_constantIbLb0EES10_IbLb1EEEEDaSW_SX_EUlSW_E_NS1_11comp_targetILNS1_3genE3ELNS1_11target_archE908ELNS1_3gpuE7ELNS1_3repE0EEENS1_30default_config_static_selectorELNS0_4arch9wavefront6targetE1EEEvT1_,@function
_ZN7rocprim17ROCPRIM_400000_NS6detail17trampoline_kernelINS0_14default_configENS1_27scan_by_key_config_selectorIixEEZZNS1_16scan_by_key_implILNS1_25lookback_scan_determinismE0ELb0ES3_N6thrust23THRUST_200600_302600_NS6detail15normal_iteratorINS9_10device_ptrIiEEEENSB_INSC_IxEEEESG_xNS9_4plusIvEENS9_8equal_toIvEExEE10hipError_tPvRmT2_T3_T4_T5_mT6_T7_P12ihipStream_tbENKUlT_T0_E_clISt17integral_constantIbLb0EES10_IbLb1EEEEDaSW_SX_EUlSW_E_NS1_11comp_targetILNS1_3genE3ELNS1_11target_archE908ELNS1_3gpuE7ELNS1_3repE0EEENS1_30default_config_static_selectorELNS0_4arch9wavefront6targetE1EEEvT1_: ; @_ZN7rocprim17ROCPRIM_400000_NS6detail17trampoline_kernelINS0_14default_configENS1_27scan_by_key_config_selectorIixEEZZNS1_16scan_by_key_implILNS1_25lookback_scan_determinismE0ELb0ES3_N6thrust23THRUST_200600_302600_NS6detail15normal_iteratorINS9_10device_ptrIiEEEENSB_INSC_IxEEEESG_xNS9_4plusIvEENS9_8equal_toIvEExEE10hipError_tPvRmT2_T3_T4_T5_mT6_T7_P12ihipStream_tbENKUlT_T0_E_clISt17integral_constantIbLb0EES10_IbLb1EEEEDaSW_SX_EUlSW_E_NS1_11comp_targetILNS1_3genE3ELNS1_11target_archE908ELNS1_3gpuE7ELNS1_3repE0EEENS1_30default_config_static_selectorELNS0_4arch9wavefront6targetE1EEEvT1_
; %bb.0:
	.section	.rodata,"a",@progbits
	.p2align	6, 0x0
	.amdhsa_kernel _ZN7rocprim17ROCPRIM_400000_NS6detail17trampoline_kernelINS0_14default_configENS1_27scan_by_key_config_selectorIixEEZZNS1_16scan_by_key_implILNS1_25lookback_scan_determinismE0ELb0ES3_N6thrust23THRUST_200600_302600_NS6detail15normal_iteratorINS9_10device_ptrIiEEEENSB_INSC_IxEEEESG_xNS9_4plusIvEENS9_8equal_toIvEExEE10hipError_tPvRmT2_T3_T4_T5_mT6_T7_P12ihipStream_tbENKUlT_T0_E_clISt17integral_constantIbLb0EES10_IbLb1EEEEDaSW_SX_EUlSW_E_NS1_11comp_targetILNS1_3genE3ELNS1_11target_archE908ELNS1_3gpuE7ELNS1_3repE0EEENS1_30default_config_static_selectorELNS0_4arch9wavefront6targetE1EEEvT1_
		.amdhsa_group_segment_fixed_size 0
		.amdhsa_private_segment_fixed_size 0
		.amdhsa_kernarg_size 136
		.amdhsa_user_sgpr_count 2
		.amdhsa_user_sgpr_dispatch_ptr 0
		.amdhsa_user_sgpr_queue_ptr 0
		.amdhsa_user_sgpr_kernarg_segment_ptr 1
		.amdhsa_user_sgpr_dispatch_id 0
		.amdhsa_user_sgpr_kernarg_preload_length 0
		.amdhsa_user_sgpr_kernarg_preload_offset 0
		.amdhsa_user_sgpr_private_segment_size 0
		.amdhsa_uses_dynamic_stack 0
		.amdhsa_enable_private_segment 0
		.amdhsa_system_sgpr_workgroup_id_x 1
		.amdhsa_system_sgpr_workgroup_id_y 0
		.amdhsa_system_sgpr_workgroup_id_z 0
		.amdhsa_system_sgpr_workgroup_info 0
		.amdhsa_system_vgpr_workitem_id 0
		.amdhsa_next_free_vgpr 1
		.amdhsa_next_free_sgpr 0
		.amdhsa_accum_offset 4
		.amdhsa_reserve_vcc 0
		.amdhsa_float_round_mode_32 0
		.amdhsa_float_round_mode_16_64 0
		.amdhsa_float_denorm_mode_32 3
		.amdhsa_float_denorm_mode_16_64 3
		.amdhsa_dx10_clamp 1
		.amdhsa_ieee_mode 1
		.amdhsa_fp16_overflow 0
		.amdhsa_tg_split 0
		.amdhsa_exception_fp_ieee_invalid_op 0
		.amdhsa_exception_fp_denorm_src 0
		.amdhsa_exception_fp_ieee_div_zero 0
		.amdhsa_exception_fp_ieee_overflow 0
		.amdhsa_exception_fp_ieee_underflow 0
		.amdhsa_exception_fp_ieee_inexact 0
		.amdhsa_exception_int_div_zero 0
	.end_amdhsa_kernel
	.section	.text._ZN7rocprim17ROCPRIM_400000_NS6detail17trampoline_kernelINS0_14default_configENS1_27scan_by_key_config_selectorIixEEZZNS1_16scan_by_key_implILNS1_25lookback_scan_determinismE0ELb0ES3_N6thrust23THRUST_200600_302600_NS6detail15normal_iteratorINS9_10device_ptrIiEEEENSB_INSC_IxEEEESG_xNS9_4plusIvEENS9_8equal_toIvEExEE10hipError_tPvRmT2_T3_T4_T5_mT6_T7_P12ihipStream_tbENKUlT_T0_E_clISt17integral_constantIbLb0EES10_IbLb1EEEEDaSW_SX_EUlSW_E_NS1_11comp_targetILNS1_3genE3ELNS1_11target_archE908ELNS1_3gpuE7ELNS1_3repE0EEENS1_30default_config_static_selectorELNS0_4arch9wavefront6targetE1EEEvT1_,"axG",@progbits,_ZN7rocprim17ROCPRIM_400000_NS6detail17trampoline_kernelINS0_14default_configENS1_27scan_by_key_config_selectorIixEEZZNS1_16scan_by_key_implILNS1_25lookback_scan_determinismE0ELb0ES3_N6thrust23THRUST_200600_302600_NS6detail15normal_iteratorINS9_10device_ptrIiEEEENSB_INSC_IxEEEESG_xNS9_4plusIvEENS9_8equal_toIvEExEE10hipError_tPvRmT2_T3_T4_T5_mT6_T7_P12ihipStream_tbENKUlT_T0_E_clISt17integral_constantIbLb0EES10_IbLb1EEEEDaSW_SX_EUlSW_E_NS1_11comp_targetILNS1_3genE3ELNS1_11target_archE908ELNS1_3gpuE7ELNS1_3repE0EEENS1_30default_config_static_selectorELNS0_4arch9wavefront6targetE1EEEvT1_,comdat
.Lfunc_end1345:
	.size	_ZN7rocprim17ROCPRIM_400000_NS6detail17trampoline_kernelINS0_14default_configENS1_27scan_by_key_config_selectorIixEEZZNS1_16scan_by_key_implILNS1_25lookback_scan_determinismE0ELb0ES3_N6thrust23THRUST_200600_302600_NS6detail15normal_iteratorINS9_10device_ptrIiEEEENSB_INSC_IxEEEESG_xNS9_4plusIvEENS9_8equal_toIvEExEE10hipError_tPvRmT2_T3_T4_T5_mT6_T7_P12ihipStream_tbENKUlT_T0_E_clISt17integral_constantIbLb0EES10_IbLb1EEEEDaSW_SX_EUlSW_E_NS1_11comp_targetILNS1_3genE3ELNS1_11target_archE908ELNS1_3gpuE7ELNS1_3repE0EEENS1_30default_config_static_selectorELNS0_4arch9wavefront6targetE1EEEvT1_, .Lfunc_end1345-_ZN7rocprim17ROCPRIM_400000_NS6detail17trampoline_kernelINS0_14default_configENS1_27scan_by_key_config_selectorIixEEZZNS1_16scan_by_key_implILNS1_25lookback_scan_determinismE0ELb0ES3_N6thrust23THRUST_200600_302600_NS6detail15normal_iteratorINS9_10device_ptrIiEEEENSB_INSC_IxEEEESG_xNS9_4plusIvEENS9_8equal_toIvEExEE10hipError_tPvRmT2_T3_T4_T5_mT6_T7_P12ihipStream_tbENKUlT_T0_E_clISt17integral_constantIbLb0EES10_IbLb1EEEEDaSW_SX_EUlSW_E_NS1_11comp_targetILNS1_3genE3ELNS1_11target_archE908ELNS1_3gpuE7ELNS1_3repE0EEENS1_30default_config_static_selectorELNS0_4arch9wavefront6targetE1EEEvT1_
                                        ; -- End function
	.section	.AMDGPU.csdata,"",@progbits
; Kernel info:
; codeLenInByte = 0
; NumSgprs: 6
; NumVgprs: 0
; NumAgprs: 0
; TotalNumVgprs: 0
; ScratchSize: 0
; MemoryBound: 0
; FloatMode: 240
; IeeeMode: 1
; LDSByteSize: 0 bytes/workgroup (compile time only)
; SGPRBlocks: 0
; VGPRBlocks: 0
; NumSGPRsForWavesPerEU: 6
; NumVGPRsForWavesPerEU: 1
; AccumOffset: 4
; Occupancy: 8
; WaveLimiterHint : 0
; COMPUTE_PGM_RSRC2:SCRATCH_EN: 0
; COMPUTE_PGM_RSRC2:USER_SGPR: 2
; COMPUTE_PGM_RSRC2:TRAP_HANDLER: 0
; COMPUTE_PGM_RSRC2:TGID_X_EN: 1
; COMPUTE_PGM_RSRC2:TGID_Y_EN: 0
; COMPUTE_PGM_RSRC2:TGID_Z_EN: 0
; COMPUTE_PGM_RSRC2:TIDIG_COMP_CNT: 0
; COMPUTE_PGM_RSRC3_GFX90A:ACCUM_OFFSET: 0
; COMPUTE_PGM_RSRC3_GFX90A:TG_SPLIT: 0
	.section	.text._ZN7rocprim17ROCPRIM_400000_NS6detail17trampoline_kernelINS0_14default_configENS1_27scan_by_key_config_selectorIixEEZZNS1_16scan_by_key_implILNS1_25lookback_scan_determinismE0ELb0ES3_N6thrust23THRUST_200600_302600_NS6detail15normal_iteratorINS9_10device_ptrIiEEEENSB_INSC_IxEEEESG_xNS9_4plusIvEENS9_8equal_toIvEExEE10hipError_tPvRmT2_T3_T4_T5_mT6_T7_P12ihipStream_tbENKUlT_T0_E_clISt17integral_constantIbLb0EES10_IbLb1EEEEDaSW_SX_EUlSW_E_NS1_11comp_targetILNS1_3genE2ELNS1_11target_archE906ELNS1_3gpuE6ELNS1_3repE0EEENS1_30default_config_static_selectorELNS0_4arch9wavefront6targetE1EEEvT1_,"axG",@progbits,_ZN7rocprim17ROCPRIM_400000_NS6detail17trampoline_kernelINS0_14default_configENS1_27scan_by_key_config_selectorIixEEZZNS1_16scan_by_key_implILNS1_25lookback_scan_determinismE0ELb0ES3_N6thrust23THRUST_200600_302600_NS6detail15normal_iteratorINS9_10device_ptrIiEEEENSB_INSC_IxEEEESG_xNS9_4plusIvEENS9_8equal_toIvEExEE10hipError_tPvRmT2_T3_T4_T5_mT6_T7_P12ihipStream_tbENKUlT_T0_E_clISt17integral_constantIbLb0EES10_IbLb1EEEEDaSW_SX_EUlSW_E_NS1_11comp_targetILNS1_3genE2ELNS1_11target_archE906ELNS1_3gpuE6ELNS1_3repE0EEENS1_30default_config_static_selectorELNS0_4arch9wavefront6targetE1EEEvT1_,comdat
	.protected	_ZN7rocprim17ROCPRIM_400000_NS6detail17trampoline_kernelINS0_14default_configENS1_27scan_by_key_config_selectorIixEEZZNS1_16scan_by_key_implILNS1_25lookback_scan_determinismE0ELb0ES3_N6thrust23THRUST_200600_302600_NS6detail15normal_iteratorINS9_10device_ptrIiEEEENSB_INSC_IxEEEESG_xNS9_4plusIvEENS9_8equal_toIvEExEE10hipError_tPvRmT2_T3_T4_T5_mT6_T7_P12ihipStream_tbENKUlT_T0_E_clISt17integral_constantIbLb0EES10_IbLb1EEEEDaSW_SX_EUlSW_E_NS1_11comp_targetILNS1_3genE2ELNS1_11target_archE906ELNS1_3gpuE6ELNS1_3repE0EEENS1_30default_config_static_selectorELNS0_4arch9wavefront6targetE1EEEvT1_ ; -- Begin function _ZN7rocprim17ROCPRIM_400000_NS6detail17trampoline_kernelINS0_14default_configENS1_27scan_by_key_config_selectorIixEEZZNS1_16scan_by_key_implILNS1_25lookback_scan_determinismE0ELb0ES3_N6thrust23THRUST_200600_302600_NS6detail15normal_iteratorINS9_10device_ptrIiEEEENSB_INSC_IxEEEESG_xNS9_4plusIvEENS9_8equal_toIvEExEE10hipError_tPvRmT2_T3_T4_T5_mT6_T7_P12ihipStream_tbENKUlT_T0_E_clISt17integral_constantIbLb0EES10_IbLb1EEEEDaSW_SX_EUlSW_E_NS1_11comp_targetILNS1_3genE2ELNS1_11target_archE906ELNS1_3gpuE6ELNS1_3repE0EEENS1_30default_config_static_selectorELNS0_4arch9wavefront6targetE1EEEvT1_
	.globl	_ZN7rocprim17ROCPRIM_400000_NS6detail17trampoline_kernelINS0_14default_configENS1_27scan_by_key_config_selectorIixEEZZNS1_16scan_by_key_implILNS1_25lookback_scan_determinismE0ELb0ES3_N6thrust23THRUST_200600_302600_NS6detail15normal_iteratorINS9_10device_ptrIiEEEENSB_INSC_IxEEEESG_xNS9_4plusIvEENS9_8equal_toIvEExEE10hipError_tPvRmT2_T3_T4_T5_mT6_T7_P12ihipStream_tbENKUlT_T0_E_clISt17integral_constantIbLb0EES10_IbLb1EEEEDaSW_SX_EUlSW_E_NS1_11comp_targetILNS1_3genE2ELNS1_11target_archE906ELNS1_3gpuE6ELNS1_3repE0EEENS1_30default_config_static_selectorELNS0_4arch9wavefront6targetE1EEEvT1_
	.p2align	8
	.type	_ZN7rocprim17ROCPRIM_400000_NS6detail17trampoline_kernelINS0_14default_configENS1_27scan_by_key_config_selectorIixEEZZNS1_16scan_by_key_implILNS1_25lookback_scan_determinismE0ELb0ES3_N6thrust23THRUST_200600_302600_NS6detail15normal_iteratorINS9_10device_ptrIiEEEENSB_INSC_IxEEEESG_xNS9_4plusIvEENS9_8equal_toIvEExEE10hipError_tPvRmT2_T3_T4_T5_mT6_T7_P12ihipStream_tbENKUlT_T0_E_clISt17integral_constantIbLb0EES10_IbLb1EEEEDaSW_SX_EUlSW_E_NS1_11comp_targetILNS1_3genE2ELNS1_11target_archE906ELNS1_3gpuE6ELNS1_3repE0EEENS1_30default_config_static_selectorELNS0_4arch9wavefront6targetE1EEEvT1_,@function
_ZN7rocprim17ROCPRIM_400000_NS6detail17trampoline_kernelINS0_14default_configENS1_27scan_by_key_config_selectorIixEEZZNS1_16scan_by_key_implILNS1_25lookback_scan_determinismE0ELb0ES3_N6thrust23THRUST_200600_302600_NS6detail15normal_iteratorINS9_10device_ptrIiEEEENSB_INSC_IxEEEESG_xNS9_4plusIvEENS9_8equal_toIvEExEE10hipError_tPvRmT2_T3_T4_T5_mT6_T7_P12ihipStream_tbENKUlT_T0_E_clISt17integral_constantIbLb0EES10_IbLb1EEEEDaSW_SX_EUlSW_E_NS1_11comp_targetILNS1_3genE2ELNS1_11target_archE906ELNS1_3gpuE6ELNS1_3repE0EEENS1_30default_config_static_selectorELNS0_4arch9wavefront6targetE1EEEvT1_: ; @_ZN7rocprim17ROCPRIM_400000_NS6detail17trampoline_kernelINS0_14default_configENS1_27scan_by_key_config_selectorIixEEZZNS1_16scan_by_key_implILNS1_25lookback_scan_determinismE0ELb0ES3_N6thrust23THRUST_200600_302600_NS6detail15normal_iteratorINS9_10device_ptrIiEEEENSB_INSC_IxEEEESG_xNS9_4plusIvEENS9_8equal_toIvEExEE10hipError_tPvRmT2_T3_T4_T5_mT6_T7_P12ihipStream_tbENKUlT_T0_E_clISt17integral_constantIbLb0EES10_IbLb1EEEEDaSW_SX_EUlSW_E_NS1_11comp_targetILNS1_3genE2ELNS1_11target_archE906ELNS1_3gpuE6ELNS1_3repE0EEENS1_30default_config_static_selectorELNS0_4arch9wavefront6targetE1EEEvT1_
; %bb.0:
	.section	.rodata,"a",@progbits
	.p2align	6, 0x0
	.amdhsa_kernel _ZN7rocprim17ROCPRIM_400000_NS6detail17trampoline_kernelINS0_14default_configENS1_27scan_by_key_config_selectorIixEEZZNS1_16scan_by_key_implILNS1_25lookback_scan_determinismE0ELb0ES3_N6thrust23THRUST_200600_302600_NS6detail15normal_iteratorINS9_10device_ptrIiEEEENSB_INSC_IxEEEESG_xNS9_4plusIvEENS9_8equal_toIvEExEE10hipError_tPvRmT2_T3_T4_T5_mT6_T7_P12ihipStream_tbENKUlT_T0_E_clISt17integral_constantIbLb0EES10_IbLb1EEEEDaSW_SX_EUlSW_E_NS1_11comp_targetILNS1_3genE2ELNS1_11target_archE906ELNS1_3gpuE6ELNS1_3repE0EEENS1_30default_config_static_selectorELNS0_4arch9wavefront6targetE1EEEvT1_
		.amdhsa_group_segment_fixed_size 0
		.amdhsa_private_segment_fixed_size 0
		.amdhsa_kernarg_size 136
		.amdhsa_user_sgpr_count 2
		.amdhsa_user_sgpr_dispatch_ptr 0
		.amdhsa_user_sgpr_queue_ptr 0
		.amdhsa_user_sgpr_kernarg_segment_ptr 1
		.amdhsa_user_sgpr_dispatch_id 0
		.amdhsa_user_sgpr_kernarg_preload_length 0
		.amdhsa_user_sgpr_kernarg_preload_offset 0
		.amdhsa_user_sgpr_private_segment_size 0
		.amdhsa_uses_dynamic_stack 0
		.amdhsa_enable_private_segment 0
		.amdhsa_system_sgpr_workgroup_id_x 1
		.amdhsa_system_sgpr_workgroup_id_y 0
		.amdhsa_system_sgpr_workgroup_id_z 0
		.amdhsa_system_sgpr_workgroup_info 0
		.amdhsa_system_vgpr_workitem_id 0
		.amdhsa_next_free_vgpr 1
		.amdhsa_next_free_sgpr 0
		.amdhsa_accum_offset 4
		.amdhsa_reserve_vcc 0
		.amdhsa_float_round_mode_32 0
		.amdhsa_float_round_mode_16_64 0
		.amdhsa_float_denorm_mode_32 3
		.amdhsa_float_denorm_mode_16_64 3
		.amdhsa_dx10_clamp 1
		.amdhsa_ieee_mode 1
		.amdhsa_fp16_overflow 0
		.amdhsa_tg_split 0
		.amdhsa_exception_fp_ieee_invalid_op 0
		.amdhsa_exception_fp_denorm_src 0
		.amdhsa_exception_fp_ieee_div_zero 0
		.amdhsa_exception_fp_ieee_overflow 0
		.amdhsa_exception_fp_ieee_underflow 0
		.amdhsa_exception_fp_ieee_inexact 0
		.amdhsa_exception_int_div_zero 0
	.end_amdhsa_kernel
	.section	.text._ZN7rocprim17ROCPRIM_400000_NS6detail17trampoline_kernelINS0_14default_configENS1_27scan_by_key_config_selectorIixEEZZNS1_16scan_by_key_implILNS1_25lookback_scan_determinismE0ELb0ES3_N6thrust23THRUST_200600_302600_NS6detail15normal_iteratorINS9_10device_ptrIiEEEENSB_INSC_IxEEEESG_xNS9_4plusIvEENS9_8equal_toIvEExEE10hipError_tPvRmT2_T3_T4_T5_mT6_T7_P12ihipStream_tbENKUlT_T0_E_clISt17integral_constantIbLb0EES10_IbLb1EEEEDaSW_SX_EUlSW_E_NS1_11comp_targetILNS1_3genE2ELNS1_11target_archE906ELNS1_3gpuE6ELNS1_3repE0EEENS1_30default_config_static_selectorELNS0_4arch9wavefront6targetE1EEEvT1_,"axG",@progbits,_ZN7rocprim17ROCPRIM_400000_NS6detail17trampoline_kernelINS0_14default_configENS1_27scan_by_key_config_selectorIixEEZZNS1_16scan_by_key_implILNS1_25lookback_scan_determinismE0ELb0ES3_N6thrust23THRUST_200600_302600_NS6detail15normal_iteratorINS9_10device_ptrIiEEEENSB_INSC_IxEEEESG_xNS9_4plusIvEENS9_8equal_toIvEExEE10hipError_tPvRmT2_T3_T4_T5_mT6_T7_P12ihipStream_tbENKUlT_T0_E_clISt17integral_constantIbLb0EES10_IbLb1EEEEDaSW_SX_EUlSW_E_NS1_11comp_targetILNS1_3genE2ELNS1_11target_archE906ELNS1_3gpuE6ELNS1_3repE0EEENS1_30default_config_static_selectorELNS0_4arch9wavefront6targetE1EEEvT1_,comdat
.Lfunc_end1346:
	.size	_ZN7rocprim17ROCPRIM_400000_NS6detail17trampoline_kernelINS0_14default_configENS1_27scan_by_key_config_selectorIixEEZZNS1_16scan_by_key_implILNS1_25lookback_scan_determinismE0ELb0ES3_N6thrust23THRUST_200600_302600_NS6detail15normal_iteratorINS9_10device_ptrIiEEEENSB_INSC_IxEEEESG_xNS9_4plusIvEENS9_8equal_toIvEExEE10hipError_tPvRmT2_T3_T4_T5_mT6_T7_P12ihipStream_tbENKUlT_T0_E_clISt17integral_constantIbLb0EES10_IbLb1EEEEDaSW_SX_EUlSW_E_NS1_11comp_targetILNS1_3genE2ELNS1_11target_archE906ELNS1_3gpuE6ELNS1_3repE0EEENS1_30default_config_static_selectorELNS0_4arch9wavefront6targetE1EEEvT1_, .Lfunc_end1346-_ZN7rocprim17ROCPRIM_400000_NS6detail17trampoline_kernelINS0_14default_configENS1_27scan_by_key_config_selectorIixEEZZNS1_16scan_by_key_implILNS1_25lookback_scan_determinismE0ELb0ES3_N6thrust23THRUST_200600_302600_NS6detail15normal_iteratorINS9_10device_ptrIiEEEENSB_INSC_IxEEEESG_xNS9_4plusIvEENS9_8equal_toIvEExEE10hipError_tPvRmT2_T3_T4_T5_mT6_T7_P12ihipStream_tbENKUlT_T0_E_clISt17integral_constantIbLb0EES10_IbLb1EEEEDaSW_SX_EUlSW_E_NS1_11comp_targetILNS1_3genE2ELNS1_11target_archE906ELNS1_3gpuE6ELNS1_3repE0EEENS1_30default_config_static_selectorELNS0_4arch9wavefront6targetE1EEEvT1_
                                        ; -- End function
	.section	.AMDGPU.csdata,"",@progbits
; Kernel info:
; codeLenInByte = 0
; NumSgprs: 6
; NumVgprs: 0
; NumAgprs: 0
; TotalNumVgprs: 0
; ScratchSize: 0
; MemoryBound: 0
; FloatMode: 240
; IeeeMode: 1
; LDSByteSize: 0 bytes/workgroup (compile time only)
; SGPRBlocks: 0
; VGPRBlocks: 0
; NumSGPRsForWavesPerEU: 6
; NumVGPRsForWavesPerEU: 1
; AccumOffset: 4
; Occupancy: 8
; WaveLimiterHint : 0
; COMPUTE_PGM_RSRC2:SCRATCH_EN: 0
; COMPUTE_PGM_RSRC2:USER_SGPR: 2
; COMPUTE_PGM_RSRC2:TRAP_HANDLER: 0
; COMPUTE_PGM_RSRC2:TGID_X_EN: 1
; COMPUTE_PGM_RSRC2:TGID_Y_EN: 0
; COMPUTE_PGM_RSRC2:TGID_Z_EN: 0
; COMPUTE_PGM_RSRC2:TIDIG_COMP_CNT: 0
; COMPUTE_PGM_RSRC3_GFX90A:ACCUM_OFFSET: 0
; COMPUTE_PGM_RSRC3_GFX90A:TG_SPLIT: 0
	.section	.text._ZN7rocprim17ROCPRIM_400000_NS6detail17trampoline_kernelINS0_14default_configENS1_27scan_by_key_config_selectorIixEEZZNS1_16scan_by_key_implILNS1_25lookback_scan_determinismE0ELb0ES3_N6thrust23THRUST_200600_302600_NS6detail15normal_iteratorINS9_10device_ptrIiEEEENSB_INSC_IxEEEESG_xNS9_4plusIvEENS9_8equal_toIvEExEE10hipError_tPvRmT2_T3_T4_T5_mT6_T7_P12ihipStream_tbENKUlT_T0_E_clISt17integral_constantIbLb0EES10_IbLb1EEEEDaSW_SX_EUlSW_E_NS1_11comp_targetILNS1_3genE10ELNS1_11target_archE1200ELNS1_3gpuE4ELNS1_3repE0EEENS1_30default_config_static_selectorELNS0_4arch9wavefront6targetE1EEEvT1_,"axG",@progbits,_ZN7rocprim17ROCPRIM_400000_NS6detail17trampoline_kernelINS0_14default_configENS1_27scan_by_key_config_selectorIixEEZZNS1_16scan_by_key_implILNS1_25lookback_scan_determinismE0ELb0ES3_N6thrust23THRUST_200600_302600_NS6detail15normal_iteratorINS9_10device_ptrIiEEEENSB_INSC_IxEEEESG_xNS9_4plusIvEENS9_8equal_toIvEExEE10hipError_tPvRmT2_T3_T4_T5_mT6_T7_P12ihipStream_tbENKUlT_T0_E_clISt17integral_constantIbLb0EES10_IbLb1EEEEDaSW_SX_EUlSW_E_NS1_11comp_targetILNS1_3genE10ELNS1_11target_archE1200ELNS1_3gpuE4ELNS1_3repE0EEENS1_30default_config_static_selectorELNS0_4arch9wavefront6targetE1EEEvT1_,comdat
	.protected	_ZN7rocprim17ROCPRIM_400000_NS6detail17trampoline_kernelINS0_14default_configENS1_27scan_by_key_config_selectorIixEEZZNS1_16scan_by_key_implILNS1_25lookback_scan_determinismE0ELb0ES3_N6thrust23THRUST_200600_302600_NS6detail15normal_iteratorINS9_10device_ptrIiEEEENSB_INSC_IxEEEESG_xNS9_4plusIvEENS9_8equal_toIvEExEE10hipError_tPvRmT2_T3_T4_T5_mT6_T7_P12ihipStream_tbENKUlT_T0_E_clISt17integral_constantIbLb0EES10_IbLb1EEEEDaSW_SX_EUlSW_E_NS1_11comp_targetILNS1_3genE10ELNS1_11target_archE1200ELNS1_3gpuE4ELNS1_3repE0EEENS1_30default_config_static_selectorELNS0_4arch9wavefront6targetE1EEEvT1_ ; -- Begin function _ZN7rocprim17ROCPRIM_400000_NS6detail17trampoline_kernelINS0_14default_configENS1_27scan_by_key_config_selectorIixEEZZNS1_16scan_by_key_implILNS1_25lookback_scan_determinismE0ELb0ES3_N6thrust23THRUST_200600_302600_NS6detail15normal_iteratorINS9_10device_ptrIiEEEENSB_INSC_IxEEEESG_xNS9_4plusIvEENS9_8equal_toIvEExEE10hipError_tPvRmT2_T3_T4_T5_mT6_T7_P12ihipStream_tbENKUlT_T0_E_clISt17integral_constantIbLb0EES10_IbLb1EEEEDaSW_SX_EUlSW_E_NS1_11comp_targetILNS1_3genE10ELNS1_11target_archE1200ELNS1_3gpuE4ELNS1_3repE0EEENS1_30default_config_static_selectorELNS0_4arch9wavefront6targetE1EEEvT1_
	.globl	_ZN7rocprim17ROCPRIM_400000_NS6detail17trampoline_kernelINS0_14default_configENS1_27scan_by_key_config_selectorIixEEZZNS1_16scan_by_key_implILNS1_25lookback_scan_determinismE0ELb0ES3_N6thrust23THRUST_200600_302600_NS6detail15normal_iteratorINS9_10device_ptrIiEEEENSB_INSC_IxEEEESG_xNS9_4plusIvEENS9_8equal_toIvEExEE10hipError_tPvRmT2_T3_T4_T5_mT6_T7_P12ihipStream_tbENKUlT_T0_E_clISt17integral_constantIbLb0EES10_IbLb1EEEEDaSW_SX_EUlSW_E_NS1_11comp_targetILNS1_3genE10ELNS1_11target_archE1200ELNS1_3gpuE4ELNS1_3repE0EEENS1_30default_config_static_selectorELNS0_4arch9wavefront6targetE1EEEvT1_
	.p2align	8
	.type	_ZN7rocprim17ROCPRIM_400000_NS6detail17trampoline_kernelINS0_14default_configENS1_27scan_by_key_config_selectorIixEEZZNS1_16scan_by_key_implILNS1_25lookback_scan_determinismE0ELb0ES3_N6thrust23THRUST_200600_302600_NS6detail15normal_iteratorINS9_10device_ptrIiEEEENSB_INSC_IxEEEESG_xNS9_4plusIvEENS9_8equal_toIvEExEE10hipError_tPvRmT2_T3_T4_T5_mT6_T7_P12ihipStream_tbENKUlT_T0_E_clISt17integral_constantIbLb0EES10_IbLb1EEEEDaSW_SX_EUlSW_E_NS1_11comp_targetILNS1_3genE10ELNS1_11target_archE1200ELNS1_3gpuE4ELNS1_3repE0EEENS1_30default_config_static_selectorELNS0_4arch9wavefront6targetE1EEEvT1_,@function
_ZN7rocprim17ROCPRIM_400000_NS6detail17trampoline_kernelINS0_14default_configENS1_27scan_by_key_config_selectorIixEEZZNS1_16scan_by_key_implILNS1_25lookback_scan_determinismE0ELb0ES3_N6thrust23THRUST_200600_302600_NS6detail15normal_iteratorINS9_10device_ptrIiEEEENSB_INSC_IxEEEESG_xNS9_4plusIvEENS9_8equal_toIvEExEE10hipError_tPvRmT2_T3_T4_T5_mT6_T7_P12ihipStream_tbENKUlT_T0_E_clISt17integral_constantIbLb0EES10_IbLb1EEEEDaSW_SX_EUlSW_E_NS1_11comp_targetILNS1_3genE10ELNS1_11target_archE1200ELNS1_3gpuE4ELNS1_3repE0EEENS1_30default_config_static_selectorELNS0_4arch9wavefront6targetE1EEEvT1_: ; @_ZN7rocprim17ROCPRIM_400000_NS6detail17trampoline_kernelINS0_14default_configENS1_27scan_by_key_config_selectorIixEEZZNS1_16scan_by_key_implILNS1_25lookback_scan_determinismE0ELb0ES3_N6thrust23THRUST_200600_302600_NS6detail15normal_iteratorINS9_10device_ptrIiEEEENSB_INSC_IxEEEESG_xNS9_4plusIvEENS9_8equal_toIvEExEE10hipError_tPvRmT2_T3_T4_T5_mT6_T7_P12ihipStream_tbENKUlT_T0_E_clISt17integral_constantIbLb0EES10_IbLb1EEEEDaSW_SX_EUlSW_E_NS1_11comp_targetILNS1_3genE10ELNS1_11target_archE1200ELNS1_3gpuE4ELNS1_3repE0EEENS1_30default_config_static_selectorELNS0_4arch9wavefront6targetE1EEEvT1_
; %bb.0:
	.section	.rodata,"a",@progbits
	.p2align	6, 0x0
	.amdhsa_kernel _ZN7rocprim17ROCPRIM_400000_NS6detail17trampoline_kernelINS0_14default_configENS1_27scan_by_key_config_selectorIixEEZZNS1_16scan_by_key_implILNS1_25lookback_scan_determinismE0ELb0ES3_N6thrust23THRUST_200600_302600_NS6detail15normal_iteratorINS9_10device_ptrIiEEEENSB_INSC_IxEEEESG_xNS9_4plusIvEENS9_8equal_toIvEExEE10hipError_tPvRmT2_T3_T4_T5_mT6_T7_P12ihipStream_tbENKUlT_T0_E_clISt17integral_constantIbLb0EES10_IbLb1EEEEDaSW_SX_EUlSW_E_NS1_11comp_targetILNS1_3genE10ELNS1_11target_archE1200ELNS1_3gpuE4ELNS1_3repE0EEENS1_30default_config_static_selectorELNS0_4arch9wavefront6targetE1EEEvT1_
		.amdhsa_group_segment_fixed_size 0
		.amdhsa_private_segment_fixed_size 0
		.amdhsa_kernarg_size 136
		.amdhsa_user_sgpr_count 2
		.amdhsa_user_sgpr_dispatch_ptr 0
		.amdhsa_user_sgpr_queue_ptr 0
		.amdhsa_user_sgpr_kernarg_segment_ptr 1
		.amdhsa_user_sgpr_dispatch_id 0
		.amdhsa_user_sgpr_kernarg_preload_length 0
		.amdhsa_user_sgpr_kernarg_preload_offset 0
		.amdhsa_user_sgpr_private_segment_size 0
		.amdhsa_uses_dynamic_stack 0
		.amdhsa_enable_private_segment 0
		.amdhsa_system_sgpr_workgroup_id_x 1
		.amdhsa_system_sgpr_workgroup_id_y 0
		.amdhsa_system_sgpr_workgroup_id_z 0
		.amdhsa_system_sgpr_workgroup_info 0
		.amdhsa_system_vgpr_workitem_id 0
		.amdhsa_next_free_vgpr 1
		.amdhsa_next_free_sgpr 0
		.amdhsa_accum_offset 4
		.amdhsa_reserve_vcc 0
		.amdhsa_float_round_mode_32 0
		.amdhsa_float_round_mode_16_64 0
		.amdhsa_float_denorm_mode_32 3
		.amdhsa_float_denorm_mode_16_64 3
		.amdhsa_dx10_clamp 1
		.amdhsa_ieee_mode 1
		.amdhsa_fp16_overflow 0
		.amdhsa_tg_split 0
		.amdhsa_exception_fp_ieee_invalid_op 0
		.amdhsa_exception_fp_denorm_src 0
		.amdhsa_exception_fp_ieee_div_zero 0
		.amdhsa_exception_fp_ieee_overflow 0
		.amdhsa_exception_fp_ieee_underflow 0
		.amdhsa_exception_fp_ieee_inexact 0
		.amdhsa_exception_int_div_zero 0
	.end_amdhsa_kernel
	.section	.text._ZN7rocprim17ROCPRIM_400000_NS6detail17trampoline_kernelINS0_14default_configENS1_27scan_by_key_config_selectorIixEEZZNS1_16scan_by_key_implILNS1_25lookback_scan_determinismE0ELb0ES3_N6thrust23THRUST_200600_302600_NS6detail15normal_iteratorINS9_10device_ptrIiEEEENSB_INSC_IxEEEESG_xNS9_4plusIvEENS9_8equal_toIvEExEE10hipError_tPvRmT2_T3_T4_T5_mT6_T7_P12ihipStream_tbENKUlT_T0_E_clISt17integral_constantIbLb0EES10_IbLb1EEEEDaSW_SX_EUlSW_E_NS1_11comp_targetILNS1_3genE10ELNS1_11target_archE1200ELNS1_3gpuE4ELNS1_3repE0EEENS1_30default_config_static_selectorELNS0_4arch9wavefront6targetE1EEEvT1_,"axG",@progbits,_ZN7rocprim17ROCPRIM_400000_NS6detail17trampoline_kernelINS0_14default_configENS1_27scan_by_key_config_selectorIixEEZZNS1_16scan_by_key_implILNS1_25lookback_scan_determinismE0ELb0ES3_N6thrust23THRUST_200600_302600_NS6detail15normal_iteratorINS9_10device_ptrIiEEEENSB_INSC_IxEEEESG_xNS9_4plusIvEENS9_8equal_toIvEExEE10hipError_tPvRmT2_T3_T4_T5_mT6_T7_P12ihipStream_tbENKUlT_T0_E_clISt17integral_constantIbLb0EES10_IbLb1EEEEDaSW_SX_EUlSW_E_NS1_11comp_targetILNS1_3genE10ELNS1_11target_archE1200ELNS1_3gpuE4ELNS1_3repE0EEENS1_30default_config_static_selectorELNS0_4arch9wavefront6targetE1EEEvT1_,comdat
.Lfunc_end1347:
	.size	_ZN7rocprim17ROCPRIM_400000_NS6detail17trampoline_kernelINS0_14default_configENS1_27scan_by_key_config_selectorIixEEZZNS1_16scan_by_key_implILNS1_25lookback_scan_determinismE0ELb0ES3_N6thrust23THRUST_200600_302600_NS6detail15normal_iteratorINS9_10device_ptrIiEEEENSB_INSC_IxEEEESG_xNS9_4plusIvEENS9_8equal_toIvEExEE10hipError_tPvRmT2_T3_T4_T5_mT6_T7_P12ihipStream_tbENKUlT_T0_E_clISt17integral_constantIbLb0EES10_IbLb1EEEEDaSW_SX_EUlSW_E_NS1_11comp_targetILNS1_3genE10ELNS1_11target_archE1200ELNS1_3gpuE4ELNS1_3repE0EEENS1_30default_config_static_selectorELNS0_4arch9wavefront6targetE1EEEvT1_, .Lfunc_end1347-_ZN7rocprim17ROCPRIM_400000_NS6detail17trampoline_kernelINS0_14default_configENS1_27scan_by_key_config_selectorIixEEZZNS1_16scan_by_key_implILNS1_25lookback_scan_determinismE0ELb0ES3_N6thrust23THRUST_200600_302600_NS6detail15normal_iteratorINS9_10device_ptrIiEEEENSB_INSC_IxEEEESG_xNS9_4plusIvEENS9_8equal_toIvEExEE10hipError_tPvRmT2_T3_T4_T5_mT6_T7_P12ihipStream_tbENKUlT_T0_E_clISt17integral_constantIbLb0EES10_IbLb1EEEEDaSW_SX_EUlSW_E_NS1_11comp_targetILNS1_3genE10ELNS1_11target_archE1200ELNS1_3gpuE4ELNS1_3repE0EEENS1_30default_config_static_selectorELNS0_4arch9wavefront6targetE1EEEvT1_
                                        ; -- End function
	.section	.AMDGPU.csdata,"",@progbits
; Kernel info:
; codeLenInByte = 0
; NumSgprs: 6
; NumVgprs: 0
; NumAgprs: 0
; TotalNumVgprs: 0
; ScratchSize: 0
; MemoryBound: 0
; FloatMode: 240
; IeeeMode: 1
; LDSByteSize: 0 bytes/workgroup (compile time only)
; SGPRBlocks: 0
; VGPRBlocks: 0
; NumSGPRsForWavesPerEU: 6
; NumVGPRsForWavesPerEU: 1
; AccumOffset: 4
; Occupancy: 8
; WaveLimiterHint : 0
; COMPUTE_PGM_RSRC2:SCRATCH_EN: 0
; COMPUTE_PGM_RSRC2:USER_SGPR: 2
; COMPUTE_PGM_RSRC2:TRAP_HANDLER: 0
; COMPUTE_PGM_RSRC2:TGID_X_EN: 1
; COMPUTE_PGM_RSRC2:TGID_Y_EN: 0
; COMPUTE_PGM_RSRC2:TGID_Z_EN: 0
; COMPUTE_PGM_RSRC2:TIDIG_COMP_CNT: 0
; COMPUTE_PGM_RSRC3_GFX90A:ACCUM_OFFSET: 0
; COMPUTE_PGM_RSRC3_GFX90A:TG_SPLIT: 0
	.section	.text._ZN7rocprim17ROCPRIM_400000_NS6detail17trampoline_kernelINS0_14default_configENS1_27scan_by_key_config_selectorIixEEZZNS1_16scan_by_key_implILNS1_25lookback_scan_determinismE0ELb0ES3_N6thrust23THRUST_200600_302600_NS6detail15normal_iteratorINS9_10device_ptrIiEEEENSB_INSC_IxEEEESG_xNS9_4plusIvEENS9_8equal_toIvEExEE10hipError_tPvRmT2_T3_T4_T5_mT6_T7_P12ihipStream_tbENKUlT_T0_E_clISt17integral_constantIbLb0EES10_IbLb1EEEEDaSW_SX_EUlSW_E_NS1_11comp_targetILNS1_3genE9ELNS1_11target_archE1100ELNS1_3gpuE3ELNS1_3repE0EEENS1_30default_config_static_selectorELNS0_4arch9wavefront6targetE1EEEvT1_,"axG",@progbits,_ZN7rocprim17ROCPRIM_400000_NS6detail17trampoline_kernelINS0_14default_configENS1_27scan_by_key_config_selectorIixEEZZNS1_16scan_by_key_implILNS1_25lookback_scan_determinismE0ELb0ES3_N6thrust23THRUST_200600_302600_NS6detail15normal_iteratorINS9_10device_ptrIiEEEENSB_INSC_IxEEEESG_xNS9_4plusIvEENS9_8equal_toIvEExEE10hipError_tPvRmT2_T3_T4_T5_mT6_T7_P12ihipStream_tbENKUlT_T0_E_clISt17integral_constantIbLb0EES10_IbLb1EEEEDaSW_SX_EUlSW_E_NS1_11comp_targetILNS1_3genE9ELNS1_11target_archE1100ELNS1_3gpuE3ELNS1_3repE0EEENS1_30default_config_static_selectorELNS0_4arch9wavefront6targetE1EEEvT1_,comdat
	.protected	_ZN7rocprim17ROCPRIM_400000_NS6detail17trampoline_kernelINS0_14default_configENS1_27scan_by_key_config_selectorIixEEZZNS1_16scan_by_key_implILNS1_25lookback_scan_determinismE0ELb0ES3_N6thrust23THRUST_200600_302600_NS6detail15normal_iteratorINS9_10device_ptrIiEEEENSB_INSC_IxEEEESG_xNS9_4plusIvEENS9_8equal_toIvEExEE10hipError_tPvRmT2_T3_T4_T5_mT6_T7_P12ihipStream_tbENKUlT_T0_E_clISt17integral_constantIbLb0EES10_IbLb1EEEEDaSW_SX_EUlSW_E_NS1_11comp_targetILNS1_3genE9ELNS1_11target_archE1100ELNS1_3gpuE3ELNS1_3repE0EEENS1_30default_config_static_selectorELNS0_4arch9wavefront6targetE1EEEvT1_ ; -- Begin function _ZN7rocprim17ROCPRIM_400000_NS6detail17trampoline_kernelINS0_14default_configENS1_27scan_by_key_config_selectorIixEEZZNS1_16scan_by_key_implILNS1_25lookback_scan_determinismE0ELb0ES3_N6thrust23THRUST_200600_302600_NS6detail15normal_iteratorINS9_10device_ptrIiEEEENSB_INSC_IxEEEESG_xNS9_4plusIvEENS9_8equal_toIvEExEE10hipError_tPvRmT2_T3_T4_T5_mT6_T7_P12ihipStream_tbENKUlT_T0_E_clISt17integral_constantIbLb0EES10_IbLb1EEEEDaSW_SX_EUlSW_E_NS1_11comp_targetILNS1_3genE9ELNS1_11target_archE1100ELNS1_3gpuE3ELNS1_3repE0EEENS1_30default_config_static_selectorELNS0_4arch9wavefront6targetE1EEEvT1_
	.globl	_ZN7rocprim17ROCPRIM_400000_NS6detail17trampoline_kernelINS0_14default_configENS1_27scan_by_key_config_selectorIixEEZZNS1_16scan_by_key_implILNS1_25lookback_scan_determinismE0ELb0ES3_N6thrust23THRUST_200600_302600_NS6detail15normal_iteratorINS9_10device_ptrIiEEEENSB_INSC_IxEEEESG_xNS9_4plusIvEENS9_8equal_toIvEExEE10hipError_tPvRmT2_T3_T4_T5_mT6_T7_P12ihipStream_tbENKUlT_T0_E_clISt17integral_constantIbLb0EES10_IbLb1EEEEDaSW_SX_EUlSW_E_NS1_11comp_targetILNS1_3genE9ELNS1_11target_archE1100ELNS1_3gpuE3ELNS1_3repE0EEENS1_30default_config_static_selectorELNS0_4arch9wavefront6targetE1EEEvT1_
	.p2align	8
	.type	_ZN7rocprim17ROCPRIM_400000_NS6detail17trampoline_kernelINS0_14default_configENS1_27scan_by_key_config_selectorIixEEZZNS1_16scan_by_key_implILNS1_25lookback_scan_determinismE0ELb0ES3_N6thrust23THRUST_200600_302600_NS6detail15normal_iteratorINS9_10device_ptrIiEEEENSB_INSC_IxEEEESG_xNS9_4plusIvEENS9_8equal_toIvEExEE10hipError_tPvRmT2_T3_T4_T5_mT6_T7_P12ihipStream_tbENKUlT_T0_E_clISt17integral_constantIbLb0EES10_IbLb1EEEEDaSW_SX_EUlSW_E_NS1_11comp_targetILNS1_3genE9ELNS1_11target_archE1100ELNS1_3gpuE3ELNS1_3repE0EEENS1_30default_config_static_selectorELNS0_4arch9wavefront6targetE1EEEvT1_,@function
_ZN7rocprim17ROCPRIM_400000_NS6detail17trampoline_kernelINS0_14default_configENS1_27scan_by_key_config_selectorIixEEZZNS1_16scan_by_key_implILNS1_25lookback_scan_determinismE0ELb0ES3_N6thrust23THRUST_200600_302600_NS6detail15normal_iteratorINS9_10device_ptrIiEEEENSB_INSC_IxEEEESG_xNS9_4plusIvEENS9_8equal_toIvEExEE10hipError_tPvRmT2_T3_T4_T5_mT6_T7_P12ihipStream_tbENKUlT_T0_E_clISt17integral_constantIbLb0EES10_IbLb1EEEEDaSW_SX_EUlSW_E_NS1_11comp_targetILNS1_3genE9ELNS1_11target_archE1100ELNS1_3gpuE3ELNS1_3repE0EEENS1_30default_config_static_selectorELNS0_4arch9wavefront6targetE1EEEvT1_: ; @_ZN7rocprim17ROCPRIM_400000_NS6detail17trampoline_kernelINS0_14default_configENS1_27scan_by_key_config_selectorIixEEZZNS1_16scan_by_key_implILNS1_25lookback_scan_determinismE0ELb0ES3_N6thrust23THRUST_200600_302600_NS6detail15normal_iteratorINS9_10device_ptrIiEEEENSB_INSC_IxEEEESG_xNS9_4plusIvEENS9_8equal_toIvEExEE10hipError_tPvRmT2_T3_T4_T5_mT6_T7_P12ihipStream_tbENKUlT_T0_E_clISt17integral_constantIbLb0EES10_IbLb1EEEEDaSW_SX_EUlSW_E_NS1_11comp_targetILNS1_3genE9ELNS1_11target_archE1100ELNS1_3gpuE3ELNS1_3repE0EEENS1_30default_config_static_selectorELNS0_4arch9wavefront6targetE1EEEvT1_
; %bb.0:
	.section	.rodata,"a",@progbits
	.p2align	6, 0x0
	.amdhsa_kernel _ZN7rocprim17ROCPRIM_400000_NS6detail17trampoline_kernelINS0_14default_configENS1_27scan_by_key_config_selectorIixEEZZNS1_16scan_by_key_implILNS1_25lookback_scan_determinismE0ELb0ES3_N6thrust23THRUST_200600_302600_NS6detail15normal_iteratorINS9_10device_ptrIiEEEENSB_INSC_IxEEEESG_xNS9_4plusIvEENS9_8equal_toIvEExEE10hipError_tPvRmT2_T3_T4_T5_mT6_T7_P12ihipStream_tbENKUlT_T0_E_clISt17integral_constantIbLb0EES10_IbLb1EEEEDaSW_SX_EUlSW_E_NS1_11comp_targetILNS1_3genE9ELNS1_11target_archE1100ELNS1_3gpuE3ELNS1_3repE0EEENS1_30default_config_static_selectorELNS0_4arch9wavefront6targetE1EEEvT1_
		.amdhsa_group_segment_fixed_size 0
		.amdhsa_private_segment_fixed_size 0
		.amdhsa_kernarg_size 136
		.amdhsa_user_sgpr_count 2
		.amdhsa_user_sgpr_dispatch_ptr 0
		.amdhsa_user_sgpr_queue_ptr 0
		.amdhsa_user_sgpr_kernarg_segment_ptr 1
		.amdhsa_user_sgpr_dispatch_id 0
		.amdhsa_user_sgpr_kernarg_preload_length 0
		.amdhsa_user_sgpr_kernarg_preload_offset 0
		.amdhsa_user_sgpr_private_segment_size 0
		.amdhsa_uses_dynamic_stack 0
		.amdhsa_enable_private_segment 0
		.amdhsa_system_sgpr_workgroup_id_x 1
		.amdhsa_system_sgpr_workgroup_id_y 0
		.amdhsa_system_sgpr_workgroup_id_z 0
		.amdhsa_system_sgpr_workgroup_info 0
		.amdhsa_system_vgpr_workitem_id 0
		.amdhsa_next_free_vgpr 1
		.amdhsa_next_free_sgpr 0
		.amdhsa_accum_offset 4
		.amdhsa_reserve_vcc 0
		.amdhsa_float_round_mode_32 0
		.amdhsa_float_round_mode_16_64 0
		.amdhsa_float_denorm_mode_32 3
		.amdhsa_float_denorm_mode_16_64 3
		.amdhsa_dx10_clamp 1
		.amdhsa_ieee_mode 1
		.amdhsa_fp16_overflow 0
		.amdhsa_tg_split 0
		.amdhsa_exception_fp_ieee_invalid_op 0
		.amdhsa_exception_fp_denorm_src 0
		.amdhsa_exception_fp_ieee_div_zero 0
		.amdhsa_exception_fp_ieee_overflow 0
		.amdhsa_exception_fp_ieee_underflow 0
		.amdhsa_exception_fp_ieee_inexact 0
		.amdhsa_exception_int_div_zero 0
	.end_amdhsa_kernel
	.section	.text._ZN7rocprim17ROCPRIM_400000_NS6detail17trampoline_kernelINS0_14default_configENS1_27scan_by_key_config_selectorIixEEZZNS1_16scan_by_key_implILNS1_25lookback_scan_determinismE0ELb0ES3_N6thrust23THRUST_200600_302600_NS6detail15normal_iteratorINS9_10device_ptrIiEEEENSB_INSC_IxEEEESG_xNS9_4plusIvEENS9_8equal_toIvEExEE10hipError_tPvRmT2_T3_T4_T5_mT6_T7_P12ihipStream_tbENKUlT_T0_E_clISt17integral_constantIbLb0EES10_IbLb1EEEEDaSW_SX_EUlSW_E_NS1_11comp_targetILNS1_3genE9ELNS1_11target_archE1100ELNS1_3gpuE3ELNS1_3repE0EEENS1_30default_config_static_selectorELNS0_4arch9wavefront6targetE1EEEvT1_,"axG",@progbits,_ZN7rocprim17ROCPRIM_400000_NS6detail17trampoline_kernelINS0_14default_configENS1_27scan_by_key_config_selectorIixEEZZNS1_16scan_by_key_implILNS1_25lookback_scan_determinismE0ELb0ES3_N6thrust23THRUST_200600_302600_NS6detail15normal_iteratorINS9_10device_ptrIiEEEENSB_INSC_IxEEEESG_xNS9_4plusIvEENS9_8equal_toIvEExEE10hipError_tPvRmT2_T3_T4_T5_mT6_T7_P12ihipStream_tbENKUlT_T0_E_clISt17integral_constantIbLb0EES10_IbLb1EEEEDaSW_SX_EUlSW_E_NS1_11comp_targetILNS1_3genE9ELNS1_11target_archE1100ELNS1_3gpuE3ELNS1_3repE0EEENS1_30default_config_static_selectorELNS0_4arch9wavefront6targetE1EEEvT1_,comdat
.Lfunc_end1348:
	.size	_ZN7rocprim17ROCPRIM_400000_NS6detail17trampoline_kernelINS0_14default_configENS1_27scan_by_key_config_selectorIixEEZZNS1_16scan_by_key_implILNS1_25lookback_scan_determinismE0ELb0ES3_N6thrust23THRUST_200600_302600_NS6detail15normal_iteratorINS9_10device_ptrIiEEEENSB_INSC_IxEEEESG_xNS9_4plusIvEENS9_8equal_toIvEExEE10hipError_tPvRmT2_T3_T4_T5_mT6_T7_P12ihipStream_tbENKUlT_T0_E_clISt17integral_constantIbLb0EES10_IbLb1EEEEDaSW_SX_EUlSW_E_NS1_11comp_targetILNS1_3genE9ELNS1_11target_archE1100ELNS1_3gpuE3ELNS1_3repE0EEENS1_30default_config_static_selectorELNS0_4arch9wavefront6targetE1EEEvT1_, .Lfunc_end1348-_ZN7rocprim17ROCPRIM_400000_NS6detail17trampoline_kernelINS0_14default_configENS1_27scan_by_key_config_selectorIixEEZZNS1_16scan_by_key_implILNS1_25lookback_scan_determinismE0ELb0ES3_N6thrust23THRUST_200600_302600_NS6detail15normal_iteratorINS9_10device_ptrIiEEEENSB_INSC_IxEEEESG_xNS9_4plusIvEENS9_8equal_toIvEExEE10hipError_tPvRmT2_T3_T4_T5_mT6_T7_P12ihipStream_tbENKUlT_T0_E_clISt17integral_constantIbLb0EES10_IbLb1EEEEDaSW_SX_EUlSW_E_NS1_11comp_targetILNS1_3genE9ELNS1_11target_archE1100ELNS1_3gpuE3ELNS1_3repE0EEENS1_30default_config_static_selectorELNS0_4arch9wavefront6targetE1EEEvT1_
                                        ; -- End function
	.section	.AMDGPU.csdata,"",@progbits
; Kernel info:
; codeLenInByte = 0
; NumSgprs: 6
; NumVgprs: 0
; NumAgprs: 0
; TotalNumVgprs: 0
; ScratchSize: 0
; MemoryBound: 0
; FloatMode: 240
; IeeeMode: 1
; LDSByteSize: 0 bytes/workgroup (compile time only)
; SGPRBlocks: 0
; VGPRBlocks: 0
; NumSGPRsForWavesPerEU: 6
; NumVGPRsForWavesPerEU: 1
; AccumOffset: 4
; Occupancy: 8
; WaveLimiterHint : 0
; COMPUTE_PGM_RSRC2:SCRATCH_EN: 0
; COMPUTE_PGM_RSRC2:USER_SGPR: 2
; COMPUTE_PGM_RSRC2:TRAP_HANDLER: 0
; COMPUTE_PGM_RSRC2:TGID_X_EN: 1
; COMPUTE_PGM_RSRC2:TGID_Y_EN: 0
; COMPUTE_PGM_RSRC2:TGID_Z_EN: 0
; COMPUTE_PGM_RSRC2:TIDIG_COMP_CNT: 0
; COMPUTE_PGM_RSRC3_GFX90A:ACCUM_OFFSET: 0
; COMPUTE_PGM_RSRC3_GFX90A:TG_SPLIT: 0
	.section	.text._ZN7rocprim17ROCPRIM_400000_NS6detail17trampoline_kernelINS0_14default_configENS1_27scan_by_key_config_selectorIixEEZZNS1_16scan_by_key_implILNS1_25lookback_scan_determinismE0ELb0ES3_N6thrust23THRUST_200600_302600_NS6detail15normal_iteratorINS9_10device_ptrIiEEEENSB_INSC_IxEEEESG_xNS9_4plusIvEENS9_8equal_toIvEExEE10hipError_tPvRmT2_T3_T4_T5_mT6_T7_P12ihipStream_tbENKUlT_T0_E_clISt17integral_constantIbLb0EES10_IbLb1EEEEDaSW_SX_EUlSW_E_NS1_11comp_targetILNS1_3genE8ELNS1_11target_archE1030ELNS1_3gpuE2ELNS1_3repE0EEENS1_30default_config_static_selectorELNS0_4arch9wavefront6targetE1EEEvT1_,"axG",@progbits,_ZN7rocprim17ROCPRIM_400000_NS6detail17trampoline_kernelINS0_14default_configENS1_27scan_by_key_config_selectorIixEEZZNS1_16scan_by_key_implILNS1_25lookback_scan_determinismE0ELb0ES3_N6thrust23THRUST_200600_302600_NS6detail15normal_iteratorINS9_10device_ptrIiEEEENSB_INSC_IxEEEESG_xNS9_4plusIvEENS9_8equal_toIvEExEE10hipError_tPvRmT2_T3_T4_T5_mT6_T7_P12ihipStream_tbENKUlT_T0_E_clISt17integral_constantIbLb0EES10_IbLb1EEEEDaSW_SX_EUlSW_E_NS1_11comp_targetILNS1_3genE8ELNS1_11target_archE1030ELNS1_3gpuE2ELNS1_3repE0EEENS1_30default_config_static_selectorELNS0_4arch9wavefront6targetE1EEEvT1_,comdat
	.protected	_ZN7rocprim17ROCPRIM_400000_NS6detail17trampoline_kernelINS0_14default_configENS1_27scan_by_key_config_selectorIixEEZZNS1_16scan_by_key_implILNS1_25lookback_scan_determinismE0ELb0ES3_N6thrust23THRUST_200600_302600_NS6detail15normal_iteratorINS9_10device_ptrIiEEEENSB_INSC_IxEEEESG_xNS9_4plusIvEENS9_8equal_toIvEExEE10hipError_tPvRmT2_T3_T4_T5_mT6_T7_P12ihipStream_tbENKUlT_T0_E_clISt17integral_constantIbLb0EES10_IbLb1EEEEDaSW_SX_EUlSW_E_NS1_11comp_targetILNS1_3genE8ELNS1_11target_archE1030ELNS1_3gpuE2ELNS1_3repE0EEENS1_30default_config_static_selectorELNS0_4arch9wavefront6targetE1EEEvT1_ ; -- Begin function _ZN7rocprim17ROCPRIM_400000_NS6detail17trampoline_kernelINS0_14default_configENS1_27scan_by_key_config_selectorIixEEZZNS1_16scan_by_key_implILNS1_25lookback_scan_determinismE0ELb0ES3_N6thrust23THRUST_200600_302600_NS6detail15normal_iteratorINS9_10device_ptrIiEEEENSB_INSC_IxEEEESG_xNS9_4plusIvEENS9_8equal_toIvEExEE10hipError_tPvRmT2_T3_T4_T5_mT6_T7_P12ihipStream_tbENKUlT_T0_E_clISt17integral_constantIbLb0EES10_IbLb1EEEEDaSW_SX_EUlSW_E_NS1_11comp_targetILNS1_3genE8ELNS1_11target_archE1030ELNS1_3gpuE2ELNS1_3repE0EEENS1_30default_config_static_selectorELNS0_4arch9wavefront6targetE1EEEvT1_
	.globl	_ZN7rocprim17ROCPRIM_400000_NS6detail17trampoline_kernelINS0_14default_configENS1_27scan_by_key_config_selectorIixEEZZNS1_16scan_by_key_implILNS1_25lookback_scan_determinismE0ELb0ES3_N6thrust23THRUST_200600_302600_NS6detail15normal_iteratorINS9_10device_ptrIiEEEENSB_INSC_IxEEEESG_xNS9_4plusIvEENS9_8equal_toIvEExEE10hipError_tPvRmT2_T3_T4_T5_mT6_T7_P12ihipStream_tbENKUlT_T0_E_clISt17integral_constantIbLb0EES10_IbLb1EEEEDaSW_SX_EUlSW_E_NS1_11comp_targetILNS1_3genE8ELNS1_11target_archE1030ELNS1_3gpuE2ELNS1_3repE0EEENS1_30default_config_static_selectorELNS0_4arch9wavefront6targetE1EEEvT1_
	.p2align	8
	.type	_ZN7rocprim17ROCPRIM_400000_NS6detail17trampoline_kernelINS0_14default_configENS1_27scan_by_key_config_selectorIixEEZZNS1_16scan_by_key_implILNS1_25lookback_scan_determinismE0ELb0ES3_N6thrust23THRUST_200600_302600_NS6detail15normal_iteratorINS9_10device_ptrIiEEEENSB_INSC_IxEEEESG_xNS9_4plusIvEENS9_8equal_toIvEExEE10hipError_tPvRmT2_T3_T4_T5_mT6_T7_P12ihipStream_tbENKUlT_T0_E_clISt17integral_constantIbLb0EES10_IbLb1EEEEDaSW_SX_EUlSW_E_NS1_11comp_targetILNS1_3genE8ELNS1_11target_archE1030ELNS1_3gpuE2ELNS1_3repE0EEENS1_30default_config_static_selectorELNS0_4arch9wavefront6targetE1EEEvT1_,@function
_ZN7rocprim17ROCPRIM_400000_NS6detail17trampoline_kernelINS0_14default_configENS1_27scan_by_key_config_selectorIixEEZZNS1_16scan_by_key_implILNS1_25lookback_scan_determinismE0ELb0ES3_N6thrust23THRUST_200600_302600_NS6detail15normal_iteratorINS9_10device_ptrIiEEEENSB_INSC_IxEEEESG_xNS9_4plusIvEENS9_8equal_toIvEExEE10hipError_tPvRmT2_T3_T4_T5_mT6_T7_P12ihipStream_tbENKUlT_T0_E_clISt17integral_constantIbLb0EES10_IbLb1EEEEDaSW_SX_EUlSW_E_NS1_11comp_targetILNS1_3genE8ELNS1_11target_archE1030ELNS1_3gpuE2ELNS1_3repE0EEENS1_30default_config_static_selectorELNS0_4arch9wavefront6targetE1EEEvT1_: ; @_ZN7rocprim17ROCPRIM_400000_NS6detail17trampoline_kernelINS0_14default_configENS1_27scan_by_key_config_selectorIixEEZZNS1_16scan_by_key_implILNS1_25lookback_scan_determinismE0ELb0ES3_N6thrust23THRUST_200600_302600_NS6detail15normal_iteratorINS9_10device_ptrIiEEEENSB_INSC_IxEEEESG_xNS9_4plusIvEENS9_8equal_toIvEExEE10hipError_tPvRmT2_T3_T4_T5_mT6_T7_P12ihipStream_tbENKUlT_T0_E_clISt17integral_constantIbLb0EES10_IbLb1EEEEDaSW_SX_EUlSW_E_NS1_11comp_targetILNS1_3genE8ELNS1_11target_archE1030ELNS1_3gpuE2ELNS1_3repE0EEENS1_30default_config_static_selectorELNS0_4arch9wavefront6targetE1EEEvT1_
; %bb.0:
	.section	.rodata,"a",@progbits
	.p2align	6, 0x0
	.amdhsa_kernel _ZN7rocprim17ROCPRIM_400000_NS6detail17trampoline_kernelINS0_14default_configENS1_27scan_by_key_config_selectorIixEEZZNS1_16scan_by_key_implILNS1_25lookback_scan_determinismE0ELb0ES3_N6thrust23THRUST_200600_302600_NS6detail15normal_iteratorINS9_10device_ptrIiEEEENSB_INSC_IxEEEESG_xNS9_4plusIvEENS9_8equal_toIvEExEE10hipError_tPvRmT2_T3_T4_T5_mT6_T7_P12ihipStream_tbENKUlT_T0_E_clISt17integral_constantIbLb0EES10_IbLb1EEEEDaSW_SX_EUlSW_E_NS1_11comp_targetILNS1_3genE8ELNS1_11target_archE1030ELNS1_3gpuE2ELNS1_3repE0EEENS1_30default_config_static_selectorELNS0_4arch9wavefront6targetE1EEEvT1_
		.amdhsa_group_segment_fixed_size 0
		.amdhsa_private_segment_fixed_size 0
		.amdhsa_kernarg_size 136
		.amdhsa_user_sgpr_count 2
		.amdhsa_user_sgpr_dispatch_ptr 0
		.amdhsa_user_sgpr_queue_ptr 0
		.amdhsa_user_sgpr_kernarg_segment_ptr 1
		.amdhsa_user_sgpr_dispatch_id 0
		.amdhsa_user_sgpr_kernarg_preload_length 0
		.amdhsa_user_sgpr_kernarg_preload_offset 0
		.amdhsa_user_sgpr_private_segment_size 0
		.amdhsa_uses_dynamic_stack 0
		.amdhsa_enable_private_segment 0
		.amdhsa_system_sgpr_workgroup_id_x 1
		.amdhsa_system_sgpr_workgroup_id_y 0
		.amdhsa_system_sgpr_workgroup_id_z 0
		.amdhsa_system_sgpr_workgroup_info 0
		.amdhsa_system_vgpr_workitem_id 0
		.amdhsa_next_free_vgpr 1
		.amdhsa_next_free_sgpr 0
		.amdhsa_accum_offset 4
		.amdhsa_reserve_vcc 0
		.amdhsa_float_round_mode_32 0
		.amdhsa_float_round_mode_16_64 0
		.amdhsa_float_denorm_mode_32 3
		.amdhsa_float_denorm_mode_16_64 3
		.amdhsa_dx10_clamp 1
		.amdhsa_ieee_mode 1
		.amdhsa_fp16_overflow 0
		.amdhsa_tg_split 0
		.amdhsa_exception_fp_ieee_invalid_op 0
		.amdhsa_exception_fp_denorm_src 0
		.amdhsa_exception_fp_ieee_div_zero 0
		.amdhsa_exception_fp_ieee_overflow 0
		.amdhsa_exception_fp_ieee_underflow 0
		.amdhsa_exception_fp_ieee_inexact 0
		.amdhsa_exception_int_div_zero 0
	.end_amdhsa_kernel
	.section	.text._ZN7rocprim17ROCPRIM_400000_NS6detail17trampoline_kernelINS0_14default_configENS1_27scan_by_key_config_selectorIixEEZZNS1_16scan_by_key_implILNS1_25lookback_scan_determinismE0ELb0ES3_N6thrust23THRUST_200600_302600_NS6detail15normal_iteratorINS9_10device_ptrIiEEEENSB_INSC_IxEEEESG_xNS9_4plusIvEENS9_8equal_toIvEExEE10hipError_tPvRmT2_T3_T4_T5_mT6_T7_P12ihipStream_tbENKUlT_T0_E_clISt17integral_constantIbLb0EES10_IbLb1EEEEDaSW_SX_EUlSW_E_NS1_11comp_targetILNS1_3genE8ELNS1_11target_archE1030ELNS1_3gpuE2ELNS1_3repE0EEENS1_30default_config_static_selectorELNS0_4arch9wavefront6targetE1EEEvT1_,"axG",@progbits,_ZN7rocprim17ROCPRIM_400000_NS6detail17trampoline_kernelINS0_14default_configENS1_27scan_by_key_config_selectorIixEEZZNS1_16scan_by_key_implILNS1_25lookback_scan_determinismE0ELb0ES3_N6thrust23THRUST_200600_302600_NS6detail15normal_iteratorINS9_10device_ptrIiEEEENSB_INSC_IxEEEESG_xNS9_4plusIvEENS9_8equal_toIvEExEE10hipError_tPvRmT2_T3_T4_T5_mT6_T7_P12ihipStream_tbENKUlT_T0_E_clISt17integral_constantIbLb0EES10_IbLb1EEEEDaSW_SX_EUlSW_E_NS1_11comp_targetILNS1_3genE8ELNS1_11target_archE1030ELNS1_3gpuE2ELNS1_3repE0EEENS1_30default_config_static_selectorELNS0_4arch9wavefront6targetE1EEEvT1_,comdat
.Lfunc_end1349:
	.size	_ZN7rocprim17ROCPRIM_400000_NS6detail17trampoline_kernelINS0_14default_configENS1_27scan_by_key_config_selectorIixEEZZNS1_16scan_by_key_implILNS1_25lookback_scan_determinismE0ELb0ES3_N6thrust23THRUST_200600_302600_NS6detail15normal_iteratorINS9_10device_ptrIiEEEENSB_INSC_IxEEEESG_xNS9_4plusIvEENS9_8equal_toIvEExEE10hipError_tPvRmT2_T3_T4_T5_mT6_T7_P12ihipStream_tbENKUlT_T0_E_clISt17integral_constantIbLb0EES10_IbLb1EEEEDaSW_SX_EUlSW_E_NS1_11comp_targetILNS1_3genE8ELNS1_11target_archE1030ELNS1_3gpuE2ELNS1_3repE0EEENS1_30default_config_static_selectorELNS0_4arch9wavefront6targetE1EEEvT1_, .Lfunc_end1349-_ZN7rocprim17ROCPRIM_400000_NS6detail17trampoline_kernelINS0_14default_configENS1_27scan_by_key_config_selectorIixEEZZNS1_16scan_by_key_implILNS1_25lookback_scan_determinismE0ELb0ES3_N6thrust23THRUST_200600_302600_NS6detail15normal_iteratorINS9_10device_ptrIiEEEENSB_INSC_IxEEEESG_xNS9_4plusIvEENS9_8equal_toIvEExEE10hipError_tPvRmT2_T3_T4_T5_mT6_T7_P12ihipStream_tbENKUlT_T0_E_clISt17integral_constantIbLb0EES10_IbLb1EEEEDaSW_SX_EUlSW_E_NS1_11comp_targetILNS1_3genE8ELNS1_11target_archE1030ELNS1_3gpuE2ELNS1_3repE0EEENS1_30default_config_static_selectorELNS0_4arch9wavefront6targetE1EEEvT1_
                                        ; -- End function
	.section	.AMDGPU.csdata,"",@progbits
; Kernel info:
; codeLenInByte = 0
; NumSgprs: 6
; NumVgprs: 0
; NumAgprs: 0
; TotalNumVgprs: 0
; ScratchSize: 0
; MemoryBound: 0
; FloatMode: 240
; IeeeMode: 1
; LDSByteSize: 0 bytes/workgroup (compile time only)
; SGPRBlocks: 0
; VGPRBlocks: 0
; NumSGPRsForWavesPerEU: 6
; NumVGPRsForWavesPerEU: 1
; AccumOffset: 4
; Occupancy: 8
; WaveLimiterHint : 0
; COMPUTE_PGM_RSRC2:SCRATCH_EN: 0
; COMPUTE_PGM_RSRC2:USER_SGPR: 2
; COMPUTE_PGM_RSRC2:TRAP_HANDLER: 0
; COMPUTE_PGM_RSRC2:TGID_X_EN: 1
; COMPUTE_PGM_RSRC2:TGID_Y_EN: 0
; COMPUTE_PGM_RSRC2:TGID_Z_EN: 0
; COMPUTE_PGM_RSRC2:TIDIG_COMP_CNT: 0
; COMPUTE_PGM_RSRC3_GFX90A:ACCUM_OFFSET: 0
; COMPUTE_PGM_RSRC3_GFX90A:TG_SPLIT: 0
	.section	.text._ZN6thrust23THRUST_200600_302600_NS11hip_rocprim14__parallel_for6kernelILj256ENS1_11__transform17unary_transform_fINS0_7pointerIiNS1_3tagENS0_11use_defaultES8_EENS0_10device_ptrIsEENS4_14no_stencil_tagENS0_8identityIiEENS4_21always_true_predicateEEElLj1EEEvT0_T1_SI_,"axG",@progbits,_ZN6thrust23THRUST_200600_302600_NS11hip_rocprim14__parallel_for6kernelILj256ENS1_11__transform17unary_transform_fINS0_7pointerIiNS1_3tagENS0_11use_defaultES8_EENS0_10device_ptrIsEENS4_14no_stencil_tagENS0_8identityIiEENS4_21always_true_predicateEEElLj1EEEvT0_T1_SI_,comdat
	.protected	_ZN6thrust23THRUST_200600_302600_NS11hip_rocprim14__parallel_for6kernelILj256ENS1_11__transform17unary_transform_fINS0_7pointerIiNS1_3tagENS0_11use_defaultES8_EENS0_10device_ptrIsEENS4_14no_stencil_tagENS0_8identityIiEENS4_21always_true_predicateEEElLj1EEEvT0_T1_SI_ ; -- Begin function _ZN6thrust23THRUST_200600_302600_NS11hip_rocprim14__parallel_for6kernelILj256ENS1_11__transform17unary_transform_fINS0_7pointerIiNS1_3tagENS0_11use_defaultES8_EENS0_10device_ptrIsEENS4_14no_stencil_tagENS0_8identityIiEENS4_21always_true_predicateEEElLj1EEEvT0_T1_SI_
	.globl	_ZN6thrust23THRUST_200600_302600_NS11hip_rocprim14__parallel_for6kernelILj256ENS1_11__transform17unary_transform_fINS0_7pointerIiNS1_3tagENS0_11use_defaultES8_EENS0_10device_ptrIsEENS4_14no_stencil_tagENS0_8identityIiEENS4_21always_true_predicateEEElLj1EEEvT0_T1_SI_
	.p2align	8
	.type	_ZN6thrust23THRUST_200600_302600_NS11hip_rocprim14__parallel_for6kernelILj256ENS1_11__transform17unary_transform_fINS0_7pointerIiNS1_3tagENS0_11use_defaultES8_EENS0_10device_ptrIsEENS4_14no_stencil_tagENS0_8identityIiEENS4_21always_true_predicateEEElLj1EEEvT0_T1_SI_,@function
_ZN6thrust23THRUST_200600_302600_NS11hip_rocprim14__parallel_for6kernelILj256ENS1_11__transform17unary_transform_fINS0_7pointerIiNS1_3tagENS0_11use_defaultES8_EENS0_10device_ptrIsEENS4_14no_stencil_tagENS0_8identityIiEENS4_21always_true_predicateEEElLj1EEEvT0_T1_SI_: ; @_ZN6thrust23THRUST_200600_302600_NS11hip_rocprim14__parallel_for6kernelILj256ENS1_11__transform17unary_transform_fINS0_7pointerIiNS1_3tagENS0_11use_defaultES8_EENS0_10device_ptrIsEENS4_14no_stencil_tagENS0_8identityIiEENS4_21always_true_predicateEEElLj1EEEvT0_T1_SI_
; %bb.0:
	s_load_dwordx4 s[8:11], s[0:1], 0x18
	s_load_dwordx4 s[4:7], s[0:1], 0x0
	s_lshl_b32 s0, s2, 8
	v_mov_b64_e32 v[2:3], 0x100
	s_waitcnt lgkmcnt(0)
	s_add_u32 s0, s0, s10
	s_addc_u32 s1, 0, s11
	s_sub_u32 s2, s8, s0
	s_subb_u32 s3, s9, s1
	v_cmp_lt_i64_e32 vcc, s[2:3], v[2:3]
	s_and_b64 s[8:9], vcc, exec
	s_cselect_b32 s8, s2, 0x100
	s_cmpk_lg_i32 s8, 0x100
	s_mov_b64 s[2:3], -1
	s_cbranch_scc1 .LBB1350_3
; %bb.1:
	s_andn2_b64 vcc, exec, s[2:3]
	s_cbranch_vccz .LBB1350_6
.LBB1350_2:
	s_endpgm
.LBB1350_3:
	v_cmp_gt_u32_e32 vcc, s8, v0
	s_and_saveexec_b64 s[2:3], vcc
	s_cbranch_execz .LBB1350_5
; %bb.4:
	v_mov_b32_e32 v1, 0
	v_lshl_add_u64 v[2:3], s[0:1], 0, v[0:1]
	v_lshl_add_u64 v[4:5], v[2:3], 2, s[4:5]
	flat_load_dword v1, v[4:5]
	v_lshl_add_u64 v[2:3], v[2:3], 1, s[6:7]
	s_waitcnt vmcnt(0) lgkmcnt(0)
	flat_store_short v[2:3], v1
.LBB1350_5:
	s_or_b64 exec, exec, s[2:3]
	s_cbranch_execnz .LBB1350_2
.LBB1350_6:
	v_mov_b32_e32 v1, 0
	v_lshl_add_u64 v[0:1], s[0:1], 0, v[0:1]
	v_lshl_add_u64 v[2:3], v[0:1], 2, s[4:5]
	flat_load_dword v2, v[2:3]
	v_lshl_add_u64 v[0:1], v[0:1], 1, s[6:7]
	s_waitcnt vmcnt(0) lgkmcnt(0)
	flat_store_short v[0:1], v2
	s_endpgm
	.section	.rodata,"a",@progbits
	.p2align	6, 0x0
	.amdhsa_kernel _ZN6thrust23THRUST_200600_302600_NS11hip_rocprim14__parallel_for6kernelILj256ENS1_11__transform17unary_transform_fINS0_7pointerIiNS1_3tagENS0_11use_defaultES8_EENS0_10device_ptrIsEENS4_14no_stencil_tagENS0_8identityIiEENS4_21always_true_predicateEEElLj1EEEvT0_T1_SI_
		.amdhsa_group_segment_fixed_size 0
		.amdhsa_private_segment_fixed_size 0
		.amdhsa_kernarg_size 40
		.amdhsa_user_sgpr_count 2
		.amdhsa_user_sgpr_dispatch_ptr 0
		.amdhsa_user_sgpr_queue_ptr 0
		.amdhsa_user_sgpr_kernarg_segment_ptr 1
		.amdhsa_user_sgpr_dispatch_id 0
		.amdhsa_user_sgpr_kernarg_preload_length 0
		.amdhsa_user_sgpr_kernarg_preload_offset 0
		.amdhsa_user_sgpr_private_segment_size 0
		.amdhsa_uses_dynamic_stack 0
		.amdhsa_enable_private_segment 0
		.amdhsa_system_sgpr_workgroup_id_x 1
		.amdhsa_system_sgpr_workgroup_id_y 0
		.amdhsa_system_sgpr_workgroup_id_z 0
		.amdhsa_system_sgpr_workgroup_info 0
		.amdhsa_system_vgpr_workitem_id 0
		.amdhsa_next_free_vgpr 6
		.amdhsa_next_free_sgpr 12
		.amdhsa_accum_offset 8
		.amdhsa_reserve_vcc 1
		.amdhsa_float_round_mode_32 0
		.amdhsa_float_round_mode_16_64 0
		.amdhsa_float_denorm_mode_32 3
		.amdhsa_float_denorm_mode_16_64 3
		.amdhsa_dx10_clamp 1
		.amdhsa_ieee_mode 1
		.amdhsa_fp16_overflow 0
		.amdhsa_tg_split 0
		.amdhsa_exception_fp_ieee_invalid_op 0
		.amdhsa_exception_fp_denorm_src 0
		.amdhsa_exception_fp_ieee_div_zero 0
		.amdhsa_exception_fp_ieee_overflow 0
		.amdhsa_exception_fp_ieee_underflow 0
		.amdhsa_exception_fp_ieee_inexact 0
		.amdhsa_exception_int_div_zero 0
	.end_amdhsa_kernel
	.section	.text._ZN6thrust23THRUST_200600_302600_NS11hip_rocprim14__parallel_for6kernelILj256ENS1_11__transform17unary_transform_fINS0_7pointerIiNS1_3tagENS0_11use_defaultES8_EENS0_10device_ptrIsEENS4_14no_stencil_tagENS0_8identityIiEENS4_21always_true_predicateEEElLj1EEEvT0_T1_SI_,"axG",@progbits,_ZN6thrust23THRUST_200600_302600_NS11hip_rocprim14__parallel_for6kernelILj256ENS1_11__transform17unary_transform_fINS0_7pointerIiNS1_3tagENS0_11use_defaultES8_EENS0_10device_ptrIsEENS4_14no_stencil_tagENS0_8identityIiEENS4_21always_true_predicateEEElLj1EEEvT0_T1_SI_,comdat
.Lfunc_end1350:
	.size	_ZN6thrust23THRUST_200600_302600_NS11hip_rocprim14__parallel_for6kernelILj256ENS1_11__transform17unary_transform_fINS0_7pointerIiNS1_3tagENS0_11use_defaultES8_EENS0_10device_ptrIsEENS4_14no_stencil_tagENS0_8identityIiEENS4_21always_true_predicateEEElLj1EEEvT0_T1_SI_, .Lfunc_end1350-_ZN6thrust23THRUST_200600_302600_NS11hip_rocprim14__parallel_for6kernelILj256ENS1_11__transform17unary_transform_fINS0_7pointerIiNS1_3tagENS0_11use_defaultES8_EENS0_10device_ptrIsEENS4_14no_stencil_tagENS0_8identityIiEENS4_21always_true_predicateEEElLj1EEEvT0_T1_SI_
                                        ; -- End function
	.section	.AMDGPU.csdata,"",@progbits
; Kernel info:
; codeLenInByte = 208
; NumSgprs: 18
; NumVgprs: 6
; NumAgprs: 0
; TotalNumVgprs: 6
; ScratchSize: 0
; MemoryBound: 0
; FloatMode: 240
; IeeeMode: 1
; LDSByteSize: 0 bytes/workgroup (compile time only)
; SGPRBlocks: 2
; VGPRBlocks: 0
; NumSGPRsForWavesPerEU: 18
; NumVGPRsForWavesPerEU: 6
; AccumOffset: 8
; Occupancy: 8
; WaveLimiterHint : 0
; COMPUTE_PGM_RSRC2:SCRATCH_EN: 0
; COMPUTE_PGM_RSRC2:USER_SGPR: 2
; COMPUTE_PGM_RSRC2:TRAP_HANDLER: 0
; COMPUTE_PGM_RSRC2:TGID_X_EN: 1
; COMPUTE_PGM_RSRC2:TGID_Y_EN: 0
; COMPUTE_PGM_RSRC2:TGID_Z_EN: 0
; COMPUTE_PGM_RSRC2:TIDIG_COMP_CNT: 0
; COMPUTE_PGM_RSRC3_GFX90A:ACCUM_OFFSET: 1
; COMPUTE_PGM_RSRC3_GFX90A:TG_SPLIT: 0
	.section	.text._ZN7rocprim17ROCPRIM_400000_NS6detail30init_device_scan_by_key_kernelINS1_19lookback_scan_stateINS0_5tupleIJsbEEELb0ELb1EEEN6thrust23THRUST_200600_302600_NS6detail15normal_iteratorINS8_10device_ptrIiEEEEjNS1_16block_id_wrapperIjLb0EEEEEvT_jjPNSG_10value_typeET0_PNSt15iterator_traitsISJ_E10value_typeEmT1_T2_,"axG",@progbits,_ZN7rocprim17ROCPRIM_400000_NS6detail30init_device_scan_by_key_kernelINS1_19lookback_scan_stateINS0_5tupleIJsbEEELb0ELb1EEEN6thrust23THRUST_200600_302600_NS6detail15normal_iteratorINS8_10device_ptrIiEEEEjNS1_16block_id_wrapperIjLb0EEEEEvT_jjPNSG_10value_typeET0_PNSt15iterator_traitsISJ_E10value_typeEmT1_T2_,comdat
	.protected	_ZN7rocprim17ROCPRIM_400000_NS6detail30init_device_scan_by_key_kernelINS1_19lookback_scan_stateINS0_5tupleIJsbEEELb0ELb1EEEN6thrust23THRUST_200600_302600_NS6detail15normal_iteratorINS8_10device_ptrIiEEEEjNS1_16block_id_wrapperIjLb0EEEEEvT_jjPNSG_10value_typeET0_PNSt15iterator_traitsISJ_E10value_typeEmT1_T2_ ; -- Begin function _ZN7rocprim17ROCPRIM_400000_NS6detail30init_device_scan_by_key_kernelINS1_19lookback_scan_stateINS0_5tupleIJsbEEELb0ELb1EEEN6thrust23THRUST_200600_302600_NS6detail15normal_iteratorINS8_10device_ptrIiEEEEjNS1_16block_id_wrapperIjLb0EEEEEvT_jjPNSG_10value_typeET0_PNSt15iterator_traitsISJ_E10value_typeEmT1_T2_
	.globl	_ZN7rocprim17ROCPRIM_400000_NS6detail30init_device_scan_by_key_kernelINS1_19lookback_scan_stateINS0_5tupleIJsbEEELb0ELb1EEEN6thrust23THRUST_200600_302600_NS6detail15normal_iteratorINS8_10device_ptrIiEEEEjNS1_16block_id_wrapperIjLb0EEEEEvT_jjPNSG_10value_typeET0_PNSt15iterator_traitsISJ_E10value_typeEmT1_T2_
	.p2align	8
	.type	_ZN7rocprim17ROCPRIM_400000_NS6detail30init_device_scan_by_key_kernelINS1_19lookback_scan_stateINS0_5tupleIJsbEEELb0ELb1EEEN6thrust23THRUST_200600_302600_NS6detail15normal_iteratorINS8_10device_ptrIiEEEEjNS1_16block_id_wrapperIjLb0EEEEEvT_jjPNSG_10value_typeET0_PNSt15iterator_traitsISJ_E10value_typeEmT1_T2_,@function
_ZN7rocprim17ROCPRIM_400000_NS6detail30init_device_scan_by_key_kernelINS1_19lookback_scan_stateINS0_5tupleIJsbEEELb0ELb1EEEN6thrust23THRUST_200600_302600_NS6detail15normal_iteratorINS8_10device_ptrIiEEEEjNS1_16block_id_wrapperIjLb0EEEEEvT_jjPNSG_10value_typeET0_PNSt15iterator_traitsISJ_E10value_typeEmT1_T2_: ; @_ZN7rocprim17ROCPRIM_400000_NS6detail30init_device_scan_by_key_kernelINS1_19lookback_scan_stateINS0_5tupleIJsbEEELb0ELb1EEEN6thrust23THRUST_200600_302600_NS6detail15normal_iteratorINS8_10device_ptrIiEEEEjNS1_16block_id_wrapperIjLb0EEEEEvT_jjPNSG_10value_typeET0_PNSt15iterator_traitsISJ_E10value_typeEmT1_T2_
; %bb.0:
	s_load_dword s3, s[0:1], 0x44
	s_load_dwordx8 s[4:11], s[0:1], 0x0
	s_load_dword s14, s[0:1], 0x38
	s_waitcnt lgkmcnt(0)
	s_and_b32 s15, s3, 0xffff
	s_mul_i32 s2, s2, s15
	s_cmp_eq_u64 s[8:9], 0
	v_add_u32_e32 v0, s2, v0
	s_cbranch_scc1 .LBB1351_6
; %bb.1:
	s_cmp_lt_u32 s7, s6
	s_cselect_b32 s2, s7, 0
	s_mov_b32 s13, 0
	v_cmp_eq_u32_e32 vcc, s2, v0
	s_and_saveexec_b64 s[2:3], vcc
	s_cbranch_execz .LBB1351_5
; %bb.2:
	s_add_i32 s12, s7, 64
	s_lshl_b64 s[12:13], s[12:13], 3
	s_add_u32 s12, s4, s12
	s_addc_u32 s13, s5, s13
	v_mov_b32_e32 v4, 0
	global_load_dwordx2 v[2:3], v4, s[12:13] sc1
	s_waitcnt vmcnt(0)
	v_and_b32_e32 v5, 0xff, v3
	v_cmp_ne_u64_e32 vcc, 0, v[4:5]
	s_cbranch_vccnz .LBB1351_4
.LBB1351_3:                             ; =>This Inner Loop Header: Depth=1
	global_load_dwordx2 v[2:3], v4, s[12:13] sc1
	s_waitcnt vmcnt(0)
	v_and_b32_e32 v5, 0xff, v3
	v_cmp_eq_u64_e32 vcc, 0, v[4:5]
	s_cbranch_vccnz .LBB1351_3
.LBB1351_4:
	v_mov_b32_e32 v1, 0
	global_store_short v1, v2, s[8:9]
	global_store_byte_d16_hi v1, v2, s[8:9] offset:2
.LBB1351_5:
	s_or_b64 exec, exec, s[2:3]
.LBB1351_6:
	v_cmp_gt_u32_e32 vcc, s6, v0
	s_and_saveexec_b64 s[2:3], vcc
	s_cbranch_execz .LBB1351_8
; %bb.7:
	v_add_u32_e32 v2, 64, v0
	v_mov_b32_e32 v3, 0
	v_lshl_add_u64 v[4:5], v[2:3], 3, s[4:5]
	v_mov_b32_e32 v2, v3
	global_store_dwordx2 v[4:5], v[2:3], off
.LBB1351_8:
	s_or_b64 exec, exec, s[2:3]
	v_cmp_gt_u32_e32 vcc, 64, v0
	v_mov_b32_e32 v1, 0
	s_and_saveexec_b64 s[2:3], vcc
	s_cbranch_execz .LBB1351_10
; %bb.9:
	v_lshl_add_u64 v[2:3], v[0:1], 3, s[4:5]
	v_mov_b32_e32 v5, 0xff
	v_mov_b32_e32 v4, v1
	global_store_dwordx2 v[2:3], v[4:5], off
.LBB1351_10:
	s_or_b64 exec, exec, s[2:3]
	s_load_dwordx2 s[2:3], s[0:1], 0x28
	s_waitcnt lgkmcnt(0)
	v_cmp_gt_u64_e32 vcc, s[2:3], v[0:1]
	s_and_saveexec_b64 s[4:5], vcc
	s_cbranch_execz .LBB1351_13
; %bb.11:
	s_load_dword s12, s[0:1], 0x30
	s_load_dwordx2 s[6:7], s[0:1], 0x20
	s_mov_b32 s5, 0
	s_mov_b32 s1, s5
	s_mul_i32 s0, s14, s15
	s_waitcnt lgkmcnt(0)
	s_add_i32 s4, s12, -1
	s_lshl_b64 s[4:5], s[4:5], 2
	s_add_u32 s4, s10, s4
	v_mad_u64_u32 v[2:3], s[8:9], s12, v0, 0
	s_addc_u32 s5, s11, s5
	v_lshl_add_u64 v[2:3], v[2:3], 2, s[4:5]
	s_mul_hi_u32 s5, s12, s0
	s_mul_i32 s4, s12, s0
	s_lshl_b64 s[4:5], s[4:5], 2
	v_lshl_add_u64 v[4:5], v[0:1], 2, s[6:7]
	s_lshl_b64 s[6:7], s[0:1], 2
	s_mov_b64 s[8:9], 0
.LBB1351_12:                            ; =>This Inner Loop Header: Depth=1
	global_load_dword v6, v[2:3], off
	v_lshl_add_u64 v[0:1], v[0:1], 0, s[0:1]
	v_cmp_le_u64_e32 vcc, s[2:3], v[0:1]
	v_lshl_add_u64 v[2:3], v[2:3], 0, s[4:5]
	s_or_b64 s[8:9], vcc, s[8:9]
	s_waitcnt vmcnt(0)
	global_store_dword v[4:5], v6, off
	v_lshl_add_u64 v[4:5], v[4:5], 0, s[6:7]
	s_andn2_b64 exec, exec, s[8:9]
	s_cbranch_execnz .LBB1351_12
.LBB1351_13:
	s_endpgm
	.section	.rodata,"a",@progbits
	.p2align	6, 0x0
	.amdhsa_kernel _ZN7rocprim17ROCPRIM_400000_NS6detail30init_device_scan_by_key_kernelINS1_19lookback_scan_stateINS0_5tupleIJsbEEELb0ELb1EEEN6thrust23THRUST_200600_302600_NS6detail15normal_iteratorINS8_10device_ptrIiEEEEjNS1_16block_id_wrapperIjLb0EEEEEvT_jjPNSG_10value_typeET0_PNSt15iterator_traitsISJ_E10value_typeEmT1_T2_
		.amdhsa_group_segment_fixed_size 0
		.amdhsa_private_segment_fixed_size 0
		.amdhsa_kernarg_size 312
		.amdhsa_user_sgpr_count 2
		.amdhsa_user_sgpr_dispatch_ptr 0
		.amdhsa_user_sgpr_queue_ptr 0
		.amdhsa_user_sgpr_kernarg_segment_ptr 1
		.amdhsa_user_sgpr_dispatch_id 0
		.amdhsa_user_sgpr_kernarg_preload_length 0
		.amdhsa_user_sgpr_kernarg_preload_offset 0
		.amdhsa_user_sgpr_private_segment_size 0
		.amdhsa_uses_dynamic_stack 0
		.amdhsa_enable_private_segment 0
		.amdhsa_system_sgpr_workgroup_id_x 1
		.amdhsa_system_sgpr_workgroup_id_y 0
		.amdhsa_system_sgpr_workgroup_id_z 0
		.amdhsa_system_sgpr_workgroup_info 0
		.amdhsa_system_vgpr_workitem_id 0
		.amdhsa_next_free_vgpr 7
		.amdhsa_next_free_sgpr 16
		.amdhsa_accum_offset 8
		.amdhsa_reserve_vcc 1
		.amdhsa_float_round_mode_32 0
		.amdhsa_float_round_mode_16_64 0
		.amdhsa_float_denorm_mode_32 3
		.amdhsa_float_denorm_mode_16_64 3
		.amdhsa_dx10_clamp 1
		.amdhsa_ieee_mode 1
		.amdhsa_fp16_overflow 0
		.amdhsa_tg_split 0
		.amdhsa_exception_fp_ieee_invalid_op 0
		.amdhsa_exception_fp_denorm_src 0
		.amdhsa_exception_fp_ieee_div_zero 0
		.amdhsa_exception_fp_ieee_overflow 0
		.amdhsa_exception_fp_ieee_underflow 0
		.amdhsa_exception_fp_ieee_inexact 0
		.amdhsa_exception_int_div_zero 0
	.end_amdhsa_kernel
	.section	.text._ZN7rocprim17ROCPRIM_400000_NS6detail30init_device_scan_by_key_kernelINS1_19lookback_scan_stateINS0_5tupleIJsbEEELb0ELb1EEEN6thrust23THRUST_200600_302600_NS6detail15normal_iteratorINS8_10device_ptrIiEEEEjNS1_16block_id_wrapperIjLb0EEEEEvT_jjPNSG_10value_typeET0_PNSt15iterator_traitsISJ_E10value_typeEmT1_T2_,"axG",@progbits,_ZN7rocprim17ROCPRIM_400000_NS6detail30init_device_scan_by_key_kernelINS1_19lookback_scan_stateINS0_5tupleIJsbEEELb0ELb1EEEN6thrust23THRUST_200600_302600_NS6detail15normal_iteratorINS8_10device_ptrIiEEEEjNS1_16block_id_wrapperIjLb0EEEEEvT_jjPNSG_10value_typeET0_PNSt15iterator_traitsISJ_E10value_typeEmT1_T2_,comdat
.Lfunc_end1351:
	.size	_ZN7rocprim17ROCPRIM_400000_NS6detail30init_device_scan_by_key_kernelINS1_19lookback_scan_stateINS0_5tupleIJsbEEELb0ELb1EEEN6thrust23THRUST_200600_302600_NS6detail15normal_iteratorINS8_10device_ptrIiEEEEjNS1_16block_id_wrapperIjLb0EEEEEvT_jjPNSG_10value_typeET0_PNSt15iterator_traitsISJ_E10value_typeEmT1_T2_, .Lfunc_end1351-_ZN7rocprim17ROCPRIM_400000_NS6detail30init_device_scan_by_key_kernelINS1_19lookback_scan_stateINS0_5tupleIJsbEEELb0ELb1EEEN6thrust23THRUST_200600_302600_NS6detail15normal_iteratorINS8_10device_ptrIiEEEEjNS1_16block_id_wrapperIjLb0EEEEEvT_jjPNSG_10value_typeET0_PNSt15iterator_traitsISJ_E10value_typeEmT1_T2_
                                        ; -- End function
	.section	.AMDGPU.csdata,"",@progbits
; Kernel info:
; codeLenInByte = 448
; NumSgprs: 22
; NumVgprs: 7
; NumAgprs: 0
; TotalNumVgprs: 7
; ScratchSize: 0
; MemoryBound: 0
; FloatMode: 240
; IeeeMode: 1
; LDSByteSize: 0 bytes/workgroup (compile time only)
; SGPRBlocks: 2
; VGPRBlocks: 0
; NumSGPRsForWavesPerEU: 22
; NumVGPRsForWavesPerEU: 7
; AccumOffset: 8
; Occupancy: 8
; WaveLimiterHint : 0
; COMPUTE_PGM_RSRC2:SCRATCH_EN: 0
; COMPUTE_PGM_RSRC2:USER_SGPR: 2
; COMPUTE_PGM_RSRC2:TRAP_HANDLER: 0
; COMPUTE_PGM_RSRC2:TGID_X_EN: 1
; COMPUTE_PGM_RSRC2:TGID_Y_EN: 0
; COMPUTE_PGM_RSRC2:TGID_Z_EN: 0
; COMPUTE_PGM_RSRC2:TIDIG_COMP_CNT: 0
; COMPUTE_PGM_RSRC3_GFX90A:ACCUM_OFFSET: 1
; COMPUTE_PGM_RSRC3_GFX90A:TG_SPLIT: 0
	.section	.text._ZN7rocprim17ROCPRIM_400000_NS6detail17trampoline_kernelINS0_14default_configENS1_27scan_by_key_config_selectorIisEEZZNS1_16scan_by_key_implILNS1_25lookback_scan_determinismE0ELb0ES3_N6thrust23THRUST_200600_302600_NS6detail15normal_iteratorINS9_10device_ptrIiEEEENSB_INSC_IsEEEESG_sNS9_4plusIvEENS9_8equal_toIvEEsEE10hipError_tPvRmT2_T3_T4_T5_mT6_T7_P12ihipStream_tbENKUlT_T0_E_clISt17integral_constantIbLb0EES11_EEDaSW_SX_EUlSW_E_NS1_11comp_targetILNS1_3genE0ELNS1_11target_archE4294967295ELNS1_3gpuE0ELNS1_3repE0EEENS1_30default_config_static_selectorELNS0_4arch9wavefront6targetE1EEEvT1_,"axG",@progbits,_ZN7rocprim17ROCPRIM_400000_NS6detail17trampoline_kernelINS0_14default_configENS1_27scan_by_key_config_selectorIisEEZZNS1_16scan_by_key_implILNS1_25lookback_scan_determinismE0ELb0ES3_N6thrust23THRUST_200600_302600_NS6detail15normal_iteratorINS9_10device_ptrIiEEEENSB_INSC_IsEEEESG_sNS9_4plusIvEENS9_8equal_toIvEEsEE10hipError_tPvRmT2_T3_T4_T5_mT6_T7_P12ihipStream_tbENKUlT_T0_E_clISt17integral_constantIbLb0EES11_EEDaSW_SX_EUlSW_E_NS1_11comp_targetILNS1_3genE0ELNS1_11target_archE4294967295ELNS1_3gpuE0ELNS1_3repE0EEENS1_30default_config_static_selectorELNS0_4arch9wavefront6targetE1EEEvT1_,comdat
	.protected	_ZN7rocprim17ROCPRIM_400000_NS6detail17trampoline_kernelINS0_14default_configENS1_27scan_by_key_config_selectorIisEEZZNS1_16scan_by_key_implILNS1_25lookback_scan_determinismE0ELb0ES3_N6thrust23THRUST_200600_302600_NS6detail15normal_iteratorINS9_10device_ptrIiEEEENSB_INSC_IsEEEESG_sNS9_4plusIvEENS9_8equal_toIvEEsEE10hipError_tPvRmT2_T3_T4_T5_mT6_T7_P12ihipStream_tbENKUlT_T0_E_clISt17integral_constantIbLb0EES11_EEDaSW_SX_EUlSW_E_NS1_11comp_targetILNS1_3genE0ELNS1_11target_archE4294967295ELNS1_3gpuE0ELNS1_3repE0EEENS1_30default_config_static_selectorELNS0_4arch9wavefront6targetE1EEEvT1_ ; -- Begin function _ZN7rocprim17ROCPRIM_400000_NS6detail17trampoline_kernelINS0_14default_configENS1_27scan_by_key_config_selectorIisEEZZNS1_16scan_by_key_implILNS1_25lookback_scan_determinismE0ELb0ES3_N6thrust23THRUST_200600_302600_NS6detail15normal_iteratorINS9_10device_ptrIiEEEENSB_INSC_IsEEEESG_sNS9_4plusIvEENS9_8equal_toIvEEsEE10hipError_tPvRmT2_T3_T4_T5_mT6_T7_P12ihipStream_tbENKUlT_T0_E_clISt17integral_constantIbLb0EES11_EEDaSW_SX_EUlSW_E_NS1_11comp_targetILNS1_3genE0ELNS1_11target_archE4294967295ELNS1_3gpuE0ELNS1_3repE0EEENS1_30default_config_static_selectorELNS0_4arch9wavefront6targetE1EEEvT1_
	.globl	_ZN7rocprim17ROCPRIM_400000_NS6detail17trampoline_kernelINS0_14default_configENS1_27scan_by_key_config_selectorIisEEZZNS1_16scan_by_key_implILNS1_25lookback_scan_determinismE0ELb0ES3_N6thrust23THRUST_200600_302600_NS6detail15normal_iteratorINS9_10device_ptrIiEEEENSB_INSC_IsEEEESG_sNS9_4plusIvEENS9_8equal_toIvEEsEE10hipError_tPvRmT2_T3_T4_T5_mT6_T7_P12ihipStream_tbENKUlT_T0_E_clISt17integral_constantIbLb0EES11_EEDaSW_SX_EUlSW_E_NS1_11comp_targetILNS1_3genE0ELNS1_11target_archE4294967295ELNS1_3gpuE0ELNS1_3repE0EEENS1_30default_config_static_selectorELNS0_4arch9wavefront6targetE1EEEvT1_
	.p2align	8
	.type	_ZN7rocprim17ROCPRIM_400000_NS6detail17trampoline_kernelINS0_14default_configENS1_27scan_by_key_config_selectorIisEEZZNS1_16scan_by_key_implILNS1_25lookback_scan_determinismE0ELb0ES3_N6thrust23THRUST_200600_302600_NS6detail15normal_iteratorINS9_10device_ptrIiEEEENSB_INSC_IsEEEESG_sNS9_4plusIvEENS9_8equal_toIvEEsEE10hipError_tPvRmT2_T3_T4_T5_mT6_T7_P12ihipStream_tbENKUlT_T0_E_clISt17integral_constantIbLb0EES11_EEDaSW_SX_EUlSW_E_NS1_11comp_targetILNS1_3genE0ELNS1_11target_archE4294967295ELNS1_3gpuE0ELNS1_3repE0EEENS1_30default_config_static_selectorELNS0_4arch9wavefront6targetE1EEEvT1_,@function
_ZN7rocprim17ROCPRIM_400000_NS6detail17trampoline_kernelINS0_14default_configENS1_27scan_by_key_config_selectorIisEEZZNS1_16scan_by_key_implILNS1_25lookback_scan_determinismE0ELb0ES3_N6thrust23THRUST_200600_302600_NS6detail15normal_iteratorINS9_10device_ptrIiEEEENSB_INSC_IsEEEESG_sNS9_4plusIvEENS9_8equal_toIvEEsEE10hipError_tPvRmT2_T3_T4_T5_mT6_T7_P12ihipStream_tbENKUlT_T0_E_clISt17integral_constantIbLb0EES11_EEDaSW_SX_EUlSW_E_NS1_11comp_targetILNS1_3genE0ELNS1_11target_archE4294967295ELNS1_3gpuE0ELNS1_3repE0EEENS1_30default_config_static_selectorELNS0_4arch9wavefront6targetE1EEEvT1_: ; @_ZN7rocprim17ROCPRIM_400000_NS6detail17trampoline_kernelINS0_14default_configENS1_27scan_by_key_config_selectorIisEEZZNS1_16scan_by_key_implILNS1_25lookback_scan_determinismE0ELb0ES3_N6thrust23THRUST_200600_302600_NS6detail15normal_iteratorINS9_10device_ptrIiEEEENSB_INSC_IsEEEESG_sNS9_4plusIvEENS9_8equal_toIvEEsEE10hipError_tPvRmT2_T3_T4_T5_mT6_T7_P12ihipStream_tbENKUlT_T0_E_clISt17integral_constantIbLb0EES11_EEDaSW_SX_EUlSW_E_NS1_11comp_targetILNS1_3genE0ELNS1_11target_archE4294967295ELNS1_3gpuE0ELNS1_3repE0EEENS1_30default_config_static_selectorELNS0_4arch9wavefront6targetE1EEEvT1_
; %bb.0:
	.section	.rodata,"a",@progbits
	.p2align	6, 0x0
	.amdhsa_kernel _ZN7rocprim17ROCPRIM_400000_NS6detail17trampoline_kernelINS0_14default_configENS1_27scan_by_key_config_selectorIisEEZZNS1_16scan_by_key_implILNS1_25lookback_scan_determinismE0ELb0ES3_N6thrust23THRUST_200600_302600_NS6detail15normal_iteratorINS9_10device_ptrIiEEEENSB_INSC_IsEEEESG_sNS9_4plusIvEENS9_8equal_toIvEEsEE10hipError_tPvRmT2_T3_T4_T5_mT6_T7_P12ihipStream_tbENKUlT_T0_E_clISt17integral_constantIbLb0EES11_EEDaSW_SX_EUlSW_E_NS1_11comp_targetILNS1_3genE0ELNS1_11target_archE4294967295ELNS1_3gpuE0ELNS1_3repE0EEENS1_30default_config_static_selectorELNS0_4arch9wavefront6targetE1EEEvT1_
		.amdhsa_group_segment_fixed_size 0
		.amdhsa_private_segment_fixed_size 0
		.amdhsa_kernarg_size 112
		.amdhsa_user_sgpr_count 2
		.amdhsa_user_sgpr_dispatch_ptr 0
		.amdhsa_user_sgpr_queue_ptr 0
		.amdhsa_user_sgpr_kernarg_segment_ptr 1
		.amdhsa_user_sgpr_dispatch_id 0
		.amdhsa_user_sgpr_kernarg_preload_length 0
		.amdhsa_user_sgpr_kernarg_preload_offset 0
		.amdhsa_user_sgpr_private_segment_size 0
		.amdhsa_uses_dynamic_stack 0
		.amdhsa_enable_private_segment 0
		.amdhsa_system_sgpr_workgroup_id_x 1
		.amdhsa_system_sgpr_workgroup_id_y 0
		.amdhsa_system_sgpr_workgroup_id_z 0
		.amdhsa_system_sgpr_workgroup_info 0
		.amdhsa_system_vgpr_workitem_id 0
		.amdhsa_next_free_vgpr 1
		.amdhsa_next_free_sgpr 0
		.amdhsa_accum_offset 4
		.amdhsa_reserve_vcc 0
		.amdhsa_float_round_mode_32 0
		.amdhsa_float_round_mode_16_64 0
		.amdhsa_float_denorm_mode_32 3
		.amdhsa_float_denorm_mode_16_64 3
		.amdhsa_dx10_clamp 1
		.amdhsa_ieee_mode 1
		.amdhsa_fp16_overflow 0
		.amdhsa_tg_split 0
		.amdhsa_exception_fp_ieee_invalid_op 0
		.amdhsa_exception_fp_denorm_src 0
		.amdhsa_exception_fp_ieee_div_zero 0
		.amdhsa_exception_fp_ieee_overflow 0
		.amdhsa_exception_fp_ieee_underflow 0
		.amdhsa_exception_fp_ieee_inexact 0
		.amdhsa_exception_int_div_zero 0
	.end_amdhsa_kernel
	.section	.text._ZN7rocprim17ROCPRIM_400000_NS6detail17trampoline_kernelINS0_14default_configENS1_27scan_by_key_config_selectorIisEEZZNS1_16scan_by_key_implILNS1_25lookback_scan_determinismE0ELb0ES3_N6thrust23THRUST_200600_302600_NS6detail15normal_iteratorINS9_10device_ptrIiEEEENSB_INSC_IsEEEESG_sNS9_4plusIvEENS9_8equal_toIvEEsEE10hipError_tPvRmT2_T3_T4_T5_mT6_T7_P12ihipStream_tbENKUlT_T0_E_clISt17integral_constantIbLb0EES11_EEDaSW_SX_EUlSW_E_NS1_11comp_targetILNS1_3genE0ELNS1_11target_archE4294967295ELNS1_3gpuE0ELNS1_3repE0EEENS1_30default_config_static_selectorELNS0_4arch9wavefront6targetE1EEEvT1_,"axG",@progbits,_ZN7rocprim17ROCPRIM_400000_NS6detail17trampoline_kernelINS0_14default_configENS1_27scan_by_key_config_selectorIisEEZZNS1_16scan_by_key_implILNS1_25lookback_scan_determinismE0ELb0ES3_N6thrust23THRUST_200600_302600_NS6detail15normal_iteratorINS9_10device_ptrIiEEEENSB_INSC_IsEEEESG_sNS9_4plusIvEENS9_8equal_toIvEEsEE10hipError_tPvRmT2_T3_T4_T5_mT6_T7_P12ihipStream_tbENKUlT_T0_E_clISt17integral_constantIbLb0EES11_EEDaSW_SX_EUlSW_E_NS1_11comp_targetILNS1_3genE0ELNS1_11target_archE4294967295ELNS1_3gpuE0ELNS1_3repE0EEENS1_30default_config_static_selectorELNS0_4arch9wavefront6targetE1EEEvT1_,comdat
.Lfunc_end1352:
	.size	_ZN7rocprim17ROCPRIM_400000_NS6detail17trampoline_kernelINS0_14default_configENS1_27scan_by_key_config_selectorIisEEZZNS1_16scan_by_key_implILNS1_25lookback_scan_determinismE0ELb0ES3_N6thrust23THRUST_200600_302600_NS6detail15normal_iteratorINS9_10device_ptrIiEEEENSB_INSC_IsEEEESG_sNS9_4plusIvEENS9_8equal_toIvEEsEE10hipError_tPvRmT2_T3_T4_T5_mT6_T7_P12ihipStream_tbENKUlT_T0_E_clISt17integral_constantIbLb0EES11_EEDaSW_SX_EUlSW_E_NS1_11comp_targetILNS1_3genE0ELNS1_11target_archE4294967295ELNS1_3gpuE0ELNS1_3repE0EEENS1_30default_config_static_selectorELNS0_4arch9wavefront6targetE1EEEvT1_, .Lfunc_end1352-_ZN7rocprim17ROCPRIM_400000_NS6detail17trampoline_kernelINS0_14default_configENS1_27scan_by_key_config_selectorIisEEZZNS1_16scan_by_key_implILNS1_25lookback_scan_determinismE0ELb0ES3_N6thrust23THRUST_200600_302600_NS6detail15normal_iteratorINS9_10device_ptrIiEEEENSB_INSC_IsEEEESG_sNS9_4plusIvEENS9_8equal_toIvEEsEE10hipError_tPvRmT2_T3_T4_T5_mT6_T7_P12ihipStream_tbENKUlT_T0_E_clISt17integral_constantIbLb0EES11_EEDaSW_SX_EUlSW_E_NS1_11comp_targetILNS1_3genE0ELNS1_11target_archE4294967295ELNS1_3gpuE0ELNS1_3repE0EEENS1_30default_config_static_selectorELNS0_4arch9wavefront6targetE1EEEvT1_
                                        ; -- End function
	.section	.AMDGPU.csdata,"",@progbits
; Kernel info:
; codeLenInByte = 0
; NumSgprs: 6
; NumVgprs: 0
; NumAgprs: 0
; TotalNumVgprs: 0
; ScratchSize: 0
; MemoryBound: 0
; FloatMode: 240
; IeeeMode: 1
; LDSByteSize: 0 bytes/workgroup (compile time only)
; SGPRBlocks: 0
; VGPRBlocks: 0
; NumSGPRsForWavesPerEU: 6
; NumVGPRsForWavesPerEU: 1
; AccumOffset: 4
; Occupancy: 8
; WaveLimiterHint : 0
; COMPUTE_PGM_RSRC2:SCRATCH_EN: 0
; COMPUTE_PGM_RSRC2:USER_SGPR: 2
; COMPUTE_PGM_RSRC2:TRAP_HANDLER: 0
; COMPUTE_PGM_RSRC2:TGID_X_EN: 1
; COMPUTE_PGM_RSRC2:TGID_Y_EN: 0
; COMPUTE_PGM_RSRC2:TGID_Z_EN: 0
; COMPUTE_PGM_RSRC2:TIDIG_COMP_CNT: 0
; COMPUTE_PGM_RSRC3_GFX90A:ACCUM_OFFSET: 0
; COMPUTE_PGM_RSRC3_GFX90A:TG_SPLIT: 0
	.section	.text._ZN7rocprim17ROCPRIM_400000_NS6detail17trampoline_kernelINS0_14default_configENS1_27scan_by_key_config_selectorIisEEZZNS1_16scan_by_key_implILNS1_25lookback_scan_determinismE0ELb0ES3_N6thrust23THRUST_200600_302600_NS6detail15normal_iteratorINS9_10device_ptrIiEEEENSB_INSC_IsEEEESG_sNS9_4plusIvEENS9_8equal_toIvEEsEE10hipError_tPvRmT2_T3_T4_T5_mT6_T7_P12ihipStream_tbENKUlT_T0_E_clISt17integral_constantIbLb0EES11_EEDaSW_SX_EUlSW_E_NS1_11comp_targetILNS1_3genE10ELNS1_11target_archE1201ELNS1_3gpuE5ELNS1_3repE0EEENS1_30default_config_static_selectorELNS0_4arch9wavefront6targetE1EEEvT1_,"axG",@progbits,_ZN7rocprim17ROCPRIM_400000_NS6detail17trampoline_kernelINS0_14default_configENS1_27scan_by_key_config_selectorIisEEZZNS1_16scan_by_key_implILNS1_25lookback_scan_determinismE0ELb0ES3_N6thrust23THRUST_200600_302600_NS6detail15normal_iteratorINS9_10device_ptrIiEEEENSB_INSC_IsEEEESG_sNS9_4plusIvEENS9_8equal_toIvEEsEE10hipError_tPvRmT2_T3_T4_T5_mT6_T7_P12ihipStream_tbENKUlT_T0_E_clISt17integral_constantIbLb0EES11_EEDaSW_SX_EUlSW_E_NS1_11comp_targetILNS1_3genE10ELNS1_11target_archE1201ELNS1_3gpuE5ELNS1_3repE0EEENS1_30default_config_static_selectorELNS0_4arch9wavefront6targetE1EEEvT1_,comdat
	.protected	_ZN7rocprim17ROCPRIM_400000_NS6detail17trampoline_kernelINS0_14default_configENS1_27scan_by_key_config_selectorIisEEZZNS1_16scan_by_key_implILNS1_25lookback_scan_determinismE0ELb0ES3_N6thrust23THRUST_200600_302600_NS6detail15normal_iteratorINS9_10device_ptrIiEEEENSB_INSC_IsEEEESG_sNS9_4plusIvEENS9_8equal_toIvEEsEE10hipError_tPvRmT2_T3_T4_T5_mT6_T7_P12ihipStream_tbENKUlT_T0_E_clISt17integral_constantIbLb0EES11_EEDaSW_SX_EUlSW_E_NS1_11comp_targetILNS1_3genE10ELNS1_11target_archE1201ELNS1_3gpuE5ELNS1_3repE0EEENS1_30default_config_static_selectorELNS0_4arch9wavefront6targetE1EEEvT1_ ; -- Begin function _ZN7rocprim17ROCPRIM_400000_NS6detail17trampoline_kernelINS0_14default_configENS1_27scan_by_key_config_selectorIisEEZZNS1_16scan_by_key_implILNS1_25lookback_scan_determinismE0ELb0ES3_N6thrust23THRUST_200600_302600_NS6detail15normal_iteratorINS9_10device_ptrIiEEEENSB_INSC_IsEEEESG_sNS9_4plusIvEENS9_8equal_toIvEEsEE10hipError_tPvRmT2_T3_T4_T5_mT6_T7_P12ihipStream_tbENKUlT_T0_E_clISt17integral_constantIbLb0EES11_EEDaSW_SX_EUlSW_E_NS1_11comp_targetILNS1_3genE10ELNS1_11target_archE1201ELNS1_3gpuE5ELNS1_3repE0EEENS1_30default_config_static_selectorELNS0_4arch9wavefront6targetE1EEEvT1_
	.globl	_ZN7rocprim17ROCPRIM_400000_NS6detail17trampoline_kernelINS0_14default_configENS1_27scan_by_key_config_selectorIisEEZZNS1_16scan_by_key_implILNS1_25lookback_scan_determinismE0ELb0ES3_N6thrust23THRUST_200600_302600_NS6detail15normal_iteratorINS9_10device_ptrIiEEEENSB_INSC_IsEEEESG_sNS9_4plusIvEENS9_8equal_toIvEEsEE10hipError_tPvRmT2_T3_T4_T5_mT6_T7_P12ihipStream_tbENKUlT_T0_E_clISt17integral_constantIbLb0EES11_EEDaSW_SX_EUlSW_E_NS1_11comp_targetILNS1_3genE10ELNS1_11target_archE1201ELNS1_3gpuE5ELNS1_3repE0EEENS1_30default_config_static_selectorELNS0_4arch9wavefront6targetE1EEEvT1_
	.p2align	8
	.type	_ZN7rocprim17ROCPRIM_400000_NS6detail17trampoline_kernelINS0_14default_configENS1_27scan_by_key_config_selectorIisEEZZNS1_16scan_by_key_implILNS1_25lookback_scan_determinismE0ELb0ES3_N6thrust23THRUST_200600_302600_NS6detail15normal_iteratorINS9_10device_ptrIiEEEENSB_INSC_IsEEEESG_sNS9_4plusIvEENS9_8equal_toIvEEsEE10hipError_tPvRmT2_T3_T4_T5_mT6_T7_P12ihipStream_tbENKUlT_T0_E_clISt17integral_constantIbLb0EES11_EEDaSW_SX_EUlSW_E_NS1_11comp_targetILNS1_3genE10ELNS1_11target_archE1201ELNS1_3gpuE5ELNS1_3repE0EEENS1_30default_config_static_selectorELNS0_4arch9wavefront6targetE1EEEvT1_,@function
_ZN7rocprim17ROCPRIM_400000_NS6detail17trampoline_kernelINS0_14default_configENS1_27scan_by_key_config_selectorIisEEZZNS1_16scan_by_key_implILNS1_25lookback_scan_determinismE0ELb0ES3_N6thrust23THRUST_200600_302600_NS6detail15normal_iteratorINS9_10device_ptrIiEEEENSB_INSC_IsEEEESG_sNS9_4plusIvEENS9_8equal_toIvEEsEE10hipError_tPvRmT2_T3_T4_T5_mT6_T7_P12ihipStream_tbENKUlT_T0_E_clISt17integral_constantIbLb0EES11_EEDaSW_SX_EUlSW_E_NS1_11comp_targetILNS1_3genE10ELNS1_11target_archE1201ELNS1_3gpuE5ELNS1_3repE0EEENS1_30default_config_static_selectorELNS0_4arch9wavefront6targetE1EEEvT1_: ; @_ZN7rocprim17ROCPRIM_400000_NS6detail17trampoline_kernelINS0_14default_configENS1_27scan_by_key_config_selectorIisEEZZNS1_16scan_by_key_implILNS1_25lookback_scan_determinismE0ELb0ES3_N6thrust23THRUST_200600_302600_NS6detail15normal_iteratorINS9_10device_ptrIiEEEENSB_INSC_IsEEEESG_sNS9_4plusIvEENS9_8equal_toIvEEsEE10hipError_tPvRmT2_T3_T4_T5_mT6_T7_P12ihipStream_tbENKUlT_T0_E_clISt17integral_constantIbLb0EES11_EEDaSW_SX_EUlSW_E_NS1_11comp_targetILNS1_3genE10ELNS1_11target_archE1201ELNS1_3gpuE5ELNS1_3repE0EEENS1_30default_config_static_selectorELNS0_4arch9wavefront6targetE1EEEvT1_
; %bb.0:
	.section	.rodata,"a",@progbits
	.p2align	6, 0x0
	.amdhsa_kernel _ZN7rocprim17ROCPRIM_400000_NS6detail17trampoline_kernelINS0_14default_configENS1_27scan_by_key_config_selectorIisEEZZNS1_16scan_by_key_implILNS1_25lookback_scan_determinismE0ELb0ES3_N6thrust23THRUST_200600_302600_NS6detail15normal_iteratorINS9_10device_ptrIiEEEENSB_INSC_IsEEEESG_sNS9_4plusIvEENS9_8equal_toIvEEsEE10hipError_tPvRmT2_T3_T4_T5_mT6_T7_P12ihipStream_tbENKUlT_T0_E_clISt17integral_constantIbLb0EES11_EEDaSW_SX_EUlSW_E_NS1_11comp_targetILNS1_3genE10ELNS1_11target_archE1201ELNS1_3gpuE5ELNS1_3repE0EEENS1_30default_config_static_selectorELNS0_4arch9wavefront6targetE1EEEvT1_
		.amdhsa_group_segment_fixed_size 0
		.amdhsa_private_segment_fixed_size 0
		.amdhsa_kernarg_size 112
		.amdhsa_user_sgpr_count 2
		.amdhsa_user_sgpr_dispatch_ptr 0
		.amdhsa_user_sgpr_queue_ptr 0
		.amdhsa_user_sgpr_kernarg_segment_ptr 1
		.amdhsa_user_sgpr_dispatch_id 0
		.amdhsa_user_sgpr_kernarg_preload_length 0
		.amdhsa_user_sgpr_kernarg_preload_offset 0
		.amdhsa_user_sgpr_private_segment_size 0
		.amdhsa_uses_dynamic_stack 0
		.amdhsa_enable_private_segment 0
		.amdhsa_system_sgpr_workgroup_id_x 1
		.amdhsa_system_sgpr_workgroup_id_y 0
		.amdhsa_system_sgpr_workgroup_id_z 0
		.amdhsa_system_sgpr_workgroup_info 0
		.amdhsa_system_vgpr_workitem_id 0
		.amdhsa_next_free_vgpr 1
		.amdhsa_next_free_sgpr 0
		.amdhsa_accum_offset 4
		.amdhsa_reserve_vcc 0
		.amdhsa_float_round_mode_32 0
		.amdhsa_float_round_mode_16_64 0
		.amdhsa_float_denorm_mode_32 3
		.amdhsa_float_denorm_mode_16_64 3
		.amdhsa_dx10_clamp 1
		.amdhsa_ieee_mode 1
		.amdhsa_fp16_overflow 0
		.amdhsa_tg_split 0
		.amdhsa_exception_fp_ieee_invalid_op 0
		.amdhsa_exception_fp_denorm_src 0
		.amdhsa_exception_fp_ieee_div_zero 0
		.amdhsa_exception_fp_ieee_overflow 0
		.amdhsa_exception_fp_ieee_underflow 0
		.amdhsa_exception_fp_ieee_inexact 0
		.amdhsa_exception_int_div_zero 0
	.end_amdhsa_kernel
	.section	.text._ZN7rocprim17ROCPRIM_400000_NS6detail17trampoline_kernelINS0_14default_configENS1_27scan_by_key_config_selectorIisEEZZNS1_16scan_by_key_implILNS1_25lookback_scan_determinismE0ELb0ES3_N6thrust23THRUST_200600_302600_NS6detail15normal_iteratorINS9_10device_ptrIiEEEENSB_INSC_IsEEEESG_sNS9_4plusIvEENS9_8equal_toIvEEsEE10hipError_tPvRmT2_T3_T4_T5_mT6_T7_P12ihipStream_tbENKUlT_T0_E_clISt17integral_constantIbLb0EES11_EEDaSW_SX_EUlSW_E_NS1_11comp_targetILNS1_3genE10ELNS1_11target_archE1201ELNS1_3gpuE5ELNS1_3repE0EEENS1_30default_config_static_selectorELNS0_4arch9wavefront6targetE1EEEvT1_,"axG",@progbits,_ZN7rocprim17ROCPRIM_400000_NS6detail17trampoline_kernelINS0_14default_configENS1_27scan_by_key_config_selectorIisEEZZNS1_16scan_by_key_implILNS1_25lookback_scan_determinismE0ELb0ES3_N6thrust23THRUST_200600_302600_NS6detail15normal_iteratorINS9_10device_ptrIiEEEENSB_INSC_IsEEEESG_sNS9_4plusIvEENS9_8equal_toIvEEsEE10hipError_tPvRmT2_T3_T4_T5_mT6_T7_P12ihipStream_tbENKUlT_T0_E_clISt17integral_constantIbLb0EES11_EEDaSW_SX_EUlSW_E_NS1_11comp_targetILNS1_3genE10ELNS1_11target_archE1201ELNS1_3gpuE5ELNS1_3repE0EEENS1_30default_config_static_selectorELNS0_4arch9wavefront6targetE1EEEvT1_,comdat
.Lfunc_end1353:
	.size	_ZN7rocprim17ROCPRIM_400000_NS6detail17trampoline_kernelINS0_14default_configENS1_27scan_by_key_config_selectorIisEEZZNS1_16scan_by_key_implILNS1_25lookback_scan_determinismE0ELb0ES3_N6thrust23THRUST_200600_302600_NS6detail15normal_iteratorINS9_10device_ptrIiEEEENSB_INSC_IsEEEESG_sNS9_4plusIvEENS9_8equal_toIvEEsEE10hipError_tPvRmT2_T3_T4_T5_mT6_T7_P12ihipStream_tbENKUlT_T0_E_clISt17integral_constantIbLb0EES11_EEDaSW_SX_EUlSW_E_NS1_11comp_targetILNS1_3genE10ELNS1_11target_archE1201ELNS1_3gpuE5ELNS1_3repE0EEENS1_30default_config_static_selectorELNS0_4arch9wavefront6targetE1EEEvT1_, .Lfunc_end1353-_ZN7rocprim17ROCPRIM_400000_NS6detail17trampoline_kernelINS0_14default_configENS1_27scan_by_key_config_selectorIisEEZZNS1_16scan_by_key_implILNS1_25lookback_scan_determinismE0ELb0ES3_N6thrust23THRUST_200600_302600_NS6detail15normal_iteratorINS9_10device_ptrIiEEEENSB_INSC_IsEEEESG_sNS9_4plusIvEENS9_8equal_toIvEEsEE10hipError_tPvRmT2_T3_T4_T5_mT6_T7_P12ihipStream_tbENKUlT_T0_E_clISt17integral_constantIbLb0EES11_EEDaSW_SX_EUlSW_E_NS1_11comp_targetILNS1_3genE10ELNS1_11target_archE1201ELNS1_3gpuE5ELNS1_3repE0EEENS1_30default_config_static_selectorELNS0_4arch9wavefront6targetE1EEEvT1_
                                        ; -- End function
	.section	.AMDGPU.csdata,"",@progbits
; Kernel info:
; codeLenInByte = 0
; NumSgprs: 6
; NumVgprs: 0
; NumAgprs: 0
; TotalNumVgprs: 0
; ScratchSize: 0
; MemoryBound: 0
; FloatMode: 240
; IeeeMode: 1
; LDSByteSize: 0 bytes/workgroup (compile time only)
; SGPRBlocks: 0
; VGPRBlocks: 0
; NumSGPRsForWavesPerEU: 6
; NumVGPRsForWavesPerEU: 1
; AccumOffset: 4
; Occupancy: 8
; WaveLimiterHint : 0
; COMPUTE_PGM_RSRC2:SCRATCH_EN: 0
; COMPUTE_PGM_RSRC2:USER_SGPR: 2
; COMPUTE_PGM_RSRC2:TRAP_HANDLER: 0
; COMPUTE_PGM_RSRC2:TGID_X_EN: 1
; COMPUTE_PGM_RSRC2:TGID_Y_EN: 0
; COMPUTE_PGM_RSRC2:TGID_Z_EN: 0
; COMPUTE_PGM_RSRC2:TIDIG_COMP_CNT: 0
; COMPUTE_PGM_RSRC3_GFX90A:ACCUM_OFFSET: 0
; COMPUTE_PGM_RSRC3_GFX90A:TG_SPLIT: 0
	.section	.text._ZN7rocprim17ROCPRIM_400000_NS6detail17trampoline_kernelINS0_14default_configENS1_27scan_by_key_config_selectorIisEEZZNS1_16scan_by_key_implILNS1_25lookback_scan_determinismE0ELb0ES3_N6thrust23THRUST_200600_302600_NS6detail15normal_iteratorINS9_10device_ptrIiEEEENSB_INSC_IsEEEESG_sNS9_4plusIvEENS9_8equal_toIvEEsEE10hipError_tPvRmT2_T3_T4_T5_mT6_T7_P12ihipStream_tbENKUlT_T0_E_clISt17integral_constantIbLb0EES11_EEDaSW_SX_EUlSW_E_NS1_11comp_targetILNS1_3genE5ELNS1_11target_archE942ELNS1_3gpuE9ELNS1_3repE0EEENS1_30default_config_static_selectorELNS0_4arch9wavefront6targetE1EEEvT1_,"axG",@progbits,_ZN7rocprim17ROCPRIM_400000_NS6detail17trampoline_kernelINS0_14default_configENS1_27scan_by_key_config_selectorIisEEZZNS1_16scan_by_key_implILNS1_25lookback_scan_determinismE0ELb0ES3_N6thrust23THRUST_200600_302600_NS6detail15normal_iteratorINS9_10device_ptrIiEEEENSB_INSC_IsEEEESG_sNS9_4plusIvEENS9_8equal_toIvEEsEE10hipError_tPvRmT2_T3_T4_T5_mT6_T7_P12ihipStream_tbENKUlT_T0_E_clISt17integral_constantIbLb0EES11_EEDaSW_SX_EUlSW_E_NS1_11comp_targetILNS1_3genE5ELNS1_11target_archE942ELNS1_3gpuE9ELNS1_3repE0EEENS1_30default_config_static_selectorELNS0_4arch9wavefront6targetE1EEEvT1_,comdat
	.protected	_ZN7rocprim17ROCPRIM_400000_NS6detail17trampoline_kernelINS0_14default_configENS1_27scan_by_key_config_selectorIisEEZZNS1_16scan_by_key_implILNS1_25lookback_scan_determinismE0ELb0ES3_N6thrust23THRUST_200600_302600_NS6detail15normal_iteratorINS9_10device_ptrIiEEEENSB_INSC_IsEEEESG_sNS9_4plusIvEENS9_8equal_toIvEEsEE10hipError_tPvRmT2_T3_T4_T5_mT6_T7_P12ihipStream_tbENKUlT_T0_E_clISt17integral_constantIbLb0EES11_EEDaSW_SX_EUlSW_E_NS1_11comp_targetILNS1_3genE5ELNS1_11target_archE942ELNS1_3gpuE9ELNS1_3repE0EEENS1_30default_config_static_selectorELNS0_4arch9wavefront6targetE1EEEvT1_ ; -- Begin function _ZN7rocprim17ROCPRIM_400000_NS6detail17trampoline_kernelINS0_14default_configENS1_27scan_by_key_config_selectorIisEEZZNS1_16scan_by_key_implILNS1_25lookback_scan_determinismE0ELb0ES3_N6thrust23THRUST_200600_302600_NS6detail15normal_iteratorINS9_10device_ptrIiEEEENSB_INSC_IsEEEESG_sNS9_4plusIvEENS9_8equal_toIvEEsEE10hipError_tPvRmT2_T3_T4_T5_mT6_T7_P12ihipStream_tbENKUlT_T0_E_clISt17integral_constantIbLb0EES11_EEDaSW_SX_EUlSW_E_NS1_11comp_targetILNS1_3genE5ELNS1_11target_archE942ELNS1_3gpuE9ELNS1_3repE0EEENS1_30default_config_static_selectorELNS0_4arch9wavefront6targetE1EEEvT1_
	.globl	_ZN7rocprim17ROCPRIM_400000_NS6detail17trampoline_kernelINS0_14default_configENS1_27scan_by_key_config_selectorIisEEZZNS1_16scan_by_key_implILNS1_25lookback_scan_determinismE0ELb0ES3_N6thrust23THRUST_200600_302600_NS6detail15normal_iteratorINS9_10device_ptrIiEEEENSB_INSC_IsEEEESG_sNS9_4plusIvEENS9_8equal_toIvEEsEE10hipError_tPvRmT2_T3_T4_T5_mT6_T7_P12ihipStream_tbENKUlT_T0_E_clISt17integral_constantIbLb0EES11_EEDaSW_SX_EUlSW_E_NS1_11comp_targetILNS1_3genE5ELNS1_11target_archE942ELNS1_3gpuE9ELNS1_3repE0EEENS1_30default_config_static_selectorELNS0_4arch9wavefront6targetE1EEEvT1_
	.p2align	8
	.type	_ZN7rocprim17ROCPRIM_400000_NS6detail17trampoline_kernelINS0_14default_configENS1_27scan_by_key_config_selectorIisEEZZNS1_16scan_by_key_implILNS1_25lookback_scan_determinismE0ELb0ES3_N6thrust23THRUST_200600_302600_NS6detail15normal_iteratorINS9_10device_ptrIiEEEENSB_INSC_IsEEEESG_sNS9_4plusIvEENS9_8equal_toIvEEsEE10hipError_tPvRmT2_T3_T4_T5_mT6_T7_P12ihipStream_tbENKUlT_T0_E_clISt17integral_constantIbLb0EES11_EEDaSW_SX_EUlSW_E_NS1_11comp_targetILNS1_3genE5ELNS1_11target_archE942ELNS1_3gpuE9ELNS1_3repE0EEENS1_30default_config_static_selectorELNS0_4arch9wavefront6targetE1EEEvT1_,@function
_ZN7rocprim17ROCPRIM_400000_NS6detail17trampoline_kernelINS0_14default_configENS1_27scan_by_key_config_selectorIisEEZZNS1_16scan_by_key_implILNS1_25lookback_scan_determinismE0ELb0ES3_N6thrust23THRUST_200600_302600_NS6detail15normal_iteratorINS9_10device_ptrIiEEEENSB_INSC_IsEEEESG_sNS9_4plusIvEENS9_8equal_toIvEEsEE10hipError_tPvRmT2_T3_T4_T5_mT6_T7_P12ihipStream_tbENKUlT_T0_E_clISt17integral_constantIbLb0EES11_EEDaSW_SX_EUlSW_E_NS1_11comp_targetILNS1_3genE5ELNS1_11target_archE942ELNS1_3gpuE9ELNS1_3repE0EEENS1_30default_config_static_selectorELNS0_4arch9wavefront6targetE1EEEvT1_: ; @_ZN7rocprim17ROCPRIM_400000_NS6detail17trampoline_kernelINS0_14default_configENS1_27scan_by_key_config_selectorIisEEZZNS1_16scan_by_key_implILNS1_25lookback_scan_determinismE0ELb0ES3_N6thrust23THRUST_200600_302600_NS6detail15normal_iteratorINS9_10device_ptrIiEEEENSB_INSC_IsEEEESG_sNS9_4plusIvEENS9_8equal_toIvEEsEE10hipError_tPvRmT2_T3_T4_T5_mT6_T7_P12ihipStream_tbENKUlT_T0_E_clISt17integral_constantIbLb0EES11_EEDaSW_SX_EUlSW_E_NS1_11comp_targetILNS1_3genE5ELNS1_11target_archE942ELNS1_3gpuE9ELNS1_3repE0EEENS1_30default_config_static_selectorELNS0_4arch9wavefront6targetE1EEEvT1_
; %bb.0:
	s_load_dwordx8 s[52:59], s[0:1], 0x0
	s_load_dwordx4 s[68:71], s[0:1], 0x28
	s_load_dwordx2 s[74:75], s[0:1], 0x38
	s_load_dword s3, s[0:1], 0x40
	s_load_dwordx8 s[60:67], s[0:1], 0x48
	s_waitcnt lgkmcnt(0)
	s_lshl_b64 s[0:1], s[54:55], 2
	s_add_u32 s8, s52, s0
	s_addc_u32 s9, s53, s1
	s_lshl_b64 s[72:73], s[54:55], 1
	s_add_u32 s10, s56, s72
	s_mul_i32 s0, s75, s3
	s_mul_hi_u32 s1, s74, s3
	s_addc_u32 s11, s57, s73
	s_add_i32 s12, s1, s0
	s_cmp_lg_u64 s[64:65], 0
	s_mul_i32 s0, s2, 0x1800
	s_mov_b32 s1, 0
	s_cselect_b64 s[76:77], -1, 0
	s_lshl_b64 s[4:5], s[0:1], 2
	s_add_u32 s64, s8, s4
	s_addc_u32 s65, s9, s5
	s_lshl_b64 s[56:57], s[0:1], 1
	s_add_u32 s54, s10, s56
	s_mul_i32 s3, s74, s3
	s_addc_u32 s55, s11, s57
	s_add_u32 s78, s3, s2
	s_addc_u32 s79, s12, 0
	s_add_u32 s4, s60, -1
	s_addc_u32 s5, s61, -1
	v_mov_b64_e32 v[2:3], s[4:5]
	v_cmp_ge_u64_e64 s[0:1], s[78:79], v[2:3]
	s_mov_b64 s[6:7], 0
	s_mov_b64 s[28:29], -1
	s_and_b64 vcc, exec, s[0:1]
	s_mul_i32 s33, s4, 0xffffe800
	s_barrier
	s_cbranch_vccz .LBB1354_127
; %bb.1:
	v_mov_b64_e32 v[2:3], s[64:65]
	flat_load_dword v2, v[2:3]
	s_add_i32 s3, s33, s70
	v_cmp_gt_u32_e64 s[52:53], s3, v0
	s_waitcnt vmcnt(0) lgkmcnt(0)
	v_mov_b32_e32 v3, v2
	s_and_saveexec_b64 s[4:5], s[52:53]
	s_cbranch_execz .LBB1354_3
; %bb.2:
	v_lshlrev_b32_e32 v4, 2, v0
	v_mov_b32_e32 v5, 0
	v_lshl_add_u64 v[4:5], s[64:65], 0, v[4:5]
	flat_load_dword v3, v[4:5]
.LBB1354_3:
	s_or_b64 exec, exec, s[4:5]
	v_or_b32_e32 v1, 0x100, v0
	v_cmp_gt_u32_e64 s[4:5], s3, v1
	v_mov_b32_e32 v19, v2
	s_and_saveexec_b64 s[6:7], s[4:5]
	s_cbranch_execz .LBB1354_5
; %bb.4:
	v_lshlrev_b32_e32 v4, 2, v0
	v_mov_b32_e32 v5, 0
	v_lshl_add_u64 v[4:5], s[64:65], 0, v[4:5]
	flat_load_dword v19, v[4:5] offset:1024
.LBB1354_5:
	s_or_b64 exec, exec, s[6:7]
	v_or_b32_e32 v1, 0x200, v0
	v_cmp_gt_u32_e64 s[6:7], s3, v1
	v_mov_b32_e32 v20, v2
	s_and_saveexec_b64 s[8:9], s[6:7]
	s_cbranch_execz .LBB1354_7
; %bb.6:
	v_lshlrev_b32_e32 v4, 2, v0
	v_mov_b32_e32 v5, 0
	v_lshl_add_u64 v[4:5], s[64:65], 0, v[4:5]
	flat_load_dword v20, v[4:5] offset:2048
.LBB1354_7:
	;; [unrolled: 12-line block ×3, first 2 shown]
	s_or_b64 exec, exec, s[10:11]
	v_or_b32_e32 v1, 0x400, v0
	v_cmp_gt_u32_e64 s[10:11], s3, v1
	v_mov_b32_e32 v22, v2
	s_and_saveexec_b64 s[12:13], s[10:11]
	s_cbranch_execz .LBB1354_11
; %bb.10:
	v_lshlrev_b32_e32 v4, 2, v1
	v_mov_b32_e32 v5, 0
	v_lshl_add_u64 v[4:5], s[64:65], 0, v[4:5]
	flat_load_dword v22, v[4:5]
.LBB1354_11:
	s_or_b64 exec, exec, s[12:13]
	v_or_b32_e32 v1, 0x500, v0
	v_cmp_gt_u32_e64 s[12:13], s3, v1
	v_mov_b32_e32 v23, v2
	s_and_saveexec_b64 s[14:15], s[12:13]
	s_cbranch_execz .LBB1354_13
; %bb.12:
	v_lshlrev_b32_e32 v4, 2, v1
	v_mov_b32_e32 v5, 0
	v_lshl_add_u64 v[4:5], s[64:65], 0, v[4:5]
	flat_load_dword v23, v[4:5]
.LBB1354_13:
	;; [unrolled: 12-line block ×19, first 2 shown]
	s_or_b64 exec, exec, s[50:51]
	v_or_b32_e32 v18, 0x1700, v0
	v_cmp_gt_u32_e64 s[50:51], s3, v18
	s_and_saveexec_b64 s[60:61], s[50:51]
	s_cbranch_execz .LBB1354_49
; %bb.48:
	v_lshlrev_b32_e32 v42, 2, v18
	v_mov_b32_e32 v43, 0
	v_lshl_add_u64 v[42:43], s[64:65], 0, v[42:43]
	flat_load_dword v2, v[42:43]
.LBB1354_49:
	s_or_b64 exec, exec, s[60:61]
	v_lshlrev_b32_e32 v41, 2, v0
	s_movk_i32 s60, 0x5c
	s_waitcnt vmcnt(0) lgkmcnt(0)
	ds_write2st64_b32 v41, v3, v19 offset1:4
	ds_write2st64_b32 v41, v20, v21 offset0:8 offset1:12
	ds_write2st64_b32 v41, v22, v23 offset0:16 offset1:20
	;; [unrolled: 1-line block ×11, first 2 shown]
	v_mad_u32_u24 v2, v0, s60, v41
	s_waitcnt lgkmcnt(0)
	s_barrier
	ds_read_b128 v[42:45], v2
	ds_read_b128 v[38:41], v2 offset:16
	ds_read_b128 v[34:37], v2 offset:32
	;; [unrolled: 1-line block ×5, first 2 shown]
	s_cmp_eq_u64 s[78:79], 0
	s_mov_b64 s[60:61], s[64:65]
	s_cbranch_scc1 .LBB1354_53
; %bb.50:
	s_andn2_b64 vcc, exec, s[76:77]
	s_cbranch_vccnz .LBB1354_313
; %bb.51:
	s_lshl_b64 s[60:61], s[78:79], 2
	s_add_u32 s60, s66, s60
	s_addc_u32 s61, s67, s61
	s_add_u32 s60, s60, -4
	s_addc_u32 s61, s61, -1
	s_cbranch_execnz .LBB1354_53
.LBB1354_52:
	s_add_u32 s60, s64, -4
	s_addc_u32 s61, s65, -1
.LBB1354_53:
	v_mov_b64_e32 v[20:21], s[60:61]
	flat_load_dword v46, v[20:21]
	s_movk_i32 s60, 0xffa4
	v_mad_i32_i24 v19, v0, s60, v2
	v_cmp_ne_u32_e32 vcc, 0, v0
	s_waitcnt lgkmcnt(0)
	ds_write_b32 v19, v25 offset:24576
	s_waitcnt lgkmcnt(0)
	s_barrier
	s_and_saveexec_b64 s[60:61], vcc
	s_cbranch_execz .LBB1354_55
; %bb.54:
	s_waitcnt vmcnt(0)
	ds_read_b32 v46, v19 offset:24572
.LBB1354_55:
	s_or_b64 exec, exec, s[60:61]
	v_mov_b32_e32 v3, 0
	s_waitcnt lgkmcnt(0)
	s_barrier
	s_waitcnt lgkmcnt(0)
                                        ; implicit-def: $vgpr2
	s_and_saveexec_b64 s[60:61], s[52:53]
	s_cbranch_execnz .LBB1354_290
; %bb.56:
	s_or_b64 exec, exec, s[60:61]
                                        ; implicit-def: $vgpr3
	s_and_saveexec_b64 s[52:53], s[4:5]
	s_cbranch_execnz .LBB1354_291
.LBB1354_57:
	s_or_b64 exec, exec, s[52:53]
                                        ; implicit-def: $vgpr20
	s_and_saveexec_b64 s[4:5], s[6:7]
	s_cbranch_execnz .LBB1354_292
.LBB1354_58:
	s_or_b64 exec, exec, s[4:5]
                                        ; implicit-def: $vgpr21
	s_and_saveexec_b64 s[4:5], s[8:9]
	s_cbranch_execnz .LBB1354_293
.LBB1354_59:
	s_or_b64 exec, exec, s[4:5]
                                        ; implicit-def: $vgpr47
	s_and_saveexec_b64 s[4:5], s[10:11]
	s_cbranch_execnz .LBB1354_294
.LBB1354_60:
	s_or_b64 exec, exec, s[4:5]
                                        ; implicit-def: $vgpr48
	s_and_saveexec_b64 s[4:5], s[12:13]
	s_cbranch_execnz .LBB1354_295
.LBB1354_61:
	s_or_b64 exec, exec, s[4:5]
                                        ; implicit-def: $vgpr49
	s_and_saveexec_b64 s[4:5], s[14:15]
	s_cbranch_execnz .LBB1354_296
.LBB1354_62:
	s_or_b64 exec, exec, s[4:5]
                                        ; implicit-def: $vgpr50
	s_and_saveexec_b64 s[4:5], s[16:17]
	s_cbranch_execnz .LBB1354_297
.LBB1354_63:
	s_or_b64 exec, exec, s[4:5]
                                        ; implicit-def: $vgpr51
	s_and_saveexec_b64 s[4:5], s[18:19]
	s_cbranch_execnz .LBB1354_298
.LBB1354_64:
	s_or_b64 exec, exec, s[4:5]
                                        ; implicit-def: $vgpr1
	s_and_saveexec_b64 s[4:5], s[20:21]
	s_cbranch_execnz .LBB1354_299
.LBB1354_65:
	s_or_b64 exec, exec, s[4:5]
                                        ; implicit-def: $vgpr4
	s_and_saveexec_b64 s[4:5], s[22:23]
	s_cbranch_execnz .LBB1354_300
.LBB1354_66:
	s_or_b64 exec, exec, s[4:5]
                                        ; implicit-def: $vgpr5
	s_and_saveexec_b64 s[4:5], s[24:25]
	s_cbranch_execnz .LBB1354_301
.LBB1354_67:
	s_or_b64 exec, exec, s[4:5]
                                        ; implicit-def: $vgpr6
	s_and_saveexec_b64 s[4:5], s[26:27]
	s_cbranch_execnz .LBB1354_302
.LBB1354_68:
	s_or_b64 exec, exec, s[4:5]
                                        ; implicit-def: $vgpr7
	s_and_saveexec_b64 s[4:5], s[28:29]
	s_cbranch_execnz .LBB1354_303
.LBB1354_69:
	s_or_b64 exec, exec, s[4:5]
                                        ; implicit-def: $vgpr8
	s_and_saveexec_b64 s[4:5], s[30:31]
	s_cbranch_execnz .LBB1354_304
.LBB1354_70:
	s_or_b64 exec, exec, s[4:5]
                                        ; implicit-def: $vgpr9
	s_and_saveexec_b64 s[4:5], s[34:35]
	s_cbranch_execnz .LBB1354_305
.LBB1354_71:
	s_or_b64 exec, exec, s[4:5]
                                        ; implicit-def: $vgpr10
	s_and_saveexec_b64 s[4:5], s[36:37]
	s_cbranch_execnz .LBB1354_306
.LBB1354_72:
	s_or_b64 exec, exec, s[4:5]
                                        ; implicit-def: $vgpr11
	s_and_saveexec_b64 s[4:5], s[38:39]
	s_cbranch_execnz .LBB1354_307
.LBB1354_73:
	s_or_b64 exec, exec, s[4:5]
                                        ; implicit-def: $vgpr12
	s_and_saveexec_b64 s[4:5], s[40:41]
	s_cbranch_execnz .LBB1354_308
.LBB1354_74:
	s_or_b64 exec, exec, s[4:5]
                                        ; implicit-def: $vgpr13
	s_and_saveexec_b64 s[4:5], s[42:43]
	s_cbranch_execnz .LBB1354_309
.LBB1354_75:
	s_or_b64 exec, exec, s[4:5]
                                        ; implicit-def: $vgpr14
	s_and_saveexec_b64 s[4:5], s[44:45]
	s_cbranch_execnz .LBB1354_310
.LBB1354_76:
	s_or_b64 exec, exec, s[4:5]
                                        ; implicit-def: $vgpr15
	s_and_saveexec_b64 s[4:5], s[46:47]
	s_cbranch_execnz .LBB1354_311
.LBB1354_77:
	s_or_b64 exec, exec, s[4:5]
                                        ; implicit-def: $vgpr16
	s_and_saveexec_b64 s[4:5], s[48:49]
	s_cbranch_execnz .LBB1354_312
.LBB1354_78:
	s_or_b64 exec, exec, s[4:5]
                                        ; implicit-def: $vgpr17
	s_and_saveexec_b64 s[4:5], s[50:51]
	s_cbranch_execz .LBB1354_80
.LBB1354_79:
	v_lshlrev_b32_e32 v52, 1, v18
	v_mov_b32_e32 v53, 0
	v_lshl_add_u64 v[52:53], s[54:55], 0, v[52:53]
	flat_load_ushort v17, v[52:53]
.LBB1354_80:
	s_or_b64 exec, exec, s[4:5]
	v_lshlrev_b32_e32 v18, 1, v0
	s_mov_b32 s8, 0
	v_sub_u32_e32 v54, v19, v18
	s_mov_b32 s9, s8
	s_mov_b32 s6, s8
	;; [unrolled: 1-line block ×3, first 2 shown]
	v_mul_u32_u24_e32 v53, 24, v0
	s_waitcnt vmcnt(0) lgkmcnt(0)
	ds_write_b16 v54, v2
	ds_write_b16 v54, v3 offset:512
	ds_write_b16 v54, v20 offset:1024
	;; [unrolled: 1-line block ×23, first 2 shown]
	s_mov_b32 s10, s8
	s_mov_b32 s11, s8
	s_mov_b32 s12, s8
	s_mov_b32 s13, s8
	s_mov_b32 s14, s8
	s_mov_b32 s15, s8
	s_mov_b32 s16, s8
	s_mov_b32 s17, s8
	s_mov_b32 s18, s8
	s_mov_b32 s19, s8
	s_mov_b32 s20, s8
	s_mov_b32 s21, s8
	s_mov_b32 s22, s8
	s_mov_b32 s23, s8
	s_mov_b32 s4, s8
	s_mov_b32 s5, s8
	s_mov_b32 s24, s8
	s_mov_b32 s25, s8
	v_mov_b64_e32 v[20:21], s[6:7]
	v_mov_b64_e32 v[2:3], s[8:9]
	v_cmp_gt_u32_e32 vcc, s3, v53
	s_mov_b64 s[28:29], 0
	v_mov_b64_e32 v[50:51], s[24:25]
	v_mov_b64_e32 v[18:19], s[4:5]
	;; [unrolled: 1-line block ×9, first 2 shown]
	v_mov_b32_e32 v1, 0
	s_mov_b64 s[6:7], 0
	s_waitcnt lgkmcnt(0)
	s_barrier
	s_waitcnt lgkmcnt(0)
                                        ; implicit-def: $sgpr4_sgpr5
                                        ; implicit-def: $vgpr52
	s_and_saveexec_b64 s[10:11], vcc
	s_cbranch_execz .LBB1354_126
; %bb.81:
	v_mad_u32_u24 v1, v0, 46, v54
	ds_read_u16 v1, v1
	v_cmp_ne_u32_e32 vcc, v46, v42
	s_mov_b32 s12, 0
	v_or_b32_e32 v2, 1, v53
	v_cndmask_b32_e64 v3, 0, 1, vcc
	s_mov_b32 s13, s12
	s_mov_b32 s6, s12
	;; [unrolled: 1-line block ×3, first 2 shown]
	v_cmp_gt_u32_e32 vcc, s3, v2
	s_waitcnt lgkmcnt(0)
	v_lshl_or_b32 v1, v3, 16, v1
	s_mov_b32 s14, s12
	s_mov_b32 s15, s12
	;; [unrolled: 1-line block ×18, first 2 shown]
	v_mov_b64_e32 v[20:21], s[6:7]
	v_mov_b64_e32 v[2:3], s[12:13]
	s_mov_b64 s[34:35], 0
	v_mov_b64_e32 v[50:51], s[30:31]
	v_mov_b64_e32 v[18:19], s[4:5]
	;; [unrolled: 1-line block ×9, first 2 shown]
                                        ; implicit-def: $sgpr36_sgpr37
                                        ; implicit-def: $vgpr52
	s_and_saveexec_b64 s[30:31], vcc
	s_cbranch_execz .LBB1354_125
; %bb.82:
	v_mul_u32_u24_e32 v2, 46, v0
	v_add_u32_e32 v54, v54, v2
	ds_read_b128 v[46:49], v54 offset:2
	v_or_b32_e32 v2, 2, v53
	v_cmp_ne_u32_e32 vcc, v42, v43
	v_mov_b64_e32 v[20:21], s[6:7]
	v_mov_b32_e32 v51, 0
	v_cndmask_b32_e64 v3, 0, 1, vcc
	v_cmp_gt_u32_e32 vcc, s3, v2
	s_waitcnt lgkmcnt(0)
	v_and_b32_e32 v2, 0xffff, v46
	v_lshl_or_b32 v50, v3, 16, v2
	v_mov_b64_e32 v[2:3], s[12:13]
	v_mov_b64_e32 v[18:19], s[4:5]
	;; [unrolled: 1-line block ×9, first 2 shown]
                                        ; implicit-def: $sgpr12_sgpr13
                                        ; implicit-def: $vgpr52
	s_and_saveexec_b64 s[6:7], vcc
	s_cbranch_execz .LBB1354_124
; %bb.83:
	v_cmp_ne_u32_e32 vcc, v43, v44
	s_mov_b32 s12, 0
	v_or_b32_e32 v2, 3, v53
	v_cndmask_b32_e64 v3, 0, 1, vcc
	s_mov_b32 s13, s12
	s_mov_b32 s36, s12
	;; [unrolled: 1-line block ×3, first 2 shown]
	v_alignbit_b32 v51, v3, v46, 16
	v_cmp_gt_u32_e32 vcc, s3, v2
	s_mov_b32 s14, s12
	s_mov_b32 s15, s12
	;; [unrolled: 1-line block ×16, first 2 shown]
	v_mov_b64_e32 v[18:19], s[36:37]
	v_mov_b64_e32 v[2:3], s[12:13]
	s_mov_b64 s[4:5], 0
	v_mov_b64_e32 v[20:21], s[38:39]
	v_mov_b64_e32 v[4:5], s[14:15]
	;; [unrolled: 1-line block ×8, first 2 shown]
                                        ; implicit-def: $sgpr36_sgpr37
                                        ; implicit-def: $vgpr52
	s_and_saveexec_b64 s[34:35], vcc
	s_cbranch_execz .LBB1354_123
; %bb.84:
	v_cmp_ne_u32_e32 vcc, v44, v45
	v_and_b32_e32 v2, 0xffff, v47
	v_or_b32_e32 v3, 4, v53
	v_cndmask_b32_e64 v4, 0, 1, vcc
	v_lshl_or_b32 v18, v4, 16, v2
	v_cmp_gt_u32_e32 vcc, s3, v3
	v_mov_b32_e32 v20, 0
	v_mov_b64_e32 v[2:3], s[12:13]
	v_mov_b32_e32 v19, v20
	v_mov_b32_e32 v21, v20
	v_mov_b64_e32 v[4:5], s[14:15]
	v_mov_b64_e32 v[6:7], s[16:17]
	;; [unrolled: 1-line block ×7, first 2 shown]
                                        ; implicit-def: $sgpr12_sgpr13
                                        ; implicit-def: $vgpr52
	s_and_saveexec_b64 s[36:37], vcc
	s_cbranch_execz .LBB1354_122
; %bb.85:
	v_cmp_ne_u32_e32 vcc, v45, v38
	s_mov_b32 s12, 0
	v_or_b32_e32 v2, 5, v53
	v_cndmask_b32_e64 v3, 0, 1, vcc
	s_mov_b32 s13, s12
	v_alignbit_b32 v19, v3, v47, 16
	v_cmp_gt_u32_e32 vcc, s3, v2
	s_mov_b32 s14, s12
	s_mov_b32 s15, s12
	;; [unrolled: 1-line block ×14, first 2 shown]
	v_mov_b64_e32 v[2:3], s[12:13]
	v_mov_b32_e32 v21, v20
	v_mov_b64_e32 v[4:5], s[14:15]
	v_mov_b64_e32 v[6:7], s[16:17]
	;; [unrolled: 1-line block ×7, first 2 shown]
                                        ; implicit-def: $sgpr40_sgpr41
                                        ; implicit-def: $vgpr52
	s_and_saveexec_b64 s[38:39], vcc
	s_cbranch_execz .LBB1354_121
; %bb.86:
	v_cmp_ne_u32_e32 vcc, v38, v39
	v_and_b32_e32 v2, 0xffff, v48
	v_or_b32_e32 v3, 6, v53
	v_cndmask_b32_e64 v4, 0, 1, vcc
	v_lshl_or_b32 v20, v4, 16, v2
	v_cmp_gt_u32_e32 vcc, s3, v3
	v_mov_b64_e32 v[2:3], s[12:13]
	v_mov_b32_e32 v21, s12
	v_mov_b64_e32 v[4:5], s[14:15]
	v_mov_b64_e32 v[6:7], s[16:17]
	v_mov_b64_e32 v[8:9], s[18:19]
	v_mov_b64_e32 v[10:11], s[20:21]
	v_mov_b64_e32 v[12:13], s[22:23]
	v_mov_b64_e32 v[14:15], s[24:25]
	v_mov_b64_e32 v[16:17], s[26:27]
                                        ; implicit-def: $sgpr12_sgpr13
                                        ; implicit-def: $vgpr52
	s_and_saveexec_b64 s[40:41], vcc
	s_cbranch_execz .LBB1354_120
; %bb.87:
	v_cmp_ne_u32_e32 vcc, v39, v40
	s_mov_b32 s12, 0
	v_or_b32_e32 v2, 7, v53
	v_cndmask_b32_e64 v3, 0, 1, vcc
	s_mov_b32 s13, s12
	v_alignbit_b32 v21, v3, v48, 16
	v_cmp_gt_u32_e32 vcc, s3, v2
	s_mov_b32 s14, s12
	s_mov_b32 s15, s12
	;; [unrolled: 1-line block ×14, first 2 shown]
	v_mov_b64_e32 v[2:3], s[12:13]
	v_mov_b64_e32 v[4:5], s[14:15]
	;; [unrolled: 1-line block ×8, first 2 shown]
                                        ; implicit-def: $sgpr14_sgpr15
                                        ; implicit-def: $vgpr52
	s_and_saveexec_b64 s[12:13], vcc
	s_cbranch_execz .LBB1354_119
; %bb.88:
	v_cmp_ne_u32_e32 vcc, v40, v41
	v_and_b32_e32 v2, 0xffff, v49
	v_add_u32_e32 v3, 8, v53
	v_cndmask_b32_e64 v4, 0, 1, vcc
	v_lshl_or_b32 v2, v4, 16, v2
	v_mov_b32_e32 v4, 0
	v_cmp_gt_u32_e32 vcc, s3, v3
	v_mov_b32_e32 v3, v4
	v_mov_b32_e32 v5, v4
	;; [unrolled: 1-line block ×14, first 2 shown]
                                        ; implicit-def: $sgpr16_sgpr17
                                        ; implicit-def: $vgpr52
	s_and_saveexec_b64 s[14:15], vcc
	s_cbranch_execz .LBB1354_118
; %bb.89:
	v_cmp_ne_u32_e32 vcc, v41, v34
	v_add_u32_e32 v5, 9, v53
	v_mov_b32_e32 v6, v4
	v_cndmask_b32_e64 v3, 0, 1, vcc
	v_alignbit_b32 v3, v3, v49, 16
	v_cmp_gt_u32_e32 vcc, s3, v5
	v_mov_b32_e32 v5, v4
	v_mov_b32_e32 v7, v4
	;; [unrolled: 1-line block ×12, first 2 shown]
                                        ; implicit-def: $sgpr18_sgpr19
                                        ; implicit-def: $vgpr52
	s_and_saveexec_b64 s[16:17], vcc
	s_cbranch_execz .LBB1354_117
; %bb.90:
	ds_read_b128 v[38:41], v54 offset:18
	v_add_u32_e32 v4, 10, v53
	v_cmp_ne_u32_e32 vcc, v34, v35
	v_mov_b32_e32 v6, 0
	v_mov_b32_e32 v7, v6
	v_cndmask_b32_e64 v5, 0, 1, vcc
	v_cmp_gt_u32_e32 vcc, s3, v4
	s_waitcnt lgkmcnt(0)
	v_and_b32_e32 v4, 0xffff, v38
	v_lshl_or_b32 v4, v5, 16, v4
	v_mov_b32_e32 v5, v6
	v_mov_b32_e32 v8, v6
	;; [unrolled: 1-line block ×11, first 2 shown]
                                        ; implicit-def: $sgpr20_sgpr21
                                        ; implicit-def: $vgpr52
	s_and_saveexec_b64 s[18:19], vcc
	s_cbranch_execz .LBB1354_116
; %bb.91:
	v_cmp_ne_u32_e32 vcc, v35, v36
	v_add_u32_e32 v7, 11, v53
	v_mov_b32_e32 v8, v6
	v_cndmask_b32_e64 v5, 0, 1, vcc
	v_alignbit_b32 v5, v5, v38, 16
	v_cmp_gt_u32_e32 vcc, s3, v7
	v_mov_b32_e32 v7, v6
	v_mov_b32_e32 v9, v6
	;; [unrolled: 1-line block ×10, first 2 shown]
                                        ; implicit-def: $sgpr22_sgpr23
                                        ; implicit-def: $vgpr52
	s_and_saveexec_b64 s[20:21], vcc
	s_cbranch_execz .LBB1354_115
; %bb.92:
	v_cmp_ne_u32_e32 vcc, v36, v37
	v_and_b32_e32 v6, 0xffff, v39
	v_add_u32_e32 v7, 12, v53
	v_cndmask_b32_e64 v8, 0, 1, vcc
	v_lshl_or_b32 v6, v8, 16, v6
	v_mov_b32_e32 v8, 0
	v_cmp_gt_u32_e32 vcc, s3, v7
	v_mov_b32_e32 v7, v8
	v_mov_b32_e32 v9, v8
	;; [unrolled: 1-line block ×10, first 2 shown]
                                        ; implicit-def: $sgpr24_sgpr25
                                        ; implicit-def: $vgpr52
	s_and_saveexec_b64 s[22:23], vcc
	s_cbranch_execz .LBB1354_114
; %bb.93:
	v_cmp_ne_u32_e32 vcc, v37, v30
	v_add_u32_e32 v9, 13, v53
	v_mov_b32_e32 v10, v8
	v_cndmask_b32_e64 v7, 0, 1, vcc
	v_alignbit_b32 v7, v7, v39, 16
	v_cmp_gt_u32_e32 vcc, s3, v9
	v_mov_b32_e32 v9, v8
	v_mov_b32_e32 v11, v8
	;; [unrolled: 1-line block ×8, first 2 shown]
                                        ; implicit-def: $sgpr26_sgpr27
                                        ; implicit-def: $vgpr52
	s_and_saveexec_b64 s[24:25], vcc
	s_cbranch_execz .LBB1354_113
; %bb.94:
	v_cmp_ne_u32_e32 vcc, v30, v31
	v_and_b32_e32 v8, 0xffff, v40
	v_add_u32_e32 v9, 14, v53
	v_cndmask_b32_e64 v10, 0, 1, vcc
	v_lshl_or_b32 v8, v10, 16, v8
	v_mov_b32_e32 v10, 0
	v_cmp_gt_u32_e32 vcc, s3, v9
	v_mov_b32_e32 v9, v10
	v_mov_b32_e32 v11, v10
	;; [unrolled: 1-line block ×8, first 2 shown]
                                        ; implicit-def: $sgpr42_sgpr43
                                        ; implicit-def: $vgpr52
	s_and_saveexec_b64 s[26:27], vcc
	s_cbranch_execz .LBB1354_112
; %bb.95:
	v_cmp_ne_u32_e32 vcc, v31, v32
	v_add_u32_e32 v11, 15, v53
	v_mov_b32_e32 v12, v10
	v_cndmask_b32_e64 v9, 0, 1, vcc
	v_alignbit_b32 v9, v9, v40, 16
	v_cmp_gt_u32_e32 vcc, s3, v11
	v_mov_b32_e32 v11, v10
	v_mov_b32_e32 v13, v10
	v_mov_b32_e32 v14, v10
	v_mov_b32_e32 v15, v10
	v_mov_b32_e32 v16, v10
	v_mov_b32_e32 v17, v10
                                        ; implicit-def: $sgpr44_sgpr45
                                        ; implicit-def: $vgpr52
	s_and_saveexec_b64 s[42:43], vcc
	s_cbranch_execz .LBB1354_111
; %bb.96:
	v_cmp_ne_u32_e32 vcc, v32, v33
	v_and_b32_e32 v10, 0xffff, v41
	v_add_u32_e32 v11, 16, v53
	v_cndmask_b32_e64 v12, 0, 1, vcc
	v_lshl_or_b32 v10, v12, 16, v10
	v_mov_b32_e32 v12, 0
	v_cmp_gt_u32_e32 vcc, s3, v11
	v_mov_b32_e32 v11, v12
	v_mov_b32_e32 v13, v12
	;; [unrolled: 1-line block ×6, first 2 shown]
                                        ; implicit-def: $sgpr46_sgpr47
                                        ; implicit-def: $vgpr52
	s_and_saveexec_b64 s[44:45], vcc
	s_cbranch_execz .LBB1354_110
; %bb.97:
	v_cmp_ne_u32_e32 vcc, v33, v26
	v_add_u32_e32 v13, 17, v53
	v_mov_b32_e32 v14, v12
	v_cndmask_b32_e64 v11, 0, 1, vcc
	v_alignbit_b32 v11, v11, v41, 16
	v_cmp_gt_u32_e32 vcc, s3, v13
	v_mov_b32_e32 v13, v12
	v_mov_b32_e32 v15, v12
	;; [unrolled: 1-line block ×4, first 2 shown]
                                        ; implicit-def: $sgpr48_sgpr49
                                        ; implicit-def: $vgpr52
	s_and_saveexec_b64 s[46:47], vcc
	s_cbranch_execz .LBB1354_109
; %bb.98:
	ds_read_b96 v[30:32], v54 offset:34
	v_add_u32_e32 v12, 18, v53
	v_cmp_ne_u32_e32 vcc, v26, v27
	v_mov_b32_e32 v14, 0
	v_mov_b32_e32 v15, v14
	v_cndmask_b32_e64 v13, 0, 1, vcc
	v_cmp_gt_u32_e32 vcc, s3, v12
	s_waitcnt lgkmcnt(0)
	v_and_b32_e32 v12, 0xffff, v30
	v_lshl_or_b32 v12, v13, 16, v12
	v_mov_b32_e32 v13, v14
	v_mov_b32_e32 v16, v14
	;; [unrolled: 1-line block ×3, first 2 shown]
                                        ; implicit-def: $sgpr50_sgpr51
                                        ; implicit-def: $vgpr52
	s_and_saveexec_b64 s[48:49], vcc
	s_cbranch_execz .LBB1354_108
; %bb.99:
	v_cmp_ne_u32_e32 vcc, v27, v28
	v_add_u32_e32 v15, 19, v53
	v_mov_b32_e32 v16, v14
	v_cndmask_b32_e64 v13, 0, 1, vcc
	v_alignbit_b32 v13, v13, v30, 16
	v_cmp_gt_u32_e32 vcc, s3, v15
	v_mov_b32_e32 v15, v14
	v_mov_b32_e32 v17, v14
                                        ; implicit-def: $sgpr52_sgpr53
                                        ; implicit-def: $vgpr52
	s_and_saveexec_b64 s[50:51], vcc
	s_cbranch_execz .LBB1354_107
; %bb.100:
	v_cmp_ne_u32_e32 vcc, v28, v29
	v_and_b32_e32 v14, 0xffff, v31
	v_add_u32_e32 v15, 20, v53
	v_cndmask_b32_e64 v16, 0, 1, vcc
	v_lshl_or_b32 v14, v16, 16, v14
	v_mov_b32_e32 v16, 0
	v_cmp_gt_u32_e32 vcc, s3, v15
	v_mov_b32_e32 v15, v16
	v_mov_b32_e32 v17, v16
                                        ; implicit-def: $sgpr60_sgpr61
                                        ; implicit-def: $vgpr52
	s_and_saveexec_b64 s[52:53], vcc
	s_cbranch_execz .LBB1354_106
; %bb.101:
	v_cmp_ne_u32_e32 vcc, v29, v22
	v_add_u32_e32 v17, 21, v53
	s_mov_b32 s9, 0
	v_cndmask_b32_e64 v15, 0, 1, vcc
	v_alignbit_b32 v15, v15, v31, 16
	v_cmp_gt_u32_e32 vcc, s3, v17
	v_mov_b32_e32 v17, v16
                                        ; implicit-def: $sgpr80_sgpr81
                                        ; implicit-def: $vgpr52
	s_and_saveexec_b64 s[60:61], vcc
	s_cbranch_execz .LBB1354_105
; %bb.102:
	v_cmp_ne_u32_e32 vcc, v22, v23
	v_and_b32_e32 v16, 0xffff, v32
	v_add_u32_e32 v17, 22, v53
	v_cndmask_b32_e64 v22, 0, 1, vcc
	v_lshl_or_b32 v16, v22, 16, v16
	v_cmp_gt_u32_e32 vcc, s3, v17
	v_mov_b32_e32 v17, s9
                                        ; implicit-def: $sgpr80_sgpr81
                                        ; implicit-def: $vgpr52
	s_and_saveexec_b64 s[82:83], vcc
	s_xor_b64 s[82:83], exec, s[82:83]
	s_cbranch_execz .LBB1354_104
; %bb.103:
	ds_read_u16 v52, v54 offset:46
	v_add_u32_e32 v22, 23, v53
	v_cmp_ne_u32_e64 s[4:5], v23, v24
	v_cmp_ne_u32_e32 vcc, v24, v25
	s_and_b64 s[80:81], vcc, exec
	v_cndmask_b32_e64 v17, 0, 1, s[4:5]
	v_cmp_gt_u32_e64 s[4:5], s3, v22
	v_alignbit_b32 v17, v17, v32, 16
	s_and_b64 s[4:5], s[4:5], exec
.LBB1354_104:
	s_or_b64 exec, exec, s[82:83]
	s_and_b64 s[80:81], s[80:81], exec
	s_and_b64 s[4:5], s[4:5], exec
.LBB1354_105:
	s_or_b64 exec, exec, s[60:61]
	s_and_b64 s[60:61], s[80:81], exec
	s_and_b64 s[4:5], s[4:5], exec
.LBB1354_106:
	s_or_b64 exec, exec, s[52:53]
	s_and_b64 s[52:53], s[60:61], exec
	s_and_b64 s[4:5], s[4:5], exec
.LBB1354_107:
	s_or_b64 exec, exec, s[50:51]
	s_and_b64 s[50:51], s[52:53], exec
	s_and_b64 s[4:5], s[4:5], exec
.LBB1354_108:
	s_or_b64 exec, exec, s[48:49]
	s_and_b64 s[48:49], s[50:51], exec
	s_and_b64 s[4:5], s[4:5], exec
.LBB1354_109:
	s_or_b64 exec, exec, s[46:47]
	s_and_b64 s[46:47], s[48:49], exec
	s_and_b64 s[4:5], s[4:5], exec
.LBB1354_110:
	s_or_b64 exec, exec, s[44:45]
	s_and_b64 s[44:45], s[46:47], exec
	s_and_b64 s[4:5], s[4:5], exec
.LBB1354_111:
	s_or_b64 exec, exec, s[42:43]
	s_and_b64 s[42:43], s[44:45], exec
	s_and_b64 s[4:5], s[4:5], exec
.LBB1354_112:
	s_or_b64 exec, exec, s[26:27]
	s_and_b64 s[26:27], s[42:43], exec
	s_and_b64 s[4:5], s[4:5], exec
.LBB1354_113:
	s_or_b64 exec, exec, s[24:25]
	s_and_b64 s[24:25], s[26:27], exec
	s_and_b64 s[4:5], s[4:5], exec
.LBB1354_114:
	s_or_b64 exec, exec, s[22:23]
	s_and_b64 s[22:23], s[24:25], exec
	s_and_b64 s[4:5], s[4:5], exec
.LBB1354_115:
	s_or_b64 exec, exec, s[20:21]
	s_and_b64 s[20:21], s[22:23], exec
	s_and_b64 s[4:5], s[4:5], exec
.LBB1354_116:
	s_or_b64 exec, exec, s[18:19]
	s_and_b64 s[18:19], s[20:21], exec
	s_and_b64 s[4:5], s[4:5], exec
.LBB1354_117:
	s_or_b64 exec, exec, s[16:17]
	s_and_b64 s[16:17], s[18:19], exec
	s_and_b64 s[4:5], s[4:5], exec
.LBB1354_118:
	s_or_b64 exec, exec, s[14:15]
	s_and_b64 s[14:15], s[16:17], exec
	s_and_b64 s[4:5], s[4:5], exec
.LBB1354_119:
	s_or_b64 exec, exec, s[12:13]
	s_and_b64 s[12:13], s[14:15], exec
	s_and_b64 s[4:5], s[4:5], exec
.LBB1354_120:
	s_or_b64 exec, exec, s[40:41]
	s_and_b64 s[40:41], s[12:13], exec
	s_and_b64 s[4:5], s[4:5], exec
.LBB1354_121:
	s_or_b64 exec, exec, s[38:39]
	s_and_b64 s[12:13], s[40:41], exec
	s_and_b64 s[4:5], s[4:5], exec
.LBB1354_122:
	s_or_b64 exec, exec, s[36:37]
	s_and_b64 s[36:37], s[12:13], exec
	s_and_b64 s[4:5], s[4:5], exec
.LBB1354_123:
	s_or_b64 exec, exec, s[34:35]
	s_and_b64 s[12:13], s[36:37], exec
	s_and_b64 s[34:35], s[4:5], exec
.LBB1354_124:
	s_or_b64 exec, exec, s[6:7]
	s_and_b64 s[36:37], s[12:13], exec
	s_and_b64 s[34:35], s[34:35], exec
.LBB1354_125:
	s_or_b64 exec, exec, s[30:31]
	s_and_b64 s[4:5], s[36:37], exec
	s_and_b64 s[6:7], s[34:35], exec
.LBB1354_126:
	s_or_b64 exec, exec, s[10:11]
	s_and_b64 vcc, exec, s[28:29]
	s_cbranch_vccnz .LBB1354_128
	s_branch .LBB1354_136
.LBB1354_127:
                                        ; implicit-def: $sgpr4_sgpr5
                                        ; implicit-def: $vgpr50_vgpr51
                                        ; implicit-def: $vgpr18_vgpr19_vgpr20_vgpr21
                                        ; implicit-def: $vgpr2_vgpr3_vgpr4_vgpr5_vgpr6_vgpr7_vgpr8_vgpr9_vgpr10_vgpr11_vgpr12_vgpr13_vgpr14_vgpr15_vgpr16_vgpr17
                                        ; implicit-def: $vgpr52
                                        ; implicit-def: $vgpr1
                                        ; implicit-def: $sgpr8
	s_and_b64 vcc, exec, s[28:29]
	s_cbranch_vccz .LBB1354_136
.LBB1354_128:
	v_mov_b32_e32 v3, 0
	v_lshlrev_b32_e32 v2, 2, v0
	v_lshl_add_u64 v[4:5], s[64:65], 0, v[2:3]
	v_add_co_u32_e32 v6, vcc, 0x1000, v4
	s_movk_i32 s3, 0x5c
	s_nop 0
	v_addc_co_u32_e32 v7, vcc, 0, v5, vcc
	flat_load_dword v3, v[4:5]
	flat_load_dword v10, v[4:5] offset:1024
	flat_load_dword v11, v[4:5] offset:2048
	;; [unrolled: 1-line block ×3, first 2 shown]
	flat_load_dword v13, v[6:7]
	flat_load_dword v14, v[6:7] offset:1024
	flat_load_dword v15, v[6:7] offset:2048
	;; [unrolled: 1-line block ×3, first 2 shown]
	v_add_co_u32_e32 v6, vcc, 0x2000, v4
	v_mad_u32_u24 v1, v0, s3, v2
	s_nop 0
	v_addc_co_u32_e32 v7, vcc, 0, v5, vcc
	v_add_co_u32_e32 v8, vcc, 0x3000, v4
	s_cmp_eq_u64 s[78:79], 0
	s_nop 0
	v_addc_co_u32_e32 v9, vcc, 0, v5, vcc
	flat_load_dword v17, v[6:7]
	flat_load_dword v18, v[6:7] offset:1024
	flat_load_dword v19, v[6:7] offset:2048
	;; [unrolled: 1-line block ×3, first 2 shown]
	flat_load_dword v21, v[8:9]
	flat_load_dword v22, v[8:9] offset:1024
	flat_load_dword v23, v[8:9] offset:2048
	;; [unrolled: 1-line block ×3, first 2 shown]
	v_add_co_u32_e32 v6, vcc, 0x4000, v4
	s_nop 1
	v_addc_co_u32_e32 v7, vcc, 0, v5, vcc
	v_add_co_u32_e32 v4, vcc, 0x5000, v4
	s_nop 1
	v_addc_co_u32_e32 v5, vcc, 0, v5, vcc
	flat_load_dword v8, v[6:7]
	flat_load_dword v9, v[6:7] offset:1024
	flat_load_dword v25, v[6:7] offset:2048
	;; [unrolled: 1-line block ×3, first 2 shown]
	flat_load_dword v27, v[4:5]
	flat_load_dword v28, v[4:5] offset:1024
	flat_load_dword v29, v[4:5] offset:2048
	;; [unrolled: 1-line block ×3, first 2 shown]
	s_waitcnt vmcnt(0) lgkmcnt(0)
	ds_write2st64_b32 v2, v3, v10 offset1:4
	ds_write2st64_b32 v2, v11, v12 offset0:8 offset1:12
	ds_write2st64_b32 v2, v13, v14 offset0:16 offset1:20
	;; [unrolled: 1-line block ×11, first 2 shown]
	s_waitcnt lgkmcnt(0)
	s_barrier
	ds_read2_b64 v[2:5], v1 offset1:11
	ds_read2_b64 v[34:37], v1 offset0:9 offset1:10
	ds_read2_b64 v[30:33], v1 offset0:7 offset1:8
	;; [unrolled: 1-line block ×5, first 2 shown]
	s_cbranch_scc1 .LBB1354_133
; %bb.129:
	s_andn2_b64 vcc, exec, s[76:77]
	s_cbranch_vccnz .LBB1354_314
; %bb.130:
	s_lshl_b64 s[4:5], s[78:79], 2
	s_add_u32 s3, s66, s4
	s_addc_u32 s5, s67, s5
	s_add_u32 s4, s3, -4
	s_addc_u32 s5, s5, -1
	s_cbranch_execnz .LBB1354_132
.LBB1354_131:
	s_add_u32 s4, s64, -4
	s_addc_u32 s5, s65, -1
.LBB1354_132:
	s_mov_b64 s[64:65], s[4:5]
.LBB1354_133:
	v_mov_b64_e32 v[10:11], s[64:65]
	flat_load_dword v10, v[10:11]
	s_movk_i32 s3, 0xffa4
	v_mad_i32_i24 v1, v0, s3, v1
	v_cmp_ne_u32_e32 vcc, 0, v0
	s_waitcnt lgkmcnt(0)
	ds_write_b32 v1, v5 offset:24576
	s_waitcnt lgkmcnt(0)
	s_barrier
	s_and_saveexec_b64 s[4:5], vcc
	s_cbranch_execz .LBB1354_135
; %bb.134:
	s_waitcnt vmcnt(0)
	ds_read_b32 v10, v1 offset:24572
.LBB1354_135:
	s_or_b64 exec, exec, s[4:5]
	v_lshlrev_b32_e32 v12, 1, v0
	v_mov_b32_e32 v13, 0
	v_lshl_add_u64 v[14:15], s[54:55], 0, v[12:13]
	s_movk_i32 s3, 0x1000
	v_add_co_u32_e32 v16, vcc, s3, v14
	s_movk_i32 s3, 0x2000
	s_nop 0
	v_addc_co_u32_e32 v17, vcc, 0, v15, vcc
	s_waitcnt lgkmcnt(0)
	s_barrier
	flat_load_ushort v11, v[14:15]
	flat_load_ushort v13, v[14:15] offset:512
	flat_load_ushort v18, v[14:15] offset:1024
	;; [unrolled: 1-line block ×7, first 2 shown]
	v_add_co_u32_e32 v14, vcc, s3, v14
	flat_load_ushort v40, v[16:17]
	flat_load_ushort v41, v[16:17] offset:512
	flat_load_ushort v42, v[16:17] offset:1024
	;; [unrolled: 1-line block ×7, first 2 shown]
	v_addc_co_u32_e32 v15, vcc, 0, v15, vcc
	flat_load_ushort v16, v[14:15]
	flat_load_ushort v17, v[14:15] offset:512
	flat_load_ushort v48, v[14:15] offset:1024
	;; [unrolled: 1-line block ×7, first 2 shown]
	s_waitcnt vmcnt(0)
	v_cmp_ne_u32_e32 vcc, v10, v2
	v_sub_u32_e32 v1, v1, v12
	v_cmp_ne_u32_e64 s[4:5], v4, v5
	v_cndmask_b32_e64 v5, 0, 1, vcc
	v_cmp_ne_u32_e32 vcc, v3, v6
	v_mad_u32_u24 v55, v0, 46, v1
	s_mov_b64 s[6:7], -1
	v_cndmask_b32_e64 v54, 0, 1, vcc
	v_cmp_ne_u32_e32 vcc, v2, v3
                                        ; implicit-def: $sgpr8
	s_waitcnt lgkmcnt(0)
	ds_write_b16 v1, v11
	ds_write_b16 v1, v13 offset:512
	ds_write_b16 v1, v18 offset:1024
	;; [unrolled: 1-line block ×23, first 2 shown]
	s_waitcnt lgkmcnt(0)
	s_barrier
	ds_read_u16 v1, v55
	ds_read_b96 v[14:16], v55 offset:2
	ds_read_b128 v[38:41], v55 offset:14
	ds_read_b128 v[10:13], v55 offset:30
	ds_read_u16 v52, v55 offset:46
	v_cndmask_b32_e64 v2, 0, 1, vcc
	v_cmp_ne_u32_e32 vcc, v9, v22
	s_waitcnt lgkmcnt(4)
	v_lshl_or_b32 v1, v5, 16, v1
	s_waitcnt lgkmcnt(3)
	v_and_b32_e32 v5, 0xffff, v14
	v_cndmask_b32_e64 v3, 0, 1, vcc
	v_cmp_ne_u32_e32 vcc, v7, v8
	v_lshl_or_b32 v50, v2, 16, v5
	v_and_b32_e32 v17, 0xffff, v16
	v_cndmask_b32_e64 v2, 0, 1, vcc
	v_cmp_ne_u32_e32 vcc, v8, v9
	v_alignbit_b32 v19, v2, v15, 16
	v_alignbit_b32 v21, v3, v16, 16
	v_cndmask_b32_e64 v2, 0, 1, vcc
	v_cmp_ne_u32_e32 vcc, v6, v7
	v_lshl_or_b32 v20, v2, 16, v17
	v_alignbit_b32 v51, v54, v14, 16
	v_cndmask_b32_e64 v2, 0, 1, vcc
	v_cmp_ne_u32_e32 vcc, v37, v4
	v_and_b32_e32 v14, 0xffff, v15
	s_waitcnt lgkmcnt(1)
	v_and_b32_e32 v16, 0xffff, v13
	v_cndmask_b32_e64 v3, 0, 1, vcc
	v_cmp_ne_u32_e32 vcc, v35, v36
	v_alignbit_b32 v17, v3, v13, 16
	v_and_b32_e32 v44, 0xffff, v11
	v_cndmask_b32_e64 v3, 0, 1, vcc
	v_cmp_ne_u32_e32 vcc, v33, v34
	v_alignbit_b32 v15, v3, v12, 16
	v_lshl_or_b32 v18, v2, 16, v14
	v_cndmask_b32_e64 v3, 0, 1, vcc
	v_cmp_ne_u32_e32 vcc, v31, v32
	v_alignbit_b32 v13, v3, v11, 16
	v_and_b32_e32 v14, 0xffff, v12
	v_cndmask_b32_e64 v3, 0, 1, vcc
	v_cmp_ne_u32_e32 vcc, v29, v30
	v_alignbit_b32 v11, v3, v10, 16
	v_and_b32_e32 v43, 0xffff, v10
	;; [unrolled: 4-line block ×5, first 2 shown]
	v_cndmask_b32_e64 v3, 0, 1, vcc
	v_cmp_ne_u32_e32 vcc, v36, v37
	v_and_b32_e32 v42, 0xffff, v39
	v_alignbit_b32 v3, v3, v38, 16
	v_cndmask_b32_e64 v4, 0, 1, vcc
	v_cmp_ne_u32_e32 vcc, v34, v35
	v_lshl_or_b32 v16, v4, 16, v16
	s_nop 0
	v_cndmask_b32_e64 v4, 0, 1, vcc
	v_cmp_ne_u32_e32 vcc, v32, v33
	v_lshl_or_b32 v14, v4, 16, v14
	s_nop 0
	;; [unrolled: 4-line block ×7, first 2 shown]
	v_cndmask_b32_e64 v22, 0, 1, vcc
	v_lshl_or_b32 v2, v22, 16, v2
.LBB1354_136:
	v_mov_b32_e32 v32, s8
	s_and_saveexec_b64 s[8:9], s[6:7]
	s_cbranch_execz .LBB1354_138
; %bb.137:
	v_mov_b32_e32 v22, 0x10000
	v_cndmask_b32_e64 v22, 0, v22, s[4:5]
	s_waitcnt lgkmcnt(0)
	v_or_b32_sdwa v32, v22, v52 dst_sel:DWORD dst_unused:UNUSED_PAD src0_sel:DWORD src1_sel:WORD_0
.LBB1354_138:
	s_or_b64 exec, exec, s[8:9]
	s_cmp_lg_u32 s2, 0
	v_mbcnt_lo_u32_b32 v33, -1, 0
	s_waitcnt lgkmcnt(0)
	s_barrier
	s_cbranch_scc0 .LBB1354_205
; %bb.139:
	s_mov_b32 s3, 0x10000
	v_cmp_gt_u32_e64 s[52:53], s3, v50
	v_cmp_gt_u32_e64 s[4:5], s3, v51
	v_cmp_gt_u32_e64 s[6:7], s3, v18
	v_cndmask_b32_e64 v22, 0, v1, s[52:53]
	v_add_u16_e32 v22, v22, v50
	v_cndmask_b32_e64 v22, 0, v22, s[4:5]
	v_add_u16_e32 v22, v22, v51
	v_cndmask_b32_e64 v22, 0, v22, s[6:7]
	v_add_u16_e32 v22, v22, v18
	v_cmp_gt_u32_e64 s[8:9], s3, v19
	v_cmp_gt_u32_e64 s[10:11], s3, v20
	v_cmp_gt_u32_e64 s[12:13], s3, v21
	v_cndmask_b32_e64 v22, 0, v22, s[8:9]
	v_add_u16_e32 v22, v22, v19
	v_cndmask_b32_e64 v22, 0, v22, s[10:11]
	v_add_u16_e32 v22, v22, v20
	v_cndmask_b32_e64 v22, 0, v22, s[12:13]
	v_add_u16_e32 v22, v22, v21
	;; [unrolled: 9-line block ×5, first 2 shown]
	v_cmp_gt_u32_e64 s[34:35], s3, v11
	v_cmp_gt_u32_e64 s[36:37], s3, v12
	v_or3_b32 v23, v32, v17, v16
	v_cndmask_b32_e64 v22, 0, v22, s[34:35]
	v_add_u16_e32 v22, v22, v11
	v_cndmask_b32_e64 v22, 0, v22, s[36:37]
	v_add_u16_e32 v22, v22, v12
	v_cmp_gt_u32_e64 s[38:39], s3, v13
	v_or3_b32 v23, v23, v15, v14
	v_or3_b32 v23, v23, v13, v12
	v_cndmask_b32_e64 v22, 0, v22, s[38:39]
	v_add_u16_e32 v22, v22, v13
	v_cmp_gt_u32_e64 s[40:41], s3, v14
	v_or3_b32 v23, v23, v11, v10
	v_or3_b32 v23, v23, v9, v8
	;; [unrolled: 5-line block ×5, first 2 shown]
	v_cndmask_b32_e64 v22, 0, v22, s[46:47]
	v_add_u16_e32 v22, v22, v17
	v_cmp_gt_u32_e64 s[48:49], s3, v32
	v_and_b32_e32 v23, 0x10000, v23
	v_lshrrev_b32_e32 v34, 16, v1
	v_cndmask_b32_e64 v24, 0, v22, s[48:49]
	v_cmp_eq_u32_e32 vcc, 0, v23
	v_add_u16_e32 v22, v24, v32
	v_mbcnt_hi_u32_b32 v25, -1, v33
	v_cndmask_b32_e32 v23, 1, v34, vcc
	v_add_u16_e32 v24, v24, v32
	v_and_b32_e32 v27, 15, v25
	v_lshl_or_b32 v24, v23, 16, v24
	v_cmp_ne_u32_e32 vcc, 0, v27
	s_nop 0
	v_mov_b32_dpp v26, v24 row_shr:1 row_mask:0xf bank_mask:0xf
	s_and_saveexec_b64 s[50:51], vcc
	s_cbranch_execz .LBB1354_141
; %bb.140:
	v_cmp_eq_u32_e32 vcc, 0, v23
	v_and_b32_e32 v23, 1, v23
	v_mov_b32_e32 v29, 1
	v_cndmask_b32_e32 v24, 0, v26, vcc
	v_and_b32_sdwa v26, v26, v29 dst_sel:DWORD dst_unused:UNUSED_PAD src0_sel:WORD_1 src1_sel:DWORD
	v_cmp_eq_u32_e32 vcc, 1, v23
	v_add_u16_e32 v28, v24, v22
	v_add_u16_e32 v22, v24, v22
	v_cndmask_b32_e64 v23, v26, 1, vcc
	v_lshlrev_b32_e32 v26, 16, v23
	v_or_b32_e32 v24, v26, v22
	v_mov_b32_e32 v22, v28
.LBB1354_141:
	s_or_b64 exec, exec, s[50:51]
	v_lshrrev_b32_e32 v26, 16, v24
	v_mov_b32_dpp v28, v24 row_shr:2 row_mask:0xf bank_mask:0xf
	v_cmp_lt_u32_e32 vcc, 1, v27
	s_and_saveexec_b64 s[50:51], vcc
	s_cbranch_execz .LBB1354_143
; %bb.142:
	v_cmp_gt_u32_e32 vcc, s3, v24
	v_and_b32_e32 v23, 0x10000, v24
	v_mov_b32_e32 v24, 1
	v_cndmask_b32_e32 v26, 0, v28, vcc
	v_and_b32_sdwa v24, v28, v24 dst_sel:DWORD dst_unused:UNUSED_PAD src0_sel:WORD_1 src1_sel:DWORD
	v_cmp_ne_u32_e32 vcc, 0, v23
	v_add_u16_e32 v29, v26, v22
	v_add_u16_e32 v22, v26, v22
	v_cndmask_b32_e64 v23, v24, 1, vcc
	v_lshlrev_b32_e32 v24, 16, v23
	v_or_b32_e32 v24, v24, v22
	v_mov_b32_e32 v26, v23
	v_mov_b32_e32 v22, v29
.LBB1354_143:
	s_or_b64 exec, exec, s[50:51]
	v_mov_b32_dpp v28, v24 row_shr:4 row_mask:0xf bank_mask:0xf
	v_cmp_lt_u32_e32 vcc, 3, v27
	s_and_saveexec_b64 s[50:51], vcc
	s_cbranch_execz .LBB1354_145
; %bb.144:
	v_mov_b32_e32 v23, 0
	v_cmp_eq_u16_sdwa vcc, v26, v23 src0_sel:BYTE_0 src1_sel:DWORD
	v_and_b32_e32 v23, 1, v26
	v_mov_b32_e32 v26, 1
	v_cndmask_b32_e32 v24, 0, v28, vcc
	v_and_b32_sdwa v26, v28, v26 dst_sel:DWORD dst_unused:UNUSED_PAD src0_sel:WORD_1 src1_sel:DWORD
	v_cmp_eq_u32_e32 vcc, 1, v23
	v_add_u16_e32 v29, v24, v22
	v_add_u16_e32 v22, v24, v22
	v_cndmask_b32_e64 v23, v26, 1, vcc
	v_lshlrev_b32_e32 v26, 16, v23
	v_or_b32_e32 v24, v26, v22
	v_mov_b32_e32 v26, v23
	v_mov_b32_e32 v22, v29
.LBB1354_145:
	s_or_b64 exec, exec, s[50:51]
	v_mov_b32_dpp v28, v24 row_shr:8 row_mask:0xf bank_mask:0xf
	v_cmp_lt_u32_e32 vcc, 7, v27
	s_and_saveexec_b64 s[50:51], vcc
	s_cbranch_execz .LBB1354_147
; %bb.146:
	v_mov_b32_e32 v23, 0
	v_cmp_eq_u16_sdwa vcc, v26, v23 src0_sel:BYTE_0 src1_sel:DWORD
	v_and_b32_e32 v23, 1, v26
	v_mov_b32_e32 v26, 1
	v_cndmask_b32_e32 v24, 0, v28, vcc
	v_and_b32_sdwa v26, v28, v26 dst_sel:DWORD dst_unused:UNUSED_PAD src0_sel:WORD_1 src1_sel:DWORD
	v_cmp_eq_u32_e32 vcc, 1, v23
	v_add_u16_e32 v27, v24, v22
	v_add_u16_e32 v22, v24, v22
	v_cndmask_b32_e64 v23, v26, 1, vcc
	v_lshlrev_b32_e32 v26, 16, v23
	v_or_b32_e32 v24, v26, v22
	v_mov_b32_e32 v26, v23
	v_mov_b32_e32 v22, v27
.LBB1354_147:
	s_or_b64 exec, exec, s[50:51]
	v_and_b32_e32 v28, 16, v25
	v_mov_b32_dpp v27, v24 row_bcast:15 row_mask:0xf bank_mask:0xf
	v_cmp_ne_u32_e32 vcc, 0, v28
	s_and_saveexec_b64 s[50:51], vcc
	s_cbranch_execz .LBB1354_149
; %bb.148:
	v_mov_b32_e32 v23, 0
	v_cmp_eq_u16_sdwa vcc, v26, v23 src0_sel:BYTE_0 src1_sel:DWORD
	v_and_b32_e32 v23, 1, v26
	v_mov_b32_e32 v26, 1
	v_cndmask_b32_e32 v24, 0, v27, vcc
	v_and_b32_sdwa v26, v27, v26 dst_sel:DWORD dst_unused:UNUSED_PAD src0_sel:WORD_1 src1_sel:DWORD
	v_cmp_eq_u32_e32 vcc, 1, v23
	v_add_u16_e32 v28, v24, v22
	v_add_u16_e32 v22, v24, v22
	v_cndmask_b32_e64 v23, v26, 1, vcc
	v_lshlrev_b32_e32 v26, 16, v23
	v_or_b32_e32 v24, v26, v22
	v_mov_b32_e32 v22, v28
	v_mov_b32_e32 v26, v23
.LBB1354_149:
	s_or_b64 exec, exec, s[50:51]
	v_mov_b32_dpp v24, v24 row_bcast:31 row_mask:0xf bank_mask:0xf
	v_cmp_lt_u32_e32 vcc, 31, v25
	s_and_saveexec_b64 s[50:51], vcc
; %bb.150:
	v_mov_b32_e32 v23, 0
	v_cmp_eq_u16_sdwa vcc, v26, v23 src0_sel:BYTE_0 src1_sel:DWORD
	s_nop 1
	v_cndmask_b32_e32 v23, 0, v24, vcc
	v_add_u16_e32 v22, v23, v22
	v_and_b32_e32 v23, 1, v26
	v_mov_b32_e32 v26, 1
	v_and_b32_sdwa v24, v24, v26 dst_sel:DWORD dst_unused:UNUSED_PAD src0_sel:WORD_1 src1_sel:DWORD
	v_cmp_eq_u32_e32 vcc, 1, v23
	s_nop 1
	v_cndmask_b32_e64 v23, v24, 1, vcc
; %bb.151:
	s_or_b64 exec, exec, s[50:51]
	v_or_b32_e32 v26, 63, v0
	v_lshrrev_b32_e32 v24, 6, v0
	v_cmp_eq_u32_e32 vcc, v26, v0
	s_and_saveexec_b64 s[50:51], vcc
	s_cbranch_execz .LBB1354_153
; %bb.152:
	v_lshlrev_b32_e32 v26, 2, v24
	ds_write_b16 v26, v22
	ds_write_b8 v26, v23 offset:2
.LBB1354_153:
	s_or_b64 exec, exec, s[50:51]
	v_cmp_gt_u32_e32 vcc, 4, v0
	s_waitcnt lgkmcnt(0)
	s_barrier
	s_and_saveexec_b64 s[50:51], vcc
	s_cbranch_execz .LBB1354_159
; %bb.154:
	v_lshlrev_b32_e32 v26, 2, v0
	ds_read_b32 v27, v26
	v_and_b32_e32 v30, 3, v25
	v_cmp_ne_u32_e32 vcc, 0, v30
	s_waitcnt lgkmcnt(0)
	v_lshrrev_b32_e32 v29, 16, v27
	v_mov_b32_dpp v31, v27 row_shr:1 row_mask:0xf bank_mask:0xf
	v_mov_b32_e32 v28, v27
	s_and_saveexec_b64 s[54:55], vcc
	s_cbranch_execz .LBB1354_156
; %bb.155:
	v_mov_b32_e32 v28, 0
	v_cmp_eq_u16_sdwa vcc, v29, v28 src0_sel:BYTE_0 src1_sel:DWORD
	v_and_b32_e32 v29, 0x10000, v27
	v_mov_b32_e32 v37, 1
	v_cndmask_b32_e32 v36, 0, v31, vcc
	v_and_b32_sdwa v31, v31, v37 dst_sel:DWORD dst_unused:UNUSED_PAD src0_sel:WORD_1 src1_sel:DWORD
	v_cmp_ne_u32_e32 vcc, 0, v29
	v_and_b32_e32 v35, 0xff000000, v27
	v_add_u16_e32 v28, v36, v27
	v_cndmask_b32_e64 v29, v31, 1, vcc
	v_lshlrev_b32_e32 v31, 16, v29
	v_add_u16_e32 v27, v36, v27
	v_or3_b32 v27, v31, v35, v27
.LBB1354_156:
	s_or_b64 exec, exec, s[54:55]
	s_nop 0
	v_mov_b32_dpp v31, v27 row_shr:2 row_mask:0xf bank_mask:0xf
	v_cmp_lt_u32_e32 vcc, 1, v30
	s_and_saveexec_b64 s[54:55], vcc
; %bb.157:
	v_and_b32_e32 v29, 0xff0000, v27
	v_cmp_eq_u32_e32 vcc, 0, v29
	v_and_b32_e32 v27, 0x10000, v27
	s_nop 0
	v_cndmask_b32_e32 v29, 0, v31, vcc
	v_add_u16_e32 v28, v29, v28
	v_mov_b32_e32 v29, 1
	v_and_b32_sdwa v29, v31, v29 dst_sel:DWORD dst_unused:UNUSED_PAD src0_sel:WORD_1 src1_sel:DWORD
	v_cmp_eq_u32_e32 vcc, 0, v27
	s_nop 1
	v_cndmask_b32_e32 v29, 1, v29, vcc
; %bb.158:
	s_or_b64 exec, exec, s[54:55]
	ds_write_b16 v26, v28
	ds_write_b8 v26, v29 offset:2
.LBB1354_159:
	s_or_b64 exec, exec, s[50:51]
	v_cmp_gt_u32_e32 vcc, 64, v0
	v_cmp_lt_u32_e64 s[50:51], 63, v0
	v_mov_b32_e32 v35, 0
	v_mov_b32_e32 v36, 0
	s_waitcnt lgkmcnt(0)
	s_barrier
	s_and_saveexec_b64 s[54:55], s[50:51]
	s_cbranch_execz .LBB1354_161
; %bb.160:
	v_lshl_add_u32 v24, v24, 2, -4
	ds_read_u16 v35, v24
	ds_read_u8 v36, v24 offset:2
	v_mov_b32_e32 v26, 0
	v_and_b32_e32 v27, 1, v23
	v_cmp_eq_u16_sdwa s[50:51], v23, v26 src0_sel:BYTE_0 src1_sel:DWORD
	s_waitcnt lgkmcnt(1)
	s_nop 0
	v_cndmask_b32_e64 v23, 0, v35, s[50:51]
	v_cmp_eq_u32_e64 s[50:51], 1, v27
	v_add_u16_e32 v22, v23, v22
	s_waitcnt lgkmcnt(0)
	v_cndmask_b32_e64 v23, v36, 1, s[50:51]
.LBB1354_161:
	s_or_b64 exec, exec, s[54:55]
	v_and_b32_e32 v23, 0xff, v23
	v_and_b32_e32 v22, 0xffff, v22
	v_lshl_or_b32 v22, v23, 16, v22
	v_add_u32_e32 v23, -1, v25
	v_and_b32_e32 v24, 64, v25
	v_cmp_lt_i32_e64 s[50:51], v23, v24
	s_nop 1
	v_cndmask_b32_e64 v23, v23, v25, s[50:51]
	v_lshlrev_b32_e32 v23, 2, v23
	ds_bpermute_b32 v37, v23, v22
	v_cmp_eq_u32_e64 s[50:51], 0, v25
	s_and_saveexec_b64 s[54:55], vcc
	s_cbranch_execz .LBB1354_204
; %bb.162:
	v_mov_b32_e32 v29, 0
	ds_read_b32 v22, v29 offset:12
	s_and_saveexec_b64 s[60:61], s[50:51]
	s_cbranch_execz .LBB1354_164
; %bb.163:
	s_add_i32 s64, s2, 64
	s_mov_b32 s65, 0
	s_lshl_b64 s[64:65], s[64:65], 3
	s_add_u32 s64, s68, s64
	v_mov_b32_e32 v23, 1
	s_addc_u32 s65, s69, s65
	s_waitcnt lgkmcnt(0)
	global_store_dwordx2 v29, v[22:23], s[64:65] sc1
.LBB1354_164:
	s_or_b64 exec, exec, s[60:61]
	v_xad_u32 v24, v25, -1, s2
	v_add_u32_e32 v28, 64, v24
	v_lshl_add_u64 v[30:31], v[28:29], 3, s[68:69]
	global_load_dwordx2 v[26:27], v[30:31], off sc1
	s_waitcnt vmcnt(0)
	v_cmp_eq_u16_sdwa s[64:65], v27, v29 src0_sel:BYTE_0 src1_sel:DWORD
	s_and_saveexec_b64 s[60:61], s[64:65]
	s_cbranch_execz .LBB1354_168
; %bb.165:
	s_mov_b64 s[64:65], 0
	v_mov_b32_e32 v23, 0
.LBB1354_166:                           ; =>This Inner Loop Header: Depth=1
	global_load_dwordx2 v[26:27], v[30:31], off sc1
	s_waitcnt vmcnt(0)
	v_cmp_ne_u16_sdwa s[66:67], v27, v23 src0_sel:BYTE_0 src1_sel:DWORD
	s_or_b64 s[64:65], s[66:67], s[64:65]
	s_andn2_b64 exec, exec, s[64:65]
	s_cbranch_execnz .LBB1354_166
; %bb.167:
	s_or_b64 exec, exec, s[64:65]
.LBB1354_168:
	s_or_b64 exec, exec, s[60:61]
	v_mov_b32_e32 v23, 2
	v_cmp_eq_u16_sdwa s[60:61], v27, v23 src0_sel:BYTE_0 src1_sel:DWORD
	v_lshlrev_b64 v[28:29], v25, -1
	v_and_b32_e32 v49, 0xffffff, v26
	v_and_b32_e32 v23, s61, v29
	v_or_b32_e32 v23, 0x80000000, v23
	v_ffbl_b32_e32 v23, v23
	v_add_u32_e32 v31, 32, v23
	v_and_b32_e32 v23, 63, v25
	v_cmp_ne_u32_e32 vcc, 63, v23
	v_and_b32_e32 v30, s60, v28
	v_ffbl_b32_e32 v30, v30
	v_addc_co_u32_e32 v38, vcc, 0, v25, vcc
	v_lshlrev_b32_e32 v38, 2, v38
	ds_bpermute_b32 v39, v38, v49
	v_min_u32_e32 v31, v30, v31
	v_lshrrev_b32_e32 v30, 16, v26
	v_cmp_lt_u32_e32 vcc, v23, v31
	v_bfe_u32 v47, v26, 16, 8
	s_and_saveexec_b64 s[60:61], vcc
	s_cbranch_execz .LBB1354_170
; %bb.169:
	v_and_b32_e32 v30, 0xff0000, v26
	v_cmp_eq_u32_e32 vcc, 0, v30
	v_and_b32_e32 v30, 0x10000, v30
	v_mov_b32_e32 v42, 1
	s_waitcnt lgkmcnt(0)
	v_cndmask_b32_e32 v40, 0, v39, vcc
	v_and_b32_sdwa v39, v39, v42 dst_sel:DWORD dst_unused:UNUSED_PAD src0_sel:WORD_1 src1_sel:DWORD
	v_cmp_ne_u32_e32 vcc, 0, v30
	v_add_u16_e32 v41, v40, v26
	v_add_u16_e32 v26, v40, v26
	v_cndmask_b32_e64 v30, v39, 1, vcc
	v_lshlrev_b32_e32 v39, 16, v30
	v_or_b32_e32 v49, v39, v26
	v_mov_b32_e32 v26, v41
	v_mov_b32_e32 v47, v30
.LBB1354_170:
	s_or_b64 exec, exec, s[60:61]
	v_cmp_gt_u32_e32 vcc, 62, v23
	v_add_u32_e32 v40, 2, v23
	s_waitcnt lgkmcnt(0)
	v_cndmask_b32_e64 v39, 0, 1, vcc
	v_lshlrev_b32_e32 v39, 1, v39
	v_add_lshl_u32 v39, v39, v25, 2
	ds_bpermute_b32 v41, v39, v49
	v_cmp_le_u32_e32 vcc, v40, v31
	s_and_saveexec_b64 s[60:61], vcc
	s_cbranch_execz .LBB1354_172
; %bb.171:
	v_cmp_eq_u16_e32 vcc, 0, v47
	v_and_b32_e32 v30, 1, v47
	v_mov_b32_e32 v44, 1
	s_waitcnt lgkmcnt(0)
	v_cndmask_b32_e32 v42, 0, v41, vcc
	v_and_b32_sdwa v41, v41, v44 dst_sel:DWORD dst_unused:UNUSED_PAD src0_sel:WORD_1 src1_sel:DWORD
	v_cmp_eq_u32_e32 vcc, 1, v30
	v_add_u16_e32 v43, v42, v26
	v_add_u16_e32 v26, v42, v26
	v_cndmask_b32_e64 v30, v41, 1, vcc
	v_lshlrev_b32_e32 v41, 16, v30
	v_or_b32_e32 v49, v41, v26
	v_mov_b32_e32 v26, v43
	v_mov_b32_e32 v47, v30
.LBB1354_172:
	s_or_b64 exec, exec, s[60:61]
	v_cmp_gt_u32_e32 vcc, 60, v23
	v_add_u32_e32 v42, 4, v23
	s_waitcnt lgkmcnt(0)
	v_cndmask_b32_e64 v41, 0, 1, vcc
	v_lshlrev_b32_e32 v41, 2, v41
	v_add_lshl_u32 v41, v41, v25, 2
	ds_bpermute_b32 v43, v41, v49
	v_cmp_le_u32_e32 vcc, v42, v31
	s_and_saveexec_b64 s[60:61], vcc
	s_cbranch_execz .LBB1354_174
; %bb.173:
	v_cmp_eq_u16_e32 vcc, 0, v47
	v_and_b32_e32 v30, 1, v47
	v_mov_b32_e32 v46, 1
	s_waitcnt lgkmcnt(0)
	v_cndmask_b32_e32 v44, 0, v43, vcc
	v_and_b32_sdwa v43, v43, v46 dst_sel:DWORD dst_unused:UNUSED_PAD src0_sel:WORD_1 src1_sel:DWORD
	v_cmp_eq_u32_e32 vcc, 1, v30
	v_add_u16_e32 v45, v44, v26
	v_add_u16_e32 v26, v44, v26
	v_cndmask_b32_e64 v30, v43, 1, vcc
	v_lshlrev_b32_e32 v43, 16, v30
	v_or_b32_e32 v49, v43, v26
	v_mov_b32_e32 v26, v45
	v_mov_b32_e32 v47, v30
.LBB1354_174:
	;; [unrolled: 27-line block ×4, first 2 shown]
	s_or_b64 exec, exec, s[60:61]
	v_cmp_gt_u32_e32 vcc, 32, v23
	v_add_u32_e32 v52, 32, v23
	s_waitcnt lgkmcnt(0)
	v_cndmask_b32_e64 v48, 0, 1, vcc
	v_lshlrev_b32_e32 v48, 5, v48
	v_add_lshl_u32 v48, v48, v25, 2
	ds_bpermute_b32 v25, v48, v49
	v_cmp_le_u32_e32 vcc, v52, v31
	s_and_saveexec_b64 s[60:61], vcc
	s_cbranch_execz .LBB1354_180
; %bb.179:
	v_cmp_eq_u16_e32 vcc, 0, v47
	v_mov_b32_e32 v31, 1
	s_waitcnt lgkmcnt(0)
	v_cndmask_b32_e32 v30, 0, v25, vcc
	v_add_u16_e32 v26, v30, v26
	v_and_b32_e32 v30, 1, v47
	v_and_b32_sdwa v25, v25, v31 dst_sel:DWORD dst_unused:UNUSED_PAD src0_sel:WORD_1 src1_sel:DWORD
	v_cmp_eq_u32_e32 vcc, 1, v30
	s_nop 1
	v_cndmask_b32_e64 v30, v25, 1, vcc
.LBB1354_180:
	s_or_b64 exec, exec, s[60:61]
	s_waitcnt lgkmcnt(0)
	v_mov_b32_e32 v25, 0
	v_mov_b32_e32 v53, 2
	;; [unrolled: 1-line block ×3, first 2 shown]
	s_branch .LBB1354_182
.LBB1354_181:                           ;   in Loop: Header=BB1354_182 Depth=1
	s_or_b64 exec, exec, s[60:61]
	v_cmp_eq_u16_sdwa vcc, v47, v25 src0_sel:BYTE_0 src1_sel:DWORD
	v_and_b32_e32 v30, 1, v47
	v_and_b32_e32 v31, 1, v31
	v_cndmask_b32_e32 v26, 0, v26, vcc
	v_cmp_eq_u32_e32 vcc, 1, v30
	v_subrev_u32_e32 v24, 64, v24
	v_add_u16_e32 v26, v26, v49
	v_cndmask_b32_e64 v30, v31, 1, vcc
.LBB1354_182:                           ; =>This Loop Header: Depth=1
                                        ;     Child Loop BB1354_185 Depth 2
	v_cmp_ne_u16_sdwa s[60:61], v27, v53 src0_sel:BYTE_0 src1_sel:DWORD
	v_mov_b32_e32 v47, v30
	v_mov_b32_e32 v49, v26
	v_cndmask_b32_e64 v27, 0, 1, s[60:61]
	;;#ASMSTART
	;;#ASMEND
	s_nop 0
	v_cmp_ne_u32_e32 vcc, 0, v27
	s_cmp_lg_u64 vcc, exec
	s_cbranch_scc1 .LBB1354_199
; %bb.183:                              ;   in Loop: Header=BB1354_182 Depth=1
	v_lshl_add_u64 v[30:31], v[24:25], 3, s[68:69]
	global_load_dwordx2 v[26:27], v[30:31], off sc1
	s_waitcnt vmcnt(0)
	v_cmp_eq_u16_sdwa s[64:65], v27, v25 src0_sel:BYTE_0 src1_sel:DWORD
	s_and_saveexec_b64 s[60:61], s[64:65]
	s_cbranch_execz .LBB1354_187
; %bb.184:                              ;   in Loop: Header=BB1354_182 Depth=1
	s_mov_b64 s[64:65], 0
.LBB1354_185:                           ;   Parent Loop BB1354_182 Depth=1
                                        ; =>  This Inner Loop Header: Depth=2
	global_load_dwordx2 v[26:27], v[30:31], off sc1
	s_waitcnt vmcnt(0)
	v_cmp_ne_u16_sdwa s[66:67], v27, v25 src0_sel:BYTE_0 src1_sel:DWORD
	s_or_b64 s[64:65], s[66:67], s[64:65]
	s_andn2_b64 exec, exec, s[64:65]
	s_cbranch_execnz .LBB1354_185
; %bb.186:                              ;   in Loop: Header=BB1354_182 Depth=1
	s_or_b64 exec, exec, s[64:65]
.LBB1354_187:                           ;   in Loop: Header=BB1354_182 Depth=1
	s_or_b64 exec, exec, s[60:61]
	v_cmp_eq_u16_sdwa s[60:61], v27, v53 src0_sel:BYTE_0 src1_sel:DWORD
	s_waitcnt lgkmcnt(0)
	v_and_b32_e32 v56, 0xffffff, v26
	ds_bpermute_b32 v57, v38, v56
	v_and_b32_e32 v30, s61, v29
	v_or_b32_e32 v30, 0x80000000, v30
	v_and_b32_e32 v31, s60, v28
	v_ffbl_b32_e32 v30, v30
	v_add_u32_e32 v30, 32, v30
	v_ffbl_b32_e32 v31, v31
	v_min_u32_e32 v30, v31, v30
	v_lshrrev_b32_e32 v31, 16, v26
	v_cmp_lt_u32_e32 vcc, v23, v30
	v_bfe_u32 v55, v26, 16, 8
	s_and_saveexec_b64 s[60:61], vcc
	s_cbranch_execz .LBB1354_189
; %bb.188:                              ;   in Loop: Header=BB1354_182 Depth=1
	v_and_b32_e32 v31, 0xff0000, v26
	v_cmp_eq_u32_e32 vcc, 0, v31
	v_and_b32_e32 v31, 0x10000, v31
	s_waitcnt lgkmcnt(0)
	v_and_b32_sdwa v56, v57, v54 dst_sel:DWORD dst_unused:UNUSED_PAD src0_sel:WORD_1 src1_sel:DWORD
	v_cndmask_b32_e32 v55, 0, v57, vcc
	v_cmp_ne_u32_e32 vcc, 0, v31
	v_add_u16_e32 v58, v55, v26
	v_add_u16_e32 v26, v55, v26
	v_cndmask_b32_e64 v31, v56, 1, vcc
	v_lshlrev_b32_e32 v56, 16, v31
	v_or_b32_e32 v56, v56, v26
	v_mov_b32_e32 v26, v58
	v_mov_b32_e32 v55, v31
.LBB1354_189:                           ;   in Loop: Header=BB1354_182 Depth=1
	s_or_b64 exec, exec, s[60:61]
	s_waitcnt lgkmcnt(0)
	ds_bpermute_b32 v57, v39, v56
	v_cmp_le_u32_e32 vcc, v40, v30
	s_and_saveexec_b64 s[60:61], vcc
	s_cbranch_execz .LBB1354_191
; %bb.190:                              ;   in Loop: Header=BB1354_182 Depth=1
	v_cmp_eq_u16_e32 vcc, 0, v55
	v_and_b32_e32 v31, 1, v55
	s_waitcnt lgkmcnt(0)
	v_and_b32_sdwa v55, v57, v54 dst_sel:DWORD dst_unused:UNUSED_PAD src0_sel:WORD_1 src1_sel:DWORD
	v_cndmask_b32_e32 v56, 0, v57, vcc
	v_cmp_eq_u32_e32 vcc, 1, v31
	v_add_u16_e32 v58, v56, v26
	v_add_u16_e32 v26, v56, v26
	v_cndmask_b32_e64 v31, v55, 1, vcc
	v_lshlrev_b32_e32 v55, 16, v31
	v_or_b32_e32 v56, v55, v26
	v_mov_b32_e32 v26, v58
	v_mov_b32_e32 v55, v31
.LBB1354_191:                           ;   in Loop: Header=BB1354_182 Depth=1
	s_or_b64 exec, exec, s[60:61]
	s_waitcnt lgkmcnt(0)
	ds_bpermute_b32 v57, v41, v56
	v_cmp_le_u32_e32 vcc, v42, v30
	s_and_saveexec_b64 s[60:61], vcc
	s_cbranch_execz .LBB1354_193
; %bb.192:                              ;   in Loop: Header=BB1354_182 Depth=1
	v_cmp_eq_u16_e32 vcc, 0, v55
	v_and_b32_e32 v31, 1, v55
	s_waitcnt lgkmcnt(0)
	v_and_b32_sdwa v55, v57, v54 dst_sel:DWORD dst_unused:UNUSED_PAD src0_sel:WORD_1 src1_sel:DWORD
	v_cndmask_b32_e32 v56, 0, v57, vcc
	v_cmp_eq_u32_e32 vcc, 1, v31
	v_add_u16_e32 v58, v56, v26
	v_add_u16_e32 v26, v56, v26
	v_cndmask_b32_e64 v31, v55, 1, vcc
	v_lshlrev_b32_e32 v55, 16, v31
	v_or_b32_e32 v56, v55, v26
	v_mov_b32_e32 v26, v58
	v_mov_b32_e32 v55, v31
.LBB1354_193:                           ;   in Loop: Header=BB1354_182 Depth=1
	;; [unrolled: 21-line block ×4, first 2 shown]
	s_or_b64 exec, exec, s[60:61]
	ds_bpermute_b32 v56, v48, v56
	v_cmp_le_u32_e32 vcc, v52, v30
	s_and_saveexec_b64 s[60:61], vcc
	s_cbranch_execz .LBB1354_181
; %bb.198:                              ;   in Loop: Header=BB1354_182 Depth=1
	v_cmp_eq_u16_e32 vcc, 0, v55
	s_waitcnt lgkmcnt(0)
	v_lshrrev_b32_e32 v31, 16, v56
	v_cndmask_b32_e32 v30, 0, v56, vcc
	v_add_u16_e32 v26, v30, v26
	v_and_b32_e32 v30, 1, v55
	v_cmp_eq_u32_e32 vcc, 1, v30
	s_nop 1
	v_cndmask_b32_e64 v31, v31, 1, vcc
	s_branch .LBB1354_181
.LBB1354_199:                           ;   in Loop: Header=BB1354_182 Depth=1
                                        ; implicit-def: $vgpr30
                                        ; implicit-def: $vgpr26
	s_cbranch_execz .LBB1354_182
; %bb.200:
	s_and_saveexec_b64 s[60:61], s[50:51]
	s_cbranch_execz .LBB1354_202
; %bb.201:
	v_and_b32_e32 v23, 0xff0000, v22
	s_mov_b32 s3, 0
	v_cmp_eq_u32_e32 vcc, 0, v23
	v_and_b32_e32 v24, 0x10000, v22
	v_mov_b32_e32 v25, 1
	s_add_i32 s2, s2, 64
	v_cndmask_b32_e32 v23, 0, v49, vcc
	v_and_b32_sdwa v25, v47, v25 dst_sel:WORD_1 dst_unused:UNUSED_PAD src0_sel:DWORD src1_sel:DWORD
	v_mov_b32_e32 v26, 0x10000
	v_cmp_eq_u32_e32 vcc, 0, v24
	s_lshl_b64 s[2:3], s[2:3], 3
	s_add_u32 s2, s68, s2
	v_cndmask_b32_e32 v24, v26, v25, vcc
	v_add_u16_e32 v22, v23, v22
	s_addc_u32 s3, s69, s3
	v_mov_b32_e32 v25, 0
	v_or_b32_e32 v22, v24, v22
	v_mov_b32_e32 v23, 2
	global_store_dwordx2 v25, v[22:23], s[2:3] sc1
.LBB1354_202:
	s_or_b64 exec, exec, s[60:61]
	v_cmp_eq_u32_e32 vcc, 0, v0
	s_and_b64 exec, exec, vcc
	s_cbranch_execz .LBB1354_204
; %bb.203:
	v_mov_b32_e32 v22, 0
	ds_write_b16 v22, v49 offset:12
	ds_write_b8 v22, v47 offset:14
.LBB1354_204:
	s_or_b64 exec, exec, s[54:55]
	s_waitcnt lgkmcnt(0)
	v_lshrrev_b32_e32 v22, 16, v37
	v_mov_b32_e32 v24, 0
	s_mov_b32 s2, 0x10000
	v_cndmask_b32_e64 v22, v22, v36, s[50:51]
	v_cndmask_b32_e64 v23, v37, v35, s[50:51]
	s_barrier
	ds_read_b32 v25, v24 offset:12
	v_cmp_gt_u32_e32 vcc, s2, v1
	v_and_b32_e32 v26, 0x10000, v1
	v_and_b32_e32 v22, 1, v22
	v_cndmask_b32_e32 v23, 0, v23, vcc
	v_cmp_ne_u32_e32 vcc, 0, v26
	s_nop 1
	v_cndmask_b32_e64 v22, v22, 1, vcc
	v_cmp_eq_u32_e32 vcc, 0, v0
	s_nop 1
	v_cndmask_b32_e32 v22, v22, v34, vcc
	v_cndmask_b32_e64 v23, v23, 0, vcc
	v_cmp_eq_u16_sdwa vcc, v22, v24 src0_sel:BYTE_0 src1_sel:DWORD
	v_add_u16_e32 v23, v23, v1
	s_waitcnt lgkmcnt(0)
	v_cndmask_b32_e32 v22, 0, v25, vcc
	v_add_u16_e32 v47, v23, v22
	v_cndmask_b32_e64 v22, 0, v47, s[52:53]
	v_add_u16_e32 v22, v22, v50
	v_cndmask_b32_e64 v23, 0, v22, s[4:5]
	;; [unrolled: 2-line block ×23, first 2 shown]
	v_add_u16_e32 v46, v46, v32
	s_branch .LBB1354_235
.LBB1354_205:
                                        ; implicit-def: $vgpr47
                                        ; implicit-def: $vgpr22
                                        ; implicit-def: $vgpr23
                                        ; implicit-def: $vgpr24
                                        ; implicit-def: $vgpr25
                                        ; implicit-def: $vgpr26
                                        ; implicit-def: $vgpr27
                                        ; implicit-def: $vgpr29
                                        ; implicit-def: $vgpr28
                                        ; implicit-def: $vgpr30
                                        ; implicit-def: $vgpr31
                                        ; implicit-def: $vgpr34
                                        ; implicit-def: $vgpr35
                                        ; implicit-def: $vgpr36
                                        ; implicit-def: $vgpr37
                                        ; implicit-def: $vgpr39
                                        ; implicit-def: $vgpr38
                                        ; implicit-def: $vgpr40
                                        ; implicit-def: $vgpr41
                                        ; implicit-def: $vgpr42
                                        ; implicit-def: $vgpr43
                                        ; implicit-def: $vgpr44
                                        ; implicit-def: $vgpr45
                                        ; implicit-def: $vgpr46
	s_cbranch_execz .LBB1354_235
; %bb.206:
	s_cmp_lg_u64 s[74:75], 0
	s_cselect_b32 s5, s63, 0
	s_cselect_b32 s4, s62, 0
	s_cmp_lg_u64 s[4:5], 0
	s_cselect_b64 s[6:7], -1, 0
	v_cmp_eq_u32_e32 vcc, 0, v0
	v_cmp_ne_u32_e64 s[2:3], 0, v0
	s_and_b64 s[8:9], vcc, s[6:7]
	s_and_saveexec_b64 s[6:7], s[8:9]
	s_cbranch_execz .LBB1354_208
; %bb.207:
	v_mov_b32_e32 v22, 0
	global_load_ushort v23, v22, s[4:5]
	global_load_ubyte v24, v22, s[4:5] offset:2
	s_mov_b32 s4, 0x10000
	v_and_b32_e32 v22, 0x10000, v1
	v_mov_b32_e32 v25, 1
	v_cmp_gt_u32_e64 s[4:5], s4, v1
	v_mov_b32_e32 v26, 0x10000
	s_waitcnt vmcnt(0)
	v_and_b32_sdwa v24, v24, v25 dst_sel:WORD_1 dst_unused:UNUSED_PAD src0_sel:DWORD src1_sel:DWORD
	v_cndmask_b32_e64 v23, 0, v23, s[4:5]
	v_cmp_eq_u32_e64 s[4:5], 0, v22
	v_add_u16_e32 v1, v23, v1
	s_nop 0
	v_cndmask_b32_e64 v22, v26, v24, s[4:5]
	v_or_b32_e32 v1, v22, v1
.LBB1354_208:
	s_or_b64 exec, exec, s[6:7]
	s_mov_b32 s50, 0x10000
	v_cmp_gt_u32_e64 s[4:5], s50, v50
	v_cmp_gt_u32_e64 s[6:7], s50, v51
	;; [unrolled: 1-line block ×3, first 2 shown]
	v_cndmask_b32_e64 v22, 0, v1, s[4:5]
	v_add_u16_e32 v22, v22, v50
	v_cndmask_b32_e64 v23, 0, v22, s[6:7]
	v_add_u16_e32 v23, v23, v51
	;; [unrolled: 2-line block ×3, first 2 shown]
	v_cmp_gt_u32_e64 s[10:11], s50, v19
	v_cmp_gt_u32_e64 s[12:13], s50, v20
	v_bfe_u32 v28, v19, 16, 1
	v_cndmask_b32_e64 v25, 0, v24, s[10:11]
	v_add_u16_e32 v25, v25, v19
	v_mov_b32_e32 v52, 1
	v_cndmask_b32_e64 v26, 0, v25, s[12:13]
	v_lshlrev_b16_e32 v28, 1, v28
	v_and_b32_sdwa v29, v18, v52 dst_sel:DWORD dst_unused:UNUSED_PAD src0_sel:WORD_1 src1_sel:DWORD
	v_add_u16_e32 v26, v26, v20
	v_cmp_gt_u32_e64 s[14:15], s50, v21
	v_or_b32_e32 v28, v29, v28
	v_bfe_u32 v29, v21, 16, 1
	v_and_b32_sdwa v30, v20, v52 dst_sel:DWORD dst_unused:UNUSED_PAD src0_sel:WORD_1 src1_sel:DWORD
	v_cndmask_b32_e64 v27, 0, v26, s[14:15]
	v_lshlrev_b16_e32 v29, 3, v29
	v_lshlrev_b16_e32 v30, 2, v30
	v_add_u16_e32 v27, v27, v21
	v_or_b32_e32 v29, v29, v30
	v_cmp_gt_u32_e64 s[16:17], s50, v2
	v_or_b32_e32 v46, v28, v29
	v_cmp_gt_u32_e64 s[18:19], s50, v3
	v_cndmask_b32_e64 v28, 0, v27, s[16:17]
	v_add_u16_e32 v29, v28, v2
	v_cndmask_b32_e64 v28, 0, v29, s[18:19]
	v_bfe_u32 v48, v11, 16, 1
	v_add_u16_e32 v28, v28, v3
	v_cmp_gt_u32_e64 s[20:21], s50, v4
	v_lshlrev_b16_e32 v48, 1, v48
	v_and_b32_sdwa v49, v10, v52 dst_sel:DWORD dst_unused:UNUSED_PAD src0_sel:WORD_1 src1_sel:DWORD
	v_cndmask_b32_e64 v30, 0, v28, s[20:21]
	v_or_b32_e32 v48, v49, v48
	v_bfe_u32 v49, v13, 16, 1
	v_and_b32_sdwa v53, v12, v52 dst_sel:DWORD dst_unused:UNUSED_PAD src0_sel:WORD_1 src1_sel:DWORD
	v_add_u16_e32 v30, v30, v4
	v_cmp_gt_u32_e64 s[22:23], s50, v5
	v_lshlrev_b16_e32 v49, 3, v49
	v_lshlrev_b16_e32 v53, 2, v53
	v_cndmask_b32_e64 v31, 0, v30, s[22:23]
	v_or_b32_e32 v49, v49, v53
	v_add_u16_e32 v31, v31, v5
	v_cmp_gt_u32_e64 s[24:25], s50, v6
	v_or_b32_sdwa v48, v48, v49 dst_sel:BYTE_1 dst_unused:UNUSED_PAD src0_sel:DWORD src1_sel:DWORD
	v_bfe_u32 v49, v15, 16, 1
	v_cndmask_b32_e64 v34, 0, v31, s[24:25]
	v_lshlrev_b16_e32 v49, 1, v49
	v_and_b32_sdwa v53, v14, v52 dst_sel:DWORD dst_unused:UNUSED_PAD src0_sel:WORD_1 src1_sel:DWORD
	v_add_u16_e32 v34, v34, v6
	v_cmp_gt_u32_e64 s[26:27], s50, v7
	v_or_b32_e32 v49, v53, v49
	v_bfe_u32 v53, v17, 16, 1
	v_and_b32_sdwa v54, v16, v52 dst_sel:DWORD dst_unused:UNUSED_PAD src0_sel:WORD_1 src1_sel:DWORD
	v_cndmask_b32_e64 v35, 0, v34, s[26:27]
	v_lshlrev_b16_e32 v53, 3, v53
	v_lshlrev_b16_e32 v54, 2, v54
	v_add_u16_e32 v35, v35, v7
	v_cmp_gt_u32_e64 s[28:29], s50, v8
	v_or_b32_e32 v53, v53, v54
	v_or_b32_e32 v49, v49, v53
	v_cndmask_b32_e64 v36, 0, v35, s[28:29]
	v_add_u16_e32 v36, v36, v8
	v_cmp_gt_u32_e64 s[30:31], s50, v9
	v_lshlrev_b16_e32 v49, 12, v49
	v_or_b32_e32 v48, v49, v48
	v_cndmask_b32_e64 v37, 0, v36, s[30:31]
	v_bfe_u32 v49, v3, 16, 1
	v_add_u16_e32 v37, v37, v9
	v_cmp_gt_u32_e64 s[34:35], s50, v10
	v_lshlrev_b16_e32 v49, 1, v49
	v_and_b32_sdwa v53, v2, v52 dst_sel:DWORD dst_unused:UNUSED_PAD src0_sel:WORD_1 src1_sel:DWORD
	v_cndmask_b32_e64 v38, 0, v37, s[34:35]
	v_or_b32_e32 v49, v53, v49
	v_bfe_u32 v53, v5, 16, 1
	v_and_b32_sdwa v54, v4, v52 dst_sel:DWORD dst_unused:UNUSED_PAD src0_sel:WORD_1 src1_sel:DWORD
	v_add_u16_e32 v39, v38, v10
	v_cmp_gt_u32_e64 s[36:37], s50, v11
	v_lshlrev_b16_e32 v53, 3, v53
	v_lshlrev_b16_e32 v54, 2, v54
	v_cndmask_b32_e64 v38, 0, v39, s[36:37]
	v_or_b32_e32 v53, v53, v54
	v_add_u16_e32 v38, v38, v11
	v_cmp_gt_u32_e64 s[38:39], s50, v12
	v_or_b32_e32 v49, v49, v53
	v_bfe_u32 v53, v7, 16, 1
	v_cndmask_b32_e64 v40, 0, v38, s[38:39]
	v_lshlrev_b16_e32 v53, 1, v53
	v_and_b32_sdwa v54, v6, v52 dst_sel:DWORD dst_unused:UNUSED_PAD src0_sel:WORD_1 src1_sel:DWORD
	v_add_u16_e32 v40, v40, v12
	v_cmp_gt_u32_e64 s[40:41], s50, v13
	v_or_b32_e32 v53, v54, v53
	v_bfe_u32 v54, v9, 16, 1
	v_and_b32_sdwa v55, v8, v52 dst_sel:DWORD dst_unused:UNUSED_PAD src0_sel:WORD_1 src1_sel:DWORD
	v_cndmask_b32_e64 v41, 0, v40, s[40:41]
	v_lshlrev_b16_e32 v54, 3, v54
	v_lshlrev_b16_e32 v55, 2, v55
	v_add_u16_e32 v41, v41, v13
	v_cmp_gt_u32_e64 s[42:43], s50, v14
	v_or_b32_e32 v54, v54, v55
	v_or_b32_e32 v53, v53, v54
	v_cndmask_b32_e64 v42, 0, v41, s[42:43]
	v_add_u16_e32 v42, v42, v14
	v_cmp_gt_u32_e64 s[44:45], s50, v15
	v_lshlrev_b16_e32 v53, 4, v53
	v_or_b32_e32 v49, v49, v53
	v_cndmask_b32_e64 v43, 0, v42, s[44:45]
	v_add_u16_e32 v43, v43, v15
	v_cmp_gt_u32_e64 s[46:47], s50, v16
	v_or_b32_sdwa v49, v49, v48 dst_sel:DWORD dst_unused:UNUSED_PAD src0_sel:BYTE_0 src1_sel:DWORD
	v_or_b32_e32 v46, v49, v46
	v_cndmask_b32_e64 v44, 0, v43, s[46:47]
	v_add_u16_e32 v44, v44, v16
	v_cmp_gt_u32_e64 s[48:49], s50, v17
	v_cmp_ne_u16_e64 s[52:53], 0, v46
	v_or3_b32 v46, v51, v50, v32
	v_cndmask_b32_e64 v45, 0, v44, s[48:49]
	v_and_b32_e32 v46, 0x10000, v46
	v_add_u16_e32 v45, v45, v17
	v_cmp_gt_u32_e64 s[50:51], s50, v32
	v_cmp_ne_u32_e64 s[54:55], 0, v46
	v_lshrrev_b32_e32 v47, 16, v1
	v_cndmask_b32_e64 v53, 0, v45, s[50:51]
	s_or_b64 s[52:53], s[54:55], s[52:53]
	v_cndmask_b32_e64 v49, v47, 1, s[52:53]
	v_mbcnt_hi_u32_b32 v33, -1, v33
	v_add_u16_e32 v46, v53, v32
	v_add_u16_e32 v48, v53, v32
	v_and_b32_e32 v54, 15, v33
	v_lshl_or_b32 v53, v49, 16, v46
	v_cmp_ne_u32_e64 s[52:53], 0, v54
	s_nop 0
	v_mov_b32_dpp v55, v53 row_shr:1 row_mask:0xf bank_mask:0xf
	s_and_saveexec_b64 s[54:55], s[52:53]
; %bb.209:
	v_cmp_eq_u32_e64 s[52:53], 0, v49
	v_and_b32_e32 v49, 1, v49
	v_and_b32_sdwa v52, v55, v52 dst_sel:DWORD dst_unused:UNUSED_PAD src0_sel:WORD_1 src1_sel:DWORD
	v_cndmask_b32_e64 v53, 0, v55, s[52:53]
	v_cmp_eq_u32_e64 s[52:53], 1, v49
	v_add_u16_e32 v56, v48, v53
	v_add_u16_e32 v48, v48, v53
	v_cndmask_b32_e64 v49, v52, 1, s[52:53]
	v_lshlrev_b32_e32 v52, 16, v49
	v_or_b32_e32 v53, v52, v48
	v_mov_b32_e32 v48, v56
; %bb.210:
	s_or_b64 exec, exec, s[54:55]
	v_lshrrev_b32_e32 v52, 16, v53
	v_mov_b32_dpp v55, v53 row_shr:2 row_mask:0xf bank_mask:0xf
	v_cmp_lt_u32_e64 s[52:53], 1, v54
	s_and_saveexec_b64 s[54:55], s[52:53]
	s_cbranch_execz .LBB1354_212
; %bb.211:
	s_mov_b32 s52, 0x10000
	v_cmp_gt_u32_e64 s[52:53], s52, v53
	v_and_b32_e32 v49, 0x10000, v53
	v_mov_b32_e32 v53, 1
	v_cndmask_b32_e64 v52, 0, v55, s[52:53]
	v_and_b32_sdwa v53, v55, v53 dst_sel:DWORD dst_unused:UNUSED_PAD src0_sel:WORD_1 src1_sel:DWORD
	v_cmp_ne_u32_e64 s[52:53], 0, v49
	v_add_u16_e32 v56, v52, v48
	v_add_u16_e32 v48, v52, v48
	v_cndmask_b32_e64 v49, v53, 1, s[52:53]
	v_lshlrev_b32_e32 v53, 16, v49
	v_or_b32_e32 v53, v53, v48
	v_mov_b32_e32 v52, v49
	v_mov_b32_e32 v48, v56
.LBB1354_212:
	s_or_b64 exec, exec, s[54:55]
	v_mov_b32_dpp v55, v53 row_shr:4 row_mask:0xf bank_mask:0xf
	v_cmp_lt_u32_e64 s[52:53], 3, v54
	s_and_saveexec_b64 s[54:55], s[52:53]
	s_cbranch_execz .LBB1354_214
; %bb.213:
	v_mov_b32_e32 v49, 0
	v_cmp_eq_u16_sdwa s[52:53], v52, v49 src0_sel:BYTE_0 src1_sel:DWORD
	v_and_b32_e32 v49, 1, v52
	v_mov_b32_e32 v52, 1
	v_cndmask_b32_e64 v53, 0, v55, s[52:53]
	v_and_b32_sdwa v52, v55, v52 dst_sel:DWORD dst_unused:UNUSED_PAD src0_sel:WORD_1 src1_sel:DWORD
	v_cmp_eq_u32_e64 s[52:53], 1, v49
	v_add_u16_e32 v56, v53, v48
	v_add_u16_e32 v48, v53, v48
	v_cndmask_b32_e64 v49, v52, 1, s[52:53]
	v_lshlrev_b32_e32 v52, 16, v49
	v_or_b32_e32 v53, v52, v48
	v_mov_b32_e32 v52, v49
	v_mov_b32_e32 v48, v56
.LBB1354_214:
	s_or_b64 exec, exec, s[54:55]
	v_mov_b32_dpp v55, v53 row_shr:8 row_mask:0xf bank_mask:0xf
	v_cmp_lt_u32_e64 s[52:53], 7, v54
	s_and_saveexec_b64 s[54:55], s[52:53]
	s_cbranch_execz .LBB1354_216
; %bb.215:
	v_mov_b32_e32 v49, 0
	v_cmp_eq_u16_sdwa s[52:53], v52, v49 src0_sel:BYTE_0 src1_sel:DWORD
	v_and_b32_e32 v49, 1, v52
	v_mov_b32_e32 v52, 1
	v_cndmask_b32_e64 v53, 0, v55, s[52:53]
	v_and_b32_sdwa v52, v55, v52 dst_sel:DWORD dst_unused:UNUSED_PAD src0_sel:WORD_1 src1_sel:DWORD
	v_cmp_eq_u32_e64 s[52:53], 1, v49
	v_add_u16_e32 v54, v53, v48
	v_add_u16_e32 v48, v53, v48
	v_cndmask_b32_e64 v49, v52, 1, s[52:53]
	v_lshlrev_b32_e32 v52, 16, v49
	v_or_b32_e32 v53, v52, v48
	v_mov_b32_e32 v52, v49
	v_mov_b32_e32 v48, v54
.LBB1354_216:
	s_or_b64 exec, exec, s[54:55]
	v_and_b32_e32 v55, 16, v33
	v_mov_b32_dpp v54, v53 row_bcast:15 row_mask:0xf bank_mask:0xf
	v_cmp_ne_u32_e64 s[52:53], 0, v55
	s_and_saveexec_b64 s[54:55], s[52:53]
	s_cbranch_execz .LBB1354_218
; %bb.217:
	v_mov_b32_e32 v49, 0
	v_cmp_eq_u16_sdwa s[52:53], v52, v49 src0_sel:BYTE_0 src1_sel:DWORD
	v_and_b32_e32 v49, 1, v52
	v_mov_b32_e32 v52, 1
	v_cndmask_b32_e64 v53, 0, v54, s[52:53]
	v_and_b32_sdwa v52, v54, v52 dst_sel:DWORD dst_unused:UNUSED_PAD src0_sel:WORD_1 src1_sel:DWORD
	v_cmp_eq_u32_e64 s[52:53], 1, v49
	v_add_u16_e32 v55, v53, v48
	v_add_u16_e32 v48, v53, v48
	v_cndmask_b32_e64 v49, v52, 1, s[52:53]
	v_lshlrev_b32_e32 v52, 16, v49
	v_or_b32_e32 v53, v52, v48
	v_mov_b32_e32 v48, v55
	v_mov_b32_e32 v52, v49
.LBB1354_218:
	s_or_b64 exec, exec, s[54:55]
	v_mov_b32_dpp v53, v53 row_bcast:31 row_mask:0xf bank_mask:0xf
	v_cmp_lt_u32_e64 s[52:53], 31, v33
	s_and_saveexec_b64 s[54:55], s[52:53]
; %bb.219:
	v_mov_b32_e32 v49, 0
	v_cmp_eq_u16_sdwa s[52:53], v52, v49 src0_sel:BYTE_0 src1_sel:DWORD
	s_nop 1
	v_cndmask_b32_e64 v49, 0, v53, s[52:53]
	v_add_u16_e32 v48, v49, v48
	v_and_b32_e32 v49, 1, v52
	v_mov_b32_e32 v52, 1
	v_and_b32_sdwa v52, v53, v52 dst_sel:DWORD dst_unused:UNUSED_PAD src0_sel:WORD_1 src1_sel:DWORD
	v_cmp_eq_u32_e64 s[52:53], 1, v49
	s_nop 1
	v_cndmask_b32_e64 v49, v52, 1, s[52:53]
; %bb.220:
	s_or_b64 exec, exec, s[54:55]
	v_or_b32_e32 v53, 63, v0
	v_lshrrev_b32_e32 v52, 6, v0
	v_cmp_eq_u32_e64 s[52:53], v53, v0
	s_and_saveexec_b64 s[54:55], s[52:53]
	s_cbranch_execz .LBB1354_222
; %bb.221:
	v_lshlrev_b32_e32 v53, 2, v52
	ds_write_b16 v53, v48
	ds_write_b8 v53, v49 offset:2
.LBB1354_222:
	s_or_b64 exec, exec, s[54:55]
	v_cmp_gt_u32_e64 s[52:53], 4, v0
	s_waitcnt lgkmcnt(0)
	s_barrier
	s_and_saveexec_b64 s[54:55], s[52:53]
	s_cbranch_execz .LBB1354_228
; %bb.223:
	v_lshlrev_b32_e32 v53, 2, v0
	ds_read_b32 v54, v53
	v_and_b32_e32 v57, 3, v33
	v_cmp_ne_u32_e64 s[52:53], 0, v57
	s_waitcnt lgkmcnt(0)
	v_lshrrev_b32_e32 v56, 16, v54
	v_mov_b32_dpp v58, v54 row_shr:1 row_mask:0xf bank_mask:0xf
	v_mov_b32_e32 v55, v54
	s_and_saveexec_b64 s[60:61], s[52:53]
	s_cbranch_execz .LBB1354_225
; %bb.224:
	v_mov_b32_e32 v55, 0
	v_cmp_eq_u16_sdwa s[52:53], v56, v55 src0_sel:BYTE_0 src1_sel:DWORD
	v_and_b32_e32 v56, 0x10000, v54
	v_mov_b32_e32 v61, 1
	v_cndmask_b32_e64 v60, 0, v58, s[52:53]
	v_and_b32_sdwa v58, v58, v61 dst_sel:DWORD dst_unused:UNUSED_PAD src0_sel:WORD_1 src1_sel:DWORD
	v_cmp_ne_u32_e64 s[52:53], 0, v56
	v_and_b32_e32 v59, 0xff000000, v54
	v_add_u16_e32 v55, v60, v54
	v_cndmask_b32_e64 v56, v58, 1, s[52:53]
	v_lshlrev_b32_e32 v58, 16, v56
	v_add_u16_e32 v54, v60, v54
	v_or3_b32 v54, v58, v59, v54
.LBB1354_225:
	s_or_b64 exec, exec, s[60:61]
	s_nop 0
	v_mov_b32_dpp v58, v54 row_shr:2 row_mask:0xf bank_mask:0xf
	v_cmp_lt_u32_e64 s[52:53], 1, v57
	s_and_saveexec_b64 s[60:61], s[52:53]
; %bb.226:
	v_and_b32_e32 v56, 0xff0000, v54
	v_cmp_eq_u32_e64 s[52:53], 0, v56
	v_and_b32_e32 v54, 0x10000, v54
	s_nop 0
	v_cndmask_b32_e64 v56, 0, v58, s[52:53]
	v_add_u16_e32 v55, v56, v55
	v_mov_b32_e32 v56, 1
	v_and_b32_sdwa v56, v58, v56 dst_sel:DWORD dst_unused:UNUSED_PAD src0_sel:WORD_1 src1_sel:DWORD
	v_cmp_eq_u32_e64 s[52:53], 0, v54
	s_nop 1
	v_cndmask_b32_e64 v56, 1, v56, s[52:53]
; %bb.227:
	s_or_b64 exec, exec, s[60:61]
	ds_write_b16 v53, v55
	ds_write_b8 v53, v56 offset:2
.LBB1354_228:
	s_or_b64 exec, exec, s[54:55]
	v_cmp_lt_u32_e64 s[52:53], 63, v0
	v_mov_b32_e32 v53, 0
	s_waitcnt lgkmcnt(0)
	s_barrier
	s_and_saveexec_b64 s[54:55], s[52:53]
	s_cbranch_execz .LBB1354_230
; %bb.229:
	v_lshl_add_u32 v52, v52, 2, -4
	ds_read_u16 v53, v52
	ds_read_u8 v52, v52 offset:2
	v_mov_b32_e32 v54, 0
	v_and_b32_e32 v55, 1, v49
	v_cmp_eq_u16_sdwa s[52:53], v49, v54 src0_sel:BYTE_0 src1_sel:DWORD
	s_waitcnt lgkmcnt(1)
	s_nop 0
	v_cndmask_b32_e64 v49, 0, v53, s[52:53]
	v_cmp_eq_u32_e64 s[52:53], 1, v55
	v_add_u16_e32 v48, v49, v48
	s_waitcnt lgkmcnt(0)
	v_cndmask_b32_e64 v49, v52, 1, s[52:53]
.LBB1354_230:
	s_or_b64 exec, exec, s[54:55]
	v_and_b32_e32 v49, 0xff, v49
	v_and_b32_e32 v48, 0xffff, v48
	v_lshl_or_b32 v48, v49, 16, v48
	v_add_u32_e32 v49, -1, v33
	v_and_b32_e32 v52, 64, v33
	v_cmp_lt_i32_e64 s[52:53], v49, v52
	s_nop 1
	v_cndmask_b32_e64 v49, v49, v33, s[52:53]
	v_lshlrev_b32_e32 v49, 2, v49
	ds_bpermute_b32 v48, v49, v48
	s_and_saveexec_b64 s[52:53], s[2:3]
	s_cbranch_execz .LBB1354_232
; %bb.231:
	v_cmp_eq_u32_e64 s[2:3], 0, v33
	v_and_b32_e32 v23, 0xff0000, v1
	v_mov_b32_e32 v47, 0
	s_waitcnt lgkmcnt(0)
	v_cndmask_b32_e64 v22, v48, v53, s[2:3]
	v_and_b32_e32 v22, 0xffff, v22
	v_cmp_eq_u32_e64 s[2:3], 0, v23
	;;#ASMSTART
	;;#ASMEND
	s_nop 1
	v_cndmask_b32_e64 v22, 0, v22, s[2:3]
	v_add_u32_e32 v1, v22, v1
	v_cndmask_b32_e64 v22, 0, v1, s[4:5]
	v_add_u16_e32 v22, v22, v50
	v_cndmask_b32_e64 v23, 0, v22, s[6:7]
	v_add_u16_e32 v23, v23, v51
	;; [unrolled: 2-line block ×23, first 2 shown]
.LBB1354_232:
	s_or_b64 exec, exec, s[52:53]
	s_and_saveexec_b64 s[2:3], vcc
	s_cbranch_execz .LBB1354_234
; %bb.233:
	v_mov_b32_e32 v4, 0
	ds_read_u8 v2, v4 offset:14
	ds_read_u16 v3, v4 offset:12
	s_waitcnt lgkmcnt(1)
	v_lshlrev_b32_e32 v2, 16, v2
	s_waitcnt lgkmcnt(0)
	v_or_b32_e32 v2, v2, v3
	v_mov_b32_e32 v3, 2
	global_store_dwordx2 v4, v[2:3], s[68:69] offset:512 sc1
.LBB1354_234:
	s_or_b64 exec, exec, s[2:3]
	v_lshl_or_b32 v47, v47, 16, v1
.LBB1354_235:
	s_add_u32 s2, s58, s72
	s_addc_u32 s3, s59, s73
	s_add_u32 s2, s2, s56
	s_addc_u32 s3, s3, s57
	s_and_b64 vcc, exec, s[0:1]
	v_mul_u32_u24_e32 v6, 24, v0
	s_cbranch_vccz .LBB1354_285
; %bb.236:
	s_add_i32 s33, s33, s70
	v_cmp_le_u32_e32 vcc, s33, v6
	v_or_b32_e32 v8, 1, v6
	v_or_b32_e32 v7, 2, v6
	;; [unrolled: 1-line block ×7, first 2 shown]
	s_and_saveexec_b64 s[0:1], vcc
	s_xor_b64 s[0:1], exec, s[0:1]
; %bb.237:
	v_or_b32_e32 v8, 1, v6
	v_or_b32_e32 v7, 2, v6
	;; [unrolled: 1-line block ×7, first 2 shown]
; %bb.238:
	s_andn2_saveexec_b64 s[0:1], s[0:1]
	s_or_b64 exec, exec, s[0:1]
	v_lshlrev_b32_e32 v50, 1, v6
	v_lshlrev_b32_e32 v8, 1, v8
	v_lshlrev_b32_e32 v7, 1, v7
	v_lshlrev_b32_e32 v5, 1, v5
	v_lshlrev_b32_e32 v4, 1, v4
	v_lshlrev_b32_e32 v3, 1, v3
	v_lshlrev_b32_e32 v2, 1, v2
	s_mov_b32 s0, 0x5040100
	s_waitcnt lgkmcnt(0)
	s_barrier
	ds_write_b16 v50, v47
	ds_write_b16 v8, v22
	;; [unrolled: 1-line block ×7, first 2 shown]
	v_lshlrev_b32_e32 v1, 1, v1
	v_perm_b32 v5, v39, v37, s0
	v_perm_b32 v4, v36, v35, s0
	;; [unrolled: 1-line block ×4, first 2 shown]
	ds_write_b16 v1, v29
	ds_write_b128 v50, v[2:5] offset:16
	v_perm_b32 v5, v46, v45, s0
	v_perm_b32 v4, v44, v43, s0
	;; [unrolled: 1-line block ×4, first 2 shown]
	s_movk_i32 s0, 0xffd2
	ds_write_b128 v50, v[2:5] offset:32
	v_mad_i32_i24 v2, v0, s0, v50
	s_waitcnt lgkmcnt(0)
	s_barrier
	ds_read_u16 v53, v2 offset:512
	ds_read_u16 v52, v2 offset:1024
	;; [unrolled: 1-line block ×23, first 2 shown]
	v_mov_b32_e32 v3, 0
	v_lshlrev_b32_e32 v2, 1, v0
	v_lshl_add_u64 v[4:5], s[2:3], 0, v[2:3]
	v_cmp_gt_u32_e32 vcc, s33, v0
	s_and_saveexec_b64 s[0:1], vcc
	s_cbranch_execz .LBB1354_240
; %bb.239:
	v_mul_i32_i24_e32 v2, 0xffffffd2, v0
	v_add_u32_e32 v2, v50, v2
	ds_read_u16 v2, v2
	s_waitcnt lgkmcnt(0)
	flat_store_short v[4:5], v2
.LBB1354_240:
	s_or_b64 exec, exec, s[0:1]
	v_or_b32_e32 v2, 0x100, v0
	v_cmp_gt_u32_e32 vcc, s33, v2
	s_and_saveexec_b64 s[0:1], vcc
	s_cbranch_execz .LBB1354_242
; %bb.241:
	s_waitcnt lgkmcnt(0)
	flat_store_short v[4:5], v53 offset:512
.LBB1354_242:
	s_or_b64 exec, exec, s[0:1]
	v_or_b32_e32 v2, 0x200, v0
	v_cmp_gt_u32_e32 vcc, s33, v2
	s_and_saveexec_b64 s[0:1], vcc
	s_cbranch_execz .LBB1354_244
; %bb.243:
	s_waitcnt lgkmcnt(0)
	flat_store_short v[4:5], v52 offset:1024
.LBB1354_244:
	;; [unrolled: 9-line block ×7, first 2 shown]
	s_or_b64 exec, exec, s[0:1]
	v_or_b32_e32 v2, 0x800, v0
	v_cmp_gt_u32_e32 vcc, s33, v2
	s_and_saveexec_b64 s[0:1], vcc
	s_cbranch_execz .LBB1354_256
; %bb.255:
	s_waitcnt lgkmcnt(0)
	v_add_co_u32_e32 v32, vcc, 0x1000, v4
	s_nop 1
	v_addc_co_u32_e32 v33, vcc, 0, v5, vcc
	flat_store_short v[32:33], v21
.LBB1354_256:
	s_or_b64 exec, exec, s[0:1]
	v_or_b32_e32 v2, 0x900, v0
	v_cmp_gt_u32_e32 vcc, s33, v2
	s_and_saveexec_b64 s[0:1], vcc
	s_cbranch_execz .LBB1354_258
; %bb.257:
	s_waitcnt lgkmcnt(0)
	v_add_co_u32_e32 v32, vcc, 0x1000, v4
	s_nop 1
	v_addc_co_u32_e32 v33, vcc, 0, v5, vcc
	flat_store_short v[32:33], v20 offset:512
.LBB1354_258:
	s_or_b64 exec, exec, s[0:1]
	v_or_b32_e32 v2, 0xa00, v0
	v_cmp_gt_u32_e32 vcc, s33, v2
	s_and_saveexec_b64 s[0:1], vcc
	s_cbranch_execz .LBB1354_260
; %bb.259:
	s_waitcnt lgkmcnt(0)
	v_add_co_u32_e32 v20, vcc, 0x1000, v4
	s_nop 1
	v_addc_co_u32_e32 v21, vcc, 0, v5, vcc
	flat_store_short v[20:21], v19 offset:1024
.LBB1354_260:
	;; [unrolled: 12-line block ×7, first 2 shown]
	s_or_b64 exec, exec, s[0:1]
	v_or_b32_e32 v2, 0x1000, v0
	v_cmp_gt_u32_e32 vcc, s33, v2
	s_and_saveexec_b64 s[0:1], vcc
	s_cbranch_execz .LBB1354_272
; %bb.271:
	s_waitcnt lgkmcnt(0)
	v_add_co_u32_e32 v14, vcc, 0x2000, v4
	s_nop 1
	v_addc_co_u32_e32 v15, vcc, 0, v5, vcc
	flat_store_short v[14:15], v13
.LBB1354_272:
	s_or_b64 exec, exec, s[0:1]
	v_or_b32_e32 v2, 0x1100, v0
	v_cmp_gt_u32_e32 vcc, s33, v2
	s_and_saveexec_b64 s[0:1], vcc
	s_cbranch_execz .LBB1354_274
; %bb.273:
	s_waitcnt lgkmcnt(0)
	v_add_co_u32_e32 v14, vcc, 0x2000, v4
	s_nop 1
	v_addc_co_u32_e32 v15, vcc, 0, v5, vcc
	flat_store_short v[14:15], v12 offset:512
.LBB1354_274:
	s_or_b64 exec, exec, s[0:1]
	v_or_b32_e32 v2, 0x1200, v0
	v_cmp_gt_u32_e32 vcc, s33, v2
	s_and_saveexec_b64 s[0:1], vcc
	s_cbranch_execz .LBB1354_276
; %bb.275:
	s_waitcnt lgkmcnt(0)
	v_add_co_u32_e32 v12, vcc, 0x2000, v4
	s_nop 1
	v_addc_co_u32_e32 v13, vcc, 0, v5, vcc
	flat_store_short v[12:13], v11 offset:1024
.LBB1354_276:
	;; [unrolled: 12-line block ×5, first 2 shown]
	s_or_b64 exec, exec, s[0:1]
	v_or_b32_e32 v2, 0x1600, v0
	v_cmp_gt_u32_e32 vcc, s33, v2
	s_and_saveexec_b64 s[0:1], vcc
	s_cbranch_execz .LBB1354_284
; %bb.283:
	v_add_co_u32_e32 v4, vcc, 0x2000, v4
	s_nop 1
	v_addc_co_u32_e32 v5, vcc, 0, v5, vcc
	s_waitcnt lgkmcnt(0)
	flat_store_short v[4:5], v1 offset:3072
.LBB1354_284:
	s_or_b64 exec, exec, s[0:1]
	v_or_b32_e32 v2, 0x1700, v0
	s_waitcnt lgkmcnt(0)
	v_mov_b32_e32 v1, v3
	v_cmp_gt_u32_e64 s[0:1], s33, v2
	s_branch .LBB1354_287
.LBB1354_285:
	s_mov_b64 s[0:1], 0
                                        ; implicit-def: $vgpr7
	s_cbranch_execz .LBB1354_287
; %bb.286:
	s_mov_b32 s4, 0x5040100
	v_lshlrev_b32_e32 v6, 1, v6
	v_perm_b32 v5, v29, v27, s4
	v_perm_b32 v4, v26, v25, s4
	v_perm_b32 v3, v24, v23, s4
	v_perm_b32 v2, v22, v47, s4
	s_waitcnt lgkmcnt(0)
	s_barrier
	ds_write_b128 v6, v[2:5]
	v_perm_b32 v5, v39, v37, s4
	v_perm_b32 v4, v36, v35, s4
	;; [unrolled: 1-line block ×4, first 2 shown]
	ds_write_b128 v6, v[2:5] offset:16
	v_perm_b32 v4, v44, v43, s4
	v_perm_b32 v3, v42, v41, s4
	;; [unrolled: 1-line block ×4, first 2 shown]
	s_movk_i32 s4, 0xffd2
	ds_write_b128 v6, v[2:5] offset:32
	v_mov_b32_e32 v1, 0
	v_mad_i32_i24 v2, v0, s4, v6
	s_waitcnt lgkmcnt(0)
	s_barrier
	ds_read_u16 v4, v2
	ds_read_u16 v5, v2 offset:512
	ds_read_u16 v6, v2 offset:1024
	;; [unrolled: 1-line block ×23, first 2 shown]
	v_lshlrev_b32_e32 v2, 1, v0
	v_mov_b32_e32 v3, v1
	v_lshl_add_u64 v[2:3], s[2:3], 0, v[2:3]
	s_movk_i32 s4, 0x1000
	s_waitcnt lgkmcnt(0)
	flat_store_short v[2:3], v4
	flat_store_short v[2:3], v5 offset:512
	flat_store_short v[2:3], v6 offset:1024
	;; [unrolled: 1-line block ×7, first 2 shown]
	v_add_co_u32_e32 v4, vcc, s4, v2
	s_or_b64 s[0:1], s[0:1], exec
	s_nop 0
	v_addc_co_u32_e32 v5, vcc, 0, v3, vcc
	v_add_co_u32_e32 v2, vcc, 0x2000, v2
	flat_store_short v[4:5], v13
	flat_store_short v[4:5], v14 offset:512
	flat_store_short v[4:5], v15 offset:1024
	;; [unrolled: 1-line block ×7, first 2 shown]
	v_addc_co_u32_e32 v3, vcc, 0, v3, vcc
	flat_store_short v[2:3], v21
	flat_store_short v[2:3], v22 offset:512
	flat_store_short v[2:3], v23 offset:1024
	;; [unrolled: 1-line block ×6, first 2 shown]
.LBB1354_287:
	s_and_saveexec_b64 s[4:5], s[0:1]
	s_cbranch_execnz .LBB1354_289
; %bb.288:
	s_endpgm
.LBB1354_289:
	v_lshl_add_u64 v[0:1], v[0:1], 1, s[2:3]
	v_add_co_u32_e32 v0, vcc, 0x2000, v0
	s_nop 1
	v_addc_co_u32_e32 v1, vcc, 0, v1, vcc
	flat_store_short v[0:1], v7 offset:3584
	s_endpgm
.LBB1354_290:
	v_lshlrev_b32_e32 v2, 1, v0
	v_lshl_add_u64 v[2:3], s[54:55], 0, v[2:3]
	flat_load_ushort v2, v[2:3]
	s_or_b64 exec, exec, s[60:61]
                                        ; implicit-def: $vgpr3
	s_and_saveexec_b64 s[52:53], s[4:5]
	s_cbranch_execz .LBB1354_57
.LBB1354_291:
	v_lshlrev_b32_e32 v20, 1, v0
	v_mov_b32_e32 v21, 0
	v_lshl_add_u64 v[20:21], s[54:55], 0, v[20:21]
	flat_load_ushort v3, v[20:21] offset:512
	s_or_b64 exec, exec, s[52:53]
                                        ; implicit-def: $vgpr20
	s_and_saveexec_b64 s[4:5], s[6:7]
	s_cbranch_execz .LBB1354_58
.LBB1354_292:
	v_lshlrev_b32_e32 v20, 1, v0
	v_mov_b32_e32 v21, 0
	v_lshl_add_u64 v[20:21], s[54:55], 0, v[20:21]
	flat_load_ushort v20, v[20:21] offset:1024
	s_or_b64 exec, exec, s[4:5]
                                        ; implicit-def: $vgpr21
	s_and_saveexec_b64 s[4:5], s[8:9]
	s_cbranch_execz .LBB1354_59
.LBB1354_293:
	v_lshlrev_b32_e32 v48, 1, v0
	v_mov_b32_e32 v49, 0
	v_lshl_add_u64 v[48:49], s[54:55], 0, v[48:49]
	flat_load_ushort v21, v[48:49] offset:1536
	s_or_b64 exec, exec, s[4:5]
                                        ; implicit-def: $vgpr47
	s_and_saveexec_b64 s[4:5], s[10:11]
	s_cbranch_execz .LBB1354_60
.LBB1354_294:
	v_lshlrev_b32_e32 v48, 1, v0
	v_mov_b32_e32 v49, 0
	v_lshl_add_u64 v[48:49], s[54:55], 0, v[48:49]
	flat_load_ushort v47, v[48:49] offset:2048
	s_or_b64 exec, exec, s[4:5]
                                        ; implicit-def: $vgpr48
	s_and_saveexec_b64 s[4:5], s[12:13]
	s_cbranch_execz .LBB1354_61
.LBB1354_295:
	v_lshlrev_b32_e32 v48, 1, v0
	v_mov_b32_e32 v49, 0
	v_lshl_add_u64 v[48:49], s[54:55], 0, v[48:49]
	flat_load_ushort v48, v[48:49] offset:2560
	s_or_b64 exec, exec, s[4:5]
                                        ; implicit-def: $vgpr49
	s_and_saveexec_b64 s[4:5], s[14:15]
	s_cbranch_execz .LBB1354_62
.LBB1354_296:
	v_lshlrev_b32_e32 v50, 1, v0
	v_mov_b32_e32 v51, 0
	v_lshl_add_u64 v[50:51], s[54:55], 0, v[50:51]
	flat_load_ushort v49, v[50:51] offset:3072
	s_or_b64 exec, exec, s[4:5]
                                        ; implicit-def: $vgpr50
	s_and_saveexec_b64 s[4:5], s[16:17]
	s_cbranch_execz .LBB1354_63
.LBB1354_297:
	v_lshlrev_b32_e32 v50, 1, v0
	v_mov_b32_e32 v51, 0
	v_lshl_add_u64 v[50:51], s[54:55], 0, v[50:51]
	flat_load_ushort v50, v[50:51] offset:3584
	s_or_b64 exec, exec, s[4:5]
                                        ; implicit-def: $vgpr51
	s_and_saveexec_b64 s[4:5], s[18:19]
	s_cbranch_execz .LBB1354_64
.LBB1354_298:
	v_lshlrev_b32_e32 v52, 1, v1
	v_mov_b32_e32 v53, 0
	v_lshl_add_u64 v[52:53], s[54:55], 0, v[52:53]
	flat_load_ushort v51, v[52:53]
	s_or_b64 exec, exec, s[4:5]
                                        ; implicit-def: $vgpr1
	s_and_saveexec_b64 s[4:5], s[20:21]
	s_cbranch_execz .LBB1354_65
.LBB1354_299:
	v_lshlrev_b32_e32 v52, 1, v4
	v_mov_b32_e32 v53, 0
	v_lshl_add_u64 v[52:53], s[54:55], 0, v[52:53]
	flat_load_ushort v1, v[52:53]
	s_or_b64 exec, exec, s[4:5]
                                        ; implicit-def: $vgpr4
	s_and_saveexec_b64 s[4:5], s[22:23]
	s_cbranch_execz .LBB1354_66
.LBB1354_300:
	v_lshlrev_b32_e32 v4, 1, v5
	v_mov_b32_e32 v5, 0
	v_lshl_add_u64 v[4:5], s[54:55], 0, v[4:5]
	flat_load_ushort v4, v[4:5]
	s_or_b64 exec, exec, s[4:5]
                                        ; implicit-def: $vgpr5
	s_and_saveexec_b64 s[4:5], s[24:25]
	s_cbranch_execz .LBB1354_67
.LBB1354_301:
	v_lshlrev_b32_e32 v52, 1, v6
	v_mov_b32_e32 v53, 0
	v_lshl_add_u64 v[52:53], s[54:55], 0, v[52:53]
	flat_load_ushort v5, v[52:53]
	s_or_b64 exec, exec, s[4:5]
                                        ; implicit-def: $vgpr6
	s_and_saveexec_b64 s[4:5], s[26:27]
	s_cbranch_execz .LBB1354_68
.LBB1354_302:
	v_lshlrev_b32_e32 v6, 1, v7
	v_mov_b32_e32 v7, 0
	v_lshl_add_u64 v[6:7], s[54:55], 0, v[6:7]
	flat_load_ushort v6, v[6:7]
	s_or_b64 exec, exec, s[4:5]
                                        ; implicit-def: $vgpr7
	s_and_saveexec_b64 s[4:5], s[28:29]
	s_cbranch_execz .LBB1354_69
.LBB1354_303:
	v_lshlrev_b32_e32 v52, 1, v8
	v_mov_b32_e32 v53, 0
	v_lshl_add_u64 v[52:53], s[54:55], 0, v[52:53]
	flat_load_ushort v7, v[52:53]
	s_or_b64 exec, exec, s[4:5]
                                        ; implicit-def: $vgpr8
	s_and_saveexec_b64 s[4:5], s[30:31]
	s_cbranch_execz .LBB1354_70
.LBB1354_304:
	v_lshlrev_b32_e32 v8, 1, v9
	v_mov_b32_e32 v9, 0
	v_lshl_add_u64 v[8:9], s[54:55], 0, v[8:9]
	flat_load_ushort v8, v[8:9]
	s_or_b64 exec, exec, s[4:5]
                                        ; implicit-def: $vgpr9
	s_and_saveexec_b64 s[4:5], s[34:35]
	s_cbranch_execz .LBB1354_71
.LBB1354_305:
	v_lshlrev_b32_e32 v52, 1, v10
	v_mov_b32_e32 v53, 0
	v_lshl_add_u64 v[52:53], s[54:55], 0, v[52:53]
	flat_load_ushort v9, v[52:53]
	s_or_b64 exec, exec, s[4:5]
                                        ; implicit-def: $vgpr10
	s_and_saveexec_b64 s[4:5], s[36:37]
	s_cbranch_execz .LBB1354_72
.LBB1354_306:
	v_lshlrev_b32_e32 v10, 1, v11
	v_mov_b32_e32 v11, 0
	v_lshl_add_u64 v[10:11], s[54:55], 0, v[10:11]
	flat_load_ushort v10, v[10:11]
	s_or_b64 exec, exec, s[4:5]
                                        ; implicit-def: $vgpr11
	s_and_saveexec_b64 s[4:5], s[38:39]
	s_cbranch_execz .LBB1354_73
.LBB1354_307:
	v_lshlrev_b32_e32 v52, 1, v12
	v_mov_b32_e32 v53, 0
	v_lshl_add_u64 v[52:53], s[54:55], 0, v[52:53]
	flat_load_ushort v11, v[52:53]
	s_or_b64 exec, exec, s[4:5]
                                        ; implicit-def: $vgpr12
	s_and_saveexec_b64 s[4:5], s[40:41]
	s_cbranch_execz .LBB1354_74
.LBB1354_308:
	v_lshlrev_b32_e32 v12, 1, v13
	v_mov_b32_e32 v13, 0
	v_lshl_add_u64 v[12:13], s[54:55], 0, v[12:13]
	flat_load_ushort v12, v[12:13]
	s_or_b64 exec, exec, s[4:5]
                                        ; implicit-def: $vgpr13
	s_and_saveexec_b64 s[4:5], s[42:43]
	s_cbranch_execz .LBB1354_75
.LBB1354_309:
	v_lshlrev_b32_e32 v52, 1, v14
	v_mov_b32_e32 v53, 0
	v_lshl_add_u64 v[52:53], s[54:55], 0, v[52:53]
	flat_load_ushort v13, v[52:53]
	s_or_b64 exec, exec, s[4:5]
                                        ; implicit-def: $vgpr14
	s_and_saveexec_b64 s[4:5], s[44:45]
	s_cbranch_execz .LBB1354_76
.LBB1354_310:
	v_lshlrev_b32_e32 v14, 1, v15
	v_mov_b32_e32 v15, 0
	v_lshl_add_u64 v[14:15], s[54:55], 0, v[14:15]
	flat_load_ushort v14, v[14:15]
	s_or_b64 exec, exec, s[4:5]
                                        ; implicit-def: $vgpr15
	s_and_saveexec_b64 s[4:5], s[46:47]
	s_cbranch_execz .LBB1354_77
.LBB1354_311:
	v_lshlrev_b32_e32 v52, 1, v16
	v_mov_b32_e32 v53, 0
	v_lshl_add_u64 v[52:53], s[54:55], 0, v[52:53]
	flat_load_ushort v15, v[52:53]
	s_or_b64 exec, exec, s[4:5]
                                        ; implicit-def: $vgpr16
	s_and_saveexec_b64 s[4:5], s[48:49]
	s_cbranch_execz .LBB1354_78
.LBB1354_312:
	v_lshlrev_b32_e32 v16, 1, v17
	v_mov_b32_e32 v17, 0
	v_lshl_add_u64 v[16:17], s[54:55], 0, v[16:17]
	flat_load_ushort v16, v[16:17]
	s_or_b64 exec, exec, s[4:5]
                                        ; implicit-def: $vgpr17
	s_and_saveexec_b64 s[4:5], s[50:51]
	s_cbranch_execnz .LBB1354_79
	s_branch .LBB1354_80
.LBB1354_313:
                                        ; implicit-def: $sgpr60_sgpr61
	s_branch .LBB1354_52
.LBB1354_314:
                                        ; implicit-def: $sgpr4_sgpr5
	s_branch .LBB1354_131
	.section	.rodata,"a",@progbits
	.p2align	6, 0x0
	.amdhsa_kernel _ZN7rocprim17ROCPRIM_400000_NS6detail17trampoline_kernelINS0_14default_configENS1_27scan_by_key_config_selectorIisEEZZNS1_16scan_by_key_implILNS1_25lookback_scan_determinismE0ELb0ES3_N6thrust23THRUST_200600_302600_NS6detail15normal_iteratorINS9_10device_ptrIiEEEENSB_INSC_IsEEEESG_sNS9_4plusIvEENS9_8equal_toIvEEsEE10hipError_tPvRmT2_T3_T4_T5_mT6_T7_P12ihipStream_tbENKUlT_T0_E_clISt17integral_constantIbLb0EES11_EEDaSW_SX_EUlSW_E_NS1_11comp_targetILNS1_3genE5ELNS1_11target_archE942ELNS1_3gpuE9ELNS1_3repE0EEENS1_30default_config_static_selectorELNS0_4arch9wavefront6targetE1EEEvT1_
		.amdhsa_group_segment_fixed_size 26624
		.amdhsa_private_segment_fixed_size 0
		.amdhsa_kernarg_size 112
		.amdhsa_user_sgpr_count 2
		.amdhsa_user_sgpr_dispatch_ptr 0
		.amdhsa_user_sgpr_queue_ptr 0
		.amdhsa_user_sgpr_kernarg_segment_ptr 1
		.amdhsa_user_sgpr_dispatch_id 0
		.amdhsa_user_sgpr_kernarg_preload_length 0
		.amdhsa_user_sgpr_kernarg_preload_offset 0
		.amdhsa_user_sgpr_private_segment_size 0
		.amdhsa_uses_dynamic_stack 0
		.amdhsa_enable_private_segment 0
		.amdhsa_system_sgpr_workgroup_id_x 1
		.amdhsa_system_sgpr_workgroup_id_y 0
		.amdhsa_system_sgpr_workgroup_id_z 0
		.amdhsa_system_sgpr_workgroup_info 0
		.amdhsa_system_vgpr_workitem_id 0
		.amdhsa_next_free_vgpr 62
		.amdhsa_next_free_sgpr 84
		.amdhsa_accum_offset 64
		.amdhsa_reserve_vcc 1
		.amdhsa_float_round_mode_32 0
		.amdhsa_float_round_mode_16_64 0
		.amdhsa_float_denorm_mode_32 3
		.amdhsa_float_denorm_mode_16_64 3
		.amdhsa_dx10_clamp 1
		.amdhsa_ieee_mode 1
		.amdhsa_fp16_overflow 0
		.amdhsa_tg_split 0
		.amdhsa_exception_fp_ieee_invalid_op 0
		.amdhsa_exception_fp_denorm_src 0
		.amdhsa_exception_fp_ieee_div_zero 0
		.amdhsa_exception_fp_ieee_overflow 0
		.amdhsa_exception_fp_ieee_underflow 0
		.amdhsa_exception_fp_ieee_inexact 0
		.amdhsa_exception_int_div_zero 0
	.end_amdhsa_kernel
	.section	.text._ZN7rocprim17ROCPRIM_400000_NS6detail17trampoline_kernelINS0_14default_configENS1_27scan_by_key_config_selectorIisEEZZNS1_16scan_by_key_implILNS1_25lookback_scan_determinismE0ELb0ES3_N6thrust23THRUST_200600_302600_NS6detail15normal_iteratorINS9_10device_ptrIiEEEENSB_INSC_IsEEEESG_sNS9_4plusIvEENS9_8equal_toIvEEsEE10hipError_tPvRmT2_T3_T4_T5_mT6_T7_P12ihipStream_tbENKUlT_T0_E_clISt17integral_constantIbLb0EES11_EEDaSW_SX_EUlSW_E_NS1_11comp_targetILNS1_3genE5ELNS1_11target_archE942ELNS1_3gpuE9ELNS1_3repE0EEENS1_30default_config_static_selectorELNS0_4arch9wavefront6targetE1EEEvT1_,"axG",@progbits,_ZN7rocprim17ROCPRIM_400000_NS6detail17trampoline_kernelINS0_14default_configENS1_27scan_by_key_config_selectorIisEEZZNS1_16scan_by_key_implILNS1_25lookback_scan_determinismE0ELb0ES3_N6thrust23THRUST_200600_302600_NS6detail15normal_iteratorINS9_10device_ptrIiEEEENSB_INSC_IsEEEESG_sNS9_4plusIvEENS9_8equal_toIvEEsEE10hipError_tPvRmT2_T3_T4_T5_mT6_T7_P12ihipStream_tbENKUlT_T0_E_clISt17integral_constantIbLb0EES11_EEDaSW_SX_EUlSW_E_NS1_11comp_targetILNS1_3genE5ELNS1_11target_archE942ELNS1_3gpuE9ELNS1_3repE0EEENS1_30default_config_static_selectorELNS0_4arch9wavefront6targetE1EEEvT1_,comdat
.Lfunc_end1354:
	.size	_ZN7rocprim17ROCPRIM_400000_NS6detail17trampoline_kernelINS0_14default_configENS1_27scan_by_key_config_selectorIisEEZZNS1_16scan_by_key_implILNS1_25lookback_scan_determinismE0ELb0ES3_N6thrust23THRUST_200600_302600_NS6detail15normal_iteratorINS9_10device_ptrIiEEEENSB_INSC_IsEEEESG_sNS9_4plusIvEENS9_8equal_toIvEEsEE10hipError_tPvRmT2_T3_T4_T5_mT6_T7_P12ihipStream_tbENKUlT_T0_E_clISt17integral_constantIbLb0EES11_EEDaSW_SX_EUlSW_E_NS1_11comp_targetILNS1_3genE5ELNS1_11target_archE942ELNS1_3gpuE9ELNS1_3repE0EEENS1_30default_config_static_selectorELNS0_4arch9wavefront6targetE1EEEvT1_, .Lfunc_end1354-_ZN7rocprim17ROCPRIM_400000_NS6detail17trampoline_kernelINS0_14default_configENS1_27scan_by_key_config_selectorIisEEZZNS1_16scan_by_key_implILNS1_25lookback_scan_determinismE0ELb0ES3_N6thrust23THRUST_200600_302600_NS6detail15normal_iteratorINS9_10device_ptrIiEEEENSB_INSC_IsEEEESG_sNS9_4plusIvEENS9_8equal_toIvEEsEE10hipError_tPvRmT2_T3_T4_T5_mT6_T7_P12ihipStream_tbENKUlT_T0_E_clISt17integral_constantIbLb0EES11_EEDaSW_SX_EUlSW_E_NS1_11comp_targetILNS1_3genE5ELNS1_11target_archE942ELNS1_3gpuE9ELNS1_3repE0EEENS1_30default_config_static_selectorELNS0_4arch9wavefront6targetE1EEEvT1_
                                        ; -- End function
	.section	.AMDGPU.csdata,"",@progbits
; Kernel info:
; codeLenInByte = 16148
; NumSgprs: 90
; NumVgprs: 62
; NumAgprs: 0
; TotalNumVgprs: 62
; ScratchSize: 0
; MemoryBound: 0
; FloatMode: 240
; IeeeMode: 1
; LDSByteSize: 26624 bytes/workgroup (compile time only)
; SGPRBlocks: 11
; VGPRBlocks: 7
; NumSGPRsForWavesPerEU: 90
; NumVGPRsForWavesPerEU: 62
; AccumOffset: 64
; Occupancy: 2
; WaveLimiterHint : 1
; COMPUTE_PGM_RSRC2:SCRATCH_EN: 0
; COMPUTE_PGM_RSRC2:USER_SGPR: 2
; COMPUTE_PGM_RSRC2:TRAP_HANDLER: 0
; COMPUTE_PGM_RSRC2:TGID_X_EN: 1
; COMPUTE_PGM_RSRC2:TGID_Y_EN: 0
; COMPUTE_PGM_RSRC2:TGID_Z_EN: 0
; COMPUTE_PGM_RSRC2:TIDIG_COMP_CNT: 0
; COMPUTE_PGM_RSRC3_GFX90A:ACCUM_OFFSET: 15
; COMPUTE_PGM_RSRC3_GFX90A:TG_SPLIT: 0
	.section	.text._ZN7rocprim17ROCPRIM_400000_NS6detail17trampoline_kernelINS0_14default_configENS1_27scan_by_key_config_selectorIisEEZZNS1_16scan_by_key_implILNS1_25lookback_scan_determinismE0ELb0ES3_N6thrust23THRUST_200600_302600_NS6detail15normal_iteratorINS9_10device_ptrIiEEEENSB_INSC_IsEEEESG_sNS9_4plusIvEENS9_8equal_toIvEEsEE10hipError_tPvRmT2_T3_T4_T5_mT6_T7_P12ihipStream_tbENKUlT_T0_E_clISt17integral_constantIbLb0EES11_EEDaSW_SX_EUlSW_E_NS1_11comp_targetILNS1_3genE4ELNS1_11target_archE910ELNS1_3gpuE8ELNS1_3repE0EEENS1_30default_config_static_selectorELNS0_4arch9wavefront6targetE1EEEvT1_,"axG",@progbits,_ZN7rocprim17ROCPRIM_400000_NS6detail17trampoline_kernelINS0_14default_configENS1_27scan_by_key_config_selectorIisEEZZNS1_16scan_by_key_implILNS1_25lookback_scan_determinismE0ELb0ES3_N6thrust23THRUST_200600_302600_NS6detail15normal_iteratorINS9_10device_ptrIiEEEENSB_INSC_IsEEEESG_sNS9_4plusIvEENS9_8equal_toIvEEsEE10hipError_tPvRmT2_T3_T4_T5_mT6_T7_P12ihipStream_tbENKUlT_T0_E_clISt17integral_constantIbLb0EES11_EEDaSW_SX_EUlSW_E_NS1_11comp_targetILNS1_3genE4ELNS1_11target_archE910ELNS1_3gpuE8ELNS1_3repE0EEENS1_30default_config_static_selectorELNS0_4arch9wavefront6targetE1EEEvT1_,comdat
	.protected	_ZN7rocprim17ROCPRIM_400000_NS6detail17trampoline_kernelINS0_14default_configENS1_27scan_by_key_config_selectorIisEEZZNS1_16scan_by_key_implILNS1_25lookback_scan_determinismE0ELb0ES3_N6thrust23THRUST_200600_302600_NS6detail15normal_iteratorINS9_10device_ptrIiEEEENSB_INSC_IsEEEESG_sNS9_4plusIvEENS9_8equal_toIvEEsEE10hipError_tPvRmT2_T3_T4_T5_mT6_T7_P12ihipStream_tbENKUlT_T0_E_clISt17integral_constantIbLb0EES11_EEDaSW_SX_EUlSW_E_NS1_11comp_targetILNS1_3genE4ELNS1_11target_archE910ELNS1_3gpuE8ELNS1_3repE0EEENS1_30default_config_static_selectorELNS0_4arch9wavefront6targetE1EEEvT1_ ; -- Begin function _ZN7rocprim17ROCPRIM_400000_NS6detail17trampoline_kernelINS0_14default_configENS1_27scan_by_key_config_selectorIisEEZZNS1_16scan_by_key_implILNS1_25lookback_scan_determinismE0ELb0ES3_N6thrust23THRUST_200600_302600_NS6detail15normal_iteratorINS9_10device_ptrIiEEEENSB_INSC_IsEEEESG_sNS9_4plusIvEENS9_8equal_toIvEEsEE10hipError_tPvRmT2_T3_T4_T5_mT6_T7_P12ihipStream_tbENKUlT_T0_E_clISt17integral_constantIbLb0EES11_EEDaSW_SX_EUlSW_E_NS1_11comp_targetILNS1_3genE4ELNS1_11target_archE910ELNS1_3gpuE8ELNS1_3repE0EEENS1_30default_config_static_selectorELNS0_4arch9wavefront6targetE1EEEvT1_
	.globl	_ZN7rocprim17ROCPRIM_400000_NS6detail17trampoline_kernelINS0_14default_configENS1_27scan_by_key_config_selectorIisEEZZNS1_16scan_by_key_implILNS1_25lookback_scan_determinismE0ELb0ES3_N6thrust23THRUST_200600_302600_NS6detail15normal_iteratorINS9_10device_ptrIiEEEENSB_INSC_IsEEEESG_sNS9_4plusIvEENS9_8equal_toIvEEsEE10hipError_tPvRmT2_T3_T4_T5_mT6_T7_P12ihipStream_tbENKUlT_T0_E_clISt17integral_constantIbLb0EES11_EEDaSW_SX_EUlSW_E_NS1_11comp_targetILNS1_3genE4ELNS1_11target_archE910ELNS1_3gpuE8ELNS1_3repE0EEENS1_30default_config_static_selectorELNS0_4arch9wavefront6targetE1EEEvT1_
	.p2align	8
	.type	_ZN7rocprim17ROCPRIM_400000_NS6detail17trampoline_kernelINS0_14default_configENS1_27scan_by_key_config_selectorIisEEZZNS1_16scan_by_key_implILNS1_25lookback_scan_determinismE0ELb0ES3_N6thrust23THRUST_200600_302600_NS6detail15normal_iteratorINS9_10device_ptrIiEEEENSB_INSC_IsEEEESG_sNS9_4plusIvEENS9_8equal_toIvEEsEE10hipError_tPvRmT2_T3_T4_T5_mT6_T7_P12ihipStream_tbENKUlT_T0_E_clISt17integral_constantIbLb0EES11_EEDaSW_SX_EUlSW_E_NS1_11comp_targetILNS1_3genE4ELNS1_11target_archE910ELNS1_3gpuE8ELNS1_3repE0EEENS1_30default_config_static_selectorELNS0_4arch9wavefront6targetE1EEEvT1_,@function
_ZN7rocprim17ROCPRIM_400000_NS6detail17trampoline_kernelINS0_14default_configENS1_27scan_by_key_config_selectorIisEEZZNS1_16scan_by_key_implILNS1_25lookback_scan_determinismE0ELb0ES3_N6thrust23THRUST_200600_302600_NS6detail15normal_iteratorINS9_10device_ptrIiEEEENSB_INSC_IsEEEESG_sNS9_4plusIvEENS9_8equal_toIvEEsEE10hipError_tPvRmT2_T3_T4_T5_mT6_T7_P12ihipStream_tbENKUlT_T0_E_clISt17integral_constantIbLb0EES11_EEDaSW_SX_EUlSW_E_NS1_11comp_targetILNS1_3genE4ELNS1_11target_archE910ELNS1_3gpuE8ELNS1_3repE0EEENS1_30default_config_static_selectorELNS0_4arch9wavefront6targetE1EEEvT1_: ; @_ZN7rocprim17ROCPRIM_400000_NS6detail17trampoline_kernelINS0_14default_configENS1_27scan_by_key_config_selectorIisEEZZNS1_16scan_by_key_implILNS1_25lookback_scan_determinismE0ELb0ES3_N6thrust23THRUST_200600_302600_NS6detail15normal_iteratorINS9_10device_ptrIiEEEENSB_INSC_IsEEEESG_sNS9_4plusIvEENS9_8equal_toIvEEsEE10hipError_tPvRmT2_T3_T4_T5_mT6_T7_P12ihipStream_tbENKUlT_T0_E_clISt17integral_constantIbLb0EES11_EEDaSW_SX_EUlSW_E_NS1_11comp_targetILNS1_3genE4ELNS1_11target_archE910ELNS1_3gpuE8ELNS1_3repE0EEENS1_30default_config_static_selectorELNS0_4arch9wavefront6targetE1EEEvT1_
; %bb.0:
	.section	.rodata,"a",@progbits
	.p2align	6, 0x0
	.amdhsa_kernel _ZN7rocprim17ROCPRIM_400000_NS6detail17trampoline_kernelINS0_14default_configENS1_27scan_by_key_config_selectorIisEEZZNS1_16scan_by_key_implILNS1_25lookback_scan_determinismE0ELb0ES3_N6thrust23THRUST_200600_302600_NS6detail15normal_iteratorINS9_10device_ptrIiEEEENSB_INSC_IsEEEESG_sNS9_4plusIvEENS9_8equal_toIvEEsEE10hipError_tPvRmT2_T3_T4_T5_mT6_T7_P12ihipStream_tbENKUlT_T0_E_clISt17integral_constantIbLb0EES11_EEDaSW_SX_EUlSW_E_NS1_11comp_targetILNS1_3genE4ELNS1_11target_archE910ELNS1_3gpuE8ELNS1_3repE0EEENS1_30default_config_static_selectorELNS0_4arch9wavefront6targetE1EEEvT1_
		.amdhsa_group_segment_fixed_size 0
		.amdhsa_private_segment_fixed_size 0
		.amdhsa_kernarg_size 112
		.amdhsa_user_sgpr_count 2
		.amdhsa_user_sgpr_dispatch_ptr 0
		.amdhsa_user_sgpr_queue_ptr 0
		.amdhsa_user_sgpr_kernarg_segment_ptr 1
		.amdhsa_user_sgpr_dispatch_id 0
		.amdhsa_user_sgpr_kernarg_preload_length 0
		.amdhsa_user_sgpr_kernarg_preload_offset 0
		.amdhsa_user_sgpr_private_segment_size 0
		.amdhsa_uses_dynamic_stack 0
		.amdhsa_enable_private_segment 0
		.amdhsa_system_sgpr_workgroup_id_x 1
		.amdhsa_system_sgpr_workgroup_id_y 0
		.amdhsa_system_sgpr_workgroup_id_z 0
		.amdhsa_system_sgpr_workgroup_info 0
		.amdhsa_system_vgpr_workitem_id 0
		.amdhsa_next_free_vgpr 1
		.amdhsa_next_free_sgpr 0
		.amdhsa_accum_offset 4
		.amdhsa_reserve_vcc 0
		.amdhsa_float_round_mode_32 0
		.amdhsa_float_round_mode_16_64 0
		.amdhsa_float_denorm_mode_32 3
		.amdhsa_float_denorm_mode_16_64 3
		.amdhsa_dx10_clamp 1
		.amdhsa_ieee_mode 1
		.amdhsa_fp16_overflow 0
		.amdhsa_tg_split 0
		.amdhsa_exception_fp_ieee_invalid_op 0
		.amdhsa_exception_fp_denorm_src 0
		.amdhsa_exception_fp_ieee_div_zero 0
		.amdhsa_exception_fp_ieee_overflow 0
		.amdhsa_exception_fp_ieee_underflow 0
		.amdhsa_exception_fp_ieee_inexact 0
		.amdhsa_exception_int_div_zero 0
	.end_amdhsa_kernel
	.section	.text._ZN7rocprim17ROCPRIM_400000_NS6detail17trampoline_kernelINS0_14default_configENS1_27scan_by_key_config_selectorIisEEZZNS1_16scan_by_key_implILNS1_25lookback_scan_determinismE0ELb0ES3_N6thrust23THRUST_200600_302600_NS6detail15normal_iteratorINS9_10device_ptrIiEEEENSB_INSC_IsEEEESG_sNS9_4plusIvEENS9_8equal_toIvEEsEE10hipError_tPvRmT2_T3_T4_T5_mT6_T7_P12ihipStream_tbENKUlT_T0_E_clISt17integral_constantIbLb0EES11_EEDaSW_SX_EUlSW_E_NS1_11comp_targetILNS1_3genE4ELNS1_11target_archE910ELNS1_3gpuE8ELNS1_3repE0EEENS1_30default_config_static_selectorELNS0_4arch9wavefront6targetE1EEEvT1_,"axG",@progbits,_ZN7rocprim17ROCPRIM_400000_NS6detail17trampoline_kernelINS0_14default_configENS1_27scan_by_key_config_selectorIisEEZZNS1_16scan_by_key_implILNS1_25lookback_scan_determinismE0ELb0ES3_N6thrust23THRUST_200600_302600_NS6detail15normal_iteratorINS9_10device_ptrIiEEEENSB_INSC_IsEEEESG_sNS9_4plusIvEENS9_8equal_toIvEEsEE10hipError_tPvRmT2_T3_T4_T5_mT6_T7_P12ihipStream_tbENKUlT_T0_E_clISt17integral_constantIbLb0EES11_EEDaSW_SX_EUlSW_E_NS1_11comp_targetILNS1_3genE4ELNS1_11target_archE910ELNS1_3gpuE8ELNS1_3repE0EEENS1_30default_config_static_selectorELNS0_4arch9wavefront6targetE1EEEvT1_,comdat
.Lfunc_end1355:
	.size	_ZN7rocprim17ROCPRIM_400000_NS6detail17trampoline_kernelINS0_14default_configENS1_27scan_by_key_config_selectorIisEEZZNS1_16scan_by_key_implILNS1_25lookback_scan_determinismE0ELb0ES3_N6thrust23THRUST_200600_302600_NS6detail15normal_iteratorINS9_10device_ptrIiEEEENSB_INSC_IsEEEESG_sNS9_4plusIvEENS9_8equal_toIvEEsEE10hipError_tPvRmT2_T3_T4_T5_mT6_T7_P12ihipStream_tbENKUlT_T0_E_clISt17integral_constantIbLb0EES11_EEDaSW_SX_EUlSW_E_NS1_11comp_targetILNS1_3genE4ELNS1_11target_archE910ELNS1_3gpuE8ELNS1_3repE0EEENS1_30default_config_static_selectorELNS0_4arch9wavefront6targetE1EEEvT1_, .Lfunc_end1355-_ZN7rocprim17ROCPRIM_400000_NS6detail17trampoline_kernelINS0_14default_configENS1_27scan_by_key_config_selectorIisEEZZNS1_16scan_by_key_implILNS1_25lookback_scan_determinismE0ELb0ES3_N6thrust23THRUST_200600_302600_NS6detail15normal_iteratorINS9_10device_ptrIiEEEENSB_INSC_IsEEEESG_sNS9_4plusIvEENS9_8equal_toIvEEsEE10hipError_tPvRmT2_T3_T4_T5_mT6_T7_P12ihipStream_tbENKUlT_T0_E_clISt17integral_constantIbLb0EES11_EEDaSW_SX_EUlSW_E_NS1_11comp_targetILNS1_3genE4ELNS1_11target_archE910ELNS1_3gpuE8ELNS1_3repE0EEENS1_30default_config_static_selectorELNS0_4arch9wavefront6targetE1EEEvT1_
                                        ; -- End function
	.section	.AMDGPU.csdata,"",@progbits
; Kernel info:
; codeLenInByte = 0
; NumSgprs: 6
; NumVgprs: 0
; NumAgprs: 0
; TotalNumVgprs: 0
; ScratchSize: 0
; MemoryBound: 0
; FloatMode: 240
; IeeeMode: 1
; LDSByteSize: 0 bytes/workgroup (compile time only)
; SGPRBlocks: 0
; VGPRBlocks: 0
; NumSGPRsForWavesPerEU: 6
; NumVGPRsForWavesPerEU: 1
; AccumOffset: 4
; Occupancy: 8
; WaveLimiterHint : 0
; COMPUTE_PGM_RSRC2:SCRATCH_EN: 0
; COMPUTE_PGM_RSRC2:USER_SGPR: 2
; COMPUTE_PGM_RSRC2:TRAP_HANDLER: 0
; COMPUTE_PGM_RSRC2:TGID_X_EN: 1
; COMPUTE_PGM_RSRC2:TGID_Y_EN: 0
; COMPUTE_PGM_RSRC2:TGID_Z_EN: 0
; COMPUTE_PGM_RSRC2:TIDIG_COMP_CNT: 0
; COMPUTE_PGM_RSRC3_GFX90A:ACCUM_OFFSET: 0
; COMPUTE_PGM_RSRC3_GFX90A:TG_SPLIT: 0
	.section	.text._ZN7rocprim17ROCPRIM_400000_NS6detail17trampoline_kernelINS0_14default_configENS1_27scan_by_key_config_selectorIisEEZZNS1_16scan_by_key_implILNS1_25lookback_scan_determinismE0ELb0ES3_N6thrust23THRUST_200600_302600_NS6detail15normal_iteratorINS9_10device_ptrIiEEEENSB_INSC_IsEEEESG_sNS9_4plusIvEENS9_8equal_toIvEEsEE10hipError_tPvRmT2_T3_T4_T5_mT6_T7_P12ihipStream_tbENKUlT_T0_E_clISt17integral_constantIbLb0EES11_EEDaSW_SX_EUlSW_E_NS1_11comp_targetILNS1_3genE3ELNS1_11target_archE908ELNS1_3gpuE7ELNS1_3repE0EEENS1_30default_config_static_selectorELNS0_4arch9wavefront6targetE1EEEvT1_,"axG",@progbits,_ZN7rocprim17ROCPRIM_400000_NS6detail17trampoline_kernelINS0_14default_configENS1_27scan_by_key_config_selectorIisEEZZNS1_16scan_by_key_implILNS1_25lookback_scan_determinismE0ELb0ES3_N6thrust23THRUST_200600_302600_NS6detail15normal_iteratorINS9_10device_ptrIiEEEENSB_INSC_IsEEEESG_sNS9_4plusIvEENS9_8equal_toIvEEsEE10hipError_tPvRmT2_T3_T4_T5_mT6_T7_P12ihipStream_tbENKUlT_T0_E_clISt17integral_constantIbLb0EES11_EEDaSW_SX_EUlSW_E_NS1_11comp_targetILNS1_3genE3ELNS1_11target_archE908ELNS1_3gpuE7ELNS1_3repE0EEENS1_30default_config_static_selectorELNS0_4arch9wavefront6targetE1EEEvT1_,comdat
	.protected	_ZN7rocprim17ROCPRIM_400000_NS6detail17trampoline_kernelINS0_14default_configENS1_27scan_by_key_config_selectorIisEEZZNS1_16scan_by_key_implILNS1_25lookback_scan_determinismE0ELb0ES3_N6thrust23THRUST_200600_302600_NS6detail15normal_iteratorINS9_10device_ptrIiEEEENSB_INSC_IsEEEESG_sNS9_4plusIvEENS9_8equal_toIvEEsEE10hipError_tPvRmT2_T3_T4_T5_mT6_T7_P12ihipStream_tbENKUlT_T0_E_clISt17integral_constantIbLb0EES11_EEDaSW_SX_EUlSW_E_NS1_11comp_targetILNS1_3genE3ELNS1_11target_archE908ELNS1_3gpuE7ELNS1_3repE0EEENS1_30default_config_static_selectorELNS0_4arch9wavefront6targetE1EEEvT1_ ; -- Begin function _ZN7rocprim17ROCPRIM_400000_NS6detail17trampoline_kernelINS0_14default_configENS1_27scan_by_key_config_selectorIisEEZZNS1_16scan_by_key_implILNS1_25lookback_scan_determinismE0ELb0ES3_N6thrust23THRUST_200600_302600_NS6detail15normal_iteratorINS9_10device_ptrIiEEEENSB_INSC_IsEEEESG_sNS9_4plusIvEENS9_8equal_toIvEEsEE10hipError_tPvRmT2_T3_T4_T5_mT6_T7_P12ihipStream_tbENKUlT_T0_E_clISt17integral_constantIbLb0EES11_EEDaSW_SX_EUlSW_E_NS1_11comp_targetILNS1_3genE3ELNS1_11target_archE908ELNS1_3gpuE7ELNS1_3repE0EEENS1_30default_config_static_selectorELNS0_4arch9wavefront6targetE1EEEvT1_
	.globl	_ZN7rocprim17ROCPRIM_400000_NS6detail17trampoline_kernelINS0_14default_configENS1_27scan_by_key_config_selectorIisEEZZNS1_16scan_by_key_implILNS1_25lookback_scan_determinismE0ELb0ES3_N6thrust23THRUST_200600_302600_NS6detail15normal_iteratorINS9_10device_ptrIiEEEENSB_INSC_IsEEEESG_sNS9_4plusIvEENS9_8equal_toIvEEsEE10hipError_tPvRmT2_T3_T4_T5_mT6_T7_P12ihipStream_tbENKUlT_T0_E_clISt17integral_constantIbLb0EES11_EEDaSW_SX_EUlSW_E_NS1_11comp_targetILNS1_3genE3ELNS1_11target_archE908ELNS1_3gpuE7ELNS1_3repE0EEENS1_30default_config_static_selectorELNS0_4arch9wavefront6targetE1EEEvT1_
	.p2align	8
	.type	_ZN7rocprim17ROCPRIM_400000_NS6detail17trampoline_kernelINS0_14default_configENS1_27scan_by_key_config_selectorIisEEZZNS1_16scan_by_key_implILNS1_25lookback_scan_determinismE0ELb0ES3_N6thrust23THRUST_200600_302600_NS6detail15normal_iteratorINS9_10device_ptrIiEEEENSB_INSC_IsEEEESG_sNS9_4plusIvEENS9_8equal_toIvEEsEE10hipError_tPvRmT2_T3_T4_T5_mT6_T7_P12ihipStream_tbENKUlT_T0_E_clISt17integral_constantIbLb0EES11_EEDaSW_SX_EUlSW_E_NS1_11comp_targetILNS1_3genE3ELNS1_11target_archE908ELNS1_3gpuE7ELNS1_3repE0EEENS1_30default_config_static_selectorELNS0_4arch9wavefront6targetE1EEEvT1_,@function
_ZN7rocprim17ROCPRIM_400000_NS6detail17trampoline_kernelINS0_14default_configENS1_27scan_by_key_config_selectorIisEEZZNS1_16scan_by_key_implILNS1_25lookback_scan_determinismE0ELb0ES3_N6thrust23THRUST_200600_302600_NS6detail15normal_iteratorINS9_10device_ptrIiEEEENSB_INSC_IsEEEESG_sNS9_4plusIvEENS9_8equal_toIvEEsEE10hipError_tPvRmT2_T3_T4_T5_mT6_T7_P12ihipStream_tbENKUlT_T0_E_clISt17integral_constantIbLb0EES11_EEDaSW_SX_EUlSW_E_NS1_11comp_targetILNS1_3genE3ELNS1_11target_archE908ELNS1_3gpuE7ELNS1_3repE0EEENS1_30default_config_static_selectorELNS0_4arch9wavefront6targetE1EEEvT1_: ; @_ZN7rocprim17ROCPRIM_400000_NS6detail17trampoline_kernelINS0_14default_configENS1_27scan_by_key_config_selectorIisEEZZNS1_16scan_by_key_implILNS1_25lookback_scan_determinismE0ELb0ES3_N6thrust23THRUST_200600_302600_NS6detail15normal_iteratorINS9_10device_ptrIiEEEENSB_INSC_IsEEEESG_sNS9_4plusIvEENS9_8equal_toIvEEsEE10hipError_tPvRmT2_T3_T4_T5_mT6_T7_P12ihipStream_tbENKUlT_T0_E_clISt17integral_constantIbLb0EES11_EEDaSW_SX_EUlSW_E_NS1_11comp_targetILNS1_3genE3ELNS1_11target_archE908ELNS1_3gpuE7ELNS1_3repE0EEENS1_30default_config_static_selectorELNS0_4arch9wavefront6targetE1EEEvT1_
; %bb.0:
	.section	.rodata,"a",@progbits
	.p2align	6, 0x0
	.amdhsa_kernel _ZN7rocprim17ROCPRIM_400000_NS6detail17trampoline_kernelINS0_14default_configENS1_27scan_by_key_config_selectorIisEEZZNS1_16scan_by_key_implILNS1_25lookback_scan_determinismE0ELb0ES3_N6thrust23THRUST_200600_302600_NS6detail15normal_iteratorINS9_10device_ptrIiEEEENSB_INSC_IsEEEESG_sNS9_4plusIvEENS9_8equal_toIvEEsEE10hipError_tPvRmT2_T3_T4_T5_mT6_T7_P12ihipStream_tbENKUlT_T0_E_clISt17integral_constantIbLb0EES11_EEDaSW_SX_EUlSW_E_NS1_11comp_targetILNS1_3genE3ELNS1_11target_archE908ELNS1_3gpuE7ELNS1_3repE0EEENS1_30default_config_static_selectorELNS0_4arch9wavefront6targetE1EEEvT1_
		.amdhsa_group_segment_fixed_size 0
		.amdhsa_private_segment_fixed_size 0
		.amdhsa_kernarg_size 112
		.amdhsa_user_sgpr_count 2
		.amdhsa_user_sgpr_dispatch_ptr 0
		.amdhsa_user_sgpr_queue_ptr 0
		.amdhsa_user_sgpr_kernarg_segment_ptr 1
		.amdhsa_user_sgpr_dispatch_id 0
		.amdhsa_user_sgpr_kernarg_preload_length 0
		.amdhsa_user_sgpr_kernarg_preload_offset 0
		.amdhsa_user_sgpr_private_segment_size 0
		.amdhsa_uses_dynamic_stack 0
		.amdhsa_enable_private_segment 0
		.amdhsa_system_sgpr_workgroup_id_x 1
		.amdhsa_system_sgpr_workgroup_id_y 0
		.amdhsa_system_sgpr_workgroup_id_z 0
		.amdhsa_system_sgpr_workgroup_info 0
		.amdhsa_system_vgpr_workitem_id 0
		.amdhsa_next_free_vgpr 1
		.amdhsa_next_free_sgpr 0
		.amdhsa_accum_offset 4
		.amdhsa_reserve_vcc 0
		.amdhsa_float_round_mode_32 0
		.amdhsa_float_round_mode_16_64 0
		.amdhsa_float_denorm_mode_32 3
		.amdhsa_float_denorm_mode_16_64 3
		.amdhsa_dx10_clamp 1
		.amdhsa_ieee_mode 1
		.amdhsa_fp16_overflow 0
		.amdhsa_tg_split 0
		.amdhsa_exception_fp_ieee_invalid_op 0
		.amdhsa_exception_fp_denorm_src 0
		.amdhsa_exception_fp_ieee_div_zero 0
		.amdhsa_exception_fp_ieee_overflow 0
		.amdhsa_exception_fp_ieee_underflow 0
		.amdhsa_exception_fp_ieee_inexact 0
		.amdhsa_exception_int_div_zero 0
	.end_amdhsa_kernel
	.section	.text._ZN7rocprim17ROCPRIM_400000_NS6detail17trampoline_kernelINS0_14default_configENS1_27scan_by_key_config_selectorIisEEZZNS1_16scan_by_key_implILNS1_25lookback_scan_determinismE0ELb0ES3_N6thrust23THRUST_200600_302600_NS6detail15normal_iteratorINS9_10device_ptrIiEEEENSB_INSC_IsEEEESG_sNS9_4plusIvEENS9_8equal_toIvEEsEE10hipError_tPvRmT2_T3_T4_T5_mT6_T7_P12ihipStream_tbENKUlT_T0_E_clISt17integral_constantIbLb0EES11_EEDaSW_SX_EUlSW_E_NS1_11comp_targetILNS1_3genE3ELNS1_11target_archE908ELNS1_3gpuE7ELNS1_3repE0EEENS1_30default_config_static_selectorELNS0_4arch9wavefront6targetE1EEEvT1_,"axG",@progbits,_ZN7rocprim17ROCPRIM_400000_NS6detail17trampoline_kernelINS0_14default_configENS1_27scan_by_key_config_selectorIisEEZZNS1_16scan_by_key_implILNS1_25lookback_scan_determinismE0ELb0ES3_N6thrust23THRUST_200600_302600_NS6detail15normal_iteratorINS9_10device_ptrIiEEEENSB_INSC_IsEEEESG_sNS9_4plusIvEENS9_8equal_toIvEEsEE10hipError_tPvRmT2_T3_T4_T5_mT6_T7_P12ihipStream_tbENKUlT_T0_E_clISt17integral_constantIbLb0EES11_EEDaSW_SX_EUlSW_E_NS1_11comp_targetILNS1_3genE3ELNS1_11target_archE908ELNS1_3gpuE7ELNS1_3repE0EEENS1_30default_config_static_selectorELNS0_4arch9wavefront6targetE1EEEvT1_,comdat
.Lfunc_end1356:
	.size	_ZN7rocprim17ROCPRIM_400000_NS6detail17trampoline_kernelINS0_14default_configENS1_27scan_by_key_config_selectorIisEEZZNS1_16scan_by_key_implILNS1_25lookback_scan_determinismE0ELb0ES3_N6thrust23THRUST_200600_302600_NS6detail15normal_iteratorINS9_10device_ptrIiEEEENSB_INSC_IsEEEESG_sNS9_4plusIvEENS9_8equal_toIvEEsEE10hipError_tPvRmT2_T3_T4_T5_mT6_T7_P12ihipStream_tbENKUlT_T0_E_clISt17integral_constantIbLb0EES11_EEDaSW_SX_EUlSW_E_NS1_11comp_targetILNS1_3genE3ELNS1_11target_archE908ELNS1_3gpuE7ELNS1_3repE0EEENS1_30default_config_static_selectorELNS0_4arch9wavefront6targetE1EEEvT1_, .Lfunc_end1356-_ZN7rocprim17ROCPRIM_400000_NS6detail17trampoline_kernelINS0_14default_configENS1_27scan_by_key_config_selectorIisEEZZNS1_16scan_by_key_implILNS1_25lookback_scan_determinismE0ELb0ES3_N6thrust23THRUST_200600_302600_NS6detail15normal_iteratorINS9_10device_ptrIiEEEENSB_INSC_IsEEEESG_sNS9_4plusIvEENS9_8equal_toIvEEsEE10hipError_tPvRmT2_T3_T4_T5_mT6_T7_P12ihipStream_tbENKUlT_T0_E_clISt17integral_constantIbLb0EES11_EEDaSW_SX_EUlSW_E_NS1_11comp_targetILNS1_3genE3ELNS1_11target_archE908ELNS1_3gpuE7ELNS1_3repE0EEENS1_30default_config_static_selectorELNS0_4arch9wavefront6targetE1EEEvT1_
                                        ; -- End function
	.section	.AMDGPU.csdata,"",@progbits
; Kernel info:
; codeLenInByte = 0
; NumSgprs: 6
; NumVgprs: 0
; NumAgprs: 0
; TotalNumVgprs: 0
; ScratchSize: 0
; MemoryBound: 0
; FloatMode: 240
; IeeeMode: 1
; LDSByteSize: 0 bytes/workgroup (compile time only)
; SGPRBlocks: 0
; VGPRBlocks: 0
; NumSGPRsForWavesPerEU: 6
; NumVGPRsForWavesPerEU: 1
; AccumOffset: 4
; Occupancy: 8
; WaveLimiterHint : 0
; COMPUTE_PGM_RSRC2:SCRATCH_EN: 0
; COMPUTE_PGM_RSRC2:USER_SGPR: 2
; COMPUTE_PGM_RSRC2:TRAP_HANDLER: 0
; COMPUTE_PGM_RSRC2:TGID_X_EN: 1
; COMPUTE_PGM_RSRC2:TGID_Y_EN: 0
; COMPUTE_PGM_RSRC2:TGID_Z_EN: 0
; COMPUTE_PGM_RSRC2:TIDIG_COMP_CNT: 0
; COMPUTE_PGM_RSRC3_GFX90A:ACCUM_OFFSET: 0
; COMPUTE_PGM_RSRC3_GFX90A:TG_SPLIT: 0
	.section	.text._ZN7rocprim17ROCPRIM_400000_NS6detail17trampoline_kernelINS0_14default_configENS1_27scan_by_key_config_selectorIisEEZZNS1_16scan_by_key_implILNS1_25lookback_scan_determinismE0ELb0ES3_N6thrust23THRUST_200600_302600_NS6detail15normal_iteratorINS9_10device_ptrIiEEEENSB_INSC_IsEEEESG_sNS9_4plusIvEENS9_8equal_toIvEEsEE10hipError_tPvRmT2_T3_T4_T5_mT6_T7_P12ihipStream_tbENKUlT_T0_E_clISt17integral_constantIbLb0EES11_EEDaSW_SX_EUlSW_E_NS1_11comp_targetILNS1_3genE2ELNS1_11target_archE906ELNS1_3gpuE6ELNS1_3repE0EEENS1_30default_config_static_selectorELNS0_4arch9wavefront6targetE1EEEvT1_,"axG",@progbits,_ZN7rocprim17ROCPRIM_400000_NS6detail17trampoline_kernelINS0_14default_configENS1_27scan_by_key_config_selectorIisEEZZNS1_16scan_by_key_implILNS1_25lookback_scan_determinismE0ELb0ES3_N6thrust23THRUST_200600_302600_NS6detail15normal_iteratorINS9_10device_ptrIiEEEENSB_INSC_IsEEEESG_sNS9_4plusIvEENS9_8equal_toIvEEsEE10hipError_tPvRmT2_T3_T4_T5_mT6_T7_P12ihipStream_tbENKUlT_T0_E_clISt17integral_constantIbLb0EES11_EEDaSW_SX_EUlSW_E_NS1_11comp_targetILNS1_3genE2ELNS1_11target_archE906ELNS1_3gpuE6ELNS1_3repE0EEENS1_30default_config_static_selectorELNS0_4arch9wavefront6targetE1EEEvT1_,comdat
	.protected	_ZN7rocprim17ROCPRIM_400000_NS6detail17trampoline_kernelINS0_14default_configENS1_27scan_by_key_config_selectorIisEEZZNS1_16scan_by_key_implILNS1_25lookback_scan_determinismE0ELb0ES3_N6thrust23THRUST_200600_302600_NS6detail15normal_iteratorINS9_10device_ptrIiEEEENSB_INSC_IsEEEESG_sNS9_4plusIvEENS9_8equal_toIvEEsEE10hipError_tPvRmT2_T3_T4_T5_mT6_T7_P12ihipStream_tbENKUlT_T0_E_clISt17integral_constantIbLb0EES11_EEDaSW_SX_EUlSW_E_NS1_11comp_targetILNS1_3genE2ELNS1_11target_archE906ELNS1_3gpuE6ELNS1_3repE0EEENS1_30default_config_static_selectorELNS0_4arch9wavefront6targetE1EEEvT1_ ; -- Begin function _ZN7rocprim17ROCPRIM_400000_NS6detail17trampoline_kernelINS0_14default_configENS1_27scan_by_key_config_selectorIisEEZZNS1_16scan_by_key_implILNS1_25lookback_scan_determinismE0ELb0ES3_N6thrust23THRUST_200600_302600_NS6detail15normal_iteratorINS9_10device_ptrIiEEEENSB_INSC_IsEEEESG_sNS9_4plusIvEENS9_8equal_toIvEEsEE10hipError_tPvRmT2_T3_T4_T5_mT6_T7_P12ihipStream_tbENKUlT_T0_E_clISt17integral_constantIbLb0EES11_EEDaSW_SX_EUlSW_E_NS1_11comp_targetILNS1_3genE2ELNS1_11target_archE906ELNS1_3gpuE6ELNS1_3repE0EEENS1_30default_config_static_selectorELNS0_4arch9wavefront6targetE1EEEvT1_
	.globl	_ZN7rocprim17ROCPRIM_400000_NS6detail17trampoline_kernelINS0_14default_configENS1_27scan_by_key_config_selectorIisEEZZNS1_16scan_by_key_implILNS1_25lookback_scan_determinismE0ELb0ES3_N6thrust23THRUST_200600_302600_NS6detail15normal_iteratorINS9_10device_ptrIiEEEENSB_INSC_IsEEEESG_sNS9_4plusIvEENS9_8equal_toIvEEsEE10hipError_tPvRmT2_T3_T4_T5_mT6_T7_P12ihipStream_tbENKUlT_T0_E_clISt17integral_constantIbLb0EES11_EEDaSW_SX_EUlSW_E_NS1_11comp_targetILNS1_3genE2ELNS1_11target_archE906ELNS1_3gpuE6ELNS1_3repE0EEENS1_30default_config_static_selectorELNS0_4arch9wavefront6targetE1EEEvT1_
	.p2align	8
	.type	_ZN7rocprim17ROCPRIM_400000_NS6detail17trampoline_kernelINS0_14default_configENS1_27scan_by_key_config_selectorIisEEZZNS1_16scan_by_key_implILNS1_25lookback_scan_determinismE0ELb0ES3_N6thrust23THRUST_200600_302600_NS6detail15normal_iteratorINS9_10device_ptrIiEEEENSB_INSC_IsEEEESG_sNS9_4plusIvEENS9_8equal_toIvEEsEE10hipError_tPvRmT2_T3_T4_T5_mT6_T7_P12ihipStream_tbENKUlT_T0_E_clISt17integral_constantIbLb0EES11_EEDaSW_SX_EUlSW_E_NS1_11comp_targetILNS1_3genE2ELNS1_11target_archE906ELNS1_3gpuE6ELNS1_3repE0EEENS1_30default_config_static_selectorELNS0_4arch9wavefront6targetE1EEEvT1_,@function
_ZN7rocprim17ROCPRIM_400000_NS6detail17trampoline_kernelINS0_14default_configENS1_27scan_by_key_config_selectorIisEEZZNS1_16scan_by_key_implILNS1_25lookback_scan_determinismE0ELb0ES3_N6thrust23THRUST_200600_302600_NS6detail15normal_iteratorINS9_10device_ptrIiEEEENSB_INSC_IsEEEESG_sNS9_4plusIvEENS9_8equal_toIvEEsEE10hipError_tPvRmT2_T3_T4_T5_mT6_T7_P12ihipStream_tbENKUlT_T0_E_clISt17integral_constantIbLb0EES11_EEDaSW_SX_EUlSW_E_NS1_11comp_targetILNS1_3genE2ELNS1_11target_archE906ELNS1_3gpuE6ELNS1_3repE0EEENS1_30default_config_static_selectorELNS0_4arch9wavefront6targetE1EEEvT1_: ; @_ZN7rocprim17ROCPRIM_400000_NS6detail17trampoline_kernelINS0_14default_configENS1_27scan_by_key_config_selectorIisEEZZNS1_16scan_by_key_implILNS1_25lookback_scan_determinismE0ELb0ES3_N6thrust23THRUST_200600_302600_NS6detail15normal_iteratorINS9_10device_ptrIiEEEENSB_INSC_IsEEEESG_sNS9_4plusIvEENS9_8equal_toIvEEsEE10hipError_tPvRmT2_T3_T4_T5_mT6_T7_P12ihipStream_tbENKUlT_T0_E_clISt17integral_constantIbLb0EES11_EEDaSW_SX_EUlSW_E_NS1_11comp_targetILNS1_3genE2ELNS1_11target_archE906ELNS1_3gpuE6ELNS1_3repE0EEENS1_30default_config_static_selectorELNS0_4arch9wavefront6targetE1EEEvT1_
; %bb.0:
	.section	.rodata,"a",@progbits
	.p2align	6, 0x0
	.amdhsa_kernel _ZN7rocprim17ROCPRIM_400000_NS6detail17trampoline_kernelINS0_14default_configENS1_27scan_by_key_config_selectorIisEEZZNS1_16scan_by_key_implILNS1_25lookback_scan_determinismE0ELb0ES3_N6thrust23THRUST_200600_302600_NS6detail15normal_iteratorINS9_10device_ptrIiEEEENSB_INSC_IsEEEESG_sNS9_4plusIvEENS9_8equal_toIvEEsEE10hipError_tPvRmT2_T3_T4_T5_mT6_T7_P12ihipStream_tbENKUlT_T0_E_clISt17integral_constantIbLb0EES11_EEDaSW_SX_EUlSW_E_NS1_11comp_targetILNS1_3genE2ELNS1_11target_archE906ELNS1_3gpuE6ELNS1_3repE0EEENS1_30default_config_static_selectorELNS0_4arch9wavefront6targetE1EEEvT1_
		.amdhsa_group_segment_fixed_size 0
		.amdhsa_private_segment_fixed_size 0
		.amdhsa_kernarg_size 112
		.amdhsa_user_sgpr_count 2
		.amdhsa_user_sgpr_dispatch_ptr 0
		.amdhsa_user_sgpr_queue_ptr 0
		.amdhsa_user_sgpr_kernarg_segment_ptr 1
		.amdhsa_user_sgpr_dispatch_id 0
		.amdhsa_user_sgpr_kernarg_preload_length 0
		.amdhsa_user_sgpr_kernarg_preload_offset 0
		.amdhsa_user_sgpr_private_segment_size 0
		.amdhsa_uses_dynamic_stack 0
		.amdhsa_enable_private_segment 0
		.amdhsa_system_sgpr_workgroup_id_x 1
		.amdhsa_system_sgpr_workgroup_id_y 0
		.amdhsa_system_sgpr_workgroup_id_z 0
		.amdhsa_system_sgpr_workgroup_info 0
		.amdhsa_system_vgpr_workitem_id 0
		.amdhsa_next_free_vgpr 1
		.amdhsa_next_free_sgpr 0
		.amdhsa_accum_offset 4
		.amdhsa_reserve_vcc 0
		.amdhsa_float_round_mode_32 0
		.amdhsa_float_round_mode_16_64 0
		.amdhsa_float_denorm_mode_32 3
		.amdhsa_float_denorm_mode_16_64 3
		.amdhsa_dx10_clamp 1
		.amdhsa_ieee_mode 1
		.amdhsa_fp16_overflow 0
		.amdhsa_tg_split 0
		.amdhsa_exception_fp_ieee_invalid_op 0
		.amdhsa_exception_fp_denorm_src 0
		.amdhsa_exception_fp_ieee_div_zero 0
		.amdhsa_exception_fp_ieee_overflow 0
		.amdhsa_exception_fp_ieee_underflow 0
		.amdhsa_exception_fp_ieee_inexact 0
		.amdhsa_exception_int_div_zero 0
	.end_amdhsa_kernel
	.section	.text._ZN7rocprim17ROCPRIM_400000_NS6detail17trampoline_kernelINS0_14default_configENS1_27scan_by_key_config_selectorIisEEZZNS1_16scan_by_key_implILNS1_25lookback_scan_determinismE0ELb0ES3_N6thrust23THRUST_200600_302600_NS6detail15normal_iteratorINS9_10device_ptrIiEEEENSB_INSC_IsEEEESG_sNS9_4plusIvEENS9_8equal_toIvEEsEE10hipError_tPvRmT2_T3_T4_T5_mT6_T7_P12ihipStream_tbENKUlT_T0_E_clISt17integral_constantIbLb0EES11_EEDaSW_SX_EUlSW_E_NS1_11comp_targetILNS1_3genE2ELNS1_11target_archE906ELNS1_3gpuE6ELNS1_3repE0EEENS1_30default_config_static_selectorELNS0_4arch9wavefront6targetE1EEEvT1_,"axG",@progbits,_ZN7rocprim17ROCPRIM_400000_NS6detail17trampoline_kernelINS0_14default_configENS1_27scan_by_key_config_selectorIisEEZZNS1_16scan_by_key_implILNS1_25lookback_scan_determinismE0ELb0ES3_N6thrust23THRUST_200600_302600_NS6detail15normal_iteratorINS9_10device_ptrIiEEEENSB_INSC_IsEEEESG_sNS9_4plusIvEENS9_8equal_toIvEEsEE10hipError_tPvRmT2_T3_T4_T5_mT6_T7_P12ihipStream_tbENKUlT_T0_E_clISt17integral_constantIbLb0EES11_EEDaSW_SX_EUlSW_E_NS1_11comp_targetILNS1_3genE2ELNS1_11target_archE906ELNS1_3gpuE6ELNS1_3repE0EEENS1_30default_config_static_selectorELNS0_4arch9wavefront6targetE1EEEvT1_,comdat
.Lfunc_end1357:
	.size	_ZN7rocprim17ROCPRIM_400000_NS6detail17trampoline_kernelINS0_14default_configENS1_27scan_by_key_config_selectorIisEEZZNS1_16scan_by_key_implILNS1_25lookback_scan_determinismE0ELb0ES3_N6thrust23THRUST_200600_302600_NS6detail15normal_iteratorINS9_10device_ptrIiEEEENSB_INSC_IsEEEESG_sNS9_4plusIvEENS9_8equal_toIvEEsEE10hipError_tPvRmT2_T3_T4_T5_mT6_T7_P12ihipStream_tbENKUlT_T0_E_clISt17integral_constantIbLb0EES11_EEDaSW_SX_EUlSW_E_NS1_11comp_targetILNS1_3genE2ELNS1_11target_archE906ELNS1_3gpuE6ELNS1_3repE0EEENS1_30default_config_static_selectorELNS0_4arch9wavefront6targetE1EEEvT1_, .Lfunc_end1357-_ZN7rocprim17ROCPRIM_400000_NS6detail17trampoline_kernelINS0_14default_configENS1_27scan_by_key_config_selectorIisEEZZNS1_16scan_by_key_implILNS1_25lookback_scan_determinismE0ELb0ES3_N6thrust23THRUST_200600_302600_NS6detail15normal_iteratorINS9_10device_ptrIiEEEENSB_INSC_IsEEEESG_sNS9_4plusIvEENS9_8equal_toIvEEsEE10hipError_tPvRmT2_T3_T4_T5_mT6_T7_P12ihipStream_tbENKUlT_T0_E_clISt17integral_constantIbLb0EES11_EEDaSW_SX_EUlSW_E_NS1_11comp_targetILNS1_3genE2ELNS1_11target_archE906ELNS1_3gpuE6ELNS1_3repE0EEENS1_30default_config_static_selectorELNS0_4arch9wavefront6targetE1EEEvT1_
                                        ; -- End function
	.section	.AMDGPU.csdata,"",@progbits
; Kernel info:
; codeLenInByte = 0
; NumSgprs: 6
; NumVgprs: 0
; NumAgprs: 0
; TotalNumVgprs: 0
; ScratchSize: 0
; MemoryBound: 0
; FloatMode: 240
; IeeeMode: 1
; LDSByteSize: 0 bytes/workgroup (compile time only)
; SGPRBlocks: 0
; VGPRBlocks: 0
; NumSGPRsForWavesPerEU: 6
; NumVGPRsForWavesPerEU: 1
; AccumOffset: 4
; Occupancy: 8
; WaveLimiterHint : 0
; COMPUTE_PGM_RSRC2:SCRATCH_EN: 0
; COMPUTE_PGM_RSRC2:USER_SGPR: 2
; COMPUTE_PGM_RSRC2:TRAP_HANDLER: 0
; COMPUTE_PGM_RSRC2:TGID_X_EN: 1
; COMPUTE_PGM_RSRC2:TGID_Y_EN: 0
; COMPUTE_PGM_RSRC2:TGID_Z_EN: 0
; COMPUTE_PGM_RSRC2:TIDIG_COMP_CNT: 0
; COMPUTE_PGM_RSRC3_GFX90A:ACCUM_OFFSET: 0
; COMPUTE_PGM_RSRC3_GFX90A:TG_SPLIT: 0
	.section	.text._ZN7rocprim17ROCPRIM_400000_NS6detail17trampoline_kernelINS0_14default_configENS1_27scan_by_key_config_selectorIisEEZZNS1_16scan_by_key_implILNS1_25lookback_scan_determinismE0ELb0ES3_N6thrust23THRUST_200600_302600_NS6detail15normal_iteratorINS9_10device_ptrIiEEEENSB_INSC_IsEEEESG_sNS9_4plusIvEENS9_8equal_toIvEEsEE10hipError_tPvRmT2_T3_T4_T5_mT6_T7_P12ihipStream_tbENKUlT_T0_E_clISt17integral_constantIbLb0EES11_EEDaSW_SX_EUlSW_E_NS1_11comp_targetILNS1_3genE10ELNS1_11target_archE1200ELNS1_3gpuE4ELNS1_3repE0EEENS1_30default_config_static_selectorELNS0_4arch9wavefront6targetE1EEEvT1_,"axG",@progbits,_ZN7rocprim17ROCPRIM_400000_NS6detail17trampoline_kernelINS0_14default_configENS1_27scan_by_key_config_selectorIisEEZZNS1_16scan_by_key_implILNS1_25lookback_scan_determinismE0ELb0ES3_N6thrust23THRUST_200600_302600_NS6detail15normal_iteratorINS9_10device_ptrIiEEEENSB_INSC_IsEEEESG_sNS9_4plusIvEENS9_8equal_toIvEEsEE10hipError_tPvRmT2_T3_T4_T5_mT6_T7_P12ihipStream_tbENKUlT_T0_E_clISt17integral_constantIbLb0EES11_EEDaSW_SX_EUlSW_E_NS1_11comp_targetILNS1_3genE10ELNS1_11target_archE1200ELNS1_3gpuE4ELNS1_3repE0EEENS1_30default_config_static_selectorELNS0_4arch9wavefront6targetE1EEEvT1_,comdat
	.protected	_ZN7rocprim17ROCPRIM_400000_NS6detail17trampoline_kernelINS0_14default_configENS1_27scan_by_key_config_selectorIisEEZZNS1_16scan_by_key_implILNS1_25lookback_scan_determinismE0ELb0ES3_N6thrust23THRUST_200600_302600_NS6detail15normal_iteratorINS9_10device_ptrIiEEEENSB_INSC_IsEEEESG_sNS9_4plusIvEENS9_8equal_toIvEEsEE10hipError_tPvRmT2_T3_T4_T5_mT6_T7_P12ihipStream_tbENKUlT_T0_E_clISt17integral_constantIbLb0EES11_EEDaSW_SX_EUlSW_E_NS1_11comp_targetILNS1_3genE10ELNS1_11target_archE1200ELNS1_3gpuE4ELNS1_3repE0EEENS1_30default_config_static_selectorELNS0_4arch9wavefront6targetE1EEEvT1_ ; -- Begin function _ZN7rocprim17ROCPRIM_400000_NS6detail17trampoline_kernelINS0_14default_configENS1_27scan_by_key_config_selectorIisEEZZNS1_16scan_by_key_implILNS1_25lookback_scan_determinismE0ELb0ES3_N6thrust23THRUST_200600_302600_NS6detail15normal_iteratorINS9_10device_ptrIiEEEENSB_INSC_IsEEEESG_sNS9_4plusIvEENS9_8equal_toIvEEsEE10hipError_tPvRmT2_T3_T4_T5_mT6_T7_P12ihipStream_tbENKUlT_T0_E_clISt17integral_constantIbLb0EES11_EEDaSW_SX_EUlSW_E_NS1_11comp_targetILNS1_3genE10ELNS1_11target_archE1200ELNS1_3gpuE4ELNS1_3repE0EEENS1_30default_config_static_selectorELNS0_4arch9wavefront6targetE1EEEvT1_
	.globl	_ZN7rocprim17ROCPRIM_400000_NS6detail17trampoline_kernelINS0_14default_configENS1_27scan_by_key_config_selectorIisEEZZNS1_16scan_by_key_implILNS1_25lookback_scan_determinismE0ELb0ES3_N6thrust23THRUST_200600_302600_NS6detail15normal_iteratorINS9_10device_ptrIiEEEENSB_INSC_IsEEEESG_sNS9_4plusIvEENS9_8equal_toIvEEsEE10hipError_tPvRmT2_T3_T4_T5_mT6_T7_P12ihipStream_tbENKUlT_T0_E_clISt17integral_constantIbLb0EES11_EEDaSW_SX_EUlSW_E_NS1_11comp_targetILNS1_3genE10ELNS1_11target_archE1200ELNS1_3gpuE4ELNS1_3repE0EEENS1_30default_config_static_selectorELNS0_4arch9wavefront6targetE1EEEvT1_
	.p2align	8
	.type	_ZN7rocprim17ROCPRIM_400000_NS6detail17trampoline_kernelINS0_14default_configENS1_27scan_by_key_config_selectorIisEEZZNS1_16scan_by_key_implILNS1_25lookback_scan_determinismE0ELb0ES3_N6thrust23THRUST_200600_302600_NS6detail15normal_iteratorINS9_10device_ptrIiEEEENSB_INSC_IsEEEESG_sNS9_4plusIvEENS9_8equal_toIvEEsEE10hipError_tPvRmT2_T3_T4_T5_mT6_T7_P12ihipStream_tbENKUlT_T0_E_clISt17integral_constantIbLb0EES11_EEDaSW_SX_EUlSW_E_NS1_11comp_targetILNS1_3genE10ELNS1_11target_archE1200ELNS1_3gpuE4ELNS1_3repE0EEENS1_30default_config_static_selectorELNS0_4arch9wavefront6targetE1EEEvT1_,@function
_ZN7rocprim17ROCPRIM_400000_NS6detail17trampoline_kernelINS0_14default_configENS1_27scan_by_key_config_selectorIisEEZZNS1_16scan_by_key_implILNS1_25lookback_scan_determinismE0ELb0ES3_N6thrust23THRUST_200600_302600_NS6detail15normal_iteratorINS9_10device_ptrIiEEEENSB_INSC_IsEEEESG_sNS9_4plusIvEENS9_8equal_toIvEEsEE10hipError_tPvRmT2_T3_T4_T5_mT6_T7_P12ihipStream_tbENKUlT_T0_E_clISt17integral_constantIbLb0EES11_EEDaSW_SX_EUlSW_E_NS1_11comp_targetILNS1_3genE10ELNS1_11target_archE1200ELNS1_3gpuE4ELNS1_3repE0EEENS1_30default_config_static_selectorELNS0_4arch9wavefront6targetE1EEEvT1_: ; @_ZN7rocprim17ROCPRIM_400000_NS6detail17trampoline_kernelINS0_14default_configENS1_27scan_by_key_config_selectorIisEEZZNS1_16scan_by_key_implILNS1_25lookback_scan_determinismE0ELb0ES3_N6thrust23THRUST_200600_302600_NS6detail15normal_iteratorINS9_10device_ptrIiEEEENSB_INSC_IsEEEESG_sNS9_4plusIvEENS9_8equal_toIvEEsEE10hipError_tPvRmT2_T3_T4_T5_mT6_T7_P12ihipStream_tbENKUlT_T0_E_clISt17integral_constantIbLb0EES11_EEDaSW_SX_EUlSW_E_NS1_11comp_targetILNS1_3genE10ELNS1_11target_archE1200ELNS1_3gpuE4ELNS1_3repE0EEENS1_30default_config_static_selectorELNS0_4arch9wavefront6targetE1EEEvT1_
; %bb.0:
	.section	.rodata,"a",@progbits
	.p2align	6, 0x0
	.amdhsa_kernel _ZN7rocprim17ROCPRIM_400000_NS6detail17trampoline_kernelINS0_14default_configENS1_27scan_by_key_config_selectorIisEEZZNS1_16scan_by_key_implILNS1_25lookback_scan_determinismE0ELb0ES3_N6thrust23THRUST_200600_302600_NS6detail15normal_iteratorINS9_10device_ptrIiEEEENSB_INSC_IsEEEESG_sNS9_4plusIvEENS9_8equal_toIvEEsEE10hipError_tPvRmT2_T3_T4_T5_mT6_T7_P12ihipStream_tbENKUlT_T0_E_clISt17integral_constantIbLb0EES11_EEDaSW_SX_EUlSW_E_NS1_11comp_targetILNS1_3genE10ELNS1_11target_archE1200ELNS1_3gpuE4ELNS1_3repE0EEENS1_30default_config_static_selectorELNS0_4arch9wavefront6targetE1EEEvT1_
		.amdhsa_group_segment_fixed_size 0
		.amdhsa_private_segment_fixed_size 0
		.amdhsa_kernarg_size 112
		.amdhsa_user_sgpr_count 2
		.amdhsa_user_sgpr_dispatch_ptr 0
		.amdhsa_user_sgpr_queue_ptr 0
		.amdhsa_user_sgpr_kernarg_segment_ptr 1
		.amdhsa_user_sgpr_dispatch_id 0
		.amdhsa_user_sgpr_kernarg_preload_length 0
		.amdhsa_user_sgpr_kernarg_preload_offset 0
		.amdhsa_user_sgpr_private_segment_size 0
		.amdhsa_uses_dynamic_stack 0
		.amdhsa_enable_private_segment 0
		.amdhsa_system_sgpr_workgroup_id_x 1
		.amdhsa_system_sgpr_workgroup_id_y 0
		.amdhsa_system_sgpr_workgroup_id_z 0
		.amdhsa_system_sgpr_workgroup_info 0
		.amdhsa_system_vgpr_workitem_id 0
		.amdhsa_next_free_vgpr 1
		.amdhsa_next_free_sgpr 0
		.amdhsa_accum_offset 4
		.amdhsa_reserve_vcc 0
		.amdhsa_float_round_mode_32 0
		.amdhsa_float_round_mode_16_64 0
		.amdhsa_float_denorm_mode_32 3
		.amdhsa_float_denorm_mode_16_64 3
		.amdhsa_dx10_clamp 1
		.amdhsa_ieee_mode 1
		.amdhsa_fp16_overflow 0
		.amdhsa_tg_split 0
		.amdhsa_exception_fp_ieee_invalid_op 0
		.amdhsa_exception_fp_denorm_src 0
		.amdhsa_exception_fp_ieee_div_zero 0
		.amdhsa_exception_fp_ieee_overflow 0
		.amdhsa_exception_fp_ieee_underflow 0
		.amdhsa_exception_fp_ieee_inexact 0
		.amdhsa_exception_int_div_zero 0
	.end_amdhsa_kernel
	.section	.text._ZN7rocprim17ROCPRIM_400000_NS6detail17trampoline_kernelINS0_14default_configENS1_27scan_by_key_config_selectorIisEEZZNS1_16scan_by_key_implILNS1_25lookback_scan_determinismE0ELb0ES3_N6thrust23THRUST_200600_302600_NS6detail15normal_iteratorINS9_10device_ptrIiEEEENSB_INSC_IsEEEESG_sNS9_4plusIvEENS9_8equal_toIvEEsEE10hipError_tPvRmT2_T3_T4_T5_mT6_T7_P12ihipStream_tbENKUlT_T0_E_clISt17integral_constantIbLb0EES11_EEDaSW_SX_EUlSW_E_NS1_11comp_targetILNS1_3genE10ELNS1_11target_archE1200ELNS1_3gpuE4ELNS1_3repE0EEENS1_30default_config_static_selectorELNS0_4arch9wavefront6targetE1EEEvT1_,"axG",@progbits,_ZN7rocprim17ROCPRIM_400000_NS6detail17trampoline_kernelINS0_14default_configENS1_27scan_by_key_config_selectorIisEEZZNS1_16scan_by_key_implILNS1_25lookback_scan_determinismE0ELb0ES3_N6thrust23THRUST_200600_302600_NS6detail15normal_iteratorINS9_10device_ptrIiEEEENSB_INSC_IsEEEESG_sNS9_4plusIvEENS9_8equal_toIvEEsEE10hipError_tPvRmT2_T3_T4_T5_mT6_T7_P12ihipStream_tbENKUlT_T0_E_clISt17integral_constantIbLb0EES11_EEDaSW_SX_EUlSW_E_NS1_11comp_targetILNS1_3genE10ELNS1_11target_archE1200ELNS1_3gpuE4ELNS1_3repE0EEENS1_30default_config_static_selectorELNS0_4arch9wavefront6targetE1EEEvT1_,comdat
.Lfunc_end1358:
	.size	_ZN7rocprim17ROCPRIM_400000_NS6detail17trampoline_kernelINS0_14default_configENS1_27scan_by_key_config_selectorIisEEZZNS1_16scan_by_key_implILNS1_25lookback_scan_determinismE0ELb0ES3_N6thrust23THRUST_200600_302600_NS6detail15normal_iteratorINS9_10device_ptrIiEEEENSB_INSC_IsEEEESG_sNS9_4plusIvEENS9_8equal_toIvEEsEE10hipError_tPvRmT2_T3_T4_T5_mT6_T7_P12ihipStream_tbENKUlT_T0_E_clISt17integral_constantIbLb0EES11_EEDaSW_SX_EUlSW_E_NS1_11comp_targetILNS1_3genE10ELNS1_11target_archE1200ELNS1_3gpuE4ELNS1_3repE0EEENS1_30default_config_static_selectorELNS0_4arch9wavefront6targetE1EEEvT1_, .Lfunc_end1358-_ZN7rocprim17ROCPRIM_400000_NS6detail17trampoline_kernelINS0_14default_configENS1_27scan_by_key_config_selectorIisEEZZNS1_16scan_by_key_implILNS1_25lookback_scan_determinismE0ELb0ES3_N6thrust23THRUST_200600_302600_NS6detail15normal_iteratorINS9_10device_ptrIiEEEENSB_INSC_IsEEEESG_sNS9_4plusIvEENS9_8equal_toIvEEsEE10hipError_tPvRmT2_T3_T4_T5_mT6_T7_P12ihipStream_tbENKUlT_T0_E_clISt17integral_constantIbLb0EES11_EEDaSW_SX_EUlSW_E_NS1_11comp_targetILNS1_3genE10ELNS1_11target_archE1200ELNS1_3gpuE4ELNS1_3repE0EEENS1_30default_config_static_selectorELNS0_4arch9wavefront6targetE1EEEvT1_
                                        ; -- End function
	.section	.AMDGPU.csdata,"",@progbits
; Kernel info:
; codeLenInByte = 0
; NumSgprs: 6
; NumVgprs: 0
; NumAgprs: 0
; TotalNumVgprs: 0
; ScratchSize: 0
; MemoryBound: 0
; FloatMode: 240
; IeeeMode: 1
; LDSByteSize: 0 bytes/workgroup (compile time only)
; SGPRBlocks: 0
; VGPRBlocks: 0
; NumSGPRsForWavesPerEU: 6
; NumVGPRsForWavesPerEU: 1
; AccumOffset: 4
; Occupancy: 8
; WaveLimiterHint : 0
; COMPUTE_PGM_RSRC2:SCRATCH_EN: 0
; COMPUTE_PGM_RSRC2:USER_SGPR: 2
; COMPUTE_PGM_RSRC2:TRAP_HANDLER: 0
; COMPUTE_PGM_RSRC2:TGID_X_EN: 1
; COMPUTE_PGM_RSRC2:TGID_Y_EN: 0
; COMPUTE_PGM_RSRC2:TGID_Z_EN: 0
; COMPUTE_PGM_RSRC2:TIDIG_COMP_CNT: 0
; COMPUTE_PGM_RSRC3_GFX90A:ACCUM_OFFSET: 0
; COMPUTE_PGM_RSRC3_GFX90A:TG_SPLIT: 0
	.section	.text._ZN7rocprim17ROCPRIM_400000_NS6detail17trampoline_kernelINS0_14default_configENS1_27scan_by_key_config_selectorIisEEZZNS1_16scan_by_key_implILNS1_25lookback_scan_determinismE0ELb0ES3_N6thrust23THRUST_200600_302600_NS6detail15normal_iteratorINS9_10device_ptrIiEEEENSB_INSC_IsEEEESG_sNS9_4plusIvEENS9_8equal_toIvEEsEE10hipError_tPvRmT2_T3_T4_T5_mT6_T7_P12ihipStream_tbENKUlT_T0_E_clISt17integral_constantIbLb0EES11_EEDaSW_SX_EUlSW_E_NS1_11comp_targetILNS1_3genE9ELNS1_11target_archE1100ELNS1_3gpuE3ELNS1_3repE0EEENS1_30default_config_static_selectorELNS0_4arch9wavefront6targetE1EEEvT1_,"axG",@progbits,_ZN7rocprim17ROCPRIM_400000_NS6detail17trampoline_kernelINS0_14default_configENS1_27scan_by_key_config_selectorIisEEZZNS1_16scan_by_key_implILNS1_25lookback_scan_determinismE0ELb0ES3_N6thrust23THRUST_200600_302600_NS6detail15normal_iteratorINS9_10device_ptrIiEEEENSB_INSC_IsEEEESG_sNS9_4plusIvEENS9_8equal_toIvEEsEE10hipError_tPvRmT2_T3_T4_T5_mT6_T7_P12ihipStream_tbENKUlT_T0_E_clISt17integral_constantIbLb0EES11_EEDaSW_SX_EUlSW_E_NS1_11comp_targetILNS1_3genE9ELNS1_11target_archE1100ELNS1_3gpuE3ELNS1_3repE0EEENS1_30default_config_static_selectorELNS0_4arch9wavefront6targetE1EEEvT1_,comdat
	.protected	_ZN7rocprim17ROCPRIM_400000_NS6detail17trampoline_kernelINS0_14default_configENS1_27scan_by_key_config_selectorIisEEZZNS1_16scan_by_key_implILNS1_25lookback_scan_determinismE0ELb0ES3_N6thrust23THRUST_200600_302600_NS6detail15normal_iteratorINS9_10device_ptrIiEEEENSB_INSC_IsEEEESG_sNS9_4plusIvEENS9_8equal_toIvEEsEE10hipError_tPvRmT2_T3_T4_T5_mT6_T7_P12ihipStream_tbENKUlT_T0_E_clISt17integral_constantIbLb0EES11_EEDaSW_SX_EUlSW_E_NS1_11comp_targetILNS1_3genE9ELNS1_11target_archE1100ELNS1_3gpuE3ELNS1_3repE0EEENS1_30default_config_static_selectorELNS0_4arch9wavefront6targetE1EEEvT1_ ; -- Begin function _ZN7rocprim17ROCPRIM_400000_NS6detail17trampoline_kernelINS0_14default_configENS1_27scan_by_key_config_selectorIisEEZZNS1_16scan_by_key_implILNS1_25lookback_scan_determinismE0ELb0ES3_N6thrust23THRUST_200600_302600_NS6detail15normal_iteratorINS9_10device_ptrIiEEEENSB_INSC_IsEEEESG_sNS9_4plusIvEENS9_8equal_toIvEEsEE10hipError_tPvRmT2_T3_T4_T5_mT6_T7_P12ihipStream_tbENKUlT_T0_E_clISt17integral_constantIbLb0EES11_EEDaSW_SX_EUlSW_E_NS1_11comp_targetILNS1_3genE9ELNS1_11target_archE1100ELNS1_3gpuE3ELNS1_3repE0EEENS1_30default_config_static_selectorELNS0_4arch9wavefront6targetE1EEEvT1_
	.globl	_ZN7rocprim17ROCPRIM_400000_NS6detail17trampoline_kernelINS0_14default_configENS1_27scan_by_key_config_selectorIisEEZZNS1_16scan_by_key_implILNS1_25lookback_scan_determinismE0ELb0ES3_N6thrust23THRUST_200600_302600_NS6detail15normal_iteratorINS9_10device_ptrIiEEEENSB_INSC_IsEEEESG_sNS9_4plusIvEENS9_8equal_toIvEEsEE10hipError_tPvRmT2_T3_T4_T5_mT6_T7_P12ihipStream_tbENKUlT_T0_E_clISt17integral_constantIbLb0EES11_EEDaSW_SX_EUlSW_E_NS1_11comp_targetILNS1_3genE9ELNS1_11target_archE1100ELNS1_3gpuE3ELNS1_3repE0EEENS1_30default_config_static_selectorELNS0_4arch9wavefront6targetE1EEEvT1_
	.p2align	8
	.type	_ZN7rocprim17ROCPRIM_400000_NS6detail17trampoline_kernelINS0_14default_configENS1_27scan_by_key_config_selectorIisEEZZNS1_16scan_by_key_implILNS1_25lookback_scan_determinismE0ELb0ES3_N6thrust23THRUST_200600_302600_NS6detail15normal_iteratorINS9_10device_ptrIiEEEENSB_INSC_IsEEEESG_sNS9_4plusIvEENS9_8equal_toIvEEsEE10hipError_tPvRmT2_T3_T4_T5_mT6_T7_P12ihipStream_tbENKUlT_T0_E_clISt17integral_constantIbLb0EES11_EEDaSW_SX_EUlSW_E_NS1_11comp_targetILNS1_3genE9ELNS1_11target_archE1100ELNS1_3gpuE3ELNS1_3repE0EEENS1_30default_config_static_selectorELNS0_4arch9wavefront6targetE1EEEvT1_,@function
_ZN7rocprim17ROCPRIM_400000_NS6detail17trampoline_kernelINS0_14default_configENS1_27scan_by_key_config_selectorIisEEZZNS1_16scan_by_key_implILNS1_25lookback_scan_determinismE0ELb0ES3_N6thrust23THRUST_200600_302600_NS6detail15normal_iteratorINS9_10device_ptrIiEEEENSB_INSC_IsEEEESG_sNS9_4plusIvEENS9_8equal_toIvEEsEE10hipError_tPvRmT2_T3_T4_T5_mT6_T7_P12ihipStream_tbENKUlT_T0_E_clISt17integral_constantIbLb0EES11_EEDaSW_SX_EUlSW_E_NS1_11comp_targetILNS1_3genE9ELNS1_11target_archE1100ELNS1_3gpuE3ELNS1_3repE0EEENS1_30default_config_static_selectorELNS0_4arch9wavefront6targetE1EEEvT1_: ; @_ZN7rocprim17ROCPRIM_400000_NS6detail17trampoline_kernelINS0_14default_configENS1_27scan_by_key_config_selectorIisEEZZNS1_16scan_by_key_implILNS1_25lookback_scan_determinismE0ELb0ES3_N6thrust23THRUST_200600_302600_NS6detail15normal_iteratorINS9_10device_ptrIiEEEENSB_INSC_IsEEEESG_sNS9_4plusIvEENS9_8equal_toIvEEsEE10hipError_tPvRmT2_T3_T4_T5_mT6_T7_P12ihipStream_tbENKUlT_T0_E_clISt17integral_constantIbLb0EES11_EEDaSW_SX_EUlSW_E_NS1_11comp_targetILNS1_3genE9ELNS1_11target_archE1100ELNS1_3gpuE3ELNS1_3repE0EEENS1_30default_config_static_selectorELNS0_4arch9wavefront6targetE1EEEvT1_
; %bb.0:
	.section	.rodata,"a",@progbits
	.p2align	6, 0x0
	.amdhsa_kernel _ZN7rocprim17ROCPRIM_400000_NS6detail17trampoline_kernelINS0_14default_configENS1_27scan_by_key_config_selectorIisEEZZNS1_16scan_by_key_implILNS1_25lookback_scan_determinismE0ELb0ES3_N6thrust23THRUST_200600_302600_NS6detail15normal_iteratorINS9_10device_ptrIiEEEENSB_INSC_IsEEEESG_sNS9_4plusIvEENS9_8equal_toIvEEsEE10hipError_tPvRmT2_T3_T4_T5_mT6_T7_P12ihipStream_tbENKUlT_T0_E_clISt17integral_constantIbLb0EES11_EEDaSW_SX_EUlSW_E_NS1_11comp_targetILNS1_3genE9ELNS1_11target_archE1100ELNS1_3gpuE3ELNS1_3repE0EEENS1_30default_config_static_selectorELNS0_4arch9wavefront6targetE1EEEvT1_
		.amdhsa_group_segment_fixed_size 0
		.amdhsa_private_segment_fixed_size 0
		.amdhsa_kernarg_size 112
		.amdhsa_user_sgpr_count 2
		.amdhsa_user_sgpr_dispatch_ptr 0
		.amdhsa_user_sgpr_queue_ptr 0
		.amdhsa_user_sgpr_kernarg_segment_ptr 1
		.amdhsa_user_sgpr_dispatch_id 0
		.amdhsa_user_sgpr_kernarg_preload_length 0
		.amdhsa_user_sgpr_kernarg_preload_offset 0
		.amdhsa_user_sgpr_private_segment_size 0
		.amdhsa_uses_dynamic_stack 0
		.amdhsa_enable_private_segment 0
		.amdhsa_system_sgpr_workgroup_id_x 1
		.amdhsa_system_sgpr_workgroup_id_y 0
		.amdhsa_system_sgpr_workgroup_id_z 0
		.amdhsa_system_sgpr_workgroup_info 0
		.amdhsa_system_vgpr_workitem_id 0
		.amdhsa_next_free_vgpr 1
		.amdhsa_next_free_sgpr 0
		.amdhsa_accum_offset 4
		.amdhsa_reserve_vcc 0
		.amdhsa_float_round_mode_32 0
		.amdhsa_float_round_mode_16_64 0
		.amdhsa_float_denorm_mode_32 3
		.amdhsa_float_denorm_mode_16_64 3
		.amdhsa_dx10_clamp 1
		.amdhsa_ieee_mode 1
		.amdhsa_fp16_overflow 0
		.amdhsa_tg_split 0
		.amdhsa_exception_fp_ieee_invalid_op 0
		.amdhsa_exception_fp_denorm_src 0
		.amdhsa_exception_fp_ieee_div_zero 0
		.amdhsa_exception_fp_ieee_overflow 0
		.amdhsa_exception_fp_ieee_underflow 0
		.amdhsa_exception_fp_ieee_inexact 0
		.amdhsa_exception_int_div_zero 0
	.end_amdhsa_kernel
	.section	.text._ZN7rocprim17ROCPRIM_400000_NS6detail17trampoline_kernelINS0_14default_configENS1_27scan_by_key_config_selectorIisEEZZNS1_16scan_by_key_implILNS1_25lookback_scan_determinismE0ELb0ES3_N6thrust23THRUST_200600_302600_NS6detail15normal_iteratorINS9_10device_ptrIiEEEENSB_INSC_IsEEEESG_sNS9_4plusIvEENS9_8equal_toIvEEsEE10hipError_tPvRmT2_T3_T4_T5_mT6_T7_P12ihipStream_tbENKUlT_T0_E_clISt17integral_constantIbLb0EES11_EEDaSW_SX_EUlSW_E_NS1_11comp_targetILNS1_3genE9ELNS1_11target_archE1100ELNS1_3gpuE3ELNS1_3repE0EEENS1_30default_config_static_selectorELNS0_4arch9wavefront6targetE1EEEvT1_,"axG",@progbits,_ZN7rocprim17ROCPRIM_400000_NS6detail17trampoline_kernelINS0_14default_configENS1_27scan_by_key_config_selectorIisEEZZNS1_16scan_by_key_implILNS1_25lookback_scan_determinismE0ELb0ES3_N6thrust23THRUST_200600_302600_NS6detail15normal_iteratorINS9_10device_ptrIiEEEENSB_INSC_IsEEEESG_sNS9_4plusIvEENS9_8equal_toIvEEsEE10hipError_tPvRmT2_T3_T4_T5_mT6_T7_P12ihipStream_tbENKUlT_T0_E_clISt17integral_constantIbLb0EES11_EEDaSW_SX_EUlSW_E_NS1_11comp_targetILNS1_3genE9ELNS1_11target_archE1100ELNS1_3gpuE3ELNS1_3repE0EEENS1_30default_config_static_selectorELNS0_4arch9wavefront6targetE1EEEvT1_,comdat
.Lfunc_end1359:
	.size	_ZN7rocprim17ROCPRIM_400000_NS6detail17trampoline_kernelINS0_14default_configENS1_27scan_by_key_config_selectorIisEEZZNS1_16scan_by_key_implILNS1_25lookback_scan_determinismE0ELb0ES3_N6thrust23THRUST_200600_302600_NS6detail15normal_iteratorINS9_10device_ptrIiEEEENSB_INSC_IsEEEESG_sNS9_4plusIvEENS9_8equal_toIvEEsEE10hipError_tPvRmT2_T3_T4_T5_mT6_T7_P12ihipStream_tbENKUlT_T0_E_clISt17integral_constantIbLb0EES11_EEDaSW_SX_EUlSW_E_NS1_11comp_targetILNS1_3genE9ELNS1_11target_archE1100ELNS1_3gpuE3ELNS1_3repE0EEENS1_30default_config_static_selectorELNS0_4arch9wavefront6targetE1EEEvT1_, .Lfunc_end1359-_ZN7rocprim17ROCPRIM_400000_NS6detail17trampoline_kernelINS0_14default_configENS1_27scan_by_key_config_selectorIisEEZZNS1_16scan_by_key_implILNS1_25lookback_scan_determinismE0ELb0ES3_N6thrust23THRUST_200600_302600_NS6detail15normal_iteratorINS9_10device_ptrIiEEEENSB_INSC_IsEEEESG_sNS9_4plusIvEENS9_8equal_toIvEEsEE10hipError_tPvRmT2_T3_T4_T5_mT6_T7_P12ihipStream_tbENKUlT_T0_E_clISt17integral_constantIbLb0EES11_EEDaSW_SX_EUlSW_E_NS1_11comp_targetILNS1_3genE9ELNS1_11target_archE1100ELNS1_3gpuE3ELNS1_3repE0EEENS1_30default_config_static_selectorELNS0_4arch9wavefront6targetE1EEEvT1_
                                        ; -- End function
	.section	.AMDGPU.csdata,"",@progbits
; Kernel info:
; codeLenInByte = 0
; NumSgprs: 6
; NumVgprs: 0
; NumAgprs: 0
; TotalNumVgprs: 0
; ScratchSize: 0
; MemoryBound: 0
; FloatMode: 240
; IeeeMode: 1
; LDSByteSize: 0 bytes/workgroup (compile time only)
; SGPRBlocks: 0
; VGPRBlocks: 0
; NumSGPRsForWavesPerEU: 6
; NumVGPRsForWavesPerEU: 1
; AccumOffset: 4
; Occupancy: 8
; WaveLimiterHint : 0
; COMPUTE_PGM_RSRC2:SCRATCH_EN: 0
; COMPUTE_PGM_RSRC2:USER_SGPR: 2
; COMPUTE_PGM_RSRC2:TRAP_HANDLER: 0
; COMPUTE_PGM_RSRC2:TGID_X_EN: 1
; COMPUTE_PGM_RSRC2:TGID_Y_EN: 0
; COMPUTE_PGM_RSRC2:TGID_Z_EN: 0
; COMPUTE_PGM_RSRC2:TIDIG_COMP_CNT: 0
; COMPUTE_PGM_RSRC3_GFX90A:ACCUM_OFFSET: 0
; COMPUTE_PGM_RSRC3_GFX90A:TG_SPLIT: 0
	.section	.text._ZN7rocprim17ROCPRIM_400000_NS6detail17trampoline_kernelINS0_14default_configENS1_27scan_by_key_config_selectorIisEEZZNS1_16scan_by_key_implILNS1_25lookback_scan_determinismE0ELb0ES3_N6thrust23THRUST_200600_302600_NS6detail15normal_iteratorINS9_10device_ptrIiEEEENSB_INSC_IsEEEESG_sNS9_4plusIvEENS9_8equal_toIvEEsEE10hipError_tPvRmT2_T3_T4_T5_mT6_T7_P12ihipStream_tbENKUlT_T0_E_clISt17integral_constantIbLb0EES11_EEDaSW_SX_EUlSW_E_NS1_11comp_targetILNS1_3genE8ELNS1_11target_archE1030ELNS1_3gpuE2ELNS1_3repE0EEENS1_30default_config_static_selectorELNS0_4arch9wavefront6targetE1EEEvT1_,"axG",@progbits,_ZN7rocprim17ROCPRIM_400000_NS6detail17trampoline_kernelINS0_14default_configENS1_27scan_by_key_config_selectorIisEEZZNS1_16scan_by_key_implILNS1_25lookback_scan_determinismE0ELb0ES3_N6thrust23THRUST_200600_302600_NS6detail15normal_iteratorINS9_10device_ptrIiEEEENSB_INSC_IsEEEESG_sNS9_4plusIvEENS9_8equal_toIvEEsEE10hipError_tPvRmT2_T3_T4_T5_mT6_T7_P12ihipStream_tbENKUlT_T0_E_clISt17integral_constantIbLb0EES11_EEDaSW_SX_EUlSW_E_NS1_11comp_targetILNS1_3genE8ELNS1_11target_archE1030ELNS1_3gpuE2ELNS1_3repE0EEENS1_30default_config_static_selectorELNS0_4arch9wavefront6targetE1EEEvT1_,comdat
	.protected	_ZN7rocprim17ROCPRIM_400000_NS6detail17trampoline_kernelINS0_14default_configENS1_27scan_by_key_config_selectorIisEEZZNS1_16scan_by_key_implILNS1_25lookback_scan_determinismE0ELb0ES3_N6thrust23THRUST_200600_302600_NS6detail15normal_iteratorINS9_10device_ptrIiEEEENSB_INSC_IsEEEESG_sNS9_4plusIvEENS9_8equal_toIvEEsEE10hipError_tPvRmT2_T3_T4_T5_mT6_T7_P12ihipStream_tbENKUlT_T0_E_clISt17integral_constantIbLb0EES11_EEDaSW_SX_EUlSW_E_NS1_11comp_targetILNS1_3genE8ELNS1_11target_archE1030ELNS1_3gpuE2ELNS1_3repE0EEENS1_30default_config_static_selectorELNS0_4arch9wavefront6targetE1EEEvT1_ ; -- Begin function _ZN7rocprim17ROCPRIM_400000_NS6detail17trampoline_kernelINS0_14default_configENS1_27scan_by_key_config_selectorIisEEZZNS1_16scan_by_key_implILNS1_25lookback_scan_determinismE0ELb0ES3_N6thrust23THRUST_200600_302600_NS6detail15normal_iteratorINS9_10device_ptrIiEEEENSB_INSC_IsEEEESG_sNS9_4plusIvEENS9_8equal_toIvEEsEE10hipError_tPvRmT2_T3_T4_T5_mT6_T7_P12ihipStream_tbENKUlT_T0_E_clISt17integral_constantIbLb0EES11_EEDaSW_SX_EUlSW_E_NS1_11comp_targetILNS1_3genE8ELNS1_11target_archE1030ELNS1_3gpuE2ELNS1_3repE0EEENS1_30default_config_static_selectorELNS0_4arch9wavefront6targetE1EEEvT1_
	.globl	_ZN7rocprim17ROCPRIM_400000_NS6detail17trampoline_kernelINS0_14default_configENS1_27scan_by_key_config_selectorIisEEZZNS1_16scan_by_key_implILNS1_25lookback_scan_determinismE0ELb0ES3_N6thrust23THRUST_200600_302600_NS6detail15normal_iteratorINS9_10device_ptrIiEEEENSB_INSC_IsEEEESG_sNS9_4plusIvEENS9_8equal_toIvEEsEE10hipError_tPvRmT2_T3_T4_T5_mT6_T7_P12ihipStream_tbENKUlT_T0_E_clISt17integral_constantIbLb0EES11_EEDaSW_SX_EUlSW_E_NS1_11comp_targetILNS1_3genE8ELNS1_11target_archE1030ELNS1_3gpuE2ELNS1_3repE0EEENS1_30default_config_static_selectorELNS0_4arch9wavefront6targetE1EEEvT1_
	.p2align	8
	.type	_ZN7rocprim17ROCPRIM_400000_NS6detail17trampoline_kernelINS0_14default_configENS1_27scan_by_key_config_selectorIisEEZZNS1_16scan_by_key_implILNS1_25lookback_scan_determinismE0ELb0ES3_N6thrust23THRUST_200600_302600_NS6detail15normal_iteratorINS9_10device_ptrIiEEEENSB_INSC_IsEEEESG_sNS9_4plusIvEENS9_8equal_toIvEEsEE10hipError_tPvRmT2_T3_T4_T5_mT6_T7_P12ihipStream_tbENKUlT_T0_E_clISt17integral_constantIbLb0EES11_EEDaSW_SX_EUlSW_E_NS1_11comp_targetILNS1_3genE8ELNS1_11target_archE1030ELNS1_3gpuE2ELNS1_3repE0EEENS1_30default_config_static_selectorELNS0_4arch9wavefront6targetE1EEEvT1_,@function
_ZN7rocprim17ROCPRIM_400000_NS6detail17trampoline_kernelINS0_14default_configENS1_27scan_by_key_config_selectorIisEEZZNS1_16scan_by_key_implILNS1_25lookback_scan_determinismE0ELb0ES3_N6thrust23THRUST_200600_302600_NS6detail15normal_iteratorINS9_10device_ptrIiEEEENSB_INSC_IsEEEESG_sNS9_4plusIvEENS9_8equal_toIvEEsEE10hipError_tPvRmT2_T3_T4_T5_mT6_T7_P12ihipStream_tbENKUlT_T0_E_clISt17integral_constantIbLb0EES11_EEDaSW_SX_EUlSW_E_NS1_11comp_targetILNS1_3genE8ELNS1_11target_archE1030ELNS1_3gpuE2ELNS1_3repE0EEENS1_30default_config_static_selectorELNS0_4arch9wavefront6targetE1EEEvT1_: ; @_ZN7rocprim17ROCPRIM_400000_NS6detail17trampoline_kernelINS0_14default_configENS1_27scan_by_key_config_selectorIisEEZZNS1_16scan_by_key_implILNS1_25lookback_scan_determinismE0ELb0ES3_N6thrust23THRUST_200600_302600_NS6detail15normal_iteratorINS9_10device_ptrIiEEEENSB_INSC_IsEEEESG_sNS9_4plusIvEENS9_8equal_toIvEEsEE10hipError_tPvRmT2_T3_T4_T5_mT6_T7_P12ihipStream_tbENKUlT_T0_E_clISt17integral_constantIbLb0EES11_EEDaSW_SX_EUlSW_E_NS1_11comp_targetILNS1_3genE8ELNS1_11target_archE1030ELNS1_3gpuE2ELNS1_3repE0EEENS1_30default_config_static_selectorELNS0_4arch9wavefront6targetE1EEEvT1_
; %bb.0:
	.section	.rodata,"a",@progbits
	.p2align	6, 0x0
	.amdhsa_kernel _ZN7rocprim17ROCPRIM_400000_NS6detail17trampoline_kernelINS0_14default_configENS1_27scan_by_key_config_selectorIisEEZZNS1_16scan_by_key_implILNS1_25lookback_scan_determinismE0ELb0ES3_N6thrust23THRUST_200600_302600_NS6detail15normal_iteratorINS9_10device_ptrIiEEEENSB_INSC_IsEEEESG_sNS9_4plusIvEENS9_8equal_toIvEEsEE10hipError_tPvRmT2_T3_T4_T5_mT6_T7_P12ihipStream_tbENKUlT_T0_E_clISt17integral_constantIbLb0EES11_EEDaSW_SX_EUlSW_E_NS1_11comp_targetILNS1_3genE8ELNS1_11target_archE1030ELNS1_3gpuE2ELNS1_3repE0EEENS1_30default_config_static_selectorELNS0_4arch9wavefront6targetE1EEEvT1_
		.amdhsa_group_segment_fixed_size 0
		.amdhsa_private_segment_fixed_size 0
		.amdhsa_kernarg_size 112
		.amdhsa_user_sgpr_count 2
		.amdhsa_user_sgpr_dispatch_ptr 0
		.amdhsa_user_sgpr_queue_ptr 0
		.amdhsa_user_sgpr_kernarg_segment_ptr 1
		.amdhsa_user_sgpr_dispatch_id 0
		.amdhsa_user_sgpr_kernarg_preload_length 0
		.amdhsa_user_sgpr_kernarg_preload_offset 0
		.amdhsa_user_sgpr_private_segment_size 0
		.amdhsa_uses_dynamic_stack 0
		.amdhsa_enable_private_segment 0
		.amdhsa_system_sgpr_workgroup_id_x 1
		.amdhsa_system_sgpr_workgroup_id_y 0
		.amdhsa_system_sgpr_workgroup_id_z 0
		.amdhsa_system_sgpr_workgroup_info 0
		.amdhsa_system_vgpr_workitem_id 0
		.amdhsa_next_free_vgpr 1
		.amdhsa_next_free_sgpr 0
		.amdhsa_accum_offset 4
		.amdhsa_reserve_vcc 0
		.amdhsa_float_round_mode_32 0
		.amdhsa_float_round_mode_16_64 0
		.amdhsa_float_denorm_mode_32 3
		.amdhsa_float_denorm_mode_16_64 3
		.amdhsa_dx10_clamp 1
		.amdhsa_ieee_mode 1
		.amdhsa_fp16_overflow 0
		.amdhsa_tg_split 0
		.amdhsa_exception_fp_ieee_invalid_op 0
		.amdhsa_exception_fp_denorm_src 0
		.amdhsa_exception_fp_ieee_div_zero 0
		.amdhsa_exception_fp_ieee_overflow 0
		.amdhsa_exception_fp_ieee_underflow 0
		.amdhsa_exception_fp_ieee_inexact 0
		.amdhsa_exception_int_div_zero 0
	.end_amdhsa_kernel
	.section	.text._ZN7rocprim17ROCPRIM_400000_NS6detail17trampoline_kernelINS0_14default_configENS1_27scan_by_key_config_selectorIisEEZZNS1_16scan_by_key_implILNS1_25lookback_scan_determinismE0ELb0ES3_N6thrust23THRUST_200600_302600_NS6detail15normal_iteratorINS9_10device_ptrIiEEEENSB_INSC_IsEEEESG_sNS9_4plusIvEENS9_8equal_toIvEEsEE10hipError_tPvRmT2_T3_T4_T5_mT6_T7_P12ihipStream_tbENKUlT_T0_E_clISt17integral_constantIbLb0EES11_EEDaSW_SX_EUlSW_E_NS1_11comp_targetILNS1_3genE8ELNS1_11target_archE1030ELNS1_3gpuE2ELNS1_3repE0EEENS1_30default_config_static_selectorELNS0_4arch9wavefront6targetE1EEEvT1_,"axG",@progbits,_ZN7rocprim17ROCPRIM_400000_NS6detail17trampoline_kernelINS0_14default_configENS1_27scan_by_key_config_selectorIisEEZZNS1_16scan_by_key_implILNS1_25lookback_scan_determinismE0ELb0ES3_N6thrust23THRUST_200600_302600_NS6detail15normal_iteratorINS9_10device_ptrIiEEEENSB_INSC_IsEEEESG_sNS9_4plusIvEENS9_8equal_toIvEEsEE10hipError_tPvRmT2_T3_T4_T5_mT6_T7_P12ihipStream_tbENKUlT_T0_E_clISt17integral_constantIbLb0EES11_EEDaSW_SX_EUlSW_E_NS1_11comp_targetILNS1_3genE8ELNS1_11target_archE1030ELNS1_3gpuE2ELNS1_3repE0EEENS1_30default_config_static_selectorELNS0_4arch9wavefront6targetE1EEEvT1_,comdat
.Lfunc_end1360:
	.size	_ZN7rocprim17ROCPRIM_400000_NS6detail17trampoline_kernelINS0_14default_configENS1_27scan_by_key_config_selectorIisEEZZNS1_16scan_by_key_implILNS1_25lookback_scan_determinismE0ELb0ES3_N6thrust23THRUST_200600_302600_NS6detail15normal_iteratorINS9_10device_ptrIiEEEENSB_INSC_IsEEEESG_sNS9_4plusIvEENS9_8equal_toIvEEsEE10hipError_tPvRmT2_T3_T4_T5_mT6_T7_P12ihipStream_tbENKUlT_T0_E_clISt17integral_constantIbLb0EES11_EEDaSW_SX_EUlSW_E_NS1_11comp_targetILNS1_3genE8ELNS1_11target_archE1030ELNS1_3gpuE2ELNS1_3repE0EEENS1_30default_config_static_selectorELNS0_4arch9wavefront6targetE1EEEvT1_, .Lfunc_end1360-_ZN7rocprim17ROCPRIM_400000_NS6detail17trampoline_kernelINS0_14default_configENS1_27scan_by_key_config_selectorIisEEZZNS1_16scan_by_key_implILNS1_25lookback_scan_determinismE0ELb0ES3_N6thrust23THRUST_200600_302600_NS6detail15normal_iteratorINS9_10device_ptrIiEEEENSB_INSC_IsEEEESG_sNS9_4plusIvEENS9_8equal_toIvEEsEE10hipError_tPvRmT2_T3_T4_T5_mT6_T7_P12ihipStream_tbENKUlT_T0_E_clISt17integral_constantIbLb0EES11_EEDaSW_SX_EUlSW_E_NS1_11comp_targetILNS1_3genE8ELNS1_11target_archE1030ELNS1_3gpuE2ELNS1_3repE0EEENS1_30default_config_static_selectorELNS0_4arch9wavefront6targetE1EEEvT1_
                                        ; -- End function
	.section	.AMDGPU.csdata,"",@progbits
; Kernel info:
; codeLenInByte = 0
; NumSgprs: 6
; NumVgprs: 0
; NumAgprs: 0
; TotalNumVgprs: 0
; ScratchSize: 0
; MemoryBound: 0
; FloatMode: 240
; IeeeMode: 1
; LDSByteSize: 0 bytes/workgroup (compile time only)
; SGPRBlocks: 0
; VGPRBlocks: 0
; NumSGPRsForWavesPerEU: 6
; NumVGPRsForWavesPerEU: 1
; AccumOffset: 4
; Occupancy: 8
; WaveLimiterHint : 0
; COMPUTE_PGM_RSRC2:SCRATCH_EN: 0
; COMPUTE_PGM_RSRC2:USER_SGPR: 2
; COMPUTE_PGM_RSRC2:TRAP_HANDLER: 0
; COMPUTE_PGM_RSRC2:TGID_X_EN: 1
; COMPUTE_PGM_RSRC2:TGID_Y_EN: 0
; COMPUTE_PGM_RSRC2:TGID_Z_EN: 0
; COMPUTE_PGM_RSRC2:TIDIG_COMP_CNT: 0
; COMPUTE_PGM_RSRC3_GFX90A:ACCUM_OFFSET: 0
; COMPUTE_PGM_RSRC3_GFX90A:TG_SPLIT: 0
	.section	.text._ZN7rocprim17ROCPRIM_400000_NS6detail30init_device_scan_by_key_kernelINS1_19lookback_scan_stateINS0_5tupleIJsbEEELb1ELb1EEEN6thrust23THRUST_200600_302600_NS6detail15normal_iteratorINS8_10device_ptrIiEEEEjNS1_16block_id_wrapperIjLb1EEEEEvT_jjPNSG_10value_typeET0_PNSt15iterator_traitsISJ_E10value_typeEmT1_T2_,"axG",@progbits,_ZN7rocprim17ROCPRIM_400000_NS6detail30init_device_scan_by_key_kernelINS1_19lookback_scan_stateINS0_5tupleIJsbEEELb1ELb1EEEN6thrust23THRUST_200600_302600_NS6detail15normal_iteratorINS8_10device_ptrIiEEEEjNS1_16block_id_wrapperIjLb1EEEEEvT_jjPNSG_10value_typeET0_PNSt15iterator_traitsISJ_E10value_typeEmT1_T2_,comdat
	.protected	_ZN7rocprim17ROCPRIM_400000_NS6detail30init_device_scan_by_key_kernelINS1_19lookback_scan_stateINS0_5tupleIJsbEEELb1ELb1EEEN6thrust23THRUST_200600_302600_NS6detail15normal_iteratorINS8_10device_ptrIiEEEEjNS1_16block_id_wrapperIjLb1EEEEEvT_jjPNSG_10value_typeET0_PNSt15iterator_traitsISJ_E10value_typeEmT1_T2_ ; -- Begin function _ZN7rocprim17ROCPRIM_400000_NS6detail30init_device_scan_by_key_kernelINS1_19lookback_scan_stateINS0_5tupleIJsbEEELb1ELb1EEEN6thrust23THRUST_200600_302600_NS6detail15normal_iteratorINS8_10device_ptrIiEEEEjNS1_16block_id_wrapperIjLb1EEEEEvT_jjPNSG_10value_typeET0_PNSt15iterator_traitsISJ_E10value_typeEmT1_T2_
	.globl	_ZN7rocprim17ROCPRIM_400000_NS6detail30init_device_scan_by_key_kernelINS1_19lookback_scan_stateINS0_5tupleIJsbEEELb1ELb1EEEN6thrust23THRUST_200600_302600_NS6detail15normal_iteratorINS8_10device_ptrIiEEEEjNS1_16block_id_wrapperIjLb1EEEEEvT_jjPNSG_10value_typeET0_PNSt15iterator_traitsISJ_E10value_typeEmT1_T2_
	.p2align	8
	.type	_ZN7rocprim17ROCPRIM_400000_NS6detail30init_device_scan_by_key_kernelINS1_19lookback_scan_stateINS0_5tupleIJsbEEELb1ELb1EEEN6thrust23THRUST_200600_302600_NS6detail15normal_iteratorINS8_10device_ptrIiEEEEjNS1_16block_id_wrapperIjLb1EEEEEvT_jjPNSG_10value_typeET0_PNSt15iterator_traitsISJ_E10value_typeEmT1_T2_,@function
_ZN7rocprim17ROCPRIM_400000_NS6detail30init_device_scan_by_key_kernelINS1_19lookback_scan_stateINS0_5tupleIJsbEEELb1ELb1EEEN6thrust23THRUST_200600_302600_NS6detail15normal_iteratorINS8_10device_ptrIiEEEEjNS1_16block_id_wrapperIjLb1EEEEEvT_jjPNSG_10value_typeET0_PNSt15iterator_traitsISJ_E10value_typeEmT1_T2_: ; @_ZN7rocprim17ROCPRIM_400000_NS6detail30init_device_scan_by_key_kernelINS1_19lookback_scan_stateINS0_5tupleIJsbEEELb1ELb1EEEN6thrust23THRUST_200600_302600_NS6detail15normal_iteratorINS8_10device_ptrIiEEEEjNS1_16block_id_wrapperIjLb1EEEEEvT_jjPNSG_10value_typeET0_PNSt15iterator_traitsISJ_E10value_typeEmT1_T2_
; %bb.0:
	s_load_dword s3, s[0:1], 0x4c
	s_load_dwordx8 s[4:11], s[0:1], 0x0
	s_load_dword s14, s[0:1], 0x40
	s_waitcnt lgkmcnt(0)
	s_and_b32 s15, s3, 0xffff
	s_mul_i32 s2, s2, s15
	s_cmp_eq_u64 s[8:9], 0
	v_add_u32_e32 v0, s2, v0
	s_cbranch_scc1 .LBB1361_9
; %bb.1:
	s_cmp_lt_u32 s7, s6
	s_cselect_b32 s2, s7, 0
	s_mov_b32 s13, 0
	v_cmp_eq_u32_e32 vcc, s2, v0
	s_and_saveexec_b64 s[2:3], vcc
	s_cbranch_execz .LBB1361_8
; %bb.2:
	s_add_i32 s12, s7, 64
	s_lshl_b64 s[12:13], s[12:13], 3
	s_add_u32 s12, s4, s12
	s_addc_u32 s13, s5, s13
	v_mov_b32_e32 v2, 0
	global_load_dwordx2 v[4:5], v2, s[12:13] sc1
	s_waitcnt vmcnt(0)
	v_and_b32_e32 v3, 0xff, v5
	v_cmp_ne_u64_e32 vcc, 0, v[2:3]
	s_cbranch_vccnz .LBB1361_7
; %bb.3:
	s_mov_b32 s7, 1
.LBB1361_4:                             ; =>This Loop Header: Depth=1
                                        ;     Child Loop BB1361_5 Depth 2
	s_max_u32 s16, s7, 1
.LBB1361_5:                             ;   Parent Loop BB1361_4 Depth=1
                                        ; =>  This Inner Loop Header: Depth=2
	s_add_i32 s16, s16, -1
	s_cmp_eq_u32 s16, 0
	s_sleep 1
	s_cbranch_scc0 .LBB1361_5
; %bb.6:                                ;   in Loop: Header=BB1361_4 Depth=1
	global_load_dwordx2 v[4:5], v2, s[12:13] sc1
	s_cmp_lt_u32 s7, 32
	s_cselect_b64 s[16:17], -1, 0
	s_cmp_lg_u64 s[16:17], 0
	s_addc_u32 s7, s7, 0
	s_waitcnt vmcnt(0)
	v_and_b32_e32 v3, 0xff, v5
	v_cmp_ne_u64_e32 vcc, 0, v[2:3]
	s_cbranch_vccz .LBB1361_4
.LBB1361_7:
	v_mov_b32_e32 v1, 0
	global_store_short v1, v4, s[8:9]
	global_store_byte_d16_hi v1, v4, s[8:9] offset:2
.LBB1361_8:
	s_or_b64 exec, exec, s[2:3]
.LBB1361_9:
	v_cmp_eq_u32_e32 vcc, 0, v0
	s_and_saveexec_b64 s[2:3], vcc
	s_cbranch_execz .LBB1361_11
; %bb.10:
	s_load_dwordx2 s[8:9], s[0:1], 0x38
	v_mov_b32_e32 v1, 0
	s_waitcnt lgkmcnt(0)
	global_store_dword v1, v1, s[8:9]
.LBB1361_11:
	s_or_b64 exec, exec, s[2:3]
	v_cmp_gt_u32_e32 vcc, s6, v0
	s_and_saveexec_b64 s[2:3], vcc
	s_cbranch_execz .LBB1361_13
; %bb.12:
	v_add_u32_e32 v2, 64, v0
	v_mov_b32_e32 v3, 0
	v_lshl_add_u64 v[4:5], v[2:3], 3, s[4:5]
	v_mov_b32_e32 v2, v3
	global_store_dwordx2 v[4:5], v[2:3], off
.LBB1361_13:
	s_or_b64 exec, exec, s[2:3]
	v_cmp_gt_u32_e32 vcc, 64, v0
	v_mov_b32_e32 v1, 0
	s_and_saveexec_b64 s[2:3], vcc
	s_cbranch_execz .LBB1361_15
; %bb.14:
	v_lshl_add_u64 v[2:3], v[0:1], 3, s[4:5]
	v_mov_b32_e32 v5, 0xff
	v_mov_b32_e32 v4, v1
	global_store_dwordx2 v[2:3], v[4:5], off
.LBB1361_15:
	s_or_b64 exec, exec, s[2:3]
	s_load_dwordx2 s[2:3], s[0:1], 0x28
	s_waitcnt lgkmcnt(0)
	v_cmp_gt_u64_e32 vcc, s[2:3], v[0:1]
	s_and_saveexec_b64 s[4:5], vcc
	s_cbranch_execz .LBB1361_18
; %bb.16:
	s_load_dword s12, s[0:1], 0x30
	s_load_dwordx2 s[6:7], s[0:1], 0x20
	s_mov_b32 s5, 0
	s_mov_b32 s1, s5
	s_mul_i32 s0, s14, s15
	s_waitcnt lgkmcnt(0)
	s_add_i32 s4, s12, -1
	s_lshl_b64 s[4:5], s[4:5], 2
	s_add_u32 s4, s10, s4
	v_mad_u64_u32 v[2:3], s[8:9], s12, v0, 0
	s_addc_u32 s5, s11, s5
	v_lshl_add_u64 v[2:3], v[2:3], 2, s[4:5]
	s_mul_hi_u32 s5, s12, s0
	s_mul_i32 s4, s12, s0
	s_lshl_b64 s[4:5], s[4:5], 2
	v_lshl_add_u64 v[4:5], v[0:1], 2, s[6:7]
	s_lshl_b64 s[6:7], s[0:1], 2
	s_mov_b64 s[8:9], 0
.LBB1361_17:                            ; =>This Inner Loop Header: Depth=1
	global_load_dword v6, v[2:3], off
	v_lshl_add_u64 v[0:1], v[0:1], 0, s[0:1]
	v_cmp_le_u64_e32 vcc, s[2:3], v[0:1]
	v_lshl_add_u64 v[2:3], v[2:3], 0, s[4:5]
	s_or_b64 s[8:9], vcc, s[8:9]
	s_waitcnt vmcnt(0)
	global_store_dword v[4:5], v6, off
	v_lshl_add_u64 v[4:5], v[4:5], 0, s[6:7]
	s_andn2_b64 exec, exec, s[8:9]
	s_cbranch_execnz .LBB1361_17
.LBB1361_18:
	s_endpgm
	.section	.rodata,"a",@progbits
	.p2align	6, 0x0
	.amdhsa_kernel _ZN7rocprim17ROCPRIM_400000_NS6detail30init_device_scan_by_key_kernelINS1_19lookback_scan_stateINS0_5tupleIJsbEEELb1ELb1EEEN6thrust23THRUST_200600_302600_NS6detail15normal_iteratorINS8_10device_ptrIiEEEEjNS1_16block_id_wrapperIjLb1EEEEEvT_jjPNSG_10value_typeET0_PNSt15iterator_traitsISJ_E10value_typeEmT1_T2_
		.amdhsa_group_segment_fixed_size 0
		.amdhsa_private_segment_fixed_size 0
		.amdhsa_kernarg_size 320
		.amdhsa_user_sgpr_count 2
		.amdhsa_user_sgpr_dispatch_ptr 0
		.amdhsa_user_sgpr_queue_ptr 0
		.amdhsa_user_sgpr_kernarg_segment_ptr 1
		.amdhsa_user_sgpr_dispatch_id 0
		.amdhsa_user_sgpr_kernarg_preload_length 0
		.amdhsa_user_sgpr_kernarg_preload_offset 0
		.amdhsa_user_sgpr_private_segment_size 0
		.amdhsa_uses_dynamic_stack 0
		.amdhsa_enable_private_segment 0
		.amdhsa_system_sgpr_workgroup_id_x 1
		.amdhsa_system_sgpr_workgroup_id_y 0
		.amdhsa_system_sgpr_workgroup_id_z 0
		.amdhsa_system_sgpr_workgroup_info 0
		.amdhsa_system_vgpr_workitem_id 0
		.amdhsa_next_free_vgpr 7
		.amdhsa_next_free_sgpr 18
		.amdhsa_accum_offset 8
		.amdhsa_reserve_vcc 1
		.amdhsa_float_round_mode_32 0
		.amdhsa_float_round_mode_16_64 0
		.amdhsa_float_denorm_mode_32 3
		.amdhsa_float_denorm_mode_16_64 3
		.amdhsa_dx10_clamp 1
		.amdhsa_ieee_mode 1
		.amdhsa_fp16_overflow 0
		.amdhsa_tg_split 0
		.amdhsa_exception_fp_ieee_invalid_op 0
		.amdhsa_exception_fp_denorm_src 0
		.amdhsa_exception_fp_ieee_div_zero 0
		.amdhsa_exception_fp_ieee_overflow 0
		.amdhsa_exception_fp_ieee_underflow 0
		.amdhsa_exception_fp_ieee_inexact 0
		.amdhsa_exception_int_div_zero 0
	.end_amdhsa_kernel
	.section	.text._ZN7rocprim17ROCPRIM_400000_NS6detail30init_device_scan_by_key_kernelINS1_19lookback_scan_stateINS0_5tupleIJsbEEELb1ELb1EEEN6thrust23THRUST_200600_302600_NS6detail15normal_iteratorINS8_10device_ptrIiEEEEjNS1_16block_id_wrapperIjLb1EEEEEvT_jjPNSG_10value_typeET0_PNSt15iterator_traitsISJ_E10value_typeEmT1_T2_,"axG",@progbits,_ZN7rocprim17ROCPRIM_400000_NS6detail30init_device_scan_by_key_kernelINS1_19lookback_scan_stateINS0_5tupleIJsbEEELb1ELb1EEEN6thrust23THRUST_200600_302600_NS6detail15normal_iteratorINS8_10device_ptrIiEEEEjNS1_16block_id_wrapperIjLb1EEEEEvT_jjPNSG_10value_typeET0_PNSt15iterator_traitsISJ_E10value_typeEmT1_T2_,comdat
.Lfunc_end1361:
	.size	_ZN7rocprim17ROCPRIM_400000_NS6detail30init_device_scan_by_key_kernelINS1_19lookback_scan_stateINS0_5tupleIJsbEEELb1ELb1EEEN6thrust23THRUST_200600_302600_NS6detail15normal_iteratorINS8_10device_ptrIiEEEEjNS1_16block_id_wrapperIjLb1EEEEEvT_jjPNSG_10value_typeET0_PNSt15iterator_traitsISJ_E10value_typeEmT1_T2_, .Lfunc_end1361-_ZN7rocprim17ROCPRIM_400000_NS6detail30init_device_scan_by_key_kernelINS1_19lookback_scan_stateINS0_5tupleIJsbEEELb1ELb1EEEN6thrust23THRUST_200600_302600_NS6detail15normal_iteratorINS8_10device_ptrIiEEEEjNS1_16block_id_wrapperIjLb1EEEEEvT_jjPNSG_10value_typeET0_PNSt15iterator_traitsISJ_E10value_typeEmT1_T2_
                                        ; -- End function
	.section	.AMDGPU.csdata,"",@progbits
; Kernel info:
; codeLenInByte = 528
; NumSgprs: 24
; NumVgprs: 7
; NumAgprs: 0
; TotalNumVgprs: 7
; ScratchSize: 0
; MemoryBound: 0
; FloatMode: 240
; IeeeMode: 1
; LDSByteSize: 0 bytes/workgroup (compile time only)
; SGPRBlocks: 2
; VGPRBlocks: 0
; NumSGPRsForWavesPerEU: 24
; NumVGPRsForWavesPerEU: 7
; AccumOffset: 8
; Occupancy: 8
; WaveLimiterHint : 0
; COMPUTE_PGM_RSRC2:SCRATCH_EN: 0
; COMPUTE_PGM_RSRC2:USER_SGPR: 2
; COMPUTE_PGM_RSRC2:TRAP_HANDLER: 0
; COMPUTE_PGM_RSRC2:TGID_X_EN: 1
; COMPUTE_PGM_RSRC2:TGID_Y_EN: 0
; COMPUTE_PGM_RSRC2:TGID_Z_EN: 0
; COMPUTE_PGM_RSRC2:TIDIG_COMP_CNT: 0
; COMPUTE_PGM_RSRC3_GFX90A:ACCUM_OFFSET: 1
; COMPUTE_PGM_RSRC3_GFX90A:TG_SPLIT: 0
	.section	.text._ZN7rocprim17ROCPRIM_400000_NS6detail17trampoline_kernelINS0_14default_configENS1_27scan_by_key_config_selectorIisEEZZNS1_16scan_by_key_implILNS1_25lookback_scan_determinismE0ELb0ES3_N6thrust23THRUST_200600_302600_NS6detail15normal_iteratorINS9_10device_ptrIiEEEENSB_INSC_IsEEEESG_sNS9_4plusIvEENS9_8equal_toIvEEsEE10hipError_tPvRmT2_T3_T4_T5_mT6_T7_P12ihipStream_tbENKUlT_T0_E_clISt17integral_constantIbLb1EES11_EEDaSW_SX_EUlSW_E_NS1_11comp_targetILNS1_3genE0ELNS1_11target_archE4294967295ELNS1_3gpuE0ELNS1_3repE0EEENS1_30default_config_static_selectorELNS0_4arch9wavefront6targetE1EEEvT1_,"axG",@progbits,_ZN7rocprim17ROCPRIM_400000_NS6detail17trampoline_kernelINS0_14default_configENS1_27scan_by_key_config_selectorIisEEZZNS1_16scan_by_key_implILNS1_25lookback_scan_determinismE0ELb0ES3_N6thrust23THRUST_200600_302600_NS6detail15normal_iteratorINS9_10device_ptrIiEEEENSB_INSC_IsEEEESG_sNS9_4plusIvEENS9_8equal_toIvEEsEE10hipError_tPvRmT2_T3_T4_T5_mT6_T7_P12ihipStream_tbENKUlT_T0_E_clISt17integral_constantIbLb1EES11_EEDaSW_SX_EUlSW_E_NS1_11comp_targetILNS1_3genE0ELNS1_11target_archE4294967295ELNS1_3gpuE0ELNS1_3repE0EEENS1_30default_config_static_selectorELNS0_4arch9wavefront6targetE1EEEvT1_,comdat
	.protected	_ZN7rocprim17ROCPRIM_400000_NS6detail17trampoline_kernelINS0_14default_configENS1_27scan_by_key_config_selectorIisEEZZNS1_16scan_by_key_implILNS1_25lookback_scan_determinismE0ELb0ES3_N6thrust23THRUST_200600_302600_NS6detail15normal_iteratorINS9_10device_ptrIiEEEENSB_INSC_IsEEEESG_sNS9_4plusIvEENS9_8equal_toIvEEsEE10hipError_tPvRmT2_T3_T4_T5_mT6_T7_P12ihipStream_tbENKUlT_T0_E_clISt17integral_constantIbLb1EES11_EEDaSW_SX_EUlSW_E_NS1_11comp_targetILNS1_3genE0ELNS1_11target_archE4294967295ELNS1_3gpuE0ELNS1_3repE0EEENS1_30default_config_static_selectorELNS0_4arch9wavefront6targetE1EEEvT1_ ; -- Begin function _ZN7rocprim17ROCPRIM_400000_NS6detail17trampoline_kernelINS0_14default_configENS1_27scan_by_key_config_selectorIisEEZZNS1_16scan_by_key_implILNS1_25lookback_scan_determinismE0ELb0ES3_N6thrust23THRUST_200600_302600_NS6detail15normal_iteratorINS9_10device_ptrIiEEEENSB_INSC_IsEEEESG_sNS9_4plusIvEENS9_8equal_toIvEEsEE10hipError_tPvRmT2_T3_T4_T5_mT6_T7_P12ihipStream_tbENKUlT_T0_E_clISt17integral_constantIbLb1EES11_EEDaSW_SX_EUlSW_E_NS1_11comp_targetILNS1_3genE0ELNS1_11target_archE4294967295ELNS1_3gpuE0ELNS1_3repE0EEENS1_30default_config_static_selectorELNS0_4arch9wavefront6targetE1EEEvT1_
	.globl	_ZN7rocprim17ROCPRIM_400000_NS6detail17trampoline_kernelINS0_14default_configENS1_27scan_by_key_config_selectorIisEEZZNS1_16scan_by_key_implILNS1_25lookback_scan_determinismE0ELb0ES3_N6thrust23THRUST_200600_302600_NS6detail15normal_iteratorINS9_10device_ptrIiEEEENSB_INSC_IsEEEESG_sNS9_4plusIvEENS9_8equal_toIvEEsEE10hipError_tPvRmT2_T3_T4_T5_mT6_T7_P12ihipStream_tbENKUlT_T0_E_clISt17integral_constantIbLb1EES11_EEDaSW_SX_EUlSW_E_NS1_11comp_targetILNS1_3genE0ELNS1_11target_archE4294967295ELNS1_3gpuE0ELNS1_3repE0EEENS1_30default_config_static_selectorELNS0_4arch9wavefront6targetE1EEEvT1_
	.p2align	8
	.type	_ZN7rocprim17ROCPRIM_400000_NS6detail17trampoline_kernelINS0_14default_configENS1_27scan_by_key_config_selectorIisEEZZNS1_16scan_by_key_implILNS1_25lookback_scan_determinismE0ELb0ES3_N6thrust23THRUST_200600_302600_NS6detail15normal_iteratorINS9_10device_ptrIiEEEENSB_INSC_IsEEEESG_sNS9_4plusIvEENS9_8equal_toIvEEsEE10hipError_tPvRmT2_T3_T4_T5_mT6_T7_P12ihipStream_tbENKUlT_T0_E_clISt17integral_constantIbLb1EES11_EEDaSW_SX_EUlSW_E_NS1_11comp_targetILNS1_3genE0ELNS1_11target_archE4294967295ELNS1_3gpuE0ELNS1_3repE0EEENS1_30default_config_static_selectorELNS0_4arch9wavefront6targetE1EEEvT1_,@function
_ZN7rocprim17ROCPRIM_400000_NS6detail17trampoline_kernelINS0_14default_configENS1_27scan_by_key_config_selectorIisEEZZNS1_16scan_by_key_implILNS1_25lookback_scan_determinismE0ELb0ES3_N6thrust23THRUST_200600_302600_NS6detail15normal_iteratorINS9_10device_ptrIiEEEENSB_INSC_IsEEEESG_sNS9_4plusIvEENS9_8equal_toIvEEsEE10hipError_tPvRmT2_T3_T4_T5_mT6_T7_P12ihipStream_tbENKUlT_T0_E_clISt17integral_constantIbLb1EES11_EEDaSW_SX_EUlSW_E_NS1_11comp_targetILNS1_3genE0ELNS1_11target_archE4294967295ELNS1_3gpuE0ELNS1_3repE0EEENS1_30default_config_static_selectorELNS0_4arch9wavefront6targetE1EEEvT1_: ; @_ZN7rocprim17ROCPRIM_400000_NS6detail17trampoline_kernelINS0_14default_configENS1_27scan_by_key_config_selectorIisEEZZNS1_16scan_by_key_implILNS1_25lookback_scan_determinismE0ELb0ES3_N6thrust23THRUST_200600_302600_NS6detail15normal_iteratorINS9_10device_ptrIiEEEENSB_INSC_IsEEEESG_sNS9_4plusIvEENS9_8equal_toIvEEsEE10hipError_tPvRmT2_T3_T4_T5_mT6_T7_P12ihipStream_tbENKUlT_T0_E_clISt17integral_constantIbLb1EES11_EEDaSW_SX_EUlSW_E_NS1_11comp_targetILNS1_3genE0ELNS1_11target_archE4294967295ELNS1_3gpuE0ELNS1_3repE0EEENS1_30default_config_static_selectorELNS0_4arch9wavefront6targetE1EEEvT1_
; %bb.0:
	.section	.rodata,"a",@progbits
	.p2align	6, 0x0
	.amdhsa_kernel _ZN7rocprim17ROCPRIM_400000_NS6detail17trampoline_kernelINS0_14default_configENS1_27scan_by_key_config_selectorIisEEZZNS1_16scan_by_key_implILNS1_25lookback_scan_determinismE0ELb0ES3_N6thrust23THRUST_200600_302600_NS6detail15normal_iteratorINS9_10device_ptrIiEEEENSB_INSC_IsEEEESG_sNS9_4plusIvEENS9_8equal_toIvEEsEE10hipError_tPvRmT2_T3_T4_T5_mT6_T7_P12ihipStream_tbENKUlT_T0_E_clISt17integral_constantIbLb1EES11_EEDaSW_SX_EUlSW_E_NS1_11comp_targetILNS1_3genE0ELNS1_11target_archE4294967295ELNS1_3gpuE0ELNS1_3repE0EEENS1_30default_config_static_selectorELNS0_4arch9wavefront6targetE1EEEvT1_
		.amdhsa_group_segment_fixed_size 0
		.amdhsa_private_segment_fixed_size 0
		.amdhsa_kernarg_size 112
		.amdhsa_user_sgpr_count 2
		.amdhsa_user_sgpr_dispatch_ptr 0
		.amdhsa_user_sgpr_queue_ptr 0
		.amdhsa_user_sgpr_kernarg_segment_ptr 1
		.amdhsa_user_sgpr_dispatch_id 0
		.amdhsa_user_sgpr_kernarg_preload_length 0
		.amdhsa_user_sgpr_kernarg_preload_offset 0
		.amdhsa_user_sgpr_private_segment_size 0
		.amdhsa_uses_dynamic_stack 0
		.amdhsa_enable_private_segment 0
		.amdhsa_system_sgpr_workgroup_id_x 1
		.amdhsa_system_sgpr_workgroup_id_y 0
		.amdhsa_system_sgpr_workgroup_id_z 0
		.amdhsa_system_sgpr_workgroup_info 0
		.amdhsa_system_vgpr_workitem_id 0
		.amdhsa_next_free_vgpr 1
		.amdhsa_next_free_sgpr 0
		.amdhsa_accum_offset 4
		.amdhsa_reserve_vcc 0
		.amdhsa_float_round_mode_32 0
		.amdhsa_float_round_mode_16_64 0
		.amdhsa_float_denorm_mode_32 3
		.amdhsa_float_denorm_mode_16_64 3
		.amdhsa_dx10_clamp 1
		.amdhsa_ieee_mode 1
		.amdhsa_fp16_overflow 0
		.amdhsa_tg_split 0
		.amdhsa_exception_fp_ieee_invalid_op 0
		.amdhsa_exception_fp_denorm_src 0
		.amdhsa_exception_fp_ieee_div_zero 0
		.amdhsa_exception_fp_ieee_overflow 0
		.amdhsa_exception_fp_ieee_underflow 0
		.amdhsa_exception_fp_ieee_inexact 0
		.amdhsa_exception_int_div_zero 0
	.end_amdhsa_kernel
	.section	.text._ZN7rocprim17ROCPRIM_400000_NS6detail17trampoline_kernelINS0_14default_configENS1_27scan_by_key_config_selectorIisEEZZNS1_16scan_by_key_implILNS1_25lookback_scan_determinismE0ELb0ES3_N6thrust23THRUST_200600_302600_NS6detail15normal_iteratorINS9_10device_ptrIiEEEENSB_INSC_IsEEEESG_sNS9_4plusIvEENS9_8equal_toIvEEsEE10hipError_tPvRmT2_T3_T4_T5_mT6_T7_P12ihipStream_tbENKUlT_T0_E_clISt17integral_constantIbLb1EES11_EEDaSW_SX_EUlSW_E_NS1_11comp_targetILNS1_3genE0ELNS1_11target_archE4294967295ELNS1_3gpuE0ELNS1_3repE0EEENS1_30default_config_static_selectorELNS0_4arch9wavefront6targetE1EEEvT1_,"axG",@progbits,_ZN7rocprim17ROCPRIM_400000_NS6detail17trampoline_kernelINS0_14default_configENS1_27scan_by_key_config_selectorIisEEZZNS1_16scan_by_key_implILNS1_25lookback_scan_determinismE0ELb0ES3_N6thrust23THRUST_200600_302600_NS6detail15normal_iteratorINS9_10device_ptrIiEEEENSB_INSC_IsEEEESG_sNS9_4plusIvEENS9_8equal_toIvEEsEE10hipError_tPvRmT2_T3_T4_T5_mT6_T7_P12ihipStream_tbENKUlT_T0_E_clISt17integral_constantIbLb1EES11_EEDaSW_SX_EUlSW_E_NS1_11comp_targetILNS1_3genE0ELNS1_11target_archE4294967295ELNS1_3gpuE0ELNS1_3repE0EEENS1_30default_config_static_selectorELNS0_4arch9wavefront6targetE1EEEvT1_,comdat
.Lfunc_end1362:
	.size	_ZN7rocprim17ROCPRIM_400000_NS6detail17trampoline_kernelINS0_14default_configENS1_27scan_by_key_config_selectorIisEEZZNS1_16scan_by_key_implILNS1_25lookback_scan_determinismE0ELb0ES3_N6thrust23THRUST_200600_302600_NS6detail15normal_iteratorINS9_10device_ptrIiEEEENSB_INSC_IsEEEESG_sNS9_4plusIvEENS9_8equal_toIvEEsEE10hipError_tPvRmT2_T3_T4_T5_mT6_T7_P12ihipStream_tbENKUlT_T0_E_clISt17integral_constantIbLb1EES11_EEDaSW_SX_EUlSW_E_NS1_11comp_targetILNS1_3genE0ELNS1_11target_archE4294967295ELNS1_3gpuE0ELNS1_3repE0EEENS1_30default_config_static_selectorELNS0_4arch9wavefront6targetE1EEEvT1_, .Lfunc_end1362-_ZN7rocprim17ROCPRIM_400000_NS6detail17trampoline_kernelINS0_14default_configENS1_27scan_by_key_config_selectorIisEEZZNS1_16scan_by_key_implILNS1_25lookback_scan_determinismE0ELb0ES3_N6thrust23THRUST_200600_302600_NS6detail15normal_iteratorINS9_10device_ptrIiEEEENSB_INSC_IsEEEESG_sNS9_4plusIvEENS9_8equal_toIvEEsEE10hipError_tPvRmT2_T3_T4_T5_mT6_T7_P12ihipStream_tbENKUlT_T0_E_clISt17integral_constantIbLb1EES11_EEDaSW_SX_EUlSW_E_NS1_11comp_targetILNS1_3genE0ELNS1_11target_archE4294967295ELNS1_3gpuE0ELNS1_3repE0EEENS1_30default_config_static_selectorELNS0_4arch9wavefront6targetE1EEEvT1_
                                        ; -- End function
	.section	.AMDGPU.csdata,"",@progbits
; Kernel info:
; codeLenInByte = 0
; NumSgprs: 6
; NumVgprs: 0
; NumAgprs: 0
; TotalNumVgprs: 0
; ScratchSize: 0
; MemoryBound: 0
; FloatMode: 240
; IeeeMode: 1
; LDSByteSize: 0 bytes/workgroup (compile time only)
; SGPRBlocks: 0
; VGPRBlocks: 0
; NumSGPRsForWavesPerEU: 6
; NumVGPRsForWavesPerEU: 1
; AccumOffset: 4
; Occupancy: 8
; WaveLimiterHint : 0
; COMPUTE_PGM_RSRC2:SCRATCH_EN: 0
; COMPUTE_PGM_RSRC2:USER_SGPR: 2
; COMPUTE_PGM_RSRC2:TRAP_HANDLER: 0
; COMPUTE_PGM_RSRC2:TGID_X_EN: 1
; COMPUTE_PGM_RSRC2:TGID_Y_EN: 0
; COMPUTE_PGM_RSRC2:TGID_Z_EN: 0
; COMPUTE_PGM_RSRC2:TIDIG_COMP_CNT: 0
; COMPUTE_PGM_RSRC3_GFX90A:ACCUM_OFFSET: 0
; COMPUTE_PGM_RSRC3_GFX90A:TG_SPLIT: 0
	.section	.text._ZN7rocprim17ROCPRIM_400000_NS6detail17trampoline_kernelINS0_14default_configENS1_27scan_by_key_config_selectorIisEEZZNS1_16scan_by_key_implILNS1_25lookback_scan_determinismE0ELb0ES3_N6thrust23THRUST_200600_302600_NS6detail15normal_iteratorINS9_10device_ptrIiEEEENSB_INSC_IsEEEESG_sNS9_4plusIvEENS9_8equal_toIvEEsEE10hipError_tPvRmT2_T3_T4_T5_mT6_T7_P12ihipStream_tbENKUlT_T0_E_clISt17integral_constantIbLb1EES11_EEDaSW_SX_EUlSW_E_NS1_11comp_targetILNS1_3genE10ELNS1_11target_archE1201ELNS1_3gpuE5ELNS1_3repE0EEENS1_30default_config_static_selectorELNS0_4arch9wavefront6targetE1EEEvT1_,"axG",@progbits,_ZN7rocprim17ROCPRIM_400000_NS6detail17trampoline_kernelINS0_14default_configENS1_27scan_by_key_config_selectorIisEEZZNS1_16scan_by_key_implILNS1_25lookback_scan_determinismE0ELb0ES3_N6thrust23THRUST_200600_302600_NS6detail15normal_iteratorINS9_10device_ptrIiEEEENSB_INSC_IsEEEESG_sNS9_4plusIvEENS9_8equal_toIvEEsEE10hipError_tPvRmT2_T3_T4_T5_mT6_T7_P12ihipStream_tbENKUlT_T0_E_clISt17integral_constantIbLb1EES11_EEDaSW_SX_EUlSW_E_NS1_11comp_targetILNS1_3genE10ELNS1_11target_archE1201ELNS1_3gpuE5ELNS1_3repE0EEENS1_30default_config_static_selectorELNS0_4arch9wavefront6targetE1EEEvT1_,comdat
	.protected	_ZN7rocprim17ROCPRIM_400000_NS6detail17trampoline_kernelINS0_14default_configENS1_27scan_by_key_config_selectorIisEEZZNS1_16scan_by_key_implILNS1_25lookback_scan_determinismE0ELb0ES3_N6thrust23THRUST_200600_302600_NS6detail15normal_iteratorINS9_10device_ptrIiEEEENSB_INSC_IsEEEESG_sNS9_4plusIvEENS9_8equal_toIvEEsEE10hipError_tPvRmT2_T3_T4_T5_mT6_T7_P12ihipStream_tbENKUlT_T0_E_clISt17integral_constantIbLb1EES11_EEDaSW_SX_EUlSW_E_NS1_11comp_targetILNS1_3genE10ELNS1_11target_archE1201ELNS1_3gpuE5ELNS1_3repE0EEENS1_30default_config_static_selectorELNS0_4arch9wavefront6targetE1EEEvT1_ ; -- Begin function _ZN7rocprim17ROCPRIM_400000_NS6detail17trampoline_kernelINS0_14default_configENS1_27scan_by_key_config_selectorIisEEZZNS1_16scan_by_key_implILNS1_25lookback_scan_determinismE0ELb0ES3_N6thrust23THRUST_200600_302600_NS6detail15normal_iteratorINS9_10device_ptrIiEEEENSB_INSC_IsEEEESG_sNS9_4plusIvEENS9_8equal_toIvEEsEE10hipError_tPvRmT2_T3_T4_T5_mT6_T7_P12ihipStream_tbENKUlT_T0_E_clISt17integral_constantIbLb1EES11_EEDaSW_SX_EUlSW_E_NS1_11comp_targetILNS1_3genE10ELNS1_11target_archE1201ELNS1_3gpuE5ELNS1_3repE0EEENS1_30default_config_static_selectorELNS0_4arch9wavefront6targetE1EEEvT1_
	.globl	_ZN7rocprim17ROCPRIM_400000_NS6detail17trampoline_kernelINS0_14default_configENS1_27scan_by_key_config_selectorIisEEZZNS1_16scan_by_key_implILNS1_25lookback_scan_determinismE0ELb0ES3_N6thrust23THRUST_200600_302600_NS6detail15normal_iteratorINS9_10device_ptrIiEEEENSB_INSC_IsEEEESG_sNS9_4plusIvEENS9_8equal_toIvEEsEE10hipError_tPvRmT2_T3_T4_T5_mT6_T7_P12ihipStream_tbENKUlT_T0_E_clISt17integral_constantIbLb1EES11_EEDaSW_SX_EUlSW_E_NS1_11comp_targetILNS1_3genE10ELNS1_11target_archE1201ELNS1_3gpuE5ELNS1_3repE0EEENS1_30default_config_static_selectorELNS0_4arch9wavefront6targetE1EEEvT1_
	.p2align	8
	.type	_ZN7rocprim17ROCPRIM_400000_NS6detail17trampoline_kernelINS0_14default_configENS1_27scan_by_key_config_selectorIisEEZZNS1_16scan_by_key_implILNS1_25lookback_scan_determinismE0ELb0ES3_N6thrust23THRUST_200600_302600_NS6detail15normal_iteratorINS9_10device_ptrIiEEEENSB_INSC_IsEEEESG_sNS9_4plusIvEENS9_8equal_toIvEEsEE10hipError_tPvRmT2_T3_T4_T5_mT6_T7_P12ihipStream_tbENKUlT_T0_E_clISt17integral_constantIbLb1EES11_EEDaSW_SX_EUlSW_E_NS1_11comp_targetILNS1_3genE10ELNS1_11target_archE1201ELNS1_3gpuE5ELNS1_3repE0EEENS1_30default_config_static_selectorELNS0_4arch9wavefront6targetE1EEEvT1_,@function
_ZN7rocprim17ROCPRIM_400000_NS6detail17trampoline_kernelINS0_14default_configENS1_27scan_by_key_config_selectorIisEEZZNS1_16scan_by_key_implILNS1_25lookback_scan_determinismE0ELb0ES3_N6thrust23THRUST_200600_302600_NS6detail15normal_iteratorINS9_10device_ptrIiEEEENSB_INSC_IsEEEESG_sNS9_4plusIvEENS9_8equal_toIvEEsEE10hipError_tPvRmT2_T3_T4_T5_mT6_T7_P12ihipStream_tbENKUlT_T0_E_clISt17integral_constantIbLb1EES11_EEDaSW_SX_EUlSW_E_NS1_11comp_targetILNS1_3genE10ELNS1_11target_archE1201ELNS1_3gpuE5ELNS1_3repE0EEENS1_30default_config_static_selectorELNS0_4arch9wavefront6targetE1EEEvT1_: ; @_ZN7rocprim17ROCPRIM_400000_NS6detail17trampoline_kernelINS0_14default_configENS1_27scan_by_key_config_selectorIisEEZZNS1_16scan_by_key_implILNS1_25lookback_scan_determinismE0ELb0ES3_N6thrust23THRUST_200600_302600_NS6detail15normal_iteratorINS9_10device_ptrIiEEEENSB_INSC_IsEEEESG_sNS9_4plusIvEENS9_8equal_toIvEEsEE10hipError_tPvRmT2_T3_T4_T5_mT6_T7_P12ihipStream_tbENKUlT_T0_E_clISt17integral_constantIbLb1EES11_EEDaSW_SX_EUlSW_E_NS1_11comp_targetILNS1_3genE10ELNS1_11target_archE1201ELNS1_3gpuE5ELNS1_3repE0EEENS1_30default_config_static_selectorELNS0_4arch9wavefront6targetE1EEEvT1_
; %bb.0:
	.section	.rodata,"a",@progbits
	.p2align	6, 0x0
	.amdhsa_kernel _ZN7rocprim17ROCPRIM_400000_NS6detail17trampoline_kernelINS0_14default_configENS1_27scan_by_key_config_selectorIisEEZZNS1_16scan_by_key_implILNS1_25lookback_scan_determinismE0ELb0ES3_N6thrust23THRUST_200600_302600_NS6detail15normal_iteratorINS9_10device_ptrIiEEEENSB_INSC_IsEEEESG_sNS9_4plusIvEENS9_8equal_toIvEEsEE10hipError_tPvRmT2_T3_T4_T5_mT6_T7_P12ihipStream_tbENKUlT_T0_E_clISt17integral_constantIbLb1EES11_EEDaSW_SX_EUlSW_E_NS1_11comp_targetILNS1_3genE10ELNS1_11target_archE1201ELNS1_3gpuE5ELNS1_3repE0EEENS1_30default_config_static_selectorELNS0_4arch9wavefront6targetE1EEEvT1_
		.amdhsa_group_segment_fixed_size 0
		.amdhsa_private_segment_fixed_size 0
		.amdhsa_kernarg_size 112
		.amdhsa_user_sgpr_count 2
		.amdhsa_user_sgpr_dispatch_ptr 0
		.amdhsa_user_sgpr_queue_ptr 0
		.amdhsa_user_sgpr_kernarg_segment_ptr 1
		.amdhsa_user_sgpr_dispatch_id 0
		.amdhsa_user_sgpr_kernarg_preload_length 0
		.amdhsa_user_sgpr_kernarg_preload_offset 0
		.amdhsa_user_sgpr_private_segment_size 0
		.amdhsa_uses_dynamic_stack 0
		.amdhsa_enable_private_segment 0
		.amdhsa_system_sgpr_workgroup_id_x 1
		.amdhsa_system_sgpr_workgroup_id_y 0
		.amdhsa_system_sgpr_workgroup_id_z 0
		.amdhsa_system_sgpr_workgroup_info 0
		.amdhsa_system_vgpr_workitem_id 0
		.amdhsa_next_free_vgpr 1
		.amdhsa_next_free_sgpr 0
		.amdhsa_accum_offset 4
		.amdhsa_reserve_vcc 0
		.amdhsa_float_round_mode_32 0
		.amdhsa_float_round_mode_16_64 0
		.amdhsa_float_denorm_mode_32 3
		.amdhsa_float_denorm_mode_16_64 3
		.amdhsa_dx10_clamp 1
		.amdhsa_ieee_mode 1
		.amdhsa_fp16_overflow 0
		.amdhsa_tg_split 0
		.amdhsa_exception_fp_ieee_invalid_op 0
		.amdhsa_exception_fp_denorm_src 0
		.amdhsa_exception_fp_ieee_div_zero 0
		.amdhsa_exception_fp_ieee_overflow 0
		.amdhsa_exception_fp_ieee_underflow 0
		.amdhsa_exception_fp_ieee_inexact 0
		.amdhsa_exception_int_div_zero 0
	.end_amdhsa_kernel
	.section	.text._ZN7rocprim17ROCPRIM_400000_NS6detail17trampoline_kernelINS0_14default_configENS1_27scan_by_key_config_selectorIisEEZZNS1_16scan_by_key_implILNS1_25lookback_scan_determinismE0ELb0ES3_N6thrust23THRUST_200600_302600_NS6detail15normal_iteratorINS9_10device_ptrIiEEEENSB_INSC_IsEEEESG_sNS9_4plusIvEENS9_8equal_toIvEEsEE10hipError_tPvRmT2_T3_T4_T5_mT6_T7_P12ihipStream_tbENKUlT_T0_E_clISt17integral_constantIbLb1EES11_EEDaSW_SX_EUlSW_E_NS1_11comp_targetILNS1_3genE10ELNS1_11target_archE1201ELNS1_3gpuE5ELNS1_3repE0EEENS1_30default_config_static_selectorELNS0_4arch9wavefront6targetE1EEEvT1_,"axG",@progbits,_ZN7rocprim17ROCPRIM_400000_NS6detail17trampoline_kernelINS0_14default_configENS1_27scan_by_key_config_selectorIisEEZZNS1_16scan_by_key_implILNS1_25lookback_scan_determinismE0ELb0ES3_N6thrust23THRUST_200600_302600_NS6detail15normal_iteratorINS9_10device_ptrIiEEEENSB_INSC_IsEEEESG_sNS9_4plusIvEENS9_8equal_toIvEEsEE10hipError_tPvRmT2_T3_T4_T5_mT6_T7_P12ihipStream_tbENKUlT_T0_E_clISt17integral_constantIbLb1EES11_EEDaSW_SX_EUlSW_E_NS1_11comp_targetILNS1_3genE10ELNS1_11target_archE1201ELNS1_3gpuE5ELNS1_3repE0EEENS1_30default_config_static_selectorELNS0_4arch9wavefront6targetE1EEEvT1_,comdat
.Lfunc_end1363:
	.size	_ZN7rocprim17ROCPRIM_400000_NS6detail17trampoline_kernelINS0_14default_configENS1_27scan_by_key_config_selectorIisEEZZNS1_16scan_by_key_implILNS1_25lookback_scan_determinismE0ELb0ES3_N6thrust23THRUST_200600_302600_NS6detail15normal_iteratorINS9_10device_ptrIiEEEENSB_INSC_IsEEEESG_sNS9_4plusIvEENS9_8equal_toIvEEsEE10hipError_tPvRmT2_T3_T4_T5_mT6_T7_P12ihipStream_tbENKUlT_T0_E_clISt17integral_constantIbLb1EES11_EEDaSW_SX_EUlSW_E_NS1_11comp_targetILNS1_3genE10ELNS1_11target_archE1201ELNS1_3gpuE5ELNS1_3repE0EEENS1_30default_config_static_selectorELNS0_4arch9wavefront6targetE1EEEvT1_, .Lfunc_end1363-_ZN7rocprim17ROCPRIM_400000_NS6detail17trampoline_kernelINS0_14default_configENS1_27scan_by_key_config_selectorIisEEZZNS1_16scan_by_key_implILNS1_25lookback_scan_determinismE0ELb0ES3_N6thrust23THRUST_200600_302600_NS6detail15normal_iteratorINS9_10device_ptrIiEEEENSB_INSC_IsEEEESG_sNS9_4plusIvEENS9_8equal_toIvEEsEE10hipError_tPvRmT2_T3_T4_T5_mT6_T7_P12ihipStream_tbENKUlT_T0_E_clISt17integral_constantIbLb1EES11_EEDaSW_SX_EUlSW_E_NS1_11comp_targetILNS1_3genE10ELNS1_11target_archE1201ELNS1_3gpuE5ELNS1_3repE0EEENS1_30default_config_static_selectorELNS0_4arch9wavefront6targetE1EEEvT1_
                                        ; -- End function
	.section	.AMDGPU.csdata,"",@progbits
; Kernel info:
; codeLenInByte = 0
; NumSgprs: 6
; NumVgprs: 0
; NumAgprs: 0
; TotalNumVgprs: 0
; ScratchSize: 0
; MemoryBound: 0
; FloatMode: 240
; IeeeMode: 1
; LDSByteSize: 0 bytes/workgroup (compile time only)
; SGPRBlocks: 0
; VGPRBlocks: 0
; NumSGPRsForWavesPerEU: 6
; NumVGPRsForWavesPerEU: 1
; AccumOffset: 4
; Occupancy: 8
; WaveLimiterHint : 0
; COMPUTE_PGM_RSRC2:SCRATCH_EN: 0
; COMPUTE_PGM_RSRC2:USER_SGPR: 2
; COMPUTE_PGM_RSRC2:TRAP_HANDLER: 0
; COMPUTE_PGM_RSRC2:TGID_X_EN: 1
; COMPUTE_PGM_RSRC2:TGID_Y_EN: 0
; COMPUTE_PGM_RSRC2:TGID_Z_EN: 0
; COMPUTE_PGM_RSRC2:TIDIG_COMP_CNT: 0
; COMPUTE_PGM_RSRC3_GFX90A:ACCUM_OFFSET: 0
; COMPUTE_PGM_RSRC3_GFX90A:TG_SPLIT: 0
	.section	.text._ZN7rocprim17ROCPRIM_400000_NS6detail17trampoline_kernelINS0_14default_configENS1_27scan_by_key_config_selectorIisEEZZNS1_16scan_by_key_implILNS1_25lookback_scan_determinismE0ELb0ES3_N6thrust23THRUST_200600_302600_NS6detail15normal_iteratorINS9_10device_ptrIiEEEENSB_INSC_IsEEEESG_sNS9_4plusIvEENS9_8equal_toIvEEsEE10hipError_tPvRmT2_T3_T4_T5_mT6_T7_P12ihipStream_tbENKUlT_T0_E_clISt17integral_constantIbLb1EES11_EEDaSW_SX_EUlSW_E_NS1_11comp_targetILNS1_3genE5ELNS1_11target_archE942ELNS1_3gpuE9ELNS1_3repE0EEENS1_30default_config_static_selectorELNS0_4arch9wavefront6targetE1EEEvT1_,"axG",@progbits,_ZN7rocprim17ROCPRIM_400000_NS6detail17trampoline_kernelINS0_14default_configENS1_27scan_by_key_config_selectorIisEEZZNS1_16scan_by_key_implILNS1_25lookback_scan_determinismE0ELb0ES3_N6thrust23THRUST_200600_302600_NS6detail15normal_iteratorINS9_10device_ptrIiEEEENSB_INSC_IsEEEESG_sNS9_4plusIvEENS9_8equal_toIvEEsEE10hipError_tPvRmT2_T3_T4_T5_mT6_T7_P12ihipStream_tbENKUlT_T0_E_clISt17integral_constantIbLb1EES11_EEDaSW_SX_EUlSW_E_NS1_11comp_targetILNS1_3genE5ELNS1_11target_archE942ELNS1_3gpuE9ELNS1_3repE0EEENS1_30default_config_static_selectorELNS0_4arch9wavefront6targetE1EEEvT1_,comdat
	.protected	_ZN7rocprim17ROCPRIM_400000_NS6detail17trampoline_kernelINS0_14default_configENS1_27scan_by_key_config_selectorIisEEZZNS1_16scan_by_key_implILNS1_25lookback_scan_determinismE0ELb0ES3_N6thrust23THRUST_200600_302600_NS6detail15normal_iteratorINS9_10device_ptrIiEEEENSB_INSC_IsEEEESG_sNS9_4plusIvEENS9_8equal_toIvEEsEE10hipError_tPvRmT2_T3_T4_T5_mT6_T7_P12ihipStream_tbENKUlT_T0_E_clISt17integral_constantIbLb1EES11_EEDaSW_SX_EUlSW_E_NS1_11comp_targetILNS1_3genE5ELNS1_11target_archE942ELNS1_3gpuE9ELNS1_3repE0EEENS1_30default_config_static_selectorELNS0_4arch9wavefront6targetE1EEEvT1_ ; -- Begin function _ZN7rocprim17ROCPRIM_400000_NS6detail17trampoline_kernelINS0_14default_configENS1_27scan_by_key_config_selectorIisEEZZNS1_16scan_by_key_implILNS1_25lookback_scan_determinismE0ELb0ES3_N6thrust23THRUST_200600_302600_NS6detail15normal_iteratorINS9_10device_ptrIiEEEENSB_INSC_IsEEEESG_sNS9_4plusIvEENS9_8equal_toIvEEsEE10hipError_tPvRmT2_T3_T4_T5_mT6_T7_P12ihipStream_tbENKUlT_T0_E_clISt17integral_constantIbLb1EES11_EEDaSW_SX_EUlSW_E_NS1_11comp_targetILNS1_3genE5ELNS1_11target_archE942ELNS1_3gpuE9ELNS1_3repE0EEENS1_30default_config_static_selectorELNS0_4arch9wavefront6targetE1EEEvT1_
	.globl	_ZN7rocprim17ROCPRIM_400000_NS6detail17trampoline_kernelINS0_14default_configENS1_27scan_by_key_config_selectorIisEEZZNS1_16scan_by_key_implILNS1_25lookback_scan_determinismE0ELb0ES3_N6thrust23THRUST_200600_302600_NS6detail15normal_iteratorINS9_10device_ptrIiEEEENSB_INSC_IsEEEESG_sNS9_4plusIvEENS9_8equal_toIvEEsEE10hipError_tPvRmT2_T3_T4_T5_mT6_T7_P12ihipStream_tbENKUlT_T0_E_clISt17integral_constantIbLb1EES11_EEDaSW_SX_EUlSW_E_NS1_11comp_targetILNS1_3genE5ELNS1_11target_archE942ELNS1_3gpuE9ELNS1_3repE0EEENS1_30default_config_static_selectorELNS0_4arch9wavefront6targetE1EEEvT1_
	.p2align	8
	.type	_ZN7rocprim17ROCPRIM_400000_NS6detail17trampoline_kernelINS0_14default_configENS1_27scan_by_key_config_selectorIisEEZZNS1_16scan_by_key_implILNS1_25lookback_scan_determinismE0ELb0ES3_N6thrust23THRUST_200600_302600_NS6detail15normal_iteratorINS9_10device_ptrIiEEEENSB_INSC_IsEEEESG_sNS9_4plusIvEENS9_8equal_toIvEEsEE10hipError_tPvRmT2_T3_T4_T5_mT6_T7_P12ihipStream_tbENKUlT_T0_E_clISt17integral_constantIbLb1EES11_EEDaSW_SX_EUlSW_E_NS1_11comp_targetILNS1_3genE5ELNS1_11target_archE942ELNS1_3gpuE9ELNS1_3repE0EEENS1_30default_config_static_selectorELNS0_4arch9wavefront6targetE1EEEvT1_,@function
_ZN7rocprim17ROCPRIM_400000_NS6detail17trampoline_kernelINS0_14default_configENS1_27scan_by_key_config_selectorIisEEZZNS1_16scan_by_key_implILNS1_25lookback_scan_determinismE0ELb0ES3_N6thrust23THRUST_200600_302600_NS6detail15normal_iteratorINS9_10device_ptrIiEEEENSB_INSC_IsEEEESG_sNS9_4plusIvEENS9_8equal_toIvEEsEE10hipError_tPvRmT2_T3_T4_T5_mT6_T7_P12ihipStream_tbENKUlT_T0_E_clISt17integral_constantIbLb1EES11_EEDaSW_SX_EUlSW_E_NS1_11comp_targetILNS1_3genE5ELNS1_11target_archE942ELNS1_3gpuE9ELNS1_3repE0EEENS1_30default_config_static_selectorELNS0_4arch9wavefront6targetE1EEEvT1_: ; @_ZN7rocprim17ROCPRIM_400000_NS6detail17trampoline_kernelINS0_14default_configENS1_27scan_by_key_config_selectorIisEEZZNS1_16scan_by_key_implILNS1_25lookback_scan_determinismE0ELb0ES3_N6thrust23THRUST_200600_302600_NS6detail15normal_iteratorINS9_10device_ptrIiEEEENSB_INSC_IsEEEESG_sNS9_4plusIvEENS9_8equal_toIvEEsEE10hipError_tPvRmT2_T3_T4_T5_mT6_T7_P12ihipStream_tbENKUlT_T0_E_clISt17integral_constantIbLb1EES11_EEDaSW_SX_EUlSW_E_NS1_11comp_targetILNS1_3genE5ELNS1_11target_archE942ELNS1_3gpuE9ELNS1_3repE0EEENS1_30default_config_static_selectorELNS0_4arch9wavefront6targetE1EEEvT1_
; %bb.0:
	s_load_dwordx4 s[76:79], s[0:1], 0x28
	s_load_dwordx2 s[80:81], s[0:1], 0x38
	v_cmp_ne_u32_e64 s[4:5], 0, v0
	v_cmp_eq_u32_e64 s[56:57], 0, v0
	s_and_saveexec_b64 s[2:3], s[56:57]
	s_cbranch_execz .LBB1364_4
; %bb.1:
	s_mov_b64 s[8:9], exec
	v_mbcnt_lo_u32_b32 v1, s8, 0
	v_mbcnt_hi_u32_b32 v1, s9, v1
	v_cmp_eq_u32_e32 vcc, 0, v1
                                        ; implicit-def: $vgpr2
	s_and_saveexec_b64 s[6:7], vcc
	s_cbranch_execz .LBB1364_3
; %bb.2:
	s_load_dwordx2 s[10:11], s[0:1], 0x68
	s_bcnt1_i32_b64 s8, s[8:9]
	v_mov_b32_e32 v2, 0
	v_mov_b32_e32 v3, s8
	s_waitcnt lgkmcnt(0)
	global_atomic_add v2, v2, v3, s[10:11] sc0
.LBB1364_3:
	s_or_b64 exec, exec, s[6:7]
	s_waitcnt vmcnt(0)
	v_readfirstlane_b32 s6, v2
	v_mov_b32_e32 v2, 0
	s_nop 0
	v_add_u32_e32 v1, s6, v1
	ds_write_b32 v2, v1
.LBB1364_4:
	s_or_b64 exec, exec, s[2:3]
	s_load_dwordx8 s[60:67], s[0:1], 0x0
	s_load_dword s2, s[0:1], 0x40
	s_load_dwordx8 s[68:75], s[0:1], 0x48
	v_mov_b32_e32 v1, 0
	s_waitcnt lgkmcnt(0)
	s_barrier
	ds_read_b32 v1, v1
	s_lshl_b64 s[0:1], s[62:63], 2
	s_add_u32 s6, s60, s0
	s_addc_u32 s7, s61, s1
	s_lshl_b64 s[58:59], s[62:63], 1
	s_add_u32 s8, s64, s58
	s_mul_i32 s0, s81, s2
	s_mul_hi_u32 s1, s80, s2
	s_addc_u32 s9, s65, s59
	s_add_i32 s10, s1, s0
	s_waitcnt lgkmcnt(0)
	v_readfirstlane_b32 s79, v1
	s_cmp_lg_u64 s[72:73], 0
	s_mov_b32 s1, 0
	s_mul_i32 s0, s79, 0x1800
	s_mul_i32 s11, s80, s2
	s_cselect_b64 s[72:73], -1, 0
	s_lshl_b64 s[2:3], s[0:1], 2
	s_add_u32 s64, s6, s2
	s_addc_u32 s65, s7, s3
	s_lshl_b64 s[60:61], s[0:1], 1
	s_add_u32 s62, s8, s60
	s_addc_u32 s63, s9, s61
	s_add_u32 s82, s11, s79
	s_addc_u32 s83, s10, 0
	s_add_u32 s0, s68, -1
	s_addc_u32 s1, s69, -1
	v_mov_b64_e32 v[2:3], s[0:1]
	v_cmp_ge_u64_e64 s[2:3], s[82:83], v[2:3]
	s_mov_b64 s[12:13], 0
	s_mov_b64 s[6:7], -1
	s_and_b64 vcc, exec, s[2:3]
	s_mul_i32 s33, s0, 0xffffe800
	s_barrier
	s_barrier
	s_cbranch_vccz .LBB1364_131
; %bb.5:
	v_mov_b64_e32 v[2:3], s[64:65]
	flat_load_dword v2, v[2:3]
	s_add_i32 s86, s33, s78
	v_cmp_gt_u32_e64 s[6:7], s86, v0
	s_waitcnt vmcnt(0) lgkmcnt(0)
	v_mov_b32_e32 v3, v2
	s_and_saveexec_b64 s[0:1], s[6:7]
	s_cbranch_execz .LBB1364_7
; %bb.6:
	v_lshlrev_b32_e32 v4, 2, v0
	v_mov_b32_e32 v5, 0
	v_lshl_add_u64 v[4:5], s[64:65], 0, v[4:5]
	flat_load_dword v3, v[4:5]
.LBB1364_7:
	s_or_b64 exec, exec, s[0:1]
	v_or_b32_e32 v1, 0x100, v0
	v_cmp_gt_u32_e64 s[8:9], s86, v1
	v_mov_b32_e32 v19, v2
	s_and_saveexec_b64 s[0:1], s[8:9]
	s_cbranch_execz .LBB1364_9
; %bb.8:
	v_lshlrev_b32_e32 v4, 2, v0
	v_mov_b32_e32 v5, 0
	v_lshl_add_u64 v[4:5], s[64:65], 0, v[4:5]
	flat_load_dword v19, v[4:5] offset:1024
.LBB1364_9:
	s_or_b64 exec, exec, s[0:1]
	v_or_b32_e32 v1, 0x200, v0
	v_cmp_gt_u32_e64 s[10:11], s86, v1
	v_mov_b32_e32 v20, v2
	s_and_saveexec_b64 s[0:1], s[10:11]
	s_cbranch_execz .LBB1364_11
; %bb.10:
	v_lshlrev_b32_e32 v4, 2, v0
	v_mov_b32_e32 v5, 0
	v_lshl_add_u64 v[4:5], s[64:65], 0, v[4:5]
	flat_load_dword v20, v[4:5] offset:2048
.LBB1364_11:
	;; [unrolled: 12-line block ×3, first 2 shown]
	s_or_b64 exec, exec, s[0:1]
	v_or_b32_e32 v1, 0x400, v0
	v_cmp_gt_u32_e64 s[14:15], s86, v1
	v_mov_b32_e32 v22, v2
	s_and_saveexec_b64 s[0:1], s[14:15]
	s_cbranch_execz .LBB1364_15
; %bb.14:
	v_lshlrev_b32_e32 v4, 2, v1
	v_mov_b32_e32 v5, 0
	v_lshl_add_u64 v[4:5], s[64:65], 0, v[4:5]
	flat_load_dword v22, v[4:5]
.LBB1364_15:
	s_or_b64 exec, exec, s[0:1]
	v_or_b32_e32 v1, 0x500, v0
	v_cmp_gt_u32_e64 s[16:17], s86, v1
	v_mov_b32_e32 v23, v2
	s_and_saveexec_b64 s[0:1], s[16:17]
	s_cbranch_execz .LBB1364_17
; %bb.16:
	v_lshlrev_b32_e32 v4, 2, v1
	v_mov_b32_e32 v5, 0
	v_lshl_add_u64 v[4:5], s[64:65], 0, v[4:5]
	flat_load_dword v23, v[4:5]
.LBB1364_17:
	;; [unrolled: 12-line block ×19, first 2 shown]
	s_or_b64 exec, exec, s[0:1]
	v_or_b32_e32 v18, 0x1700, v0
	v_cmp_gt_u32_e64 s[54:55], s86, v18
	s_and_saveexec_b64 s[0:1], s[54:55]
	s_cbranch_execz .LBB1364_53
; %bb.52:
	v_lshlrev_b32_e32 v42, 2, v18
	v_mov_b32_e32 v43, 0
	v_lshl_add_u64 v[42:43], s[64:65], 0, v[42:43]
	flat_load_dword v2, v[42:43]
.LBB1364_53:
	s_or_b64 exec, exec, s[0:1]
	v_lshlrev_b32_e32 v41, 2, v0
	s_movk_i32 s0, 0x5c
	s_waitcnt vmcnt(0) lgkmcnt(0)
	ds_write2st64_b32 v41, v3, v19 offset1:4
	ds_write2st64_b32 v41, v20, v21 offset0:8 offset1:12
	ds_write2st64_b32 v41, v22, v23 offset0:16 offset1:20
	;; [unrolled: 1-line block ×11, first 2 shown]
	v_mad_u32_u24 v2, v0, s0, v41
	s_waitcnt lgkmcnt(0)
	s_barrier
	ds_read_b128 v[42:45], v2
	ds_read_b128 v[38:41], v2 offset:16
	ds_read_b128 v[34:37], v2 offset:32
	;; [unrolled: 1-line block ×5, first 2 shown]
	s_cmp_eq_u64 s[82:83], 0
	s_mov_b64 s[0:1], s[64:65]
	s_cbranch_scc1 .LBB1364_57
; %bb.54:
	s_andn2_b64 vcc, exec, s[72:73]
	s_cbranch_vccnz .LBB1364_323
; %bb.55:
	s_lshl_b64 s[0:1], s[82:83], 2
	s_add_u32 s0, s74, s0
	s_addc_u32 s1, s75, s1
	s_add_u32 s0, s0, -4
	s_addc_u32 s1, s1, -1
	s_cbranch_execnz .LBB1364_57
.LBB1364_56:
	s_add_u32 s0, s64, -4
	s_addc_u32 s1, s65, -1
.LBB1364_57:
	v_mov_b64_e32 v[20:21], s[0:1]
	flat_load_dword v46, v[20:21]
	s_movk_i32 s0, 0xffa4
	v_mad_i32_i24 v19, v0, s0, v2
	s_waitcnt lgkmcnt(0)
	ds_write_b32 v19, v25 offset:24576
	s_waitcnt lgkmcnt(0)
	s_barrier
	s_and_saveexec_b64 s[0:1], s[4:5]
	s_cbranch_execz .LBB1364_59
; %bb.58:
	s_waitcnt vmcnt(0)
	ds_read_b32 v46, v19 offset:24572
.LBB1364_59:
	s_or_b64 exec, exec, s[0:1]
	v_mov_b32_e32 v3, 0
	s_waitcnt lgkmcnt(0)
	s_barrier
	s_waitcnt lgkmcnt(0)
                                        ; implicit-def: $vgpr2
	s_and_saveexec_b64 s[0:1], s[6:7]
	s_cbranch_execnz .LBB1364_300
; %bb.60:
	s_or_b64 exec, exec, s[0:1]
                                        ; implicit-def: $vgpr3
	s_and_saveexec_b64 s[0:1], s[8:9]
	s_cbranch_execnz .LBB1364_301
.LBB1364_61:
	s_or_b64 exec, exec, s[0:1]
                                        ; implicit-def: $vgpr20
	s_and_saveexec_b64 s[0:1], s[10:11]
	s_cbranch_execnz .LBB1364_302
.LBB1364_62:
	s_or_b64 exec, exec, s[0:1]
                                        ; implicit-def: $vgpr21
	s_and_saveexec_b64 s[0:1], s[12:13]
	s_cbranch_execnz .LBB1364_303
.LBB1364_63:
	s_or_b64 exec, exec, s[0:1]
                                        ; implicit-def: $vgpr47
	s_and_saveexec_b64 s[0:1], s[14:15]
	s_cbranch_execnz .LBB1364_304
.LBB1364_64:
	s_or_b64 exec, exec, s[0:1]
                                        ; implicit-def: $vgpr48
	s_and_saveexec_b64 s[0:1], s[16:17]
	s_cbranch_execnz .LBB1364_305
.LBB1364_65:
	s_or_b64 exec, exec, s[0:1]
                                        ; implicit-def: $vgpr49
	s_and_saveexec_b64 s[0:1], s[18:19]
	s_cbranch_execnz .LBB1364_306
.LBB1364_66:
	s_or_b64 exec, exec, s[0:1]
                                        ; implicit-def: $vgpr50
	s_and_saveexec_b64 s[0:1], s[20:21]
	s_cbranch_execnz .LBB1364_307
.LBB1364_67:
	s_or_b64 exec, exec, s[0:1]
                                        ; implicit-def: $vgpr51
	s_and_saveexec_b64 s[0:1], s[22:23]
	s_cbranch_execnz .LBB1364_308
.LBB1364_68:
	s_or_b64 exec, exec, s[0:1]
                                        ; implicit-def: $vgpr1
	s_and_saveexec_b64 s[0:1], s[24:25]
	s_cbranch_execnz .LBB1364_309
.LBB1364_69:
	s_or_b64 exec, exec, s[0:1]
                                        ; implicit-def: $vgpr4
	s_and_saveexec_b64 s[0:1], s[26:27]
	s_cbranch_execnz .LBB1364_310
.LBB1364_70:
	s_or_b64 exec, exec, s[0:1]
                                        ; implicit-def: $vgpr5
	s_and_saveexec_b64 s[0:1], s[28:29]
	s_cbranch_execnz .LBB1364_311
.LBB1364_71:
	s_or_b64 exec, exec, s[0:1]
                                        ; implicit-def: $vgpr6
	s_and_saveexec_b64 s[0:1], s[30:31]
	s_cbranch_execnz .LBB1364_312
.LBB1364_72:
	s_or_b64 exec, exec, s[0:1]
                                        ; implicit-def: $vgpr7
	s_and_saveexec_b64 s[0:1], s[34:35]
	s_cbranch_execnz .LBB1364_313
.LBB1364_73:
	s_or_b64 exec, exec, s[0:1]
                                        ; implicit-def: $vgpr8
	s_and_saveexec_b64 s[0:1], s[36:37]
	s_cbranch_execnz .LBB1364_314
.LBB1364_74:
	s_or_b64 exec, exec, s[0:1]
                                        ; implicit-def: $vgpr9
	s_and_saveexec_b64 s[0:1], s[38:39]
	s_cbranch_execnz .LBB1364_315
.LBB1364_75:
	s_or_b64 exec, exec, s[0:1]
                                        ; implicit-def: $vgpr10
	s_and_saveexec_b64 s[0:1], s[40:41]
	s_cbranch_execnz .LBB1364_316
.LBB1364_76:
	s_or_b64 exec, exec, s[0:1]
                                        ; implicit-def: $vgpr11
	s_and_saveexec_b64 s[0:1], s[42:43]
	s_cbranch_execnz .LBB1364_317
.LBB1364_77:
	s_or_b64 exec, exec, s[0:1]
                                        ; implicit-def: $vgpr12
	s_and_saveexec_b64 s[0:1], s[44:45]
	s_cbranch_execnz .LBB1364_318
.LBB1364_78:
	s_or_b64 exec, exec, s[0:1]
                                        ; implicit-def: $vgpr13
	s_and_saveexec_b64 s[0:1], s[46:47]
	s_cbranch_execnz .LBB1364_319
.LBB1364_79:
	s_or_b64 exec, exec, s[0:1]
                                        ; implicit-def: $vgpr14
	s_and_saveexec_b64 s[0:1], s[48:49]
	s_cbranch_execnz .LBB1364_320
.LBB1364_80:
	s_or_b64 exec, exec, s[0:1]
                                        ; implicit-def: $vgpr15
	s_and_saveexec_b64 s[0:1], s[50:51]
	s_cbranch_execnz .LBB1364_321
.LBB1364_81:
	s_or_b64 exec, exec, s[0:1]
                                        ; implicit-def: $vgpr16
	s_and_saveexec_b64 s[0:1], s[52:53]
	s_cbranch_execnz .LBB1364_322
.LBB1364_82:
	s_or_b64 exec, exec, s[0:1]
                                        ; implicit-def: $vgpr17
	s_and_saveexec_b64 s[0:1], s[54:55]
	s_cbranch_execz .LBB1364_84
.LBB1364_83:
	v_lshlrev_b32_e32 v52, 1, v18
	v_mov_b32_e32 v53, 0
	v_lshl_add_u64 v[52:53], s[62:63], 0, v[52:53]
	flat_load_ushort v17, v[52:53]
.LBB1364_84:
	s_or_b64 exec, exec, s[0:1]
	v_lshlrev_b32_e32 v18, 1, v0
	s_mov_b32 s8, 0
	v_sub_u32_e32 v54, v19, v18
	s_mov_b32 s9, s8
	s_mov_b32 s24, s8
	s_mov_b32 s25, s8
	v_mul_u32_u24_e32 v53, 24, v0
	s_waitcnt vmcnt(0) lgkmcnt(0)
	ds_write_b16 v54, v2
	ds_write_b16 v54, v3 offset:512
	ds_write_b16 v54, v20 offset:1024
	;; [unrolled: 1-line block ×23, first 2 shown]
	s_mov_b32 s10, s8
	s_mov_b32 s11, s8
	;; [unrolled: 1-line block ×18, first 2 shown]
	v_mov_b64_e32 v[18:19], s[24:25]
	v_mov_b64_e32 v[2:3], s[8:9]
	v_cmp_gt_u32_e32 vcc, s86, v53
	s_mov_b64 s[6:7], 0
	v_mov_b64_e32 v[50:51], s[0:1]
	v_mov_b64_e32 v[20:21], s[26:27]
	;; [unrolled: 1-line block ×9, first 2 shown]
	v_mov_b32_e32 v1, 0
	s_mov_b64 s[12:13], 0
	s_waitcnt lgkmcnt(0)
	s_barrier
	s_waitcnt lgkmcnt(0)
                                        ; implicit-def: $sgpr0_sgpr1
                                        ; implicit-def: $vgpr52
	s_and_saveexec_b64 s[10:11], vcc
	s_cbranch_execz .LBB1364_130
; %bb.85:
	v_mad_u32_u24 v1, v0, 46, v54
	ds_read_u16 v1, v1
	v_cmp_ne_u32_e32 vcc, v46, v42
	s_mov_b32 s12, 0
	v_or_b32_e32 v2, 1, v53
	v_cndmask_b32_e64 v3, 0, 1, vcc
	s_mov_b32 s13, s12
	s_mov_b32 s28, s12
	;; [unrolled: 1-line block ×3, first 2 shown]
	v_cmp_gt_u32_e32 vcc, s86, v2
	s_waitcnt lgkmcnt(0)
	v_lshl_or_b32 v1, v3, 16, v1
	s_mov_b32 s14, s12
	s_mov_b32 s15, s12
	;; [unrolled: 1-line block ×18, first 2 shown]
	v_mov_b64_e32 v[18:19], s[28:29]
	v_mov_b64_e32 v[2:3], s[12:13]
	s_mov_b64 s[36:37], 0
	v_mov_b64_e32 v[50:51], s[0:1]
	v_mov_b64_e32 v[20:21], s[30:31]
	;; [unrolled: 1-line block ×9, first 2 shown]
                                        ; implicit-def: $sgpr38_sgpr39
                                        ; implicit-def: $vgpr52
	s_and_saveexec_b64 s[34:35], vcc
	s_cbranch_execz .LBB1364_129
; %bb.86:
	v_mul_u32_u24_e32 v2, 46, v0
	v_add_u32_e32 v54, v54, v2
	ds_read_b128 v[46:49], v54 offset:2
	v_or_b32_e32 v2, 2, v53
	v_cmp_ne_u32_e32 vcc, v42, v43
	v_mov_b64_e32 v[18:19], s[28:29]
	v_mov_b32_e32 v51, 0
	v_cndmask_b32_e64 v3, 0, 1, vcc
	v_cmp_gt_u32_e32 vcc, s86, v2
	s_waitcnt lgkmcnt(0)
	v_and_b32_e32 v2, 0xffff, v46
	v_lshl_or_b32 v50, v3, 16, v2
	v_mov_b64_e32 v[2:3], s[12:13]
	s_mov_b64 s[0:1], 0
	v_mov_b64_e32 v[20:21], s[30:31]
	v_mov_b64_e32 v[4:5], s[14:15]
	;; [unrolled: 1-line block ×8, first 2 shown]
                                        ; implicit-def: $sgpr12_sgpr13
                                        ; implicit-def: $vgpr52
	s_and_saveexec_b64 s[28:29], vcc
	s_cbranch_execz .LBB1364_128
; %bb.87:
	v_cmp_ne_u32_e32 vcc, v43, v44
	s_mov_b32 s12, 0
	v_or_b32_e32 v2, 3, v53
	v_cndmask_b32_e64 v3, 0, 1, vcc
	s_mov_b32 s13, s12
	s_mov_b32 s36, s12
	;; [unrolled: 1-line block ×3, first 2 shown]
	v_alignbit_b32 v51, v3, v46, 16
	v_cmp_gt_u32_e32 vcc, s86, v2
	s_mov_b32 s14, s12
	s_mov_b32 s15, s12
	;; [unrolled: 1-line block ×16, first 2 shown]
	v_mov_b64_e32 v[18:19], s[36:37]
	v_mov_b64_e32 v[2:3], s[12:13]
	;; [unrolled: 1-line block ×10, first 2 shown]
                                        ; implicit-def: $sgpr36_sgpr37
                                        ; implicit-def: $vgpr52
	s_and_saveexec_b64 s[30:31], vcc
	s_cbranch_execz .LBB1364_127
; %bb.88:
	v_cmp_ne_u32_e32 vcc, v44, v45
	v_and_b32_e32 v2, 0xffff, v47
	v_or_b32_e32 v3, 4, v53
	v_cndmask_b32_e64 v4, 0, 1, vcc
	v_lshl_or_b32 v18, v4, 16, v2
	v_cmp_gt_u32_e32 vcc, s86, v3
	v_mov_b32_e32 v20, 0
	v_mov_b64_e32 v[2:3], s[12:13]
	v_mov_b32_e32 v19, v20
	v_mov_b32_e32 v21, v20
	v_mov_b64_e32 v[4:5], s[14:15]
	v_mov_b64_e32 v[6:7], s[16:17]
	;; [unrolled: 1-line block ×7, first 2 shown]
                                        ; implicit-def: $sgpr12_sgpr13
                                        ; implicit-def: $vgpr52
	s_and_saveexec_b64 s[36:37], vcc
	s_cbranch_execz .LBB1364_126
; %bb.89:
	v_cmp_ne_u32_e32 vcc, v45, v38
	s_mov_b32 s12, 0
	v_or_b32_e32 v2, 5, v53
	v_cndmask_b32_e64 v3, 0, 1, vcc
	s_mov_b32 s13, s12
	v_alignbit_b32 v19, v3, v47, 16
	v_cmp_gt_u32_e32 vcc, s86, v2
	s_mov_b32 s14, s12
	s_mov_b32 s15, s12
	;; [unrolled: 1-line block ×14, first 2 shown]
	v_mov_b64_e32 v[2:3], s[12:13]
	v_mov_b32_e32 v21, v20
	v_mov_b64_e32 v[4:5], s[14:15]
	v_mov_b64_e32 v[6:7], s[16:17]
	;; [unrolled: 1-line block ×7, first 2 shown]
                                        ; implicit-def: $sgpr40_sgpr41
                                        ; implicit-def: $vgpr52
	s_and_saveexec_b64 s[38:39], vcc
	s_cbranch_execz .LBB1364_125
; %bb.90:
	v_cmp_ne_u32_e32 vcc, v38, v39
	v_and_b32_e32 v2, 0xffff, v48
	v_or_b32_e32 v3, 6, v53
	v_cndmask_b32_e64 v4, 0, 1, vcc
	v_lshl_or_b32 v20, v4, 16, v2
	v_cmp_gt_u32_e32 vcc, s86, v3
	v_mov_b64_e32 v[2:3], s[12:13]
	v_mov_b32_e32 v21, s12
	v_mov_b64_e32 v[4:5], s[14:15]
	v_mov_b64_e32 v[6:7], s[16:17]
	v_mov_b64_e32 v[8:9], s[18:19]
	v_mov_b64_e32 v[10:11], s[20:21]
	v_mov_b64_e32 v[12:13], s[22:23]
	v_mov_b64_e32 v[14:15], s[24:25]
	v_mov_b64_e32 v[16:17], s[26:27]
                                        ; implicit-def: $sgpr12_sgpr13
                                        ; implicit-def: $vgpr52
	s_and_saveexec_b64 s[40:41], vcc
	s_cbranch_execz .LBB1364_124
; %bb.91:
	v_cmp_ne_u32_e32 vcc, v39, v40
	s_mov_b32 s12, 0
	v_or_b32_e32 v2, 7, v53
	v_cndmask_b32_e64 v3, 0, 1, vcc
	s_mov_b32 s13, s12
	v_alignbit_b32 v21, v3, v48, 16
	v_cmp_gt_u32_e32 vcc, s86, v2
	s_mov_b32 s14, s12
	s_mov_b32 s15, s12
	;; [unrolled: 1-line block ×14, first 2 shown]
	v_mov_b64_e32 v[2:3], s[12:13]
	v_mov_b64_e32 v[4:5], s[14:15]
	;; [unrolled: 1-line block ×8, first 2 shown]
                                        ; implicit-def: $sgpr14_sgpr15
                                        ; implicit-def: $vgpr52
	s_and_saveexec_b64 s[12:13], vcc
	s_cbranch_execz .LBB1364_123
; %bb.92:
	v_cmp_ne_u32_e32 vcc, v40, v41
	v_and_b32_e32 v2, 0xffff, v49
	v_add_u32_e32 v3, 8, v53
	v_cndmask_b32_e64 v4, 0, 1, vcc
	v_lshl_or_b32 v2, v4, 16, v2
	v_mov_b32_e32 v4, 0
	v_cmp_gt_u32_e32 vcc, s86, v3
	v_mov_b32_e32 v3, v4
	v_mov_b32_e32 v5, v4
	;; [unrolled: 1-line block ×14, first 2 shown]
                                        ; implicit-def: $sgpr16_sgpr17
                                        ; implicit-def: $vgpr52
	s_and_saveexec_b64 s[14:15], vcc
	s_cbranch_execz .LBB1364_122
; %bb.93:
	v_cmp_ne_u32_e32 vcc, v41, v34
	v_add_u32_e32 v5, 9, v53
	v_mov_b32_e32 v6, v4
	v_cndmask_b32_e64 v3, 0, 1, vcc
	v_alignbit_b32 v3, v3, v49, 16
	v_cmp_gt_u32_e32 vcc, s86, v5
	v_mov_b32_e32 v5, v4
	v_mov_b32_e32 v7, v4
	;; [unrolled: 1-line block ×12, first 2 shown]
                                        ; implicit-def: $sgpr18_sgpr19
                                        ; implicit-def: $vgpr52
	s_and_saveexec_b64 s[16:17], vcc
	s_cbranch_execz .LBB1364_121
; %bb.94:
	ds_read_b128 v[38:41], v54 offset:18
	v_add_u32_e32 v4, 10, v53
	v_cmp_ne_u32_e32 vcc, v34, v35
	v_mov_b32_e32 v6, 0
	v_mov_b32_e32 v7, v6
	v_cndmask_b32_e64 v5, 0, 1, vcc
	v_cmp_gt_u32_e32 vcc, s86, v4
	s_waitcnt lgkmcnt(0)
	v_and_b32_e32 v4, 0xffff, v38
	v_lshl_or_b32 v4, v5, 16, v4
	v_mov_b32_e32 v5, v6
	v_mov_b32_e32 v8, v6
	;; [unrolled: 1-line block ×11, first 2 shown]
                                        ; implicit-def: $sgpr20_sgpr21
                                        ; implicit-def: $vgpr52
	s_and_saveexec_b64 s[18:19], vcc
	s_cbranch_execz .LBB1364_120
; %bb.95:
	v_cmp_ne_u32_e32 vcc, v35, v36
	v_add_u32_e32 v7, 11, v53
	v_mov_b32_e32 v8, v6
	v_cndmask_b32_e64 v5, 0, 1, vcc
	v_alignbit_b32 v5, v5, v38, 16
	v_cmp_gt_u32_e32 vcc, s86, v7
	v_mov_b32_e32 v7, v6
	v_mov_b32_e32 v9, v6
	;; [unrolled: 1-line block ×10, first 2 shown]
                                        ; implicit-def: $sgpr22_sgpr23
                                        ; implicit-def: $vgpr52
	s_and_saveexec_b64 s[20:21], vcc
	s_cbranch_execz .LBB1364_119
; %bb.96:
	v_cmp_ne_u32_e32 vcc, v36, v37
	v_and_b32_e32 v6, 0xffff, v39
	v_add_u32_e32 v7, 12, v53
	v_cndmask_b32_e64 v8, 0, 1, vcc
	v_lshl_or_b32 v6, v8, 16, v6
	v_mov_b32_e32 v8, 0
	v_cmp_gt_u32_e32 vcc, s86, v7
	v_mov_b32_e32 v7, v8
	v_mov_b32_e32 v9, v8
	;; [unrolled: 1-line block ×10, first 2 shown]
                                        ; implicit-def: $sgpr24_sgpr25
                                        ; implicit-def: $vgpr52
	s_and_saveexec_b64 s[22:23], vcc
	s_cbranch_execz .LBB1364_118
; %bb.97:
	v_cmp_ne_u32_e32 vcc, v37, v30
	v_add_u32_e32 v9, 13, v53
	v_mov_b32_e32 v10, v8
	v_cndmask_b32_e64 v7, 0, 1, vcc
	v_alignbit_b32 v7, v7, v39, 16
	v_cmp_gt_u32_e32 vcc, s86, v9
	v_mov_b32_e32 v9, v8
	v_mov_b32_e32 v11, v8
	;; [unrolled: 1-line block ×8, first 2 shown]
                                        ; implicit-def: $sgpr26_sgpr27
                                        ; implicit-def: $vgpr52
	s_and_saveexec_b64 s[24:25], vcc
	s_cbranch_execz .LBB1364_117
; %bb.98:
	v_cmp_ne_u32_e32 vcc, v30, v31
	v_and_b32_e32 v8, 0xffff, v40
	v_add_u32_e32 v9, 14, v53
	v_cndmask_b32_e64 v10, 0, 1, vcc
	v_lshl_or_b32 v8, v10, 16, v8
	v_mov_b32_e32 v10, 0
	v_cmp_gt_u32_e32 vcc, s86, v9
	v_mov_b32_e32 v9, v10
	v_mov_b32_e32 v11, v10
	;; [unrolled: 1-line block ×8, first 2 shown]
                                        ; implicit-def: $sgpr42_sgpr43
                                        ; implicit-def: $vgpr52
	s_and_saveexec_b64 s[26:27], vcc
	s_cbranch_execz .LBB1364_116
; %bb.99:
	v_cmp_ne_u32_e32 vcc, v31, v32
	v_add_u32_e32 v11, 15, v53
	v_mov_b32_e32 v12, v10
	v_cndmask_b32_e64 v9, 0, 1, vcc
	v_alignbit_b32 v9, v9, v40, 16
	v_cmp_gt_u32_e32 vcc, s86, v11
	v_mov_b32_e32 v11, v10
	v_mov_b32_e32 v13, v10
	;; [unrolled: 1-line block ×6, first 2 shown]
                                        ; implicit-def: $sgpr44_sgpr45
                                        ; implicit-def: $vgpr52
	s_and_saveexec_b64 s[42:43], vcc
	s_cbranch_execz .LBB1364_115
; %bb.100:
	v_cmp_ne_u32_e32 vcc, v32, v33
	v_and_b32_e32 v10, 0xffff, v41
	v_add_u32_e32 v11, 16, v53
	v_cndmask_b32_e64 v12, 0, 1, vcc
	v_lshl_or_b32 v10, v12, 16, v10
	v_mov_b32_e32 v12, 0
	v_cmp_gt_u32_e32 vcc, s86, v11
	v_mov_b32_e32 v11, v12
	v_mov_b32_e32 v13, v12
	;; [unrolled: 1-line block ×6, first 2 shown]
                                        ; implicit-def: $sgpr46_sgpr47
                                        ; implicit-def: $vgpr52
	s_and_saveexec_b64 s[44:45], vcc
	s_cbranch_execz .LBB1364_114
; %bb.101:
	v_cmp_ne_u32_e32 vcc, v33, v26
	v_add_u32_e32 v13, 17, v53
	v_mov_b32_e32 v14, v12
	v_cndmask_b32_e64 v11, 0, 1, vcc
	v_alignbit_b32 v11, v11, v41, 16
	v_cmp_gt_u32_e32 vcc, s86, v13
	v_mov_b32_e32 v13, v12
	v_mov_b32_e32 v15, v12
	;; [unrolled: 1-line block ×4, first 2 shown]
                                        ; implicit-def: $sgpr48_sgpr49
                                        ; implicit-def: $vgpr52
	s_and_saveexec_b64 s[46:47], vcc
	s_cbranch_execz .LBB1364_113
; %bb.102:
	ds_read_b96 v[30:32], v54 offset:34
	v_add_u32_e32 v12, 18, v53
	v_cmp_ne_u32_e32 vcc, v26, v27
	v_mov_b32_e32 v14, 0
	v_mov_b32_e32 v15, v14
	v_cndmask_b32_e64 v13, 0, 1, vcc
	v_cmp_gt_u32_e32 vcc, s86, v12
	s_waitcnt lgkmcnt(0)
	v_and_b32_e32 v12, 0xffff, v30
	v_lshl_or_b32 v12, v13, 16, v12
	v_mov_b32_e32 v13, v14
	v_mov_b32_e32 v16, v14
	;; [unrolled: 1-line block ×3, first 2 shown]
                                        ; implicit-def: $sgpr50_sgpr51
                                        ; implicit-def: $vgpr52
	s_and_saveexec_b64 s[48:49], vcc
	s_cbranch_execz .LBB1364_112
; %bb.103:
	v_cmp_ne_u32_e32 vcc, v27, v28
	v_add_u32_e32 v15, 19, v53
	v_mov_b32_e32 v16, v14
	v_cndmask_b32_e64 v13, 0, 1, vcc
	v_alignbit_b32 v13, v13, v30, 16
	v_cmp_gt_u32_e32 vcc, s86, v15
	v_mov_b32_e32 v15, v14
	v_mov_b32_e32 v17, v14
                                        ; implicit-def: $sgpr52_sgpr53
                                        ; implicit-def: $vgpr52
	s_and_saveexec_b64 s[50:51], vcc
	s_cbranch_execz .LBB1364_111
; %bb.104:
	v_cmp_ne_u32_e32 vcc, v28, v29
	v_and_b32_e32 v14, 0xffff, v31
	v_add_u32_e32 v15, 20, v53
	v_cndmask_b32_e64 v16, 0, 1, vcc
	v_lshl_or_b32 v14, v16, 16, v14
	v_mov_b32_e32 v16, 0
	v_cmp_gt_u32_e32 vcc, s86, v15
	v_mov_b32_e32 v15, v16
	v_mov_b32_e32 v17, v16
                                        ; implicit-def: $sgpr54_sgpr55
                                        ; implicit-def: $vgpr52
	s_and_saveexec_b64 s[52:53], vcc
	s_cbranch_execz .LBB1364_110
; %bb.105:
	v_cmp_ne_u32_e32 vcc, v29, v22
	v_add_u32_e32 v17, 21, v53
	s_mov_b32 s9, 0
	v_cndmask_b32_e64 v15, 0, 1, vcc
	v_alignbit_b32 v15, v15, v31, 16
	v_cmp_gt_u32_e32 vcc, s86, v17
	v_mov_b32_e32 v17, v16
                                        ; implicit-def: $sgpr68_sgpr69
                                        ; implicit-def: $vgpr52
	s_and_saveexec_b64 s[54:55], vcc
	s_cbranch_execz .LBB1364_109
; %bb.106:
	v_cmp_ne_u32_e32 vcc, v22, v23
	v_and_b32_e32 v16, 0xffff, v32
	v_add_u32_e32 v17, 22, v53
	v_cndmask_b32_e64 v22, 0, 1, vcc
	v_lshl_or_b32 v16, v22, 16, v16
	v_cmp_gt_u32_e32 vcc, s86, v17
	v_mov_b32_e32 v17, s9
                                        ; implicit-def: $sgpr68_sgpr69
                                        ; implicit-def: $vgpr52
	s_and_saveexec_b64 s[84:85], vcc
	s_xor_b64 s[84:85], exec, s[84:85]
	s_cbranch_execz .LBB1364_108
; %bb.107:
	ds_read_u16 v52, v54 offset:46
	v_add_u32_e32 v22, 23, v53
	v_cmp_ne_u32_e64 s[0:1], v23, v24
	v_cmp_ne_u32_e32 vcc, v24, v25
	s_and_b64 s[68:69], vcc, exec
	v_cndmask_b32_e64 v17, 0, 1, s[0:1]
	v_cmp_gt_u32_e64 s[0:1], s86, v22
	v_alignbit_b32 v17, v17, v32, 16
	s_and_b64 s[0:1], s[0:1], exec
.LBB1364_108:
	s_or_b64 exec, exec, s[84:85]
	s_and_b64 s[68:69], s[68:69], exec
	s_and_b64 s[0:1], s[0:1], exec
.LBB1364_109:
	s_or_b64 exec, exec, s[54:55]
	s_and_b64 s[54:55], s[68:69], exec
	s_and_b64 s[0:1], s[0:1], exec
.LBB1364_110:
	s_or_b64 exec, exec, s[52:53]
	s_and_b64 s[52:53], s[54:55], exec
	s_and_b64 s[0:1], s[0:1], exec
.LBB1364_111:
	s_or_b64 exec, exec, s[50:51]
	s_and_b64 s[50:51], s[52:53], exec
	s_and_b64 s[0:1], s[0:1], exec
.LBB1364_112:
	s_or_b64 exec, exec, s[48:49]
	s_and_b64 s[48:49], s[50:51], exec
	s_and_b64 s[0:1], s[0:1], exec
.LBB1364_113:
	s_or_b64 exec, exec, s[46:47]
	s_and_b64 s[46:47], s[48:49], exec
	s_and_b64 s[0:1], s[0:1], exec
.LBB1364_114:
	s_or_b64 exec, exec, s[44:45]
	s_and_b64 s[44:45], s[46:47], exec
	s_and_b64 s[0:1], s[0:1], exec
.LBB1364_115:
	s_or_b64 exec, exec, s[42:43]
	s_and_b64 s[42:43], s[44:45], exec
	s_and_b64 s[0:1], s[0:1], exec
.LBB1364_116:
	s_or_b64 exec, exec, s[26:27]
	s_and_b64 s[26:27], s[42:43], exec
	s_and_b64 s[0:1], s[0:1], exec
.LBB1364_117:
	s_or_b64 exec, exec, s[24:25]
	s_and_b64 s[24:25], s[26:27], exec
	s_and_b64 s[0:1], s[0:1], exec
.LBB1364_118:
	s_or_b64 exec, exec, s[22:23]
	s_and_b64 s[22:23], s[24:25], exec
	s_and_b64 s[0:1], s[0:1], exec
.LBB1364_119:
	s_or_b64 exec, exec, s[20:21]
	s_and_b64 s[20:21], s[22:23], exec
	s_and_b64 s[0:1], s[0:1], exec
.LBB1364_120:
	s_or_b64 exec, exec, s[18:19]
	s_and_b64 s[18:19], s[20:21], exec
	s_and_b64 s[0:1], s[0:1], exec
.LBB1364_121:
	s_or_b64 exec, exec, s[16:17]
	s_and_b64 s[16:17], s[18:19], exec
	s_and_b64 s[0:1], s[0:1], exec
.LBB1364_122:
	s_or_b64 exec, exec, s[14:15]
	s_and_b64 s[14:15], s[16:17], exec
	s_and_b64 s[0:1], s[0:1], exec
.LBB1364_123:
	s_or_b64 exec, exec, s[12:13]
	s_and_b64 s[12:13], s[14:15], exec
	s_and_b64 s[0:1], s[0:1], exec
.LBB1364_124:
	s_or_b64 exec, exec, s[40:41]
	s_and_b64 s[40:41], s[12:13], exec
	s_and_b64 s[0:1], s[0:1], exec
.LBB1364_125:
	s_or_b64 exec, exec, s[38:39]
	s_and_b64 s[12:13], s[40:41], exec
	s_and_b64 s[0:1], s[0:1], exec
.LBB1364_126:
	s_or_b64 exec, exec, s[36:37]
	s_and_b64 s[36:37], s[12:13], exec
	s_and_b64 s[0:1], s[0:1], exec
.LBB1364_127:
	s_or_b64 exec, exec, s[30:31]
	s_and_b64 s[12:13], s[36:37], exec
	s_and_b64 s[0:1], s[0:1], exec
.LBB1364_128:
	s_or_b64 exec, exec, s[28:29]
	s_and_b64 s[38:39], s[12:13], exec
	s_and_b64 s[36:37], s[0:1], exec
.LBB1364_129:
	s_or_b64 exec, exec, s[34:35]
	s_and_b64 s[0:1], s[38:39], exec
	s_and_b64 s[12:13], s[36:37], exec
.LBB1364_130:
	s_or_b64 exec, exec, s[10:11]
	s_and_b64 vcc, exec, s[6:7]
	s_cbranch_vccnz .LBB1364_132
	s_branch .LBB1364_140
.LBB1364_131:
                                        ; implicit-def: $sgpr0_sgpr1
                                        ; implicit-def: $vgpr50_vgpr51
                                        ; implicit-def: $vgpr18_vgpr19_vgpr20_vgpr21
                                        ; implicit-def: $vgpr2_vgpr3_vgpr4_vgpr5_vgpr6_vgpr7_vgpr8_vgpr9_vgpr10_vgpr11_vgpr12_vgpr13_vgpr14_vgpr15_vgpr16_vgpr17
                                        ; implicit-def: $vgpr52
                                        ; implicit-def: $vgpr1
                                        ; implicit-def: $sgpr8
	s_and_b64 vcc, exec, s[6:7]
	s_cbranch_vccz .LBB1364_140
.LBB1364_132:
	v_mov_b32_e32 v3, 0
	v_lshlrev_b32_e32 v2, 2, v0
	v_lshl_add_u64 v[4:5], s[64:65], 0, v[2:3]
	v_add_co_u32_e32 v6, vcc, 0x1000, v4
	s_movk_i32 s0, 0x5c
	s_nop 0
	v_addc_co_u32_e32 v7, vcc, 0, v5, vcc
	flat_load_dword v3, v[4:5]
	flat_load_dword v10, v[4:5] offset:1024
	flat_load_dword v11, v[4:5] offset:2048
	flat_load_dword v12, v[4:5] offset:3072
	flat_load_dword v13, v[6:7]
	flat_load_dword v14, v[6:7] offset:1024
	flat_load_dword v15, v[6:7] offset:2048
	flat_load_dword v16, v[6:7] offset:3072
	v_add_co_u32_e32 v6, vcc, 0x2000, v4
	v_mad_u32_u24 v1, v0, s0, v2
	s_nop 0
	v_addc_co_u32_e32 v7, vcc, 0, v5, vcc
	v_add_co_u32_e32 v8, vcc, 0x3000, v4
	s_cmp_eq_u64 s[82:83], 0
	s_nop 0
	v_addc_co_u32_e32 v9, vcc, 0, v5, vcc
	flat_load_dword v17, v[6:7]
	flat_load_dword v18, v[6:7] offset:1024
	flat_load_dword v19, v[6:7] offset:2048
	;; [unrolled: 1-line block ×3, first 2 shown]
	flat_load_dword v21, v[8:9]
	flat_load_dword v22, v[8:9] offset:1024
	flat_load_dword v23, v[8:9] offset:2048
	;; [unrolled: 1-line block ×3, first 2 shown]
	v_add_co_u32_e32 v6, vcc, 0x4000, v4
	s_nop 1
	v_addc_co_u32_e32 v7, vcc, 0, v5, vcc
	v_add_co_u32_e32 v4, vcc, 0x5000, v4
	s_nop 1
	v_addc_co_u32_e32 v5, vcc, 0, v5, vcc
	flat_load_dword v8, v[6:7]
	flat_load_dword v9, v[6:7] offset:1024
	flat_load_dword v25, v[6:7] offset:2048
	;; [unrolled: 1-line block ×3, first 2 shown]
	flat_load_dword v27, v[4:5]
	flat_load_dword v28, v[4:5] offset:1024
	flat_load_dword v29, v[4:5] offset:2048
	;; [unrolled: 1-line block ×3, first 2 shown]
	s_waitcnt vmcnt(0) lgkmcnt(0)
	ds_write2st64_b32 v2, v3, v10 offset1:4
	ds_write2st64_b32 v2, v11, v12 offset0:8 offset1:12
	ds_write2st64_b32 v2, v13, v14 offset0:16 offset1:20
	;; [unrolled: 1-line block ×11, first 2 shown]
	s_waitcnt lgkmcnt(0)
	s_barrier
	ds_read2_b64 v[2:5], v1 offset1:11
	ds_read2_b64 v[34:37], v1 offset0:9 offset1:10
	ds_read2_b64 v[30:33], v1 offset0:7 offset1:8
	;; [unrolled: 1-line block ×5, first 2 shown]
	s_cbranch_scc1 .LBB1364_137
; %bb.133:
	s_andn2_b64 vcc, exec, s[72:73]
	s_cbranch_vccnz .LBB1364_324
; %bb.134:
	s_lshl_b64 s[0:1], s[82:83], 2
	s_add_u32 s0, s74, s0
	s_addc_u32 s1, s75, s1
	s_add_u32 s0, s0, -4
	s_addc_u32 s1, s1, -1
	s_cbranch_execnz .LBB1364_136
.LBB1364_135:
	s_add_u32 s0, s64, -4
	s_addc_u32 s1, s65, -1
.LBB1364_136:
	s_mov_b64 s[64:65], s[0:1]
.LBB1364_137:
	v_mov_b64_e32 v[10:11], s[64:65]
	flat_load_dword v10, v[10:11]
	s_movk_i32 s0, 0xffa4
	v_mad_i32_i24 v1, v0, s0, v1
	s_waitcnt lgkmcnt(0)
	ds_write_b32 v1, v5 offset:24576
	s_waitcnt lgkmcnt(0)
	s_barrier
	s_and_saveexec_b64 s[0:1], s[4:5]
	s_cbranch_execz .LBB1364_139
; %bb.138:
	s_waitcnt vmcnt(0)
	ds_read_b32 v10, v1 offset:24572
.LBB1364_139:
	s_or_b64 exec, exec, s[0:1]
	v_lshlrev_b32_e32 v12, 1, v0
	v_mov_b32_e32 v13, 0
	v_lshl_add_u64 v[14:15], s[62:63], 0, v[12:13]
	s_movk_i32 s0, 0x1000
	v_add_co_u32_e32 v16, vcc, s0, v14
	s_movk_i32 s0, 0x2000
	s_nop 0
	v_addc_co_u32_e32 v17, vcc, 0, v15, vcc
	s_waitcnt lgkmcnt(0)
	s_barrier
	flat_load_ushort v11, v[14:15]
	flat_load_ushort v13, v[14:15] offset:512
	flat_load_ushort v18, v[14:15] offset:1024
	;; [unrolled: 1-line block ×7, first 2 shown]
	v_add_co_u32_e32 v14, vcc, s0, v14
	flat_load_ushort v40, v[16:17]
	flat_load_ushort v41, v[16:17] offset:512
	flat_load_ushort v42, v[16:17] offset:1024
	;; [unrolled: 1-line block ×7, first 2 shown]
	v_addc_co_u32_e32 v15, vcc, 0, v15, vcc
	flat_load_ushort v16, v[14:15]
	flat_load_ushort v17, v[14:15] offset:512
	flat_load_ushort v48, v[14:15] offset:1024
	;; [unrolled: 1-line block ×7, first 2 shown]
	s_waitcnt vmcnt(0)
	v_cmp_ne_u32_e32 vcc, v10, v2
	v_sub_u32_e32 v1, v1, v12
	v_cmp_ne_u32_e64 s[0:1], v4, v5
	v_cndmask_b32_e64 v5, 0, 1, vcc
	v_cmp_ne_u32_e32 vcc, v3, v6
	v_mad_u32_u24 v55, v0, 46, v1
	s_mov_b64 s[12:13], -1
	v_cndmask_b32_e64 v54, 0, 1, vcc
	v_cmp_ne_u32_e32 vcc, v2, v3
                                        ; implicit-def: $sgpr8
	s_waitcnt lgkmcnt(0)
	ds_write_b16 v1, v11
	ds_write_b16 v1, v13 offset:512
	ds_write_b16 v1, v18 offset:1024
	;; [unrolled: 1-line block ×23, first 2 shown]
	s_waitcnt lgkmcnt(0)
	s_barrier
	ds_read_u16 v1, v55
	ds_read_b96 v[14:16], v55 offset:2
	ds_read_b128 v[38:41], v55 offset:14
	ds_read_b128 v[10:13], v55 offset:30
	ds_read_u16 v52, v55 offset:46
	v_cndmask_b32_e64 v2, 0, 1, vcc
	v_cmp_ne_u32_e32 vcc, v9, v22
	s_waitcnt lgkmcnt(4)
	v_lshl_or_b32 v1, v5, 16, v1
	s_waitcnt lgkmcnt(3)
	v_and_b32_e32 v5, 0xffff, v14
	v_cndmask_b32_e64 v3, 0, 1, vcc
	v_cmp_ne_u32_e32 vcc, v7, v8
	v_lshl_or_b32 v50, v2, 16, v5
	v_and_b32_e32 v17, 0xffff, v16
	v_cndmask_b32_e64 v2, 0, 1, vcc
	v_cmp_ne_u32_e32 vcc, v8, v9
	v_alignbit_b32 v19, v2, v15, 16
	v_alignbit_b32 v21, v3, v16, 16
	v_cndmask_b32_e64 v2, 0, 1, vcc
	v_cmp_ne_u32_e32 vcc, v6, v7
	v_lshl_or_b32 v20, v2, 16, v17
	v_alignbit_b32 v51, v54, v14, 16
	v_cndmask_b32_e64 v2, 0, 1, vcc
	v_cmp_ne_u32_e32 vcc, v37, v4
	v_and_b32_e32 v14, 0xffff, v15
	s_waitcnt lgkmcnt(1)
	v_and_b32_e32 v16, 0xffff, v13
	v_cndmask_b32_e64 v3, 0, 1, vcc
	v_cmp_ne_u32_e32 vcc, v35, v36
	v_alignbit_b32 v17, v3, v13, 16
	v_and_b32_e32 v44, 0xffff, v11
	v_cndmask_b32_e64 v3, 0, 1, vcc
	v_cmp_ne_u32_e32 vcc, v33, v34
	v_alignbit_b32 v15, v3, v12, 16
	v_lshl_or_b32 v18, v2, 16, v14
	v_cndmask_b32_e64 v3, 0, 1, vcc
	v_cmp_ne_u32_e32 vcc, v31, v32
	v_alignbit_b32 v13, v3, v11, 16
	v_and_b32_e32 v14, 0xffff, v12
	v_cndmask_b32_e64 v3, 0, 1, vcc
	v_cmp_ne_u32_e32 vcc, v29, v30
	v_alignbit_b32 v11, v3, v10, 16
	v_and_b32_e32 v43, 0xffff, v10
	;; [unrolled: 4-line block ×5, first 2 shown]
	v_cndmask_b32_e64 v3, 0, 1, vcc
	v_cmp_ne_u32_e32 vcc, v36, v37
	v_and_b32_e32 v42, 0xffff, v39
	v_alignbit_b32 v3, v3, v38, 16
	v_cndmask_b32_e64 v4, 0, 1, vcc
	v_cmp_ne_u32_e32 vcc, v34, v35
	v_lshl_or_b32 v16, v4, 16, v16
	s_nop 0
	v_cndmask_b32_e64 v4, 0, 1, vcc
	v_cmp_ne_u32_e32 vcc, v32, v33
	v_lshl_or_b32 v14, v4, 16, v14
	s_nop 0
	;; [unrolled: 4-line block ×7, first 2 shown]
	v_cndmask_b32_e64 v22, 0, 1, vcc
	v_lshl_or_b32 v2, v22, 16, v2
.LBB1364_140:
	v_mov_b32_e32 v32, s8
	s_and_saveexec_b64 s[6:7], s[12:13]
	s_cbranch_execz .LBB1364_142
; %bb.141:
	v_mov_b32_e32 v22, 0x10000
	v_cndmask_b32_e64 v22, 0, v22, s[0:1]
	s_waitcnt lgkmcnt(0)
	v_or_b32_sdwa v32, v22, v52 dst_sel:DWORD dst_unused:UNUSED_PAD src0_sel:DWORD src1_sel:WORD_0
.LBB1364_142:
	s_or_b64 exec, exec, s[6:7]
	s_cmp_lg_u32 s79, 0
	v_mbcnt_lo_u32_b32 v33, -1, 0
	s_waitcnt lgkmcnt(0)
	s_barrier
	s_cbranch_scc0 .LBB1364_213
; %bb.143:
	s_mov_b32 s0, 0x10000
	v_cmp_gt_u32_e64 s[6:7], s0, v50
	v_cmp_gt_u32_e64 s[8:9], s0, v51
	v_cmp_gt_u32_e64 s[10:11], s0, v18
	v_cndmask_b32_e64 v22, 0, v1, s[6:7]
	v_add_u16_e32 v22, v22, v50
	v_cndmask_b32_e64 v22, 0, v22, s[8:9]
	v_add_u16_e32 v22, v22, v51
	v_cndmask_b32_e64 v22, 0, v22, s[10:11]
	v_add_u16_e32 v22, v22, v18
	v_cmp_gt_u32_e64 s[12:13], s0, v19
	v_cmp_gt_u32_e64 s[14:15], s0, v20
	v_cmp_gt_u32_e64 s[16:17], s0, v21
	v_cndmask_b32_e64 v22, 0, v22, s[12:13]
	v_add_u16_e32 v22, v22, v19
	v_cndmask_b32_e64 v22, 0, v22, s[14:15]
	v_add_u16_e32 v22, v22, v20
	v_cndmask_b32_e64 v22, 0, v22, s[16:17]
	v_add_u16_e32 v22, v22, v21
	;; [unrolled: 9-line block ×5, first 2 shown]
	v_cmp_gt_u32_e64 s[38:39], s0, v11
	v_cmp_gt_u32_e64 s[40:41], s0, v12
	v_or3_b32 v23, v32, v17, v16
	v_cndmask_b32_e64 v22, 0, v22, s[38:39]
	v_add_u16_e32 v22, v22, v11
	v_cndmask_b32_e64 v22, 0, v22, s[40:41]
	v_add_u16_e32 v22, v22, v12
	v_cmp_gt_u32_e64 s[42:43], s0, v13
	v_or3_b32 v23, v23, v15, v14
	v_or3_b32 v23, v23, v13, v12
	v_cndmask_b32_e64 v22, 0, v22, s[42:43]
	v_add_u16_e32 v22, v22, v13
	v_cmp_gt_u32_e64 s[44:45], s0, v14
	v_or3_b32 v23, v23, v11, v10
	v_or3_b32 v23, v23, v9, v8
	;; [unrolled: 5-line block ×5, first 2 shown]
	v_cndmask_b32_e64 v22, 0, v22, s[50:51]
	v_add_u16_e32 v22, v22, v17
	v_cmp_gt_u32_e64 s[52:53], s0, v32
	v_and_b32_e32 v23, 0x10000, v23
	v_lshrrev_b32_e32 v34, 16, v1
	v_cndmask_b32_e64 v24, 0, v22, s[52:53]
	v_cmp_eq_u32_e32 vcc, 0, v23
	v_add_u16_e32 v22, v24, v32
	v_mbcnt_hi_u32_b32 v25, -1, v33
	v_cndmask_b32_e32 v23, 1, v34, vcc
	v_add_u16_e32 v24, v24, v32
	v_and_b32_e32 v27, 15, v25
	v_lshl_or_b32 v24, v23, 16, v24
	v_cmp_ne_u32_e32 vcc, 0, v27
	s_nop 0
	v_mov_b32_dpp v26, v24 row_shr:1 row_mask:0xf bank_mask:0xf
	s_and_saveexec_b64 s[0:1], vcc
	s_cbranch_execz .LBB1364_145
; %bb.144:
	v_cmp_eq_u32_e32 vcc, 0, v23
	v_and_b32_e32 v23, 1, v23
	v_mov_b32_e32 v29, 1
	v_cndmask_b32_e32 v24, 0, v26, vcc
	v_and_b32_sdwa v26, v26, v29 dst_sel:DWORD dst_unused:UNUSED_PAD src0_sel:WORD_1 src1_sel:DWORD
	v_cmp_eq_u32_e32 vcc, 1, v23
	v_add_u16_e32 v28, v24, v22
	v_add_u16_e32 v22, v24, v22
	v_cndmask_b32_e64 v23, v26, 1, vcc
	v_lshlrev_b32_e32 v26, 16, v23
	v_or_b32_e32 v24, v26, v22
	v_mov_b32_e32 v22, v28
.LBB1364_145:
	s_or_b64 exec, exec, s[0:1]
	v_lshrrev_b32_e32 v26, 16, v24
	v_mov_b32_dpp v28, v24 row_shr:2 row_mask:0xf bank_mask:0xf
	v_cmp_lt_u32_e32 vcc, 1, v27
	s_and_saveexec_b64 s[0:1], vcc
	s_cbranch_execz .LBB1364_147
; %bb.146:
	s_mov_b32 s54, 0x10000
	v_cmp_gt_u32_e32 vcc, s54, v24
	v_and_b32_e32 v23, 0x10000, v24
	v_mov_b32_e32 v24, 1
	v_cndmask_b32_e32 v26, 0, v28, vcc
	v_and_b32_sdwa v24, v28, v24 dst_sel:DWORD dst_unused:UNUSED_PAD src0_sel:WORD_1 src1_sel:DWORD
	v_cmp_ne_u32_e32 vcc, 0, v23
	v_add_u16_e32 v29, v26, v22
	v_add_u16_e32 v22, v26, v22
	v_cndmask_b32_e64 v23, v24, 1, vcc
	v_lshlrev_b32_e32 v24, 16, v23
	v_or_b32_e32 v24, v24, v22
	v_mov_b32_e32 v26, v23
	v_mov_b32_e32 v22, v29
.LBB1364_147:
	s_or_b64 exec, exec, s[0:1]
	v_mov_b32_dpp v28, v24 row_shr:4 row_mask:0xf bank_mask:0xf
	v_cmp_lt_u32_e32 vcc, 3, v27
	s_and_saveexec_b64 s[0:1], vcc
	s_cbranch_execz .LBB1364_149
; %bb.148:
	v_mov_b32_e32 v23, 0
	v_cmp_eq_u16_sdwa vcc, v26, v23 src0_sel:BYTE_0 src1_sel:DWORD
	v_and_b32_e32 v23, 1, v26
	v_mov_b32_e32 v26, 1
	v_cndmask_b32_e32 v24, 0, v28, vcc
	v_and_b32_sdwa v26, v28, v26 dst_sel:DWORD dst_unused:UNUSED_PAD src0_sel:WORD_1 src1_sel:DWORD
	v_cmp_eq_u32_e32 vcc, 1, v23
	v_add_u16_e32 v29, v24, v22
	v_add_u16_e32 v22, v24, v22
	v_cndmask_b32_e64 v23, v26, 1, vcc
	v_lshlrev_b32_e32 v26, 16, v23
	v_or_b32_e32 v24, v26, v22
	v_mov_b32_e32 v26, v23
	v_mov_b32_e32 v22, v29
.LBB1364_149:
	s_or_b64 exec, exec, s[0:1]
	v_mov_b32_dpp v28, v24 row_shr:8 row_mask:0xf bank_mask:0xf
	v_cmp_lt_u32_e32 vcc, 7, v27
	s_and_saveexec_b64 s[0:1], vcc
	s_cbranch_execz .LBB1364_151
; %bb.150:
	v_mov_b32_e32 v23, 0
	v_cmp_eq_u16_sdwa vcc, v26, v23 src0_sel:BYTE_0 src1_sel:DWORD
	v_and_b32_e32 v23, 1, v26
	v_mov_b32_e32 v26, 1
	v_cndmask_b32_e32 v24, 0, v28, vcc
	v_and_b32_sdwa v26, v28, v26 dst_sel:DWORD dst_unused:UNUSED_PAD src0_sel:WORD_1 src1_sel:DWORD
	v_cmp_eq_u32_e32 vcc, 1, v23
	v_add_u16_e32 v27, v24, v22
	v_add_u16_e32 v22, v24, v22
	v_cndmask_b32_e64 v23, v26, 1, vcc
	v_lshlrev_b32_e32 v26, 16, v23
	v_or_b32_e32 v24, v26, v22
	v_mov_b32_e32 v26, v23
	v_mov_b32_e32 v22, v27
.LBB1364_151:
	s_or_b64 exec, exec, s[0:1]
	v_and_b32_e32 v28, 16, v25
	v_mov_b32_dpp v27, v24 row_bcast:15 row_mask:0xf bank_mask:0xf
	v_cmp_ne_u32_e32 vcc, 0, v28
	s_and_saveexec_b64 s[0:1], vcc
	s_cbranch_execz .LBB1364_153
; %bb.152:
	v_mov_b32_e32 v23, 0
	v_cmp_eq_u16_sdwa vcc, v26, v23 src0_sel:BYTE_0 src1_sel:DWORD
	v_and_b32_e32 v23, 1, v26
	v_mov_b32_e32 v26, 1
	v_cndmask_b32_e32 v24, 0, v27, vcc
	v_and_b32_sdwa v26, v27, v26 dst_sel:DWORD dst_unused:UNUSED_PAD src0_sel:WORD_1 src1_sel:DWORD
	v_cmp_eq_u32_e32 vcc, 1, v23
	v_add_u16_e32 v28, v24, v22
	v_add_u16_e32 v22, v24, v22
	v_cndmask_b32_e64 v23, v26, 1, vcc
	v_lshlrev_b32_e32 v26, 16, v23
	v_or_b32_e32 v24, v26, v22
	v_mov_b32_e32 v22, v28
	v_mov_b32_e32 v26, v23
.LBB1364_153:
	s_or_b64 exec, exec, s[0:1]
	v_mov_b32_dpp v24, v24 row_bcast:31 row_mask:0xf bank_mask:0xf
	v_cmp_lt_u32_e32 vcc, 31, v25
	s_and_saveexec_b64 s[0:1], vcc
; %bb.154:
	v_mov_b32_e32 v23, 0
	v_cmp_eq_u16_sdwa vcc, v26, v23 src0_sel:BYTE_0 src1_sel:DWORD
	s_nop 1
	v_cndmask_b32_e32 v23, 0, v24, vcc
	v_add_u16_e32 v22, v23, v22
	v_and_b32_e32 v23, 1, v26
	v_mov_b32_e32 v26, 1
	v_and_b32_sdwa v24, v24, v26 dst_sel:DWORD dst_unused:UNUSED_PAD src0_sel:WORD_1 src1_sel:DWORD
	v_cmp_eq_u32_e32 vcc, 1, v23
	s_nop 1
	v_cndmask_b32_e64 v23, v24, 1, vcc
; %bb.155:
	s_or_b64 exec, exec, s[0:1]
	v_or_b32_e32 v26, 63, v0
	v_lshrrev_b32_e32 v24, 6, v0
	v_cmp_eq_u32_e32 vcc, v26, v0
	s_and_saveexec_b64 s[0:1], vcc
	s_cbranch_execz .LBB1364_157
; %bb.156:
	v_lshlrev_b32_e32 v26, 2, v24
	ds_write_b16 v26, v22
	ds_write_b8 v26, v23 offset:2
.LBB1364_157:
	s_or_b64 exec, exec, s[0:1]
	v_cmp_gt_u32_e32 vcc, 4, v0
	s_waitcnt lgkmcnt(0)
	s_barrier
	s_and_saveexec_b64 s[0:1], vcc
	s_cbranch_execz .LBB1364_163
; %bb.158:
	v_lshlrev_b32_e32 v26, 2, v0
	ds_read_b32 v27, v26
	v_and_b32_e32 v30, 3, v25
	v_cmp_ne_u32_e32 vcc, 0, v30
	s_waitcnt lgkmcnt(0)
	v_lshrrev_b32_e32 v29, 16, v27
	v_mov_b32_dpp v31, v27 row_shr:1 row_mask:0xf bank_mask:0xf
	v_mov_b32_e32 v28, v27
	s_and_saveexec_b64 s[54:55], vcc
	s_cbranch_execz .LBB1364_160
; %bb.159:
	v_mov_b32_e32 v28, 0
	v_cmp_eq_u16_sdwa vcc, v29, v28 src0_sel:BYTE_0 src1_sel:DWORD
	v_and_b32_e32 v29, 0x10000, v27
	v_mov_b32_e32 v37, 1
	v_cndmask_b32_e32 v36, 0, v31, vcc
	v_and_b32_sdwa v31, v31, v37 dst_sel:DWORD dst_unused:UNUSED_PAD src0_sel:WORD_1 src1_sel:DWORD
	v_cmp_ne_u32_e32 vcc, 0, v29
	v_and_b32_e32 v35, 0xff000000, v27
	v_add_u16_e32 v28, v36, v27
	v_cndmask_b32_e64 v29, v31, 1, vcc
	v_lshlrev_b32_e32 v31, 16, v29
	v_add_u16_e32 v27, v36, v27
	v_or3_b32 v27, v31, v35, v27
.LBB1364_160:
	s_or_b64 exec, exec, s[54:55]
	s_nop 0
	v_mov_b32_dpp v31, v27 row_shr:2 row_mask:0xf bank_mask:0xf
	v_cmp_lt_u32_e32 vcc, 1, v30
	s_and_saveexec_b64 s[54:55], vcc
; %bb.161:
	v_and_b32_e32 v29, 0xff0000, v27
	v_cmp_eq_u32_e32 vcc, 0, v29
	v_and_b32_e32 v27, 0x10000, v27
	s_nop 0
	v_cndmask_b32_e32 v29, 0, v31, vcc
	v_add_u16_e32 v28, v29, v28
	v_mov_b32_e32 v29, 1
	v_and_b32_sdwa v29, v31, v29 dst_sel:DWORD dst_unused:UNUSED_PAD src0_sel:WORD_1 src1_sel:DWORD
	v_cmp_eq_u32_e32 vcc, 0, v27
	s_nop 1
	v_cndmask_b32_e32 v29, 1, v29, vcc
; %bb.162:
	s_or_b64 exec, exec, s[54:55]
	ds_write_b16 v26, v28
	ds_write_b8 v26, v29 offset:2
.LBB1364_163:
	s_or_b64 exec, exec, s[0:1]
	v_cmp_gt_u32_e32 vcc, 64, v0
	v_cmp_lt_u32_e64 s[0:1], 63, v0
	v_mov_b32_e32 v35, 0
	v_mov_b32_e32 v36, 0
	s_waitcnt lgkmcnt(0)
	s_barrier
	s_and_saveexec_b64 s[54:55], s[0:1]
	s_cbranch_execz .LBB1364_165
; %bb.164:
	v_lshl_add_u32 v24, v24, 2, -4
	ds_read_u16 v35, v24
	ds_read_u8 v36, v24 offset:2
	v_mov_b32_e32 v26, 0
	v_and_b32_e32 v27, 1, v23
	v_cmp_eq_u16_sdwa s[0:1], v23, v26 src0_sel:BYTE_0 src1_sel:DWORD
	s_waitcnt lgkmcnt(1)
	s_nop 0
	v_cndmask_b32_e64 v23, 0, v35, s[0:1]
	v_cmp_eq_u32_e64 s[0:1], 1, v27
	v_add_u16_e32 v22, v23, v22
	s_waitcnt lgkmcnt(0)
	v_cndmask_b32_e64 v23, v36, 1, s[0:1]
.LBB1364_165:
	s_or_b64 exec, exec, s[54:55]
	v_and_b32_e32 v23, 0xff, v23
	v_and_b32_e32 v22, 0xffff, v22
	v_lshl_or_b32 v22, v23, 16, v22
	v_add_u32_e32 v23, -1, v25
	v_and_b32_e32 v24, 64, v25
	v_cmp_lt_i32_e64 s[0:1], v23, v24
	v_cmp_eq_u32_e64 s[54:55], 0, v25
	s_nop 0
	v_cndmask_b32_e64 v23, v23, v25, s[0:1]
	v_lshlrev_b32_e32 v23, 2, v23
	ds_bpermute_b32 v37, v23, v22
	s_and_saveexec_b64 s[0:1], vcc
	s_cbranch_execz .LBB1364_212
; %bb.166:
	v_mov_b32_e32 v31, 0
	ds_read_b32 v22, v31 offset:12
	s_and_saveexec_b64 s[62:63], s[54:55]
	s_cbranch_execz .LBB1364_168
; %bb.167:
	s_add_i32 s64, s79, 64
	s_mov_b32 s65, 0
	s_lshl_b64 s[64:65], s[64:65], 3
	s_add_u32 s64, s76, s64
	v_mov_b32_e32 v23, 1
	s_addc_u32 s65, s77, s65
	s_waitcnt lgkmcnt(0)
	global_store_dwordx2 v31, v[22:23], s[64:65] sc1
.LBB1364_168:
	s_or_b64 exec, exec, s[62:63]
	v_xad_u32 v24, v25, -1, s79
	v_add_u32_e32 v30, 64, v24
	v_lshl_add_u64 v[28:29], v[30:31], 3, s[76:77]
	global_load_dwordx2 v[26:27], v[28:29], off sc1
	s_waitcnt vmcnt(0)
	v_cmp_eq_u16_sdwa s[64:65], v27, v31 src0_sel:BYTE_0 src1_sel:DWORD
	s_and_saveexec_b64 s[62:63], s[64:65]
	s_cbranch_execz .LBB1364_174
; %bb.169:
	s_mov_b32 s68, 1
	s_mov_b64 s[64:65], 0
	v_mov_b32_e32 v23, 0
.LBB1364_170:                           ; =>This Loop Header: Depth=1
                                        ;     Child Loop BB1364_171 Depth 2
	s_max_u32 s69, s68, 1
.LBB1364_171:                           ;   Parent Loop BB1364_170 Depth=1
                                        ; =>  This Inner Loop Header: Depth=2
	s_add_i32 s69, s69, -1
	s_cmp_eq_u32 s69, 0
	s_sleep 1
	s_cbranch_scc0 .LBB1364_171
; %bb.172:                              ;   in Loop: Header=BB1364_170 Depth=1
	global_load_dwordx2 v[26:27], v[28:29], off sc1
	s_cmp_lt_u32 s68, 32
	s_cselect_b64 s[72:73], -1, 0
	s_cmp_lg_u64 s[72:73], 0
	s_addc_u32 s68, s68, 0
	s_waitcnt vmcnt(0)
	v_cmp_ne_u16_sdwa s[72:73], v27, v23 src0_sel:BYTE_0 src1_sel:DWORD
	s_or_b64 s[64:65], s[72:73], s[64:65]
	s_andn2_b64 exec, exec, s[64:65]
	s_cbranch_execnz .LBB1364_170
; %bb.173:
	s_or_b64 exec, exec, s[64:65]
.LBB1364_174:
	s_or_b64 exec, exec, s[62:63]
	v_mov_b32_e32 v23, 2
	v_cmp_eq_u16_sdwa s[62:63], v27, v23 src0_sel:BYTE_0 src1_sel:DWORD
	v_lshlrev_b64 v[28:29], v25, -1
	v_and_b32_e32 v49, 0xffffff, v26
	v_and_b32_e32 v23, s63, v29
	v_or_b32_e32 v23, 0x80000000, v23
	v_ffbl_b32_e32 v23, v23
	v_add_u32_e32 v31, 32, v23
	v_and_b32_e32 v23, 63, v25
	v_cmp_ne_u32_e32 vcc, 63, v23
	v_and_b32_e32 v30, s62, v28
	v_ffbl_b32_e32 v30, v30
	v_addc_co_u32_e32 v38, vcc, 0, v25, vcc
	v_lshlrev_b32_e32 v38, 2, v38
	ds_bpermute_b32 v39, v38, v49
	v_min_u32_e32 v31, v30, v31
	v_lshrrev_b32_e32 v30, 16, v26
	v_cmp_lt_u32_e32 vcc, v23, v31
	v_bfe_u32 v47, v26, 16, 8
	s_and_saveexec_b64 s[62:63], vcc
	s_cbranch_execz .LBB1364_176
; %bb.175:
	v_and_b32_e32 v30, 0xff0000, v26
	v_cmp_eq_u32_e32 vcc, 0, v30
	v_and_b32_e32 v30, 0x10000, v30
	v_mov_b32_e32 v42, 1
	s_waitcnt lgkmcnt(0)
	v_cndmask_b32_e32 v40, 0, v39, vcc
	v_and_b32_sdwa v39, v39, v42 dst_sel:DWORD dst_unused:UNUSED_PAD src0_sel:WORD_1 src1_sel:DWORD
	v_cmp_ne_u32_e32 vcc, 0, v30
	v_add_u16_e32 v41, v40, v26
	v_add_u16_e32 v26, v40, v26
	v_cndmask_b32_e64 v30, v39, 1, vcc
	v_lshlrev_b32_e32 v39, 16, v30
	v_or_b32_e32 v49, v39, v26
	v_mov_b32_e32 v26, v41
	v_mov_b32_e32 v47, v30
.LBB1364_176:
	s_or_b64 exec, exec, s[62:63]
	v_cmp_gt_u32_e32 vcc, 62, v23
	v_add_u32_e32 v40, 2, v23
	s_waitcnt lgkmcnt(0)
	v_cndmask_b32_e64 v39, 0, 1, vcc
	v_lshlrev_b32_e32 v39, 1, v39
	v_add_lshl_u32 v39, v39, v25, 2
	ds_bpermute_b32 v41, v39, v49
	v_cmp_le_u32_e32 vcc, v40, v31
	s_and_saveexec_b64 s[62:63], vcc
	s_cbranch_execz .LBB1364_178
; %bb.177:
	v_cmp_eq_u16_e32 vcc, 0, v47
	v_and_b32_e32 v30, 1, v47
	v_mov_b32_e32 v44, 1
	s_waitcnt lgkmcnt(0)
	v_cndmask_b32_e32 v42, 0, v41, vcc
	v_and_b32_sdwa v41, v41, v44 dst_sel:DWORD dst_unused:UNUSED_PAD src0_sel:WORD_1 src1_sel:DWORD
	v_cmp_eq_u32_e32 vcc, 1, v30
	v_add_u16_e32 v43, v42, v26
	v_add_u16_e32 v26, v42, v26
	v_cndmask_b32_e64 v30, v41, 1, vcc
	v_lshlrev_b32_e32 v41, 16, v30
	v_or_b32_e32 v49, v41, v26
	v_mov_b32_e32 v26, v43
	v_mov_b32_e32 v47, v30
.LBB1364_178:
	s_or_b64 exec, exec, s[62:63]
	v_cmp_gt_u32_e32 vcc, 60, v23
	v_add_u32_e32 v42, 4, v23
	s_waitcnt lgkmcnt(0)
	v_cndmask_b32_e64 v41, 0, 1, vcc
	v_lshlrev_b32_e32 v41, 2, v41
	v_add_lshl_u32 v41, v41, v25, 2
	ds_bpermute_b32 v43, v41, v49
	v_cmp_le_u32_e32 vcc, v42, v31
	s_and_saveexec_b64 s[62:63], vcc
	s_cbranch_execz .LBB1364_180
; %bb.179:
	v_cmp_eq_u16_e32 vcc, 0, v47
	v_and_b32_e32 v30, 1, v47
	v_mov_b32_e32 v46, 1
	s_waitcnt lgkmcnt(0)
	v_cndmask_b32_e32 v44, 0, v43, vcc
	v_and_b32_sdwa v43, v43, v46 dst_sel:DWORD dst_unused:UNUSED_PAD src0_sel:WORD_1 src1_sel:DWORD
	v_cmp_eq_u32_e32 vcc, 1, v30
	v_add_u16_e32 v45, v44, v26
	v_add_u16_e32 v26, v44, v26
	v_cndmask_b32_e64 v30, v43, 1, vcc
	v_lshlrev_b32_e32 v43, 16, v30
	v_or_b32_e32 v49, v43, v26
	v_mov_b32_e32 v26, v45
	v_mov_b32_e32 v47, v30
.LBB1364_180:
	;; [unrolled: 27-line block ×4, first 2 shown]
	s_or_b64 exec, exec, s[62:63]
	v_cmp_gt_u32_e32 vcc, 32, v23
	s_waitcnt lgkmcnt(0)
	s_nop 0
	v_cndmask_b32_e64 v48, 0, 1, vcc
	v_lshlrev_b32_e32 v48, 5, v48
	v_add_lshl_u32 v48, v48, v25, 2
	ds_bpermute_b32 v25, v48, v49
	v_add_u32_e32 v49, 32, v23
	v_cmp_le_u32_e32 vcc, v49, v31
	s_and_saveexec_b64 s[62:63], vcc
	s_cbranch_execz .LBB1364_186
; %bb.185:
	v_cmp_eq_u16_e32 vcc, 0, v47
	v_mov_b32_e32 v31, 1
	s_waitcnt lgkmcnt(0)
	v_cndmask_b32_e32 v30, 0, v25, vcc
	v_add_u16_e32 v26, v30, v26
	v_and_b32_e32 v30, 1, v47
	v_and_b32_sdwa v25, v25, v31 dst_sel:DWORD dst_unused:UNUSED_PAD src0_sel:WORD_1 src1_sel:DWORD
	v_cmp_eq_u32_e32 vcc, 1, v30
	s_nop 1
	v_cndmask_b32_e64 v30, v25, 1, vcc
.LBB1364_186:
	s_or_b64 exec, exec, s[62:63]
	s_waitcnt lgkmcnt(0)
	v_mov_b32_e32 v25, 0
	v_mov_b32_e32 v53, 2
	;; [unrolled: 1-line block ×3, first 2 shown]
	s_branch .LBB1364_188
.LBB1364_187:                           ;   in Loop: Header=BB1364_188 Depth=1
	s_or_b64 exec, exec, s[62:63]
	v_cmp_eq_u16_sdwa vcc, v47, v25 src0_sel:BYTE_0 src1_sel:DWORD
	v_and_b32_e32 v30, 1, v47
	v_and_b32_e32 v31, 1, v31
	v_cndmask_b32_e32 v26, 0, v26, vcc
	v_cmp_eq_u32_e32 vcc, 1, v30
	v_subrev_u32_e32 v24, 64, v24
	v_add_u16_e32 v26, v26, v52
	v_cndmask_b32_e64 v30, v31, 1, vcc
.LBB1364_188:                           ; =>This Loop Header: Depth=1
                                        ;     Child Loop BB1364_191 Depth 2
                                        ;       Child Loop BB1364_192 Depth 3
	v_cmp_ne_u16_sdwa s[62:63], v27, v53 src0_sel:BYTE_0 src1_sel:DWORD
	v_mov_b32_e32 v47, v30
	v_mov_b32_e32 v52, v26
	v_cndmask_b32_e64 v27, 0, 1, s[62:63]
	;;#ASMSTART
	;;#ASMEND
	s_nop 0
	v_cmp_ne_u32_e32 vcc, 0, v27
	s_cmp_lg_u64 vcc, exec
	s_cbranch_scc1 .LBB1364_207
; %bb.189:                              ;   in Loop: Header=BB1364_188 Depth=1
	v_lshl_add_u64 v[30:31], v[24:25], 3, s[76:77]
	global_load_dwordx2 v[26:27], v[30:31], off sc1
	s_waitcnt vmcnt(0)
	v_cmp_eq_u16_sdwa s[64:65], v27, v25 src0_sel:BYTE_0 src1_sel:DWORD
	s_and_saveexec_b64 s[62:63], s[64:65]
	s_cbranch_execz .LBB1364_195
; %bb.190:                              ;   in Loop: Header=BB1364_188 Depth=1
	s_mov_b32 s68, 1
	s_mov_b64 s[64:65], 0
.LBB1364_191:                           ;   Parent Loop BB1364_188 Depth=1
                                        ; =>  This Loop Header: Depth=2
                                        ;       Child Loop BB1364_192 Depth 3
	s_max_u32 s69, s68, 1
.LBB1364_192:                           ;   Parent Loop BB1364_188 Depth=1
                                        ;     Parent Loop BB1364_191 Depth=2
                                        ; =>    This Inner Loop Header: Depth=3
	s_add_i32 s69, s69, -1
	s_cmp_eq_u32 s69, 0
	s_sleep 1
	s_cbranch_scc0 .LBB1364_192
; %bb.193:                              ;   in Loop: Header=BB1364_191 Depth=2
	global_load_dwordx2 v[26:27], v[30:31], off sc1
	s_cmp_lt_u32 s68, 32
	s_cselect_b64 s[72:73], -1, 0
	s_cmp_lg_u64 s[72:73], 0
	s_addc_u32 s68, s68, 0
	s_waitcnt vmcnt(0)
	v_cmp_ne_u16_sdwa s[72:73], v27, v25 src0_sel:BYTE_0 src1_sel:DWORD
	s_or_b64 s[64:65], s[72:73], s[64:65]
	s_andn2_b64 exec, exec, s[64:65]
	s_cbranch_execnz .LBB1364_191
; %bb.194:                              ;   in Loop: Header=BB1364_188 Depth=1
	s_or_b64 exec, exec, s[64:65]
.LBB1364_195:                           ;   in Loop: Header=BB1364_188 Depth=1
	s_or_b64 exec, exec, s[62:63]
	v_cmp_eq_u16_sdwa s[62:63], v27, v53 src0_sel:BYTE_0 src1_sel:DWORD
	s_waitcnt lgkmcnt(0)
	v_and_b32_e32 v56, 0xffffff, v26
	ds_bpermute_b32 v57, v38, v56
	v_and_b32_e32 v30, s63, v29
	v_or_b32_e32 v30, 0x80000000, v30
	v_and_b32_e32 v31, s62, v28
	v_ffbl_b32_e32 v30, v30
	v_add_u32_e32 v30, 32, v30
	v_ffbl_b32_e32 v31, v31
	v_min_u32_e32 v30, v31, v30
	v_lshrrev_b32_e32 v31, 16, v26
	v_cmp_lt_u32_e32 vcc, v23, v30
	v_bfe_u32 v55, v26, 16, 8
	s_and_saveexec_b64 s[62:63], vcc
	s_cbranch_execz .LBB1364_197
; %bb.196:                              ;   in Loop: Header=BB1364_188 Depth=1
	v_and_b32_e32 v31, 0xff0000, v26
	v_cmp_eq_u32_e32 vcc, 0, v31
	v_and_b32_e32 v31, 0x10000, v31
	s_waitcnt lgkmcnt(0)
	v_and_b32_sdwa v56, v57, v54 dst_sel:DWORD dst_unused:UNUSED_PAD src0_sel:WORD_1 src1_sel:DWORD
	v_cndmask_b32_e32 v55, 0, v57, vcc
	v_cmp_ne_u32_e32 vcc, 0, v31
	v_add_u16_e32 v58, v55, v26
	v_add_u16_e32 v26, v55, v26
	v_cndmask_b32_e64 v31, v56, 1, vcc
	v_lshlrev_b32_e32 v56, 16, v31
	v_or_b32_e32 v56, v56, v26
	v_mov_b32_e32 v26, v58
	v_mov_b32_e32 v55, v31
.LBB1364_197:                           ;   in Loop: Header=BB1364_188 Depth=1
	s_or_b64 exec, exec, s[62:63]
	s_waitcnt lgkmcnt(0)
	ds_bpermute_b32 v57, v39, v56
	v_cmp_le_u32_e32 vcc, v40, v30
	s_and_saveexec_b64 s[62:63], vcc
	s_cbranch_execz .LBB1364_199
; %bb.198:                              ;   in Loop: Header=BB1364_188 Depth=1
	v_cmp_eq_u16_e32 vcc, 0, v55
	v_and_b32_e32 v31, 1, v55
	s_waitcnt lgkmcnt(0)
	v_and_b32_sdwa v55, v57, v54 dst_sel:DWORD dst_unused:UNUSED_PAD src0_sel:WORD_1 src1_sel:DWORD
	v_cndmask_b32_e32 v56, 0, v57, vcc
	v_cmp_eq_u32_e32 vcc, 1, v31
	v_add_u16_e32 v58, v56, v26
	v_add_u16_e32 v26, v56, v26
	v_cndmask_b32_e64 v31, v55, 1, vcc
	v_lshlrev_b32_e32 v55, 16, v31
	v_or_b32_e32 v56, v55, v26
	v_mov_b32_e32 v26, v58
	v_mov_b32_e32 v55, v31
.LBB1364_199:                           ;   in Loop: Header=BB1364_188 Depth=1
	s_or_b64 exec, exec, s[62:63]
	s_waitcnt lgkmcnt(0)
	ds_bpermute_b32 v57, v41, v56
	v_cmp_le_u32_e32 vcc, v42, v30
	s_and_saveexec_b64 s[62:63], vcc
	s_cbranch_execz .LBB1364_201
; %bb.200:                              ;   in Loop: Header=BB1364_188 Depth=1
	v_cmp_eq_u16_e32 vcc, 0, v55
	v_and_b32_e32 v31, 1, v55
	s_waitcnt lgkmcnt(0)
	v_and_b32_sdwa v55, v57, v54 dst_sel:DWORD dst_unused:UNUSED_PAD src0_sel:WORD_1 src1_sel:DWORD
	v_cndmask_b32_e32 v56, 0, v57, vcc
	v_cmp_eq_u32_e32 vcc, 1, v31
	v_add_u16_e32 v58, v56, v26
	v_add_u16_e32 v26, v56, v26
	v_cndmask_b32_e64 v31, v55, 1, vcc
	v_lshlrev_b32_e32 v55, 16, v31
	v_or_b32_e32 v56, v55, v26
	v_mov_b32_e32 v26, v58
	v_mov_b32_e32 v55, v31
.LBB1364_201:                           ;   in Loop: Header=BB1364_188 Depth=1
	;; [unrolled: 21-line block ×4, first 2 shown]
	s_or_b64 exec, exec, s[62:63]
	ds_bpermute_b32 v56, v48, v56
	v_cmp_le_u32_e32 vcc, v49, v30
	s_and_saveexec_b64 s[62:63], vcc
	s_cbranch_execz .LBB1364_187
; %bb.206:                              ;   in Loop: Header=BB1364_188 Depth=1
	v_cmp_eq_u16_e32 vcc, 0, v55
	s_waitcnt lgkmcnt(0)
	v_lshrrev_b32_e32 v31, 16, v56
	v_cndmask_b32_e32 v30, 0, v56, vcc
	v_add_u16_e32 v26, v30, v26
	v_and_b32_e32 v30, 1, v55
	v_cmp_eq_u32_e32 vcc, 1, v30
	s_nop 1
	v_cndmask_b32_e64 v31, v31, 1, vcc
	s_branch .LBB1364_187
.LBB1364_207:                           ;   in Loop: Header=BB1364_188 Depth=1
                                        ; implicit-def: $vgpr30
                                        ; implicit-def: $vgpr26
	s_cbranch_execz .LBB1364_188
; %bb.208:
	s_and_saveexec_b64 s[62:63], s[54:55]
	s_cbranch_execz .LBB1364_210
; %bb.209:
	v_and_b32_e32 v23, 0xff0000, v22
	s_mov_b32 s65, 0
	v_cmp_eq_u32_e32 vcc, 0, v23
	v_and_b32_e32 v24, 0x10000, v22
	v_mov_b32_e32 v25, 1
	s_add_i32 s64, s79, 64
	v_cndmask_b32_e32 v23, 0, v52, vcc
	v_and_b32_sdwa v25, v47, v25 dst_sel:WORD_1 dst_unused:UNUSED_PAD src0_sel:DWORD src1_sel:DWORD
	v_mov_b32_e32 v26, 0x10000
	v_cmp_eq_u32_e32 vcc, 0, v24
	s_lshl_b64 s[64:65], s[64:65], 3
	s_add_u32 s64, s76, s64
	v_cndmask_b32_e32 v24, v26, v25, vcc
	v_add_u16_e32 v22, v23, v22
	s_addc_u32 s65, s77, s65
	v_mov_b32_e32 v25, 0
	v_or_b32_e32 v22, v24, v22
	v_mov_b32_e32 v23, 2
	global_store_dwordx2 v25, v[22:23], s[64:65] sc1
.LBB1364_210:
	s_or_b64 exec, exec, s[62:63]
	s_and_b64 exec, exec, s[56:57]
	s_cbranch_execz .LBB1364_212
; %bb.211:
	v_mov_b32_e32 v22, 0
	ds_write_b16 v22, v52 offset:12
	ds_write_b8 v22, v47 offset:14
.LBB1364_212:
	s_or_b64 exec, exec, s[0:1]
	s_waitcnt lgkmcnt(0)
	v_lshrrev_b32_e32 v22, 16, v37
	v_mov_b32_e32 v24, 0
	s_mov_b32 s0, 0x10000
	v_cndmask_b32_e64 v22, v22, v36, s[54:55]
	v_cndmask_b32_e64 v23, v37, v35, s[54:55]
	s_barrier
	ds_read_b32 v25, v24 offset:12
	v_cmp_gt_u32_e32 vcc, s0, v1
	v_and_b32_e32 v26, 0x10000, v1
	v_and_b32_e32 v22, 1, v22
	v_cndmask_b32_e32 v23, 0, v23, vcc
	v_cmp_ne_u32_e32 vcc, 0, v26
	v_cndmask_b32_e64 v23, v23, 0, s[56:57]
	v_add_u16_e32 v23, v23, v1
	v_cndmask_b32_e64 v22, v22, 1, vcc
	v_cndmask_b32_e64 v22, v22, v34, s[56:57]
	v_cmp_eq_u16_sdwa vcc, v22, v24 src0_sel:BYTE_0 src1_sel:DWORD
	s_waitcnt lgkmcnt(0)
	s_nop 0
	v_cndmask_b32_e32 v22, 0, v25, vcc
	v_add_u16_e32 v47, v23, v22
	v_cndmask_b32_e64 v22, 0, v47, s[6:7]
	v_add_u16_e32 v22, v22, v50
	v_cndmask_b32_e64 v23, 0, v22, s[8:9]
	;; [unrolled: 2-line block ×23, first 2 shown]
	v_add_u16_e32 v46, v46, v32
	s_branch .LBB1364_243
.LBB1364_213:
                                        ; implicit-def: $vgpr47
                                        ; implicit-def: $vgpr22
                                        ; implicit-def: $vgpr23
                                        ; implicit-def: $vgpr24
                                        ; implicit-def: $vgpr25
                                        ; implicit-def: $vgpr26
                                        ; implicit-def: $vgpr27
                                        ; implicit-def: $vgpr29
                                        ; implicit-def: $vgpr28
                                        ; implicit-def: $vgpr30
                                        ; implicit-def: $vgpr31
                                        ; implicit-def: $vgpr34
                                        ; implicit-def: $vgpr35
                                        ; implicit-def: $vgpr36
                                        ; implicit-def: $vgpr37
                                        ; implicit-def: $vgpr39
                                        ; implicit-def: $vgpr38
                                        ; implicit-def: $vgpr40
                                        ; implicit-def: $vgpr41
                                        ; implicit-def: $vgpr42
                                        ; implicit-def: $vgpr43
                                        ; implicit-def: $vgpr44
                                        ; implicit-def: $vgpr45
                                        ; implicit-def: $vgpr46
	s_cbranch_execz .LBB1364_243
; %bb.214:
	s_cmp_lg_u64 s[80:81], 0
	s_cselect_b32 s7, s71, 0
	s_cselect_b32 s6, s70, 0
	s_cmp_lg_u64 s[6:7], 0
	s_cselect_b64 s[0:1], -1, 0
	s_and_b64 s[8:9], s[56:57], s[0:1]
	s_and_saveexec_b64 s[0:1], s[8:9]
	s_cbranch_execz .LBB1364_216
; %bb.215:
	v_mov_b32_e32 v22, 0
	global_load_ushort v23, v22, s[6:7]
	global_load_ubyte v24, v22, s[6:7] offset:2
	s_mov_b32 s6, 0x10000
	v_and_b32_e32 v22, 0x10000, v1
	v_mov_b32_e32 v25, 1
	v_cmp_gt_u32_e32 vcc, s6, v1
	v_mov_b32_e32 v26, 0x10000
	s_waitcnt vmcnt(0)
	v_and_b32_sdwa v24, v24, v25 dst_sel:WORD_1 dst_unused:UNUSED_PAD src0_sel:DWORD src1_sel:DWORD
	v_cndmask_b32_e32 v23, 0, v23, vcc
	v_cmp_eq_u32_e32 vcc, 0, v22
	v_add_u16_e32 v1, v23, v1
	s_nop 0
	v_cndmask_b32_e32 v22, v26, v24, vcc
	v_or_b32_e32 v1, v22, v1
.LBB1364_216:
	s_or_b64 exec, exec, s[0:1]
	s_mov_b32 s0, 0x10000
	v_cmp_gt_u32_e32 vcc, s0, v50
	v_cmp_gt_u32_e64 s[6:7], s0, v51
	v_cmp_gt_u32_e64 s[8:9], s0, v18
	v_cndmask_b32_e32 v22, 0, v1, vcc
	v_add_u16_e32 v22, v22, v50
	v_cndmask_b32_e64 v23, 0, v22, s[6:7]
	v_add_u16_e32 v23, v23, v51
	v_cndmask_b32_e64 v24, 0, v23, s[8:9]
	v_add_u16_e32 v24, v24, v18
	v_cmp_gt_u32_e64 s[10:11], s0, v19
	v_cmp_gt_u32_e64 s[12:13], s0, v20
	v_bfe_u32 v28, v19, 16, 1
	v_cndmask_b32_e64 v25, 0, v24, s[10:11]
	v_add_u16_e32 v25, v25, v19
	v_mov_b32_e32 v52, 1
	v_cndmask_b32_e64 v26, 0, v25, s[12:13]
	v_lshlrev_b16_e32 v28, 1, v28
	v_and_b32_sdwa v29, v18, v52 dst_sel:DWORD dst_unused:UNUSED_PAD src0_sel:WORD_1 src1_sel:DWORD
	v_add_u16_e32 v26, v26, v20
	v_cmp_gt_u32_e64 s[14:15], s0, v21
	v_or_b32_e32 v28, v29, v28
	v_bfe_u32 v29, v21, 16, 1
	v_and_b32_sdwa v30, v20, v52 dst_sel:DWORD dst_unused:UNUSED_PAD src0_sel:WORD_1 src1_sel:DWORD
	v_cndmask_b32_e64 v27, 0, v26, s[14:15]
	v_lshlrev_b16_e32 v29, 3, v29
	v_lshlrev_b16_e32 v30, 2, v30
	v_add_u16_e32 v27, v27, v21
	v_or_b32_e32 v29, v29, v30
	v_cmp_gt_u32_e64 s[16:17], s0, v2
	v_or_b32_e32 v46, v28, v29
	v_cmp_gt_u32_e64 s[18:19], s0, v3
	v_cndmask_b32_e64 v28, 0, v27, s[16:17]
	v_add_u16_e32 v29, v28, v2
	v_cndmask_b32_e64 v28, 0, v29, s[18:19]
	v_bfe_u32 v48, v11, 16, 1
	v_add_u16_e32 v28, v28, v3
	v_cmp_gt_u32_e64 s[20:21], s0, v4
	v_lshlrev_b16_e32 v48, 1, v48
	v_and_b32_sdwa v49, v10, v52 dst_sel:DWORD dst_unused:UNUSED_PAD src0_sel:WORD_1 src1_sel:DWORD
	v_cndmask_b32_e64 v30, 0, v28, s[20:21]
	v_or_b32_e32 v48, v49, v48
	v_bfe_u32 v49, v13, 16, 1
	v_and_b32_sdwa v53, v12, v52 dst_sel:DWORD dst_unused:UNUSED_PAD src0_sel:WORD_1 src1_sel:DWORD
	v_add_u16_e32 v30, v30, v4
	v_cmp_gt_u32_e64 s[22:23], s0, v5
	v_lshlrev_b16_e32 v49, 3, v49
	v_lshlrev_b16_e32 v53, 2, v53
	v_cndmask_b32_e64 v31, 0, v30, s[22:23]
	v_or_b32_e32 v49, v49, v53
	v_add_u16_e32 v31, v31, v5
	v_cmp_gt_u32_e64 s[24:25], s0, v6
	v_or_b32_sdwa v48, v48, v49 dst_sel:BYTE_1 dst_unused:UNUSED_PAD src0_sel:DWORD src1_sel:DWORD
	v_bfe_u32 v49, v15, 16, 1
	v_cndmask_b32_e64 v34, 0, v31, s[24:25]
	v_lshlrev_b16_e32 v49, 1, v49
	v_and_b32_sdwa v53, v14, v52 dst_sel:DWORD dst_unused:UNUSED_PAD src0_sel:WORD_1 src1_sel:DWORD
	v_add_u16_e32 v34, v34, v6
	v_cmp_gt_u32_e64 s[26:27], s0, v7
	v_or_b32_e32 v49, v53, v49
	v_bfe_u32 v53, v17, 16, 1
	v_and_b32_sdwa v54, v16, v52 dst_sel:DWORD dst_unused:UNUSED_PAD src0_sel:WORD_1 src1_sel:DWORD
	v_cndmask_b32_e64 v35, 0, v34, s[26:27]
	v_lshlrev_b16_e32 v53, 3, v53
	v_lshlrev_b16_e32 v54, 2, v54
	v_add_u16_e32 v35, v35, v7
	v_cmp_gt_u32_e64 s[28:29], s0, v8
	v_or_b32_e32 v53, v53, v54
	v_or_b32_e32 v49, v49, v53
	v_cndmask_b32_e64 v36, 0, v35, s[28:29]
	v_add_u16_e32 v36, v36, v8
	v_cmp_gt_u32_e64 s[30:31], s0, v9
	v_lshlrev_b16_e32 v49, 12, v49
	v_or_b32_e32 v48, v49, v48
	v_cndmask_b32_e64 v37, 0, v36, s[30:31]
	v_bfe_u32 v49, v3, 16, 1
	v_add_u16_e32 v37, v37, v9
	v_cmp_gt_u32_e64 s[34:35], s0, v10
	v_lshlrev_b16_e32 v49, 1, v49
	v_and_b32_sdwa v53, v2, v52 dst_sel:DWORD dst_unused:UNUSED_PAD src0_sel:WORD_1 src1_sel:DWORD
	v_cndmask_b32_e64 v38, 0, v37, s[34:35]
	v_or_b32_e32 v49, v53, v49
	v_bfe_u32 v53, v5, 16, 1
	v_and_b32_sdwa v54, v4, v52 dst_sel:DWORD dst_unused:UNUSED_PAD src0_sel:WORD_1 src1_sel:DWORD
	v_add_u16_e32 v39, v38, v10
	v_cmp_gt_u32_e64 s[36:37], s0, v11
	v_lshlrev_b16_e32 v53, 3, v53
	v_lshlrev_b16_e32 v54, 2, v54
	v_cndmask_b32_e64 v38, 0, v39, s[36:37]
	v_or_b32_e32 v53, v53, v54
	v_add_u16_e32 v38, v38, v11
	v_cmp_gt_u32_e64 s[38:39], s0, v12
	v_or_b32_e32 v49, v49, v53
	v_bfe_u32 v53, v7, 16, 1
	v_cndmask_b32_e64 v40, 0, v38, s[38:39]
	v_lshlrev_b16_e32 v53, 1, v53
	v_and_b32_sdwa v54, v6, v52 dst_sel:DWORD dst_unused:UNUSED_PAD src0_sel:WORD_1 src1_sel:DWORD
	v_add_u16_e32 v40, v40, v12
	v_cmp_gt_u32_e64 s[40:41], s0, v13
	v_or_b32_e32 v53, v54, v53
	v_bfe_u32 v54, v9, 16, 1
	v_and_b32_sdwa v55, v8, v52 dst_sel:DWORD dst_unused:UNUSED_PAD src0_sel:WORD_1 src1_sel:DWORD
	v_cndmask_b32_e64 v41, 0, v40, s[40:41]
	v_lshlrev_b16_e32 v54, 3, v54
	v_lshlrev_b16_e32 v55, 2, v55
	v_add_u16_e32 v41, v41, v13
	v_cmp_gt_u32_e64 s[42:43], s0, v14
	v_or_b32_e32 v54, v54, v55
	v_or_b32_e32 v53, v53, v54
	v_cndmask_b32_e64 v42, 0, v41, s[42:43]
	v_add_u16_e32 v42, v42, v14
	v_cmp_gt_u32_e64 s[44:45], s0, v15
	v_lshlrev_b16_e32 v53, 4, v53
	v_or_b32_e32 v49, v49, v53
	v_cndmask_b32_e64 v43, 0, v42, s[44:45]
	v_add_u16_e32 v43, v43, v15
	v_cmp_gt_u32_e64 s[46:47], s0, v16
	v_or_b32_sdwa v49, v49, v48 dst_sel:DWORD dst_unused:UNUSED_PAD src0_sel:BYTE_0 src1_sel:DWORD
	v_or_b32_e32 v46, v49, v46
	v_cndmask_b32_e64 v44, 0, v43, s[46:47]
	v_add_u16_e32 v44, v44, v16
	v_cmp_gt_u32_e64 s[48:49], s0, v17
	v_cmp_gt_u32_e64 s[50:51], s0, v32
	v_cmp_ne_u16_e64 s[0:1], 0, v46
	v_or3_b32 v46, v51, v50, v32
	v_cndmask_b32_e64 v45, 0, v44, s[48:49]
	v_and_b32_e32 v46, 0x10000, v46
	v_add_u16_e32 v45, v45, v17
	v_cmp_ne_u32_e64 s[52:53], 0, v46
	v_lshrrev_b32_e32 v47, 16, v1
	v_cndmask_b32_e64 v53, 0, v45, s[50:51]
	s_or_b64 s[0:1], s[52:53], s[0:1]
	v_cndmask_b32_e64 v49, v47, 1, s[0:1]
	v_mbcnt_hi_u32_b32 v33, -1, v33
	v_add_u16_e32 v46, v53, v32
	v_add_u16_e32 v48, v53, v32
	v_and_b32_e32 v54, 15, v33
	v_lshl_or_b32 v53, v49, 16, v46
	v_cmp_ne_u32_e64 s[0:1], 0, v54
	s_nop 0
	v_mov_b32_dpp v55, v53 row_shr:1 row_mask:0xf bank_mask:0xf
	s_and_saveexec_b64 s[52:53], s[0:1]
; %bb.217:
	v_cmp_eq_u32_e64 s[0:1], 0, v49
	v_and_b32_e32 v49, 1, v49
	v_and_b32_sdwa v52, v55, v52 dst_sel:DWORD dst_unused:UNUSED_PAD src0_sel:WORD_1 src1_sel:DWORD
	v_cndmask_b32_e64 v53, 0, v55, s[0:1]
	v_cmp_eq_u32_e64 s[0:1], 1, v49
	v_add_u16_e32 v56, v48, v53
	v_add_u16_e32 v48, v48, v53
	v_cndmask_b32_e64 v49, v52, 1, s[0:1]
	v_lshlrev_b32_e32 v52, 16, v49
	v_or_b32_e32 v53, v52, v48
	v_mov_b32_e32 v48, v56
; %bb.218:
	s_or_b64 exec, exec, s[52:53]
	v_lshrrev_b32_e32 v52, 16, v53
	v_mov_b32_dpp v55, v53 row_shr:2 row_mask:0xf bank_mask:0xf
	v_cmp_lt_u32_e64 s[0:1], 1, v54
	s_and_saveexec_b64 s[52:53], s[0:1]
	s_cbranch_execz .LBB1364_220
; %bb.219:
	s_mov_b32 s0, 0x10000
	v_cmp_gt_u32_e64 s[0:1], s0, v53
	v_and_b32_e32 v49, 0x10000, v53
	v_mov_b32_e32 v53, 1
	v_cndmask_b32_e64 v52, 0, v55, s[0:1]
	v_and_b32_sdwa v53, v55, v53 dst_sel:DWORD dst_unused:UNUSED_PAD src0_sel:WORD_1 src1_sel:DWORD
	v_cmp_ne_u32_e64 s[0:1], 0, v49
	v_add_u16_e32 v56, v52, v48
	v_add_u16_e32 v48, v52, v48
	v_cndmask_b32_e64 v49, v53, 1, s[0:1]
	v_lshlrev_b32_e32 v53, 16, v49
	v_or_b32_e32 v53, v53, v48
	v_mov_b32_e32 v52, v49
	v_mov_b32_e32 v48, v56
.LBB1364_220:
	s_or_b64 exec, exec, s[52:53]
	v_mov_b32_dpp v55, v53 row_shr:4 row_mask:0xf bank_mask:0xf
	v_cmp_lt_u32_e64 s[0:1], 3, v54
	s_and_saveexec_b64 s[52:53], s[0:1]
	s_cbranch_execz .LBB1364_222
; %bb.221:
	v_mov_b32_e32 v49, 0
	v_cmp_eq_u16_sdwa s[0:1], v52, v49 src0_sel:BYTE_0 src1_sel:DWORD
	v_and_b32_e32 v49, 1, v52
	v_mov_b32_e32 v52, 1
	v_cndmask_b32_e64 v53, 0, v55, s[0:1]
	v_and_b32_sdwa v52, v55, v52 dst_sel:DWORD dst_unused:UNUSED_PAD src0_sel:WORD_1 src1_sel:DWORD
	v_cmp_eq_u32_e64 s[0:1], 1, v49
	v_add_u16_e32 v56, v53, v48
	v_add_u16_e32 v48, v53, v48
	v_cndmask_b32_e64 v49, v52, 1, s[0:1]
	v_lshlrev_b32_e32 v52, 16, v49
	v_or_b32_e32 v53, v52, v48
	v_mov_b32_e32 v52, v49
	v_mov_b32_e32 v48, v56
.LBB1364_222:
	s_or_b64 exec, exec, s[52:53]
	v_mov_b32_dpp v55, v53 row_shr:8 row_mask:0xf bank_mask:0xf
	v_cmp_lt_u32_e64 s[0:1], 7, v54
	s_and_saveexec_b64 s[52:53], s[0:1]
	s_cbranch_execz .LBB1364_224
; %bb.223:
	v_mov_b32_e32 v49, 0
	v_cmp_eq_u16_sdwa s[0:1], v52, v49 src0_sel:BYTE_0 src1_sel:DWORD
	v_and_b32_e32 v49, 1, v52
	v_mov_b32_e32 v52, 1
	v_cndmask_b32_e64 v53, 0, v55, s[0:1]
	v_and_b32_sdwa v52, v55, v52 dst_sel:DWORD dst_unused:UNUSED_PAD src0_sel:WORD_1 src1_sel:DWORD
	v_cmp_eq_u32_e64 s[0:1], 1, v49
	v_add_u16_e32 v54, v53, v48
	v_add_u16_e32 v48, v53, v48
	v_cndmask_b32_e64 v49, v52, 1, s[0:1]
	v_lshlrev_b32_e32 v52, 16, v49
	v_or_b32_e32 v53, v52, v48
	v_mov_b32_e32 v52, v49
	v_mov_b32_e32 v48, v54
.LBB1364_224:
	s_or_b64 exec, exec, s[52:53]
	v_and_b32_e32 v55, 16, v33
	v_mov_b32_dpp v54, v53 row_bcast:15 row_mask:0xf bank_mask:0xf
	v_cmp_ne_u32_e64 s[0:1], 0, v55
	s_and_saveexec_b64 s[52:53], s[0:1]
	s_cbranch_execz .LBB1364_226
; %bb.225:
	v_mov_b32_e32 v49, 0
	v_cmp_eq_u16_sdwa s[0:1], v52, v49 src0_sel:BYTE_0 src1_sel:DWORD
	v_and_b32_e32 v49, 1, v52
	v_mov_b32_e32 v52, 1
	v_cndmask_b32_e64 v53, 0, v54, s[0:1]
	v_and_b32_sdwa v52, v54, v52 dst_sel:DWORD dst_unused:UNUSED_PAD src0_sel:WORD_1 src1_sel:DWORD
	v_cmp_eq_u32_e64 s[0:1], 1, v49
	v_add_u16_e32 v55, v53, v48
	v_add_u16_e32 v48, v53, v48
	v_cndmask_b32_e64 v49, v52, 1, s[0:1]
	v_lshlrev_b32_e32 v52, 16, v49
	v_or_b32_e32 v53, v52, v48
	v_mov_b32_e32 v48, v55
	v_mov_b32_e32 v52, v49
.LBB1364_226:
	s_or_b64 exec, exec, s[52:53]
	v_mov_b32_dpp v53, v53 row_bcast:31 row_mask:0xf bank_mask:0xf
	v_cmp_lt_u32_e64 s[0:1], 31, v33
	s_and_saveexec_b64 s[52:53], s[0:1]
; %bb.227:
	v_mov_b32_e32 v49, 0
	v_cmp_eq_u16_sdwa s[0:1], v52, v49 src0_sel:BYTE_0 src1_sel:DWORD
	s_nop 1
	v_cndmask_b32_e64 v49, 0, v53, s[0:1]
	v_add_u16_e32 v48, v49, v48
	v_and_b32_e32 v49, 1, v52
	v_mov_b32_e32 v52, 1
	v_and_b32_sdwa v52, v53, v52 dst_sel:DWORD dst_unused:UNUSED_PAD src0_sel:WORD_1 src1_sel:DWORD
	v_cmp_eq_u32_e64 s[0:1], 1, v49
	s_nop 1
	v_cndmask_b32_e64 v49, v52, 1, s[0:1]
; %bb.228:
	s_or_b64 exec, exec, s[52:53]
	v_or_b32_e32 v53, 63, v0
	v_lshrrev_b32_e32 v52, 6, v0
	v_cmp_eq_u32_e64 s[0:1], v53, v0
	s_and_saveexec_b64 s[52:53], s[0:1]
	s_cbranch_execz .LBB1364_230
; %bb.229:
	v_lshlrev_b32_e32 v53, 2, v52
	ds_write_b16 v53, v48
	ds_write_b8 v53, v49 offset:2
.LBB1364_230:
	s_or_b64 exec, exec, s[52:53]
	v_cmp_gt_u32_e64 s[0:1], 4, v0
	s_waitcnt lgkmcnt(0)
	s_barrier
	s_and_saveexec_b64 s[52:53], s[0:1]
	s_cbranch_execz .LBB1364_236
; %bb.231:
	v_lshlrev_b32_e32 v53, 2, v0
	ds_read_b32 v54, v53
	v_and_b32_e32 v57, 3, v33
	v_cmp_ne_u32_e64 s[0:1], 0, v57
	s_waitcnt lgkmcnt(0)
	v_lshrrev_b32_e32 v56, 16, v54
	v_mov_b32_dpp v58, v54 row_shr:1 row_mask:0xf bank_mask:0xf
	v_mov_b32_e32 v55, v54
	s_and_saveexec_b64 s[54:55], s[0:1]
	s_cbranch_execz .LBB1364_233
; %bb.232:
	v_mov_b32_e32 v55, 0
	v_cmp_eq_u16_sdwa s[0:1], v56, v55 src0_sel:BYTE_0 src1_sel:DWORD
	v_and_b32_e32 v56, 0x10000, v54
	v_mov_b32_e32 v61, 1
	v_cndmask_b32_e64 v60, 0, v58, s[0:1]
	v_and_b32_sdwa v58, v58, v61 dst_sel:DWORD dst_unused:UNUSED_PAD src0_sel:WORD_1 src1_sel:DWORD
	v_cmp_ne_u32_e64 s[0:1], 0, v56
	v_and_b32_e32 v59, 0xff000000, v54
	v_add_u16_e32 v55, v60, v54
	v_cndmask_b32_e64 v56, v58, 1, s[0:1]
	v_lshlrev_b32_e32 v58, 16, v56
	v_add_u16_e32 v54, v60, v54
	v_or3_b32 v54, v58, v59, v54
.LBB1364_233:
	s_or_b64 exec, exec, s[54:55]
	s_nop 0
	v_mov_b32_dpp v58, v54 row_shr:2 row_mask:0xf bank_mask:0xf
	v_cmp_lt_u32_e64 s[0:1], 1, v57
	s_and_saveexec_b64 s[54:55], s[0:1]
; %bb.234:
	v_and_b32_e32 v56, 0xff0000, v54
	v_cmp_eq_u32_e64 s[0:1], 0, v56
	v_and_b32_e32 v54, 0x10000, v54
	s_nop 0
	v_cndmask_b32_e64 v56, 0, v58, s[0:1]
	v_add_u16_e32 v55, v56, v55
	v_mov_b32_e32 v56, 1
	v_and_b32_sdwa v56, v58, v56 dst_sel:DWORD dst_unused:UNUSED_PAD src0_sel:WORD_1 src1_sel:DWORD
	v_cmp_eq_u32_e64 s[0:1], 0, v54
	s_nop 1
	v_cndmask_b32_e64 v56, 1, v56, s[0:1]
; %bb.235:
	s_or_b64 exec, exec, s[54:55]
	ds_write_b16 v53, v55
	ds_write_b8 v53, v56 offset:2
.LBB1364_236:
	s_or_b64 exec, exec, s[52:53]
	v_cmp_lt_u32_e64 s[0:1], 63, v0
	v_mov_b32_e32 v53, 0
	s_waitcnt lgkmcnt(0)
	s_barrier
	s_and_saveexec_b64 s[52:53], s[0:1]
	s_cbranch_execz .LBB1364_238
; %bb.237:
	v_lshl_add_u32 v52, v52, 2, -4
	ds_read_u16 v53, v52
	ds_read_u8 v52, v52 offset:2
	v_mov_b32_e32 v54, 0
	v_and_b32_e32 v55, 1, v49
	v_cmp_eq_u16_sdwa s[0:1], v49, v54 src0_sel:BYTE_0 src1_sel:DWORD
	s_waitcnt lgkmcnt(1)
	s_nop 0
	v_cndmask_b32_e64 v49, 0, v53, s[0:1]
	v_cmp_eq_u32_e64 s[0:1], 1, v55
	v_add_u16_e32 v48, v49, v48
	s_waitcnt lgkmcnt(0)
	v_cndmask_b32_e64 v49, v52, 1, s[0:1]
.LBB1364_238:
	s_or_b64 exec, exec, s[52:53]
	v_and_b32_e32 v49, 0xff, v49
	v_and_b32_e32 v48, 0xffff, v48
	v_lshl_or_b32 v48, v49, 16, v48
	v_add_u32_e32 v49, -1, v33
	v_and_b32_e32 v52, 64, v33
	v_cmp_lt_i32_e64 s[0:1], v49, v52
	s_nop 1
	v_cndmask_b32_e64 v49, v49, v33, s[0:1]
	v_lshlrev_b32_e32 v49, 2, v49
	ds_bpermute_b32 v48, v49, v48
	s_and_saveexec_b64 s[52:53], s[4:5]
	s_cbranch_execz .LBB1364_240
; %bb.239:
	v_cmp_eq_u32_e64 s[0:1], 0, v33
	v_and_b32_e32 v23, 0xff0000, v1
	v_mov_b32_e32 v47, 0
	s_waitcnt lgkmcnt(0)
	v_cndmask_b32_e64 v22, v48, v53, s[0:1]
	v_and_b32_e32 v22, 0xffff, v22
	v_cmp_eq_u32_e64 s[0:1], 0, v23
	;;#ASMSTART
	;;#ASMEND
	s_nop 1
	v_cndmask_b32_e64 v22, 0, v22, s[0:1]
	v_add_u32_e32 v1, v22, v1
	v_cndmask_b32_e32 v22, 0, v1, vcc
	v_add_u16_e32 v22, v22, v50
	v_cndmask_b32_e64 v23, 0, v22, s[6:7]
	v_add_u16_e32 v23, v23, v51
	v_cndmask_b32_e64 v24, 0, v23, s[8:9]
	;; [unrolled: 2-line block ×22, first 2 shown]
	v_add_u16_e32 v46, v2, v32
.LBB1364_240:
	s_or_b64 exec, exec, s[52:53]
	s_and_saveexec_b64 s[0:1], s[56:57]
	s_cbranch_execz .LBB1364_242
; %bb.241:
	v_mov_b32_e32 v4, 0
	ds_read_u8 v2, v4 offset:14
	ds_read_u16 v3, v4 offset:12
	s_waitcnt lgkmcnt(1)
	v_lshlrev_b32_e32 v2, 16, v2
	s_waitcnt lgkmcnt(0)
	v_or_b32_e32 v2, v2, v3
	v_mov_b32_e32 v3, 2
	global_store_dwordx2 v4, v[2:3], s[76:77] offset:512 sc1
.LBB1364_242:
	s_or_b64 exec, exec, s[0:1]
	v_lshl_or_b32 v47, v47, 16, v1
.LBB1364_243:
	s_add_u32 s0, s66, s58
	s_addc_u32 s1, s67, s59
	s_add_u32 s0, s0, s60
	s_addc_u32 s1, s1, s61
	s_and_b64 vcc, exec, s[2:3]
	v_mul_u32_u24_e32 v6, 24, v0
	s_cbranch_vccz .LBB1364_295
; %bb.244:
	s_add_i32 s33, s33, s78
	v_cmp_le_u32_e32 vcc, s33, v6
                                        ; implicit-def: $vgpr1
                                        ; implicit-def: $vgpr2
                                        ; implicit-def: $vgpr3
                                        ; implicit-def: $vgpr4
                                        ; implicit-def: $vgpr5
                                        ; implicit-def: $vgpr7
                                        ; implicit-def: $vgpr8
	s_and_saveexec_b64 s[2:3], vcc
	s_xor_b64 s[2:3], exec, s[2:3]
; %bb.245:
	v_or_b32_e32 v1, 1, v6
	v_or_b32_e32 v2, 2, v6
	;; [unrolled: 1-line block ×7, first 2 shown]
; %bb.246:
	s_andn2_saveexec_b64 s[2:3], s[2:3]
; %bb.247:
	v_or_b32_e32 v1, 1, v6
	v_or_b32_e32 v2, 2, v6
	;; [unrolled: 1-line block ×7, first 2 shown]
; %bb.248:
	s_or_b64 exec, exec, s[2:3]
	v_lshlrev_b32_e32 v50, 1, v6
	v_lshlrev_b32_e32 v1, 1, v1
	s_waitcnt lgkmcnt(0)
	s_barrier
	ds_write_b16 v50, v47
	ds_write_b16 v1, v22
	v_lshlrev_b32_e32 v1, 1, v2
	ds_write_b16 v1, v23
	v_lshlrev_b32_e32 v1, 1, v3
	;; [unrolled: 2-line block ×5, first 2 shown]
	s_mov_b32 s2, 0x5040100
	ds_write_b16 v1, v27
	v_lshlrev_b32_e32 v1, 1, v8
	v_perm_b32 v5, v39, v37, s2
	v_perm_b32 v4, v36, v35, s2
	;; [unrolled: 1-line block ×4, first 2 shown]
	ds_write_b16 v1, v29
	ds_write_b128 v50, v[2:5] offset:16
	v_perm_b32 v5, v46, v45, s2
	v_perm_b32 v4, v44, v43, s2
	;; [unrolled: 1-line block ×4, first 2 shown]
	s_movk_i32 s2, 0xffd2
	ds_write_b128 v50, v[2:5] offset:32
	v_mad_i32_i24 v2, v0, s2, v50
	s_waitcnt lgkmcnt(0)
	s_barrier
	ds_read_u16 v53, v2 offset:512
	ds_read_u16 v52, v2 offset:1024
	;; [unrolled: 1-line block ×23, first 2 shown]
	v_mov_b32_e32 v3, 0
	v_lshlrev_b32_e32 v2, 1, v0
	v_lshl_add_u64 v[4:5], s[0:1], 0, v[2:3]
	v_cmp_gt_u32_e32 vcc, s33, v0
	s_and_saveexec_b64 s[2:3], vcc
	s_cbranch_execz .LBB1364_250
; %bb.249:
	v_mul_i32_i24_e32 v2, 0xffffffd2, v0
	v_add_u32_e32 v2, v50, v2
	ds_read_u16 v2, v2
	s_waitcnt lgkmcnt(0)
	flat_store_short v[4:5], v2
.LBB1364_250:
	s_or_b64 exec, exec, s[2:3]
	v_or_b32_e32 v2, 0x100, v0
	v_cmp_gt_u32_e32 vcc, s33, v2
	s_and_saveexec_b64 s[2:3], vcc
	s_cbranch_execz .LBB1364_252
; %bb.251:
	s_waitcnt lgkmcnt(0)
	flat_store_short v[4:5], v53 offset:512
.LBB1364_252:
	s_or_b64 exec, exec, s[2:3]
	v_or_b32_e32 v2, 0x200, v0
	v_cmp_gt_u32_e32 vcc, s33, v2
	s_and_saveexec_b64 s[2:3], vcc
	s_cbranch_execz .LBB1364_254
; %bb.253:
	s_waitcnt lgkmcnt(0)
	flat_store_short v[4:5], v52 offset:1024
.LBB1364_254:
	s_or_b64 exec, exec, s[2:3]
	v_or_b32_e32 v2, 0x300, v0
	v_cmp_gt_u32_e32 vcc, s33, v2
	s_and_saveexec_b64 s[2:3], vcc
	s_cbranch_execz .LBB1364_256
; %bb.255:
	s_waitcnt lgkmcnt(0)
	flat_store_short v[4:5], v51 offset:1536
.LBB1364_256:
	s_or_b64 exec, exec, s[2:3]
	v_or_b32_e32 v2, 0x400, v0
	v_cmp_gt_u32_e32 vcc, s33, v2
	s_and_saveexec_b64 s[2:3], vcc
	s_cbranch_execz .LBB1364_258
; %bb.257:
	s_waitcnt lgkmcnt(0)
	flat_store_short v[4:5], v49 offset:2048
.LBB1364_258:
	s_or_b64 exec, exec, s[2:3]
	v_or_b32_e32 v2, 0x500, v0
	v_cmp_gt_u32_e32 vcc, s33, v2
	s_and_saveexec_b64 s[2:3], vcc
	s_cbranch_execz .LBB1364_260
; %bb.259:
	s_waitcnt lgkmcnt(0)
	flat_store_short v[4:5], v48 offset:2560
.LBB1364_260:
	s_or_b64 exec, exec, s[2:3]
	v_or_b32_e32 v2, 0x600, v0
	v_cmp_gt_u32_e32 vcc, s33, v2
	s_and_saveexec_b64 s[2:3], vcc
	s_cbranch_execz .LBB1364_262
; %bb.261:
	s_waitcnt lgkmcnt(0)
	flat_store_short v[4:5], v33 offset:3072
.LBB1364_262:
	s_or_b64 exec, exec, s[2:3]
	v_or_b32_e32 v2, 0x700, v0
	v_cmp_gt_u32_e32 vcc, s33, v2
	s_and_saveexec_b64 s[2:3], vcc
	s_cbranch_execz .LBB1364_264
; %bb.263:
	s_waitcnt lgkmcnt(0)
	flat_store_short v[4:5], v32 offset:3584
.LBB1364_264:
	s_or_b64 exec, exec, s[2:3]
	v_or_b32_e32 v2, 0x800, v0
	v_cmp_gt_u32_e32 vcc, s33, v2
	s_and_saveexec_b64 s[2:3], vcc
	s_cbranch_execz .LBB1364_266
; %bb.265:
	s_waitcnt lgkmcnt(0)
	v_add_co_u32_e32 v32, vcc, 0x1000, v4
	s_nop 1
	v_addc_co_u32_e32 v33, vcc, 0, v5, vcc
	flat_store_short v[32:33], v21
.LBB1364_266:
	s_or_b64 exec, exec, s[2:3]
	v_or_b32_e32 v2, 0x900, v0
	v_cmp_gt_u32_e32 vcc, s33, v2
	s_and_saveexec_b64 s[2:3], vcc
	s_cbranch_execz .LBB1364_268
; %bb.267:
	s_waitcnt lgkmcnt(0)
	v_add_co_u32_e32 v32, vcc, 0x1000, v4
	s_nop 1
	v_addc_co_u32_e32 v33, vcc, 0, v5, vcc
	flat_store_short v[32:33], v20 offset:512
.LBB1364_268:
	s_or_b64 exec, exec, s[2:3]
	v_or_b32_e32 v2, 0xa00, v0
	v_cmp_gt_u32_e32 vcc, s33, v2
	s_and_saveexec_b64 s[2:3], vcc
	s_cbranch_execz .LBB1364_270
; %bb.269:
	s_waitcnt lgkmcnt(0)
	v_add_co_u32_e32 v20, vcc, 0x1000, v4
	s_nop 1
	v_addc_co_u32_e32 v21, vcc, 0, v5, vcc
	flat_store_short v[20:21], v19 offset:1024
.LBB1364_270:
	;; [unrolled: 12-line block ×7, first 2 shown]
	s_or_b64 exec, exec, s[2:3]
	v_or_b32_e32 v2, 0x1000, v0
	v_cmp_gt_u32_e32 vcc, s33, v2
	s_and_saveexec_b64 s[2:3], vcc
	s_cbranch_execz .LBB1364_282
; %bb.281:
	s_waitcnt lgkmcnt(0)
	v_add_co_u32_e32 v14, vcc, 0x2000, v4
	s_nop 1
	v_addc_co_u32_e32 v15, vcc, 0, v5, vcc
	flat_store_short v[14:15], v13
.LBB1364_282:
	s_or_b64 exec, exec, s[2:3]
	v_or_b32_e32 v2, 0x1100, v0
	v_cmp_gt_u32_e32 vcc, s33, v2
	s_and_saveexec_b64 s[2:3], vcc
	s_cbranch_execz .LBB1364_284
; %bb.283:
	s_waitcnt lgkmcnt(0)
	v_add_co_u32_e32 v14, vcc, 0x2000, v4
	s_nop 1
	v_addc_co_u32_e32 v15, vcc, 0, v5, vcc
	flat_store_short v[14:15], v12 offset:512
.LBB1364_284:
	s_or_b64 exec, exec, s[2:3]
	v_or_b32_e32 v2, 0x1200, v0
	v_cmp_gt_u32_e32 vcc, s33, v2
	s_and_saveexec_b64 s[2:3], vcc
	s_cbranch_execz .LBB1364_286
; %bb.285:
	s_waitcnt lgkmcnt(0)
	v_add_co_u32_e32 v12, vcc, 0x2000, v4
	s_nop 1
	v_addc_co_u32_e32 v13, vcc, 0, v5, vcc
	flat_store_short v[12:13], v11 offset:1024
.LBB1364_286:
	;; [unrolled: 12-line block ×5, first 2 shown]
	s_or_b64 exec, exec, s[2:3]
	v_or_b32_e32 v2, 0x1600, v0
	v_cmp_gt_u32_e32 vcc, s33, v2
	s_and_saveexec_b64 s[2:3], vcc
	s_cbranch_execz .LBB1364_294
; %bb.293:
	v_add_co_u32_e32 v4, vcc, 0x2000, v4
	s_nop 1
	v_addc_co_u32_e32 v5, vcc, 0, v5, vcc
	s_waitcnt lgkmcnt(0)
	flat_store_short v[4:5], v1 offset:3072
.LBB1364_294:
	s_or_b64 exec, exec, s[2:3]
	v_or_b32_e32 v2, 0x1700, v0
	s_waitcnt lgkmcnt(0)
	v_mov_b32_e32 v1, v3
	v_cmp_gt_u32_e64 s[2:3], s33, v2
	s_branch .LBB1364_297
.LBB1364_295:
	s_mov_b64 s[2:3], 0
                                        ; implicit-def: $vgpr7
	s_cbranch_execz .LBB1364_297
; %bb.296:
	s_mov_b32 s4, 0x5040100
	v_lshlrev_b32_e32 v6, 1, v6
	v_perm_b32 v5, v29, v27, s4
	v_perm_b32 v4, v26, v25, s4
	;; [unrolled: 1-line block ×4, first 2 shown]
	s_waitcnt lgkmcnt(0)
	s_barrier
	ds_write_b128 v6, v[2:5]
	v_perm_b32 v5, v39, v37, s4
	v_perm_b32 v4, v36, v35, s4
	;; [unrolled: 1-line block ×4, first 2 shown]
	ds_write_b128 v6, v[2:5] offset:16
	v_perm_b32 v4, v44, v43, s4
	v_perm_b32 v3, v42, v41, s4
	;; [unrolled: 1-line block ×4, first 2 shown]
	s_movk_i32 s4, 0xffd2
	ds_write_b128 v6, v[2:5] offset:32
	v_mov_b32_e32 v1, 0
	v_mad_i32_i24 v2, v0, s4, v6
	s_waitcnt lgkmcnt(0)
	s_barrier
	ds_read_u16 v4, v2
	ds_read_u16 v5, v2 offset:512
	ds_read_u16 v6, v2 offset:1024
	;; [unrolled: 1-line block ×23, first 2 shown]
	v_lshlrev_b32_e32 v2, 1, v0
	v_mov_b32_e32 v3, v1
	v_lshl_add_u64 v[2:3], s[0:1], 0, v[2:3]
	s_movk_i32 s4, 0x1000
	s_waitcnt lgkmcnt(0)
	flat_store_short v[2:3], v4
	flat_store_short v[2:3], v5 offset:512
	flat_store_short v[2:3], v6 offset:1024
	;; [unrolled: 1-line block ×7, first 2 shown]
	v_add_co_u32_e32 v4, vcc, s4, v2
	s_or_b64 s[2:3], s[2:3], exec
	s_nop 0
	v_addc_co_u32_e32 v5, vcc, 0, v3, vcc
	v_add_co_u32_e32 v2, vcc, 0x2000, v2
	flat_store_short v[4:5], v13
	flat_store_short v[4:5], v14 offset:512
	flat_store_short v[4:5], v15 offset:1024
	;; [unrolled: 1-line block ×7, first 2 shown]
	v_addc_co_u32_e32 v3, vcc, 0, v3, vcc
	flat_store_short v[2:3], v21
	flat_store_short v[2:3], v22 offset:512
	flat_store_short v[2:3], v23 offset:1024
	;; [unrolled: 1-line block ×6, first 2 shown]
.LBB1364_297:
	s_and_saveexec_b64 s[4:5], s[2:3]
	s_cbranch_execnz .LBB1364_299
; %bb.298:
	s_endpgm
.LBB1364_299:
	v_lshl_add_u64 v[0:1], v[0:1], 1, s[0:1]
	v_add_co_u32_e32 v0, vcc, 0x2000, v0
	s_nop 1
	v_addc_co_u32_e32 v1, vcc, 0, v1, vcc
	flat_store_short v[0:1], v7 offset:3584
	s_endpgm
.LBB1364_300:
	v_lshlrev_b32_e32 v2, 1, v0
	v_lshl_add_u64 v[2:3], s[62:63], 0, v[2:3]
	flat_load_ushort v2, v[2:3]
	s_or_b64 exec, exec, s[0:1]
                                        ; implicit-def: $vgpr3
	s_and_saveexec_b64 s[0:1], s[8:9]
	s_cbranch_execz .LBB1364_61
.LBB1364_301:
	v_lshlrev_b32_e32 v20, 1, v0
	v_mov_b32_e32 v21, 0
	v_lshl_add_u64 v[20:21], s[62:63], 0, v[20:21]
	flat_load_ushort v3, v[20:21] offset:512
	s_or_b64 exec, exec, s[0:1]
                                        ; implicit-def: $vgpr20
	s_and_saveexec_b64 s[0:1], s[10:11]
	s_cbranch_execz .LBB1364_62
.LBB1364_302:
	v_lshlrev_b32_e32 v20, 1, v0
	v_mov_b32_e32 v21, 0
	v_lshl_add_u64 v[20:21], s[62:63], 0, v[20:21]
	flat_load_ushort v20, v[20:21] offset:1024
	s_or_b64 exec, exec, s[0:1]
                                        ; implicit-def: $vgpr21
	s_and_saveexec_b64 s[0:1], s[12:13]
	s_cbranch_execz .LBB1364_63
.LBB1364_303:
	v_lshlrev_b32_e32 v48, 1, v0
	v_mov_b32_e32 v49, 0
	v_lshl_add_u64 v[48:49], s[62:63], 0, v[48:49]
	flat_load_ushort v21, v[48:49] offset:1536
	s_or_b64 exec, exec, s[0:1]
                                        ; implicit-def: $vgpr47
	s_and_saveexec_b64 s[0:1], s[14:15]
	s_cbranch_execz .LBB1364_64
.LBB1364_304:
	v_lshlrev_b32_e32 v48, 1, v0
	v_mov_b32_e32 v49, 0
	v_lshl_add_u64 v[48:49], s[62:63], 0, v[48:49]
	flat_load_ushort v47, v[48:49] offset:2048
	s_or_b64 exec, exec, s[0:1]
                                        ; implicit-def: $vgpr48
	s_and_saveexec_b64 s[0:1], s[16:17]
	s_cbranch_execz .LBB1364_65
.LBB1364_305:
	v_lshlrev_b32_e32 v48, 1, v0
	v_mov_b32_e32 v49, 0
	v_lshl_add_u64 v[48:49], s[62:63], 0, v[48:49]
	flat_load_ushort v48, v[48:49] offset:2560
	s_or_b64 exec, exec, s[0:1]
                                        ; implicit-def: $vgpr49
	s_and_saveexec_b64 s[0:1], s[18:19]
	s_cbranch_execz .LBB1364_66
.LBB1364_306:
	v_lshlrev_b32_e32 v50, 1, v0
	v_mov_b32_e32 v51, 0
	v_lshl_add_u64 v[50:51], s[62:63], 0, v[50:51]
	flat_load_ushort v49, v[50:51] offset:3072
	s_or_b64 exec, exec, s[0:1]
                                        ; implicit-def: $vgpr50
	s_and_saveexec_b64 s[0:1], s[20:21]
	s_cbranch_execz .LBB1364_67
.LBB1364_307:
	v_lshlrev_b32_e32 v50, 1, v0
	v_mov_b32_e32 v51, 0
	v_lshl_add_u64 v[50:51], s[62:63], 0, v[50:51]
	flat_load_ushort v50, v[50:51] offset:3584
	s_or_b64 exec, exec, s[0:1]
                                        ; implicit-def: $vgpr51
	s_and_saveexec_b64 s[0:1], s[22:23]
	s_cbranch_execz .LBB1364_68
.LBB1364_308:
	v_lshlrev_b32_e32 v52, 1, v1
	v_mov_b32_e32 v53, 0
	v_lshl_add_u64 v[52:53], s[62:63], 0, v[52:53]
	flat_load_ushort v51, v[52:53]
	s_or_b64 exec, exec, s[0:1]
                                        ; implicit-def: $vgpr1
	s_and_saveexec_b64 s[0:1], s[24:25]
	s_cbranch_execz .LBB1364_69
.LBB1364_309:
	v_lshlrev_b32_e32 v52, 1, v4
	v_mov_b32_e32 v53, 0
	v_lshl_add_u64 v[52:53], s[62:63], 0, v[52:53]
	flat_load_ushort v1, v[52:53]
	s_or_b64 exec, exec, s[0:1]
                                        ; implicit-def: $vgpr4
	s_and_saveexec_b64 s[0:1], s[26:27]
	s_cbranch_execz .LBB1364_70
.LBB1364_310:
	v_lshlrev_b32_e32 v4, 1, v5
	v_mov_b32_e32 v5, 0
	v_lshl_add_u64 v[4:5], s[62:63], 0, v[4:5]
	flat_load_ushort v4, v[4:5]
	s_or_b64 exec, exec, s[0:1]
                                        ; implicit-def: $vgpr5
	s_and_saveexec_b64 s[0:1], s[28:29]
	s_cbranch_execz .LBB1364_71
.LBB1364_311:
	v_lshlrev_b32_e32 v52, 1, v6
	v_mov_b32_e32 v53, 0
	v_lshl_add_u64 v[52:53], s[62:63], 0, v[52:53]
	flat_load_ushort v5, v[52:53]
	s_or_b64 exec, exec, s[0:1]
                                        ; implicit-def: $vgpr6
	s_and_saveexec_b64 s[0:1], s[30:31]
	s_cbranch_execz .LBB1364_72
.LBB1364_312:
	v_lshlrev_b32_e32 v6, 1, v7
	v_mov_b32_e32 v7, 0
	v_lshl_add_u64 v[6:7], s[62:63], 0, v[6:7]
	flat_load_ushort v6, v[6:7]
	s_or_b64 exec, exec, s[0:1]
                                        ; implicit-def: $vgpr7
	s_and_saveexec_b64 s[0:1], s[34:35]
	s_cbranch_execz .LBB1364_73
.LBB1364_313:
	v_lshlrev_b32_e32 v52, 1, v8
	v_mov_b32_e32 v53, 0
	v_lshl_add_u64 v[52:53], s[62:63], 0, v[52:53]
	flat_load_ushort v7, v[52:53]
	s_or_b64 exec, exec, s[0:1]
                                        ; implicit-def: $vgpr8
	s_and_saveexec_b64 s[0:1], s[36:37]
	s_cbranch_execz .LBB1364_74
.LBB1364_314:
	v_lshlrev_b32_e32 v8, 1, v9
	v_mov_b32_e32 v9, 0
	v_lshl_add_u64 v[8:9], s[62:63], 0, v[8:9]
	flat_load_ushort v8, v[8:9]
	s_or_b64 exec, exec, s[0:1]
                                        ; implicit-def: $vgpr9
	s_and_saveexec_b64 s[0:1], s[38:39]
	s_cbranch_execz .LBB1364_75
.LBB1364_315:
	v_lshlrev_b32_e32 v52, 1, v10
	v_mov_b32_e32 v53, 0
	v_lshl_add_u64 v[52:53], s[62:63], 0, v[52:53]
	flat_load_ushort v9, v[52:53]
	s_or_b64 exec, exec, s[0:1]
                                        ; implicit-def: $vgpr10
	s_and_saveexec_b64 s[0:1], s[40:41]
	s_cbranch_execz .LBB1364_76
.LBB1364_316:
	v_lshlrev_b32_e32 v10, 1, v11
	v_mov_b32_e32 v11, 0
	v_lshl_add_u64 v[10:11], s[62:63], 0, v[10:11]
	flat_load_ushort v10, v[10:11]
	s_or_b64 exec, exec, s[0:1]
                                        ; implicit-def: $vgpr11
	s_and_saveexec_b64 s[0:1], s[42:43]
	s_cbranch_execz .LBB1364_77
.LBB1364_317:
	v_lshlrev_b32_e32 v52, 1, v12
	v_mov_b32_e32 v53, 0
	v_lshl_add_u64 v[52:53], s[62:63], 0, v[52:53]
	flat_load_ushort v11, v[52:53]
	s_or_b64 exec, exec, s[0:1]
                                        ; implicit-def: $vgpr12
	s_and_saveexec_b64 s[0:1], s[44:45]
	s_cbranch_execz .LBB1364_78
.LBB1364_318:
	v_lshlrev_b32_e32 v12, 1, v13
	v_mov_b32_e32 v13, 0
	v_lshl_add_u64 v[12:13], s[62:63], 0, v[12:13]
	flat_load_ushort v12, v[12:13]
	s_or_b64 exec, exec, s[0:1]
                                        ; implicit-def: $vgpr13
	s_and_saveexec_b64 s[0:1], s[46:47]
	s_cbranch_execz .LBB1364_79
.LBB1364_319:
	v_lshlrev_b32_e32 v52, 1, v14
	v_mov_b32_e32 v53, 0
	v_lshl_add_u64 v[52:53], s[62:63], 0, v[52:53]
	flat_load_ushort v13, v[52:53]
	s_or_b64 exec, exec, s[0:1]
                                        ; implicit-def: $vgpr14
	s_and_saveexec_b64 s[0:1], s[48:49]
	s_cbranch_execz .LBB1364_80
.LBB1364_320:
	v_lshlrev_b32_e32 v14, 1, v15
	v_mov_b32_e32 v15, 0
	v_lshl_add_u64 v[14:15], s[62:63], 0, v[14:15]
	flat_load_ushort v14, v[14:15]
	s_or_b64 exec, exec, s[0:1]
                                        ; implicit-def: $vgpr15
	s_and_saveexec_b64 s[0:1], s[50:51]
	s_cbranch_execz .LBB1364_81
.LBB1364_321:
	v_lshlrev_b32_e32 v52, 1, v16
	v_mov_b32_e32 v53, 0
	v_lshl_add_u64 v[52:53], s[62:63], 0, v[52:53]
	flat_load_ushort v15, v[52:53]
	s_or_b64 exec, exec, s[0:1]
                                        ; implicit-def: $vgpr16
	s_and_saveexec_b64 s[0:1], s[52:53]
	s_cbranch_execz .LBB1364_82
.LBB1364_322:
	v_lshlrev_b32_e32 v16, 1, v17
	v_mov_b32_e32 v17, 0
	v_lshl_add_u64 v[16:17], s[62:63], 0, v[16:17]
	flat_load_ushort v16, v[16:17]
	s_or_b64 exec, exec, s[0:1]
                                        ; implicit-def: $vgpr17
	s_and_saveexec_b64 s[0:1], s[54:55]
	s_cbranch_execnz .LBB1364_83
	s_branch .LBB1364_84
.LBB1364_323:
                                        ; implicit-def: $sgpr0_sgpr1
	s_branch .LBB1364_56
.LBB1364_324:
                                        ; implicit-def: $sgpr0_sgpr1
	s_branch .LBB1364_135
	.section	.rodata,"a",@progbits
	.p2align	6, 0x0
	.amdhsa_kernel _ZN7rocprim17ROCPRIM_400000_NS6detail17trampoline_kernelINS0_14default_configENS1_27scan_by_key_config_selectorIisEEZZNS1_16scan_by_key_implILNS1_25lookback_scan_determinismE0ELb0ES3_N6thrust23THRUST_200600_302600_NS6detail15normal_iteratorINS9_10device_ptrIiEEEENSB_INSC_IsEEEESG_sNS9_4plusIvEENS9_8equal_toIvEEsEE10hipError_tPvRmT2_T3_T4_T5_mT6_T7_P12ihipStream_tbENKUlT_T0_E_clISt17integral_constantIbLb1EES11_EEDaSW_SX_EUlSW_E_NS1_11comp_targetILNS1_3genE5ELNS1_11target_archE942ELNS1_3gpuE9ELNS1_3repE0EEENS1_30default_config_static_selectorELNS0_4arch9wavefront6targetE1EEEvT1_
		.amdhsa_group_segment_fixed_size 26624
		.amdhsa_private_segment_fixed_size 0
		.amdhsa_kernarg_size 112
		.amdhsa_user_sgpr_count 2
		.amdhsa_user_sgpr_dispatch_ptr 0
		.amdhsa_user_sgpr_queue_ptr 0
		.amdhsa_user_sgpr_kernarg_segment_ptr 1
		.amdhsa_user_sgpr_dispatch_id 0
		.amdhsa_user_sgpr_kernarg_preload_length 0
		.amdhsa_user_sgpr_kernarg_preload_offset 0
		.amdhsa_user_sgpr_private_segment_size 0
		.amdhsa_uses_dynamic_stack 0
		.amdhsa_enable_private_segment 0
		.amdhsa_system_sgpr_workgroup_id_x 1
		.amdhsa_system_sgpr_workgroup_id_y 0
		.amdhsa_system_sgpr_workgroup_id_z 0
		.amdhsa_system_sgpr_workgroup_info 0
		.amdhsa_system_vgpr_workitem_id 0
		.amdhsa_next_free_vgpr 62
		.amdhsa_next_free_sgpr 87
		.amdhsa_accum_offset 64
		.amdhsa_reserve_vcc 1
		.amdhsa_float_round_mode_32 0
		.amdhsa_float_round_mode_16_64 0
		.amdhsa_float_denorm_mode_32 3
		.amdhsa_float_denorm_mode_16_64 3
		.amdhsa_dx10_clamp 1
		.amdhsa_ieee_mode 1
		.amdhsa_fp16_overflow 0
		.amdhsa_tg_split 0
		.amdhsa_exception_fp_ieee_invalid_op 0
		.amdhsa_exception_fp_denorm_src 0
		.amdhsa_exception_fp_ieee_div_zero 0
		.amdhsa_exception_fp_ieee_overflow 0
		.amdhsa_exception_fp_ieee_underflow 0
		.amdhsa_exception_fp_ieee_inexact 0
		.amdhsa_exception_int_div_zero 0
	.end_amdhsa_kernel
	.section	.text._ZN7rocprim17ROCPRIM_400000_NS6detail17trampoline_kernelINS0_14default_configENS1_27scan_by_key_config_selectorIisEEZZNS1_16scan_by_key_implILNS1_25lookback_scan_determinismE0ELb0ES3_N6thrust23THRUST_200600_302600_NS6detail15normal_iteratorINS9_10device_ptrIiEEEENSB_INSC_IsEEEESG_sNS9_4plusIvEENS9_8equal_toIvEEsEE10hipError_tPvRmT2_T3_T4_T5_mT6_T7_P12ihipStream_tbENKUlT_T0_E_clISt17integral_constantIbLb1EES11_EEDaSW_SX_EUlSW_E_NS1_11comp_targetILNS1_3genE5ELNS1_11target_archE942ELNS1_3gpuE9ELNS1_3repE0EEENS1_30default_config_static_selectorELNS0_4arch9wavefront6targetE1EEEvT1_,"axG",@progbits,_ZN7rocprim17ROCPRIM_400000_NS6detail17trampoline_kernelINS0_14default_configENS1_27scan_by_key_config_selectorIisEEZZNS1_16scan_by_key_implILNS1_25lookback_scan_determinismE0ELb0ES3_N6thrust23THRUST_200600_302600_NS6detail15normal_iteratorINS9_10device_ptrIiEEEENSB_INSC_IsEEEESG_sNS9_4plusIvEENS9_8equal_toIvEEsEE10hipError_tPvRmT2_T3_T4_T5_mT6_T7_P12ihipStream_tbENKUlT_T0_E_clISt17integral_constantIbLb1EES11_EEDaSW_SX_EUlSW_E_NS1_11comp_targetILNS1_3genE5ELNS1_11target_archE942ELNS1_3gpuE9ELNS1_3repE0EEENS1_30default_config_static_selectorELNS0_4arch9wavefront6targetE1EEEvT1_,comdat
.Lfunc_end1364:
	.size	_ZN7rocprim17ROCPRIM_400000_NS6detail17trampoline_kernelINS0_14default_configENS1_27scan_by_key_config_selectorIisEEZZNS1_16scan_by_key_implILNS1_25lookback_scan_determinismE0ELb0ES3_N6thrust23THRUST_200600_302600_NS6detail15normal_iteratorINS9_10device_ptrIiEEEENSB_INSC_IsEEEESG_sNS9_4plusIvEENS9_8equal_toIvEEsEE10hipError_tPvRmT2_T3_T4_T5_mT6_T7_P12ihipStream_tbENKUlT_T0_E_clISt17integral_constantIbLb1EES11_EEDaSW_SX_EUlSW_E_NS1_11comp_targetILNS1_3genE5ELNS1_11target_archE942ELNS1_3gpuE9ELNS1_3repE0EEENS1_30default_config_static_selectorELNS0_4arch9wavefront6targetE1EEEvT1_, .Lfunc_end1364-_ZN7rocprim17ROCPRIM_400000_NS6detail17trampoline_kernelINS0_14default_configENS1_27scan_by_key_config_selectorIisEEZZNS1_16scan_by_key_implILNS1_25lookback_scan_determinismE0ELb0ES3_N6thrust23THRUST_200600_302600_NS6detail15normal_iteratorINS9_10device_ptrIiEEEENSB_INSC_IsEEEESG_sNS9_4plusIvEENS9_8equal_toIvEEsEE10hipError_tPvRmT2_T3_T4_T5_mT6_T7_P12ihipStream_tbENKUlT_T0_E_clISt17integral_constantIbLb1EES11_EEDaSW_SX_EUlSW_E_NS1_11comp_targetILNS1_3genE5ELNS1_11target_archE942ELNS1_3gpuE9ELNS1_3repE0EEENS1_30default_config_static_selectorELNS0_4arch9wavefront6targetE1EEEvT1_
                                        ; -- End function
	.section	.AMDGPU.csdata,"",@progbits
; Kernel info:
; codeLenInByte = 16336
; NumSgprs: 93
; NumVgprs: 62
; NumAgprs: 0
; TotalNumVgprs: 62
; ScratchSize: 0
; MemoryBound: 0
; FloatMode: 240
; IeeeMode: 1
; LDSByteSize: 26624 bytes/workgroup (compile time only)
; SGPRBlocks: 11
; VGPRBlocks: 7
; NumSGPRsForWavesPerEU: 93
; NumVGPRsForWavesPerEU: 62
; AccumOffset: 64
; Occupancy: 2
; WaveLimiterHint : 1
; COMPUTE_PGM_RSRC2:SCRATCH_EN: 0
; COMPUTE_PGM_RSRC2:USER_SGPR: 2
; COMPUTE_PGM_RSRC2:TRAP_HANDLER: 0
; COMPUTE_PGM_RSRC2:TGID_X_EN: 1
; COMPUTE_PGM_RSRC2:TGID_Y_EN: 0
; COMPUTE_PGM_RSRC2:TGID_Z_EN: 0
; COMPUTE_PGM_RSRC2:TIDIG_COMP_CNT: 0
; COMPUTE_PGM_RSRC3_GFX90A:ACCUM_OFFSET: 15
; COMPUTE_PGM_RSRC3_GFX90A:TG_SPLIT: 0
	.section	.text._ZN7rocprim17ROCPRIM_400000_NS6detail17trampoline_kernelINS0_14default_configENS1_27scan_by_key_config_selectorIisEEZZNS1_16scan_by_key_implILNS1_25lookback_scan_determinismE0ELb0ES3_N6thrust23THRUST_200600_302600_NS6detail15normal_iteratorINS9_10device_ptrIiEEEENSB_INSC_IsEEEESG_sNS9_4plusIvEENS9_8equal_toIvEEsEE10hipError_tPvRmT2_T3_T4_T5_mT6_T7_P12ihipStream_tbENKUlT_T0_E_clISt17integral_constantIbLb1EES11_EEDaSW_SX_EUlSW_E_NS1_11comp_targetILNS1_3genE4ELNS1_11target_archE910ELNS1_3gpuE8ELNS1_3repE0EEENS1_30default_config_static_selectorELNS0_4arch9wavefront6targetE1EEEvT1_,"axG",@progbits,_ZN7rocprim17ROCPRIM_400000_NS6detail17trampoline_kernelINS0_14default_configENS1_27scan_by_key_config_selectorIisEEZZNS1_16scan_by_key_implILNS1_25lookback_scan_determinismE0ELb0ES3_N6thrust23THRUST_200600_302600_NS6detail15normal_iteratorINS9_10device_ptrIiEEEENSB_INSC_IsEEEESG_sNS9_4plusIvEENS9_8equal_toIvEEsEE10hipError_tPvRmT2_T3_T4_T5_mT6_T7_P12ihipStream_tbENKUlT_T0_E_clISt17integral_constantIbLb1EES11_EEDaSW_SX_EUlSW_E_NS1_11comp_targetILNS1_3genE4ELNS1_11target_archE910ELNS1_3gpuE8ELNS1_3repE0EEENS1_30default_config_static_selectorELNS0_4arch9wavefront6targetE1EEEvT1_,comdat
	.protected	_ZN7rocprim17ROCPRIM_400000_NS6detail17trampoline_kernelINS0_14default_configENS1_27scan_by_key_config_selectorIisEEZZNS1_16scan_by_key_implILNS1_25lookback_scan_determinismE0ELb0ES3_N6thrust23THRUST_200600_302600_NS6detail15normal_iteratorINS9_10device_ptrIiEEEENSB_INSC_IsEEEESG_sNS9_4plusIvEENS9_8equal_toIvEEsEE10hipError_tPvRmT2_T3_T4_T5_mT6_T7_P12ihipStream_tbENKUlT_T0_E_clISt17integral_constantIbLb1EES11_EEDaSW_SX_EUlSW_E_NS1_11comp_targetILNS1_3genE4ELNS1_11target_archE910ELNS1_3gpuE8ELNS1_3repE0EEENS1_30default_config_static_selectorELNS0_4arch9wavefront6targetE1EEEvT1_ ; -- Begin function _ZN7rocprim17ROCPRIM_400000_NS6detail17trampoline_kernelINS0_14default_configENS1_27scan_by_key_config_selectorIisEEZZNS1_16scan_by_key_implILNS1_25lookback_scan_determinismE0ELb0ES3_N6thrust23THRUST_200600_302600_NS6detail15normal_iteratorINS9_10device_ptrIiEEEENSB_INSC_IsEEEESG_sNS9_4plusIvEENS9_8equal_toIvEEsEE10hipError_tPvRmT2_T3_T4_T5_mT6_T7_P12ihipStream_tbENKUlT_T0_E_clISt17integral_constantIbLb1EES11_EEDaSW_SX_EUlSW_E_NS1_11comp_targetILNS1_3genE4ELNS1_11target_archE910ELNS1_3gpuE8ELNS1_3repE0EEENS1_30default_config_static_selectorELNS0_4arch9wavefront6targetE1EEEvT1_
	.globl	_ZN7rocprim17ROCPRIM_400000_NS6detail17trampoline_kernelINS0_14default_configENS1_27scan_by_key_config_selectorIisEEZZNS1_16scan_by_key_implILNS1_25lookback_scan_determinismE0ELb0ES3_N6thrust23THRUST_200600_302600_NS6detail15normal_iteratorINS9_10device_ptrIiEEEENSB_INSC_IsEEEESG_sNS9_4plusIvEENS9_8equal_toIvEEsEE10hipError_tPvRmT2_T3_T4_T5_mT6_T7_P12ihipStream_tbENKUlT_T0_E_clISt17integral_constantIbLb1EES11_EEDaSW_SX_EUlSW_E_NS1_11comp_targetILNS1_3genE4ELNS1_11target_archE910ELNS1_3gpuE8ELNS1_3repE0EEENS1_30default_config_static_selectorELNS0_4arch9wavefront6targetE1EEEvT1_
	.p2align	8
	.type	_ZN7rocprim17ROCPRIM_400000_NS6detail17trampoline_kernelINS0_14default_configENS1_27scan_by_key_config_selectorIisEEZZNS1_16scan_by_key_implILNS1_25lookback_scan_determinismE0ELb0ES3_N6thrust23THRUST_200600_302600_NS6detail15normal_iteratorINS9_10device_ptrIiEEEENSB_INSC_IsEEEESG_sNS9_4plusIvEENS9_8equal_toIvEEsEE10hipError_tPvRmT2_T3_T4_T5_mT6_T7_P12ihipStream_tbENKUlT_T0_E_clISt17integral_constantIbLb1EES11_EEDaSW_SX_EUlSW_E_NS1_11comp_targetILNS1_3genE4ELNS1_11target_archE910ELNS1_3gpuE8ELNS1_3repE0EEENS1_30default_config_static_selectorELNS0_4arch9wavefront6targetE1EEEvT1_,@function
_ZN7rocprim17ROCPRIM_400000_NS6detail17trampoline_kernelINS0_14default_configENS1_27scan_by_key_config_selectorIisEEZZNS1_16scan_by_key_implILNS1_25lookback_scan_determinismE0ELb0ES3_N6thrust23THRUST_200600_302600_NS6detail15normal_iteratorINS9_10device_ptrIiEEEENSB_INSC_IsEEEESG_sNS9_4plusIvEENS9_8equal_toIvEEsEE10hipError_tPvRmT2_T3_T4_T5_mT6_T7_P12ihipStream_tbENKUlT_T0_E_clISt17integral_constantIbLb1EES11_EEDaSW_SX_EUlSW_E_NS1_11comp_targetILNS1_3genE4ELNS1_11target_archE910ELNS1_3gpuE8ELNS1_3repE0EEENS1_30default_config_static_selectorELNS0_4arch9wavefront6targetE1EEEvT1_: ; @_ZN7rocprim17ROCPRIM_400000_NS6detail17trampoline_kernelINS0_14default_configENS1_27scan_by_key_config_selectorIisEEZZNS1_16scan_by_key_implILNS1_25lookback_scan_determinismE0ELb0ES3_N6thrust23THRUST_200600_302600_NS6detail15normal_iteratorINS9_10device_ptrIiEEEENSB_INSC_IsEEEESG_sNS9_4plusIvEENS9_8equal_toIvEEsEE10hipError_tPvRmT2_T3_T4_T5_mT6_T7_P12ihipStream_tbENKUlT_T0_E_clISt17integral_constantIbLb1EES11_EEDaSW_SX_EUlSW_E_NS1_11comp_targetILNS1_3genE4ELNS1_11target_archE910ELNS1_3gpuE8ELNS1_3repE0EEENS1_30default_config_static_selectorELNS0_4arch9wavefront6targetE1EEEvT1_
; %bb.0:
	.section	.rodata,"a",@progbits
	.p2align	6, 0x0
	.amdhsa_kernel _ZN7rocprim17ROCPRIM_400000_NS6detail17trampoline_kernelINS0_14default_configENS1_27scan_by_key_config_selectorIisEEZZNS1_16scan_by_key_implILNS1_25lookback_scan_determinismE0ELb0ES3_N6thrust23THRUST_200600_302600_NS6detail15normal_iteratorINS9_10device_ptrIiEEEENSB_INSC_IsEEEESG_sNS9_4plusIvEENS9_8equal_toIvEEsEE10hipError_tPvRmT2_T3_T4_T5_mT6_T7_P12ihipStream_tbENKUlT_T0_E_clISt17integral_constantIbLb1EES11_EEDaSW_SX_EUlSW_E_NS1_11comp_targetILNS1_3genE4ELNS1_11target_archE910ELNS1_3gpuE8ELNS1_3repE0EEENS1_30default_config_static_selectorELNS0_4arch9wavefront6targetE1EEEvT1_
		.amdhsa_group_segment_fixed_size 0
		.amdhsa_private_segment_fixed_size 0
		.amdhsa_kernarg_size 112
		.amdhsa_user_sgpr_count 2
		.amdhsa_user_sgpr_dispatch_ptr 0
		.amdhsa_user_sgpr_queue_ptr 0
		.amdhsa_user_sgpr_kernarg_segment_ptr 1
		.amdhsa_user_sgpr_dispatch_id 0
		.amdhsa_user_sgpr_kernarg_preload_length 0
		.amdhsa_user_sgpr_kernarg_preload_offset 0
		.amdhsa_user_sgpr_private_segment_size 0
		.amdhsa_uses_dynamic_stack 0
		.amdhsa_enable_private_segment 0
		.amdhsa_system_sgpr_workgroup_id_x 1
		.amdhsa_system_sgpr_workgroup_id_y 0
		.amdhsa_system_sgpr_workgroup_id_z 0
		.amdhsa_system_sgpr_workgroup_info 0
		.amdhsa_system_vgpr_workitem_id 0
		.amdhsa_next_free_vgpr 1
		.amdhsa_next_free_sgpr 0
		.amdhsa_accum_offset 4
		.amdhsa_reserve_vcc 0
		.amdhsa_float_round_mode_32 0
		.amdhsa_float_round_mode_16_64 0
		.amdhsa_float_denorm_mode_32 3
		.amdhsa_float_denorm_mode_16_64 3
		.amdhsa_dx10_clamp 1
		.amdhsa_ieee_mode 1
		.amdhsa_fp16_overflow 0
		.amdhsa_tg_split 0
		.amdhsa_exception_fp_ieee_invalid_op 0
		.amdhsa_exception_fp_denorm_src 0
		.amdhsa_exception_fp_ieee_div_zero 0
		.amdhsa_exception_fp_ieee_overflow 0
		.amdhsa_exception_fp_ieee_underflow 0
		.amdhsa_exception_fp_ieee_inexact 0
		.amdhsa_exception_int_div_zero 0
	.end_amdhsa_kernel
	.section	.text._ZN7rocprim17ROCPRIM_400000_NS6detail17trampoline_kernelINS0_14default_configENS1_27scan_by_key_config_selectorIisEEZZNS1_16scan_by_key_implILNS1_25lookback_scan_determinismE0ELb0ES3_N6thrust23THRUST_200600_302600_NS6detail15normal_iteratorINS9_10device_ptrIiEEEENSB_INSC_IsEEEESG_sNS9_4plusIvEENS9_8equal_toIvEEsEE10hipError_tPvRmT2_T3_T4_T5_mT6_T7_P12ihipStream_tbENKUlT_T0_E_clISt17integral_constantIbLb1EES11_EEDaSW_SX_EUlSW_E_NS1_11comp_targetILNS1_3genE4ELNS1_11target_archE910ELNS1_3gpuE8ELNS1_3repE0EEENS1_30default_config_static_selectorELNS0_4arch9wavefront6targetE1EEEvT1_,"axG",@progbits,_ZN7rocprim17ROCPRIM_400000_NS6detail17trampoline_kernelINS0_14default_configENS1_27scan_by_key_config_selectorIisEEZZNS1_16scan_by_key_implILNS1_25lookback_scan_determinismE0ELb0ES3_N6thrust23THRUST_200600_302600_NS6detail15normal_iteratorINS9_10device_ptrIiEEEENSB_INSC_IsEEEESG_sNS9_4plusIvEENS9_8equal_toIvEEsEE10hipError_tPvRmT2_T3_T4_T5_mT6_T7_P12ihipStream_tbENKUlT_T0_E_clISt17integral_constantIbLb1EES11_EEDaSW_SX_EUlSW_E_NS1_11comp_targetILNS1_3genE4ELNS1_11target_archE910ELNS1_3gpuE8ELNS1_3repE0EEENS1_30default_config_static_selectorELNS0_4arch9wavefront6targetE1EEEvT1_,comdat
.Lfunc_end1365:
	.size	_ZN7rocprim17ROCPRIM_400000_NS6detail17trampoline_kernelINS0_14default_configENS1_27scan_by_key_config_selectorIisEEZZNS1_16scan_by_key_implILNS1_25lookback_scan_determinismE0ELb0ES3_N6thrust23THRUST_200600_302600_NS6detail15normal_iteratorINS9_10device_ptrIiEEEENSB_INSC_IsEEEESG_sNS9_4plusIvEENS9_8equal_toIvEEsEE10hipError_tPvRmT2_T3_T4_T5_mT6_T7_P12ihipStream_tbENKUlT_T0_E_clISt17integral_constantIbLb1EES11_EEDaSW_SX_EUlSW_E_NS1_11comp_targetILNS1_3genE4ELNS1_11target_archE910ELNS1_3gpuE8ELNS1_3repE0EEENS1_30default_config_static_selectorELNS0_4arch9wavefront6targetE1EEEvT1_, .Lfunc_end1365-_ZN7rocprim17ROCPRIM_400000_NS6detail17trampoline_kernelINS0_14default_configENS1_27scan_by_key_config_selectorIisEEZZNS1_16scan_by_key_implILNS1_25lookback_scan_determinismE0ELb0ES3_N6thrust23THRUST_200600_302600_NS6detail15normal_iteratorINS9_10device_ptrIiEEEENSB_INSC_IsEEEESG_sNS9_4plusIvEENS9_8equal_toIvEEsEE10hipError_tPvRmT2_T3_T4_T5_mT6_T7_P12ihipStream_tbENKUlT_T0_E_clISt17integral_constantIbLb1EES11_EEDaSW_SX_EUlSW_E_NS1_11comp_targetILNS1_3genE4ELNS1_11target_archE910ELNS1_3gpuE8ELNS1_3repE0EEENS1_30default_config_static_selectorELNS0_4arch9wavefront6targetE1EEEvT1_
                                        ; -- End function
	.section	.AMDGPU.csdata,"",@progbits
; Kernel info:
; codeLenInByte = 0
; NumSgprs: 6
; NumVgprs: 0
; NumAgprs: 0
; TotalNumVgprs: 0
; ScratchSize: 0
; MemoryBound: 0
; FloatMode: 240
; IeeeMode: 1
; LDSByteSize: 0 bytes/workgroup (compile time only)
; SGPRBlocks: 0
; VGPRBlocks: 0
; NumSGPRsForWavesPerEU: 6
; NumVGPRsForWavesPerEU: 1
; AccumOffset: 4
; Occupancy: 8
; WaveLimiterHint : 0
; COMPUTE_PGM_RSRC2:SCRATCH_EN: 0
; COMPUTE_PGM_RSRC2:USER_SGPR: 2
; COMPUTE_PGM_RSRC2:TRAP_HANDLER: 0
; COMPUTE_PGM_RSRC2:TGID_X_EN: 1
; COMPUTE_PGM_RSRC2:TGID_Y_EN: 0
; COMPUTE_PGM_RSRC2:TGID_Z_EN: 0
; COMPUTE_PGM_RSRC2:TIDIG_COMP_CNT: 0
; COMPUTE_PGM_RSRC3_GFX90A:ACCUM_OFFSET: 0
; COMPUTE_PGM_RSRC3_GFX90A:TG_SPLIT: 0
	.section	.text._ZN7rocprim17ROCPRIM_400000_NS6detail17trampoline_kernelINS0_14default_configENS1_27scan_by_key_config_selectorIisEEZZNS1_16scan_by_key_implILNS1_25lookback_scan_determinismE0ELb0ES3_N6thrust23THRUST_200600_302600_NS6detail15normal_iteratorINS9_10device_ptrIiEEEENSB_INSC_IsEEEESG_sNS9_4plusIvEENS9_8equal_toIvEEsEE10hipError_tPvRmT2_T3_T4_T5_mT6_T7_P12ihipStream_tbENKUlT_T0_E_clISt17integral_constantIbLb1EES11_EEDaSW_SX_EUlSW_E_NS1_11comp_targetILNS1_3genE3ELNS1_11target_archE908ELNS1_3gpuE7ELNS1_3repE0EEENS1_30default_config_static_selectorELNS0_4arch9wavefront6targetE1EEEvT1_,"axG",@progbits,_ZN7rocprim17ROCPRIM_400000_NS6detail17trampoline_kernelINS0_14default_configENS1_27scan_by_key_config_selectorIisEEZZNS1_16scan_by_key_implILNS1_25lookback_scan_determinismE0ELb0ES3_N6thrust23THRUST_200600_302600_NS6detail15normal_iteratorINS9_10device_ptrIiEEEENSB_INSC_IsEEEESG_sNS9_4plusIvEENS9_8equal_toIvEEsEE10hipError_tPvRmT2_T3_T4_T5_mT6_T7_P12ihipStream_tbENKUlT_T0_E_clISt17integral_constantIbLb1EES11_EEDaSW_SX_EUlSW_E_NS1_11comp_targetILNS1_3genE3ELNS1_11target_archE908ELNS1_3gpuE7ELNS1_3repE0EEENS1_30default_config_static_selectorELNS0_4arch9wavefront6targetE1EEEvT1_,comdat
	.protected	_ZN7rocprim17ROCPRIM_400000_NS6detail17trampoline_kernelINS0_14default_configENS1_27scan_by_key_config_selectorIisEEZZNS1_16scan_by_key_implILNS1_25lookback_scan_determinismE0ELb0ES3_N6thrust23THRUST_200600_302600_NS6detail15normal_iteratorINS9_10device_ptrIiEEEENSB_INSC_IsEEEESG_sNS9_4plusIvEENS9_8equal_toIvEEsEE10hipError_tPvRmT2_T3_T4_T5_mT6_T7_P12ihipStream_tbENKUlT_T0_E_clISt17integral_constantIbLb1EES11_EEDaSW_SX_EUlSW_E_NS1_11comp_targetILNS1_3genE3ELNS1_11target_archE908ELNS1_3gpuE7ELNS1_3repE0EEENS1_30default_config_static_selectorELNS0_4arch9wavefront6targetE1EEEvT1_ ; -- Begin function _ZN7rocprim17ROCPRIM_400000_NS6detail17trampoline_kernelINS0_14default_configENS1_27scan_by_key_config_selectorIisEEZZNS1_16scan_by_key_implILNS1_25lookback_scan_determinismE0ELb0ES3_N6thrust23THRUST_200600_302600_NS6detail15normal_iteratorINS9_10device_ptrIiEEEENSB_INSC_IsEEEESG_sNS9_4plusIvEENS9_8equal_toIvEEsEE10hipError_tPvRmT2_T3_T4_T5_mT6_T7_P12ihipStream_tbENKUlT_T0_E_clISt17integral_constantIbLb1EES11_EEDaSW_SX_EUlSW_E_NS1_11comp_targetILNS1_3genE3ELNS1_11target_archE908ELNS1_3gpuE7ELNS1_3repE0EEENS1_30default_config_static_selectorELNS0_4arch9wavefront6targetE1EEEvT1_
	.globl	_ZN7rocprim17ROCPRIM_400000_NS6detail17trampoline_kernelINS0_14default_configENS1_27scan_by_key_config_selectorIisEEZZNS1_16scan_by_key_implILNS1_25lookback_scan_determinismE0ELb0ES3_N6thrust23THRUST_200600_302600_NS6detail15normal_iteratorINS9_10device_ptrIiEEEENSB_INSC_IsEEEESG_sNS9_4plusIvEENS9_8equal_toIvEEsEE10hipError_tPvRmT2_T3_T4_T5_mT6_T7_P12ihipStream_tbENKUlT_T0_E_clISt17integral_constantIbLb1EES11_EEDaSW_SX_EUlSW_E_NS1_11comp_targetILNS1_3genE3ELNS1_11target_archE908ELNS1_3gpuE7ELNS1_3repE0EEENS1_30default_config_static_selectorELNS0_4arch9wavefront6targetE1EEEvT1_
	.p2align	8
	.type	_ZN7rocprim17ROCPRIM_400000_NS6detail17trampoline_kernelINS0_14default_configENS1_27scan_by_key_config_selectorIisEEZZNS1_16scan_by_key_implILNS1_25lookback_scan_determinismE0ELb0ES3_N6thrust23THRUST_200600_302600_NS6detail15normal_iteratorINS9_10device_ptrIiEEEENSB_INSC_IsEEEESG_sNS9_4plusIvEENS9_8equal_toIvEEsEE10hipError_tPvRmT2_T3_T4_T5_mT6_T7_P12ihipStream_tbENKUlT_T0_E_clISt17integral_constantIbLb1EES11_EEDaSW_SX_EUlSW_E_NS1_11comp_targetILNS1_3genE3ELNS1_11target_archE908ELNS1_3gpuE7ELNS1_3repE0EEENS1_30default_config_static_selectorELNS0_4arch9wavefront6targetE1EEEvT1_,@function
_ZN7rocprim17ROCPRIM_400000_NS6detail17trampoline_kernelINS0_14default_configENS1_27scan_by_key_config_selectorIisEEZZNS1_16scan_by_key_implILNS1_25lookback_scan_determinismE0ELb0ES3_N6thrust23THRUST_200600_302600_NS6detail15normal_iteratorINS9_10device_ptrIiEEEENSB_INSC_IsEEEESG_sNS9_4plusIvEENS9_8equal_toIvEEsEE10hipError_tPvRmT2_T3_T4_T5_mT6_T7_P12ihipStream_tbENKUlT_T0_E_clISt17integral_constantIbLb1EES11_EEDaSW_SX_EUlSW_E_NS1_11comp_targetILNS1_3genE3ELNS1_11target_archE908ELNS1_3gpuE7ELNS1_3repE0EEENS1_30default_config_static_selectorELNS0_4arch9wavefront6targetE1EEEvT1_: ; @_ZN7rocprim17ROCPRIM_400000_NS6detail17trampoline_kernelINS0_14default_configENS1_27scan_by_key_config_selectorIisEEZZNS1_16scan_by_key_implILNS1_25lookback_scan_determinismE0ELb0ES3_N6thrust23THRUST_200600_302600_NS6detail15normal_iteratorINS9_10device_ptrIiEEEENSB_INSC_IsEEEESG_sNS9_4plusIvEENS9_8equal_toIvEEsEE10hipError_tPvRmT2_T3_T4_T5_mT6_T7_P12ihipStream_tbENKUlT_T0_E_clISt17integral_constantIbLb1EES11_EEDaSW_SX_EUlSW_E_NS1_11comp_targetILNS1_3genE3ELNS1_11target_archE908ELNS1_3gpuE7ELNS1_3repE0EEENS1_30default_config_static_selectorELNS0_4arch9wavefront6targetE1EEEvT1_
; %bb.0:
	.section	.rodata,"a",@progbits
	.p2align	6, 0x0
	.amdhsa_kernel _ZN7rocprim17ROCPRIM_400000_NS6detail17trampoline_kernelINS0_14default_configENS1_27scan_by_key_config_selectorIisEEZZNS1_16scan_by_key_implILNS1_25lookback_scan_determinismE0ELb0ES3_N6thrust23THRUST_200600_302600_NS6detail15normal_iteratorINS9_10device_ptrIiEEEENSB_INSC_IsEEEESG_sNS9_4plusIvEENS9_8equal_toIvEEsEE10hipError_tPvRmT2_T3_T4_T5_mT6_T7_P12ihipStream_tbENKUlT_T0_E_clISt17integral_constantIbLb1EES11_EEDaSW_SX_EUlSW_E_NS1_11comp_targetILNS1_3genE3ELNS1_11target_archE908ELNS1_3gpuE7ELNS1_3repE0EEENS1_30default_config_static_selectorELNS0_4arch9wavefront6targetE1EEEvT1_
		.amdhsa_group_segment_fixed_size 0
		.amdhsa_private_segment_fixed_size 0
		.amdhsa_kernarg_size 112
		.amdhsa_user_sgpr_count 2
		.amdhsa_user_sgpr_dispatch_ptr 0
		.amdhsa_user_sgpr_queue_ptr 0
		.amdhsa_user_sgpr_kernarg_segment_ptr 1
		.amdhsa_user_sgpr_dispatch_id 0
		.amdhsa_user_sgpr_kernarg_preload_length 0
		.amdhsa_user_sgpr_kernarg_preload_offset 0
		.amdhsa_user_sgpr_private_segment_size 0
		.amdhsa_uses_dynamic_stack 0
		.amdhsa_enable_private_segment 0
		.amdhsa_system_sgpr_workgroup_id_x 1
		.amdhsa_system_sgpr_workgroup_id_y 0
		.amdhsa_system_sgpr_workgroup_id_z 0
		.amdhsa_system_sgpr_workgroup_info 0
		.amdhsa_system_vgpr_workitem_id 0
		.amdhsa_next_free_vgpr 1
		.amdhsa_next_free_sgpr 0
		.amdhsa_accum_offset 4
		.amdhsa_reserve_vcc 0
		.amdhsa_float_round_mode_32 0
		.amdhsa_float_round_mode_16_64 0
		.amdhsa_float_denorm_mode_32 3
		.amdhsa_float_denorm_mode_16_64 3
		.amdhsa_dx10_clamp 1
		.amdhsa_ieee_mode 1
		.amdhsa_fp16_overflow 0
		.amdhsa_tg_split 0
		.amdhsa_exception_fp_ieee_invalid_op 0
		.amdhsa_exception_fp_denorm_src 0
		.amdhsa_exception_fp_ieee_div_zero 0
		.amdhsa_exception_fp_ieee_overflow 0
		.amdhsa_exception_fp_ieee_underflow 0
		.amdhsa_exception_fp_ieee_inexact 0
		.amdhsa_exception_int_div_zero 0
	.end_amdhsa_kernel
	.section	.text._ZN7rocprim17ROCPRIM_400000_NS6detail17trampoline_kernelINS0_14default_configENS1_27scan_by_key_config_selectorIisEEZZNS1_16scan_by_key_implILNS1_25lookback_scan_determinismE0ELb0ES3_N6thrust23THRUST_200600_302600_NS6detail15normal_iteratorINS9_10device_ptrIiEEEENSB_INSC_IsEEEESG_sNS9_4plusIvEENS9_8equal_toIvEEsEE10hipError_tPvRmT2_T3_T4_T5_mT6_T7_P12ihipStream_tbENKUlT_T0_E_clISt17integral_constantIbLb1EES11_EEDaSW_SX_EUlSW_E_NS1_11comp_targetILNS1_3genE3ELNS1_11target_archE908ELNS1_3gpuE7ELNS1_3repE0EEENS1_30default_config_static_selectorELNS0_4arch9wavefront6targetE1EEEvT1_,"axG",@progbits,_ZN7rocprim17ROCPRIM_400000_NS6detail17trampoline_kernelINS0_14default_configENS1_27scan_by_key_config_selectorIisEEZZNS1_16scan_by_key_implILNS1_25lookback_scan_determinismE0ELb0ES3_N6thrust23THRUST_200600_302600_NS6detail15normal_iteratorINS9_10device_ptrIiEEEENSB_INSC_IsEEEESG_sNS9_4plusIvEENS9_8equal_toIvEEsEE10hipError_tPvRmT2_T3_T4_T5_mT6_T7_P12ihipStream_tbENKUlT_T0_E_clISt17integral_constantIbLb1EES11_EEDaSW_SX_EUlSW_E_NS1_11comp_targetILNS1_3genE3ELNS1_11target_archE908ELNS1_3gpuE7ELNS1_3repE0EEENS1_30default_config_static_selectorELNS0_4arch9wavefront6targetE1EEEvT1_,comdat
.Lfunc_end1366:
	.size	_ZN7rocprim17ROCPRIM_400000_NS6detail17trampoline_kernelINS0_14default_configENS1_27scan_by_key_config_selectorIisEEZZNS1_16scan_by_key_implILNS1_25lookback_scan_determinismE0ELb0ES3_N6thrust23THRUST_200600_302600_NS6detail15normal_iteratorINS9_10device_ptrIiEEEENSB_INSC_IsEEEESG_sNS9_4plusIvEENS9_8equal_toIvEEsEE10hipError_tPvRmT2_T3_T4_T5_mT6_T7_P12ihipStream_tbENKUlT_T0_E_clISt17integral_constantIbLb1EES11_EEDaSW_SX_EUlSW_E_NS1_11comp_targetILNS1_3genE3ELNS1_11target_archE908ELNS1_3gpuE7ELNS1_3repE0EEENS1_30default_config_static_selectorELNS0_4arch9wavefront6targetE1EEEvT1_, .Lfunc_end1366-_ZN7rocprim17ROCPRIM_400000_NS6detail17trampoline_kernelINS0_14default_configENS1_27scan_by_key_config_selectorIisEEZZNS1_16scan_by_key_implILNS1_25lookback_scan_determinismE0ELb0ES3_N6thrust23THRUST_200600_302600_NS6detail15normal_iteratorINS9_10device_ptrIiEEEENSB_INSC_IsEEEESG_sNS9_4plusIvEENS9_8equal_toIvEEsEE10hipError_tPvRmT2_T3_T4_T5_mT6_T7_P12ihipStream_tbENKUlT_T0_E_clISt17integral_constantIbLb1EES11_EEDaSW_SX_EUlSW_E_NS1_11comp_targetILNS1_3genE3ELNS1_11target_archE908ELNS1_3gpuE7ELNS1_3repE0EEENS1_30default_config_static_selectorELNS0_4arch9wavefront6targetE1EEEvT1_
                                        ; -- End function
	.section	.AMDGPU.csdata,"",@progbits
; Kernel info:
; codeLenInByte = 0
; NumSgprs: 6
; NumVgprs: 0
; NumAgprs: 0
; TotalNumVgprs: 0
; ScratchSize: 0
; MemoryBound: 0
; FloatMode: 240
; IeeeMode: 1
; LDSByteSize: 0 bytes/workgroup (compile time only)
; SGPRBlocks: 0
; VGPRBlocks: 0
; NumSGPRsForWavesPerEU: 6
; NumVGPRsForWavesPerEU: 1
; AccumOffset: 4
; Occupancy: 8
; WaveLimiterHint : 0
; COMPUTE_PGM_RSRC2:SCRATCH_EN: 0
; COMPUTE_PGM_RSRC2:USER_SGPR: 2
; COMPUTE_PGM_RSRC2:TRAP_HANDLER: 0
; COMPUTE_PGM_RSRC2:TGID_X_EN: 1
; COMPUTE_PGM_RSRC2:TGID_Y_EN: 0
; COMPUTE_PGM_RSRC2:TGID_Z_EN: 0
; COMPUTE_PGM_RSRC2:TIDIG_COMP_CNT: 0
; COMPUTE_PGM_RSRC3_GFX90A:ACCUM_OFFSET: 0
; COMPUTE_PGM_RSRC3_GFX90A:TG_SPLIT: 0
	.section	.text._ZN7rocprim17ROCPRIM_400000_NS6detail17trampoline_kernelINS0_14default_configENS1_27scan_by_key_config_selectorIisEEZZNS1_16scan_by_key_implILNS1_25lookback_scan_determinismE0ELb0ES3_N6thrust23THRUST_200600_302600_NS6detail15normal_iteratorINS9_10device_ptrIiEEEENSB_INSC_IsEEEESG_sNS9_4plusIvEENS9_8equal_toIvEEsEE10hipError_tPvRmT2_T3_T4_T5_mT6_T7_P12ihipStream_tbENKUlT_T0_E_clISt17integral_constantIbLb1EES11_EEDaSW_SX_EUlSW_E_NS1_11comp_targetILNS1_3genE2ELNS1_11target_archE906ELNS1_3gpuE6ELNS1_3repE0EEENS1_30default_config_static_selectorELNS0_4arch9wavefront6targetE1EEEvT1_,"axG",@progbits,_ZN7rocprim17ROCPRIM_400000_NS6detail17trampoline_kernelINS0_14default_configENS1_27scan_by_key_config_selectorIisEEZZNS1_16scan_by_key_implILNS1_25lookback_scan_determinismE0ELb0ES3_N6thrust23THRUST_200600_302600_NS6detail15normal_iteratorINS9_10device_ptrIiEEEENSB_INSC_IsEEEESG_sNS9_4plusIvEENS9_8equal_toIvEEsEE10hipError_tPvRmT2_T3_T4_T5_mT6_T7_P12ihipStream_tbENKUlT_T0_E_clISt17integral_constantIbLb1EES11_EEDaSW_SX_EUlSW_E_NS1_11comp_targetILNS1_3genE2ELNS1_11target_archE906ELNS1_3gpuE6ELNS1_3repE0EEENS1_30default_config_static_selectorELNS0_4arch9wavefront6targetE1EEEvT1_,comdat
	.protected	_ZN7rocprim17ROCPRIM_400000_NS6detail17trampoline_kernelINS0_14default_configENS1_27scan_by_key_config_selectorIisEEZZNS1_16scan_by_key_implILNS1_25lookback_scan_determinismE0ELb0ES3_N6thrust23THRUST_200600_302600_NS6detail15normal_iteratorINS9_10device_ptrIiEEEENSB_INSC_IsEEEESG_sNS9_4plusIvEENS9_8equal_toIvEEsEE10hipError_tPvRmT2_T3_T4_T5_mT6_T7_P12ihipStream_tbENKUlT_T0_E_clISt17integral_constantIbLb1EES11_EEDaSW_SX_EUlSW_E_NS1_11comp_targetILNS1_3genE2ELNS1_11target_archE906ELNS1_3gpuE6ELNS1_3repE0EEENS1_30default_config_static_selectorELNS0_4arch9wavefront6targetE1EEEvT1_ ; -- Begin function _ZN7rocprim17ROCPRIM_400000_NS6detail17trampoline_kernelINS0_14default_configENS1_27scan_by_key_config_selectorIisEEZZNS1_16scan_by_key_implILNS1_25lookback_scan_determinismE0ELb0ES3_N6thrust23THRUST_200600_302600_NS6detail15normal_iteratorINS9_10device_ptrIiEEEENSB_INSC_IsEEEESG_sNS9_4plusIvEENS9_8equal_toIvEEsEE10hipError_tPvRmT2_T3_T4_T5_mT6_T7_P12ihipStream_tbENKUlT_T0_E_clISt17integral_constantIbLb1EES11_EEDaSW_SX_EUlSW_E_NS1_11comp_targetILNS1_3genE2ELNS1_11target_archE906ELNS1_3gpuE6ELNS1_3repE0EEENS1_30default_config_static_selectorELNS0_4arch9wavefront6targetE1EEEvT1_
	.globl	_ZN7rocprim17ROCPRIM_400000_NS6detail17trampoline_kernelINS0_14default_configENS1_27scan_by_key_config_selectorIisEEZZNS1_16scan_by_key_implILNS1_25lookback_scan_determinismE0ELb0ES3_N6thrust23THRUST_200600_302600_NS6detail15normal_iteratorINS9_10device_ptrIiEEEENSB_INSC_IsEEEESG_sNS9_4plusIvEENS9_8equal_toIvEEsEE10hipError_tPvRmT2_T3_T4_T5_mT6_T7_P12ihipStream_tbENKUlT_T0_E_clISt17integral_constantIbLb1EES11_EEDaSW_SX_EUlSW_E_NS1_11comp_targetILNS1_3genE2ELNS1_11target_archE906ELNS1_3gpuE6ELNS1_3repE0EEENS1_30default_config_static_selectorELNS0_4arch9wavefront6targetE1EEEvT1_
	.p2align	8
	.type	_ZN7rocprim17ROCPRIM_400000_NS6detail17trampoline_kernelINS0_14default_configENS1_27scan_by_key_config_selectorIisEEZZNS1_16scan_by_key_implILNS1_25lookback_scan_determinismE0ELb0ES3_N6thrust23THRUST_200600_302600_NS6detail15normal_iteratorINS9_10device_ptrIiEEEENSB_INSC_IsEEEESG_sNS9_4plusIvEENS9_8equal_toIvEEsEE10hipError_tPvRmT2_T3_T4_T5_mT6_T7_P12ihipStream_tbENKUlT_T0_E_clISt17integral_constantIbLb1EES11_EEDaSW_SX_EUlSW_E_NS1_11comp_targetILNS1_3genE2ELNS1_11target_archE906ELNS1_3gpuE6ELNS1_3repE0EEENS1_30default_config_static_selectorELNS0_4arch9wavefront6targetE1EEEvT1_,@function
_ZN7rocprim17ROCPRIM_400000_NS6detail17trampoline_kernelINS0_14default_configENS1_27scan_by_key_config_selectorIisEEZZNS1_16scan_by_key_implILNS1_25lookback_scan_determinismE0ELb0ES3_N6thrust23THRUST_200600_302600_NS6detail15normal_iteratorINS9_10device_ptrIiEEEENSB_INSC_IsEEEESG_sNS9_4plusIvEENS9_8equal_toIvEEsEE10hipError_tPvRmT2_T3_T4_T5_mT6_T7_P12ihipStream_tbENKUlT_T0_E_clISt17integral_constantIbLb1EES11_EEDaSW_SX_EUlSW_E_NS1_11comp_targetILNS1_3genE2ELNS1_11target_archE906ELNS1_3gpuE6ELNS1_3repE0EEENS1_30default_config_static_selectorELNS0_4arch9wavefront6targetE1EEEvT1_: ; @_ZN7rocprim17ROCPRIM_400000_NS6detail17trampoline_kernelINS0_14default_configENS1_27scan_by_key_config_selectorIisEEZZNS1_16scan_by_key_implILNS1_25lookback_scan_determinismE0ELb0ES3_N6thrust23THRUST_200600_302600_NS6detail15normal_iteratorINS9_10device_ptrIiEEEENSB_INSC_IsEEEESG_sNS9_4plusIvEENS9_8equal_toIvEEsEE10hipError_tPvRmT2_T3_T4_T5_mT6_T7_P12ihipStream_tbENKUlT_T0_E_clISt17integral_constantIbLb1EES11_EEDaSW_SX_EUlSW_E_NS1_11comp_targetILNS1_3genE2ELNS1_11target_archE906ELNS1_3gpuE6ELNS1_3repE0EEENS1_30default_config_static_selectorELNS0_4arch9wavefront6targetE1EEEvT1_
; %bb.0:
	.section	.rodata,"a",@progbits
	.p2align	6, 0x0
	.amdhsa_kernel _ZN7rocprim17ROCPRIM_400000_NS6detail17trampoline_kernelINS0_14default_configENS1_27scan_by_key_config_selectorIisEEZZNS1_16scan_by_key_implILNS1_25lookback_scan_determinismE0ELb0ES3_N6thrust23THRUST_200600_302600_NS6detail15normal_iteratorINS9_10device_ptrIiEEEENSB_INSC_IsEEEESG_sNS9_4plusIvEENS9_8equal_toIvEEsEE10hipError_tPvRmT2_T3_T4_T5_mT6_T7_P12ihipStream_tbENKUlT_T0_E_clISt17integral_constantIbLb1EES11_EEDaSW_SX_EUlSW_E_NS1_11comp_targetILNS1_3genE2ELNS1_11target_archE906ELNS1_3gpuE6ELNS1_3repE0EEENS1_30default_config_static_selectorELNS0_4arch9wavefront6targetE1EEEvT1_
		.amdhsa_group_segment_fixed_size 0
		.amdhsa_private_segment_fixed_size 0
		.amdhsa_kernarg_size 112
		.amdhsa_user_sgpr_count 2
		.amdhsa_user_sgpr_dispatch_ptr 0
		.amdhsa_user_sgpr_queue_ptr 0
		.amdhsa_user_sgpr_kernarg_segment_ptr 1
		.amdhsa_user_sgpr_dispatch_id 0
		.amdhsa_user_sgpr_kernarg_preload_length 0
		.amdhsa_user_sgpr_kernarg_preload_offset 0
		.amdhsa_user_sgpr_private_segment_size 0
		.amdhsa_uses_dynamic_stack 0
		.amdhsa_enable_private_segment 0
		.amdhsa_system_sgpr_workgroup_id_x 1
		.amdhsa_system_sgpr_workgroup_id_y 0
		.amdhsa_system_sgpr_workgroup_id_z 0
		.amdhsa_system_sgpr_workgroup_info 0
		.amdhsa_system_vgpr_workitem_id 0
		.amdhsa_next_free_vgpr 1
		.amdhsa_next_free_sgpr 0
		.amdhsa_accum_offset 4
		.amdhsa_reserve_vcc 0
		.amdhsa_float_round_mode_32 0
		.amdhsa_float_round_mode_16_64 0
		.amdhsa_float_denorm_mode_32 3
		.amdhsa_float_denorm_mode_16_64 3
		.amdhsa_dx10_clamp 1
		.amdhsa_ieee_mode 1
		.amdhsa_fp16_overflow 0
		.amdhsa_tg_split 0
		.amdhsa_exception_fp_ieee_invalid_op 0
		.amdhsa_exception_fp_denorm_src 0
		.amdhsa_exception_fp_ieee_div_zero 0
		.amdhsa_exception_fp_ieee_overflow 0
		.amdhsa_exception_fp_ieee_underflow 0
		.amdhsa_exception_fp_ieee_inexact 0
		.amdhsa_exception_int_div_zero 0
	.end_amdhsa_kernel
	.section	.text._ZN7rocprim17ROCPRIM_400000_NS6detail17trampoline_kernelINS0_14default_configENS1_27scan_by_key_config_selectorIisEEZZNS1_16scan_by_key_implILNS1_25lookback_scan_determinismE0ELb0ES3_N6thrust23THRUST_200600_302600_NS6detail15normal_iteratorINS9_10device_ptrIiEEEENSB_INSC_IsEEEESG_sNS9_4plusIvEENS9_8equal_toIvEEsEE10hipError_tPvRmT2_T3_T4_T5_mT6_T7_P12ihipStream_tbENKUlT_T0_E_clISt17integral_constantIbLb1EES11_EEDaSW_SX_EUlSW_E_NS1_11comp_targetILNS1_3genE2ELNS1_11target_archE906ELNS1_3gpuE6ELNS1_3repE0EEENS1_30default_config_static_selectorELNS0_4arch9wavefront6targetE1EEEvT1_,"axG",@progbits,_ZN7rocprim17ROCPRIM_400000_NS6detail17trampoline_kernelINS0_14default_configENS1_27scan_by_key_config_selectorIisEEZZNS1_16scan_by_key_implILNS1_25lookback_scan_determinismE0ELb0ES3_N6thrust23THRUST_200600_302600_NS6detail15normal_iteratorINS9_10device_ptrIiEEEENSB_INSC_IsEEEESG_sNS9_4plusIvEENS9_8equal_toIvEEsEE10hipError_tPvRmT2_T3_T4_T5_mT6_T7_P12ihipStream_tbENKUlT_T0_E_clISt17integral_constantIbLb1EES11_EEDaSW_SX_EUlSW_E_NS1_11comp_targetILNS1_3genE2ELNS1_11target_archE906ELNS1_3gpuE6ELNS1_3repE0EEENS1_30default_config_static_selectorELNS0_4arch9wavefront6targetE1EEEvT1_,comdat
.Lfunc_end1367:
	.size	_ZN7rocprim17ROCPRIM_400000_NS6detail17trampoline_kernelINS0_14default_configENS1_27scan_by_key_config_selectorIisEEZZNS1_16scan_by_key_implILNS1_25lookback_scan_determinismE0ELb0ES3_N6thrust23THRUST_200600_302600_NS6detail15normal_iteratorINS9_10device_ptrIiEEEENSB_INSC_IsEEEESG_sNS9_4plusIvEENS9_8equal_toIvEEsEE10hipError_tPvRmT2_T3_T4_T5_mT6_T7_P12ihipStream_tbENKUlT_T0_E_clISt17integral_constantIbLb1EES11_EEDaSW_SX_EUlSW_E_NS1_11comp_targetILNS1_3genE2ELNS1_11target_archE906ELNS1_3gpuE6ELNS1_3repE0EEENS1_30default_config_static_selectorELNS0_4arch9wavefront6targetE1EEEvT1_, .Lfunc_end1367-_ZN7rocprim17ROCPRIM_400000_NS6detail17trampoline_kernelINS0_14default_configENS1_27scan_by_key_config_selectorIisEEZZNS1_16scan_by_key_implILNS1_25lookback_scan_determinismE0ELb0ES3_N6thrust23THRUST_200600_302600_NS6detail15normal_iteratorINS9_10device_ptrIiEEEENSB_INSC_IsEEEESG_sNS9_4plusIvEENS9_8equal_toIvEEsEE10hipError_tPvRmT2_T3_T4_T5_mT6_T7_P12ihipStream_tbENKUlT_T0_E_clISt17integral_constantIbLb1EES11_EEDaSW_SX_EUlSW_E_NS1_11comp_targetILNS1_3genE2ELNS1_11target_archE906ELNS1_3gpuE6ELNS1_3repE0EEENS1_30default_config_static_selectorELNS0_4arch9wavefront6targetE1EEEvT1_
                                        ; -- End function
	.section	.AMDGPU.csdata,"",@progbits
; Kernel info:
; codeLenInByte = 0
; NumSgprs: 6
; NumVgprs: 0
; NumAgprs: 0
; TotalNumVgprs: 0
; ScratchSize: 0
; MemoryBound: 0
; FloatMode: 240
; IeeeMode: 1
; LDSByteSize: 0 bytes/workgroup (compile time only)
; SGPRBlocks: 0
; VGPRBlocks: 0
; NumSGPRsForWavesPerEU: 6
; NumVGPRsForWavesPerEU: 1
; AccumOffset: 4
; Occupancy: 8
; WaveLimiterHint : 0
; COMPUTE_PGM_RSRC2:SCRATCH_EN: 0
; COMPUTE_PGM_RSRC2:USER_SGPR: 2
; COMPUTE_PGM_RSRC2:TRAP_HANDLER: 0
; COMPUTE_PGM_RSRC2:TGID_X_EN: 1
; COMPUTE_PGM_RSRC2:TGID_Y_EN: 0
; COMPUTE_PGM_RSRC2:TGID_Z_EN: 0
; COMPUTE_PGM_RSRC2:TIDIG_COMP_CNT: 0
; COMPUTE_PGM_RSRC3_GFX90A:ACCUM_OFFSET: 0
; COMPUTE_PGM_RSRC3_GFX90A:TG_SPLIT: 0
	.section	.text._ZN7rocprim17ROCPRIM_400000_NS6detail17trampoline_kernelINS0_14default_configENS1_27scan_by_key_config_selectorIisEEZZNS1_16scan_by_key_implILNS1_25lookback_scan_determinismE0ELb0ES3_N6thrust23THRUST_200600_302600_NS6detail15normal_iteratorINS9_10device_ptrIiEEEENSB_INSC_IsEEEESG_sNS9_4plusIvEENS9_8equal_toIvEEsEE10hipError_tPvRmT2_T3_T4_T5_mT6_T7_P12ihipStream_tbENKUlT_T0_E_clISt17integral_constantIbLb1EES11_EEDaSW_SX_EUlSW_E_NS1_11comp_targetILNS1_3genE10ELNS1_11target_archE1200ELNS1_3gpuE4ELNS1_3repE0EEENS1_30default_config_static_selectorELNS0_4arch9wavefront6targetE1EEEvT1_,"axG",@progbits,_ZN7rocprim17ROCPRIM_400000_NS6detail17trampoline_kernelINS0_14default_configENS1_27scan_by_key_config_selectorIisEEZZNS1_16scan_by_key_implILNS1_25lookback_scan_determinismE0ELb0ES3_N6thrust23THRUST_200600_302600_NS6detail15normal_iteratorINS9_10device_ptrIiEEEENSB_INSC_IsEEEESG_sNS9_4plusIvEENS9_8equal_toIvEEsEE10hipError_tPvRmT2_T3_T4_T5_mT6_T7_P12ihipStream_tbENKUlT_T0_E_clISt17integral_constantIbLb1EES11_EEDaSW_SX_EUlSW_E_NS1_11comp_targetILNS1_3genE10ELNS1_11target_archE1200ELNS1_3gpuE4ELNS1_3repE0EEENS1_30default_config_static_selectorELNS0_4arch9wavefront6targetE1EEEvT1_,comdat
	.protected	_ZN7rocprim17ROCPRIM_400000_NS6detail17trampoline_kernelINS0_14default_configENS1_27scan_by_key_config_selectorIisEEZZNS1_16scan_by_key_implILNS1_25lookback_scan_determinismE0ELb0ES3_N6thrust23THRUST_200600_302600_NS6detail15normal_iteratorINS9_10device_ptrIiEEEENSB_INSC_IsEEEESG_sNS9_4plusIvEENS9_8equal_toIvEEsEE10hipError_tPvRmT2_T3_T4_T5_mT6_T7_P12ihipStream_tbENKUlT_T0_E_clISt17integral_constantIbLb1EES11_EEDaSW_SX_EUlSW_E_NS1_11comp_targetILNS1_3genE10ELNS1_11target_archE1200ELNS1_3gpuE4ELNS1_3repE0EEENS1_30default_config_static_selectorELNS0_4arch9wavefront6targetE1EEEvT1_ ; -- Begin function _ZN7rocprim17ROCPRIM_400000_NS6detail17trampoline_kernelINS0_14default_configENS1_27scan_by_key_config_selectorIisEEZZNS1_16scan_by_key_implILNS1_25lookback_scan_determinismE0ELb0ES3_N6thrust23THRUST_200600_302600_NS6detail15normal_iteratorINS9_10device_ptrIiEEEENSB_INSC_IsEEEESG_sNS9_4plusIvEENS9_8equal_toIvEEsEE10hipError_tPvRmT2_T3_T4_T5_mT6_T7_P12ihipStream_tbENKUlT_T0_E_clISt17integral_constantIbLb1EES11_EEDaSW_SX_EUlSW_E_NS1_11comp_targetILNS1_3genE10ELNS1_11target_archE1200ELNS1_3gpuE4ELNS1_3repE0EEENS1_30default_config_static_selectorELNS0_4arch9wavefront6targetE1EEEvT1_
	.globl	_ZN7rocprim17ROCPRIM_400000_NS6detail17trampoline_kernelINS0_14default_configENS1_27scan_by_key_config_selectorIisEEZZNS1_16scan_by_key_implILNS1_25lookback_scan_determinismE0ELb0ES3_N6thrust23THRUST_200600_302600_NS6detail15normal_iteratorINS9_10device_ptrIiEEEENSB_INSC_IsEEEESG_sNS9_4plusIvEENS9_8equal_toIvEEsEE10hipError_tPvRmT2_T3_T4_T5_mT6_T7_P12ihipStream_tbENKUlT_T0_E_clISt17integral_constantIbLb1EES11_EEDaSW_SX_EUlSW_E_NS1_11comp_targetILNS1_3genE10ELNS1_11target_archE1200ELNS1_3gpuE4ELNS1_3repE0EEENS1_30default_config_static_selectorELNS0_4arch9wavefront6targetE1EEEvT1_
	.p2align	8
	.type	_ZN7rocprim17ROCPRIM_400000_NS6detail17trampoline_kernelINS0_14default_configENS1_27scan_by_key_config_selectorIisEEZZNS1_16scan_by_key_implILNS1_25lookback_scan_determinismE0ELb0ES3_N6thrust23THRUST_200600_302600_NS6detail15normal_iteratorINS9_10device_ptrIiEEEENSB_INSC_IsEEEESG_sNS9_4plusIvEENS9_8equal_toIvEEsEE10hipError_tPvRmT2_T3_T4_T5_mT6_T7_P12ihipStream_tbENKUlT_T0_E_clISt17integral_constantIbLb1EES11_EEDaSW_SX_EUlSW_E_NS1_11comp_targetILNS1_3genE10ELNS1_11target_archE1200ELNS1_3gpuE4ELNS1_3repE0EEENS1_30default_config_static_selectorELNS0_4arch9wavefront6targetE1EEEvT1_,@function
_ZN7rocprim17ROCPRIM_400000_NS6detail17trampoline_kernelINS0_14default_configENS1_27scan_by_key_config_selectorIisEEZZNS1_16scan_by_key_implILNS1_25lookback_scan_determinismE0ELb0ES3_N6thrust23THRUST_200600_302600_NS6detail15normal_iteratorINS9_10device_ptrIiEEEENSB_INSC_IsEEEESG_sNS9_4plusIvEENS9_8equal_toIvEEsEE10hipError_tPvRmT2_T3_T4_T5_mT6_T7_P12ihipStream_tbENKUlT_T0_E_clISt17integral_constantIbLb1EES11_EEDaSW_SX_EUlSW_E_NS1_11comp_targetILNS1_3genE10ELNS1_11target_archE1200ELNS1_3gpuE4ELNS1_3repE0EEENS1_30default_config_static_selectorELNS0_4arch9wavefront6targetE1EEEvT1_: ; @_ZN7rocprim17ROCPRIM_400000_NS6detail17trampoline_kernelINS0_14default_configENS1_27scan_by_key_config_selectorIisEEZZNS1_16scan_by_key_implILNS1_25lookback_scan_determinismE0ELb0ES3_N6thrust23THRUST_200600_302600_NS6detail15normal_iteratorINS9_10device_ptrIiEEEENSB_INSC_IsEEEESG_sNS9_4plusIvEENS9_8equal_toIvEEsEE10hipError_tPvRmT2_T3_T4_T5_mT6_T7_P12ihipStream_tbENKUlT_T0_E_clISt17integral_constantIbLb1EES11_EEDaSW_SX_EUlSW_E_NS1_11comp_targetILNS1_3genE10ELNS1_11target_archE1200ELNS1_3gpuE4ELNS1_3repE0EEENS1_30default_config_static_selectorELNS0_4arch9wavefront6targetE1EEEvT1_
; %bb.0:
	.section	.rodata,"a",@progbits
	.p2align	6, 0x0
	.amdhsa_kernel _ZN7rocprim17ROCPRIM_400000_NS6detail17trampoline_kernelINS0_14default_configENS1_27scan_by_key_config_selectorIisEEZZNS1_16scan_by_key_implILNS1_25lookback_scan_determinismE0ELb0ES3_N6thrust23THRUST_200600_302600_NS6detail15normal_iteratorINS9_10device_ptrIiEEEENSB_INSC_IsEEEESG_sNS9_4plusIvEENS9_8equal_toIvEEsEE10hipError_tPvRmT2_T3_T4_T5_mT6_T7_P12ihipStream_tbENKUlT_T0_E_clISt17integral_constantIbLb1EES11_EEDaSW_SX_EUlSW_E_NS1_11comp_targetILNS1_3genE10ELNS1_11target_archE1200ELNS1_3gpuE4ELNS1_3repE0EEENS1_30default_config_static_selectorELNS0_4arch9wavefront6targetE1EEEvT1_
		.amdhsa_group_segment_fixed_size 0
		.amdhsa_private_segment_fixed_size 0
		.amdhsa_kernarg_size 112
		.amdhsa_user_sgpr_count 2
		.amdhsa_user_sgpr_dispatch_ptr 0
		.amdhsa_user_sgpr_queue_ptr 0
		.amdhsa_user_sgpr_kernarg_segment_ptr 1
		.amdhsa_user_sgpr_dispatch_id 0
		.amdhsa_user_sgpr_kernarg_preload_length 0
		.amdhsa_user_sgpr_kernarg_preload_offset 0
		.amdhsa_user_sgpr_private_segment_size 0
		.amdhsa_uses_dynamic_stack 0
		.amdhsa_enable_private_segment 0
		.amdhsa_system_sgpr_workgroup_id_x 1
		.amdhsa_system_sgpr_workgroup_id_y 0
		.amdhsa_system_sgpr_workgroup_id_z 0
		.amdhsa_system_sgpr_workgroup_info 0
		.amdhsa_system_vgpr_workitem_id 0
		.amdhsa_next_free_vgpr 1
		.amdhsa_next_free_sgpr 0
		.amdhsa_accum_offset 4
		.amdhsa_reserve_vcc 0
		.amdhsa_float_round_mode_32 0
		.amdhsa_float_round_mode_16_64 0
		.amdhsa_float_denorm_mode_32 3
		.amdhsa_float_denorm_mode_16_64 3
		.amdhsa_dx10_clamp 1
		.amdhsa_ieee_mode 1
		.amdhsa_fp16_overflow 0
		.amdhsa_tg_split 0
		.amdhsa_exception_fp_ieee_invalid_op 0
		.amdhsa_exception_fp_denorm_src 0
		.amdhsa_exception_fp_ieee_div_zero 0
		.amdhsa_exception_fp_ieee_overflow 0
		.amdhsa_exception_fp_ieee_underflow 0
		.amdhsa_exception_fp_ieee_inexact 0
		.amdhsa_exception_int_div_zero 0
	.end_amdhsa_kernel
	.section	.text._ZN7rocprim17ROCPRIM_400000_NS6detail17trampoline_kernelINS0_14default_configENS1_27scan_by_key_config_selectorIisEEZZNS1_16scan_by_key_implILNS1_25lookback_scan_determinismE0ELb0ES3_N6thrust23THRUST_200600_302600_NS6detail15normal_iteratorINS9_10device_ptrIiEEEENSB_INSC_IsEEEESG_sNS9_4plusIvEENS9_8equal_toIvEEsEE10hipError_tPvRmT2_T3_T4_T5_mT6_T7_P12ihipStream_tbENKUlT_T0_E_clISt17integral_constantIbLb1EES11_EEDaSW_SX_EUlSW_E_NS1_11comp_targetILNS1_3genE10ELNS1_11target_archE1200ELNS1_3gpuE4ELNS1_3repE0EEENS1_30default_config_static_selectorELNS0_4arch9wavefront6targetE1EEEvT1_,"axG",@progbits,_ZN7rocprim17ROCPRIM_400000_NS6detail17trampoline_kernelINS0_14default_configENS1_27scan_by_key_config_selectorIisEEZZNS1_16scan_by_key_implILNS1_25lookback_scan_determinismE0ELb0ES3_N6thrust23THRUST_200600_302600_NS6detail15normal_iteratorINS9_10device_ptrIiEEEENSB_INSC_IsEEEESG_sNS9_4plusIvEENS9_8equal_toIvEEsEE10hipError_tPvRmT2_T3_T4_T5_mT6_T7_P12ihipStream_tbENKUlT_T0_E_clISt17integral_constantIbLb1EES11_EEDaSW_SX_EUlSW_E_NS1_11comp_targetILNS1_3genE10ELNS1_11target_archE1200ELNS1_3gpuE4ELNS1_3repE0EEENS1_30default_config_static_selectorELNS0_4arch9wavefront6targetE1EEEvT1_,comdat
.Lfunc_end1368:
	.size	_ZN7rocprim17ROCPRIM_400000_NS6detail17trampoline_kernelINS0_14default_configENS1_27scan_by_key_config_selectorIisEEZZNS1_16scan_by_key_implILNS1_25lookback_scan_determinismE0ELb0ES3_N6thrust23THRUST_200600_302600_NS6detail15normal_iteratorINS9_10device_ptrIiEEEENSB_INSC_IsEEEESG_sNS9_4plusIvEENS9_8equal_toIvEEsEE10hipError_tPvRmT2_T3_T4_T5_mT6_T7_P12ihipStream_tbENKUlT_T0_E_clISt17integral_constantIbLb1EES11_EEDaSW_SX_EUlSW_E_NS1_11comp_targetILNS1_3genE10ELNS1_11target_archE1200ELNS1_3gpuE4ELNS1_3repE0EEENS1_30default_config_static_selectorELNS0_4arch9wavefront6targetE1EEEvT1_, .Lfunc_end1368-_ZN7rocprim17ROCPRIM_400000_NS6detail17trampoline_kernelINS0_14default_configENS1_27scan_by_key_config_selectorIisEEZZNS1_16scan_by_key_implILNS1_25lookback_scan_determinismE0ELb0ES3_N6thrust23THRUST_200600_302600_NS6detail15normal_iteratorINS9_10device_ptrIiEEEENSB_INSC_IsEEEESG_sNS9_4plusIvEENS9_8equal_toIvEEsEE10hipError_tPvRmT2_T3_T4_T5_mT6_T7_P12ihipStream_tbENKUlT_T0_E_clISt17integral_constantIbLb1EES11_EEDaSW_SX_EUlSW_E_NS1_11comp_targetILNS1_3genE10ELNS1_11target_archE1200ELNS1_3gpuE4ELNS1_3repE0EEENS1_30default_config_static_selectorELNS0_4arch9wavefront6targetE1EEEvT1_
                                        ; -- End function
	.section	.AMDGPU.csdata,"",@progbits
; Kernel info:
; codeLenInByte = 0
; NumSgprs: 6
; NumVgprs: 0
; NumAgprs: 0
; TotalNumVgprs: 0
; ScratchSize: 0
; MemoryBound: 0
; FloatMode: 240
; IeeeMode: 1
; LDSByteSize: 0 bytes/workgroup (compile time only)
; SGPRBlocks: 0
; VGPRBlocks: 0
; NumSGPRsForWavesPerEU: 6
; NumVGPRsForWavesPerEU: 1
; AccumOffset: 4
; Occupancy: 8
; WaveLimiterHint : 0
; COMPUTE_PGM_RSRC2:SCRATCH_EN: 0
; COMPUTE_PGM_RSRC2:USER_SGPR: 2
; COMPUTE_PGM_RSRC2:TRAP_HANDLER: 0
; COMPUTE_PGM_RSRC2:TGID_X_EN: 1
; COMPUTE_PGM_RSRC2:TGID_Y_EN: 0
; COMPUTE_PGM_RSRC2:TGID_Z_EN: 0
; COMPUTE_PGM_RSRC2:TIDIG_COMP_CNT: 0
; COMPUTE_PGM_RSRC3_GFX90A:ACCUM_OFFSET: 0
; COMPUTE_PGM_RSRC3_GFX90A:TG_SPLIT: 0
	.section	.text._ZN7rocprim17ROCPRIM_400000_NS6detail17trampoline_kernelINS0_14default_configENS1_27scan_by_key_config_selectorIisEEZZNS1_16scan_by_key_implILNS1_25lookback_scan_determinismE0ELb0ES3_N6thrust23THRUST_200600_302600_NS6detail15normal_iteratorINS9_10device_ptrIiEEEENSB_INSC_IsEEEESG_sNS9_4plusIvEENS9_8equal_toIvEEsEE10hipError_tPvRmT2_T3_T4_T5_mT6_T7_P12ihipStream_tbENKUlT_T0_E_clISt17integral_constantIbLb1EES11_EEDaSW_SX_EUlSW_E_NS1_11comp_targetILNS1_3genE9ELNS1_11target_archE1100ELNS1_3gpuE3ELNS1_3repE0EEENS1_30default_config_static_selectorELNS0_4arch9wavefront6targetE1EEEvT1_,"axG",@progbits,_ZN7rocprim17ROCPRIM_400000_NS6detail17trampoline_kernelINS0_14default_configENS1_27scan_by_key_config_selectorIisEEZZNS1_16scan_by_key_implILNS1_25lookback_scan_determinismE0ELb0ES3_N6thrust23THRUST_200600_302600_NS6detail15normal_iteratorINS9_10device_ptrIiEEEENSB_INSC_IsEEEESG_sNS9_4plusIvEENS9_8equal_toIvEEsEE10hipError_tPvRmT2_T3_T4_T5_mT6_T7_P12ihipStream_tbENKUlT_T0_E_clISt17integral_constantIbLb1EES11_EEDaSW_SX_EUlSW_E_NS1_11comp_targetILNS1_3genE9ELNS1_11target_archE1100ELNS1_3gpuE3ELNS1_3repE0EEENS1_30default_config_static_selectorELNS0_4arch9wavefront6targetE1EEEvT1_,comdat
	.protected	_ZN7rocprim17ROCPRIM_400000_NS6detail17trampoline_kernelINS0_14default_configENS1_27scan_by_key_config_selectorIisEEZZNS1_16scan_by_key_implILNS1_25lookback_scan_determinismE0ELb0ES3_N6thrust23THRUST_200600_302600_NS6detail15normal_iteratorINS9_10device_ptrIiEEEENSB_INSC_IsEEEESG_sNS9_4plusIvEENS9_8equal_toIvEEsEE10hipError_tPvRmT2_T3_T4_T5_mT6_T7_P12ihipStream_tbENKUlT_T0_E_clISt17integral_constantIbLb1EES11_EEDaSW_SX_EUlSW_E_NS1_11comp_targetILNS1_3genE9ELNS1_11target_archE1100ELNS1_3gpuE3ELNS1_3repE0EEENS1_30default_config_static_selectorELNS0_4arch9wavefront6targetE1EEEvT1_ ; -- Begin function _ZN7rocprim17ROCPRIM_400000_NS6detail17trampoline_kernelINS0_14default_configENS1_27scan_by_key_config_selectorIisEEZZNS1_16scan_by_key_implILNS1_25lookback_scan_determinismE0ELb0ES3_N6thrust23THRUST_200600_302600_NS6detail15normal_iteratorINS9_10device_ptrIiEEEENSB_INSC_IsEEEESG_sNS9_4plusIvEENS9_8equal_toIvEEsEE10hipError_tPvRmT2_T3_T4_T5_mT6_T7_P12ihipStream_tbENKUlT_T0_E_clISt17integral_constantIbLb1EES11_EEDaSW_SX_EUlSW_E_NS1_11comp_targetILNS1_3genE9ELNS1_11target_archE1100ELNS1_3gpuE3ELNS1_3repE0EEENS1_30default_config_static_selectorELNS0_4arch9wavefront6targetE1EEEvT1_
	.globl	_ZN7rocprim17ROCPRIM_400000_NS6detail17trampoline_kernelINS0_14default_configENS1_27scan_by_key_config_selectorIisEEZZNS1_16scan_by_key_implILNS1_25lookback_scan_determinismE0ELb0ES3_N6thrust23THRUST_200600_302600_NS6detail15normal_iteratorINS9_10device_ptrIiEEEENSB_INSC_IsEEEESG_sNS9_4plusIvEENS9_8equal_toIvEEsEE10hipError_tPvRmT2_T3_T4_T5_mT6_T7_P12ihipStream_tbENKUlT_T0_E_clISt17integral_constantIbLb1EES11_EEDaSW_SX_EUlSW_E_NS1_11comp_targetILNS1_3genE9ELNS1_11target_archE1100ELNS1_3gpuE3ELNS1_3repE0EEENS1_30default_config_static_selectorELNS0_4arch9wavefront6targetE1EEEvT1_
	.p2align	8
	.type	_ZN7rocprim17ROCPRIM_400000_NS6detail17trampoline_kernelINS0_14default_configENS1_27scan_by_key_config_selectorIisEEZZNS1_16scan_by_key_implILNS1_25lookback_scan_determinismE0ELb0ES3_N6thrust23THRUST_200600_302600_NS6detail15normal_iteratorINS9_10device_ptrIiEEEENSB_INSC_IsEEEESG_sNS9_4plusIvEENS9_8equal_toIvEEsEE10hipError_tPvRmT2_T3_T4_T5_mT6_T7_P12ihipStream_tbENKUlT_T0_E_clISt17integral_constantIbLb1EES11_EEDaSW_SX_EUlSW_E_NS1_11comp_targetILNS1_3genE9ELNS1_11target_archE1100ELNS1_3gpuE3ELNS1_3repE0EEENS1_30default_config_static_selectorELNS0_4arch9wavefront6targetE1EEEvT1_,@function
_ZN7rocprim17ROCPRIM_400000_NS6detail17trampoline_kernelINS0_14default_configENS1_27scan_by_key_config_selectorIisEEZZNS1_16scan_by_key_implILNS1_25lookback_scan_determinismE0ELb0ES3_N6thrust23THRUST_200600_302600_NS6detail15normal_iteratorINS9_10device_ptrIiEEEENSB_INSC_IsEEEESG_sNS9_4plusIvEENS9_8equal_toIvEEsEE10hipError_tPvRmT2_T3_T4_T5_mT6_T7_P12ihipStream_tbENKUlT_T0_E_clISt17integral_constantIbLb1EES11_EEDaSW_SX_EUlSW_E_NS1_11comp_targetILNS1_3genE9ELNS1_11target_archE1100ELNS1_3gpuE3ELNS1_3repE0EEENS1_30default_config_static_selectorELNS0_4arch9wavefront6targetE1EEEvT1_: ; @_ZN7rocprim17ROCPRIM_400000_NS6detail17trampoline_kernelINS0_14default_configENS1_27scan_by_key_config_selectorIisEEZZNS1_16scan_by_key_implILNS1_25lookback_scan_determinismE0ELb0ES3_N6thrust23THRUST_200600_302600_NS6detail15normal_iteratorINS9_10device_ptrIiEEEENSB_INSC_IsEEEESG_sNS9_4plusIvEENS9_8equal_toIvEEsEE10hipError_tPvRmT2_T3_T4_T5_mT6_T7_P12ihipStream_tbENKUlT_T0_E_clISt17integral_constantIbLb1EES11_EEDaSW_SX_EUlSW_E_NS1_11comp_targetILNS1_3genE9ELNS1_11target_archE1100ELNS1_3gpuE3ELNS1_3repE0EEENS1_30default_config_static_selectorELNS0_4arch9wavefront6targetE1EEEvT1_
; %bb.0:
	.section	.rodata,"a",@progbits
	.p2align	6, 0x0
	.amdhsa_kernel _ZN7rocprim17ROCPRIM_400000_NS6detail17trampoline_kernelINS0_14default_configENS1_27scan_by_key_config_selectorIisEEZZNS1_16scan_by_key_implILNS1_25lookback_scan_determinismE0ELb0ES3_N6thrust23THRUST_200600_302600_NS6detail15normal_iteratorINS9_10device_ptrIiEEEENSB_INSC_IsEEEESG_sNS9_4plusIvEENS9_8equal_toIvEEsEE10hipError_tPvRmT2_T3_T4_T5_mT6_T7_P12ihipStream_tbENKUlT_T0_E_clISt17integral_constantIbLb1EES11_EEDaSW_SX_EUlSW_E_NS1_11comp_targetILNS1_3genE9ELNS1_11target_archE1100ELNS1_3gpuE3ELNS1_3repE0EEENS1_30default_config_static_selectorELNS0_4arch9wavefront6targetE1EEEvT1_
		.amdhsa_group_segment_fixed_size 0
		.amdhsa_private_segment_fixed_size 0
		.amdhsa_kernarg_size 112
		.amdhsa_user_sgpr_count 2
		.amdhsa_user_sgpr_dispatch_ptr 0
		.amdhsa_user_sgpr_queue_ptr 0
		.amdhsa_user_sgpr_kernarg_segment_ptr 1
		.amdhsa_user_sgpr_dispatch_id 0
		.amdhsa_user_sgpr_kernarg_preload_length 0
		.amdhsa_user_sgpr_kernarg_preload_offset 0
		.amdhsa_user_sgpr_private_segment_size 0
		.amdhsa_uses_dynamic_stack 0
		.amdhsa_enable_private_segment 0
		.amdhsa_system_sgpr_workgroup_id_x 1
		.amdhsa_system_sgpr_workgroup_id_y 0
		.amdhsa_system_sgpr_workgroup_id_z 0
		.amdhsa_system_sgpr_workgroup_info 0
		.amdhsa_system_vgpr_workitem_id 0
		.amdhsa_next_free_vgpr 1
		.amdhsa_next_free_sgpr 0
		.amdhsa_accum_offset 4
		.amdhsa_reserve_vcc 0
		.amdhsa_float_round_mode_32 0
		.amdhsa_float_round_mode_16_64 0
		.amdhsa_float_denorm_mode_32 3
		.amdhsa_float_denorm_mode_16_64 3
		.amdhsa_dx10_clamp 1
		.amdhsa_ieee_mode 1
		.amdhsa_fp16_overflow 0
		.amdhsa_tg_split 0
		.amdhsa_exception_fp_ieee_invalid_op 0
		.amdhsa_exception_fp_denorm_src 0
		.amdhsa_exception_fp_ieee_div_zero 0
		.amdhsa_exception_fp_ieee_overflow 0
		.amdhsa_exception_fp_ieee_underflow 0
		.amdhsa_exception_fp_ieee_inexact 0
		.amdhsa_exception_int_div_zero 0
	.end_amdhsa_kernel
	.section	.text._ZN7rocprim17ROCPRIM_400000_NS6detail17trampoline_kernelINS0_14default_configENS1_27scan_by_key_config_selectorIisEEZZNS1_16scan_by_key_implILNS1_25lookback_scan_determinismE0ELb0ES3_N6thrust23THRUST_200600_302600_NS6detail15normal_iteratorINS9_10device_ptrIiEEEENSB_INSC_IsEEEESG_sNS9_4plusIvEENS9_8equal_toIvEEsEE10hipError_tPvRmT2_T3_T4_T5_mT6_T7_P12ihipStream_tbENKUlT_T0_E_clISt17integral_constantIbLb1EES11_EEDaSW_SX_EUlSW_E_NS1_11comp_targetILNS1_3genE9ELNS1_11target_archE1100ELNS1_3gpuE3ELNS1_3repE0EEENS1_30default_config_static_selectorELNS0_4arch9wavefront6targetE1EEEvT1_,"axG",@progbits,_ZN7rocprim17ROCPRIM_400000_NS6detail17trampoline_kernelINS0_14default_configENS1_27scan_by_key_config_selectorIisEEZZNS1_16scan_by_key_implILNS1_25lookback_scan_determinismE0ELb0ES3_N6thrust23THRUST_200600_302600_NS6detail15normal_iteratorINS9_10device_ptrIiEEEENSB_INSC_IsEEEESG_sNS9_4plusIvEENS9_8equal_toIvEEsEE10hipError_tPvRmT2_T3_T4_T5_mT6_T7_P12ihipStream_tbENKUlT_T0_E_clISt17integral_constantIbLb1EES11_EEDaSW_SX_EUlSW_E_NS1_11comp_targetILNS1_3genE9ELNS1_11target_archE1100ELNS1_3gpuE3ELNS1_3repE0EEENS1_30default_config_static_selectorELNS0_4arch9wavefront6targetE1EEEvT1_,comdat
.Lfunc_end1369:
	.size	_ZN7rocprim17ROCPRIM_400000_NS6detail17trampoline_kernelINS0_14default_configENS1_27scan_by_key_config_selectorIisEEZZNS1_16scan_by_key_implILNS1_25lookback_scan_determinismE0ELb0ES3_N6thrust23THRUST_200600_302600_NS6detail15normal_iteratorINS9_10device_ptrIiEEEENSB_INSC_IsEEEESG_sNS9_4plusIvEENS9_8equal_toIvEEsEE10hipError_tPvRmT2_T3_T4_T5_mT6_T7_P12ihipStream_tbENKUlT_T0_E_clISt17integral_constantIbLb1EES11_EEDaSW_SX_EUlSW_E_NS1_11comp_targetILNS1_3genE9ELNS1_11target_archE1100ELNS1_3gpuE3ELNS1_3repE0EEENS1_30default_config_static_selectorELNS0_4arch9wavefront6targetE1EEEvT1_, .Lfunc_end1369-_ZN7rocprim17ROCPRIM_400000_NS6detail17trampoline_kernelINS0_14default_configENS1_27scan_by_key_config_selectorIisEEZZNS1_16scan_by_key_implILNS1_25lookback_scan_determinismE0ELb0ES3_N6thrust23THRUST_200600_302600_NS6detail15normal_iteratorINS9_10device_ptrIiEEEENSB_INSC_IsEEEESG_sNS9_4plusIvEENS9_8equal_toIvEEsEE10hipError_tPvRmT2_T3_T4_T5_mT6_T7_P12ihipStream_tbENKUlT_T0_E_clISt17integral_constantIbLb1EES11_EEDaSW_SX_EUlSW_E_NS1_11comp_targetILNS1_3genE9ELNS1_11target_archE1100ELNS1_3gpuE3ELNS1_3repE0EEENS1_30default_config_static_selectorELNS0_4arch9wavefront6targetE1EEEvT1_
                                        ; -- End function
	.section	.AMDGPU.csdata,"",@progbits
; Kernel info:
; codeLenInByte = 0
; NumSgprs: 6
; NumVgprs: 0
; NumAgprs: 0
; TotalNumVgprs: 0
; ScratchSize: 0
; MemoryBound: 0
; FloatMode: 240
; IeeeMode: 1
; LDSByteSize: 0 bytes/workgroup (compile time only)
; SGPRBlocks: 0
; VGPRBlocks: 0
; NumSGPRsForWavesPerEU: 6
; NumVGPRsForWavesPerEU: 1
; AccumOffset: 4
; Occupancy: 8
; WaveLimiterHint : 0
; COMPUTE_PGM_RSRC2:SCRATCH_EN: 0
; COMPUTE_PGM_RSRC2:USER_SGPR: 2
; COMPUTE_PGM_RSRC2:TRAP_HANDLER: 0
; COMPUTE_PGM_RSRC2:TGID_X_EN: 1
; COMPUTE_PGM_RSRC2:TGID_Y_EN: 0
; COMPUTE_PGM_RSRC2:TGID_Z_EN: 0
; COMPUTE_PGM_RSRC2:TIDIG_COMP_CNT: 0
; COMPUTE_PGM_RSRC3_GFX90A:ACCUM_OFFSET: 0
; COMPUTE_PGM_RSRC3_GFX90A:TG_SPLIT: 0
	.section	.text._ZN7rocprim17ROCPRIM_400000_NS6detail17trampoline_kernelINS0_14default_configENS1_27scan_by_key_config_selectorIisEEZZNS1_16scan_by_key_implILNS1_25lookback_scan_determinismE0ELb0ES3_N6thrust23THRUST_200600_302600_NS6detail15normal_iteratorINS9_10device_ptrIiEEEENSB_INSC_IsEEEESG_sNS9_4plusIvEENS9_8equal_toIvEEsEE10hipError_tPvRmT2_T3_T4_T5_mT6_T7_P12ihipStream_tbENKUlT_T0_E_clISt17integral_constantIbLb1EES11_EEDaSW_SX_EUlSW_E_NS1_11comp_targetILNS1_3genE8ELNS1_11target_archE1030ELNS1_3gpuE2ELNS1_3repE0EEENS1_30default_config_static_selectorELNS0_4arch9wavefront6targetE1EEEvT1_,"axG",@progbits,_ZN7rocprim17ROCPRIM_400000_NS6detail17trampoline_kernelINS0_14default_configENS1_27scan_by_key_config_selectorIisEEZZNS1_16scan_by_key_implILNS1_25lookback_scan_determinismE0ELb0ES3_N6thrust23THRUST_200600_302600_NS6detail15normal_iteratorINS9_10device_ptrIiEEEENSB_INSC_IsEEEESG_sNS9_4plusIvEENS9_8equal_toIvEEsEE10hipError_tPvRmT2_T3_T4_T5_mT6_T7_P12ihipStream_tbENKUlT_T0_E_clISt17integral_constantIbLb1EES11_EEDaSW_SX_EUlSW_E_NS1_11comp_targetILNS1_3genE8ELNS1_11target_archE1030ELNS1_3gpuE2ELNS1_3repE0EEENS1_30default_config_static_selectorELNS0_4arch9wavefront6targetE1EEEvT1_,comdat
	.protected	_ZN7rocprim17ROCPRIM_400000_NS6detail17trampoline_kernelINS0_14default_configENS1_27scan_by_key_config_selectorIisEEZZNS1_16scan_by_key_implILNS1_25lookback_scan_determinismE0ELb0ES3_N6thrust23THRUST_200600_302600_NS6detail15normal_iteratorINS9_10device_ptrIiEEEENSB_INSC_IsEEEESG_sNS9_4plusIvEENS9_8equal_toIvEEsEE10hipError_tPvRmT2_T3_T4_T5_mT6_T7_P12ihipStream_tbENKUlT_T0_E_clISt17integral_constantIbLb1EES11_EEDaSW_SX_EUlSW_E_NS1_11comp_targetILNS1_3genE8ELNS1_11target_archE1030ELNS1_3gpuE2ELNS1_3repE0EEENS1_30default_config_static_selectorELNS0_4arch9wavefront6targetE1EEEvT1_ ; -- Begin function _ZN7rocprim17ROCPRIM_400000_NS6detail17trampoline_kernelINS0_14default_configENS1_27scan_by_key_config_selectorIisEEZZNS1_16scan_by_key_implILNS1_25lookback_scan_determinismE0ELb0ES3_N6thrust23THRUST_200600_302600_NS6detail15normal_iteratorINS9_10device_ptrIiEEEENSB_INSC_IsEEEESG_sNS9_4plusIvEENS9_8equal_toIvEEsEE10hipError_tPvRmT2_T3_T4_T5_mT6_T7_P12ihipStream_tbENKUlT_T0_E_clISt17integral_constantIbLb1EES11_EEDaSW_SX_EUlSW_E_NS1_11comp_targetILNS1_3genE8ELNS1_11target_archE1030ELNS1_3gpuE2ELNS1_3repE0EEENS1_30default_config_static_selectorELNS0_4arch9wavefront6targetE1EEEvT1_
	.globl	_ZN7rocprim17ROCPRIM_400000_NS6detail17trampoline_kernelINS0_14default_configENS1_27scan_by_key_config_selectorIisEEZZNS1_16scan_by_key_implILNS1_25lookback_scan_determinismE0ELb0ES3_N6thrust23THRUST_200600_302600_NS6detail15normal_iteratorINS9_10device_ptrIiEEEENSB_INSC_IsEEEESG_sNS9_4plusIvEENS9_8equal_toIvEEsEE10hipError_tPvRmT2_T3_T4_T5_mT6_T7_P12ihipStream_tbENKUlT_T0_E_clISt17integral_constantIbLb1EES11_EEDaSW_SX_EUlSW_E_NS1_11comp_targetILNS1_3genE8ELNS1_11target_archE1030ELNS1_3gpuE2ELNS1_3repE0EEENS1_30default_config_static_selectorELNS0_4arch9wavefront6targetE1EEEvT1_
	.p2align	8
	.type	_ZN7rocprim17ROCPRIM_400000_NS6detail17trampoline_kernelINS0_14default_configENS1_27scan_by_key_config_selectorIisEEZZNS1_16scan_by_key_implILNS1_25lookback_scan_determinismE0ELb0ES3_N6thrust23THRUST_200600_302600_NS6detail15normal_iteratorINS9_10device_ptrIiEEEENSB_INSC_IsEEEESG_sNS9_4plusIvEENS9_8equal_toIvEEsEE10hipError_tPvRmT2_T3_T4_T5_mT6_T7_P12ihipStream_tbENKUlT_T0_E_clISt17integral_constantIbLb1EES11_EEDaSW_SX_EUlSW_E_NS1_11comp_targetILNS1_3genE8ELNS1_11target_archE1030ELNS1_3gpuE2ELNS1_3repE0EEENS1_30default_config_static_selectorELNS0_4arch9wavefront6targetE1EEEvT1_,@function
_ZN7rocprim17ROCPRIM_400000_NS6detail17trampoline_kernelINS0_14default_configENS1_27scan_by_key_config_selectorIisEEZZNS1_16scan_by_key_implILNS1_25lookback_scan_determinismE0ELb0ES3_N6thrust23THRUST_200600_302600_NS6detail15normal_iteratorINS9_10device_ptrIiEEEENSB_INSC_IsEEEESG_sNS9_4plusIvEENS9_8equal_toIvEEsEE10hipError_tPvRmT2_T3_T4_T5_mT6_T7_P12ihipStream_tbENKUlT_T0_E_clISt17integral_constantIbLb1EES11_EEDaSW_SX_EUlSW_E_NS1_11comp_targetILNS1_3genE8ELNS1_11target_archE1030ELNS1_3gpuE2ELNS1_3repE0EEENS1_30default_config_static_selectorELNS0_4arch9wavefront6targetE1EEEvT1_: ; @_ZN7rocprim17ROCPRIM_400000_NS6detail17trampoline_kernelINS0_14default_configENS1_27scan_by_key_config_selectorIisEEZZNS1_16scan_by_key_implILNS1_25lookback_scan_determinismE0ELb0ES3_N6thrust23THRUST_200600_302600_NS6detail15normal_iteratorINS9_10device_ptrIiEEEENSB_INSC_IsEEEESG_sNS9_4plusIvEENS9_8equal_toIvEEsEE10hipError_tPvRmT2_T3_T4_T5_mT6_T7_P12ihipStream_tbENKUlT_T0_E_clISt17integral_constantIbLb1EES11_EEDaSW_SX_EUlSW_E_NS1_11comp_targetILNS1_3genE8ELNS1_11target_archE1030ELNS1_3gpuE2ELNS1_3repE0EEENS1_30default_config_static_selectorELNS0_4arch9wavefront6targetE1EEEvT1_
; %bb.0:
	.section	.rodata,"a",@progbits
	.p2align	6, 0x0
	.amdhsa_kernel _ZN7rocprim17ROCPRIM_400000_NS6detail17trampoline_kernelINS0_14default_configENS1_27scan_by_key_config_selectorIisEEZZNS1_16scan_by_key_implILNS1_25lookback_scan_determinismE0ELb0ES3_N6thrust23THRUST_200600_302600_NS6detail15normal_iteratorINS9_10device_ptrIiEEEENSB_INSC_IsEEEESG_sNS9_4plusIvEENS9_8equal_toIvEEsEE10hipError_tPvRmT2_T3_T4_T5_mT6_T7_P12ihipStream_tbENKUlT_T0_E_clISt17integral_constantIbLb1EES11_EEDaSW_SX_EUlSW_E_NS1_11comp_targetILNS1_3genE8ELNS1_11target_archE1030ELNS1_3gpuE2ELNS1_3repE0EEENS1_30default_config_static_selectorELNS0_4arch9wavefront6targetE1EEEvT1_
		.amdhsa_group_segment_fixed_size 0
		.amdhsa_private_segment_fixed_size 0
		.amdhsa_kernarg_size 112
		.amdhsa_user_sgpr_count 2
		.amdhsa_user_sgpr_dispatch_ptr 0
		.amdhsa_user_sgpr_queue_ptr 0
		.amdhsa_user_sgpr_kernarg_segment_ptr 1
		.amdhsa_user_sgpr_dispatch_id 0
		.amdhsa_user_sgpr_kernarg_preload_length 0
		.amdhsa_user_sgpr_kernarg_preload_offset 0
		.amdhsa_user_sgpr_private_segment_size 0
		.amdhsa_uses_dynamic_stack 0
		.amdhsa_enable_private_segment 0
		.amdhsa_system_sgpr_workgroup_id_x 1
		.amdhsa_system_sgpr_workgroup_id_y 0
		.amdhsa_system_sgpr_workgroup_id_z 0
		.amdhsa_system_sgpr_workgroup_info 0
		.amdhsa_system_vgpr_workitem_id 0
		.amdhsa_next_free_vgpr 1
		.amdhsa_next_free_sgpr 0
		.amdhsa_accum_offset 4
		.amdhsa_reserve_vcc 0
		.amdhsa_float_round_mode_32 0
		.amdhsa_float_round_mode_16_64 0
		.amdhsa_float_denorm_mode_32 3
		.amdhsa_float_denorm_mode_16_64 3
		.amdhsa_dx10_clamp 1
		.amdhsa_ieee_mode 1
		.amdhsa_fp16_overflow 0
		.amdhsa_tg_split 0
		.amdhsa_exception_fp_ieee_invalid_op 0
		.amdhsa_exception_fp_denorm_src 0
		.amdhsa_exception_fp_ieee_div_zero 0
		.amdhsa_exception_fp_ieee_overflow 0
		.amdhsa_exception_fp_ieee_underflow 0
		.amdhsa_exception_fp_ieee_inexact 0
		.amdhsa_exception_int_div_zero 0
	.end_amdhsa_kernel
	.section	.text._ZN7rocprim17ROCPRIM_400000_NS6detail17trampoline_kernelINS0_14default_configENS1_27scan_by_key_config_selectorIisEEZZNS1_16scan_by_key_implILNS1_25lookback_scan_determinismE0ELb0ES3_N6thrust23THRUST_200600_302600_NS6detail15normal_iteratorINS9_10device_ptrIiEEEENSB_INSC_IsEEEESG_sNS9_4plusIvEENS9_8equal_toIvEEsEE10hipError_tPvRmT2_T3_T4_T5_mT6_T7_P12ihipStream_tbENKUlT_T0_E_clISt17integral_constantIbLb1EES11_EEDaSW_SX_EUlSW_E_NS1_11comp_targetILNS1_3genE8ELNS1_11target_archE1030ELNS1_3gpuE2ELNS1_3repE0EEENS1_30default_config_static_selectorELNS0_4arch9wavefront6targetE1EEEvT1_,"axG",@progbits,_ZN7rocprim17ROCPRIM_400000_NS6detail17trampoline_kernelINS0_14default_configENS1_27scan_by_key_config_selectorIisEEZZNS1_16scan_by_key_implILNS1_25lookback_scan_determinismE0ELb0ES3_N6thrust23THRUST_200600_302600_NS6detail15normal_iteratorINS9_10device_ptrIiEEEENSB_INSC_IsEEEESG_sNS9_4plusIvEENS9_8equal_toIvEEsEE10hipError_tPvRmT2_T3_T4_T5_mT6_T7_P12ihipStream_tbENKUlT_T0_E_clISt17integral_constantIbLb1EES11_EEDaSW_SX_EUlSW_E_NS1_11comp_targetILNS1_3genE8ELNS1_11target_archE1030ELNS1_3gpuE2ELNS1_3repE0EEENS1_30default_config_static_selectorELNS0_4arch9wavefront6targetE1EEEvT1_,comdat
.Lfunc_end1370:
	.size	_ZN7rocprim17ROCPRIM_400000_NS6detail17trampoline_kernelINS0_14default_configENS1_27scan_by_key_config_selectorIisEEZZNS1_16scan_by_key_implILNS1_25lookback_scan_determinismE0ELb0ES3_N6thrust23THRUST_200600_302600_NS6detail15normal_iteratorINS9_10device_ptrIiEEEENSB_INSC_IsEEEESG_sNS9_4plusIvEENS9_8equal_toIvEEsEE10hipError_tPvRmT2_T3_T4_T5_mT6_T7_P12ihipStream_tbENKUlT_T0_E_clISt17integral_constantIbLb1EES11_EEDaSW_SX_EUlSW_E_NS1_11comp_targetILNS1_3genE8ELNS1_11target_archE1030ELNS1_3gpuE2ELNS1_3repE0EEENS1_30default_config_static_selectorELNS0_4arch9wavefront6targetE1EEEvT1_, .Lfunc_end1370-_ZN7rocprim17ROCPRIM_400000_NS6detail17trampoline_kernelINS0_14default_configENS1_27scan_by_key_config_selectorIisEEZZNS1_16scan_by_key_implILNS1_25lookback_scan_determinismE0ELb0ES3_N6thrust23THRUST_200600_302600_NS6detail15normal_iteratorINS9_10device_ptrIiEEEENSB_INSC_IsEEEESG_sNS9_4plusIvEENS9_8equal_toIvEEsEE10hipError_tPvRmT2_T3_T4_T5_mT6_T7_P12ihipStream_tbENKUlT_T0_E_clISt17integral_constantIbLb1EES11_EEDaSW_SX_EUlSW_E_NS1_11comp_targetILNS1_3genE8ELNS1_11target_archE1030ELNS1_3gpuE2ELNS1_3repE0EEENS1_30default_config_static_selectorELNS0_4arch9wavefront6targetE1EEEvT1_
                                        ; -- End function
	.section	.AMDGPU.csdata,"",@progbits
; Kernel info:
; codeLenInByte = 0
; NumSgprs: 6
; NumVgprs: 0
; NumAgprs: 0
; TotalNumVgprs: 0
; ScratchSize: 0
; MemoryBound: 0
; FloatMode: 240
; IeeeMode: 1
; LDSByteSize: 0 bytes/workgroup (compile time only)
; SGPRBlocks: 0
; VGPRBlocks: 0
; NumSGPRsForWavesPerEU: 6
; NumVGPRsForWavesPerEU: 1
; AccumOffset: 4
; Occupancy: 8
; WaveLimiterHint : 0
; COMPUTE_PGM_RSRC2:SCRATCH_EN: 0
; COMPUTE_PGM_RSRC2:USER_SGPR: 2
; COMPUTE_PGM_RSRC2:TRAP_HANDLER: 0
; COMPUTE_PGM_RSRC2:TGID_X_EN: 1
; COMPUTE_PGM_RSRC2:TGID_Y_EN: 0
; COMPUTE_PGM_RSRC2:TGID_Z_EN: 0
; COMPUTE_PGM_RSRC2:TIDIG_COMP_CNT: 0
; COMPUTE_PGM_RSRC3_GFX90A:ACCUM_OFFSET: 0
; COMPUTE_PGM_RSRC3_GFX90A:TG_SPLIT: 0
	.section	.text._ZN7rocprim17ROCPRIM_400000_NS6detail30init_device_scan_by_key_kernelINS1_19lookback_scan_stateINS0_5tupleIJsbEEELb1ELb1EEEN6thrust23THRUST_200600_302600_NS6detail15normal_iteratorINS8_10device_ptrIiEEEEjNS1_16block_id_wrapperIjLb0EEEEEvT_jjPNSG_10value_typeET0_PNSt15iterator_traitsISJ_E10value_typeEmT1_T2_,"axG",@progbits,_ZN7rocprim17ROCPRIM_400000_NS6detail30init_device_scan_by_key_kernelINS1_19lookback_scan_stateINS0_5tupleIJsbEEELb1ELb1EEEN6thrust23THRUST_200600_302600_NS6detail15normal_iteratorINS8_10device_ptrIiEEEEjNS1_16block_id_wrapperIjLb0EEEEEvT_jjPNSG_10value_typeET0_PNSt15iterator_traitsISJ_E10value_typeEmT1_T2_,comdat
	.protected	_ZN7rocprim17ROCPRIM_400000_NS6detail30init_device_scan_by_key_kernelINS1_19lookback_scan_stateINS0_5tupleIJsbEEELb1ELb1EEEN6thrust23THRUST_200600_302600_NS6detail15normal_iteratorINS8_10device_ptrIiEEEEjNS1_16block_id_wrapperIjLb0EEEEEvT_jjPNSG_10value_typeET0_PNSt15iterator_traitsISJ_E10value_typeEmT1_T2_ ; -- Begin function _ZN7rocprim17ROCPRIM_400000_NS6detail30init_device_scan_by_key_kernelINS1_19lookback_scan_stateINS0_5tupleIJsbEEELb1ELb1EEEN6thrust23THRUST_200600_302600_NS6detail15normal_iteratorINS8_10device_ptrIiEEEEjNS1_16block_id_wrapperIjLb0EEEEEvT_jjPNSG_10value_typeET0_PNSt15iterator_traitsISJ_E10value_typeEmT1_T2_
	.globl	_ZN7rocprim17ROCPRIM_400000_NS6detail30init_device_scan_by_key_kernelINS1_19lookback_scan_stateINS0_5tupleIJsbEEELb1ELb1EEEN6thrust23THRUST_200600_302600_NS6detail15normal_iteratorINS8_10device_ptrIiEEEEjNS1_16block_id_wrapperIjLb0EEEEEvT_jjPNSG_10value_typeET0_PNSt15iterator_traitsISJ_E10value_typeEmT1_T2_
	.p2align	8
	.type	_ZN7rocprim17ROCPRIM_400000_NS6detail30init_device_scan_by_key_kernelINS1_19lookback_scan_stateINS0_5tupleIJsbEEELb1ELb1EEEN6thrust23THRUST_200600_302600_NS6detail15normal_iteratorINS8_10device_ptrIiEEEEjNS1_16block_id_wrapperIjLb0EEEEEvT_jjPNSG_10value_typeET0_PNSt15iterator_traitsISJ_E10value_typeEmT1_T2_,@function
_ZN7rocprim17ROCPRIM_400000_NS6detail30init_device_scan_by_key_kernelINS1_19lookback_scan_stateINS0_5tupleIJsbEEELb1ELb1EEEN6thrust23THRUST_200600_302600_NS6detail15normal_iteratorINS8_10device_ptrIiEEEEjNS1_16block_id_wrapperIjLb0EEEEEvT_jjPNSG_10value_typeET0_PNSt15iterator_traitsISJ_E10value_typeEmT1_T2_: ; @_ZN7rocprim17ROCPRIM_400000_NS6detail30init_device_scan_by_key_kernelINS1_19lookback_scan_stateINS0_5tupleIJsbEEELb1ELb1EEEN6thrust23THRUST_200600_302600_NS6detail15normal_iteratorINS8_10device_ptrIiEEEEjNS1_16block_id_wrapperIjLb0EEEEEvT_jjPNSG_10value_typeET0_PNSt15iterator_traitsISJ_E10value_typeEmT1_T2_
; %bb.0:
	s_load_dword s3, s[0:1], 0x44
	s_load_dwordx8 s[4:11], s[0:1], 0x0
	s_load_dword s14, s[0:1], 0x38
	s_waitcnt lgkmcnt(0)
	s_and_b32 s15, s3, 0xffff
	s_mul_i32 s2, s2, s15
	s_cmp_eq_u64 s[8:9], 0
	v_add_u32_e32 v0, s2, v0
	s_cbranch_scc1 .LBB1371_9
; %bb.1:
	s_cmp_lt_u32 s7, s6
	s_cselect_b32 s2, s7, 0
	s_mov_b32 s13, 0
	v_cmp_eq_u32_e32 vcc, s2, v0
	s_and_saveexec_b64 s[2:3], vcc
	s_cbranch_execz .LBB1371_8
; %bb.2:
	s_add_i32 s12, s7, 64
	s_lshl_b64 s[12:13], s[12:13], 3
	s_add_u32 s12, s4, s12
	s_addc_u32 s13, s5, s13
	v_mov_b32_e32 v2, 0
	global_load_dwordx2 v[4:5], v2, s[12:13] sc1
	s_waitcnt vmcnt(0)
	v_and_b32_e32 v3, 0xff, v5
	v_cmp_ne_u64_e32 vcc, 0, v[2:3]
	s_cbranch_vccnz .LBB1371_7
; %bb.3:
	s_mov_b32 s7, 1
.LBB1371_4:                             ; =>This Loop Header: Depth=1
                                        ;     Child Loop BB1371_5 Depth 2
	s_max_u32 s16, s7, 1
.LBB1371_5:                             ;   Parent Loop BB1371_4 Depth=1
                                        ; =>  This Inner Loop Header: Depth=2
	s_add_i32 s16, s16, -1
	s_cmp_eq_u32 s16, 0
	s_sleep 1
	s_cbranch_scc0 .LBB1371_5
; %bb.6:                                ;   in Loop: Header=BB1371_4 Depth=1
	global_load_dwordx2 v[4:5], v2, s[12:13] sc1
	s_cmp_lt_u32 s7, 32
	s_cselect_b64 s[16:17], -1, 0
	s_cmp_lg_u64 s[16:17], 0
	s_addc_u32 s7, s7, 0
	s_waitcnt vmcnt(0)
	v_and_b32_e32 v3, 0xff, v5
	v_cmp_ne_u64_e32 vcc, 0, v[2:3]
	s_cbranch_vccz .LBB1371_4
.LBB1371_7:
	v_mov_b32_e32 v1, 0
	global_store_short v1, v4, s[8:9]
	global_store_byte_d16_hi v1, v4, s[8:9] offset:2
.LBB1371_8:
	s_or_b64 exec, exec, s[2:3]
.LBB1371_9:
	v_cmp_gt_u32_e32 vcc, s6, v0
	s_and_saveexec_b64 s[2:3], vcc
	s_cbranch_execz .LBB1371_11
; %bb.10:
	v_add_u32_e32 v2, 64, v0
	v_mov_b32_e32 v3, 0
	v_lshl_add_u64 v[4:5], v[2:3], 3, s[4:5]
	v_mov_b32_e32 v2, v3
	global_store_dwordx2 v[4:5], v[2:3], off
.LBB1371_11:
	s_or_b64 exec, exec, s[2:3]
	v_cmp_gt_u32_e32 vcc, 64, v0
	v_mov_b32_e32 v1, 0
	s_and_saveexec_b64 s[2:3], vcc
	s_cbranch_execz .LBB1371_13
; %bb.12:
	v_lshl_add_u64 v[2:3], v[0:1], 3, s[4:5]
	v_mov_b32_e32 v5, 0xff
	v_mov_b32_e32 v4, v1
	global_store_dwordx2 v[2:3], v[4:5], off
.LBB1371_13:
	s_or_b64 exec, exec, s[2:3]
	s_load_dwordx2 s[2:3], s[0:1], 0x28
	s_waitcnt lgkmcnt(0)
	v_cmp_gt_u64_e32 vcc, s[2:3], v[0:1]
	s_and_saveexec_b64 s[4:5], vcc
	s_cbranch_execz .LBB1371_16
; %bb.14:
	s_load_dword s12, s[0:1], 0x30
	s_load_dwordx2 s[6:7], s[0:1], 0x20
	s_mov_b32 s5, 0
	s_mov_b32 s1, s5
	s_mul_i32 s0, s14, s15
	s_waitcnt lgkmcnt(0)
	s_add_i32 s4, s12, -1
	s_lshl_b64 s[4:5], s[4:5], 2
	s_add_u32 s4, s10, s4
	v_mad_u64_u32 v[2:3], s[8:9], s12, v0, 0
	s_addc_u32 s5, s11, s5
	v_lshl_add_u64 v[2:3], v[2:3], 2, s[4:5]
	s_mul_hi_u32 s5, s12, s0
	s_mul_i32 s4, s12, s0
	s_lshl_b64 s[4:5], s[4:5], 2
	v_lshl_add_u64 v[4:5], v[0:1], 2, s[6:7]
	s_lshl_b64 s[6:7], s[0:1], 2
	s_mov_b64 s[8:9], 0
.LBB1371_15:                            ; =>This Inner Loop Header: Depth=1
	global_load_dword v6, v[2:3], off
	v_lshl_add_u64 v[0:1], v[0:1], 0, s[0:1]
	v_cmp_le_u64_e32 vcc, s[2:3], v[0:1]
	v_lshl_add_u64 v[2:3], v[2:3], 0, s[4:5]
	s_or_b64 s[8:9], vcc, s[8:9]
	s_waitcnt vmcnt(0)
	global_store_dword v[4:5], v6, off
	v_lshl_add_u64 v[4:5], v[4:5], 0, s[6:7]
	s_andn2_b64 exec, exec, s[8:9]
	s_cbranch_execnz .LBB1371_15
.LBB1371_16:
	s_endpgm
	.section	.rodata,"a",@progbits
	.p2align	6, 0x0
	.amdhsa_kernel _ZN7rocprim17ROCPRIM_400000_NS6detail30init_device_scan_by_key_kernelINS1_19lookback_scan_stateINS0_5tupleIJsbEEELb1ELb1EEEN6thrust23THRUST_200600_302600_NS6detail15normal_iteratorINS8_10device_ptrIiEEEEjNS1_16block_id_wrapperIjLb0EEEEEvT_jjPNSG_10value_typeET0_PNSt15iterator_traitsISJ_E10value_typeEmT1_T2_
		.amdhsa_group_segment_fixed_size 0
		.amdhsa_private_segment_fixed_size 0
		.amdhsa_kernarg_size 312
		.amdhsa_user_sgpr_count 2
		.amdhsa_user_sgpr_dispatch_ptr 0
		.amdhsa_user_sgpr_queue_ptr 0
		.amdhsa_user_sgpr_kernarg_segment_ptr 1
		.amdhsa_user_sgpr_dispatch_id 0
		.amdhsa_user_sgpr_kernarg_preload_length 0
		.amdhsa_user_sgpr_kernarg_preload_offset 0
		.amdhsa_user_sgpr_private_segment_size 0
		.amdhsa_uses_dynamic_stack 0
		.amdhsa_enable_private_segment 0
		.amdhsa_system_sgpr_workgroup_id_x 1
		.amdhsa_system_sgpr_workgroup_id_y 0
		.amdhsa_system_sgpr_workgroup_id_z 0
		.amdhsa_system_sgpr_workgroup_info 0
		.amdhsa_system_vgpr_workitem_id 0
		.amdhsa_next_free_vgpr 7
		.amdhsa_next_free_sgpr 18
		.amdhsa_accum_offset 8
		.amdhsa_reserve_vcc 1
		.amdhsa_float_round_mode_32 0
		.amdhsa_float_round_mode_16_64 0
		.amdhsa_float_denorm_mode_32 3
		.amdhsa_float_denorm_mode_16_64 3
		.amdhsa_dx10_clamp 1
		.amdhsa_ieee_mode 1
		.amdhsa_fp16_overflow 0
		.amdhsa_tg_split 0
		.amdhsa_exception_fp_ieee_invalid_op 0
		.amdhsa_exception_fp_denorm_src 0
		.amdhsa_exception_fp_ieee_div_zero 0
		.amdhsa_exception_fp_ieee_overflow 0
		.amdhsa_exception_fp_ieee_underflow 0
		.amdhsa_exception_fp_ieee_inexact 0
		.amdhsa_exception_int_div_zero 0
	.end_amdhsa_kernel
	.section	.text._ZN7rocprim17ROCPRIM_400000_NS6detail30init_device_scan_by_key_kernelINS1_19lookback_scan_stateINS0_5tupleIJsbEEELb1ELb1EEEN6thrust23THRUST_200600_302600_NS6detail15normal_iteratorINS8_10device_ptrIiEEEEjNS1_16block_id_wrapperIjLb0EEEEEvT_jjPNSG_10value_typeET0_PNSt15iterator_traitsISJ_E10value_typeEmT1_T2_,"axG",@progbits,_ZN7rocprim17ROCPRIM_400000_NS6detail30init_device_scan_by_key_kernelINS1_19lookback_scan_stateINS0_5tupleIJsbEEELb1ELb1EEEN6thrust23THRUST_200600_302600_NS6detail15normal_iteratorINS8_10device_ptrIiEEEEjNS1_16block_id_wrapperIjLb0EEEEEvT_jjPNSG_10value_typeET0_PNSt15iterator_traitsISJ_E10value_typeEmT1_T2_,comdat
.Lfunc_end1371:
	.size	_ZN7rocprim17ROCPRIM_400000_NS6detail30init_device_scan_by_key_kernelINS1_19lookback_scan_stateINS0_5tupleIJsbEEELb1ELb1EEEN6thrust23THRUST_200600_302600_NS6detail15normal_iteratorINS8_10device_ptrIiEEEEjNS1_16block_id_wrapperIjLb0EEEEEvT_jjPNSG_10value_typeET0_PNSt15iterator_traitsISJ_E10value_typeEmT1_T2_, .Lfunc_end1371-_ZN7rocprim17ROCPRIM_400000_NS6detail30init_device_scan_by_key_kernelINS1_19lookback_scan_stateINS0_5tupleIJsbEEELb1ELb1EEEN6thrust23THRUST_200600_302600_NS6detail15normal_iteratorINS8_10device_ptrIiEEEEjNS1_16block_id_wrapperIjLb0EEEEEvT_jjPNSG_10value_typeET0_PNSt15iterator_traitsISJ_E10value_typeEmT1_T2_
                                        ; -- End function
	.section	.AMDGPU.csdata,"",@progbits
; Kernel info:
; codeLenInByte = 488
; NumSgprs: 24
; NumVgprs: 7
; NumAgprs: 0
; TotalNumVgprs: 7
; ScratchSize: 0
; MemoryBound: 0
; FloatMode: 240
; IeeeMode: 1
; LDSByteSize: 0 bytes/workgroup (compile time only)
; SGPRBlocks: 2
; VGPRBlocks: 0
; NumSGPRsForWavesPerEU: 24
; NumVGPRsForWavesPerEU: 7
; AccumOffset: 8
; Occupancy: 8
; WaveLimiterHint : 0
; COMPUTE_PGM_RSRC2:SCRATCH_EN: 0
; COMPUTE_PGM_RSRC2:USER_SGPR: 2
; COMPUTE_PGM_RSRC2:TRAP_HANDLER: 0
; COMPUTE_PGM_RSRC2:TGID_X_EN: 1
; COMPUTE_PGM_RSRC2:TGID_Y_EN: 0
; COMPUTE_PGM_RSRC2:TGID_Z_EN: 0
; COMPUTE_PGM_RSRC2:TIDIG_COMP_CNT: 0
; COMPUTE_PGM_RSRC3_GFX90A:ACCUM_OFFSET: 1
; COMPUTE_PGM_RSRC3_GFX90A:TG_SPLIT: 0
	.section	.text._ZN7rocprim17ROCPRIM_400000_NS6detail17trampoline_kernelINS0_14default_configENS1_27scan_by_key_config_selectorIisEEZZNS1_16scan_by_key_implILNS1_25lookback_scan_determinismE0ELb0ES3_N6thrust23THRUST_200600_302600_NS6detail15normal_iteratorINS9_10device_ptrIiEEEENSB_INSC_IsEEEESG_sNS9_4plusIvEENS9_8equal_toIvEEsEE10hipError_tPvRmT2_T3_T4_T5_mT6_T7_P12ihipStream_tbENKUlT_T0_E_clISt17integral_constantIbLb1EES10_IbLb0EEEEDaSW_SX_EUlSW_E_NS1_11comp_targetILNS1_3genE0ELNS1_11target_archE4294967295ELNS1_3gpuE0ELNS1_3repE0EEENS1_30default_config_static_selectorELNS0_4arch9wavefront6targetE1EEEvT1_,"axG",@progbits,_ZN7rocprim17ROCPRIM_400000_NS6detail17trampoline_kernelINS0_14default_configENS1_27scan_by_key_config_selectorIisEEZZNS1_16scan_by_key_implILNS1_25lookback_scan_determinismE0ELb0ES3_N6thrust23THRUST_200600_302600_NS6detail15normal_iteratorINS9_10device_ptrIiEEEENSB_INSC_IsEEEESG_sNS9_4plusIvEENS9_8equal_toIvEEsEE10hipError_tPvRmT2_T3_T4_T5_mT6_T7_P12ihipStream_tbENKUlT_T0_E_clISt17integral_constantIbLb1EES10_IbLb0EEEEDaSW_SX_EUlSW_E_NS1_11comp_targetILNS1_3genE0ELNS1_11target_archE4294967295ELNS1_3gpuE0ELNS1_3repE0EEENS1_30default_config_static_selectorELNS0_4arch9wavefront6targetE1EEEvT1_,comdat
	.protected	_ZN7rocprim17ROCPRIM_400000_NS6detail17trampoline_kernelINS0_14default_configENS1_27scan_by_key_config_selectorIisEEZZNS1_16scan_by_key_implILNS1_25lookback_scan_determinismE0ELb0ES3_N6thrust23THRUST_200600_302600_NS6detail15normal_iteratorINS9_10device_ptrIiEEEENSB_INSC_IsEEEESG_sNS9_4plusIvEENS9_8equal_toIvEEsEE10hipError_tPvRmT2_T3_T4_T5_mT6_T7_P12ihipStream_tbENKUlT_T0_E_clISt17integral_constantIbLb1EES10_IbLb0EEEEDaSW_SX_EUlSW_E_NS1_11comp_targetILNS1_3genE0ELNS1_11target_archE4294967295ELNS1_3gpuE0ELNS1_3repE0EEENS1_30default_config_static_selectorELNS0_4arch9wavefront6targetE1EEEvT1_ ; -- Begin function _ZN7rocprim17ROCPRIM_400000_NS6detail17trampoline_kernelINS0_14default_configENS1_27scan_by_key_config_selectorIisEEZZNS1_16scan_by_key_implILNS1_25lookback_scan_determinismE0ELb0ES3_N6thrust23THRUST_200600_302600_NS6detail15normal_iteratorINS9_10device_ptrIiEEEENSB_INSC_IsEEEESG_sNS9_4plusIvEENS9_8equal_toIvEEsEE10hipError_tPvRmT2_T3_T4_T5_mT6_T7_P12ihipStream_tbENKUlT_T0_E_clISt17integral_constantIbLb1EES10_IbLb0EEEEDaSW_SX_EUlSW_E_NS1_11comp_targetILNS1_3genE0ELNS1_11target_archE4294967295ELNS1_3gpuE0ELNS1_3repE0EEENS1_30default_config_static_selectorELNS0_4arch9wavefront6targetE1EEEvT1_
	.globl	_ZN7rocprim17ROCPRIM_400000_NS6detail17trampoline_kernelINS0_14default_configENS1_27scan_by_key_config_selectorIisEEZZNS1_16scan_by_key_implILNS1_25lookback_scan_determinismE0ELb0ES3_N6thrust23THRUST_200600_302600_NS6detail15normal_iteratorINS9_10device_ptrIiEEEENSB_INSC_IsEEEESG_sNS9_4plusIvEENS9_8equal_toIvEEsEE10hipError_tPvRmT2_T3_T4_T5_mT6_T7_P12ihipStream_tbENKUlT_T0_E_clISt17integral_constantIbLb1EES10_IbLb0EEEEDaSW_SX_EUlSW_E_NS1_11comp_targetILNS1_3genE0ELNS1_11target_archE4294967295ELNS1_3gpuE0ELNS1_3repE0EEENS1_30default_config_static_selectorELNS0_4arch9wavefront6targetE1EEEvT1_
	.p2align	8
	.type	_ZN7rocprim17ROCPRIM_400000_NS6detail17trampoline_kernelINS0_14default_configENS1_27scan_by_key_config_selectorIisEEZZNS1_16scan_by_key_implILNS1_25lookback_scan_determinismE0ELb0ES3_N6thrust23THRUST_200600_302600_NS6detail15normal_iteratorINS9_10device_ptrIiEEEENSB_INSC_IsEEEESG_sNS9_4plusIvEENS9_8equal_toIvEEsEE10hipError_tPvRmT2_T3_T4_T5_mT6_T7_P12ihipStream_tbENKUlT_T0_E_clISt17integral_constantIbLb1EES10_IbLb0EEEEDaSW_SX_EUlSW_E_NS1_11comp_targetILNS1_3genE0ELNS1_11target_archE4294967295ELNS1_3gpuE0ELNS1_3repE0EEENS1_30default_config_static_selectorELNS0_4arch9wavefront6targetE1EEEvT1_,@function
_ZN7rocprim17ROCPRIM_400000_NS6detail17trampoline_kernelINS0_14default_configENS1_27scan_by_key_config_selectorIisEEZZNS1_16scan_by_key_implILNS1_25lookback_scan_determinismE0ELb0ES3_N6thrust23THRUST_200600_302600_NS6detail15normal_iteratorINS9_10device_ptrIiEEEENSB_INSC_IsEEEESG_sNS9_4plusIvEENS9_8equal_toIvEEsEE10hipError_tPvRmT2_T3_T4_T5_mT6_T7_P12ihipStream_tbENKUlT_T0_E_clISt17integral_constantIbLb1EES10_IbLb0EEEEDaSW_SX_EUlSW_E_NS1_11comp_targetILNS1_3genE0ELNS1_11target_archE4294967295ELNS1_3gpuE0ELNS1_3repE0EEENS1_30default_config_static_selectorELNS0_4arch9wavefront6targetE1EEEvT1_: ; @_ZN7rocprim17ROCPRIM_400000_NS6detail17trampoline_kernelINS0_14default_configENS1_27scan_by_key_config_selectorIisEEZZNS1_16scan_by_key_implILNS1_25lookback_scan_determinismE0ELb0ES3_N6thrust23THRUST_200600_302600_NS6detail15normal_iteratorINS9_10device_ptrIiEEEENSB_INSC_IsEEEESG_sNS9_4plusIvEENS9_8equal_toIvEEsEE10hipError_tPvRmT2_T3_T4_T5_mT6_T7_P12ihipStream_tbENKUlT_T0_E_clISt17integral_constantIbLb1EES10_IbLb0EEEEDaSW_SX_EUlSW_E_NS1_11comp_targetILNS1_3genE0ELNS1_11target_archE4294967295ELNS1_3gpuE0ELNS1_3repE0EEENS1_30default_config_static_selectorELNS0_4arch9wavefront6targetE1EEEvT1_
; %bb.0:
	.section	.rodata,"a",@progbits
	.p2align	6, 0x0
	.amdhsa_kernel _ZN7rocprim17ROCPRIM_400000_NS6detail17trampoline_kernelINS0_14default_configENS1_27scan_by_key_config_selectorIisEEZZNS1_16scan_by_key_implILNS1_25lookback_scan_determinismE0ELb0ES3_N6thrust23THRUST_200600_302600_NS6detail15normal_iteratorINS9_10device_ptrIiEEEENSB_INSC_IsEEEESG_sNS9_4plusIvEENS9_8equal_toIvEEsEE10hipError_tPvRmT2_T3_T4_T5_mT6_T7_P12ihipStream_tbENKUlT_T0_E_clISt17integral_constantIbLb1EES10_IbLb0EEEEDaSW_SX_EUlSW_E_NS1_11comp_targetILNS1_3genE0ELNS1_11target_archE4294967295ELNS1_3gpuE0ELNS1_3repE0EEENS1_30default_config_static_selectorELNS0_4arch9wavefront6targetE1EEEvT1_
		.amdhsa_group_segment_fixed_size 0
		.amdhsa_private_segment_fixed_size 0
		.amdhsa_kernarg_size 112
		.amdhsa_user_sgpr_count 2
		.amdhsa_user_sgpr_dispatch_ptr 0
		.amdhsa_user_sgpr_queue_ptr 0
		.amdhsa_user_sgpr_kernarg_segment_ptr 1
		.amdhsa_user_sgpr_dispatch_id 0
		.amdhsa_user_sgpr_kernarg_preload_length 0
		.amdhsa_user_sgpr_kernarg_preload_offset 0
		.amdhsa_user_sgpr_private_segment_size 0
		.amdhsa_uses_dynamic_stack 0
		.amdhsa_enable_private_segment 0
		.amdhsa_system_sgpr_workgroup_id_x 1
		.amdhsa_system_sgpr_workgroup_id_y 0
		.amdhsa_system_sgpr_workgroup_id_z 0
		.amdhsa_system_sgpr_workgroup_info 0
		.amdhsa_system_vgpr_workitem_id 0
		.amdhsa_next_free_vgpr 1
		.amdhsa_next_free_sgpr 0
		.amdhsa_accum_offset 4
		.amdhsa_reserve_vcc 0
		.amdhsa_float_round_mode_32 0
		.amdhsa_float_round_mode_16_64 0
		.amdhsa_float_denorm_mode_32 3
		.amdhsa_float_denorm_mode_16_64 3
		.amdhsa_dx10_clamp 1
		.amdhsa_ieee_mode 1
		.amdhsa_fp16_overflow 0
		.amdhsa_tg_split 0
		.amdhsa_exception_fp_ieee_invalid_op 0
		.amdhsa_exception_fp_denorm_src 0
		.amdhsa_exception_fp_ieee_div_zero 0
		.amdhsa_exception_fp_ieee_overflow 0
		.amdhsa_exception_fp_ieee_underflow 0
		.amdhsa_exception_fp_ieee_inexact 0
		.amdhsa_exception_int_div_zero 0
	.end_amdhsa_kernel
	.section	.text._ZN7rocprim17ROCPRIM_400000_NS6detail17trampoline_kernelINS0_14default_configENS1_27scan_by_key_config_selectorIisEEZZNS1_16scan_by_key_implILNS1_25lookback_scan_determinismE0ELb0ES3_N6thrust23THRUST_200600_302600_NS6detail15normal_iteratorINS9_10device_ptrIiEEEENSB_INSC_IsEEEESG_sNS9_4plusIvEENS9_8equal_toIvEEsEE10hipError_tPvRmT2_T3_T4_T5_mT6_T7_P12ihipStream_tbENKUlT_T0_E_clISt17integral_constantIbLb1EES10_IbLb0EEEEDaSW_SX_EUlSW_E_NS1_11comp_targetILNS1_3genE0ELNS1_11target_archE4294967295ELNS1_3gpuE0ELNS1_3repE0EEENS1_30default_config_static_selectorELNS0_4arch9wavefront6targetE1EEEvT1_,"axG",@progbits,_ZN7rocprim17ROCPRIM_400000_NS6detail17trampoline_kernelINS0_14default_configENS1_27scan_by_key_config_selectorIisEEZZNS1_16scan_by_key_implILNS1_25lookback_scan_determinismE0ELb0ES3_N6thrust23THRUST_200600_302600_NS6detail15normal_iteratorINS9_10device_ptrIiEEEENSB_INSC_IsEEEESG_sNS9_4plusIvEENS9_8equal_toIvEEsEE10hipError_tPvRmT2_T3_T4_T5_mT6_T7_P12ihipStream_tbENKUlT_T0_E_clISt17integral_constantIbLb1EES10_IbLb0EEEEDaSW_SX_EUlSW_E_NS1_11comp_targetILNS1_3genE0ELNS1_11target_archE4294967295ELNS1_3gpuE0ELNS1_3repE0EEENS1_30default_config_static_selectorELNS0_4arch9wavefront6targetE1EEEvT1_,comdat
.Lfunc_end1372:
	.size	_ZN7rocprim17ROCPRIM_400000_NS6detail17trampoline_kernelINS0_14default_configENS1_27scan_by_key_config_selectorIisEEZZNS1_16scan_by_key_implILNS1_25lookback_scan_determinismE0ELb0ES3_N6thrust23THRUST_200600_302600_NS6detail15normal_iteratorINS9_10device_ptrIiEEEENSB_INSC_IsEEEESG_sNS9_4plusIvEENS9_8equal_toIvEEsEE10hipError_tPvRmT2_T3_T4_T5_mT6_T7_P12ihipStream_tbENKUlT_T0_E_clISt17integral_constantIbLb1EES10_IbLb0EEEEDaSW_SX_EUlSW_E_NS1_11comp_targetILNS1_3genE0ELNS1_11target_archE4294967295ELNS1_3gpuE0ELNS1_3repE0EEENS1_30default_config_static_selectorELNS0_4arch9wavefront6targetE1EEEvT1_, .Lfunc_end1372-_ZN7rocprim17ROCPRIM_400000_NS6detail17trampoline_kernelINS0_14default_configENS1_27scan_by_key_config_selectorIisEEZZNS1_16scan_by_key_implILNS1_25lookback_scan_determinismE0ELb0ES3_N6thrust23THRUST_200600_302600_NS6detail15normal_iteratorINS9_10device_ptrIiEEEENSB_INSC_IsEEEESG_sNS9_4plusIvEENS9_8equal_toIvEEsEE10hipError_tPvRmT2_T3_T4_T5_mT6_T7_P12ihipStream_tbENKUlT_T0_E_clISt17integral_constantIbLb1EES10_IbLb0EEEEDaSW_SX_EUlSW_E_NS1_11comp_targetILNS1_3genE0ELNS1_11target_archE4294967295ELNS1_3gpuE0ELNS1_3repE0EEENS1_30default_config_static_selectorELNS0_4arch9wavefront6targetE1EEEvT1_
                                        ; -- End function
	.section	.AMDGPU.csdata,"",@progbits
; Kernel info:
; codeLenInByte = 0
; NumSgprs: 6
; NumVgprs: 0
; NumAgprs: 0
; TotalNumVgprs: 0
; ScratchSize: 0
; MemoryBound: 0
; FloatMode: 240
; IeeeMode: 1
; LDSByteSize: 0 bytes/workgroup (compile time only)
; SGPRBlocks: 0
; VGPRBlocks: 0
; NumSGPRsForWavesPerEU: 6
; NumVGPRsForWavesPerEU: 1
; AccumOffset: 4
; Occupancy: 8
; WaveLimiterHint : 0
; COMPUTE_PGM_RSRC2:SCRATCH_EN: 0
; COMPUTE_PGM_RSRC2:USER_SGPR: 2
; COMPUTE_PGM_RSRC2:TRAP_HANDLER: 0
; COMPUTE_PGM_RSRC2:TGID_X_EN: 1
; COMPUTE_PGM_RSRC2:TGID_Y_EN: 0
; COMPUTE_PGM_RSRC2:TGID_Z_EN: 0
; COMPUTE_PGM_RSRC2:TIDIG_COMP_CNT: 0
; COMPUTE_PGM_RSRC3_GFX90A:ACCUM_OFFSET: 0
; COMPUTE_PGM_RSRC3_GFX90A:TG_SPLIT: 0
	.section	.text._ZN7rocprim17ROCPRIM_400000_NS6detail17trampoline_kernelINS0_14default_configENS1_27scan_by_key_config_selectorIisEEZZNS1_16scan_by_key_implILNS1_25lookback_scan_determinismE0ELb0ES3_N6thrust23THRUST_200600_302600_NS6detail15normal_iteratorINS9_10device_ptrIiEEEENSB_INSC_IsEEEESG_sNS9_4plusIvEENS9_8equal_toIvEEsEE10hipError_tPvRmT2_T3_T4_T5_mT6_T7_P12ihipStream_tbENKUlT_T0_E_clISt17integral_constantIbLb1EES10_IbLb0EEEEDaSW_SX_EUlSW_E_NS1_11comp_targetILNS1_3genE10ELNS1_11target_archE1201ELNS1_3gpuE5ELNS1_3repE0EEENS1_30default_config_static_selectorELNS0_4arch9wavefront6targetE1EEEvT1_,"axG",@progbits,_ZN7rocprim17ROCPRIM_400000_NS6detail17trampoline_kernelINS0_14default_configENS1_27scan_by_key_config_selectorIisEEZZNS1_16scan_by_key_implILNS1_25lookback_scan_determinismE0ELb0ES3_N6thrust23THRUST_200600_302600_NS6detail15normal_iteratorINS9_10device_ptrIiEEEENSB_INSC_IsEEEESG_sNS9_4plusIvEENS9_8equal_toIvEEsEE10hipError_tPvRmT2_T3_T4_T5_mT6_T7_P12ihipStream_tbENKUlT_T0_E_clISt17integral_constantIbLb1EES10_IbLb0EEEEDaSW_SX_EUlSW_E_NS1_11comp_targetILNS1_3genE10ELNS1_11target_archE1201ELNS1_3gpuE5ELNS1_3repE0EEENS1_30default_config_static_selectorELNS0_4arch9wavefront6targetE1EEEvT1_,comdat
	.protected	_ZN7rocprim17ROCPRIM_400000_NS6detail17trampoline_kernelINS0_14default_configENS1_27scan_by_key_config_selectorIisEEZZNS1_16scan_by_key_implILNS1_25lookback_scan_determinismE0ELb0ES3_N6thrust23THRUST_200600_302600_NS6detail15normal_iteratorINS9_10device_ptrIiEEEENSB_INSC_IsEEEESG_sNS9_4plusIvEENS9_8equal_toIvEEsEE10hipError_tPvRmT2_T3_T4_T5_mT6_T7_P12ihipStream_tbENKUlT_T0_E_clISt17integral_constantIbLb1EES10_IbLb0EEEEDaSW_SX_EUlSW_E_NS1_11comp_targetILNS1_3genE10ELNS1_11target_archE1201ELNS1_3gpuE5ELNS1_3repE0EEENS1_30default_config_static_selectorELNS0_4arch9wavefront6targetE1EEEvT1_ ; -- Begin function _ZN7rocprim17ROCPRIM_400000_NS6detail17trampoline_kernelINS0_14default_configENS1_27scan_by_key_config_selectorIisEEZZNS1_16scan_by_key_implILNS1_25lookback_scan_determinismE0ELb0ES3_N6thrust23THRUST_200600_302600_NS6detail15normal_iteratorINS9_10device_ptrIiEEEENSB_INSC_IsEEEESG_sNS9_4plusIvEENS9_8equal_toIvEEsEE10hipError_tPvRmT2_T3_T4_T5_mT6_T7_P12ihipStream_tbENKUlT_T0_E_clISt17integral_constantIbLb1EES10_IbLb0EEEEDaSW_SX_EUlSW_E_NS1_11comp_targetILNS1_3genE10ELNS1_11target_archE1201ELNS1_3gpuE5ELNS1_3repE0EEENS1_30default_config_static_selectorELNS0_4arch9wavefront6targetE1EEEvT1_
	.globl	_ZN7rocprim17ROCPRIM_400000_NS6detail17trampoline_kernelINS0_14default_configENS1_27scan_by_key_config_selectorIisEEZZNS1_16scan_by_key_implILNS1_25lookback_scan_determinismE0ELb0ES3_N6thrust23THRUST_200600_302600_NS6detail15normal_iteratorINS9_10device_ptrIiEEEENSB_INSC_IsEEEESG_sNS9_4plusIvEENS9_8equal_toIvEEsEE10hipError_tPvRmT2_T3_T4_T5_mT6_T7_P12ihipStream_tbENKUlT_T0_E_clISt17integral_constantIbLb1EES10_IbLb0EEEEDaSW_SX_EUlSW_E_NS1_11comp_targetILNS1_3genE10ELNS1_11target_archE1201ELNS1_3gpuE5ELNS1_3repE0EEENS1_30default_config_static_selectorELNS0_4arch9wavefront6targetE1EEEvT1_
	.p2align	8
	.type	_ZN7rocprim17ROCPRIM_400000_NS6detail17trampoline_kernelINS0_14default_configENS1_27scan_by_key_config_selectorIisEEZZNS1_16scan_by_key_implILNS1_25lookback_scan_determinismE0ELb0ES3_N6thrust23THRUST_200600_302600_NS6detail15normal_iteratorINS9_10device_ptrIiEEEENSB_INSC_IsEEEESG_sNS9_4plusIvEENS9_8equal_toIvEEsEE10hipError_tPvRmT2_T3_T4_T5_mT6_T7_P12ihipStream_tbENKUlT_T0_E_clISt17integral_constantIbLb1EES10_IbLb0EEEEDaSW_SX_EUlSW_E_NS1_11comp_targetILNS1_3genE10ELNS1_11target_archE1201ELNS1_3gpuE5ELNS1_3repE0EEENS1_30default_config_static_selectorELNS0_4arch9wavefront6targetE1EEEvT1_,@function
_ZN7rocprim17ROCPRIM_400000_NS6detail17trampoline_kernelINS0_14default_configENS1_27scan_by_key_config_selectorIisEEZZNS1_16scan_by_key_implILNS1_25lookback_scan_determinismE0ELb0ES3_N6thrust23THRUST_200600_302600_NS6detail15normal_iteratorINS9_10device_ptrIiEEEENSB_INSC_IsEEEESG_sNS9_4plusIvEENS9_8equal_toIvEEsEE10hipError_tPvRmT2_T3_T4_T5_mT6_T7_P12ihipStream_tbENKUlT_T0_E_clISt17integral_constantIbLb1EES10_IbLb0EEEEDaSW_SX_EUlSW_E_NS1_11comp_targetILNS1_3genE10ELNS1_11target_archE1201ELNS1_3gpuE5ELNS1_3repE0EEENS1_30default_config_static_selectorELNS0_4arch9wavefront6targetE1EEEvT1_: ; @_ZN7rocprim17ROCPRIM_400000_NS6detail17trampoline_kernelINS0_14default_configENS1_27scan_by_key_config_selectorIisEEZZNS1_16scan_by_key_implILNS1_25lookback_scan_determinismE0ELb0ES3_N6thrust23THRUST_200600_302600_NS6detail15normal_iteratorINS9_10device_ptrIiEEEENSB_INSC_IsEEEESG_sNS9_4plusIvEENS9_8equal_toIvEEsEE10hipError_tPvRmT2_T3_T4_T5_mT6_T7_P12ihipStream_tbENKUlT_T0_E_clISt17integral_constantIbLb1EES10_IbLb0EEEEDaSW_SX_EUlSW_E_NS1_11comp_targetILNS1_3genE10ELNS1_11target_archE1201ELNS1_3gpuE5ELNS1_3repE0EEENS1_30default_config_static_selectorELNS0_4arch9wavefront6targetE1EEEvT1_
; %bb.0:
	.section	.rodata,"a",@progbits
	.p2align	6, 0x0
	.amdhsa_kernel _ZN7rocprim17ROCPRIM_400000_NS6detail17trampoline_kernelINS0_14default_configENS1_27scan_by_key_config_selectorIisEEZZNS1_16scan_by_key_implILNS1_25lookback_scan_determinismE0ELb0ES3_N6thrust23THRUST_200600_302600_NS6detail15normal_iteratorINS9_10device_ptrIiEEEENSB_INSC_IsEEEESG_sNS9_4plusIvEENS9_8equal_toIvEEsEE10hipError_tPvRmT2_T3_T4_T5_mT6_T7_P12ihipStream_tbENKUlT_T0_E_clISt17integral_constantIbLb1EES10_IbLb0EEEEDaSW_SX_EUlSW_E_NS1_11comp_targetILNS1_3genE10ELNS1_11target_archE1201ELNS1_3gpuE5ELNS1_3repE0EEENS1_30default_config_static_selectorELNS0_4arch9wavefront6targetE1EEEvT1_
		.amdhsa_group_segment_fixed_size 0
		.amdhsa_private_segment_fixed_size 0
		.amdhsa_kernarg_size 112
		.amdhsa_user_sgpr_count 2
		.amdhsa_user_sgpr_dispatch_ptr 0
		.amdhsa_user_sgpr_queue_ptr 0
		.amdhsa_user_sgpr_kernarg_segment_ptr 1
		.amdhsa_user_sgpr_dispatch_id 0
		.amdhsa_user_sgpr_kernarg_preload_length 0
		.amdhsa_user_sgpr_kernarg_preload_offset 0
		.amdhsa_user_sgpr_private_segment_size 0
		.amdhsa_uses_dynamic_stack 0
		.amdhsa_enable_private_segment 0
		.amdhsa_system_sgpr_workgroup_id_x 1
		.amdhsa_system_sgpr_workgroup_id_y 0
		.amdhsa_system_sgpr_workgroup_id_z 0
		.amdhsa_system_sgpr_workgroup_info 0
		.amdhsa_system_vgpr_workitem_id 0
		.amdhsa_next_free_vgpr 1
		.amdhsa_next_free_sgpr 0
		.amdhsa_accum_offset 4
		.amdhsa_reserve_vcc 0
		.amdhsa_float_round_mode_32 0
		.amdhsa_float_round_mode_16_64 0
		.amdhsa_float_denorm_mode_32 3
		.amdhsa_float_denorm_mode_16_64 3
		.amdhsa_dx10_clamp 1
		.amdhsa_ieee_mode 1
		.amdhsa_fp16_overflow 0
		.amdhsa_tg_split 0
		.amdhsa_exception_fp_ieee_invalid_op 0
		.amdhsa_exception_fp_denorm_src 0
		.amdhsa_exception_fp_ieee_div_zero 0
		.amdhsa_exception_fp_ieee_overflow 0
		.amdhsa_exception_fp_ieee_underflow 0
		.amdhsa_exception_fp_ieee_inexact 0
		.amdhsa_exception_int_div_zero 0
	.end_amdhsa_kernel
	.section	.text._ZN7rocprim17ROCPRIM_400000_NS6detail17trampoline_kernelINS0_14default_configENS1_27scan_by_key_config_selectorIisEEZZNS1_16scan_by_key_implILNS1_25lookback_scan_determinismE0ELb0ES3_N6thrust23THRUST_200600_302600_NS6detail15normal_iteratorINS9_10device_ptrIiEEEENSB_INSC_IsEEEESG_sNS9_4plusIvEENS9_8equal_toIvEEsEE10hipError_tPvRmT2_T3_T4_T5_mT6_T7_P12ihipStream_tbENKUlT_T0_E_clISt17integral_constantIbLb1EES10_IbLb0EEEEDaSW_SX_EUlSW_E_NS1_11comp_targetILNS1_3genE10ELNS1_11target_archE1201ELNS1_3gpuE5ELNS1_3repE0EEENS1_30default_config_static_selectorELNS0_4arch9wavefront6targetE1EEEvT1_,"axG",@progbits,_ZN7rocprim17ROCPRIM_400000_NS6detail17trampoline_kernelINS0_14default_configENS1_27scan_by_key_config_selectorIisEEZZNS1_16scan_by_key_implILNS1_25lookback_scan_determinismE0ELb0ES3_N6thrust23THRUST_200600_302600_NS6detail15normal_iteratorINS9_10device_ptrIiEEEENSB_INSC_IsEEEESG_sNS9_4plusIvEENS9_8equal_toIvEEsEE10hipError_tPvRmT2_T3_T4_T5_mT6_T7_P12ihipStream_tbENKUlT_T0_E_clISt17integral_constantIbLb1EES10_IbLb0EEEEDaSW_SX_EUlSW_E_NS1_11comp_targetILNS1_3genE10ELNS1_11target_archE1201ELNS1_3gpuE5ELNS1_3repE0EEENS1_30default_config_static_selectorELNS0_4arch9wavefront6targetE1EEEvT1_,comdat
.Lfunc_end1373:
	.size	_ZN7rocprim17ROCPRIM_400000_NS6detail17trampoline_kernelINS0_14default_configENS1_27scan_by_key_config_selectorIisEEZZNS1_16scan_by_key_implILNS1_25lookback_scan_determinismE0ELb0ES3_N6thrust23THRUST_200600_302600_NS6detail15normal_iteratorINS9_10device_ptrIiEEEENSB_INSC_IsEEEESG_sNS9_4plusIvEENS9_8equal_toIvEEsEE10hipError_tPvRmT2_T3_T4_T5_mT6_T7_P12ihipStream_tbENKUlT_T0_E_clISt17integral_constantIbLb1EES10_IbLb0EEEEDaSW_SX_EUlSW_E_NS1_11comp_targetILNS1_3genE10ELNS1_11target_archE1201ELNS1_3gpuE5ELNS1_3repE0EEENS1_30default_config_static_selectorELNS0_4arch9wavefront6targetE1EEEvT1_, .Lfunc_end1373-_ZN7rocprim17ROCPRIM_400000_NS6detail17trampoline_kernelINS0_14default_configENS1_27scan_by_key_config_selectorIisEEZZNS1_16scan_by_key_implILNS1_25lookback_scan_determinismE0ELb0ES3_N6thrust23THRUST_200600_302600_NS6detail15normal_iteratorINS9_10device_ptrIiEEEENSB_INSC_IsEEEESG_sNS9_4plusIvEENS9_8equal_toIvEEsEE10hipError_tPvRmT2_T3_T4_T5_mT6_T7_P12ihipStream_tbENKUlT_T0_E_clISt17integral_constantIbLb1EES10_IbLb0EEEEDaSW_SX_EUlSW_E_NS1_11comp_targetILNS1_3genE10ELNS1_11target_archE1201ELNS1_3gpuE5ELNS1_3repE0EEENS1_30default_config_static_selectorELNS0_4arch9wavefront6targetE1EEEvT1_
                                        ; -- End function
	.section	.AMDGPU.csdata,"",@progbits
; Kernel info:
; codeLenInByte = 0
; NumSgprs: 6
; NumVgprs: 0
; NumAgprs: 0
; TotalNumVgprs: 0
; ScratchSize: 0
; MemoryBound: 0
; FloatMode: 240
; IeeeMode: 1
; LDSByteSize: 0 bytes/workgroup (compile time only)
; SGPRBlocks: 0
; VGPRBlocks: 0
; NumSGPRsForWavesPerEU: 6
; NumVGPRsForWavesPerEU: 1
; AccumOffset: 4
; Occupancy: 8
; WaveLimiterHint : 0
; COMPUTE_PGM_RSRC2:SCRATCH_EN: 0
; COMPUTE_PGM_RSRC2:USER_SGPR: 2
; COMPUTE_PGM_RSRC2:TRAP_HANDLER: 0
; COMPUTE_PGM_RSRC2:TGID_X_EN: 1
; COMPUTE_PGM_RSRC2:TGID_Y_EN: 0
; COMPUTE_PGM_RSRC2:TGID_Z_EN: 0
; COMPUTE_PGM_RSRC2:TIDIG_COMP_CNT: 0
; COMPUTE_PGM_RSRC3_GFX90A:ACCUM_OFFSET: 0
; COMPUTE_PGM_RSRC3_GFX90A:TG_SPLIT: 0
	.section	.text._ZN7rocprim17ROCPRIM_400000_NS6detail17trampoline_kernelINS0_14default_configENS1_27scan_by_key_config_selectorIisEEZZNS1_16scan_by_key_implILNS1_25lookback_scan_determinismE0ELb0ES3_N6thrust23THRUST_200600_302600_NS6detail15normal_iteratorINS9_10device_ptrIiEEEENSB_INSC_IsEEEESG_sNS9_4plusIvEENS9_8equal_toIvEEsEE10hipError_tPvRmT2_T3_T4_T5_mT6_T7_P12ihipStream_tbENKUlT_T0_E_clISt17integral_constantIbLb1EES10_IbLb0EEEEDaSW_SX_EUlSW_E_NS1_11comp_targetILNS1_3genE5ELNS1_11target_archE942ELNS1_3gpuE9ELNS1_3repE0EEENS1_30default_config_static_selectorELNS0_4arch9wavefront6targetE1EEEvT1_,"axG",@progbits,_ZN7rocprim17ROCPRIM_400000_NS6detail17trampoline_kernelINS0_14default_configENS1_27scan_by_key_config_selectorIisEEZZNS1_16scan_by_key_implILNS1_25lookback_scan_determinismE0ELb0ES3_N6thrust23THRUST_200600_302600_NS6detail15normal_iteratorINS9_10device_ptrIiEEEENSB_INSC_IsEEEESG_sNS9_4plusIvEENS9_8equal_toIvEEsEE10hipError_tPvRmT2_T3_T4_T5_mT6_T7_P12ihipStream_tbENKUlT_T0_E_clISt17integral_constantIbLb1EES10_IbLb0EEEEDaSW_SX_EUlSW_E_NS1_11comp_targetILNS1_3genE5ELNS1_11target_archE942ELNS1_3gpuE9ELNS1_3repE0EEENS1_30default_config_static_selectorELNS0_4arch9wavefront6targetE1EEEvT1_,comdat
	.protected	_ZN7rocprim17ROCPRIM_400000_NS6detail17trampoline_kernelINS0_14default_configENS1_27scan_by_key_config_selectorIisEEZZNS1_16scan_by_key_implILNS1_25lookback_scan_determinismE0ELb0ES3_N6thrust23THRUST_200600_302600_NS6detail15normal_iteratorINS9_10device_ptrIiEEEENSB_INSC_IsEEEESG_sNS9_4plusIvEENS9_8equal_toIvEEsEE10hipError_tPvRmT2_T3_T4_T5_mT6_T7_P12ihipStream_tbENKUlT_T0_E_clISt17integral_constantIbLb1EES10_IbLb0EEEEDaSW_SX_EUlSW_E_NS1_11comp_targetILNS1_3genE5ELNS1_11target_archE942ELNS1_3gpuE9ELNS1_3repE0EEENS1_30default_config_static_selectorELNS0_4arch9wavefront6targetE1EEEvT1_ ; -- Begin function _ZN7rocprim17ROCPRIM_400000_NS6detail17trampoline_kernelINS0_14default_configENS1_27scan_by_key_config_selectorIisEEZZNS1_16scan_by_key_implILNS1_25lookback_scan_determinismE0ELb0ES3_N6thrust23THRUST_200600_302600_NS6detail15normal_iteratorINS9_10device_ptrIiEEEENSB_INSC_IsEEEESG_sNS9_4plusIvEENS9_8equal_toIvEEsEE10hipError_tPvRmT2_T3_T4_T5_mT6_T7_P12ihipStream_tbENKUlT_T0_E_clISt17integral_constantIbLb1EES10_IbLb0EEEEDaSW_SX_EUlSW_E_NS1_11comp_targetILNS1_3genE5ELNS1_11target_archE942ELNS1_3gpuE9ELNS1_3repE0EEENS1_30default_config_static_selectorELNS0_4arch9wavefront6targetE1EEEvT1_
	.globl	_ZN7rocprim17ROCPRIM_400000_NS6detail17trampoline_kernelINS0_14default_configENS1_27scan_by_key_config_selectorIisEEZZNS1_16scan_by_key_implILNS1_25lookback_scan_determinismE0ELb0ES3_N6thrust23THRUST_200600_302600_NS6detail15normal_iteratorINS9_10device_ptrIiEEEENSB_INSC_IsEEEESG_sNS9_4plusIvEENS9_8equal_toIvEEsEE10hipError_tPvRmT2_T3_T4_T5_mT6_T7_P12ihipStream_tbENKUlT_T0_E_clISt17integral_constantIbLb1EES10_IbLb0EEEEDaSW_SX_EUlSW_E_NS1_11comp_targetILNS1_3genE5ELNS1_11target_archE942ELNS1_3gpuE9ELNS1_3repE0EEENS1_30default_config_static_selectorELNS0_4arch9wavefront6targetE1EEEvT1_
	.p2align	8
	.type	_ZN7rocprim17ROCPRIM_400000_NS6detail17trampoline_kernelINS0_14default_configENS1_27scan_by_key_config_selectorIisEEZZNS1_16scan_by_key_implILNS1_25lookback_scan_determinismE0ELb0ES3_N6thrust23THRUST_200600_302600_NS6detail15normal_iteratorINS9_10device_ptrIiEEEENSB_INSC_IsEEEESG_sNS9_4plusIvEENS9_8equal_toIvEEsEE10hipError_tPvRmT2_T3_T4_T5_mT6_T7_P12ihipStream_tbENKUlT_T0_E_clISt17integral_constantIbLb1EES10_IbLb0EEEEDaSW_SX_EUlSW_E_NS1_11comp_targetILNS1_3genE5ELNS1_11target_archE942ELNS1_3gpuE9ELNS1_3repE0EEENS1_30default_config_static_selectorELNS0_4arch9wavefront6targetE1EEEvT1_,@function
_ZN7rocprim17ROCPRIM_400000_NS6detail17trampoline_kernelINS0_14default_configENS1_27scan_by_key_config_selectorIisEEZZNS1_16scan_by_key_implILNS1_25lookback_scan_determinismE0ELb0ES3_N6thrust23THRUST_200600_302600_NS6detail15normal_iteratorINS9_10device_ptrIiEEEENSB_INSC_IsEEEESG_sNS9_4plusIvEENS9_8equal_toIvEEsEE10hipError_tPvRmT2_T3_T4_T5_mT6_T7_P12ihipStream_tbENKUlT_T0_E_clISt17integral_constantIbLb1EES10_IbLb0EEEEDaSW_SX_EUlSW_E_NS1_11comp_targetILNS1_3genE5ELNS1_11target_archE942ELNS1_3gpuE9ELNS1_3repE0EEENS1_30default_config_static_selectorELNS0_4arch9wavefront6targetE1EEEvT1_: ; @_ZN7rocprim17ROCPRIM_400000_NS6detail17trampoline_kernelINS0_14default_configENS1_27scan_by_key_config_selectorIisEEZZNS1_16scan_by_key_implILNS1_25lookback_scan_determinismE0ELb0ES3_N6thrust23THRUST_200600_302600_NS6detail15normal_iteratorINS9_10device_ptrIiEEEENSB_INSC_IsEEEESG_sNS9_4plusIvEENS9_8equal_toIvEEsEE10hipError_tPvRmT2_T3_T4_T5_mT6_T7_P12ihipStream_tbENKUlT_T0_E_clISt17integral_constantIbLb1EES10_IbLb0EEEEDaSW_SX_EUlSW_E_NS1_11comp_targetILNS1_3genE5ELNS1_11target_archE942ELNS1_3gpuE9ELNS1_3repE0EEENS1_30default_config_static_selectorELNS0_4arch9wavefront6targetE1EEEvT1_
; %bb.0:
	s_load_dwordx8 s[52:59], s[0:1], 0x0
	s_load_dwordx4 s[68:71], s[0:1], 0x28
	s_load_dwordx2 s[74:75], s[0:1], 0x38
	s_load_dword s3, s[0:1], 0x40
	s_load_dwordx8 s[60:67], s[0:1], 0x48
	s_waitcnt lgkmcnt(0)
	s_lshl_b64 s[0:1], s[54:55], 2
	s_add_u32 s8, s52, s0
	s_addc_u32 s9, s53, s1
	s_lshl_b64 s[72:73], s[54:55], 1
	s_add_u32 s10, s56, s72
	s_mul_i32 s0, s75, s3
	s_mul_hi_u32 s1, s74, s3
	s_addc_u32 s11, s57, s73
	s_add_i32 s12, s1, s0
	s_cmp_lg_u64 s[64:65], 0
	s_mul_i32 s0, s2, 0x1800
	s_mov_b32 s1, 0
	s_cselect_b64 s[76:77], -1, 0
	s_lshl_b64 s[4:5], s[0:1], 2
	s_add_u32 s64, s8, s4
	s_addc_u32 s65, s9, s5
	s_lshl_b64 s[56:57], s[0:1], 1
	s_add_u32 s54, s10, s56
	s_mul_i32 s3, s74, s3
	s_addc_u32 s55, s11, s57
	s_add_u32 s78, s3, s2
	s_addc_u32 s79, s12, 0
	s_add_u32 s4, s60, -1
	s_addc_u32 s5, s61, -1
	v_mov_b64_e32 v[2:3], s[4:5]
	v_cmp_ge_u64_e64 s[0:1], s[78:79], v[2:3]
	s_mov_b64 s[6:7], 0
	s_mov_b64 s[28:29], -1
	s_and_b64 vcc, exec, s[0:1]
	s_mul_i32 s33, s4, 0xffffe800
	s_barrier
	s_cbranch_vccz .LBB1374_127
; %bb.1:
	v_mov_b64_e32 v[2:3], s[64:65]
	flat_load_dword v2, v[2:3]
	s_add_i32 s3, s33, s70
	v_cmp_gt_u32_e64 s[52:53], s3, v0
	s_waitcnt vmcnt(0) lgkmcnt(0)
	v_mov_b32_e32 v3, v2
	s_and_saveexec_b64 s[4:5], s[52:53]
	s_cbranch_execz .LBB1374_3
; %bb.2:
	v_lshlrev_b32_e32 v4, 2, v0
	v_mov_b32_e32 v5, 0
	v_lshl_add_u64 v[4:5], s[64:65], 0, v[4:5]
	flat_load_dword v3, v[4:5]
.LBB1374_3:
	s_or_b64 exec, exec, s[4:5]
	v_or_b32_e32 v1, 0x100, v0
	v_cmp_gt_u32_e64 s[4:5], s3, v1
	v_mov_b32_e32 v19, v2
	s_and_saveexec_b64 s[6:7], s[4:5]
	s_cbranch_execz .LBB1374_5
; %bb.4:
	v_lshlrev_b32_e32 v4, 2, v0
	v_mov_b32_e32 v5, 0
	v_lshl_add_u64 v[4:5], s[64:65], 0, v[4:5]
	flat_load_dword v19, v[4:5] offset:1024
.LBB1374_5:
	s_or_b64 exec, exec, s[6:7]
	v_or_b32_e32 v1, 0x200, v0
	v_cmp_gt_u32_e64 s[6:7], s3, v1
	v_mov_b32_e32 v20, v2
	s_and_saveexec_b64 s[8:9], s[6:7]
	s_cbranch_execz .LBB1374_7
; %bb.6:
	v_lshlrev_b32_e32 v4, 2, v0
	v_mov_b32_e32 v5, 0
	v_lshl_add_u64 v[4:5], s[64:65], 0, v[4:5]
	flat_load_dword v20, v[4:5] offset:2048
.LBB1374_7:
	;; [unrolled: 12-line block ×3, first 2 shown]
	s_or_b64 exec, exec, s[10:11]
	v_or_b32_e32 v1, 0x400, v0
	v_cmp_gt_u32_e64 s[10:11], s3, v1
	v_mov_b32_e32 v22, v2
	s_and_saveexec_b64 s[12:13], s[10:11]
	s_cbranch_execz .LBB1374_11
; %bb.10:
	v_lshlrev_b32_e32 v4, 2, v1
	v_mov_b32_e32 v5, 0
	v_lshl_add_u64 v[4:5], s[64:65], 0, v[4:5]
	flat_load_dword v22, v[4:5]
.LBB1374_11:
	s_or_b64 exec, exec, s[12:13]
	v_or_b32_e32 v1, 0x500, v0
	v_cmp_gt_u32_e64 s[12:13], s3, v1
	v_mov_b32_e32 v23, v2
	s_and_saveexec_b64 s[14:15], s[12:13]
	s_cbranch_execz .LBB1374_13
; %bb.12:
	v_lshlrev_b32_e32 v4, 2, v1
	v_mov_b32_e32 v5, 0
	v_lshl_add_u64 v[4:5], s[64:65], 0, v[4:5]
	flat_load_dword v23, v[4:5]
.LBB1374_13:
	;; [unrolled: 12-line block ×19, first 2 shown]
	s_or_b64 exec, exec, s[50:51]
	v_or_b32_e32 v18, 0x1700, v0
	v_cmp_gt_u32_e64 s[50:51], s3, v18
	s_and_saveexec_b64 s[60:61], s[50:51]
	s_cbranch_execz .LBB1374_49
; %bb.48:
	v_lshlrev_b32_e32 v42, 2, v18
	v_mov_b32_e32 v43, 0
	v_lshl_add_u64 v[42:43], s[64:65], 0, v[42:43]
	flat_load_dword v2, v[42:43]
.LBB1374_49:
	s_or_b64 exec, exec, s[60:61]
	v_lshlrev_b32_e32 v41, 2, v0
	s_movk_i32 s60, 0x5c
	s_waitcnt vmcnt(0) lgkmcnt(0)
	ds_write2st64_b32 v41, v3, v19 offset1:4
	ds_write2st64_b32 v41, v20, v21 offset0:8 offset1:12
	ds_write2st64_b32 v41, v22, v23 offset0:16 offset1:20
	ds_write2st64_b32 v41, v24, v25 offset0:24 offset1:28
	ds_write2st64_b32 v41, v26, v27 offset0:32 offset1:36
	ds_write2st64_b32 v41, v28, v29 offset0:40 offset1:44
	ds_write2st64_b32 v41, v30, v31 offset0:48 offset1:52
	ds_write2st64_b32 v41, v32, v33 offset0:56 offset1:60
	ds_write2st64_b32 v41, v34, v35 offset0:64 offset1:68
	ds_write2st64_b32 v41, v36, v37 offset0:72 offset1:76
	ds_write2st64_b32 v41, v38, v39 offset0:80 offset1:84
	ds_write2st64_b32 v41, v40, v2 offset0:88 offset1:92
	v_mad_u32_u24 v2, v0, s60, v41
	s_waitcnt lgkmcnt(0)
	s_barrier
	ds_read_b128 v[42:45], v2
	ds_read_b128 v[38:41], v2 offset:16
	ds_read_b128 v[34:37], v2 offset:32
	;; [unrolled: 1-line block ×5, first 2 shown]
	s_cmp_eq_u64 s[78:79], 0
	s_mov_b64 s[60:61], s[64:65]
	s_cbranch_scc1 .LBB1374_53
; %bb.50:
	s_andn2_b64 vcc, exec, s[76:77]
	s_cbranch_vccnz .LBB1374_319
; %bb.51:
	s_lshl_b64 s[60:61], s[78:79], 2
	s_add_u32 s60, s66, s60
	s_addc_u32 s61, s67, s61
	s_add_u32 s60, s60, -4
	s_addc_u32 s61, s61, -1
	s_cbranch_execnz .LBB1374_53
.LBB1374_52:
	s_add_u32 s60, s64, -4
	s_addc_u32 s61, s65, -1
.LBB1374_53:
	v_mov_b64_e32 v[20:21], s[60:61]
	flat_load_dword v46, v[20:21]
	s_movk_i32 s60, 0xffa4
	v_mad_i32_i24 v19, v0, s60, v2
	v_cmp_ne_u32_e32 vcc, 0, v0
	s_waitcnt lgkmcnt(0)
	ds_write_b32 v19, v25 offset:24576
	s_waitcnt lgkmcnt(0)
	s_barrier
	s_and_saveexec_b64 s[60:61], vcc
	s_cbranch_execz .LBB1374_55
; %bb.54:
	s_waitcnt vmcnt(0)
	ds_read_b32 v46, v19 offset:24572
.LBB1374_55:
	s_or_b64 exec, exec, s[60:61]
	v_mov_b32_e32 v3, 0
	s_waitcnt lgkmcnt(0)
	s_barrier
	s_waitcnt lgkmcnt(0)
                                        ; implicit-def: $vgpr2
	s_and_saveexec_b64 s[60:61], s[52:53]
	s_cbranch_execnz .LBB1374_296
; %bb.56:
	s_or_b64 exec, exec, s[60:61]
                                        ; implicit-def: $vgpr3
	s_and_saveexec_b64 s[52:53], s[4:5]
	s_cbranch_execnz .LBB1374_297
.LBB1374_57:
	s_or_b64 exec, exec, s[52:53]
                                        ; implicit-def: $vgpr20
	s_and_saveexec_b64 s[4:5], s[6:7]
	s_cbranch_execnz .LBB1374_298
.LBB1374_58:
	s_or_b64 exec, exec, s[4:5]
                                        ; implicit-def: $vgpr21
	s_and_saveexec_b64 s[4:5], s[8:9]
	s_cbranch_execnz .LBB1374_299
.LBB1374_59:
	s_or_b64 exec, exec, s[4:5]
                                        ; implicit-def: $vgpr47
	s_and_saveexec_b64 s[4:5], s[10:11]
	s_cbranch_execnz .LBB1374_300
.LBB1374_60:
	s_or_b64 exec, exec, s[4:5]
                                        ; implicit-def: $vgpr48
	s_and_saveexec_b64 s[4:5], s[12:13]
	s_cbranch_execnz .LBB1374_301
.LBB1374_61:
	s_or_b64 exec, exec, s[4:5]
                                        ; implicit-def: $vgpr49
	s_and_saveexec_b64 s[4:5], s[14:15]
	s_cbranch_execnz .LBB1374_302
.LBB1374_62:
	s_or_b64 exec, exec, s[4:5]
                                        ; implicit-def: $vgpr50
	s_and_saveexec_b64 s[4:5], s[16:17]
	s_cbranch_execnz .LBB1374_303
.LBB1374_63:
	s_or_b64 exec, exec, s[4:5]
                                        ; implicit-def: $vgpr51
	s_and_saveexec_b64 s[4:5], s[18:19]
	s_cbranch_execnz .LBB1374_304
.LBB1374_64:
	s_or_b64 exec, exec, s[4:5]
                                        ; implicit-def: $vgpr1
	s_and_saveexec_b64 s[4:5], s[20:21]
	s_cbranch_execnz .LBB1374_305
.LBB1374_65:
	s_or_b64 exec, exec, s[4:5]
                                        ; implicit-def: $vgpr4
	s_and_saveexec_b64 s[4:5], s[22:23]
	s_cbranch_execnz .LBB1374_306
.LBB1374_66:
	s_or_b64 exec, exec, s[4:5]
                                        ; implicit-def: $vgpr5
	s_and_saveexec_b64 s[4:5], s[24:25]
	s_cbranch_execnz .LBB1374_307
.LBB1374_67:
	s_or_b64 exec, exec, s[4:5]
                                        ; implicit-def: $vgpr6
	s_and_saveexec_b64 s[4:5], s[26:27]
	s_cbranch_execnz .LBB1374_308
.LBB1374_68:
	s_or_b64 exec, exec, s[4:5]
                                        ; implicit-def: $vgpr7
	s_and_saveexec_b64 s[4:5], s[28:29]
	s_cbranch_execnz .LBB1374_309
.LBB1374_69:
	s_or_b64 exec, exec, s[4:5]
                                        ; implicit-def: $vgpr8
	s_and_saveexec_b64 s[4:5], s[30:31]
	s_cbranch_execnz .LBB1374_310
.LBB1374_70:
	s_or_b64 exec, exec, s[4:5]
                                        ; implicit-def: $vgpr9
	s_and_saveexec_b64 s[4:5], s[34:35]
	s_cbranch_execnz .LBB1374_311
.LBB1374_71:
	s_or_b64 exec, exec, s[4:5]
                                        ; implicit-def: $vgpr10
	s_and_saveexec_b64 s[4:5], s[36:37]
	s_cbranch_execnz .LBB1374_312
.LBB1374_72:
	s_or_b64 exec, exec, s[4:5]
                                        ; implicit-def: $vgpr11
	s_and_saveexec_b64 s[4:5], s[38:39]
	s_cbranch_execnz .LBB1374_313
.LBB1374_73:
	s_or_b64 exec, exec, s[4:5]
                                        ; implicit-def: $vgpr12
	s_and_saveexec_b64 s[4:5], s[40:41]
	s_cbranch_execnz .LBB1374_314
.LBB1374_74:
	s_or_b64 exec, exec, s[4:5]
                                        ; implicit-def: $vgpr13
	s_and_saveexec_b64 s[4:5], s[42:43]
	s_cbranch_execnz .LBB1374_315
.LBB1374_75:
	s_or_b64 exec, exec, s[4:5]
                                        ; implicit-def: $vgpr14
	s_and_saveexec_b64 s[4:5], s[44:45]
	s_cbranch_execnz .LBB1374_316
.LBB1374_76:
	s_or_b64 exec, exec, s[4:5]
                                        ; implicit-def: $vgpr15
	s_and_saveexec_b64 s[4:5], s[46:47]
	s_cbranch_execnz .LBB1374_317
.LBB1374_77:
	s_or_b64 exec, exec, s[4:5]
                                        ; implicit-def: $vgpr16
	s_and_saveexec_b64 s[4:5], s[48:49]
	s_cbranch_execnz .LBB1374_318
.LBB1374_78:
	s_or_b64 exec, exec, s[4:5]
                                        ; implicit-def: $vgpr17
	s_and_saveexec_b64 s[4:5], s[50:51]
	s_cbranch_execz .LBB1374_80
.LBB1374_79:
	v_lshlrev_b32_e32 v52, 1, v18
	v_mov_b32_e32 v53, 0
	v_lshl_add_u64 v[52:53], s[54:55], 0, v[52:53]
	flat_load_ushort v17, v[52:53]
.LBB1374_80:
	s_or_b64 exec, exec, s[4:5]
	v_lshlrev_b32_e32 v18, 1, v0
	s_mov_b32 s8, 0
	v_sub_u32_e32 v54, v19, v18
	s_mov_b32 s9, s8
	s_mov_b32 s6, s8
	;; [unrolled: 1-line block ×3, first 2 shown]
	v_mul_u32_u24_e32 v53, 24, v0
	s_waitcnt vmcnt(0) lgkmcnt(0)
	ds_write_b16 v54, v2
	ds_write_b16 v54, v3 offset:512
	ds_write_b16 v54, v20 offset:1024
	;; [unrolled: 1-line block ×23, first 2 shown]
	s_mov_b32 s10, s8
	s_mov_b32 s11, s8
	;; [unrolled: 1-line block ×18, first 2 shown]
	v_mov_b64_e32 v[20:21], s[6:7]
	v_mov_b64_e32 v[2:3], s[8:9]
	v_cmp_gt_u32_e32 vcc, s3, v53
	s_mov_b64 s[28:29], 0
	v_mov_b64_e32 v[50:51], s[24:25]
	v_mov_b64_e32 v[18:19], s[4:5]
	;; [unrolled: 1-line block ×9, first 2 shown]
	v_mov_b32_e32 v1, 0
	s_mov_b64 s[6:7], 0
	s_waitcnt lgkmcnt(0)
	s_barrier
	s_waitcnt lgkmcnt(0)
                                        ; implicit-def: $sgpr4_sgpr5
                                        ; implicit-def: $vgpr52
	s_and_saveexec_b64 s[10:11], vcc
	s_cbranch_execz .LBB1374_126
; %bb.81:
	v_mad_u32_u24 v1, v0, 46, v54
	ds_read_u16 v1, v1
	v_cmp_ne_u32_e32 vcc, v46, v42
	s_mov_b32 s12, 0
	v_or_b32_e32 v2, 1, v53
	v_cndmask_b32_e64 v3, 0, 1, vcc
	s_mov_b32 s13, s12
	s_mov_b32 s6, s12
	s_mov_b32 s7, s12
	v_cmp_gt_u32_e32 vcc, s3, v2
	s_waitcnt lgkmcnt(0)
	v_lshl_or_b32 v1, v3, 16, v1
	s_mov_b32 s14, s12
	s_mov_b32 s15, s12
	;; [unrolled: 1-line block ×18, first 2 shown]
	v_mov_b64_e32 v[20:21], s[6:7]
	v_mov_b64_e32 v[2:3], s[12:13]
	s_mov_b64 s[34:35], 0
	v_mov_b64_e32 v[50:51], s[30:31]
	v_mov_b64_e32 v[18:19], s[4:5]
	;; [unrolled: 1-line block ×9, first 2 shown]
                                        ; implicit-def: $sgpr36_sgpr37
                                        ; implicit-def: $vgpr52
	s_and_saveexec_b64 s[30:31], vcc
	s_cbranch_execz .LBB1374_125
; %bb.82:
	v_mul_u32_u24_e32 v2, 46, v0
	v_add_u32_e32 v54, v54, v2
	ds_read_b128 v[46:49], v54 offset:2
	v_or_b32_e32 v2, 2, v53
	v_cmp_ne_u32_e32 vcc, v42, v43
	v_mov_b64_e32 v[20:21], s[6:7]
	v_mov_b32_e32 v51, 0
	v_cndmask_b32_e64 v3, 0, 1, vcc
	v_cmp_gt_u32_e32 vcc, s3, v2
	s_waitcnt lgkmcnt(0)
	v_and_b32_e32 v2, 0xffff, v46
	v_lshl_or_b32 v50, v3, 16, v2
	v_mov_b64_e32 v[2:3], s[12:13]
	v_mov_b64_e32 v[18:19], s[4:5]
	;; [unrolled: 1-line block ×9, first 2 shown]
                                        ; implicit-def: $sgpr12_sgpr13
                                        ; implicit-def: $vgpr52
	s_and_saveexec_b64 s[6:7], vcc
	s_cbranch_execz .LBB1374_124
; %bb.83:
	v_cmp_ne_u32_e32 vcc, v43, v44
	s_mov_b32 s12, 0
	v_or_b32_e32 v2, 3, v53
	v_cndmask_b32_e64 v3, 0, 1, vcc
	s_mov_b32 s13, s12
	s_mov_b32 s36, s12
	;; [unrolled: 1-line block ×3, first 2 shown]
	v_alignbit_b32 v51, v3, v46, 16
	v_cmp_gt_u32_e32 vcc, s3, v2
	s_mov_b32 s14, s12
	s_mov_b32 s15, s12
	;; [unrolled: 1-line block ×16, first 2 shown]
	v_mov_b64_e32 v[18:19], s[36:37]
	v_mov_b64_e32 v[2:3], s[12:13]
	s_mov_b64 s[4:5], 0
	v_mov_b64_e32 v[20:21], s[38:39]
	v_mov_b64_e32 v[4:5], s[14:15]
	;; [unrolled: 1-line block ×8, first 2 shown]
                                        ; implicit-def: $sgpr36_sgpr37
                                        ; implicit-def: $vgpr52
	s_and_saveexec_b64 s[34:35], vcc
	s_cbranch_execz .LBB1374_123
; %bb.84:
	v_cmp_ne_u32_e32 vcc, v44, v45
	v_and_b32_e32 v2, 0xffff, v47
	v_or_b32_e32 v3, 4, v53
	v_cndmask_b32_e64 v4, 0, 1, vcc
	v_lshl_or_b32 v18, v4, 16, v2
	v_cmp_gt_u32_e32 vcc, s3, v3
	v_mov_b32_e32 v20, 0
	v_mov_b64_e32 v[2:3], s[12:13]
	v_mov_b32_e32 v19, v20
	v_mov_b32_e32 v21, v20
	v_mov_b64_e32 v[4:5], s[14:15]
	v_mov_b64_e32 v[6:7], s[16:17]
	v_mov_b64_e32 v[8:9], s[18:19]
	v_mov_b64_e32 v[10:11], s[20:21]
	v_mov_b64_e32 v[12:13], s[22:23]
	v_mov_b64_e32 v[14:15], s[24:25]
	v_mov_b64_e32 v[16:17], s[26:27]
                                        ; implicit-def: $sgpr12_sgpr13
                                        ; implicit-def: $vgpr52
	s_and_saveexec_b64 s[36:37], vcc
	s_cbranch_execz .LBB1374_122
; %bb.85:
	v_cmp_ne_u32_e32 vcc, v45, v38
	s_mov_b32 s12, 0
	v_or_b32_e32 v2, 5, v53
	v_cndmask_b32_e64 v3, 0, 1, vcc
	s_mov_b32 s13, s12
	v_alignbit_b32 v19, v3, v47, 16
	v_cmp_gt_u32_e32 vcc, s3, v2
	s_mov_b32 s14, s12
	s_mov_b32 s15, s12
	;; [unrolled: 1-line block ×14, first 2 shown]
	v_mov_b64_e32 v[2:3], s[12:13]
	v_mov_b32_e32 v21, v20
	v_mov_b64_e32 v[4:5], s[14:15]
	v_mov_b64_e32 v[6:7], s[16:17]
	;; [unrolled: 1-line block ×7, first 2 shown]
                                        ; implicit-def: $sgpr40_sgpr41
                                        ; implicit-def: $vgpr52
	s_and_saveexec_b64 s[38:39], vcc
	s_cbranch_execz .LBB1374_121
; %bb.86:
	v_cmp_ne_u32_e32 vcc, v38, v39
	v_and_b32_e32 v2, 0xffff, v48
	v_or_b32_e32 v3, 6, v53
	v_cndmask_b32_e64 v4, 0, 1, vcc
	v_lshl_or_b32 v20, v4, 16, v2
	v_cmp_gt_u32_e32 vcc, s3, v3
	v_mov_b64_e32 v[2:3], s[12:13]
	v_mov_b32_e32 v21, s12
	v_mov_b64_e32 v[4:5], s[14:15]
	v_mov_b64_e32 v[6:7], s[16:17]
	;; [unrolled: 1-line block ×7, first 2 shown]
                                        ; implicit-def: $sgpr12_sgpr13
                                        ; implicit-def: $vgpr52
	s_and_saveexec_b64 s[40:41], vcc
	s_cbranch_execz .LBB1374_120
; %bb.87:
	v_cmp_ne_u32_e32 vcc, v39, v40
	s_mov_b32 s12, 0
	v_or_b32_e32 v2, 7, v53
	v_cndmask_b32_e64 v3, 0, 1, vcc
	s_mov_b32 s13, s12
	v_alignbit_b32 v21, v3, v48, 16
	v_cmp_gt_u32_e32 vcc, s3, v2
	s_mov_b32 s14, s12
	s_mov_b32 s15, s12
	;; [unrolled: 1-line block ×14, first 2 shown]
	v_mov_b64_e32 v[2:3], s[12:13]
	v_mov_b64_e32 v[4:5], s[14:15]
	;; [unrolled: 1-line block ×8, first 2 shown]
                                        ; implicit-def: $sgpr14_sgpr15
                                        ; implicit-def: $vgpr52
	s_and_saveexec_b64 s[12:13], vcc
	s_cbranch_execz .LBB1374_119
; %bb.88:
	v_cmp_ne_u32_e32 vcc, v40, v41
	v_and_b32_e32 v2, 0xffff, v49
	v_add_u32_e32 v3, 8, v53
	v_cndmask_b32_e64 v4, 0, 1, vcc
	v_lshl_or_b32 v2, v4, 16, v2
	v_mov_b32_e32 v4, 0
	v_cmp_gt_u32_e32 vcc, s3, v3
	v_mov_b32_e32 v3, v4
	v_mov_b32_e32 v5, v4
	;; [unrolled: 1-line block ×14, first 2 shown]
                                        ; implicit-def: $sgpr16_sgpr17
                                        ; implicit-def: $vgpr52
	s_and_saveexec_b64 s[14:15], vcc
	s_cbranch_execz .LBB1374_118
; %bb.89:
	v_cmp_ne_u32_e32 vcc, v41, v34
	v_add_u32_e32 v5, 9, v53
	v_mov_b32_e32 v6, v4
	v_cndmask_b32_e64 v3, 0, 1, vcc
	v_alignbit_b32 v3, v3, v49, 16
	v_cmp_gt_u32_e32 vcc, s3, v5
	v_mov_b32_e32 v5, v4
	v_mov_b32_e32 v7, v4
	;; [unrolled: 1-line block ×12, first 2 shown]
                                        ; implicit-def: $sgpr18_sgpr19
                                        ; implicit-def: $vgpr52
	s_and_saveexec_b64 s[16:17], vcc
	s_cbranch_execz .LBB1374_117
; %bb.90:
	ds_read_b128 v[38:41], v54 offset:18
	v_add_u32_e32 v4, 10, v53
	v_cmp_ne_u32_e32 vcc, v34, v35
	v_mov_b32_e32 v6, 0
	v_mov_b32_e32 v7, v6
	v_cndmask_b32_e64 v5, 0, 1, vcc
	v_cmp_gt_u32_e32 vcc, s3, v4
	s_waitcnt lgkmcnt(0)
	v_and_b32_e32 v4, 0xffff, v38
	v_lshl_or_b32 v4, v5, 16, v4
	v_mov_b32_e32 v5, v6
	v_mov_b32_e32 v8, v6
	;; [unrolled: 1-line block ×11, first 2 shown]
                                        ; implicit-def: $sgpr20_sgpr21
                                        ; implicit-def: $vgpr52
	s_and_saveexec_b64 s[18:19], vcc
	s_cbranch_execz .LBB1374_116
; %bb.91:
	v_cmp_ne_u32_e32 vcc, v35, v36
	v_add_u32_e32 v7, 11, v53
	v_mov_b32_e32 v8, v6
	v_cndmask_b32_e64 v5, 0, 1, vcc
	v_alignbit_b32 v5, v5, v38, 16
	v_cmp_gt_u32_e32 vcc, s3, v7
	v_mov_b32_e32 v7, v6
	v_mov_b32_e32 v9, v6
	;; [unrolled: 1-line block ×10, first 2 shown]
                                        ; implicit-def: $sgpr22_sgpr23
                                        ; implicit-def: $vgpr52
	s_and_saveexec_b64 s[20:21], vcc
	s_cbranch_execz .LBB1374_115
; %bb.92:
	v_cmp_ne_u32_e32 vcc, v36, v37
	v_and_b32_e32 v6, 0xffff, v39
	v_add_u32_e32 v7, 12, v53
	v_cndmask_b32_e64 v8, 0, 1, vcc
	v_lshl_or_b32 v6, v8, 16, v6
	v_mov_b32_e32 v8, 0
	v_cmp_gt_u32_e32 vcc, s3, v7
	v_mov_b32_e32 v7, v8
	v_mov_b32_e32 v9, v8
	;; [unrolled: 1-line block ×10, first 2 shown]
                                        ; implicit-def: $sgpr24_sgpr25
                                        ; implicit-def: $vgpr52
	s_and_saveexec_b64 s[22:23], vcc
	s_cbranch_execz .LBB1374_114
; %bb.93:
	v_cmp_ne_u32_e32 vcc, v37, v30
	v_add_u32_e32 v9, 13, v53
	v_mov_b32_e32 v10, v8
	v_cndmask_b32_e64 v7, 0, 1, vcc
	v_alignbit_b32 v7, v7, v39, 16
	v_cmp_gt_u32_e32 vcc, s3, v9
	v_mov_b32_e32 v9, v8
	v_mov_b32_e32 v11, v8
	;; [unrolled: 1-line block ×8, first 2 shown]
                                        ; implicit-def: $sgpr26_sgpr27
                                        ; implicit-def: $vgpr52
	s_and_saveexec_b64 s[24:25], vcc
	s_cbranch_execz .LBB1374_113
; %bb.94:
	v_cmp_ne_u32_e32 vcc, v30, v31
	v_and_b32_e32 v8, 0xffff, v40
	v_add_u32_e32 v9, 14, v53
	v_cndmask_b32_e64 v10, 0, 1, vcc
	v_lshl_or_b32 v8, v10, 16, v8
	v_mov_b32_e32 v10, 0
	v_cmp_gt_u32_e32 vcc, s3, v9
	v_mov_b32_e32 v9, v10
	v_mov_b32_e32 v11, v10
	;; [unrolled: 1-line block ×8, first 2 shown]
                                        ; implicit-def: $sgpr42_sgpr43
                                        ; implicit-def: $vgpr52
	s_and_saveexec_b64 s[26:27], vcc
	s_cbranch_execz .LBB1374_112
; %bb.95:
	v_cmp_ne_u32_e32 vcc, v31, v32
	v_add_u32_e32 v11, 15, v53
	v_mov_b32_e32 v12, v10
	v_cndmask_b32_e64 v9, 0, 1, vcc
	v_alignbit_b32 v9, v9, v40, 16
	v_cmp_gt_u32_e32 vcc, s3, v11
	v_mov_b32_e32 v11, v10
	v_mov_b32_e32 v13, v10
	;; [unrolled: 1-line block ×6, first 2 shown]
                                        ; implicit-def: $sgpr44_sgpr45
                                        ; implicit-def: $vgpr52
	s_and_saveexec_b64 s[42:43], vcc
	s_cbranch_execz .LBB1374_111
; %bb.96:
	v_cmp_ne_u32_e32 vcc, v32, v33
	v_and_b32_e32 v10, 0xffff, v41
	v_add_u32_e32 v11, 16, v53
	v_cndmask_b32_e64 v12, 0, 1, vcc
	v_lshl_or_b32 v10, v12, 16, v10
	v_mov_b32_e32 v12, 0
	v_cmp_gt_u32_e32 vcc, s3, v11
	v_mov_b32_e32 v11, v12
	v_mov_b32_e32 v13, v12
	;; [unrolled: 1-line block ×6, first 2 shown]
                                        ; implicit-def: $sgpr46_sgpr47
                                        ; implicit-def: $vgpr52
	s_and_saveexec_b64 s[44:45], vcc
	s_cbranch_execz .LBB1374_110
; %bb.97:
	v_cmp_ne_u32_e32 vcc, v33, v26
	v_add_u32_e32 v13, 17, v53
	v_mov_b32_e32 v14, v12
	v_cndmask_b32_e64 v11, 0, 1, vcc
	v_alignbit_b32 v11, v11, v41, 16
	v_cmp_gt_u32_e32 vcc, s3, v13
	v_mov_b32_e32 v13, v12
	v_mov_b32_e32 v15, v12
	;; [unrolled: 1-line block ×4, first 2 shown]
                                        ; implicit-def: $sgpr48_sgpr49
                                        ; implicit-def: $vgpr52
	s_and_saveexec_b64 s[46:47], vcc
	s_cbranch_execz .LBB1374_109
; %bb.98:
	ds_read_b96 v[30:32], v54 offset:34
	v_add_u32_e32 v12, 18, v53
	v_cmp_ne_u32_e32 vcc, v26, v27
	v_mov_b32_e32 v14, 0
	v_mov_b32_e32 v15, v14
	v_cndmask_b32_e64 v13, 0, 1, vcc
	v_cmp_gt_u32_e32 vcc, s3, v12
	s_waitcnt lgkmcnt(0)
	v_and_b32_e32 v12, 0xffff, v30
	v_lshl_or_b32 v12, v13, 16, v12
	v_mov_b32_e32 v13, v14
	v_mov_b32_e32 v16, v14
	;; [unrolled: 1-line block ×3, first 2 shown]
                                        ; implicit-def: $sgpr50_sgpr51
                                        ; implicit-def: $vgpr52
	s_and_saveexec_b64 s[48:49], vcc
	s_cbranch_execz .LBB1374_108
; %bb.99:
	v_cmp_ne_u32_e32 vcc, v27, v28
	v_add_u32_e32 v15, 19, v53
	v_mov_b32_e32 v16, v14
	v_cndmask_b32_e64 v13, 0, 1, vcc
	v_alignbit_b32 v13, v13, v30, 16
	v_cmp_gt_u32_e32 vcc, s3, v15
	v_mov_b32_e32 v15, v14
	v_mov_b32_e32 v17, v14
                                        ; implicit-def: $sgpr52_sgpr53
                                        ; implicit-def: $vgpr52
	s_and_saveexec_b64 s[50:51], vcc
	s_cbranch_execz .LBB1374_107
; %bb.100:
	v_cmp_ne_u32_e32 vcc, v28, v29
	v_and_b32_e32 v14, 0xffff, v31
	v_add_u32_e32 v15, 20, v53
	v_cndmask_b32_e64 v16, 0, 1, vcc
	v_lshl_or_b32 v14, v16, 16, v14
	v_mov_b32_e32 v16, 0
	v_cmp_gt_u32_e32 vcc, s3, v15
	v_mov_b32_e32 v15, v16
	v_mov_b32_e32 v17, v16
                                        ; implicit-def: $sgpr60_sgpr61
                                        ; implicit-def: $vgpr52
	s_and_saveexec_b64 s[52:53], vcc
	s_cbranch_execz .LBB1374_106
; %bb.101:
	v_cmp_ne_u32_e32 vcc, v29, v22
	v_add_u32_e32 v17, 21, v53
	s_mov_b32 s9, 0
	v_cndmask_b32_e64 v15, 0, 1, vcc
	v_alignbit_b32 v15, v15, v31, 16
	v_cmp_gt_u32_e32 vcc, s3, v17
	v_mov_b32_e32 v17, v16
                                        ; implicit-def: $sgpr80_sgpr81
                                        ; implicit-def: $vgpr52
	s_and_saveexec_b64 s[60:61], vcc
	s_cbranch_execz .LBB1374_105
; %bb.102:
	v_cmp_ne_u32_e32 vcc, v22, v23
	v_and_b32_e32 v16, 0xffff, v32
	v_add_u32_e32 v17, 22, v53
	v_cndmask_b32_e64 v22, 0, 1, vcc
	v_lshl_or_b32 v16, v22, 16, v16
	v_cmp_gt_u32_e32 vcc, s3, v17
	v_mov_b32_e32 v17, s9
                                        ; implicit-def: $sgpr80_sgpr81
                                        ; implicit-def: $vgpr52
	s_and_saveexec_b64 s[82:83], vcc
	s_xor_b64 s[82:83], exec, s[82:83]
	s_cbranch_execz .LBB1374_104
; %bb.103:
	ds_read_u16 v52, v54 offset:46
	v_add_u32_e32 v22, 23, v53
	v_cmp_ne_u32_e64 s[4:5], v23, v24
	v_cmp_ne_u32_e32 vcc, v24, v25
	s_and_b64 s[80:81], vcc, exec
	v_cndmask_b32_e64 v17, 0, 1, s[4:5]
	v_cmp_gt_u32_e64 s[4:5], s3, v22
	v_alignbit_b32 v17, v17, v32, 16
	s_and_b64 s[4:5], s[4:5], exec
.LBB1374_104:
	s_or_b64 exec, exec, s[82:83]
	s_and_b64 s[80:81], s[80:81], exec
	s_and_b64 s[4:5], s[4:5], exec
.LBB1374_105:
	s_or_b64 exec, exec, s[60:61]
	s_and_b64 s[60:61], s[80:81], exec
	s_and_b64 s[4:5], s[4:5], exec
.LBB1374_106:
	s_or_b64 exec, exec, s[52:53]
	s_and_b64 s[52:53], s[60:61], exec
	s_and_b64 s[4:5], s[4:5], exec
.LBB1374_107:
	s_or_b64 exec, exec, s[50:51]
	s_and_b64 s[50:51], s[52:53], exec
	s_and_b64 s[4:5], s[4:5], exec
.LBB1374_108:
	s_or_b64 exec, exec, s[48:49]
	s_and_b64 s[48:49], s[50:51], exec
	s_and_b64 s[4:5], s[4:5], exec
.LBB1374_109:
	s_or_b64 exec, exec, s[46:47]
	s_and_b64 s[46:47], s[48:49], exec
	s_and_b64 s[4:5], s[4:5], exec
.LBB1374_110:
	s_or_b64 exec, exec, s[44:45]
	s_and_b64 s[44:45], s[46:47], exec
	s_and_b64 s[4:5], s[4:5], exec
.LBB1374_111:
	s_or_b64 exec, exec, s[42:43]
	s_and_b64 s[42:43], s[44:45], exec
	s_and_b64 s[4:5], s[4:5], exec
.LBB1374_112:
	s_or_b64 exec, exec, s[26:27]
	s_and_b64 s[26:27], s[42:43], exec
	s_and_b64 s[4:5], s[4:5], exec
.LBB1374_113:
	s_or_b64 exec, exec, s[24:25]
	s_and_b64 s[24:25], s[26:27], exec
	s_and_b64 s[4:5], s[4:5], exec
.LBB1374_114:
	s_or_b64 exec, exec, s[22:23]
	s_and_b64 s[22:23], s[24:25], exec
	s_and_b64 s[4:5], s[4:5], exec
.LBB1374_115:
	s_or_b64 exec, exec, s[20:21]
	s_and_b64 s[20:21], s[22:23], exec
	s_and_b64 s[4:5], s[4:5], exec
.LBB1374_116:
	s_or_b64 exec, exec, s[18:19]
	s_and_b64 s[18:19], s[20:21], exec
	s_and_b64 s[4:5], s[4:5], exec
.LBB1374_117:
	s_or_b64 exec, exec, s[16:17]
	s_and_b64 s[16:17], s[18:19], exec
	s_and_b64 s[4:5], s[4:5], exec
.LBB1374_118:
	s_or_b64 exec, exec, s[14:15]
	s_and_b64 s[14:15], s[16:17], exec
	s_and_b64 s[4:5], s[4:5], exec
.LBB1374_119:
	s_or_b64 exec, exec, s[12:13]
	s_and_b64 s[12:13], s[14:15], exec
	s_and_b64 s[4:5], s[4:5], exec
.LBB1374_120:
	s_or_b64 exec, exec, s[40:41]
	s_and_b64 s[40:41], s[12:13], exec
	s_and_b64 s[4:5], s[4:5], exec
.LBB1374_121:
	s_or_b64 exec, exec, s[38:39]
	s_and_b64 s[12:13], s[40:41], exec
	s_and_b64 s[4:5], s[4:5], exec
.LBB1374_122:
	s_or_b64 exec, exec, s[36:37]
	s_and_b64 s[36:37], s[12:13], exec
	s_and_b64 s[4:5], s[4:5], exec
.LBB1374_123:
	s_or_b64 exec, exec, s[34:35]
	s_and_b64 s[12:13], s[36:37], exec
	s_and_b64 s[34:35], s[4:5], exec
.LBB1374_124:
	s_or_b64 exec, exec, s[6:7]
	s_and_b64 s[36:37], s[12:13], exec
	s_and_b64 s[34:35], s[34:35], exec
.LBB1374_125:
	s_or_b64 exec, exec, s[30:31]
	s_and_b64 s[4:5], s[36:37], exec
	s_and_b64 s[6:7], s[34:35], exec
.LBB1374_126:
	s_or_b64 exec, exec, s[10:11]
	s_and_b64 vcc, exec, s[28:29]
	s_cbranch_vccnz .LBB1374_128
	s_branch .LBB1374_136
.LBB1374_127:
                                        ; implicit-def: $sgpr4_sgpr5
                                        ; implicit-def: $vgpr50_vgpr51
                                        ; implicit-def: $vgpr18_vgpr19_vgpr20_vgpr21
                                        ; implicit-def: $vgpr2_vgpr3_vgpr4_vgpr5_vgpr6_vgpr7_vgpr8_vgpr9_vgpr10_vgpr11_vgpr12_vgpr13_vgpr14_vgpr15_vgpr16_vgpr17
                                        ; implicit-def: $vgpr52
                                        ; implicit-def: $vgpr1
                                        ; implicit-def: $sgpr8
	s_and_b64 vcc, exec, s[28:29]
	s_cbranch_vccz .LBB1374_136
.LBB1374_128:
	v_mov_b32_e32 v3, 0
	v_lshlrev_b32_e32 v2, 2, v0
	v_lshl_add_u64 v[4:5], s[64:65], 0, v[2:3]
	v_add_co_u32_e32 v6, vcc, 0x1000, v4
	s_movk_i32 s3, 0x5c
	s_nop 0
	v_addc_co_u32_e32 v7, vcc, 0, v5, vcc
	flat_load_dword v3, v[4:5]
	flat_load_dword v10, v[4:5] offset:1024
	flat_load_dword v11, v[4:5] offset:2048
	;; [unrolled: 1-line block ×3, first 2 shown]
	flat_load_dword v13, v[6:7]
	flat_load_dword v14, v[6:7] offset:1024
	flat_load_dword v15, v[6:7] offset:2048
	;; [unrolled: 1-line block ×3, first 2 shown]
	v_add_co_u32_e32 v6, vcc, 0x2000, v4
	v_mad_u32_u24 v1, v0, s3, v2
	s_nop 0
	v_addc_co_u32_e32 v7, vcc, 0, v5, vcc
	v_add_co_u32_e32 v8, vcc, 0x3000, v4
	s_cmp_eq_u64 s[78:79], 0
	s_nop 0
	v_addc_co_u32_e32 v9, vcc, 0, v5, vcc
	flat_load_dword v17, v[6:7]
	flat_load_dword v18, v[6:7] offset:1024
	flat_load_dword v19, v[6:7] offset:2048
	;; [unrolled: 1-line block ×3, first 2 shown]
	flat_load_dword v21, v[8:9]
	flat_load_dword v22, v[8:9] offset:1024
	flat_load_dword v23, v[8:9] offset:2048
	;; [unrolled: 1-line block ×3, first 2 shown]
	v_add_co_u32_e32 v6, vcc, 0x4000, v4
	s_nop 1
	v_addc_co_u32_e32 v7, vcc, 0, v5, vcc
	v_add_co_u32_e32 v4, vcc, 0x5000, v4
	s_nop 1
	v_addc_co_u32_e32 v5, vcc, 0, v5, vcc
	flat_load_dword v8, v[6:7]
	flat_load_dword v9, v[6:7] offset:1024
	flat_load_dword v25, v[6:7] offset:2048
	;; [unrolled: 1-line block ×3, first 2 shown]
	flat_load_dword v27, v[4:5]
	flat_load_dword v28, v[4:5] offset:1024
	flat_load_dword v29, v[4:5] offset:2048
	;; [unrolled: 1-line block ×3, first 2 shown]
	s_waitcnt vmcnt(0) lgkmcnt(0)
	ds_write2st64_b32 v2, v3, v10 offset1:4
	ds_write2st64_b32 v2, v11, v12 offset0:8 offset1:12
	ds_write2st64_b32 v2, v13, v14 offset0:16 offset1:20
	;; [unrolled: 1-line block ×11, first 2 shown]
	s_waitcnt lgkmcnt(0)
	s_barrier
	ds_read2_b64 v[2:5], v1 offset1:11
	ds_read2_b64 v[34:37], v1 offset0:9 offset1:10
	ds_read2_b64 v[30:33], v1 offset0:7 offset1:8
	ds_read2_b64 v[26:29], v1 offset0:5 offset1:6
	ds_read2_b64 v[6:9], v1 offset0:1 offset1:2
	ds_read2_b64 v[22:25], v1 offset0:3 offset1:4
	s_cbranch_scc1 .LBB1374_133
; %bb.129:
	s_andn2_b64 vcc, exec, s[76:77]
	s_cbranch_vccnz .LBB1374_320
; %bb.130:
	s_lshl_b64 s[4:5], s[78:79], 2
	s_add_u32 s3, s66, s4
	s_addc_u32 s5, s67, s5
	s_add_u32 s4, s3, -4
	s_addc_u32 s5, s5, -1
	s_cbranch_execnz .LBB1374_132
.LBB1374_131:
	s_add_u32 s4, s64, -4
	s_addc_u32 s5, s65, -1
.LBB1374_132:
	s_mov_b64 s[64:65], s[4:5]
.LBB1374_133:
	v_mov_b64_e32 v[10:11], s[64:65]
	flat_load_dword v10, v[10:11]
	s_movk_i32 s3, 0xffa4
	v_mad_i32_i24 v1, v0, s3, v1
	v_cmp_ne_u32_e32 vcc, 0, v0
	s_waitcnt lgkmcnt(0)
	ds_write_b32 v1, v5 offset:24576
	s_waitcnt lgkmcnt(0)
	s_barrier
	s_and_saveexec_b64 s[4:5], vcc
	s_cbranch_execz .LBB1374_135
; %bb.134:
	s_waitcnt vmcnt(0)
	ds_read_b32 v10, v1 offset:24572
.LBB1374_135:
	s_or_b64 exec, exec, s[4:5]
	v_lshlrev_b32_e32 v12, 1, v0
	v_mov_b32_e32 v13, 0
	v_lshl_add_u64 v[14:15], s[54:55], 0, v[12:13]
	s_movk_i32 s3, 0x1000
	v_add_co_u32_e32 v16, vcc, s3, v14
	s_movk_i32 s3, 0x2000
	s_nop 0
	v_addc_co_u32_e32 v17, vcc, 0, v15, vcc
	s_waitcnt lgkmcnt(0)
	s_barrier
	flat_load_ushort v11, v[14:15]
	flat_load_ushort v13, v[14:15] offset:512
	flat_load_ushort v18, v[14:15] offset:1024
	;; [unrolled: 1-line block ×7, first 2 shown]
	v_add_co_u32_e32 v14, vcc, s3, v14
	flat_load_ushort v40, v[16:17]
	flat_load_ushort v41, v[16:17] offset:512
	flat_load_ushort v42, v[16:17] offset:1024
	flat_load_ushort v43, v[16:17] offset:1536
	flat_load_ushort v44, v[16:17] offset:2048
	flat_load_ushort v45, v[16:17] offset:2560
	flat_load_ushort v46, v[16:17] offset:3072
	flat_load_ushort v47, v[16:17] offset:3584
	v_addc_co_u32_e32 v15, vcc, 0, v15, vcc
	flat_load_ushort v16, v[14:15]
	flat_load_ushort v17, v[14:15] offset:512
	flat_load_ushort v48, v[14:15] offset:1024
	;; [unrolled: 1-line block ×7, first 2 shown]
	s_waitcnt vmcnt(0)
	v_cmp_ne_u32_e32 vcc, v10, v2
	v_sub_u32_e32 v1, v1, v12
	v_cmp_ne_u32_e64 s[4:5], v4, v5
	v_cndmask_b32_e64 v5, 0, 1, vcc
	v_cmp_ne_u32_e32 vcc, v3, v6
	v_mad_u32_u24 v55, v0, 46, v1
	s_mov_b64 s[6:7], -1
	v_cndmask_b32_e64 v54, 0, 1, vcc
	v_cmp_ne_u32_e32 vcc, v2, v3
                                        ; implicit-def: $sgpr8
	s_waitcnt lgkmcnt(0)
	ds_write_b16 v1, v11
	ds_write_b16 v1, v13 offset:512
	ds_write_b16 v1, v18 offset:1024
	;; [unrolled: 1-line block ×23, first 2 shown]
	s_waitcnt lgkmcnt(0)
	s_barrier
	ds_read_u16 v1, v55
	ds_read_b96 v[14:16], v55 offset:2
	ds_read_b128 v[38:41], v55 offset:14
	ds_read_b128 v[10:13], v55 offset:30
	ds_read_u16 v52, v55 offset:46
	v_cndmask_b32_e64 v2, 0, 1, vcc
	v_cmp_ne_u32_e32 vcc, v9, v22
	s_waitcnt lgkmcnt(4)
	v_lshl_or_b32 v1, v5, 16, v1
	s_waitcnt lgkmcnt(3)
	v_and_b32_e32 v5, 0xffff, v14
	v_cndmask_b32_e64 v3, 0, 1, vcc
	v_cmp_ne_u32_e32 vcc, v7, v8
	v_lshl_or_b32 v50, v2, 16, v5
	v_and_b32_e32 v17, 0xffff, v16
	v_cndmask_b32_e64 v2, 0, 1, vcc
	v_cmp_ne_u32_e32 vcc, v8, v9
	v_alignbit_b32 v19, v2, v15, 16
	v_alignbit_b32 v21, v3, v16, 16
	v_cndmask_b32_e64 v2, 0, 1, vcc
	v_cmp_ne_u32_e32 vcc, v6, v7
	v_lshl_or_b32 v20, v2, 16, v17
	v_alignbit_b32 v51, v54, v14, 16
	v_cndmask_b32_e64 v2, 0, 1, vcc
	v_cmp_ne_u32_e32 vcc, v37, v4
	v_and_b32_e32 v14, 0xffff, v15
	s_waitcnt lgkmcnt(1)
	v_and_b32_e32 v16, 0xffff, v13
	v_cndmask_b32_e64 v3, 0, 1, vcc
	v_cmp_ne_u32_e32 vcc, v35, v36
	v_alignbit_b32 v17, v3, v13, 16
	v_and_b32_e32 v44, 0xffff, v11
	v_cndmask_b32_e64 v3, 0, 1, vcc
	v_cmp_ne_u32_e32 vcc, v33, v34
	v_alignbit_b32 v15, v3, v12, 16
	v_lshl_or_b32 v18, v2, 16, v14
	v_cndmask_b32_e64 v3, 0, 1, vcc
	v_cmp_ne_u32_e32 vcc, v31, v32
	v_alignbit_b32 v13, v3, v11, 16
	v_and_b32_e32 v14, 0xffff, v12
	v_cndmask_b32_e64 v3, 0, 1, vcc
	v_cmp_ne_u32_e32 vcc, v29, v30
	v_alignbit_b32 v11, v3, v10, 16
	v_and_b32_e32 v43, 0xffff, v10
	;; [unrolled: 4-line block ×5, first 2 shown]
	v_cndmask_b32_e64 v3, 0, 1, vcc
	v_cmp_ne_u32_e32 vcc, v36, v37
	v_and_b32_e32 v42, 0xffff, v39
	v_alignbit_b32 v3, v3, v38, 16
	v_cndmask_b32_e64 v4, 0, 1, vcc
	v_cmp_ne_u32_e32 vcc, v34, v35
	v_lshl_or_b32 v16, v4, 16, v16
	s_nop 0
	v_cndmask_b32_e64 v4, 0, 1, vcc
	v_cmp_ne_u32_e32 vcc, v32, v33
	v_lshl_or_b32 v14, v4, 16, v14
	s_nop 0
	;; [unrolled: 4-line block ×7, first 2 shown]
	v_cndmask_b32_e64 v22, 0, 1, vcc
	v_lshl_or_b32 v2, v22, 16, v2
.LBB1374_136:
	v_mov_b32_e32 v32, s8
	s_and_saveexec_b64 s[8:9], s[6:7]
	s_cbranch_execz .LBB1374_138
; %bb.137:
	v_mov_b32_e32 v22, 0x10000
	v_cndmask_b32_e64 v22, 0, v22, s[4:5]
	s_waitcnt lgkmcnt(0)
	v_or_b32_sdwa v32, v22, v52 dst_sel:DWORD dst_unused:UNUSED_PAD src0_sel:DWORD src1_sel:WORD_0
.LBB1374_138:
	s_or_b64 exec, exec, s[8:9]
	s_cmp_lg_u32 s2, 0
	v_mbcnt_lo_u32_b32 v33, -1, 0
	s_waitcnt lgkmcnt(0)
	s_barrier
	s_cbranch_scc0 .LBB1374_209
; %bb.139:
	s_mov_b32 s3, 0x10000
	v_cmp_gt_u32_e64 s[52:53], s3, v50
	v_cmp_gt_u32_e64 s[4:5], s3, v51
	v_cmp_gt_u32_e64 s[6:7], s3, v18
	v_cndmask_b32_e64 v22, 0, v1, s[52:53]
	v_add_u16_e32 v22, v22, v50
	v_cndmask_b32_e64 v22, 0, v22, s[4:5]
	v_add_u16_e32 v22, v22, v51
	v_cndmask_b32_e64 v22, 0, v22, s[6:7]
	v_add_u16_e32 v22, v22, v18
	v_cmp_gt_u32_e64 s[8:9], s3, v19
	v_cmp_gt_u32_e64 s[10:11], s3, v20
	v_cmp_gt_u32_e64 s[12:13], s3, v21
	v_cndmask_b32_e64 v22, 0, v22, s[8:9]
	v_add_u16_e32 v22, v22, v19
	v_cndmask_b32_e64 v22, 0, v22, s[10:11]
	v_add_u16_e32 v22, v22, v20
	v_cndmask_b32_e64 v22, 0, v22, s[12:13]
	v_add_u16_e32 v22, v22, v21
	;; [unrolled: 9-line block ×5, first 2 shown]
	v_cmp_gt_u32_e64 s[34:35], s3, v11
	v_cmp_gt_u32_e64 s[36:37], s3, v12
	v_or3_b32 v23, v32, v17, v16
	v_cndmask_b32_e64 v22, 0, v22, s[34:35]
	v_add_u16_e32 v22, v22, v11
	v_cndmask_b32_e64 v22, 0, v22, s[36:37]
	v_add_u16_e32 v22, v22, v12
	v_cmp_gt_u32_e64 s[38:39], s3, v13
	v_or3_b32 v23, v23, v15, v14
	v_or3_b32 v23, v23, v13, v12
	v_cndmask_b32_e64 v22, 0, v22, s[38:39]
	v_add_u16_e32 v22, v22, v13
	v_cmp_gt_u32_e64 s[40:41], s3, v14
	v_or3_b32 v23, v23, v11, v10
	v_or3_b32 v23, v23, v9, v8
	;; [unrolled: 5-line block ×5, first 2 shown]
	v_cndmask_b32_e64 v22, 0, v22, s[46:47]
	v_add_u16_e32 v22, v22, v17
	v_cmp_gt_u32_e64 s[48:49], s3, v32
	v_and_b32_e32 v23, 0x10000, v23
	v_lshrrev_b32_e32 v34, 16, v1
	v_cndmask_b32_e64 v24, 0, v22, s[48:49]
	v_cmp_eq_u32_e32 vcc, 0, v23
	v_add_u16_e32 v22, v24, v32
	v_mbcnt_hi_u32_b32 v25, -1, v33
	v_cndmask_b32_e32 v23, 1, v34, vcc
	v_add_u16_e32 v24, v24, v32
	v_and_b32_e32 v27, 15, v25
	v_lshl_or_b32 v24, v23, 16, v24
	v_cmp_ne_u32_e32 vcc, 0, v27
	s_nop 0
	v_mov_b32_dpp v26, v24 row_shr:1 row_mask:0xf bank_mask:0xf
	s_and_saveexec_b64 s[50:51], vcc
	s_cbranch_execz .LBB1374_141
; %bb.140:
	v_cmp_eq_u32_e32 vcc, 0, v23
	v_and_b32_e32 v23, 1, v23
	v_mov_b32_e32 v29, 1
	v_cndmask_b32_e32 v24, 0, v26, vcc
	v_and_b32_sdwa v26, v26, v29 dst_sel:DWORD dst_unused:UNUSED_PAD src0_sel:WORD_1 src1_sel:DWORD
	v_cmp_eq_u32_e32 vcc, 1, v23
	v_add_u16_e32 v28, v24, v22
	v_add_u16_e32 v22, v24, v22
	v_cndmask_b32_e64 v23, v26, 1, vcc
	v_lshlrev_b32_e32 v26, 16, v23
	v_or_b32_e32 v24, v26, v22
	v_mov_b32_e32 v22, v28
.LBB1374_141:
	s_or_b64 exec, exec, s[50:51]
	v_lshrrev_b32_e32 v26, 16, v24
	v_mov_b32_dpp v28, v24 row_shr:2 row_mask:0xf bank_mask:0xf
	v_cmp_lt_u32_e32 vcc, 1, v27
	s_and_saveexec_b64 s[50:51], vcc
	s_cbranch_execz .LBB1374_143
; %bb.142:
	v_cmp_gt_u32_e32 vcc, s3, v24
	v_and_b32_e32 v23, 0x10000, v24
	v_mov_b32_e32 v24, 1
	v_cndmask_b32_e32 v26, 0, v28, vcc
	v_and_b32_sdwa v24, v28, v24 dst_sel:DWORD dst_unused:UNUSED_PAD src0_sel:WORD_1 src1_sel:DWORD
	v_cmp_ne_u32_e32 vcc, 0, v23
	v_add_u16_e32 v29, v26, v22
	v_add_u16_e32 v22, v26, v22
	v_cndmask_b32_e64 v23, v24, 1, vcc
	v_lshlrev_b32_e32 v24, 16, v23
	v_or_b32_e32 v24, v24, v22
	v_mov_b32_e32 v26, v23
	v_mov_b32_e32 v22, v29
.LBB1374_143:
	s_or_b64 exec, exec, s[50:51]
	v_mov_b32_dpp v28, v24 row_shr:4 row_mask:0xf bank_mask:0xf
	v_cmp_lt_u32_e32 vcc, 3, v27
	s_and_saveexec_b64 s[50:51], vcc
	s_cbranch_execz .LBB1374_145
; %bb.144:
	v_mov_b32_e32 v23, 0
	v_cmp_eq_u16_sdwa vcc, v26, v23 src0_sel:BYTE_0 src1_sel:DWORD
	v_and_b32_e32 v23, 1, v26
	v_mov_b32_e32 v26, 1
	v_cndmask_b32_e32 v24, 0, v28, vcc
	v_and_b32_sdwa v26, v28, v26 dst_sel:DWORD dst_unused:UNUSED_PAD src0_sel:WORD_1 src1_sel:DWORD
	v_cmp_eq_u32_e32 vcc, 1, v23
	v_add_u16_e32 v29, v24, v22
	v_add_u16_e32 v22, v24, v22
	v_cndmask_b32_e64 v23, v26, 1, vcc
	v_lshlrev_b32_e32 v26, 16, v23
	v_or_b32_e32 v24, v26, v22
	v_mov_b32_e32 v26, v23
	v_mov_b32_e32 v22, v29
.LBB1374_145:
	s_or_b64 exec, exec, s[50:51]
	v_mov_b32_dpp v28, v24 row_shr:8 row_mask:0xf bank_mask:0xf
	v_cmp_lt_u32_e32 vcc, 7, v27
	s_and_saveexec_b64 s[50:51], vcc
	s_cbranch_execz .LBB1374_147
; %bb.146:
	v_mov_b32_e32 v23, 0
	v_cmp_eq_u16_sdwa vcc, v26, v23 src0_sel:BYTE_0 src1_sel:DWORD
	v_and_b32_e32 v23, 1, v26
	v_mov_b32_e32 v26, 1
	v_cndmask_b32_e32 v24, 0, v28, vcc
	v_and_b32_sdwa v26, v28, v26 dst_sel:DWORD dst_unused:UNUSED_PAD src0_sel:WORD_1 src1_sel:DWORD
	v_cmp_eq_u32_e32 vcc, 1, v23
	v_add_u16_e32 v27, v24, v22
	v_add_u16_e32 v22, v24, v22
	v_cndmask_b32_e64 v23, v26, 1, vcc
	v_lshlrev_b32_e32 v26, 16, v23
	v_or_b32_e32 v24, v26, v22
	v_mov_b32_e32 v26, v23
	v_mov_b32_e32 v22, v27
.LBB1374_147:
	s_or_b64 exec, exec, s[50:51]
	v_and_b32_e32 v28, 16, v25
	v_mov_b32_dpp v27, v24 row_bcast:15 row_mask:0xf bank_mask:0xf
	v_cmp_ne_u32_e32 vcc, 0, v28
	s_and_saveexec_b64 s[50:51], vcc
	s_cbranch_execz .LBB1374_149
; %bb.148:
	v_mov_b32_e32 v23, 0
	v_cmp_eq_u16_sdwa vcc, v26, v23 src0_sel:BYTE_0 src1_sel:DWORD
	v_and_b32_e32 v23, 1, v26
	v_mov_b32_e32 v26, 1
	v_cndmask_b32_e32 v24, 0, v27, vcc
	v_and_b32_sdwa v26, v27, v26 dst_sel:DWORD dst_unused:UNUSED_PAD src0_sel:WORD_1 src1_sel:DWORD
	v_cmp_eq_u32_e32 vcc, 1, v23
	v_add_u16_e32 v28, v24, v22
	v_add_u16_e32 v22, v24, v22
	v_cndmask_b32_e64 v23, v26, 1, vcc
	v_lshlrev_b32_e32 v26, 16, v23
	v_or_b32_e32 v24, v26, v22
	v_mov_b32_e32 v22, v28
	v_mov_b32_e32 v26, v23
.LBB1374_149:
	s_or_b64 exec, exec, s[50:51]
	v_mov_b32_dpp v24, v24 row_bcast:31 row_mask:0xf bank_mask:0xf
	v_cmp_lt_u32_e32 vcc, 31, v25
	s_and_saveexec_b64 s[50:51], vcc
; %bb.150:
	v_mov_b32_e32 v23, 0
	v_cmp_eq_u16_sdwa vcc, v26, v23 src0_sel:BYTE_0 src1_sel:DWORD
	s_nop 1
	v_cndmask_b32_e32 v23, 0, v24, vcc
	v_add_u16_e32 v22, v23, v22
	v_and_b32_e32 v23, 1, v26
	v_mov_b32_e32 v26, 1
	v_and_b32_sdwa v24, v24, v26 dst_sel:DWORD dst_unused:UNUSED_PAD src0_sel:WORD_1 src1_sel:DWORD
	v_cmp_eq_u32_e32 vcc, 1, v23
	s_nop 1
	v_cndmask_b32_e64 v23, v24, 1, vcc
; %bb.151:
	s_or_b64 exec, exec, s[50:51]
	v_or_b32_e32 v26, 63, v0
	v_lshrrev_b32_e32 v24, 6, v0
	v_cmp_eq_u32_e32 vcc, v26, v0
	s_and_saveexec_b64 s[50:51], vcc
	s_cbranch_execz .LBB1374_153
; %bb.152:
	v_lshlrev_b32_e32 v26, 2, v24
	ds_write_b16 v26, v22
	ds_write_b8 v26, v23 offset:2
.LBB1374_153:
	s_or_b64 exec, exec, s[50:51]
	v_cmp_gt_u32_e32 vcc, 4, v0
	s_waitcnt lgkmcnt(0)
	s_barrier
	s_and_saveexec_b64 s[50:51], vcc
	s_cbranch_execz .LBB1374_159
; %bb.154:
	v_lshlrev_b32_e32 v26, 2, v0
	ds_read_b32 v27, v26
	v_and_b32_e32 v30, 3, v25
	v_cmp_ne_u32_e32 vcc, 0, v30
	s_waitcnt lgkmcnt(0)
	v_lshrrev_b32_e32 v29, 16, v27
	v_mov_b32_dpp v31, v27 row_shr:1 row_mask:0xf bank_mask:0xf
	v_mov_b32_e32 v28, v27
	s_and_saveexec_b64 s[54:55], vcc
	s_cbranch_execz .LBB1374_156
; %bb.155:
	v_mov_b32_e32 v28, 0
	v_cmp_eq_u16_sdwa vcc, v29, v28 src0_sel:BYTE_0 src1_sel:DWORD
	v_and_b32_e32 v29, 0x10000, v27
	v_mov_b32_e32 v37, 1
	v_cndmask_b32_e32 v36, 0, v31, vcc
	v_and_b32_sdwa v31, v31, v37 dst_sel:DWORD dst_unused:UNUSED_PAD src0_sel:WORD_1 src1_sel:DWORD
	v_cmp_ne_u32_e32 vcc, 0, v29
	v_and_b32_e32 v35, 0xff000000, v27
	v_add_u16_e32 v28, v36, v27
	v_cndmask_b32_e64 v29, v31, 1, vcc
	v_lshlrev_b32_e32 v31, 16, v29
	v_add_u16_e32 v27, v36, v27
	v_or3_b32 v27, v31, v35, v27
.LBB1374_156:
	s_or_b64 exec, exec, s[54:55]
	s_nop 0
	v_mov_b32_dpp v31, v27 row_shr:2 row_mask:0xf bank_mask:0xf
	v_cmp_lt_u32_e32 vcc, 1, v30
	s_and_saveexec_b64 s[54:55], vcc
; %bb.157:
	v_and_b32_e32 v29, 0xff0000, v27
	v_cmp_eq_u32_e32 vcc, 0, v29
	v_and_b32_e32 v27, 0x10000, v27
	s_nop 0
	v_cndmask_b32_e32 v29, 0, v31, vcc
	v_add_u16_e32 v28, v29, v28
	v_mov_b32_e32 v29, 1
	v_and_b32_sdwa v29, v31, v29 dst_sel:DWORD dst_unused:UNUSED_PAD src0_sel:WORD_1 src1_sel:DWORD
	v_cmp_eq_u32_e32 vcc, 0, v27
	s_nop 1
	v_cndmask_b32_e32 v29, 1, v29, vcc
; %bb.158:
	s_or_b64 exec, exec, s[54:55]
	ds_write_b16 v26, v28
	ds_write_b8 v26, v29 offset:2
.LBB1374_159:
	s_or_b64 exec, exec, s[50:51]
	v_cmp_gt_u32_e32 vcc, 64, v0
	v_cmp_lt_u32_e64 s[50:51], 63, v0
	v_mov_b32_e32 v35, 0
	v_mov_b32_e32 v36, 0
	s_waitcnt lgkmcnt(0)
	s_barrier
	s_and_saveexec_b64 s[54:55], s[50:51]
	s_cbranch_execz .LBB1374_161
; %bb.160:
	v_lshl_add_u32 v24, v24, 2, -4
	ds_read_u16 v35, v24
	ds_read_u8 v36, v24 offset:2
	v_mov_b32_e32 v26, 0
	v_and_b32_e32 v27, 1, v23
	v_cmp_eq_u16_sdwa s[50:51], v23, v26 src0_sel:BYTE_0 src1_sel:DWORD
	s_waitcnt lgkmcnt(1)
	s_nop 0
	v_cndmask_b32_e64 v23, 0, v35, s[50:51]
	v_cmp_eq_u32_e64 s[50:51], 1, v27
	v_add_u16_e32 v22, v23, v22
	s_waitcnt lgkmcnt(0)
	v_cndmask_b32_e64 v23, v36, 1, s[50:51]
.LBB1374_161:
	s_or_b64 exec, exec, s[54:55]
	v_and_b32_e32 v23, 0xff, v23
	v_and_b32_e32 v22, 0xffff, v22
	v_lshl_or_b32 v22, v23, 16, v22
	v_add_u32_e32 v23, -1, v25
	v_and_b32_e32 v24, 64, v25
	v_cmp_lt_i32_e64 s[50:51], v23, v24
	s_nop 1
	v_cndmask_b32_e64 v23, v23, v25, s[50:51]
	v_lshlrev_b32_e32 v23, 2, v23
	ds_bpermute_b32 v37, v23, v22
	v_cmp_eq_u32_e64 s[50:51], 0, v25
	s_and_saveexec_b64 s[54:55], vcc
	s_cbranch_execz .LBB1374_208
; %bb.162:
	v_mov_b32_e32 v31, 0
	ds_read_b32 v22, v31 offset:12
	s_and_saveexec_b64 s[60:61], s[50:51]
	s_cbranch_execz .LBB1374_164
; %bb.163:
	s_add_i32 s64, s2, 64
	s_mov_b32 s65, 0
	s_lshl_b64 s[64:65], s[64:65], 3
	s_add_u32 s64, s68, s64
	v_mov_b32_e32 v23, 1
	s_addc_u32 s65, s69, s65
	s_waitcnt lgkmcnt(0)
	global_store_dwordx2 v31, v[22:23], s[64:65] sc1
.LBB1374_164:
	s_or_b64 exec, exec, s[60:61]
	v_xad_u32 v24, v25, -1, s2
	v_add_u32_e32 v30, 64, v24
	v_lshl_add_u64 v[28:29], v[30:31], 3, s[68:69]
	global_load_dwordx2 v[26:27], v[28:29], off sc1
	s_waitcnt vmcnt(0)
	v_cmp_eq_u16_sdwa s[64:65], v27, v31 src0_sel:BYTE_0 src1_sel:DWORD
	s_and_saveexec_b64 s[60:61], s[64:65]
	s_cbranch_execz .LBB1374_170
; %bb.165:
	s_mov_b32 s3, 1
	s_mov_b64 s[64:65], 0
	v_mov_b32_e32 v23, 0
.LBB1374_166:                           ; =>This Loop Header: Depth=1
                                        ;     Child Loop BB1374_167 Depth 2
	s_max_u32 s66, s3, 1
.LBB1374_167:                           ;   Parent Loop BB1374_166 Depth=1
                                        ; =>  This Inner Loop Header: Depth=2
	s_add_i32 s66, s66, -1
	s_cmp_eq_u32 s66, 0
	s_sleep 1
	s_cbranch_scc0 .LBB1374_167
; %bb.168:                              ;   in Loop: Header=BB1374_166 Depth=1
	global_load_dwordx2 v[26:27], v[28:29], off sc1
	s_cmp_lt_u32 s3, 32
	s_cselect_b64 s[66:67], -1, 0
	s_cmp_lg_u64 s[66:67], 0
	s_addc_u32 s3, s3, 0
	s_waitcnt vmcnt(0)
	v_cmp_ne_u16_sdwa s[66:67], v27, v23 src0_sel:BYTE_0 src1_sel:DWORD
	s_or_b64 s[64:65], s[66:67], s[64:65]
	s_andn2_b64 exec, exec, s[64:65]
	s_cbranch_execnz .LBB1374_166
; %bb.169:
	s_or_b64 exec, exec, s[64:65]
.LBB1374_170:
	s_or_b64 exec, exec, s[60:61]
	v_mov_b32_e32 v23, 2
	v_cmp_eq_u16_sdwa s[60:61], v27, v23 src0_sel:BYTE_0 src1_sel:DWORD
	v_lshlrev_b64 v[28:29], v25, -1
	v_and_b32_e32 v49, 0xffffff, v26
	v_and_b32_e32 v23, s61, v29
	v_or_b32_e32 v23, 0x80000000, v23
	v_ffbl_b32_e32 v23, v23
	v_add_u32_e32 v31, 32, v23
	v_and_b32_e32 v23, 63, v25
	v_cmp_ne_u32_e32 vcc, 63, v23
	v_and_b32_e32 v30, s60, v28
	v_ffbl_b32_e32 v30, v30
	v_addc_co_u32_e32 v38, vcc, 0, v25, vcc
	v_lshlrev_b32_e32 v38, 2, v38
	ds_bpermute_b32 v39, v38, v49
	v_min_u32_e32 v31, v30, v31
	v_lshrrev_b32_e32 v30, 16, v26
	v_cmp_lt_u32_e32 vcc, v23, v31
	v_bfe_u32 v47, v26, 16, 8
	s_and_saveexec_b64 s[60:61], vcc
	s_cbranch_execz .LBB1374_172
; %bb.171:
	v_and_b32_e32 v30, 0xff0000, v26
	v_cmp_eq_u32_e32 vcc, 0, v30
	v_and_b32_e32 v30, 0x10000, v30
	v_mov_b32_e32 v42, 1
	s_waitcnt lgkmcnt(0)
	v_cndmask_b32_e32 v40, 0, v39, vcc
	v_and_b32_sdwa v39, v39, v42 dst_sel:DWORD dst_unused:UNUSED_PAD src0_sel:WORD_1 src1_sel:DWORD
	v_cmp_ne_u32_e32 vcc, 0, v30
	v_add_u16_e32 v41, v40, v26
	v_add_u16_e32 v26, v40, v26
	v_cndmask_b32_e64 v30, v39, 1, vcc
	v_lshlrev_b32_e32 v39, 16, v30
	v_or_b32_e32 v49, v39, v26
	v_mov_b32_e32 v26, v41
	v_mov_b32_e32 v47, v30
.LBB1374_172:
	s_or_b64 exec, exec, s[60:61]
	v_cmp_gt_u32_e32 vcc, 62, v23
	v_add_u32_e32 v40, 2, v23
	s_waitcnt lgkmcnt(0)
	v_cndmask_b32_e64 v39, 0, 1, vcc
	v_lshlrev_b32_e32 v39, 1, v39
	v_add_lshl_u32 v39, v39, v25, 2
	ds_bpermute_b32 v41, v39, v49
	v_cmp_le_u32_e32 vcc, v40, v31
	s_and_saveexec_b64 s[60:61], vcc
	s_cbranch_execz .LBB1374_174
; %bb.173:
	v_cmp_eq_u16_e32 vcc, 0, v47
	v_and_b32_e32 v30, 1, v47
	v_mov_b32_e32 v44, 1
	s_waitcnt lgkmcnt(0)
	v_cndmask_b32_e32 v42, 0, v41, vcc
	v_and_b32_sdwa v41, v41, v44 dst_sel:DWORD dst_unused:UNUSED_PAD src0_sel:WORD_1 src1_sel:DWORD
	v_cmp_eq_u32_e32 vcc, 1, v30
	v_add_u16_e32 v43, v42, v26
	v_add_u16_e32 v26, v42, v26
	v_cndmask_b32_e64 v30, v41, 1, vcc
	v_lshlrev_b32_e32 v41, 16, v30
	v_or_b32_e32 v49, v41, v26
	v_mov_b32_e32 v26, v43
	v_mov_b32_e32 v47, v30
.LBB1374_174:
	s_or_b64 exec, exec, s[60:61]
	v_cmp_gt_u32_e32 vcc, 60, v23
	v_add_u32_e32 v42, 4, v23
	s_waitcnt lgkmcnt(0)
	v_cndmask_b32_e64 v41, 0, 1, vcc
	v_lshlrev_b32_e32 v41, 2, v41
	v_add_lshl_u32 v41, v41, v25, 2
	ds_bpermute_b32 v43, v41, v49
	v_cmp_le_u32_e32 vcc, v42, v31
	s_and_saveexec_b64 s[60:61], vcc
	s_cbranch_execz .LBB1374_176
; %bb.175:
	v_cmp_eq_u16_e32 vcc, 0, v47
	v_and_b32_e32 v30, 1, v47
	v_mov_b32_e32 v46, 1
	s_waitcnt lgkmcnt(0)
	v_cndmask_b32_e32 v44, 0, v43, vcc
	v_and_b32_sdwa v43, v43, v46 dst_sel:DWORD dst_unused:UNUSED_PAD src0_sel:WORD_1 src1_sel:DWORD
	v_cmp_eq_u32_e32 vcc, 1, v30
	v_add_u16_e32 v45, v44, v26
	v_add_u16_e32 v26, v44, v26
	v_cndmask_b32_e64 v30, v43, 1, vcc
	v_lshlrev_b32_e32 v43, 16, v30
	v_or_b32_e32 v49, v43, v26
	v_mov_b32_e32 v26, v45
	v_mov_b32_e32 v47, v30
.LBB1374_176:
	;; [unrolled: 27-line block ×4, first 2 shown]
	s_or_b64 exec, exec, s[60:61]
	v_cmp_gt_u32_e32 vcc, 32, v23
	v_add_u32_e32 v52, 32, v23
	s_waitcnt lgkmcnt(0)
	v_cndmask_b32_e64 v48, 0, 1, vcc
	v_lshlrev_b32_e32 v48, 5, v48
	v_add_lshl_u32 v48, v48, v25, 2
	ds_bpermute_b32 v25, v48, v49
	v_cmp_le_u32_e32 vcc, v52, v31
	s_and_saveexec_b64 s[60:61], vcc
	s_cbranch_execz .LBB1374_182
; %bb.181:
	v_cmp_eq_u16_e32 vcc, 0, v47
	v_mov_b32_e32 v31, 1
	s_waitcnt lgkmcnt(0)
	v_cndmask_b32_e32 v30, 0, v25, vcc
	v_add_u16_e32 v26, v30, v26
	v_and_b32_e32 v30, 1, v47
	v_and_b32_sdwa v25, v25, v31 dst_sel:DWORD dst_unused:UNUSED_PAD src0_sel:WORD_1 src1_sel:DWORD
	v_cmp_eq_u32_e32 vcc, 1, v30
	s_nop 1
	v_cndmask_b32_e64 v30, v25, 1, vcc
.LBB1374_182:
	s_or_b64 exec, exec, s[60:61]
	s_waitcnt lgkmcnt(0)
	v_mov_b32_e32 v25, 0
	v_mov_b32_e32 v53, 2
	v_mov_b32_e32 v54, 1
	s_branch .LBB1374_184
.LBB1374_183:                           ;   in Loop: Header=BB1374_184 Depth=1
	s_or_b64 exec, exec, s[60:61]
	v_cmp_eq_u16_sdwa vcc, v47, v25 src0_sel:BYTE_0 src1_sel:DWORD
	v_and_b32_e32 v30, 1, v47
	v_and_b32_e32 v31, 1, v31
	v_cndmask_b32_e32 v26, 0, v26, vcc
	v_cmp_eq_u32_e32 vcc, 1, v30
	v_subrev_u32_e32 v24, 64, v24
	v_add_u16_e32 v26, v26, v49
	v_cndmask_b32_e64 v30, v31, 1, vcc
.LBB1374_184:                           ; =>This Loop Header: Depth=1
                                        ;     Child Loop BB1374_187 Depth 2
                                        ;       Child Loop BB1374_188 Depth 3
	v_cmp_ne_u16_sdwa s[60:61], v27, v53 src0_sel:BYTE_0 src1_sel:DWORD
	v_mov_b32_e32 v47, v30
	v_mov_b32_e32 v49, v26
	v_cndmask_b32_e64 v27, 0, 1, s[60:61]
	;;#ASMSTART
	;;#ASMEND
	s_nop 0
	v_cmp_ne_u32_e32 vcc, 0, v27
	s_cmp_lg_u64 vcc, exec
	s_cbranch_scc1 .LBB1374_203
; %bb.185:                              ;   in Loop: Header=BB1374_184 Depth=1
	v_lshl_add_u64 v[30:31], v[24:25], 3, s[68:69]
	global_load_dwordx2 v[26:27], v[30:31], off sc1
	s_waitcnt vmcnt(0)
	v_cmp_eq_u16_sdwa s[64:65], v27, v25 src0_sel:BYTE_0 src1_sel:DWORD
	s_and_saveexec_b64 s[60:61], s[64:65]
	s_cbranch_execz .LBB1374_191
; %bb.186:                              ;   in Loop: Header=BB1374_184 Depth=1
	s_mov_b32 s3, 1
	s_mov_b64 s[64:65], 0
.LBB1374_187:                           ;   Parent Loop BB1374_184 Depth=1
                                        ; =>  This Loop Header: Depth=2
                                        ;       Child Loop BB1374_188 Depth 3
	s_max_u32 s66, s3, 1
.LBB1374_188:                           ;   Parent Loop BB1374_184 Depth=1
                                        ;     Parent Loop BB1374_187 Depth=2
                                        ; =>    This Inner Loop Header: Depth=3
	s_add_i32 s66, s66, -1
	s_cmp_eq_u32 s66, 0
	s_sleep 1
	s_cbranch_scc0 .LBB1374_188
; %bb.189:                              ;   in Loop: Header=BB1374_187 Depth=2
	global_load_dwordx2 v[26:27], v[30:31], off sc1
	s_cmp_lt_u32 s3, 32
	s_cselect_b64 s[66:67], -1, 0
	s_cmp_lg_u64 s[66:67], 0
	s_addc_u32 s3, s3, 0
	s_waitcnt vmcnt(0)
	v_cmp_ne_u16_sdwa s[66:67], v27, v25 src0_sel:BYTE_0 src1_sel:DWORD
	s_or_b64 s[64:65], s[66:67], s[64:65]
	s_andn2_b64 exec, exec, s[64:65]
	s_cbranch_execnz .LBB1374_187
; %bb.190:                              ;   in Loop: Header=BB1374_184 Depth=1
	s_or_b64 exec, exec, s[64:65]
.LBB1374_191:                           ;   in Loop: Header=BB1374_184 Depth=1
	s_or_b64 exec, exec, s[60:61]
	v_cmp_eq_u16_sdwa s[60:61], v27, v53 src0_sel:BYTE_0 src1_sel:DWORD
	s_waitcnt lgkmcnt(0)
	v_and_b32_e32 v56, 0xffffff, v26
	ds_bpermute_b32 v57, v38, v56
	v_and_b32_e32 v30, s61, v29
	v_or_b32_e32 v30, 0x80000000, v30
	v_and_b32_e32 v31, s60, v28
	v_ffbl_b32_e32 v30, v30
	v_add_u32_e32 v30, 32, v30
	v_ffbl_b32_e32 v31, v31
	v_min_u32_e32 v30, v31, v30
	v_lshrrev_b32_e32 v31, 16, v26
	v_cmp_lt_u32_e32 vcc, v23, v30
	v_bfe_u32 v55, v26, 16, 8
	s_and_saveexec_b64 s[60:61], vcc
	s_cbranch_execz .LBB1374_193
; %bb.192:                              ;   in Loop: Header=BB1374_184 Depth=1
	v_and_b32_e32 v31, 0xff0000, v26
	v_cmp_eq_u32_e32 vcc, 0, v31
	v_and_b32_e32 v31, 0x10000, v31
	s_waitcnt lgkmcnt(0)
	v_and_b32_sdwa v56, v57, v54 dst_sel:DWORD dst_unused:UNUSED_PAD src0_sel:WORD_1 src1_sel:DWORD
	v_cndmask_b32_e32 v55, 0, v57, vcc
	v_cmp_ne_u32_e32 vcc, 0, v31
	v_add_u16_e32 v58, v55, v26
	v_add_u16_e32 v26, v55, v26
	v_cndmask_b32_e64 v31, v56, 1, vcc
	v_lshlrev_b32_e32 v56, 16, v31
	v_or_b32_e32 v56, v56, v26
	v_mov_b32_e32 v26, v58
	v_mov_b32_e32 v55, v31
.LBB1374_193:                           ;   in Loop: Header=BB1374_184 Depth=1
	s_or_b64 exec, exec, s[60:61]
	s_waitcnt lgkmcnt(0)
	ds_bpermute_b32 v57, v39, v56
	v_cmp_le_u32_e32 vcc, v40, v30
	s_and_saveexec_b64 s[60:61], vcc
	s_cbranch_execz .LBB1374_195
; %bb.194:                              ;   in Loop: Header=BB1374_184 Depth=1
	v_cmp_eq_u16_e32 vcc, 0, v55
	v_and_b32_e32 v31, 1, v55
	s_waitcnt lgkmcnt(0)
	v_and_b32_sdwa v55, v57, v54 dst_sel:DWORD dst_unused:UNUSED_PAD src0_sel:WORD_1 src1_sel:DWORD
	v_cndmask_b32_e32 v56, 0, v57, vcc
	v_cmp_eq_u32_e32 vcc, 1, v31
	v_add_u16_e32 v58, v56, v26
	v_add_u16_e32 v26, v56, v26
	v_cndmask_b32_e64 v31, v55, 1, vcc
	v_lshlrev_b32_e32 v55, 16, v31
	v_or_b32_e32 v56, v55, v26
	v_mov_b32_e32 v26, v58
	v_mov_b32_e32 v55, v31
.LBB1374_195:                           ;   in Loop: Header=BB1374_184 Depth=1
	s_or_b64 exec, exec, s[60:61]
	s_waitcnt lgkmcnt(0)
	ds_bpermute_b32 v57, v41, v56
	v_cmp_le_u32_e32 vcc, v42, v30
	s_and_saveexec_b64 s[60:61], vcc
	s_cbranch_execz .LBB1374_197
; %bb.196:                              ;   in Loop: Header=BB1374_184 Depth=1
	v_cmp_eq_u16_e32 vcc, 0, v55
	v_and_b32_e32 v31, 1, v55
	s_waitcnt lgkmcnt(0)
	v_and_b32_sdwa v55, v57, v54 dst_sel:DWORD dst_unused:UNUSED_PAD src0_sel:WORD_1 src1_sel:DWORD
	v_cndmask_b32_e32 v56, 0, v57, vcc
	v_cmp_eq_u32_e32 vcc, 1, v31
	v_add_u16_e32 v58, v56, v26
	v_add_u16_e32 v26, v56, v26
	v_cndmask_b32_e64 v31, v55, 1, vcc
	v_lshlrev_b32_e32 v55, 16, v31
	v_or_b32_e32 v56, v55, v26
	v_mov_b32_e32 v26, v58
	v_mov_b32_e32 v55, v31
.LBB1374_197:                           ;   in Loop: Header=BB1374_184 Depth=1
	;; [unrolled: 21-line block ×4, first 2 shown]
	s_or_b64 exec, exec, s[60:61]
	ds_bpermute_b32 v56, v48, v56
	v_cmp_le_u32_e32 vcc, v52, v30
	s_and_saveexec_b64 s[60:61], vcc
	s_cbranch_execz .LBB1374_183
; %bb.202:                              ;   in Loop: Header=BB1374_184 Depth=1
	v_cmp_eq_u16_e32 vcc, 0, v55
	s_waitcnt lgkmcnt(0)
	v_lshrrev_b32_e32 v31, 16, v56
	v_cndmask_b32_e32 v30, 0, v56, vcc
	v_add_u16_e32 v26, v30, v26
	v_and_b32_e32 v30, 1, v55
	v_cmp_eq_u32_e32 vcc, 1, v30
	s_nop 1
	v_cndmask_b32_e64 v31, v31, 1, vcc
	s_branch .LBB1374_183
.LBB1374_203:                           ;   in Loop: Header=BB1374_184 Depth=1
                                        ; implicit-def: $vgpr30
                                        ; implicit-def: $vgpr26
	s_cbranch_execz .LBB1374_184
; %bb.204:
	s_and_saveexec_b64 s[60:61], s[50:51]
	s_cbranch_execz .LBB1374_206
; %bb.205:
	v_and_b32_e32 v23, 0xff0000, v22
	s_mov_b32 s3, 0
	v_cmp_eq_u32_e32 vcc, 0, v23
	v_and_b32_e32 v24, 0x10000, v22
	v_mov_b32_e32 v25, 1
	s_add_i32 s2, s2, 64
	v_cndmask_b32_e32 v23, 0, v49, vcc
	v_and_b32_sdwa v25, v47, v25 dst_sel:WORD_1 dst_unused:UNUSED_PAD src0_sel:DWORD src1_sel:DWORD
	v_mov_b32_e32 v26, 0x10000
	v_cmp_eq_u32_e32 vcc, 0, v24
	s_lshl_b64 s[2:3], s[2:3], 3
	s_add_u32 s2, s68, s2
	v_cndmask_b32_e32 v24, v26, v25, vcc
	v_add_u16_e32 v22, v23, v22
	s_addc_u32 s3, s69, s3
	v_mov_b32_e32 v25, 0
	v_or_b32_e32 v22, v24, v22
	v_mov_b32_e32 v23, 2
	global_store_dwordx2 v25, v[22:23], s[2:3] sc1
.LBB1374_206:
	s_or_b64 exec, exec, s[60:61]
	v_cmp_eq_u32_e32 vcc, 0, v0
	s_and_b64 exec, exec, vcc
	s_cbranch_execz .LBB1374_208
; %bb.207:
	v_mov_b32_e32 v22, 0
	ds_write_b16 v22, v49 offset:12
	ds_write_b8 v22, v47 offset:14
.LBB1374_208:
	s_or_b64 exec, exec, s[54:55]
	s_waitcnt lgkmcnt(0)
	v_lshrrev_b32_e32 v22, 16, v37
	v_mov_b32_e32 v24, 0
	s_mov_b32 s2, 0x10000
	v_cndmask_b32_e64 v22, v22, v36, s[50:51]
	v_cndmask_b32_e64 v23, v37, v35, s[50:51]
	s_barrier
	ds_read_b32 v25, v24 offset:12
	v_cmp_gt_u32_e32 vcc, s2, v1
	v_and_b32_e32 v26, 0x10000, v1
	v_and_b32_e32 v22, 1, v22
	v_cndmask_b32_e32 v23, 0, v23, vcc
	v_cmp_ne_u32_e32 vcc, 0, v26
	s_nop 1
	v_cndmask_b32_e64 v22, v22, 1, vcc
	v_cmp_eq_u32_e32 vcc, 0, v0
	s_nop 1
	v_cndmask_b32_e32 v22, v22, v34, vcc
	v_cndmask_b32_e64 v23, v23, 0, vcc
	v_cmp_eq_u16_sdwa vcc, v22, v24 src0_sel:BYTE_0 src1_sel:DWORD
	v_add_u16_e32 v23, v23, v1
	s_waitcnt lgkmcnt(0)
	v_cndmask_b32_e32 v22, 0, v25, vcc
	v_add_u16_e32 v47, v23, v22
	v_cndmask_b32_e64 v22, 0, v47, s[52:53]
	v_add_u16_e32 v22, v22, v50
	v_cndmask_b32_e64 v23, 0, v22, s[4:5]
	;; [unrolled: 2-line block ×23, first 2 shown]
	v_add_u16_e32 v46, v46, v32
	s_branch .LBB1374_239
.LBB1374_209:
                                        ; implicit-def: $vgpr47
                                        ; implicit-def: $vgpr22
                                        ; implicit-def: $vgpr23
                                        ; implicit-def: $vgpr24
                                        ; implicit-def: $vgpr25
                                        ; implicit-def: $vgpr26
                                        ; implicit-def: $vgpr27
                                        ; implicit-def: $vgpr29
                                        ; implicit-def: $vgpr28
                                        ; implicit-def: $vgpr30
                                        ; implicit-def: $vgpr31
                                        ; implicit-def: $vgpr34
                                        ; implicit-def: $vgpr35
                                        ; implicit-def: $vgpr36
                                        ; implicit-def: $vgpr37
                                        ; implicit-def: $vgpr39
                                        ; implicit-def: $vgpr38
                                        ; implicit-def: $vgpr40
                                        ; implicit-def: $vgpr41
                                        ; implicit-def: $vgpr42
                                        ; implicit-def: $vgpr43
                                        ; implicit-def: $vgpr44
                                        ; implicit-def: $vgpr45
                                        ; implicit-def: $vgpr46
	s_cbranch_execz .LBB1374_239
; %bb.210:
	s_cmp_lg_u64 s[74:75], 0
	s_cselect_b32 s5, s63, 0
	s_cselect_b32 s4, s62, 0
	s_cmp_lg_u64 s[4:5], 0
	s_cselect_b64 s[6:7], -1, 0
	v_cmp_eq_u32_e32 vcc, 0, v0
	v_cmp_ne_u32_e64 s[2:3], 0, v0
	s_and_b64 s[8:9], vcc, s[6:7]
	s_and_saveexec_b64 s[6:7], s[8:9]
	s_cbranch_execz .LBB1374_212
; %bb.211:
	v_mov_b32_e32 v22, 0
	global_load_ushort v23, v22, s[4:5]
	global_load_ubyte v24, v22, s[4:5] offset:2
	s_mov_b32 s4, 0x10000
	v_and_b32_e32 v22, 0x10000, v1
	v_mov_b32_e32 v25, 1
	v_cmp_gt_u32_e64 s[4:5], s4, v1
	v_mov_b32_e32 v26, 0x10000
	s_waitcnt vmcnt(0)
	v_and_b32_sdwa v24, v24, v25 dst_sel:WORD_1 dst_unused:UNUSED_PAD src0_sel:DWORD src1_sel:DWORD
	v_cndmask_b32_e64 v23, 0, v23, s[4:5]
	v_cmp_eq_u32_e64 s[4:5], 0, v22
	v_add_u16_e32 v1, v23, v1
	s_nop 0
	v_cndmask_b32_e64 v22, v26, v24, s[4:5]
	v_or_b32_e32 v1, v22, v1
.LBB1374_212:
	s_or_b64 exec, exec, s[6:7]
	s_mov_b32 s50, 0x10000
	v_cmp_gt_u32_e64 s[4:5], s50, v50
	v_cmp_gt_u32_e64 s[6:7], s50, v51
	;; [unrolled: 1-line block ×3, first 2 shown]
	v_cndmask_b32_e64 v22, 0, v1, s[4:5]
	v_add_u16_e32 v22, v22, v50
	v_cndmask_b32_e64 v23, 0, v22, s[6:7]
	v_add_u16_e32 v23, v23, v51
	;; [unrolled: 2-line block ×3, first 2 shown]
	v_cmp_gt_u32_e64 s[10:11], s50, v19
	v_cmp_gt_u32_e64 s[12:13], s50, v20
	v_bfe_u32 v28, v19, 16, 1
	v_cndmask_b32_e64 v25, 0, v24, s[10:11]
	v_add_u16_e32 v25, v25, v19
	v_mov_b32_e32 v52, 1
	v_cndmask_b32_e64 v26, 0, v25, s[12:13]
	v_lshlrev_b16_e32 v28, 1, v28
	v_and_b32_sdwa v29, v18, v52 dst_sel:DWORD dst_unused:UNUSED_PAD src0_sel:WORD_1 src1_sel:DWORD
	v_add_u16_e32 v26, v26, v20
	v_cmp_gt_u32_e64 s[14:15], s50, v21
	v_or_b32_e32 v28, v29, v28
	v_bfe_u32 v29, v21, 16, 1
	v_and_b32_sdwa v30, v20, v52 dst_sel:DWORD dst_unused:UNUSED_PAD src0_sel:WORD_1 src1_sel:DWORD
	v_cndmask_b32_e64 v27, 0, v26, s[14:15]
	v_lshlrev_b16_e32 v29, 3, v29
	v_lshlrev_b16_e32 v30, 2, v30
	v_add_u16_e32 v27, v27, v21
	v_or_b32_e32 v29, v29, v30
	v_cmp_gt_u32_e64 s[16:17], s50, v2
	v_or_b32_e32 v46, v28, v29
	v_cmp_gt_u32_e64 s[18:19], s50, v3
	v_cndmask_b32_e64 v28, 0, v27, s[16:17]
	v_add_u16_e32 v29, v28, v2
	v_cndmask_b32_e64 v28, 0, v29, s[18:19]
	v_bfe_u32 v48, v11, 16, 1
	v_add_u16_e32 v28, v28, v3
	v_cmp_gt_u32_e64 s[20:21], s50, v4
	v_lshlrev_b16_e32 v48, 1, v48
	v_and_b32_sdwa v49, v10, v52 dst_sel:DWORD dst_unused:UNUSED_PAD src0_sel:WORD_1 src1_sel:DWORD
	v_cndmask_b32_e64 v30, 0, v28, s[20:21]
	v_or_b32_e32 v48, v49, v48
	v_bfe_u32 v49, v13, 16, 1
	v_and_b32_sdwa v53, v12, v52 dst_sel:DWORD dst_unused:UNUSED_PAD src0_sel:WORD_1 src1_sel:DWORD
	v_add_u16_e32 v30, v30, v4
	v_cmp_gt_u32_e64 s[22:23], s50, v5
	v_lshlrev_b16_e32 v49, 3, v49
	v_lshlrev_b16_e32 v53, 2, v53
	v_cndmask_b32_e64 v31, 0, v30, s[22:23]
	v_or_b32_e32 v49, v49, v53
	v_add_u16_e32 v31, v31, v5
	v_cmp_gt_u32_e64 s[24:25], s50, v6
	v_or_b32_sdwa v48, v48, v49 dst_sel:BYTE_1 dst_unused:UNUSED_PAD src0_sel:DWORD src1_sel:DWORD
	v_bfe_u32 v49, v15, 16, 1
	v_cndmask_b32_e64 v34, 0, v31, s[24:25]
	v_lshlrev_b16_e32 v49, 1, v49
	v_and_b32_sdwa v53, v14, v52 dst_sel:DWORD dst_unused:UNUSED_PAD src0_sel:WORD_1 src1_sel:DWORD
	v_add_u16_e32 v34, v34, v6
	v_cmp_gt_u32_e64 s[26:27], s50, v7
	v_or_b32_e32 v49, v53, v49
	v_bfe_u32 v53, v17, 16, 1
	v_and_b32_sdwa v54, v16, v52 dst_sel:DWORD dst_unused:UNUSED_PAD src0_sel:WORD_1 src1_sel:DWORD
	v_cndmask_b32_e64 v35, 0, v34, s[26:27]
	v_lshlrev_b16_e32 v53, 3, v53
	v_lshlrev_b16_e32 v54, 2, v54
	v_add_u16_e32 v35, v35, v7
	v_cmp_gt_u32_e64 s[28:29], s50, v8
	v_or_b32_e32 v53, v53, v54
	v_or_b32_e32 v49, v49, v53
	v_cndmask_b32_e64 v36, 0, v35, s[28:29]
	v_add_u16_e32 v36, v36, v8
	v_cmp_gt_u32_e64 s[30:31], s50, v9
	v_lshlrev_b16_e32 v49, 12, v49
	v_or_b32_e32 v48, v49, v48
	v_cndmask_b32_e64 v37, 0, v36, s[30:31]
	v_bfe_u32 v49, v3, 16, 1
	v_add_u16_e32 v37, v37, v9
	v_cmp_gt_u32_e64 s[34:35], s50, v10
	v_lshlrev_b16_e32 v49, 1, v49
	v_and_b32_sdwa v53, v2, v52 dst_sel:DWORD dst_unused:UNUSED_PAD src0_sel:WORD_1 src1_sel:DWORD
	v_cndmask_b32_e64 v38, 0, v37, s[34:35]
	v_or_b32_e32 v49, v53, v49
	v_bfe_u32 v53, v5, 16, 1
	v_and_b32_sdwa v54, v4, v52 dst_sel:DWORD dst_unused:UNUSED_PAD src0_sel:WORD_1 src1_sel:DWORD
	v_add_u16_e32 v39, v38, v10
	v_cmp_gt_u32_e64 s[36:37], s50, v11
	v_lshlrev_b16_e32 v53, 3, v53
	v_lshlrev_b16_e32 v54, 2, v54
	v_cndmask_b32_e64 v38, 0, v39, s[36:37]
	v_or_b32_e32 v53, v53, v54
	v_add_u16_e32 v38, v38, v11
	v_cmp_gt_u32_e64 s[38:39], s50, v12
	v_or_b32_e32 v49, v49, v53
	v_bfe_u32 v53, v7, 16, 1
	v_cndmask_b32_e64 v40, 0, v38, s[38:39]
	v_lshlrev_b16_e32 v53, 1, v53
	v_and_b32_sdwa v54, v6, v52 dst_sel:DWORD dst_unused:UNUSED_PAD src0_sel:WORD_1 src1_sel:DWORD
	v_add_u16_e32 v40, v40, v12
	v_cmp_gt_u32_e64 s[40:41], s50, v13
	v_or_b32_e32 v53, v54, v53
	v_bfe_u32 v54, v9, 16, 1
	v_and_b32_sdwa v55, v8, v52 dst_sel:DWORD dst_unused:UNUSED_PAD src0_sel:WORD_1 src1_sel:DWORD
	v_cndmask_b32_e64 v41, 0, v40, s[40:41]
	v_lshlrev_b16_e32 v54, 3, v54
	v_lshlrev_b16_e32 v55, 2, v55
	v_add_u16_e32 v41, v41, v13
	v_cmp_gt_u32_e64 s[42:43], s50, v14
	v_or_b32_e32 v54, v54, v55
	v_or_b32_e32 v53, v53, v54
	v_cndmask_b32_e64 v42, 0, v41, s[42:43]
	v_add_u16_e32 v42, v42, v14
	v_cmp_gt_u32_e64 s[44:45], s50, v15
	v_lshlrev_b16_e32 v53, 4, v53
	v_or_b32_e32 v49, v49, v53
	v_cndmask_b32_e64 v43, 0, v42, s[44:45]
	v_add_u16_e32 v43, v43, v15
	v_cmp_gt_u32_e64 s[46:47], s50, v16
	v_or_b32_sdwa v49, v49, v48 dst_sel:DWORD dst_unused:UNUSED_PAD src0_sel:BYTE_0 src1_sel:DWORD
	v_or_b32_e32 v46, v49, v46
	v_cndmask_b32_e64 v44, 0, v43, s[46:47]
	v_add_u16_e32 v44, v44, v16
	v_cmp_gt_u32_e64 s[48:49], s50, v17
	v_cmp_ne_u16_e64 s[52:53], 0, v46
	v_or3_b32 v46, v51, v50, v32
	v_cndmask_b32_e64 v45, 0, v44, s[48:49]
	v_and_b32_e32 v46, 0x10000, v46
	v_add_u16_e32 v45, v45, v17
	v_cmp_gt_u32_e64 s[50:51], s50, v32
	v_cmp_ne_u32_e64 s[54:55], 0, v46
	v_lshrrev_b32_e32 v47, 16, v1
	v_cndmask_b32_e64 v53, 0, v45, s[50:51]
	s_or_b64 s[52:53], s[54:55], s[52:53]
	v_cndmask_b32_e64 v49, v47, 1, s[52:53]
	v_mbcnt_hi_u32_b32 v33, -1, v33
	v_add_u16_e32 v46, v53, v32
	v_add_u16_e32 v48, v53, v32
	v_and_b32_e32 v54, 15, v33
	v_lshl_or_b32 v53, v49, 16, v46
	v_cmp_ne_u32_e64 s[52:53], 0, v54
	s_nop 0
	v_mov_b32_dpp v55, v53 row_shr:1 row_mask:0xf bank_mask:0xf
	s_and_saveexec_b64 s[54:55], s[52:53]
; %bb.213:
	v_cmp_eq_u32_e64 s[52:53], 0, v49
	v_and_b32_e32 v49, 1, v49
	v_and_b32_sdwa v52, v55, v52 dst_sel:DWORD dst_unused:UNUSED_PAD src0_sel:WORD_1 src1_sel:DWORD
	v_cndmask_b32_e64 v53, 0, v55, s[52:53]
	v_cmp_eq_u32_e64 s[52:53], 1, v49
	v_add_u16_e32 v56, v48, v53
	v_add_u16_e32 v48, v48, v53
	v_cndmask_b32_e64 v49, v52, 1, s[52:53]
	v_lshlrev_b32_e32 v52, 16, v49
	v_or_b32_e32 v53, v52, v48
	v_mov_b32_e32 v48, v56
; %bb.214:
	s_or_b64 exec, exec, s[54:55]
	v_lshrrev_b32_e32 v52, 16, v53
	v_mov_b32_dpp v55, v53 row_shr:2 row_mask:0xf bank_mask:0xf
	v_cmp_lt_u32_e64 s[52:53], 1, v54
	s_and_saveexec_b64 s[54:55], s[52:53]
	s_cbranch_execz .LBB1374_216
; %bb.215:
	s_mov_b32 s52, 0x10000
	v_cmp_gt_u32_e64 s[52:53], s52, v53
	v_and_b32_e32 v49, 0x10000, v53
	v_mov_b32_e32 v53, 1
	v_cndmask_b32_e64 v52, 0, v55, s[52:53]
	v_and_b32_sdwa v53, v55, v53 dst_sel:DWORD dst_unused:UNUSED_PAD src0_sel:WORD_1 src1_sel:DWORD
	v_cmp_ne_u32_e64 s[52:53], 0, v49
	v_add_u16_e32 v56, v52, v48
	v_add_u16_e32 v48, v52, v48
	v_cndmask_b32_e64 v49, v53, 1, s[52:53]
	v_lshlrev_b32_e32 v53, 16, v49
	v_or_b32_e32 v53, v53, v48
	v_mov_b32_e32 v52, v49
	v_mov_b32_e32 v48, v56
.LBB1374_216:
	s_or_b64 exec, exec, s[54:55]
	v_mov_b32_dpp v55, v53 row_shr:4 row_mask:0xf bank_mask:0xf
	v_cmp_lt_u32_e64 s[52:53], 3, v54
	s_and_saveexec_b64 s[54:55], s[52:53]
	s_cbranch_execz .LBB1374_218
; %bb.217:
	v_mov_b32_e32 v49, 0
	v_cmp_eq_u16_sdwa s[52:53], v52, v49 src0_sel:BYTE_0 src1_sel:DWORD
	v_and_b32_e32 v49, 1, v52
	v_mov_b32_e32 v52, 1
	v_cndmask_b32_e64 v53, 0, v55, s[52:53]
	v_and_b32_sdwa v52, v55, v52 dst_sel:DWORD dst_unused:UNUSED_PAD src0_sel:WORD_1 src1_sel:DWORD
	v_cmp_eq_u32_e64 s[52:53], 1, v49
	v_add_u16_e32 v56, v53, v48
	v_add_u16_e32 v48, v53, v48
	v_cndmask_b32_e64 v49, v52, 1, s[52:53]
	v_lshlrev_b32_e32 v52, 16, v49
	v_or_b32_e32 v53, v52, v48
	v_mov_b32_e32 v52, v49
	v_mov_b32_e32 v48, v56
.LBB1374_218:
	s_or_b64 exec, exec, s[54:55]
	v_mov_b32_dpp v55, v53 row_shr:8 row_mask:0xf bank_mask:0xf
	v_cmp_lt_u32_e64 s[52:53], 7, v54
	s_and_saveexec_b64 s[54:55], s[52:53]
	s_cbranch_execz .LBB1374_220
; %bb.219:
	v_mov_b32_e32 v49, 0
	v_cmp_eq_u16_sdwa s[52:53], v52, v49 src0_sel:BYTE_0 src1_sel:DWORD
	v_and_b32_e32 v49, 1, v52
	v_mov_b32_e32 v52, 1
	v_cndmask_b32_e64 v53, 0, v55, s[52:53]
	v_and_b32_sdwa v52, v55, v52 dst_sel:DWORD dst_unused:UNUSED_PAD src0_sel:WORD_1 src1_sel:DWORD
	v_cmp_eq_u32_e64 s[52:53], 1, v49
	v_add_u16_e32 v54, v53, v48
	v_add_u16_e32 v48, v53, v48
	v_cndmask_b32_e64 v49, v52, 1, s[52:53]
	v_lshlrev_b32_e32 v52, 16, v49
	v_or_b32_e32 v53, v52, v48
	v_mov_b32_e32 v52, v49
	v_mov_b32_e32 v48, v54
.LBB1374_220:
	s_or_b64 exec, exec, s[54:55]
	v_and_b32_e32 v55, 16, v33
	v_mov_b32_dpp v54, v53 row_bcast:15 row_mask:0xf bank_mask:0xf
	v_cmp_ne_u32_e64 s[52:53], 0, v55
	s_and_saveexec_b64 s[54:55], s[52:53]
	s_cbranch_execz .LBB1374_222
; %bb.221:
	v_mov_b32_e32 v49, 0
	v_cmp_eq_u16_sdwa s[52:53], v52, v49 src0_sel:BYTE_0 src1_sel:DWORD
	v_and_b32_e32 v49, 1, v52
	v_mov_b32_e32 v52, 1
	v_cndmask_b32_e64 v53, 0, v54, s[52:53]
	v_and_b32_sdwa v52, v54, v52 dst_sel:DWORD dst_unused:UNUSED_PAD src0_sel:WORD_1 src1_sel:DWORD
	v_cmp_eq_u32_e64 s[52:53], 1, v49
	v_add_u16_e32 v55, v53, v48
	v_add_u16_e32 v48, v53, v48
	v_cndmask_b32_e64 v49, v52, 1, s[52:53]
	v_lshlrev_b32_e32 v52, 16, v49
	v_or_b32_e32 v53, v52, v48
	v_mov_b32_e32 v48, v55
	v_mov_b32_e32 v52, v49
.LBB1374_222:
	s_or_b64 exec, exec, s[54:55]
	v_mov_b32_dpp v53, v53 row_bcast:31 row_mask:0xf bank_mask:0xf
	v_cmp_lt_u32_e64 s[52:53], 31, v33
	s_and_saveexec_b64 s[54:55], s[52:53]
; %bb.223:
	v_mov_b32_e32 v49, 0
	v_cmp_eq_u16_sdwa s[52:53], v52, v49 src0_sel:BYTE_0 src1_sel:DWORD
	s_nop 1
	v_cndmask_b32_e64 v49, 0, v53, s[52:53]
	v_add_u16_e32 v48, v49, v48
	v_and_b32_e32 v49, 1, v52
	v_mov_b32_e32 v52, 1
	v_and_b32_sdwa v52, v53, v52 dst_sel:DWORD dst_unused:UNUSED_PAD src0_sel:WORD_1 src1_sel:DWORD
	v_cmp_eq_u32_e64 s[52:53], 1, v49
	s_nop 1
	v_cndmask_b32_e64 v49, v52, 1, s[52:53]
; %bb.224:
	s_or_b64 exec, exec, s[54:55]
	v_or_b32_e32 v53, 63, v0
	v_lshrrev_b32_e32 v52, 6, v0
	v_cmp_eq_u32_e64 s[52:53], v53, v0
	s_and_saveexec_b64 s[54:55], s[52:53]
	s_cbranch_execz .LBB1374_226
; %bb.225:
	v_lshlrev_b32_e32 v53, 2, v52
	ds_write_b16 v53, v48
	ds_write_b8 v53, v49 offset:2
.LBB1374_226:
	s_or_b64 exec, exec, s[54:55]
	v_cmp_gt_u32_e64 s[52:53], 4, v0
	s_waitcnt lgkmcnt(0)
	s_barrier
	s_and_saveexec_b64 s[54:55], s[52:53]
	s_cbranch_execz .LBB1374_232
; %bb.227:
	v_lshlrev_b32_e32 v53, 2, v0
	ds_read_b32 v54, v53
	v_and_b32_e32 v57, 3, v33
	v_cmp_ne_u32_e64 s[52:53], 0, v57
	s_waitcnt lgkmcnt(0)
	v_lshrrev_b32_e32 v56, 16, v54
	v_mov_b32_dpp v58, v54 row_shr:1 row_mask:0xf bank_mask:0xf
	v_mov_b32_e32 v55, v54
	s_and_saveexec_b64 s[60:61], s[52:53]
	s_cbranch_execz .LBB1374_229
; %bb.228:
	v_mov_b32_e32 v55, 0
	v_cmp_eq_u16_sdwa s[52:53], v56, v55 src0_sel:BYTE_0 src1_sel:DWORD
	v_and_b32_e32 v56, 0x10000, v54
	v_mov_b32_e32 v61, 1
	v_cndmask_b32_e64 v60, 0, v58, s[52:53]
	v_and_b32_sdwa v58, v58, v61 dst_sel:DWORD dst_unused:UNUSED_PAD src0_sel:WORD_1 src1_sel:DWORD
	v_cmp_ne_u32_e64 s[52:53], 0, v56
	v_and_b32_e32 v59, 0xff000000, v54
	v_add_u16_e32 v55, v60, v54
	v_cndmask_b32_e64 v56, v58, 1, s[52:53]
	v_lshlrev_b32_e32 v58, 16, v56
	v_add_u16_e32 v54, v60, v54
	v_or3_b32 v54, v58, v59, v54
.LBB1374_229:
	s_or_b64 exec, exec, s[60:61]
	s_nop 0
	v_mov_b32_dpp v58, v54 row_shr:2 row_mask:0xf bank_mask:0xf
	v_cmp_lt_u32_e64 s[52:53], 1, v57
	s_and_saveexec_b64 s[60:61], s[52:53]
; %bb.230:
	v_and_b32_e32 v56, 0xff0000, v54
	v_cmp_eq_u32_e64 s[52:53], 0, v56
	v_and_b32_e32 v54, 0x10000, v54
	s_nop 0
	v_cndmask_b32_e64 v56, 0, v58, s[52:53]
	v_add_u16_e32 v55, v56, v55
	v_mov_b32_e32 v56, 1
	v_and_b32_sdwa v56, v58, v56 dst_sel:DWORD dst_unused:UNUSED_PAD src0_sel:WORD_1 src1_sel:DWORD
	v_cmp_eq_u32_e64 s[52:53], 0, v54
	s_nop 1
	v_cndmask_b32_e64 v56, 1, v56, s[52:53]
; %bb.231:
	s_or_b64 exec, exec, s[60:61]
	ds_write_b16 v53, v55
	ds_write_b8 v53, v56 offset:2
.LBB1374_232:
	s_or_b64 exec, exec, s[54:55]
	v_cmp_lt_u32_e64 s[52:53], 63, v0
	v_mov_b32_e32 v53, 0
	s_waitcnt lgkmcnt(0)
	s_barrier
	s_and_saveexec_b64 s[54:55], s[52:53]
	s_cbranch_execz .LBB1374_234
; %bb.233:
	v_lshl_add_u32 v52, v52, 2, -4
	ds_read_u16 v53, v52
	ds_read_u8 v52, v52 offset:2
	v_mov_b32_e32 v54, 0
	v_and_b32_e32 v55, 1, v49
	v_cmp_eq_u16_sdwa s[52:53], v49, v54 src0_sel:BYTE_0 src1_sel:DWORD
	s_waitcnt lgkmcnt(1)
	s_nop 0
	v_cndmask_b32_e64 v49, 0, v53, s[52:53]
	v_cmp_eq_u32_e64 s[52:53], 1, v55
	v_add_u16_e32 v48, v49, v48
	s_waitcnt lgkmcnt(0)
	v_cndmask_b32_e64 v49, v52, 1, s[52:53]
.LBB1374_234:
	s_or_b64 exec, exec, s[54:55]
	v_and_b32_e32 v49, 0xff, v49
	v_and_b32_e32 v48, 0xffff, v48
	v_lshl_or_b32 v48, v49, 16, v48
	v_add_u32_e32 v49, -1, v33
	v_and_b32_e32 v52, 64, v33
	v_cmp_lt_i32_e64 s[52:53], v49, v52
	s_nop 1
	v_cndmask_b32_e64 v49, v49, v33, s[52:53]
	v_lshlrev_b32_e32 v49, 2, v49
	ds_bpermute_b32 v48, v49, v48
	s_and_saveexec_b64 s[52:53], s[2:3]
	s_cbranch_execz .LBB1374_236
; %bb.235:
	v_cmp_eq_u32_e64 s[2:3], 0, v33
	v_and_b32_e32 v23, 0xff0000, v1
	v_mov_b32_e32 v47, 0
	s_waitcnt lgkmcnt(0)
	v_cndmask_b32_e64 v22, v48, v53, s[2:3]
	v_and_b32_e32 v22, 0xffff, v22
	v_cmp_eq_u32_e64 s[2:3], 0, v23
	;;#ASMSTART
	;;#ASMEND
	s_nop 1
	v_cndmask_b32_e64 v22, 0, v22, s[2:3]
	v_add_u32_e32 v1, v22, v1
	v_cndmask_b32_e64 v22, 0, v1, s[4:5]
	v_add_u16_e32 v22, v22, v50
	v_cndmask_b32_e64 v23, 0, v22, s[6:7]
	v_add_u16_e32 v23, v23, v51
	;; [unrolled: 2-line block ×23, first 2 shown]
.LBB1374_236:
	s_or_b64 exec, exec, s[52:53]
	s_and_saveexec_b64 s[2:3], vcc
	s_cbranch_execz .LBB1374_238
; %bb.237:
	v_mov_b32_e32 v4, 0
	ds_read_u8 v2, v4 offset:14
	ds_read_u16 v3, v4 offset:12
	s_waitcnt lgkmcnt(1)
	v_lshlrev_b32_e32 v2, 16, v2
	s_waitcnt lgkmcnt(0)
	v_or_b32_e32 v2, v2, v3
	v_mov_b32_e32 v3, 2
	global_store_dwordx2 v4, v[2:3], s[68:69] offset:512 sc1
.LBB1374_238:
	s_or_b64 exec, exec, s[2:3]
	v_lshl_or_b32 v47, v47, 16, v1
.LBB1374_239:
	s_add_u32 s2, s58, s72
	s_addc_u32 s3, s59, s73
	s_add_u32 s2, s2, s56
	s_addc_u32 s3, s3, s57
	s_and_b64 vcc, exec, s[0:1]
	v_mul_u32_u24_e32 v6, 24, v0
	s_cbranch_vccz .LBB1374_291
; %bb.240:
	s_add_i32 s33, s33, s70
	v_cmp_le_u32_e32 vcc, s33, v6
                                        ; implicit-def: $vgpr1
                                        ; implicit-def: $vgpr2
                                        ; implicit-def: $vgpr3
                                        ; implicit-def: $vgpr4
                                        ; implicit-def: $vgpr5
                                        ; implicit-def: $vgpr7
                                        ; implicit-def: $vgpr8
	s_and_saveexec_b64 s[0:1], vcc
	s_xor_b64 s[0:1], exec, s[0:1]
; %bb.241:
	v_or_b32_e32 v1, 1, v6
	v_or_b32_e32 v2, 2, v6
	v_or_b32_e32 v3, 3, v6
	v_or_b32_e32 v4, 4, v6
	v_or_b32_e32 v5, 5, v6
	v_or_b32_e32 v7, 6, v6
	v_or_b32_e32 v8, 7, v6
; %bb.242:
	s_andn2_saveexec_b64 s[0:1], s[0:1]
; %bb.243:
	v_or_b32_e32 v1, 1, v6
	v_or_b32_e32 v2, 2, v6
	;; [unrolled: 1-line block ×7, first 2 shown]
; %bb.244:
	s_or_b64 exec, exec, s[0:1]
	v_lshlrev_b32_e32 v50, 1, v6
	v_lshlrev_b32_e32 v1, 1, v1
	s_waitcnt lgkmcnt(0)
	s_barrier
	ds_write_b16 v50, v47
	ds_write_b16 v1, v22
	v_lshlrev_b32_e32 v1, 1, v2
	ds_write_b16 v1, v23
	v_lshlrev_b32_e32 v1, 1, v3
	ds_write_b16 v1, v24
	v_lshlrev_b32_e32 v1, 1, v4
	ds_write_b16 v1, v25
	v_lshlrev_b32_e32 v1, 1, v5
	ds_write_b16 v1, v26
	v_lshlrev_b32_e32 v1, 1, v7
	s_mov_b32 s0, 0x5040100
	ds_write_b16 v1, v27
	v_lshlrev_b32_e32 v1, 1, v8
	v_perm_b32 v5, v39, v37, s0
	v_perm_b32 v4, v36, v35, s0
	;; [unrolled: 1-line block ×4, first 2 shown]
	ds_write_b16 v1, v29
	ds_write_b128 v50, v[2:5] offset:16
	v_perm_b32 v5, v46, v45, s0
	v_perm_b32 v4, v44, v43, s0
	;; [unrolled: 1-line block ×4, first 2 shown]
	s_movk_i32 s0, 0xffd2
	ds_write_b128 v50, v[2:5] offset:32
	v_mad_i32_i24 v2, v0, s0, v50
	s_waitcnt lgkmcnt(0)
	s_barrier
	ds_read_u16 v53, v2 offset:512
	ds_read_u16 v52, v2 offset:1024
	;; [unrolled: 1-line block ×23, first 2 shown]
	v_mov_b32_e32 v3, 0
	v_lshlrev_b32_e32 v2, 1, v0
	v_lshl_add_u64 v[4:5], s[2:3], 0, v[2:3]
	v_cmp_gt_u32_e32 vcc, s33, v0
	s_and_saveexec_b64 s[0:1], vcc
	s_cbranch_execz .LBB1374_246
; %bb.245:
	v_mul_i32_i24_e32 v2, 0xffffffd2, v0
	v_add_u32_e32 v2, v50, v2
	ds_read_u16 v2, v2
	s_waitcnt lgkmcnt(0)
	flat_store_short v[4:5], v2
.LBB1374_246:
	s_or_b64 exec, exec, s[0:1]
	v_or_b32_e32 v2, 0x100, v0
	v_cmp_gt_u32_e32 vcc, s33, v2
	s_and_saveexec_b64 s[0:1], vcc
	s_cbranch_execz .LBB1374_248
; %bb.247:
	s_waitcnt lgkmcnt(0)
	flat_store_short v[4:5], v53 offset:512
.LBB1374_248:
	s_or_b64 exec, exec, s[0:1]
	v_or_b32_e32 v2, 0x200, v0
	v_cmp_gt_u32_e32 vcc, s33, v2
	s_and_saveexec_b64 s[0:1], vcc
	s_cbranch_execz .LBB1374_250
; %bb.249:
	s_waitcnt lgkmcnt(0)
	flat_store_short v[4:5], v52 offset:1024
.LBB1374_250:
	s_or_b64 exec, exec, s[0:1]
	v_or_b32_e32 v2, 0x300, v0
	v_cmp_gt_u32_e32 vcc, s33, v2
	s_and_saveexec_b64 s[0:1], vcc
	s_cbranch_execz .LBB1374_252
; %bb.251:
	s_waitcnt lgkmcnt(0)
	flat_store_short v[4:5], v51 offset:1536
.LBB1374_252:
	s_or_b64 exec, exec, s[0:1]
	v_or_b32_e32 v2, 0x400, v0
	v_cmp_gt_u32_e32 vcc, s33, v2
	s_and_saveexec_b64 s[0:1], vcc
	s_cbranch_execz .LBB1374_254
; %bb.253:
	s_waitcnt lgkmcnt(0)
	flat_store_short v[4:5], v49 offset:2048
.LBB1374_254:
	s_or_b64 exec, exec, s[0:1]
	v_or_b32_e32 v2, 0x500, v0
	v_cmp_gt_u32_e32 vcc, s33, v2
	s_and_saveexec_b64 s[0:1], vcc
	s_cbranch_execz .LBB1374_256
; %bb.255:
	s_waitcnt lgkmcnt(0)
	flat_store_short v[4:5], v48 offset:2560
.LBB1374_256:
	s_or_b64 exec, exec, s[0:1]
	v_or_b32_e32 v2, 0x600, v0
	v_cmp_gt_u32_e32 vcc, s33, v2
	s_and_saveexec_b64 s[0:1], vcc
	s_cbranch_execz .LBB1374_258
; %bb.257:
	s_waitcnt lgkmcnt(0)
	flat_store_short v[4:5], v33 offset:3072
.LBB1374_258:
	s_or_b64 exec, exec, s[0:1]
	v_or_b32_e32 v2, 0x700, v0
	v_cmp_gt_u32_e32 vcc, s33, v2
	s_and_saveexec_b64 s[0:1], vcc
	s_cbranch_execz .LBB1374_260
; %bb.259:
	s_waitcnt lgkmcnt(0)
	flat_store_short v[4:5], v32 offset:3584
.LBB1374_260:
	s_or_b64 exec, exec, s[0:1]
	v_or_b32_e32 v2, 0x800, v0
	v_cmp_gt_u32_e32 vcc, s33, v2
	s_and_saveexec_b64 s[0:1], vcc
	s_cbranch_execz .LBB1374_262
; %bb.261:
	s_waitcnt lgkmcnt(0)
	v_add_co_u32_e32 v32, vcc, 0x1000, v4
	s_nop 1
	v_addc_co_u32_e32 v33, vcc, 0, v5, vcc
	flat_store_short v[32:33], v21
.LBB1374_262:
	s_or_b64 exec, exec, s[0:1]
	v_or_b32_e32 v2, 0x900, v0
	v_cmp_gt_u32_e32 vcc, s33, v2
	s_and_saveexec_b64 s[0:1], vcc
	s_cbranch_execz .LBB1374_264
; %bb.263:
	s_waitcnt lgkmcnt(0)
	v_add_co_u32_e32 v32, vcc, 0x1000, v4
	s_nop 1
	v_addc_co_u32_e32 v33, vcc, 0, v5, vcc
	flat_store_short v[32:33], v20 offset:512
.LBB1374_264:
	s_or_b64 exec, exec, s[0:1]
	v_or_b32_e32 v2, 0xa00, v0
	v_cmp_gt_u32_e32 vcc, s33, v2
	s_and_saveexec_b64 s[0:1], vcc
	s_cbranch_execz .LBB1374_266
; %bb.265:
	s_waitcnt lgkmcnt(0)
	v_add_co_u32_e32 v20, vcc, 0x1000, v4
	s_nop 1
	v_addc_co_u32_e32 v21, vcc, 0, v5, vcc
	flat_store_short v[20:21], v19 offset:1024
.LBB1374_266:
	s_or_b64 exec, exec, s[0:1]
	v_or_b32_e32 v2, 0xb00, v0
	v_cmp_gt_u32_e32 vcc, s33, v2
	s_and_saveexec_b64 s[0:1], vcc
	s_cbranch_execz .LBB1374_268
; %bb.267:
	s_waitcnt lgkmcnt(0)
	v_add_co_u32_e32 v20, vcc, 0x1000, v4
	s_nop 1
	v_addc_co_u32_e32 v21, vcc, 0, v5, vcc
	flat_store_short v[20:21], v18 offset:1536
.LBB1374_268:
	s_or_b64 exec, exec, s[0:1]
	v_or_b32_e32 v2, 0xc00, v0
	v_cmp_gt_u32_e32 vcc, s33, v2
	s_and_saveexec_b64 s[0:1], vcc
	s_cbranch_execz .LBB1374_270
; %bb.269:
	s_waitcnt lgkmcnt(0)
	v_add_co_u32_e32 v18, vcc, 0x1000, v4
	s_nop 1
	v_addc_co_u32_e32 v19, vcc, 0, v5, vcc
	flat_store_short v[18:19], v17 offset:2048
.LBB1374_270:
	s_or_b64 exec, exec, s[0:1]
	v_or_b32_e32 v2, 0xd00, v0
	v_cmp_gt_u32_e32 vcc, s33, v2
	s_and_saveexec_b64 s[0:1], vcc
	s_cbranch_execz .LBB1374_272
; %bb.271:
	s_waitcnt lgkmcnt(0)
	v_add_co_u32_e32 v18, vcc, 0x1000, v4
	s_nop 1
	v_addc_co_u32_e32 v19, vcc, 0, v5, vcc
	flat_store_short v[18:19], v16 offset:2560
.LBB1374_272:
	s_or_b64 exec, exec, s[0:1]
	v_or_b32_e32 v2, 0xe00, v0
	v_cmp_gt_u32_e32 vcc, s33, v2
	s_and_saveexec_b64 s[0:1], vcc
	s_cbranch_execz .LBB1374_274
; %bb.273:
	s_waitcnt lgkmcnt(0)
	v_add_co_u32_e32 v16, vcc, 0x1000, v4
	s_nop 1
	v_addc_co_u32_e32 v17, vcc, 0, v5, vcc
	flat_store_short v[16:17], v15 offset:3072
.LBB1374_274:
	s_or_b64 exec, exec, s[0:1]
	v_or_b32_e32 v2, 0xf00, v0
	v_cmp_gt_u32_e32 vcc, s33, v2
	s_and_saveexec_b64 s[0:1], vcc
	s_cbranch_execz .LBB1374_276
; %bb.275:
	s_waitcnt lgkmcnt(0)
	v_add_co_u32_e32 v16, vcc, 0x1000, v4
	s_nop 1
	v_addc_co_u32_e32 v17, vcc, 0, v5, vcc
	flat_store_short v[16:17], v14 offset:3584
.LBB1374_276:
	s_or_b64 exec, exec, s[0:1]
	v_or_b32_e32 v2, 0x1000, v0
	v_cmp_gt_u32_e32 vcc, s33, v2
	s_and_saveexec_b64 s[0:1], vcc
	s_cbranch_execz .LBB1374_278
; %bb.277:
	s_waitcnt lgkmcnt(0)
	v_add_co_u32_e32 v14, vcc, 0x2000, v4
	s_nop 1
	v_addc_co_u32_e32 v15, vcc, 0, v5, vcc
	flat_store_short v[14:15], v13
.LBB1374_278:
	s_or_b64 exec, exec, s[0:1]
	v_or_b32_e32 v2, 0x1100, v0
	v_cmp_gt_u32_e32 vcc, s33, v2
	s_and_saveexec_b64 s[0:1], vcc
	s_cbranch_execz .LBB1374_280
; %bb.279:
	s_waitcnt lgkmcnt(0)
	v_add_co_u32_e32 v14, vcc, 0x2000, v4
	s_nop 1
	v_addc_co_u32_e32 v15, vcc, 0, v5, vcc
	flat_store_short v[14:15], v12 offset:512
.LBB1374_280:
	s_or_b64 exec, exec, s[0:1]
	v_or_b32_e32 v2, 0x1200, v0
	v_cmp_gt_u32_e32 vcc, s33, v2
	s_and_saveexec_b64 s[0:1], vcc
	s_cbranch_execz .LBB1374_282
; %bb.281:
	s_waitcnt lgkmcnt(0)
	v_add_co_u32_e32 v12, vcc, 0x2000, v4
	s_nop 1
	v_addc_co_u32_e32 v13, vcc, 0, v5, vcc
	flat_store_short v[12:13], v11 offset:1024
.LBB1374_282:
	s_or_b64 exec, exec, s[0:1]
	v_or_b32_e32 v2, 0x1300, v0
	v_cmp_gt_u32_e32 vcc, s33, v2
	s_and_saveexec_b64 s[0:1], vcc
	s_cbranch_execz .LBB1374_284
; %bb.283:
	s_waitcnt lgkmcnt(0)
	v_add_co_u32_e32 v12, vcc, 0x2000, v4
	s_nop 1
	v_addc_co_u32_e32 v13, vcc, 0, v5, vcc
	flat_store_short v[12:13], v10 offset:1536
.LBB1374_284:
	s_or_b64 exec, exec, s[0:1]
	v_or_b32_e32 v2, 0x1400, v0
	v_cmp_gt_u32_e32 vcc, s33, v2
	s_and_saveexec_b64 s[0:1], vcc
	s_cbranch_execz .LBB1374_286
; %bb.285:
	s_waitcnt lgkmcnt(0)
	v_add_co_u32_e32 v10, vcc, 0x2000, v4
	s_nop 1
	v_addc_co_u32_e32 v11, vcc, 0, v5, vcc
	flat_store_short v[10:11], v9 offset:2048
.LBB1374_286:
	s_or_b64 exec, exec, s[0:1]
	v_or_b32_e32 v2, 0x1500, v0
	v_cmp_gt_u32_e32 vcc, s33, v2
	s_and_saveexec_b64 s[0:1], vcc
	s_cbranch_execz .LBB1374_288
; %bb.287:
	s_waitcnt lgkmcnt(0)
	v_add_co_u32_e32 v10, vcc, 0x2000, v4
	s_nop 1
	v_addc_co_u32_e32 v11, vcc, 0, v5, vcc
	flat_store_short v[10:11], v8 offset:2560
.LBB1374_288:
	s_or_b64 exec, exec, s[0:1]
	v_or_b32_e32 v2, 0x1600, v0
	v_cmp_gt_u32_e32 vcc, s33, v2
	s_and_saveexec_b64 s[0:1], vcc
	s_cbranch_execz .LBB1374_290
; %bb.289:
	v_add_co_u32_e32 v4, vcc, 0x2000, v4
	s_nop 1
	v_addc_co_u32_e32 v5, vcc, 0, v5, vcc
	s_waitcnt lgkmcnt(0)
	flat_store_short v[4:5], v1 offset:3072
.LBB1374_290:
	s_or_b64 exec, exec, s[0:1]
	v_or_b32_e32 v2, 0x1700, v0
	s_waitcnt lgkmcnt(0)
	v_mov_b32_e32 v1, v3
	v_cmp_gt_u32_e64 s[0:1], s33, v2
	s_branch .LBB1374_293
.LBB1374_291:
	s_mov_b64 s[0:1], 0
                                        ; implicit-def: $vgpr7
	s_cbranch_execz .LBB1374_293
; %bb.292:
	s_mov_b32 s4, 0x5040100
	v_lshlrev_b32_e32 v6, 1, v6
	v_perm_b32 v5, v29, v27, s4
	v_perm_b32 v4, v26, v25, s4
	;; [unrolled: 1-line block ×4, first 2 shown]
	s_waitcnt lgkmcnt(0)
	s_barrier
	ds_write_b128 v6, v[2:5]
	v_perm_b32 v5, v39, v37, s4
	v_perm_b32 v4, v36, v35, s4
	;; [unrolled: 1-line block ×4, first 2 shown]
	ds_write_b128 v6, v[2:5] offset:16
	v_perm_b32 v4, v44, v43, s4
	v_perm_b32 v3, v42, v41, s4
	v_perm_b32 v2, v40, v38, s4
	v_perm_b32 v5, v46, v45, s4
	s_movk_i32 s4, 0xffd2
	ds_write_b128 v6, v[2:5] offset:32
	v_mov_b32_e32 v1, 0
	v_mad_i32_i24 v2, v0, s4, v6
	s_waitcnt lgkmcnt(0)
	s_barrier
	ds_read_u16 v4, v2
	ds_read_u16 v5, v2 offset:512
	ds_read_u16 v6, v2 offset:1024
	;; [unrolled: 1-line block ×23, first 2 shown]
	v_lshlrev_b32_e32 v2, 1, v0
	v_mov_b32_e32 v3, v1
	v_lshl_add_u64 v[2:3], s[2:3], 0, v[2:3]
	s_movk_i32 s4, 0x1000
	s_waitcnt lgkmcnt(0)
	flat_store_short v[2:3], v4
	flat_store_short v[2:3], v5 offset:512
	flat_store_short v[2:3], v6 offset:1024
	;; [unrolled: 1-line block ×7, first 2 shown]
	v_add_co_u32_e32 v4, vcc, s4, v2
	s_or_b64 s[0:1], s[0:1], exec
	s_nop 0
	v_addc_co_u32_e32 v5, vcc, 0, v3, vcc
	v_add_co_u32_e32 v2, vcc, 0x2000, v2
	flat_store_short v[4:5], v13
	flat_store_short v[4:5], v14 offset:512
	flat_store_short v[4:5], v15 offset:1024
	flat_store_short v[4:5], v16 offset:1536
	flat_store_short v[4:5], v17 offset:2048
	flat_store_short v[4:5], v18 offset:2560
	flat_store_short v[4:5], v19 offset:3072
	flat_store_short v[4:5], v20 offset:3584
	v_addc_co_u32_e32 v3, vcc, 0, v3, vcc
	flat_store_short v[2:3], v21
	flat_store_short v[2:3], v22 offset:512
	flat_store_short v[2:3], v23 offset:1024
	;; [unrolled: 1-line block ×6, first 2 shown]
.LBB1374_293:
	s_and_saveexec_b64 s[4:5], s[0:1]
	s_cbranch_execnz .LBB1374_295
; %bb.294:
	s_endpgm
.LBB1374_295:
	v_lshl_add_u64 v[0:1], v[0:1], 1, s[2:3]
	v_add_co_u32_e32 v0, vcc, 0x2000, v0
	s_nop 1
	v_addc_co_u32_e32 v1, vcc, 0, v1, vcc
	flat_store_short v[0:1], v7 offset:3584
	s_endpgm
.LBB1374_296:
	v_lshlrev_b32_e32 v2, 1, v0
	v_lshl_add_u64 v[2:3], s[54:55], 0, v[2:3]
	flat_load_ushort v2, v[2:3]
	s_or_b64 exec, exec, s[60:61]
                                        ; implicit-def: $vgpr3
	s_and_saveexec_b64 s[52:53], s[4:5]
	s_cbranch_execz .LBB1374_57
.LBB1374_297:
	v_lshlrev_b32_e32 v20, 1, v0
	v_mov_b32_e32 v21, 0
	v_lshl_add_u64 v[20:21], s[54:55], 0, v[20:21]
	flat_load_ushort v3, v[20:21] offset:512
	s_or_b64 exec, exec, s[52:53]
                                        ; implicit-def: $vgpr20
	s_and_saveexec_b64 s[4:5], s[6:7]
	s_cbranch_execz .LBB1374_58
.LBB1374_298:
	v_lshlrev_b32_e32 v20, 1, v0
	v_mov_b32_e32 v21, 0
	v_lshl_add_u64 v[20:21], s[54:55], 0, v[20:21]
	flat_load_ushort v20, v[20:21] offset:1024
	s_or_b64 exec, exec, s[4:5]
                                        ; implicit-def: $vgpr21
	s_and_saveexec_b64 s[4:5], s[8:9]
	s_cbranch_execz .LBB1374_59
.LBB1374_299:
	v_lshlrev_b32_e32 v48, 1, v0
	v_mov_b32_e32 v49, 0
	v_lshl_add_u64 v[48:49], s[54:55], 0, v[48:49]
	flat_load_ushort v21, v[48:49] offset:1536
	s_or_b64 exec, exec, s[4:5]
                                        ; implicit-def: $vgpr47
	s_and_saveexec_b64 s[4:5], s[10:11]
	s_cbranch_execz .LBB1374_60
.LBB1374_300:
	v_lshlrev_b32_e32 v48, 1, v0
	v_mov_b32_e32 v49, 0
	v_lshl_add_u64 v[48:49], s[54:55], 0, v[48:49]
	flat_load_ushort v47, v[48:49] offset:2048
	s_or_b64 exec, exec, s[4:5]
                                        ; implicit-def: $vgpr48
	s_and_saveexec_b64 s[4:5], s[12:13]
	s_cbranch_execz .LBB1374_61
.LBB1374_301:
	v_lshlrev_b32_e32 v48, 1, v0
	v_mov_b32_e32 v49, 0
	v_lshl_add_u64 v[48:49], s[54:55], 0, v[48:49]
	flat_load_ushort v48, v[48:49] offset:2560
	s_or_b64 exec, exec, s[4:5]
                                        ; implicit-def: $vgpr49
	s_and_saveexec_b64 s[4:5], s[14:15]
	s_cbranch_execz .LBB1374_62
.LBB1374_302:
	v_lshlrev_b32_e32 v50, 1, v0
	v_mov_b32_e32 v51, 0
	v_lshl_add_u64 v[50:51], s[54:55], 0, v[50:51]
	flat_load_ushort v49, v[50:51] offset:3072
	s_or_b64 exec, exec, s[4:5]
                                        ; implicit-def: $vgpr50
	s_and_saveexec_b64 s[4:5], s[16:17]
	s_cbranch_execz .LBB1374_63
.LBB1374_303:
	v_lshlrev_b32_e32 v50, 1, v0
	v_mov_b32_e32 v51, 0
	v_lshl_add_u64 v[50:51], s[54:55], 0, v[50:51]
	flat_load_ushort v50, v[50:51] offset:3584
	s_or_b64 exec, exec, s[4:5]
                                        ; implicit-def: $vgpr51
	s_and_saveexec_b64 s[4:5], s[18:19]
	s_cbranch_execz .LBB1374_64
.LBB1374_304:
	v_lshlrev_b32_e32 v52, 1, v1
	v_mov_b32_e32 v53, 0
	v_lshl_add_u64 v[52:53], s[54:55], 0, v[52:53]
	flat_load_ushort v51, v[52:53]
	s_or_b64 exec, exec, s[4:5]
                                        ; implicit-def: $vgpr1
	s_and_saveexec_b64 s[4:5], s[20:21]
	s_cbranch_execz .LBB1374_65
.LBB1374_305:
	v_lshlrev_b32_e32 v52, 1, v4
	v_mov_b32_e32 v53, 0
	v_lshl_add_u64 v[52:53], s[54:55], 0, v[52:53]
	flat_load_ushort v1, v[52:53]
	s_or_b64 exec, exec, s[4:5]
                                        ; implicit-def: $vgpr4
	s_and_saveexec_b64 s[4:5], s[22:23]
	s_cbranch_execz .LBB1374_66
.LBB1374_306:
	v_lshlrev_b32_e32 v4, 1, v5
	v_mov_b32_e32 v5, 0
	v_lshl_add_u64 v[4:5], s[54:55], 0, v[4:5]
	flat_load_ushort v4, v[4:5]
	s_or_b64 exec, exec, s[4:5]
                                        ; implicit-def: $vgpr5
	s_and_saveexec_b64 s[4:5], s[24:25]
	s_cbranch_execz .LBB1374_67
.LBB1374_307:
	v_lshlrev_b32_e32 v52, 1, v6
	v_mov_b32_e32 v53, 0
	v_lshl_add_u64 v[52:53], s[54:55], 0, v[52:53]
	flat_load_ushort v5, v[52:53]
	s_or_b64 exec, exec, s[4:5]
                                        ; implicit-def: $vgpr6
	s_and_saveexec_b64 s[4:5], s[26:27]
	s_cbranch_execz .LBB1374_68
.LBB1374_308:
	v_lshlrev_b32_e32 v6, 1, v7
	v_mov_b32_e32 v7, 0
	v_lshl_add_u64 v[6:7], s[54:55], 0, v[6:7]
	flat_load_ushort v6, v[6:7]
	s_or_b64 exec, exec, s[4:5]
                                        ; implicit-def: $vgpr7
	s_and_saveexec_b64 s[4:5], s[28:29]
	s_cbranch_execz .LBB1374_69
.LBB1374_309:
	v_lshlrev_b32_e32 v52, 1, v8
	v_mov_b32_e32 v53, 0
	v_lshl_add_u64 v[52:53], s[54:55], 0, v[52:53]
	flat_load_ushort v7, v[52:53]
	s_or_b64 exec, exec, s[4:5]
                                        ; implicit-def: $vgpr8
	s_and_saveexec_b64 s[4:5], s[30:31]
	s_cbranch_execz .LBB1374_70
.LBB1374_310:
	v_lshlrev_b32_e32 v8, 1, v9
	v_mov_b32_e32 v9, 0
	v_lshl_add_u64 v[8:9], s[54:55], 0, v[8:9]
	flat_load_ushort v8, v[8:9]
	s_or_b64 exec, exec, s[4:5]
                                        ; implicit-def: $vgpr9
	s_and_saveexec_b64 s[4:5], s[34:35]
	s_cbranch_execz .LBB1374_71
.LBB1374_311:
	v_lshlrev_b32_e32 v52, 1, v10
	v_mov_b32_e32 v53, 0
	v_lshl_add_u64 v[52:53], s[54:55], 0, v[52:53]
	flat_load_ushort v9, v[52:53]
	s_or_b64 exec, exec, s[4:5]
                                        ; implicit-def: $vgpr10
	s_and_saveexec_b64 s[4:5], s[36:37]
	s_cbranch_execz .LBB1374_72
.LBB1374_312:
	v_lshlrev_b32_e32 v10, 1, v11
	v_mov_b32_e32 v11, 0
	v_lshl_add_u64 v[10:11], s[54:55], 0, v[10:11]
	flat_load_ushort v10, v[10:11]
	s_or_b64 exec, exec, s[4:5]
                                        ; implicit-def: $vgpr11
	s_and_saveexec_b64 s[4:5], s[38:39]
	s_cbranch_execz .LBB1374_73
.LBB1374_313:
	v_lshlrev_b32_e32 v52, 1, v12
	v_mov_b32_e32 v53, 0
	v_lshl_add_u64 v[52:53], s[54:55], 0, v[52:53]
	flat_load_ushort v11, v[52:53]
	s_or_b64 exec, exec, s[4:5]
                                        ; implicit-def: $vgpr12
	s_and_saveexec_b64 s[4:5], s[40:41]
	s_cbranch_execz .LBB1374_74
.LBB1374_314:
	v_lshlrev_b32_e32 v12, 1, v13
	v_mov_b32_e32 v13, 0
	v_lshl_add_u64 v[12:13], s[54:55], 0, v[12:13]
	flat_load_ushort v12, v[12:13]
	s_or_b64 exec, exec, s[4:5]
                                        ; implicit-def: $vgpr13
	s_and_saveexec_b64 s[4:5], s[42:43]
	s_cbranch_execz .LBB1374_75
.LBB1374_315:
	v_lshlrev_b32_e32 v52, 1, v14
	v_mov_b32_e32 v53, 0
	v_lshl_add_u64 v[52:53], s[54:55], 0, v[52:53]
	flat_load_ushort v13, v[52:53]
	s_or_b64 exec, exec, s[4:5]
                                        ; implicit-def: $vgpr14
	s_and_saveexec_b64 s[4:5], s[44:45]
	s_cbranch_execz .LBB1374_76
.LBB1374_316:
	v_lshlrev_b32_e32 v14, 1, v15
	v_mov_b32_e32 v15, 0
	v_lshl_add_u64 v[14:15], s[54:55], 0, v[14:15]
	flat_load_ushort v14, v[14:15]
	s_or_b64 exec, exec, s[4:5]
                                        ; implicit-def: $vgpr15
	s_and_saveexec_b64 s[4:5], s[46:47]
	s_cbranch_execz .LBB1374_77
.LBB1374_317:
	v_lshlrev_b32_e32 v52, 1, v16
	v_mov_b32_e32 v53, 0
	v_lshl_add_u64 v[52:53], s[54:55], 0, v[52:53]
	flat_load_ushort v15, v[52:53]
	s_or_b64 exec, exec, s[4:5]
                                        ; implicit-def: $vgpr16
	s_and_saveexec_b64 s[4:5], s[48:49]
	s_cbranch_execz .LBB1374_78
.LBB1374_318:
	v_lshlrev_b32_e32 v16, 1, v17
	v_mov_b32_e32 v17, 0
	v_lshl_add_u64 v[16:17], s[54:55], 0, v[16:17]
	flat_load_ushort v16, v[16:17]
	s_or_b64 exec, exec, s[4:5]
                                        ; implicit-def: $vgpr17
	s_and_saveexec_b64 s[4:5], s[50:51]
	s_cbranch_execnz .LBB1374_79
	s_branch .LBB1374_80
.LBB1374_319:
                                        ; implicit-def: $sgpr60_sgpr61
	s_branch .LBB1374_52
.LBB1374_320:
                                        ; implicit-def: $sgpr4_sgpr5
	s_branch .LBB1374_131
	.section	.rodata,"a",@progbits
	.p2align	6, 0x0
	.amdhsa_kernel _ZN7rocprim17ROCPRIM_400000_NS6detail17trampoline_kernelINS0_14default_configENS1_27scan_by_key_config_selectorIisEEZZNS1_16scan_by_key_implILNS1_25lookback_scan_determinismE0ELb0ES3_N6thrust23THRUST_200600_302600_NS6detail15normal_iteratorINS9_10device_ptrIiEEEENSB_INSC_IsEEEESG_sNS9_4plusIvEENS9_8equal_toIvEEsEE10hipError_tPvRmT2_T3_T4_T5_mT6_T7_P12ihipStream_tbENKUlT_T0_E_clISt17integral_constantIbLb1EES10_IbLb0EEEEDaSW_SX_EUlSW_E_NS1_11comp_targetILNS1_3genE5ELNS1_11target_archE942ELNS1_3gpuE9ELNS1_3repE0EEENS1_30default_config_static_selectorELNS0_4arch9wavefront6targetE1EEEvT1_
		.amdhsa_group_segment_fixed_size 26624
		.amdhsa_private_segment_fixed_size 0
		.amdhsa_kernarg_size 112
		.amdhsa_user_sgpr_count 2
		.amdhsa_user_sgpr_dispatch_ptr 0
		.amdhsa_user_sgpr_queue_ptr 0
		.amdhsa_user_sgpr_kernarg_segment_ptr 1
		.amdhsa_user_sgpr_dispatch_id 0
		.amdhsa_user_sgpr_kernarg_preload_length 0
		.amdhsa_user_sgpr_kernarg_preload_offset 0
		.amdhsa_user_sgpr_private_segment_size 0
		.amdhsa_uses_dynamic_stack 0
		.amdhsa_enable_private_segment 0
		.amdhsa_system_sgpr_workgroup_id_x 1
		.amdhsa_system_sgpr_workgroup_id_y 0
		.amdhsa_system_sgpr_workgroup_id_z 0
		.amdhsa_system_sgpr_workgroup_info 0
		.amdhsa_system_vgpr_workitem_id 0
		.amdhsa_next_free_vgpr 62
		.amdhsa_next_free_sgpr 84
		.amdhsa_accum_offset 64
		.amdhsa_reserve_vcc 1
		.amdhsa_float_round_mode_32 0
		.amdhsa_float_round_mode_16_64 0
		.amdhsa_float_denorm_mode_32 3
		.amdhsa_float_denorm_mode_16_64 3
		.amdhsa_dx10_clamp 1
		.amdhsa_ieee_mode 1
		.amdhsa_fp16_overflow 0
		.amdhsa_tg_split 0
		.amdhsa_exception_fp_ieee_invalid_op 0
		.amdhsa_exception_fp_denorm_src 0
		.amdhsa_exception_fp_ieee_div_zero 0
		.amdhsa_exception_fp_ieee_overflow 0
		.amdhsa_exception_fp_ieee_underflow 0
		.amdhsa_exception_fp_ieee_inexact 0
		.amdhsa_exception_int_div_zero 0
	.end_amdhsa_kernel
	.section	.text._ZN7rocprim17ROCPRIM_400000_NS6detail17trampoline_kernelINS0_14default_configENS1_27scan_by_key_config_selectorIisEEZZNS1_16scan_by_key_implILNS1_25lookback_scan_determinismE0ELb0ES3_N6thrust23THRUST_200600_302600_NS6detail15normal_iteratorINS9_10device_ptrIiEEEENSB_INSC_IsEEEESG_sNS9_4plusIvEENS9_8equal_toIvEEsEE10hipError_tPvRmT2_T3_T4_T5_mT6_T7_P12ihipStream_tbENKUlT_T0_E_clISt17integral_constantIbLb1EES10_IbLb0EEEEDaSW_SX_EUlSW_E_NS1_11comp_targetILNS1_3genE5ELNS1_11target_archE942ELNS1_3gpuE9ELNS1_3repE0EEENS1_30default_config_static_selectorELNS0_4arch9wavefront6targetE1EEEvT1_,"axG",@progbits,_ZN7rocprim17ROCPRIM_400000_NS6detail17trampoline_kernelINS0_14default_configENS1_27scan_by_key_config_selectorIisEEZZNS1_16scan_by_key_implILNS1_25lookback_scan_determinismE0ELb0ES3_N6thrust23THRUST_200600_302600_NS6detail15normal_iteratorINS9_10device_ptrIiEEEENSB_INSC_IsEEEESG_sNS9_4plusIvEENS9_8equal_toIvEEsEE10hipError_tPvRmT2_T3_T4_T5_mT6_T7_P12ihipStream_tbENKUlT_T0_E_clISt17integral_constantIbLb1EES10_IbLb0EEEEDaSW_SX_EUlSW_E_NS1_11comp_targetILNS1_3genE5ELNS1_11target_archE942ELNS1_3gpuE9ELNS1_3repE0EEENS1_30default_config_static_selectorELNS0_4arch9wavefront6targetE1EEEvT1_,comdat
.Lfunc_end1374:
	.size	_ZN7rocprim17ROCPRIM_400000_NS6detail17trampoline_kernelINS0_14default_configENS1_27scan_by_key_config_selectorIisEEZZNS1_16scan_by_key_implILNS1_25lookback_scan_determinismE0ELb0ES3_N6thrust23THRUST_200600_302600_NS6detail15normal_iteratorINS9_10device_ptrIiEEEENSB_INSC_IsEEEESG_sNS9_4plusIvEENS9_8equal_toIvEEsEE10hipError_tPvRmT2_T3_T4_T5_mT6_T7_P12ihipStream_tbENKUlT_T0_E_clISt17integral_constantIbLb1EES10_IbLb0EEEEDaSW_SX_EUlSW_E_NS1_11comp_targetILNS1_3genE5ELNS1_11target_archE942ELNS1_3gpuE9ELNS1_3repE0EEENS1_30default_config_static_selectorELNS0_4arch9wavefront6targetE1EEEvT1_, .Lfunc_end1374-_ZN7rocprim17ROCPRIM_400000_NS6detail17trampoline_kernelINS0_14default_configENS1_27scan_by_key_config_selectorIisEEZZNS1_16scan_by_key_implILNS1_25lookback_scan_determinismE0ELb0ES3_N6thrust23THRUST_200600_302600_NS6detail15normal_iteratorINS9_10device_ptrIiEEEENSB_INSC_IsEEEESG_sNS9_4plusIvEENS9_8equal_toIvEEsEE10hipError_tPvRmT2_T3_T4_T5_mT6_T7_P12ihipStream_tbENKUlT_T0_E_clISt17integral_constantIbLb1EES10_IbLb0EEEEDaSW_SX_EUlSW_E_NS1_11comp_targetILNS1_3genE5ELNS1_11target_archE942ELNS1_3gpuE9ELNS1_3repE0EEENS1_30default_config_static_selectorELNS0_4arch9wavefront6targetE1EEEvT1_
                                        ; -- End function
	.section	.AMDGPU.csdata,"",@progbits
; Kernel info:
; codeLenInByte = 16228
; NumSgprs: 90
; NumVgprs: 62
; NumAgprs: 0
; TotalNumVgprs: 62
; ScratchSize: 0
; MemoryBound: 0
; FloatMode: 240
; IeeeMode: 1
; LDSByteSize: 26624 bytes/workgroup (compile time only)
; SGPRBlocks: 11
; VGPRBlocks: 7
; NumSGPRsForWavesPerEU: 90
; NumVGPRsForWavesPerEU: 62
; AccumOffset: 64
; Occupancy: 2
; WaveLimiterHint : 1
; COMPUTE_PGM_RSRC2:SCRATCH_EN: 0
; COMPUTE_PGM_RSRC2:USER_SGPR: 2
; COMPUTE_PGM_RSRC2:TRAP_HANDLER: 0
; COMPUTE_PGM_RSRC2:TGID_X_EN: 1
; COMPUTE_PGM_RSRC2:TGID_Y_EN: 0
; COMPUTE_PGM_RSRC2:TGID_Z_EN: 0
; COMPUTE_PGM_RSRC2:TIDIG_COMP_CNT: 0
; COMPUTE_PGM_RSRC3_GFX90A:ACCUM_OFFSET: 15
; COMPUTE_PGM_RSRC3_GFX90A:TG_SPLIT: 0
	.section	.text._ZN7rocprim17ROCPRIM_400000_NS6detail17trampoline_kernelINS0_14default_configENS1_27scan_by_key_config_selectorIisEEZZNS1_16scan_by_key_implILNS1_25lookback_scan_determinismE0ELb0ES3_N6thrust23THRUST_200600_302600_NS6detail15normal_iteratorINS9_10device_ptrIiEEEENSB_INSC_IsEEEESG_sNS9_4plusIvEENS9_8equal_toIvEEsEE10hipError_tPvRmT2_T3_T4_T5_mT6_T7_P12ihipStream_tbENKUlT_T0_E_clISt17integral_constantIbLb1EES10_IbLb0EEEEDaSW_SX_EUlSW_E_NS1_11comp_targetILNS1_3genE4ELNS1_11target_archE910ELNS1_3gpuE8ELNS1_3repE0EEENS1_30default_config_static_selectorELNS0_4arch9wavefront6targetE1EEEvT1_,"axG",@progbits,_ZN7rocprim17ROCPRIM_400000_NS6detail17trampoline_kernelINS0_14default_configENS1_27scan_by_key_config_selectorIisEEZZNS1_16scan_by_key_implILNS1_25lookback_scan_determinismE0ELb0ES3_N6thrust23THRUST_200600_302600_NS6detail15normal_iteratorINS9_10device_ptrIiEEEENSB_INSC_IsEEEESG_sNS9_4plusIvEENS9_8equal_toIvEEsEE10hipError_tPvRmT2_T3_T4_T5_mT6_T7_P12ihipStream_tbENKUlT_T0_E_clISt17integral_constantIbLb1EES10_IbLb0EEEEDaSW_SX_EUlSW_E_NS1_11comp_targetILNS1_3genE4ELNS1_11target_archE910ELNS1_3gpuE8ELNS1_3repE0EEENS1_30default_config_static_selectorELNS0_4arch9wavefront6targetE1EEEvT1_,comdat
	.protected	_ZN7rocprim17ROCPRIM_400000_NS6detail17trampoline_kernelINS0_14default_configENS1_27scan_by_key_config_selectorIisEEZZNS1_16scan_by_key_implILNS1_25lookback_scan_determinismE0ELb0ES3_N6thrust23THRUST_200600_302600_NS6detail15normal_iteratorINS9_10device_ptrIiEEEENSB_INSC_IsEEEESG_sNS9_4plusIvEENS9_8equal_toIvEEsEE10hipError_tPvRmT2_T3_T4_T5_mT6_T7_P12ihipStream_tbENKUlT_T0_E_clISt17integral_constantIbLb1EES10_IbLb0EEEEDaSW_SX_EUlSW_E_NS1_11comp_targetILNS1_3genE4ELNS1_11target_archE910ELNS1_3gpuE8ELNS1_3repE0EEENS1_30default_config_static_selectorELNS0_4arch9wavefront6targetE1EEEvT1_ ; -- Begin function _ZN7rocprim17ROCPRIM_400000_NS6detail17trampoline_kernelINS0_14default_configENS1_27scan_by_key_config_selectorIisEEZZNS1_16scan_by_key_implILNS1_25lookback_scan_determinismE0ELb0ES3_N6thrust23THRUST_200600_302600_NS6detail15normal_iteratorINS9_10device_ptrIiEEEENSB_INSC_IsEEEESG_sNS9_4plusIvEENS9_8equal_toIvEEsEE10hipError_tPvRmT2_T3_T4_T5_mT6_T7_P12ihipStream_tbENKUlT_T0_E_clISt17integral_constantIbLb1EES10_IbLb0EEEEDaSW_SX_EUlSW_E_NS1_11comp_targetILNS1_3genE4ELNS1_11target_archE910ELNS1_3gpuE8ELNS1_3repE0EEENS1_30default_config_static_selectorELNS0_4arch9wavefront6targetE1EEEvT1_
	.globl	_ZN7rocprim17ROCPRIM_400000_NS6detail17trampoline_kernelINS0_14default_configENS1_27scan_by_key_config_selectorIisEEZZNS1_16scan_by_key_implILNS1_25lookback_scan_determinismE0ELb0ES3_N6thrust23THRUST_200600_302600_NS6detail15normal_iteratorINS9_10device_ptrIiEEEENSB_INSC_IsEEEESG_sNS9_4plusIvEENS9_8equal_toIvEEsEE10hipError_tPvRmT2_T3_T4_T5_mT6_T7_P12ihipStream_tbENKUlT_T0_E_clISt17integral_constantIbLb1EES10_IbLb0EEEEDaSW_SX_EUlSW_E_NS1_11comp_targetILNS1_3genE4ELNS1_11target_archE910ELNS1_3gpuE8ELNS1_3repE0EEENS1_30default_config_static_selectorELNS0_4arch9wavefront6targetE1EEEvT1_
	.p2align	8
	.type	_ZN7rocprim17ROCPRIM_400000_NS6detail17trampoline_kernelINS0_14default_configENS1_27scan_by_key_config_selectorIisEEZZNS1_16scan_by_key_implILNS1_25lookback_scan_determinismE0ELb0ES3_N6thrust23THRUST_200600_302600_NS6detail15normal_iteratorINS9_10device_ptrIiEEEENSB_INSC_IsEEEESG_sNS9_4plusIvEENS9_8equal_toIvEEsEE10hipError_tPvRmT2_T3_T4_T5_mT6_T7_P12ihipStream_tbENKUlT_T0_E_clISt17integral_constantIbLb1EES10_IbLb0EEEEDaSW_SX_EUlSW_E_NS1_11comp_targetILNS1_3genE4ELNS1_11target_archE910ELNS1_3gpuE8ELNS1_3repE0EEENS1_30default_config_static_selectorELNS0_4arch9wavefront6targetE1EEEvT1_,@function
_ZN7rocprim17ROCPRIM_400000_NS6detail17trampoline_kernelINS0_14default_configENS1_27scan_by_key_config_selectorIisEEZZNS1_16scan_by_key_implILNS1_25lookback_scan_determinismE0ELb0ES3_N6thrust23THRUST_200600_302600_NS6detail15normal_iteratorINS9_10device_ptrIiEEEENSB_INSC_IsEEEESG_sNS9_4plusIvEENS9_8equal_toIvEEsEE10hipError_tPvRmT2_T3_T4_T5_mT6_T7_P12ihipStream_tbENKUlT_T0_E_clISt17integral_constantIbLb1EES10_IbLb0EEEEDaSW_SX_EUlSW_E_NS1_11comp_targetILNS1_3genE4ELNS1_11target_archE910ELNS1_3gpuE8ELNS1_3repE0EEENS1_30default_config_static_selectorELNS0_4arch9wavefront6targetE1EEEvT1_: ; @_ZN7rocprim17ROCPRIM_400000_NS6detail17trampoline_kernelINS0_14default_configENS1_27scan_by_key_config_selectorIisEEZZNS1_16scan_by_key_implILNS1_25lookback_scan_determinismE0ELb0ES3_N6thrust23THRUST_200600_302600_NS6detail15normal_iteratorINS9_10device_ptrIiEEEENSB_INSC_IsEEEESG_sNS9_4plusIvEENS9_8equal_toIvEEsEE10hipError_tPvRmT2_T3_T4_T5_mT6_T7_P12ihipStream_tbENKUlT_T0_E_clISt17integral_constantIbLb1EES10_IbLb0EEEEDaSW_SX_EUlSW_E_NS1_11comp_targetILNS1_3genE4ELNS1_11target_archE910ELNS1_3gpuE8ELNS1_3repE0EEENS1_30default_config_static_selectorELNS0_4arch9wavefront6targetE1EEEvT1_
; %bb.0:
	.section	.rodata,"a",@progbits
	.p2align	6, 0x0
	.amdhsa_kernel _ZN7rocprim17ROCPRIM_400000_NS6detail17trampoline_kernelINS0_14default_configENS1_27scan_by_key_config_selectorIisEEZZNS1_16scan_by_key_implILNS1_25lookback_scan_determinismE0ELb0ES3_N6thrust23THRUST_200600_302600_NS6detail15normal_iteratorINS9_10device_ptrIiEEEENSB_INSC_IsEEEESG_sNS9_4plusIvEENS9_8equal_toIvEEsEE10hipError_tPvRmT2_T3_T4_T5_mT6_T7_P12ihipStream_tbENKUlT_T0_E_clISt17integral_constantIbLb1EES10_IbLb0EEEEDaSW_SX_EUlSW_E_NS1_11comp_targetILNS1_3genE4ELNS1_11target_archE910ELNS1_3gpuE8ELNS1_3repE0EEENS1_30default_config_static_selectorELNS0_4arch9wavefront6targetE1EEEvT1_
		.amdhsa_group_segment_fixed_size 0
		.amdhsa_private_segment_fixed_size 0
		.amdhsa_kernarg_size 112
		.amdhsa_user_sgpr_count 2
		.amdhsa_user_sgpr_dispatch_ptr 0
		.amdhsa_user_sgpr_queue_ptr 0
		.amdhsa_user_sgpr_kernarg_segment_ptr 1
		.amdhsa_user_sgpr_dispatch_id 0
		.amdhsa_user_sgpr_kernarg_preload_length 0
		.amdhsa_user_sgpr_kernarg_preload_offset 0
		.amdhsa_user_sgpr_private_segment_size 0
		.amdhsa_uses_dynamic_stack 0
		.amdhsa_enable_private_segment 0
		.amdhsa_system_sgpr_workgroup_id_x 1
		.amdhsa_system_sgpr_workgroup_id_y 0
		.amdhsa_system_sgpr_workgroup_id_z 0
		.amdhsa_system_sgpr_workgroup_info 0
		.amdhsa_system_vgpr_workitem_id 0
		.amdhsa_next_free_vgpr 1
		.amdhsa_next_free_sgpr 0
		.amdhsa_accum_offset 4
		.amdhsa_reserve_vcc 0
		.amdhsa_float_round_mode_32 0
		.amdhsa_float_round_mode_16_64 0
		.amdhsa_float_denorm_mode_32 3
		.amdhsa_float_denorm_mode_16_64 3
		.amdhsa_dx10_clamp 1
		.amdhsa_ieee_mode 1
		.amdhsa_fp16_overflow 0
		.amdhsa_tg_split 0
		.amdhsa_exception_fp_ieee_invalid_op 0
		.amdhsa_exception_fp_denorm_src 0
		.amdhsa_exception_fp_ieee_div_zero 0
		.amdhsa_exception_fp_ieee_overflow 0
		.amdhsa_exception_fp_ieee_underflow 0
		.amdhsa_exception_fp_ieee_inexact 0
		.amdhsa_exception_int_div_zero 0
	.end_amdhsa_kernel
	.section	.text._ZN7rocprim17ROCPRIM_400000_NS6detail17trampoline_kernelINS0_14default_configENS1_27scan_by_key_config_selectorIisEEZZNS1_16scan_by_key_implILNS1_25lookback_scan_determinismE0ELb0ES3_N6thrust23THRUST_200600_302600_NS6detail15normal_iteratorINS9_10device_ptrIiEEEENSB_INSC_IsEEEESG_sNS9_4plusIvEENS9_8equal_toIvEEsEE10hipError_tPvRmT2_T3_T4_T5_mT6_T7_P12ihipStream_tbENKUlT_T0_E_clISt17integral_constantIbLb1EES10_IbLb0EEEEDaSW_SX_EUlSW_E_NS1_11comp_targetILNS1_3genE4ELNS1_11target_archE910ELNS1_3gpuE8ELNS1_3repE0EEENS1_30default_config_static_selectorELNS0_4arch9wavefront6targetE1EEEvT1_,"axG",@progbits,_ZN7rocprim17ROCPRIM_400000_NS6detail17trampoline_kernelINS0_14default_configENS1_27scan_by_key_config_selectorIisEEZZNS1_16scan_by_key_implILNS1_25lookback_scan_determinismE0ELb0ES3_N6thrust23THRUST_200600_302600_NS6detail15normal_iteratorINS9_10device_ptrIiEEEENSB_INSC_IsEEEESG_sNS9_4plusIvEENS9_8equal_toIvEEsEE10hipError_tPvRmT2_T3_T4_T5_mT6_T7_P12ihipStream_tbENKUlT_T0_E_clISt17integral_constantIbLb1EES10_IbLb0EEEEDaSW_SX_EUlSW_E_NS1_11comp_targetILNS1_3genE4ELNS1_11target_archE910ELNS1_3gpuE8ELNS1_3repE0EEENS1_30default_config_static_selectorELNS0_4arch9wavefront6targetE1EEEvT1_,comdat
.Lfunc_end1375:
	.size	_ZN7rocprim17ROCPRIM_400000_NS6detail17trampoline_kernelINS0_14default_configENS1_27scan_by_key_config_selectorIisEEZZNS1_16scan_by_key_implILNS1_25lookback_scan_determinismE0ELb0ES3_N6thrust23THRUST_200600_302600_NS6detail15normal_iteratorINS9_10device_ptrIiEEEENSB_INSC_IsEEEESG_sNS9_4plusIvEENS9_8equal_toIvEEsEE10hipError_tPvRmT2_T3_T4_T5_mT6_T7_P12ihipStream_tbENKUlT_T0_E_clISt17integral_constantIbLb1EES10_IbLb0EEEEDaSW_SX_EUlSW_E_NS1_11comp_targetILNS1_3genE4ELNS1_11target_archE910ELNS1_3gpuE8ELNS1_3repE0EEENS1_30default_config_static_selectorELNS0_4arch9wavefront6targetE1EEEvT1_, .Lfunc_end1375-_ZN7rocprim17ROCPRIM_400000_NS6detail17trampoline_kernelINS0_14default_configENS1_27scan_by_key_config_selectorIisEEZZNS1_16scan_by_key_implILNS1_25lookback_scan_determinismE0ELb0ES3_N6thrust23THRUST_200600_302600_NS6detail15normal_iteratorINS9_10device_ptrIiEEEENSB_INSC_IsEEEESG_sNS9_4plusIvEENS9_8equal_toIvEEsEE10hipError_tPvRmT2_T3_T4_T5_mT6_T7_P12ihipStream_tbENKUlT_T0_E_clISt17integral_constantIbLb1EES10_IbLb0EEEEDaSW_SX_EUlSW_E_NS1_11comp_targetILNS1_3genE4ELNS1_11target_archE910ELNS1_3gpuE8ELNS1_3repE0EEENS1_30default_config_static_selectorELNS0_4arch9wavefront6targetE1EEEvT1_
                                        ; -- End function
	.section	.AMDGPU.csdata,"",@progbits
; Kernel info:
; codeLenInByte = 0
; NumSgprs: 6
; NumVgprs: 0
; NumAgprs: 0
; TotalNumVgprs: 0
; ScratchSize: 0
; MemoryBound: 0
; FloatMode: 240
; IeeeMode: 1
; LDSByteSize: 0 bytes/workgroup (compile time only)
; SGPRBlocks: 0
; VGPRBlocks: 0
; NumSGPRsForWavesPerEU: 6
; NumVGPRsForWavesPerEU: 1
; AccumOffset: 4
; Occupancy: 8
; WaveLimiterHint : 0
; COMPUTE_PGM_RSRC2:SCRATCH_EN: 0
; COMPUTE_PGM_RSRC2:USER_SGPR: 2
; COMPUTE_PGM_RSRC2:TRAP_HANDLER: 0
; COMPUTE_PGM_RSRC2:TGID_X_EN: 1
; COMPUTE_PGM_RSRC2:TGID_Y_EN: 0
; COMPUTE_PGM_RSRC2:TGID_Z_EN: 0
; COMPUTE_PGM_RSRC2:TIDIG_COMP_CNT: 0
; COMPUTE_PGM_RSRC3_GFX90A:ACCUM_OFFSET: 0
; COMPUTE_PGM_RSRC3_GFX90A:TG_SPLIT: 0
	.section	.text._ZN7rocprim17ROCPRIM_400000_NS6detail17trampoline_kernelINS0_14default_configENS1_27scan_by_key_config_selectorIisEEZZNS1_16scan_by_key_implILNS1_25lookback_scan_determinismE0ELb0ES3_N6thrust23THRUST_200600_302600_NS6detail15normal_iteratorINS9_10device_ptrIiEEEENSB_INSC_IsEEEESG_sNS9_4plusIvEENS9_8equal_toIvEEsEE10hipError_tPvRmT2_T3_T4_T5_mT6_T7_P12ihipStream_tbENKUlT_T0_E_clISt17integral_constantIbLb1EES10_IbLb0EEEEDaSW_SX_EUlSW_E_NS1_11comp_targetILNS1_3genE3ELNS1_11target_archE908ELNS1_3gpuE7ELNS1_3repE0EEENS1_30default_config_static_selectorELNS0_4arch9wavefront6targetE1EEEvT1_,"axG",@progbits,_ZN7rocprim17ROCPRIM_400000_NS6detail17trampoline_kernelINS0_14default_configENS1_27scan_by_key_config_selectorIisEEZZNS1_16scan_by_key_implILNS1_25lookback_scan_determinismE0ELb0ES3_N6thrust23THRUST_200600_302600_NS6detail15normal_iteratorINS9_10device_ptrIiEEEENSB_INSC_IsEEEESG_sNS9_4plusIvEENS9_8equal_toIvEEsEE10hipError_tPvRmT2_T3_T4_T5_mT6_T7_P12ihipStream_tbENKUlT_T0_E_clISt17integral_constantIbLb1EES10_IbLb0EEEEDaSW_SX_EUlSW_E_NS1_11comp_targetILNS1_3genE3ELNS1_11target_archE908ELNS1_3gpuE7ELNS1_3repE0EEENS1_30default_config_static_selectorELNS0_4arch9wavefront6targetE1EEEvT1_,comdat
	.protected	_ZN7rocprim17ROCPRIM_400000_NS6detail17trampoline_kernelINS0_14default_configENS1_27scan_by_key_config_selectorIisEEZZNS1_16scan_by_key_implILNS1_25lookback_scan_determinismE0ELb0ES3_N6thrust23THRUST_200600_302600_NS6detail15normal_iteratorINS9_10device_ptrIiEEEENSB_INSC_IsEEEESG_sNS9_4plusIvEENS9_8equal_toIvEEsEE10hipError_tPvRmT2_T3_T4_T5_mT6_T7_P12ihipStream_tbENKUlT_T0_E_clISt17integral_constantIbLb1EES10_IbLb0EEEEDaSW_SX_EUlSW_E_NS1_11comp_targetILNS1_3genE3ELNS1_11target_archE908ELNS1_3gpuE7ELNS1_3repE0EEENS1_30default_config_static_selectorELNS0_4arch9wavefront6targetE1EEEvT1_ ; -- Begin function _ZN7rocprim17ROCPRIM_400000_NS6detail17trampoline_kernelINS0_14default_configENS1_27scan_by_key_config_selectorIisEEZZNS1_16scan_by_key_implILNS1_25lookback_scan_determinismE0ELb0ES3_N6thrust23THRUST_200600_302600_NS6detail15normal_iteratorINS9_10device_ptrIiEEEENSB_INSC_IsEEEESG_sNS9_4plusIvEENS9_8equal_toIvEEsEE10hipError_tPvRmT2_T3_T4_T5_mT6_T7_P12ihipStream_tbENKUlT_T0_E_clISt17integral_constantIbLb1EES10_IbLb0EEEEDaSW_SX_EUlSW_E_NS1_11comp_targetILNS1_3genE3ELNS1_11target_archE908ELNS1_3gpuE7ELNS1_3repE0EEENS1_30default_config_static_selectorELNS0_4arch9wavefront6targetE1EEEvT1_
	.globl	_ZN7rocprim17ROCPRIM_400000_NS6detail17trampoline_kernelINS0_14default_configENS1_27scan_by_key_config_selectorIisEEZZNS1_16scan_by_key_implILNS1_25lookback_scan_determinismE0ELb0ES3_N6thrust23THRUST_200600_302600_NS6detail15normal_iteratorINS9_10device_ptrIiEEEENSB_INSC_IsEEEESG_sNS9_4plusIvEENS9_8equal_toIvEEsEE10hipError_tPvRmT2_T3_T4_T5_mT6_T7_P12ihipStream_tbENKUlT_T0_E_clISt17integral_constantIbLb1EES10_IbLb0EEEEDaSW_SX_EUlSW_E_NS1_11comp_targetILNS1_3genE3ELNS1_11target_archE908ELNS1_3gpuE7ELNS1_3repE0EEENS1_30default_config_static_selectorELNS0_4arch9wavefront6targetE1EEEvT1_
	.p2align	8
	.type	_ZN7rocprim17ROCPRIM_400000_NS6detail17trampoline_kernelINS0_14default_configENS1_27scan_by_key_config_selectorIisEEZZNS1_16scan_by_key_implILNS1_25lookback_scan_determinismE0ELb0ES3_N6thrust23THRUST_200600_302600_NS6detail15normal_iteratorINS9_10device_ptrIiEEEENSB_INSC_IsEEEESG_sNS9_4plusIvEENS9_8equal_toIvEEsEE10hipError_tPvRmT2_T3_T4_T5_mT6_T7_P12ihipStream_tbENKUlT_T0_E_clISt17integral_constantIbLb1EES10_IbLb0EEEEDaSW_SX_EUlSW_E_NS1_11comp_targetILNS1_3genE3ELNS1_11target_archE908ELNS1_3gpuE7ELNS1_3repE0EEENS1_30default_config_static_selectorELNS0_4arch9wavefront6targetE1EEEvT1_,@function
_ZN7rocprim17ROCPRIM_400000_NS6detail17trampoline_kernelINS0_14default_configENS1_27scan_by_key_config_selectorIisEEZZNS1_16scan_by_key_implILNS1_25lookback_scan_determinismE0ELb0ES3_N6thrust23THRUST_200600_302600_NS6detail15normal_iteratorINS9_10device_ptrIiEEEENSB_INSC_IsEEEESG_sNS9_4plusIvEENS9_8equal_toIvEEsEE10hipError_tPvRmT2_T3_T4_T5_mT6_T7_P12ihipStream_tbENKUlT_T0_E_clISt17integral_constantIbLb1EES10_IbLb0EEEEDaSW_SX_EUlSW_E_NS1_11comp_targetILNS1_3genE3ELNS1_11target_archE908ELNS1_3gpuE7ELNS1_3repE0EEENS1_30default_config_static_selectorELNS0_4arch9wavefront6targetE1EEEvT1_: ; @_ZN7rocprim17ROCPRIM_400000_NS6detail17trampoline_kernelINS0_14default_configENS1_27scan_by_key_config_selectorIisEEZZNS1_16scan_by_key_implILNS1_25lookback_scan_determinismE0ELb0ES3_N6thrust23THRUST_200600_302600_NS6detail15normal_iteratorINS9_10device_ptrIiEEEENSB_INSC_IsEEEESG_sNS9_4plusIvEENS9_8equal_toIvEEsEE10hipError_tPvRmT2_T3_T4_T5_mT6_T7_P12ihipStream_tbENKUlT_T0_E_clISt17integral_constantIbLb1EES10_IbLb0EEEEDaSW_SX_EUlSW_E_NS1_11comp_targetILNS1_3genE3ELNS1_11target_archE908ELNS1_3gpuE7ELNS1_3repE0EEENS1_30default_config_static_selectorELNS0_4arch9wavefront6targetE1EEEvT1_
; %bb.0:
	.section	.rodata,"a",@progbits
	.p2align	6, 0x0
	.amdhsa_kernel _ZN7rocprim17ROCPRIM_400000_NS6detail17trampoline_kernelINS0_14default_configENS1_27scan_by_key_config_selectorIisEEZZNS1_16scan_by_key_implILNS1_25lookback_scan_determinismE0ELb0ES3_N6thrust23THRUST_200600_302600_NS6detail15normal_iteratorINS9_10device_ptrIiEEEENSB_INSC_IsEEEESG_sNS9_4plusIvEENS9_8equal_toIvEEsEE10hipError_tPvRmT2_T3_T4_T5_mT6_T7_P12ihipStream_tbENKUlT_T0_E_clISt17integral_constantIbLb1EES10_IbLb0EEEEDaSW_SX_EUlSW_E_NS1_11comp_targetILNS1_3genE3ELNS1_11target_archE908ELNS1_3gpuE7ELNS1_3repE0EEENS1_30default_config_static_selectorELNS0_4arch9wavefront6targetE1EEEvT1_
		.amdhsa_group_segment_fixed_size 0
		.amdhsa_private_segment_fixed_size 0
		.amdhsa_kernarg_size 112
		.amdhsa_user_sgpr_count 2
		.amdhsa_user_sgpr_dispatch_ptr 0
		.amdhsa_user_sgpr_queue_ptr 0
		.amdhsa_user_sgpr_kernarg_segment_ptr 1
		.amdhsa_user_sgpr_dispatch_id 0
		.amdhsa_user_sgpr_kernarg_preload_length 0
		.amdhsa_user_sgpr_kernarg_preload_offset 0
		.amdhsa_user_sgpr_private_segment_size 0
		.amdhsa_uses_dynamic_stack 0
		.amdhsa_enable_private_segment 0
		.amdhsa_system_sgpr_workgroup_id_x 1
		.amdhsa_system_sgpr_workgroup_id_y 0
		.amdhsa_system_sgpr_workgroup_id_z 0
		.amdhsa_system_sgpr_workgroup_info 0
		.amdhsa_system_vgpr_workitem_id 0
		.amdhsa_next_free_vgpr 1
		.amdhsa_next_free_sgpr 0
		.amdhsa_accum_offset 4
		.amdhsa_reserve_vcc 0
		.amdhsa_float_round_mode_32 0
		.amdhsa_float_round_mode_16_64 0
		.amdhsa_float_denorm_mode_32 3
		.amdhsa_float_denorm_mode_16_64 3
		.amdhsa_dx10_clamp 1
		.amdhsa_ieee_mode 1
		.amdhsa_fp16_overflow 0
		.amdhsa_tg_split 0
		.amdhsa_exception_fp_ieee_invalid_op 0
		.amdhsa_exception_fp_denorm_src 0
		.amdhsa_exception_fp_ieee_div_zero 0
		.amdhsa_exception_fp_ieee_overflow 0
		.amdhsa_exception_fp_ieee_underflow 0
		.amdhsa_exception_fp_ieee_inexact 0
		.amdhsa_exception_int_div_zero 0
	.end_amdhsa_kernel
	.section	.text._ZN7rocprim17ROCPRIM_400000_NS6detail17trampoline_kernelINS0_14default_configENS1_27scan_by_key_config_selectorIisEEZZNS1_16scan_by_key_implILNS1_25lookback_scan_determinismE0ELb0ES3_N6thrust23THRUST_200600_302600_NS6detail15normal_iteratorINS9_10device_ptrIiEEEENSB_INSC_IsEEEESG_sNS9_4plusIvEENS9_8equal_toIvEEsEE10hipError_tPvRmT2_T3_T4_T5_mT6_T7_P12ihipStream_tbENKUlT_T0_E_clISt17integral_constantIbLb1EES10_IbLb0EEEEDaSW_SX_EUlSW_E_NS1_11comp_targetILNS1_3genE3ELNS1_11target_archE908ELNS1_3gpuE7ELNS1_3repE0EEENS1_30default_config_static_selectorELNS0_4arch9wavefront6targetE1EEEvT1_,"axG",@progbits,_ZN7rocprim17ROCPRIM_400000_NS6detail17trampoline_kernelINS0_14default_configENS1_27scan_by_key_config_selectorIisEEZZNS1_16scan_by_key_implILNS1_25lookback_scan_determinismE0ELb0ES3_N6thrust23THRUST_200600_302600_NS6detail15normal_iteratorINS9_10device_ptrIiEEEENSB_INSC_IsEEEESG_sNS9_4plusIvEENS9_8equal_toIvEEsEE10hipError_tPvRmT2_T3_T4_T5_mT6_T7_P12ihipStream_tbENKUlT_T0_E_clISt17integral_constantIbLb1EES10_IbLb0EEEEDaSW_SX_EUlSW_E_NS1_11comp_targetILNS1_3genE3ELNS1_11target_archE908ELNS1_3gpuE7ELNS1_3repE0EEENS1_30default_config_static_selectorELNS0_4arch9wavefront6targetE1EEEvT1_,comdat
.Lfunc_end1376:
	.size	_ZN7rocprim17ROCPRIM_400000_NS6detail17trampoline_kernelINS0_14default_configENS1_27scan_by_key_config_selectorIisEEZZNS1_16scan_by_key_implILNS1_25lookback_scan_determinismE0ELb0ES3_N6thrust23THRUST_200600_302600_NS6detail15normal_iteratorINS9_10device_ptrIiEEEENSB_INSC_IsEEEESG_sNS9_4plusIvEENS9_8equal_toIvEEsEE10hipError_tPvRmT2_T3_T4_T5_mT6_T7_P12ihipStream_tbENKUlT_T0_E_clISt17integral_constantIbLb1EES10_IbLb0EEEEDaSW_SX_EUlSW_E_NS1_11comp_targetILNS1_3genE3ELNS1_11target_archE908ELNS1_3gpuE7ELNS1_3repE0EEENS1_30default_config_static_selectorELNS0_4arch9wavefront6targetE1EEEvT1_, .Lfunc_end1376-_ZN7rocprim17ROCPRIM_400000_NS6detail17trampoline_kernelINS0_14default_configENS1_27scan_by_key_config_selectorIisEEZZNS1_16scan_by_key_implILNS1_25lookback_scan_determinismE0ELb0ES3_N6thrust23THRUST_200600_302600_NS6detail15normal_iteratorINS9_10device_ptrIiEEEENSB_INSC_IsEEEESG_sNS9_4plusIvEENS9_8equal_toIvEEsEE10hipError_tPvRmT2_T3_T4_T5_mT6_T7_P12ihipStream_tbENKUlT_T0_E_clISt17integral_constantIbLb1EES10_IbLb0EEEEDaSW_SX_EUlSW_E_NS1_11comp_targetILNS1_3genE3ELNS1_11target_archE908ELNS1_3gpuE7ELNS1_3repE0EEENS1_30default_config_static_selectorELNS0_4arch9wavefront6targetE1EEEvT1_
                                        ; -- End function
	.section	.AMDGPU.csdata,"",@progbits
; Kernel info:
; codeLenInByte = 0
; NumSgprs: 6
; NumVgprs: 0
; NumAgprs: 0
; TotalNumVgprs: 0
; ScratchSize: 0
; MemoryBound: 0
; FloatMode: 240
; IeeeMode: 1
; LDSByteSize: 0 bytes/workgroup (compile time only)
; SGPRBlocks: 0
; VGPRBlocks: 0
; NumSGPRsForWavesPerEU: 6
; NumVGPRsForWavesPerEU: 1
; AccumOffset: 4
; Occupancy: 8
; WaveLimiterHint : 0
; COMPUTE_PGM_RSRC2:SCRATCH_EN: 0
; COMPUTE_PGM_RSRC2:USER_SGPR: 2
; COMPUTE_PGM_RSRC2:TRAP_HANDLER: 0
; COMPUTE_PGM_RSRC2:TGID_X_EN: 1
; COMPUTE_PGM_RSRC2:TGID_Y_EN: 0
; COMPUTE_PGM_RSRC2:TGID_Z_EN: 0
; COMPUTE_PGM_RSRC2:TIDIG_COMP_CNT: 0
; COMPUTE_PGM_RSRC3_GFX90A:ACCUM_OFFSET: 0
; COMPUTE_PGM_RSRC3_GFX90A:TG_SPLIT: 0
	.section	.text._ZN7rocprim17ROCPRIM_400000_NS6detail17trampoline_kernelINS0_14default_configENS1_27scan_by_key_config_selectorIisEEZZNS1_16scan_by_key_implILNS1_25lookback_scan_determinismE0ELb0ES3_N6thrust23THRUST_200600_302600_NS6detail15normal_iteratorINS9_10device_ptrIiEEEENSB_INSC_IsEEEESG_sNS9_4plusIvEENS9_8equal_toIvEEsEE10hipError_tPvRmT2_T3_T4_T5_mT6_T7_P12ihipStream_tbENKUlT_T0_E_clISt17integral_constantIbLb1EES10_IbLb0EEEEDaSW_SX_EUlSW_E_NS1_11comp_targetILNS1_3genE2ELNS1_11target_archE906ELNS1_3gpuE6ELNS1_3repE0EEENS1_30default_config_static_selectorELNS0_4arch9wavefront6targetE1EEEvT1_,"axG",@progbits,_ZN7rocprim17ROCPRIM_400000_NS6detail17trampoline_kernelINS0_14default_configENS1_27scan_by_key_config_selectorIisEEZZNS1_16scan_by_key_implILNS1_25lookback_scan_determinismE0ELb0ES3_N6thrust23THRUST_200600_302600_NS6detail15normal_iteratorINS9_10device_ptrIiEEEENSB_INSC_IsEEEESG_sNS9_4plusIvEENS9_8equal_toIvEEsEE10hipError_tPvRmT2_T3_T4_T5_mT6_T7_P12ihipStream_tbENKUlT_T0_E_clISt17integral_constantIbLb1EES10_IbLb0EEEEDaSW_SX_EUlSW_E_NS1_11comp_targetILNS1_3genE2ELNS1_11target_archE906ELNS1_3gpuE6ELNS1_3repE0EEENS1_30default_config_static_selectorELNS0_4arch9wavefront6targetE1EEEvT1_,comdat
	.protected	_ZN7rocprim17ROCPRIM_400000_NS6detail17trampoline_kernelINS0_14default_configENS1_27scan_by_key_config_selectorIisEEZZNS1_16scan_by_key_implILNS1_25lookback_scan_determinismE0ELb0ES3_N6thrust23THRUST_200600_302600_NS6detail15normal_iteratorINS9_10device_ptrIiEEEENSB_INSC_IsEEEESG_sNS9_4plusIvEENS9_8equal_toIvEEsEE10hipError_tPvRmT2_T3_T4_T5_mT6_T7_P12ihipStream_tbENKUlT_T0_E_clISt17integral_constantIbLb1EES10_IbLb0EEEEDaSW_SX_EUlSW_E_NS1_11comp_targetILNS1_3genE2ELNS1_11target_archE906ELNS1_3gpuE6ELNS1_3repE0EEENS1_30default_config_static_selectorELNS0_4arch9wavefront6targetE1EEEvT1_ ; -- Begin function _ZN7rocprim17ROCPRIM_400000_NS6detail17trampoline_kernelINS0_14default_configENS1_27scan_by_key_config_selectorIisEEZZNS1_16scan_by_key_implILNS1_25lookback_scan_determinismE0ELb0ES3_N6thrust23THRUST_200600_302600_NS6detail15normal_iteratorINS9_10device_ptrIiEEEENSB_INSC_IsEEEESG_sNS9_4plusIvEENS9_8equal_toIvEEsEE10hipError_tPvRmT2_T3_T4_T5_mT6_T7_P12ihipStream_tbENKUlT_T0_E_clISt17integral_constantIbLb1EES10_IbLb0EEEEDaSW_SX_EUlSW_E_NS1_11comp_targetILNS1_3genE2ELNS1_11target_archE906ELNS1_3gpuE6ELNS1_3repE0EEENS1_30default_config_static_selectorELNS0_4arch9wavefront6targetE1EEEvT1_
	.globl	_ZN7rocprim17ROCPRIM_400000_NS6detail17trampoline_kernelINS0_14default_configENS1_27scan_by_key_config_selectorIisEEZZNS1_16scan_by_key_implILNS1_25lookback_scan_determinismE0ELb0ES3_N6thrust23THRUST_200600_302600_NS6detail15normal_iteratorINS9_10device_ptrIiEEEENSB_INSC_IsEEEESG_sNS9_4plusIvEENS9_8equal_toIvEEsEE10hipError_tPvRmT2_T3_T4_T5_mT6_T7_P12ihipStream_tbENKUlT_T0_E_clISt17integral_constantIbLb1EES10_IbLb0EEEEDaSW_SX_EUlSW_E_NS1_11comp_targetILNS1_3genE2ELNS1_11target_archE906ELNS1_3gpuE6ELNS1_3repE0EEENS1_30default_config_static_selectorELNS0_4arch9wavefront6targetE1EEEvT1_
	.p2align	8
	.type	_ZN7rocprim17ROCPRIM_400000_NS6detail17trampoline_kernelINS0_14default_configENS1_27scan_by_key_config_selectorIisEEZZNS1_16scan_by_key_implILNS1_25lookback_scan_determinismE0ELb0ES3_N6thrust23THRUST_200600_302600_NS6detail15normal_iteratorINS9_10device_ptrIiEEEENSB_INSC_IsEEEESG_sNS9_4plusIvEENS9_8equal_toIvEEsEE10hipError_tPvRmT2_T3_T4_T5_mT6_T7_P12ihipStream_tbENKUlT_T0_E_clISt17integral_constantIbLb1EES10_IbLb0EEEEDaSW_SX_EUlSW_E_NS1_11comp_targetILNS1_3genE2ELNS1_11target_archE906ELNS1_3gpuE6ELNS1_3repE0EEENS1_30default_config_static_selectorELNS0_4arch9wavefront6targetE1EEEvT1_,@function
_ZN7rocprim17ROCPRIM_400000_NS6detail17trampoline_kernelINS0_14default_configENS1_27scan_by_key_config_selectorIisEEZZNS1_16scan_by_key_implILNS1_25lookback_scan_determinismE0ELb0ES3_N6thrust23THRUST_200600_302600_NS6detail15normal_iteratorINS9_10device_ptrIiEEEENSB_INSC_IsEEEESG_sNS9_4plusIvEENS9_8equal_toIvEEsEE10hipError_tPvRmT2_T3_T4_T5_mT6_T7_P12ihipStream_tbENKUlT_T0_E_clISt17integral_constantIbLb1EES10_IbLb0EEEEDaSW_SX_EUlSW_E_NS1_11comp_targetILNS1_3genE2ELNS1_11target_archE906ELNS1_3gpuE6ELNS1_3repE0EEENS1_30default_config_static_selectorELNS0_4arch9wavefront6targetE1EEEvT1_: ; @_ZN7rocprim17ROCPRIM_400000_NS6detail17trampoline_kernelINS0_14default_configENS1_27scan_by_key_config_selectorIisEEZZNS1_16scan_by_key_implILNS1_25lookback_scan_determinismE0ELb0ES3_N6thrust23THRUST_200600_302600_NS6detail15normal_iteratorINS9_10device_ptrIiEEEENSB_INSC_IsEEEESG_sNS9_4plusIvEENS9_8equal_toIvEEsEE10hipError_tPvRmT2_T3_T4_T5_mT6_T7_P12ihipStream_tbENKUlT_T0_E_clISt17integral_constantIbLb1EES10_IbLb0EEEEDaSW_SX_EUlSW_E_NS1_11comp_targetILNS1_3genE2ELNS1_11target_archE906ELNS1_3gpuE6ELNS1_3repE0EEENS1_30default_config_static_selectorELNS0_4arch9wavefront6targetE1EEEvT1_
; %bb.0:
	.section	.rodata,"a",@progbits
	.p2align	6, 0x0
	.amdhsa_kernel _ZN7rocprim17ROCPRIM_400000_NS6detail17trampoline_kernelINS0_14default_configENS1_27scan_by_key_config_selectorIisEEZZNS1_16scan_by_key_implILNS1_25lookback_scan_determinismE0ELb0ES3_N6thrust23THRUST_200600_302600_NS6detail15normal_iteratorINS9_10device_ptrIiEEEENSB_INSC_IsEEEESG_sNS9_4plusIvEENS9_8equal_toIvEEsEE10hipError_tPvRmT2_T3_T4_T5_mT6_T7_P12ihipStream_tbENKUlT_T0_E_clISt17integral_constantIbLb1EES10_IbLb0EEEEDaSW_SX_EUlSW_E_NS1_11comp_targetILNS1_3genE2ELNS1_11target_archE906ELNS1_3gpuE6ELNS1_3repE0EEENS1_30default_config_static_selectorELNS0_4arch9wavefront6targetE1EEEvT1_
		.amdhsa_group_segment_fixed_size 0
		.amdhsa_private_segment_fixed_size 0
		.amdhsa_kernarg_size 112
		.amdhsa_user_sgpr_count 2
		.amdhsa_user_sgpr_dispatch_ptr 0
		.amdhsa_user_sgpr_queue_ptr 0
		.amdhsa_user_sgpr_kernarg_segment_ptr 1
		.amdhsa_user_sgpr_dispatch_id 0
		.amdhsa_user_sgpr_kernarg_preload_length 0
		.amdhsa_user_sgpr_kernarg_preload_offset 0
		.amdhsa_user_sgpr_private_segment_size 0
		.amdhsa_uses_dynamic_stack 0
		.amdhsa_enable_private_segment 0
		.amdhsa_system_sgpr_workgroup_id_x 1
		.amdhsa_system_sgpr_workgroup_id_y 0
		.amdhsa_system_sgpr_workgroup_id_z 0
		.amdhsa_system_sgpr_workgroup_info 0
		.amdhsa_system_vgpr_workitem_id 0
		.amdhsa_next_free_vgpr 1
		.amdhsa_next_free_sgpr 0
		.amdhsa_accum_offset 4
		.amdhsa_reserve_vcc 0
		.amdhsa_float_round_mode_32 0
		.amdhsa_float_round_mode_16_64 0
		.amdhsa_float_denorm_mode_32 3
		.amdhsa_float_denorm_mode_16_64 3
		.amdhsa_dx10_clamp 1
		.amdhsa_ieee_mode 1
		.amdhsa_fp16_overflow 0
		.amdhsa_tg_split 0
		.amdhsa_exception_fp_ieee_invalid_op 0
		.amdhsa_exception_fp_denorm_src 0
		.amdhsa_exception_fp_ieee_div_zero 0
		.amdhsa_exception_fp_ieee_overflow 0
		.amdhsa_exception_fp_ieee_underflow 0
		.amdhsa_exception_fp_ieee_inexact 0
		.amdhsa_exception_int_div_zero 0
	.end_amdhsa_kernel
	.section	.text._ZN7rocprim17ROCPRIM_400000_NS6detail17trampoline_kernelINS0_14default_configENS1_27scan_by_key_config_selectorIisEEZZNS1_16scan_by_key_implILNS1_25lookback_scan_determinismE0ELb0ES3_N6thrust23THRUST_200600_302600_NS6detail15normal_iteratorINS9_10device_ptrIiEEEENSB_INSC_IsEEEESG_sNS9_4plusIvEENS9_8equal_toIvEEsEE10hipError_tPvRmT2_T3_T4_T5_mT6_T7_P12ihipStream_tbENKUlT_T0_E_clISt17integral_constantIbLb1EES10_IbLb0EEEEDaSW_SX_EUlSW_E_NS1_11comp_targetILNS1_3genE2ELNS1_11target_archE906ELNS1_3gpuE6ELNS1_3repE0EEENS1_30default_config_static_selectorELNS0_4arch9wavefront6targetE1EEEvT1_,"axG",@progbits,_ZN7rocprim17ROCPRIM_400000_NS6detail17trampoline_kernelINS0_14default_configENS1_27scan_by_key_config_selectorIisEEZZNS1_16scan_by_key_implILNS1_25lookback_scan_determinismE0ELb0ES3_N6thrust23THRUST_200600_302600_NS6detail15normal_iteratorINS9_10device_ptrIiEEEENSB_INSC_IsEEEESG_sNS9_4plusIvEENS9_8equal_toIvEEsEE10hipError_tPvRmT2_T3_T4_T5_mT6_T7_P12ihipStream_tbENKUlT_T0_E_clISt17integral_constantIbLb1EES10_IbLb0EEEEDaSW_SX_EUlSW_E_NS1_11comp_targetILNS1_3genE2ELNS1_11target_archE906ELNS1_3gpuE6ELNS1_3repE0EEENS1_30default_config_static_selectorELNS0_4arch9wavefront6targetE1EEEvT1_,comdat
.Lfunc_end1377:
	.size	_ZN7rocprim17ROCPRIM_400000_NS6detail17trampoline_kernelINS0_14default_configENS1_27scan_by_key_config_selectorIisEEZZNS1_16scan_by_key_implILNS1_25lookback_scan_determinismE0ELb0ES3_N6thrust23THRUST_200600_302600_NS6detail15normal_iteratorINS9_10device_ptrIiEEEENSB_INSC_IsEEEESG_sNS9_4plusIvEENS9_8equal_toIvEEsEE10hipError_tPvRmT2_T3_T4_T5_mT6_T7_P12ihipStream_tbENKUlT_T0_E_clISt17integral_constantIbLb1EES10_IbLb0EEEEDaSW_SX_EUlSW_E_NS1_11comp_targetILNS1_3genE2ELNS1_11target_archE906ELNS1_3gpuE6ELNS1_3repE0EEENS1_30default_config_static_selectorELNS0_4arch9wavefront6targetE1EEEvT1_, .Lfunc_end1377-_ZN7rocprim17ROCPRIM_400000_NS6detail17trampoline_kernelINS0_14default_configENS1_27scan_by_key_config_selectorIisEEZZNS1_16scan_by_key_implILNS1_25lookback_scan_determinismE0ELb0ES3_N6thrust23THRUST_200600_302600_NS6detail15normal_iteratorINS9_10device_ptrIiEEEENSB_INSC_IsEEEESG_sNS9_4plusIvEENS9_8equal_toIvEEsEE10hipError_tPvRmT2_T3_T4_T5_mT6_T7_P12ihipStream_tbENKUlT_T0_E_clISt17integral_constantIbLb1EES10_IbLb0EEEEDaSW_SX_EUlSW_E_NS1_11comp_targetILNS1_3genE2ELNS1_11target_archE906ELNS1_3gpuE6ELNS1_3repE0EEENS1_30default_config_static_selectorELNS0_4arch9wavefront6targetE1EEEvT1_
                                        ; -- End function
	.section	.AMDGPU.csdata,"",@progbits
; Kernel info:
; codeLenInByte = 0
; NumSgprs: 6
; NumVgprs: 0
; NumAgprs: 0
; TotalNumVgprs: 0
; ScratchSize: 0
; MemoryBound: 0
; FloatMode: 240
; IeeeMode: 1
; LDSByteSize: 0 bytes/workgroup (compile time only)
; SGPRBlocks: 0
; VGPRBlocks: 0
; NumSGPRsForWavesPerEU: 6
; NumVGPRsForWavesPerEU: 1
; AccumOffset: 4
; Occupancy: 8
; WaveLimiterHint : 0
; COMPUTE_PGM_RSRC2:SCRATCH_EN: 0
; COMPUTE_PGM_RSRC2:USER_SGPR: 2
; COMPUTE_PGM_RSRC2:TRAP_HANDLER: 0
; COMPUTE_PGM_RSRC2:TGID_X_EN: 1
; COMPUTE_PGM_RSRC2:TGID_Y_EN: 0
; COMPUTE_PGM_RSRC2:TGID_Z_EN: 0
; COMPUTE_PGM_RSRC2:TIDIG_COMP_CNT: 0
; COMPUTE_PGM_RSRC3_GFX90A:ACCUM_OFFSET: 0
; COMPUTE_PGM_RSRC3_GFX90A:TG_SPLIT: 0
	.section	.text._ZN7rocprim17ROCPRIM_400000_NS6detail17trampoline_kernelINS0_14default_configENS1_27scan_by_key_config_selectorIisEEZZNS1_16scan_by_key_implILNS1_25lookback_scan_determinismE0ELb0ES3_N6thrust23THRUST_200600_302600_NS6detail15normal_iteratorINS9_10device_ptrIiEEEENSB_INSC_IsEEEESG_sNS9_4plusIvEENS9_8equal_toIvEEsEE10hipError_tPvRmT2_T3_T4_T5_mT6_T7_P12ihipStream_tbENKUlT_T0_E_clISt17integral_constantIbLb1EES10_IbLb0EEEEDaSW_SX_EUlSW_E_NS1_11comp_targetILNS1_3genE10ELNS1_11target_archE1200ELNS1_3gpuE4ELNS1_3repE0EEENS1_30default_config_static_selectorELNS0_4arch9wavefront6targetE1EEEvT1_,"axG",@progbits,_ZN7rocprim17ROCPRIM_400000_NS6detail17trampoline_kernelINS0_14default_configENS1_27scan_by_key_config_selectorIisEEZZNS1_16scan_by_key_implILNS1_25lookback_scan_determinismE0ELb0ES3_N6thrust23THRUST_200600_302600_NS6detail15normal_iteratorINS9_10device_ptrIiEEEENSB_INSC_IsEEEESG_sNS9_4plusIvEENS9_8equal_toIvEEsEE10hipError_tPvRmT2_T3_T4_T5_mT6_T7_P12ihipStream_tbENKUlT_T0_E_clISt17integral_constantIbLb1EES10_IbLb0EEEEDaSW_SX_EUlSW_E_NS1_11comp_targetILNS1_3genE10ELNS1_11target_archE1200ELNS1_3gpuE4ELNS1_3repE0EEENS1_30default_config_static_selectorELNS0_4arch9wavefront6targetE1EEEvT1_,comdat
	.protected	_ZN7rocprim17ROCPRIM_400000_NS6detail17trampoline_kernelINS0_14default_configENS1_27scan_by_key_config_selectorIisEEZZNS1_16scan_by_key_implILNS1_25lookback_scan_determinismE0ELb0ES3_N6thrust23THRUST_200600_302600_NS6detail15normal_iteratorINS9_10device_ptrIiEEEENSB_INSC_IsEEEESG_sNS9_4plusIvEENS9_8equal_toIvEEsEE10hipError_tPvRmT2_T3_T4_T5_mT6_T7_P12ihipStream_tbENKUlT_T0_E_clISt17integral_constantIbLb1EES10_IbLb0EEEEDaSW_SX_EUlSW_E_NS1_11comp_targetILNS1_3genE10ELNS1_11target_archE1200ELNS1_3gpuE4ELNS1_3repE0EEENS1_30default_config_static_selectorELNS0_4arch9wavefront6targetE1EEEvT1_ ; -- Begin function _ZN7rocprim17ROCPRIM_400000_NS6detail17trampoline_kernelINS0_14default_configENS1_27scan_by_key_config_selectorIisEEZZNS1_16scan_by_key_implILNS1_25lookback_scan_determinismE0ELb0ES3_N6thrust23THRUST_200600_302600_NS6detail15normal_iteratorINS9_10device_ptrIiEEEENSB_INSC_IsEEEESG_sNS9_4plusIvEENS9_8equal_toIvEEsEE10hipError_tPvRmT2_T3_T4_T5_mT6_T7_P12ihipStream_tbENKUlT_T0_E_clISt17integral_constantIbLb1EES10_IbLb0EEEEDaSW_SX_EUlSW_E_NS1_11comp_targetILNS1_3genE10ELNS1_11target_archE1200ELNS1_3gpuE4ELNS1_3repE0EEENS1_30default_config_static_selectorELNS0_4arch9wavefront6targetE1EEEvT1_
	.globl	_ZN7rocprim17ROCPRIM_400000_NS6detail17trampoline_kernelINS0_14default_configENS1_27scan_by_key_config_selectorIisEEZZNS1_16scan_by_key_implILNS1_25lookback_scan_determinismE0ELb0ES3_N6thrust23THRUST_200600_302600_NS6detail15normal_iteratorINS9_10device_ptrIiEEEENSB_INSC_IsEEEESG_sNS9_4plusIvEENS9_8equal_toIvEEsEE10hipError_tPvRmT2_T3_T4_T5_mT6_T7_P12ihipStream_tbENKUlT_T0_E_clISt17integral_constantIbLb1EES10_IbLb0EEEEDaSW_SX_EUlSW_E_NS1_11comp_targetILNS1_3genE10ELNS1_11target_archE1200ELNS1_3gpuE4ELNS1_3repE0EEENS1_30default_config_static_selectorELNS0_4arch9wavefront6targetE1EEEvT1_
	.p2align	8
	.type	_ZN7rocprim17ROCPRIM_400000_NS6detail17trampoline_kernelINS0_14default_configENS1_27scan_by_key_config_selectorIisEEZZNS1_16scan_by_key_implILNS1_25lookback_scan_determinismE0ELb0ES3_N6thrust23THRUST_200600_302600_NS6detail15normal_iteratorINS9_10device_ptrIiEEEENSB_INSC_IsEEEESG_sNS9_4plusIvEENS9_8equal_toIvEEsEE10hipError_tPvRmT2_T3_T4_T5_mT6_T7_P12ihipStream_tbENKUlT_T0_E_clISt17integral_constantIbLb1EES10_IbLb0EEEEDaSW_SX_EUlSW_E_NS1_11comp_targetILNS1_3genE10ELNS1_11target_archE1200ELNS1_3gpuE4ELNS1_3repE0EEENS1_30default_config_static_selectorELNS0_4arch9wavefront6targetE1EEEvT1_,@function
_ZN7rocprim17ROCPRIM_400000_NS6detail17trampoline_kernelINS0_14default_configENS1_27scan_by_key_config_selectorIisEEZZNS1_16scan_by_key_implILNS1_25lookback_scan_determinismE0ELb0ES3_N6thrust23THRUST_200600_302600_NS6detail15normal_iteratorINS9_10device_ptrIiEEEENSB_INSC_IsEEEESG_sNS9_4plusIvEENS9_8equal_toIvEEsEE10hipError_tPvRmT2_T3_T4_T5_mT6_T7_P12ihipStream_tbENKUlT_T0_E_clISt17integral_constantIbLb1EES10_IbLb0EEEEDaSW_SX_EUlSW_E_NS1_11comp_targetILNS1_3genE10ELNS1_11target_archE1200ELNS1_3gpuE4ELNS1_3repE0EEENS1_30default_config_static_selectorELNS0_4arch9wavefront6targetE1EEEvT1_: ; @_ZN7rocprim17ROCPRIM_400000_NS6detail17trampoline_kernelINS0_14default_configENS1_27scan_by_key_config_selectorIisEEZZNS1_16scan_by_key_implILNS1_25lookback_scan_determinismE0ELb0ES3_N6thrust23THRUST_200600_302600_NS6detail15normal_iteratorINS9_10device_ptrIiEEEENSB_INSC_IsEEEESG_sNS9_4plusIvEENS9_8equal_toIvEEsEE10hipError_tPvRmT2_T3_T4_T5_mT6_T7_P12ihipStream_tbENKUlT_T0_E_clISt17integral_constantIbLb1EES10_IbLb0EEEEDaSW_SX_EUlSW_E_NS1_11comp_targetILNS1_3genE10ELNS1_11target_archE1200ELNS1_3gpuE4ELNS1_3repE0EEENS1_30default_config_static_selectorELNS0_4arch9wavefront6targetE1EEEvT1_
; %bb.0:
	.section	.rodata,"a",@progbits
	.p2align	6, 0x0
	.amdhsa_kernel _ZN7rocprim17ROCPRIM_400000_NS6detail17trampoline_kernelINS0_14default_configENS1_27scan_by_key_config_selectorIisEEZZNS1_16scan_by_key_implILNS1_25lookback_scan_determinismE0ELb0ES3_N6thrust23THRUST_200600_302600_NS6detail15normal_iteratorINS9_10device_ptrIiEEEENSB_INSC_IsEEEESG_sNS9_4plusIvEENS9_8equal_toIvEEsEE10hipError_tPvRmT2_T3_T4_T5_mT6_T7_P12ihipStream_tbENKUlT_T0_E_clISt17integral_constantIbLb1EES10_IbLb0EEEEDaSW_SX_EUlSW_E_NS1_11comp_targetILNS1_3genE10ELNS1_11target_archE1200ELNS1_3gpuE4ELNS1_3repE0EEENS1_30default_config_static_selectorELNS0_4arch9wavefront6targetE1EEEvT1_
		.amdhsa_group_segment_fixed_size 0
		.amdhsa_private_segment_fixed_size 0
		.amdhsa_kernarg_size 112
		.amdhsa_user_sgpr_count 2
		.amdhsa_user_sgpr_dispatch_ptr 0
		.amdhsa_user_sgpr_queue_ptr 0
		.amdhsa_user_sgpr_kernarg_segment_ptr 1
		.amdhsa_user_sgpr_dispatch_id 0
		.amdhsa_user_sgpr_kernarg_preload_length 0
		.amdhsa_user_sgpr_kernarg_preload_offset 0
		.amdhsa_user_sgpr_private_segment_size 0
		.amdhsa_uses_dynamic_stack 0
		.amdhsa_enable_private_segment 0
		.amdhsa_system_sgpr_workgroup_id_x 1
		.amdhsa_system_sgpr_workgroup_id_y 0
		.amdhsa_system_sgpr_workgroup_id_z 0
		.amdhsa_system_sgpr_workgroup_info 0
		.amdhsa_system_vgpr_workitem_id 0
		.amdhsa_next_free_vgpr 1
		.amdhsa_next_free_sgpr 0
		.amdhsa_accum_offset 4
		.amdhsa_reserve_vcc 0
		.amdhsa_float_round_mode_32 0
		.amdhsa_float_round_mode_16_64 0
		.amdhsa_float_denorm_mode_32 3
		.amdhsa_float_denorm_mode_16_64 3
		.amdhsa_dx10_clamp 1
		.amdhsa_ieee_mode 1
		.amdhsa_fp16_overflow 0
		.amdhsa_tg_split 0
		.amdhsa_exception_fp_ieee_invalid_op 0
		.amdhsa_exception_fp_denorm_src 0
		.amdhsa_exception_fp_ieee_div_zero 0
		.amdhsa_exception_fp_ieee_overflow 0
		.amdhsa_exception_fp_ieee_underflow 0
		.amdhsa_exception_fp_ieee_inexact 0
		.amdhsa_exception_int_div_zero 0
	.end_amdhsa_kernel
	.section	.text._ZN7rocprim17ROCPRIM_400000_NS6detail17trampoline_kernelINS0_14default_configENS1_27scan_by_key_config_selectorIisEEZZNS1_16scan_by_key_implILNS1_25lookback_scan_determinismE0ELb0ES3_N6thrust23THRUST_200600_302600_NS6detail15normal_iteratorINS9_10device_ptrIiEEEENSB_INSC_IsEEEESG_sNS9_4plusIvEENS9_8equal_toIvEEsEE10hipError_tPvRmT2_T3_T4_T5_mT6_T7_P12ihipStream_tbENKUlT_T0_E_clISt17integral_constantIbLb1EES10_IbLb0EEEEDaSW_SX_EUlSW_E_NS1_11comp_targetILNS1_3genE10ELNS1_11target_archE1200ELNS1_3gpuE4ELNS1_3repE0EEENS1_30default_config_static_selectorELNS0_4arch9wavefront6targetE1EEEvT1_,"axG",@progbits,_ZN7rocprim17ROCPRIM_400000_NS6detail17trampoline_kernelINS0_14default_configENS1_27scan_by_key_config_selectorIisEEZZNS1_16scan_by_key_implILNS1_25lookback_scan_determinismE0ELb0ES3_N6thrust23THRUST_200600_302600_NS6detail15normal_iteratorINS9_10device_ptrIiEEEENSB_INSC_IsEEEESG_sNS9_4plusIvEENS9_8equal_toIvEEsEE10hipError_tPvRmT2_T3_T4_T5_mT6_T7_P12ihipStream_tbENKUlT_T0_E_clISt17integral_constantIbLb1EES10_IbLb0EEEEDaSW_SX_EUlSW_E_NS1_11comp_targetILNS1_3genE10ELNS1_11target_archE1200ELNS1_3gpuE4ELNS1_3repE0EEENS1_30default_config_static_selectorELNS0_4arch9wavefront6targetE1EEEvT1_,comdat
.Lfunc_end1378:
	.size	_ZN7rocprim17ROCPRIM_400000_NS6detail17trampoline_kernelINS0_14default_configENS1_27scan_by_key_config_selectorIisEEZZNS1_16scan_by_key_implILNS1_25lookback_scan_determinismE0ELb0ES3_N6thrust23THRUST_200600_302600_NS6detail15normal_iteratorINS9_10device_ptrIiEEEENSB_INSC_IsEEEESG_sNS9_4plusIvEENS9_8equal_toIvEEsEE10hipError_tPvRmT2_T3_T4_T5_mT6_T7_P12ihipStream_tbENKUlT_T0_E_clISt17integral_constantIbLb1EES10_IbLb0EEEEDaSW_SX_EUlSW_E_NS1_11comp_targetILNS1_3genE10ELNS1_11target_archE1200ELNS1_3gpuE4ELNS1_3repE0EEENS1_30default_config_static_selectorELNS0_4arch9wavefront6targetE1EEEvT1_, .Lfunc_end1378-_ZN7rocprim17ROCPRIM_400000_NS6detail17trampoline_kernelINS0_14default_configENS1_27scan_by_key_config_selectorIisEEZZNS1_16scan_by_key_implILNS1_25lookback_scan_determinismE0ELb0ES3_N6thrust23THRUST_200600_302600_NS6detail15normal_iteratorINS9_10device_ptrIiEEEENSB_INSC_IsEEEESG_sNS9_4plusIvEENS9_8equal_toIvEEsEE10hipError_tPvRmT2_T3_T4_T5_mT6_T7_P12ihipStream_tbENKUlT_T0_E_clISt17integral_constantIbLb1EES10_IbLb0EEEEDaSW_SX_EUlSW_E_NS1_11comp_targetILNS1_3genE10ELNS1_11target_archE1200ELNS1_3gpuE4ELNS1_3repE0EEENS1_30default_config_static_selectorELNS0_4arch9wavefront6targetE1EEEvT1_
                                        ; -- End function
	.section	.AMDGPU.csdata,"",@progbits
; Kernel info:
; codeLenInByte = 0
; NumSgprs: 6
; NumVgprs: 0
; NumAgprs: 0
; TotalNumVgprs: 0
; ScratchSize: 0
; MemoryBound: 0
; FloatMode: 240
; IeeeMode: 1
; LDSByteSize: 0 bytes/workgroup (compile time only)
; SGPRBlocks: 0
; VGPRBlocks: 0
; NumSGPRsForWavesPerEU: 6
; NumVGPRsForWavesPerEU: 1
; AccumOffset: 4
; Occupancy: 8
; WaveLimiterHint : 0
; COMPUTE_PGM_RSRC2:SCRATCH_EN: 0
; COMPUTE_PGM_RSRC2:USER_SGPR: 2
; COMPUTE_PGM_RSRC2:TRAP_HANDLER: 0
; COMPUTE_PGM_RSRC2:TGID_X_EN: 1
; COMPUTE_PGM_RSRC2:TGID_Y_EN: 0
; COMPUTE_PGM_RSRC2:TGID_Z_EN: 0
; COMPUTE_PGM_RSRC2:TIDIG_COMP_CNT: 0
; COMPUTE_PGM_RSRC3_GFX90A:ACCUM_OFFSET: 0
; COMPUTE_PGM_RSRC3_GFX90A:TG_SPLIT: 0
	.section	.text._ZN7rocprim17ROCPRIM_400000_NS6detail17trampoline_kernelINS0_14default_configENS1_27scan_by_key_config_selectorIisEEZZNS1_16scan_by_key_implILNS1_25lookback_scan_determinismE0ELb0ES3_N6thrust23THRUST_200600_302600_NS6detail15normal_iteratorINS9_10device_ptrIiEEEENSB_INSC_IsEEEESG_sNS9_4plusIvEENS9_8equal_toIvEEsEE10hipError_tPvRmT2_T3_T4_T5_mT6_T7_P12ihipStream_tbENKUlT_T0_E_clISt17integral_constantIbLb1EES10_IbLb0EEEEDaSW_SX_EUlSW_E_NS1_11comp_targetILNS1_3genE9ELNS1_11target_archE1100ELNS1_3gpuE3ELNS1_3repE0EEENS1_30default_config_static_selectorELNS0_4arch9wavefront6targetE1EEEvT1_,"axG",@progbits,_ZN7rocprim17ROCPRIM_400000_NS6detail17trampoline_kernelINS0_14default_configENS1_27scan_by_key_config_selectorIisEEZZNS1_16scan_by_key_implILNS1_25lookback_scan_determinismE0ELb0ES3_N6thrust23THRUST_200600_302600_NS6detail15normal_iteratorINS9_10device_ptrIiEEEENSB_INSC_IsEEEESG_sNS9_4plusIvEENS9_8equal_toIvEEsEE10hipError_tPvRmT2_T3_T4_T5_mT6_T7_P12ihipStream_tbENKUlT_T0_E_clISt17integral_constantIbLb1EES10_IbLb0EEEEDaSW_SX_EUlSW_E_NS1_11comp_targetILNS1_3genE9ELNS1_11target_archE1100ELNS1_3gpuE3ELNS1_3repE0EEENS1_30default_config_static_selectorELNS0_4arch9wavefront6targetE1EEEvT1_,comdat
	.protected	_ZN7rocprim17ROCPRIM_400000_NS6detail17trampoline_kernelINS0_14default_configENS1_27scan_by_key_config_selectorIisEEZZNS1_16scan_by_key_implILNS1_25lookback_scan_determinismE0ELb0ES3_N6thrust23THRUST_200600_302600_NS6detail15normal_iteratorINS9_10device_ptrIiEEEENSB_INSC_IsEEEESG_sNS9_4plusIvEENS9_8equal_toIvEEsEE10hipError_tPvRmT2_T3_T4_T5_mT6_T7_P12ihipStream_tbENKUlT_T0_E_clISt17integral_constantIbLb1EES10_IbLb0EEEEDaSW_SX_EUlSW_E_NS1_11comp_targetILNS1_3genE9ELNS1_11target_archE1100ELNS1_3gpuE3ELNS1_3repE0EEENS1_30default_config_static_selectorELNS0_4arch9wavefront6targetE1EEEvT1_ ; -- Begin function _ZN7rocprim17ROCPRIM_400000_NS6detail17trampoline_kernelINS0_14default_configENS1_27scan_by_key_config_selectorIisEEZZNS1_16scan_by_key_implILNS1_25lookback_scan_determinismE0ELb0ES3_N6thrust23THRUST_200600_302600_NS6detail15normal_iteratorINS9_10device_ptrIiEEEENSB_INSC_IsEEEESG_sNS9_4plusIvEENS9_8equal_toIvEEsEE10hipError_tPvRmT2_T3_T4_T5_mT6_T7_P12ihipStream_tbENKUlT_T0_E_clISt17integral_constantIbLb1EES10_IbLb0EEEEDaSW_SX_EUlSW_E_NS1_11comp_targetILNS1_3genE9ELNS1_11target_archE1100ELNS1_3gpuE3ELNS1_3repE0EEENS1_30default_config_static_selectorELNS0_4arch9wavefront6targetE1EEEvT1_
	.globl	_ZN7rocprim17ROCPRIM_400000_NS6detail17trampoline_kernelINS0_14default_configENS1_27scan_by_key_config_selectorIisEEZZNS1_16scan_by_key_implILNS1_25lookback_scan_determinismE0ELb0ES3_N6thrust23THRUST_200600_302600_NS6detail15normal_iteratorINS9_10device_ptrIiEEEENSB_INSC_IsEEEESG_sNS9_4plusIvEENS9_8equal_toIvEEsEE10hipError_tPvRmT2_T3_T4_T5_mT6_T7_P12ihipStream_tbENKUlT_T0_E_clISt17integral_constantIbLb1EES10_IbLb0EEEEDaSW_SX_EUlSW_E_NS1_11comp_targetILNS1_3genE9ELNS1_11target_archE1100ELNS1_3gpuE3ELNS1_3repE0EEENS1_30default_config_static_selectorELNS0_4arch9wavefront6targetE1EEEvT1_
	.p2align	8
	.type	_ZN7rocprim17ROCPRIM_400000_NS6detail17trampoline_kernelINS0_14default_configENS1_27scan_by_key_config_selectorIisEEZZNS1_16scan_by_key_implILNS1_25lookback_scan_determinismE0ELb0ES3_N6thrust23THRUST_200600_302600_NS6detail15normal_iteratorINS9_10device_ptrIiEEEENSB_INSC_IsEEEESG_sNS9_4plusIvEENS9_8equal_toIvEEsEE10hipError_tPvRmT2_T3_T4_T5_mT6_T7_P12ihipStream_tbENKUlT_T0_E_clISt17integral_constantIbLb1EES10_IbLb0EEEEDaSW_SX_EUlSW_E_NS1_11comp_targetILNS1_3genE9ELNS1_11target_archE1100ELNS1_3gpuE3ELNS1_3repE0EEENS1_30default_config_static_selectorELNS0_4arch9wavefront6targetE1EEEvT1_,@function
_ZN7rocprim17ROCPRIM_400000_NS6detail17trampoline_kernelINS0_14default_configENS1_27scan_by_key_config_selectorIisEEZZNS1_16scan_by_key_implILNS1_25lookback_scan_determinismE0ELb0ES3_N6thrust23THRUST_200600_302600_NS6detail15normal_iteratorINS9_10device_ptrIiEEEENSB_INSC_IsEEEESG_sNS9_4plusIvEENS9_8equal_toIvEEsEE10hipError_tPvRmT2_T3_T4_T5_mT6_T7_P12ihipStream_tbENKUlT_T0_E_clISt17integral_constantIbLb1EES10_IbLb0EEEEDaSW_SX_EUlSW_E_NS1_11comp_targetILNS1_3genE9ELNS1_11target_archE1100ELNS1_3gpuE3ELNS1_3repE0EEENS1_30default_config_static_selectorELNS0_4arch9wavefront6targetE1EEEvT1_: ; @_ZN7rocprim17ROCPRIM_400000_NS6detail17trampoline_kernelINS0_14default_configENS1_27scan_by_key_config_selectorIisEEZZNS1_16scan_by_key_implILNS1_25lookback_scan_determinismE0ELb0ES3_N6thrust23THRUST_200600_302600_NS6detail15normal_iteratorINS9_10device_ptrIiEEEENSB_INSC_IsEEEESG_sNS9_4plusIvEENS9_8equal_toIvEEsEE10hipError_tPvRmT2_T3_T4_T5_mT6_T7_P12ihipStream_tbENKUlT_T0_E_clISt17integral_constantIbLb1EES10_IbLb0EEEEDaSW_SX_EUlSW_E_NS1_11comp_targetILNS1_3genE9ELNS1_11target_archE1100ELNS1_3gpuE3ELNS1_3repE0EEENS1_30default_config_static_selectorELNS0_4arch9wavefront6targetE1EEEvT1_
; %bb.0:
	.section	.rodata,"a",@progbits
	.p2align	6, 0x0
	.amdhsa_kernel _ZN7rocprim17ROCPRIM_400000_NS6detail17trampoline_kernelINS0_14default_configENS1_27scan_by_key_config_selectorIisEEZZNS1_16scan_by_key_implILNS1_25lookback_scan_determinismE0ELb0ES3_N6thrust23THRUST_200600_302600_NS6detail15normal_iteratorINS9_10device_ptrIiEEEENSB_INSC_IsEEEESG_sNS9_4plusIvEENS9_8equal_toIvEEsEE10hipError_tPvRmT2_T3_T4_T5_mT6_T7_P12ihipStream_tbENKUlT_T0_E_clISt17integral_constantIbLb1EES10_IbLb0EEEEDaSW_SX_EUlSW_E_NS1_11comp_targetILNS1_3genE9ELNS1_11target_archE1100ELNS1_3gpuE3ELNS1_3repE0EEENS1_30default_config_static_selectorELNS0_4arch9wavefront6targetE1EEEvT1_
		.amdhsa_group_segment_fixed_size 0
		.amdhsa_private_segment_fixed_size 0
		.amdhsa_kernarg_size 112
		.amdhsa_user_sgpr_count 2
		.amdhsa_user_sgpr_dispatch_ptr 0
		.amdhsa_user_sgpr_queue_ptr 0
		.amdhsa_user_sgpr_kernarg_segment_ptr 1
		.amdhsa_user_sgpr_dispatch_id 0
		.amdhsa_user_sgpr_kernarg_preload_length 0
		.amdhsa_user_sgpr_kernarg_preload_offset 0
		.amdhsa_user_sgpr_private_segment_size 0
		.amdhsa_uses_dynamic_stack 0
		.amdhsa_enable_private_segment 0
		.amdhsa_system_sgpr_workgroup_id_x 1
		.amdhsa_system_sgpr_workgroup_id_y 0
		.amdhsa_system_sgpr_workgroup_id_z 0
		.amdhsa_system_sgpr_workgroup_info 0
		.amdhsa_system_vgpr_workitem_id 0
		.amdhsa_next_free_vgpr 1
		.amdhsa_next_free_sgpr 0
		.amdhsa_accum_offset 4
		.amdhsa_reserve_vcc 0
		.amdhsa_float_round_mode_32 0
		.amdhsa_float_round_mode_16_64 0
		.amdhsa_float_denorm_mode_32 3
		.amdhsa_float_denorm_mode_16_64 3
		.amdhsa_dx10_clamp 1
		.amdhsa_ieee_mode 1
		.amdhsa_fp16_overflow 0
		.amdhsa_tg_split 0
		.amdhsa_exception_fp_ieee_invalid_op 0
		.amdhsa_exception_fp_denorm_src 0
		.amdhsa_exception_fp_ieee_div_zero 0
		.amdhsa_exception_fp_ieee_overflow 0
		.amdhsa_exception_fp_ieee_underflow 0
		.amdhsa_exception_fp_ieee_inexact 0
		.amdhsa_exception_int_div_zero 0
	.end_amdhsa_kernel
	.section	.text._ZN7rocprim17ROCPRIM_400000_NS6detail17trampoline_kernelINS0_14default_configENS1_27scan_by_key_config_selectorIisEEZZNS1_16scan_by_key_implILNS1_25lookback_scan_determinismE0ELb0ES3_N6thrust23THRUST_200600_302600_NS6detail15normal_iteratorINS9_10device_ptrIiEEEENSB_INSC_IsEEEESG_sNS9_4plusIvEENS9_8equal_toIvEEsEE10hipError_tPvRmT2_T3_T4_T5_mT6_T7_P12ihipStream_tbENKUlT_T0_E_clISt17integral_constantIbLb1EES10_IbLb0EEEEDaSW_SX_EUlSW_E_NS1_11comp_targetILNS1_3genE9ELNS1_11target_archE1100ELNS1_3gpuE3ELNS1_3repE0EEENS1_30default_config_static_selectorELNS0_4arch9wavefront6targetE1EEEvT1_,"axG",@progbits,_ZN7rocprim17ROCPRIM_400000_NS6detail17trampoline_kernelINS0_14default_configENS1_27scan_by_key_config_selectorIisEEZZNS1_16scan_by_key_implILNS1_25lookback_scan_determinismE0ELb0ES3_N6thrust23THRUST_200600_302600_NS6detail15normal_iteratorINS9_10device_ptrIiEEEENSB_INSC_IsEEEESG_sNS9_4plusIvEENS9_8equal_toIvEEsEE10hipError_tPvRmT2_T3_T4_T5_mT6_T7_P12ihipStream_tbENKUlT_T0_E_clISt17integral_constantIbLb1EES10_IbLb0EEEEDaSW_SX_EUlSW_E_NS1_11comp_targetILNS1_3genE9ELNS1_11target_archE1100ELNS1_3gpuE3ELNS1_3repE0EEENS1_30default_config_static_selectorELNS0_4arch9wavefront6targetE1EEEvT1_,comdat
.Lfunc_end1379:
	.size	_ZN7rocprim17ROCPRIM_400000_NS6detail17trampoline_kernelINS0_14default_configENS1_27scan_by_key_config_selectorIisEEZZNS1_16scan_by_key_implILNS1_25lookback_scan_determinismE0ELb0ES3_N6thrust23THRUST_200600_302600_NS6detail15normal_iteratorINS9_10device_ptrIiEEEENSB_INSC_IsEEEESG_sNS9_4plusIvEENS9_8equal_toIvEEsEE10hipError_tPvRmT2_T3_T4_T5_mT6_T7_P12ihipStream_tbENKUlT_T0_E_clISt17integral_constantIbLb1EES10_IbLb0EEEEDaSW_SX_EUlSW_E_NS1_11comp_targetILNS1_3genE9ELNS1_11target_archE1100ELNS1_3gpuE3ELNS1_3repE0EEENS1_30default_config_static_selectorELNS0_4arch9wavefront6targetE1EEEvT1_, .Lfunc_end1379-_ZN7rocprim17ROCPRIM_400000_NS6detail17trampoline_kernelINS0_14default_configENS1_27scan_by_key_config_selectorIisEEZZNS1_16scan_by_key_implILNS1_25lookback_scan_determinismE0ELb0ES3_N6thrust23THRUST_200600_302600_NS6detail15normal_iteratorINS9_10device_ptrIiEEEENSB_INSC_IsEEEESG_sNS9_4plusIvEENS9_8equal_toIvEEsEE10hipError_tPvRmT2_T3_T4_T5_mT6_T7_P12ihipStream_tbENKUlT_T0_E_clISt17integral_constantIbLb1EES10_IbLb0EEEEDaSW_SX_EUlSW_E_NS1_11comp_targetILNS1_3genE9ELNS1_11target_archE1100ELNS1_3gpuE3ELNS1_3repE0EEENS1_30default_config_static_selectorELNS0_4arch9wavefront6targetE1EEEvT1_
                                        ; -- End function
	.section	.AMDGPU.csdata,"",@progbits
; Kernel info:
; codeLenInByte = 0
; NumSgprs: 6
; NumVgprs: 0
; NumAgprs: 0
; TotalNumVgprs: 0
; ScratchSize: 0
; MemoryBound: 0
; FloatMode: 240
; IeeeMode: 1
; LDSByteSize: 0 bytes/workgroup (compile time only)
; SGPRBlocks: 0
; VGPRBlocks: 0
; NumSGPRsForWavesPerEU: 6
; NumVGPRsForWavesPerEU: 1
; AccumOffset: 4
; Occupancy: 8
; WaveLimiterHint : 0
; COMPUTE_PGM_RSRC2:SCRATCH_EN: 0
; COMPUTE_PGM_RSRC2:USER_SGPR: 2
; COMPUTE_PGM_RSRC2:TRAP_HANDLER: 0
; COMPUTE_PGM_RSRC2:TGID_X_EN: 1
; COMPUTE_PGM_RSRC2:TGID_Y_EN: 0
; COMPUTE_PGM_RSRC2:TGID_Z_EN: 0
; COMPUTE_PGM_RSRC2:TIDIG_COMP_CNT: 0
; COMPUTE_PGM_RSRC3_GFX90A:ACCUM_OFFSET: 0
; COMPUTE_PGM_RSRC3_GFX90A:TG_SPLIT: 0
	.section	.text._ZN7rocprim17ROCPRIM_400000_NS6detail17trampoline_kernelINS0_14default_configENS1_27scan_by_key_config_selectorIisEEZZNS1_16scan_by_key_implILNS1_25lookback_scan_determinismE0ELb0ES3_N6thrust23THRUST_200600_302600_NS6detail15normal_iteratorINS9_10device_ptrIiEEEENSB_INSC_IsEEEESG_sNS9_4plusIvEENS9_8equal_toIvEEsEE10hipError_tPvRmT2_T3_T4_T5_mT6_T7_P12ihipStream_tbENKUlT_T0_E_clISt17integral_constantIbLb1EES10_IbLb0EEEEDaSW_SX_EUlSW_E_NS1_11comp_targetILNS1_3genE8ELNS1_11target_archE1030ELNS1_3gpuE2ELNS1_3repE0EEENS1_30default_config_static_selectorELNS0_4arch9wavefront6targetE1EEEvT1_,"axG",@progbits,_ZN7rocprim17ROCPRIM_400000_NS6detail17trampoline_kernelINS0_14default_configENS1_27scan_by_key_config_selectorIisEEZZNS1_16scan_by_key_implILNS1_25lookback_scan_determinismE0ELb0ES3_N6thrust23THRUST_200600_302600_NS6detail15normal_iteratorINS9_10device_ptrIiEEEENSB_INSC_IsEEEESG_sNS9_4plusIvEENS9_8equal_toIvEEsEE10hipError_tPvRmT2_T3_T4_T5_mT6_T7_P12ihipStream_tbENKUlT_T0_E_clISt17integral_constantIbLb1EES10_IbLb0EEEEDaSW_SX_EUlSW_E_NS1_11comp_targetILNS1_3genE8ELNS1_11target_archE1030ELNS1_3gpuE2ELNS1_3repE0EEENS1_30default_config_static_selectorELNS0_4arch9wavefront6targetE1EEEvT1_,comdat
	.protected	_ZN7rocprim17ROCPRIM_400000_NS6detail17trampoline_kernelINS0_14default_configENS1_27scan_by_key_config_selectorIisEEZZNS1_16scan_by_key_implILNS1_25lookback_scan_determinismE0ELb0ES3_N6thrust23THRUST_200600_302600_NS6detail15normal_iteratorINS9_10device_ptrIiEEEENSB_INSC_IsEEEESG_sNS9_4plusIvEENS9_8equal_toIvEEsEE10hipError_tPvRmT2_T3_T4_T5_mT6_T7_P12ihipStream_tbENKUlT_T0_E_clISt17integral_constantIbLb1EES10_IbLb0EEEEDaSW_SX_EUlSW_E_NS1_11comp_targetILNS1_3genE8ELNS1_11target_archE1030ELNS1_3gpuE2ELNS1_3repE0EEENS1_30default_config_static_selectorELNS0_4arch9wavefront6targetE1EEEvT1_ ; -- Begin function _ZN7rocprim17ROCPRIM_400000_NS6detail17trampoline_kernelINS0_14default_configENS1_27scan_by_key_config_selectorIisEEZZNS1_16scan_by_key_implILNS1_25lookback_scan_determinismE0ELb0ES3_N6thrust23THRUST_200600_302600_NS6detail15normal_iteratorINS9_10device_ptrIiEEEENSB_INSC_IsEEEESG_sNS9_4plusIvEENS9_8equal_toIvEEsEE10hipError_tPvRmT2_T3_T4_T5_mT6_T7_P12ihipStream_tbENKUlT_T0_E_clISt17integral_constantIbLb1EES10_IbLb0EEEEDaSW_SX_EUlSW_E_NS1_11comp_targetILNS1_3genE8ELNS1_11target_archE1030ELNS1_3gpuE2ELNS1_3repE0EEENS1_30default_config_static_selectorELNS0_4arch9wavefront6targetE1EEEvT1_
	.globl	_ZN7rocprim17ROCPRIM_400000_NS6detail17trampoline_kernelINS0_14default_configENS1_27scan_by_key_config_selectorIisEEZZNS1_16scan_by_key_implILNS1_25lookback_scan_determinismE0ELb0ES3_N6thrust23THRUST_200600_302600_NS6detail15normal_iteratorINS9_10device_ptrIiEEEENSB_INSC_IsEEEESG_sNS9_4plusIvEENS9_8equal_toIvEEsEE10hipError_tPvRmT2_T3_T4_T5_mT6_T7_P12ihipStream_tbENKUlT_T0_E_clISt17integral_constantIbLb1EES10_IbLb0EEEEDaSW_SX_EUlSW_E_NS1_11comp_targetILNS1_3genE8ELNS1_11target_archE1030ELNS1_3gpuE2ELNS1_3repE0EEENS1_30default_config_static_selectorELNS0_4arch9wavefront6targetE1EEEvT1_
	.p2align	8
	.type	_ZN7rocprim17ROCPRIM_400000_NS6detail17trampoline_kernelINS0_14default_configENS1_27scan_by_key_config_selectorIisEEZZNS1_16scan_by_key_implILNS1_25lookback_scan_determinismE0ELb0ES3_N6thrust23THRUST_200600_302600_NS6detail15normal_iteratorINS9_10device_ptrIiEEEENSB_INSC_IsEEEESG_sNS9_4plusIvEENS9_8equal_toIvEEsEE10hipError_tPvRmT2_T3_T4_T5_mT6_T7_P12ihipStream_tbENKUlT_T0_E_clISt17integral_constantIbLb1EES10_IbLb0EEEEDaSW_SX_EUlSW_E_NS1_11comp_targetILNS1_3genE8ELNS1_11target_archE1030ELNS1_3gpuE2ELNS1_3repE0EEENS1_30default_config_static_selectorELNS0_4arch9wavefront6targetE1EEEvT1_,@function
_ZN7rocprim17ROCPRIM_400000_NS6detail17trampoline_kernelINS0_14default_configENS1_27scan_by_key_config_selectorIisEEZZNS1_16scan_by_key_implILNS1_25lookback_scan_determinismE0ELb0ES3_N6thrust23THRUST_200600_302600_NS6detail15normal_iteratorINS9_10device_ptrIiEEEENSB_INSC_IsEEEESG_sNS9_4plusIvEENS9_8equal_toIvEEsEE10hipError_tPvRmT2_T3_T4_T5_mT6_T7_P12ihipStream_tbENKUlT_T0_E_clISt17integral_constantIbLb1EES10_IbLb0EEEEDaSW_SX_EUlSW_E_NS1_11comp_targetILNS1_3genE8ELNS1_11target_archE1030ELNS1_3gpuE2ELNS1_3repE0EEENS1_30default_config_static_selectorELNS0_4arch9wavefront6targetE1EEEvT1_: ; @_ZN7rocprim17ROCPRIM_400000_NS6detail17trampoline_kernelINS0_14default_configENS1_27scan_by_key_config_selectorIisEEZZNS1_16scan_by_key_implILNS1_25lookback_scan_determinismE0ELb0ES3_N6thrust23THRUST_200600_302600_NS6detail15normal_iteratorINS9_10device_ptrIiEEEENSB_INSC_IsEEEESG_sNS9_4plusIvEENS9_8equal_toIvEEsEE10hipError_tPvRmT2_T3_T4_T5_mT6_T7_P12ihipStream_tbENKUlT_T0_E_clISt17integral_constantIbLb1EES10_IbLb0EEEEDaSW_SX_EUlSW_E_NS1_11comp_targetILNS1_3genE8ELNS1_11target_archE1030ELNS1_3gpuE2ELNS1_3repE0EEENS1_30default_config_static_selectorELNS0_4arch9wavefront6targetE1EEEvT1_
; %bb.0:
	.section	.rodata,"a",@progbits
	.p2align	6, 0x0
	.amdhsa_kernel _ZN7rocprim17ROCPRIM_400000_NS6detail17trampoline_kernelINS0_14default_configENS1_27scan_by_key_config_selectorIisEEZZNS1_16scan_by_key_implILNS1_25lookback_scan_determinismE0ELb0ES3_N6thrust23THRUST_200600_302600_NS6detail15normal_iteratorINS9_10device_ptrIiEEEENSB_INSC_IsEEEESG_sNS9_4plusIvEENS9_8equal_toIvEEsEE10hipError_tPvRmT2_T3_T4_T5_mT6_T7_P12ihipStream_tbENKUlT_T0_E_clISt17integral_constantIbLb1EES10_IbLb0EEEEDaSW_SX_EUlSW_E_NS1_11comp_targetILNS1_3genE8ELNS1_11target_archE1030ELNS1_3gpuE2ELNS1_3repE0EEENS1_30default_config_static_selectorELNS0_4arch9wavefront6targetE1EEEvT1_
		.amdhsa_group_segment_fixed_size 0
		.amdhsa_private_segment_fixed_size 0
		.amdhsa_kernarg_size 112
		.amdhsa_user_sgpr_count 2
		.amdhsa_user_sgpr_dispatch_ptr 0
		.amdhsa_user_sgpr_queue_ptr 0
		.amdhsa_user_sgpr_kernarg_segment_ptr 1
		.amdhsa_user_sgpr_dispatch_id 0
		.amdhsa_user_sgpr_kernarg_preload_length 0
		.amdhsa_user_sgpr_kernarg_preload_offset 0
		.amdhsa_user_sgpr_private_segment_size 0
		.amdhsa_uses_dynamic_stack 0
		.amdhsa_enable_private_segment 0
		.amdhsa_system_sgpr_workgroup_id_x 1
		.amdhsa_system_sgpr_workgroup_id_y 0
		.amdhsa_system_sgpr_workgroup_id_z 0
		.amdhsa_system_sgpr_workgroup_info 0
		.amdhsa_system_vgpr_workitem_id 0
		.amdhsa_next_free_vgpr 1
		.amdhsa_next_free_sgpr 0
		.amdhsa_accum_offset 4
		.amdhsa_reserve_vcc 0
		.amdhsa_float_round_mode_32 0
		.amdhsa_float_round_mode_16_64 0
		.amdhsa_float_denorm_mode_32 3
		.amdhsa_float_denorm_mode_16_64 3
		.amdhsa_dx10_clamp 1
		.amdhsa_ieee_mode 1
		.amdhsa_fp16_overflow 0
		.amdhsa_tg_split 0
		.amdhsa_exception_fp_ieee_invalid_op 0
		.amdhsa_exception_fp_denorm_src 0
		.amdhsa_exception_fp_ieee_div_zero 0
		.amdhsa_exception_fp_ieee_overflow 0
		.amdhsa_exception_fp_ieee_underflow 0
		.amdhsa_exception_fp_ieee_inexact 0
		.amdhsa_exception_int_div_zero 0
	.end_amdhsa_kernel
	.section	.text._ZN7rocprim17ROCPRIM_400000_NS6detail17trampoline_kernelINS0_14default_configENS1_27scan_by_key_config_selectorIisEEZZNS1_16scan_by_key_implILNS1_25lookback_scan_determinismE0ELb0ES3_N6thrust23THRUST_200600_302600_NS6detail15normal_iteratorINS9_10device_ptrIiEEEENSB_INSC_IsEEEESG_sNS9_4plusIvEENS9_8equal_toIvEEsEE10hipError_tPvRmT2_T3_T4_T5_mT6_T7_P12ihipStream_tbENKUlT_T0_E_clISt17integral_constantIbLb1EES10_IbLb0EEEEDaSW_SX_EUlSW_E_NS1_11comp_targetILNS1_3genE8ELNS1_11target_archE1030ELNS1_3gpuE2ELNS1_3repE0EEENS1_30default_config_static_selectorELNS0_4arch9wavefront6targetE1EEEvT1_,"axG",@progbits,_ZN7rocprim17ROCPRIM_400000_NS6detail17trampoline_kernelINS0_14default_configENS1_27scan_by_key_config_selectorIisEEZZNS1_16scan_by_key_implILNS1_25lookback_scan_determinismE0ELb0ES3_N6thrust23THRUST_200600_302600_NS6detail15normal_iteratorINS9_10device_ptrIiEEEENSB_INSC_IsEEEESG_sNS9_4plusIvEENS9_8equal_toIvEEsEE10hipError_tPvRmT2_T3_T4_T5_mT6_T7_P12ihipStream_tbENKUlT_T0_E_clISt17integral_constantIbLb1EES10_IbLb0EEEEDaSW_SX_EUlSW_E_NS1_11comp_targetILNS1_3genE8ELNS1_11target_archE1030ELNS1_3gpuE2ELNS1_3repE0EEENS1_30default_config_static_selectorELNS0_4arch9wavefront6targetE1EEEvT1_,comdat
.Lfunc_end1380:
	.size	_ZN7rocprim17ROCPRIM_400000_NS6detail17trampoline_kernelINS0_14default_configENS1_27scan_by_key_config_selectorIisEEZZNS1_16scan_by_key_implILNS1_25lookback_scan_determinismE0ELb0ES3_N6thrust23THRUST_200600_302600_NS6detail15normal_iteratorINS9_10device_ptrIiEEEENSB_INSC_IsEEEESG_sNS9_4plusIvEENS9_8equal_toIvEEsEE10hipError_tPvRmT2_T3_T4_T5_mT6_T7_P12ihipStream_tbENKUlT_T0_E_clISt17integral_constantIbLb1EES10_IbLb0EEEEDaSW_SX_EUlSW_E_NS1_11comp_targetILNS1_3genE8ELNS1_11target_archE1030ELNS1_3gpuE2ELNS1_3repE0EEENS1_30default_config_static_selectorELNS0_4arch9wavefront6targetE1EEEvT1_, .Lfunc_end1380-_ZN7rocprim17ROCPRIM_400000_NS6detail17trampoline_kernelINS0_14default_configENS1_27scan_by_key_config_selectorIisEEZZNS1_16scan_by_key_implILNS1_25lookback_scan_determinismE0ELb0ES3_N6thrust23THRUST_200600_302600_NS6detail15normal_iteratorINS9_10device_ptrIiEEEENSB_INSC_IsEEEESG_sNS9_4plusIvEENS9_8equal_toIvEEsEE10hipError_tPvRmT2_T3_T4_T5_mT6_T7_P12ihipStream_tbENKUlT_T0_E_clISt17integral_constantIbLb1EES10_IbLb0EEEEDaSW_SX_EUlSW_E_NS1_11comp_targetILNS1_3genE8ELNS1_11target_archE1030ELNS1_3gpuE2ELNS1_3repE0EEENS1_30default_config_static_selectorELNS0_4arch9wavefront6targetE1EEEvT1_
                                        ; -- End function
	.section	.AMDGPU.csdata,"",@progbits
; Kernel info:
; codeLenInByte = 0
; NumSgprs: 6
; NumVgprs: 0
; NumAgprs: 0
; TotalNumVgprs: 0
; ScratchSize: 0
; MemoryBound: 0
; FloatMode: 240
; IeeeMode: 1
; LDSByteSize: 0 bytes/workgroup (compile time only)
; SGPRBlocks: 0
; VGPRBlocks: 0
; NumSGPRsForWavesPerEU: 6
; NumVGPRsForWavesPerEU: 1
; AccumOffset: 4
; Occupancy: 8
; WaveLimiterHint : 0
; COMPUTE_PGM_RSRC2:SCRATCH_EN: 0
; COMPUTE_PGM_RSRC2:USER_SGPR: 2
; COMPUTE_PGM_RSRC2:TRAP_HANDLER: 0
; COMPUTE_PGM_RSRC2:TGID_X_EN: 1
; COMPUTE_PGM_RSRC2:TGID_Y_EN: 0
; COMPUTE_PGM_RSRC2:TGID_Z_EN: 0
; COMPUTE_PGM_RSRC2:TIDIG_COMP_CNT: 0
; COMPUTE_PGM_RSRC3_GFX90A:ACCUM_OFFSET: 0
; COMPUTE_PGM_RSRC3_GFX90A:TG_SPLIT: 0
	.section	.text._ZN7rocprim17ROCPRIM_400000_NS6detail30init_device_scan_by_key_kernelINS1_19lookback_scan_stateINS0_5tupleIJsbEEELb0ELb1EEEN6thrust23THRUST_200600_302600_NS6detail15normal_iteratorINS8_10device_ptrIiEEEEjNS1_16block_id_wrapperIjLb1EEEEEvT_jjPNSG_10value_typeET0_PNSt15iterator_traitsISJ_E10value_typeEmT1_T2_,"axG",@progbits,_ZN7rocprim17ROCPRIM_400000_NS6detail30init_device_scan_by_key_kernelINS1_19lookback_scan_stateINS0_5tupleIJsbEEELb0ELb1EEEN6thrust23THRUST_200600_302600_NS6detail15normal_iteratorINS8_10device_ptrIiEEEEjNS1_16block_id_wrapperIjLb1EEEEEvT_jjPNSG_10value_typeET0_PNSt15iterator_traitsISJ_E10value_typeEmT1_T2_,comdat
	.protected	_ZN7rocprim17ROCPRIM_400000_NS6detail30init_device_scan_by_key_kernelINS1_19lookback_scan_stateINS0_5tupleIJsbEEELb0ELb1EEEN6thrust23THRUST_200600_302600_NS6detail15normal_iteratorINS8_10device_ptrIiEEEEjNS1_16block_id_wrapperIjLb1EEEEEvT_jjPNSG_10value_typeET0_PNSt15iterator_traitsISJ_E10value_typeEmT1_T2_ ; -- Begin function _ZN7rocprim17ROCPRIM_400000_NS6detail30init_device_scan_by_key_kernelINS1_19lookback_scan_stateINS0_5tupleIJsbEEELb0ELb1EEEN6thrust23THRUST_200600_302600_NS6detail15normal_iteratorINS8_10device_ptrIiEEEEjNS1_16block_id_wrapperIjLb1EEEEEvT_jjPNSG_10value_typeET0_PNSt15iterator_traitsISJ_E10value_typeEmT1_T2_
	.globl	_ZN7rocprim17ROCPRIM_400000_NS6detail30init_device_scan_by_key_kernelINS1_19lookback_scan_stateINS0_5tupleIJsbEEELb0ELb1EEEN6thrust23THRUST_200600_302600_NS6detail15normal_iteratorINS8_10device_ptrIiEEEEjNS1_16block_id_wrapperIjLb1EEEEEvT_jjPNSG_10value_typeET0_PNSt15iterator_traitsISJ_E10value_typeEmT1_T2_
	.p2align	8
	.type	_ZN7rocprim17ROCPRIM_400000_NS6detail30init_device_scan_by_key_kernelINS1_19lookback_scan_stateINS0_5tupleIJsbEEELb0ELb1EEEN6thrust23THRUST_200600_302600_NS6detail15normal_iteratorINS8_10device_ptrIiEEEEjNS1_16block_id_wrapperIjLb1EEEEEvT_jjPNSG_10value_typeET0_PNSt15iterator_traitsISJ_E10value_typeEmT1_T2_,@function
_ZN7rocprim17ROCPRIM_400000_NS6detail30init_device_scan_by_key_kernelINS1_19lookback_scan_stateINS0_5tupleIJsbEEELb0ELb1EEEN6thrust23THRUST_200600_302600_NS6detail15normal_iteratorINS8_10device_ptrIiEEEEjNS1_16block_id_wrapperIjLb1EEEEEvT_jjPNSG_10value_typeET0_PNSt15iterator_traitsISJ_E10value_typeEmT1_T2_: ; @_ZN7rocprim17ROCPRIM_400000_NS6detail30init_device_scan_by_key_kernelINS1_19lookback_scan_stateINS0_5tupleIJsbEEELb0ELb1EEEN6thrust23THRUST_200600_302600_NS6detail15normal_iteratorINS8_10device_ptrIiEEEEjNS1_16block_id_wrapperIjLb1EEEEEvT_jjPNSG_10value_typeET0_PNSt15iterator_traitsISJ_E10value_typeEmT1_T2_
; %bb.0:
	s_load_dword s3, s[0:1], 0x4c
	s_load_dwordx8 s[4:11], s[0:1], 0x0
	s_load_dword s14, s[0:1], 0x40
	s_waitcnt lgkmcnt(0)
	s_and_b32 s15, s3, 0xffff
	s_mul_i32 s2, s2, s15
	s_cmp_eq_u64 s[8:9], 0
	v_add_u32_e32 v0, s2, v0
	s_cbranch_scc1 .LBB1381_6
; %bb.1:
	s_cmp_lt_u32 s7, s6
	s_cselect_b32 s2, s7, 0
	s_mov_b32 s13, 0
	v_cmp_eq_u32_e32 vcc, s2, v0
	s_and_saveexec_b64 s[2:3], vcc
	s_cbranch_execz .LBB1381_5
; %bb.2:
	s_add_i32 s12, s7, 64
	s_lshl_b64 s[12:13], s[12:13], 3
	s_add_u32 s12, s4, s12
	s_addc_u32 s13, s5, s13
	v_mov_b32_e32 v4, 0
	global_load_dwordx2 v[2:3], v4, s[12:13] sc1
	s_waitcnt vmcnt(0)
	v_and_b32_e32 v5, 0xff, v3
	v_cmp_ne_u64_e32 vcc, 0, v[4:5]
	s_cbranch_vccnz .LBB1381_4
.LBB1381_3:                             ; =>This Inner Loop Header: Depth=1
	global_load_dwordx2 v[2:3], v4, s[12:13] sc1
	s_waitcnt vmcnt(0)
	v_and_b32_e32 v5, 0xff, v3
	v_cmp_eq_u64_e32 vcc, 0, v[4:5]
	s_cbranch_vccnz .LBB1381_3
.LBB1381_4:
	v_mov_b32_e32 v1, 0
	global_store_short v1, v2, s[8:9]
	global_store_byte_d16_hi v1, v2, s[8:9] offset:2
.LBB1381_5:
	s_or_b64 exec, exec, s[2:3]
.LBB1381_6:
	v_cmp_eq_u32_e32 vcc, 0, v0
	s_and_saveexec_b64 s[2:3], vcc
	s_cbranch_execz .LBB1381_8
; %bb.7:
	s_load_dwordx2 s[8:9], s[0:1], 0x38
	v_mov_b32_e32 v1, 0
	s_waitcnt lgkmcnt(0)
	global_store_dword v1, v1, s[8:9]
.LBB1381_8:
	s_or_b64 exec, exec, s[2:3]
	v_cmp_gt_u32_e32 vcc, s6, v0
	s_and_saveexec_b64 s[2:3], vcc
	s_cbranch_execz .LBB1381_10
; %bb.9:
	v_add_u32_e32 v2, 64, v0
	v_mov_b32_e32 v3, 0
	v_lshl_add_u64 v[4:5], v[2:3], 3, s[4:5]
	v_mov_b32_e32 v2, v3
	global_store_dwordx2 v[4:5], v[2:3], off
.LBB1381_10:
	s_or_b64 exec, exec, s[2:3]
	v_cmp_gt_u32_e32 vcc, 64, v0
	v_mov_b32_e32 v1, 0
	s_and_saveexec_b64 s[2:3], vcc
	s_cbranch_execz .LBB1381_12
; %bb.11:
	v_lshl_add_u64 v[2:3], v[0:1], 3, s[4:5]
	v_mov_b32_e32 v5, 0xff
	v_mov_b32_e32 v4, v1
	global_store_dwordx2 v[2:3], v[4:5], off
.LBB1381_12:
	s_or_b64 exec, exec, s[2:3]
	s_load_dwordx2 s[2:3], s[0:1], 0x28
	s_waitcnt lgkmcnt(0)
	v_cmp_gt_u64_e32 vcc, s[2:3], v[0:1]
	s_and_saveexec_b64 s[4:5], vcc
	s_cbranch_execz .LBB1381_15
; %bb.13:
	s_load_dword s12, s[0:1], 0x30
	s_load_dwordx2 s[6:7], s[0:1], 0x20
	s_mov_b32 s5, 0
	s_mov_b32 s1, s5
	s_mul_i32 s0, s14, s15
	s_waitcnt lgkmcnt(0)
	s_add_i32 s4, s12, -1
	s_lshl_b64 s[4:5], s[4:5], 2
	s_add_u32 s4, s10, s4
	v_mad_u64_u32 v[2:3], s[8:9], s12, v0, 0
	s_addc_u32 s5, s11, s5
	v_lshl_add_u64 v[2:3], v[2:3], 2, s[4:5]
	s_mul_hi_u32 s5, s12, s0
	s_mul_i32 s4, s12, s0
	s_lshl_b64 s[4:5], s[4:5], 2
	v_lshl_add_u64 v[4:5], v[0:1], 2, s[6:7]
	s_lshl_b64 s[6:7], s[0:1], 2
	s_mov_b64 s[8:9], 0
.LBB1381_14:                            ; =>This Inner Loop Header: Depth=1
	global_load_dword v6, v[2:3], off
	v_lshl_add_u64 v[0:1], v[0:1], 0, s[0:1]
	v_cmp_le_u64_e32 vcc, s[2:3], v[0:1]
	v_lshl_add_u64 v[2:3], v[2:3], 0, s[4:5]
	s_or_b64 s[8:9], vcc, s[8:9]
	s_waitcnt vmcnt(0)
	global_store_dword v[4:5], v6, off
	v_lshl_add_u64 v[4:5], v[4:5], 0, s[6:7]
	s_andn2_b64 exec, exec, s[8:9]
	s_cbranch_execnz .LBB1381_14
.LBB1381_15:
	s_endpgm
	.section	.rodata,"a",@progbits
	.p2align	6, 0x0
	.amdhsa_kernel _ZN7rocprim17ROCPRIM_400000_NS6detail30init_device_scan_by_key_kernelINS1_19lookback_scan_stateINS0_5tupleIJsbEEELb0ELb1EEEN6thrust23THRUST_200600_302600_NS6detail15normal_iteratorINS8_10device_ptrIiEEEEjNS1_16block_id_wrapperIjLb1EEEEEvT_jjPNSG_10value_typeET0_PNSt15iterator_traitsISJ_E10value_typeEmT1_T2_
		.amdhsa_group_segment_fixed_size 0
		.amdhsa_private_segment_fixed_size 0
		.amdhsa_kernarg_size 320
		.amdhsa_user_sgpr_count 2
		.amdhsa_user_sgpr_dispatch_ptr 0
		.amdhsa_user_sgpr_queue_ptr 0
		.amdhsa_user_sgpr_kernarg_segment_ptr 1
		.amdhsa_user_sgpr_dispatch_id 0
		.amdhsa_user_sgpr_kernarg_preload_length 0
		.amdhsa_user_sgpr_kernarg_preload_offset 0
		.amdhsa_user_sgpr_private_segment_size 0
		.amdhsa_uses_dynamic_stack 0
		.amdhsa_enable_private_segment 0
		.amdhsa_system_sgpr_workgroup_id_x 1
		.amdhsa_system_sgpr_workgroup_id_y 0
		.amdhsa_system_sgpr_workgroup_id_z 0
		.amdhsa_system_sgpr_workgroup_info 0
		.amdhsa_system_vgpr_workitem_id 0
		.amdhsa_next_free_vgpr 7
		.amdhsa_next_free_sgpr 16
		.amdhsa_accum_offset 8
		.amdhsa_reserve_vcc 1
		.amdhsa_float_round_mode_32 0
		.amdhsa_float_round_mode_16_64 0
		.amdhsa_float_denorm_mode_32 3
		.amdhsa_float_denorm_mode_16_64 3
		.amdhsa_dx10_clamp 1
		.amdhsa_ieee_mode 1
		.amdhsa_fp16_overflow 0
		.amdhsa_tg_split 0
		.amdhsa_exception_fp_ieee_invalid_op 0
		.amdhsa_exception_fp_denorm_src 0
		.amdhsa_exception_fp_ieee_div_zero 0
		.amdhsa_exception_fp_ieee_overflow 0
		.amdhsa_exception_fp_ieee_underflow 0
		.amdhsa_exception_fp_ieee_inexact 0
		.amdhsa_exception_int_div_zero 0
	.end_amdhsa_kernel
	.section	.text._ZN7rocprim17ROCPRIM_400000_NS6detail30init_device_scan_by_key_kernelINS1_19lookback_scan_stateINS0_5tupleIJsbEEELb0ELb1EEEN6thrust23THRUST_200600_302600_NS6detail15normal_iteratorINS8_10device_ptrIiEEEEjNS1_16block_id_wrapperIjLb1EEEEEvT_jjPNSG_10value_typeET0_PNSt15iterator_traitsISJ_E10value_typeEmT1_T2_,"axG",@progbits,_ZN7rocprim17ROCPRIM_400000_NS6detail30init_device_scan_by_key_kernelINS1_19lookback_scan_stateINS0_5tupleIJsbEEELb0ELb1EEEN6thrust23THRUST_200600_302600_NS6detail15normal_iteratorINS8_10device_ptrIiEEEEjNS1_16block_id_wrapperIjLb1EEEEEvT_jjPNSG_10value_typeET0_PNSt15iterator_traitsISJ_E10value_typeEmT1_T2_,comdat
.Lfunc_end1381:
	.size	_ZN7rocprim17ROCPRIM_400000_NS6detail30init_device_scan_by_key_kernelINS1_19lookback_scan_stateINS0_5tupleIJsbEEELb0ELb1EEEN6thrust23THRUST_200600_302600_NS6detail15normal_iteratorINS8_10device_ptrIiEEEEjNS1_16block_id_wrapperIjLb1EEEEEvT_jjPNSG_10value_typeET0_PNSt15iterator_traitsISJ_E10value_typeEmT1_T2_, .Lfunc_end1381-_ZN7rocprim17ROCPRIM_400000_NS6detail30init_device_scan_by_key_kernelINS1_19lookback_scan_stateINS0_5tupleIJsbEEELb0ELb1EEEN6thrust23THRUST_200600_302600_NS6detail15normal_iteratorINS8_10device_ptrIiEEEEjNS1_16block_id_wrapperIjLb1EEEEEvT_jjPNSG_10value_typeET0_PNSt15iterator_traitsISJ_E10value_typeEmT1_T2_
                                        ; -- End function
	.section	.AMDGPU.csdata,"",@progbits
; Kernel info:
; codeLenInByte = 488
; NumSgprs: 22
; NumVgprs: 7
; NumAgprs: 0
; TotalNumVgprs: 7
; ScratchSize: 0
; MemoryBound: 0
; FloatMode: 240
; IeeeMode: 1
; LDSByteSize: 0 bytes/workgroup (compile time only)
; SGPRBlocks: 2
; VGPRBlocks: 0
; NumSGPRsForWavesPerEU: 22
; NumVGPRsForWavesPerEU: 7
; AccumOffset: 8
; Occupancy: 8
; WaveLimiterHint : 0
; COMPUTE_PGM_RSRC2:SCRATCH_EN: 0
; COMPUTE_PGM_RSRC2:USER_SGPR: 2
; COMPUTE_PGM_RSRC2:TRAP_HANDLER: 0
; COMPUTE_PGM_RSRC2:TGID_X_EN: 1
; COMPUTE_PGM_RSRC2:TGID_Y_EN: 0
; COMPUTE_PGM_RSRC2:TGID_Z_EN: 0
; COMPUTE_PGM_RSRC2:TIDIG_COMP_CNT: 0
; COMPUTE_PGM_RSRC3_GFX90A:ACCUM_OFFSET: 1
; COMPUTE_PGM_RSRC3_GFX90A:TG_SPLIT: 0
	.section	.text._ZN7rocprim17ROCPRIM_400000_NS6detail17trampoline_kernelINS0_14default_configENS1_27scan_by_key_config_selectorIisEEZZNS1_16scan_by_key_implILNS1_25lookback_scan_determinismE0ELb0ES3_N6thrust23THRUST_200600_302600_NS6detail15normal_iteratorINS9_10device_ptrIiEEEENSB_INSC_IsEEEESG_sNS9_4plusIvEENS9_8equal_toIvEEsEE10hipError_tPvRmT2_T3_T4_T5_mT6_T7_P12ihipStream_tbENKUlT_T0_E_clISt17integral_constantIbLb0EES10_IbLb1EEEEDaSW_SX_EUlSW_E_NS1_11comp_targetILNS1_3genE0ELNS1_11target_archE4294967295ELNS1_3gpuE0ELNS1_3repE0EEENS1_30default_config_static_selectorELNS0_4arch9wavefront6targetE1EEEvT1_,"axG",@progbits,_ZN7rocprim17ROCPRIM_400000_NS6detail17trampoline_kernelINS0_14default_configENS1_27scan_by_key_config_selectorIisEEZZNS1_16scan_by_key_implILNS1_25lookback_scan_determinismE0ELb0ES3_N6thrust23THRUST_200600_302600_NS6detail15normal_iteratorINS9_10device_ptrIiEEEENSB_INSC_IsEEEESG_sNS9_4plusIvEENS9_8equal_toIvEEsEE10hipError_tPvRmT2_T3_T4_T5_mT6_T7_P12ihipStream_tbENKUlT_T0_E_clISt17integral_constantIbLb0EES10_IbLb1EEEEDaSW_SX_EUlSW_E_NS1_11comp_targetILNS1_3genE0ELNS1_11target_archE4294967295ELNS1_3gpuE0ELNS1_3repE0EEENS1_30default_config_static_selectorELNS0_4arch9wavefront6targetE1EEEvT1_,comdat
	.protected	_ZN7rocprim17ROCPRIM_400000_NS6detail17trampoline_kernelINS0_14default_configENS1_27scan_by_key_config_selectorIisEEZZNS1_16scan_by_key_implILNS1_25lookback_scan_determinismE0ELb0ES3_N6thrust23THRUST_200600_302600_NS6detail15normal_iteratorINS9_10device_ptrIiEEEENSB_INSC_IsEEEESG_sNS9_4plusIvEENS9_8equal_toIvEEsEE10hipError_tPvRmT2_T3_T4_T5_mT6_T7_P12ihipStream_tbENKUlT_T0_E_clISt17integral_constantIbLb0EES10_IbLb1EEEEDaSW_SX_EUlSW_E_NS1_11comp_targetILNS1_3genE0ELNS1_11target_archE4294967295ELNS1_3gpuE0ELNS1_3repE0EEENS1_30default_config_static_selectorELNS0_4arch9wavefront6targetE1EEEvT1_ ; -- Begin function _ZN7rocprim17ROCPRIM_400000_NS6detail17trampoline_kernelINS0_14default_configENS1_27scan_by_key_config_selectorIisEEZZNS1_16scan_by_key_implILNS1_25lookback_scan_determinismE0ELb0ES3_N6thrust23THRUST_200600_302600_NS6detail15normal_iteratorINS9_10device_ptrIiEEEENSB_INSC_IsEEEESG_sNS9_4plusIvEENS9_8equal_toIvEEsEE10hipError_tPvRmT2_T3_T4_T5_mT6_T7_P12ihipStream_tbENKUlT_T0_E_clISt17integral_constantIbLb0EES10_IbLb1EEEEDaSW_SX_EUlSW_E_NS1_11comp_targetILNS1_3genE0ELNS1_11target_archE4294967295ELNS1_3gpuE0ELNS1_3repE0EEENS1_30default_config_static_selectorELNS0_4arch9wavefront6targetE1EEEvT1_
	.globl	_ZN7rocprim17ROCPRIM_400000_NS6detail17trampoline_kernelINS0_14default_configENS1_27scan_by_key_config_selectorIisEEZZNS1_16scan_by_key_implILNS1_25lookback_scan_determinismE0ELb0ES3_N6thrust23THRUST_200600_302600_NS6detail15normal_iteratorINS9_10device_ptrIiEEEENSB_INSC_IsEEEESG_sNS9_4plusIvEENS9_8equal_toIvEEsEE10hipError_tPvRmT2_T3_T4_T5_mT6_T7_P12ihipStream_tbENKUlT_T0_E_clISt17integral_constantIbLb0EES10_IbLb1EEEEDaSW_SX_EUlSW_E_NS1_11comp_targetILNS1_3genE0ELNS1_11target_archE4294967295ELNS1_3gpuE0ELNS1_3repE0EEENS1_30default_config_static_selectorELNS0_4arch9wavefront6targetE1EEEvT1_
	.p2align	8
	.type	_ZN7rocprim17ROCPRIM_400000_NS6detail17trampoline_kernelINS0_14default_configENS1_27scan_by_key_config_selectorIisEEZZNS1_16scan_by_key_implILNS1_25lookback_scan_determinismE0ELb0ES3_N6thrust23THRUST_200600_302600_NS6detail15normal_iteratorINS9_10device_ptrIiEEEENSB_INSC_IsEEEESG_sNS9_4plusIvEENS9_8equal_toIvEEsEE10hipError_tPvRmT2_T3_T4_T5_mT6_T7_P12ihipStream_tbENKUlT_T0_E_clISt17integral_constantIbLb0EES10_IbLb1EEEEDaSW_SX_EUlSW_E_NS1_11comp_targetILNS1_3genE0ELNS1_11target_archE4294967295ELNS1_3gpuE0ELNS1_3repE0EEENS1_30default_config_static_selectorELNS0_4arch9wavefront6targetE1EEEvT1_,@function
_ZN7rocprim17ROCPRIM_400000_NS6detail17trampoline_kernelINS0_14default_configENS1_27scan_by_key_config_selectorIisEEZZNS1_16scan_by_key_implILNS1_25lookback_scan_determinismE0ELb0ES3_N6thrust23THRUST_200600_302600_NS6detail15normal_iteratorINS9_10device_ptrIiEEEENSB_INSC_IsEEEESG_sNS9_4plusIvEENS9_8equal_toIvEEsEE10hipError_tPvRmT2_T3_T4_T5_mT6_T7_P12ihipStream_tbENKUlT_T0_E_clISt17integral_constantIbLb0EES10_IbLb1EEEEDaSW_SX_EUlSW_E_NS1_11comp_targetILNS1_3genE0ELNS1_11target_archE4294967295ELNS1_3gpuE0ELNS1_3repE0EEENS1_30default_config_static_selectorELNS0_4arch9wavefront6targetE1EEEvT1_: ; @_ZN7rocprim17ROCPRIM_400000_NS6detail17trampoline_kernelINS0_14default_configENS1_27scan_by_key_config_selectorIisEEZZNS1_16scan_by_key_implILNS1_25lookback_scan_determinismE0ELb0ES3_N6thrust23THRUST_200600_302600_NS6detail15normal_iteratorINS9_10device_ptrIiEEEENSB_INSC_IsEEEESG_sNS9_4plusIvEENS9_8equal_toIvEEsEE10hipError_tPvRmT2_T3_T4_T5_mT6_T7_P12ihipStream_tbENKUlT_T0_E_clISt17integral_constantIbLb0EES10_IbLb1EEEEDaSW_SX_EUlSW_E_NS1_11comp_targetILNS1_3genE0ELNS1_11target_archE4294967295ELNS1_3gpuE0ELNS1_3repE0EEENS1_30default_config_static_selectorELNS0_4arch9wavefront6targetE1EEEvT1_
; %bb.0:
	.section	.rodata,"a",@progbits
	.p2align	6, 0x0
	.amdhsa_kernel _ZN7rocprim17ROCPRIM_400000_NS6detail17trampoline_kernelINS0_14default_configENS1_27scan_by_key_config_selectorIisEEZZNS1_16scan_by_key_implILNS1_25lookback_scan_determinismE0ELb0ES3_N6thrust23THRUST_200600_302600_NS6detail15normal_iteratorINS9_10device_ptrIiEEEENSB_INSC_IsEEEESG_sNS9_4plusIvEENS9_8equal_toIvEEsEE10hipError_tPvRmT2_T3_T4_T5_mT6_T7_P12ihipStream_tbENKUlT_T0_E_clISt17integral_constantIbLb0EES10_IbLb1EEEEDaSW_SX_EUlSW_E_NS1_11comp_targetILNS1_3genE0ELNS1_11target_archE4294967295ELNS1_3gpuE0ELNS1_3repE0EEENS1_30default_config_static_selectorELNS0_4arch9wavefront6targetE1EEEvT1_
		.amdhsa_group_segment_fixed_size 0
		.amdhsa_private_segment_fixed_size 0
		.amdhsa_kernarg_size 112
		.amdhsa_user_sgpr_count 2
		.amdhsa_user_sgpr_dispatch_ptr 0
		.amdhsa_user_sgpr_queue_ptr 0
		.amdhsa_user_sgpr_kernarg_segment_ptr 1
		.amdhsa_user_sgpr_dispatch_id 0
		.amdhsa_user_sgpr_kernarg_preload_length 0
		.amdhsa_user_sgpr_kernarg_preload_offset 0
		.amdhsa_user_sgpr_private_segment_size 0
		.amdhsa_uses_dynamic_stack 0
		.amdhsa_enable_private_segment 0
		.amdhsa_system_sgpr_workgroup_id_x 1
		.amdhsa_system_sgpr_workgroup_id_y 0
		.amdhsa_system_sgpr_workgroup_id_z 0
		.amdhsa_system_sgpr_workgroup_info 0
		.amdhsa_system_vgpr_workitem_id 0
		.amdhsa_next_free_vgpr 1
		.amdhsa_next_free_sgpr 0
		.amdhsa_accum_offset 4
		.amdhsa_reserve_vcc 0
		.amdhsa_float_round_mode_32 0
		.amdhsa_float_round_mode_16_64 0
		.amdhsa_float_denorm_mode_32 3
		.amdhsa_float_denorm_mode_16_64 3
		.amdhsa_dx10_clamp 1
		.amdhsa_ieee_mode 1
		.amdhsa_fp16_overflow 0
		.amdhsa_tg_split 0
		.amdhsa_exception_fp_ieee_invalid_op 0
		.amdhsa_exception_fp_denorm_src 0
		.amdhsa_exception_fp_ieee_div_zero 0
		.amdhsa_exception_fp_ieee_overflow 0
		.amdhsa_exception_fp_ieee_underflow 0
		.amdhsa_exception_fp_ieee_inexact 0
		.amdhsa_exception_int_div_zero 0
	.end_amdhsa_kernel
	.section	.text._ZN7rocprim17ROCPRIM_400000_NS6detail17trampoline_kernelINS0_14default_configENS1_27scan_by_key_config_selectorIisEEZZNS1_16scan_by_key_implILNS1_25lookback_scan_determinismE0ELb0ES3_N6thrust23THRUST_200600_302600_NS6detail15normal_iteratorINS9_10device_ptrIiEEEENSB_INSC_IsEEEESG_sNS9_4plusIvEENS9_8equal_toIvEEsEE10hipError_tPvRmT2_T3_T4_T5_mT6_T7_P12ihipStream_tbENKUlT_T0_E_clISt17integral_constantIbLb0EES10_IbLb1EEEEDaSW_SX_EUlSW_E_NS1_11comp_targetILNS1_3genE0ELNS1_11target_archE4294967295ELNS1_3gpuE0ELNS1_3repE0EEENS1_30default_config_static_selectorELNS0_4arch9wavefront6targetE1EEEvT1_,"axG",@progbits,_ZN7rocprim17ROCPRIM_400000_NS6detail17trampoline_kernelINS0_14default_configENS1_27scan_by_key_config_selectorIisEEZZNS1_16scan_by_key_implILNS1_25lookback_scan_determinismE0ELb0ES3_N6thrust23THRUST_200600_302600_NS6detail15normal_iteratorINS9_10device_ptrIiEEEENSB_INSC_IsEEEESG_sNS9_4plusIvEENS9_8equal_toIvEEsEE10hipError_tPvRmT2_T3_T4_T5_mT6_T7_P12ihipStream_tbENKUlT_T0_E_clISt17integral_constantIbLb0EES10_IbLb1EEEEDaSW_SX_EUlSW_E_NS1_11comp_targetILNS1_3genE0ELNS1_11target_archE4294967295ELNS1_3gpuE0ELNS1_3repE0EEENS1_30default_config_static_selectorELNS0_4arch9wavefront6targetE1EEEvT1_,comdat
.Lfunc_end1382:
	.size	_ZN7rocprim17ROCPRIM_400000_NS6detail17trampoline_kernelINS0_14default_configENS1_27scan_by_key_config_selectorIisEEZZNS1_16scan_by_key_implILNS1_25lookback_scan_determinismE0ELb0ES3_N6thrust23THRUST_200600_302600_NS6detail15normal_iteratorINS9_10device_ptrIiEEEENSB_INSC_IsEEEESG_sNS9_4plusIvEENS9_8equal_toIvEEsEE10hipError_tPvRmT2_T3_T4_T5_mT6_T7_P12ihipStream_tbENKUlT_T0_E_clISt17integral_constantIbLb0EES10_IbLb1EEEEDaSW_SX_EUlSW_E_NS1_11comp_targetILNS1_3genE0ELNS1_11target_archE4294967295ELNS1_3gpuE0ELNS1_3repE0EEENS1_30default_config_static_selectorELNS0_4arch9wavefront6targetE1EEEvT1_, .Lfunc_end1382-_ZN7rocprim17ROCPRIM_400000_NS6detail17trampoline_kernelINS0_14default_configENS1_27scan_by_key_config_selectorIisEEZZNS1_16scan_by_key_implILNS1_25lookback_scan_determinismE0ELb0ES3_N6thrust23THRUST_200600_302600_NS6detail15normal_iteratorINS9_10device_ptrIiEEEENSB_INSC_IsEEEESG_sNS9_4plusIvEENS9_8equal_toIvEEsEE10hipError_tPvRmT2_T3_T4_T5_mT6_T7_P12ihipStream_tbENKUlT_T0_E_clISt17integral_constantIbLb0EES10_IbLb1EEEEDaSW_SX_EUlSW_E_NS1_11comp_targetILNS1_3genE0ELNS1_11target_archE4294967295ELNS1_3gpuE0ELNS1_3repE0EEENS1_30default_config_static_selectorELNS0_4arch9wavefront6targetE1EEEvT1_
                                        ; -- End function
	.section	.AMDGPU.csdata,"",@progbits
; Kernel info:
; codeLenInByte = 0
; NumSgprs: 6
; NumVgprs: 0
; NumAgprs: 0
; TotalNumVgprs: 0
; ScratchSize: 0
; MemoryBound: 0
; FloatMode: 240
; IeeeMode: 1
; LDSByteSize: 0 bytes/workgroup (compile time only)
; SGPRBlocks: 0
; VGPRBlocks: 0
; NumSGPRsForWavesPerEU: 6
; NumVGPRsForWavesPerEU: 1
; AccumOffset: 4
; Occupancy: 8
; WaveLimiterHint : 0
; COMPUTE_PGM_RSRC2:SCRATCH_EN: 0
; COMPUTE_PGM_RSRC2:USER_SGPR: 2
; COMPUTE_PGM_RSRC2:TRAP_HANDLER: 0
; COMPUTE_PGM_RSRC2:TGID_X_EN: 1
; COMPUTE_PGM_RSRC2:TGID_Y_EN: 0
; COMPUTE_PGM_RSRC2:TGID_Z_EN: 0
; COMPUTE_PGM_RSRC2:TIDIG_COMP_CNT: 0
; COMPUTE_PGM_RSRC3_GFX90A:ACCUM_OFFSET: 0
; COMPUTE_PGM_RSRC3_GFX90A:TG_SPLIT: 0
	.section	.text._ZN7rocprim17ROCPRIM_400000_NS6detail17trampoline_kernelINS0_14default_configENS1_27scan_by_key_config_selectorIisEEZZNS1_16scan_by_key_implILNS1_25lookback_scan_determinismE0ELb0ES3_N6thrust23THRUST_200600_302600_NS6detail15normal_iteratorINS9_10device_ptrIiEEEENSB_INSC_IsEEEESG_sNS9_4plusIvEENS9_8equal_toIvEEsEE10hipError_tPvRmT2_T3_T4_T5_mT6_T7_P12ihipStream_tbENKUlT_T0_E_clISt17integral_constantIbLb0EES10_IbLb1EEEEDaSW_SX_EUlSW_E_NS1_11comp_targetILNS1_3genE10ELNS1_11target_archE1201ELNS1_3gpuE5ELNS1_3repE0EEENS1_30default_config_static_selectorELNS0_4arch9wavefront6targetE1EEEvT1_,"axG",@progbits,_ZN7rocprim17ROCPRIM_400000_NS6detail17trampoline_kernelINS0_14default_configENS1_27scan_by_key_config_selectorIisEEZZNS1_16scan_by_key_implILNS1_25lookback_scan_determinismE0ELb0ES3_N6thrust23THRUST_200600_302600_NS6detail15normal_iteratorINS9_10device_ptrIiEEEENSB_INSC_IsEEEESG_sNS9_4plusIvEENS9_8equal_toIvEEsEE10hipError_tPvRmT2_T3_T4_T5_mT6_T7_P12ihipStream_tbENKUlT_T0_E_clISt17integral_constantIbLb0EES10_IbLb1EEEEDaSW_SX_EUlSW_E_NS1_11comp_targetILNS1_3genE10ELNS1_11target_archE1201ELNS1_3gpuE5ELNS1_3repE0EEENS1_30default_config_static_selectorELNS0_4arch9wavefront6targetE1EEEvT1_,comdat
	.protected	_ZN7rocprim17ROCPRIM_400000_NS6detail17trampoline_kernelINS0_14default_configENS1_27scan_by_key_config_selectorIisEEZZNS1_16scan_by_key_implILNS1_25lookback_scan_determinismE0ELb0ES3_N6thrust23THRUST_200600_302600_NS6detail15normal_iteratorINS9_10device_ptrIiEEEENSB_INSC_IsEEEESG_sNS9_4plusIvEENS9_8equal_toIvEEsEE10hipError_tPvRmT2_T3_T4_T5_mT6_T7_P12ihipStream_tbENKUlT_T0_E_clISt17integral_constantIbLb0EES10_IbLb1EEEEDaSW_SX_EUlSW_E_NS1_11comp_targetILNS1_3genE10ELNS1_11target_archE1201ELNS1_3gpuE5ELNS1_3repE0EEENS1_30default_config_static_selectorELNS0_4arch9wavefront6targetE1EEEvT1_ ; -- Begin function _ZN7rocprim17ROCPRIM_400000_NS6detail17trampoline_kernelINS0_14default_configENS1_27scan_by_key_config_selectorIisEEZZNS1_16scan_by_key_implILNS1_25lookback_scan_determinismE0ELb0ES3_N6thrust23THRUST_200600_302600_NS6detail15normal_iteratorINS9_10device_ptrIiEEEENSB_INSC_IsEEEESG_sNS9_4plusIvEENS9_8equal_toIvEEsEE10hipError_tPvRmT2_T3_T4_T5_mT6_T7_P12ihipStream_tbENKUlT_T0_E_clISt17integral_constantIbLb0EES10_IbLb1EEEEDaSW_SX_EUlSW_E_NS1_11comp_targetILNS1_3genE10ELNS1_11target_archE1201ELNS1_3gpuE5ELNS1_3repE0EEENS1_30default_config_static_selectorELNS0_4arch9wavefront6targetE1EEEvT1_
	.globl	_ZN7rocprim17ROCPRIM_400000_NS6detail17trampoline_kernelINS0_14default_configENS1_27scan_by_key_config_selectorIisEEZZNS1_16scan_by_key_implILNS1_25lookback_scan_determinismE0ELb0ES3_N6thrust23THRUST_200600_302600_NS6detail15normal_iteratorINS9_10device_ptrIiEEEENSB_INSC_IsEEEESG_sNS9_4plusIvEENS9_8equal_toIvEEsEE10hipError_tPvRmT2_T3_T4_T5_mT6_T7_P12ihipStream_tbENKUlT_T0_E_clISt17integral_constantIbLb0EES10_IbLb1EEEEDaSW_SX_EUlSW_E_NS1_11comp_targetILNS1_3genE10ELNS1_11target_archE1201ELNS1_3gpuE5ELNS1_3repE0EEENS1_30default_config_static_selectorELNS0_4arch9wavefront6targetE1EEEvT1_
	.p2align	8
	.type	_ZN7rocprim17ROCPRIM_400000_NS6detail17trampoline_kernelINS0_14default_configENS1_27scan_by_key_config_selectorIisEEZZNS1_16scan_by_key_implILNS1_25lookback_scan_determinismE0ELb0ES3_N6thrust23THRUST_200600_302600_NS6detail15normal_iteratorINS9_10device_ptrIiEEEENSB_INSC_IsEEEESG_sNS9_4plusIvEENS9_8equal_toIvEEsEE10hipError_tPvRmT2_T3_T4_T5_mT6_T7_P12ihipStream_tbENKUlT_T0_E_clISt17integral_constantIbLb0EES10_IbLb1EEEEDaSW_SX_EUlSW_E_NS1_11comp_targetILNS1_3genE10ELNS1_11target_archE1201ELNS1_3gpuE5ELNS1_3repE0EEENS1_30default_config_static_selectorELNS0_4arch9wavefront6targetE1EEEvT1_,@function
_ZN7rocprim17ROCPRIM_400000_NS6detail17trampoline_kernelINS0_14default_configENS1_27scan_by_key_config_selectorIisEEZZNS1_16scan_by_key_implILNS1_25lookback_scan_determinismE0ELb0ES3_N6thrust23THRUST_200600_302600_NS6detail15normal_iteratorINS9_10device_ptrIiEEEENSB_INSC_IsEEEESG_sNS9_4plusIvEENS9_8equal_toIvEEsEE10hipError_tPvRmT2_T3_T4_T5_mT6_T7_P12ihipStream_tbENKUlT_T0_E_clISt17integral_constantIbLb0EES10_IbLb1EEEEDaSW_SX_EUlSW_E_NS1_11comp_targetILNS1_3genE10ELNS1_11target_archE1201ELNS1_3gpuE5ELNS1_3repE0EEENS1_30default_config_static_selectorELNS0_4arch9wavefront6targetE1EEEvT1_: ; @_ZN7rocprim17ROCPRIM_400000_NS6detail17trampoline_kernelINS0_14default_configENS1_27scan_by_key_config_selectorIisEEZZNS1_16scan_by_key_implILNS1_25lookback_scan_determinismE0ELb0ES3_N6thrust23THRUST_200600_302600_NS6detail15normal_iteratorINS9_10device_ptrIiEEEENSB_INSC_IsEEEESG_sNS9_4plusIvEENS9_8equal_toIvEEsEE10hipError_tPvRmT2_T3_T4_T5_mT6_T7_P12ihipStream_tbENKUlT_T0_E_clISt17integral_constantIbLb0EES10_IbLb1EEEEDaSW_SX_EUlSW_E_NS1_11comp_targetILNS1_3genE10ELNS1_11target_archE1201ELNS1_3gpuE5ELNS1_3repE0EEENS1_30default_config_static_selectorELNS0_4arch9wavefront6targetE1EEEvT1_
; %bb.0:
	.section	.rodata,"a",@progbits
	.p2align	6, 0x0
	.amdhsa_kernel _ZN7rocprim17ROCPRIM_400000_NS6detail17trampoline_kernelINS0_14default_configENS1_27scan_by_key_config_selectorIisEEZZNS1_16scan_by_key_implILNS1_25lookback_scan_determinismE0ELb0ES3_N6thrust23THRUST_200600_302600_NS6detail15normal_iteratorINS9_10device_ptrIiEEEENSB_INSC_IsEEEESG_sNS9_4plusIvEENS9_8equal_toIvEEsEE10hipError_tPvRmT2_T3_T4_T5_mT6_T7_P12ihipStream_tbENKUlT_T0_E_clISt17integral_constantIbLb0EES10_IbLb1EEEEDaSW_SX_EUlSW_E_NS1_11comp_targetILNS1_3genE10ELNS1_11target_archE1201ELNS1_3gpuE5ELNS1_3repE0EEENS1_30default_config_static_selectorELNS0_4arch9wavefront6targetE1EEEvT1_
		.amdhsa_group_segment_fixed_size 0
		.amdhsa_private_segment_fixed_size 0
		.amdhsa_kernarg_size 112
		.amdhsa_user_sgpr_count 2
		.amdhsa_user_sgpr_dispatch_ptr 0
		.amdhsa_user_sgpr_queue_ptr 0
		.amdhsa_user_sgpr_kernarg_segment_ptr 1
		.amdhsa_user_sgpr_dispatch_id 0
		.amdhsa_user_sgpr_kernarg_preload_length 0
		.amdhsa_user_sgpr_kernarg_preload_offset 0
		.amdhsa_user_sgpr_private_segment_size 0
		.amdhsa_uses_dynamic_stack 0
		.amdhsa_enable_private_segment 0
		.amdhsa_system_sgpr_workgroup_id_x 1
		.amdhsa_system_sgpr_workgroup_id_y 0
		.amdhsa_system_sgpr_workgroup_id_z 0
		.amdhsa_system_sgpr_workgroup_info 0
		.amdhsa_system_vgpr_workitem_id 0
		.amdhsa_next_free_vgpr 1
		.amdhsa_next_free_sgpr 0
		.amdhsa_accum_offset 4
		.amdhsa_reserve_vcc 0
		.amdhsa_float_round_mode_32 0
		.amdhsa_float_round_mode_16_64 0
		.amdhsa_float_denorm_mode_32 3
		.amdhsa_float_denorm_mode_16_64 3
		.amdhsa_dx10_clamp 1
		.amdhsa_ieee_mode 1
		.amdhsa_fp16_overflow 0
		.amdhsa_tg_split 0
		.amdhsa_exception_fp_ieee_invalid_op 0
		.amdhsa_exception_fp_denorm_src 0
		.amdhsa_exception_fp_ieee_div_zero 0
		.amdhsa_exception_fp_ieee_overflow 0
		.amdhsa_exception_fp_ieee_underflow 0
		.amdhsa_exception_fp_ieee_inexact 0
		.amdhsa_exception_int_div_zero 0
	.end_amdhsa_kernel
	.section	.text._ZN7rocprim17ROCPRIM_400000_NS6detail17trampoline_kernelINS0_14default_configENS1_27scan_by_key_config_selectorIisEEZZNS1_16scan_by_key_implILNS1_25lookback_scan_determinismE0ELb0ES3_N6thrust23THRUST_200600_302600_NS6detail15normal_iteratorINS9_10device_ptrIiEEEENSB_INSC_IsEEEESG_sNS9_4plusIvEENS9_8equal_toIvEEsEE10hipError_tPvRmT2_T3_T4_T5_mT6_T7_P12ihipStream_tbENKUlT_T0_E_clISt17integral_constantIbLb0EES10_IbLb1EEEEDaSW_SX_EUlSW_E_NS1_11comp_targetILNS1_3genE10ELNS1_11target_archE1201ELNS1_3gpuE5ELNS1_3repE0EEENS1_30default_config_static_selectorELNS0_4arch9wavefront6targetE1EEEvT1_,"axG",@progbits,_ZN7rocprim17ROCPRIM_400000_NS6detail17trampoline_kernelINS0_14default_configENS1_27scan_by_key_config_selectorIisEEZZNS1_16scan_by_key_implILNS1_25lookback_scan_determinismE0ELb0ES3_N6thrust23THRUST_200600_302600_NS6detail15normal_iteratorINS9_10device_ptrIiEEEENSB_INSC_IsEEEESG_sNS9_4plusIvEENS9_8equal_toIvEEsEE10hipError_tPvRmT2_T3_T4_T5_mT6_T7_P12ihipStream_tbENKUlT_T0_E_clISt17integral_constantIbLb0EES10_IbLb1EEEEDaSW_SX_EUlSW_E_NS1_11comp_targetILNS1_3genE10ELNS1_11target_archE1201ELNS1_3gpuE5ELNS1_3repE0EEENS1_30default_config_static_selectorELNS0_4arch9wavefront6targetE1EEEvT1_,comdat
.Lfunc_end1383:
	.size	_ZN7rocprim17ROCPRIM_400000_NS6detail17trampoline_kernelINS0_14default_configENS1_27scan_by_key_config_selectorIisEEZZNS1_16scan_by_key_implILNS1_25lookback_scan_determinismE0ELb0ES3_N6thrust23THRUST_200600_302600_NS6detail15normal_iteratorINS9_10device_ptrIiEEEENSB_INSC_IsEEEESG_sNS9_4plusIvEENS9_8equal_toIvEEsEE10hipError_tPvRmT2_T3_T4_T5_mT6_T7_P12ihipStream_tbENKUlT_T0_E_clISt17integral_constantIbLb0EES10_IbLb1EEEEDaSW_SX_EUlSW_E_NS1_11comp_targetILNS1_3genE10ELNS1_11target_archE1201ELNS1_3gpuE5ELNS1_3repE0EEENS1_30default_config_static_selectorELNS0_4arch9wavefront6targetE1EEEvT1_, .Lfunc_end1383-_ZN7rocprim17ROCPRIM_400000_NS6detail17trampoline_kernelINS0_14default_configENS1_27scan_by_key_config_selectorIisEEZZNS1_16scan_by_key_implILNS1_25lookback_scan_determinismE0ELb0ES3_N6thrust23THRUST_200600_302600_NS6detail15normal_iteratorINS9_10device_ptrIiEEEENSB_INSC_IsEEEESG_sNS9_4plusIvEENS9_8equal_toIvEEsEE10hipError_tPvRmT2_T3_T4_T5_mT6_T7_P12ihipStream_tbENKUlT_T0_E_clISt17integral_constantIbLb0EES10_IbLb1EEEEDaSW_SX_EUlSW_E_NS1_11comp_targetILNS1_3genE10ELNS1_11target_archE1201ELNS1_3gpuE5ELNS1_3repE0EEENS1_30default_config_static_selectorELNS0_4arch9wavefront6targetE1EEEvT1_
                                        ; -- End function
	.section	.AMDGPU.csdata,"",@progbits
; Kernel info:
; codeLenInByte = 0
; NumSgprs: 6
; NumVgprs: 0
; NumAgprs: 0
; TotalNumVgprs: 0
; ScratchSize: 0
; MemoryBound: 0
; FloatMode: 240
; IeeeMode: 1
; LDSByteSize: 0 bytes/workgroup (compile time only)
; SGPRBlocks: 0
; VGPRBlocks: 0
; NumSGPRsForWavesPerEU: 6
; NumVGPRsForWavesPerEU: 1
; AccumOffset: 4
; Occupancy: 8
; WaveLimiterHint : 0
; COMPUTE_PGM_RSRC2:SCRATCH_EN: 0
; COMPUTE_PGM_RSRC2:USER_SGPR: 2
; COMPUTE_PGM_RSRC2:TRAP_HANDLER: 0
; COMPUTE_PGM_RSRC2:TGID_X_EN: 1
; COMPUTE_PGM_RSRC2:TGID_Y_EN: 0
; COMPUTE_PGM_RSRC2:TGID_Z_EN: 0
; COMPUTE_PGM_RSRC2:TIDIG_COMP_CNT: 0
; COMPUTE_PGM_RSRC3_GFX90A:ACCUM_OFFSET: 0
; COMPUTE_PGM_RSRC3_GFX90A:TG_SPLIT: 0
	.section	.text._ZN7rocprim17ROCPRIM_400000_NS6detail17trampoline_kernelINS0_14default_configENS1_27scan_by_key_config_selectorIisEEZZNS1_16scan_by_key_implILNS1_25lookback_scan_determinismE0ELb0ES3_N6thrust23THRUST_200600_302600_NS6detail15normal_iteratorINS9_10device_ptrIiEEEENSB_INSC_IsEEEESG_sNS9_4plusIvEENS9_8equal_toIvEEsEE10hipError_tPvRmT2_T3_T4_T5_mT6_T7_P12ihipStream_tbENKUlT_T0_E_clISt17integral_constantIbLb0EES10_IbLb1EEEEDaSW_SX_EUlSW_E_NS1_11comp_targetILNS1_3genE5ELNS1_11target_archE942ELNS1_3gpuE9ELNS1_3repE0EEENS1_30default_config_static_selectorELNS0_4arch9wavefront6targetE1EEEvT1_,"axG",@progbits,_ZN7rocprim17ROCPRIM_400000_NS6detail17trampoline_kernelINS0_14default_configENS1_27scan_by_key_config_selectorIisEEZZNS1_16scan_by_key_implILNS1_25lookback_scan_determinismE0ELb0ES3_N6thrust23THRUST_200600_302600_NS6detail15normal_iteratorINS9_10device_ptrIiEEEENSB_INSC_IsEEEESG_sNS9_4plusIvEENS9_8equal_toIvEEsEE10hipError_tPvRmT2_T3_T4_T5_mT6_T7_P12ihipStream_tbENKUlT_T0_E_clISt17integral_constantIbLb0EES10_IbLb1EEEEDaSW_SX_EUlSW_E_NS1_11comp_targetILNS1_3genE5ELNS1_11target_archE942ELNS1_3gpuE9ELNS1_3repE0EEENS1_30default_config_static_selectorELNS0_4arch9wavefront6targetE1EEEvT1_,comdat
	.protected	_ZN7rocprim17ROCPRIM_400000_NS6detail17trampoline_kernelINS0_14default_configENS1_27scan_by_key_config_selectorIisEEZZNS1_16scan_by_key_implILNS1_25lookback_scan_determinismE0ELb0ES3_N6thrust23THRUST_200600_302600_NS6detail15normal_iteratorINS9_10device_ptrIiEEEENSB_INSC_IsEEEESG_sNS9_4plusIvEENS9_8equal_toIvEEsEE10hipError_tPvRmT2_T3_T4_T5_mT6_T7_P12ihipStream_tbENKUlT_T0_E_clISt17integral_constantIbLb0EES10_IbLb1EEEEDaSW_SX_EUlSW_E_NS1_11comp_targetILNS1_3genE5ELNS1_11target_archE942ELNS1_3gpuE9ELNS1_3repE0EEENS1_30default_config_static_selectorELNS0_4arch9wavefront6targetE1EEEvT1_ ; -- Begin function _ZN7rocprim17ROCPRIM_400000_NS6detail17trampoline_kernelINS0_14default_configENS1_27scan_by_key_config_selectorIisEEZZNS1_16scan_by_key_implILNS1_25lookback_scan_determinismE0ELb0ES3_N6thrust23THRUST_200600_302600_NS6detail15normal_iteratorINS9_10device_ptrIiEEEENSB_INSC_IsEEEESG_sNS9_4plusIvEENS9_8equal_toIvEEsEE10hipError_tPvRmT2_T3_T4_T5_mT6_T7_P12ihipStream_tbENKUlT_T0_E_clISt17integral_constantIbLb0EES10_IbLb1EEEEDaSW_SX_EUlSW_E_NS1_11comp_targetILNS1_3genE5ELNS1_11target_archE942ELNS1_3gpuE9ELNS1_3repE0EEENS1_30default_config_static_selectorELNS0_4arch9wavefront6targetE1EEEvT1_
	.globl	_ZN7rocprim17ROCPRIM_400000_NS6detail17trampoline_kernelINS0_14default_configENS1_27scan_by_key_config_selectorIisEEZZNS1_16scan_by_key_implILNS1_25lookback_scan_determinismE0ELb0ES3_N6thrust23THRUST_200600_302600_NS6detail15normal_iteratorINS9_10device_ptrIiEEEENSB_INSC_IsEEEESG_sNS9_4plusIvEENS9_8equal_toIvEEsEE10hipError_tPvRmT2_T3_T4_T5_mT6_T7_P12ihipStream_tbENKUlT_T0_E_clISt17integral_constantIbLb0EES10_IbLb1EEEEDaSW_SX_EUlSW_E_NS1_11comp_targetILNS1_3genE5ELNS1_11target_archE942ELNS1_3gpuE9ELNS1_3repE0EEENS1_30default_config_static_selectorELNS0_4arch9wavefront6targetE1EEEvT1_
	.p2align	8
	.type	_ZN7rocprim17ROCPRIM_400000_NS6detail17trampoline_kernelINS0_14default_configENS1_27scan_by_key_config_selectorIisEEZZNS1_16scan_by_key_implILNS1_25lookback_scan_determinismE0ELb0ES3_N6thrust23THRUST_200600_302600_NS6detail15normal_iteratorINS9_10device_ptrIiEEEENSB_INSC_IsEEEESG_sNS9_4plusIvEENS9_8equal_toIvEEsEE10hipError_tPvRmT2_T3_T4_T5_mT6_T7_P12ihipStream_tbENKUlT_T0_E_clISt17integral_constantIbLb0EES10_IbLb1EEEEDaSW_SX_EUlSW_E_NS1_11comp_targetILNS1_3genE5ELNS1_11target_archE942ELNS1_3gpuE9ELNS1_3repE0EEENS1_30default_config_static_selectorELNS0_4arch9wavefront6targetE1EEEvT1_,@function
_ZN7rocprim17ROCPRIM_400000_NS6detail17trampoline_kernelINS0_14default_configENS1_27scan_by_key_config_selectorIisEEZZNS1_16scan_by_key_implILNS1_25lookback_scan_determinismE0ELb0ES3_N6thrust23THRUST_200600_302600_NS6detail15normal_iteratorINS9_10device_ptrIiEEEENSB_INSC_IsEEEESG_sNS9_4plusIvEENS9_8equal_toIvEEsEE10hipError_tPvRmT2_T3_T4_T5_mT6_T7_P12ihipStream_tbENKUlT_T0_E_clISt17integral_constantIbLb0EES10_IbLb1EEEEDaSW_SX_EUlSW_E_NS1_11comp_targetILNS1_3genE5ELNS1_11target_archE942ELNS1_3gpuE9ELNS1_3repE0EEENS1_30default_config_static_selectorELNS0_4arch9wavefront6targetE1EEEvT1_: ; @_ZN7rocprim17ROCPRIM_400000_NS6detail17trampoline_kernelINS0_14default_configENS1_27scan_by_key_config_selectorIisEEZZNS1_16scan_by_key_implILNS1_25lookback_scan_determinismE0ELb0ES3_N6thrust23THRUST_200600_302600_NS6detail15normal_iteratorINS9_10device_ptrIiEEEENSB_INSC_IsEEEESG_sNS9_4plusIvEENS9_8equal_toIvEEsEE10hipError_tPvRmT2_T3_T4_T5_mT6_T7_P12ihipStream_tbENKUlT_T0_E_clISt17integral_constantIbLb0EES10_IbLb1EEEEDaSW_SX_EUlSW_E_NS1_11comp_targetILNS1_3genE5ELNS1_11target_archE942ELNS1_3gpuE9ELNS1_3repE0EEENS1_30default_config_static_selectorELNS0_4arch9wavefront6targetE1EEEvT1_
; %bb.0:
	s_load_dwordx4 s[76:79], s[0:1], 0x28
	s_load_dwordx2 s[80:81], s[0:1], 0x38
	v_cmp_ne_u32_e64 s[4:5], 0, v0
	v_cmp_eq_u32_e64 s[56:57], 0, v0
	s_and_saveexec_b64 s[2:3], s[56:57]
	s_cbranch_execz .LBB1384_4
; %bb.1:
	s_mov_b64 s[8:9], exec
	v_mbcnt_lo_u32_b32 v1, s8, 0
	v_mbcnt_hi_u32_b32 v1, s9, v1
	v_cmp_eq_u32_e32 vcc, 0, v1
                                        ; implicit-def: $vgpr2
	s_and_saveexec_b64 s[6:7], vcc
	s_cbranch_execz .LBB1384_3
; %bb.2:
	s_load_dwordx2 s[10:11], s[0:1], 0x68
	s_bcnt1_i32_b64 s8, s[8:9]
	v_mov_b32_e32 v2, 0
	v_mov_b32_e32 v3, s8
	s_waitcnt lgkmcnt(0)
	global_atomic_add v2, v2, v3, s[10:11] sc0
.LBB1384_3:
	s_or_b64 exec, exec, s[6:7]
	s_waitcnt vmcnt(0)
	v_readfirstlane_b32 s6, v2
	v_mov_b32_e32 v2, 0
	s_nop 0
	v_add_u32_e32 v1, s6, v1
	ds_write_b32 v2, v1
.LBB1384_4:
	s_or_b64 exec, exec, s[2:3]
	s_load_dwordx8 s[60:67], s[0:1], 0x0
	s_load_dword s2, s[0:1], 0x40
	s_load_dwordx8 s[68:75], s[0:1], 0x48
	v_mov_b32_e32 v1, 0
	s_waitcnt lgkmcnt(0)
	s_barrier
	ds_read_b32 v1, v1
	s_lshl_b64 s[0:1], s[62:63], 2
	s_add_u32 s6, s60, s0
	s_addc_u32 s7, s61, s1
	s_lshl_b64 s[58:59], s[62:63], 1
	s_add_u32 s8, s64, s58
	s_mul_i32 s0, s81, s2
	s_mul_hi_u32 s1, s80, s2
	s_addc_u32 s9, s65, s59
	s_add_i32 s10, s1, s0
	s_waitcnt lgkmcnt(0)
	v_readfirstlane_b32 s79, v1
	s_cmp_lg_u64 s[72:73], 0
	s_mov_b32 s1, 0
	s_mul_i32 s0, s79, 0x1800
	s_mul_i32 s11, s80, s2
	s_cselect_b64 s[72:73], -1, 0
	s_lshl_b64 s[2:3], s[0:1], 2
	s_add_u32 s64, s6, s2
	s_addc_u32 s65, s7, s3
	s_lshl_b64 s[60:61], s[0:1], 1
	s_add_u32 s62, s8, s60
	s_addc_u32 s63, s9, s61
	s_add_u32 s82, s11, s79
	s_addc_u32 s83, s10, 0
	s_add_u32 s0, s68, -1
	s_addc_u32 s1, s69, -1
	v_mov_b64_e32 v[2:3], s[0:1]
	v_cmp_ge_u64_e64 s[2:3], s[82:83], v[2:3]
	s_mov_b64 s[12:13], 0
	s_mov_b64 s[6:7], -1
	s_and_b64 vcc, exec, s[2:3]
	s_mul_i32 s33, s0, 0xffffe800
	s_barrier
	s_barrier
	s_cbranch_vccz .LBB1384_131
; %bb.5:
	v_mov_b64_e32 v[2:3], s[64:65]
	flat_load_dword v2, v[2:3]
	s_add_i32 s86, s33, s78
	v_cmp_gt_u32_e64 s[6:7], s86, v0
	s_waitcnt vmcnt(0) lgkmcnt(0)
	v_mov_b32_e32 v3, v2
	s_and_saveexec_b64 s[0:1], s[6:7]
	s_cbranch_execz .LBB1384_7
; %bb.6:
	v_lshlrev_b32_e32 v4, 2, v0
	v_mov_b32_e32 v5, 0
	v_lshl_add_u64 v[4:5], s[64:65], 0, v[4:5]
	flat_load_dword v3, v[4:5]
.LBB1384_7:
	s_or_b64 exec, exec, s[0:1]
	v_or_b32_e32 v1, 0x100, v0
	v_cmp_gt_u32_e64 s[8:9], s86, v1
	v_mov_b32_e32 v19, v2
	s_and_saveexec_b64 s[0:1], s[8:9]
	s_cbranch_execz .LBB1384_9
; %bb.8:
	v_lshlrev_b32_e32 v4, 2, v0
	v_mov_b32_e32 v5, 0
	v_lshl_add_u64 v[4:5], s[64:65], 0, v[4:5]
	flat_load_dword v19, v[4:5] offset:1024
.LBB1384_9:
	s_or_b64 exec, exec, s[0:1]
	v_or_b32_e32 v1, 0x200, v0
	v_cmp_gt_u32_e64 s[10:11], s86, v1
	v_mov_b32_e32 v20, v2
	s_and_saveexec_b64 s[0:1], s[10:11]
	s_cbranch_execz .LBB1384_11
; %bb.10:
	v_lshlrev_b32_e32 v4, 2, v0
	v_mov_b32_e32 v5, 0
	v_lshl_add_u64 v[4:5], s[64:65], 0, v[4:5]
	flat_load_dword v20, v[4:5] offset:2048
.LBB1384_11:
	;; [unrolled: 12-line block ×3, first 2 shown]
	s_or_b64 exec, exec, s[0:1]
	v_or_b32_e32 v1, 0x400, v0
	v_cmp_gt_u32_e64 s[14:15], s86, v1
	v_mov_b32_e32 v22, v2
	s_and_saveexec_b64 s[0:1], s[14:15]
	s_cbranch_execz .LBB1384_15
; %bb.14:
	v_lshlrev_b32_e32 v4, 2, v1
	v_mov_b32_e32 v5, 0
	v_lshl_add_u64 v[4:5], s[64:65], 0, v[4:5]
	flat_load_dword v22, v[4:5]
.LBB1384_15:
	s_or_b64 exec, exec, s[0:1]
	v_or_b32_e32 v1, 0x500, v0
	v_cmp_gt_u32_e64 s[16:17], s86, v1
	v_mov_b32_e32 v23, v2
	s_and_saveexec_b64 s[0:1], s[16:17]
	s_cbranch_execz .LBB1384_17
; %bb.16:
	v_lshlrev_b32_e32 v4, 2, v1
	v_mov_b32_e32 v5, 0
	v_lshl_add_u64 v[4:5], s[64:65], 0, v[4:5]
	flat_load_dword v23, v[4:5]
.LBB1384_17:
	;; [unrolled: 12-line block ×19, first 2 shown]
	s_or_b64 exec, exec, s[0:1]
	v_or_b32_e32 v18, 0x1700, v0
	v_cmp_gt_u32_e64 s[54:55], s86, v18
	s_and_saveexec_b64 s[0:1], s[54:55]
	s_cbranch_execz .LBB1384_53
; %bb.52:
	v_lshlrev_b32_e32 v42, 2, v18
	v_mov_b32_e32 v43, 0
	v_lshl_add_u64 v[42:43], s[64:65], 0, v[42:43]
	flat_load_dword v2, v[42:43]
.LBB1384_53:
	s_or_b64 exec, exec, s[0:1]
	v_lshlrev_b32_e32 v41, 2, v0
	s_movk_i32 s0, 0x5c
	s_waitcnt vmcnt(0) lgkmcnt(0)
	ds_write2st64_b32 v41, v3, v19 offset1:4
	ds_write2st64_b32 v41, v20, v21 offset0:8 offset1:12
	ds_write2st64_b32 v41, v22, v23 offset0:16 offset1:20
	;; [unrolled: 1-line block ×11, first 2 shown]
	v_mad_u32_u24 v2, v0, s0, v41
	s_waitcnt lgkmcnt(0)
	s_barrier
	ds_read_b128 v[42:45], v2
	ds_read_b128 v[38:41], v2 offset:16
	ds_read_b128 v[34:37], v2 offset:32
	;; [unrolled: 1-line block ×5, first 2 shown]
	s_cmp_eq_u64 s[82:83], 0
	s_mov_b64 s[0:1], s[64:65]
	s_cbranch_scc1 .LBB1384_57
; %bb.54:
	s_andn2_b64 vcc, exec, s[72:73]
	s_cbranch_vccnz .LBB1384_317
; %bb.55:
	s_lshl_b64 s[0:1], s[82:83], 2
	s_add_u32 s0, s74, s0
	s_addc_u32 s1, s75, s1
	s_add_u32 s0, s0, -4
	s_addc_u32 s1, s1, -1
	s_cbranch_execnz .LBB1384_57
.LBB1384_56:
	s_add_u32 s0, s64, -4
	s_addc_u32 s1, s65, -1
.LBB1384_57:
	v_mov_b64_e32 v[20:21], s[0:1]
	flat_load_dword v46, v[20:21]
	s_movk_i32 s0, 0xffa4
	v_mad_i32_i24 v19, v0, s0, v2
	s_waitcnt lgkmcnt(0)
	ds_write_b32 v19, v25 offset:24576
	s_waitcnt lgkmcnt(0)
	s_barrier
	s_and_saveexec_b64 s[0:1], s[4:5]
	s_cbranch_execz .LBB1384_59
; %bb.58:
	s_waitcnt vmcnt(0)
	ds_read_b32 v46, v19 offset:24572
.LBB1384_59:
	s_or_b64 exec, exec, s[0:1]
	v_mov_b32_e32 v3, 0
	s_waitcnt lgkmcnt(0)
	s_barrier
	s_waitcnt lgkmcnt(0)
                                        ; implicit-def: $vgpr2
	s_and_saveexec_b64 s[0:1], s[6:7]
	s_cbranch_execnz .LBB1384_294
; %bb.60:
	s_or_b64 exec, exec, s[0:1]
                                        ; implicit-def: $vgpr3
	s_and_saveexec_b64 s[0:1], s[8:9]
	s_cbranch_execnz .LBB1384_295
.LBB1384_61:
	s_or_b64 exec, exec, s[0:1]
                                        ; implicit-def: $vgpr20
	s_and_saveexec_b64 s[0:1], s[10:11]
	s_cbranch_execnz .LBB1384_296
.LBB1384_62:
	s_or_b64 exec, exec, s[0:1]
                                        ; implicit-def: $vgpr21
	s_and_saveexec_b64 s[0:1], s[12:13]
	s_cbranch_execnz .LBB1384_297
.LBB1384_63:
	s_or_b64 exec, exec, s[0:1]
                                        ; implicit-def: $vgpr47
	s_and_saveexec_b64 s[0:1], s[14:15]
	s_cbranch_execnz .LBB1384_298
.LBB1384_64:
	s_or_b64 exec, exec, s[0:1]
                                        ; implicit-def: $vgpr48
	s_and_saveexec_b64 s[0:1], s[16:17]
	s_cbranch_execnz .LBB1384_299
.LBB1384_65:
	s_or_b64 exec, exec, s[0:1]
                                        ; implicit-def: $vgpr49
	s_and_saveexec_b64 s[0:1], s[18:19]
	s_cbranch_execnz .LBB1384_300
.LBB1384_66:
	s_or_b64 exec, exec, s[0:1]
                                        ; implicit-def: $vgpr50
	s_and_saveexec_b64 s[0:1], s[20:21]
	s_cbranch_execnz .LBB1384_301
.LBB1384_67:
	s_or_b64 exec, exec, s[0:1]
                                        ; implicit-def: $vgpr51
	s_and_saveexec_b64 s[0:1], s[22:23]
	s_cbranch_execnz .LBB1384_302
.LBB1384_68:
	s_or_b64 exec, exec, s[0:1]
                                        ; implicit-def: $vgpr1
	s_and_saveexec_b64 s[0:1], s[24:25]
	s_cbranch_execnz .LBB1384_303
.LBB1384_69:
	s_or_b64 exec, exec, s[0:1]
                                        ; implicit-def: $vgpr4
	s_and_saveexec_b64 s[0:1], s[26:27]
	s_cbranch_execnz .LBB1384_304
.LBB1384_70:
	s_or_b64 exec, exec, s[0:1]
                                        ; implicit-def: $vgpr5
	s_and_saveexec_b64 s[0:1], s[28:29]
	s_cbranch_execnz .LBB1384_305
.LBB1384_71:
	s_or_b64 exec, exec, s[0:1]
                                        ; implicit-def: $vgpr6
	s_and_saveexec_b64 s[0:1], s[30:31]
	s_cbranch_execnz .LBB1384_306
.LBB1384_72:
	s_or_b64 exec, exec, s[0:1]
                                        ; implicit-def: $vgpr7
	s_and_saveexec_b64 s[0:1], s[34:35]
	s_cbranch_execnz .LBB1384_307
.LBB1384_73:
	s_or_b64 exec, exec, s[0:1]
                                        ; implicit-def: $vgpr8
	s_and_saveexec_b64 s[0:1], s[36:37]
	s_cbranch_execnz .LBB1384_308
.LBB1384_74:
	s_or_b64 exec, exec, s[0:1]
                                        ; implicit-def: $vgpr9
	s_and_saveexec_b64 s[0:1], s[38:39]
	s_cbranch_execnz .LBB1384_309
.LBB1384_75:
	s_or_b64 exec, exec, s[0:1]
                                        ; implicit-def: $vgpr10
	s_and_saveexec_b64 s[0:1], s[40:41]
	s_cbranch_execnz .LBB1384_310
.LBB1384_76:
	s_or_b64 exec, exec, s[0:1]
                                        ; implicit-def: $vgpr11
	s_and_saveexec_b64 s[0:1], s[42:43]
	s_cbranch_execnz .LBB1384_311
.LBB1384_77:
	s_or_b64 exec, exec, s[0:1]
                                        ; implicit-def: $vgpr12
	s_and_saveexec_b64 s[0:1], s[44:45]
	s_cbranch_execnz .LBB1384_312
.LBB1384_78:
	s_or_b64 exec, exec, s[0:1]
                                        ; implicit-def: $vgpr13
	s_and_saveexec_b64 s[0:1], s[46:47]
	s_cbranch_execnz .LBB1384_313
.LBB1384_79:
	s_or_b64 exec, exec, s[0:1]
                                        ; implicit-def: $vgpr14
	s_and_saveexec_b64 s[0:1], s[48:49]
	s_cbranch_execnz .LBB1384_314
.LBB1384_80:
	s_or_b64 exec, exec, s[0:1]
                                        ; implicit-def: $vgpr15
	s_and_saveexec_b64 s[0:1], s[50:51]
	s_cbranch_execnz .LBB1384_315
.LBB1384_81:
	s_or_b64 exec, exec, s[0:1]
                                        ; implicit-def: $vgpr16
	s_and_saveexec_b64 s[0:1], s[52:53]
	s_cbranch_execnz .LBB1384_316
.LBB1384_82:
	s_or_b64 exec, exec, s[0:1]
                                        ; implicit-def: $vgpr17
	s_and_saveexec_b64 s[0:1], s[54:55]
	s_cbranch_execz .LBB1384_84
.LBB1384_83:
	v_lshlrev_b32_e32 v52, 1, v18
	v_mov_b32_e32 v53, 0
	v_lshl_add_u64 v[52:53], s[62:63], 0, v[52:53]
	flat_load_ushort v17, v[52:53]
.LBB1384_84:
	s_or_b64 exec, exec, s[0:1]
	v_lshlrev_b32_e32 v18, 1, v0
	s_mov_b32 s8, 0
	v_sub_u32_e32 v54, v19, v18
	s_mov_b32 s9, s8
	s_mov_b32 s24, s8
	;; [unrolled: 1-line block ×3, first 2 shown]
	v_mul_u32_u24_e32 v53, 24, v0
	s_waitcnt vmcnt(0) lgkmcnt(0)
	ds_write_b16 v54, v2
	ds_write_b16 v54, v3 offset:512
	ds_write_b16 v54, v20 offset:1024
	;; [unrolled: 1-line block ×23, first 2 shown]
	s_mov_b32 s10, s8
	s_mov_b32 s11, s8
	;; [unrolled: 1-line block ×18, first 2 shown]
	v_mov_b64_e32 v[18:19], s[24:25]
	v_mov_b64_e32 v[2:3], s[8:9]
	v_cmp_gt_u32_e32 vcc, s86, v53
	s_mov_b64 s[6:7], 0
	v_mov_b64_e32 v[50:51], s[0:1]
	v_mov_b64_e32 v[20:21], s[26:27]
	;; [unrolled: 1-line block ×9, first 2 shown]
	v_mov_b32_e32 v1, 0
	s_mov_b64 s[12:13], 0
	s_waitcnt lgkmcnt(0)
	s_barrier
	s_waitcnt lgkmcnt(0)
                                        ; implicit-def: $sgpr0_sgpr1
                                        ; implicit-def: $vgpr52
	s_and_saveexec_b64 s[10:11], vcc
	s_cbranch_execz .LBB1384_130
; %bb.85:
	v_mad_u32_u24 v1, v0, 46, v54
	ds_read_u16 v1, v1
	v_cmp_ne_u32_e32 vcc, v46, v42
	s_mov_b32 s12, 0
	v_or_b32_e32 v2, 1, v53
	v_cndmask_b32_e64 v3, 0, 1, vcc
	s_mov_b32 s13, s12
	s_mov_b32 s28, s12
	;; [unrolled: 1-line block ×3, first 2 shown]
	v_cmp_gt_u32_e32 vcc, s86, v2
	s_waitcnt lgkmcnt(0)
	v_lshl_or_b32 v1, v3, 16, v1
	s_mov_b32 s14, s12
	s_mov_b32 s15, s12
	;; [unrolled: 1-line block ×18, first 2 shown]
	v_mov_b64_e32 v[18:19], s[28:29]
	v_mov_b64_e32 v[2:3], s[12:13]
	s_mov_b64 s[36:37], 0
	v_mov_b64_e32 v[50:51], s[0:1]
	v_mov_b64_e32 v[20:21], s[30:31]
	;; [unrolled: 1-line block ×9, first 2 shown]
                                        ; implicit-def: $sgpr38_sgpr39
                                        ; implicit-def: $vgpr52
	s_and_saveexec_b64 s[34:35], vcc
	s_cbranch_execz .LBB1384_129
; %bb.86:
	v_mul_u32_u24_e32 v2, 46, v0
	v_add_u32_e32 v54, v54, v2
	ds_read_b128 v[46:49], v54 offset:2
	v_or_b32_e32 v2, 2, v53
	v_cmp_ne_u32_e32 vcc, v42, v43
	v_mov_b64_e32 v[18:19], s[28:29]
	v_mov_b32_e32 v51, 0
	v_cndmask_b32_e64 v3, 0, 1, vcc
	v_cmp_gt_u32_e32 vcc, s86, v2
	s_waitcnt lgkmcnt(0)
	v_and_b32_e32 v2, 0xffff, v46
	v_lshl_or_b32 v50, v3, 16, v2
	v_mov_b64_e32 v[2:3], s[12:13]
	s_mov_b64 s[0:1], 0
	v_mov_b64_e32 v[20:21], s[30:31]
	v_mov_b64_e32 v[4:5], s[14:15]
	;; [unrolled: 1-line block ×8, first 2 shown]
                                        ; implicit-def: $sgpr12_sgpr13
                                        ; implicit-def: $vgpr52
	s_and_saveexec_b64 s[28:29], vcc
	s_cbranch_execz .LBB1384_128
; %bb.87:
	v_cmp_ne_u32_e32 vcc, v43, v44
	s_mov_b32 s12, 0
	v_or_b32_e32 v2, 3, v53
	v_cndmask_b32_e64 v3, 0, 1, vcc
	s_mov_b32 s13, s12
	s_mov_b32 s36, s12
	;; [unrolled: 1-line block ×3, first 2 shown]
	v_alignbit_b32 v51, v3, v46, 16
	v_cmp_gt_u32_e32 vcc, s86, v2
	s_mov_b32 s14, s12
	s_mov_b32 s15, s12
	;; [unrolled: 1-line block ×16, first 2 shown]
	v_mov_b64_e32 v[18:19], s[36:37]
	v_mov_b64_e32 v[2:3], s[12:13]
	;; [unrolled: 1-line block ×10, first 2 shown]
                                        ; implicit-def: $sgpr36_sgpr37
                                        ; implicit-def: $vgpr52
	s_and_saveexec_b64 s[30:31], vcc
	s_cbranch_execz .LBB1384_127
; %bb.88:
	v_cmp_ne_u32_e32 vcc, v44, v45
	v_and_b32_e32 v2, 0xffff, v47
	v_or_b32_e32 v3, 4, v53
	v_cndmask_b32_e64 v4, 0, 1, vcc
	v_lshl_or_b32 v18, v4, 16, v2
	v_cmp_gt_u32_e32 vcc, s86, v3
	v_mov_b32_e32 v20, 0
	v_mov_b64_e32 v[2:3], s[12:13]
	v_mov_b32_e32 v19, v20
	v_mov_b32_e32 v21, v20
	v_mov_b64_e32 v[4:5], s[14:15]
	v_mov_b64_e32 v[6:7], s[16:17]
	;; [unrolled: 1-line block ×7, first 2 shown]
                                        ; implicit-def: $sgpr12_sgpr13
                                        ; implicit-def: $vgpr52
	s_and_saveexec_b64 s[36:37], vcc
	s_cbranch_execz .LBB1384_126
; %bb.89:
	v_cmp_ne_u32_e32 vcc, v45, v38
	s_mov_b32 s12, 0
	v_or_b32_e32 v2, 5, v53
	v_cndmask_b32_e64 v3, 0, 1, vcc
	s_mov_b32 s13, s12
	v_alignbit_b32 v19, v3, v47, 16
	v_cmp_gt_u32_e32 vcc, s86, v2
	s_mov_b32 s14, s12
	s_mov_b32 s15, s12
	;; [unrolled: 1-line block ×14, first 2 shown]
	v_mov_b64_e32 v[2:3], s[12:13]
	v_mov_b32_e32 v21, v20
	v_mov_b64_e32 v[4:5], s[14:15]
	v_mov_b64_e32 v[6:7], s[16:17]
	;; [unrolled: 1-line block ×7, first 2 shown]
                                        ; implicit-def: $sgpr40_sgpr41
                                        ; implicit-def: $vgpr52
	s_and_saveexec_b64 s[38:39], vcc
	s_cbranch_execz .LBB1384_125
; %bb.90:
	v_cmp_ne_u32_e32 vcc, v38, v39
	v_and_b32_e32 v2, 0xffff, v48
	v_or_b32_e32 v3, 6, v53
	v_cndmask_b32_e64 v4, 0, 1, vcc
	v_lshl_or_b32 v20, v4, 16, v2
	v_cmp_gt_u32_e32 vcc, s86, v3
	v_mov_b64_e32 v[2:3], s[12:13]
	v_mov_b32_e32 v21, s12
	v_mov_b64_e32 v[4:5], s[14:15]
	v_mov_b64_e32 v[6:7], s[16:17]
	;; [unrolled: 1-line block ×7, first 2 shown]
                                        ; implicit-def: $sgpr12_sgpr13
                                        ; implicit-def: $vgpr52
	s_and_saveexec_b64 s[40:41], vcc
	s_cbranch_execz .LBB1384_124
; %bb.91:
	v_cmp_ne_u32_e32 vcc, v39, v40
	s_mov_b32 s12, 0
	v_or_b32_e32 v2, 7, v53
	v_cndmask_b32_e64 v3, 0, 1, vcc
	s_mov_b32 s13, s12
	v_alignbit_b32 v21, v3, v48, 16
	v_cmp_gt_u32_e32 vcc, s86, v2
	s_mov_b32 s14, s12
	s_mov_b32 s15, s12
	;; [unrolled: 1-line block ×14, first 2 shown]
	v_mov_b64_e32 v[2:3], s[12:13]
	v_mov_b64_e32 v[4:5], s[14:15]
	;; [unrolled: 1-line block ×8, first 2 shown]
                                        ; implicit-def: $sgpr14_sgpr15
                                        ; implicit-def: $vgpr52
	s_and_saveexec_b64 s[12:13], vcc
	s_cbranch_execz .LBB1384_123
; %bb.92:
	v_cmp_ne_u32_e32 vcc, v40, v41
	v_and_b32_e32 v2, 0xffff, v49
	v_add_u32_e32 v3, 8, v53
	v_cndmask_b32_e64 v4, 0, 1, vcc
	v_lshl_or_b32 v2, v4, 16, v2
	v_mov_b32_e32 v4, 0
	v_cmp_gt_u32_e32 vcc, s86, v3
	v_mov_b32_e32 v3, v4
	v_mov_b32_e32 v5, v4
	;; [unrolled: 1-line block ×14, first 2 shown]
                                        ; implicit-def: $sgpr16_sgpr17
                                        ; implicit-def: $vgpr52
	s_and_saveexec_b64 s[14:15], vcc
	s_cbranch_execz .LBB1384_122
; %bb.93:
	v_cmp_ne_u32_e32 vcc, v41, v34
	v_add_u32_e32 v5, 9, v53
	v_mov_b32_e32 v6, v4
	v_cndmask_b32_e64 v3, 0, 1, vcc
	v_alignbit_b32 v3, v3, v49, 16
	v_cmp_gt_u32_e32 vcc, s86, v5
	v_mov_b32_e32 v5, v4
	v_mov_b32_e32 v7, v4
	;; [unrolled: 1-line block ×12, first 2 shown]
                                        ; implicit-def: $sgpr18_sgpr19
                                        ; implicit-def: $vgpr52
	s_and_saveexec_b64 s[16:17], vcc
	s_cbranch_execz .LBB1384_121
; %bb.94:
	ds_read_b128 v[38:41], v54 offset:18
	v_add_u32_e32 v4, 10, v53
	v_cmp_ne_u32_e32 vcc, v34, v35
	v_mov_b32_e32 v6, 0
	v_mov_b32_e32 v7, v6
	v_cndmask_b32_e64 v5, 0, 1, vcc
	v_cmp_gt_u32_e32 vcc, s86, v4
	s_waitcnt lgkmcnt(0)
	v_and_b32_e32 v4, 0xffff, v38
	v_lshl_or_b32 v4, v5, 16, v4
	v_mov_b32_e32 v5, v6
	v_mov_b32_e32 v8, v6
	;; [unrolled: 1-line block ×11, first 2 shown]
                                        ; implicit-def: $sgpr20_sgpr21
                                        ; implicit-def: $vgpr52
	s_and_saveexec_b64 s[18:19], vcc
	s_cbranch_execz .LBB1384_120
; %bb.95:
	v_cmp_ne_u32_e32 vcc, v35, v36
	v_add_u32_e32 v7, 11, v53
	v_mov_b32_e32 v8, v6
	v_cndmask_b32_e64 v5, 0, 1, vcc
	v_alignbit_b32 v5, v5, v38, 16
	v_cmp_gt_u32_e32 vcc, s86, v7
	v_mov_b32_e32 v7, v6
	v_mov_b32_e32 v9, v6
	;; [unrolled: 1-line block ×10, first 2 shown]
                                        ; implicit-def: $sgpr22_sgpr23
                                        ; implicit-def: $vgpr52
	s_and_saveexec_b64 s[20:21], vcc
	s_cbranch_execz .LBB1384_119
; %bb.96:
	v_cmp_ne_u32_e32 vcc, v36, v37
	v_and_b32_e32 v6, 0xffff, v39
	v_add_u32_e32 v7, 12, v53
	v_cndmask_b32_e64 v8, 0, 1, vcc
	v_lshl_or_b32 v6, v8, 16, v6
	v_mov_b32_e32 v8, 0
	v_cmp_gt_u32_e32 vcc, s86, v7
	v_mov_b32_e32 v7, v8
	v_mov_b32_e32 v9, v8
	;; [unrolled: 1-line block ×10, first 2 shown]
                                        ; implicit-def: $sgpr24_sgpr25
                                        ; implicit-def: $vgpr52
	s_and_saveexec_b64 s[22:23], vcc
	s_cbranch_execz .LBB1384_118
; %bb.97:
	v_cmp_ne_u32_e32 vcc, v37, v30
	v_add_u32_e32 v9, 13, v53
	v_mov_b32_e32 v10, v8
	v_cndmask_b32_e64 v7, 0, 1, vcc
	v_alignbit_b32 v7, v7, v39, 16
	v_cmp_gt_u32_e32 vcc, s86, v9
	v_mov_b32_e32 v9, v8
	v_mov_b32_e32 v11, v8
	v_mov_b32_e32 v12, v8
	v_mov_b32_e32 v13, v8
	v_mov_b32_e32 v14, v8
	v_mov_b32_e32 v15, v8
	v_mov_b32_e32 v16, v8
	v_mov_b32_e32 v17, v8
                                        ; implicit-def: $sgpr26_sgpr27
                                        ; implicit-def: $vgpr52
	s_and_saveexec_b64 s[24:25], vcc
	s_cbranch_execz .LBB1384_117
; %bb.98:
	v_cmp_ne_u32_e32 vcc, v30, v31
	v_and_b32_e32 v8, 0xffff, v40
	v_add_u32_e32 v9, 14, v53
	v_cndmask_b32_e64 v10, 0, 1, vcc
	v_lshl_or_b32 v8, v10, 16, v8
	v_mov_b32_e32 v10, 0
	v_cmp_gt_u32_e32 vcc, s86, v9
	v_mov_b32_e32 v9, v10
	v_mov_b32_e32 v11, v10
	v_mov_b32_e32 v12, v10
	v_mov_b32_e32 v13, v10
	v_mov_b32_e32 v14, v10
	v_mov_b32_e32 v15, v10
	v_mov_b32_e32 v16, v10
	v_mov_b32_e32 v17, v10
                                        ; implicit-def: $sgpr42_sgpr43
                                        ; implicit-def: $vgpr52
	s_and_saveexec_b64 s[26:27], vcc
	s_cbranch_execz .LBB1384_116
; %bb.99:
	v_cmp_ne_u32_e32 vcc, v31, v32
	v_add_u32_e32 v11, 15, v53
	v_mov_b32_e32 v12, v10
	v_cndmask_b32_e64 v9, 0, 1, vcc
	v_alignbit_b32 v9, v9, v40, 16
	v_cmp_gt_u32_e32 vcc, s86, v11
	v_mov_b32_e32 v11, v10
	v_mov_b32_e32 v13, v10
	;; [unrolled: 1-line block ×6, first 2 shown]
                                        ; implicit-def: $sgpr44_sgpr45
                                        ; implicit-def: $vgpr52
	s_and_saveexec_b64 s[42:43], vcc
	s_cbranch_execz .LBB1384_115
; %bb.100:
	v_cmp_ne_u32_e32 vcc, v32, v33
	v_and_b32_e32 v10, 0xffff, v41
	v_add_u32_e32 v11, 16, v53
	v_cndmask_b32_e64 v12, 0, 1, vcc
	v_lshl_or_b32 v10, v12, 16, v10
	v_mov_b32_e32 v12, 0
	v_cmp_gt_u32_e32 vcc, s86, v11
	v_mov_b32_e32 v11, v12
	v_mov_b32_e32 v13, v12
	;; [unrolled: 1-line block ×6, first 2 shown]
                                        ; implicit-def: $sgpr46_sgpr47
                                        ; implicit-def: $vgpr52
	s_and_saveexec_b64 s[44:45], vcc
	s_cbranch_execz .LBB1384_114
; %bb.101:
	v_cmp_ne_u32_e32 vcc, v33, v26
	v_add_u32_e32 v13, 17, v53
	v_mov_b32_e32 v14, v12
	v_cndmask_b32_e64 v11, 0, 1, vcc
	v_alignbit_b32 v11, v11, v41, 16
	v_cmp_gt_u32_e32 vcc, s86, v13
	v_mov_b32_e32 v13, v12
	v_mov_b32_e32 v15, v12
	v_mov_b32_e32 v16, v12
	v_mov_b32_e32 v17, v12
                                        ; implicit-def: $sgpr48_sgpr49
                                        ; implicit-def: $vgpr52
	s_and_saveexec_b64 s[46:47], vcc
	s_cbranch_execz .LBB1384_113
; %bb.102:
	ds_read_b96 v[30:32], v54 offset:34
	v_add_u32_e32 v12, 18, v53
	v_cmp_ne_u32_e32 vcc, v26, v27
	v_mov_b32_e32 v14, 0
	v_mov_b32_e32 v15, v14
	v_cndmask_b32_e64 v13, 0, 1, vcc
	v_cmp_gt_u32_e32 vcc, s86, v12
	s_waitcnt lgkmcnt(0)
	v_and_b32_e32 v12, 0xffff, v30
	v_lshl_or_b32 v12, v13, 16, v12
	v_mov_b32_e32 v13, v14
	v_mov_b32_e32 v16, v14
	;; [unrolled: 1-line block ×3, first 2 shown]
                                        ; implicit-def: $sgpr50_sgpr51
                                        ; implicit-def: $vgpr52
	s_and_saveexec_b64 s[48:49], vcc
	s_cbranch_execz .LBB1384_112
; %bb.103:
	v_cmp_ne_u32_e32 vcc, v27, v28
	v_add_u32_e32 v15, 19, v53
	v_mov_b32_e32 v16, v14
	v_cndmask_b32_e64 v13, 0, 1, vcc
	v_alignbit_b32 v13, v13, v30, 16
	v_cmp_gt_u32_e32 vcc, s86, v15
	v_mov_b32_e32 v15, v14
	v_mov_b32_e32 v17, v14
                                        ; implicit-def: $sgpr52_sgpr53
                                        ; implicit-def: $vgpr52
	s_and_saveexec_b64 s[50:51], vcc
	s_cbranch_execz .LBB1384_111
; %bb.104:
	v_cmp_ne_u32_e32 vcc, v28, v29
	v_and_b32_e32 v14, 0xffff, v31
	v_add_u32_e32 v15, 20, v53
	v_cndmask_b32_e64 v16, 0, 1, vcc
	v_lshl_or_b32 v14, v16, 16, v14
	v_mov_b32_e32 v16, 0
	v_cmp_gt_u32_e32 vcc, s86, v15
	v_mov_b32_e32 v15, v16
	v_mov_b32_e32 v17, v16
                                        ; implicit-def: $sgpr54_sgpr55
                                        ; implicit-def: $vgpr52
	s_and_saveexec_b64 s[52:53], vcc
	s_cbranch_execz .LBB1384_110
; %bb.105:
	v_cmp_ne_u32_e32 vcc, v29, v22
	v_add_u32_e32 v17, 21, v53
	s_mov_b32 s9, 0
	v_cndmask_b32_e64 v15, 0, 1, vcc
	v_alignbit_b32 v15, v15, v31, 16
	v_cmp_gt_u32_e32 vcc, s86, v17
	v_mov_b32_e32 v17, v16
                                        ; implicit-def: $sgpr68_sgpr69
                                        ; implicit-def: $vgpr52
	s_and_saveexec_b64 s[54:55], vcc
	s_cbranch_execz .LBB1384_109
; %bb.106:
	v_cmp_ne_u32_e32 vcc, v22, v23
	v_and_b32_e32 v16, 0xffff, v32
	v_add_u32_e32 v17, 22, v53
	v_cndmask_b32_e64 v22, 0, 1, vcc
	v_lshl_or_b32 v16, v22, 16, v16
	v_cmp_gt_u32_e32 vcc, s86, v17
	v_mov_b32_e32 v17, s9
                                        ; implicit-def: $sgpr68_sgpr69
                                        ; implicit-def: $vgpr52
	s_and_saveexec_b64 s[84:85], vcc
	s_xor_b64 s[84:85], exec, s[84:85]
	s_cbranch_execz .LBB1384_108
; %bb.107:
	ds_read_u16 v52, v54 offset:46
	v_add_u32_e32 v22, 23, v53
	v_cmp_ne_u32_e64 s[0:1], v23, v24
	v_cmp_ne_u32_e32 vcc, v24, v25
	s_and_b64 s[68:69], vcc, exec
	v_cndmask_b32_e64 v17, 0, 1, s[0:1]
	v_cmp_gt_u32_e64 s[0:1], s86, v22
	v_alignbit_b32 v17, v17, v32, 16
	s_and_b64 s[0:1], s[0:1], exec
.LBB1384_108:
	s_or_b64 exec, exec, s[84:85]
	s_and_b64 s[68:69], s[68:69], exec
	s_and_b64 s[0:1], s[0:1], exec
.LBB1384_109:
	s_or_b64 exec, exec, s[54:55]
	s_and_b64 s[54:55], s[68:69], exec
	s_and_b64 s[0:1], s[0:1], exec
.LBB1384_110:
	s_or_b64 exec, exec, s[52:53]
	s_and_b64 s[52:53], s[54:55], exec
	s_and_b64 s[0:1], s[0:1], exec
.LBB1384_111:
	s_or_b64 exec, exec, s[50:51]
	s_and_b64 s[50:51], s[52:53], exec
	s_and_b64 s[0:1], s[0:1], exec
.LBB1384_112:
	s_or_b64 exec, exec, s[48:49]
	s_and_b64 s[48:49], s[50:51], exec
	s_and_b64 s[0:1], s[0:1], exec
.LBB1384_113:
	s_or_b64 exec, exec, s[46:47]
	s_and_b64 s[46:47], s[48:49], exec
	s_and_b64 s[0:1], s[0:1], exec
.LBB1384_114:
	s_or_b64 exec, exec, s[44:45]
	s_and_b64 s[44:45], s[46:47], exec
	s_and_b64 s[0:1], s[0:1], exec
.LBB1384_115:
	s_or_b64 exec, exec, s[42:43]
	s_and_b64 s[42:43], s[44:45], exec
	s_and_b64 s[0:1], s[0:1], exec
.LBB1384_116:
	s_or_b64 exec, exec, s[26:27]
	s_and_b64 s[26:27], s[42:43], exec
	s_and_b64 s[0:1], s[0:1], exec
.LBB1384_117:
	s_or_b64 exec, exec, s[24:25]
	s_and_b64 s[24:25], s[26:27], exec
	s_and_b64 s[0:1], s[0:1], exec
.LBB1384_118:
	s_or_b64 exec, exec, s[22:23]
	s_and_b64 s[22:23], s[24:25], exec
	s_and_b64 s[0:1], s[0:1], exec
.LBB1384_119:
	s_or_b64 exec, exec, s[20:21]
	s_and_b64 s[20:21], s[22:23], exec
	s_and_b64 s[0:1], s[0:1], exec
.LBB1384_120:
	s_or_b64 exec, exec, s[18:19]
	s_and_b64 s[18:19], s[20:21], exec
	s_and_b64 s[0:1], s[0:1], exec
.LBB1384_121:
	s_or_b64 exec, exec, s[16:17]
	s_and_b64 s[16:17], s[18:19], exec
	s_and_b64 s[0:1], s[0:1], exec
.LBB1384_122:
	s_or_b64 exec, exec, s[14:15]
	s_and_b64 s[14:15], s[16:17], exec
	s_and_b64 s[0:1], s[0:1], exec
.LBB1384_123:
	s_or_b64 exec, exec, s[12:13]
	s_and_b64 s[12:13], s[14:15], exec
	s_and_b64 s[0:1], s[0:1], exec
.LBB1384_124:
	s_or_b64 exec, exec, s[40:41]
	s_and_b64 s[40:41], s[12:13], exec
	s_and_b64 s[0:1], s[0:1], exec
.LBB1384_125:
	s_or_b64 exec, exec, s[38:39]
	s_and_b64 s[12:13], s[40:41], exec
	s_and_b64 s[0:1], s[0:1], exec
.LBB1384_126:
	s_or_b64 exec, exec, s[36:37]
	s_and_b64 s[36:37], s[12:13], exec
	s_and_b64 s[0:1], s[0:1], exec
.LBB1384_127:
	s_or_b64 exec, exec, s[30:31]
	s_and_b64 s[12:13], s[36:37], exec
	s_and_b64 s[0:1], s[0:1], exec
.LBB1384_128:
	s_or_b64 exec, exec, s[28:29]
	s_and_b64 s[38:39], s[12:13], exec
	s_and_b64 s[36:37], s[0:1], exec
.LBB1384_129:
	s_or_b64 exec, exec, s[34:35]
	s_and_b64 s[0:1], s[38:39], exec
	s_and_b64 s[12:13], s[36:37], exec
.LBB1384_130:
	s_or_b64 exec, exec, s[10:11]
	s_and_b64 vcc, exec, s[6:7]
	s_cbranch_vccnz .LBB1384_132
	s_branch .LBB1384_140
.LBB1384_131:
                                        ; implicit-def: $sgpr0_sgpr1
                                        ; implicit-def: $vgpr50_vgpr51
                                        ; implicit-def: $vgpr18_vgpr19_vgpr20_vgpr21
                                        ; implicit-def: $vgpr2_vgpr3_vgpr4_vgpr5_vgpr6_vgpr7_vgpr8_vgpr9_vgpr10_vgpr11_vgpr12_vgpr13_vgpr14_vgpr15_vgpr16_vgpr17
                                        ; implicit-def: $vgpr52
                                        ; implicit-def: $vgpr1
                                        ; implicit-def: $sgpr8
	s_and_b64 vcc, exec, s[6:7]
	s_cbranch_vccz .LBB1384_140
.LBB1384_132:
	v_mov_b32_e32 v3, 0
	v_lshlrev_b32_e32 v2, 2, v0
	v_lshl_add_u64 v[4:5], s[64:65], 0, v[2:3]
	v_add_co_u32_e32 v6, vcc, 0x1000, v4
	s_movk_i32 s0, 0x5c
	s_nop 0
	v_addc_co_u32_e32 v7, vcc, 0, v5, vcc
	flat_load_dword v3, v[4:5]
	flat_load_dword v10, v[4:5] offset:1024
	flat_load_dword v11, v[4:5] offset:2048
	;; [unrolled: 1-line block ×3, first 2 shown]
	flat_load_dword v13, v[6:7]
	flat_load_dword v14, v[6:7] offset:1024
	flat_load_dword v15, v[6:7] offset:2048
	;; [unrolled: 1-line block ×3, first 2 shown]
	v_add_co_u32_e32 v6, vcc, 0x2000, v4
	v_mad_u32_u24 v1, v0, s0, v2
	s_nop 0
	v_addc_co_u32_e32 v7, vcc, 0, v5, vcc
	v_add_co_u32_e32 v8, vcc, 0x3000, v4
	s_cmp_eq_u64 s[82:83], 0
	s_nop 0
	v_addc_co_u32_e32 v9, vcc, 0, v5, vcc
	flat_load_dword v17, v[6:7]
	flat_load_dword v18, v[6:7] offset:1024
	flat_load_dword v19, v[6:7] offset:2048
	;; [unrolled: 1-line block ×3, first 2 shown]
	flat_load_dword v21, v[8:9]
	flat_load_dword v22, v[8:9] offset:1024
	flat_load_dword v23, v[8:9] offset:2048
	;; [unrolled: 1-line block ×3, first 2 shown]
	v_add_co_u32_e32 v6, vcc, 0x4000, v4
	s_nop 1
	v_addc_co_u32_e32 v7, vcc, 0, v5, vcc
	v_add_co_u32_e32 v4, vcc, 0x5000, v4
	s_nop 1
	v_addc_co_u32_e32 v5, vcc, 0, v5, vcc
	flat_load_dword v8, v[6:7]
	flat_load_dword v9, v[6:7] offset:1024
	flat_load_dword v25, v[6:7] offset:2048
	;; [unrolled: 1-line block ×3, first 2 shown]
	flat_load_dword v27, v[4:5]
	flat_load_dword v28, v[4:5] offset:1024
	flat_load_dword v29, v[4:5] offset:2048
	;; [unrolled: 1-line block ×3, first 2 shown]
	s_waitcnt vmcnt(0) lgkmcnt(0)
	ds_write2st64_b32 v2, v3, v10 offset1:4
	ds_write2st64_b32 v2, v11, v12 offset0:8 offset1:12
	ds_write2st64_b32 v2, v13, v14 offset0:16 offset1:20
	;; [unrolled: 1-line block ×11, first 2 shown]
	s_waitcnt lgkmcnt(0)
	s_barrier
	ds_read2_b64 v[2:5], v1 offset1:11
	ds_read2_b64 v[34:37], v1 offset0:9 offset1:10
	ds_read2_b64 v[30:33], v1 offset0:7 offset1:8
	;; [unrolled: 1-line block ×5, first 2 shown]
	s_cbranch_scc1 .LBB1384_137
; %bb.133:
	s_andn2_b64 vcc, exec, s[72:73]
	s_cbranch_vccnz .LBB1384_318
; %bb.134:
	s_lshl_b64 s[0:1], s[82:83], 2
	s_add_u32 s0, s74, s0
	s_addc_u32 s1, s75, s1
	s_add_u32 s0, s0, -4
	s_addc_u32 s1, s1, -1
	s_cbranch_execnz .LBB1384_136
.LBB1384_135:
	s_add_u32 s0, s64, -4
	s_addc_u32 s1, s65, -1
.LBB1384_136:
	s_mov_b64 s[64:65], s[0:1]
.LBB1384_137:
	v_mov_b64_e32 v[10:11], s[64:65]
	flat_load_dword v10, v[10:11]
	s_movk_i32 s0, 0xffa4
	v_mad_i32_i24 v1, v0, s0, v1
	s_waitcnt lgkmcnt(0)
	ds_write_b32 v1, v5 offset:24576
	s_waitcnt lgkmcnt(0)
	s_barrier
	s_and_saveexec_b64 s[0:1], s[4:5]
	s_cbranch_execz .LBB1384_139
; %bb.138:
	s_waitcnt vmcnt(0)
	ds_read_b32 v10, v1 offset:24572
.LBB1384_139:
	s_or_b64 exec, exec, s[0:1]
	v_lshlrev_b32_e32 v12, 1, v0
	v_mov_b32_e32 v13, 0
	v_lshl_add_u64 v[14:15], s[62:63], 0, v[12:13]
	s_movk_i32 s0, 0x1000
	v_add_co_u32_e32 v16, vcc, s0, v14
	s_movk_i32 s0, 0x2000
	s_nop 0
	v_addc_co_u32_e32 v17, vcc, 0, v15, vcc
	s_waitcnt lgkmcnt(0)
	s_barrier
	flat_load_ushort v11, v[14:15]
	flat_load_ushort v13, v[14:15] offset:512
	flat_load_ushort v18, v[14:15] offset:1024
	;; [unrolled: 1-line block ×7, first 2 shown]
	v_add_co_u32_e32 v14, vcc, s0, v14
	flat_load_ushort v40, v[16:17]
	flat_load_ushort v41, v[16:17] offset:512
	flat_load_ushort v42, v[16:17] offset:1024
	;; [unrolled: 1-line block ×7, first 2 shown]
	v_addc_co_u32_e32 v15, vcc, 0, v15, vcc
	flat_load_ushort v16, v[14:15]
	flat_load_ushort v17, v[14:15] offset:512
	flat_load_ushort v48, v[14:15] offset:1024
	;; [unrolled: 1-line block ×7, first 2 shown]
	s_waitcnt vmcnt(0)
	v_cmp_ne_u32_e32 vcc, v10, v2
	v_sub_u32_e32 v1, v1, v12
	v_cmp_ne_u32_e64 s[0:1], v4, v5
	v_cndmask_b32_e64 v5, 0, 1, vcc
	v_cmp_ne_u32_e32 vcc, v3, v6
	v_mad_u32_u24 v55, v0, 46, v1
	s_mov_b64 s[12:13], -1
	v_cndmask_b32_e64 v54, 0, 1, vcc
	v_cmp_ne_u32_e32 vcc, v2, v3
                                        ; implicit-def: $sgpr8
	s_waitcnt lgkmcnt(0)
	ds_write_b16 v1, v11
	ds_write_b16 v1, v13 offset:512
	ds_write_b16 v1, v18 offset:1024
	;; [unrolled: 1-line block ×23, first 2 shown]
	s_waitcnt lgkmcnt(0)
	s_barrier
	ds_read_u16 v1, v55
	ds_read_b96 v[14:16], v55 offset:2
	ds_read_b128 v[38:41], v55 offset:14
	ds_read_b128 v[10:13], v55 offset:30
	ds_read_u16 v52, v55 offset:46
	v_cndmask_b32_e64 v2, 0, 1, vcc
	v_cmp_ne_u32_e32 vcc, v9, v22
	s_waitcnt lgkmcnt(4)
	v_lshl_or_b32 v1, v5, 16, v1
	s_waitcnt lgkmcnt(3)
	v_and_b32_e32 v5, 0xffff, v14
	v_cndmask_b32_e64 v3, 0, 1, vcc
	v_cmp_ne_u32_e32 vcc, v7, v8
	v_lshl_or_b32 v50, v2, 16, v5
	v_and_b32_e32 v17, 0xffff, v16
	v_cndmask_b32_e64 v2, 0, 1, vcc
	v_cmp_ne_u32_e32 vcc, v8, v9
	v_alignbit_b32 v19, v2, v15, 16
	v_alignbit_b32 v21, v3, v16, 16
	v_cndmask_b32_e64 v2, 0, 1, vcc
	v_cmp_ne_u32_e32 vcc, v6, v7
	v_lshl_or_b32 v20, v2, 16, v17
	v_alignbit_b32 v51, v54, v14, 16
	v_cndmask_b32_e64 v2, 0, 1, vcc
	v_cmp_ne_u32_e32 vcc, v37, v4
	v_and_b32_e32 v14, 0xffff, v15
	s_waitcnt lgkmcnt(1)
	v_and_b32_e32 v16, 0xffff, v13
	v_cndmask_b32_e64 v3, 0, 1, vcc
	v_cmp_ne_u32_e32 vcc, v35, v36
	v_alignbit_b32 v17, v3, v13, 16
	v_and_b32_e32 v44, 0xffff, v11
	v_cndmask_b32_e64 v3, 0, 1, vcc
	v_cmp_ne_u32_e32 vcc, v33, v34
	v_alignbit_b32 v15, v3, v12, 16
	v_lshl_or_b32 v18, v2, 16, v14
	v_cndmask_b32_e64 v3, 0, 1, vcc
	v_cmp_ne_u32_e32 vcc, v31, v32
	v_alignbit_b32 v13, v3, v11, 16
	v_and_b32_e32 v14, 0xffff, v12
	v_cndmask_b32_e64 v3, 0, 1, vcc
	v_cmp_ne_u32_e32 vcc, v29, v30
	v_alignbit_b32 v11, v3, v10, 16
	v_and_b32_e32 v43, 0xffff, v10
	;; [unrolled: 4-line block ×5, first 2 shown]
	v_cndmask_b32_e64 v3, 0, 1, vcc
	v_cmp_ne_u32_e32 vcc, v36, v37
	v_and_b32_e32 v42, 0xffff, v39
	v_alignbit_b32 v3, v3, v38, 16
	v_cndmask_b32_e64 v4, 0, 1, vcc
	v_cmp_ne_u32_e32 vcc, v34, v35
	v_lshl_or_b32 v16, v4, 16, v16
	s_nop 0
	v_cndmask_b32_e64 v4, 0, 1, vcc
	v_cmp_ne_u32_e32 vcc, v32, v33
	v_lshl_or_b32 v14, v4, 16, v14
	s_nop 0
	;; [unrolled: 4-line block ×7, first 2 shown]
	v_cndmask_b32_e64 v22, 0, 1, vcc
	v_lshl_or_b32 v2, v22, 16, v2
.LBB1384_140:
	v_mov_b32_e32 v32, s8
	s_and_saveexec_b64 s[6:7], s[12:13]
	s_cbranch_execz .LBB1384_142
; %bb.141:
	v_mov_b32_e32 v22, 0x10000
	v_cndmask_b32_e64 v22, 0, v22, s[0:1]
	s_waitcnt lgkmcnt(0)
	v_or_b32_sdwa v32, v22, v52 dst_sel:DWORD dst_unused:UNUSED_PAD src0_sel:DWORD src1_sel:WORD_0
.LBB1384_142:
	s_or_b64 exec, exec, s[6:7]
	s_cmp_lg_u32 s79, 0
	v_mbcnt_lo_u32_b32 v33, -1, 0
	s_waitcnt lgkmcnt(0)
	s_barrier
	s_cbranch_scc0 .LBB1384_209
; %bb.143:
	s_mov_b32 s0, 0x10000
	v_cmp_gt_u32_e64 s[6:7], s0, v50
	v_cmp_gt_u32_e64 s[8:9], s0, v51
	v_cmp_gt_u32_e64 s[10:11], s0, v18
	v_cndmask_b32_e64 v22, 0, v1, s[6:7]
	v_add_u16_e32 v22, v22, v50
	v_cndmask_b32_e64 v22, 0, v22, s[8:9]
	v_add_u16_e32 v22, v22, v51
	v_cndmask_b32_e64 v22, 0, v22, s[10:11]
	v_add_u16_e32 v22, v22, v18
	v_cmp_gt_u32_e64 s[12:13], s0, v19
	v_cmp_gt_u32_e64 s[14:15], s0, v20
	v_cmp_gt_u32_e64 s[16:17], s0, v21
	v_cndmask_b32_e64 v22, 0, v22, s[12:13]
	v_add_u16_e32 v22, v22, v19
	v_cndmask_b32_e64 v22, 0, v22, s[14:15]
	v_add_u16_e32 v22, v22, v20
	v_cndmask_b32_e64 v22, 0, v22, s[16:17]
	v_add_u16_e32 v22, v22, v21
	v_cmp_gt_u32_e64 s[18:19], s0, v2
	v_cmp_gt_u32_e64 s[20:21], s0, v3
	v_cmp_gt_u32_e64 s[22:23], s0, v4
	v_cndmask_b32_e64 v22, 0, v22, s[18:19]
	v_add_u16_e32 v22, v22, v2
	v_cndmask_b32_e64 v22, 0, v22, s[20:21]
	v_add_u16_e32 v22, v22, v3
	v_cndmask_b32_e64 v22, 0, v22, s[22:23]
	v_add_u16_e32 v22, v22, v4
	v_cmp_gt_u32_e64 s[24:25], s0, v5
	v_cmp_gt_u32_e64 s[26:27], s0, v6
	v_cmp_gt_u32_e64 s[28:29], s0, v7
	v_cndmask_b32_e64 v22, 0, v22, s[24:25]
	v_add_u16_e32 v22, v22, v5
	v_cndmask_b32_e64 v22, 0, v22, s[26:27]
	v_add_u16_e32 v22, v22, v6
	v_cndmask_b32_e64 v22, 0, v22, s[28:29]
	v_add_u16_e32 v22, v22, v7
	v_cmp_gt_u32_e64 s[30:31], s0, v8
	v_cmp_gt_u32_e64 s[34:35], s0, v9
	v_cmp_gt_u32_e64 s[36:37], s0, v10
	v_cndmask_b32_e64 v22, 0, v22, s[30:31]
	v_add_u16_e32 v22, v22, v8
	v_cndmask_b32_e64 v22, 0, v22, s[34:35]
	v_add_u16_e32 v22, v22, v9
	v_cndmask_b32_e64 v22, 0, v22, s[36:37]
	v_add_u16_e32 v22, v22, v10
	v_cmp_gt_u32_e64 s[38:39], s0, v11
	v_cmp_gt_u32_e64 s[40:41], s0, v12
	v_or3_b32 v23, v32, v17, v16
	v_cndmask_b32_e64 v22, 0, v22, s[38:39]
	v_add_u16_e32 v22, v22, v11
	v_cndmask_b32_e64 v22, 0, v22, s[40:41]
	v_add_u16_e32 v22, v22, v12
	v_cmp_gt_u32_e64 s[42:43], s0, v13
	v_or3_b32 v23, v23, v15, v14
	v_or3_b32 v23, v23, v13, v12
	v_cndmask_b32_e64 v22, 0, v22, s[42:43]
	v_add_u16_e32 v22, v22, v13
	v_cmp_gt_u32_e64 s[44:45], s0, v14
	v_or3_b32 v23, v23, v11, v10
	v_or3_b32 v23, v23, v9, v8
	;; [unrolled: 5-line block ×5, first 2 shown]
	v_cndmask_b32_e64 v22, 0, v22, s[50:51]
	v_add_u16_e32 v22, v22, v17
	v_cmp_gt_u32_e64 s[52:53], s0, v32
	v_and_b32_e32 v23, 0x10000, v23
	v_lshrrev_b32_e32 v34, 16, v1
	v_cndmask_b32_e64 v24, 0, v22, s[52:53]
	v_cmp_eq_u32_e32 vcc, 0, v23
	v_add_u16_e32 v22, v24, v32
	v_mbcnt_hi_u32_b32 v25, -1, v33
	v_cndmask_b32_e32 v23, 1, v34, vcc
	v_add_u16_e32 v24, v24, v32
	v_and_b32_e32 v27, 15, v25
	v_lshl_or_b32 v24, v23, 16, v24
	v_cmp_ne_u32_e32 vcc, 0, v27
	s_nop 0
	v_mov_b32_dpp v26, v24 row_shr:1 row_mask:0xf bank_mask:0xf
	s_and_saveexec_b64 s[0:1], vcc
	s_cbranch_execz .LBB1384_145
; %bb.144:
	v_cmp_eq_u32_e32 vcc, 0, v23
	v_and_b32_e32 v23, 1, v23
	v_mov_b32_e32 v29, 1
	v_cndmask_b32_e32 v24, 0, v26, vcc
	v_and_b32_sdwa v26, v26, v29 dst_sel:DWORD dst_unused:UNUSED_PAD src0_sel:WORD_1 src1_sel:DWORD
	v_cmp_eq_u32_e32 vcc, 1, v23
	v_add_u16_e32 v28, v24, v22
	v_add_u16_e32 v22, v24, v22
	v_cndmask_b32_e64 v23, v26, 1, vcc
	v_lshlrev_b32_e32 v26, 16, v23
	v_or_b32_e32 v24, v26, v22
	v_mov_b32_e32 v22, v28
.LBB1384_145:
	s_or_b64 exec, exec, s[0:1]
	v_lshrrev_b32_e32 v26, 16, v24
	v_mov_b32_dpp v28, v24 row_shr:2 row_mask:0xf bank_mask:0xf
	v_cmp_lt_u32_e32 vcc, 1, v27
	s_and_saveexec_b64 s[0:1], vcc
	s_cbranch_execz .LBB1384_147
; %bb.146:
	s_mov_b32 s54, 0x10000
	v_cmp_gt_u32_e32 vcc, s54, v24
	v_and_b32_e32 v23, 0x10000, v24
	v_mov_b32_e32 v24, 1
	v_cndmask_b32_e32 v26, 0, v28, vcc
	v_and_b32_sdwa v24, v28, v24 dst_sel:DWORD dst_unused:UNUSED_PAD src0_sel:WORD_1 src1_sel:DWORD
	v_cmp_ne_u32_e32 vcc, 0, v23
	v_add_u16_e32 v29, v26, v22
	v_add_u16_e32 v22, v26, v22
	v_cndmask_b32_e64 v23, v24, 1, vcc
	v_lshlrev_b32_e32 v24, 16, v23
	v_or_b32_e32 v24, v24, v22
	v_mov_b32_e32 v26, v23
	v_mov_b32_e32 v22, v29
.LBB1384_147:
	s_or_b64 exec, exec, s[0:1]
	v_mov_b32_dpp v28, v24 row_shr:4 row_mask:0xf bank_mask:0xf
	v_cmp_lt_u32_e32 vcc, 3, v27
	s_and_saveexec_b64 s[0:1], vcc
	s_cbranch_execz .LBB1384_149
; %bb.148:
	v_mov_b32_e32 v23, 0
	v_cmp_eq_u16_sdwa vcc, v26, v23 src0_sel:BYTE_0 src1_sel:DWORD
	v_and_b32_e32 v23, 1, v26
	v_mov_b32_e32 v26, 1
	v_cndmask_b32_e32 v24, 0, v28, vcc
	v_and_b32_sdwa v26, v28, v26 dst_sel:DWORD dst_unused:UNUSED_PAD src0_sel:WORD_1 src1_sel:DWORD
	v_cmp_eq_u32_e32 vcc, 1, v23
	v_add_u16_e32 v29, v24, v22
	v_add_u16_e32 v22, v24, v22
	v_cndmask_b32_e64 v23, v26, 1, vcc
	v_lshlrev_b32_e32 v26, 16, v23
	v_or_b32_e32 v24, v26, v22
	v_mov_b32_e32 v26, v23
	v_mov_b32_e32 v22, v29
.LBB1384_149:
	s_or_b64 exec, exec, s[0:1]
	v_mov_b32_dpp v28, v24 row_shr:8 row_mask:0xf bank_mask:0xf
	v_cmp_lt_u32_e32 vcc, 7, v27
	s_and_saveexec_b64 s[0:1], vcc
	s_cbranch_execz .LBB1384_151
; %bb.150:
	v_mov_b32_e32 v23, 0
	v_cmp_eq_u16_sdwa vcc, v26, v23 src0_sel:BYTE_0 src1_sel:DWORD
	v_and_b32_e32 v23, 1, v26
	v_mov_b32_e32 v26, 1
	v_cndmask_b32_e32 v24, 0, v28, vcc
	v_and_b32_sdwa v26, v28, v26 dst_sel:DWORD dst_unused:UNUSED_PAD src0_sel:WORD_1 src1_sel:DWORD
	v_cmp_eq_u32_e32 vcc, 1, v23
	v_add_u16_e32 v27, v24, v22
	v_add_u16_e32 v22, v24, v22
	v_cndmask_b32_e64 v23, v26, 1, vcc
	v_lshlrev_b32_e32 v26, 16, v23
	v_or_b32_e32 v24, v26, v22
	v_mov_b32_e32 v26, v23
	v_mov_b32_e32 v22, v27
.LBB1384_151:
	s_or_b64 exec, exec, s[0:1]
	v_and_b32_e32 v28, 16, v25
	v_mov_b32_dpp v27, v24 row_bcast:15 row_mask:0xf bank_mask:0xf
	v_cmp_ne_u32_e32 vcc, 0, v28
	s_and_saveexec_b64 s[0:1], vcc
	s_cbranch_execz .LBB1384_153
; %bb.152:
	v_mov_b32_e32 v23, 0
	v_cmp_eq_u16_sdwa vcc, v26, v23 src0_sel:BYTE_0 src1_sel:DWORD
	v_and_b32_e32 v23, 1, v26
	v_mov_b32_e32 v26, 1
	v_cndmask_b32_e32 v24, 0, v27, vcc
	v_and_b32_sdwa v26, v27, v26 dst_sel:DWORD dst_unused:UNUSED_PAD src0_sel:WORD_1 src1_sel:DWORD
	v_cmp_eq_u32_e32 vcc, 1, v23
	v_add_u16_e32 v28, v24, v22
	v_add_u16_e32 v22, v24, v22
	v_cndmask_b32_e64 v23, v26, 1, vcc
	v_lshlrev_b32_e32 v26, 16, v23
	v_or_b32_e32 v24, v26, v22
	v_mov_b32_e32 v22, v28
	v_mov_b32_e32 v26, v23
.LBB1384_153:
	s_or_b64 exec, exec, s[0:1]
	v_mov_b32_dpp v24, v24 row_bcast:31 row_mask:0xf bank_mask:0xf
	v_cmp_lt_u32_e32 vcc, 31, v25
	s_and_saveexec_b64 s[0:1], vcc
; %bb.154:
	v_mov_b32_e32 v23, 0
	v_cmp_eq_u16_sdwa vcc, v26, v23 src0_sel:BYTE_0 src1_sel:DWORD
	s_nop 1
	v_cndmask_b32_e32 v23, 0, v24, vcc
	v_add_u16_e32 v22, v23, v22
	v_and_b32_e32 v23, 1, v26
	v_mov_b32_e32 v26, 1
	v_and_b32_sdwa v24, v24, v26 dst_sel:DWORD dst_unused:UNUSED_PAD src0_sel:WORD_1 src1_sel:DWORD
	v_cmp_eq_u32_e32 vcc, 1, v23
	s_nop 1
	v_cndmask_b32_e64 v23, v24, 1, vcc
; %bb.155:
	s_or_b64 exec, exec, s[0:1]
	v_or_b32_e32 v26, 63, v0
	v_lshrrev_b32_e32 v24, 6, v0
	v_cmp_eq_u32_e32 vcc, v26, v0
	s_and_saveexec_b64 s[0:1], vcc
	s_cbranch_execz .LBB1384_157
; %bb.156:
	v_lshlrev_b32_e32 v26, 2, v24
	ds_write_b16 v26, v22
	ds_write_b8 v26, v23 offset:2
.LBB1384_157:
	s_or_b64 exec, exec, s[0:1]
	v_cmp_gt_u32_e32 vcc, 4, v0
	s_waitcnt lgkmcnt(0)
	s_barrier
	s_and_saveexec_b64 s[0:1], vcc
	s_cbranch_execz .LBB1384_163
; %bb.158:
	v_lshlrev_b32_e32 v26, 2, v0
	ds_read_b32 v27, v26
	v_and_b32_e32 v30, 3, v25
	v_cmp_ne_u32_e32 vcc, 0, v30
	s_waitcnt lgkmcnt(0)
	v_lshrrev_b32_e32 v29, 16, v27
	v_mov_b32_dpp v31, v27 row_shr:1 row_mask:0xf bank_mask:0xf
	v_mov_b32_e32 v28, v27
	s_and_saveexec_b64 s[54:55], vcc
	s_cbranch_execz .LBB1384_160
; %bb.159:
	v_mov_b32_e32 v28, 0
	v_cmp_eq_u16_sdwa vcc, v29, v28 src0_sel:BYTE_0 src1_sel:DWORD
	v_and_b32_e32 v29, 0x10000, v27
	v_mov_b32_e32 v37, 1
	v_cndmask_b32_e32 v36, 0, v31, vcc
	v_and_b32_sdwa v31, v31, v37 dst_sel:DWORD dst_unused:UNUSED_PAD src0_sel:WORD_1 src1_sel:DWORD
	v_cmp_ne_u32_e32 vcc, 0, v29
	v_and_b32_e32 v35, 0xff000000, v27
	v_add_u16_e32 v28, v36, v27
	v_cndmask_b32_e64 v29, v31, 1, vcc
	v_lshlrev_b32_e32 v31, 16, v29
	v_add_u16_e32 v27, v36, v27
	v_or3_b32 v27, v31, v35, v27
.LBB1384_160:
	s_or_b64 exec, exec, s[54:55]
	s_nop 0
	v_mov_b32_dpp v31, v27 row_shr:2 row_mask:0xf bank_mask:0xf
	v_cmp_lt_u32_e32 vcc, 1, v30
	s_and_saveexec_b64 s[54:55], vcc
; %bb.161:
	v_and_b32_e32 v29, 0xff0000, v27
	v_cmp_eq_u32_e32 vcc, 0, v29
	v_and_b32_e32 v27, 0x10000, v27
	s_nop 0
	v_cndmask_b32_e32 v29, 0, v31, vcc
	v_add_u16_e32 v28, v29, v28
	v_mov_b32_e32 v29, 1
	v_and_b32_sdwa v29, v31, v29 dst_sel:DWORD dst_unused:UNUSED_PAD src0_sel:WORD_1 src1_sel:DWORD
	v_cmp_eq_u32_e32 vcc, 0, v27
	s_nop 1
	v_cndmask_b32_e32 v29, 1, v29, vcc
; %bb.162:
	s_or_b64 exec, exec, s[54:55]
	ds_write_b16 v26, v28
	ds_write_b8 v26, v29 offset:2
.LBB1384_163:
	s_or_b64 exec, exec, s[0:1]
	v_cmp_gt_u32_e32 vcc, 64, v0
	v_cmp_lt_u32_e64 s[0:1], 63, v0
	v_mov_b32_e32 v35, 0
	v_mov_b32_e32 v36, 0
	s_waitcnt lgkmcnt(0)
	s_barrier
	s_and_saveexec_b64 s[54:55], s[0:1]
	s_cbranch_execz .LBB1384_165
; %bb.164:
	v_lshl_add_u32 v24, v24, 2, -4
	ds_read_u16 v35, v24
	ds_read_u8 v36, v24 offset:2
	v_mov_b32_e32 v26, 0
	v_and_b32_e32 v27, 1, v23
	v_cmp_eq_u16_sdwa s[0:1], v23, v26 src0_sel:BYTE_0 src1_sel:DWORD
	s_waitcnt lgkmcnt(1)
	s_nop 0
	v_cndmask_b32_e64 v23, 0, v35, s[0:1]
	v_cmp_eq_u32_e64 s[0:1], 1, v27
	v_add_u16_e32 v22, v23, v22
	s_waitcnt lgkmcnt(0)
	v_cndmask_b32_e64 v23, v36, 1, s[0:1]
.LBB1384_165:
	s_or_b64 exec, exec, s[54:55]
	v_and_b32_e32 v23, 0xff, v23
	v_and_b32_e32 v22, 0xffff, v22
	v_lshl_or_b32 v22, v23, 16, v22
	v_add_u32_e32 v23, -1, v25
	v_and_b32_e32 v24, 64, v25
	v_cmp_lt_i32_e64 s[0:1], v23, v24
	v_cmp_eq_u32_e64 s[54:55], 0, v25
	s_nop 0
	v_cndmask_b32_e64 v23, v23, v25, s[0:1]
	v_lshlrev_b32_e32 v23, 2, v23
	ds_bpermute_b32 v37, v23, v22
	s_and_saveexec_b64 s[0:1], vcc
	s_cbranch_execz .LBB1384_208
; %bb.166:
	v_mov_b32_e32 v29, 0
	ds_read_b32 v22, v29 offset:12
	s_and_saveexec_b64 s[62:63], s[54:55]
	s_cbranch_execz .LBB1384_168
; %bb.167:
	s_add_i32 s64, s79, 64
	s_mov_b32 s65, 0
	s_lshl_b64 s[64:65], s[64:65], 3
	s_add_u32 s64, s76, s64
	v_mov_b32_e32 v23, 1
	s_addc_u32 s65, s77, s65
	s_waitcnt lgkmcnt(0)
	global_store_dwordx2 v29, v[22:23], s[64:65] sc1
.LBB1384_168:
	s_or_b64 exec, exec, s[62:63]
	v_xad_u32 v24, v25, -1, s79
	v_add_u32_e32 v28, 64, v24
	v_lshl_add_u64 v[30:31], v[28:29], 3, s[76:77]
	global_load_dwordx2 v[26:27], v[30:31], off sc1
	s_waitcnt vmcnt(0)
	v_cmp_eq_u16_sdwa s[64:65], v27, v29 src0_sel:BYTE_0 src1_sel:DWORD
	s_and_saveexec_b64 s[62:63], s[64:65]
	s_cbranch_execz .LBB1384_172
; %bb.169:
	s_mov_b64 s[64:65], 0
	v_mov_b32_e32 v23, 0
.LBB1384_170:                           ; =>This Inner Loop Header: Depth=1
	global_load_dwordx2 v[26:27], v[30:31], off sc1
	s_waitcnt vmcnt(0)
	v_cmp_ne_u16_sdwa s[68:69], v27, v23 src0_sel:BYTE_0 src1_sel:DWORD
	s_or_b64 s[64:65], s[68:69], s[64:65]
	s_andn2_b64 exec, exec, s[64:65]
	s_cbranch_execnz .LBB1384_170
; %bb.171:
	s_or_b64 exec, exec, s[64:65]
.LBB1384_172:
	s_or_b64 exec, exec, s[62:63]
	v_mov_b32_e32 v23, 2
	v_cmp_eq_u16_sdwa s[62:63], v27, v23 src0_sel:BYTE_0 src1_sel:DWORD
	v_lshlrev_b64 v[28:29], v25, -1
	v_and_b32_e32 v49, 0xffffff, v26
	v_and_b32_e32 v23, s63, v29
	v_or_b32_e32 v23, 0x80000000, v23
	v_ffbl_b32_e32 v23, v23
	v_add_u32_e32 v31, 32, v23
	v_and_b32_e32 v23, 63, v25
	v_cmp_ne_u32_e32 vcc, 63, v23
	v_and_b32_e32 v30, s62, v28
	v_ffbl_b32_e32 v30, v30
	v_addc_co_u32_e32 v38, vcc, 0, v25, vcc
	v_lshlrev_b32_e32 v38, 2, v38
	ds_bpermute_b32 v39, v38, v49
	v_min_u32_e32 v31, v30, v31
	v_lshrrev_b32_e32 v30, 16, v26
	v_cmp_lt_u32_e32 vcc, v23, v31
	v_bfe_u32 v47, v26, 16, 8
	s_and_saveexec_b64 s[62:63], vcc
	s_cbranch_execz .LBB1384_174
; %bb.173:
	v_and_b32_e32 v30, 0xff0000, v26
	v_cmp_eq_u32_e32 vcc, 0, v30
	v_and_b32_e32 v30, 0x10000, v30
	v_mov_b32_e32 v42, 1
	s_waitcnt lgkmcnt(0)
	v_cndmask_b32_e32 v40, 0, v39, vcc
	v_and_b32_sdwa v39, v39, v42 dst_sel:DWORD dst_unused:UNUSED_PAD src0_sel:WORD_1 src1_sel:DWORD
	v_cmp_ne_u32_e32 vcc, 0, v30
	v_add_u16_e32 v41, v40, v26
	v_add_u16_e32 v26, v40, v26
	v_cndmask_b32_e64 v30, v39, 1, vcc
	v_lshlrev_b32_e32 v39, 16, v30
	v_or_b32_e32 v49, v39, v26
	v_mov_b32_e32 v26, v41
	v_mov_b32_e32 v47, v30
.LBB1384_174:
	s_or_b64 exec, exec, s[62:63]
	v_cmp_gt_u32_e32 vcc, 62, v23
	v_add_u32_e32 v40, 2, v23
	s_waitcnt lgkmcnt(0)
	v_cndmask_b32_e64 v39, 0, 1, vcc
	v_lshlrev_b32_e32 v39, 1, v39
	v_add_lshl_u32 v39, v39, v25, 2
	ds_bpermute_b32 v41, v39, v49
	v_cmp_le_u32_e32 vcc, v40, v31
	s_and_saveexec_b64 s[62:63], vcc
	s_cbranch_execz .LBB1384_176
; %bb.175:
	v_cmp_eq_u16_e32 vcc, 0, v47
	v_and_b32_e32 v30, 1, v47
	v_mov_b32_e32 v44, 1
	s_waitcnt lgkmcnt(0)
	v_cndmask_b32_e32 v42, 0, v41, vcc
	v_and_b32_sdwa v41, v41, v44 dst_sel:DWORD dst_unused:UNUSED_PAD src0_sel:WORD_1 src1_sel:DWORD
	v_cmp_eq_u32_e32 vcc, 1, v30
	v_add_u16_e32 v43, v42, v26
	v_add_u16_e32 v26, v42, v26
	v_cndmask_b32_e64 v30, v41, 1, vcc
	v_lshlrev_b32_e32 v41, 16, v30
	v_or_b32_e32 v49, v41, v26
	v_mov_b32_e32 v26, v43
	v_mov_b32_e32 v47, v30
.LBB1384_176:
	s_or_b64 exec, exec, s[62:63]
	v_cmp_gt_u32_e32 vcc, 60, v23
	v_add_u32_e32 v42, 4, v23
	s_waitcnt lgkmcnt(0)
	v_cndmask_b32_e64 v41, 0, 1, vcc
	v_lshlrev_b32_e32 v41, 2, v41
	v_add_lshl_u32 v41, v41, v25, 2
	ds_bpermute_b32 v43, v41, v49
	v_cmp_le_u32_e32 vcc, v42, v31
	s_and_saveexec_b64 s[62:63], vcc
	s_cbranch_execz .LBB1384_178
; %bb.177:
	v_cmp_eq_u16_e32 vcc, 0, v47
	v_and_b32_e32 v30, 1, v47
	v_mov_b32_e32 v46, 1
	s_waitcnt lgkmcnt(0)
	v_cndmask_b32_e32 v44, 0, v43, vcc
	v_and_b32_sdwa v43, v43, v46 dst_sel:DWORD dst_unused:UNUSED_PAD src0_sel:WORD_1 src1_sel:DWORD
	v_cmp_eq_u32_e32 vcc, 1, v30
	v_add_u16_e32 v45, v44, v26
	v_add_u16_e32 v26, v44, v26
	v_cndmask_b32_e64 v30, v43, 1, vcc
	v_lshlrev_b32_e32 v43, 16, v30
	v_or_b32_e32 v49, v43, v26
	v_mov_b32_e32 v26, v45
	v_mov_b32_e32 v47, v30
.LBB1384_178:
	;; [unrolled: 27-line block ×4, first 2 shown]
	s_or_b64 exec, exec, s[62:63]
	v_cmp_gt_u32_e32 vcc, 32, v23
	s_waitcnt lgkmcnt(0)
	s_nop 0
	v_cndmask_b32_e64 v48, 0, 1, vcc
	v_lshlrev_b32_e32 v48, 5, v48
	v_add_lshl_u32 v48, v48, v25, 2
	ds_bpermute_b32 v25, v48, v49
	v_add_u32_e32 v49, 32, v23
	v_cmp_le_u32_e32 vcc, v49, v31
	s_and_saveexec_b64 s[62:63], vcc
	s_cbranch_execz .LBB1384_184
; %bb.183:
	v_cmp_eq_u16_e32 vcc, 0, v47
	v_mov_b32_e32 v31, 1
	s_waitcnt lgkmcnt(0)
	v_cndmask_b32_e32 v30, 0, v25, vcc
	v_add_u16_e32 v26, v30, v26
	v_and_b32_e32 v30, 1, v47
	v_and_b32_sdwa v25, v25, v31 dst_sel:DWORD dst_unused:UNUSED_PAD src0_sel:WORD_1 src1_sel:DWORD
	v_cmp_eq_u32_e32 vcc, 1, v30
	s_nop 1
	v_cndmask_b32_e64 v30, v25, 1, vcc
.LBB1384_184:
	s_or_b64 exec, exec, s[62:63]
	s_waitcnt lgkmcnt(0)
	v_mov_b32_e32 v25, 0
	v_mov_b32_e32 v53, 2
	;; [unrolled: 1-line block ×3, first 2 shown]
	s_branch .LBB1384_186
.LBB1384_185:                           ;   in Loop: Header=BB1384_186 Depth=1
	s_or_b64 exec, exec, s[62:63]
	v_cmp_eq_u16_sdwa vcc, v47, v25 src0_sel:BYTE_0 src1_sel:DWORD
	v_and_b32_e32 v30, 1, v47
	v_and_b32_e32 v31, 1, v31
	v_cndmask_b32_e32 v26, 0, v26, vcc
	v_cmp_eq_u32_e32 vcc, 1, v30
	v_subrev_u32_e32 v24, 64, v24
	v_add_u16_e32 v26, v26, v52
	v_cndmask_b32_e64 v30, v31, 1, vcc
.LBB1384_186:                           ; =>This Loop Header: Depth=1
                                        ;     Child Loop BB1384_189 Depth 2
	v_cmp_ne_u16_sdwa s[62:63], v27, v53 src0_sel:BYTE_0 src1_sel:DWORD
	v_mov_b32_e32 v47, v30
	v_mov_b32_e32 v52, v26
	v_cndmask_b32_e64 v27, 0, 1, s[62:63]
	;;#ASMSTART
	;;#ASMEND
	s_nop 0
	v_cmp_ne_u32_e32 vcc, 0, v27
	s_cmp_lg_u64 vcc, exec
	s_cbranch_scc1 .LBB1384_203
; %bb.187:                              ;   in Loop: Header=BB1384_186 Depth=1
	v_lshl_add_u64 v[30:31], v[24:25], 3, s[76:77]
	global_load_dwordx2 v[26:27], v[30:31], off sc1
	s_waitcnt vmcnt(0)
	v_cmp_eq_u16_sdwa s[64:65], v27, v25 src0_sel:BYTE_0 src1_sel:DWORD
	s_and_saveexec_b64 s[62:63], s[64:65]
	s_cbranch_execz .LBB1384_191
; %bb.188:                              ;   in Loop: Header=BB1384_186 Depth=1
	s_mov_b64 s[64:65], 0
.LBB1384_189:                           ;   Parent Loop BB1384_186 Depth=1
                                        ; =>  This Inner Loop Header: Depth=2
	global_load_dwordx2 v[26:27], v[30:31], off sc1
	s_waitcnt vmcnt(0)
	v_cmp_ne_u16_sdwa s[68:69], v27, v25 src0_sel:BYTE_0 src1_sel:DWORD
	s_or_b64 s[64:65], s[68:69], s[64:65]
	s_andn2_b64 exec, exec, s[64:65]
	s_cbranch_execnz .LBB1384_189
; %bb.190:                              ;   in Loop: Header=BB1384_186 Depth=1
	s_or_b64 exec, exec, s[64:65]
.LBB1384_191:                           ;   in Loop: Header=BB1384_186 Depth=1
	s_or_b64 exec, exec, s[62:63]
	v_cmp_eq_u16_sdwa s[62:63], v27, v53 src0_sel:BYTE_0 src1_sel:DWORD
	s_waitcnt lgkmcnt(0)
	v_and_b32_e32 v56, 0xffffff, v26
	ds_bpermute_b32 v57, v38, v56
	v_and_b32_e32 v30, s63, v29
	v_or_b32_e32 v30, 0x80000000, v30
	v_and_b32_e32 v31, s62, v28
	v_ffbl_b32_e32 v30, v30
	v_add_u32_e32 v30, 32, v30
	v_ffbl_b32_e32 v31, v31
	v_min_u32_e32 v30, v31, v30
	v_lshrrev_b32_e32 v31, 16, v26
	v_cmp_lt_u32_e32 vcc, v23, v30
	v_bfe_u32 v55, v26, 16, 8
	s_and_saveexec_b64 s[62:63], vcc
	s_cbranch_execz .LBB1384_193
; %bb.192:                              ;   in Loop: Header=BB1384_186 Depth=1
	v_and_b32_e32 v31, 0xff0000, v26
	v_cmp_eq_u32_e32 vcc, 0, v31
	v_and_b32_e32 v31, 0x10000, v31
	s_waitcnt lgkmcnt(0)
	v_and_b32_sdwa v56, v57, v54 dst_sel:DWORD dst_unused:UNUSED_PAD src0_sel:WORD_1 src1_sel:DWORD
	v_cndmask_b32_e32 v55, 0, v57, vcc
	v_cmp_ne_u32_e32 vcc, 0, v31
	v_add_u16_e32 v58, v55, v26
	v_add_u16_e32 v26, v55, v26
	v_cndmask_b32_e64 v31, v56, 1, vcc
	v_lshlrev_b32_e32 v56, 16, v31
	v_or_b32_e32 v56, v56, v26
	v_mov_b32_e32 v26, v58
	v_mov_b32_e32 v55, v31
.LBB1384_193:                           ;   in Loop: Header=BB1384_186 Depth=1
	s_or_b64 exec, exec, s[62:63]
	s_waitcnt lgkmcnt(0)
	ds_bpermute_b32 v57, v39, v56
	v_cmp_le_u32_e32 vcc, v40, v30
	s_and_saveexec_b64 s[62:63], vcc
	s_cbranch_execz .LBB1384_195
; %bb.194:                              ;   in Loop: Header=BB1384_186 Depth=1
	v_cmp_eq_u16_e32 vcc, 0, v55
	v_and_b32_e32 v31, 1, v55
	s_waitcnt lgkmcnt(0)
	v_and_b32_sdwa v55, v57, v54 dst_sel:DWORD dst_unused:UNUSED_PAD src0_sel:WORD_1 src1_sel:DWORD
	v_cndmask_b32_e32 v56, 0, v57, vcc
	v_cmp_eq_u32_e32 vcc, 1, v31
	v_add_u16_e32 v58, v56, v26
	v_add_u16_e32 v26, v56, v26
	v_cndmask_b32_e64 v31, v55, 1, vcc
	v_lshlrev_b32_e32 v55, 16, v31
	v_or_b32_e32 v56, v55, v26
	v_mov_b32_e32 v26, v58
	v_mov_b32_e32 v55, v31
.LBB1384_195:                           ;   in Loop: Header=BB1384_186 Depth=1
	s_or_b64 exec, exec, s[62:63]
	s_waitcnt lgkmcnt(0)
	ds_bpermute_b32 v57, v41, v56
	v_cmp_le_u32_e32 vcc, v42, v30
	s_and_saveexec_b64 s[62:63], vcc
	s_cbranch_execz .LBB1384_197
; %bb.196:                              ;   in Loop: Header=BB1384_186 Depth=1
	v_cmp_eq_u16_e32 vcc, 0, v55
	v_and_b32_e32 v31, 1, v55
	s_waitcnt lgkmcnt(0)
	v_and_b32_sdwa v55, v57, v54 dst_sel:DWORD dst_unused:UNUSED_PAD src0_sel:WORD_1 src1_sel:DWORD
	v_cndmask_b32_e32 v56, 0, v57, vcc
	v_cmp_eq_u32_e32 vcc, 1, v31
	v_add_u16_e32 v58, v56, v26
	v_add_u16_e32 v26, v56, v26
	v_cndmask_b32_e64 v31, v55, 1, vcc
	v_lshlrev_b32_e32 v55, 16, v31
	v_or_b32_e32 v56, v55, v26
	v_mov_b32_e32 v26, v58
	v_mov_b32_e32 v55, v31
.LBB1384_197:                           ;   in Loop: Header=BB1384_186 Depth=1
	;; [unrolled: 21-line block ×4, first 2 shown]
	s_or_b64 exec, exec, s[62:63]
	ds_bpermute_b32 v56, v48, v56
	v_cmp_le_u32_e32 vcc, v49, v30
	s_and_saveexec_b64 s[62:63], vcc
	s_cbranch_execz .LBB1384_185
; %bb.202:                              ;   in Loop: Header=BB1384_186 Depth=1
	v_cmp_eq_u16_e32 vcc, 0, v55
	s_waitcnt lgkmcnt(0)
	v_lshrrev_b32_e32 v31, 16, v56
	v_cndmask_b32_e32 v30, 0, v56, vcc
	v_add_u16_e32 v26, v30, v26
	v_and_b32_e32 v30, 1, v55
	v_cmp_eq_u32_e32 vcc, 1, v30
	s_nop 1
	v_cndmask_b32_e64 v31, v31, 1, vcc
	s_branch .LBB1384_185
.LBB1384_203:                           ;   in Loop: Header=BB1384_186 Depth=1
                                        ; implicit-def: $vgpr30
                                        ; implicit-def: $vgpr26
	s_cbranch_execz .LBB1384_186
; %bb.204:
	s_and_saveexec_b64 s[62:63], s[54:55]
	s_cbranch_execz .LBB1384_206
; %bb.205:
	v_and_b32_e32 v23, 0xff0000, v22
	s_mov_b32 s65, 0
	v_cmp_eq_u32_e32 vcc, 0, v23
	v_and_b32_e32 v24, 0x10000, v22
	v_mov_b32_e32 v25, 1
	s_add_i32 s64, s79, 64
	v_cndmask_b32_e32 v23, 0, v52, vcc
	v_and_b32_sdwa v25, v47, v25 dst_sel:WORD_1 dst_unused:UNUSED_PAD src0_sel:DWORD src1_sel:DWORD
	v_mov_b32_e32 v26, 0x10000
	v_cmp_eq_u32_e32 vcc, 0, v24
	s_lshl_b64 s[64:65], s[64:65], 3
	s_add_u32 s64, s76, s64
	v_cndmask_b32_e32 v24, v26, v25, vcc
	v_add_u16_e32 v22, v23, v22
	s_addc_u32 s65, s77, s65
	v_mov_b32_e32 v25, 0
	v_or_b32_e32 v22, v24, v22
	v_mov_b32_e32 v23, 2
	global_store_dwordx2 v25, v[22:23], s[64:65] sc1
.LBB1384_206:
	s_or_b64 exec, exec, s[62:63]
	s_and_b64 exec, exec, s[56:57]
	s_cbranch_execz .LBB1384_208
; %bb.207:
	v_mov_b32_e32 v22, 0
	ds_write_b16 v22, v52 offset:12
	ds_write_b8 v22, v47 offset:14
.LBB1384_208:
	s_or_b64 exec, exec, s[0:1]
	s_waitcnt lgkmcnt(0)
	v_lshrrev_b32_e32 v22, 16, v37
	v_mov_b32_e32 v24, 0
	s_mov_b32 s0, 0x10000
	v_cndmask_b32_e64 v22, v22, v36, s[54:55]
	v_cndmask_b32_e64 v23, v37, v35, s[54:55]
	s_barrier
	ds_read_b32 v25, v24 offset:12
	v_cmp_gt_u32_e32 vcc, s0, v1
	v_and_b32_e32 v26, 0x10000, v1
	v_and_b32_e32 v22, 1, v22
	v_cndmask_b32_e32 v23, 0, v23, vcc
	v_cmp_ne_u32_e32 vcc, 0, v26
	v_cndmask_b32_e64 v23, v23, 0, s[56:57]
	v_add_u16_e32 v23, v23, v1
	v_cndmask_b32_e64 v22, v22, 1, vcc
	v_cndmask_b32_e64 v22, v22, v34, s[56:57]
	v_cmp_eq_u16_sdwa vcc, v22, v24 src0_sel:BYTE_0 src1_sel:DWORD
	s_waitcnt lgkmcnt(0)
	s_nop 0
	v_cndmask_b32_e32 v22, 0, v25, vcc
	v_add_u16_e32 v47, v23, v22
	v_cndmask_b32_e64 v22, 0, v47, s[6:7]
	v_add_u16_e32 v22, v22, v50
	v_cndmask_b32_e64 v23, 0, v22, s[8:9]
	;; [unrolled: 2-line block ×23, first 2 shown]
	v_add_u16_e32 v46, v46, v32
	s_branch .LBB1384_239
.LBB1384_209:
                                        ; implicit-def: $vgpr47
                                        ; implicit-def: $vgpr22
                                        ; implicit-def: $vgpr23
                                        ; implicit-def: $vgpr24
                                        ; implicit-def: $vgpr25
                                        ; implicit-def: $vgpr26
                                        ; implicit-def: $vgpr27
                                        ; implicit-def: $vgpr29
                                        ; implicit-def: $vgpr28
                                        ; implicit-def: $vgpr30
                                        ; implicit-def: $vgpr31
                                        ; implicit-def: $vgpr34
                                        ; implicit-def: $vgpr35
                                        ; implicit-def: $vgpr36
                                        ; implicit-def: $vgpr37
                                        ; implicit-def: $vgpr39
                                        ; implicit-def: $vgpr38
                                        ; implicit-def: $vgpr40
                                        ; implicit-def: $vgpr41
                                        ; implicit-def: $vgpr42
                                        ; implicit-def: $vgpr43
                                        ; implicit-def: $vgpr44
                                        ; implicit-def: $vgpr45
                                        ; implicit-def: $vgpr46
	s_cbranch_execz .LBB1384_239
; %bb.210:
	s_cmp_lg_u64 s[80:81], 0
	s_cselect_b32 s7, s71, 0
	s_cselect_b32 s6, s70, 0
	s_cmp_lg_u64 s[6:7], 0
	s_cselect_b64 s[0:1], -1, 0
	s_and_b64 s[8:9], s[56:57], s[0:1]
	s_and_saveexec_b64 s[0:1], s[8:9]
	s_cbranch_execz .LBB1384_212
; %bb.211:
	v_mov_b32_e32 v22, 0
	global_load_ushort v23, v22, s[6:7]
	global_load_ubyte v24, v22, s[6:7] offset:2
	s_mov_b32 s6, 0x10000
	v_and_b32_e32 v22, 0x10000, v1
	v_mov_b32_e32 v25, 1
	v_cmp_gt_u32_e32 vcc, s6, v1
	v_mov_b32_e32 v26, 0x10000
	s_waitcnt vmcnt(0)
	v_and_b32_sdwa v24, v24, v25 dst_sel:WORD_1 dst_unused:UNUSED_PAD src0_sel:DWORD src1_sel:DWORD
	v_cndmask_b32_e32 v23, 0, v23, vcc
	v_cmp_eq_u32_e32 vcc, 0, v22
	v_add_u16_e32 v1, v23, v1
	s_nop 0
	v_cndmask_b32_e32 v22, v26, v24, vcc
	v_or_b32_e32 v1, v22, v1
.LBB1384_212:
	s_or_b64 exec, exec, s[0:1]
	s_mov_b32 s0, 0x10000
	v_cmp_gt_u32_e32 vcc, s0, v50
	v_cmp_gt_u32_e64 s[6:7], s0, v51
	v_cmp_gt_u32_e64 s[8:9], s0, v18
	v_cndmask_b32_e32 v22, 0, v1, vcc
	v_add_u16_e32 v22, v22, v50
	v_cndmask_b32_e64 v23, 0, v22, s[6:7]
	v_add_u16_e32 v23, v23, v51
	v_cndmask_b32_e64 v24, 0, v23, s[8:9]
	v_add_u16_e32 v24, v24, v18
	v_cmp_gt_u32_e64 s[10:11], s0, v19
	v_cmp_gt_u32_e64 s[12:13], s0, v20
	v_bfe_u32 v28, v19, 16, 1
	v_cndmask_b32_e64 v25, 0, v24, s[10:11]
	v_add_u16_e32 v25, v25, v19
	v_mov_b32_e32 v52, 1
	v_cndmask_b32_e64 v26, 0, v25, s[12:13]
	v_lshlrev_b16_e32 v28, 1, v28
	v_and_b32_sdwa v29, v18, v52 dst_sel:DWORD dst_unused:UNUSED_PAD src0_sel:WORD_1 src1_sel:DWORD
	v_add_u16_e32 v26, v26, v20
	v_cmp_gt_u32_e64 s[14:15], s0, v21
	v_or_b32_e32 v28, v29, v28
	v_bfe_u32 v29, v21, 16, 1
	v_and_b32_sdwa v30, v20, v52 dst_sel:DWORD dst_unused:UNUSED_PAD src0_sel:WORD_1 src1_sel:DWORD
	v_cndmask_b32_e64 v27, 0, v26, s[14:15]
	v_lshlrev_b16_e32 v29, 3, v29
	v_lshlrev_b16_e32 v30, 2, v30
	v_add_u16_e32 v27, v27, v21
	v_or_b32_e32 v29, v29, v30
	v_cmp_gt_u32_e64 s[16:17], s0, v2
	v_or_b32_e32 v46, v28, v29
	v_cmp_gt_u32_e64 s[18:19], s0, v3
	v_cndmask_b32_e64 v28, 0, v27, s[16:17]
	v_add_u16_e32 v29, v28, v2
	v_cndmask_b32_e64 v28, 0, v29, s[18:19]
	v_bfe_u32 v48, v11, 16, 1
	v_add_u16_e32 v28, v28, v3
	v_cmp_gt_u32_e64 s[20:21], s0, v4
	v_lshlrev_b16_e32 v48, 1, v48
	v_and_b32_sdwa v49, v10, v52 dst_sel:DWORD dst_unused:UNUSED_PAD src0_sel:WORD_1 src1_sel:DWORD
	v_cndmask_b32_e64 v30, 0, v28, s[20:21]
	v_or_b32_e32 v48, v49, v48
	v_bfe_u32 v49, v13, 16, 1
	v_and_b32_sdwa v53, v12, v52 dst_sel:DWORD dst_unused:UNUSED_PAD src0_sel:WORD_1 src1_sel:DWORD
	v_add_u16_e32 v30, v30, v4
	v_cmp_gt_u32_e64 s[22:23], s0, v5
	v_lshlrev_b16_e32 v49, 3, v49
	v_lshlrev_b16_e32 v53, 2, v53
	v_cndmask_b32_e64 v31, 0, v30, s[22:23]
	v_or_b32_e32 v49, v49, v53
	v_add_u16_e32 v31, v31, v5
	v_cmp_gt_u32_e64 s[24:25], s0, v6
	v_or_b32_sdwa v48, v48, v49 dst_sel:BYTE_1 dst_unused:UNUSED_PAD src0_sel:DWORD src1_sel:DWORD
	v_bfe_u32 v49, v15, 16, 1
	v_cndmask_b32_e64 v34, 0, v31, s[24:25]
	v_lshlrev_b16_e32 v49, 1, v49
	v_and_b32_sdwa v53, v14, v52 dst_sel:DWORD dst_unused:UNUSED_PAD src0_sel:WORD_1 src1_sel:DWORD
	v_add_u16_e32 v34, v34, v6
	v_cmp_gt_u32_e64 s[26:27], s0, v7
	v_or_b32_e32 v49, v53, v49
	v_bfe_u32 v53, v17, 16, 1
	v_and_b32_sdwa v54, v16, v52 dst_sel:DWORD dst_unused:UNUSED_PAD src0_sel:WORD_1 src1_sel:DWORD
	v_cndmask_b32_e64 v35, 0, v34, s[26:27]
	v_lshlrev_b16_e32 v53, 3, v53
	v_lshlrev_b16_e32 v54, 2, v54
	v_add_u16_e32 v35, v35, v7
	v_cmp_gt_u32_e64 s[28:29], s0, v8
	v_or_b32_e32 v53, v53, v54
	v_or_b32_e32 v49, v49, v53
	v_cndmask_b32_e64 v36, 0, v35, s[28:29]
	v_add_u16_e32 v36, v36, v8
	v_cmp_gt_u32_e64 s[30:31], s0, v9
	v_lshlrev_b16_e32 v49, 12, v49
	v_or_b32_e32 v48, v49, v48
	v_cndmask_b32_e64 v37, 0, v36, s[30:31]
	v_bfe_u32 v49, v3, 16, 1
	v_add_u16_e32 v37, v37, v9
	v_cmp_gt_u32_e64 s[34:35], s0, v10
	v_lshlrev_b16_e32 v49, 1, v49
	v_and_b32_sdwa v53, v2, v52 dst_sel:DWORD dst_unused:UNUSED_PAD src0_sel:WORD_1 src1_sel:DWORD
	v_cndmask_b32_e64 v38, 0, v37, s[34:35]
	v_or_b32_e32 v49, v53, v49
	v_bfe_u32 v53, v5, 16, 1
	v_and_b32_sdwa v54, v4, v52 dst_sel:DWORD dst_unused:UNUSED_PAD src0_sel:WORD_1 src1_sel:DWORD
	v_add_u16_e32 v39, v38, v10
	v_cmp_gt_u32_e64 s[36:37], s0, v11
	v_lshlrev_b16_e32 v53, 3, v53
	v_lshlrev_b16_e32 v54, 2, v54
	v_cndmask_b32_e64 v38, 0, v39, s[36:37]
	v_or_b32_e32 v53, v53, v54
	v_add_u16_e32 v38, v38, v11
	v_cmp_gt_u32_e64 s[38:39], s0, v12
	v_or_b32_e32 v49, v49, v53
	v_bfe_u32 v53, v7, 16, 1
	v_cndmask_b32_e64 v40, 0, v38, s[38:39]
	v_lshlrev_b16_e32 v53, 1, v53
	v_and_b32_sdwa v54, v6, v52 dst_sel:DWORD dst_unused:UNUSED_PAD src0_sel:WORD_1 src1_sel:DWORD
	v_add_u16_e32 v40, v40, v12
	v_cmp_gt_u32_e64 s[40:41], s0, v13
	v_or_b32_e32 v53, v54, v53
	v_bfe_u32 v54, v9, 16, 1
	v_and_b32_sdwa v55, v8, v52 dst_sel:DWORD dst_unused:UNUSED_PAD src0_sel:WORD_1 src1_sel:DWORD
	v_cndmask_b32_e64 v41, 0, v40, s[40:41]
	v_lshlrev_b16_e32 v54, 3, v54
	v_lshlrev_b16_e32 v55, 2, v55
	v_add_u16_e32 v41, v41, v13
	v_cmp_gt_u32_e64 s[42:43], s0, v14
	v_or_b32_e32 v54, v54, v55
	v_or_b32_e32 v53, v53, v54
	v_cndmask_b32_e64 v42, 0, v41, s[42:43]
	v_add_u16_e32 v42, v42, v14
	v_cmp_gt_u32_e64 s[44:45], s0, v15
	v_lshlrev_b16_e32 v53, 4, v53
	v_or_b32_e32 v49, v49, v53
	v_cndmask_b32_e64 v43, 0, v42, s[44:45]
	v_add_u16_e32 v43, v43, v15
	v_cmp_gt_u32_e64 s[46:47], s0, v16
	v_or_b32_sdwa v49, v49, v48 dst_sel:DWORD dst_unused:UNUSED_PAD src0_sel:BYTE_0 src1_sel:DWORD
	v_or_b32_e32 v46, v49, v46
	v_cndmask_b32_e64 v44, 0, v43, s[46:47]
	v_add_u16_e32 v44, v44, v16
	v_cmp_gt_u32_e64 s[48:49], s0, v17
	v_cmp_gt_u32_e64 s[50:51], s0, v32
	v_cmp_ne_u16_e64 s[0:1], 0, v46
	v_or3_b32 v46, v51, v50, v32
	v_cndmask_b32_e64 v45, 0, v44, s[48:49]
	v_and_b32_e32 v46, 0x10000, v46
	v_add_u16_e32 v45, v45, v17
	v_cmp_ne_u32_e64 s[52:53], 0, v46
	v_lshrrev_b32_e32 v47, 16, v1
	v_cndmask_b32_e64 v53, 0, v45, s[50:51]
	s_or_b64 s[0:1], s[52:53], s[0:1]
	v_cndmask_b32_e64 v49, v47, 1, s[0:1]
	v_mbcnt_hi_u32_b32 v33, -1, v33
	v_add_u16_e32 v46, v53, v32
	v_add_u16_e32 v48, v53, v32
	v_and_b32_e32 v54, 15, v33
	v_lshl_or_b32 v53, v49, 16, v46
	v_cmp_ne_u32_e64 s[0:1], 0, v54
	s_nop 0
	v_mov_b32_dpp v55, v53 row_shr:1 row_mask:0xf bank_mask:0xf
	s_and_saveexec_b64 s[52:53], s[0:1]
; %bb.213:
	v_cmp_eq_u32_e64 s[0:1], 0, v49
	v_and_b32_e32 v49, 1, v49
	v_and_b32_sdwa v52, v55, v52 dst_sel:DWORD dst_unused:UNUSED_PAD src0_sel:WORD_1 src1_sel:DWORD
	v_cndmask_b32_e64 v53, 0, v55, s[0:1]
	v_cmp_eq_u32_e64 s[0:1], 1, v49
	v_add_u16_e32 v56, v48, v53
	v_add_u16_e32 v48, v48, v53
	v_cndmask_b32_e64 v49, v52, 1, s[0:1]
	v_lshlrev_b32_e32 v52, 16, v49
	v_or_b32_e32 v53, v52, v48
	v_mov_b32_e32 v48, v56
; %bb.214:
	s_or_b64 exec, exec, s[52:53]
	v_lshrrev_b32_e32 v52, 16, v53
	v_mov_b32_dpp v55, v53 row_shr:2 row_mask:0xf bank_mask:0xf
	v_cmp_lt_u32_e64 s[0:1], 1, v54
	s_and_saveexec_b64 s[52:53], s[0:1]
	s_cbranch_execz .LBB1384_216
; %bb.215:
	s_mov_b32 s0, 0x10000
	v_cmp_gt_u32_e64 s[0:1], s0, v53
	v_and_b32_e32 v49, 0x10000, v53
	v_mov_b32_e32 v53, 1
	v_cndmask_b32_e64 v52, 0, v55, s[0:1]
	v_and_b32_sdwa v53, v55, v53 dst_sel:DWORD dst_unused:UNUSED_PAD src0_sel:WORD_1 src1_sel:DWORD
	v_cmp_ne_u32_e64 s[0:1], 0, v49
	v_add_u16_e32 v56, v52, v48
	v_add_u16_e32 v48, v52, v48
	v_cndmask_b32_e64 v49, v53, 1, s[0:1]
	v_lshlrev_b32_e32 v53, 16, v49
	v_or_b32_e32 v53, v53, v48
	v_mov_b32_e32 v52, v49
	v_mov_b32_e32 v48, v56
.LBB1384_216:
	s_or_b64 exec, exec, s[52:53]
	v_mov_b32_dpp v55, v53 row_shr:4 row_mask:0xf bank_mask:0xf
	v_cmp_lt_u32_e64 s[0:1], 3, v54
	s_and_saveexec_b64 s[52:53], s[0:1]
	s_cbranch_execz .LBB1384_218
; %bb.217:
	v_mov_b32_e32 v49, 0
	v_cmp_eq_u16_sdwa s[0:1], v52, v49 src0_sel:BYTE_0 src1_sel:DWORD
	v_and_b32_e32 v49, 1, v52
	v_mov_b32_e32 v52, 1
	v_cndmask_b32_e64 v53, 0, v55, s[0:1]
	v_and_b32_sdwa v52, v55, v52 dst_sel:DWORD dst_unused:UNUSED_PAD src0_sel:WORD_1 src1_sel:DWORD
	v_cmp_eq_u32_e64 s[0:1], 1, v49
	v_add_u16_e32 v56, v53, v48
	v_add_u16_e32 v48, v53, v48
	v_cndmask_b32_e64 v49, v52, 1, s[0:1]
	v_lshlrev_b32_e32 v52, 16, v49
	v_or_b32_e32 v53, v52, v48
	v_mov_b32_e32 v52, v49
	v_mov_b32_e32 v48, v56
.LBB1384_218:
	s_or_b64 exec, exec, s[52:53]
	v_mov_b32_dpp v55, v53 row_shr:8 row_mask:0xf bank_mask:0xf
	v_cmp_lt_u32_e64 s[0:1], 7, v54
	s_and_saveexec_b64 s[52:53], s[0:1]
	s_cbranch_execz .LBB1384_220
; %bb.219:
	v_mov_b32_e32 v49, 0
	v_cmp_eq_u16_sdwa s[0:1], v52, v49 src0_sel:BYTE_0 src1_sel:DWORD
	v_and_b32_e32 v49, 1, v52
	v_mov_b32_e32 v52, 1
	v_cndmask_b32_e64 v53, 0, v55, s[0:1]
	v_and_b32_sdwa v52, v55, v52 dst_sel:DWORD dst_unused:UNUSED_PAD src0_sel:WORD_1 src1_sel:DWORD
	v_cmp_eq_u32_e64 s[0:1], 1, v49
	v_add_u16_e32 v54, v53, v48
	v_add_u16_e32 v48, v53, v48
	v_cndmask_b32_e64 v49, v52, 1, s[0:1]
	v_lshlrev_b32_e32 v52, 16, v49
	v_or_b32_e32 v53, v52, v48
	v_mov_b32_e32 v52, v49
	v_mov_b32_e32 v48, v54
.LBB1384_220:
	s_or_b64 exec, exec, s[52:53]
	v_and_b32_e32 v55, 16, v33
	v_mov_b32_dpp v54, v53 row_bcast:15 row_mask:0xf bank_mask:0xf
	v_cmp_ne_u32_e64 s[0:1], 0, v55
	s_and_saveexec_b64 s[52:53], s[0:1]
	s_cbranch_execz .LBB1384_222
; %bb.221:
	v_mov_b32_e32 v49, 0
	v_cmp_eq_u16_sdwa s[0:1], v52, v49 src0_sel:BYTE_0 src1_sel:DWORD
	v_and_b32_e32 v49, 1, v52
	v_mov_b32_e32 v52, 1
	v_cndmask_b32_e64 v53, 0, v54, s[0:1]
	v_and_b32_sdwa v52, v54, v52 dst_sel:DWORD dst_unused:UNUSED_PAD src0_sel:WORD_1 src1_sel:DWORD
	v_cmp_eq_u32_e64 s[0:1], 1, v49
	v_add_u16_e32 v55, v53, v48
	v_add_u16_e32 v48, v53, v48
	v_cndmask_b32_e64 v49, v52, 1, s[0:1]
	v_lshlrev_b32_e32 v52, 16, v49
	v_or_b32_e32 v53, v52, v48
	v_mov_b32_e32 v48, v55
	v_mov_b32_e32 v52, v49
.LBB1384_222:
	s_or_b64 exec, exec, s[52:53]
	v_mov_b32_dpp v53, v53 row_bcast:31 row_mask:0xf bank_mask:0xf
	v_cmp_lt_u32_e64 s[0:1], 31, v33
	s_and_saveexec_b64 s[52:53], s[0:1]
; %bb.223:
	v_mov_b32_e32 v49, 0
	v_cmp_eq_u16_sdwa s[0:1], v52, v49 src0_sel:BYTE_0 src1_sel:DWORD
	s_nop 1
	v_cndmask_b32_e64 v49, 0, v53, s[0:1]
	v_add_u16_e32 v48, v49, v48
	v_and_b32_e32 v49, 1, v52
	v_mov_b32_e32 v52, 1
	v_and_b32_sdwa v52, v53, v52 dst_sel:DWORD dst_unused:UNUSED_PAD src0_sel:WORD_1 src1_sel:DWORD
	v_cmp_eq_u32_e64 s[0:1], 1, v49
	s_nop 1
	v_cndmask_b32_e64 v49, v52, 1, s[0:1]
; %bb.224:
	s_or_b64 exec, exec, s[52:53]
	v_or_b32_e32 v53, 63, v0
	v_lshrrev_b32_e32 v52, 6, v0
	v_cmp_eq_u32_e64 s[0:1], v53, v0
	s_and_saveexec_b64 s[52:53], s[0:1]
	s_cbranch_execz .LBB1384_226
; %bb.225:
	v_lshlrev_b32_e32 v53, 2, v52
	ds_write_b16 v53, v48
	ds_write_b8 v53, v49 offset:2
.LBB1384_226:
	s_or_b64 exec, exec, s[52:53]
	v_cmp_gt_u32_e64 s[0:1], 4, v0
	s_waitcnt lgkmcnt(0)
	s_barrier
	s_and_saveexec_b64 s[52:53], s[0:1]
	s_cbranch_execz .LBB1384_232
; %bb.227:
	v_lshlrev_b32_e32 v53, 2, v0
	ds_read_b32 v54, v53
	v_and_b32_e32 v57, 3, v33
	v_cmp_ne_u32_e64 s[0:1], 0, v57
	s_waitcnt lgkmcnt(0)
	v_lshrrev_b32_e32 v56, 16, v54
	v_mov_b32_dpp v58, v54 row_shr:1 row_mask:0xf bank_mask:0xf
	v_mov_b32_e32 v55, v54
	s_and_saveexec_b64 s[54:55], s[0:1]
	s_cbranch_execz .LBB1384_229
; %bb.228:
	v_mov_b32_e32 v55, 0
	v_cmp_eq_u16_sdwa s[0:1], v56, v55 src0_sel:BYTE_0 src1_sel:DWORD
	v_and_b32_e32 v56, 0x10000, v54
	v_mov_b32_e32 v61, 1
	v_cndmask_b32_e64 v60, 0, v58, s[0:1]
	v_and_b32_sdwa v58, v58, v61 dst_sel:DWORD dst_unused:UNUSED_PAD src0_sel:WORD_1 src1_sel:DWORD
	v_cmp_ne_u32_e64 s[0:1], 0, v56
	v_and_b32_e32 v59, 0xff000000, v54
	v_add_u16_e32 v55, v60, v54
	v_cndmask_b32_e64 v56, v58, 1, s[0:1]
	v_lshlrev_b32_e32 v58, 16, v56
	v_add_u16_e32 v54, v60, v54
	v_or3_b32 v54, v58, v59, v54
.LBB1384_229:
	s_or_b64 exec, exec, s[54:55]
	s_nop 0
	v_mov_b32_dpp v58, v54 row_shr:2 row_mask:0xf bank_mask:0xf
	v_cmp_lt_u32_e64 s[0:1], 1, v57
	s_and_saveexec_b64 s[54:55], s[0:1]
; %bb.230:
	v_and_b32_e32 v56, 0xff0000, v54
	v_cmp_eq_u32_e64 s[0:1], 0, v56
	v_and_b32_e32 v54, 0x10000, v54
	s_nop 0
	v_cndmask_b32_e64 v56, 0, v58, s[0:1]
	v_add_u16_e32 v55, v56, v55
	v_mov_b32_e32 v56, 1
	v_and_b32_sdwa v56, v58, v56 dst_sel:DWORD dst_unused:UNUSED_PAD src0_sel:WORD_1 src1_sel:DWORD
	v_cmp_eq_u32_e64 s[0:1], 0, v54
	s_nop 1
	v_cndmask_b32_e64 v56, 1, v56, s[0:1]
; %bb.231:
	s_or_b64 exec, exec, s[54:55]
	ds_write_b16 v53, v55
	ds_write_b8 v53, v56 offset:2
.LBB1384_232:
	s_or_b64 exec, exec, s[52:53]
	v_cmp_lt_u32_e64 s[0:1], 63, v0
	v_mov_b32_e32 v53, 0
	s_waitcnt lgkmcnt(0)
	s_barrier
	s_and_saveexec_b64 s[52:53], s[0:1]
	s_cbranch_execz .LBB1384_234
; %bb.233:
	v_lshl_add_u32 v52, v52, 2, -4
	ds_read_u16 v53, v52
	ds_read_u8 v52, v52 offset:2
	v_mov_b32_e32 v54, 0
	v_and_b32_e32 v55, 1, v49
	v_cmp_eq_u16_sdwa s[0:1], v49, v54 src0_sel:BYTE_0 src1_sel:DWORD
	s_waitcnt lgkmcnt(1)
	s_nop 0
	v_cndmask_b32_e64 v49, 0, v53, s[0:1]
	v_cmp_eq_u32_e64 s[0:1], 1, v55
	v_add_u16_e32 v48, v49, v48
	s_waitcnt lgkmcnt(0)
	v_cndmask_b32_e64 v49, v52, 1, s[0:1]
.LBB1384_234:
	s_or_b64 exec, exec, s[52:53]
	v_and_b32_e32 v49, 0xff, v49
	v_and_b32_e32 v48, 0xffff, v48
	v_lshl_or_b32 v48, v49, 16, v48
	v_add_u32_e32 v49, -1, v33
	v_and_b32_e32 v52, 64, v33
	v_cmp_lt_i32_e64 s[0:1], v49, v52
	s_nop 1
	v_cndmask_b32_e64 v49, v49, v33, s[0:1]
	v_lshlrev_b32_e32 v49, 2, v49
	ds_bpermute_b32 v48, v49, v48
	s_and_saveexec_b64 s[52:53], s[4:5]
	s_cbranch_execz .LBB1384_236
; %bb.235:
	v_cmp_eq_u32_e64 s[0:1], 0, v33
	v_and_b32_e32 v23, 0xff0000, v1
	v_mov_b32_e32 v47, 0
	s_waitcnt lgkmcnt(0)
	v_cndmask_b32_e64 v22, v48, v53, s[0:1]
	v_and_b32_e32 v22, 0xffff, v22
	v_cmp_eq_u32_e64 s[0:1], 0, v23
	;;#ASMSTART
	;;#ASMEND
	s_nop 1
	v_cndmask_b32_e64 v22, 0, v22, s[0:1]
	v_add_u32_e32 v1, v22, v1
	v_cndmask_b32_e32 v22, 0, v1, vcc
	v_add_u16_e32 v22, v22, v50
	v_cndmask_b32_e64 v23, 0, v22, s[6:7]
	v_add_u16_e32 v23, v23, v51
	v_cndmask_b32_e64 v24, 0, v23, s[8:9]
	;; [unrolled: 2-line block ×22, first 2 shown]
	v_add_u16_e32 v46, v2, v32
.LBB1384_236:
	s_or_b64 exec, exec, s[52:53]
	s_and_saveexec_b64 s[0:1], s[56:57]
	s_cbranch_execz .LBB1384_238
; %bb.237:
	v_mov_b32_e32 v4, 0
	ds_read_u8 v2, v4 offset:14
	ds_read_u16 v3, v4 offset:12
	s_waitcnt lgkmcnt(1)
	v_lshlrev_b32_e32 v2, 16, v2
	s_waitcnt lgkmcnt(0)
	v_or_b32_e32 v2, v2, v3
	v_mov_b32_e32 v3, 2
	global_store_dwordx2 v4, v[2:3], s[76:77] offset:512 sc1
.LBB1384_238:
	s_or_b64 exec, exec, s[0:1]
	v_lshl_or_b32 v47, v47, 16, v1
.LBB1384_239:
	s_add_u32 s0, s66, s58
	s_addc_u32 s1, s67, s59
	s_add_u32 s0, s0, s60
	s_addc_u32 s1, s1, s61
	s_and_b64 vcc, exec, s[2:3]
	v_mul_u32_u24_e32 v6, 24, v0
	s_cbranch_vccz .LBB1384_289
; %bb.240:
	s_add_i32 s33, s33, s78
	v_cmp_le_u32_e32 vcc, s33, v6
	v_or_b32_e32 v8, 1, v6
	v_or_b32_e32 v7, 2, v6
	;; [unrolled: 1-line block ×7, first 2 shown]
	s_and_saveexec_b64 s[2:3], vcc
	s_xor_b64 s[2:3], exec, s[2:3]
; %bb.241:
	v_or_b32_e32 v8, 1, v6
	v_or_b32_e32 v7, 2, v6
	;; [unrolled: 1-line block ×7, first 2 shown]
; %bb.242:
	s_andn2_saveexec_b64 s[2:3], s[2:3]
	s_or_b64 exec, exec, s[2:3]
	v_lshlrev_b32_e32 v50, 1, v6
	v_lshlrev_b32_e32 v8, 1, v8
	;; [unrolled: 1-line block ×7, first 2 shown]
	s_mov_b32 s2, 0x5040100
	s_waitcnt lgkmcnt(0)
	s_barrier
	ds_write_b16 v50, v47
	ds_write_b16 v8, v22
	;; [unrolled: 1-line block ×7, first 2 shown]
	v_lshlrev_b32_e32 v1, 1, v1
	v_perm_b32 v5, v39, v37, s2
	v_perm_b32 v4, v36, v35, s2
	v_perm_b32 v3, v34, v31, s2
	v_perm_b32 v2, v30, v28, s2
	ds_write_b16 v1, v29
	ds_write_b128 v50, v[2:5] offset:16
	v_perm_b32 v5, v46, v45, s2
	v_perm_b32 v4, v44, v43, s2
	;; [unrolled: 1-line block ×4, first 2 shown]
	s_movk_i32 s2, 0xffd2
	ds_write_b128 v50, v[2:5] offset:32
	v_mad_i32_i24 v2, v0, s2, v50
	s_waitcnt lgkmcnt(0)
	s_barrier
	ds_read_u16 v53, v2 offset:512
	ds_read_u16 v52, v2 offset:1024
	;; [unrolled: 1-line block ×23, first 2 shown]
	v_mov_b32_e32 v3, 0
	v_lshlrev_b32_e32 v2, 1, v0
	v_lshl_add_u64 v[4:5], s[0:1], 0, v[2:3]
	v_cmp_gt_u32_e32 vcc, s33, v0
	s_and_saveexec_b64 s[2:3], vcc
	s_cbranch_execz .LBB1384_244
; %bb.243:
	v_mul_i32_i24_e32 v2, 0xffffffd2, v0
	v_add_u32_e32 v2, v50, v2
	ds_read_u16 v2, v2
	s_waitcnt lgkmcnt(0)
	flat_store_short v[4:5], v2
.LBB1384_244:
	s_or_b64 exec, exec, s[2:3]
	v_or_b32_e32 v2, 0x100, v0
	v_cmp_gt_u32_e32 vcc, s33, v2
	s_and_saveexec_b64 s[2:3], vcc
	s_cbranch_execz .LBB1384_246
; %bb.245:
	s_waitcnt lgkmcnt(0)
	flat_store_short v[4:5], v53 offset:512
.LBB1384_246:
	s_or_b64 exec, exec, s[2:3]
	v_or_b32_e32 v2, 0x200, v0
	v_cmp_gt_u32_e32 vcc, s33, v2
	s_and_saveexec_b64 s[2:3], vcc
	s_cbranch_execz .LBB1384_248
; %bb.247:
	s_waitcnt lgkmcnt(0)
	flat_store_short v[4:5], v52 offset:1024
.LBB1384_248:
	s_or_b64 exec, exec, s[2:3]
	v_or_b32_e32 v2, 0x300, v0
	v_cmp_gt_u32_e32 vcc, s33, v2
	s_and_saveexec_b64 s[2:3], vcc
	s_cbranch_execz .LBB1384_250
; %bb.249:
	s_waitcnt lgkmcnt(0)
	flat_store_short v[4:5], v51 offset:1536
.LBB1384_250:
	s_or_b64 exec, exec, s[2:3]
	v_or_b32_e32 v2, 0x400, v0
	v_cmp_gt_u32_e32 vcc, s33, v2
	s_and_saveexec_b64 s[2:3], vcc
	s_cbranch_execz .LBB1384_252
; %bb.251:
	s_waitcnt lgkmcnt(0)
	flat_store_short v[4:5], v49 offset:2048
.LBB1384_252:
	s_or_b64 exec, exec, s[2:3]
	v_or_b32_e32 v2, 0x500, v0
	v_cmp_gt_u32_e32 vcc, s33, v2
	s_and_saveexec_b64 s[2:3], vcc
	s_cbranch_execz .LBB1384_254
; %bb.253:
	s_waitcnt lgkmcnt(0)
	flat_store_short v[4:5], v48 offset:2560
.LBB1384_254:
	s_or_b64 exec, exec, s[2:3]
	v_or_b32_e32 v2, 0x600, v0
	v_cmp_gt_u32_e32 vcc, s33, v2
	s_and_saveexec_b64 s[2:3], vcc
	s_cbranch_execz .LBB1384_256
; %bb.255:
	s_waitcnt lgkmcnt(0)
	flat_store_short v[4:5], v33 offset:3072
.LBB1384_256:
	s_or_b64 exec, exec, s[2:3]
	v_or_b32_e32 v2, 0x700, v0
	v_cmp_gt_u32_e32 vcc, s33, v2
	s_and_saveexec_b64 s[2:3], vcc
	s_cbranch_execz .LBB1384_258
; %bb.257:
	s_waitcnt lgkmcnt(0)
	flat_store_short v[4:5], v32 offset:3584
.LBB1384_258:
	s_or_b64 exec, exec, s[2:3]
	v_or_b32_e32 v2, 0x800, v0
	v_cmp_gt_u32_e32 vcc, s33, v2
	s_and_saveexec_b64 s[2:3], vcc
	s_cbranch_execz .LBB1384_260
; %bb.259:
	s_waitcnt lgkmcnt(0)
	v_add_co_u32_e32 v32, vcc, 0x1000, v4
	s_nop 1
	v_addc_co_u32_e32 v33, vcc, 0, v5, vcc
	flat_store_short v[32:33], v21
.LBB1384_260:
	s_or_b64 exec, exec, s[2:3]
	v_or_b32_e32 v2, 0x900, v0
	v_cmp_gt_u32_e32 vcc, s33, v2
	s_and_saveexec_b64 s[2:3], vcc
	s_cbranch_execz .LBB1384_262
; %bb.261:
	s_waitcnt lgkmcnt(0)
	v_add_co_u32_e32 v32, vcc, 0x1000, v4
	s_nop 1
	v_addc_co_u32_e32 v33, vcc, 0, v5, vcc
	flat_store_short v[32:33], v20 offset:512
.LBB1384_262:
	s_or_b64 exec, exec, s[2:3]
	v_or_b32_e32 v2, 0xa00, v0
	v_cmp_gt_u32_e32 vcc, s33, v2
	s_and_saveexec_b64 s[2:3], vcc
	s_cbranch_execz .LBB1384_264
; %bb.263:
	s_waitcnt lgkmcnt(0)
	v_add_co_u32_e32 v20, vcc, 0x1000, v4
	s_nop 1
	v_addc_co_u32_e32 v21, vcc, 0, v5, vcc
	flat_store_short v[20:21], v19 offset:1024
.LBB1384_264:
	;; [unrolled: 12-line block ×7, first 2 shown]
	s_or_b64 exec, exec, s[2:3]
	v_or_b32_e32 v2, 0x1000, v0
	v_cmp_gt_u32_e32 vcc, s33, v2
	s_and_saveexec_b64 s[2:3], vcc
	s_cbranch_execz .LBB1384_276
; %bb.275:
	s_waitcnt lgkmcnt(0)
	v_add_co_u32_e32 v14, vcc, 0x2000, v4
	s_nop 1
	v_addc_co_u32_e32 v15, vcc, 0, v5, vcc
	flat_store_short v[14:15], v13
.LBB1384_276:
	s_or_b64 exec, exec, s[2:3]
	v_or_b32_e32 v2, 0x1100, v0
	v_cmp_gt_u32_e32 vcc, s33, v2
	s_and_saveexec_b64 s[2:3], vcc
	s_cbranch_execz .LBB1384_278
; %bb.277:
	s_waitcnt lgkmcnt(0)
	v_add_co_u32_e32 v14, vcc, 0x2000, v4
	s_nop 1
	v_addc_co_u32_e32 v15, vcc, 0, v5, vcc
	flat_store_short v[14:15], v12 offset:512
.LBB1384_278:
	s_or_b64 exec, exec, s[2:3]
	v_or_b32_e32 v2, 0x1200, v0
	v_cmp_gt_u32_e32 vcc, s33, v2
	s_and_saveexec_b64 s[2:3], vcc
	s_cbranch_execz .LBB1384_280
; %bb.279:
	s_waitcnt lgkmcnt(0)
	v_add_co_u32_e32 v12, vcc, 0x2000, v4
	s_nop 1
	v_addc_co_u32_e32 v13, vcc, 0, v5, vcc
	flat_store_short v[12:13], v11 offset:1024
.LBB1384_280:
	;; [unrolled: 12-line block ×5, first 2 shown]
	s_or_b64 exec, exec, s[2:3]
	v_or_b32_e32 v2, 0x1600, v0
	v_cmp_gt_u32_e32 vcc, s33, v2
	s_and_saveexec_b64 s[2:3], vcc
	s_cbranch_execz .LBB1384_288
; %bb.287:
	v_add_co_u32_e32 v4, vcc, 0x2000, v4
	s_nop 1
	v_addc_co_u32_e32 v5, vcc, 0, v5, vcc
	s_waitcnt lgkmcnt(0)
	flat_store_short v[4:5], v1 offset:3072
.LBB1384_288:
	s_or_b64 exec, exec, s[2:3]
	v_or_b32_e32 v2, 0x1700, v0
	s_waitcnt lgkmcnt(0)
	v_mov_b32_e32 v1, v3
	v_cmp_gt_u32_e64 s[2:3], s33, v2
	s_branch .LBB1384_291
.LBB1384_289:
	s_mov_b64 s[2:3], 0
                                        ; implicit-def: $vgpr7
	s_cbranch_execz .LBB1384_291
; %bb.290:
	s_mov_b32 s4, 0x5040100
	v_lshlrev_b32_e32 v6, 1, v6
	v_perm_b32 v5, v29, v27, s4
	v_perm_b32 v4, v26, v25, s4
	;; [unrolled: 1-line block ×4, first 2 shown]
	s_waitcnt lgkmcnt(0)
	s_barrier
	ds_write_b128 v6, v[2:5]
	v_perm_b32 v5, v39, v37, s4
	v_perm_b32 v4, v36, v35, s4
	;; [unrolled: 1-line block ×4, first 2 shown]
	ds_write_b128 v6, v[2:5] offset:16
	v_perm_b32 v4, v44, v43, s4
	v_perm_b32 v3, v42, v41, s4
	;; [unrolled: 1-line block ×4, first 2 shown]
	s_movk_i32 s4, 0xffd2
	ds_write_b128 v6, v[2:5] offset:32
	v_mov_b32_e32 v1, 0
	v_mad_i32_i24 v2, v0, s4, v6
	s_waitcnt lgkmcnt(0)
	s_barrier
	ds_read_u16 v4, v2
	ds_read_u16 v5, v2 offset:512
	ds_read_u16 v6, v2 offset:1024
	;; [unrolled: 1-line block ×23, first 2 shown]
	v_lshlrev_b32_e32 v2, 1, v0
	v_mov_b32_e32 v3, v1
	v_lshl_add_u64 v[2:3], s[0:1], 0, v[2:3]
	s_movk_i32 s4, 0x1000
	s_waitcnt lgkmcnt(0)
	flat_store_short v[2:3], v4
	flat_store_short v[2:3], v5 offset:512
	flat_store_short v[2:3], v6 offset:1024
	;; [unrolled: 1-line block ×7, first 2 shown]
	v_add_co_u32_e32 v4, vcc, s4, v2
	s_or_b64 s[2:3], s[2:3], exec
	s_nop 0
	v_addc_co_u32_e32 v5, vcc, 0, v3, vcc
	v_add_co_u32_e32 v2, vcc, 0x2000, v2
	flat_store_short v[4:5], v13
	flat_store_short v[4:5], v14 offset:512
	flat_store_short v[4:5], v15 offset:1024
	flat_store_short v[4:5], v16 offset:1536
	flat_store_short v[4:5], v17 offset:2048
	flat_store_short v[4:5], v18 offset:2560
	flat_store_short v[4:5], v19 offset:3072
	flat_store_short v[4:5], v20 offset:3584
	v_addc_co_u32_e32 v3, vcc, 0, v3, vcc
	flat_store_short v[2:3], v21
	flat_store_short v[2:3], v22 offset:512
	flat_store_short v[2:3], v23 offset:1024
	;; [unrolled: 1-line block ×6, first 2 shown]
.LBB1384_291:
	s_and_saveexec_b64 s[4:5], s[2:3]
	s_cbranch_execnz .LBB1384_293
; %bb.292:
	s_endpgm
.LBB1384_293:
	v_lshl_add_u64 v[0:1], v[0:1], 1, s[0:1]
	v_add_co_u32_e32 v0, vcc, 0x2000, v0
	s_nop 1
	v_addc_co_u32_e32 v1, vcc, 0, v1, vcc
	flat_store_short v[0:1], v7 offset:3584
	s_endpgm
.LBB1384_294:
	v_lshlrev_b32_e32 v2, 1, v0
	v_lshl_add_u64 v[2:3], s[62:63], 0, v[2:3]
	flat_load_ushort v2, v[2:3]
	s_or_b64 exec, exec, s[0:1]
                                        ; implicit-def: $vgpr3
	s_and_saveexec_b64 s[0:1], s[8:9]
	s_cbranch_execz .LBB1384_61
.LBB1384_295:
	v_lshlrev_b32_e32 v20, 1, v0
	v_mov_b32_e32 v21, 0
	v_lshl_add_u64 v[20:21], s[62:63], 0, v[20:21]
	flat_load_ushort v3, v[20:21] offset:512
	s_or_b64 exec, exec, s[0:1]
                                        ; implicit-def: $vgpr20
	s_and_saveexec_b64 s[0:1], s[10:11]
	s_cbranch_execz .LBB1384_62
.LBB1384_296:
	v_lshlrev_b32_e32 v20, 1, v0
	v_mov_b32_e32 v21, 0
	v_lshl_add_u64 v[20:21], s[62:63], 0, v[20:21]
	flat_load_ushort v20, v[20:21] offset:1024
	s_or_b64 exec, exec, s[0:1]
                                        ; implicit-def: $vgpr21
	s_and_saveexec_b64 s[0:1], s[12:13]
	s_cbranch_execz .LBB1384_63
.LBB1384_297:
	v_lshlrev_b32_e32 v48, 1, v0
	v_mov_b32_e32 v49, 0
	v_lshl_add_u64 v[48:49], s[62:63], 0, v[48:49]
	flat_load_ushort v21, v[48:49] offset:1536
	s_or_b64 exec, exec, s[0:1]
                                        ; implicit-def: $vgpr47
	s_and_saveexec_b64 s[0:1], s[14:15]
	s_cbranch_execz .LBB1384_64
.LBB1384_298:
	v_lshlrev_b32_e32 v48, 1, v0
	v_mov_b32_e32 v49, 0
	v_lshl_add_u64 v[48:49], s[62:63], 0, v[48:49]
	flat_load_ushort v47, v[48:49] offset:2048
	s_or_b64 exec, exec, s[0:1]
                                        ; implicit-def: $vgpr48
	s_and_saveexec_b64 s[0:1], s[16:17]
	s_cbranch_execz .LBB1384_65
.LBB1384_299:
	v_lshlrev_b32_e32 v48, 1, v0
	v_mov_b32_e32 v49, 0
	v_lshl_add_u64 v[48:49], s[62:63], 0, v[48:49]
	flat_load_ushort v48, v[48:49] offset:2560
	s_or_b64 exec, exec, s[0:1]
                                        ; implicit-def: $vgpr49
	s_and_saveexec_b64 s[0:1], s[18:19]
	s_cbranch_execz .LBB1384_66
.LBB1384_300:
	v_lshlrev_b32_e32 v50, 1, v0
	v_mov_b32_e32 v51, 0
	v_lshl_add_u64 v[50:51], s[62:63], 0, v[50:51]
	flat_load_ushort v49, v[50:51] offset:3072
	s_or_b64 exec, exec, s[0:1]
                                        ; implicit-def: $vgpr50
	s_and_saveexec_b64 s[0:1], s[20:21]
	s_cbranch_execz .LBB1384_67
.LBB1384_301:
	v_lshlrev_b32_e32 v50, 1, v0
	v_mov_b32_e32 v51, 0
	v_lshl_add_u64 v[50:51], s[62:63], 0, v[50:51]
	flat_load_ushort v50, v[50:51] offset:3584
	s_or_b64 exec, exec, s[0:1]
                                        ; implicit-def: $vgpr51
	s_and_saveexec_b64 s[0:1], s[22:23]
	s_cbranch_execz .LBB1384_68
.LBB1384_302:
	v_lshlrev_b32_e32 v52, 1, v1
	v_mov_b32_e32 v53, 0
	v_lshl_add_u64 v[52:53], s[62:63], 0, v[52:53]
	flat_load_ushort v51, v[52:53]
	s_or_b64 exec, exec, s[0:1]
                                        ; implicit-def: $vgpr1
	s_and_saveexec_b64 s[0:1], s[24:25]
	s_cbranch_execz .LBB1384_69
.LBB1384_303:
	v_lshlrev_b32_e32 v52, 1, v4
	v_mov_b32_e32 v53, 0
	v_lshl_add_u64 v[52:53], s[62:63], 0, v[52:53]
	flat_load_ushort v1, v[52:53]
	s_or_b64 exec, exec, s[0:1]
                                        ; implicit-def: $vgpr4
	s_and_saveexec_b64 s[0:1], s[26:27]
	s_cbranch_execz .LBB1384_70
.LBB1384_304:
	v_lshlrev_b32_e32 v4, 1, v5
	v_mov_b32_e32 v5, 0
	v_lshl_add_u64 v[4:5], s[62:63], 0, v[4:5]
	flat_load_ushort v4, v[4:5]
	s_or_b64 exec, exec, s[0:1]
                                        ; implicit-def: $vgpr5
	s_and_saveexec_b64 s[0:1], s[28:29]
	s_cbranch_execz .LBB1384_71
.LBB1384_305:
	v_lshlrev_b32_e32 v52, 1, v6
	v_mov_b32_e32 v53, 0
	v_lshl_add_u64 v[52:53], s[62:63], 0, v[52:53]
	flat_load_ushort v5, v[52:53]
	s_or_b64 exec, exec, s[0:1]
                                        ; implicit-def: $vgpr6
	s_and_saveexec_b64 s[0:1], s[30:31]
	s_cbranch_execz .LBB1384_72
.LBB1384_306:
	v_lshlrev_b32_e32 v6, 1, v7
	v_mov_b32_e32 v7, 0
	v_lshl_add_u64 v[6:7], s[62:63], 0, v[6:7]
	flat_load_ushort v6, v[6:7]
	s_or_b64 exec, exec, s[0:1]
                                        ; implicit-def: $vgpr7
	s_and_saveexec_b64 s[0:1], s[34:35]
	s_cbranch_execz .LBB1384_73
.LBB1384_307:
	v_lshlrev_b32_e32 v52, 1, v8
	v_mov_b32_e32 v53, 0
	v_lshl_add_u64 v[52:53], s[62:63], 0, v[52:53]
	flat_load_ushort v7, v[52:53]
	s_or_b64 exec, exec, s[0:1]
                                        ; implicit-def: $vgpr8
	s_and_saveexec_b64 s[0:1], s[36:37]
	s_cbranch_execz .LBB1384_74
.LBB1384_308:
	v_lshlrev_b32_e32 v8, 1, v9
	v_mov_b32_e32 v9, 0
	v_lshl_add_u64 v[8:9], s[62:63], 0, v[8:9]
	flat_load_ushort v8, v[8:9]
	s_or_b64 exec, exec, s[0:1]
                                        ; implicit-def: $vgpr9
	s_and_saveexec_b64 s[0:1], s[38:39]
	s_cbranch_execz .LBB1384_75
.LBB1384_309:
	v_lshlrev_b32_e32 v52, 1, v10
	v_mov_b32_e32 v53, 0
	v_lshl_add_u64 v[52:53], s[62:63], 0, v[52:53]
	flat_load_ushort v9, v[52:53]
	s_or_b64 exec, exec, s[0:1]
                                        ; implicit-def: $vgpr10
	s_and_saveexec_b64 s[0:1], s[40:41]
	s_cbranch_execz .LBB1384_76
.LBB1384_310:
	v_lshlrev_b32_e32 v10, 1, v11
	v_mov_b32_e32 v11, 0
	v_lshl_add_u64 v[10:11], s[62:63], 0, v[10:11]
	flat_load_ushort v10, v[10:11]
	s_or_b64 exec, exec, s[0:1]
                                        ; implicit-def: $vgpr11
	s_and_saveexec_b64 s[0:1], s[42:43]
	s_cbranch_execz .LBB1384_77
.LBB1384_311:
	v_lshlrev_b32_e32 v52, 1, v12
	v_mov_b32_e32 v53, 0
	v_lshl_add_u64 v[52:53], s[62:63], 0, v[52:53]
	flat_load_ushort v11, v[52:53]
	s_or_b64 exec, exec, s[0:1]
                                        ; implicit-def: $vgpr12
	s_and_saveexec_b64 s[0:1], s[44:45]
	s_cbranch_execz .LBB1384_78
.LBB1384_312:
	v_lshlrev_b32_e32 v12, 1, v13
	v_mov_b32_e32 v13, 0
	v_lshl_add_u64 v[12:13], s[62:63], 0, v[12:13]
	flat_load_ushort v12, v[12:13]
	s_or_b64 exec, exec, s[0:1]
                                        ; implicit-def: $vgpr13
	s_and_saveexec_b64 s[0:1], s[46:47]
	s_cbranch_execz .LBB1384_79
.LBB1384_313:
	v_lshlrev_b32_e32 v52, 1, v14
	v_mov_b32_e32 v53, 0
	v_lshl_add_u64 v[52:53], s[62:63], 0, v[52:53]
	flat_load_ushort v13, v[52:53]
	s_or_b64 exec, exec, s[0:1]
                                        ; implicit-def: $vgpr14
	s_and_saveexec_b64 s[0:1], s[48:49]
	s_cbranch_execz .LBB1384_80
.LBB1384_314:
	v_lshlrev_b32_e32 v14, 1, v15
	v_mov_b32_e32 v15, 0
	v_lshl_add_u64 v[14:15], s[62:63], 0, v[14:15]
	flat_load_ushort v14, v[14:15]
	s_or_b64 exec, exec, s[0:1]
                                        ; implicit-def: $vgpr15
	s_and_saveexec_b64 s[0:1], s[50:51]
	s_cbranch_execz .LBB1384_81
.LBB1384_315:
	v_lshlrev_b32_e32 v52, 1, v16
	v_mov_b32_e32 v53, 0
	v_lshl_add_u64 v[52:53], s[62:63], 0, v[52:53]
	flat_load_ushort v15, v[52:53]
	s_or_b64 exec, exec, s[0:1]
                                        ; implicit-def: $vgpr16
	s_and_saveexec_b64 s[0:1], s[52:53]
	s_cbranch_execz .LBB1384_82
.LBB1384_316:
	v_lshlrev_b32_e32 v16, 1, v17
	v_mov_b32_e32 v17, 0
	v_lshl_add_u64 v[16:17], s[62:63], 0, v[16:17]
	flat_load_ushort v16, v[16:17]
	s_or_b64 exec, exec, s[0:1]
                                        ; implicit-def: $vgpr17
	s_and_saveexec_b64 s[0:1], s[54:55]
	s_cbranch_execnz .LBB1384_83
	s_branch .LBB1384_84
.LBB1384_317:
                                        ; implicit-def: $sgpr0_sgpr1
	s_branch .LBB1384_56
.LBB1384_318:
                                        ; implicit-def: $sgpr0_sgpr1
	s_branch .LBB1384_135
	.section	.rodata,"a",@progbits
	.p2align	6, 0x0
	.amdhsa_kernel _ZN7rocprim17ROCPRIM_400000_NS6detail17trampoline_kernelINS0_14default_configENS1_27scan_by_key_config_selectorIisEEZZNS1_16scan_by_key_implILNS1_25lookback_scan_determinismE0ELb0ES3_N6thrust23THRUST_200600_302600_NS6detail15normal_iteratorINS9_10device_ptrIiEEEENSB_INSC_IsEEEESG_sNS9_4plusIvEENS9_8equal_toIvEEsEE10hipError_tPvRmT2_T3_T4_T5_mT6_T7_P12ihipStream_tbENKUlT_T0_E_clISt17integral_constantIbLb0EES10_IbLb1EEEEDaSW_SX_EUlSW_E_NS1_11comp_targetILNS1_3genE5ELNS1_11target_archE942ELNS1_3gpuE9ELNS1_3repE0EEENS1_30default_config_static_selectorELNS0_4arch9wavefront6targetE1EEEvT1_
		.amdhsa_group_segment_fixed_size 26624
		.amdhsa_private_segment_fixed_size 0
		.amdhsa_kernarg_size 112
		.amdhsa_user_sgpr_count 2
		.amdhsa_user_sgpr_dispatch_ptr 0
		.amdhsa_user_sgpr_queue_ptr 0
		.amdhsa_user_sgpr_kernarg_segment_ptr 1
		.amdhsa_user_sgpr_dispatch_id 0
		.amdhsa_user_sgpr_kernarg_preload_length 0
		.amdhsa_user_sgpr_kernarg_preload_offset 0
		.amdhsa_user_sgpr_private_segment_size 0
		.amdhsa_uses_dynamic_stack 0
		.amdhsa_enable_private_segment 0
		.amdhsa_system_sgpr_workgroup_id_x 1
		.amdhsa_system_sgpr_workgroup_id_y 0
		.amdhsa_system_sgpr_workgroup_id_z 0
		.amdhsa_system_sgpr_workgroup_info 0
		.amdhsa_system_vgpr_workitem_id 0
		.amdhsa_next_free_vgpr 62
		.amdhsa_next_free_sgpr 87
		.amdhsa_accum_offset 64
		.amdhsa_reserve_vcc 1
		.amdhsa_float_round_mode_32 0
		.amdhsa_float_round_mode_16_64 0
		.amdhsa_float_denorm_mode_32 3
		.amdhsa_float_denorm_mode_16_64 3
		.amdhsa_dx10_clamp 1
		.amdhsa_ieee_mode 1
		.amdhsa_fp16_overflow 0
		.amdhsa_tg_split 0
		.amdhsa_exception_fp_ieee_invalid_op 0
		.amdhsa_exception_fp_denorm_src 0
		.amdhsa_exception_fp_ieee_div_zero 0
		.amdhsa_exception_fp_ieee_overflow 0
		.amdhsa_exception_fp_ieee_underflow 0
		.amdhsa_exception_fp_ieee_inexact 0
		.amdhsa_exception_int_div_zero 0
	.end_amdhsa_kernel
	.section	.text._ZN7rocprim17ROCPRIM_400000_NS6detail17trampoline_kernelINS0_14default_configENS1_27scan_by_key_config_selectorIisEEZZNS1_16scan_by_key_implILNS1_25lookback_scan_determinismE0ELb0ES3_N6thrust23THRUST_200600_302600_NS6detail15normal_iteratorINS9_10device_ptrIiEEEENSB_INSC_IsEEEESG_sNS9_4plusIvEENS9_8equal_toIvEEsEE10hipError_tPvRmT2_T3_T4_T5_mT6_T7_P12ihipStream_tbENKUlT_T0_E_clISt17integral_constantIbLb0EES10_IbLb1EEEEDaSW_SX_EUlSW_E_NS1_11comp_targetILNS1_3genE5ELNS1_11target_archE942ELNS1_3gpuE9ELNS1_3repE0EEENS1_30default_config_static_selectorELNS0_4arch9wavefront6targetE1EEEvT1_,"axG",@progbits,_ZN7rocprim17ROCPRIM_400000_NS6detail17trampoline_kernelINS0_14default_configENS1_27scan_by_key_config_selectorIisEEZZNS1_16scan_by_key_implILNS1_25lookback_scan_determinismE0ELb0ES3_N6thrust23THRUST_200600_302600_NS6detail15normal_iteratorINS9_10device_ptrIiEEEENSB_INSC_IsEEEESG_sNS9_4plusIvEENS9_8equal_toIvEEsEE10hipError_tPvRmT2_T3_T4_T5_mT6_T7_P12ihipStream_tbENKUlT_T0_E_clISt17integral_constantIbLb0EES10_IbLb1EEEEDaSW_SX_EUlSW_E_NS1_11comp_targetILNS1_3genE5ELNS1_11target_archE942ELNS1_3gpuE9ELNS1_3repE0EEENS1_30default_config_static_selectorELNS0_4arch9wavefront6targetE1EEEvT1_,comdat
.Lfunc_end1384:
	.size	_ZN7rocprim17ROCPRIM_400000_NS6detail17trampoline_kernelINS0_14default_configENS1_27scan_by_key_config_selectorIisEEZZNS1_16scan_by_key_implILNS1_25lookback_scan_determinismE0ELb0ES3_N6thrust23THRUST_200600_302600_NS6detail15normal_iteratorINS9_10device_ptrIiEEEENSB_INSC_IsEEEESG_sNS9_4plusIvEENS9_8equal_toIvEEsEE10hipError_tPvRmT2_T3_T4_T5_mT6_T7_P12ihipStream_tbENKUlT_T0_E_clISt17integral_constantIbLb0EES10_IbLb1EEEEDaSW_SX_EUlSW_E_NS1_11comp_targetILNS1_3genE5ELNS1_11target_archE942ELNS1_3gpuE9ELNS1_3repE0EEENS1_30default_config_static_selectorELNS0_4arch9wavefront6targetE1EEEvT1_, .Lfunc_end1384-_ZN7rocprim17ROCPRIM_400000_NS6detail17trampoline_kernelINS0_14default_configENS1_27scan_by_key_config_selectorIisEEZZNS1_16scan_by_key_implILNS1_25lookback_scan_determinismE0ELb0ES3_N6thrust23THRUST_200600_302600_NS6detail15normal_iteratorINS9_10device_ptrIiEEEENSB_INSC_IsEEEESG_sNS9_4plusIvEENS9_8equal_toIvEEsEE10hipError_tPvRmT2_T3_T4_T5_mT6_T7_P12ihipStream_tbENKUlT_T0_E_clISt17integral_constantIbLb0EES10_IbLb1EEEEDaSW_SX_EUlSW_E_NS1_11comp_targetILNS1_3genE5ELNS1_11target_archE942ELNS1_3gpuE9ELNS1_3repE0EEENS1_30default_config_static_selectorELNS0_4arch9wavefront6targetE1EEEvT1_
                                        ; -- End function
	.section	.AMDGPU.csdata,"",@progbits
; Kernel info:
; codeLenInByte = 16256
; NumSgprs: 93
; NumVgprs: 62
; NumAgprs: 0
; TotalNumVgprs: 62
; ScratchSize: 0
; MemoryBound: 0
; FloatMode: 240
; IeeeMode: 1
; LDSByteSize: 26624 bytes/workgroup (compile time only)
; SGPRBlocks: 11
; VGPRBlocks: 7
; NumSGPRsForWavesPerEU: 93
; NumVGPRsForWavesPerEU: 62
; AccumOffset: 64
; Occupancy: 2
; WaveLimiterHint : 1
; COMPUTE_PGM_RSRC2:SCRATCH_EN: 0
; COMPUTE_PGM_RSRC2:USER_SGPR: 2
; COMPUTE_PGM_RSRC2:TRAP_HANDLER: 0
; COMPUTE_PGM_RSRC2:TGID_X_EN: 1
; COMPUTE_PGM_RSRC2:TGID_Y_EN: 0
; COMPUTE_PGM_RSRC2:TGID_Z_EN: 0
; COMPUTE_PGM_RSRC2:TIDIG_COMP_CNT: 0
; COMPUTE_PGM_RSRC3_GFX90A:ACCUM_OFFSET: 15
; COMPUTE_PGM_RSRC3_GFX90A:TG_SPLIT: 0
	.section	.text._ZN7rocprim17ROCPRIM_400000_NS6detail17trampoline_kernelINS0_14default_configENS1_27scan_by_key_config_selectorIisEEZZNS1_16scan_by_key_implILNS1_25lookback_scan_determinismE0ELb0ES3_N6thrust23THRUST_200600_302600_NS6detail15normal_iteratorINS9_10device_ptrIiEEEENSB_INSC_IsEEEESG_sNS9_4plusIvEENS9_8equal_toIvEEsEE10hipError_tPvRmT2_T3_T4_T5_mT6_T7_P12ihipStream_tbENKUlT_T0_E_clISt17integral_constantIbLb0EES10_IbLb1EEEEDaSW_SX_EUlSW_E_NS1_11comp_targetILNS1_3genE4ELNS1_11target_archE910ELNS1_3gpuE8ELNS1_3repE0EEENS1_30default_config_static_selectorELNS0_4arch9wavefront6targetE1EEEvT1_,"axG",@progbits,_ZN7rocprim17ROCPRIM_400000_NS6detail17trampoline_kernelINS0_14default_configENS1_27scan_by_key_config_selectorIisEEZZNS1_16scan_by_key_implILNS1_25lookback_scan_determinismE0ELb0ES3_N6thrust23THRUST_200600_302600_NS6detail15normal_iteratorINS9_10device_ptrIiEEEENSB_INSC_IsEEEESG_sNS9_4plusIvEENS9_8equal_toIvEEsEE10hipError_tPvRmT2_T3_T4_T5_mT6_T7_P12ihipStream_tbENKUlT_T0_E_clISt17integral_constantIbLb0EES10_IbLb1EEEEDaSW_SX_EUlSW_E_NS1_11comp_targetILNS1_3genE4ELNS1_11target_archE910ELNS1_3gpuE8ELNS1_3repE0EEENS1_30default_config_static_selectorELNS0_4arch9wavefront6targetE1EEEvT1_,comdat
	.protected	_ZN7rocprim17ROCPRIM_400000_NS6detail17trampoline_kernelINS0_14default_configENS1_27scan_by_key_config_selectorIisEEZZNS1_16scan_by_key_implILNS1_25lookback_scan_determinismE0ELb0ES3_N6thrust23THRUST_200600_302600_NS6detail15normal_iteratorINS9_10device_ptrIiEEEENSB_INSC_IsEEEESG_sNS9_4plusIvEENS9_8equal_toIvEEsEE10hipError_tPvRmT2_T3_T4_T5_mT6_T7_P12ihipStream_tbENKUlT_T0_E_clISt17integral_constantIbLb0EES10_IbLb1EEEEDaSW_SX_EUlSW_E_NS1_11comp_targetILNS1_3genE4ELNS1_11target_archE910ELNS1_3gpuE8ELNS1_3repE0EEENS1_30default_config_static_selectorELNS0_4arch9wavefront6targetE1EEEvT1_ ; -- Begin function _ZN7rocprim17ROCPRIM_400000_NS6detail17trampoline_kernelINS0_14default_configENS1_27scan_by_key_config_selectorIisEEZZNS1_16scan_by_key_implILNS1_25lookback_scan_determinismE0ELb0ES3_N6thrust23THRUST_200600_302600_NS6detail15normal_iteratorINS9_10device_ptrIiEEEENSB_INSC_IsEEEESG_sNS9_4plusIvEENS9_8equal_toIvEEsEE10hipError_tPvRmT2_T3_T4_T5_mT6_T7_P12ihipStream_tbENKUlT_T0_E_clISt17integral_constantIbLb0EES10_IbLb1EEEEDaSW_SX_EUlSW_E_NS1_11comp_targetILNS1_3genE4ELNS1_11target_archE910ELNS1_3gpuE8ELNS1_3repE0EEENS1_30default_config_static_selectorELNS0_4arch9wavefront6targetE1EEEvT1_
	.globl	_ZN7rocprim17ROCPRIM_400000_NS6detail17trampoline_kernelINS0_14default_configENS1_27scan_by_key_config_selectorIisEEZZNS1_16scan_by_key_implILNS1_25lookback_scan_determinismE0ELb0ES3_N6thrust23THRUST_200600_302600_NS6detail15normal_iteratorINS9_10device_ptrIiEEEENSB_INSC_IsEEEESG_sNS9_4plusIvEENS9_8equal_toIvEEsEE10hipError_tPvRmT2_T3_T4_T5_mT6_T7_P12ihipStream_tbENKUlT_T0_E_clISt17integral_constantIbLb0EES10_IbLb1EEEEDaSW_SX_EUlSW_E_NS1_11comp_targetILNS1_3genE4ELNS1_11target_archE910ELNS1_3gpuE8ELNS1_3repE0EEENS1_30default_config_static_selectorELNS0_4arch9wavefront6targetE1EEEvT1_
	.p2align	8
	.type	_ZN7rocprim17ROCPRIM_400000_NS6detail17trampoline_kernelINS0_14default_configENS1_27scan_by_key_config_selectorIisEEZZNS1_16scan_by_key_implILNS1_25lookback_scan_determinismE0ELb0ES3_N6thrust23THRUST_200600_302600_NS6detail15normal_iteratorINS9_10device_ptrIiEEEENSB_INSC_IsEEEESG_sNS9_4plusIvEENS9_8equal_toIvEEsEE10hipError_tPvRmT2_T3_T4_T5_mT6_T7_P12ihipStream_tbENKUlT_T0_E_clISt17integral_constantIbLb0EES10_IbLb1EEEEDaSW_SX_EUlSW_E_NS1_11comp_targetILNS1_3genE4ELNS1_11target_archE910ELNS1_3gpuE8ELNS1_3repE0EEENS1_30default_config_static_selectorELNS0_4arch9wavefront6targetE1EEEvT1_,@function
_ZN7rocprim17ROCPRIM_400000_NS6detail17trampoline_kernelINS0_14default_configENS1_27scan_by_key_config_selectorIisEEZZNS1_16scan_by_key_implILNS1_25lookback_scan_determinismE0ELb0ES3_N6thrust23THRUST_200600_302600_NS6detail15normal_iteratorINS9_10device_ptrIiEEEENSB_INSC_IsEEEESG_sNS9_4plusIvEENS9_8equal_toIvEEsEE10hipError_tPvRmT2_T3_T4_T5_mT6_T7_P12ihipStream_tbENKUlT_T0_E_clISt17integral_constantIbLb0EES10_IbLb1EEEEDaSW_SX_EUlSW_E_NS1_11comp_targetILNS1_3genE4ELNS1_11target_archE910ELNS1_3gpuE8ELNS1_3repE0EEENS1_30default_config_static_selectorELNS0_4arch9wavefront6targetE1EEEvT1_: ; @_ZN7rocprim17ROCPRIM_400000_NS6detail17trampoline_kernelINS0_14default_configENS1_27scan_by_key_config_selectorIisEEZZNS1_16scan_by_key_implILNS1_25lookback_scan_determinismE0ELb0ES3_N6thrust23THRUST_200600_302600_NS6detail15normal_iteratorINS9_10device_ptrIiEEEENSB_INSC_IsEEEESG_sNS9_4plusIvEENS9_8equal_toIvEEsEE10hipError_tPvRmT2_T3_T4_T5_mT6_T7_P12ihipStream_tbENKUlT_T0_E_clISt17integral_constantIbLb0EES10_IbLb1EEEEDaSW_SX_EUlSW_E_NS1_11comp_targetILNS1_3genE4ELNS1_11target_archE910ELNS1_3gpuE8ELNS1_3repE0EEENS1_30default_config_static_selectorELNS0_4arch9wavefront6targetE1EEEvT1_
; %bb.0:
	.section	.rodata,"a",@progbits
	.p2align	6, 0x0
	.amdhsa_kernel _ZN7rocprim17ROCPRIM_400000_NS6detail17trampoline_kernelINS0_14default_configENS1_27scan_by_key_config_selectorIisEEZZNS1_16scan_by_key_implILNS1_25lookback_scan_determinismE0ELb0ES3_N6thrust23THRUST_200600_302600_NS6detail15normal_iteratorINS9_10device_ptrIiEEEENSB_INSC_IsEEEESG_sNS9_4plusIvEENS9_8equal_toIvEEsEE10hipError_tPvRmT2_T3_T4_T5_mT6_T7_P12ihipStream_tbENKUlT_T0_E_clISt17integral_constantIbLb0EES10_IbLb1EEEEDaSW_SX_EUlSW_E_NS1_11comp_targetILNS1_3genE4ELNS1_11target_archE910ELNS1_3gpuE8ELNS1_3repE0EEENS1_30default_config_static_selectorELNS0_4arch9wavefront6targetE1EEEvT1_
		.amdhsa_group_segment_fixed_size 0
		.amdhsa_private_segment_fixed_size 0
		.amdhsa_kernarg_size 112
		.amdhsa_user_sgpr_count 2
		.amdhsa_user_sgpr_dispatch_ptr 0
		.amdhsa_user_sgpr_queue_ptr 0
		.amdhsa_user_sgpr_kernarg_segment_ptr 1
		.amdhsa_user_sgpr_dispatch_id 0
		.amdhsa_user_sgpr_kernarg_preload_length 0
		.amdhsa_user_sgpr_kernarg_preload_offset 0
		.amdhsa_user_sgpr_private_segment_size 0
		.amdhsa_uses_dynamic_stack 0
		.amdhsa_enable_private_segment 0
		.amdhsa_system_sgpr_workgroup_id_x 1
		.amdhsa_system_sgpr_workgroup_id_y 0
		.amdhsa_system_sgpr_workgroup_id_z 0
		.amdhsa_system_sgpr_workgroup_info 0
		.amdhsa_system_vgpr_workitem_id 0
		.amdhsa_next_free_vgpr 1
		.amdhsa_next_free_sgpr 0
		.amdhsa_accum_offset 4
		.amdhsa_reserve_vcc 0
		.amdhsa_float_round_mode_32 0
		.amdhsa_float_round_mode_16_64 0
		.amdhsa_float_denorm_mode_32 3
		.amdhsa_float_denorm_mode_16_64 3
		.amdhsa_dx10_clamp 1
		.amdhsa_ieee_mode 1
		.amdhsa_fp16_overflow 0
		.amdhsa_tg_split 0
		.amdhsa_exception_fp_ieee_invalid_op 0
		.amdhsa_exception_fp_denorm_src 0
		.amdhsa_exception_fp_ieee_div_zero 0
		.amdhsa_exception_fp_ieee_overflow 0
		.amdhsa_exception_fp_ieee_underflow 0
		.amdhsa_exception_fp_ieee_inexact 0
		.amdhsa_exception_int_div_zero 0
	.end_amdhsa_kernel
	.section	.text._ZN7rocprim17ROCPRIM_400000_NS6detail17trampoline_kernelINS0_14default_configENS1_27scan_by_key_config_selectorIisEEZZNS1_16scan_by_key_implILNS1_25lookback_scan_determinismE0ELb0ES3_N6thrust23THRUST_200600_302600_NS6detail15normal_iteratorINS9_10device_ptrIiEEEENSB_INSC_IsEEEESG_sNS9_4plusIvEENS9_8equal_toIvEEsEE10hipError_tPvRmT2_T3_T4_T5_mT6_T7_P12ihipStream_tbENKUlT_T0_E_clISt17integral_constantIbLb0EES10_IbLb1EEEEDaSW_SX_EUlSW_E_NS1_11comp_targetILNS1_3genE4ELNS1_11target_archE910ELNS1_3gpuE8ELNS1_3repE0EEENS1_30default_config_static_selectorELNS0_4arch9wavefront6targetE1EEEvT1_,"axG",@progbits,_ZN7rocprim17ROCPRIM_400000_NS6detail17trampoline_kernelINS0_14default_configENS1_27scan_by_key_config_selectorIisEEZZNS1_16scan_by_key_implILNS1_25lookback_scan_determinismE0ELb0ES3_N6thrust23THRUST_200600_302600_NS6detail15normal_iteratorINS9_10device_ptrIiEEEENSB_INSC_IsEEEESG_sNS9_4plusIvEENS9_8equal_toIvEEsEE10hipError_tPvRmT2_T3_T4_T5_mT6_T7_P12ihipStream_tbENKUlT_T0_E_clISt17integral_constantIbLb0EES10_IbLb1EEEEDaSW_SX_EUlSW_E_NS1_11comp_targetILNS1_3genE4ELNS1_11target_archE910ELNS1_3gpuE8ELNS1_3repE0EEENS1_30default_config_static_selectorELNS0_4arch9wavefront6targetE1EEEvT1_,comdat
.Lfunc_end1385:
	.size	_ZN7rocprim17ROCPRIM_400000_NS6detail17trampoline_kernelINS0_14default_configENS1_27scan_by_key_config_selectorIisEEZZNS1_16scan_by_key_implILNS1_25lookback_scan_determinismE0ELb0ES3_N6thrust23THRUST_200600_302600_NS6detail15normal_iteratorINS9_10device_ptrIiEEEENSB_INSC_IsEEEESG_sNS9_4plusIvEENS9_8equal_toIvEEsEE10hipError_tPvRmT2_T3_T4_T5_mT6_T7_P12ihipStream_tbENKUlT_T0_E_clISt17integral_constantIbLb0EES10_IbLb1EEEEDaSW_SX_EUlSW_E_NS1_11comp_targetILNS1_3genE4ELNS1_11target_archE910ELNS1_3gpuE8ELNS1_3repE0EEENS1_30default_config_static_selectorELNS0_4arch9wavefront6targetE1EEEvT1_, .Lfunc_end1385-_ZN7rocprim17ROCPRIM_400000_NS6detail17trampoline_kernelINS0_14default_configENS1_27scan_by_key_config_selectorIisEEZZNS1_16scan_by_key_implILNS1_25lookback_scan_determinismE0ELb0ES3_N6thrust23THRUST_200600_302600_NS6detail15normal_iteratorINS9_10device_ptrIiEEEENSB_INSC_IsEEEESG_sNS9_4plusIvEENS9_8equal_toIvEEsEE10hipError_tPvRmT2_T3_T4_T5_mT6_T7_P12ihipStream_tbENKUlT_T0_E_clISt17integral_constantIbLb0EES10_IbLb1EEEEDaSW_SX_EUlSW_E_NS1_11comp_targetILNS1_3genE4ELNS1_11target_archE910ELNS1_3gpuE8ELNS1_3repE0EEENS1_30default_config_static_selectorELNS0_4arch9wavefront6targetE1EEEvT1_
                                        ; -- End function
	.section	.AMDGPU.csdata,"",@progbits
; Kernel info:
; codeLenInByte = 0
; NumSgprs: 6
; NumVgprs: 0
; NumAgprs: 0
; TotalNumVgprs: 0
; ScratchSize: 0
; MemoryBound: 0
; FloatMode: 240
; IeeeMode: 1
; LDSByteSize: 0 bytes/workgroup (compile time only)
; SGPRBlocks: 0
; VGPRBlocks: 0
; NumSGPRsForWavesPerEU: 6
; NumVGPRsForWavesPerEU: 1
; AccumOffset: 4
; Occupancy: 8
; WaveLimiterHint : 0
; COMPUTE_PGM_RSRC2:SCRATCH_EN: 0
; COMPUTE_PGM_RSRC2:USER_SGPR: 2
; COMPUTE_PGM_RSRC2:TRAP_HANDLER: 0
; COMPUTE_PGM_RSRC2:TGID_X_EN: 1
; COMPUTE_PGM_RSRC2:TGID_Y_EN: 0
; COMPUTE_PGM_RSRC2:TGID_Z_EN: 0
; COMPUTE_PGM_RSRC2:TIDIG_COMP_CNT: 0
; COMPUTE_PGM_RSRC3_GFX90A:ACCUM_OFFSET: 0
; COMPUTE_PGM_RSRC3_GFX90A:TG_SPLIT: 0
	.section	.text._ZN7rocprim17ROCPRIM_400000_NS6detail17trampoline_kernelINS0_14default_configENS1_27scan_by_key_config_selectorIisEEZZNS1_16scan_by_key_implILNS1_25lookback_scan_determinismE0ELb0ES3_N6thrust23THRUST_200600_302600_NS6detail15normal_iteratorINS9_10device_ptrIiEEEENSB_INSC_IsEEEESG_sNS9_4plusIvEENS9_8equal_toIvEEsEE10hipError_tPvRmT2_T3_T4_T5_mT6_T7_P12ihipStream_tbENKUlT_T0_E_clISt17integral_constantIbLb0EES10_IbLb1EEEEDaSW_SX_EUlSW_E_NS1_11comp_targetILNS1_3genE3ELNS1_11target_archE908ELNS1_3gpuE7ELNS1_3repE0EEENS1_30default_config_static_selectorELNS0_4arch9wavefront6targetE1EEEvT1_,"axG",@progbits,_ZN7rocprim17ROCPRIM_400000_NS6detail17trampoline_kernelINS0_14default_configENS1_27scan_by_key_config_selectorIisEEZZNS1_16scan_by_key_implILNS1_25lookback_scan_determinismE0ELb0ES3_N6thrust23THRUST_200600_302600_NS6detail15normal_iteratorINS9_10device_ptrIiEEEENSB_INSC_IsEEEESG_sNS9_4plusIvEENS9_8equal_toIvEEsEE10hipError_tPvRmT2_T3_T4_T5_mT6_T7_P12ihipStream_tbENKUlT_T0_E_clISt17integral_constantIbLb0EES10_IbLb1EEEEDaSW_SX_EUlSW_E_NS1_11comp_targetILNS1_3genE3ELNS1_11target_archE908ELNS1_3gpuE7ELNS1_3repE0EEENS1_30default_config_static_selectorELNS0_4arch9wavefront6targetE1EEEvT1_,comdat
	.protected	_ZN7rocprim17ROCPRIM_400000_NS6detail17trampoline_kernelINS0_14default_configENS1_27scan_by_key_config_selectorIisEEZZNS1_16scan_by_key_implILNS1_25lookback_scan_determinismE0ELb0ES3_N6thrust23THRUST_200600_302600_NS6detail15normal_iteratorINS9_10device_ptrIiEEEENSB_INSC_IsEEEESG_sNS9_4plusIvEENS9_8equal_toIvEEsEE10hipError_tPvRmT2_T3_T4_T5_mT6_T7_P12ihipStream_tbENKUlT_T0_E_clISt17integral_constantIbLb0EES10_IbLb1EEEEDaSW_SX_EUlSW_E_NS1_11comp_targetILNS1_3genE3ELNS1_11target_archE908ELNS1_3gpuE7ELNS1_3repE0EEENS1_30default_config_static_selectorELNS0_4arch9wavefront6targetE1EEEvT1_ ; -- Begin function _ZN7rocprim17ROCPRIM_400000_NS6detail17trampoline_kernelINS0_14default_configENS1_27scan_by_key_config_selectorIisEEZZNS1_16scan_by_key_implILNS1_25lookback_scan_determinismE0ELb0ES3_N6thrust23THRUST_200600_302600_NS6detail15normal_iteratorINS9_10device_ptrIiEEEENSB_INSC_IsEEEESG_sNS9_4plusIvEENS9_8equal_toIvEEsEE10hipError_tPvRmT2_T3_T4_T5_mT6_T7_P12ihipStream_tbENKUlT_T0_E_clISt17integral_constantIbLb0EES10_IbLb1EEEEDaSW_SX_EUlSW_E_NS1_11comp_targetILNS1_3genE3ELNS1_11target_archE908ELNS1_3gpuE7ELNS1_3repE0EEENS1_30default_config_static_selectorELNS0_4arch9wavefront6targetE1EEEvT1_
	.globl	_ZN7rocprim17ROCPRIM_400000_NS6detail17trampoline_kernelINS0_14default_configENS1_27scan_by_key_config_selectorIisEEZZNS1_16scan_by_key_implILNS1_25lookback_scan_determinismE0ELb0ES3_N6thrust23THRUST_200600_302600_NS6detail15normal_iteratorINS9_10device_ptrIiEEEENSB_INSC_IsEEEESG_sNS9_4plusIvEENS9_8equal_toIvEEsEE10hipError_tPvRmT2_T3_T4_T5_mT6_T7_P12ihipStream_tbENKUlT_T0_E_clISt17integral_constantIbLb0EES10_IbLb1EEEEDaSW_SX_EUlSW_E_NS1_11comp_targetILNS1_3genE3ELNS1_11target_archE908ELNS1_3gpuE7ELNS1_3repE0EEENS1_30default_config_static_selectorELNS0_4arch9wavefront6targetE1EEEvT1_
	.p2align	8
	.type	_ZN7rocprim17ROCPRIM_400000_NS6detail17trampoline_kernelINS0_14default_configENS1_27scan_by_key_config_selectorIisEEZZNS1_16scan_by_key_implILNS1_25lookback_scan_determinismE0ELb0ES3_N6thrust23THRUST_200600_302600_NS6detail15normal_iteratorINS9_10device_ptrIiEEEENSB_INSC_IsEEEESG_sNS9_4plusIvEENS9_8equal_toIvEEsEE10hipError_tPvRmT2_T3_T4_T5_mT6_T7_P12ihipStream_tbENKUlT_T0_E_clISt17integral_constantIbLb0EES10_IbLb1EEEEDaSW_SX_EUlSW_E_NS1_11comp_targetILNS1_3genE3ELNS1_11target_archE908ELNS1_3gpuE7ELNS1_3repE0EEENS1_30default_config_static_selectorELNS0_4arch9wavefront6targetE1EEEvT1_,@function
_ZN7rocprim17ROCPRIM_400000_NS6detail17trampoline_kernelINS0_14default_configENS1_27scan_by_key_config_selectorIisEEZZNS1_16scan_by_key_implILNS1_25lookback_scan_determinismE0ELb0ES3_N6thrust23THRUST_200600_302600_NS6detail15normal_iteratorINS9_10device_ptrIiEEEENSB_INSC_IsEEEESG_sNS9_4plusIvEENS9_8equal_toIvEEsEE10hipError_tPvRmT2_T3_T4_T5_mT6_T7_P12ihipStream_tbENKUlT_T0_E_clISt17integral_constantIbLb0EES10_IbLb1EEEEDaSW_SX_EUlSW_E_NS1_11comp_targetILNS1_3genE3ELNS1_11target_archE908ELNS1_3gpuE7ELNS1_3repE0EEENS1_30default_config_static_selectorELNS0_4arch9wavefront6targetE1EEEvT1_: ; @_ZN7rocprim17ROCPRIM_400000_NS6detail17trampoline_kernelINS0_14default_configENS1_27scan_by_key_config_selectorIisEEZZNS1_16scan_by_key_implILNS1_25lookback_scan_determinismE0ELb0ES3_N6thrust23THRUST_200600_302600_NS6detail15normal_iteratorINS9_10device_ptrIiEEEENSB_INSC_IsEEEESG_sNS9_4plusIvEENS9_8equal_toIvEEsEE10hipError_tPvRmT2_T3_T4_T5_mT6_T7_P12ihipStream_tbENKUlT_T0_E_clISt17integral_constantIbLb0EES10_IbLb1EEEEDaSW_SX_EUlSW_E_NS1_11comp_targetILNS1_3genE3ELNS1_11target_archE908ELNS1_3gpuE7ELNS1_3repE0EEENS1_30default_config_static_selectorELNS0_4arch9wavefront6targetE1EEEvT1_
; %bb.0:
	.section	.rodata,"a",@progbits
	.p2align	6, 0x0
	.amdhsa_kernel _ZN7rocprim17ROCPRIM_400000_NS6detail17trampoline_kernelINS0_14default_configENS1_27scan_by_key_config_selectorIisEEZZNS1_16scan_by_key_implILNS1_25lookback_scan_determinismE0ELb0ES3_N6thrust23THRUST_200600_302600_NS6detail15normal_iteratorINS9_10device_ptrIiEEEENSB_INSC_IsEEEESG_sNS9_4plusIvEENS9_8equal_toIvEEsEE10hipError_tPvRmT2_T3_T4_T5_mT6_T7_P12ihipStream_tbENKUlT_T0_E_clISt17integral_constantIbLb0EES10_IbLb1EEEEDaSW_SX_EUlSW_E_NS1_11comp_targetILNS1_3genE3ELNS1_11target_archE908ELNS1_3gpuE7ELNS1_3repE0EEENS1_30default_config_static_selectorELNS0_4arch9wavefront6targetE1EEEvT1_
		.amdhsa_group_segment_fixed_size 0
		.amdhsa_private_segment_fixed_size 0
		.amdhsa_kernarg_size 112
		.amdhsa_user_sgpr_count 2
		.amdhsa_user_sgpr_dispatch_ptr 0
		.amdhsa_user_sgpr_queue_ptr 0
		.amdhsa_user_sgpr_kernarg_segment_ptr 1
		.amdhsa_user_sgpr_dispatch_id 0
		.amdhsa_user_sgpr_kernarg_preload_length 0
		.amdhsa_user_sgpr_kernarg_preload_offset 0
		.amdhsa_user_sgpr_private_segment_size 0
		.amdhsa_uses_dynamic_stack 0
		.amdhsa_enable_private_segment 0
		.amdhsa_system_sgpr_workgroup_id_x 1
		.amdhsa_system_sgpr_workgroup_id_y 0
		.amdhsa_system_sgpr_workgroup_id_z 0
		.amdhsa_system_sgpr_workgroup_info 0
		.amdhsa_system_vgpr_workitem_id 0
		.amdhsa_next_free_vgpr 1
		.amdhsa_next_free_sgpr 0
		.amdhsa_accum_offset 4
		.amdhsa_reserve_vcc 0
		.amdhsa_float_round_mode_32 0
		.amdhsa_float_round_mode_16_64 0
		.amdhsa_float_denorm_mode_32 3
		.amdhsa_float_denorm_mode_16_64 3
		.amdhsa_dx10_clamp 1
		.amdhsa_ieee_mode 1
		.amdhsa_fp16_overflow 0
		.amdhsa_tg_split 0
		.amdhsa_exception_fp_ieee_invalid_op 0
		.amdhsa_exception_fp_denorm_src 0
		.amdhsa_exception_fp_ieee_div_zero 0
		.amdhsa_exception_fp_ieee_overflow 0
		.amdhsa_exception_fp_ieee_underflow 0
		.amdhsa_exception_fp_ieee_inexact 0
		.amdhsa_exception_int_div_zero 0
	.end_amdhsa_kernel
	.section	.text._ZN7rocprim17ROCPRIM_400000_NS6detail17trampoline_kernelINS0_14default_configENS1_27scan_by_key_config_selectorIisEEZZNS1_16scan_by_key_implILNS1_25lookback_scan_determinismE0ELb0ES3_N6thrust23THRUST_200600_302600_NS6detail15normal_iteratorINS9_10device_ptrIiEEEENSB_INSC_IsEEEESG_sNS9_4plusIvEENS9_8equal_toIvEEsEE10hipError_tPvRmT2_T3_T4_T5_mT6_T7_P12ihipStream_tbENKUlT_T0_E_clISt17integral_constantIbLb0EES10_IbLb1EEEEDaSW_SX_EUlSW_E_NS1_11comp_targetILNS1_3genE3ELNS1_11target_archE908ELNS1_3gpuE7ELNS1_3repE0EEENS1_30default_config_static_selectorELNS0_4arch9wavefront6targetE1EEEvT1_,"axG",@progbits,_ZN7rocprim17ROCPRIM_400000_NS6detail17trampoline_kernelINS0_14default_configENS1_27scan_by_key_config_selectorIisEEZZNS1_16scan_by_key_implILNS1_25lookback_scan_determinismE0ELb0ES3_N6thrust23THRUST_200600_302600_NS6detail15normal_iteratorINS9_10device_ptrIiEEEENSB_INSC_IsEEEESG_sNS9_4plusIvEENS9_8equal_toIvEEsEE10hipError_tPvRmT2_T3_T4_T5_mT6_T7_P12ihipStream_tbENKUlT_T0_E_clISt17integral_constantIbLb0EES10_IbLb1EEEEDaSW_SX_EUlSW_E_NS1_11comp_targetILNS1_3genE3ELNS1_11target_archE908ELNS1_3gpuE7ELNS1_3repE0EEENS1_30default_config_static_selectorELNS0_4arch9wavefront6targetE1EEEvT1_,comdat
.Lfunc_end1386:
	.size	_ZN7rocprim17ROCPRIM_400000_NS6detail17trampoline_kernelINS0_14default_configENS1_27scan_by_key_config_selectorIisEEZZNS1_16scan_by_key_implILNS1_25lookback_scan_determinismE0ELb0ES3_N6thrust23THRUST_200600_302600_NS6detail15normal_iteratorINS9_10device_ptrIiEEEENSB_INSC_IsEEEESG_sNS9_4plusIvEENS9_8equal_toIvEEsEE10hipError_tPvRmT2_T3_T4_T5_mT6_T7_P12ihipStream_tbENKUlT_T0_E_clISt17integral_constantIbLb0EES10_IbLb1EEEEDaSW_SX_EUlSW_E_NS1_11comp_targetILNS1_3genE3ELNS1_11target_archE908ELNS1_3gpuE7ELNS1_3repE0EEENS1_30default_config_static_selectorELNS0_4arch9wavefront6targetE1EEEvT1_, .Lfunc_end1386-_ZN7rocprim17ROCPRIM_400000_NS6detail17trampoline_kernelINS0_14default_configENS1_27scan_by_key_config_selectorIisEEZZNS1_16scan_by_key_implILNS1_25lookback_scan_determinismE0ELb0ES3_N6thrust23THRUST_200600_302600_NS6detail15normal_iteratorINS9_10device_ptrIiEEEENSB_INSC_IsEEEESG_sNS9_4plusIvEENS9_8equal_toIvEEsEE10hipError_tPvRmT2_T3_T4_T5_mT6_T7_P12ihipStream_tbENKUlT_T0_E_clISt17integral_constantIbLb0EES10_IbLb1EEEEDaSW_SX_EUlSW_E_NS1_11comp_targetILNS1_3genE3ELNS1_11target_archE908ELNS1_3gpuE7ELNS1_3repE0EEENS1_30default_config_static_selectorELNS0_4arch9wavefront6targetE1EEEvT1_
                                        ; -- End function
	.section	.AMDGPU.csdata,"",@progbits
; Kernel info:
; codeLenInByte = 0
; NumSgprs: 6
; NumVgprs: 0
; NumAgprs: 0
; TotalNumVgprs: 0
; ScratchSize: 0
; MemoryBound: 0
; FloatMode: 240
; IeeeMode: 1
; LDSByteSize: 0 bytes/workgroup (compile time only)
; SGPRBlocks: 0
; VGPRBlocks: 0
; NumSGPRsForWavesPerEU: 6
; NumVGPRsForWavesPerEU: 1
; AccumOffset: 4
; Occupancy: 8
; WaveLimiterHint : 0
; COMPUTE_PGM_RSRC2:SCRATCH_EN: 0
; COMPUTE_PGM_RSRC2:USER_SGPR: 2
; COMPUTE_PGM_RSRC2:TRAP_HANDLER: 0
; COMPUTE_PGM_RSRC2:TGID_X_EN: 1
; COMPUTE_PGM_RSRC2:TGID_Y_EN: 0
; COMPUTE_PGM_RSRC2:TGID_Z_EN: 0
; COMPUTE_PGM_RSRC2:TIDIG_COMP_CNT: 0
; COMPUTE_PGM_RSRC3_GFX90A:ACCUM_OFFSET: 0
; COMPUTE_PGM_RSRC3_GFX90A:TG_SPLIT: 0
	.section	.text._ZN7rocprim17ROCPRIM_400000_NS6detail17trampoline_kernelINS0_14default_configENS1_27scan_by_key_config_selectorIisEEZZNS1_16scan_by_key_implILNS1_25lookback_scan_determinismE0ELb0ES3_N6thrust23THRUST_200600_302600_NS6detail15normal_iteratorINS9_10device_ptrIiEEEENSB_INSC_IsEEEESG_sNS9_4plusIvEENS9_8equal_toIvEEsEE10hipError_tPvRmT2_T3_T4_T5_mT6_T7_P12ihipStream_tbENKUlT_T0_E_clISt17integral_constantIbLb0EES10_IbLb1EEEEDaSW_SX_EUlSW_E_NS1_11comp_targetILNS1_3genE2ELNS1_11target_archE906ELNS1_3gpuE6ELNS1_3repE0EEENS1_30default_config_static_selectorELNS0_4arch9wavefront6targetE1EEEvT1_,"axG",@progbits,_ZN7rocprim17ROCPRIM_400000_NS6detail17trampoline_kernelINS0_14default_configENS1_27scan_by_key_config_selectorIisEEZZNS1_16scan_by_key_implILNS1_25lookback_scan_determinismE0ELb0ES3_N6thrust23THRUST_200600_302600_NS6detail15normal_iteratorINS9_10device_ptrIiEEEENSB_INSC_IsEEEESG_sNS9_4plusIvEENS9_8equal_toIvEEsEE10hipError_tPvRmT2_T3_T4_T5_mT6_T7_P12ihipStream_tbENKUlT_T0_E_clISt17integral_constantIbLb0EES10_IbLb1EEEEDaSW_SX_EUlSW_E_NS1_11comp_targetILNS1_3genE2ELNS1_11target_archE906ELNS1_3gpuE6ELNS1_3repE0EEENS1_30default_config_static_selectorELNS0_4arch9wavefront6targetE1EEEvT1_,comdat
	.protected	_ZN7rocprim17ROCPRIM_400000_NS6detail17trampoline_kernelINS0_14default_configENS1_27scan_by_key_config_selectorIisEEZZNS1_16scan_by_key_implILNS1_25lookback_scan_determinismE0ELb0ES3_N6thrust23THRUST_200600_302600_NS6detail15normal_iteratorINS9_10device_ptrIiEEEENSB_INSC_IsEEEESG_sNS9_4plusIvEENS9_8equal_toIvEEsEE10hipError_tPvRmT2_T3_T4_T5_mT6_T7_P12ihipStream_tbENKUlT_T0_E_clISt17integral_constantIbLb0EES10_IbLb1EEEEDaSW_SX_EUlSW_E_NS1_11comp_targetILNS1_3genE2ELNS1_11target_archE906ELNS1_3gpuE6ELNS1_3repE0EEENS1_30default_config_static_selectorELNS0_4arch9wavefront6targetE1EEEvT1_ ; -- Begin function _ZN7rocprim17ROCPRIM_400000_NS6detail17trampoline_kernelINS0_14default_configENS1_27scan_by_key_config_selectorIisEEZZNS1_16scan_by_key_implILNS1_25lookback_scan_determinismE0ELb0ES3_N6thrust23THRUST_200600_302600_NS6detail15normal_iteratorINS9_10device_ptrIiEEEENSB_INSC_IsEEEESG_sNS9_4plusIvEENS9_8equal_toIvEEsEE10hipError_tPvRmT2_T3_T4_T5_mT6_T7_P12ihipStream_tbENKUlT_T0_E_clISt17integral_constantIbLb0EES10_IbLb1EEEEDaSW_SX_EUlSW_E_NS1_11comp_targetILNS1_3genE2ELNS1_11target_archE906ELNS1_3gpuE6ELNS1_3repE0EEENS1_30default_config_static_selectorELNS0_4arch9wavefront6targetE1EEEvT1_
	.globl	_ZN7rocprim17ROCPRIM_400000_NS6detail17trampoline_kernelINS0_14default_configENS1_27scan_by_key_config_selectorIisEEZZNS1_16scan_by_key_implILNS1_25lookback_scan_determinismE0ELb0ES3_N6thrust23THRUST_200600_302600_NS6detail15normal_iteratorINS9_10device_ptrIiEEEENSB_INSC_IsEEEESG_sNS9_4plusIvEENS9_8equal_toIvEEsEE10hipError_tPvRmT2_T3_T4_T5_mT6_T7_P12ihipStream_tbENKUlT_T0_E_clISt17integral_constantIbLb0EES10_IbLb1EEEEDaSW_SX_EUlSW_E_NS1_11comp_targetILNS1_3genE2ELNS1_11target_archE906ELNS1_3gpuE6ELNS1_3repE0EEENS1_30default_config_static_selectorELNS0_4arch9wavefront6targetE1EEEvT1_
	.p2align	8
	.type	_ZN7rocprim17ROCPRIM_400000_NS6detail17trampoline_kernelINS0_14default_configENS1_27scan_by_key_config_selectorIisEEZZNS1_16scan_by_key_implILNS1_25lookback_scan_determinismE0ELb0ES3_N6thrust23THRUST_200600_302600_NS6detail15normal_iteratorINS9_10device_ptrIiEEEENSB_INSC_IsEEEESG_sNS9_4plusIvEENS9_8equal_toIvEEsEE10hipError_tPvRmT2_T3_T4_T5_mT6_T7_P12ihipStream_tbENKUlT_T0_E_clISt17integral_constantIbLb0EES10_IbLb1EEEEDaSW_SX_EUlSW_E_NS1_11comp_targetILNS1_3genE2ELNS1_11target_archE906ELNS1_3gpuE6ELNS1_3repE0EEENS1_30default_config_static_selectorELNS0_4arch9wavefront6targetE1EEEvT1_,@function
_ZN7rocprim17ROCPRIM_400000_NS6detail17trampoline_kernelINS0_14default_configENS1_27scan_by_key_config_selectorIisEEZZNS1_16scan_by_key_implILNS1_25lookback_scan_determinismE0ELb0ES3_N6thrust23THRUST_200600_302600_NS6detail15normal_iteratorINS9_10device_ptrIiEEEENSB_INSC_IsEEEESG_sNS9_4plusIvEENS9_8equal_toIvEEsEE10hipError_tPvRmT2_T3_T4_T5_mT6_T7_P12ihipStream_tbENKUlT_T0_E_clISt17integral_constantIbLb0EES10_IbLb1EEEEDaSW_SX_EUlSW_E_NS1_11comp_targetILNS1_3genE2ELNS1_11target_archE906ELNS1_3gpuE6ELNS1_3repE0EEENS1_30default_config_static_selectorELNS0_4arch9wavefront6targetE1EEEvT1_: ; @_ZN7rocprim17ROCPRIM_400000_NS6detail17trampoline_kernelINS0_14default_configENS1_27scan_by_key_config_selectorIisEEZZNS1_16scan_by_key_implILNS1_25lookback_scan_determinismE0ELb0ES3_N6thrust23THRUST_200600_302600_NS6detail15normal_iteratorINS9_10device_ptrIiEEEENSB_INSC_IsEEEESG_sNS9_4plusIvEENS9_8equal_toIvEEsEE10hipError_tPvRmT2_T3_T4_T5_mT6_T7_P12ihipStream_tbENKUlT_T0_E_clISt17integral_constantIbLb0EES10_IbLb1EEEEDaSW_SX_EUlSW_E_NS1_11comp_targetILNS1_3genE2ELNS1_11target_archE906ELNS1_3gpuE6ELNS1_3repE0EEENS1_30default_config_static_selectorELNS0_4arch9wavefront6targetE1EEEvT1_
; %bb.0:
	.section	.rodata,"a",@progbits
	.p2align	6, 0x0
	.amdhsa_kernel _ZN7rocprim17ROCPRIM_400000_NS6detail17trampoline_kernelINS0_14default_configENS1_27scan_by_key_config_selectorIisEEZZNS1_16scan_by_key_implILNS1_25lookback_scan_determinismE0ELb0ES3_N6thrust23THRUST_200600_302600_NS6detail15normal_iteratorINS9_10device_ptrIiEEEENSB_INSC_IsEEEESG_sNS9_4plusIvEENS9_8equal_toIvEEsEE10hipError_tPvRmT2_T3_T4_T5_mT6_T7_P12ihipStream_tbENKUlT_T0_E_clISt17integral_constantIbLb0EES10_IbLb1EEEEDaSW_SX_EUlSW_E_NS1_11comp_targetILNS1_3genE2ELNS1_11target_archE906ELNS1_3gpuE6ELNS1_3repE0EEENS1_30default_config_static_selectorELNS0_4arch9wavefront6targetE1EEEvT1_
		.amdhsa_group_segment_fixed_size 0
		.amdhsa_private_segment_fixed_size 0
		.amdhsa_kernarg_size 112
		.amdhsa_user_sgpr_count 2
		.amdhsa_user_sgpr_dispatch_ptr 0
		.amdhsa_user_sgpr_queue_ptr 0
		.amdhsa_user_sgpr_kernarg_segment_ptr 1
		.amdhsa_user_sgpr_dispatch_id 0
		.amdhsa_user_sgpr_kernarg_preload_length 0
		.amdhsa_user_sgpr_kernarg_preload_offset 0
		.amdhsa_user_sgpr_private_segment_size 0
		.amdhsa_uses_dynamic_stack 0
		.amdhsa_enable_private_segment 0
		.amdhsa_system_sgpr_workgroup_id_x 1
		.amdhsa_system_sgpr_workgroup_id_y 0
		.amdhsa_system_sgpr_workgroup_id_z 0
		.amdhsa_system_sgpr_workgroup_info 0
		.amdhsa_system_vgpr_workitem_id 0
		.amdhsa_next_free_vgpr 1
		.amdhsa_next_free_sgpr 0
		.amdhsa_accum_offset 4
		.amdhsa_reserve_vcc 0
		.amdhsa_float_round_mode_32 0
		.amdhsa_float_round_mode_16_64 0
		.amdhsa_float_denorm_mode_32 3
		.amdhsa_float_denorm_mode_16_64 3
		.amdhsa_dx10_clamp 1
		.amdhsa_ieee_mode 1
		.amdhsa_fp16_overflow 0
		.amdhsa_tg_split 0
		.amdhsa_exception_fp_ieee_invalid_op 0
		.amdhsa_exception_fp_denorm_src 0
		.amdhsa_exception_fp_ieee_div_zero 0
		.amdhsa_exception_fp_ieee_overflow 0
		.amdhsa_exception_fp_ieee_underflow 0
		.amdhsa_exception_fp_ieee_inexact 0
		.amdhsa_exception_int_div_zero 0
	.end_amdhsa_kernel
	.section	.text._ZN7rocprim17ROCPRIM_400000_NS6detail17trampoline_kernelINS0_14default_configENS1_27scan_by_key_config_selectorIisEEZZNS1_16scan_by_key_implILNS1_25lookback_scan_determinismE0ELb0ES3_N6thrust23THRUST_200600_302600_NS6detail15normal_iteratorINS9_10device_ptrIiEEEENSB_INSC_IsEEEESG_sNS9_4plusIvEENS9_8equal_toIvEEsEE10hipError_tPvRmT2_T3_T4_T5_mT6_T7_P12ihipStream_tbENKUlT_T0_E_clISt17integral_constantIbLb0EES10_IbLb1EEEEDaSW_SX_EUlSW_E_NS1_11comp_targetILNS1_3genE2ELNS1_11target_archE906ELNS1_3gpuE6ELNS1_3repE0EEENS1_30default_config_static_selectorELNS0_4arch9wavefront6targetE1EEEvT1_,"axG",@progbits,_ZN7rocprim17ROCPRIM_400000_NS6detail17trampoline_kernelINS0_14default_configENS1_27scan_by_key_config_selectorIisEEZZNS1_16scan_by_key_implILNS1_25lookback_scan_determinismE0ELb0ES3_N6thrust23THRUST_200600_302600_NS6detail15normal_iteratorINS9_10device_ptrIiEEEENSB_INSC_IsEEEESG_sNS9_4plusIvEENS9_8equal_toIvEEsEE10hipError_tPvRmT2_T3_T4_T5_mT6_T7_P12ihipStream_tbENKUlT_T0_E_clISt17integral_constantIbLb0EES10_IbLb1EEEEDaSW_SX_EUlSW_E_NS1_11comp_targetILNS1_3genE2ELNS1_11target_archE906ELNS1_3gpuE6ELNS1_3repE0EEENS1_30default_config_static_selectorELNS0_4arch9wavefront6targetE1EEEvT1_,comdat
.Lfunc_end1387:
	.size	_ZN7rocprim17ROCPRIM_400000_NS6detail17trampoline_kernelINS0_14default_configENS1_27scan_by_key_config_selectorIisEEZZNS1_16scan_by_key_implILNS1_25lookback_scan_determinismE0ELb0ES3_N6thrust23THRUST_200600_302600_NS6detail15normal_iteratorINS9_10device_ptrIiEEEENSB_INSC_IsEEEESG_sNS9_4plusIvEENS9_8equal_toIvEEsEE10hipError_tPvRmT2_T3_T4_T5_mT6_T7_P12ihipStream_tbENKUlT_T0_E_clISt17integral_constantIbLb0EES10_IbLb1EEEEDaSW_SX_EUlSW_E_NS1_11comp_targetILNS1_3genE2ELNS1_11target_archE906ELNS1_3gpuE6ELNS1_3repE0EEENS1_30default_config_static_selectorELNS0_4arch9wavefront6targetE1EEEvT1_, .Lfunc_end1387-_ZN7rocprim17ROCPRIM_400000_NS6detail17trampoline_kernelINS0_14default_configENS1_27scan_by_key_config_selectorIisEEZZNS1_16scan_by_key_implILNS1_25lookback_scan_determinismE0ELb0ES3_N6thrust23THRUST_200600_302600_NS6detail15normal_iteratorINS9_10device_ptrIiEEEENSB_INSC_IsEEEESG_sNS9_4plusIvEENS9_8equal_toIvEEsEE10hipError_tPvRmT2_T3_T4_T5_mT6_T7_P12ihipStream_tbENKUlT_T0_E_clISt17integral_constantIbLb0EES10_IbLb1EEEEDaSW_SX_EUlSW_E_NS1_11comp_targetILNS1_3genE2ELNS1_11target_archE906ELNS1_3gpuE6ELNS1_3repE0EEENS1_30default_config_static_selectorELNS0_4arch9wavefront6targetE1EEEvT1_
                                        ; -- End function
	.section	.AMDGPU.csdata,"",@progbits
; Kernel info:
; codeLenInByte = 0
; NumSgprs: 6
; NumVgprs: 0
; NumAgprs: 0
; TotalNumVgprs: 0
; ScratchSize: 0
; MemoryBound: 0
; FloatMode: 240
; IeeeMode: 1
; LDSByteSize: 0 bytes/workgroup (compile time only)
; SGPRBlocks: 0
; VGPRBlocks: 0
; NumSGPRsForWavesPerEU: 6
; NumVGPRsForWavesPerEU: 1
; AccumOffset: 4
; Occupancy: 8
; WaveLimiterHint : 0
; COMPUTE_PGM_RSRC2:SCRATCH_EN: 0
; COMPUTE_PGM_RSRC2:USER_SGPR: 2
; COMPUTE_PGM_RSRC2:TRAP_HANDLER: 0
; COMPUTE_PGM_RSRC2:TGID_X_EN: 1
; COMPUTE_PGM_RSRC2:TGID_Y_EN: 0
; COMPUTE_PGM_RSRC2:TGID_Z_EN: 0
; COMPUTE_PGM_RSRC2:TIDIG_COMP_CNT: 0
; COMPUTE_PGM_RSRC3_GFX90A:ACCUM_OFFSET: 0
; COMPUTE_PGM_RSRC3_GFX90A:TG_SPLIT: 0
	.section	.text._ZN7rocprim17ROCPRIM_400000_NS6detail17trampoline_kernelINS0_14default_configENS1_27scan_by_key_config_selectorIisEEZZNS1_16scan_by_key_implILNS1_25lookback_scan_determinismE0ELb0ES3_N6thrust23THRUST_200600_302600_NS6detail15normal_iteratorINS9_10device_ptrIiEEEENSB_INSC_IsEEEESG_sNS9_4plusIvEENS9_8equal_toIvEEsEE10hipError_tPvRmT2_T3_T4_T5_mT6_T7_P12ihipStream_tbENKUlT_T0_E_clISt17integral_constantIbLb0EES10_IbLb1EEEEDaSW_SX_EUlSW_E_NS1_11comp_targetILNS1_3genE10ELNS1_11target_archE1200ELNS1_3gpuE4ELNS1_3repE0EEENS1_30default_config_static_selectorELNS0_4arch9wavefront6targetE1EEEvT1_,"axG",@progbits,_ZN7rocprim17ROCPRIM_400000_NS6detail17trampoline_kernelINS0_14default_configENS1_27scan_by_key_config_selectorIisEEZZNS1_16scan_by_key_implILNS1_25lookback_scan_determinismE0ELb0ES3_N6thrust23THRUST_200600_302600_NS6detail15normal_iteratorINS9_10device_ptrIiEEEENSB_INSC_IsEEEESG_sNS9_4plusIvEENS9_8equal_toIvEEsEE10hipError_tPvRmT2_T3_T4_T5_mT6_T7_P12ihipStream_tbENKUlT_T0_E_clISt17integral_constantIbLb0EES10_IbLb1EEEEDaSW_SX_EUlSW_E_NS1_11comp_targetILNS1_3genE10ELNS1_11target_archE1200ELNS1_3gpuE4ELNS1_3repE0EEENS1_30default_config_static_selectorELNS0_4arch9wavefront6targetE1EEEvT1_,comdat
	.protected	_ZN7rocprim17ROCPRIM_400000_NS6detail17trampoline_kernelINS0_14default_configENS1_27scan_by_key_config_selectorIisEEZZNS1_16scan_by_key_implILNS1_25lookback_scan_determinismE0ELb0ES3_N6thrust23THRUST_200600_302600_NS6detail15normal_iteratorINS9_10device_ptrIiEEEENSB_INSC_IsEEEESG_sNS9_4plusIvEENS9_8equal_toIvEEsEE10hipError_tPvRmT2_T3_T4_T5_mT6_T7_P12ihipStream_tbENKUlT_T0_E_clISt17integral_constantIbLb0EES10_IbLb1EEEEDaSW_SX_EUlSW_E_NS1_11comp_targetILNS1_3genE10ELNS1_11target_archE1200ELNS1_3gpuE4ELNS1_3repE0EEENS1_30default_config_static_selectorELNS0_4arch9wavefront6targetE1EEEvT1_ ; -- Begin function _ZN7rocprim17ROCPRIM_400000_NS6detail17trampoline_kernelINS0_14default_configENS1_27scan_by_key_config_selectorIisEEZZNS1_16scan_by_key_implILNS1_25lookback_scan_determinismE0ELb0ES3_N6thrust23THRUST_200600_302600_NS6detail15normal_iteratorINS9_10device_ptrIiEEEENSB_INSC_IsEEEESG_sNS9_4plusIvEENS9_8equal_toIvEEsEE10hipError_tPvRmT2_T3_T4_T5_mT6_T7_P12ihipStream_tbENKUlT_T0_E_clISt17integral_constantIbLb0EES10_IbLb1EEEEDaSW_SX_EUlSW_E_NS1_11comp_targetILNS1_3genE10ELNS1_11target_archE1200ELNS1_3gpuE4ELNS1_3repE0EEENS1_30default_config_static_selectorELNS0_4arch9wavefront6targetE1EEEvT1_
	.globl	_ZN7rocprim17ROCPRIM_400000_NS6detail17trampoline_kernelINS0_14default_configENS1_27scan_by_key_config_selectorIisEEZZNS1_16scan_by_key_implILNS1_25lookback_scan_determinismE0ELb0ES3_N6thrust23THRUST_200600_302600_NS6detail15normal_iteratorINS9_10device_ptrIiEEEENSB_INSC_IsEEEESG_sNS9_4plusIvEENS9_8equal_toIvEEsEE10hipError_tPvRmT2_T3_T4_T5_mT6_T7_P12ihipStream_tbENKUlT_T0_E_clISt17integral_constantIbLb0EES10_IbLb1EEEEDaSW_SX_EUlSW_E_NS1_11comp_targetILNS1_3genE10ELNS1_11target_archE1200ELNS1_3gpuE4ELNS1_3repE0EEENS1_30default_config_static_selectorELNS0_4arch9wavefront6targetE1EEEvT1_
	.p2align	8
	.type	_ZN7rocprim17ROCPRIM_400000_NS6detail17trampoline_kernelINS0_14default_configENS1_27scan_by_key_config_selectorIisEEZZNS1_16scan_by_key_implILNS1_25lookback_scan_determinismE0ELb0ES3_N6thrust23THRUST_200600_302600_NS6detail15normal_iteratorINS9_10device_ptrIiEEEENSB_INSC_IsEEEESG_sNS9_4plusIvEENS9_8equal_toIvEEsEE10hipError_tPvRmT2_T3_T4_T5_mT6_T7_P12ihipStream_tbENKUlT_T0_E_clISt17integral_constantIbLb0EES10_IbLb1EEEEDaSW_SX_EUlSW_E_NS1_11comp_targetILNS1_3genE10ELNS1_11target_archE1200ELNS1_3gpuE4ELNS1_3repE0EEENS1_30default_config_static_selectorELNS0_4arch9wavefront6targetE1EEEvT1_,@function
_ZN7rocprim17ROCPRIM_400000_NS6detail17trampoline_kernelINS0_14default_configENS1_27scan_by_key_config_selectorIisEEZZNS1_16scan_by_key_implILNS1_25lookback_scan_determinismE0ELb0ES3_N6thrust23THRUST_200600_302600_NS6detail15normal_iteratorINS9_10device_ptrIiEEEENSB_INSC_IsEEEESG_sNS9_4plusIvEENS9_8equal_toIvEEsEE10hipError_tPvRmT2_T3_T4_T5_mT6_T7_P12ihipStream_tbENKUlT_T0_E_clISt17integral_constantIbLb0EES10_IbLb1EEEEDaSW_SX_EUlSW_E_NS1_11comp_targetILNS1_3genE10ELNS1_11target_archE1200ELNS1_3gpuE4ELNS1_3repE0EEENS1_30default_config_static_selectorELNS0_4arch9wavefront6targetE1EEEvT1_: ; @_ZN7rocprim17ROCPRIM_400000_NS6detail17trampoline_kernelINS0_14default_configENS1_27scan_by_key_config_selectorIisEEZZNS1_16scan_by_key_implILNS1_25lookback_scan_determinismE0ELb0ES3_N6thrust23THRUST_200600_302600_NS6detail15normal_iteratorINS9_10device_ptrIiEEEENSB_INSC_IsEEEESG_sNS9_4plusIvEENS9_8equal_toIvEEsEE10hipError_tPvRmT2_T3_T4_T5_mT6_T7_P12ihipStream_tbENKUlT_T0_E_clISt17integral_constantIbLb0EES10_IbLb1EEEEDaSW_SX_EUlSW_E_NS1_11comp_targetILNS1_3genE10ELNS1_11target_archE1200ELNS1_3gpuE4ELNS1_3repE0EEENS1_30default_config_static_selectorELNS0_4arch9wavefront6targetE1EEEvT1_
; %bb.0:
	.section	.rodata,"a",@progbits
	.p2align	6, 0x0
	.amdhsa_kernel _ZN7rocprim17ROCPRIM_400000_NS6detail17trampoline_kernelINS0_14default_configENS1_27scan_by_key_config_selectorIisEEZZNS1_16scan_by_key_implILNS1_25lookback_scan_determinismE0ELb0ES3_N6thrust23THRUST_200600_302600_NS6detail15normal_iteratorINS9_10device_ptrIiEEEENSB_INSC_IsEEEESG_sNS9_4plusIvEENS9_8equal_toIvEEsEE10hipError_tPvRmT2_T3_T4_T5_mT6_T7_P12ihipStream_tbENKUlT_T0_E_clISt17integral_constantIbLb0EES10_IbLb1EEEEDaSW_SX_EUlSW_E_NS1_11comp_targetILNS1_3genE10ELNS1_11target_archE1200ELNS1_3gpuE4ELNS1_3repE0EEENS1_30default_config_static_selectorELNS0_4arch9wavefront6targetE1EEEvT1_
		.amdhsa_group_segment_fixed_size 0
		.amdhsa_private_segment_fixed_size 0
		.amdhsa_kernarg_size 112
		.amdhsa_user_sgpr_count 2
		.amdhsa_user_sgpr_dispatch_ptr 0
		.amdhsa_user_sgpr_queue_ptr 0
		.amdhsa_user_sgpr_kernarg_segment_ptr 1
		.amdhsa_user_sgpr_dispatch_id 0
		.amdhsa_user_sgpr_kernarg_preload_length 0
		.amdhsa_user_sgpr_kernarg_preload_offset 0
		.amdhsa_user_sgpr_private_segment_size 0
		.amdhsa_uses_dynamic_stack 0
		.amdhsa_enable_private_segment 0
		.amdhsa_system_sgpr_workgroup_id_x 1
		.amdhsa_system_sgpr_workgroup_id_y 0
		.amdhsa_system_sgpr_workgroup_id_z 0
		.amdhsa_system_sgpr_workgroup_info 0
		.amdhsa_system_vgpr_workitem_id 0
		.amdhsa_next_free_vgpr 1
		.amdhsa_next_free_sgpr 0
		.amdhsa_accum_offset 4
		.amdhsa_reserve_vcc 0
		.amdhsa_float_round_mode_32 0
		.amdhsa_float_round_mode_16_64 0
		.amdhsa_float_denorm_mode_32 3
		.amdhsa_float_denorm_mode_16_64 3
		.amdhsa_dx10_clamp 1
		.amdhsa_ieee_mode 1
		.amdhsa_fp16_overflow 0
		.amdhsa_tg_split 0
		.amdhsa_exception_fp_ieee_invalid_op 0
		.amdhsa_exception_fp_denorm_src 0
		.amdhsa_exception_fp_ieee_div_zero 0
		.amdhsa_exception_fp_ieee_overflow 0
		.amdhsa_exception_fp_ieee_underflow 0
		.amdhsa_exception_fp_ieee_inexact 0
		.amdhsa_exception_int_div_zero 0
	.end_amdhsa_kernel
	.section	.text._ZN7rocprim17ROCPRIM_400000_NS6detail17trampoline_kernelINS0_14default_configENS1_27scan_by_key_config_selectorIisEEZZNS1_16scan_by_key_implILNS1_25lookback_scan_determinismE0ELb0ES3_N6thrust23THRUST_200600_302600_NS6detail15normal_iteratorINS9_10device_ptrIiEEEENSB_INSC_IsEEEESG_sNS9_4plusIvEENS9_8equal_toIvEEsEE10hipError_tPvRmT2_T3_T4_T5_mT6_T7_P12ihipStream_tbENKUlT_T0_E_clISt17integral_constantIbLb0EES10_IbLb1EEEEDaSW_SX_EUlSW_E_NS1_11comp_targetILNS1_3genE10ELNS1_11target_archE1200ELNS1_3gpuE4ELNS1_3repE0EEENS1_30default_config_static_selectorELNS0_4arch9wavefront6targetE1EEEvT1_,"axG",@progbits,_ZN7rocprim17ROCPRIM_400000_NS6detail17trampoline_kernelINS0_14default_configENS1_27scan_by_key_config_selectorIisEEZZNS1_16scan_by_key_implILNS1_25lookback_scan_determinismE0ELb0ES3_N6thrust23THRUST_200600_302600_NS6detail15normal_iteratorINS9_10device_ptrIiEEEENSB_INSC_IsEEEESG_sNS9_4plusIvEENS9_8equal_toIvEEsEE10hipError_tPvRmT2_T3_T4_T5_mT6_T7_P12ihipStream_tbENKUlT_T0_E_clISt17integral_constantIbLb0EES10_IbLb1EEEEDaSW_SX_EUlSW_E_NS1_11comp_targetILNS1_3genE10ELNS1_11target_archE1200ELNS1_3gpuE4ELNS1_3repE0EEENS1_30default_config_static_selectorELNS0_4arch9wavefront6targetE1EEEvT1_,comdat
.Lfunc_end1388:
	.size	_ZN7rocprim17ROCPRIM_400000_NS6detail17trampoline_kernelINS0_14default_configENS1_27scan_by_key_config_selectorIisEEZZNS1_16scan_by_key_implILNS1_25lookback_scan_determinismE0ELb0ES3_N6thrust23THRUST_200600_302600_NS6detail15normal_iteratorINS9_10device_ptrIiEEEENSB_INSC_IsEEEESG_sNS9_4plusIvEENS9_8equal_toIvEEsEE10hipError_tPvRmT2_T3_T4_T5_mT6_T7_P12ihipStream_tbENKUlT_T0_E_clISt17integral_constantIbLb0EES10_IbLb1EEEEDaSW_SX_EUlSW_E_NS1_11comp_targetILNS1_3genE10ELNS1_11target_archE1200ELNS1_3gpuE4ELNS1_3repE0EEENS1_30default_config_static_selectorELNS0_4arch9wavefront6targetE1EEEvT1_, .Lfunc_end1388-_ZN7rocprim17ROCPRIM_400000_NS6detail17trampoline_kernelINS0_14default_configENS1_27scan_by_key_config_selectorIisEEZZNS1_16scan_by_key_implILNS1_25lookback_scan_determinismE0ELb0ES3_N6thrust23THRUST_200600_302600_NS6detail15normal_iteratorINS9_10device_ptrIiEEEENSB_INSC_IsEEEESG_sNS9_4plusIvEENS9_8equal_toIvEEsEE10hipError_tPvRmT2_T3_T4_T5_mT6_T7_P12ihipStream_tbENKUlT_T0_E_clISt17integral_constantIbLb0EES10_IbLb1EEEEDaSW_SX_EUlSW_E_NS1_11comp_targetILNS1_3genE10ELNS1_11target_archE1200ELNS1_3gpuE4ELNS1_3repE0EEENS1_30default_config_static_selectorELNS0_4arch9wavefront6targetE1EEEvT1_
                                        ; -- End function
	.section	.AMDGPU.csdata,"",@progbits
; Kernel info:
; codeLenInByte = 0
; NumSgprs: 6
; NumVgprs: 0
; NumAgprs: 0
; TotalNumVgprs: 0
; ScratchSize: 0
; MemoryBound: 0
; FloatMode: 240
; IeeeMode: 1
; LDSByteSize: 0 bytes/workgroup (compile time only)
; SGPRBlocks: 0
; VGPRBlocks: 0
; NumSGPRsForWavesPerEU: 6
; NumVGPRsForWavesPerEU: 1
; AccumOffset: 4
; Occupancy: 8
; WaveLimiterHint : 0
; COMPUTE_PGM_RSRC2:SCRATCH_EN: 0
; COMPUTE_PGM_RSRC2:USER_SGPR: 2
; COMPUTE_PGM_RSRC2:TRAP_HANDLER: 0
; COMPUTE_PGM_RSRC2:TGID_X_EN: 1
; COMPUTE_PGM_RSRC2:TGID_Y_EN: 0
; COMPUTE_PGM_RSRC2:TGID_Z_EN: 0
; COMPUTE_PGM_RSRC2:TIDIG_COMP_CNT: 0
; COMPUTE_PGM_RSRC3_GFX90A:ACCUM_OFFSET: 0
; COMPUTE_PGM_RSRC3_GFX90A:TG_SPLIT: 0
	.section	.text._ZN7rocprim17ROCPRIM_400000_NS6detail17trampoline_kernelINS0_14default_configENS1_27scan_by_key_config_selectorIisEEZZNS1_16scan_by_key_implILNS1_25lookback_scan_determinismE0ELb0ES3_N6thrust23THRUST_200600_302600_NS6detail15normal_iteratorINS9_10device_ptrIiEEEENSB_INSC_IsEEEESG_sNS9_4plusIvEENS9_8equal_toIvEEsEE10hipError_tPvRmT2_T3_T4_T5_mT6_T7_P12ihipStream_tbENKUlT_T0_E_clISt17integral_constantIbLb0EES10_IbLb1EEEEDaSW_SX_EUlSW_E_NS1_11comp_targetILNS1_3genE9ELNS1_11target_archE1100ELNS1_3gpuE3ELNS1_3repE0EEENS1_30default_config_static_selectorELNS0_4arch9wavefront6targetE1EEEvT1_,"axG",@progbits,_ZN7rocprim17ROCPRIM_400000_NS6detail17trampoline_kernelINS0_14default_configENS1_27scan_by_key_config_selectorIisEEZZNS1_16scan_by_key_implILNS1_25lookback_scan_determinismE0ELb0ES3_N6thrust23THRUST_200600_302600_NS6detail15normal_iteratorINS9_10device_ptrIiEEEENSB_INSC_IsEEEESG_sNS9_4plusIvEENS9_8equal_toIvEEsEE10hipError_tPvRmT2_T3_T4_T5_mT6_T7_P12ihipStream_tbENKUlT_T0_E_clISt17integral_constantIbLb0EES10_IbLb1EEEEDaSW_SX_EUlSW_E_NS1_11comp_targetILNS1_3genE9ELNS1_11target_archE1100ELNS1_3gpuE3ELNS1_3repE0EEENS1_30default_config_static_selectorELNS0_4arch9wavefront6targetE1EEEvT1_,comdat
	.protected	_ZN7rocprim17ROCPRIM_400000_NS6detail17trampoline_kernelINS0_14default_configENS1_27scan_by_key_config_selectorIisEEZZNS1_16scan_by_key_implILNS1_25lookback_scan_determinismE0ELb0ES3_N6thrust23THRUST_200600_302600_NS6detail15normal_iteratorINS9_10device_ptrIiEEEENSB_INSC_IsEEEESG_sNS9_4plusIvEENS9_8equal_toIvEEsEE10hipError_tPvRmT2_T3_T4_T5_mT6_T7_P12ihipStream_tbENKUlT_T0_E_clISt17integral_constantIbLb0EES10_IbLb1EEEEDaSW_SX_EUlSW_E_NS1_11comp_targetILNS1_3genE9ELNS1_11target_archE1100ELNS1_3gpuE3ELNS1_3repE0EEENS1_30default_config_static_selectorELNS0_4arch9wavefront6targetE1EEEvT1_ ; -- Begin function _ZN7rocprim17ROCPRIM_400000_NS6detail17trampoline_kernelINS0_14default_configENS1_27scan_by_key_config_selectorIisEEZZNS1_16scan_by_key_implILNS1_25lookback_scan_determinismE0ELb0ES3_N6thrust23THRUST_200600_302600_NS6detail15normal_iteratorINS9_10device_ptrIiEEEENSB_INSC_IsEEEESG_sNS9_4plusIvEENS9_8equal_toIvEEsEE10hipError_tPvRmT2_T3_T4_T5_mT6_T7_P12ihipStream_tbENKUlT_T0_E_clISt17integral_constantIbLb0EES10_IbLb1EEEEDaSW_SX_EUlSW_E_NS1_11comp_targetILNS1_3genE9ELNS1_11target_archE1100ELNS1_3gpuE3ELNS1_3repE0EEENS1_30default_config_static_selectorELNS0_4arch9wavefront6targetE1EEEvT1_
	.globl	_ZN7rocprim17ROCPRIM_400000_NS6detail17trampoline_kernelINS0_14default_configENS1_27scan_by_key_config_selectorIisEEZZNS1_16scan_by_key_implILNS1_25lookback_scan_determinismE0ELb0ES3_N6thrust23THRUST_200600_302600_NS6detail15normal_iteratorINS9_10device_ptrIiEEEENSB_INSC_IsEEEESG_sNS9_4plusIvEENS9_8equal_toIvEEsEE10hipError_tPvRmT2_T3_T4_T5_mT6_T7_P12ihipStream_tbENKUlT_T0_E_clISt17integral_constantIbLb0EES10_IbLb1EEEEDaSW_SX_EUlSW_E_NS1_11comp_targetILNS1_3genE9ELNS1_11target_archE1100ELNS1_3gpuE3ELNS1_3repE0EEENS1_30default_config_static_selectorELNS0_4arch9wavefront6targetE1EEEvT1_
	.p2align	8
	.type	_ZN7rocprim17ROCPRIM_400000_NS6detail17trampoline_kernelINS0_14default_configENS1_27scan_by_key_config_selectorIisEEZZNS1_16scan_by_key_implILNS1_25lookback_scan_determinismE0ELb0ES3_N6thrust23THRUST_200600_302600_NS6detail15normal_iteratorINS9_10device_ptrIiEEEENSB_INSC_IsEEEESG_sNS9_4plusIvEENS9_8equal_toIvEEsEE10hipError_tPvRmT2_T3_T4_T5_mT6_T7_P12ihipStream_tbENKUlT_T0_E_clISt17integral_constantIbLb0EES10_IbLb1EEEEDaSW_SX_EUlSW_E_NS1_11comp_targetILNS1_3genE9ELNS1_11target_archE1100ELNS1_3gpuE3ELNS1_3repE0EEENS1_30default_config_static_selectorELNS0_4arch9wavefront6targetE1EEEvT1_,@function
_ZN7rocprim17ROCPRIM_400000_NS6detail17trampoline_kernelINS0_14default_configENS1_27scan_by_key_config_selectorIisEEZZNS1_16scan_by_key_implILNS1_25lookback_scan_determinismE0ELb0ES3_N6thrust23THRUST_200600_302600_NS6detail15normal_iteratorINS9_10device_ptrIiEEEENSB_INSC_IsEEEESG_sNS9_4plusIvEENS9_8equal_toIvEEsEE10hipError_tPvRmT2_T3_T4_T5_mT6_T7_P12ihipStream_tbENKUlT_T0_E_clISt17integral_constantIbLb0EES10_IbLb1EEEEDaSW_SX_EUlSW_E_NS1_11comp_targetILNS1_3genE9ELNS1_11target_archE1100ELNS1_3gpuE3ELNS1_3repE0EEENS1_30default_config_static_selectorELNS0_4arch9wavefront6targetE1EEEvT1_: ; @_ZN7rocprim17ROCPRIM_400000_NS6detail17trampoline_kernelINS0_14default_configENS1_27scan_by_key_config_selectorIisEEZZNS1_16scan_by_key_implILNS1_25lookback_scan_determinismE0ELb0ES3_N6thrust23THRUST_200600_302600_NS6detail15normal_iteratorINS9_10device_ptrIiEEEENSB_INSC_IsEEEESG_sNS9_4plusIvEENS9_8equal_toIvEEsEE10hipError_tPvRmT2_T3_T4_T5_mT6_T7_P12ihipStream_tbENKUlT_T0_E_clISt17integral_constantIbLb0EES10_IbLb1EEEEDaSW_SX_EUlSW_E_NS1_11comp_targetILNS1_3genE9ELNS1_11target_archE1100ELNS1_3gpuE3ELNS1_3repE0EEENS1_30default_config_static_selectorELNS0_4arch9wavefront6targetE1EEEvT1_
; %bb.0:
	.section	.rodata,"a",@progbits
	.p2align	6, 0x0
	.amdhsa_kernel _ZN7rocprim17ROCPRIM_400000_NS6detail17trampoline_kernelINS0_14default_configENS1_27scan_by_key_config_selectorIisEEZZNS1_16scan_by_key_implILNS1_25lookback_scan_determinismE0ELb0ES3_N6thrust23THRUST_200600_302600_NS6detail15normal_iteratorINS9_10device_ptrIiEEEENSB_INSC_IsEEEESG_sNS9_4plusIvEENS9_8equal_toIvEEsEE10hipError_tPvRmT2_T3_T4_T5_mT6_T7_P12ihipStream_tbENKUlT_T0_E_clISt17integral_constantIbLb0EES10_IbLb1EEEEDaSW_SX_EUlSW_E_NS1_11comp_targetILNS1_3genE9ELNS1_11target_archE1100ELNS1_3gpuE3ELNS1_3repE0EEENS1_30default_config_static_selectorELNS0_4arch9wavefront6targetE1EEEvT1_
		.amdhsa_group_segment_fixed_size 0
		.amdhsa_private_segment_fixed_size 0
		.amdhsa_kernarg_size 112
		.amdhsa_user_sgpr_count 2
		.amdhsa_user_sgpr_dispatch_ptr 0
		.amdhsa_user_sgpr_queue_ptr 0
		.amdhsa_user_sgpr_kernarg_segment_ptr 1
		.amdhsa_user_sgpr_dispatch_id 0
		.amdhsa_user_sgpr_kernarg_preload_length 0
		.amdhsa_user_sgpr_kernarg_preload_offset 0
		.amdhsa_user_sgpr_private_segment_size 0
		.amdhsa_uses_dynamic_stack 0
		.amdhsa_enable_private_segment 0
		.amdhsa_system_sgpr_workgroup_id_x 1
		.amdhsa_system_sgpr_workgroup_id_y 0
		.amdhsa_system_sgpr_workgroup_id_z 0
		.amdhsa_system_sgpr_workgroup_info 0
		.amdhsa_system_vgpr_workitem_id 0
		.amdhsa_next_free_vgpr 1
		.amdhsa_next_free_sgpr 0
		.amdhsa_accum_offset 4
		.amdhsa_reserve_vcc 0
		.amdhsa_float_round_mode_32 0
		.amdhsa_float_round_mode_16_64 0
		.amdhsa_float_denorm_mode_32 3
		.amdhsa_float_denorm_mode_16_64 3
		.amdhsa_dx10_clamp 1
		.amdhsa_ieee_mode 1
		.amdhsa_fp16_overflow 0
		.amdhsa_tg_split 0
		.amdhsa_exception_fp_ieee_invalid_op 0
		.amdhsa_exception_fp_denorm_src 0
		.amdhsa_exception_fp_ieee_div_zero 0
		.amdhsa_exception_fp_ieee_overflow 0
		.amdhsa_exception_fp_ieee_underflow 0
		.amdhsa_exception_fp_ieee_inexact 0
		.amdhsa_exception_int_div_zero 0
	.end_amdhsa_kernel
	.section	.text._ZN7rocprim17ROCPRIM_400000_NS6detail17trampoline_kernelINS0_14default_configENS1_27scan_by_key_config_selectorIisEEZZNS1_16scan_by_key_implILNS1_25lookback_scan_determinismE0ELb0ES3_N6thrust23THRUST_200600_302600_NS6detail15normal_iteratorINS9_10device_ptrIiEEEENSB_INSC_IsEEEESG_sNS9_4plusIvEENS9_8equal_toIvEEsEE10hipError_tPvRmT2_T3_T4_T5_mT6_T7_P12ihipStream_tbENKUlT_T0_E_clISt17integral_constantIbLb0EES10_IbLb1EEEEDaSW_SX_EUlSW_E_NS1_11comp_targetILNS1_3genE9ELNS1_11target_archE1100ELNS1_3gpuE3ELNS1_3repE0EEENS1_30default_config_static_selectorELNS0_4arch9wavefront6targetE1EEEvT1_,"axG",@progbits,_ZN7rocprim17ROCPRIM_400000_NS6detail17trampoline_kernelINS0_14default_configENS1_27scan_by_key_config_selectorIisEEZZNS1_16scan_by_key_implILNS1_25lookback_scan_determinismE0ELb0ES3_N6thrust23THRUST_200600_302600_NS6detail15normal_iteratorINS9_10device_ptrIiEEEENSB_INSC_IsEEEESG_sNS9_4plusIvEENS9_8equal_toIvEEsEE10hipError_tPvRmT2_T3_T4_T5_mT6_T7_P12ihipStream_tbENKUlT_T0_E_clISt17integral_constantIbLb0EES10_IbLb1EEEEDaSW_SX_EUlSW_E_NS1_11comp_targetILNS1_3genE9ELNS1_11target_archE1100ELNS1_3gpuE3ELNS1_3repE0EEENS1_30default_config_static_selectorELNS0_4arch9wavefront6targetE1EEEvT1_,comdat
.Lfunc_end1389:
	.size	_ZN7rocprim17ROCPRIM_400000_NS6detail17trampoline_kernelINS0_14default_configENS1_27scan_by_key_config_selectorIisEEZZNS1_16scan_by_key_implILNS1_25lookback_scan_determinismE0ELb0ES3_N6thrust23THRUST_200600_302600_NS6detail15normal_iteratorINS9_10device_ptrIiEEEENSB_INSC_IsEEEESG_sNS9_4plusIvEENS9_8equal_toIvEEsEE10hipError_tPvRmT2_T3_T4_T5_mT6_T7_P12ihipStream_tbENKUlT_T0_E_clISt17integral_constantIbLb0EES10_IbLb1EEEEDaSW_SX_EUlSW_E_NS1_11comp_targetILNS1_3genE9ELNS1_11target_archE1100ELNS1_3gpuE3ELNS1_3repE0EEENS1_30default_config_static_selectorELNS0_4arch9wavefront6targetE1EEEvT1_, .Lfunc_end1389-_ZN7rocprim17ROCPRIM_400000_NS6detail17trampoline_kernelINS0_14default_configENS1_27scan_by_key_config_selectorIisEEZZNS1_16scan_by_key_implILNS1_25lookback_scan_determinismE0ELb0ES3_N6thrust23THRUST_200600_302600_NS6detail15normal_iteratorINS9_10device_ptrIiEEEENSB_INSC_IsEEEESG_sNS9_4plusIvEENS9_8equal_toIvEEsEE10hipError_tPvRmT2_T3_T4_T5_mT6_T7_P12ihipStream_tbENKUlT_T0_E_clISt17integral_constantIbLb0EES10_IbLb1EEEEDaSW_SX_EUlSW_E_NS1_11comp_targetILNS1_3genE9ELNS1_11target_archE1100ELNS1_3gpuE3ELNS1_3repE0EEENS1_30default_config_static_selectorELNS0_4arch9wavefront6targetE1EEEvT1_
                                        ; -- End function
	.section	.AMDGPU.csdata,"",@progbits
; Kernel info:
; codeLenInByte = 0
; NumSgprs: 6
; NumVgprs: 0
; NumAgprs: 0
; TotalNumVgprs: 0
; ScratchSize: 0
; MemoryBound: 0
; FloatMode: 240
; IeeeMode: 1
; LDSByteSize: 0 bytes/workgroup (compile time only)
; SGPRBlocks: 0
; VGPRBlocks: 0
; NumSGPRsForWavesPerEU: 6
; NumVGPRsForWavesPerEU: 1
; AccumOffset: 4
; Occupancy: 8
; WaveLimiterHint : 0
; COMPUTE_PGM_RSRC2:SCRATCH_EN: 0
; COMPUTE_PGM_RSRC2:USER_SGPR: 2
; COMPUTE_PGM_RSRC2:TRAP_HANDLER: 0
; COMPUTE_PGM_RSRC2:TGID_X_EN: 1
; COMPUTE_PGM_RSRC2:TGID_Y_EN: 0
; COMPUTE_PGM_RSRC2:TGID_Z_EN: 0
; COMPUTE_PGM_RSRC2:TIDIG_COMP_CNT: 0
; COMPUTE_PGM_RSRC3_GFX90A:ACCUM_OFFSET: 0
; COMPUTE_PGM_RSRC3_GFX90A:TG_SPLIT: 0
	.section	.text._ZN7rocprim17ROCPRIM_400000_NS6detail17trampoline_kernelINS0_14default_configENS1_27scan_by_key_config_selectorIisEEZZNS1_16scan_by_key_implILNS1_25lookback_scan_determinismE0ELb0ES3_N6thrust23THRUST_200600_302600_NS6detail15normal_iteratorINS9_10device_ptrIiEEEENSB_INSC_IsEEEESG_sNS9_4plusIvEENS9_8equal_toIvEEsEE10hipError_tPvRmT2_T3_T4_T5_mT6_T7_P12ihipStream_tbENKUlT_T0_E_clISt17integral_constantIbLb0EES10_IbLb1EEEEDaSW_SX_EUlSW_E_NS1_11comp_targetILNS1_3genE8ELNS1_11target_archE1030ELNS1_3gpuE2ELNS1_3repE0EEENS1_30default_config_static_selectorELNS0_4arch9wavefront6targetE1EEEvT1_,"axG",@progbits,_ZN7rocprim17ROCPRIM_400000_NS6detail17trampoline_kernelINS0_14default_configENS1_27scan_by_key_config_selectorIisEEZZNS1_16scan_by_key_implILNS1_25lookback_scan_determinismE0ELb0ES3_N6thrust23THRUST_200600_302600_NS6detail15normal_iteratorINS9_10device_ptrIiEEEENSB_INSC_IsEEEESG_sNS9_4plusIvEENS9_8equal_toIvEEsEE10hipError_tPvRmT2_T3_T4_T5_mT6_T7_P12ihipStream_tbENKUlT_T0_E_clISt17integral_constantIbLb0EES10_IbLb1EEEEDaSW_SX_EUlSW_E_NS1_11comp_targetILNS1_3genE8ELNS1_11target_archE1030ELNS1_3gpuE2ELNS1_3repE0EEENS1_30default_config_static_selectorELNS0_4arch9wavefront6targetE1EEEvT1_,comdat
	.protected	_ZN7rocprim17ROCPRIM_400000_NS6detail17trampoline_kernelINS0_14default_configENS1_27scan_by_key_config_selectorIisEEZZNS1_16scan_by_key_implILNS1_25lookback_scan_determinismE0ELb0ES3_N6thrust23THRUST_200600_302600_NS6detail15normal_iteratorINS9_10device_ptrIiEEEENSB_INSC_IsEEEESG_sNS9_4plusIvEENS9_8equal_toIvEEsEE10hipError_tPvRmT2_T3_T4_T5_mT6_T7_P12ihipStream_tbENKUlT_T0_E_clISt17integral_constantIbLb0EES10_IbLb1EEEEDaSW_SX_EUlSW_E_NS1_11comp_targetILNS1_3genE8ELNS1_11target_archE1030ELNS1_3gpuE2ELNS1_3repE0EEENS1_30default_config_static_selectorELNS0_4arch9wavefront6targetE1EEEvT1_ ; -- Begin function _ZN7rocprim17ROCPRIM_400000_NS6detail17trampoline_kernelINS0_14default_configENS1_27scan_by_key_config_selectorIisEEZZNS1_16scan_by_key_implILNS1_25lookback_scan_determinismE0ELb0ES3_N6thrust23THRUST_200600_302600_NS6detail15normal_iteratorINS9_10device_ptrIiEEEENSB_INSC_IsEEEESG_sNS9_4plusIvEENS9_8equal_toIvEEsEE10hipError_tPvRmT2_T3_T4_T5_mT6_T7_P12ihipStream_tbENKUlT_T0_E_clISt17integral_constantIbLb0EES10_IbLb1EEEEDaSW_SX_EUlSW_E_NS1_11comp_targetILNS1_3genE8ELNS1_11target_archE1030ELNS1_3gpuE2ELNS1_3repE0EEENS1_30default_config_static_selectorELNS0_4arch9wavefront6targetE1EEEvT1_
	.globl	_ZN7rocprim17ROCPRIM_400000_NS6detail17trampoline_kernelINS0_14default_configENS1_27scan_by_key_config_selectorIisEEZZNS1_16scan_by_key_implILNS1_25lookback_scan_determinismE0ELb0ES3_N6thrust23THRUST_200600_302600_NS6detail15normal_iteratorINS9_10device_ptrIiEEEENSB_INSC_IsEEEESG_sNS9_4plusIvEENS9_8equal_toIvEEsEE10hipError_tPvRmT2_T3_T4_T5_mT6_T7_P12ihipStream_tbENKUlT_T0_E_clISt17integral_constantIbLb0EES10_IbLb1EEEEDaSW_SX_EUlSW_E_NS1_11comp_targetILNS1_3genE8ELNS1_11target_archE1030ELNS1_3gpuE2ELNS1_3repE0EEENS1_30default_config_static_selectorELNS0_4arch9wavefront6targetE1EEEvT1_
	.p2align	8
	.type	_ZN7rocprim17ROCPRIM_400000_NS6detail17trampoline_kernelINS0_14default_configENS1_27scan_by_key_config_selectorIisEEZZNS1_16scan_by_key_implILNS1_25lookback_scan_determinismE0ELb0ES3_N6thrust23THRUST_200600_302600_NS6detail15normal_iteratorINS9_10device_ptrIiEEEENSB_INSC_IsEEEESG_sNS9_4plusIvEENS9_8equal_toIvEEsEE10hipError_tPvRmT2_T3_T4_T5_mT6_T7_P12ihipStream_tbENKUlT_T0_E_clISt17integral_constantIbLb0EES10_IbLb1EEEEDaSW_SX_EUlSW_E_NS1_11comp_targetILNS1_3genE8ELNS1_11target_archE1030ELNS1_3gpuE2ELNS1_3repE0EEENS1_30default_config_static_selectorELNS0_4arch9wavefront6targetE1EEEvT1_,@function
_ZN7rocprim17ROCPRIM_400000_NS6detail17trampoline_kernelINS0_14default_configENS1_27scan_by_key_config_selectorIisEEZZNS1_16scan_by_key_implILNS1_25lookback_scan_determinismE0ELb0ES3_N6thrust23THRUST_200600_302600_NS6detail15normal_iteratorINS9_10device_ptrIiEEEENSB_INSC_IsEEEESG_sNS9_4plusIvEENS9_8equal_toIvEEsEE10hipError_tPvRmT2_T3_T4_T5_mT6_T7_P12ihipStream_tbENKUlT_T0_E_clISt17integral_constantIbLb0EES10_IbLb1EEEEDaSW_SX_EUlSW_E_NS1_11comp_targetILNS1_3genE8ELNS1_11target_archE1030ELNS1_3gpuE2ELNS1_3repE0EEENS1_30default_config_static_selectorELNS0_4arch9wavefront6targetE1EEEvT1_: ; @_ZN7rocprim17ROCPRIM_400000_NS6detail17trampoline_kernelINS0_14default_configENS1_27scan_by_key_config_selectorIisEEZZNS1_16scan_by_key_implILNS1_25lookback_scan_determinismE0ELb0ES3_N6thrust23THRUST_200600_302600_NS6detail15normal_iteratorINS9_10device_ptrIiEEEENSB_INSC_IsEEEESG_sNS9_4plusIvEENS9_8equal_toIvEEsEE10hipError_tPvRmT2_T3_T4_T5_mT6_T7_P12ihipStream_tbENKUlT_T0_E_clISt17integral_constantIbLb0EES10_IbLb1EEEEDaSW_SX_EUlSW_E_NS1_11comp_targetILNS1_3genE8ELNS1_11target_archE1030ELNS1_3gpuE2ELNS1_3repE0EEENS1_30default_config_static_selectorELNS0_4arch9wavefront6targetE1EEEvT1_
; %bb.0:
	.section	.rodata,"a",@progbits
	.p2align	6, 0x0
	.amdhsa_kernel _ZN7rocprim17ROCPRIM_400000_NS6detail17trampoline_kernelINS0_14default_configENS1_27scan_by_key_config_selectorIisEEZZNS1_16scan_by_key_implILNS1_25lookback_scan_determinismE0ELb0ES3_N6thrust23THRUST_200600_302600_NS6detail15normal_iteratorINS9_10device_ptrIiEEEENSB_INSC_IsEEEESG_sNS9_4plusIvEENS9_8equal_toIvEEsEE10hipError_tPvRmT2_T3_T4_T5_mT6_T7_P12ihipStream_tbENKUlT_T0_E_clISt17integral_constantIbLb0EES10_IbLb1EEEEDaSW_SX_EUlSW_E_NS1_11comp_targetILNS1_3genE8ELNS1_11target_archE1030ELNS1_3gpuE2ELNS1_3repE0EEENS1_30default_config_static_selectorELNS0_4arch9wavefront6targetE1EEEvT1_
		.amdhsa_group_segment_fixed_size 0
		.amdhsa_private_segment_fixed_size 0
		.amdhsa_kernarg_size 112
		.amdhsa_user_sgpr_count 2
		.amdhsa_user_sgpr_dispatch_ptr 0
		.amdhsa_user_sgpr_queue_ptr 0
		.amdhsa_user_sgpr_kernarg_segment_ptr 1
		.amdhsa_user_sgpr_dispatch_id 0
		.amdhsa_user_sgpr_kernarg_preload_length 0
		.amdhsa_user_sgpr_kernarg_preload_offset 0
		.amdhsa_user_sgpr_private_segment_size 0
		.amdhsa_uses_dynamic_stack 0
		.amdhsa_enable_private_segment 0
		.amdhsa_system_sgpr_workgroup_id_x 1
		.amdhsa_system_sgpr_workgroup_id_y 0
		.amdhsa_system_sgpr_workgroup_id_z 0
		.amdhsa_system_sgpr_workgroup_info 0
		.amdhsa_system_vgpr_workitem_id 0
		.amdhsa_next_free_vgpr 1
		.amdhsa_next_free_sgpr 0
		.amdhsa_accum_offset 4
		.amdhsa_reserve_vcc 0
		.amdhsa_float_round_mode_32 0
		.amdhsa_float_round_mode_16_64 0
		.amdhsa_float_denorm_mode_32 3
		.amdhsa_float_denorm_mode_16_64 3
		.amdhsa_dx10_clamp 1
		.amdhsa_ieee_mode 1
		.amdhsa_fp16_overflow 0
		.amdhsa_tg_split 0
		.amdhsa_exception_fp_ieee_invalid_op 0
		.amdhsa_exception_fp_denorm_src 0
		.amdhsa_exception_fp_ieee_div_zero 0
		.amdhsa_exception_fp_ieee_overflow 0
		.amdhsa_exception_fp_ieee_underflow 0
		.amdhsa_exception_fp_ieee_inexact 0
		.amdhsa_exception_int_div_zero 0
	.end_amdhsa_kernel
	.section	.text._ZN7rocprim17ROCPRIM_400000_NS6detail17trampoline_kernelINS0_14default_configENS1_27scan_by_key_config_selectorIisEEZZNS1_16scan_by_key_implILNS1_25lookback_scan_determinismE0ELb0ES3_N6thrust23THRUST_200600_302600_NS6detail15normal_iteratorINS9_10device_ptrIiEEEENSB_INSC_IsEEEESG_sNS9_4plusIvEENS9_8equal_toIvEEsEE10hipError_tPvRmT2_T3_T4_T5_mT6_T7_P12ihipStream_tbENKUlT_T0_E_clISt17integral_constantIbLb0EES10_IbLb1EEEEDaSW_SX_EUlSW_E_NS1_11comp_targetILNS1_3genE8ELNS1_11target_archE1030ELNS1_3gpuE2ELNS1_3repE0EEENS1_30default_config_static_selectorELNS0_4arch9wavefront6targetE1EEEvT1_,"axG",@progbits,_ZN7rocprim17ROCPRIM_400000_NS6detail17trampoline_kernelINS0_14default_configENS1_27scan_by_key_config_selectorIisEEZZNS1_16scan_by_key_implILNS1_25lookback_scan_determinismE0ELb0ES3_N6thrust23THRUST_200600_302600_NS6detail15normal_iteratorINS9_10device_ptrIiEEEENSB_INSC_IsEEEESG_sNS9_4plusIvEENS9_8equal_toIvEEsEE10hipError_tPvRmT2_T3_T4_T5_mT6_T7_P12ihipStream_tbENKUlT_T0_E_clISt17integral_constantIbLb0EES10_IbLb1EEEEDaSW_SX_EUlSW_E_NS1_11comp_targetILNS1_3genE8ELNS1_11target_archE1030ELNS1_3gpuE2ELNS1_3repE0EEENS1_30default_config_static_selectorELNS0_4arch9wavefront6targetE1EEEvT1_,comdat
.Lfunc_end1390:
	.size	_ZN7rocprim17ROCPRIM_400000_NS6detail17trampoline_kernelINS0_14default_configENS1_27scan_by_key_config_selectorIisEEZZNS1_16scan_by_key_implILNS1_25lookback_scan_determinismE0ELb0ES3_N6thrust23THRUST_200600_302600_NS6detail15normal_iteratorINS9_10device_ptrIiEEEENSB_INSC_IsEEEESG_sNS9_4plusIvEENS9_8equal_toIvEEsEE10hipError_tPvRmT2_T3_T4_T5_mT6_T7_P12ihipStream_tbENKUlT_T0_E_clISt17integral_constantIbLb0EES10_IbLb1EEEEDaSW_SX_EUlSW_E_NS1_11comp_targetILNS1_3genE8ELNS1_11target_archE1030ELNS1_3gpuE2ELNS1_3repE0EEENS1_30default_config_static_selectorELNS0_4arch9wavefront6targetE1EEEvT1_, .Lfunc_end1390-_ZN7rocprim17ROCPRIM_400000_NS6detail17trampoline_kernelINS0_14default_configENS1_27scan_by_key_config_selectorIisEEZZNS1_16scan_by_key_implILNS1_25lookback_scan_determinismE0ELb0ES3_N6thrust23THRUST_200600_302600_NS6detail15normal_iteratorINS9_10device_ptrIiEEEENSB_INSC_IsEEEESG_sNS9_4plusIvEENS9_8equal_toIvEEsEE10hipError_tPvRmT2_T3_T4_T5_mT6_T7_P12ihipStream_tbENKUlT_T0_E_clISt17integral_constantIbLb0EES10_IbLb1EEEEDaSW_SX_EUlSW_E_NS1_11comp_targetILNS1_3genE8ELNS1_11target_archE1030ELNS1_3gpuE2ELNS1_3repE0EEENS1_30default_config_static_selectorELNS0_4arch9wavefront6targetE1EEEvT1_
                                        ; -- End function
	.section	.AMDGPU.csdata,"",@progbits
; Kernel info:
; codeLenInByte = 0
; NumSgprs: 6
; NumVgprs: 0
; NumAgprs: 0
; TotalNumVgprs: 0
; ScratchSize: 0
; MemoryBound: 0
; FloatMode: 240
; IeeeMode: 1
; LDSByteSize: 0 bytes/workgroup (compile time only)
; SGPRBlocks: 0
; VGPRBlocks: 0
; NumSGPRsForWavesPerEU: 6
; NumVGPRsForWavesPerEU: 1
; AccumOffset: 4
; Occupancy: 8
; WaveLimiterHint : 0
; COMPUTE_PGM_RSRC2:SCRATCH_EN: 0
; COMPUTE_PGM_RSRC2:USER_SGPR: 2
; COMPUTE_PGM_RSRC2:TRAP_HANDLER: 0
; COMPUTE_PGM_RSRC2:TGID_X_EN: 1
; COMPUTE_PGM_RSRC2:TGID_Y_EN: 0
; COMPUTE_PGM_RSRC2:TGID_Z_EN: 0
; COMPUTE_PGM_RSRC2:TIDIG_COMP_CNT: 0
; COMPUTE_PGM_RSRC3_GFX90A:ACCUM_OFFSET: 0
; COMPUTE_PGM_RSRC3_GFX90A:TG_SPLIT: 0
	.section	.text._ZN7rocprim17ROCPRIM_400000_NS6detail17trampoline_kernelINS0_14default_configENS1_27scan_by_key_config_selectorIidEEZZNS1_16scan_by_key_implILNS1_25lookback_scan_determinismE0ELb1ES3_N6thrust23THRUST_200600_302600_NS6detail15normal_iteratorINS9_10device_ptrIiEEEENSB_INSC_IdEEEESG_dNS9_4plusIvEENS9_8equal_toIvEEdEE10hipError_tPvRmT2_T3_T4_T5_mT6_T7_P12ihipStream_tbENKUlT_T0_E_clISt17integral_constantIbLb0EES11_EEDaSW_SX_EUlSW_E_NS1_11comp_targetILNS1_3genE0ELNS1_11target_archE4294967295ELNS1_3gpuE0ELNS1_3repE0EEENS1_30default_config_static_selectorELNS0_4arch9wavefront6targetE1EEEvT1_,"axG",@progbits,_ZN7rocprim17ROCPRIM_400000_NS6detail17trampoline_kernelINS0_14default_configENS1_27scan_by_key_config_selectorIidEEZZNS1_16scan_by_key_implILNS1_25lookback_scan_determinismE0ELb1ES3_N6thrust23THRUST_200600_302600_NS6detail15normal_iteratorINS9_10device_ptrIiEEEENSB_INSC_IdEEEESG_dNS9_4plusIvEENS9_8equal_toIvEEdEE10hipError_tPvRmT2_T3_T4_T5_mT6_T7_P12ihipStream_tbENKUlT_T0_E_clISt17integral_constantIbLb0EES11_EEDaSW_SX_EUlSW_E_NS1_11comp_targetILNS1_3genE0ELNS1_11target_archE4294967295ELNS1_3gpuE0ELNS1_3repE0EEENS1_30default_config_static_selectorELNS0_4arch9wavefront6targetE1EEEvT1_,comdat
	.protected	_ZN7rocprim17ROCPRIM_400000_NS6detail17trampoline_kernelINS0_14default_configENS1_27scan_by_key_config_selectorIidEEZZNS1_16scan_by_key_implILNS1_25lookback_scan_determinismE0ELb1ES3_N6thrust23THRUST_200600_302600_NS6detail15normal_iteratorINS9_10device_ptrIiEEEENSB_INSC_IdEEEESG_dNS9_4plusIvEENS9_8equal_toIvEEdEE10hipError_tPvRmT2_T3_T4_T5_mT6_T7_P12ihipStream_tbENKUlT_T0_E_clISt17integral_constantIbLb0EES11_EEDaSW_SX_EUlSW_E_NS1_11comp_targetILNS1_3genE0ELNS1_11target_archE4294967295ELNS1_3gpuE0ELNS1_3repE0EEENS1_30default_config_static_selectorELNS0_4arch9wavefront6targetE1EEEvT1_ ; -- Begin function _ZN7rocprim17ROCPRIM_400000_NS6detail17trampoline_kernelINS0_14default_configENS1_27scan_by_key_config_selectorIidEEZZNS1_16scan_by_key_implILNS1_25lookback_scan_determinismE0ELb1ES3_N6thrust23THRUST_200600_302600_NS6detail15normal_iteratorINS9_10device_ptrIiEEEENSB_INSC_IdEEEESG_dNS9_4plusIvEENS9_8equal_toIvEEdEE10hipError_tPvRmT2_T3_T4_T5_mT6_T7_P12ihipStream_tbENKUlT_T0_E_clISt17integral_constantIbLb0EES11_EEDaSW_SX_EUlSW_E_NS1_11comp_targetILNS1_3genE0ELNS1_11target_archE4294967295ELNS1_3gpuE0ELNS1_3repE0EEENS1_30default_config_static_selectorELNS0_4arch9wavefront6targetE1EEEvT1_
	.globl	_ZN7rocprim17ROCPRIM_400000_NS6detail17trampoline_kernelINS0_14default_configENS1_27scan_by_key_config_selectorIidEEZZNS1_16scan_by_key_implILNS1_25lookback_scan_determinismE0ELb1ES3_N6thrust23THRUST_200600_302600_NS6detail15normal_iteratorINS9_10device_ptrIiEEEENSB_INSC_IdEEEESG_dNS9_4plusIvEENS9_8equal_toIvEEdEE10hipError_tPvRmT2_T3_T4_T5_mT6_T7_P12ihipStream_tbENKUlT_T0_E_clISt17integral_constantIbLb0EES11_EEDaSW_SX_EUlSW_E_NS1_11comp_targetILNS1_3genE0ELNS1_11target_archE4294967295ELNS1_3gpuE0ELNS1_3repE0EEENS1_30default_config_static_selectorELNS0_4arch9wavefront6targetE1EEEvT1_
	.p2align	8
	.type	_ZN7rocprim17ROCPRIM_400000_NS6detail17trampoline_kernelINS0_14default_configENS1_27scan_by_key_config_selectorIidEEZZNS1_16scan_by_key_implILNS1_25lookback_scan_determinismE0ELb1ES3_N6thrust23THRUST_200600_302600_NS6detail15normal_iteratorINS9_10device_ptrIiEEEENSB_INSC_IdEEEESG_dNS9_4plusIvEENS9_8equal_toIvEEdEE10hipError_tPvRmT2_T3_T4_T5_mT6_T7_P12ihipStream_tbENKUlT_T0_E_clISt17integral_constantIbLb0EES11_EEDaSW_SX_EUlSW_E_NS1_11comp_targetILNS1_3genE0ELNS1_11target_archE4294967295ELNS1_3gpuE0ELNS1_3repE0EEENS1_30default_config_static_selectorELNS0_4arch9wavefront6targetE1EEEvT1_,@function
_ZN7rocprim17ROCPRIM_400000_NS6detail17trampoline_kernelINS0_14default_configENS1_27scan_by_key_config_selectorIidEEZZNS1_16scan_by_key_implILNS1_25lookback_scan_determinismE0ELb1ES3_N6thrust23THRUST_200600_302600_NS6detail15normal_iteratorINS9_10device_ptrIiEEEENSB_INSC_IdEEEESG_dNS9_4plusIvEENS9_8equal_toIvEEdEE10hipError_tPvRmT2_T3_T4_T5_mT6_T7_P12ihipStream_tbENKUlT_T0_E_clISt17integral_constantIbLb0EES11_EEDaSW_SX_EUlSW_E_NS1_11comp_targetILNS1_3genE0ELNS1_11target_archE4294967295ELNS1_3gpuE0ELNS1_3repE0EEENS1_30default_config_static_selectorELNS0_4arch9wavefront6targetE1EEEvT1_: ; @_ZN7rocprim17ROCPRIM_400000_NS6detail17trampoline_kernelINS0_14default_configENS1_27scan_by_key_config_selectorIidEEZZNS1_16scan_by_key_implILNS1_25lookback_scan_determinismE0ELb1ES3_N6thrust23THRUST_200600_302600_NS6detail15normal_iteratorINS9_10device_ptrIiEEEENSB_INSC_IdEEEESG_dNS9_4plusIvEENS9_8equal_toIvEEdEE10hipError_tPvRmT2_T3_T4_T5_mT6_T7_P12ihipStream_tbENKUlT_T0_E_clISt17integral_constantIbLb0EES11_EEDaSW_SX_EUlSW_E_NS1_11comp_targetILNS1_3genE0ELNS1_11target_archE4294967295ELNS1_3gpuE0ELNS1_3repE0EEENS1_30default_config_static_selectorELNS0_4arch9wavefront6targetE1EEEvT1_
; %bb.0:
	.section	.rodata,"a",@progbits
	.p2align	6, 0x0
	.amdhsa_kernel _ZN7rocprim17ROCPRIM_400000_NS6detail17trampoline_kernelINS0_14default_configENS1_27scan_by_key_config_selectorIidEEZZNS1_16scan_by_key_implILNS1_25lookback_scan_determinismE0ELb1ES3_N6thrust23THRUST_200600_302600_NS6detail15normal_iteratorINS9_10device_ptrIiEEEENSB_INSC_IdEEEESG_dNS9_4plusIvEENS9_8equal_toIvEEdEE10hipError_tPvRmT2_T3_T4_T5_mT6_T7_P12ihipStream_tbENKUlT_T0_E_clISt17integral_constantIbLb0EES11_EEDaSW_SX_EUlSW_E_NS1_11comp_targetILNS1_3genE0ELNS1_11target_archE4294967295ELNS1_3gpuE0ELNS1_3repE0EEENS1_30default_config_static_selectorELNS0_4arch9wavefront6targetE1EEEvT1_
		.amdhsa_group_segment_fixed_size 0
		.amdhsa_private_segment_fixed_size 0
		.amdhsa_kernarg_size 136
		.amdhsa_user_sgpr_count 2
		.amdhsa_user_sgpr_dispatch_ptr 0
		.amdhsa_user_sgpr_queue_ptr 0
		.amdhsa_user_sgpr_kernarg_segment_ptr 1
		.amdhsa_user_sgpr_dispatch_id 0
		.amdhsa_user_sgpr_kernarg_preload_length 0
		.amdhsa_user_sgpr_kernarg_preload_offset 0
		.amdhsa_user_sgpr_private_segment_size 0
		.amdhsa_uses_dynamic_stack 0
		.amdhsa_enable_private_segment 0
		.amdhsa_system_sgpr_workgroup_id_x 1
		.amdhsa_system_sgpr_workgroup_id_y 0
		.amdhsa_system_sgpr_workgroup_id_z 0
		.amdhsa_system_sgpr_workgroup_info 0
		.amdhsa_system_vgpr_workitem_id 0
		.amdhsa_next_free_vgpr 1
		.amdhsa_next_free_sgpr 0
		.amdhsa_accum_offset 4
		.amdhsa_reserve_vcc 0
		.amdhsa_float_round_mode_32 0
		.amdhsa_float_round_mode_16_64 0
		.amdhsa_float_denorm_mode_32 3
		.amdhsa_float_denorm_mode_16_64 3
		.amdhsa_dx10_clamp 1
		.amdhsa_ieee_mode 1
		.amdhsa_fp16_overflow 0
		.amdhsa_tg_split 0
		.amdhsa_exception_fp_ieee_invalid_op 0
		.amdhsa_exception_fp_denorm_src 0
		.amdhsa_exception_fp_ieee_div_zero 0
		.amdhsa_exception_fp_ieee_overflow 0
		.amdhsa_exception_fp_ieee_underflow 0
		.amdhsa_exception_fp_ieee_inexact 0
		.amdhsa_exception_int_div_zero 0
	.end_amdhsa_kernel
	.section	.text._ZN7rocprim17ROCPRIM_400000_NS6detail17trampoline_kernelINS0_14default_configENS1_27scan_by_key_config_selectorIidEEZZNS1_16scan_by_key_implILNS1_25lookback_scan_determinismE0ELb1ES3_N6thrust23THRUST_200600_302600_NS6detail15normal_iteratorINS9_10device_ptrIiEEEENSB_INSC_IdEEEESG_dNS9_4plusIvEENS9_8equal_toIvEEdEE10hipError_tPvRmT2_T3_T4_T5_mT6_T7_P12ihipStream_tbENKUlT_T0_E_clISt17integral_constantIbLb0EES11_EEDaSW_SX_EUlSW_E_NS1_11comp_targetILNS1_3genE0ELNS1_11target_archE4294967295ELNS1_3gpuE0ELNS1_3repE0EEENS1_30default_config_static_selectorELNS0_4arch9wavefront6targetE1EEEvT1_,"axG",@progbits,_ZN7rocprim17ROCPRIM_400000_NS6detail17trampoline_kernelINS0_14default_configENS1_27scan_by_key_config_selectorIidEEZZNS1_16scan_by_key_implILNS1_25lookback_scan_determinismE0ELb1ES3_N6thrust23THRUST_200600_302600_NS6detail15normal_iteratorINS9_10device_ptrIiEEEENSB_INSC_IdEEEESG_dNS9_4plusIvEENS9_8equal_toIvEEdEE10hipError_tPvRmT2_T3_T4_T5_mT6_T7_P12ihipStream_tbENKUlT_T0_E_clISt17integral_constantIbLb0EES11_EEDaSW_SX_EUlSW_E_NS1_11comp_targetILNS1_3genE0ELNS1_11target_archE4294967295ELNS1_3gpuE0ELNS1_3repE0EEENS1_30default_config_static_selectorELNS0_4arch9wavefront6targetE1EEEvT1_,comdat
.Lfunc_end1391:
	.size	_ZN7rocprim17ROCPRIM_400000_NS6detail17trampoline_kernelINS0_14default_configENS1_27scan_by_key_config_selectorIidEEZZNS1_16scan_by_key_implILNS1_25lookback_scan_determinismE0ELb1ES3_N6thrust23THRUST_200600_302600_NS6detail15normal_iteratorINS9_10device_ptrIiEEEENSB_INSC_IdEEEESG_dNS9_4plusIvEENS9_8equal_toIvEEdEE10hipError_tPvRmT2_T3_T4_T5_mT6_T7_P12ihipStream_tbENKUlT_T0_E_clISt17integral_constantIbLb0EES11_EEDaSW_SX_EUlSW_E_NS1_11comp_targetILNS1_3genE0ELNS1_11target_archE4294967295ELNS1_3gpuE0ELNS1_3repE0EEENS1_30default_config_static_selectorELNS0_4arch9wavefront6targetE1EEEvT1_, .Lfunc_end1391-_ZN7rocprim17ROCPRIM_400000_NS6detail17trampoline_kernelINS0_14default_configENS1_27scan_by_key_config_selectorIidEEZZNS1_16scan_by_key_implILNS1_25lookback_scan_determinismE0ELb1ES3_N6thrust23THRUST_200600_302600_NS6detail15normal_iteratorINS9_10device_ptrIiEEEENSB_INSC_IdEEEESG_dNS9_4plusIvEENS9_8equal_toIvEEdEE10hipError_tPvRmT2_T3_T4_T5_mT6_T7_P12ihipStream_tbENKUlT_T0_E_clISt17integral_constantIbLb0EES11_EEDaSW_SX_EUlSW_E_NS1_11comp_targetILNS1_3genE0ELNS1_11target_archE4294967295ELNS1_3gpuE0ELNS1_3repE0EEENS1_30default_config_static_selectorELNS0_4arch9wavefront6targetE1EEEvT1_
                                        ; -- End function
	.section	.AMDGPU.csdata,"",@progbits
; Kernel info:
; codeLenInByte = 0
; NumSgprs: 6
; NumVgprs: 0
; NumAgprs: 0
; TotalNumVgprs: 0
; ScratchSize: 0
; MemoryBound: 0
; FloatMode: 240
; IeeeMode: 1
; LDSByteSize: 0 bytes/workgroup (compile time only)
; SGPRBlocks: 0
; VGPRBlocks: 0
; NumSGPRsForWavesPerEU: 6
; NumVGPRsForWavesPerEU: 1
; AccumOffset: 4
; Occupancy: 8
; WaveLimiterHint : 0
; COMPUTE_PGM_RSRC2:SCRATCH_EN: 0
; COMPUTE_PGM_RSRC2:USER_SGPR: 2
; COMPUTE_PGM_RSRC2:TRAP_HANDLER: 0
; COMPUTE_PGM_RSRC2:TGID_X_EN: 1
; COMPUTE_PGM_RSRC2:TGID_Y_EN: 0
; COMPUTE_PGM_RSRC2:TGID_Z_EN: 0
; COMPUTE_PGM_RSRC2:TIDIG_COMP_CNT: 0
; COMPUTE_PGM_RSRC3_GFX90A:ACCUM_OFFSET: 0
; COMPUTE_PGM_RSRC3_GFX90A:TG_SPLIT: 0
	.section	.text._ZN7rocprim17ROCPRIM_400000_NS6detail17trampoline_kernelINS0_14default_configENS1_27scan_by_key_config_selectorIidEEZZNS1_16scan_by_key_implILNS1_25lookback_scan_determinismE0ELb1ES3_N6thrust23THRUST_200600_302600_NS6detail15normal_iteratorINS9_10device_ptrIiEEEENSB_INSC_IdEEEESG_dNS9_4plusIvEENS9_8equal_toIvEEdEE10hipError_tPvRmT2_T3_T4_T5_mT6_T7_P12ihipStream_tbENKUlT_T0_E_clISt17integral_constantIbLb0EES11_EEDaSW_SX_EUlSW_E_NS1_11comp_targetILNS1_3genE10ELNS1_11target_archE1201ELNS1_3gpuE5ELNS1_3repE0EEENS1_30default_config_static_selectorELNS0_4arch9wavefront6targetE1EEEvT1_,"axG",@progbits,_ZN7rocprim17ROCPRIM_400000_NS6detail17trampoline_kernelINS0_14default_configENS1_27scan_by_key_config_selectorIidEEZZNS1_16scan_by_key_implILNS1_25lookback_scan_determinismE0ELb1ES3_N6thrust23THRUST_200600_302600_NS6detail15normal_iteratorINS9_10device_ptrIiEEEENSB_INSC_IdEEEESG_dNS9_4plusIvEENS9_8equal_toIvEEdEE10hipError_tPvRmT2_T3_T4_T5_mT6_T7_P12ihipStream_tbENKUlT_T0_E_clISt17integral_constantIbLb0EES11_EEDaSW_SX_EUlSW_E_NS1_11comp_targetILNS1_3genE10ELNS1_11target_archE1201ELNS1_3gpuE5ELNS1_3repE0EEENS1_30default_config_static_selectorELNS0_4arch9wavefront6targetE1EEEvT1_,comdat
	.protected	_ZN7rocprim17ROCPRIM_400000_NS6detail17trampoline_kernelINS0_14default_configENS1_27scan_by_key_config_selectorIidEEZZNS1_16scan_by_key_implILNS1_25lookback_scan_determinismE0ELb1ES3_N6thrust23THRUST_200600_302600_NS6detail15normal_iteratorINS9_10device_ptrIiEEEENSB_INSC_IdEEEESG_dNS9_4plusIvEENS9_8equal_toIvEEdEE10hipError_tPvRmT2_T3_T4_T5_mT6_T7_P12ihipStream_tbENKUlT_T0_E_clISt17integral_constantIbLb0EES11_EEDaSW_SX_EUlSW_E_NS1_11comp_targetILNS1_3genE10ELNS1_11target_archE1201ELNS1_3gpuE5ELNS1_3repE0EEENS1_30default_config_static_selectorELNS0_4arch9wavefront6targetE1EEEvT1_ ; -- Begin function _ZN7rocprim17ROCPRIM_400000_NS6detail17trampoline_kernelINS0_14default_configENS1_27scan_by_key_config_selectorIidEEZZNS1_16scan_by_key_implILNS1_25lookback_scan_determinismE0ELb1ES3_N6thrust23THRUST_200600_302600_NS6detail15normal_iteratorINS9_10device_ptrIiEEEENSB_INSC_IdEEEESG_dNS9_4plusIvEENS9_8equal_toIvEEdEE10hipError_tPvRmT2_T3_T4_T5_mT6_T7_P12ihipStream_tbENKUlT_T0_E_clISt17integral_constantIbLb0EES11_EEDaSW_SX_EUlSW_E_NS1_11comp_targetILNS1_3genE10ELNS1_11target_archE1201ELNS1_3gpuE5ELNS1_3repE0EEENS1_30default_config_static_selectorELNS0_4arch9wavefront6targetE1EEEvT1_
	.globl	_ZN7rocprim17ROCPRIM_400000_NS6detail17trampoline_kernelINS0_14default_configENS1_27scan_by_key_config_selectorIidEEZZNS1_16scan_by_key_implILNS1_25lookback_scan_determinismE0ELb1ES3_N6thrust23THRUST_200600_302600_NS6detail15normal_iteratorINS9_10device_ptrIiEEEENSB_INSC_IdEEEESG_dNS9_4plusIvEENS9_8equal_toIvEEdEE10hipError_tPvRmT2_T3_T4_T5_mT6_T7_P12ihipStream_tbENKUlT_T0_E_clISt17integral_constantIbLb0EES11_EEDaSW_SX_EUlSW_E_NS1_11comp_targetILNS1_3genE10ELNS1_11target_archE1201ELNS1_3gpuE5ELNS1_3repE0EEENS1_30default_config_static_selectorELNS0_4arch9wavefront6targetE1EEEvT1_
	.p2align	8
	.type	_ZN7rocprim17ROCPRIM_400000_NS6detail17trampoline_kernelINS0_14default_configENS1_27scan_by_key_config_selectorIidEEZZNS1_16scan_by_key_implILNS1_25lookback_scan_determinismE0ELb1ES3_N6thrust23THRUST_200600_302600_NS6detail15normal_iteratorINS9_10device_ptrIiEEEENSB_INSC_IdEEEESG_dNS9_4plusIvEENS9_8equal_toIvEEdEE10hipError_tPvRmT2_T3_T4_T5_mT6_T7_P12ihipStream_tbENKUlT_T0_E_clISt17integral_constantIbLb0EES11_EEDaSW_SX_EUlSW_E_NS1_11comp_targetILNS1_3genE10ELNS1_11target_archE1201ELNS1_3gpuE5ELNS1_3repE0EEENS1_30default_config_static_selectorELNS0_4arch9wavefront6targetE1EEEvT1_,@function
_ZN7rocprim17ROCPRIM_400000_NS6detail17trampoline_kernelINS0_14default_configENS1_27scan_by_key_config_selectorIidEEZZNS1_16scan_by_key_implILNS1_25lookback_scan_determinismE0ELb1ES3_N6thrust23THRUST_200600_302600_NS6detail15normal_iteratorINS9_10device_ptrIiEEEENSB_INSC_IdEEEESG_dNS9_4plusIvEENS9_8equal_toIvEEdEE10hipError_tPvRmT2_T3_T4_T5_mT6_T7_P12ihipStream_tbENKUlT_T0_E_clISt17integral_constantIbLb0EES11_EEDaSW_SX_EUlSW_E_NS1_11comp_targetILNS1_3genE10ELNS1_11target_archE1201ELNS1_3gpuE5ELNS1_3repE0EEENS1_30default_config_static_selectorELNS0_4arch9wavefront6targetE1EEEvT1_: ; @_ZN7rocprim17ROCPRIM_400000_NS6detail17trampoline_kernelINS0_14default_configENS1_27scan_by_key_config_selectorIidEEZZNS1_16scan_by_key_implILNS1_25lookback_scan_determinismE0ELb1ES3_N6thrust23THRUST_200600_302600_NS6detail15normal_iteratorINS9_10device_ptrIiEEEENSB_INSC_IdEEEESG_dNS9_4plusIvEENS9_8equal_toIvEEdEE10hipError_tPvRmT2_T3_T4_T5_mT6_T7_P12ihipStream_tbENKUlT_T0_E_clISt17integral_constantIbLb0EES11_EEDaSW_SX_EUlSW_E_NS1_11comp_targetILNS1_3genE10ELNS1_11target_archE1201ELNS1_3gpuE5ELNS1_3repE0EEENS1_30default_config_static_selectorELNS0_4arch9wavefront6targetE1EEEvT1_
; %bb.0:
	.section	.rodata,"a",@progbits
	.p2align	6, 0x0
	.amdhsa_kernel _ZN7rocprim17ROCPRIM_400000_NS6detail17trampoline_kernelINS0_14default_configENS1_27scan_by_key_config_selectorIidEEZZNS1_16scan_by_key_implILNS1_25lookback_scan_determinismE0ELb1ES3_N6thrust23THRUST_200600_302600_NS6detail15normal_iteratorINS9_10device_ptrIiEEEENSB_INSC_IdEEEESG_dNS9_4plusIvEENS9_8equal_toIvEEdEE10hipError_tPvRmT2_T3_T4_T5_mT6_T7_P12ihipStream_tbENKUlT_T0_E_clISt17integral_constantIbLb0EES11_EEDaSW_SX_EUlSW_E_NS1_11comp_targetILNS1_3genE10ELNS1_11target_archE1201ELNS1_3gpuE5ELNS1_3repE0EEENS1_30default_config_static_selectorELNS0_4arch9wavefront6targetE1EEEvT1_
		.amdhsa_group_segment_fixed_size 0
		.amdhsa_private_segment_fixed_size 0
		.amdhsa_kernarg_size 136
		.amdhsa_user_sgpr_count 2
		.amdhsa_user_sgpr_dispatch_ptr 0
		.amdhsa_user_sgpr_queue_ptr 0
		.amdhsa_user_sgpr_kernarg_segment_ptr 1
		.amdhsa_user_sgpr_dispatch_id 0
		.amdhsa_user_sgpr_kernarg_preload_length 0
		.amdhsa_user_sgpr_kernarg_preload_offset 0
		.amdhsa_user_sgpr_private_segment_size 0
		.amdhsa_uses_dynamic_stack 0
		.amdhsa_enable_private_segment 0
		.amdhsa_system_sgpr_workgroup_id_x 1
		.amdhsa_system_sgpr_workgroup_id_y 0
		.amdhsa_system_sgpr_workgroup_id_z 0
		.amdhsa_system_sgpr_workgroup_info 0
		.amdhsa_system_vgpr_workitem_id 0
		.amdhsa_next_free_vgpr 1
		.amdhsa_next_free_sgpr 0
		.amdhsa_accum_offset 4
		.amdhsa_reserve_vcc 0
		.amdhsa_float_round_mode_32 0
		.amdhsa_float_round_mode_16_64 0
		.amdhsa_float_denorm_mode_32 3
		.amdhsa_float_denorm_mode_16_64 3
		.amdhsa_dx10_clamp 1
		.amdhsa_ieee_mode 1
		.amdhsa_fp16_overflow 0
		.amdhsa_tg_split 0
		.amdhsa_exception_fp_ieee_invalid_op 0
		.amdhsa_exception_fp_denorm_src 0
		.amdhsa_exception_fp_ieee_div_zero 0
		.amdhsa_exception_fp_ieee_overflow 0
		.amdhsa_exception_fp_ieee_underflow 0
		.amdhsa_exception_fp_ieee_inexact 0
		.amdhsa_exception_int_div_zero 0
	.end_amdhsa_kernel
	.section	.text._ZN7rocprim17ROCPRIM_400000_NS6detail17trampoline_kernelINS0_14default_configENS1_27scan_by_key_config_selectorIidEEZZNS1_16scan_by_key_implILNS1_25lookback_scan_determinismE0ELb1ES3_N6thrust23THRUST_200600_302600_NS6detail15normal_iteratorINS9_10device_ptrIiEEEENSB_INSC_IdEEEESG_dNS9_4plusIvEENS9_8equal_toIvEEdEE10hipError_tPvRmT2_T3_T4_T5_mT6_T7_P12ihipStream_tbENKUlT_T0_E_clISt17integral_constantIbLb0EES11_EEDaSW_SX_EUlSW_E_NS1_11comp_targetILNS1_3genE10ELNS1_11target_archE1201ELNS1_3gpuE5ELNS1_3repE0EEENS1_30default_config_static_selectorELNS0_4arch9wavefront6targetE1EEEvT1_,"axG",@progbits,_ZN7rocprim17ROCPRIM_400000_NS6detail17trampoline_kernelINS0_14default_configENS1_27scan_by_key_config_selectorIidEEZZNS1_16scan_by_key_implILNS1_25lookback_scan_determinismE0ELb1ES3_N6thrust23THRUST_200600_302600_NS6detail15normal_iteratorINS9_10device_ptrIiEEEENSB_INSC_IdEEEESG_dNS9_4plusIvEENS9_8equal_toIvEEdEE10hipError_tPvRmT2_T3_T4_T5_mT6_T7_P12ihipStream_tbENKUlT_T0_E_clISt17integral_constantIbLb0EES11_EEDaSW_SX_EUlSW_E_NS1_11comp_targetILNS1_3genE10ELNS1_11target_archE1201ELNS1_3gpuE5ELNS1_3repE0EEENS1_30default_config_static_selectorELNS0_4arch9wavefront6targetE1EEEvT1_,comdat
.Lfunc_end1392:
	.size	_ZN7rocprim17ROCPRIM_400000_NS6detail17trampoline_kernelINS0_14default_configENS1_27scan_by_key_config_selectorIidEEZZNS1_16scan_by_key_implILNS1_25lookback_scan_determinismE0ELb1ES3_N6thrust23THRUST_200600_302600_NS6detail15normal_iteratorINS9_10device_ptrIiEEEENSB_INSC_IdEEEESG_dNS9_4plusIvEENS9_8equal_toIvEEdEE10hipError_tPvRmT2_T3_T4_T5_mT6_T7_P12ihipStream_tbENKUlT_T0_E_clISt17integral_constantIbLb0EES11_EEDaSW_SX_EUlSW_E_NS1_11comp_targetILNS1_3genE10ELNS1_11target_archE1201ELNS1_3gpuE5ELNS1_3repE0EEENS1_30default_config_static_selectorELNS0_4arch9wavefront6targetE1EEEvT1_, .Lfunc_end1392-_ZN7rocprim17ROCPRIM_400000_NS6detail17trampoline_kernelINS0_14default_configENS1_27scan_by_key_config_selectorIidEEZZNS1_16scan_by_key_implILNS1_25lookback_scan_determinismE0ELb1ES3_N6thrust23THRUST_200600_302600_NS6detail15normal_iteratorINS9_10device_ptrIiEEEENSB_INSC_IdEEEESG_dNS9_4plusIvEENS9_8equal_toIvEEdEE10hipError_tPvRmT2_T3_T4_T5_mT6_T7_P12ihipStream_tbENKUlT_T0_E_clISt17integral_constantIbLb0EES11_EEDaSW_SX_EUlSW_E_NS1_11comp_targetILNS1_3genE10ELNS1_11target_archE1201ELNS1_3gpuE5ELNS1_3repE0EEENS1_30default_config_static_selectorELNS0_4arch9wavefront6targetE1EEEvT1_
                                        ; -- End function
	.section	.AMDGPU.csdata,"",@progbits
; Kernel info:
; codeLenInByte = 0
; NumSgprs: 6
; NumVgprs: 0
; NumAgprs: 0
; TotalNumVgprs: 0
; ScratchSize: 0
; MemoryBound: 0
; FloatMode: 240
; IeeeMode: 1
; LDSByteSize: 0 bytes/workgroup (compile time only)
; SGPRBlocks: 0
; VGPRBlocks: 0
; NumSGPRsForWavesPerEU: 6
; NumVGPRsForWavesPerEU: 1
; AccumOffset: 4
; Occupancy: 8
; WaveLimiterHint : 0
; COMPUTE_PGM_RSRC2:SCRATCH_EN: 0
; COMPUTE_PGM_RSRC2:USER_SGPR: 2
; COMPUTE_PGM_RSRC2:TRAP_HANDLER: 0
; COMPUTE_PGM_RSRC2:TGID_X_EN: 1
; COMPUTE_PGM_RSRC2:TGID_Y_EN: 0
; COMPUTE_PGM_RSRC2:TGID_Z_EN: 0
; COMPUTE_PGM_RSRC2:TIDIG_COMP_CNT: 0
; COMPUTE_PGM_RSRC3_GFX90A:ACCUM_OFFSET: 0
; COMPUTE_PGM_RSRC3_GFX90A:TG_SPLIT: 0
	.section	.text._ZN7rocprim17ROCPRIM_400000_NS6detail17trampoline_kernelINS0_14default_configENS1_27scan_by_key_config_selectorIidEEZZNS1_16scan_by_key_implILNS1_25lookback_scan_determinismE0ELb1ES3_N6thrust23THRUST_200600_302600_NS6detail15normal_iteratorINS9_10device_ptrIiEEEENSB_INSC_IdEEEESG_dNS9_4plusIvEENS9_8equal_toIvEEdEE10hipError_tPvRmT2_T3_T4_T5_mT6_T7_P12ihipStream_tbENKUlT_T0_E_clISt17integral_constantIbLb0EES11_EEDaSW_SX_EUlSW_E_NS1_11comp_targetILNS1_3genE5ELNS1_11target_archE942ELNS1_3gpuE9ELNS1_3repE0EEENS1_30default_config_static_selectorELNS0_4arch9wavefront6targetE1EEEvT1_,"axG",@progbits,_ZN7rocprim17ROCPRIM_400000_NS6detail17trampoline_kernelINS0_14default_configENS1_27scan_by_key_config_selectorIidEEZZNS1_16scan_by_key_implILNS1_25lookback_scan_determinismE0ELb1ES3_N6thrust23THRUST_200600_302600_NS6detail15normal_iteratorINS9_10device_ptrIiEEEENSB_INSC_IdEEEESG_dNS9_4plusIvEENS9_8equal_toIvEEdEE10hipError_tPvRmT2_T3_T4_T5_mT6_T7_P12ihipStream_tbENKUlT_T0_E_clISt17integral_constantIbLb0EES11_EEDaSW_SX_EUlSW_E_NS1_11comp_targetILNS1_3genE5ELNS1_11target_archE942ELNS1_3gpuE9ELNS1_3repE0EEENS1_30default_config_static_selectorELNS0_4arch9wavefront6targetE1EEEvT1_,comdat
	.protected	_ZN7rocprim17ROCPRIM_400000_NS6detail17trampoline_kernelINS0_14default_configENS1_27scan_by_key_config_selectorIidEEZZNS1_16scan_by_key_implILNS1_25lookback_scan_determinismE0ELb1ES3_N6thrust23THRUST_200600_302600_NS6detail15normal_iteratorINS9_10device_ptrIiEEEENSB_INSC_IdEEEESG_dNS9_4plusIvEENS9_8equal_toIvEEdEE10hipError_tPvRmT2_T3_T4_T5_mT6_T7_P12ihipStream_tbENKUlT_T0_E_clISt17integral_constantIbLb0EES11_EEDaSW_SX_EUlSW_E_NS1_11comp_targetILNS1_3genE5ELNS1_11target_archE942ELNS1_3gpuE9ELNS1_3repE0EEENS1_30default_config_static_selectorELNS0_4arch9wavefront6targetE1EEEvT1_ ; -- Begin function _ZN7rocprim17ROCPRIM_400000_NS6detail17trampoline_kernelINS0_14default_configENS1_27scan_by_key_config_selectorIidEEZZNS1_16scan_by_key_implILNS1_25lookback_scan_determinismE0ELb1ES3_N6thrust23THRUST_200600_302600_NS6detail15normal_iteratorINS9_10device_ptrIiEEEENSB_INSC_IdEEEESG_dNS9_4plusIvEENS9_8equal_toIvEEdEE10hipError_tPvRmT2_T3_T4_T5_mT6_T7_P12ihipStream_tbENKUlT_T0_E_clISt17integral_constantIbLb0EES11_EEDaSW_SX_EUlSW_E_NS1_11comp_targetILNS1_3genE5ELNS1_11target_archE942ELNS1_3gpuE9ELNS1_3repE0EEENS1_30default_config_static_selectorELNS0_4arch9wavefront6targetE1EEEvT1_
	.globl	_ZN7rocprim17ROCPRIM_400000_NS6detail17trampoline_kernelINS0_14default_configENS1_27scan_by_key_config_selectorIidEEZZNS1_16scan_by_key_implILNS1_25lookback_scan_determinismE0ELb1ES3_N6thrust23THRUST_200600_302600_NS6detail15normal_iteratorINS9_10device_ptrIiEEEENSB_INSC_IdEEEESG_dNS9_4plusIvEENS9_8equal_toIvEEdEE10hipError_tPvRmT2_T3_T4_T5_mT6_T7_P12ihipStream_tbENKUlT_T0_E_clISt17integral_constantIbLb0EES11_EEDaSW_SX_EUlSW_E_NS1_11comp_targetILNS1_3genE5ELNS1_11target_archE942ELNS1_3gpuE9ELNS1_3repE0EEENS1_30default_config_static_selectorELNS0_4arch9wavefront6targetE1EEEvT1_
	.p2align	8
	.type	_ZN7rocprim17ROCPRIM_400000_NS6detail17trampoline_kernelINS0_14default_configENS1_27scan_by_key_config_selectorIidEEZZNS1_16scan_by_key_implILNS1_25lookback_scan_determinismE0ELb1ES3_N6thrust23THRUST_200600_302600_NS6detail15normal_iteratorINS9_10device_ptrIiEEEENSB_INSC_IdEEEESG_dNS9_4plusIvEENS9_8equal_toIvEEdEE10hipError_tPvRmT2_T3_T4_T5_mT6_T7_P12ihipStream_tbENKUlT_T0_E_clISt17integral_constantIbLb0EES11_EEDaSW_SX_EUlSW_E_NS1_11comp_targetILNS1_3genE5ELNS1_11target_archE942ELNS1_3gpuE9ELNS1_3repE0EEENS1_30default_config_static_selectorELNS0_4arch9wavefront6targetE1EEEvT1_,@function
_ZN7rocprim17ROCPRIM_400000_NS6detail17trampoline_kernelINS0_14default_configENS1_27scan_by_key_config_selectorIidEEZZNS1_16scan_by_key_implILNS1_25lookback_scan_determinismE0ELb1ES3_N6thrust23THRUST_200600_302600_NS6detail15normal_iteratorINS9_10device_ptrIiEEEENSB_INSC_IdEEEESG_dNS9_4plusIvEENS9_8equal_toIvEEdEE10hipError_tPvRmT2_T3_T4_T5_mT6_T7_P12ihipStream_tbENKUlT_T0_E_clISt17integral_constantIbLb0EES11_EEDaSW_SX_EUlSW_E_NS1_11comp_targetILNS1_3genE5ELNS1_11target_archE942ELNS1_3gpuE9ELNS1_3repE0EEENS1_30default_config_static_selectorELNS0_4arch9wavefront6targetE1EEEvT1_: ; @_ZN7rocprim17ROCPRIM_400000_NS6detail17trampoline_kernelINS0_14default_configENS1_27scan_by_key_config_selectorIidEEZZNS1_16scan_by_key_implILNS1_25lookback_scan_determinismE0ELb1ES3_N6thrust23THRUST_200600_302600_NS6detail15normal_iteratorINS9_10device_ptrIiEEEENSB_INSC_IdEEEESG_dNS9_4plusIvEENS9_8equal_toIvEEdEE10hipError_tPvRmT2_T3_T4_T5_mT6_T7_P12ihipStream_tbENKUlT_T0_E_clISt17integral_constantIbLb0EES11_EEDaSW_SX_EUlSW_E_NS1_11comp_targetILNS1_3genE5ELNS1_11target_archE942ELNS1_3gpuE9ELNS1_3repE0EEENS1_30default_config_static_selectorELNS0_4arch9wavefront6targetE1EEEvT1_
; %bb.0:
	s_load_dwordx8 s[56:63], s[0:1], 0x0
	s_load_dwordx2 s[68:69], s[0:1], 0x20
	s_load_dwordx8 s[48:55], s[0:1], 0x30
	s_load_dwordx2 s[70:71], s[0:1], 0x50
	s_load_dword s3, s[0:1], 0x58
	s_load_dwordx4 s[64:67], s[0:1], 0x60
	s_waitcnt lgkmcnt(0)
	s_lshl_b64 s[0:1], s[58:59], 2
	s_add_u32 s6, s56, s0
	s_addc_u32 s7, s57, s1
	s_lshl_b64 s[56:57], s[58:59], 3
	s_add_u32 s8, s60, s56
	s_mul_i32 s0, s71, s3
	s_mul_hi_u32 s1, s70, s3
	s_addc_u32 s9, s61, s57
	s_add_i32 s10, s1, s0
	s_mul_i32 s0, s2, 0x1500
	s_mov_b32 s1, 0
	s_lshl_b64 s[4:5], s[0:1], 2
	s_add_u32 s72, s6, s4
	s_addc_u32 s73, s7, s5
	s_lshl_b64 s[58:59], s[0:1], 3
	s_add_u32 s60, s8, s58
	s_mul_i32 s3, s70, s3
	s_addc_u32 s61, s9, s59
	s_add_u32 s0, s3, s2
	s_addc_u32 s1, s10, 0
	s_add_u32 s6, s64, -1
	s_addc_u32 s7, s65, -1
	v_mov_b64_e32 v[2:3], s[6:7]
	v_cmp_ge_u64_e64 s[0:1], s[0:1], v[2:3]
	s_mov_b64 s[4:5], -1
	s_and_b64 vcc, exec, s[0:1]
	s_mul_i32 s33, s6, 0xffffeb00
	s_barrier
	s_cbranch_vccz .LBB1393_65
; %bb.1:
	v_mov_b64_e32 v[2:3], s[72:73]
	flat_load_dword v2, v[2:3]
	s_add_i32 s55, s33, s54
	v_cmp_gt_u32_e32 vcc, s55, v0
	s_waitcnt vmcnt(0) lgkmcnt(0)
	v_mov_b32_e32 v4, v2
	s_and_saveexec_b64 s[4:5], vcc
	s_cbranch_execz .LBB1393_3
; %bb.2:
	v_lshlrev_b32_e32 v4, 2, v0
	v_mov_b32_e32 v5, 0
	v_lshl_add_u64 v[4:5], s[72:73], 0, v[4:5]
	flat_load_dword v4, v[4:5]
.LBB1393_3:
	s_or_b64 exec, exec, s[4:5]
	v_or_b32_e32 v1, 0x100, v0
	v_cmp_gt_u32_e64 s[44:45], s55, v1
	v_mov_b32_e32 v5, v2
	s_and_saveexec_b64 s[4:5], s[44:45]
	s_cbranch_execz .LBB1393_5
; %bb.4:
	v_lshlrev_b32_e32 v6, 2, v0
	v_mov_b32_e32 v7, 0
	v_lshl_add_u64 v[6:7], s[72:73], 0, v[6:7]
	flat_load_dword v5, v[6:7] offset:1024
.LBB1393_5:
	s_or_b64 exec, exec, s[4:5]
	v_or_b32_e32 v1, 0x200, v0
	v_cmp_gt_u32_e64 s[4:5], s55, v1
	v_mov_b32_e32 v6, v2
	s_and_saveexec_b64 s[6:7], s[4:5]
	s_cbranch_execz .LBB1393_7
; %bb.6:
	v_lshlrev_b32_e32 v6, 2, v0
	v_mov_b32_e32 v7, 0
	v_lshl_add_u64 v[6:7], s[72:73], 0, v[6:7]
	flat_load_dword v6, v[6:7] offset:2048
.LBB1393_7:
	;; [unrolled: 12-line block ×3, first 2 shown]
	s_or_b64 exec, exec, s[8:9]
	v_or_b32_e32 v32, 0x400, v0
	v_cmp_gt_u32_e64 s[8:9], s55, v32
	v_mov_b32_e32 v8, v2
	s_and_saveexec_b64 s[10:11], s[8:9]
	s_cbranch_execz .LBB1393_11
; %bb.10:
	v_lshlrev_b32_e32 v8, 2, v32
	v_mov_b32_e32 v9, 0
	v_lshl_add_u64 v[8:9], s[72:73], 0, v[8:9]
	flat_load_dword v8, v[8:9]
.LBB1393_11:
	s_or_b64 exec, exec, s[10:11]
	v_or_b32_e32 v34, 0x500, v0
	v_cmp_gt_u32_e64 s[10:11], s55, v34
	v_mov_b32_e32 v9, v2
	s_and_saveexec_b64 s[12:13], s[10:11]
	s_cbranch_execz .LBB1393_13
; %bb.12:
	v_lshlrev_b32_e32 v10, 2, v34
	v_mov_b32_e32 v11, 0
	v_lshl_add_u64 v[10:11], s[72:73], 0, v[10:11]
	flat_load_dword v9, v[10:11]
.LBB1393_13:
	;; [unrolled: 12-line block ×16, first 2 shown]
	s_or_b64 exec, exec, s[42:43]
	v_or_b32_e32 v64, 0x1400, v0
	v_cmp_gt_u32_e64 s[42:43], s55, v64
	v_mov_b32_e32 v3, 0
	s_and_saveexec_b64 s[46:47], s[42:43]
	s_cbranch_execz .LBB1393_43
; %bb.42:
	v_lshlrev_b32_e32 v2, 2, v64
	v_lshl_add_u64 v[2:3], s[72:73], 0, v[2:3]
	flat_load_dword v2, v[2:3]
.LBB1393_43:
	s_or_b64 exec, exec, s[46:47]
	v_lshlrev_b32_e32 v3, 2, v0
	s_waitcnt vmcnt(0) lgkmcnt(0)
	ds_write2st64_b32 v3, v4, v5 offset1:4
	ds_write2st64_b32 v3, v6, v7 offset0:8 offset1:12
	ds_write2st64_b32 v3, v8, v9 offset0:16 offset1:20
	;; [unrolled: 1-line block ×9, first 2 shown]
	ds_write_b32 v3, v2 offset:20480
	v_mov_b64_e32 v[4:5], s[72:73]
	s_waitcnt lgkmcnt(0)
	s_barrier
	flat_load_dword v82, v[4:5]
	s_movk_i32 s3, 0x50
	v_mad_u32_u24 v2, v0, s3, v3
	s_movk_i32 s3, 0xffb0
	v_mad_i32_i24 v65, v0, s3, v2
	s_movk_i32 s3, 0xff
	v_cmp_ne_u32_e64 s[46:47], s3, v0
	ds_read_b32 v84, v2
	ds_read2_b32 v[24:25], v2 offset0:1 offset1:2
	ds_read2_b32 v[22:23], v2 offset0:3 offset1:4
	ds_read2_b32 v[20:21], v2 offset0:5 offset1:6
	ds_read2_b32 v[18:19], v2 offset0:7 offset1:8
	ds_read2_b32 v[16:17], v2 offset0:9 offset1:10
	ds_read2_b32 v[14:15], v2 offset0:11 offset1:12
	ds_read2_b32 v[12:13], v2 offset0:13 offset1:14
	ds_read2_b32 v[10:11], v2 offset0:15 offset1:16
	ds_read2_b32 v[8:9], v2 offset0:17 offset1:18
	ds_read2_b32 v[6:7], v2 offset0:19 offset1:20
	s_waitcnt lgkmcnt(0)
	ds_write_b32 v65, v84 offset:22528
	s_waitcnt lgkmcnt(0)
	s_barrier
	s_and_saveexec_b64 s[64:65], s[46:47]
	s_cbranch_execz .LBB1393_45
; %bb.44:
	s_waitcnt vmcnt(0)
	ds_read_b32 v82, v3 offset:22532
.LBB1393_45:
	s_or_b64 exec, exec, s[64:65]
	v_mov_b32_e32 v5, 0
	s_waitcnt lgkmcnt(0)
	s_barrier
	s_waitcnt lgkmcnt(0)
                                        ; implicit-def: $vgpr2_vgpr3
	s_and_saveexec_b64 s[46:47], vcc
	s_cbranch_execz .LBB1393_66
; %bb.46:
	v_lshlrev_b32_e32 v4, 3, v0
	v_lshl_add_u64 v[2:3], s[60:61], 0, v[4:5]
	flat_load_dwordx2 v[2:3], v[2:3]
	s_or_b64 exec, exec, s[46:47]
                                        ; implicit-def: $vgpr4_vgpr5
	s_and_saveexec_b64 s[46:47], s[44:45]
	s_cbranch_execnz .LBB1393_67
.LBB1393_47:
	s_or_b64 exec, exec, s[46:47]
                                        ; implicit-def: $vgpr26_vgpr27
	s_and_saveexec_b64 s[44:45], s[4:5]
	s_cbranch_execz .LBB1393_68
.LBB1393_48:
	v_lshlrev_b32_e32 v26, 3, v1
	v_mov_b32_e32 v27, 0
	v_lshl_add_u64 v[26:27], s[60:61], 0, v[26:27]
	flat_load_dwordx2 v[26:27], v[26:27]
	s_or_b64 exec, exec, s[44:45]
                                        ; implicit-def: $vgpr28_vgpr29
	s_and_saveexec_b64 s[4:5], s[6:7]
	s_cbranch_execnz .LBB1393_69
.LBB1393_49:
	s_or_b64 exec, exec, s[4:5]
                                        ; implicit-def: $vgpr30_vgpr31
	s_and_saveexec_b64 s[4:5], s[8:9]
	s_cbranch_execz .LBB1393_70
.LBB1393_50:
	v_lshlrev_b32_e32 v30, 3, v32
	v_mov_b32_e32 v31, 0
	v_lshl_add_u64 v[30:31], s[60:61], 0, v[30:31]
	flat_load_dwordx2 v[30:31], v[30:31]
	s_or_b64 exec, exec, s[4:5]
                                        ; implicit-def: $vgpr32_vgpr33
	s_and_saveexec_b64 s[4:5], s[10:11]
	s_cbranch_execnz .LBB1393_71
.LBB1393_51:
	s_or_b64 exec, exec, s[4:5]
                                        ; implicit-def: $vgpr34_vgpr35
	s_and_saveexec_b64 s[4:5], s[12:13]
	s_cbranch_execz .LBB1393_72
.LBB1393_52:
	v_lshlrev_b32_e32 v34, 3, v36
	v_mov_b32_e32 v35, 0
	v_lshl_add_u64 v[34:35], s[60:61], 0, v[34:35]
	flat_load_dwordx2 v[34:35], v[34:35]
	s_or_b64 exec, exec, s[4:5]
                                        ; implicit-def: $vgpr36_vgpr37
	s_and_saveexec_b64 s[4:5], s[14:15]
	s_cbranch_execnz .LBB1393_73
.LBB1393_53:
	s_or_b64 exec, exec, s[4:5]
                                        ; implicit-def: $vgpr38_vgpr39
	s_and_saveexec_b64 s[4:5], s[16:17]
	s_cbranch_execz .LBB1393_74
.LBB1393_54:
	v_lshlrev_b32_e32 v38, 3, v40
	v_mov_b32_e32 v39, 0
	v_lshl_add_u64 v[38:39], s[60:61], 0, v[38:39]
	flat_load_dwordx2 v[38:39], v[38:39]
	s_or_b64 exec, exec, s[4:5]
                                        ; implicit-def: $vgpr40_vgpr41
	s_and_saveexec_b64 s[4:5], s[18:19]
	s_cbranch_execnz .LBB1393_75
.LBB1393_55:
	s_or_b64 exec, exec, s[4:5]
                                        ; implicit-def: $vgpr42_vgpr43
	s_and_saveexec_b64 s[4:5], s[20:21]
	s_cbranch_execz .LBB1393_76
.LBB1393_56:
	v_lshlrev_b32_e32 v42, 3, v44
	v_mov_b32_e32 v43, 0
	v_lshl_add_u64 v[42:43], s[60:61], 0, v[42:43]
	flat_load_dwordx2 v[42:43], v[42:43]
	s_or_b64 exec, exec, s[4:5]
                                        ; implicit-def: $vgpr44_vgpr45
	s_and_saveexec_b64 s[4:5], s[22:23]
	s_cbranch_execnz .LBB1393_77
.LBB1393_57:
	s_or_b64 exec, exec, s[4:5]
                                        ; implicit-def: $vgpr46_vgpr47
	s_and_saveexec_b64 s[4:5], s[24:25]
	s_cbranch_execz .LBB1393_78
.LBB1393_58:
	v_lshlrev_b32_e32 v46, 3, v48
	v_mov_b32_e32 v47, 0
	v_lshl_add_u64 v[46:47], s[60:61], 0, v[46:47]
	flat_load_dwordx2 v[46:47], v[46:47]
	s_or_b64 exec, exec, s[4:5]
                                        ; implicit-def: $vgpr48_vgpr49
	s_and_saveexec_b64 s[4:5], s[26:27]
	s_cbranch_execnz .LBB1393_79
.LBB1393_59:
	s_or_b64 exec, exec, s[4:5]
                                        ; implicit-def: $vgpr50_vgpr51
	s_and_saveexec_b64 s[4:5], s[28:29]
	s_cbranch_execz .LBB1393_80
.LBB1393_60:
	v_lshlrev_b32_e32 v50, 3, v52
	v_mov_b32_e32 v51, 0
	v_lshl_add_u64 v[50:51], s[60:61], 0, v[50:51]
	flat_load_dwordx2 v[50:51], v[50:51]
	s_or_b64 exec, exec, s[4:5]
                                        ; implicit-def: $vgpr52_vgpr53
	s_and_saveexec_b64 s[4:5], s[30:31]
	s_cbranch_execnz .LBB1393_81
.LBB1393_61:
	s_or_b64 exec, exec, s[4:5]
                                        ; implicit-def: $vgpr54_vgpr55
	s_and_saveexec_b64 s[4:5], s[34:35]
	s_cbranch_execz .LBB1393_82
.LBB1393_62:
	v_lshlrev_b32_e32 v54, 3, v56
	v_mov_b32_e32 v55, 0
	v_lshl_add_u64 v[54:55], s[60:61], 0, v[54:55]
	flat_load_dwordx2 v[54:55], v[54:55]
	s_or_b64 exec, exec, s[4:5]
                                        ; implicit-def: $vgpr56_vgpr57
	s_and_saveexec_b64 s[4:5], s[36:37]
	s_cbranch_execnz .LBB1393_83
.LBB1393_63:
	s_or_b64 exec, exec, s[4:5]
                                        ; implicit-def: $vgpr58_vgpr59
	s_and_saveexec_b64 s[4:5], s[38:39]
	s_cbranch_execz .LBB1393_84
.LBB1393_64:
	v_lshlrev_b32_e32 v58, 3, v60
	v_mov_b32_e32 v59, 0
	v_lshl_add_u64 v[58:59], s[60:61], 0, v[58:59]
	flat_load_dwordx2 v[58:59], v[58:59]
	s_or_b64 exec, exec, s[4:5]
                                        ; implicit-def: $vgpr60_vgpr61
	s_and_saveexec_b64 s[4:5], s[40:41]
	s_cbranch_execz .LBB1393_86
	s_branch .LBB1393_85
.LBB1393_65:
	s_mov_b64 s[10:11], 0
                                        ; implicit-def: $sgpr8_sgpr9
                                        ; implicit-def: $vgpr2_vgpr3
                                        ; implicit-def: $vgpr42_vgpr43
                                        ; implicit-def: $vgpr110
                                        ; implicit-def: $vgpr48_vgpr49
                                        ; implicit-def: $vgpr126
                                        ; implicit-def: $vgpr80_vgpr81
                                        ; implicit-def: $vgpr125
                                        ; implicit-def: $vgpr78_vgpr79
                                        ; implicit-def: $vgpr124
                                        ; implicit-def: $vgpr76_vgpr77
                                        ; implicit-def: $vgpr123
                                        ; implicit-def: $vgpr74_vgpr75
                                        ; implicit-def: $vgpr122
                                        ; implicit-def: $vgpr72_vgpr73
                                        ; implicit-def: $vgpr121
                                        ; implicit-def: $vgpr70_vgpr71
                                        ; implicit-def: $vgpr120
                                        ; implicit-def: $vgpr68_vgpr69
                                        ; implicit-def: $vgpr119
                                        ; implicit-def: $vgpr66_vgpr67
                                        ; implicit-def: $vgpr118
                                        ; implicit-def: $vgpr64_vgpr65
                                        ; implicit-def: $vgpr117
                                        ; implicit-def: $vgpr62_vgpr63
                                        ; implicit-def: $vgpr116
                                        ; implicit-def: $vgpr60_vgpr61
                                        ; implicit-def: $vgpr115
                                        ; implicit-def: $vgpr58_vgpr59
                                        ; implicit-def: $vgpr114
                                        ; implicit-def: $vgpr56_vgpr57
                                        ; implicit-def: $vgpr113
                                        ; implicit-def: $vgpr54_vgpr55
                                        ; implicit-def: $vgpr112
                                        ; implicit-def: $vgpr52_vgpr53
                                        ; implicit-def: $vgpr111
                                        ; implicit-def: $vgpr50_vgpr51
                                        ; implicit-def: $vgpr109
                                        ; implicit-def: $vgpr46_vgpr47
                                        ; implicit-def: $vgpr108
                                        ; implicit-def: $vgpr44_vgpr45
                                        ; implicit-def: $vgpr1
                                        ; implicit-def: $sgpr3
                                        ; implicit-def: $sgpr6_sgpr7
	s_and_b64 vcc, exec, s[4:5]
	s_cbranch_vccz .LBB1393_136
	s_branch .LBB1393_131
.LBB1393_66:
	s_or_b64 exec, exec, s[46:47]
                                        ; implicit-def: $vgpr4_vgpr5
	s_and_saveexec_b64 s[46:47], s[44:45]
	s_cbranch_execz .LBB1393_47
.LBB1393_67:
	v_lshlrev_b32_e32 v4, 3, v0
	v_mov_b32_e32 v5, 0
	v_lshl_add_u64 v[4:5], s[60:61], 0, v[4:5]
	flat_load_dwordx2 v[4:5], v[4:5] offset:2048
	s_or_b64 exec, exec, s[46:47]
                                        ; implicit-def: $vgpr26_vgpr27
	s_and_saveexec_b64 s[44:45], s[4:5]
	s_cbranch_execnz .LBB1393_48
.LBB1393_68:
	s_or_b64 exec, exec, s[44:45]
                                        ; implicit-def: $vgpr28_vgpr29
	s_and_saveexec_b64 s[4:5], s[6:7]
	s_cbranch_execz .LBB1393_49
.LBB1393_69:
	v_lshlrev_b32_e32 v28, 3, v30
	v_mov_b32_e32 v29, 0
	v_lshl_add_u64 v[28:29], s[60:61], 0, v[28:29]
	flat_load_dwordx2 v[28:29], v[28:29]
	s_or_b64 exec, exec, s[4:5]
                                        ; implicit-def: $vgpr30_vgpr31
	s_and_saveexec_b64 s[4:5], s[8:9]
	s_cbranch_execnz .LBB1393_50
.LBB1393_70:
	s_or_b64 exec, exec, s[4:5]
                                        ; implicit-def: $vgpr32_vgpr33
	s_and_saveexec_b64 s[4:5], s[10:11]
	s_cbranch_execz .LBB1393_51
.LBB1393_71:
	v_lshlrev_b32_e32 v32, 3, v34
	v_mov_b32_e32 v33, 0
	v_lshl_add_u64 v[32:33], s[60:61], 0, v[32:33]
	flat_load_dwordx2 v[32:33], v[32:33]
	s_or_b64 exec, exec, s[4:5]
                                        ; implicit-def: $vgpr34_vgpr35
	s_and_saveexec_b64 s[4:5], s[12:13]
	s_cbranch_execnz .LBB1393_52
.LBB1393_72:
	s_or_b64 exec, exec, s[4:5]
                                        ; implicit-def: $vgpr36_vgpr37
	s_and_saveexec_b64 s[4:5], s[14:15]
	s_cbranch_execz .LBB1393_53
.LBB1393_73:
	v_lshlrev_b32_e32 v36, 3, v38
	v_mov_b32_e32 v37, 0
	v_lshl_add_u64 v[36:37], s[60:61], 0, v[36:37]
	flat_load_dwordx2 v[36:37], v[36:37]
	s_or_b64 exec, exec, s[4:5]
                                        ; implicit-def: $vgpr38_vgpr39
	s_and_saveexec_b64 s[4:5], s[16:17]
	s_cbranch_execnz .LBB1393_54
.LBB1393_74:
	s_or_b64 exec, exec, s[4:5]
                                        ; implicit-def: $vgpr40_vgpr41
	s_and_saveexec_b64 s[4:5], s[18:19]
	s_cbranch_execz .LBB1393_55
.LBB1393_75:
	v_lshlrev_b32_e32 v40, 3, v42
	v_mov_b32_e32 v41, 0
	v_lshl_add_u64 v[40:41], s[60:61], 0, v[40:41]
	flat_load_dwordx2 v[40:41], v[40:41]
	s_or_b64 exec, exec, s[4:5]
                                        ; implicit-def: $vgpr42_vgpr43
	s_and_saveexec_b64 s[4:5], s[20:21]
	s_cbranch_execnz .LBB1393_56
.LBB1393_76:
	s_or_b64 exec, exec, s[4:5]
                                        ; implicit-def: $vgpr44_vgpr45
	s_and_saveexec_b64 s[4:5], s[22:23]
	s_cbranch_execz .LBB1393_57
.LBB1393_77:
	v_lshlrev_b32_e32 v44, 3, v46
	v_mov_b32_e32 v45, 0
	v_lshl_add_u64 v[44:45], s[60:61], 0, v[44:45]
	flat_load_dwordx2 v[44:45], v[44:45]
	s_or_b64 exec, exec, s[4:5]
                                        ; implicit-def: $vgpr46_vgpr47
	s_and_saveexec_b64 s[4:5], s[24:25]
	s_cbranch_execnz .LBB1393_58
.LBB1393_78:
	s_or_b64 exec, exec, s[4:5]
                                        ; implicit-def: $vgpr48_vgpr49
	s_and_saveexec_b64 s[4:5], s[26:27]
	s_cbranch_execz .LBB1393_59
.LBB1393_79:
	v_lshlrev_b32_e32 v48, 3, v50
	v_mov_b32_e32 v49, 0
	v_lshl_add_u64 v[48:49], s[60:61], 0, v[48:49]
	flat_load_dwordx2 v[48:49], v[48:49]
	s_or_b64 exec, exec, s[4:5]
                                        ; implicit-def: $vgpr50_vgpr51
	s_and_saveexec_b64 s[4:5], s[28:29]
	s_cbranch_execnz .LBB1393_60
.LBB1393_80:
	s_or_b64 exec, exec, s[4:5]
                                        ; implicit-def: $vgpr52_vgpr53
	s_and_saveexec_b64 s[4:5], s[30:31]
	s_cbranch_execz .LBB1393_61
.LBB1393_81:
	v_lshlrev_b32_e32 v52, 3, v54
	v_mov_b32_e32 v53, 0
	v_lshl_add_u64 v[52:53], s[60:61], 0, v[52:53]
	flat_load_dwordx2 v[52:53], v[52:53]
	s_or_b64 exec, exec, s[4:5]
                                        ; implicit-def: $vgpr54_vgpr55
	s_and_saveexec_b64 s[4:5], s[34:35]
	s_cbranch_execnz .LBB1393_62
.LBB1393_82:
	s_or_b64 exec, exec, s[4:5]
                                        ; implicit-def: $vgpr56_vgpr57
	s_and_saveexec_b64 s[4:5], s[36:37]
	s_cbranch_execz .LBB1393_63
.LBB1393_83:
	v_lshlrev_b32_e32 v56, 3, v58
	v_mov_b32_e32 v57, 0
	v_lshl_add_u64 v[56:57], s[60:61], 0, v[56:57]
	flat_load_dwordx2 v[56:57], v[56:57]
	s_or_b64 exec, exec, s[4:5]
                                        ; implicit-def: $vgpr58_vgpr59
	s_and_saveexec_b64 s[4:5], s[38:39]
	s_cbranch_execnz .LBB1393_64
.LBB1393_84:
	s_or_b64 exec, exec, s[4:5]
                                        ; implicit-def: $vgpr60_vgpr61
	s_and_saveexec_b64 s[4:5], s[40:41]
	s_cbranch_execz .LBB1393_86
.LBB1393_85:
	v_lshlrev_b32_e32 v60, 3, v62
	v_mov_b32_e32 v61, 0
	v_lshl_add_u64 v[60:61], s[60:61], 0, v[60:61]
	flat_load_dwordx2 v[60:61], v[60:61]
.LBB1393_86:
	s_or_b64 exec, exec, s[4:5]
	v_mul_u32_u24_e32 v83, 21, v0
                                        ; implicit-def: $vgpr62_vgpr63
	s_and_saveexec_b64 s[4:5], s[42:43]
	s_cbranch_execz .LBB1393_88
; %bb.87:
	v_lshlrev_b32_e32 v62, 3, v64
	v_mov_b32_e32 v63, 0
	v_lshl_add_u64 v[62:63], s[60:61], 0, v[62:63]
	flat_load_dwordx2 v[62:63], v[62:63]
.LBB1393_88:
	s_or_b64 exec, exec, s[4:5]
	v_lshl_add_u32 v85, v0, 2, v65
	s_waitcnt vmcnt(0) lgkmcnt(0)
	ds_write2st64_b64 v85, v[2:3], v[4:5] offset1:4
	ds_write2st64_b64 v85, v[26:27], v[28:29] offset0:8 offset1:12
	ds_write2st64_b64 v85, v[30:31], v[32:33] offset0:16 offset1:20
	;; [unrolled: 1-line block ×9, first 2 shown]
	ds_write_b64 v85, v[62:63] offset:40960
	v_mov_b64_e32 v[42:43], 0
	v_cmp_gt_u32_e32 vcc, s55, v83
	s_mov_b64 s[10:11], 0
	s_mov_b32 s3, 0
	s_mov_b64 s[4:5], 0
	v_mov_b32_e32 v110, 0
	v_mov_b64_e32 v[48:49], v[42:43]
	v_mov_b32_e32 v126, 0
	v_mov_b64_e32 v[80:81], v[42:43]
	;; [unrolled: 2-line block ×19, first 2 shown]
	v_mov_b32_e32 v1, 0
	s_waitcnt lgkmcnt(0)
	s_barrier
	s_waitcnt lgkmcnt(0)
                                        ; implicit-def: $sgpr8_sgpr9
                                        ; implicit-def: $vgpr2_vgpr3
	s_and_saveexec_b64 s[6:7], vcc
	s_cbranch_execz .LBB1393_130
; %bb.89:
	s_movk_i32 s8, 0xa0
	v_mad_u32_u24 v1, v0, s8, v85
	ds_read_b64 v[2:3], v1
	v_cmp_ne_u32_e32 vcc, v84, v24
	v_mov_b32_e32 v5, s69
	v_add_u32_e32 v4, 1, v83
	v_mov_b64_e32 v[48:49], 0
	s_waitcnt lgkmcnt(0)
	v_cndmask_b32_e32 v43, v3, v5, vcc
	v_mov_b32_e32 v3, s68
	v_cndmask_b32_e64 v1, 0, 1, vcc
	v_cndmask_b32_e32 v42, v2, v3, vcc
	v_cmp_gt_u32_e32 vcc, s55, v4
	s_mov_b64 s[12:13], 0
	v_mov_b32_e32 v110, 0
	v_mov_b32_e32 v126, 0
	v_mov_b64_e32 v[80:81], v[48:49]
	v_mov_b32_e32 v125, 0
	v_mov_b64_e32 v[78:79], v[48:49]
	v_mov_b32_e32 v124, 0
	v_mov_b64_e32 v[76:77], v[48:49]
	v_mov_b32_e32 v123, 0
	v_mov_b64_e32 v[74:75], v[48:49]
	v_mov_b32_e32 v122, 0
	v_mov_b64_e32 v[72:73], v[48:49]
	v_mov_b32_e32 v121, 0
	v_mov_b64_e32 v[70:71], v[48:49]
	v_mov_b32_e32 v120, 0
	v_mov_b64_e32 v[68:69], v[48:49]
	v_mov_b32_e32 v119, 0
	v_mov_b64_e32 v[66:67], v[48:49]
	v_mov_b32_e32 v118, 0
	v_mov_b64_e32 v[64:65], v[48:49]
	v_mov_b32_e32 v117, 0
	v_mov_b64_e32 v[62:63], v[48:49]
	v_mov_b32_e32 v116, 0
	v_mov_b64_e32 v[60:61], v[48:49]
	v_mov_b32_e32 v115, 0
	v_mov_b64_e32 v[58:59], v[48:49]
	v_mov_b32_e32 v114, 0
	v_mov_b64_e32 v[56:57], v[48:49]
	v_mov_b32_e32 v113, 0
	v_mov_b64_e32 v[54:55], v[48:49]
	v_mov_b32_e32 v112, 0
	v_mov_b64_e32 v[52:53], v[48:49]
	v_mov_b32_e32 v111, 0
	v_mov_b64_e32 v[50:51], v[48:49]
	v_mov_b32_e32 v109, 0
	v_mov_b64_e32 v[46:47], v[48:49]
	v_mov_b32_e32 v108, 0
	v_mov_b64_e32 v[44:45], v[48:49]
                                        ; implicit-def: $sgpr14_sgpr15
                                        ; implicit-def: $vgpr2_vgpr3
	s_and_saveexec_b64 s[8:9], vcc
	s_cbranch_execz .LBB1393_129
; %bb.90:
	v_mul_u32_u24_e32 v2, 0xa0, v0
	v_add_u32_e32 v26, v85, v2
	ds_read2_b64 v[2:5], v26 offset0:1 offset1:2
	v_cmp_ne_u32_e32 vcc, v24, v25
	v_mov_b32_e32 v24, s69
	v_add_u32_e32 v27, 2, v83
	v_mov_b64_e32 v[48:49], 0
	s_waitcnt lgkmcnt(0)
	v_cndmask_b32_e32 v45, v3, v24, vcc
	v_mov_b32_e32 v3, s68
	v_cndmask_b32_e64 v108, 0, 1, vcc
	v_cndmask_b32_e32 v44, v2, v3, vcc
	v_cmp_gt_u32_e32 vcc, s55, v27
	s_mov_b64 s[14:15], 0
	v_mov_b32_e32 v110, 0
	v_mov_b32_e32 v126, 0
	v_mov_b64_e32 v[80:81], v[48:49]
	v_mov_b32_e32 v125, 0
	v_mov_b64_e32 v[78:79], v[48:49]
	;; [unrolled: 2-line block ×17, first 2 shown]
                                        ; implicit-def: $sgpr16_sgpr17
                                        ; implicit-def: $vgpr2_vgpr3
	s_and_saveexec_b64 s[10:11], vcc
	s_cbranch_execz .LBB1393_128
; %bb.91:
	v_cmp_ne_u32_e32 vcc, v25, v22
	v_mov_b32_e32 v3, s69
	v_add_u32_e32 v2, 3, v83
	v_cndmask_b32_e32 v47, v5, v3, vcc
	v_mov_b32_e32 v3, s68
	v_mov_b64_e32 v[48:49], 0
	v_cndmask_b32_e64 v109, 0, 1, vcc
	v_cndmask_b32_e32 v46, v4, v3, vcc
	v_cmp_gt_u32_e32 vcc, s55, v2
	s_mov_b64 s[16:17], 0
	v_mov_b32_e32 v110, 0
	v_mov_b32_e32 v126, 0
	v_mov_b64_e32 v[80:81], v[48:49]
	v_mov_b32_e32 v125, 0
	v_mov_b64_e32 v[78:79], v[48:49]
	;; [unrolled: 2-line block ×16, first 2 shown]
                                        ; implicit-def: $sgpr18_sgpr19
                                        ; implicit-def: $vgpr2_vgpr3
	s_and_saveexec_b64 s[12:13], vcc
	s_cbranch_execz .LBB1393_127
; %bb.92:
	ds_read2_b64 v[2:5], v26 offset0:3 offset1:4
	v_cmp_ne_u32_e32 vcc, v22, v23
	v_mov_b32_e32 v22, s69
	v_add_u32_e32 v24, 4, v83
	v_mov_b64_e32 v[48:49], 0
	s_waitcnt lgkmcnt(0)
	v_cndmask_b32_e32 v51, v3, v22, vcc
	v_mov_b32_e32 v3, s68
	v_cndmask_b32_e64 v111, 0, 1, vcc
	v_cndmask_b32_e32 v50, v2, v3, vcc
	v_cmp_gt_u32_e32 vcc, s55, v24
	s_mov_b64 s[18:19], 0
	v_mov_b32_e32 v110, 0
	v_mov_b32_e32 v126, 0
	v_mov_b64_e32 v[80:81], v[48:49]
	v_mov_b32_e32 v125, 0
	v_mov_b64_e32 v[78:79], v[48:49]
	;; [unrolled: 2-line block ×15, first 2 shown]
                                        ; implicit-def: $sgpr20_sgpr21
                                        ; implicit-def: $vgpr2_vgpr3
	s_and_saveexec_b64 s[14:15], vcc
	s_cbranch_execz .LBB1393_126
; %bb.93:
	v_cmp_ne_u32_e32 vcc, v23, v20
	v_mov_b32_e32 v3, s69
	v_add_u32_e32 v2, 5, v83
	v_cndmask_b32_e32 v53, v5, v3, vcc
	v_mov_b32_e32 v3, s68
	v_mov_b64_e32 v[48:49], 0
	v_cndmask_b32_e64 v112, 0, 1, vcc
	v_cndmask_b32_e32 v52, v4, v3, vcc
	v_cmp_gt_u32_e32 vcc, s55, v2
	s_mov_b64 s[20:21], 0
	v_mov_b32_e32 v110, 0
	v_mov_b32_e32 v126, 0
	v_mov_b64_e32 v[80:81], v[48:49]
	v_mov_b32_e32 v125, 0
	v_mov_b64_e32 v[78:79], v[48:49]
	;; [unrolled: 2-line block ×14, first 2 shown]
                                        ; implicit-def: $sgpr22_sgpr23
                                        ; implicit-def: $vgpr2_vgpr3
	s_and_saveexec_b64 s[16:17], vcc
	s_cbranch_execz .LBB1393_125
; %bb.94:
	ds_read2_b64 v[2:5], v26 offset0:5 offset1:6
	v_cmp_ne_u32_e32 vcc, v20, v21
	v_mov_b32_e32 v20, s69
	v_add_u32_e32 v22, 6, v83
	v_mov_b64_e32 v[48:49], 0
	s_waitcnt lgkmcnt(0)
	v_cndmask_b32_e32 v55, v3, v20, vcc
	v_mov_b32_e32 v3, s68
	v_cndmask_b32_e64 v113, 0, 1, vcc
	v_cndmask_b32_e32 v54, v2, v3, vcc
	v_cmp_gt_u32_e32 vcc, s55, v22
	s_mov_b64 s[22:23], 0
	v_mov_b32_e32 v110, 0
	v_mov_b32_e32 v126, 0
	v_mov_b64_e32 v[80:81], v[48:49]
	v_mov_b32_e32 v125, 0
	v_mov_b64_e32 v[78:79], v[48:49]
	;; [unrolled: 2-line block ×13, first 2 shown]
                                        ; implicit-def: $sgpr24_sgpr25
                                        ; implicit-def: $vgpr2_vgpr3
	s_and_saveexec_b64 s[18:19], vcc
	s_cbranch_execz .LBB1393_124
; %bb.95:
	v_cmp_ne_u32_e32 vcc, v21, v18
	v_mov_b32_e32 v3, s69
	v_add_u32_e32 v2, 7, v83
	v_cndmask_b32_e32 v57, v5, v3, vcc
	v_mov_b32_e32 v3, s68
	v_mov_b64_e32 v[48:49], 0
	v_cndmask_b32_e64 v114, 0, 1, vcc
	v_cndmask_b32_e32 v56, v4, v3, vcc
	v_cmp_gt_u32_e32 vcc, s55, v2
	s_mov_b64 s[24:25], 0
	v_mov_b32_e32 v110, 0
	v_mov_b32_e32 v126, 0
	v_mov_b64_e32 v[80:81], v[48:49]
	v_mov_b32_e32 v125, 0
	v_mov_b64_e32 v[78:79], v[48:49]
	;; [unrolled: 2-line block ×12, first 2 shown]
                                        ; implicit-def: $sgpr26_sgpr27
                                        ; implicit-def: $vgpr2_vgpr3
	s_and_saveexec_b64 s[20:21], vcc
	s_cbranch_execz .LBB1393_123
; %bb.96:
	ds_read2_b64 v[2:5], v26 offset0:7 offset1:8
	v_cmp_ne_u32_e32 vcc, v18, v19
	v_mov_b32_e32 v18, s69
	v_add_u32_e32 v20, 8, v83
	v_mov_b64_e32 v[48:49], 0
	s_waitcnt lgkmcnt(0)
	v_cndmask_b32_e32 v59, v3, v18, vcc
	v_mov_b32_e32 v3, s68
	v_cndmask_b32_e64 v115, 0, 1, vcc
	v_cndmask_b32_e32 v58, v2, v3, vcc
	v_cmp_gt_u32_e32 vcc, s55, v20
	s_mov_b64 s[26:27], 0
	v_mov_b32_e32 v110, 0
	v_mov_b32_e32 v126, 0
	v_mov_b64_e32 v[80:81], v[48:49]
	v_mov_b32_e32 v125, 0
	v_mov_b64_e32 v[78:79], v[48:49]
	;; [unrolled: 2-line block ×11, first 2 shown]
                                        ; implicit-def: $sgpr28_sgpr29
                                        ; implicit-def: $vgpr2_vgpr3
	s_and_saveexec_b64 s[22:23], vcc
	s_cbranch_execz .LBB1393_122
; %bb.97:
	v_cmp_ne_u32_e32 vcc, v19, v16
	v_mov_b32_e32 v3, s69
	v_add_u32_e32 v2, 9, v83
	v_cndmask_b32_e32 v61, v5, v3, vcc
	v_mov_b32_e32 v3, s68
	v_mov_b64_e32 v[48:49], 0
	v_cndmask_b32_e64 v116, 0, 1, vcc
	v_cndmask_b32_e32 v60, v4, v3, vcc
	v_cmp_gt_u32_e32 vcc, s55, v2
	s_mov_b64 s[28:29], 0
	v_mov_b32_e32 v110, 0
	v_mov_b32_e32 v126, 0
	v_mov_b64_e32 v[80:81], v[48:49]
	v_mov_b32_e32 v125, 0
	v_mov_b64_e32 v[78:79], v[48:49]
	;; [unrolled: 2-line block ×10, first 2 shown]
                                        ; implicit-def: $sgpr30_sgpr31
                                        ; implicit-def: $vgpr2_vgpr3
	s_and_saveexec_b64 s[24:25], vcc
	s_cbranch_execz .LBB1393_121
; %bb.98:
	ds_read2_b64 v[2:5], v26 offset0:9 offset1:10
	v_cmp_ne_u32_e32 vcc, v16, v17
	v_mov_b32_e32 v16, s69
	v_add_u32_e32 v18, 10, v83
	v_mov_b64_e32 v[48:49], 0
	s_waitcnt lgkmcnt(0)
	v_cndmask_b32_e32 v63, v3, v16, vcc
	v_mov_b32_e32 v3, s68
	v_cndmask_b32_e64 v117, 0, 1, vcc
	v_cndmask_b32_e32 v62, v2, v3, vcc
	v_cmp_gt_u32_e32 vcc, s55, v18
	s_mov_b64 s[30:31], 0
	v_mov_b32_e32 v110, 0
	v_mov_b32_e32 v126, 0
	v_mov_b64_e32 v[80:81], v[48:49]
	v_mov_b32_e32 v125, 0
	v_mov_b64_e32 v[78:79], v[48:49]
	;; [unrolled: 2-line block ×9, first 2 shown]
                                        ; implicit-def: $sgpr34_sgpr35
                                        ; implicit-def: $vgpr2_vgpr3
	s_and_saveexec_b64 s[26:27], vcc
	s_cbranch_execz .LBB1393_120
; %bb.99:
	v_cmp_ne_u32_e32 vcc, v17, v14
	v_mov_b32_e32 v3, s69
	v_add_u32_e32 v2, 11, v83
	v_cndmask_b32_e32 v65, v5, v3, vcc
	v_mov_b32_e32 v3, s68
	v_mov_b64_e32 v[48:49], 0
	v_cndmask_b32_e64 v118, 0, 1, vcc
	v_cndmask_b32_e32 v64, v4, v3, vcc
	v_cmp_gt_u32_e32 vcc, s55, v2
	s_mov_b64 s[34:35], 0
	v_mov_b32_e32 v110, 0
	v_mov_b32_e32 v126, 0
	v_mov_b64_e32 v[80:81], v[48:49]
	v_mov_b32_e32 v125, 0
	v_mov_b64_e32 v[78:79], v[48:49]
	;; [unrolled: 2-line block ×8, first 2 shown]
                                        ; implicit-def: $sgpr36_sgpr37
                                        ; implicit-def: $vgpr2_vgpr3
	s_and_saveexec_b64 s[28:29], vcc
	s_cbranch_execz .LBB1393_119
; %bb.100:
	ds_read2_b64 v[2:5], v26 offset0:11 offset1:12
	v_cmp_ne_u32_e32 vcc, v14, v15
	v_mov_b32_e32 v14, s69
	v_add_u32_e32 v16, 12, v83
	v_mov_b64_e32 v[48:49], 0
	s_waitcnt lgkmcnt(0)
	v_cndmask_b32_e32 v67, v3, v14, vcc
	v_mov_b32_e32 v3, s68
	v_cndmask_b32_e64 v119, 0, 1, vcc
	v_cndmask_b32_e32 v66, v2, v3, vcc
	v_cmp_gt_u32_e32 vcc, s55, v16
	s_mov_b64 s[36:37], 0
	v_mov_b32_e32 v110, 0
	v_mov_b32_e32 v126, 0
	v_mov_b64_e32 v[80:81], v[48:49]
	v_mov_b32_e32 v125, 0
	v_mov_b64_e32 v[78:79], v[48:49]
	;; [unrolled: 2-line block ×7, first 2 shown]
                                        ; implicit-def: $sgpr38_sgpr39
                                        ; implicit-def: $vgpr2_vgpr3
	s_and_saveexec_b64 s[30:31], vcc
	s_cbranch_execz .LBB1393_118
; %bb.101:
	v_cmp_ne_u32_e32 vcc, v15, v12
	v_mov_b32_e32 v3, s69
	v_add_u32_e32 v2, 13, v83
	v_cndmask_b32_e32 v69, v5, v3, vcc
	v_mov_b32_e32 v3, s68
	v_mov_b64_e32 v[48:49], 0
	v_cndmask_b32_e64 v120, 0, 1, vcc
	v_cndmask_b32_e32 v68, v4, v3, vcc
	v_cmp_gt_u32_e32 vcc, s55, v2
	s_mov_b64 s[38:39], 0
	v_mov_b32_e32 v110, 0
	v_mov_b32_e32 v126, 0
	v_mov_b64_e32 v[80:81], v[48:49]
	v_mov_b32_e32 v125, 0
	v_mov_b64_e32 v[78:79], v[48:49]
	;; [unrolled: 2-line block ×6, first 2 shown]
                                        ; implicit-def: $sgpr40_sgpr41
                                        ; implicit-def: $vgpr2_vgpr3
	s_and_saveexec_b64 s[34:35], vcc
	s_cbranch_execz .LBB1393_117
; %bb.102:
	ds_read2_b64 v[2:5], v26 offset0:13 offset1:14
	v_cmp_ne_u32_e32 vcc, v12, v13
	v_mov_b32_e32 v12, s69
	v_add_u32_e32 v14, 14, v83
	v_mov_b64_e32 v[48:49], 0
	s_waitcnt lgkmcnt(0)
	v_cndmask_b32_e32 v71, v3, v12, vcc
	v_mov_b32_e32 v3, s68
	v_cndmask_b32_e64 v121, 0, 1, vcc
	v_cndmask_b32_e32 v70, v2, v3, vcc
	v_cmp_gt_u32_e32 vcc, s55, v14
	s_mov_b64 s[40:41], 0
	v_mov_b32_e32 v110, 0
	v_mov_b32_e32 v126, 0
	v_mov_b64_e32 v[80:81], v[48:49]
	v_mov_b32_e32 v125, 0
	v_mov_b64_e32 v[78:79], v[48:49]
	;; [unrolled: 2-line block ×5, first 2 shown]
                                        ; implicit-def: $sgpr42_sgpr43
                                        ; implicit-def: $vgpr2_vgpr3
	s_and_saveexec_b64 s[36:37], vcc
	s_cbranch_execz .LBB1393_116
; %bb.103:
	v_cmp_ne_u32_e32 vcc, v13, v10
	v_mov_b32_e32 v3, s69
	v_add_u32_e32 v2, 15, v83
	v_cndmask_b32_e32 v73, v5, v3, vcc
	v_mov_b32_e32 v3, s68
	v_mov_b64_e32 v[48:49], 0
	v_cndmask_b32_e64 v122, 0, 1, vcc
	v_cndmask_b32_e32 v72, v4, v3, vcc
	v_cmp_gt_u32_e32 vcc, s55, v2
	s_mov_b64 s[42:43], 0
	v_mov_b32_e32 v110, 0
	v_mov_b32_e32 v126, 0
	v_mov_b64_e32 v[80:81], v[48:49]
	v_mov_b32_e32 v125, 0
	v_mov_b64_e32 v[78:79], v[48:49]
	;; [unrolled: 2-line block ×4, first 2 shown]
                                        ; implicit-def: $sgpr44_sgpr45
                                        ; implicit-def: $vgpr2_vgpr3
	s_and_saveexec_b64 s[38:39], vcc
	s_cbranch_execz .LBB1393_115
; %bb.104:
	ds_read2_b64 v[2:5], v26 offset0:15 offset1:16
	v_cmp_ne_u32_e32 vcc, v10, v11
	v_mov_b32_e32 v10, s69
	v_add_u32_e32 v12, 16, v83
	v_mov_b64_e32 v[48:49], 0
	s_waitcnt lgkmcnt(0)
	v_cndmask_b32_e32 v75, v3, v10, vcc
	v_mov_b32_e32 v3, s68
	v_cndmask_b32_e64 v123, 0, 1, vcc
	v_cndmask_b32_e32 v74, v2, v3, vcc
	v_cmp_gt_u32_e32 vcc, s55, v12
	s_mov_b64 s[44:45], 0
	v_mov_b32_e32 v110, 0
	v_mov_b32_e32 v126, 0
	v_mov_b64_e32 v[80:81], v[48:49]
	v_mov_b32_e32 v125, 0
	v_mov_b64_e32 v[78:79], v[48:49]
	;; [unrolled: 2-line block ×3, first 2 shown]
                                        ; implicit-def: $sgpr46_sgpr47
                                        ; implicit-def: $vgpr2_vgpr3
	s_and_saveexec_b64 s[40:41], vcc
	s_cbranch_execz .LBB1393_114
; %bb.105:
	v_cmp_ne_u32_e32 vcc, v11, v8
	v_mov_b32_e32 v3, s69
	v_add_u32_e32 v2, 17, v83
	v_cndmask_b32_e32 v77, v5, v3, vcc
	v_mov_b32_e32 v3, s68
	v_mov_b64_e32 v[48:49], 0
	v_cndmask_b32_e64 v124, 0, 1, vcc
	v_cndmask_b32_e32 v76, v4, v3, vcc
	v_cmp_gt_u32_e32 vcc, s55, v2
	s_mov_b64 s[46:47], 0
	v_mov_b32_e32 v110, 0
	v_mov_b32_e32 v126, 0
	v_mov_b64_e32 v[80:81], v[48:49]
	v_mov_b32_e32 v125, 0
	v_mov_b64_e32 v[78:79], v[48:49]
                                        ; implicit-def: $sgpr64_sgpr65
                                        ; implicit-def: $vgpr2_vgpr3
	s_and_saveexec_b64 s[42:43], vcc
	s_cbranch_execz .LBB1393_113
; %bb.106:
	ds_read2_b64 v[2:5], v26 offset0:17 offset1:18
	v_cmp_ne_u32_e32 vcc, v8, v9
	v_mov_b32_e32 v8, s69
	v_add_u32_e32 v10, 18, v83
	v_mov_b64_e32 v[48:49], 0
	s_waitcnt lgkmcnt(0)
	v_cndmask_b32_e32 v79, v3, v8, vcc
	v_mov_b32_e32 v3, s68
	v_cndmask_b32_e64 v125, 0, 1, vcc
	v_cndmask_b32_e32 v78, v2, v3, vcc
	v_cmp_gt_u32_e32 vcc, s55, v10
	s_mov_b64 s[64:65], 0
	v_mov_b32_e32 v110, 0
	v_mov_b32_e32 v126, 0
	v_mov_b64_e32 v[80:81], v[48:49]
                                        ; implicit-def: $sgpr74_sgpr75
                                        ; implicit-def: $vgpr2_vgpr3
	s_and_saveexec_b64 s[44:45], vcc
	s_cbranch_execz .LBB1393_112
; %bb.107:
	v_cmp_ne_u32_e32 vcc, v9, v6
	v_mov_b32_e32 v3, s69
	v_add_u32_e32 v2, 19, v83
	v_cndmask_b32_e32 v81, v5, v3, vcc
	v_mov_b32_e32 v3, s68
	v_cndmask_b32_e64 v126, 0, 1, vcc
	v_cndmask_b32_e32 v80, v4, v3, vcc
	v_cmp_gt_u32_e32 vcc, s55, v2
	v_mov_b32_e32 v110, 0
	v_mov_b64_e32 v[48:49], 0
                                        ; implicit-def: $sgpr74_sgpr75
                                        ; implicit-def: $vgpr2_vgpr3
	s_and_saveexec_b64 s[46:47], vcc
	s_cbranch_execz .LBB1393_111
; %bb.108:
	ds_read2_b64 v[2:5], v26 offset0:19 offset1:20
	v_cmp_ne_u32_e32 vcc, v6, v7
	v_mov_b32_e32 v6, s69
	v_add_u32_e32 v8, 20, v83
	v_cndmask_b32_e64 v110, 0, 1, vcc
	s_waitcnt lgkmcnt(0)
	v_cndmask_b32_e32 v49, v3, v6, vcc
	v_mov_b32_e32 v3, s68
	v_cndmask_b32_e32 v48, v2, v3, vcc
	v_cmp_gt_u32_e32 vcc, s55, v8
                                        ; implicit-def: $sgpr74_sgpr75
                                        ; implicit-def: $vgpr2_vgpr3
	s_and_saveexec_b64 s[76:77], vcc
	s_xor_b64 s[76:77], exec, s[76:77]
; %bb.109:
	v_mov_b32_e32 v2, s69
	v_cmp_ne_u32_e32 vcc, v7, v82
	s_mov_b64 s[64:65], exec
	s_and_b64 s[74:75], vcc, exec
	v_cndmask_b32_e32 v3, v5, v2, vcc
	v_mov_b32_e32 v2, s68
	v_cndmask_b32_e32 v2, v4, v2, vcc
; %bb.110:
	s_or_b64 exec, exec, s[76:77]
	s_and_b64 s[74:75], s[74:75], exec
	s_and_b64 s[64:65], s[64:65], exec
.LBB1393_111:
	s_or_b64 exec, exec, s[46:47]
	s_and_b64 s[74:75], s[74:75], exec
	s_and_b64 s[46:47], s[64:65], exec
.LBB1393_112:
	s_or_b64 exec, exec, s[44:45]
	s_and_b64 s[64:65], s[74:75], exec
	s_and_b64 s[44:45], s[46:47], exec
.LBB1393_113:
	s_or_b64 exec, exec, s[42:43]
	s_and_b64 s[46:47], s[64:65], exec
	s_and_b64 s[42:43], s[44:45], exec
.LBB1393_114:
	s_or_b64 exec, exec, s[40:41]
	s_and_b64 s[44:45], s[46:47], exec
	s_and_b64 s[40:41], s[42:43], exec
.LBB1393_115:
	s_or_b64 exec, exec, s[38:39]
	s_and_b64 s[42:43], s[44:45], exec
	s_and_b64 s[38:39], s[40:41], exec
.LBB1393_116:
	s_or_b64 exec, exec, s[36:37]
	s_and_b64 s[40:41], s[42:43], exec
	s_and_b64 s[36:37], s[38:39], exec
.LBB1393_117:
	s_or_b64 exec, exec, s[34:35]
	s_and_b64 s[38:39], s[40:41], exec
	s_and_b64 s[34:35], s[36:37], exec
.LBB1393_118:
	s_or_b64 exec, exec, s[30:31]
	s_and_b64 s[36:37], s[38:39], exec
	s_and_b64 s[30:31], s[34:35], exec
.LBB1393_119:
	s_or_b64 exec, exec, s[28:29]
	s_and_b64 s[34:35], s[36:37], exec
	s_and_b64 s[28:29], s[30:31], exec
.LBB1393_120:
	s_or_b64 exec, exec, s[26:27]
	s_and_b64 s[30:31], s[34:35], exec
	s_and_b64 s[26:27], s[28:29], exec
.LBB1393_121:
	s_or_b64 exec, exec, s[24:25]
	s_and_b64 s[28:29], s[30:31], exec
	s_and_b64 s[24:25], s[26:27], exec
.LBB1393_122:
	s_or_b64 exec, exec, s[22:23]
	s_and_b64 s[26:27], s[28:29], exec
	s_and_b64 s[22:23], s[24:25], exec
.LBB1393_123:
	s_or_b64 exec, exec, s[20:21]
	s_and_b64 s[24:25], s[26:27], exec
	s_and_b64 s[20:21], s[22:23], exec
.LBB1393_124:
	s_or_b64 exec, exec, s[18:19]
	s_and_b64 s[22:23], s[24:25], exec
	s_and_b64 s[18:19], s[20:21], exec
.LBB1393_125:
	s_or_b64 exec, exec, s[16:17]
	s_and_b64 s[20:21], s[22:23], exec
	s_and_b64 s[16:17], s[18:19], exec
.LBB1393_126:
	s_or_b64 exec, exec, s[14:15]
	s_and_b64 s[18:19], s[20:21], exec
	s_and_b64 s[14:15], s[16:17], exec
.LBB1393_127:
	s_or_b64 exec, exec, s[12:13]
	s_and_b64 s[16:17], s[18:19], exec
	s_and_b64 s[12:13], s[14:15], exec
.LBB1393_128:
	s_or_b64 exec, exec, s[10:11]
	s_and_b64 s[14:15], s[16:17], exec
	s_and_b64 s[10:11], s[12:13], exec
.LBB1393_129:
	s_or_b64 exec, exec, s[8:9]
	s_and_b64 s[8:9], s[14:15], exec
	s_and_b64 s[10:11], s[10:11], exec
.LBB1393_130:
	s_or_b64 exec, exec, s[6:7]
	s_mov_b64 s[6:7], 0
	s_and_b64 vcc, exec, s[4:5]
	s_cbranch_vccz .LBB1393_136
.LBB1393_131:
	v_mov_b32_e32 v3, 0
	v_lshlrev_b32_e32 v2, 2, v0
	v_lshl_add_u64 v[4:5], s[72:73], 0, v[2:3]
	v_add_co_u32_e32 v6, vcc, 0x1000, v4
	s_movk_i32 s4, 0x50
	s_nop 0
	v_addc_co_u32_e32 v7, vcc, 0, v5, vcc
	flat_load_dword v1, v[4:5]
	flat_load_dword v10, v[4:5] offset:1024
	flat_load_dword v11, v[4:5] offset:2048
	;; [unrolled: 1-line block ×3, first 2 shown]
	flat_load_dword v13, v[6:7]
	flat_load_dword v14, v[6:7] offset:1024
	flat_load_dword v15, v[6:7] offset:2048
	;; [unrolled: 1-line block ×3, first 2 shown]
	v_add_co_u32_e32 v6, vcc, 0x2000, v4
	s_movk_i32 s9, 0x1000
	s_nop 0
	v_addc_co_u32_e32 v7, vcc, 0, v5, vcc
	v_add_co_u32_e32 v8, vcc, 0x3000, v4
	s_movk_i32 s8, 0x2000
	s_nop 0
	v_addc_co_u32_e32 v9, vcc, 0, v5, vcc
	flat_load_dword v17, v[6:7]
	flat_load_dword v18, v[6:7] offset:1024
	flat_load_dword v19, v[6:7] offset:2048
	;; [unrolled: 1-line block ×3, first 2 shown]
	flat_load_dword v21, v[8:9]
	flat_load_dword v22, v[8:9] offset:1024
	flat_load_dword v23, v[8:9] offset:2048
	;; [unrolled: 1-line block ×3, first 2 shown]
	v_add_co_u32_e32 v6, vcc, 0x4000, v4
	s_movk_i32 s7, 0x3000
	s_nop 0
	v_addc_co_u32_e32 v7, vcc, 0, v5, vcc
	v_add_co_u32_e32 v4, vcc, 0x5000, v4
	s_movk_i32 s6, 0x4000
	s_nop 0
	v_addc_co_u32_e32 v5, vcc, 0, v5, vcc
	flat_load_dword v8, v[6:7]
	flat_load_dword v9, v[6:7] offset:1024
	flat_load_dword v25, v[6:7] offset:2048
	;; [unrolled: 1-line block ×3, first 2 shown]
	flat_load_dword v27, v[4:5]
	v_mov_b32_e32 v4, s72
	v_mov_b32_e32 v5, s73
	v_add_co_u32_e32 v4, vcc, 0x5000, v4
	s_movk_i32 s3, 0x5000
	s_nop 0
	v_addc_co_u32_e32 v5, vcc, 0, v5, vcc
	s_waitcnt vmcnt(0) lgkmcnt(0)
	ds_write2st64_b32 v2, v1, v10 offset1:4
	ds_write2st64_b32 v2, v11, v12 offset0:8 offset1:12
	ds_write2st64_b32 v2, v13, v14 offset0:16 offset1:20
	;; [unrolled: 1-line block ×9, first 2 shown]
	ds_write_b32 v2, v27 offset:20480
	s_waitcnt lgkmcnt(0)
	s_barrier
	flat_load_dword v84, v[4:5] offset:1024
	v_mad_u32_u24 v4, v0, s4, v2
	s_movk_i32 s4, 0xffb0
	ds_read_b32 v1, v4
	ds_read2_b32 v[60:61], v4 offset0:1 offset1:2
	ds_read2_b32 v[58:59], v4 offset0:3 offset1:4
	;; [unrolled: 1-line block ×10, first 2 shown]
	v_mad_i32_i24 v4, v0, s4, v4
	s_movk_i32 s4, 0xff
	v_cmp_ne_u32_e32 vcc, s4, v0
	s_waitcnt lgkmcnt(0)
	ds_write_b32 v4, v1 offset:22528
	s_waitcnt lgkmcnt(0)
	s_barrier
	s_and_saveexec_b64 s[4:5], vcc
	s_cbranch_execz .LBB1393_133
; %bb.132:
	s_waitcnt vmcnt(0)
	ds_read_b32 v84, v2 offset:22532
.LBB1393_133:
	s_or_b64 exec, exec, s[4:5]
	v_lshlrev_b32_e32 v2, 3, v0
	v_lshl_add_u64 v[2:3], s[60:61], 0, v[2:3]
	v_add_co_u32_e32 v6, vcc, s9, v2
	s_waitcnt lgkmcnt(0)
	s_nop 0
	v_addc_co_u32_e32 v7, vcc, 0, v3, vcc
	s_barrier
	flat_load_dwordx2 v[8:9], v[2:3]
	flat_load_dwordx2 v[10:11], v[2:3] offset:2048
	flat_load_dwordx2 v[12:13], v[6:7]
	flat_load_dwordx2 v[14:15], v[6:7] offset:2048
	v_add_co_u32_e32 v6, vcc, s8, v2
	v_lshl_add_u32 v62, v0, 2, v4
	s_nop 0
	v_addc_co_u32_e32 v7, vcc, 0, v3, vcc
	v_add_co_u32_e32 v16, vcc, s7, v2
	v_cmp_eq_u32_e64 s[4:5], v1, v60
	s_nop 0
	v_addc_co_u32_e32 v17, vcc, 0, v3, vcc
	flat_load_dwordx2 v[18:19], v[6:7]
	flat_load_dwordx2 v[20:21], v[6:7] offset:2048
	flat_load_dwordx2 v[22:23], v[16:17]
	flat_load_dwordx2 v[24:25], v[16:17] offset:2048
	v_add_co_u32_e32 v6, vcc, s6, v2
	s_nop 1
	v_addc_co_u32_e32 v7, vcc, 0, v3, vcc
	v_add_co_u32_e32 v16, vcc, s3, v2
	s_movk_i32 s3, 0x6000
	s_nop 0
	v_addc_co_u32_e32 v17, vcc, 0, v3, vcc
	flat_load_dwordx2 v[26:27], v[6:7]
	flat_load_dwordx2 v[28:29], v[6:7] offset:2048
	flat_load_dwordx2 v[30:31], v[16:17]
	flat_load_dwordx2 v[32:33], v[16:17] offset:2048
	v_add_co_u32_e32 v6, vcc, s3, v2
	s_movk_i32 s3, 0x7000
	s_nop 0
	v_addc_co_u32_e32 v7, vcc, 0, v3, vcc
	v_add_co_u32_e32 v16, vcc, s3, v2
	s_mov_b32 s3, 0x8000
	s_nop 0
	v_addc_co_u32_e32 v17, vcc, 0, v3, vcc
	flat_load_dwordx2 v[34:35], v[6:7]
	flat_load_dwordx2 v[36:37], v[6:7] offset:2048
	flat_load_dwordx2 v[38:39], v[16:17]
	flat_load_dwordx2 v[40:41], v[16:17] offset:2048
	v_add_co_u32_e32 v6, vcc, s3, v2
	s_mov_b32 s3, 0x9000
	s_nop 0
	v_addc_co_u32_e32 v7, vcc, 0, v3, vcc
	v_add_co_u32_e32 v16, vcc, s3, v2
	s_mov_b32 s3, 0xa000
	s_nop 0
	v_addc_co_u32_e32 v17, vcc, 0, v3, vcc
	flat_load_dwordx2 v[42:43], v[6:7]
	flat_load_dwordx2 v[64:65], v[6:7] offset:2048
	flat_load_dwordx2 v[66:67], v[16:17]
	flat_load_dwordx2 v[68:69], v[16:17] offset:2048
	v_add_co_u32_e32 v2, vcc, s3, v2
	s_movk_i32 s3, 0xa0
	s_nop 0
	v_addc_co_u32_e32 v3, vcc, 0, v3, vcc
	flat_load_dwordx2 v[2:3], v[2:3]
	v_cmp_ne_u32_e32 vcc, v1, v60
	s_waitcnt vmcnt(0) lgkmcnt(0)
	ds_write2st64_b64 v62, v[8:9], v[10:11] offset1:4
	ds_write2st64_b64 v62, v[12:13], v[14:15] offset0:8 offset1:12
	ds_write2st64_b64 v62, v[18:19], v[20:21] offset0:16 offset1:20
	;; [unrolled: 1-line block ×9, first 2 shown]
	ds_write_b64 v62, v[2:3] offset:40960
	v_mad_u32_u24 v2, v0, s3, v62
	s_waitcnt lgkmcnt(0)
	s_barrier
	ds_read2_b64 v[38:41], v2 offset0:1 offset1:2
	ds_read2_b64 v[34:37], v2 offset0:3 offset1:4
	;; [unrolled: 1-line block ×10, first 2 shown]
	v_mov_b64_e32 v[42:43], s[68:69]
	s_and_saveexec_b64 s[6:7], s[4:5]
	s_cbranch_execz .LBB1393_135
; %bb.134:
	v_mul_u32_u24_e32 v1, 0xa0, v0
	v_add_u32_e32 v1, v62, v1
	ds_read_b64 v[42:43], v1
.LBB1393_135:
	s_or_b64 exec, exec, s[6:7]
	v_cndmask_b32_e64 v1, 0, 1, vcc
	v_cmp_ne_u32_e32 vcc, v60, v61
	v_cmp_ne_u32_e64 s[38:39], v45, v82
	v_cmp_ne_u32_e64 s[40:41], v82, v83
	v_mov_b32_e32 v82, s69
	v_cmp_ne_u32_e64 s[8:9], v59, v56
	v_cmp_ne_u32_e64 s[36:37], v44, v45
	s_waitcnt lgkmcnt(9)
	v_cndmask_b32_e32 v45, v39, v82, vcc
	v_mov_b32_e32 v39, s68
	v_cmp_ne_u32_e64 s[4:5], v61, v58
	v_cmp_ne_u32_e64 s[6:7], v58, v59
	v_cndmask_b32_e64 v112, 0, 1, s[8:9]
	v_cmp_ne_u32_e64 s[10:11], v56, v57
	v_cmp_ne_u32_e64 s[12:13], v57, v54
	;; [unrolled: 1-line block ×12, first 2 shown]
	s_waitcnt lgkmcnt(8)
	v_cndmask_b32_e64 v53, v37, v82, s[8:9]
	v_cndmask_b32_e64 v52, v36, v39, s[8:9]
	v_cmp_ne_u32_e64 s[8:9], v83, v84
	v_cndmask_b32_e64 v108, 0, 1, vcc
	v_cndmask_b32_e64 v109, 0, 1, s[4:5]
	v_cndmask_b32_e64 v111, 0, 1, s[6:7]
	v_cndmask_b32_e64 v113, 0, 1, s[10:11]
	v_cndmask_b32_e64 v114, 0, 1, s[12:13]
	v_cndmask_b32_e64 v115, 0, 1, s[14:15]
	v_cndmask_b32_e64 v116, 0, 1, s[16:17]
	v_cndmask_b32_e64 v117, 0, 1, s[18:19]
	v_cndmask_b32_e64 v118, 0, 1, s[20:21]
	v_cndmask_b32_e64 v119, 0, 1, s[22:23]
	v_cndmask_b32_e64 v120, 0, 1, s[24:25]
	v_cndmask_b32_e64 v121, 0, 1, s[26:27]
	v_cndmask_b32_e64 v122, 0, 1, s[28:29]
	v_cndmask_b32_e64 v123, 0, 1, s[30:31]
	v_cndmask_b32_e64 v124, 0, 1, s[34:35]
	v_cndmask_b32_e64 v125, 0, 1, s[36:37]
	v_cndmask_b32_e64 v126, 0, 1, s[38:39]
	v_cndmask_b32_e64 v110, 0, 1, s[40:41]
	v_cndmask_b32_e32 v44, v38, v39, vcc
	v_cndmask_b32_e64 v47, v41, v82, s[4:5]
	v_cndmask_b32_e64 v46, v40, v39, s[4:5]
	v_cndmask_b32_e64 v51, v35, v82, s[6:7]
	v_cndmask_b32_e64 v50, v34, v39, s[6:7]
	s_waitcnt lgkmcnt(7)
	v_cndmask_b32_e64 v55, v31, v82, s[10:11]
	v_cndmask_b32_e64 v54, v30, v39, s[10:11]
	v_cndmask_b32_e64 v57, v33, v82, s[12:13]
	v_cndmask_b32_e64 v56, v32, v39, s[12:13]
	s_waitcnt lgkmcnt(6)
	;; [unrolled: 5-line block ×8, first 2 shown]
	v_cndmask_b32_e64 v49, v3, v82, s[40:41]
	v_cndmask_b32_e64 v48, v2, v39, s[40:41]
	;; [unrolled: 1-line block ×4, first 2 shown]
	s_mov_b64 s[10:11], -1
                                        ; implicit-def: $sgpr3
                                        ; implicit-def: $sgpr6_sgpr7
.LBB1393_136:
	v_mov_b64_e32 v[82:83], s[6:7]
	v_mov_b32_e32 v127, s3
	s_and_saveexec_b64 s[4:5], s[10:11]
; %bb.137:
	v_cndmask_b32_e64 v127, 0, 1, s[8:9]
	v_mov_b64_e32 v[82:83], v[2:3]
; %bb.138:
	s_or_b64 exec, exec, s[4:5]
	v_or_b32_e32 v2, v127, v110
	s_cmp_lg_u32 s2, 0
	v_add_f64 v[84:85], v[44:45], v[42:43]
	v_or_b32_e32 v129, v2, v126
	v_mbcnt_lo_u32_b32 v128, -1, 0
	s_barrier
	s_cbranch_scc0 .LBB1393_205
; %bb.139:
	v_mov_b32_e32 v4, 0
	v_cmp_eq_u16_sdwa s[44:45], v108, v4 src0_sel:BYTE_0 src1_sel:DWORD
	v_cmp_eq_u16_sdwa s[4:5], v109, v4 src0_sel:BYTE_0 src1_sel:DWORD
	v_cmp_eq_u16_sdwa s[6:7], v111, v4 src0_sel:BYTE_0 src1_sel:DWORD
	v_cndmask_b32_e64 v3, v45, v85, s[44:45]
	v_cndmask_b32_e64 v2, v44, v84, s[44:45]
	v_add_f64 v[2:3], v[46:47], v[2:3]
	v_cndmask_b32_e64 v3, v47, v3, s[4:5]
	v_cndmask_b32_e64 v2, v46, v2, s[4:5]
	v_add_f64 v[2:3], v[50:51], v[2:3]
	v_cndmask_b32_e64 v3, v51, v3, s[6:7]
	v_cndmask_b32_e64 v2, v50, v2, s[6:7]
	v_add_f64 v[2:3], v[52:53], v[2:3]
	v_cmp_eq_u16_sdwa s[8:9], v112, v4 src0_sel:BYTE_0 src1_sel:DWORD
	v_cmp_eq_u16_sdwa s[10:11], v113, v4 src0_sel:BYTE_0 src1_sel:DWORD
	v_cmp_eq_u16_sdwa s[12:13], v114, v4 src0_sel:BYTE_0 src1_sel:DWORD
	v_cndmask_b32_e64 v3, v53, v3, s[8:9]
	v_cndmask_b32_e64 v2, v52, v2, s[8:9]
	v_add_f64 v[2:3], v[54:55], v[2:3]
	v_cndmask_b32_e64 v3, v55, v3, s[10:11]
	v_cndmask_b32_e64 v2, v54, v2, s[10:11]
	v_add_f64 v[2:3], v[56:57], v[2:3]
	v_cndmask_b32_e64 v3, v57, v3, s[12:13]
	v_cndmask_b32_e64 v2, v56, v2, s[12:13]
	v_add_f64 v[2:3], v[58:59], v[2:3]
	;; [unrolled: 12-line block ×3, first 2 shown]
	v_cmp_eq_u16_sdwa s[20:21], v118, v4 src0_sel:BYTE_0 src1_sel:DWORD
	v_cmp_eq_u16_sdwa s[22:23], v119, v4 src0_sel:BYTE_0 src1_sel:DWORD
	;; [unrolled: 1-line block ×3, first 2 shown]
	v_cndmask_b32_e64 v3, v65, v3, s[20:21]
	v_cndmask_b32_e64 v2, v64, v2, s[20:21]
	v_add_f64 v[2:3], v[66:67], v[2:3]
	v_cndmask_b32_e64 v3, v67, v3, s[22:23]
	v_cndmask_b32_e64 v2, v66, v2, s[22:23]
	v_cmp_eq_u16_sdwa s[26:27], v121, v4 src0_sel:BYTE_0 src1_sel:DWORD
	v_cmp_eq_u16_sdwa s[28:29], v122, v4 src0_sel:BYTE_0 src1_sel:DWORD
	;; [unrolled: 1-line block ×7, first 2 shown]
	v_cmp_eq_u16_sdwa vcc, v127, v4 src0_sel:BYTE_0 src1_sel:DWORD
	v_or_b32_e32 v4, v129, v125
	v_add_f64 v[2:3], v[68:69], v[2:3]
	v_or_b32_e32 v4, v4, v124
	v_cndmask_b32_e64 v3, v69, v3, s[24:25]
	v_cndmask_b32_e64 v2, v68, v2, s[24:25]
	v_or_b32_e32 v4, v4, v123
	v_add_f64 v[2:3], v[70:71], v[2:3]
	v_or_b32_e32 v4, v4, v122
	v_cndmask_b32_e64 v3, v71, v3, s[26:27]
	v_cndmask_b32_e64 v2, v70, v2, s[26:27]
	;; [unrolled: 5-line block ×8, first 2 shown]
	v_or_b32_e32 v4, v4, v108
	v_add_f64 v[2:3], v[82:83], v[2:3]
	v_or_b32_e32 v4, v4, v1
	v_mbcnt_hi_u32_b32 v9, -1, v128
	v_cndmask_b32_e32 v3, v83, v3, vcc
	v_cndmask_b32_e32 v2, v82, v2, vcc
	v_and_b32_e32 v8, 1, v4
	v_and_b32_e32 v6, 15, v9
	v_cmp_eq_u32_e32 vcc, 1, v8
	v_mov_b32_dpp v4, v2 row_shr:1 row_mask:0xf bank_mask:0xf
	v_mov_b32_dpp v5, v3 row_shr:1 row_mask:0xf bank_mask:0xf
	;; [unrolled: 1-line block ×3, first 2 shown]
	v_cmp_ne_u32_e64 s[42:43], 0, v6
	v_mov_b32_e32 v7, v8
	s_and_saveexec_b64 s[46:47], s[42:43]
; %bb.140:
	v_add_f64 v[4:5], v[2:3], v[4:5]
	v_cndmask_b32_e32 v2, v4, v2, vcc
	v_and_b32_e32 v4, 1, v10
	v_or_b32_e32 v8, v4, v8
	v_cndmask_b32_e32 v3, v5, v3, vcc
	v_and_b32_e32 v7, 0xffff, v8
; %bb.141:
	s_or_b64 exec, exec, s[46:47]
	v_mov_b32_dpp v4, v2 row_shr:2 row_mask:0xf bank_mask:0xf
	v_mov_b32_dpp v5, v3 row_shr:2 row_mask:0xf bank_mask:0xf
	v_mov_b32_dpp v10, v7 row_shr:2 row_mask:0xf bank_mask:0xf
	v_cmp_lt_u32_e32 vcc, 1, v6
	s_and_saveexec_b64 s[46:47], vcc
; %bb.142:
	v_add_f64 v[4:5], v[2:3], v[4:5]
	v_cmp_eq_u16_e32 vcc, 0, v8
	s_nop 1
	v_cndmask_b32_e32 v2, v2, v4, vcc
	v_and_b32_e32 v4, 1, v8
	v_cndmask_b32_e32 v3, v3, v5, vcc
	v_cmp_eq_u32_e32 vcc, 1, v4
	v_and_b32_e32 v4, 1, v10
	v_cmp_eq_u32_e64 s[42:43], 1, v4
	s_or_b64 s[42:43], vcc, s[42:43]
	s_nop 0
	v_cndmask_b32_e64 v8, 0, 1, s[42:43]
	v_cndmask_b32_e64 v7, 0, 1, s[42:43]
; %bb.143:
	s_or_b64 exec, exec, s[46:47]
	v_mov_b32_dpp v4, v2 row_shr:4 row_mask:0xf bank_mask:0xf
	v_mov_b32_dpp v5, v3 row_shr:4 row_mask:0xf bank_mask:0xf
	v_mov_b32_dpp v10, v7 row_shr:4 row_mask:0xf bank_mask:0xf
	v_cmp_lt_u32_e32 vcc, 3, v6
	s_and_saveexec_b64 s[46:47], vcc
; %bb.144:
	v_add_f64 v[4:5], v[2:3], v[4:5]
	v_cmp_eq_u16_e32 vcc, 0, v8
	s_nop 1
	v_cndmask_b32_e32 v2, v2, v4, vcc
	v_and_b32_e32 v4, 1, v8
	v_cndmask_b32_e32 v3, v3, v5, vcc
	v_cmp_eq_u32_e32 vcc, 1, v4
	v_and_b32_e32 v4, 1, v10
	v_cmp_eq_u32_e64 s[42:43], 1, v4
	s_or_b64 s[42:43], vcc, s[42:43]
	s_nop 0
	v_cndmask_b32_e64 v8, 0, 1, s[42:43]
	v_cndmask_b32_e64 v7, 0, 1, s[42:43]
	;; [unrolled: 21-line block ×3, first 2 shown]
; %bb.147:
	s_or_b64 exec, exec, s[46:47]
	v_and_b32_e32 v10, 16, v9
	v_mov_b32_dpp v4, v2 row_bcast:15 row_mask:0xf bank_mask:0xf
	v_mov_b32_dpp v5, v3 row_bcast:15 row_mask:0xf bank_mask:0xf
	;; [unrolled: 1-line block ×3, first 2 shown]
	v_cmp_ne_u32_e32 vcc, 0, v10
	s_and_saveexec_b64 s[46:47], vcc
; %bb.148:
	v_add_f64 v[4:5], v[2:3], v[4:5]
	v_cmp_eq_u16_e32 vcc, 0, v8
	s_nop 1
	v_cndmask_b32_e32 v2, v2, v4, vcc
	v_and_b32_e32 v4, 1, v8
	v_cndmask_b32_e32 v3, v3, v5, vcc
	v_cmp_eq_u32_e32 vcc, 1, v4
	v_and_b32_e32 v4, 1, v6
	v_cmp_eq_u32_e64 s[42:43], 1, v4
	s_or_b64 s[42:43], vcc, s[42:43]
	s_nop 0
	v_cndmask_b32_e64 v8, 0, 1, s[42:43]
	v_cndmask_b32_e64 v7, 0, 1, s[42:43]
; %bb.149:
	s_or_b64 exec, exec, s[46:47]
	v_mov_b32_dpp v4, v2 row_bcast:31 row_mask:0xf bank_mask:0xf
	v_mov_b32_dpp v5, v3 row_bcast:31 row_mask:0xf bank_mask:0xf
	;; [unrolled: 1-line block ×3, first 2 shown]
	v_cmp_lt_u32_e32 vcc, 31, v9
	s_and_saveexec_b64 s[46:47], vcc
; %bb.150:
	v_add_f64 v[4:5], v[2:3], v[4:5]
	v_cmp_eq_u16_e32 vcc, 0, v8
	s_nop 1
	v_cndmask_b32_e32 v2, v2, v4, vcc
	v_and_b32_e32 v4, 1, v8
	v_cndmask_b32_e32 v3, v3, v5, vcc
	v_cmp_eq_u32_e32 vcc, 1, v4
	v_and_b32_e32 v4, 1, v6
	v_cmp_eq_u32_e64 s[42:43], 1, v4
	s_or_b64 s[42:43], vcc, s[42:43]
	s_nop 0
	v_cndmask_b32_e64 v8, 0, 1, s[42:43]
; %bb.151:
	s_or_b64 exec, exec, s[46:47]
	v_or_b32_e32 v4, 63, v0
	v_lshrrev_b32_e32 v10, 6, v0
	v_cmp_eq_u32_e32 vcc, v4, v0
	s_and_saveexec_b64 s[42:43], vcc
	s_cbranch_execz .LBB1393_153
; %bb.152:
	v_lshlrev_b32_e32 v4, 4, v10
	ds_write_b64 v4, v[2:3]
	ds_write_b8 v4, v8 offset:8
.LBB1393_153:
	s_or_b64 exec, exec, s[42:43]
	v_cmp_gt_u32_e32 vcc, 4, v0
	s_waitcnt lgkmcnt(0)
	s_barrier
	s_and_saveexec_b64 s[46:47], vcc
	s_cbranch_execz .LBB1393_159
; %bb.154:
	v_lshlrev_b32_e32 v11, 4, v0
	ds_read_b64 v[4:5], v11
	ds_read_b32 v12, v11 offset:8
	v_and_b32_e32 v13, 3, v9
	v_cmp_ne_u32_e32 vcc, 0, v13
	s_waitcnt lgkmcnt(1)
	v_mov_b32_dpp v6, v4 row_shr:1 row_mask:0xf bank_mask:0xf
	v_mov_b32_dpp v7, v5 row_shr:1 row_mask:0xf bank_mask:0xf
	s_waitcnt lgkmcnt(0)
	v_mov_b32_dpp v16, v12 row_shr:1 row_mask:0xf bank_mask:0xf
	v_mov_b32_e32 v15, v12
	v_mov_b32_e32 v14, v12
	s_and_saveexec_b64 s[42:43], vcc
; %bb.155:
	v_mov_b32_e32 v14, 0
	v_add_f64 v[6:7], v[4:5], v[6:7]
	v_cmp_eq_u16_sdwa vcc, v12, v14 src0_sel:BYTE_0 src1_sel:DWORD
	s_movk_i32 s3, 0xff00
	s_nop 0
	v_cndmask_b32_e32 v4, v4, v6, vcc
	v_or_b32_e32 v6, v16, v12
	v_and_b32_e32 v14, 1, v6
	v_cndmask_b32_e32 v5, v5, v7, vcc
	v_and_b32_e32 v15, 1, v6
	v_and_or_b32 v12, v12, s3, v14
; %bb.156:
	s_or_b64 exec, exec, s[42:43]
	v_mov_b32_dpp v6, v4 row_shr:2 row_mask:0xf bank_mask:0xf
	v_mov_b32_dpp v7, v5 row_shr:2 row_mask:0xf bank_mask:0xf
	v_mov_b32_dpp v12, v12 row_shr:2 row_mask:0xf bank_mask:0xf
	v_cmp_lt_u32_e32 vcc, 1, v13
	s_and_saveexec_b64 s[60:61], vcc
; %bb.157:
	v_mov_b32_e32 v13, 0
	v_add_f64 v[6:7], v[4:5], v[6:7]
	v_cmp_eq_u16_sdwa vcc, v14, v13 src0_sel:BYTE_0 src1_sel:DWORD
	s_nop 1
	v_cndmask_b32_e32 v4, v4, v6, vcc
	v_and_b32_e32 v6, 1, v14
	v_cndmask_b32_e32 v5, v5, v7, vcc
	v_cmp_eq_u32_e32 vcc, 1, v6
	v_and_b32_e32 v6, 1, v12
	v_cmp_eq_u32_e64 s[42:43], 1, v6
	s_or_b64 s[42:43], vcc, s[42:43]
	s_nop 0
	v_cndmask_b32_e64 v15, 0, 1, s[42:43]
; %bb.158:
	s_or_b64 exec, exec, s[60:61]
	ds_write_b64 v11, v[4:5]
	ds_write_b8 v11, v15 offset:8
.LBB1393_159:
	s_or_b64 exec, exec, s[46:47]
	v_cmp_gt_u32_e32 vcc, 64, v0
	v_cmp_lt_u32_e64 s[42:43], 63, v0
	v_mov_b32_e32 v18, 0
	v_mov_b64_e32 v[6:7], 0
	s_waitcnt lgkmcnt(0)
	s_barrier
	s_and_saveexec_b64 s[46:47], s[42:43]
	s_cbranch_execz .LBB1393_161
; %bb.160:
	v_lshl_add_u32 v4, v10, 4, -16
	ds_read_b64 v[6:7], v4
	ds_read_u8 v18, v4 offset:8
	v_cmp_eq_u16_e64 s[42:43], 0, v8
	s_waitcnt lgkmcnt(1)
	v_add_f64 v[4:5], v[2:3], v[6:7]
	s_waitcnt lgkmcnt(0)
	v_or_b32_e32 v10, v8, v18
	v_cndmask_b32_e64 v3, v3, v5, s[42:43]
	v_cndmask_b32_e64 v2, v2, v4, s[42:43]
	v_and_b32_e32 v8, 1, v10
.LBB1393_161:
	s_or_b64 exec, exec, s[46:47]
	v_add_u32_e32 v4, -1, v9
	v_and_b32_e32 v5, 64, v9
	v_cmp_lt_i32_e64 s[42:43], v4, v5
	s_nop 1
	v_cndmask_b32_e64 v4, v4, v9, s[42:43]
	v_lshlrev_b32_e32 v4, 2, v4
	ds_bpermute_b32 v19, v4, v2
	v_and_b32_e32 v2, 0xffff, v8
	ds_bpermute_b32 v20, v4, v3
	ds_bpermute_b32 v21, v4, v2
	v_cmp_eq_u32_e64 s[42:43], 0, v9
	s_and_saveexec_b64 s[60:61], vcc
	s_cbranch_execz .LBB1393_204
; %bb.162:
	v_mov_b32_e32 v11, 0
	ds_read2_b64 v[2:5], v11 offset0:6 offset1:7
	s_and_saveexec_b64 s[46:47], s[42:43]
	s_cbranch_execz .LBB1393_164
; %bb.163:
	s_add_i32 s64, s2, 64
	s_mov_b32 s65, 0
	s_lshl_b64 s[72:73], s[64:65], 4
	s_add_u32 s72, s48, s72
	s_addc_u32 s73, s49, s73
	s_waitcnt lgkmcnt(0)
	global_store_dword v11, v2, s[72:73] sc1
	global_store_dword v11, v3, s[72:73] offset:4 sc1
	global_store_dword v11, v4, s[72:73] offset:8 sc1
	;; [unrolled: 1-line block ×3, first 2 shown]
	v_mov_b32_e32 v5, s64
	v_mov_b32_e32 v8, 1
	s_waitcnt vmcnt(0)
	global_store_byte v5, v8, s[52:53] sc1
.LBB1393_164:
	s_or_b64 exec, exec, s[46:47]
	v_xad_u32 v8, v9, -1, s2
	v_add_u32_e32 v10, 64, v8
	s_waitcnt lgkmcnt(0)
	global_load_ubyte v5, v10, s[52:53] sc1
	s_waitcnt vmcnt(0)
	v_cmp_eq_u16_e32 vcc, 0, v5
	s_and_saveexec_b64 s[46:47], vcc
	s_cbranch_execz .LBB1393_168
; %bb.165:
	v_lshl_add_u64 v[12:13], s[52:53], 0, v[10:11]
	s_mov_b64 s[64:65], 0
.LBB1393_166:                           ; =>This Inner Loop Header: Depth=1
	global_load_ubyte v5, v[12:13], off sc1
	s_waitcnt vmcnt(0)
	v_cmp_ne_u16_e32 vcc, 0, v5
	s_or_b64 s[64:65], vcc, s[64:65]
	s_andn2_b64 exec, exec, s[64:65]
	s_cbranch_execnz .LBB1393_166
; %bb.167:
	s_or_b64 exec, exec, s[64:65]
.LBB1393_168:
	s_or_b64 exec, exec, s[46:47]
	v_mov_b32_e32 v12, s51
	v_mov_b32_e32 v13, s49
	v_cmp_eq_u16_e32 vcc, 1, v5
	v_mov_b32_e32 v14, s48
	s_waitcnt vmcnt(0)
	v_cndmask_b32_e32 v13, v12, v13, vcc
	v_mov_b32_e32 v12, s50
	v_cndmask_b32_e32 v12, v12, v14, vcc
	v_lshl_add_u64 v[10:11], v[10:11], 4, v[12:13]
	global_load_dword v14, v[10:11], off sc1
	global_load_dword v15, v[10:11], off offset:4 sc1
	global_load_dword v16, v[10:11], off offset:8 sc1
	s_nop 0
	global_load_dword v10, v[10:11], off offset:12 sc1
	v_cmp_eq_u16_e32 vcc, 2, v5
	s_waitcnt vmcnt(0)
	v_lshlrev_b64 v[10:11], v9, -1
	v_and_b32_e32 v22, 63, v9
	v_and_b32_e32 v12, vcc_hi, v11
	v_and_b32_e32 v17, vcc_lo, v10
	v_cmp_ne_u32_e32 vcc, 63, v22
	v_or_b32_e32 v12, 0x80000000, v12
	v_ffbl_b32_e32 v25, v12
	v_addc_co_u32_e32 v13, vcc, 0, v9, vcc
	v_lshlrev_b32_e32 v23, 2, v13
	v_add_u32_e32 v25, 32, v25
	v_ffbl_b32_e32 v17, v17
	v_min_u32_e32 v17, v17, v25
	v_cmp_lt_u32_e32 vcc, v22, v17
	ds_bpermute_b32 v12, v23, v14
	ds_bpermute_b32 v13, v23, v15
	v_and_b32_e32 v32, 0xff, v16
	ds_bpermute_b32 v24, v23, v32
	s_and_saveexec_b64 s[46:47], vcc
	s_cbranch_execz .LBB1393_170
; %bb.169:
	v_mov_b32_e32 v25, 0
	s_waitcnt lgkmcnt(1)
	v_add_f64 v[12:13], v[14:15], v[12:13]
	v_cmp_eq_u16_sdwa vcc, v16, v25 src0_sel:BYTE_0 src1_sel:DWORD
	s_nop 1
	v_cndmask_b32_e32 v14, v14, v12, vcc
	s_waitcnt lgkmcnt(0)
	v_or_b32_e32 v12, v24, v16
	v_cndmask_b32_e32 v15, v15, v13, vcc
	v_and_b32_e32 v16, 1, v12
	v_and_b32_e32 v32, 1, v12
.LBB1393_170:
	s_or_b64 exec, exec, s[46:47]
	v_cmp_gt_u32_e32 vcc, 62, v22
	v_add_u32_e32 v25, 2, v22
	s_waitcnt lgkmcnt(2)
	v_cndmask_b32_e64 v12, 0, 1, vcc
	v_lshlrev_b32_e32 v12, 1, v12
	s_waitcnt lgkmcnt(0)
	v_add_lshl_u32 v24, v12, v9, 2
	ds_bpermute_b32 v12, v24, v14
	ds_bpermute_b32 v13, v24, v15
	ds_bpermute_b32 v26, v24, v32
	v_cmp_le_u32_e32 vcc, v25, v17
	s_and_saveexec_b64 s[64:65], vcc
	s_cbranch_execz .LBB1393_172
; %bb.171:
	v_mov_b32_e32 v27, 0
	s_waitcnt lgkmcnt(1)
	v_add_f64 v[12:13], v[14:15], v[12:13]
	v_cmp_eq_u16_sdwa vcc, v16, v27 src0_sel:BYTE_0 src1_sel:DWORD
	s_nop 1
	v_cndmask_b32_e32 v14, v14, v12, vcc
	v_and_b32_e32 v12, 1, v16
	v_cndmask_b32_e32 v15, v15, v13, vcc
	v_cmp_eq_u32_e32 vcc, 1, v12
	s_waitcnt lgkmcnt(0)
	v_and_b32_e32 v12, 1, v26
	v_cmp_eq_u32_e64 s[46:47], 1, v12
	s_or_b64 s[46:47], vcc, s[46:47]
	s_nop 0
	v_cndmask_b32_e64 v16, 0, 1, s[46:47]
	v_cndmask_b32_e64 v32, 0, 1, s[46:47]
.LBB1393_172:
	s_or_b64 exec, exec, s[64:65]
	v_cmp_gt_u32_e32 vcc, 60, v22
	v_add_u32_e32 v27, 4, v22
	s_waitcnt lgkmcnt(2)
	v_cndmask_b32_e64 v12, 0, 1, vcc
	v_lshlrev_b32_e32 v12, 2, v12
	s_waitcnt lgkmcnt(0)
	v_add_lshl_u32 v26, v12, v9, 2
	ds_bpermute_b32 v12, v26, v14
	ds_bpermute_b32 v13, v26, v15
	ds_bpermute_b32 v28, v26, v32
	v_cmp_le_u32_e32 vcc, v27, v17
	s_and_saveexec_b64 s[64:65], vcc
	s_cbranch_execz .LBB1393_174
; %bb.173:
	v_mov_b32_e32 v29, 0
	s_waitcnt lgkmcnt(1)
	v_add_f64 v[12:13], v[14:15], v[12:13]
	v_cmp_eq_u16_sdwa vcc, v16, v29 src0_sel:BYTE_0 src1_sel:DWORD
	s_nop 1
	v_cndmask_b32_e32 v14, v14, v12, vcc
	v_and_b32_e32 v12, 1, v16
	v_cndmask_b32_e32 v15, v15, v13, vcc
	v_cmp_eq_u32_e32 vcc, 1, v12
	s_waitcnt lgkmcnt(0)
	v_and_b32_e32 v12, 1, v28
	v_cmp_eq_u32_e64 s[46:47], 1, v12
	s_or_b64 s[46:47], vcc, s[46:47]
	s_nop 0
	v_cndmask_b32_e64 v16, 0, 1, s[46:47]
	v_cndmask_b32_e64 v32, 0, 1, s[46:47]
.LBB1393_174:
	;; [unrolled: 32-line block ×4, first 2 shown]
	s_or_b64 exec, exec, s[64:65]
	v_cmp_gt_u32_e32 vcc, 32, v22
	v_add_u32_e32 v34, 32, v22
	s_waitcnt lgkmcnt(2)
	v_cndmask_b32_e64 v12, 0, 1, vcc
	v_lshlrev_b32_e32 v12, 5, v12
	s_waitcnt lgkmcnt(0)
	v_add_lshl_u32 v33, v12, v9, 2
	ds_bpermute_b32 v12, v33, v14
	ds_bpermute_b32 v13, v33, v15
	;; [unrolled: 1-line block ×3, first 2 shown]
	v_cmp_le_u32_e32 vcc, v34, v17
	s_and_saveexec_b64 s[64:65], vcc
	s_cbranch_execz .LBB1393_180
; %bb.179:
	v_mov_b32_e32 v17, 0
	s_waitcnt lgkmcnt(1)
	v_add_f64 v[12:13], v[14:15], v[12:13]
	v_cmp_eq_u16_sdwa vcc, v16, v17 src0_sel:BYTE_0 src1_sel:DWORD
	s_waitcnt lgkmcnt(0)
	v_and_b32_e32 v9, 1, v9
	v_cmp_eq_u32_e64 s[46:47], 1, v9
	v_cndmask_b32_e32 v14, v14, v12, vcc
	v_and_b32_e32 v12, 1, v16
	v_cndmask_b32_e32 v15, v15, v13, vcc
	v_cmp_eq_u32_e32 vcc, 1, v12
	s_or_b64 s[46:47], vcc, s[46:47]
	v_cndmask_b32_e64 v16, 0, 1, s[46:47]
.LBB1393_180:
	s_or_b64 exec, exec, s[64:65]
	s_waitcnt lgkmcnt(0)
	v_mov_b32_e32 v9, 0
	v_mov_b32_e32 v35, 2
	s_branch .LBB1393_182
.LBB1393_181:                           ;   in Loop: Header=BB1393_182 Depth=1
	s_or_b64 exec, exec, s[72:73]
	v_add_f64 v[14:15], v[12:13], v[14:15]
	v_cmp_eq_u16_sdwa vcc, v32, v9 src0_sel:BYTE_0 src1_sel:DWORD
	s_waitcnt lgkmcnt(2)
	v_and_b32_e32 v16, 1, v32
	v_subrev_u32_e32 v8, 64, v8
	v_cndmask_b32_e32 v15, v13, v15, vcc
	v_cndmask_b32_e32 v14, v12, v14, vcc
	v_cmp_eq_u32_e32 vcc, 1, v16
	s_or_b64 s[46:47], vcc, s[64:65]
	v_cndmask_b32_e64 v16, 0, 1, s[46:47]
.LBB1393_182:                           ; =>This Loop Header: Depth=1
                                        ;     Child Loop BB1393_185 Depth 2
	v_cmp_ne_u16_sdwa s[46:47], v5, v35 src0_sel:BYTE_0 src1_sel:DWORD
	v_mov_b32_e32 v32, v16
	v_mov_b64_e32 v[12:13], v[14:15]
	v_cndmask_b32_e64 v5, 0, 1, s[46:47]
	;;#ASMSTART
	;;#ASMEND
	s_nop 0
	v_cmp_ne_u32_e32 vcc, 0, v5
	s_cmp_lg_u64 vcc, exec
	s_cbranch_scc1 .LBB1393_199
; %bb.183:                              ;   in Loop: Header=BB1393_182 Depth=1
	global_load_ubyte v5, v8, s[52:53] sc1
	s_waitcnt vmcnt(0)
	v_cmp_eq_u16_e32 vcc, 0, v5
	s_and_saveexec_b64 s[46:47], vcc
	s_cbranch_execz .LBB1393_187
; %bb.184:                              ;   in Loop: Header=BB1393_182 Depth=1
	v_lshl_add_u64 v[14:15], s[52:53], 0, v[8:9]
	s_mov_b64 s[64:65], 0
.LBB1393_185:                           ;   Parent Loop BB1393_182 Depth=1
                                        ; =>  This Inner Loop Header: Depth=2
	global_load_ubyte v5, v[14:15], off sc1
	s_waitcnt vmcnt(0)
	v_cmp_ne_u16_e32 vcc, 0, v5
	s_or_b64 s[64:65], vcc, s[64:65]
	s_andn2_b64 exec, exec, s[64:65]
	s_cbranch_execnz .LBB1393_185
; %bb.186:                              ;   in Loop: Header=BB1393_182 Depth=1
	s_or_b64 exec, exec, s[64:65]
.LBB1393_187:                           ;   in Loop: Header=BB1393_182 Depth=1
	s_or_b64 exec, exec, s[46:47]
	v_mov_b32_e32 v14, s51
	v_mov_b32_e32 v15, s49
	v_cmp_eq_u16_e32 vcc, 1, v5
	v_mov_b32_e32 v16, s48
	s_waitcnt vmcnt(0)
	v_cndmask_b32_e32 v15, v14, v15, vcc
	v_mov_b32_e32 v14, s50
	v_cndmask_b32_e32 v14, v14, v16, vcc
	s_waitcnt lgkmcnt(1)
	v_lshl_add_u64 v[16:17], v[8:9], 4, v[14:15]
	global_load_dword v14, v[16:17], off sc1
	global_load_dword v15, v[16:17], off offset:4 sc1
	global_load_dword v36, v[16:17], off offset:8 sc1
	s_nop 0
	global_load_dword v16, v[16:17], off offset:12 sc1
	v_cmp_eq_u16_e32 vcc, 2, v5
	s_waitcnt vmcnt(2)
	ds_bpermute_b32 v17, v23, v15
	s_waitcnt vmcnt(0)
	v_and_b32_e32 v16, vcc_hi, v11
	v_or_b32_e32 v16, 0x80000000, v16
	s_waitcnt lgkmcnt(1)
	v_and_b32_e32 v38, 0xff, v36
	v_ffbl_b32_e32 v40, v16
	ds_bpermute_b32 v16, v23, v14
	ds_bpermute_b32 v39, v23, v38
	v_and_b32_e32 v37, vcc_lo, v10
	v_add_u32_e32 v40, 32, v40
	v_ffbl_b32_e32 v37, v37
	v_min_u32_e32 v37, v37, v40
	v_cmp_lt_u32_e32 vcc, v22, v37
	s_and_saveexec_b64 s[46:47], vcc
	s_cbranch_execz .LBB1393_189
; %bb.188:                              ;   in Loop: Header=BB1393_182 Depth=1
	s_waitcnt lgkmcnt(1)
	v_add_f64 v[16:17], v[14:15], v[16:17]
	v_cmp_eq_u16_sdwa vcc, v36, v9 src0_sel:BYTE_0 src1_sel:DWORD
	s_nop 1
	v_cndmask_b32_e32 v14, v14, v16, vcc
	s_waitcnt lgkmcnt(0)
	v_or_b32_e32 v16, v39, v36
	v_cndmask_b32_e32 v15, v15, v17, vcc
	v_and_b32_e32 v36, 1, v16
	v_and_b32_e32 v38, 1, v16
.LBB1393_189:                           ;   in Loop: Header=BB1393_182 Depth=1
	s_or_b64 exec, exec, s[46:47]
	s_waitcnt lgkmcnt(1)
	ds_bpermute_b32 v16, v24, v14
	ds_bpermute_b32 v17, v24, v15
	s_waitcnt lgkmcnt(2)
	ds_bpermute_b32 v39, v24, v38
	v_and_b32_e32 v40, 1, v36
	v_cmp_le_u32_e32 vcc, v25, v37
	v_cmp_eq_u32_e64 s[64:65], 1, v40
	s_and_saveexec_b64 s[46:47], vcc
	s_cbranch_execz .LBB1393_191
; %bb.190:                              ;   in Loop: Header=BB1393_182 Depth=1
	s_waitcnt lgkmcnt(1)
	v_add_f64 v[16:17], v[14:15], v[16:17]
	v_cmp_eq_u16_sdwa vcc, v36, v9 src0_sel:BYTE_0 src1_sel:DWORD
	s_nop 1
	v_cndmask_b32_e32 v14, v14, v16, vcc
	s_waitcnt lgkmcnt(0)
	v_and_b32_e32 v16, 1, v39
	v_cndmask_b32_e32 v15, v15, v17, vcc
	v_cmp_eq_u32_e32 vcc, 1, v16
	s_or_b64 s[72:73], s[64:65], vcc
	v_cndmask_b32_e64 v36, 0, 1, s[72:73]
	v_cndmask_b32_e64 v38, 0, 1, s[72:73]
	s_andn2_b64 s[64:65], s[64:65], exec
	s_and_b64 s[72:73], s[72:73], exec
	s_or_b64 s[64:65], s[64:65], s[72:73]
.LBB1393_191:                           ;   in Loop: Header=BB1393_182 Depth=1
	s_or_b64 exec, exec, s[46:47]
	s_waitcnt lgkmcnt(2)
	ds_bpermute_b32 v16, v26, v14
	s_waitcnt lgkmcnt(2)
	ds_bpermute_b32 v17, v26, v15
	s_waitcnt lgkmcnt(2)
	ds_bpermute_b32 v39, v26, v38
	v_cmp_le_u32_e32 vcc, v27, v37
	s_and_saveexec_b64 s[72:73], vcc
	s_cbranch_execz .LBB1393_193
; %bb.192:                              ;   in Loop: Header=BB1393_182 Depth=1
	s_waitcnt lgkmcnt(1)
	v_add_f64 v[16:17], v[14:15], v[16:17]
	v_cmp_eq_u16_sdwa vcc, v36, v9 src0_sel:BYTE_0 src1_sel:DWORD
	s_andn2_b64 s[64:65], s[64:65], exec
	s_nop 0
	v_cndmask_b32_e32 v14, v14, v16, vcc
	v_and_b32_e32 v16, 1, v36
	v_cndmask_b32_e32 v15, v15, v17, vcc
	v_cmp_eq_u32_e32 vcc, 1, v16
	s_waitcnt lgkmcnt(0)
	v_and_b32_e32 v16, 1, v39
	v_cmp_eq_u32_e64 s[46:47], 1, v16
	s_or_b64 s[46:47], vcc, s[46:47]
	s_nop 0
	v_cndmask_b32_e64 v36, 0, 1, s[46:47]
	v_cndmask_b32_e64 v38, 0, 1, s[46:47]
	s_and_b64 s[46:47], s[46:47], exec
	s_or_b64 s[64:65], s[64:65], s[46:47]
.LBB1393_193:                           ;   in Loop: Header=BB1393_182 Depth=1
	s_or_b64 exec, exec, s[72:73]
	s_waitcnt lgkmcnt(2)
	ds_bpermute_b32 v16, v28, v14
	s_waitcnt lgkmcnt(2)
	ds_bpermute_b32 v17, v28, v15
	s_waitcnt lgkmcnt(2)
	ds_bpermute_b32 v39, v28, v38
	v_cmp_le_u32_e32 vcc, v29, v37
	s_and_saveexec_b64 s[72:73], vcc
	s_cbranch_execz .LBB1393_195
; %bb.194:                              ;   in Loop: Header=BB1393_182 Depth=1
	s_waitcnt lgkmcnt(1)
	v_add_f64 v[16:17], v[14:15], v[16:17]
	v_cmp_eq_u16_sdwa vcc, v36, v9 src0_sel:BYTE_0 src1_sel:DWORD
	s_andn2_b64 s[64:65], s[64:65], exec
	s_nop 0
	v_cndmask_b32_e32 v14, v14, v16, vcc
	v_and_b32_e32 v16, 1, v36
	v_cndmask_b32_e32 v15, v15, v17, vcc
	v_cmp_eq_u32_e32 vcc, 1, v16
	s_waitcnt lgkmcnt(0)
	v_and_b32_e32 v16, 1, v39
	v_cmp_eq_u32_e64 s[46:47], 1, v16
	s_or_b64 s[46:47], vcc, s[46:47]
	s_nop 0
	v_cndmask_b32_e64 v36, 0, 1, s[46:47]
	v_cndmask_b32_e64 v38, 0, 1, s[46:47]
	s_and_b64 s[46:47], s[46:47], exec
	s_or_b64 s[64:65], s[64:65], s[46:47]
.LBB1393_195:                           ;   in Loop: Header=BB1393_182 Depth=1
	;; [unrolled: 30-line block ×3, first 2 shown]
	s_or_b64 exec, exec, s[72:73]
	s_waitcnt lgkmcnt(2)
	ds_bpermute_b32 v16, v33, v14
	s_waitcnt lgkmcnt(2)
	ds_bpermute_b32 v17, v33, v15
	ds_bpermute_b32 v38, v33, v38
	v_cmp_le_u32_e32 vcc, v34, v37
	s_and_saveexec_b64 s[72:73], vcc
	s_cbranch_execz .LBB1393_181
; %bb.198:                              ;   in Loop: Header=BB1393_182 Depth=1
	s_waitcnt lgkmcnt(1)
	v_add_f64 v[16:17], v[14:15], v[16:17]
	v_cmp_eq_u16_sdwa vcc, v36, v9 src0_sel:BYTE_0 src1_sel:DWORD
	s_andn2_b64 s[64:65], s[64:65], exec
	s_nop 0
	v_cndmask_b32_e32 v14, v14, v16, vcc
	v_and_b32_e32 v16, 1, v36
	v_cndmask_b32_e32 v15, v15, v17, vcc
	v_cmp_eq_u32_e32 vcc, 1, v16
	s_waitcnt lgkmcnt(0)
	v_and_b32_e32 v16, 1, v38
	v_cmp_eq_u32_e64 s[46:47], 1, v16
	s_or_b64 s[46:47], vcc, s[46:47]
	s_and_b64 s[46:47], s[46:47], exec
	s_or_b64 s[64:65], s[64:65], s[46:47]
	s_branch .LBB1393_181
.LBB1393_199:                           ;   in Loop: Header=BB1393_182 Depth=1
                                        ; implicit-def: $vgpr16
                                        ; implicit-def: $vgpr14_vgpr15
                                        ; implicit-def: $vgpr5
	s_cbranch_execz .LBB1393_182
; %bb.200:
	s_and_saveexec_b64 s[46:47], s[42:43]
	s_cbranch_execz .LBB1393_202
; %bb.201:
	s_mov_b32 s3, 0
	s_add_i32 s2, s2, 64
	v_mov_b32_e32 v5, 0
	s_lshl_b64 s[48:49], s[2:3], 4
	v_add_f64 v[8:9], v[2:3], v[12:13]
	v_cmp_eq_u32_sdwa vcc, v4, v5 src0_sel:BYTE_0 src1_sel:DWORD
	v_and_b32_e32 v4, 1, v4
	s_add_u32 s48, s50, s48
	v_cndmask_b32_e32 v3, v3, v9, vcc
	v_cndmask_b32_e32 v2, v2, v8, vcc
	v_and_b32_e32 v8, 1, v32
	v_cmp_eq_u32_e32 vcc, 1, v4
	s_addc_u32 s49, s51, s49
	s_nop 0
	v_cndmask_b32_e64 v4, v8, 1, vcc
	global_store_dword v5, v2, s[48:49] sc1
	global_store_dword v5, v3, s[48:49] offset:4 sc1
	global_store_dword v5, v4, s[48:49] offset:8 sc1
	;; [unrolled: 1-line block ×3, first 2 shown]
	v_mov_b32_e32 v2, s2
	v_mov_b32_e32 v3, 2
	s_waitcnt vmcnt(0) lgkmcnt(0)
	global_store_byte v2, v3, s[52:53] sc1
.LBB1393_202:
	s_or_b64 exec, exec, s[46:47]
	v_cmp_eq_u32_e32 vcc, 0, v0
	s_and_b64 exec, exec, vcc
	s_cbranch_execz .LBB1393_204
; %bb.203:
	v_mov_b32_e32 v2, 0
	ds_write_b64 v2, v[12:13] offset:48
	ds_write_b8 v2, v32 offset:56
.LBB1393_204:
	s_or_b64 exec, exec, s[60:61]
	v_mov_b32_e32 v8, 0
	s_waitcnt lgkmcnt(0)
	s_barrier
	ds_read_b64 v[2:3], v8 offset:48
	v_cndmask_b32_e64 v5, v20, v7, s[42:43]
	v_cndmask_b32_e64 v4, v19, v6, s[42:43]
	;; [unrolled: 1-line block ×3, first 2 shown]
	v_cmp_eq_u16_sdwa vcc, v9, v8 src0_sel:BYTE_0 src1_sel:DWORD
	s_waitcnt lgkmcnt(0)
	v_add_f64 v[6:7], v[4:5], v[2:3]
	v_cndmask_b32_e32 v4, v4, v6, vcc
	v_cndmask_b32_e32 v5, v5, v7, vcc
	v_cmp_eq_u32_e32 vcc, 0, v0
	s_nop 1
	v_cndmask_b32_e32 v87, v5, v3, vcc
	v_cndmask_b32_e32 v86, v4, v2, vcc
	v_add_f64 v[2:3], v[42:43], v[86:87]
	v_cmp_eq_u16_sdwa vcc, v1, v8 src0_sel:BYTE_0 src1_sel:DWORD
	s_nop 1
	v_cndmask_b32_e32 v5, v43, v3, vcc
	v_cndmask_b32_e32 v4, v42, v2, vcc
	v_add_f64 v[2:3], v[44:45], v[4:5]
	v_cndmask_b32_e64 v7, v45, v3, s[44:45]
	v_cndmask_b32_e64 v6, v44, v2, s[44:45]
	v_add_f64 v[2:3], v[46:47], v[6:7]
	v_cndmask_b32_e64 v89, v47, v3, s[4:5]
	v_cndmask_b32_e64 v88, v46, v2, s[4:5]
	;; [unrolled: 3-line block ×19, first 2 shown]
	s_branch .LBB1393_233
.LBB1393_205:
                                        ; implicit-def: $vgpr86_vgpr87
                                        ; implicit-def: $vgpr106_vgpr107
                                        ; implicit-def: $vgpr104_vgpr105
                                        ; implicit-def: $vgpr102_vgpr103
                                        ; implicit-def: $vgpr100_vgpr101
                                        ; implicit-def: $vgpr98_vgpr99
                                        ; implicit-def: $vgpr96_vgpr97
                                        ; implicit-def: $vgpr94_vgpr95
                                        ; implicit-def: $vgpr92_vgpr93
                                        ; implicit-def: $vgpr90_vgpr91
                                        ; implicit-def: $vgpr88_vgpr89
                                        ; implicit-def: $vgpr38_vgpr39_vgpr40_vgpr41
                                        ; implicit-def: $vgpr34_vgpr35_vgpr36_vgpr37
                                        ; implicit-def: $vgpr30_vgpr31_vgpr32_vgpr33
                                        ; implicit-def: $vgpr26_vgpr27_vgpr28_vgpr29
                                        ; implicit-def: $vgpr22_vgpr23_vgpr24_vgpr25
                                        ; implicit-def: $vgpr18_vgpr19_vgpr20_vgpr21
                                        ; implicit-def: $vgpr14_vgpr15_vgpr16_vgpr17
                                        ; implicit-def: $vgpr10_vgpr11_vgpr12_vgpr13
                                        ; implicit-def: $vgpr6_vgpr7_vgpr8_vgpr9
                                        ; implicit-def: $vgpr2_vgpr3_vgpr4_vgpr5
	s_cbranch_execz .LBB1393_233
; %bb.206:
	s_cmp_lg_u64 s[70:71], 0
	s_cselect_b32 s3, s67, 0
	s_cselect_b32 s2, s66, 0
	s_cmp_eq_u64 s[2:3], 0
	v_mov_b64_e32 v[2:3], s[68:69]
	s_cbranch_scc1 .LBB1393_208
; %bb.207:
	v_mov_b32_e32 v2, 0
	global_load_dwordx2 v[2:3], v2, s[2:3]
.LBB1393_208:
	v_mov_b32_e32 v6, 0
	v_cmp_eq_u16_sdwa vcc, v108, v6 src0_sel:BYTE_0 src1_sel:DWORD
	v_cmp_eq_u16_sdwa s[2:3], v109, v6 src0_sel:BYTE_0 src1_sel:DWORD
	v_cmp_eq_u16_sdwa s[4:5], v111, v6 src0_sel:BYTE_0 src1_sel:DWORD
	v_cndmask_b32_e32 v5, v45, v85, vcc
	v_cndmask_b32_e32 v4, v44, v84, vcc
	v_add_f64 v[4:5], v[46:47], v[4:5]
	v_cndmask_b32_e64 v5, v47, v5, s[2:3]
	v_cndmask_b32_e64 v4, v46, v4, s[2:3]
	v_add_f64 v[4:5], v[50:51], v[4:5]
	v_cndmask_b32_e64 v5, v51, v5, s[4:5]
	v_cndmask_b32_e64 v4, v50, v4, s[4:5]
	v_add_f64 v[4:5], v[52:53], v[4:5]
	v_cmp_eq_u16_sdwa s[6:7], v112, v6 src0_sel:BYTE_0 src1_sel:DWORD
	v_cmp_eq_u16_sdwa s[8:9], v113, v6 src0_sel:BYTE_0 src1_sel:DWORD
	v_cmp_eq_u16_sdwa s[10:11], v114, v6 src0_sel:BYTE_0 src1_sel:DWORD
	v_cndmask_b32_e64 v5, v53, v5, s[6:7]
	v_cndmask_b32_e64 v4, v52, v4, s[6:7]
	v_add_f64 v[4:5], v[54:55], v[4:5]
	v_cndmask_b32_e64 v5, v55, v5, s[8:9]
	v_cndmask_b32_e64 v4, v54, v4, s[8:9]
	v_add_f64 v[4:5], v[56:57], v[4:5]
	v_cndmask_b32_e64 v5, v57, v5, s[10:11]
	v_cndmask_b32_e64 v4, v56, v4, s[10:11]
	v_add_f64 v[4:5], v[58:59], v[4:5]
	v_cmp_eq_u16_sdwa s[12:13], v115, v6 src0_sel:BYTE_0 src1_sel:DWORD
	v_cmp_eq_u16_sdwa s[14:15], v116, v6 src0_sel:BYTE_0 src1_sel:DWORD
	v_cmp_eq_u16_sdwa s[16:17], v117, v6 src0_sel:BYTE_0 src1_sel:DWORD
	v_cndmask_b32_e64 v5, v59, v5, s[12:13]
	v_cndmask_b32_e64 v4, v58, v4, s[12:13]
	;; [unrolled: 12-line block ×3, first 2 shown]
	v_add_f64 v[4:5], v[66:67], v[4:5]
	v_cndmask_b32_e64 v5, v67, v5, s[20:21]
	v_cndmask_b32_e64 v4, v66, v4, s[20:21]
	v_cmp_eq_u16_sdwa s[24:25], v121, v6 src0_sel:BYTE_0 src1_sel:DWORD
	v_cmp_eq_u16_sdwa s[26:27], v122, v6 src0_sel:BYTE_0 src1_sel:DWORD
	;; [unrolled: 1-line block ×8, first 2 shown]
	v_or_b32_e32 v6, v129, v125
	v_add_f64 v[4:5], v[68:69], v[4:5]
	v_or_b32_e32 v6, v6, v124
	v_cndmask_b32_e64 v5, v69, v5, s[22:23]
	v_cndmask_b32_e64 v4, v68, v4, s[22:23]
	v_or_b32_e32 v6, v6, v123
	v_add_f64 v[4:5], v[70:71], v[4:5]
	v_or_b32_e32 v6, v6, v122
	v_cndmask_b32_e64 v5, v71, v5, s[24:25]
	v_cndmask_b32_e64 v4, v70, v4, s[24:25]
	;; [unrolled: 5-line block ×8, first 2 shown]
	v_or_b32_e32 v6, v6, v108
	v_add_f64 v[4:5], v[82:83], v[4:5]
	v_or_b32_e32 v6, v6, v1
	v_mbcnt_hi_u32_b32 v10, -1, v128
	v_cndmask_b32_e64 v5, v83, v5, s[40:41]
	v_cndmask_b32_e64 v4, v82, v4, s[40:41]
	v_and_b32_e32 v11, 1, v6
	v_and_b32_e32 v8, 15, v10
	v_cmp_eq_u32_e64 s[40:41], 1, v11
	v_mov_b32_dpp v6, v4 row_shr:1 row_mask:0xf bank_mask:0xf
	v_mov_b32_dpp v7, v5 row_shr:1 row_mask:0xf bank_mask:0xf
	;; [unrolled: 1-line block ×3, first 2 shown]
	v_cmp_ne_u32_e64 s[42:43], 0, v8
	v_mov_b32_e32 v9, v11
	s_and_saveexec_b64 s[44:45], s[42:43]
; %bb.209:
	v_add_f64 v[6:7], v[4:5], v[6:7]
	v_cndmask_b32_e64 v4, v6, v4, s[40:41]
	v_and_b32_e32 v6, 1, v12
	v_or_b32_e32 v11, v6, v11
	v_cndmask_b32_e64 v5, v7, v5, s[40:41]
	v_and_b32_e32 v9, 0xffff, v11
; %bb.210:
	s_or_b64 exec, exec, s[44:45]
	v_mov_b32_dpp v6, v4 row_shr:2 row_mask:0xf bank_mask:0xf
	v_mov_b32_dpp v7, v5 row_shr:2 row_mask:0xf bank_mask:0xf
	v_mov_b32_dpp v12, v9 row_shr:2 row_mask:0xf bank_mask:0xf
	v_cmp_lt_u32_e64 s[40:41], 1, v8
	s_and_saveexec_b64 s[44:45], s[40:41]
; %bb.211:
	v_add_f64 v[6:7], v[4:5], v[6:7]
	v_cmp_eq_u16_e64 s[40:41], 0, v11
	s_nop 1
	v_cndmask_b32_e64 v4, v4, v6, s[40:41]
	v_and_b32_e32 v6, 1, v11
	v_cndmask_b32_e64 v5, v5, v7, s[40:41]
	v_cmp_eq_u32_e64 s[40:41], 1, v6
	v_and_b32_e32 v6, 1, v12
	v_cmp_eq_u32_e64 s[42:43], 1, v6
	s_or_b64 s[40:41], s[40:41], s[42:43]
	v_cndmask_b32_e64 v11, 0, 1, s[40:41]
	v_cndmask_b32_e64 v9, 0, 1, s[40:41]
; %bb.212:
	s_or_b64 exec, exec, s[44:45]
	v_mov_b32_dpp v6, v4 row_shr:4 row_mask:0xf bank_mask:0xf
	v_mov_b32_dpp v7, v5 row_shr:4 row_mask:0xf bank_mask:0xf
	v_mov_b32_dpp v12, v9 row_shr:4 row_mask:0xf bank_mask:0xf
	v_cmp_lt_u32_e64 s[40:41], 3, v8
	s_and_saveexec_b64 s[44:45], s[40:41]
; %bb.213:
	v_add_f64 v[6:7], v[4:5], v[6:7]
	v_cmp_eq_u16_e64 s[40:41], 0, v11
	s_nop 1
	v_cndmask_b32_e64 v4, v4, v6, s[40:41]
	v_and_b32_e32 v6, 1, v11
	v_cndmask_b32_e64 v5, v5, v7, s[40:41]
	v_cmp_eq_u32_e64 s[40:41], 1, v6
	v_and_b32_e32 v6, 1, v12
	v_cmp_eq_u32_e64 s[42:43], 1, v6
	s_or_b64 s[40:41], s[40:41], s[42:43]
	v_cndmask_b32_e64 v11, 0, 1, s[40:41]
	v_cndmask_b32_e64 v9, 0, 1, s[40:41]
; %bb.214:
	s_or_b64 exec, exec, s[44:45]
	v_mov_b32_dpp v6, v4 row_shr:8 row_mask:0xf bank_mask:0xf
	v_mov_b32_dpp v7, v5 row_shr:8 row_mask:0xf bank_mask:0xf
	v_mov_b32_dpp v12, v9 row_shr:8 row_mask:0xf bank_mask:0xf
	v_cmp_lt_u32_e64 s[40:41], 7, v8
	s_and_saveexec_b64 s[44:45], s[40:41]
; %bb.215:
	v_add_f64 v[6:7], v[4:5], v[6:7]
	v_cmp_eq_u16_e64 s[40:41], 0, v11
	s_nop 1
	v_cndmask_b32_e64 v4, v4, v6, s[40:41]
	v_and_b32_e32 v6, 1, v11
	v_cndmask_b32_e64 v5, v5, v7, s[40:41]
	v_cmp_eq_u32_e64 s[40:41], 1, v6
	v_and_b32_e32 v6, 1, v12
	v_cmp_eq_u32_e64 s[42:43], 1, v6
	s_or_b64 s[40:41], s[40:41], s[42:43]
	v_cndmask_b32_e64 v11, 0, 1, s[40:41]
	v_cndmask_b32_e64 v9, 0, 1, s[40:41]
; %bb.216:
	s_or_b64 exec, exec, s[44:45]
	v_and_b32_e32 v12, 16, v10
	v_mov_b32_dpp v6, v4 row_bcast:15 row_mask:0xf bank_mask:0xf
	v_mov_b32_dpp v7, v5 row_bcast:15 row_mask:0xf bank_mask:0xf
	;; [unrolled: 1-line block ×3, first 2 shown]
	v_cmp_ne_u32_e64 s[40:41], 0, v12
	s_and_saveexec_b64 s[44:45], s[40:41]
; %bb.217:
	v_add_f64 v[6:7], v[4:5], v[6:7]
	v_cmp_eq_u16_e64 s[40:41], 0, v11
	s_nop 1
	v_cndmask_b32_e64 v4, v4, v6, s[40:41]
	v_and_b32_e32 v6, 1, v11
	v_cndmask_b32_e64 v5, v5, v7, s[40:41]
	v_cmp_eq_u32_e64 s[40:41], 1, v6
	v_and_b32_e32 v6, 1, v8
	v_cmp_eq_u32_e64 s[42:43], 1, v6
	s_or_b64 s[40:41], s[40:41], s[42:43]
	v_cndmask_b32_e64 v11, 0, 1, s[40:41]
	v_cndmask_b32_e64 v9, 0, 1, s[40:41]
; %bb.218:
	s_or_b64 exec, exec, s[44:45]
	v_mov_b32_dpp v6, v4 row_bcast:31 row_mask:0xf bank_mask:0xf
	v_mov_b32_dpp v7, v5 row_bcast:31 row_mask:0xf bank_mask:0xf
	;; [unrolled: 1-line block ×3, first 2 shown]
	v_cmp_lt_u32_e64 s[40:41], 31, v10
	s_and_saveexec_b64 s[44:45], s[40:41]
; %bb.219:
	v_add_f64 v[6:7], v[4:5], v[6:7]
	v_cmp_eq_u16_e64 s[40:41], 0, v11
	s_nop 1
	v_cndmask_b32_e64 v4, v4, v6, s[40:41]
	v_and_b32_e32 v6, 1, v11
	v_cndmask_b32_e64 v5, v5, v7, s[40:41]
	v_cmp_eq_u32_e64 s[40:41], 1, v6
	v_and_b32_e32 v6, 1, v8
	v_cmp_eq_u32_e64 s[42:43], 1, v6
	s_or_b64 s[40:41], s[40:41], s[42:43]
	v_cndmask_b32_e64 v11, 0, 1, s[40:41]
; %bb.220:
	s_or_b64 exec, exec, s[44:45]
	v_or_b32_e32 v6, 63, v0
	v_lshrrev_b32_e32 v12, 6, v0
	v_cmp_eq_u32_e64 s[40:41], v6, v0
	s_and_saveexec_b64 s[42:43], s[40:41]
	s_cbranch_execz .LBB1393_222
; %bb.221:
	v_lshlrev_b32_e32 v6, 4, v12
	ds_write_b64 v6, v[4:5]
	ds_write_b8 v6, v11 offset:8
.LBB1393_222:
	s_or_b64 exec, exec, s[42:43]
	v_cmp_gt_u32_e64 s[40:41], 4, v0
	s_waitcnt lgkmcnt(0)
	s_barrier
	s_and_saveexec_b64 s[44:45], s[40:41]
	s_cbranch_execz .LBB1393_228
; %bb.223:
	v_lshlrev_b32_e32 v13, 4, v0
	ds_read_b64 v[6:7], v13
	ds_read_b32 v14, v13 offset:8
	v_and_b32_e32 v15, 3, v10
	v_cmp_ne_u32_e64 s[40:41], 0, v15
	s_waitcnt lgkmcnt(1)
	v_mov_b32_dpp v8, v6 row_shr:1 row_mask:0xf bank_mask:0xf
	v_mov_b32_dpp v9, v7 row_shr:1 row_mask:0xf bank_mask:0xf
	s_waitcnt lgkmcnt(0)
	v_mov_b32_dpp v18, v14 row_shr:1 row_mask:0xf bank_mask:0xf
	v_mov_b32_e32 v17, v14
	v_mov_b32_e32 v16, v14
	s_and_saveexec_b64 s[42:43], s[40:41]
; %bb.224:
	v_mov_b32_e32 v16, 0
	v_add_f64 v[8:9], v[6:7], v[8:9]
	v_cmp_eq_u16_sdwa s[40:41], v14, v16 src0_sel:BYTE_0 src1_sel:DWORD
	s_nop 1
	v_cndmask_b32_e64 v6, v6, v8, s[40:41]
	v_or_b32_e32 v8, v18, v14
	v_cndmask_b32_e64 v7, v7, v9, s[40:41]
	v_and_b32_e32 v16, 1, v8
	s_movk_i32 s40, 0xff00
	v_and_b32_e32 v17, 1, v8
	v_and_or_b32 v14, v14, s40, v16
; %bb.225:
	s_or_b64 exec, exec, s[42:43]
	v_mov_b32_dpp v8, v6 row_shr:2 row_mask:0xf bank_mask:0xf
	v_mov_b32_dpp v9, v7 row_shr:2 row_mask:0xf bank_mask:0xf
	;; [unrolled: 1-line block ×3, first 2 shown]
	v_cmp_lt_u32_e64 s[40:41], 1, v15
	s_and_saveexec_b64 s[46:47], s[40:41]
; %bb.226:
	v_mov_b32_e32 v15, 0
	v_add_f64 v[8:9], v[6:7], v[8:9]
	v_cmp_eq_u16_sdwa s[40:41], v16, v15 src0_sel:BYTE_0 src1_sel:DWORD
	s_nop 1
	v_cndmask_b32_e64 v6, v6, v8, s[40:41]
	v_and_b32_e32 v8, 1, v16
	v_cndmask_b32_e64 v7, v7, v9, s[40:41]
	v_cmp_eq_u32_e64 s[40:41], 1, v8
	v_and_b32_e32 v8, 1, v14
	v_cmp_eq_u32_e64 s[42:43], 1, v8
	s_or_b64 s[40:41], s[40:41], s[42:43]
	v_cndmask_b32_e64 v17, 0, 1, s[40:41]
; %bb.227:
	s_or_b64 exec, exec, s[46:47]
	ds_write_b64 v13, v[6:7]
	ds_write_b8 v13, v17 offset:8
.LBB1393_228:
	s_or_b64 exec, exec, s[44:45]
	v_cmp_lt_u32_e64 s[40:41], 63, v0
	s_waitcnt vmcnt(0)
	v_mov_b64_e32 v[6:7], v[2:3]
	s_waitcnt lgkmcnt(0)
	s_barrier
	s_and_saveexec_b64 s[42:43], s[40:41]
	s_cbranch_execz .LBB1393_230
; %bb.229:
	v_lshl_add_u32 v8, v12, 4, -16
	ds_read_b64 v[6:7], v8
	ds_read_u8 v12, v8 offset:8
	s_waitcnt lgkmcnt(1)
	v_add_f64 v[8:9], v[2:3], v[6:7]
	s_waitcnt lgkmcnt(0)
	v_cmp_eq_u16_e64 s[40:41], 0, v12
	s_nop 1
	v_cndmask_b32_e64 v7, v7, v9, s[40:41]
	v_cndmask_b32_e64 v6, v6, v8, s[40:41]
.LBB1393_230:
	s_or_b64 exec, exec, s[42:43]
	v_add_f64 v[8:9], v[4:5], v[6:7]
	v_cmp_eq_u16_e64 s[40:41], 0, v11
	s_nop 1
	v_cndmask_b32_e64 v5, v5, v9, s[40:41]
	v_cndmask_b32_e64 v4, v4, v8, s[40:41]
	v_add_u32_e32 v8, -1, v10
	v_and_b32_e32 v9, 64, v10
	v_cmp_lt_i32_e64 s[40:41], v8, v9
	s_nop 1
	v_cndmask_b32_e64 v8, v8, v10, s[40:41]
	v_lshlrev_b32_e32 v8, 2, v8
	ds_bpermute_b32 v5, v8, v5
	ds_bpermute_b32 v4, v8, v4
	v_cmp_eq_u32_e64 s[40:41], 0, v10
	v_mov_b32_e32 v8, 0
	v_cmp_eq_u16_sdwa s[42:43], v1, v8 src0_sel:BYTE_0 src1_sel:DWORD
	s_waitcnt lgkmcnt(1)
	v_cndmask_b32_e64 v87, v5, v7, s[40:41]
	s_waitcnt lgkmcnt(0)
	v_cndmask_b32_e64 v86, v4, v6, s[40:41]
	v_cmp_eq_u32_e64 s[40:41], 0, v0
	s_nop 1
	v_cndmask_b32_e64 v5, v87, v3, s[40:41]
	v_cndmask_b32_e64 v4, v86, v2, s[40:41]
	v_add_f64 v[4:5], v[42:43], v[4:5]
	v_cndmask_b32_e64 v5, v43, v5, s[42:43]
	v_cndmask_b32_e64 v4, v42, v4, s[42:43]
	v_add_f64 v[6:7], v[44:45], v[4:5]
	v_cndmask_b32_e32 v7, v45, v7, vcc
	v_cndmask_b32_e32 v6, v44, v6, vcc
	v_add_f64 v[10:11], v[46:47], v[6:7]
	v_cndmask_b32_e64 v89, v47, v11, s[2:3]
	v_cndmask_b32_e64 v88, v46, v10, s[2:3]
	v_add_f64 v[10:11], v[50:51], v[88:89]
	v_cndmask_b32_e64 v11, v51, v11, s[4:5]
	v_cndmask_b32_e64 v10, v50, v10, s[4:5]
	;; [unrolled: 3-line block ×18, first 2 shown]
	s_and_saveexec_b64 s[2:3], s[40:41]
	s_cbranch_execz .LBB1393_232
; %bb.231:
	ds_read_b64 v[12:13], v8 offset:48
	ds_read_u8 v1, v8 offset:56
	v_mov_b64_e32 v[86:87], v[2:3]
	s_waitcnt lgkmcnt(1)
	v_add_f64 v[16:17], v[2:3], v[12:13]
	s_waitcnt lgkmcnt(0)
	v_cmp_eq_u32_e32 vcc, 0, v1
	s_nop 1
	v_cndmask_b32_e32 v12, v12, v16, vcc
	v_cndmask_b32_e32 v9, v13, v17, vcc
	global_store_dword v8, v12, s[50:51] offset:1024 sc1
	global_store_dword v8, v9, s[50:51] offset:1028 sc1
	;; [unrolled: 1-line block ×4, first 2 shown]
	v_mov_b32_e32 v1, 2
	s_waitcnt vmcnt(0)
	global_store_byte v8, v1, s[52:53] offset:64 sc1
.LBB1393_232:
	s_or_b64 exec, exec, s[2:3]
.LBB1393_233:
	s_add_u32 s2, s62, s56
	s_addc_u32 s3, s63, s57
	s_add_u32 s2, s2, s58
	s_addc_u32 s3, s3, s59
	s_and_b64 vcc, exec, s[0:1]
	v_lshlrev_b32_e32 v2, 3, v0
	s_cbranch_vccz .LBB1393_275
; %bb.234:
	s_movk_i32 s0, 0xa8
	v_mul_i32_i24_e32 v12, 0xffffff60, v0
	v_mul_u32_u24_e32 v1, 0xa8, v0
	v_mad_u32_u24 v3, v0, s0, v12
	s_barrier
	ds_write2_b64 v1, v[86:87], v[4:5] offset1:1
	ds_write2_b64 v1, v[6:7], v[88:89] offset0:2 offset1:3
	ds_write2_b64 v1, v[10:11], v[90:91] offset0:4 offset1:5
	;; [unrolled: 1-line block ×9, first 2 shown]
	ds_write_b64 v1, v[106:107] offset:160
	s_waitcnt lgkmcnt(0)
	s_barrier
	ds_read2st64_b64 v[76:79], v3 offset0:4 offset1:8
	ds_read2st64_b64 v[72:75], v3 offset0:12 offset1:16
	;; [unrolled: 1-line block ×10, first 2 shown]
	s_add_i32 s33, s33, s54
	v_mov_b32_e32 v3, 0
	v_lshl_add_u64 v[8:9], s[2:3], 0, v[2:3]
	v_cmp_gt_u32_e32 vcc, s33, v0
	s_and_saveexec_b64 s[0:1], vcc
	s_cbranch_execz .LBB1393_236
; %bb.235:
	v_add_u32_e32 v1, v1, v12
	ds_read_b64 v[12:13], v1
	s_waitcnt lgkmcnt(0)
	flat_store_dwordx2 v[8:9], v[12:13]
.LBB1393_236:
	s_or_b64 exec, exec, s[0:1]
	v_or_b32_e32 v1, 0x100, v0
	v_cmp_gt_u32_e32 vcc, s33, v1
	s_and_saveexec_b64 s[0:1], vcc
	s_cbranch_execz .LBB1393_238
; %bb.237:
	s_waitcnt lgkmcnt(0)
	flat_store_dwordx2 v[8:9], v[76:77] offset:2048
.LBB1393_238:
	s_or_b64 exec, exec, s[0:1]
	v_or_b32_e32 v1, 0x200, v0
	v_cmp_gt_u32_e32 vcc, s33, v1
	s_and_saveexec_b64 s[0:1], vcc
	s_cbranch_execz .LBB1393_240
; %bb.239:
	v_add_co_u32_e32 v12, vcc, 0x1000, v8
	s_nop 1
	v_addc_co_u32_e32 v13, vcc, 0, v9, vcc
	s_waitcnt lgkmcnt(0)
	flat_store_dwordx2 v[12:13], v[78:79]
.LBB1393_240:
	s_or_b64 exec, exec, s[0:1]
	v_or_b32_e32 v1, 0x300, v0
	v_cmp_gt_u32_e32 vcc, s33, v1
	s_and_saveexec_b64 s[0:1], vcc
	s_cbranch_execz .LBB1393_242
; %bb.241:
	v_add_co_u32_e32 v12, vcc, 0x1000, v8
	s_nop 1
	v_addc_co_u32_e32 v13, vcc, 0, v9, vcc
	s_waitcnt lgkmcnt(0)
	flat_store_dwordx2 v[12:13], v[72:73] offset:2048
.LBB1393_242:
	s_or_b64 exec, exec, s[0:1]
	v_or_b32_e32 v1, 0x400, v0
	v_cmp_gt_u32_e32 vcc, s33, v1
	s_and_saveexec_b64 s[0:1], vcc
	s_cbranch_execz .LBB1393_244
; %bb.243:
	v_add_co_u32_e32 v12, vcc, 0x2000, v8
	s_nop 1
	v_addc_co_u32_e32 v13, vcc, 0, v9, vcc
	s_waitcnt lgkmcnt(0)
	flat_store_dwordx2 v[12:13], v[74:75]
.LBB1393_244:
	s_or_b64 exec, exec, s[0:1]
	v_or_b32_e32 v1, 0x500, v0
	v_cmp_gt_u32_e32 vcc, s33, v1
	s_and_saveexec_b64 s[0:1], vcc
	s_cbranch_execz .LBB1393_246
; %bb.245:
	v_add_co_u32_e32 v12, vcc, 0x2000, v8
	s_nop 1
	v_addc_co_u32_e32 v13, vcc, 0, v9, vcc
	s_waitcnt lgkmcnt(0)
	flat_store_dwordx2 v[12:13], v[68:69] offset:2048
.LBB1393_246:
	;; [unrolled: 24-line block ×9, first 2 shown]
	s_or_b64 exec, exec, s[0:1]
	v_mov_b32_e32 v1, v3
	v_or_b32_e32 v3, 0x1400, v0
	v_cmp_gt_u32_e64 s[0:1], s33, v3
	s_branch .LBB1393_277
.LBB1393_275:
	s_mov_b64 s[0:1], 0
                                        ; implicit-def: $vgpr42_vgpr43
	s_cbranch_execz .LBB1393_277
; %bb.276:
	s_movk_i32 s4, 0xa8
	v_mul_u32_u24_e32 v1, 0xa8, v0
	v_mul_i32_i24_e32 v3, 0xffffff60, v0
	s_waitcnt lgkmcnt(0)
	s_barrier
	ds_write2_b64 v1, v[86:87], v[4:5] offset1:1
	ds_write2_b64 v1, v[6:7], v[88:89] offset0:2 offset1:3
	ds_write2_b64 v1, v[10:11], v[90:91] offset0:4 offset1:5
	;; [unrolled: 1-line block ×9, first 2 shown]
	ds_write_b64 v1, v[106:107] offset:160
	v_mov_b32_e32 v1, 0
	v_mad_u32_u24 v3, v0, s4, v3
	s_waitcnt lgkmcnt(0)
	s_barrier
	ds_read2st64_b64 v[4:7], v3 offset1:4
	ds_read2st64_b64 v[8:11], v3 offset0:8 offset1:12
	ds_read2st64_b64 v[12:15], v3 offset0:16 offset1:20
	;; [unrolled: 1-line block ×9, first 2 shown]
	ds_read_b64 v[42:43], v3 offset:40960
	v_mov_b32_e32 v3, v1
	v_lshl_add_u64 v[2:3], s[2:3], 0, v[2:3]
	s_movk_i32 s4, 0x1000
	s_waitcnt lgkmcnt(0)
	flat_store_dwordx2 v[2:3], v[4:5]
	flat_store_dwordx2 v[2:3], v[6:7] offset:2048
	v_add_co_u32_e32 v4, vcc, s4, v2
	s_movk_i32 s4, 0x2000
	s_nop 0
	v_addc_co_u32_e32 v5, vcc, 0, v3, vcc
	flat_store_dwordx2 v[4:5], v[8:9]
	flat_store_dwordx2 v[4:5], v[10:11] offset:2048
	v_add_co_u32_e32 v4, vcc, s4, v2
	s_movk_i32 s4, 0x3000
	s_nop 0
	v_addc_co_u32_e32 v5, vcc, 0, v3, vcc
	;; [unrolled: 6-line block ×6, first 2 shown]
	flat_store_dwordx2 v[4:5], v[28:29]
	flat_store_dwordx2 v[4:5], v[30:31] offset:2048
	v_add_co_u32_e32 v4, vcc, s4, v2
	s_or_b64 s[0:1], s[0:1], exec
	s_nop 0
	v_addc_co_u32_e32 v5, vcc, 0, v3, vcc
	flat_store_dwordx2 v[4:5], v[32:33]
	flat_store_dwordx2 v[4:5], v[34:35] offset:2048
	v_add_co_u32_e32 v4, vcc, 0x8000, v2
	s_nop 1
	v_addc_co_u32_e32 v5, vcc, 0, v3, vcc
	v_add_co_u32_e32 v2, vcc, 0x9000, v2
	flat_store_dwordx2 v[4:5], v[36:37]
	flat_store_dwordx2 v[4:5], v[38:39] offset:2048
	v_addc_co_u32_e32 v3, vcc, 0, v3, vcc
	flat_store_dwordx2 v[2:3], v[44:45]
	flat_store_dwordx2 v[2:3], v[46:47] offset:2048
.LBB1393_277:
	s_and_saveexec_b64 s[4:5], s[0:1]
	s_cbranch_execz .LBB1393_279
; %bb.278:
	v_lshl_add_u64 v[0:1], v[0:1], 3, s[2:3]
	v_add_co_u32_e32 v0, vcc, 0xa000, v0
	s_nop 1
	v_addc_co_u32_e32 v1, vcc, 0, v1, vcc
	s_waitcnt lgkmcnt(0)
	flat_store_dwordx2 v[0:1], v[42:43]
	s_endpgm
.LBB1393_279:
	s_endpgm
	.section	.rodata,"a",@progbits
	.p2align	6, 0x0
	.amdhsa_kernel _ZN7rocprim17ROCPRIM_400000_NS6detail17trampoline_kernelINS0_14default_configENS1_27scan_by_key_config_selectorIidEEZZNS1_16scan_by_key_implILNS1_25lookback_scan_determinismE0ELb1ES3_N6thrust23THRUST_200600_302600_NS6detail15normal_iteratorINS9_10device_ptrIiEEEENSB_INSC_IdEEEESG_dNS9_4plusIvEENS9_8equal_toIvEEdEE10hipError_tPvRmT2_T3_T4_T5_mT6_T7_P12ihipStream_tbENKUlT_T0_E_clISt17integral_constantIbLb0EES11_EEDaSW_SX_EUlSW_E_NS1_11comp_targetILNS1_3genE5ELNS1_11target_archE942ELNS1_3gpuE9ELNS1_3repE0EEENS1_30default_config_static_selectorELNS0_4arch9wavefront6targetE1EEEvT1_
		.amdhsa_group_segment_fixed_size 43008
		.amdhsa_private_segment_fixed_size 0
		.amdhsa_kernarg_size 136
		.amdhsa_user_sgpr_count 2
		.amdhsa_user_sgpr_dispatch_ptr 0
		.amdhsa_user_sgpr_queue_ptr 0
		.amdhsa_user_sgpr_kernarg_segment_ptr 1
		.amdhsa_user_sgpr_dispatch_id 0
		.amdhsa_user_sgpr_kernarg_preload_length 0
		.amdhsa_user_sgpr_kernarg_preload_offset 0
		.amdhsa_user_sgpr_private_segment_size 0
		.amdhsa_uses_dynamic_stack 0
		.amdhsa_enable_private_segment 0
		.amdhsa_system_sgpr_workgroup_id_x 1
		.amdhsa_system_sgpr_workgroup_id_y 0
		.amdhsa_system_sgpr_workgroup_id_z 0
		.amdhsa_system_sgpr_workgroup_info 0
		.amdhsa_system_vgpr_workitem_id 0
		.amdhsa_next_free_vgpr 130
		.amdhsa_next_free_sgpr 78
		.amdhsa_accum_offset 132
		.amdhsa_reserve_vcc 1
		.amdhsa_float_round_mode_32 0
		.amdhsa_float_round_mode_16_64 0
		.amdhsa_float_denorm_mode_32 3
		.amdhsa_float_denorm_mode_16_64 3
		.amdhsa_dx10_clamp 1
		.amdhsa_ieee_mode 1
		.amdhsa_fp16_overflow 0
		.amdhsa_tg_split 0
		.amdhsa_exception_fp_ieee_invalid_op 0
		.amdhsa_exception_fp_denorm_src 0
		.amdhsa_exception_fp_ieee_div_zero 0
		.amdhsa_exception_fp_ieee_overflow 0
		.amdhsa_exception_fp_ieee_underflow 0
		.amdhsa_exception_fp_ieee_inexact 0
		.amdhsa_exception_int_div_zero 0
	.end_amdhsa_kernel
	.section	.text._ZN7rocprim17ROCPRIM_400000_NS6detail17trampoline_kernelINS0_14default_configENS1_27scan_by_key_config_selectorIidEEZZNS1_16scan_by_key_implILNS1_25lookback_scan_determinismE0ELb1ES3_N6thrust23THRUST_200600_302600_NS6detail15normal_iteratorINS9_10device_ptrIiEEEENSB_INSC_IdEEEESG_dNS9_4plusIvEENS9_8equal_toIvEEdEE10hipError_tPvRmT2_T3_T4_T5_mT6_T7_P12ihipStream_tbENKUlT_T0_E_clISt17integral_constantIbLb0EES11_EEDaSW_SX_EUlSW_E_NS1_11comp_targetILNS1_3genE5ELNS1_11target_archE942ELNS1_3gpuE9ELNS1_3repE0EEENS1_30default_config_static_selectorELNS0_4arch9wavefront6targetE1EEEvT1_,"axG",@progbits,_ZN7rocprim17ROCPRIM_400000_NS6detail17trampoline_kernelINS0_14default_configENS1_27scan_by_key_config_selectorIidEEZZNS1_16scan_by_key_implILNS1_25lookback_scan_determinismE0ELb1ES3_N6thrust23THRUST_200600_302600_NS6detail15normal_iteratorINS9_10device_ptrIiEEEENSB_INSC_IdEEEESG_dNS9_4plusIvEENS9_8equal_toIvEEdEE10hipError_tPvRmT2_T3_T4_T5_mT6_T7_P12ihipStream_tbENKUlT_T0_E_clISt17integral_constantIbLb0EES11_EEDaSW_SX_EUlSW_E_NS1_11comp_targetILNS1_3genE5ELNS1_11target_archE942ELNS1_3gpuE9ELNS1_3repE0EEENS1_30default_config_static_selectorELNS0_4arch9wavefront6targetE1EEEvT1_,comdat
.Lfunc_end1393:
	.size	_ZN7rocprim17ROCPRIM_400000_NS6detail17trampoline_kernelINS0_14default_configENS1_27scan_by_key_config_selectorIidEEZZNS1_16scan_by_key_implILNS1_25lookback_scan_determinismE0ELb1ES3_N6thrust23THRUST_200600_302600_NS6detail15normal_iteratorINS9_10device_ptrIiEEEENSB_INSC_IdEEEESG_dNS9_4plusIvEENS9_8equal_toIvEEdEE10hipError_tPvRmT2_T3_T4_T5_mT6_T7_P12ihipStream_tbENKUlT_T0_E_clISt17integral_constantIbLb0EES11_EEDaSW_SX_EUlSW_E_NS1_11comp_targetILNS1_3genE5ELNS1_11target_archE942ELNS1_3gpuE9ELNS1_3repE0EEENS1_30default_config_static_selectorELNS0_4arch9wavefront6targetE1EEEvT1_, .Lfunc_end1393-_ZN7rocprim17ROCPRIM_400000_NS6detail17trampoline_kernelINS0_14default_configENS1_27scan_by_key_config_selectorIidEEZZNS1_16scan_by_key_implILNS1_25lookback_scan_determinismE0ELb1ES3_N6thrust23THRUST_200600_302600_NS6detail15normal_iteratorINS9_10device_ptrIiEEEENSB_INSC_IdEEEESG_dNS9_4plusIvEENS9_8equal_toIvEEdEE10hipError_tPvRmT2_T3_T4_T5_mT6_T7_P12ihipStream_tbENKUlT_T0_E_clISt17integral_constantIbLb0EES11_EEDaSW_SX_EUlSW_E_NS1_11comp_targetILNS1_3genE5ELNS1_11target_archE942ELNS1_3gpuE9ELNS1_3repE0EEENS1_30default_config_static_selectorELNS0_4arch9wavefront6targetE1EEEvT1_
                                        ; -- End function
	.section	.AMDGPU.csdata,"",@progbits
; Kernel info:
; codeLenInByte = 17200
; NumSgprs: 84
; NumVgprs: 130
; NumAgprs: 0
; TotalNumVgprs: 130
; ScratchSize: 0
; MemoryBound: 0
; FloatMode: 240
; IeeeMode: 1
; LDSByteSize: 43008 bytes/workgroup (compile time only)
; SGPRBlocks: 10
; VGPRBlocks: 16
; NumSGPRsForWavesPerEU: 84
; NumVGPRsForWavesPerEU: 130
; AccumOffset: 132
; Occupancy: 1
; WaveLimiterHint : 1
; COMPUTE_PGM_RSRC2:SCRATCH_EN: 0
; COMPUTE_PGM_RSRC2:USER_SGPR: 2
; COMPUTE_PGM_RSRC2:TRAP_HANDLER: 0
; COMPUTE_PGM_RSRC2:TGID_X_EN: 1
; COMPUTE_PGM_RSRC2:TGID_Y_EN: 0
; COMPUTE_PGM_RSRC2:TGID_Z_EN: 0
; COMPUTE_PGM_RSRC2:TIDIG_COMP_CNT: 0
; COMPUTE_PGM_RSRC3_GFX90A:ACCUM_OFFSET: 32
; COMPUTE_PGM_RSRC3_GFX90A:TG_SPLIT: 0
	.section	.text._ZN7rocprim17ROCPRIM_400000_NS6detail17trampoline_kernelINS0_14default_configENS1_27scan_by_key_config_selectorIidEEZZNS1_16scan_by_key_implILNS1_25lookback_scan_determinismE0ELb1ES3_N6thrust23THRUST_200600_302600_NS6detail15normal_iteratorINS9_10device_ptrIiEEEENSB_INSC_IdEEEESG_dNS9_4plusIvEENS9_8equal_toIvEEdEE10hipError_tPvRmT2_T3_T4_T5_mT6_T7_P12ihipStream_tbENKUlT_T0_E_clISt17integral_constantIbLb0EES11_EEDaSW_SX_EUlSW_E_NS1_11comp_targetILNS1_3genE4ELNS1_11target_archE910ELNS1_3gpuE8ELNS1_3repE0EEENS1_30default_config_static_selectorELNS0_4arch9wavefront6targetE1EEEvT1_,"axG",@progbits,_ZN7rocprim17ROCPRIM_400000_NS6detail17trampoline_kernelINS0_14default_configENS1_27scan_by_key_config_selectorIidEEZZNS1_16scan_by_key_implILNS1_25lookback_scan_determinismE0ELb1ES3_N6thrust23THRUST_200600_302600_NS6detail15normal_iteratorINS9_10device_ptrIiEEEENSB_INSC_IdEEEESG_dNS9_4plusIvEENS9_8equal_toIvEEdEE10hipError_tPvRmT2_T3_T4_T5_mT6_T7_P12ihipStream_tbENKUlT_T0_E_clISt17integral_constantIbLb0EES11_EEDaSW_SX_EUlSW_E_NS1_11comp_targetILNS1_3genE4ELNS1_11target_archE910ELNS1_3gpuE8ELNS1_3repE0EEENS1_30default_config_static_selectorELNS0_4arch9wavefront6targetE1EEEvT1_,comdat
	.protected	_ZN7rocprim17ROCPRIM_400000_NS6detail17trampoline_kernelINS0_14default_configENS1_27scan_by_key_config_selectorIidEEZZNS1_16scan_by_key_implILNS1_25lookback_scan_determinismE0ELb1ES3_N6thrust23THRUST_200600_302600_NS6detail15normal_iteratorINS9_10device_ptrIiEEEENSB_INSC_IdEEEESG_dNS9_4plusIvEENS9_8equal_toIvEEdEE10hipError_tPvRmT2_T3_T4_T5_mT6_T7_P12ihipStream_tbENKUlT_T0_E_clISt17integral_constantIbLb0EES11_EEDaSW_SX_EUlSW_E_NS1_11comp_targetILNS1_3genE4ELNS1_11target_archE910ELNS1_3gpuE8ELNS1_3repE0EEENS1_30default_config_static_selectorELNS0_4arch9wavefront6targetE1EEEvT1_ ; -- Begin function _ZN7rocprim17ROCPRIM_400000_NS6detail17trampoline_kernelINS0_14default_configENS1_27scan_by_key_config_selectorIidEEZZNS1_16scan_by_key_implILNS1_25lookback_scan_determinismE0ELb1ES3_N6thrust23THRUST_200600_302600_NS6detail15normal_iteratorINS9_10device_ptrIiEEEENSB_INSC_IdEEEESG_dNS9_4plusIvEENS9_8equal_toIvEEdEE10hipError_tPvRmT2_T3_T4_T5_mT6_T7_P12ihipStream_tbENKUlT_T0_E_clISt17integral_constantIbLb0EES11_EEDaSW_SX_EUlSW_E_NS1_11comp_targetILNS1_3genE4ELNS1_11target_archE910ELNS1_3gpuE8ELNS1_3repE0EEENS1_30default_config_static_selectorELNS0_4arch9wavefront6targetE1EEEvT1_
	.globl	_ZN7rocprim17ROCPRIM_400000_NS6detail17trampoline_kernelINS0_14default_configENS1_27scan_by_key_config_selectorIidEEZZNS1_16scan_by_key_implILNS1_25lookback_scan_determinismE0ELb1ES3_N6thrust23THRUST_200600_302600_NS6detail15normal_iteratorINS9_10device_ptrIiEEEENSB_INSC_IdEEEESG_dNS9_4plusIvEENS9_8equal_toIvEEdEE10hipError_tPvRmT2_T3_T4_T5_mT6_T7_P12ihipStream_tbENKUlT_T0_E_clISt17integral_constantIbLb0EES11_EEDaSW_SX_EUlSW_E_NS1_11comp_targetILNS1_3genE4ELNS1_11target_archE910ELNS1_3gpuE8ELNS1_3repE0EEENS1_30default_config_static_selectorELNS0_4arch9wavefront6targetE1EEEvT1_
	.p2align	8
	.type	_ZN7rocprim17ROCPRIM_400000_NS6detail17trampoline_kernelINS0_14default_configENS1_27scan_by_key_config_selectorIidEEZZNS1_16scan_by_key_implILNS1_25lookback_scan_determinismE0ELb1ES3_N6thrust23THRUST_200600_302600_NS6detail15normal_iteratorINS9_10device_ptrIiEEEENSB_INSC_IdEEEESG_dNS9_4plusIvEENS9_8equal_toIvEEdEE10hipError_tPvRmT2_T3_T4_T5_mT6_T7_P12ihipStream_tbENKUlT_T0_E_clISt17integral_constantIbLb0EES11_EEDaSW_SX_EUlSW_E_NS1_11comp_targetILNS1_3genE4ELNS1_11target_archE910ELNS1_3gpuE8ELNS1_3repE0EEENS1_30default_config_static_selectorELNS0_4arch9wavefront6targetE1EEEvT1_,@function
_ZN7rocprim17ROCPRIM_400000_NS6detail17trampoline_kernelINS0_14default_configENS1_27scan_by_key_config_selectorIidEEZZNS1_16scan_by_key_implILNS1_25lookback_scan_determinismE0ELb1ES3_N6thrust23THRUST_200600_302600_NS6detail15normal_iteratorINS9_10device_ptrIiEEEENSB_INSC_IdEEEESG_dNS9_4plusIvEENS9_8equal_toIvEEdEE10hipError_tPvRmT2_T3_T4_T5_mT6_T7_P12ihipStream_tbENKUlT_T0_E_clISt17integral_constantIbLb0EES11_EEDaSW_SX_EUlSW_E_NS1_11comp_targetILNS1_3genE4ELNS1_11target_archE910ELNS1_3gpuE8ELNS1_3repE0EEENS1_30default_config_static_selectorELNS0_4arch9wavefront6targetE1EEEvT1_: ; @_ZN7rocprim17ROCPRIM_400000_NS6detail17trampoline_kernelINS0_14default_configENS1_27scan_by_key_config_selectorIidEEZZNS1_16scan_by_key_implILNS1_25lookback_scan_determinismE0ELb1ES3_N6thrust23THRUST_200600_302600_NS6detail15normal_iteratorINS9_10device_ptrIiEEEENSB_INSC_IdEEEESG_dNS9_4plusIvEENS9_8equal_toIvEEdEE10hipError_tPvRmT2_T3_T4_T5_mT6_T7_P12ihipStream_tbENKUlT_T0_E_clISt17integral_constantIbLb0EES11_EEDaSW_SX_EUlSW_E_NS1_11comp_targetILNS1_3genE4ELNS1_11target_archE910ELNS1_3gpuE8ELNS1_3repE0EEENS1_30default_config_static_selectorELNS0_4arch9wavefront6targetE1EEEvT1_
; %bb.0:
	.section	.rodata,"a",@progbits
	.p2align	6, 0x0
	.amdhsa_kernel _ZN7rocprim17ROCPRIM_400000_NS6detail17trampoline_kernelINS0_14default_configENS1_27scan_by_key_config_selectorIidEEZZNS1_16scan_by_key_implILNS1_25lookback_scan_determinismE0ELb1ES3_N6thrust23THRUST_200600_302600_NS6detail15normal_iteratorINS9_10device_ptrIiEEEENSB_INSC_IdEEEESG_dNS9_4plusIvEENS9_8equal_toIvEEdEE10hipError_tPvRmT2_T3_T4_T5_mT6_T7_P12ihipStream_tbENKUlT_T0_E_clISt17integral_constantIbLb0EES11_EEDaSW_SX_EUlSW_E_NS1_11comp_targetILNS1_3genE4ELNS1_11target_archE910ELNS1_3gpuE8ELNS1_3repE0EEENS1_30default_config_static_selectorELNS0_4arch9wavefront6targetE1EEEvT1_
		.amdhsa_group_segment_fixed_size 0
		.amdhsa_private_segment_fixed_size 0
		.amdhsa_kernarg_size 136
		.amdhsa_user_sgpr_count 2
		.amdhsa_user_sgpr_dispatch_ptr 0
		.amdhsa_user_sgpr_queue_ptr 0
		.amdhsa_user_sgpr_kernarg_segment_ptr 1
		.amdhsa_user_sgpr_dispatch_id 0
		.amdhsa_user_sgpr_kernarg_preload_length 0
		.amdhsa_user_sgpr_kernarg_preload_offset 0
		.amdhsa_user_sgpr_private_segment_size 0
		.amdhsa_uses_dynamic_stack 0
		.amdhsa_enable_private_segment 0
		.amdhsa_system_sgpr_workgroup_id_x 1
		.amdhsa_system_sgpr_workgroup_id_y 0
		.amdhsa_system_sgpr_workgroup_id_z 0
		.amdhsa_system_sgpr_workgroup_info 0
		.amdhsa_system_vgpr_workitem_id 0
		.amdhsa_next_free_vgpr 1
		.amdhsa_next_free_sgpr 0
		.amdhsa_accum_offset 4
		.amdhsa_reserve_vcc 0
		.amdhsa_float_round_mode_32 0
		.amdhsa_float_round_mode_16_64 0
		.amdhsa_float_denorm_mode_32 3
		.amdhsa_float_denorm_mode_16_64 3
		.amdhsa_dx10_clamp 1
		.amdhsa_ieee_mode 1
		.amdhsa_fp16_overflow 0
		.amdhsa_tg_split 0
		.amdhsa_exception_fp_ieee_invalid_op 0
		.amdhsa_exception_fp_denorm_src 0
		.amdhsa_exception_fp_ieee_div_zero 0
		.amdhsa_exception_fp_ieee_overflow 0
		.amdhsa_exception_fp_ieee_underflow 0
		.amdhsa_exception_fp_ieee_inexact 0
		.amdhsa_exception_int_div_zero 0
	.end_amdhsa_kernel
	.section	.text._ZN7rocprim17ROCPRIM_400000_NS6detail17trampoline_kernelINS0_14default_configENS1_27scan_by_key_config_selectorIidEEZZNS1_16scan_by_key_implILNS1_25lookback_scan_determinismE0ELb1ES3_N6thrust23THRUST_200600_302600_NS6detail15normal_iteratorINS9_10device_ptrIiEEEENSB_INSC_IdEEEESG_dNS9_4plusIvEENS9_8equal_toIvEEdEE10hipError_tPvRmT2_T3_T4_T5_mT6_T7_P12ihipStream_tbENKUlT_T0_E_clISt17integral_constantIbLb0EES11_EEDaSW_SX_EUlSW_E_NS1_11comp_targetILNS1_3genE4ELNS1_11target_archE910ELNS1_3gpuE8ELNS1_3repE0EEENS1_30default_config_static_selectorELNS0_4arch9wavefront6targetE1EEEvT1_,"axG",@progbits,_ZN7rocprim17ROCPRIM_400000_NS6detail17trampoline_kernelINS0_14default_configENS1_27scan_by_key_config_selectorIidEEZZNS1_16scan_by_key_implILNS1_25lookback_scan_determinismE0ELb1ES3_N6thrust23THRUST_200600_302600_NS6detail15normal_iteratorINS9_10device_ptrIiEEEENSB_INSC_IdEEEESG_dNS9_4plusIvEENS9_8equal_toIvEEdEE10hipError_tPvRmT2_T3_T4_T5_mT6_T7_P12ihipStream_tbENKUlT_T0_E_clISt17integral_constantIbLb0EES11_EEDaSW_SX_EUlSW_E_NS1_11comp_targetILNS1_3genE4ELNS1_11target_archE910ELNS1_3gpuE8ELNS1_3repE0EEENS1_30default_config_static_selectorELNS0_4arch9wavefront6targetE1EEEvT1_,comdat
.Lfunc_end1394:
	.size	_ZN7rocprim17ROCPRIM_400000_NS6detail17trampoline_kernelINS0_14default_configENS1_27scan_by_key_config_selectorIidEEZZNS1_16scan_by_key_implILNS1_25lookback_scan_determinismE0ELb1ES3_N6thrust23THRUST_200600_302600_NS6detail15normal_iteratorINS9_10device_ptrIiEEEENSB_INSC_IdEEEESG_dNS9_4plusIvEENS9_8equal_toIvEEdEE10hipError_tPvRmT2_T3_T4_T5_mT6_T7_P12ihipStream_tbENKUlT_T0_E_clISt17integral_constantIbLb0EES11_EEDaSW_SX_EUlSW_E_NS1_11comp_targetILNS1_3genE4ELNS1_11target_archE910ELNS1_3gpuE8ELNS1_3repE0EEENS1_30default_config_static_selectorELNS0_4arch9wavefront6targetE1EEEvT1_, .Lfunc_end1394-_ZN7rocprim17ROCPRIM_400000_NS6detail17trampoline_kernelINS0_14default_configENS1_27scan_by_key_config_selectorIidEEZZNS1_16scan_by_key_implILNS1_25lookback_scan_determinismE0ELb1ES3_N6thrust23THRUST_200600_302600_NS6detail15normal_iteratorINS9_10device_ptrIiEEEENSB_INSC_IdEEEESG_dNS9_4plusIvEENS9_8equal_toIvEEdEE10hipError_tPvRmT2_T3_T4_T5_mT6_T7_P12ihipStream_tbENKUlT_T0_E_clISt17integral_constantIbLb0EES11_EEDaSW_SX_EUlSW_E_NS1_11comp_targetILNS1_3genE4ELNS1_11target_archE910ELNS1_3gpuE8ELNS1_3repE0EEENS1_30default_config_static_selectorELNS0_4arch9wavefront6targetE1EEEvT1_
                                        ; -- End function
	.section	.AMDGPU.csdata,"",@progbits
; Kernel info:
; codeLenInByte = 0
; NumSgprs: 6
; NumVgprs: 0
; NumAgprs: 0
; TotalNumVgprs: 0
; ScratchSize: 0
; MemoryBound: 0
; FloatMode: 240
; IeeeMode: 1
; LDSByteSize: 0 bytes/workgroup (compile time only)
; SGPRBlocks: 0
; VGPRBlocks: 0
; NumSGPRsForWavesPerEU: 6
; NumVGPRsForWavesPerEU: 1
; AccumOffset: 4
; Occupancy: 8
; WaveLimiterHint : 0
; COMPUTE_PGM_RSRC2:SCRATCH_EN: 0
; COMPUTE_PGM_RSRC2:USER_SGPR: 2
; COMPUTE_PGM_RSRC2:TRAP_HANDLER: 0
; COMPUTE_PGM_RSRC2:TGID_X_EN: 1
; COMPUTE_PGM_RSRC2:TGID_Y_EN: 0
; COMPUTE_PGM_RSRC2:TGID_Z_EN: 0
; COMPUTE_PGM_RSRC2:TIDIG_COMP_CNT: 0
; COMPUTE_PGM_RSRC3_GFX90A:ACCUM_OFFSET: 0
; COMPUTE_PGM_RSRC3_GFX90A:TG_SPLIT: 0
	.section	.text._ZN7rocprim17ROCPRIM_400000_NS6detail17trampoline_kernelINS0_14default_configENS1_27scan_by_key_config_selectorIidEEZZNS1_16scan_by_key_implILNS1_25lookback_scan_determinismE0ELb1ES3_N6thrust23THRUST_200600_302600_NS6detail15normal_iteratorINS9_10device_ptrIiEEEENSB_INSC_IdEEEESG_dNS9_4plusIvEENS9_8equal_toIvEEdEE10hipError_tPvRmT2_T3_T4_T5_mT6_T7_P12ihipStream_tbENKUlT_T0_E_clISt17integral_constantIbLb0EES11_EEDaSW_SX_EUlSW_E_NS1_11comp_targetILNS1_3genE3ELNS1_11target_archE908ELNS1_3gpuE7ELNS1_3repE0EEENS1_30default_config_static_selectorELNS0_4arch9wavefront6targetE1EEEvT1_,"axG",@progbits,_ZN7rocprim17ROCPRIM_400000_NS6detail17trampoline_kernelINS0_14default_configENS1_27scan_by_key_config_selectorIidEEZZNS1_16scan_by_key_implILNS1_25lookback_scan_determinismE0ELb1ES3_N6thrust23THRUST_200600_302600_NS6detail15normal_iteratorINS9_10device_ptrIiEEEENSB_INSC_IdEEEESG_dNS9_4plusIvEENS9_8equal_toIvEEdEE10hipError_tPvRmT2_T3_T4_T5_mT6_T7_P12ihipStream_tbENKUlT_T0_E_clISt17integral_constantIbLb0EES11_EEDaSW_SX_EUlSW_E_NS1_11comp_targetILNS1_3genE3ELNS1_11target_archE908ELNS1_3gpuE7ELNS1_3repE0EEENS1_30default_config_static_selectorELNS0_4arch9wavefront6targetE1EEEvT1_,comdat
	.protected	_ZN7rocprim17ROCPRIM_400000_NS6detail17trampoline_kernelINS0_14default_configENS1_27scan_by_key_config_selectorIidEEZZNS1_16scan_by_key_implILNS1_25lookback_scan_determinismE0ELb1ES3_N6thrust23THRUST_200600_302600_NS6detail15normal_iteratorINS9_10device_ptrIiEEEENSB_INSC_IdEEEESG_dNS9_4plusIvEENS9_8equal_toIvEEdEE10hipError_tPvRmT2_T3_T4_T5_mT6_T7_P12ihipStream_tbENKUlT_T0_E_clISt17integral_constantIbLb0EES11_EEDaSW_SX_EUlSW_E_NS1_11comp_targetILNS1_3genE3ELNS1_11target_archE908ELNS1_3gpuE7ELNS1_3repE0EEENS1_30default_config_static_selectorELNS0_4arch9wavefront6targetE1EEEvT1_ ; -- Begin function _ZN7rocprim17ROCPRIM_400000_NS6detail17trampoline_kernelINS0_14default_configENS1_27scan_by_key_config_selectorIidEEZZNS1_16scan_by_key_implILNS1_25lookback_scan_determinismE0ELb1ES3_N6thrust23THRUST_200600_302600_NS6detail15normal_iteratorINS9_10device_ptrIiEEEENSB_INSC_IdEEEESG_dNS9_4plusIvEENS9_8equal_toIvEEdEE10hipError_tPvRmT2_T3_T4_T5_mT6_T7_P12ihipStream_tbENKUlT_T0_E_clISt17integral_constantIbLb0EES11_EEDaSW_SX_EUlSW_E_NS1_11comp_targetILNS1_3genE3ELNS1_11target_archE908ELNS1_3gpuE7ELNS1_3repE0EEENS1_30default_config_static_selectorELNS0_4arch9wavefront6targetE1EEEvT1_
	.globl	_ZN7rocprim17ROCPRIM_400000_NS6detail17trampoline_kernelINS0_14default_configENS1_27scan_by_key_config_selectorIidEEZZNS1_16scan_by_key_implILNS1_25lookback_scan_determinismE0ELb1ES3_N6thrust23THRUST_200600_302600_NS6detail15normal_iteratorINS9_10device_ptrIiEEEENSB_INSC_IdEEEESG_dNS9_4plusIvEENS9_8equal_toIvEEdEE10hipError_tPvRmT2_T3_T4_T5_mT6_T7_P12ihipStream_tbENKUlT_T0_E_clISt17integral_constantIbLb0EES11_EEDaSW_SX_EUlSW_E_NS1_11comp_targetILNS1_3genE3ELNS1_11target_archE908ELNS1_3gpuE7ELNS1_3repE0EEENS1_30default_config_static_selectorELNS0_4arch9wavefront6targetE1EEEvT1_
	.p2align	8
	.type	_ZN7rocprim17ROCPRIM_400000_NS6detail17trampoline_kernelINS0_14default_configENS1_27scan_by_key_config_selectorIidEEZZNS1_16scan_by_key_implILNS1_25lookback_scan_determinismE0ELb1ES3_N6thrust23THRUST_200600_302600_NS6detail15normal_iteratorINS9_10device_ptrIiEEEENSB_INSC_IdEEEESG_dNS9_4plusIvEENS9_8equal_toIvEEdEE10hipError_tPvRmT2_T3_T4_T5_mT6_T7_P12ihipStream_tbENKUlT_T0_E_clISt17integral_constantIbLb0EES11_EEDaSW_SX_EUlSW_E_NS1_11comp_targetILNS1_3genE3ELNS1_11target_archE908ELNS1_3gpuE7ELNS1_3repE0EEENS1_30default_config_static_selectorELNS0_4arch9wavefront6targetE1EEEvT1_,@function
_ZN7rocprim17ROCPRIM_400000_NS6detail17trampoline_kernelINS0_14default_configENS1_27scan_by_key_config_selectorIidEEZZNS1_16scan_by_key_implILNS1_25lookback_scan_determinismE0ELb1ES3_N6thrust23THRUST_200600_302600_NS6detail15normal_iteratorINS9_10device_ptrIiEEEENSB_INSC_IdEEEESG_dNS9_4plusIvEENS9_8equal_toIvEEdEE10hipError_tPvRmT2_T3_T4_T5_mT6_T7_P12ihipStream_tbENKUlT_T0_E_clISt17integral_constantIbLb0EES11_EEDaSW_SX_EUlSW_E_NS1_11comp_targetILNS1_3genE3ELNS1_11target_archE908ELNS1_3gpuE7ELNS1_3repE0EEENS1_30default_config_static_selectorELNS0_4arch9wavefront6targetE1EEEvT1_: ; @_ZN7rocprim17ROCPRIM_400000_NS6detail17trampoline_kernelINS0_14default_configENS1_27scan_by_key_config_selectorIidEEZZNS1_16scan_by_key_implILNS1_25lookback_scan_determinismE0ELb1ES3_N6thrust23THRUST_200600_302600_NS6detail15normal_iteratorINS9_10device_ptrIiEEEENSB_INSC_IdEEEESG_dNS9_4plusIvEENS9_8equal_toIvEEdEE10hipError_tPvRmT2_T3_T4_T5_mT6_T7_P12ihipStream_tbENKUlT_T0_E_clISt17integral_constantIbLb0EES11_EEDaSW_SX_EUlSW_E_NS1_11comp_targetILNS1_3genE3ELNS1_11target_archE908ELNS1_3gpuE7ELNS1_3repE0EEENS1_30default_config_static_selectorELNS0_4arch9wavefront6targetE1EEEvT1_
; %bb.0:
	.section	.rodata,"a",@progbits
	.p2align	6, 0x0
	.amdhsa_kernel _ZN7rocprim17ROCPRIM_400000_NS6detail17trampoline_kernelINS0_14default_configENS1_27scan_by_key_config_selectorIidEEZZNS1_16scan_by_key_implILNS1_25lookback_scan_determinismE0ELb1ES3_N6thrust23THRUST_200600_302600_NS6detail15normal_iteratorINS9_10device_ptrIiEEEENSB_INSC_IdEEEESG_dNS9_4plusIvEENS9_8equal_toIvEEdEE10hipError_tPvRmT2_T3_T4_T5_mT6_T7_P12ihipStream_tbENKUlT_T0_E_clISt17integral_constantIbLb0EES11_EEDaSW_SX_EUlSW_E_NS1_11comp_targetILNS1_3genE3ELNS1_11target_archE908ELNS1_3gpuE7ELNS1_3repE0EEENS1_30default_config_static_selectorELNS0_4arch9wavefront6targetE1EEEvT1_
		.amdhsa_group_segment_fixed_size 0
		.amdhsa_private_segment_fixed_size 0
		.amdhsa_kernarg_size 136
		.amdhsa_user_sgpr_count 2
		.amdhsa_user_sgpr_dispatch_ptr 0
		.amdhsa_user_sgpr_queue_ptr 0
		.amdhsa_user_sgpr_kernarg_segment_ptr 1
		.amdhsa_user_sgpr_dispatch_id 0
		.amdhsa_user_sgpr_kernarg_preload_length 0
		.amdhsa_user_sgpr_kernarg_preload_offset 0
		.amdhsa_user_sgpr_private_segment_size 0
		.amdhsa_uses_dynamic_stack 0
		.amdhsa_enable_private_segment 0
		.amdhsa_system_sgpr_workgroup_id_x 1
		.amdhsa_system_sgpr_workgroup_id_y 0
		.amdhsa_system_sgpr_workgroup_id_z 0
		.amdhsa_system_sgpr_workgroup_info 0
		.amdhsa_system_vgpr_workitem_id 0
		.amdhsa_next_free_vgpr 1
		.amdhsa_next_free_sgpr 0
		.amdhsa_accum_offset 4
		.amdhsa_reserve_vcc 0
		.amdhsa_float_round_mode_32 0
		.amdhsa_float_round_mode_16_64 0
		.amdhsa_float_denorm_mode_32 3
		.amdhsa_float_denorm_mode_16_64 3
		.amdhsa_dx10_clamp 1
		.amdhsa_ieee_mode 1
		.amdhsa_fp16_overflow 0
		.amdhsa_tg_split 0
		.amdhsa_exception_fp_ieee_invalid_op 0
		.amdhsa_exception_fp_denorm_src 0
		.amdhsa_exception_fp_ieee_div_zero 0
		.amdhsa_exception_fp_ieee_overflow 0
		.amdhsa_exception_fp_ieee_underflow 0
		.amdhsa_exception_fp_ieee_inexact 0
		.amdhsa_exception_int_div_zero 0
	.end_amdhsa_kernel
	.section	.text._ZN7rocprim17ROCPRIM_400000_NS6detail17trampoline_kernelINS0_14default_configENS1_27scan_by_key_config_selectorIidEEZZNS1_16scan_by_key_implILNS1_25lookback_scan_determinismE0ELb1ES3_N6thrust23THRUST_200600_302600_NS6detail15normal_iteratorINS9_10device_ptrIiEEEENSB_INSC_IdEEEESG_dNS9_4plusIvEENS9_8equal_toIvEEdEE10hipError_tPvRmT2_T3_T4_T5_mT6_T7_P12ihipStream_tbENKUlT_T0_E_clISt17integral_constantIbLb0EES11_EEDaSW_SX_EUlSW_E_NS1_11comp_targetILNS1_3genE3ELNS1_11target_archE908ELNS1_3gpuE7ELNS1_3repE0EEENS1_30default_config_static_selectorELNS0_4arch9wavefront6targetE1EEEvT1_,"axG",@progbits,_ZN7rocprim17ROCPRIM_400000_NS6detail17trampoline_kernelINS0_14default_configENS1_27scan_by_key_config_selectorIidEEZZNS1_16scan_by_key_implILNS1_25lookback_scan_determinismE0ELb1ES3_N6thrust23THRUST_200600_302600_NS6detail15normal_iteratorINS9_10device_ptrIiEEEENSB_INSC_IdEEEESG_dNS9_4plusIvEENS9_8equal_toIvEEdEE10hipError_tPvRmT2_T3_T4_T5_mT6_T7_P12ihipStream_tbENKUlT_T0_E_clISt17integral_constantIbLb0EES11_EEDaSW_SX_EUlSW_E_NS1_11comp_targetILNS1_3genE3ELNS1_11target_archE908ELNS1_3gpuE7ELNS1_3repE0EEENS1_30default_config_static_selectorELNS0_4arch9wavefront6targetE1EEEvT1_,comdat
.Lfunc_end1395:
	.size	_ZN7rocprim17ROCPRIM_400000_NS6detail17trampoline_kernelINS0_14default_configENS1_27scan_by_key_config_selectorIidEEZZNS1_16scan_by_key_implILNS1_25lookback_scan_determinismE0ELb1ES3_N6thrust23THRUST_200600_302600_NS6detail15normal_iteratorINS9_10device_ptrIiEEEENSB_INSC_IdEEEESG_dNS9_4plusIvEENS9_8equal_toIvEEdEE10hipError_tPvRmT2_T3_T4_T5_mT6_T7_P12ihipStream_tbENKUlT_T0_E_clISt17integral_constantIbLb0EES11_EEDaSW_SX_EUlSW_E_NS1_11comp_targetILNS1_3genE3ELNS1_11target_archE908ELNS1_3gpuE7ELNS1_3repE0EEENS1_30default_config_static_selectorELNS0_4arch9wavefront6targetE1EEEvT1_, .Lfunc_end1395-_ZN7rocprim17ROCPRIM_400000_NS6detail17trampoline_kernelINS0_14default_configENS1_27scan_by_key_config_selectorIidEEZZNS1_16scan_by_key_implILNS1_25lookback_scan_determinismE0ELb1ES3_N6thrust23THRUST_200600_302600_NS6detail15normal_iteratorINS9_10device_ptrIiEEEENSB_INSC_IdEEEESG_dNS9_4plusIvEENS9_8equal_toIvEEdEE10hipError_tPvRmT2_T3_T4_T5_mT6_T7_P12ihipStream_tbENKUlT_T0_E_clISt17integral_constantIbLb0EES11_EEDaSW_SX_EUlSW_E_NS1_11comp_targetILNS1_3genE3ELNS1_11target_archE908ELNS1_3gpuE7ELNS1_3repE0EEENS1_30default_config_static_selectorELNS0_4arch9wavefront6targetE1EEEvT1_
                                        ; -- End function
	.section	.AMDGPU.csdata,"",@progbits
; Kernel info:
; codeLenInByte = 0
; NumSgprs: 6
; NumVgprs: 0
; NumAgprs: 0
; TotalNumVgprs: 0
; ScratchSize: 0
; MemoryBound: 0
; FloatMode: 240
; IeeeMode: 1
; LDSByteSize: 0 bytes/workgroup (compile time only)
; SGPRBlocks: 0
; VGPRBlocks: 0
; NumSGPRsForWavesPerEU: 6
; NumVGPRsForWavesPerEU: 1
; AccumOffset: 4
; Occupancy: 8
; WaveLimiterHint : 0
; COMPUTE_PGM_RSRC2:SCRATCH_EN: 0
; COMPUTE_PGM_RSRC2:USER_SGPR: 2
; COMPUTE_PGM_RSRC2:TRAP_HANDLER: 0
; COMPUTE_PGM_RSRC2:TGID_X_EN: 1
; COMPUTE_PGM_RSRC2:TGID_Y_EN: 0
; COMPUTE_PGM_RSRC2:TGID_Z_EN: 0
; COMPUTE_PGM_RSRC2:TIDIG_COMP_CNT: 0
; COMPUTE_PGM_RSRC3_GFX90A:ACCUM_OFFSET: 0
; COMPUTE_PGM_RSRC3_GFX90A:TG_SPLIT: 0
	.section	.text._ZN7rocprim17ROCPRIM_400000_NS6detail17trampoline_kernelINS0_14default_configENS1_27scan_by_key_config_selectorIidEEZZNS1_16scan_by_key_implILNS1_25lookback_scan_determinismE0ELb1ES3_N6thrust23THRUST_200600_302600_NS6detail15normal_iteratorINS9_10device_ptrIiEEEENSB_INSC_IdEEEESG_dNS9_4plusIvEENS9_8equal_toIvEEdEE10hipError_tPvRmT2_T3_T4_T5_mT6_T7_P12ihipStream_tbENKUlT_T0_E_clISt17integral_constantIbLb0EES11_EEDaSW_SX_EUlSW_E_NS1_11comp_targetILNS1_3genE2ELNS1_11target_archE906ELNS1_3gpuE6ELNS1_3repE0EEENS1_30default_config_static_selectorELNS0_4arch9wavefront6targetE1EEEvT1_,"axG",@progbits,_ZN7rocprim17ROCPRIM_400000_NS6detail17trampoline_kernelINS0_14default_configENS1_27scan_by_key_config_selectorIidEEZZNS1_16scan_by_key_implILNS1_25lookback_scan_determinismE0ELb1ES3_N6thrust23THRUST_200600_302600_NS6detail15normal_iteratorINS9_10device_ptrIiEEEENSB_INSC_IdEEEESG_dNS9_4plusIvEENS9_8equal_toIvEEdEE10hipError_tPvRmT2_T3_T4_T5_mT6_T7_P12ihipStream_tbENKUlT_T0_E_clISt17integral_constantIbLb0EES11_EEDaSW_SX_EUlSW_E_NS1_11comp_targetILNS1_3genE2ELNS1_11target_archE906ELNS1_3gpuE6ELNS1_3repE0EEENS1_30default_config_static_selectorELNS0_4arch9wavefront6targetE1EEEvT1_,comdat
	.protected	_ZN7rocprim17ROCPRIM_400000_NS6detail17trampoline_kernelINS0_14default_configENS1_27scan_by_key_config_selectorIidEEZZNS1_16scan_by_key_implILNS1_25lookback_scan_determinismE0ELb1ES3_N6thrust23THRUST_200600_302600_NS6detail15normal_iteratorINS9_10device_ptrIiEEEENSB_INSC_IdEEEESG_dNS9_4plusIvEENS9_8equal_toIvEEdEE10hipError_tPvRmT2_T3_T4_T5_mT6_T7_P12ihipStream_tbENKUlT_T0_E_clISt17integral_constantIbLb0EES11_EEDaSW_SX_EUlSW_E_NS1_11comp_targetILNS1_3genE2ELNS1_11target_archE906ELNS1_3gpuE6ELNS1_3repE0EEENS1_30default_config_static_selectorELNS0_4arch9wavefront6targetE1EEEvT1_ ; -- Begin function _ZN7rocprim17ROCPRIM_400000_NS6detail17trampoline_kernelINS0_14default_configENS1_27scan_by_key_config_selectorIidEEZZNS1_16scan_by_key_implILNS1_25lookback_scan_determinismE0ELb1ES3_N6thrust23THRUST_200600_302600_NS6detail15normal_iteratorINS9_10device_ptrIiEEEENSB_INSC_IdEEEESG_dNS9_4plusIvEENS9_8equal_toIvEEdEE10hipError_tPvRmT2_T3_T4_T5_mT6_T7_P12ihipStream_tbENKUlT_T0_E_clISt17integral_constantIbLb0EES11_EEDaSW_SX_EUlSW_E_NS1_11comp_targetILNS1_3genE2ELNS1_11target_archE906ELNS1_3gpuE6ELNS1_3repE0EEENS1_30default_config_static_selectorELNS0_4arch9wavefront6targetE1EEEvT1_
	.globl	_ZN7rocprim17ROCPRIM_400000_NS6detail17trampoline_kernelINS0_14default_configENS1_27scan_by_key_config_selectorIidEEZZNS1_16scan_by_key_implILNS1_25lookback_scan_determinismE0ELb1ES3_N6thrust23THRUST_200600_302600_NS6detail15normal_iteratorINS9_10device_ptrIiEEEENSB_INSC_IdEEEESG_dNS9_4plusIvEENS9_8equal_toIvEEdEE10hipError_tPvRmT2_T3_T4_T5_mT6_T7_P12ihipStream_tbENKUlT_T0_E_clISt17integral_constantIbLb0EES11_EEDaSW_SX_EUlSW_E_NS1_11comp_targetILNS1_3genE2ELNS1_11target_archE906ELNS1_3gpuE6ELNS1_3repE0EEENS1_30default_config_static_selectorELNS0_4arch9wavefront6targetE1EEEvT1_
	.p2align	8
	.type	_ZN7rocprim17ROCPRIM_400000_NS6detail17trampoline_kernelINS0_14default_configENS1_27scan_by_key_config_selectorIidEEZZNS1_16scan_by_key_implILNS1_25lookback_scan_determinismE0ELb1ES3_N6thrust23THRUST_200600_302600_NS6detail15normal_iteratorINS9_10device_ptrIiEEEENSB_INSC_IdEEEESG_dNS9_4plusIvEENS9_8equal_toIvEEdEE10hipError_tPvRmT2_T3_T4_T5_mT6_T7_P12ihipStream_tbENKUlT_T0_E_clISt17integral_constantIbLb0EES11_EEDaSW_SX_EUlSW_E_NS1_11comp_targetILNS1_3genE2ELNS1_11target_archE906ELNS1_3gpuE6ELNS1_3repE0EEENS1_30default_config_static_selectorELNS0_4arch9wavefront6targetE1EEEvT1_,@function
_ZN7rocprim17ROCPRIM_400000_NS6detail17trampoline_kernelINS0_14default_configENS1_27scan_by_key_config_selectorIidEEZZNS1_16scan_by_key_implILNS1_25lookback_scan_determinismE0ELb1ES3_N6thrust23THRUST_200600_302600_NS6detail15normal_iteratorINS9_10device_ptrIiEEEENSB_INSC_IdEEEESG_dNS9_4plusIvEENS9_8equal_toIvEEdEE10hipError_tPvRmT2_T3_T4_T5_mT6_T7_P12ihipStream_tbENKUlT_T0_E_clISt17integral_constantIbLb0EES11_EEDaSW_SX_EUlSW_E_NS1_11comp_targetILNS1_3genE2ELNS1_11target_archE906ELNS1_3gpuE6ELNS1_3repE0EEENS1_30default_config_static_selectorELNS0_4arch9wavefront6targetE1EEEvT1_: ; @_ZN7rocprim17ROCPRIM_400000_NS6detail17trampoline_kernelINS0_14default_configENS1_27scan_by_key_config_selectorIidEEZZNS1_16scan_by_key_implILNS1_25lookback_scan_determinismE0ELb1ES3_N6thrust23THRUST_200600_302600_NS6detail15normal_iteratorINS9_10device_ptrIiEEEENSB_INSC_IdEEEESG_dNS9_4plusIvEENS9_8equal_toIvEEdEE10hipError_tPvRmT2_T3_T4_T5_mT6_T7_P12ihipStream_tbENKUlT_T0_E_clISt17integral_constantIbLb0EES11_EEDaSW_SX_EUlSW_E_NS1_11comp_targetILNS1_3genE2ELNS1_11target_archE906ELNS1_3gpuE6ELNS1_3repE0EEENS1_30default_config_static_selectorELNS0_4arch9wavefront6targetE1EEEvT1_
; %bb.0:
	.section	.rodata,"a",@progbits
	.p2align	6, 0x0
	.amdhsa_kernel _ZN7rocprim17ROCPRIM_400000_NS6detail17trampoline_kernelINS0_14default_configENS1_27scan_by_key_config_selectorIidEEZZNS1_16scan_by_key_implILNS1_25lookback_scan_determinismE0ELb1ES3_N6thrust23THRUST_200600_302600_NS6detail15normal_iteratorINS9_10device_ptrIiEEEENSB_INSC_IdEEEESG_dNS9_4plusIvEENS9_8equal_toIvEEdEE10hipError_tPvRmT2_T3_T4_T5_mT6_T7_P12ihipStream_tbENKUlT_T0_E_clISt17integral_constantIbLb0EES11_EEDaSW_SX_EUlSW_E_NS1_11comp_targetILNS1_3genE2ELNS1_11target_archE906ELNS1_3gpuE6ELNS1_3repE0EEENS1_30default_config_static_selectorELNS0_4arch9wavefront6targetE1EEEvT1_
		.amdhsa_group_segment_fixed_size 0
		.amdhsa_private_segment_fixed_size 0
		.amdhsa_kernarg_size 136
		.amdhsa_user_sgpr_count 2
		.amdhsa_user_sgpr_dispatch_ptr 0
		.amdhsa_user_sgpr_queue_ptr 0
		.amdhsa_user_sgpr_kernarg_segment_ptr 1
		.amdhsa_user_sgpr_dispatch_id 0
		.amdhsa_user_sgpr_kernarg_preload_length 0
		.amdhsa_user_sgpr_kernarg_preload_offset 0
		.amdhsa_user_sgpr_private_segment_size 0
		.amdhsa_uses_dynamic_stack 0
		.amdhsa_enable_private_segment 0
		.amdhsa_system_sgpr_workgroup_id_x 1
		.amdhsa_system_sgpr_workgroup_id_y 0
		.amdhsa_system_sgpr_workgroup_id_z 0
		.amdhsa_system_sgpr_workgroup_info 0
		.amdhsa_system_vgpr_workitem_id 0
		.amdhsa_next_free_vgpr 1
		.amdhsa_next_free_sgpr 0
		.amdhsa_accum_offset 4
		.amdhsa_reserve_vcc 0
		.amdhsa_float_round_mode_32 0
		.amdhsa_float_round_mode_16_64 0
		.amdhsa_float_denorm_mode_32 3
		.amdhsa_float_denorm_mode_16_64 3
		.amdhsa_dx10_clamp 1
		.amdhsa_ieee_mode 1
		.amdhsa_fp16_overflow 0
		.amdhsa_tg_split 0
		.amdhsa_exception_fp_ieee_invalid_op 0
		.amdhsa_exception_fp_denorm_src 0
		.amdhsa_exception_fp_ieee_div_zero 0
		.amdhsa_exception_fp_ieee_overflow 0
		.amdhsa_exception_fp_ieee_underflow 0
		.amdhsa_exception_fp_ieee_inexact 0
		.amdhsa_exception_int_div_zero 0
	.end_amdhsa_kernel
	.section	.text._ZN7rocprim17ROCPRIM_400000_NS6detail17trampoline_kernelINS0_14default_configENS1_27scan_by_key_config_selectorIidEEZZNS1_16scan_by_key_implILNS1_25lookback_scan_determinismE0ELb1ES3_N6thrust23THRUST_200600_302600_NS6detail15normal_iteratorINS9_10device_ptrIiEEEENSB_INSC_IdEEEESG_dNS9_4plusIvEENS9_8equal_toIvEEdEE10hipError_tPvRmT2_T3_T4_T5_mT6_T7_P12ihipStream_tbENKUlT_T0_E_clISt17integral_constantIbLb0EES11_EEDaSW_SX_EUlSW_E_NS1_11comp_targetILNS1_3genE2ELNS1_11target_archE906ELNS1_3gpuE6ELNS1_3repE0EEENS1_30default_config_static_selectorELNS0_4arch9wavefront6targetE1EEEvT1_,"axG",@progbits,_ZN7rocprim17ROCPRIM_400000_NS6detail17trampoline_kernelINS0_14default_configENS1_27scan_by_key_config_selectorIidEEZZNS1_16scan_by_key_implILNS1_25lookback_scan_determinismE0ELb1ES3_N6thrust23THRUST_200600_302600_NS6detail15normal_iteratorINS9_10device_ptrIiEEEENSB_INSC_IdEEEESG_dNS9_4plusIvEENS9_8equal_toIvEEdEE10hipError_tPvRmT2_T3_T4_T5_mT6_T7_P12ihipStream_tbENKUlT_T0_E_clISt17integral_constantIbLb0EES11_EEDaSW_SX_EUlSW_E_NS1_11comp_targetILNS1_3genE2ELNS1_11target_archE906ELNS1_3gpuE6ELNS1_3repE0EEENS1_30default_config_static_selectorELNS0_4arch9wavefront6targetE1EEEvT1_,comdat
.Lfunc_end1396:
	.size	_ZN7rocprim17ROCPRIM_400000_NS6detail17trampoline_kernelINS0_14default_configENS1_27scan_by_key_config_selectorIidEEZZNS1_16scan_by_key_implILNS1_25lookback_scan_determinismE0ELb1ES3_N6thrust23THRUST_200600_302600_NS6detail15normal_iteratorINS9_10device_ptrIiEEEENSB_INSC_IdEEEESG_dNS9_4plusIvEENS9_8equal_toIvEEdEE10hipError_tPvRmT2_T3_T4_T5_mT6_T7_P12ihipStream_tbENKUlT_T0_E_clISt17integral_constantIbLb0EES11_EEDaSW_SX_EUlSW_E_NS1_11comp_targetILNS1_3genE2ELNS1_11target_archE906ELNS1_3gpuE6ELNS1_3repE0EEENS1_30default_config_static_selectorELNS0_4arch9wavefront6targetE1EEEvT1_, .Lfunc_end1396-_ZN7rocprim17ROCPRIM_400000_NS6detail17trampoline_kernelINS0_14default_configENS1_27scan_by_key_config_selectorIidEEZZNS1_16scan_by_key_implILNS1_25lookback_scan_determinismE0ELb1ES3_N6thrust23THRUST_200600_302600_NS6detail15normal_iteratorINS9_10device_ptrIiEEEENSB_INSC_IdEEEESG_dNS9_4plusIvEENS9_8equal_toIvEEdEE10hipError_tPvRmT2_T3_T4_T5_mT6_T7_P12ihipStream_tbENKUlT_T0_E_clISt17integral_constantIbLb0EES11_EEDaSW_SX_EUlSW_E_NS1_11comp_targetILNS1_3genE2ELNS1_11target_archE906ELNS1_3gpuE6ELNS1_3repE0EEENS1_30default_config_static_selectorELNS0_4arch9wavefront6targetE1EEEvT1_
                                        ; -- End function
	.section	.AMDGPU.csdata,"",@progbits
; Kernel info:
; codeLenInByte = 0
; NumSgprs: 6
; NumVgprs: 0
; NumAgprs: 0
; TotalNumVgprs: 0
; ScratchSize: 0
; MemoryBound: 0
; FloatMode: 240
; IeeeMode: 1
; LDSByteSize: 0 bytes/workgroup (compile time only)
; SGPRBlocks: 0
; VGPRBlocks: 0
; NumSGPRsForWavesPerEU: 6
; NumVGPRsForWavesPerEU: 1
; AccumOffset: 4
; Occupancy: 8
; WaveLimiterHint : 0
; COMPUTE_PGM_RSRC2:SCRATCH_EN: 0
; COMPUTE_PGM_RSRC2:USER_SGPR: 2
; COMPUTE_PGM_RSRC2:TRAP_HANDLER: 0
; COMPUTE_PGM_RSRC2:TGID_X_EN: 1
; COMPUTE_PGM_RSRC2:TGID_Y_EN: 0
; COMPUTE_PGM_RSRC2:TGID_Z_EN: 0
; COMPUTE_PGM_RSRC2:TIDIG_COMP_CNT: 0
; COMPUTE_PGM_RSRC3_GFX90A:ACCUM_OFFSET: 0
; COMPUTE_PGM_RSRC3_GFX90A:TG_SPLIT: 0
	.section	.text._ZN7rocprim17ROCPRIM_400000_NS6detail17trampoline_kernelINS0_14default_configENS1_27scan_by_key_config_selectorIidEEZZNS1_16scan_by_key_implILNS1_25lookback_scan_determinismE0ELb1ES3_N6thrust23THRUST_200600_302600_NS6detail15normal_iteratorINS9_10device_ptrIiEEEENSB_INSC_IdEEEESG_dNS9_4plusIvEENS9_8equal_toIvEEdEE10hipError_tPvRmT2_T3_T4_T5_mT6_T7_P12ihipStream_tbENKUlT_T0_E_clISt17integral_constantIbLb0EES11_EEDaSW_SX_EUlSW_E_NS1_11comp_targetILNS1_3genE10ELNS1_11target_archE1200ELNS1_3gpuE4ELNS1_3repE0EEENS1_30default_config_static_selectorELNS0_4arch9wavefront6targetE1EEEvT1_,"axG",@progbits,_ZN7rocprim17ROCPRIM_400000_NS6detail17trampoline_kernelINS0_14default_configENS1_27scan_by_key_config_selectorIidEEZZNS1_16scan_by_key_implILNS1_25lookback_scan_determinismE0ELb1ES3_N6thrust23THRUST_200600_302600_NS6detail15normal_iteratorINS9_10device_ptrIiEEEENSB_INSC_IdEEEESG_dNS9_4plusIvEENS9_8equal_toIvEEdEE10hipError_tPvRmT2_T3_T4_T5_mT6_T7_P12ihipStream_tbENKUlT_T0_E_clISt17integral_constantIbLb0EES11_EEDaSW_SX_EUlSW_E_NS1_11comp_targetILNS1_3genE10ELNS1_11target_archE1200ELNS1_3gpuE4ELNS1_3repE0EEENS1_30default_config_static_selectorELNS0_4arch9wavefront6targetE1EEEvT1_,comdat
	.protected	_ZN7rocprim17ROCPRIM_400000_NS6detail17trampoline_kernelINS0_14default_configENS1_27scan_by_key_config_selectorIidEEZZNS1_16scan_by_key_implILNS1_25lookback_scan_determinismE0ELb1ES3_N6thrust23THRUST_200600_302600_NS6detail15normal_iteratorINS9_10device_ptrIiEEEENSB_INSC_IdEEEESG_dNS9_4plusIvEENS9_8equal_toIvEEdEE10hipError_tPvRmT2_T3_T4_T5_mT6_T7_P12ihipStream_tbENKUlT_T0_E_clISt17integral_constantIbLb0EES11_EEDaSW_SX_EUlSW_E_NS1_11comp_targetILNS1_3genE10ELNS1_11target_archE1200ELNS1_3gpuE4ELNS1_3repE0EEENS1_30default_config_static_selectorELNS0_4arch9wavefront6targetE1EEEvT1_ ; -- Begin function _ZN7rocprim17ROCPRIM_400000_NS6detail17trampoline_kernelINS0_14default_configENS1_27scan_by_key_config_selectorIidEEZZNS1_16scan_by_key_implILNS1_25lookback_scan_determinismE0ELb1ES3_N6thrust23THRUST_200600_302600_NS6detail15normal_iteratorINS9_10device_ptrIiEEEENSB_INSC_IdEEEESG_dNS9_4plusIvEENS9_8equal_toIvEEdEE10hipError_tPvRmT2_T3_T4_T5_mT6_T7_P12ihipStream_tbENKUlT_T0_E_clISt17integral_constantIbLb0EES11_EEDaSW_SX_EUlSW_E_NS1_11comp_targetILNS1_3genE10ELNS1_11target_archE1200ELNS1_3gpuE4ELNS1_3repE0EEENS1_30default_config_static_selectorELNS0_4arch9wavefront6targetE1EEEvT1_
	.globl	_ZN7rocprim17ROCPRIM_400000_NS6detail17trampoline_kernelINS0_14default_configENS1_27scan_by_key_config_selectorIidEEZZNS1_16scan_by_key_implILNS1_25lookback_scan_determinismE0ELb1ES3_N6thrust23THRUST_200600_302600_NS6detail15normal_iteratorINS9_10device_ptrIiEEEENSB_INSC_IdEEEESG_dNS9_4plusIvEENS9_8equal_toIvEEdEE10hipError_tPvRmT2_T3_T4_T5_mT6_T7_P12ihipStream_tbENKUlT_T0_E_clISt17integral_constantIbLb0EES11_EEDaSW_SX_EUlSW_E_NS1_11comp_targetILNS1_3genE10ELNS1_11target_archE1200ELNS1_3gpuE4ELNS1_3repE0EEENS1_30default_config_static_selectorELNS0_4arch9wavefront6targetE1EEEvT1_
	.p2align	8
	.type	_ZN7rocprim17ROCPRIM_400000_NS6detail17trampoline_kernelINS0_14default_configENS1_27scan_by_key_config_selectorIidEEZZNS1_16scan_by_key_implILNS1_25lookback_scan_determinismE0ELb1ES3_N6thrust23THRUST_200600_302600_NS6detail15normal_iteratorINS9_10device_ptrIiEEEENSB_INSC_IdEEEESG_dNS9_4plusIvEENS9_8equal_toIvEEdEE10hipError_tPvRmT2_T3_T4_T5_mT6_T7_P12ihipStream_tbENKUlT_T0_E_clISt17integral_constantIbLb0EES11_EEDaSW_SX_EUlSW_E_NS1_11comp_targetILNS1_3genE10ELNS1_11target_archE1200ELNS1_3gpuE4ELNS1_3repE0EEENS1_30default_config_static_selectorELNS0_4arch9wavefront6targetE1EEEvT1_,@function
_ZN7rocprim17ROCPRIM_400000_NS6detail17trampoline_kernelINS0_14default_configENS1_27scan_by_key_config_selectorIidEEZZNS1_16scan_by_key_implILNS1_25lookback_scan_determinismE0ELb1ES3_N6thrust23THRUST_200600_302600_NS6detail15normal_iteratorINS9_10device_ptrIiEEEENSB_INSC_IdEEEESG_dNS9_4plusIvEENS9_8equal_toIvEEdEE10hipError_tPvRmT2_T3_T4_T5_mT6_T7_P12ihipStream_tbENKUlT_T0_E_clISt17integral_constantIbLb0EES11_EEDaSW_SX_EUlSW_E_NS1_11comp_targetILNS1_3genE10ELNS1_11target_archE1200ELNS1_3gpuE4ELNS1_3repE0EEENS1_30default_config_static_selectorELNS0_4arch9wavefront6targetE1EEEvT1_: ; @_ZN7rocprim17ROCPRIM_400000_NS6detail17trampoline_kernelINS0_14default_configENS1_27scan_by_key_config_selectorIidEEZZNS1_16scan_by_key_implILNS1_25lookback_scan_determinismE0ELb1ES3_N6thrust23THRUST_200600_302600_NS6detail15normal_iteratorINS9_10device_ptrIiEEEENSB_INSC_IdEEEESG_dNS9_4plusIvEENS9_8equal_toIvEEdEE10hipError_tPvRmT2_T3_T4_T5_mT6_T7_P12ihipStream_tbENKUlT_T0_E_clISt17integral_constantIbLb0EES11_EEDaSW_SX_EUlSW_E_NS1_11comp_targetILNS1_3genE10ELNS1_11target_archE1200ELNS1_3gpuE4ELNS1_3repE0EEENS1_30default_config_static_selectorELNS0_4arch9wavefront6targetE1EEEvT1_
; %bb.0:
	.section	.rodata,"a",@progbits
	.p2align	6, 0x0
	.amdhsa_kernel _ZN7rocprim17ROCPRIM_400000_NS6detail17trampoline_kernelINS0_14default_configENS1_27scan_by_key_config_selectorIidEEZZNS1_16scan_by_key_implILNS1_25lookback_scan_determinismE0ELb1ES3_N6thrust23THRUST_200600_302600_NS6detail15normal_iteratorINS9_10device_ptrIiEEEENSB_INSC_IdEEEESG_dNS9_4plusIvEENS9_8equal_toIvEEdEE10hipError_tPvRmT2_T3_T4_T5_mT6_T7_P12ihipStream_tbENKUlT_T0_E_clISt17integral_constantIbLb0EES11_EEDaSW_SX_EUlSW_E_NS1_11comp_targetILNS1_3genE10ELNS1_11target_archE1200ELNS1_3gpuE4ELNS1_3repE0EEENS1_30default_config_static_selectorELNS0_4arch9wavefront6targetE1EEEvT1_
		.amdhsa_group_segment_fixed_size 0
		.amdhsa_private_segment_fixed_size 0
		.amdhsa_kernarg_size 136
		.amdhsa_user_sgpr_count 2
		.amdhsa_user_sgpr_dispatch_ptr 0
		.amdhsa_user_sgpr_queue_ptr 0
		.amdhsa_user_sgpr_kernarg_segment_ptr 1
		.amdhsa_user_sgpr_dispatch_id 0
		.amdhsa_user_sgpr_kernarg_preload_length 0
		.amdhsa_user_sgpr_kernarg_preload_offset 0
		.amdhsa_user_sgpr_private_segment_size 0
		.amdhsa_uses_dynamic_stack 0
		.amdhsa_enable_private_segment 0
		.amdhsa_system_sgpr_workgroup_id_x 1
		.amdhsa_system_sgpr_workgroup_id_y 0
		.amdhsa_system_sgpr_workgroup_id_z 0
		.amdhsa_system_sgpr_workgroup_info 0
		.amdhsa_system_vgpr_workitem_id 0
		.amdhsa_next_free_vgpr 1
		.amdhsa_next_free_sgpr 0
		.amdhsa_accum_offset 4
		.amdhsa_reserve_vcc 0
		.amdhsa_float_round_mode_32 0
		.amdhsa_float_round_mode_16_64 0
		.amdhsa_float_denorm_mode_32 3
		.amdhsa_float_denorm_mode_16_64 3
		.amdhsa_dx10_clamp 1
		.amdhsa_ieee_mode 1
		.amdhsa_fp16_overflow 0
		.amdhsa_tg_split 0
		.amdhsa_exception_fp_ieee_invalid_op 0
		.amdhsa_exception_fp_denorm_src 0
		.amdhsa_exception_fp_ieee_div_zero 0
		.amdhsa_exception_fp_ieee_overflow 0
		.amdhsa_exception_fp_ieee_underflow 0
		.amdhsa_exception_fp_ieee_inexact 0
		.amdhsa_exception_int_div_zero 0
	.end_amdhsa_kernel
	.section	.text._ZN7rocprim17ROCPRIM_400000_NS6detail17trampoline_kernelINS0_14default_configENS1_27scan_by_key_config_selectorIidEEZZNS1_16scan_by_key_implILNS1_25lookback_scan_determinismE0ELb1ES3_N6thrust23THRUST_200600_302600_NS6detail15normal_iteratorINS9_10device_ptrIiEEEENSB_INSC_IdEEEESG_dNS9_4plusIvEENS9_8equal_toIvEEdEE10hipError_tPvRmT2_T3_T4_T5_mT6_T7_P12ihipStream_tbENKUlT_T0_E_clISt17integral_constantIbLb0EES11_EEDaSW_SX_EUlSW_E_NS1_11comp_targetILNS1_3genE10ELNS1_11target_archE1200ELNS1_3gpuE4ELNS1_3repE0EEENS1_30default_config_static_selectorELNS0_4arch9wavefront6targetE1EEEvT1_,"axG",@progbits,_ZN7rocprim17ROCPRIM_400000_NS6detail17trampoline_kernelINS0_14default_configENS1_27scan_by_key_config_selectorIidEEZZNS1_16scan_by_key_implILNS1_25lookback_scan_determinismE0ELb1ES3_N6thrust23THRUST_200600_302600_NS6detail15normal_iteratorINS9_10device_ptrIiEEEENSB_INSC_IdEEEESG_dNS9_4plusIvEENS9_8equal_toIvEEdEE10hipError_tPvRmT2_T3_T4_T5_mT6_T7_P12ihipStream_tbENKUlT_T0_E_clISt17integral_constantIbLb0EES11_EEDaSW_SX_EUlSW_E_NS1_11comp_targetILNS1_3genE10ELNS1_11target_archE1200ELNS1_3gpuE4ELNS1_3repE0EEENS1_30default_config_static_selectorELNS0_4arch9wavefront6targetE1EEEvT1_,comdat
.Lfunc_end1397:
	.size	_ZN7rocprim17ROCPRIM_400000_NS6detail17trampoline_kernelINS0_14default_configENS1_27scan_by_key_config_selectorIidEEZZNS1_16scan_by_key_implILNS1_25lookback_scan_determinismE0ELb1ES3_N6thrust23THRUST_200600_302600_NS6detail15normal_iteratorINS9_10device_ptrIiEEEENSB_INSC_IdEEEESG_dNS9_4plusIvEENS9_8equal_toIvEEdEE10hipError_tPvRmT2_T3_T4_T5_mT6_T7_P12ihipStream_tbENKUlT_T0_E_clISt17integral_constantIbLb0EES11_EEDaSW_SX_EUlSW_E_NS1_11comp_targetILNS1_3genE10ELNS1_11target_archE1200ELNS1_3gpuE4ELNS1_3repE0EEENS1_30default_config_static_selectorELNS0_4arch9wavefront6targetE1EEEvT1_, .Lfunc_end1397-_ZN7rocprim17ROCPRIM_400000_NS6detail17trampoline_kernelINS0_14default_configENS1_27scan_by_key_config_selectorIidEEZZNS1_16scan_by_key_implILNS1_25lookback_scan_determinismE0ELb1ES3_N6thrust23THRUST_200600_302600_NS6detail15normal_iteratorINS9_10device_ptrIiEEEENSB_INSC_IdEEEESG_dNS9_4plusIvEENS9_8equal_toIvEEdEE10hipError_tPvRmT2_T3_T4_T5_mT6_T7_P12ihipStream_tbENKUlT_T0_E_clISt17integral_constantIbLb0EES11_EEDaSW_SX_EUlSW_E_NS1_11comp_targetILNS1_3genE10ELNS1_11target_archE1200ELNS1_3gpuE4ELNS1_3repE0EEENS1_30default_config_static_selectorELNS0_4arch9wavefront6targetE1EEEvT1_
                                        ; -- End function
	.section	.AMDGPU.csdata,"",@progbits
; Kernel info:
; codeLenInByte = 0
; NumSgprs: 6
; NumVgprs: 0
; NumAgprs: 0
; TotalNumVgprs: 0
; ScratchSize: 0
; MemoryBound: 0
; FloatMode: 240
; IeeeMode: 1
; LDSByteSize: 0 bytes/workgroup (compile time only)
; SGPRBlocks: 0
; VGPRBlocks: 0
; NumSGPRsForWavesPerEU: 6
; NumVGPRsForWavesPerEU: 1
; AccumOffset: 4
; Occupancy: 8
; WaveLimiterHint : 0
; COMPUTE_PGM_RSRC2:SCRATCH_EN: 0
; COMPUTE_PGM_RSRC2:USER_SGPR: 2
; COMPUTE_PGM_RSRC2:TRAP_HANDLER: 0
; COMPUTE_PGM_RSRC2:TGID_X_EN: 1
; COMPUTE_PGM_RSRC2:TGID_Y_EN: 0
; COMPUTE_PGM_RSRC2:TGID_Z_EN: 0
; COMPUTE_PGM_RSRC2:TIDIG_COMP_CNT: 0
; COMPUTE_PGM_RSRC3_GFX90A:ACCUM_OFFSET: 0
; COMPUTE_PGM_RSRC3_GFX90A:TG_SPLIT: 0
	.section	.text._ZN7rocprim17ROCPRIM_400000_NS6detail17trampoline_kernelINS0_14default_configENS1_27scan_by_key_config_selectorIidEEZZNS1_16scan_by_key_implILNS1_25lookback_scan_determinismE0ELb1ES3_N6thrust23THRUST_200600_302600_NS6detail15normal_iteratorINS9_10device_ptrIiEEEENSB_INSC_IdEEEESG_dNS9_4plusIvEENS9_8equal_toIvEEdEE10hipError_tPvRmT2_T3_T4_T5_mT6_T7_P12ihipStream_tbENKUlT_T0_E_clISt17integral_constantIbLb0EES11_EEDaSW_SX_EUlSW_E_NS1_11comp_targetILNS1_3genE9ELNS1_11target_archE1100ELNS1_3gpuE3ELNS1_3repE0EEENS1_30default_config_static_selectorELNS0_4arch9wavefront6targetE1EEEvT1_,"axG",@progbits,_ZN7rocprim17ROCPRIM_400000_NS6detail17trampoline_kernelINS0_14default_configENS1_27scan_by_key_config_selectorIidEEZZNS1_16scan_by_key_implILNS1_25lookback_scan_determinismE0ELb1ES3_N6thrust23THRUST_200600_302600_NS6detail15normal_iteratorINS9_10device_ptrIiEEEENSB_INSC_IdEEEESG_dNS9_4plusIvEENS9_8equal_toIvEEdEE10hipError_tPvRmT2_T3_T4_T5_mT6_T7_P12ihipStream_tbENKUlT_T0_E_clISt17integral_constantIbLb0EES11_EEDaSW_SX_EUlSW_E_NS1_11comp_targetILNS1_3genE9ELNS1_11target_archE1100ELNS1_3gpuE3ELNS1_3repE0EEENS1_30default_config_static_selectorELNS0_4arch9wavefront6targetE1EEEvT1_,comdat
	.protected	_ZN7rocprim17ROCPRIM_400000_NS6detail17trampoline_kernelINS0_14default_configENS1_27scan_by_key_config_selectorIidEEZZNS1_16scan_by_key_implILNS1_25lookback_scan_determinismE0ELb1ES3_N6thrust23THRUST_200600_302600_NS6detail15normal_iteratorINS9_10device_ptrIiEEEENSB_INSC_IdEEEESG_dNS9_4plusIvEENS9_8equal_toIvEEdEE10hipError_tPvRmT2_T3_T4_T5_mT6_T7_P12ihipStream_tbENKUlT_T0_E_clISt17integral_constantIbLb0EES11_EEDaSW_SX_EUlSW_E_NS1_11comp_targetILNS1_3genE9ELNS1_11target_archE1100ELNS1_3gpuE3ELNS1_3repE0EEENS1_30default_config_static_selectorELNS0_4arch9wavefront6targetE1EEEvT1_ ; -- Begin function _ZN7rocprim17ROCPRIM_400000_NS6detail17trampoline_kernelINS0_14default_configENS1_27scan_by_key_config_selectorIidEEZZNS1_16scan_by_key_implILNS1_25lookback_scan_determinismE0ELb1ES3_N6thrust23THRUST_200600_302600_NS6detail15normal_iteratorINS9_10device_ptrIiEEEENSB_INSC_IdEEEESG_dNS9_4plusIvEENS9_8equal_toIvEEdEE10hipError_tPvRmT2_T3_T4_T5_mT6_T7_P12ihipStream_tbENKUlT_T0_E_clISt17integral_constantIbLb0EES11_EEDaSW_SX_EUlSW_E_NS1_11comp_targetILNS1_3genE9ELNS1_11target_archE1100ELNS1_3gpuE3ELNS1_3repE0EEENS1_30default_config_static_selectorELNS0_4arch9wavefront6targetE1EEEvT1_
	.globl	_ZN7rocprim17ROCPRIM_400000_NS6detail17trampoline_kernelINS0_14default_configENS1_27scan_by_key_config_selectorIidEEZZNS1_16scan_by_key_implILNS1_25lookback_scan_determinismE0ELb1ES3_N6thrust23THRUST_200600_302600_NS6detail15normal_iteratorINS9_10device_ptrIiEEEENSB_INSC_IdEEEESG_dNS9_4plusIvEENS9_8equal_toIvEEdEE10hipError_tPvRmT2_T3_T4_T5_mT6_T7_P12ihipStream_tbENKUlT_T0_E_clISt17integral_constantIbLb0EES11_EEDaSW_SX_EUlSW_E_NS1_11comp_targetILNS1_3genE9ELNS1_11target_archE1100ELNS1_3gpuE3ELNS1_3repE0EEENS1_30default_config_static_selectorELNS0_4arch9wavefront6targetE1EEEvT1_
	.p2align	8
	.type	_ZN7rocprim17ROCPRIM_400000_NS6detail17trampoline_kernelINS0_14default_configENS1_27scan_by_key_config_selectorIidEEZZNS1_16scan_by_key_implILNS1_25lookback_scan_determinismE0ELb1ES3_N6thrust23THRUST_200600_302600_NS6detail15normal_iteratorINS9_10device_ptrIiEEEENSB_INSC_IdEEEESG_dNS9_4plusIvEENS9_8equal_toIvEEdEE10hipError_tPvRmT2_T3_T4_T5_mT6_T7_P12ihipStream_tbENKUlT_T0_E_clISt17integral_constantIbLb0EES11_EEDaSW_SX_EUlSW_E_NS1_11comp_targetILNS1_3genE9ELNS1_11target_archE1100ELNS1_3gpuE3ELNS1_3repE0EEENS1_30default_config_static_selectorELNS0_4arch9wavefront6targetE1EEEvT1_,@function
_ZN7rocprim17ROCPRIM_400000_NS6detail17trampoline_kernelINS0_14default_configENS1_27scan_by_key_config_selectorIidEEZZNS1_16scan_by_key_implILNS1_25lookback_scan_determinismE0ELb1ES3_N6thrust23THRUST_200600_302600_NS6detail15normal_iteratorINS9_10device_ptrIiEEEENSB_INSC_IdEEEESG_dNS9_4plusIvEENS9_8equal_toIvEEdEE10hipError_tPvRmT2_T3_T4_T5_mT6_T7_P12ihipStream_tbENKUlT_T0_E_clISt17integral_constantIbLb0EES11_EEDaSW_SX_EUlSW_E_NS1_11comp_targetILNS1_3genE9ELNS1_11target_archE1100ELNS1_3gpuE3ELNS1_3repE0EEENS1_30default_config_static_selectorELNS0_4arch9wavefront6targetE1EEEvT1_: ; @_ZN7rocprim17ROCPRIM_400000_NS6detail17trampoline_kernelINS0_14default_configENS1_27scan_by_key_config_selectorIidEEZZNS1_16scan_by_key_implILNS1_25lookback_scan_determinismE0ELb1ES3_N6thrust23THRUST_200600_302600_NS6detail15normal_iteratorINS9_10device_ptrIiEEEENSB_INSC_IdEEEESG_dNS9_4plusIvEENS9_8equal_toIvEEdEE10hipError_tPvRmT2_T3_T4_T5_mT6_T7_P12ihipStream_tbENKUlT_T0_E_clISt17integral_constantIbLb0EES11_EEDaSW_SX_EUlSW_E_NS1_11comp_targetILNS1_3genE9ELNS1_11target_archE1100ELNS1_3gpuE3ELNS1_3repE0EEENS1_30default_config_static_selectorELNS0_4arch9wavefront6targetE1EEEvT1_
; %bb.0:
	.section	.rodata,"a",@progbits
	.p2align	6, 0x0
	.amdhsa_kernel _ZN7rocprim17ROCPRIM_400000_NS6detail17trampoline_kernelINS0_14default_configENS1_27scan_by_key_config_selectorIidEEZZNS1_16scan_by_key_implILNS1_25lookback_scan_determinismE0ELb1ES3_N6thrust23THRUST_200600_302600_NS6detail15normal_iteratorINS9_10device_ptrIiEEEENSB_INSC_IdEEEESG_dNS9_4plusIvEENS9_8equal_toIvEEdEE10hipError_tPvRmT2_T3_T4_T5_mT6_T7_P12ihipStream_tbENKUlT_T0_E_clISt17integral_constantIbLb0EES11_EEDaSW_SX_EUlSW_E_NS1_11comp_targetILNS1_3genE9ELNS1_11target_archE1100ELNS1_3gpuE3ELNS1_3repE0EEENS1_30default_config_static_selectorELNS0_4arch9wavefront6targetE1EEEvT1_
		.amdhsa_group_segment_fixed_size 0
		.amdhsa_private_segment_fixed_size 0
		.amdhsa_kernarg_size 136
		.amdhsa_user_sgpr_count 2
		.amdhsa_user_sgpr_dispatch_ptr 0
		.amdhsa_user_sgpr_queue_ptr 0
		.amdhsa_user_sgpr_kernarg_segment_ptr 1
		.amdhsa_user_sgpr_dispatch_id 0
		.amdhsa_user_sgpr_kernarg_preload_length 0
		.amdhsa_user_sgpr_kernarg_preload_offset 0
		.amdhsa_user_sgpr_private_segment_size 0
		.amdhsa_uses_dynamic_stack 0
		.amdhsa_enable_private_segment 0
		.amdhsa_system_sgpr_workgroup_id_x 1
		.amdhsa_system_sgpr_workgroup_id_y 0
		.amdhsa_system_sgpr_workgroup_id_z 0
		.amdhsa_system_sgpr_workgroup_info 0
		.amdhsa_system_vgpr_workitem_id 0
		.amdhsa_next_free_vgpr 1
		.amdhsa_next_free_sgpr 0
		.amdhsa_accum_offset 4
		.amdhsa_reserve_vcc 0
		.amdhsa_float_round_mode_32 0
		.amdhsa_float_round_mode_16_64 0
		.amdhsa_float_denorm_mode_32 3
		.amdhsa_float_denorm_mode_16_64 3
		.amdhsa_dx10_clamp 1
		.amdhsa_ieee_mode 1
		.amdhsa_fp16_overflow 0
		.amdhsa_tg_split 0
		.amdhsa_exception_fp_ieee_invalid_op 0
		.amdhsa_exception_fp_denorm_src 0
		.amdhsa_exception_fp_ieee_div_zero 0
		.amdhsa_exception_fp_ieee_overflow 0
		.amdhsa_exception_fp_ieee_underflow 0
		.amdhsa_exception_fp_ieee_inexact 0
		.amdhsa_exception_int_div_zero 0
	.end_amdhsa_kernel
	.section	.text._ZN7rocprim17ROCPRIM_400000_NS6detail17trampoline_kernelINS0_14default_configENS1_27scan_by_key_config_selectorIidEEZZNS1_16scan_by_key_implILNS1_25lookback_scan_determinismE0ELb1ES3_N6thrust23THRUST_200600_302600_NS6detail15normal_iteratorINS9_10device_ptrIiEEEENSB_INSC_IdEEEESG_dNS9_4plusIvEENS9_8equal_toIvEEdEE10hipError_tPvRmT2_T3_T4_T5_mT6_T7_P12ihipStream_tbENKUlT_T0_E_clISt17integral_constantIbLb0EES11_EEDaSW_SX_EUlSW_E_NS1_11comp_targetILNS1_3genE9ELNS1_11target_archE1100ELNS1_3gpuE3ELNS1_3repE0EEENS1_30default_config_static_selectorELNS0_4arch9wavefront6targetE1EEEvT1_,"axG",@progbits,_ZN7rocprim17ROCPRIM_400000_NS6detail17trampoline_kernelINS0_14default_configENS1_27scan_by_key_config_selectorIidEEZZNS1_16scan_by_key_implILNS1_25lookback_scan_determinismE0ELb1ES3_N6thrust23THRUST_200600_302600_NS6detail15normal_iteratorINS9_10device_ptrIiEEEENSB_INSC_IdEEEESG_dNS9_4plusIvEENS9_8equal_toIvEEdEE10hipError_tPvRmT2_T3_T4_T5_mT6_T7_P12ihipStream_tbENKUlT_T0_E_clISt17integral_constantIbLb0EES11_EEDaSW_SX_EUlSW_E_NS1_11comp_targetILNS1_3genE9ELNS1_11target_archE1100ELNS1_3gpuE3ELNS1_3repE0EEENS1_30default_config_static_selectorELNS0_4arch9wavefront6targetE1EEEvT1_,comdat
.Lfunc_end1398:
	.size	_ZN7rocprim17ROCPRIM_400000_NS6detail17trampoline_kernelINS0_14default_configENS1_27scan_by_key_config_selectorIidEEZZNS1_16scan_by_key_implILNS1_25lookback_scan_determinismE0ELb1ES3_N6thrust23THRUST_200600_302600_NS6detail15normal_iteratorINS9_10device_ptrIiEEEENSB_INSC_IdEEEESG_dNS9_4plusIvEENS9_8equal_toIvEEdEE10hipError_tPvRmT2_T3_T4_T5_mT6_T7_P12ihipStream_tbENKUlT_T0_E_clISt17integral_constantIbLb0EES11_EEDaSW_SX_EUlSW_E_NS1_11comp_targetILNS1_3genE9ELNS1_11target_archE1100ELNS1_3gpuE3ELNS1_3repE0EEENS1_30default_config_static_selectorELNS0_4arch9wavefront6targetE1EEEvT1_, .Lfunc_end1398-_ZN7rocprim17ROCPRIM_400000_NS6detail17trampoline_kernelINS0_14default_configENS1_27scan_by_key_config_selectorIidEEZZNS1_16scan_by_key_implILNS1_25lookback_scan_determinismE0ELb1ES3_N6thrust23THRUST_200600_302600_NS6detail15normal_iteratorINS9_10device_ptrIiEEEENSB_INSC_IdEEEESG_dNS9_4plusIvEENS9_8equal_toIvEEdEE10hipError_tPvRmT2_T3_T4_T5_mT6_T7_P12ihipStream_tbENKUlT_T0_E_clISt17integral_constantIbLb0EES11_EEDaSW_SX_EUlSW_E_NS1_11comp_targetILNS1_3genE9ELNS1_11target_archE1100ELNS1_3gpuE3ELNS1_3repE0EEENS1_30default_config_static_selectorELNS0_4arch9wavefront6targetE1EEEvT1_
                                        ; -- End function
	.section	.AMDGPU.csdata,"",@progbits
; Kernel info:
; codeLenInByte = 0
; NumSgprs: 6
; NumVgprs: 0
; NumAgprs: 0
; TotalNumVgprs: 0
; ScratchSize: 0
; MemoryBound: 0
; FloatMode: 240
; IeeeMode: 1
; LDSByteSize: 0 bytes/workgroup (compile time only)
; SGPRBlocks: 0
; VGPRBlocks: 0
; NumSGPRsForWavesPerEU: 6
; NumVGPRsForWavesPerEU: 1
; AccumOffset: 4
; Occupancy: 8
; WaveLimiterHint : 0
; COMPUTE_PGM_RSRC2:SCRATCH_EN: 0
; COMPUTE_PGM_RSRC2:USER_SGPR: 2
; COMPUTE_PGM_RSRC2:TRAP_HANDLER: 0
; COMPUTE_PGM_RSRC2:TGID_X_EN: 1
; COMPUTE_PGM_RSRC2:TGID_Y_EN: 0
; COMPUTE_PGM_RSRC2:TGID_Z_EN: 0
; COMPUTE_PGM_RSRC2:TIDIG_COMP_CNT: 0
; COMPUTE_PGM_RSRC3_GFX90A:ACCUM_OFFSET: 0
; COMPUTE_PGM_RSRC3_GFX90A:TG_SPLIT: 0
	.section	.text._ZN7rocprim17ROCPRIM_400000_NS6detail17trampoline_kernelINS0_14default_configENS1_27scan_by_key_config_selectorIidEEZZNS1_16scan_by_key_implILNS1_25lookback_scan_determinismE0ELb1ES3_N6thrust23THRUST_200600_302600_NS6detail15normal_iteratorINS9_10device_ptrIiEEEENSB_INSC_IdEEEESG_dNS9_4plusIvEENS9_8equal_toIvEEdEE10hipError_tPvRmT2_T3_T4_T5_mT6_T7_P12ihipStream_tbENKUlT_T0_E_clISt17integral_constantIbLb0EES11_EEDaSW_SX_EUlSW_E_NS1_11comp_targetILNS1_3genE8ELNS1_11target_archE1030ELNS1_3gpuE2ELNS1_3repE0EEENS1_30default_config_static_selectorELNS0_4arch9wavefront6targetE1EEEvT1_,"axG",@progbits,_ZN7rocprim17ROCPRIM_400000_NS6detail17trampoline_kernelINS0_14default_configENS1_27scan_by_key_config_selectorIidEEZZNS1_16scan_by_key_implILNS1_25lookback_scan_determinismE0ELb1ES3_N6thrust23THRUST_200600_302600_NS6detail15normal_iteratorINS9_10device_ptrIiEEEENSB_INSC_IdEEEESG_dNS9_4plusIvEENS9_8equal_toIvEEdEE10hipError_tPvRmT2_T3_T4_T5_mT6_T7_P12ihipStream_tbENKUlT_T0_E_clISt17integral_constantIbLb0EES11_EEDaSW_SX_EUlSW_E_NS1_11comp_targetILNS1_3genE8ELNS1_11target_archE1030ELNS1_3gpuE2ELNS1_3repE0EEENS1_30default_config_static_selectorELNS0_4arch9wavefront6targetE1EEEvT1_,comdat
	.protected	_ZN7rocprim17ROCPRIM_400000_NS6detail17trampoline_kernelINS0_14default_configENS1_27scan_by_key_config_selectorIidEEZZNS1_16scan_by_key_implILNS1_25lookback_scan_determinismE0ELb1ES3_N6thrust23THRUST_200600_302600_NS6detail15normal_iteratorINS9_10device_ptrIiEEEENSB_INSC_IdEEEESG_dNS9_4plusIvEENS9_8equal_toIvEEdEE10hipError_tPvRmT2_T3_T4_T5_mT6_T7_P12ihipStream_tbENKUlT_T0_E_clISt17integral_constantIbLb0EES11_EEDaSW_SX_EUlSW_E_NS1_11comp_targetILNS1_3genE8ELNS1_11target_archE1030ELNS1_3gpuE2ELNS1_3repE0EEENS1_30default_config_static_selectorELNS0_4arch9wavefront6targetE1EEEvT1_ ; -- Begin function _ZN7rocprim17ROCPRIM_400000_NS6detail17trampoline_kernelINS0_14default_configENS1_27scan_by_key_config_selectorIidEEZZNS1_16scan_by_key_implILNS1_25lookback_scan_determinismE0ELb1ES3_N6thrust23THRUST_200600_302600_NS6detail15normal_iteratorINS9_10device_ptrIiEEEENSB_INSC_IdEEEESG_dNS9_4plusIvEENS9_8equal_toIvEEdEE10hipError_tPvRmT2_T3_T4_T5_mT6_T7_P12ihipStream_tbENKUlT_T0_E_clISt17integral_constantIbLb0EES11_EEDaSW_SX_EUlSW_E_NS1_11comp_targetILNS1_3genE8ELNS1_11target_archE1030ELNS1_3gpuE2ELNS1_3repE0EEENS1_30default_config_static_selectorELNS0_4arch9wavefront6targetE1EEEvT1_
	.globl	_ZN7rocprim17ROCPRIM_400000_NS6detail17trampoline_kernelINS0_14default_configENS1_27scan_by_key_config_selectorIidEEZZNS1_16scan_by_key_implILNS1_25lookback_scan_determinismE0ELb1ES3_N6thrust23THRUST_200600_302600_NS6detail15normal_iteratorINS9_10device_ptrIiEEEENSB_INSC_IdEEEESG_dNS9_4plusIvEENS9_8equal_toIvEEdEE10hipError_tPvRmT2_T3_T4_T5_mT6_T7_P12ihipStream_tbENKUlT_T0_E_clISt17integral_constantIbLb0EES11_EEDaSW_SX_EUlSW_E_NS1_11comp_targetILNS1_3genE8ELNS1_11target_archE1030ELNS1_3gpuE2ELNS1_3repE0EEENS1_30default_config_static_selectorELNS0_4arch9wavefront6targetE1EEEvT1_
	.p2align	8
	.type	_ZN7rocprim17ROCPRIM_400000_NS6detail17trampoline_kernelINS0_14default_configENS1_27scan_by_key_config_selectorIidEEZZNS1_16scan_by_key_implILNS1_25lookback_scan_determinismE0ELb1ES3_N6thrust23THRUST_200600_302600_NS6detail15normal_iteratorINS9_10device_ptrIiEEEENSB_INSC_IdEEEESG_dNS9_4plusIvEENS9_8equal_toIvEEdEE10hipError_tPvRmT2_T3_T4_T5_mT6_T7_P12ihipStream_tbENKUlT_T0_E_clISt17integral_constantIbLb0EES11_EEDaSW_SX_EUlSW_E_NS1_11comp_targetILNS1_3genE8ELNS1_11target_archE1030ELNS1_3gpuE2ELNS1_3repE0EEENS1_30default_config_static_selectorELNS0_4arch9wavefront6targetE1EEEvT1_,@function
_ZN7rocprim17ROCPRIM_400000_NS6detail17trampoline_kernelINS0_14default_configENS1_27scan_by_key_config_selectorIidEEZZNS1_16scan_by_key_implILNS1_25lookback_scan_determinismE0ELb1ES3_N6thrust23THRUST_200600_302600_NS6detail15normal_iteratorINS9_10device_ptrIiEEEENSB_INSC_IdEEEESG_dNS9_4plusIvEENS9_8equal_toIvEEdEE10hipError_tPvRmT2_T3_T4_T5_mT6_T7_P12ihipStream_tbENKUlT_T0_E_clISt17integral_constantIbLb0EES11_EEDaSW_SX_EUlSW_E_NS1_11comp_targetILNS1_3genE8ELNS1_11target_archE1030ELNS1_3gpuE2ELNS1_3repE0EEENS1_30default_config_static_selectorELNS0_4arch9wavefront6targetE1EEEvT1_: ; @_ZN7rocprim17ROCPRIM_400000_NS6detail17trampoline_kernelINS0_14default_configENS1_27scan_by_key_config_selectorIidEEZZNS1_16scan_by_key_implILNS1_25lookback_scan_determinismE0ELb1ES3_N6thrust23THRUST_200600_302600_NS6detail15normal_iteratorINS9_10device_ptrIiEEEENSB_INSC_IdEEEESG_dNS9_4plusIvEENS9_8equal_toIvEEdEE10hipError_tPvRmT2_T3_T4_T5_mT6_T7_P12ihipStream_tbENKUlT_T0_E_clISt17integral_constantIbLb0EES11_EEDaSW_SX_EUlSW_E_NS1_11comp_targetILNS1_3genE8ELNS1_11target_archE1030ELNS1_3gpuE2ELNS1_3repE0EEENS1_30default_config_static_selectorELNS0_4arch9wavefront6targetE1EEEvT1_
; %bb.0:
	.section	.rodata,"a",@progbits
	.p2align	6, 0x0
	.amdhsa_kernel _ZN7rocprim17ROCPRIM_400000_NS6detail17trampoline_kernelINS0_14default_configENS1_27scan_by_key_config_selectorIidEEZZNS1_16scan_by_key_implILNS1_25lookback_scan_determinismE0ELb1ES3_N6thrust23THRUST_200600_302600_NS6detail15normal_iteratorINS9_10device_ptrIiEEEENSB_INSC_IdEEEESG_dNS9_4plusIvEENS9_8equal_toIvEEdEE10hipError_tPvRmT2_T3_T4_T5_mT6_T7_P12ihipStream_tbENKUlT_T0_E_clISt17integral_constantIbLb0EES11_EEDaSW_SX_EUlSW_E_NS1_11comp_targetILNS1_3genE8ELNS1_11target_archE1030ELNS1_3gpuE2ELNS1_3repE0EEENS1_30default_config_static_selectorELNS0_4arch9wavefront6targetE1EEEvT1_
		.amdhsa_group_segment_fixed_size 0
		.amdhsa_private_segment_fixed_size 0
		.amdhsa_kernarg_size 136
		.amdhsa_user_sgpr_count 2
		.amdhsa_user_sgpr_dispatch_ptr 0
		.amdhsa_user_sgpr_queue_ptr 0
		.amdhsa_user_sgpr_kernarg_segment_ptr 1
		.amdhsa_user_sgpr_dispatch_id 0
		.amdhsa_user_sgpr_kernarg_preload_length 0
		.amdhsa_user_sgpr_kernarg_preload_offset 0
		.amdhsa_user_sgpr_private_segment_size 0
		.amdhsa_uses_dynamic_stack 0
		.amdhsa_enable_private_segment 0
		.amdhsa_system_sgpr_workgroup_id_x 1
		.amdhsa_system_sgpr_workgroup_id_y 0
		.amdhsa_system_sgpr_workgroup_id_z 0
		.amdhsa_system_sgpr_workgroup_info 0
		.amdhsa_system_vgpr_workitem_id 0
		.amdhsa_next_free_vgpr 1
		.amdhsa_next_free_sgpr 0
		.amdhsa_accum_offset 4
		.amdhsa_reserve_vcc 0
		.amdhsa_float_round_mode_32 0
		.amdhsa_float_round_mode_16_64 0
		.amdhsa_float_denorm_mode_32 3
		.amdhsa_float_denorm_mode_16_64 3
		.amdhsa_dx10_clamp 1
		.amdhsa_ieee_mode 1
		.amdhsa_fp16_overflow 0
		.amdhsa_tg_split 0
		.amdhsa_exception_fp_ieee_invalid_op 0
		.amdhsa_exception_fp_denorm_src 0
		.amdhsa_exception_fp_ieee_div_zero 0
		.amdhsa_exception_fp_ieee_overflow 0
		.amdhsa_exception_fp_ieee_underflow 0
		.amdhsa_exception_fp_ieee_inexact 0
		.amdhsa_exception_int_div_zero 0
	.end_amdhsa_kernel
	.section	.text._ZN7rocprim17ROCPRIM_400000_NS6detail17trampoline_kernelINS0_14default_configENS1_27scan_by_key_config_selectorIidEEZZNS1_16scan_by_key_implILNS1_25lookback_scan_determinismE0ELb1ES3_N6thrust23THRUST_200600_302600_NS6detail15normal_iteratorINS9_10device_ptrIiEEEENSB_INSC_IdEEEESG_dNS9_4plusIvEENS9_8equal_toIvEEdEE10hipError_tPvRmT2_T3_T4_T5_mT6_T7_P12ihipStream_tbENKUlT_T0_E_clISt17integral_constantIbLb0EES11_EEDaSW_SX_EUlSW_E_NS1_11comp_targetILNS1_3genE8ELNS1_11target_archE1030ELNS1_3gpuE2ELNS1_3repE0EEENS1_30default_config_static_selectorELNS0_4arch9wavefront6targetE1EEEvT1_,"axG",@progbits,_ZN7rocprim17ROCPRIM_400000_NS6detail17trampoline_kernelINS0_14default_configENS1_27scan_by_key_config_selectorIidEEZZNS1_16scan_by_key_implILNS1_25lookback_scan_determinismE0ELb1ES3_N6thrust23THRUST_200600_302600_NS6detail15normal_iteratorINS9_10device_ptrIiEEEENSB_INSC_IdEEEESG_dNS9_4plusIvEENS9_8equal_toIvEEdEE10hipError_tPvRmT2_T3_T4_T5_mT6_T7_P12ihipStream_tbENKUlT_T0_E_clISt17integral_constantIbLb0EES11_EEDaSW_SX_EUlSW_E_NS1_11comp_targetILNS1_3genE8ELNS1_11target_archE1030ELNS1_3gpuE2ELNS1_3repE0EEENS1_30default_config_static_selectorELNS0_4arch9wavefront6targetE1EEEvT1_,comdat
.Lfunc_end1399:
	.size	_ZN7rocprim17ROCPRIM_400000_NS6detail17trampoline_kernelINS0_14default_configENS1_27scan_by_key_config_selectorIidEEZZNS1_16scan_by_key_implILNS1_25lookback_scan_determinismE0ELb1ES3_N6thrust23THRUST_200600_302600_NS6detail15normal_iteratorINS9_10device_ptrIiEEEENSB_INSC_IdEEEESG_dNS9_4plusIvEENS9_8equal_toIvEEdEE10hipError_tPvRmT2_T3_T4_T5_mT6_T7_P12ihipStream_tbENKUlT_T0_E_clISt17integral_constantIbLb0EES11_EEDaSW_SX_EUlSW_E_NS1_11comp_targetILNS1_3genE8ELNS1_11target_archE1030ELNS1_3gpuE2ELNS1_3repE0EEENS1_30default_config_static_selectorELNS0_4arch9wavefront6targetE1EEEvT1_, .Lfunc_end1399-_ZN7rocprim17ROCPRIM_400000_NS6detail17trampoline_kernelINS0_14default_configENS1_27scan_by_key_config_selectorIidEEZZNS1_16scan_by_key_implILNS1_25lookback_scan_determinismE0ELb1ES3_N6thrust23THRUST_200600_302600_NS6detail15normal_iteratorINS9_10device_ptrIiEEEENSB_INSC_IdEEEESG_dNS9_4plusIvEENS9_8equal_toIvEEdEE10hipError_tPvRmT2_T3_T4_T5_mT6_T7_P12ihipStream_tbENKUlT_T0_E_clISt17integral_constantIbLb0EES11_EEDaSW_SX_EUlSW_E_NS1_11comp_targetILNS1_3genE8ELNS1_11target_archE1030ELNS1_3gpuE2ELNS1_3repE0EEENS1_30default_config_static_selectorELNS0_4arch9wavefront6targetE1EEEvT1_
                                        ; -- End function
	.section	.AMDGPU.csdata,"",@progbits
; Kernel info:
; codeLenInByte = 0
; NumSgprs: 6
; NumVgprs: 0
; NumAgprs: 0
; TotalNumVgprs: 0
; ScratchSize: 0
; MemoryBound: 0
; FloatMode: 240
; IeeeMode: 1
; LDSByteSize: 0 bytes/workgroup (compile time only)
; SGPRBlocks: 0
; VGPRBlocks: 0
; NumSGPRsForWavesPerEU: 6
; NumVGPRsForWavesPerEU: 1
; AccumOffset: 4
; Occupancy: 8
; WaveLimiterHint : 0
; COMPUTE_PGM_RSRC2:SCRATCH_EN: 0
; COMPUTE_PGM_RSRC2:USER_SGPR: 2
; COMPUTE_PGM_RSRC2:TRAP_HANDLER: 0
; COMPUTE_PGM_RSRC2:TGID_X_EN: 1
; COMPUTE_PGM_RSRC2:TGID_Y_EN: 0
; COMPUTE_PGM_RSRC2:TGID_Z_EN: 0
; COMPUTE_PGM_RSRC2:TIDIG_COMP_CNT: 0
; COMPUTE_PGM_RSRC3_GFX90A:ACCUM_OFFSET: 0
; COMPUTE_PGM_RSRC3_GFX90A:TG_SPLIT: 0
	.section	.text._ZN7rocprim17ROCPRIM_400000_NS6detail17trampoline_kernelINS0_14default_configENS1_27scan_by_key_config_selectorIidEEZZNS1_16scan_by_key_implILNS1_25lookback_scan_determinismE0ELb1ES3_N6thrust23THRUST_200600_302600_NS6detail15normal_iteratorINS9_10device_ptrIiEEEENSB_INSC_IdEEEESG_dNS9_4plusIvEENS9_8equal_toIvEEdEE10hipError_tPvRmT2_T3_T4_T5_mT6_T7_P12ihipStream_tbENKUlT_T0_E_clISt17integral_constantIbLb1EES11_EEDaSW_SX_EUlSW_E_NS1_11comp_targetILNS1_3genE0ELNS1_11target_archE4294967295ELNS1_3gpuE0ELNS1_3repE0EEENS1_30default_config_static_selectorELNS0_4arch9wavefront6targetE1EEEvT1_,"axG",@progbits,_ZN7rocprim17ROCPRIM_400000_NS6detail17trampoline_kernelINS0_14default_configENS1_27scan_by_key_config_selectorIidEEZZNS1_16scan_by_key_implILNS1_25lookback_scan_determinismE0ELb1ES3_N6thrust23THRUST_200600_302600_NS6detail15normal_iteratorINS9_10device_ptrIiEEEENSB_INSC_IdEEEESG_dNS9_4plusIvEENS9_8equal_toIvEEdEE10hipError_tPvRmT2_T3_T4_T5_mT6_T7_P12ihipStream_tbENKUlT_T0_E_clISt17integral_constantIbLb1EES11_EEDaSW_SX_EUlSW_E_NS1_11comp_targetILNS1_3genE0ELNS1_11target_archE4294967295ELNS1_3gpuE0ELNS1_3repE0EEENS1_30default_config_static_selectorELNS0_4arch9wavefront6targetE1EEEvT1_,comdat
	.protected	_ZN7rocprim17ROCPRIM_400000_NS6detail17trampoline_kernelINS0_14default_configENS1_27scan_by_key_config_selectorIidEEZZNS1_16scan_by_key_implILNS1_25lookback_scan_determinismE0ELb1ES3_N6thrust23THRUST_200600_302600_NS6detail15normal_iteratorINS9_10device_ptrIiEEEENSB_INSC_IdEEEESG_dNS9_4plusIvEENS9_8equal_toIvEEdEE10hipError_tPvRmT2_T3_T4_T5_mT6_T7_P12ihipStream_tbENKUlT_T0_E_clISt17integral_constantIbLb1EES11_EEDaSW_SX_EUlSW_E_NS1_11comp_targetILNS1_3genE0ELNS1_11target_archE4294967295ELNS1_3gpuE0ELNS1_3repE0EEENS1_30default_config_static_selectorELNS0_4arch9wavefront6targetE1EEEvT1_ ; -- Begin function _ZN7rocprim17ROCPRIM_400000_NS6detail17trampoline_kernelINS0_14default_configENS1_27scan_by_key_config_selectorIidEEZZNS1_16scan_by_key_implILNS1_25lookback_scan_determinismE0ELb1ES3_N6thrust23THRUST_200600_302600_NS6detail15normal_iteratorINS9_10device_ptrIiEEEENSB_INSC_IdEEEESG_dNS9_4plusIvEENS9_8equal_toIvEEdEE10hipError_tPvRmT2_T3_T4_T5_mT6_T7_P12ihipStream_tbENKUlT_T0_E_clISt17integral_constantIbLb1EES11_EEDaSW_SX_EUlSW_E_NS1_11comp_targetILNS1_3genE0ELNS1_11target_archE4294967295ELNS1_3gpuE0ELNS1_3repE0EEENS1_30default_config_static_selectorELNS0_4arch9wavefront6targetE1EEEvT1_
	.globl	_ZN7rocprim17ROCPRIM_400000_NS6detail17trampoline_kernelINS0_14default_configENS1_27scan_by_key_config_selectorIidEEZZNS1_16scan_by_key_implILNS1_25lookback_scan_determinismE0ELb1ES3_N6thrust23THRUST_200600_302600_NS6detail15normal_iteratorINS9_10device_ptrIiEEEENSB_INSC_IdEEEESG_dNS9_4plusIvEENS9_8equal_toIvEEdEE10hipError_tPvRmT2_T3_T4_T5_mT6_T7_P12ihipStream_tbENKUlT_T0_E_clISt17integral_constantIbLb1EES11_EEDaSW_SX_EUlSW_E_NS1_11comp_targetILNS1_3genE0ELNS1_11target_archE4294967295ELNS1_3gpuE0ELNS1_3repE0EEENS1_30default_config_static_selectorELNS0_4arch9wavefront6targetE1EEEvT1_
	.p2align	8
	.type	_ZN7rocprim17ROCPRIM_400000_NS6detail17trampoline_kernelINS0_14default_configENS1_27scan_by_key_config_selectorIidEEZZNS1_16scan_by_key_implILNS1_25lookback_scan_determinismE0ELb1ES3_N6thrust23THRUST_200600_302600_NS6detail15normal_iteratorINS9_10device_ptrIiEEEENSB_INSC_IdEEEESG_dNS9_4plusIvEENS9_8equal_toIvEEdEE10hipError_tPvRmT2_T3_T4_T5_mT6_T7_P12ihipStream_tbENKUlT_T0_E_clISt17integral_constantIbLb1EES11_EEDaSW_SX_EUlSW_E_NS1_11comp_targetILNS1_3genE0ELNS1_11target_archE4294967295ELNS1_3gpuE0ELNS1_3repE0EEENS1_30default_config_static_selectorELNS0_4arch9wavefront6targetE1EEEvT1_,@function
_ZN7rocprim17ROCPRIM_400000_NS6detail17trampoline_kernelINS0_14default_configENS1_27scan_by_key_config_selectorIidEEZZNS1_16scan_by_key_implILNS1_25lookback_scan_determinismE0ELb1ES3_N6thrust23THRUST_200600_302600_NS6detail15normal_iteratorINS9_10device_ptrIiEEEENSB_INSC_IdEEEESG_dNS9_4plusIvEENS9_8equal_toIvEEdEE10hipError_tPvRmT2_T3_T4_T5_mT6_T7_P12ihipStream_tbENKUlT_T0_E_clISt17integral_constantIbLb1EES11_EEDaSW_SX_EUlSW_E_NS1_11comp_targetILNS1_3genE0ELNS1_11target_archE4294967295ELNS1_3gpuE0ELNS1_3repE0EEENS1_30default_config_static_selectorELNS0_4arch9wavefront6targetE1EEEvT1_: ; @_ZN7rocprim17ROCPRIM_400000_NS6detail17trampoline_kernelINS0_14default_configENS1_27scan_by_key_config_selectorIidEEZZNS1_16scan_by_key_implILNS1_25lookback_scan_determinismE0ELb1ES3_N6thrust23THRUST_200600_302600_NS6detail15normal_iteratorINS9_10device_ptrIiEEEENSB_INSC_IdEEEESG_dNS9_4plusIvEENS9_8equal_toIvEEdEE10hipError_tPvRmT2_T3_T4_T5_mT6_T7_P12ihipStream_tbENKUlT_T0_E_clISt17integral_constantIbLb1EES11_EEDaSW_SX_EUlSW_E_NS1_11comp_targetILNS1_3genE0ELNS1_11target_archE4294967295ELNS1_3gpuE0ELNS1_3repE0EEENS1_30default_config_static_selectorELNS0_4arch9wavefront6targetE1EEEvT1_
; %bb.0:
	.section	.rodata,"a",@progbits
	.p2align	6, 0x0
	.amdhsa_kernel _ZN7rocprim17ROCPRIM_400000_NS6detail17trampoline_kernelINS0_14default_configENS1_27scan_by_key_config_selectorIidEEZZNS1_16scan_by_key_implILNS1_25lookback_scan_determinismE0ELb1ES3_N6thrust23THRUST_200600_302600_NS6detail15normal_iteratorINS9_10device_ptrIiEEEENSB_INSC_IdEEEESG_dNS9_4plusIvEENS9_8equal_toIvEEdEE10hipError_tPvRmT2_T3_T4_T5_mT6_T7_P12ihipStream_tbENKUlT_T0_E_clISt17integral_constantIbLb1EES11_EEDaSW_SX_EUlSW_E_NS1_11comp_targetILNS1_3genE0ELNS1_11target_archE4294967295ELNS1_3gpuE0ELNS1_3repE0EEENS1_30default_config_static_selectorELNS0_4arch9wavefront6targetE1EEEvT1_
		.amdhsa_group_segment_fixed_size 0
		.amdhsa_private_segment_fixed_size 0
		.amdhsa_kernarg_size 136
		.amdhsa_user_sgpr_count 2
		.amdhsa_user_sgpr_dispatch_ptr 0
		.amdhsa_user_sgpr_queue_ptr 0
		.amdhsa_user_sgpr_kernarg_segment_ptr 1
		.amdhsa_user_sgpr_dispatch_id 0
		.amdhsa_user_sgpr_kernarg_preload_length 0
		.amdhsa_user_sgpr_kernarg_preload_offset 0
		.amdhsa_user_sgpr_private_segment_size 0
		.amdhsa_uses_dynamic_stack 0
		.amdhsa_enable_private_segment 0
		.amdhsa_system_sgpr_workgroup_id_x 1
		.amdhsa_system_sgpr_workgroup_id_y 0
		.amdhsa_system_sgpr_workgroup_id_z 0
		.amdhsa_system_sgpr_workgroup_info 0
		.amdhsa_system_vgpr_workitem_id 0
		.amdhsa_next_free_vgpr 1
		.amdhsa_next_free_sgpr 0
		.amdhsa_accum_offset 4
		.amdhsa_reserve_vcc 0
		.amdhsa_float_round_mode_32 0
		.amdhsa_float_round_mode_16_64 0
		.amdhsa_float_denorm_mode_32 3
		.amdhsa_float_denorm_mode_16_64 3
		.amdhsa_dx10_clamp 1
		.amdhsa_ieee_mode 1
		.amdhsa_fp16_overflow 0
		.amdhsa_tg_split 0
		.amdhsa_exception_fp_ieee_invalid_op 0
		.amdhsa_exception_fp_denorm_src 0
		.amdhsa_exception_fp_ieee_div_zero 0
		.amdhsa_exception_fp_ieee_overflow 0
		.amdhsa_exception_fp_ieee_underflow 0
		.amdhsa_exception_fp_ieee_inexact 0
		.amdhsa_exception_int_div_zero 0
	.end_amdhsa_kernel
	.section	.text._ZN7rocprim17ROCPRIM_400000_NS6detail17trampoline_kernelINS0_14default_configENS1_27scan_by_key_config_selectorIidEEZZNS1_16scan_by_key_implILNS1_25lookback_scan_determinismE0ELb1ES3_N6thrust23THRUST_200600_302600_NS6detail15normal_iteratorINS9_10device_ptrIiEEEENSB_INSC_IdEEEESG_dNS9_4plusIvEENS9_8equal_toIvEEdEE10hipError_tPvRmT2_T3_T4_T5_mT6_T7_P12ihipStream_tbENKUlT_T0_E_clISt17integral_constantIbLb1EES11_EEDaSW_SX_EUlSW_E_NS1_11comp_targetILNS1_3genE0ELNS1_11target_archE4294967295ELNS1_3gpuE0ELNS1_3repE0EEENS1_30default_config_static_selectorELNS0_4arch9wavefront6targetE1EEEvT1_,"axG",@progbits,_ZN7rocprim17ROCPRIM_400000_NS6detail17trampoline_kernelINS0_14default_configENS1_27scan_by_key_config_selectorIidEEZZNS1_16scan_by_key_implILNS1_25lookback_scan_determinismE0ELb1ES3_N6thrust23THRUST_200600_302600_NS6detail15normal_iteratorINS9_10device_ptrIiEEEENSB_INSC_IdEEEESG_dNS9_4plusIvEENS9_8equal_toIvEEdEE10hipError_tPvRmT2_T3_T4_T5_mT6_T7_P12ihipStream_tbENKUlT_T0_E_clISt17integral_constantIbLb1EES11_EEDaSW_SX_EUlSW_E_NS1_11comp_targetILNS1_3genE0ELNS1_11target_archE4294967295ELNS1_3gpuE0ELNS1_3repE0EEENS1_30default_config_static_selectorELNS0_4arch9wavefront6targetE1EEEvT1_,comdat
.Lfunc_end1400:
	.size	_ZN7rocprim17ROCPRIM_400000_NS6detail17trampoline_kernelINS0_14default_configENS1_27scan_by_key_config_selectorIidEEZZNS1_16scan_by_key_implILNS1_25lookback_scan_determinismE0ELb1ES3_N6thrust23THRUST_200600_302600_NS6detail15normal_iteratorINS9_10device_ptrIiEEEENSB_INSC_IdEEEESG_dNS9_4plusIvEENS9_8equal_toIvEEdEE10hipError_tPvRmT2_T3_T4_T5_mT6_T7_P12ihipStream_tbENKUlT_T0_E_clISt17integral_constantIbLb1EES11_EEDaSW_SX_EUlSW_E_NS1_11comp_targetILNS1_3genE0ELNS1_11target_archE4294967295ELNS1_3gpuE0ELNS1_3repE0EEENS1_30default_config_static_selectorELNS0_4arch9wavefront6targetE1EEEvT1_, .Lfunc_end1400-_ZN7rocprim17ROCPRIM_400000_NS6detail17trampoline_kernelINS0_14default_configENS1_27scan_by_key_config_selectorIidEEZZNS1_16scan_by_key_implILNS1_25lookback_scan_determinismE0ELb1ES3_N6thrust23THRUST_200600_302600_NS6detail15normal_iteratorINS9_10device_ptrIiEEEENSB_INSC_IdEEEESG_dNS9_4plusIvEENS9_8equal_toIvEEdEE10hipError_tPvRmT2_T3_T4_T5_mT6_T7_P12ihipStream_tbENKUlT_T0_E_clISt17integral_constantIbLb1EES11_EEDaSW_SX_EUlSW_E_NS1_11comp_targetILNS1_3genE0ELNS1_11target_archE4294967295ELNS1_3gpuE0ELNS1_3repE0EEENS1_30default_config_static_selectorELNS0_4arch9wavefront6targetE1EEEvT1_
                                        ; -- End function
	.section	.AMDGPU.csdata,"",@progbits
; Kernel info:
; codeLenInByte = 0
; NumSgprs: 6
; NumVgprs: 0
; NumAgprs: 0
; TotalNumVgprs: 0
; ScratchSize: 0
; MemoryBound: 0
; FloatMode: 240
; IeeeMode: 1
; LDSByteSize: 0 bytes/workgroup (compile time only)
; SGPRBlocks: 0
; VGPRBlocks: 0
; NumSGPRsForWavesPerEU: 6
; NumVGPRsForWavesPerEU: 1
; AccumOffset: 4
; Occupancy: 8
; WaveLimiterHint : 0
; COMPUTE_PGM_RSRC2:SCRATCH_EN: 0
; COMPUTE_PGM_RSRC2:USER_SGPR: 2
; COMPUTE_PGM_RSRC2:TRAP_HANDLER: 0
; COMPUTE_PGM_RSRC2:TGID_X_EN: 1
; COMPUTE_PGM_RSRC2:TGID_Y_EN: 0
; COMPUTE_PGM_RSRC2:TGID_Z_EN: 0
; COMPUTE_PGM_RSRC2:TIDIG_COMP_CNT: 0
; COMPUTE_PGM_RSRC3_GFX90A:ACCUM_OFFSET: 0
; COMPUTE_PGM_RSRC3_GFX90A:TG_SPLIT: 0
	.section	.text._ZN7rocprim17ROCPRIM_400000_NS6detail17trampoline_kernelINS0_14default_configENS1_27scan_by_key_config_selectorIidEEZZNS1_16scan_by_key_implILNS1_25lookback_scan_determinismE0ELb1ES3_N6thrust23THRUST_200600_302600_NS6detail15normal_iteratorINS9_10device_ptrIiEEEENSB_INSC_IdEEEESG_dNS9_4plusIvEENS9_8equal_toIvEEdEE10hipError_tPvRmT2_T3_T4_T5_mT6_T7_P12ihipStream_tbENKUlT_T0_E_clISt17integral_constantIbLb1EES11_EEDaSW_SX_EUlSW_E_NS1_11comp_targetILNS1_3genE10ELNS1_11target_archE1201ELNS1_3gpuE5ELNS1_3repE0EEENS1_30default_config_static_selectorELNS0_4arch9wavefront6targetE1EEEvT1_,"axG",@progbits,_ZN7rocprim17ROCPRIM_400000_NS6detail17trampoline_kernelINS0_14default_configENS1_27scan_by_key_config_selectorIidEEZZNS1_16scan_by_key_implILNS1_25lookback_scan_determinismE0ELb1ES3_N6thrust23THRUST_200600_302600_NS6detail15normal_iteratorINS9_10device_ptrIiEEEENSB_INSC_IdEEEESG_dNS9_4plusIvEENS9_8equal_toIvEEdEE10hipError_tPvRmT2_T3_T4_T5_mT6_T7_P12ihipStream_tbENKUlT_T0_E_clISt17integral_constantIbLb1EES11_EEDaSW_SX_EUlSW_E_NS1_11comp_targetILNS1_3genE10ELNS1_11target_archE1201ELNS1_3gpuE5ELNS1_3repE0EEENS1_30default_config_static_selectorELNS0_4arch9wavefront6targetE1EEEvT1_,comdat
	.protected	_ZN7rocprim17ROCPRIM_400000_NS6detail17trampoline_kernelINS0_14default_configENS1_27scan_by_key_config_selectorIidEEZZNS1_16scan_by_key_implILNS1_25lookback_scan_determinismE0ELb1ES3_N6thrust23THRUST_200600_302600_NS6detail15normal_iteratorINS9_10device_ptrIiEEEENSB_INSC_IdEEEESG_dNS9_4plusIvEENS9_8equal_toIvEEdEE10hipError_tPvRmT2_T3_T4_T5_mT6_T7_P12ihipStream_tbENKUlT_T0_E_clISt17integral_constantIbLb1EES11_EEDaSW_SX_EUlSW_E_NS1_11comp_targetILNS1_3genE10ELNS1_11target_archE1201ELNS1_3gpuE5ELNS1_3repE0EEENS1_30default_config_static_selectorELNS0_4arch9wavefront6targetE1EEEvT1_ ; -- Begin function _ZN7rocprim17ROCPRIM_400000_NS6detail17trampoline_kernelINS0_14default_configENS1_27scan_by_key_config_selectorIidEEZZNS1_16scan_by_key_implILNS1_25lookback_scan_determinismE0ELb1ES3_N6thrust23THRUST_200600_302600_NS6detail15normal_iteratorINS9_10device_ptrIiEEEENSB_INSC_IdEEEESG_dNS9_4plusIvEENS9_8equal_toIvEEdEE10hipError_tPvRmT2_T3_T4_T5_mT6_T7_P12ihipStream_tbENKUlT_T0_E_clISt17integral_constantIbLb1EES11_EEDaSW_SX_EUlSW_E_NS1_11comp_targetILNS1_3genE10ELNS1_11target_archE1201ELNS1_3gpuE5ELNS1_3repE0EEENS1_30default_config_static_selectorELNS0_4arch9wavefront6targetE1EEEvT1_
	.globl	_ZN7rocprim17ROCPRIM_400000_NS6detail17trampoline_kernelINS0_14default_configENS1_27scan_by_key_config_selectorIidEEZZNS1_16scan_by_key_implILNS1_25lookback_scan_determinismE0ELb1ES3_N6thrust23THRUST_200600_302600_NS6detail15normal_iteratorINS9_10device_ptrIiEEEENSB_INSC_IdEEEESG_dNS9_4plusIvEENS9_8equal_toIvEEdEE10hipError_tPvRmT2_T3_T4_T5_mT6_T7_P12ihipStream_tbENKUlT_T0_E_clISt17integral_constantIbLb1EES11_EEDaSW_SX_EUlSW_E_NS1_11comp_targetILNS1_3genE10ELNS1_11target_archE1201ELNS1_3gpuE5ELNS1_3repE0EEENS1_30default_config_static_selectorELNS0_4arch9wavefront6targetE1EEEvT1_
	.p2align	8
	.type	_ZN7rocprim17ROCPRIM_400000_NS6detail17trampoline_kernelINS0_14default_configENS1_27scan_by_key_config_selectorIidEEZZNS1_16scan_by_key_implILNS1_25lookback_scan_determinismE0ELb1ES3_N6thrust23THRUST_200600_302600_NS6detail15normal_iteratorINS9_10device_ptrIiEEEENSB_INSC_IdEEEESG_dNS9_4plusIvEENS9_8equal_toIvEEdEE10hipError_tPvRmT2_T3_T4_T5_mT6_T7_P12ihipStream_tbENKUlT_T0_E_clISt17integral_constantIbLb1EES11_EEDaSW_SX_EUlSW_E_NS1_11comp_targetILNS1_3genE10ELNS1_11target_archE1201ELNS1_3gpuE5ELNS1_3repE0EEENS1_30default_config_static_selectorELNS0_4arch9wavefront6targetE1EEEvT1_,@function
_ZN7rocprim17ROCPRIM_400000_NS6detail17trampoline_kernelINS0_14default_configENS1_27scan_by_key_config_selectorIidEEZZNS1_16scan_by_key_implILNS1_25lookback_scan_determinismE0ELb1ES3_N6thrust23THRUST_200600_302600_NS6detail15normal_iteratorINS9_10device_ptrIiEEEENSB_INSC_IdEEEESG_dNS9_4plusIvEENS9_8equal_toIvEEdEE10hipError_tPvRmT2_T3_T4_T5_mT6_T7_P12ihipStream_tbENKUlT_T0_E_clISt17integral_constantIbLb1EES11_EEDaSW_SX_EUlSW_E_NS1_11comp_targetILNS1_3genE10ELNS1_11target_archE1201ELNS1_3gpuE5ELNS1_3repE0EEENS1_30default_config_static_selectorELNS0_4arch9wavefront6targetE1EEEvT1_: ; @_ZN7rocprim17ROCPRIM_400000_NS6detail17trampoline_kernelINS0_14default_configENS1_27scan_by_key_config_selectorIidEEZZNS1_16scan_by_key_implILNS1_25lookback_scan_determinismE0ELb1ES3_N6thrust23THRUST_200600_302600_NS6detail15normal_iteratorINS9_10device_ptrIiEEEENSB_INSC_IdEEEESG_dNS9_4plusIvEENS9_8equal_toIvEEdEE10hipError_tPvRmT2_T3_T4_T5_mT6_T7_P12ihipStream_tbENKUlT_T0_E_clISt17integral_constantIbLb1EES11_EEDaSW_SX_EUlSW_E_NS1_11comp_targetILNS1_3genE10ELNS1_11target_archE1201ELNS1_3gpuE5ELNS1_3repE0EEENS1_30default_config_static_selectorELNS0_4arch9wavefront6targetE1EEEvT1_
; %bb.0:
	.section	.rodata,"a",@progbits
	.p2align	6, 0x0
	.amdhsa_kernel _ZN7rocprim17ROCPRIM_400000_NS6detail17trampoline_kernelINS0_14default_configENS1_27scan_by_key_config_selectorIidEEZZNS1_16scan_by_key_implILNS1_25lookback_scan_determinismE0ELb1ES3_N6thrust23THRUST_200600_302600_NS6detail15normal_iteratorINS9_10device_ptrIiEEEENSB_INSC_IdEEEESG_dNS9_4plusIvEENS9_8equal_toIvEEdEE10hipError_tPvRmT2_T3_T4_T5_mT6_T7_P12ihipStream_tbENKUlT_T0_E_clISt17integral_constantIbLb1EES11_EEDaSW_SX_EUlSW_E_NS1_11comp_targetILNS1_3genE10ELNS1_11target_archE1201ELNS1_3gpuE5ELNS1_3repE0EEENS1_30default_config_static_selectorELNS0_4arch9wavefront6targetE1EEEvT1_
		.amdhsa_group_segment_fixed_size 0
		.amdhsa_private_segment_fixed_size 0
		.amdhsa_kernarg_size 136
		.amdhsa_user_sgpr_count 2
		.amdhsa_user_sgpr_dispatch_ptr 0
		.amdhsa_user_sgpr_queue_ptr 0
		.amdhsa_user_sgpr_kernarg_segment_ptr 1
		.amdhsa_user_sgpr_dispatch_id 0
		.amdhsa_user_sgpr_kernarg_preload_length 0
		.amdhsa_user_sgpr_kernarg_preload_offset 0
		.amdhsa_user_sgpr_private_segment_size 0
		.amdhsa_uses_dynamic_stack 0
		.amdhsa_enable_private_segment 0
		.amdhsa_system_sgpr_workgroup_id_x 1
		.amdhsa_system_sgpr_workgroup_id_y 0
		.amdhsa_system_sgpr_workgroup_id_z 0
		.amdhsa_system_sgpr_workgroup_info 0
		.amdhsa_system_vgpr_workitem_id 0
		.amdhsa_next_free_vgpr 1
		.amdhsa_next_free_sgpr 0
		.amdhsa_accum_offset 4
		.amdhsa_reserve_vcc 0
		.amdhsa_float_round_mode_32 0
		.amdhsa_float_round_mode_16_64 0
		.amdhsa_float_denorm_mode_32 3
		.amdhsa_float_denorm_mode_16_64 3
		.amdhsa_dx10_clamp 1
		.amdhsa_ieee_mode 1
		.amdhsa_fp16_overflow 0
		.amdhsa_tg_split 0
		.amdhsa_exception_fp_ieee_invalid_op 0
		.amdhsa_exception_fp_denorm_src 0
		.amdhsa_exception_fp_ieee_div_zero 0
		.amdhsa_exception_fp_ieee_overflow 0
		.amdhsa_exception_fp_ieee_underflow 0
		.amdhsa_exception_fp_ieee_inexact 0
		.amdhsa_exception_int_div_zero 0
	.end_amdhsa_kernel
	.section	.text._ZN7rocprim17ROCPRIM_400000_NS6detail17trampoline_kernelINS0_14default_configENS1_27scan_by_key_config_selectorIidEEZZNS1_16scan_by_key_implILNS1_25lookback_scan_determinismE0ELb1ES3_N6thrust23THRUST_200600_302600_NS6detail15normal_iteratorINS9_10device_ptrIiEEEENSB_INSC_IdEEEESG_dNS9_4plusIvEENS9_8equal_toIvEEdEE10hipError_tPvRmT2_T3_T4_T5_mT6_T7_P12ihipStream_tbENKUlT_T0_E_clISt17integral_constantIbLb1EES11_EEDaSW_SX_EUlSW_E_NS1_11comp_targetILNS1_3genE10ELNS1_11target_archE1201ELNS1_3gpuE5ELNS1_3repE0EEENS1_30default_config_static_selectorELNS0_4arch9wavefront6targetE1EEEvT1_,"axG",@progbits,_ZN7rocprim17ROCPRIM_400000_NS6detail17trampoline_kernelINS0_14default_configENS1_27scan_by_key_config_selectorIidEEZZNS1_16scan_by_key_implILNS1_25lookback_scan_determinismE0ELb1ES3_N6thrust23THRUST_200600_302600_NS6detail15normal_iteratorINS9_10device_ptrIiEEEENSB_INSC_IdEEEESG_dNS9_4plusIvEENS9_8equal_toIvEEdEE10hipError_tPvRmT2_T3_T4_T5_mT6_T7_P12ihipStream_tbENKUlT_T0_E_clISt17integral_constantIbLb1EES11_EEDaSW_SX_EUlSW_E_NS1_11comp_targetILNS1_3genE10ELNS1_11target_archE1201ELNS1_3gpuE5ELNS1_3repE0EEENS1_30default_config_static_selectorELNS0_4arch9wavefront6targetE1EEEvT1_,comdat
.Lfunc_end1401:
	.size	_ZN7rocprim17ROCPRIM_400000_NS6detail17trampoline_kernelINS0_14default_configENS1_27scan_by_key_config_selectorIidEEZZNS1_16scan_by_key_implILNS1_25lookback_scan_determinismE0ELb1ES3_N6thrust23THRUST_200600_302600_NS6detail15normal_iteratorINS9_10device_ptrIiEEEENSB_INSC_IdEEEESG_dNS9_4plusIvEENS9_8equal_toIvEEdEE10hipError_tPvRmT2_T3_T4_T5_mT6_T7_P12ihipStream_tbENKUlT_T0_E_clISt17integral_constantIbLb1EES11_EEDaSW_SX_EUlSW_E_NS1_11comp_targetILNS1_3genE10ELNS1_11target_archE1201ELNS1_3gpuE5ELNS1_3repE0EEENS1_30default_config_static_selectorELNS0_4arch9wavefront6targetE1EEEvT1_, .Lfunc_end1401-_ZN7rocprim17ROCPRIM_400000_NS6detail17trampoline_kernelINS0_14default_configENS1_27scan_by_key_config_selectorIidEEZZNS1_16scan_by_key_implILNS1_25lookback_scan_determinismE0ELb1ES3_N6thrust23THRUST_200600_302600_NS6detail15normal_iteratorINS9_10device_ptrIiEEEENSB_INSC_IdEEEESG_dNS9_4plusIvEENS9_8equal_toIvEEdEE10hipError_tPvRmT2_T3_T4_T5_mT6_T7_P12ihipStream_tbENKUlT_T0_E_clISt17integral_constantIbLb1EES11_EEDaSW_SX_EUlSW_E_NS1_11comp_targetILNS1_3genE10ELNS1_11target_archE1201ELNS1_3gpuE5ELNS1_3repE0EEENS1_30default_config_static_selectorELNS0_4arch9wavefront6targetE1EEEvT1_
                                        ; -- End function
	.section	.AMDGPU.csdata,"",@progbits
; Kernel info:
; codeLenInByte = 0
; NumSgprs: 6
; NumVgprs: 0
; NumAgprs: 0
; TotalNumVgprs: 0
; ScratchSize: 0
; MemoryBound: 0
; FloatMode: 240
; IeeeMode: 1
; LDSByteSize: 0 bytes/workgroup (compile time only)
; SGPRBlocks: 0
; VGPRBlocks: 0
; NumSGPRsForWavesPerEU: 6
; NumVGPRsForWavesPerEU: 1
; AccumOffset: 4
; Occupancy: 8
; WaveLimiterHint : 0
; COMPUTE_PGM_RSRC2:SCRATCH_EN: 0
; COMPUTE_PGM_RSRC2:USER_SGPR: 2
; COMPUTE_PGM_RSRC2:TRAP_HANDLER: 0
; COMPUTE_PGM_RSRC2:TGID_X_EN: 1
; COMPUTE_PGM_RSRC2:TGID_Y_EN: 0
; COMPUTE_PGM_RSRC2:TGID_Z_EN: 0
; COMPUTE_PGM_RSRC2:TIDIG_COMP_CNT: 0
; COMPUTE_PGM_RSRC3_GFX90A:ACCUM_OFFSET: 0
; COMPUTE_PGM_RSRC3_GFX90A:TG_SPLIT: 0
	.section	.text._ZN7rocprim17ROCPRIM_400000_NS6detail17trampoline_kernelINS0_14default_configENS1_27scan_by_key_config_selectorIidEEZZNS1_16scan_by_key_implILNS1_25lookback_scan_determinismE0ELb1ES3_N6thrust23THRUST_200600_302600_NS6detail15normal_iteratorINS9_10device_ptrIiEEEENSB_INSC_IdEEEESG_dNS9_4plusIvEENS9_8equal_toIvEEdEE10hipError_tPvRmT2_T3_T4_T5_mT6_T7_P12ihipStream_tbENKUlT_T0_E_clISt17integral_constantIbLb1EES11_EEDaSW_SX_EUlSW_E_NS1_11comp_targetILNS1_3genE5ELNS1_11target_archE942ELNS1_3gpuE9ELNS1_3repE0EEENS1_30default_config_static_selectorELNS0_4arch9wavefront6targetE1EEEvT1_,"axG",@progbits,_ZN7rocprim17ROCPRIM_400000_NS6detail17trampoline_kernelINS0_14default_configENS1_27scan_by_key_config_selectorIidEEZZNS1_16scan_by_key_implILNS1_25lookback_scan_determinismE0ELb1ES3_N6thrust23THRUST_200600_302600_NS6detail15normal_iteratorINS9_10device_ptrIiEEEENSB_INSC_IdEEEESG_dNS9_4plusIvEENS9_8equal_toIvEEdEE10hipError_tPvRmT2_T3_T4_T5_mT6_T7_P12ihipStream_tbENKUlT_T0_E_clISt17integral_constantIbLb1EES11_EEDaSW_SX_EUlSW_E_NS1_11comp_targetILNS1_3genE5ELNS1_11target_archE942ELNS1_3gpuE9ELNS1_3repE0EEENS1_30default_config_static_selectorELNS0_4arch9wavefront6targetE1EEEvT1_,comdat
	.protected	_ZN7rocprim17ROCPRIM_400000_NS6detail17trampoline_kernelINS0_14default_configENS1_27scan_by_key_config_selectorIidEEZZNS1_16scan_by_key_implILNS1_25lookback_scan_determinismE0ELb1ES3_N6thrust23THRUST_200600_302600_NS6detail15normal_iteratorINS9_10device_ptrIiEEEENSB_INSC_IdEEEESG_dNS9_4plusIvEENS9_8equal_toIvEEdEE10hipError_tPvRmT2_T3_T4_T5_mT6_T7_P12ihipStream_tbENKUlT_T0_E_clISt17integral_constantIbLb1EES11_EEDaSW_SX_EUlSW_E_NS1_11comp_targetILNS1_3genE5ELNS1_11target_archE942ELNS1_3gpuE9ELNS1_3repE0EEENS1_30default_config_static_selectorELNS0_4arch9wavefront6targetE1EEEvT1_ ; -- Begin function _ZN7rocprim17ROCPRIM_400000_NS6detail17trampoline_kernelINS0_14default_configENS1_27scan_by_key_config_selectorIidEEZZNS1_16scan_by_key_implILNS1_25lookback_scan_determinismE0ELb1ES3_N6thrust23THRUST_200600_302600_NS6detail15normal_iteratorINS9_10device_ptrIiEEEENSB_INSC_IdEEEESG_dNS9_4plusIvEENS9_8equal_toIvEEdEE10hipError_tPvRmT2_T3_T4_T5_mT6_T7_P12ihipStream_tbENKUlT_T0_E_clISt17integral_constantIbLb1EES11_EEDaSW_SX_EUlSW_E_NS1_11comp_targetILNS1_3genE5ELNS1_11target_archE942ELNS1_3gpuE9ELNS1_3repE0EEENS1_30default_config_static_selectorELNS0_4arch9wavefront6targetE1EEEvT1_
	.globl	_ZN7rocprim17ROCPRIM_400000_NS6detail17trampoline_kernelINS0_14default_configENS1_27scan_by_key_config_selectorIidEEZZNS1_16scan_by_key_implILNS1_25lookback_scan_determinismE0ELb1ES3_N6thrust23THRUST_200600_302600_NS6detail15normal_iteratorINS9_10device_ptrIiEEEENSB_INSC_IdEEEESG_dNS9_4plusIvEENS9_8equal_toIvEEdEE10hipError_tPvRmT2_T3_T4_T5_mT6_T7_P12ihipStream_tbENKUlT_T0_E_clISt17integral_constantIbLb1EES11_EEDaSW_SX_EUlSW_E_NS1_11comp_targetILNS1_3genE5ELNS1_11target_archE942ELNS1_3gpuE9ELNS1_3repE0EEENS1_30default_config_static_selectorELNS0_4arch9wavefront6targetE1EEEvT1_
	.p2align	8
	.type	_ZN7rocprim17ROCPRIM_400000_NS6detail17trampoline_kernelINS0_14default_configENS1_27scan_by_key_config_selectorIidEEZZNS1_16scan_by_key_implILNS1_25lookback_scan_determinismE0ELb1ES3_N6thrust23THRUST_200600_302600_NS6detail15normal_iteratorINS9_10device_ptrIiEEEENSB_INSC_IdEEEESG_dNS9_4plusIvEENS9_8equal_toIvEEdEE10hipError_tPvRmT2_T3_T4_T5_mT6_T7_P12ihipStream_tbENKUlT_T0_E_clISt17integral_constantIbLb1EES11_EEDaSW_SX_EUlSW_E_NS1_11comp_targetILNS1_3genE5ELNS1_11target_archE942ELNS1_3gpuE9ELNS1_3repE0EEENS1_30default_config_static_selectorELNS0_4arch9wavefront6targetE1EEEvT1_,@function
_ZN7rocprim17ROCPRIM_400000_NS6detail17trampoline_kernelINS0_14default_configENS1_27scan_by_key_config_selectorIidEEZZNS1_16scan_by_key_implILNS1_25lookback_scan_determinismE0ELb1ES3_N6thrust23THRUST_200600_302600_NS6detail15normal_iteratorINS9_10device_ptrIiEEEENSB_INSC_IdEEEESG_dNS9_4plusIvEENS9_8equal_toIvEEdEE10hipError_tPvRmT2_T3_T4_T5_mT6_T7_P12ihipStream_tbENKUlT_T0_E_clISt17integral_constantIbLb1EES11_EEDaSW_SX_EUlSW_E_NS1_11comp_targetILNS1_3genE5ELNS1_11target_archE942ELNS1_3gpuE9ELNS1_3repE0EEENS1_30default_config_static_selectorELNS0_4arch9wavefront6targetE1EEEvT1_: ; @_ZN7rocprim17ROCPRIM_400000_NS6detail17trampoline_kernelINS0_14default_configENS1_27scan_by_key_config_selectorIidEEZZNS1_16scan_by_key_implILNS1_25lookback_scan_determinismE0ELb1ES3_N6thrust23THRUST_200600_302600_NS6detail15normal_iteratorINS9_10device_ptrIiEEEENSB_INSC_IdEEEESG_dNS9_4plusIvEENS9_8equal_toIvEEdEE10hipError_tPvRmT2_T3_T4_T5_mT6_T7_P12ihipStream_tbENKUlT_T0_E_clISt17integral_constantIbLb1EES11_EEDaSW_SX_EUlSW_E_NS1_11comp_targetILNS1_3genE5ELNS1_11target_archE942ELNS1_3gpuE9ELNS1_3repE0EEENS1_30default_config_static_selectorELNS0_4arch9wavefront6targetE1EEEvT1_
; %bb.0:
	s_load_dwordx8 s[56:63], s[0:1], 0x0
	s_load_dwordx2 s[68:69], s[0:1], 0x20
	s_load_dwordx8 s[48:55], s[0:1], 0x30
	s_load_dwordx2 s[70:71], s[0:1], 0x50
	v_cmp_eq_u32_e64 s[2:3], 0, v0
	s_and_saveexec_b64 s[4:5], s[2:3]
	s_cbranch_execz .LBB1402_4
; %bb.1:
	s_mov_b64 s[8:9], exec
	v_mbcnt_lo_u32_b32 v1, s8, 0
	v_mbcnt_hi_u32_b32 v1, s9, v1
	v_cmp_eq_u32_e32 vcc, 0, v1
                                        ; implicit-def: $vgpr2
	s_and_saveexec_b64 s[6:7], vcc
	s_cbranch_execz .LBB1402_3
; %bb.2:
	s_load_dwordx2 s[10:11], s[0:1], 0x80
	s_bcnt1_i32_b64 s8, s[8:9]
	v_mov_b32_e32 v2, 0
	v_mov_b32_e32 v3, s8
	s_waitcnt lgkmcnt(0)
	global_atomic_add v2, v2, v3, s[10:11] sc0
.LBB1402_3:
	s_or_b64 exec, exec, s[6:7]
	s_waitcnt vmcnt(0)
	v_readfirstlane_b32 s6, v2
	v_mov_b32_e32 v2, 0
	s_nop 0
	v_add_u32_e32 v1, s6, v1
	ds_write_b32 v2, v1
.LBB1402_4:
	s_or_b64 exec, exec, s[4:5]
	s_load_dword s4, s[0:1], 0x58
	s_load_dwordx4 s[64:67], s[0:1], 0x60
	v_mov_b32_e32 v3, 0
	s_waitcnt lgkmcnt(0)
	s_lshl_b64 s[0:1], s[58:59], 2
	s_barrier
	ds_read_b32 v2, v3
	s_add_u32 s0, s56, s0
	s_addc_u32 s1, s57, s1
	s_lshl_b64 s[56:57], s[58:59], 3
	s_add_u32 s6, s60, s56
	s_mul_i32 s5, s71, s4
	s_mul_hi_u32 s8, s70, s4
	s_addc_u32 s7, s61, s57
	s_add_i32 s5, s8, s5
	s_movk_i32 s8, 0x1500
	s_waitcnt lgkmcnt(0)
	v_mul_lo_u32 v4, v2, s8
	v_mov_b32_e32 v5, v3
	v_lshlrev_b64 v[6:7], 2, v[4:5]
	v_lshlrev_b64 v[42:43], 3, v[4:5]
	s_mul_i32 s4, s70, s4
	v_lshl_add_u64 v[8:9], s[0:1], 0, v[6:7]
	v_lshl_add_u64 v[6:7], s[6:7], 0, v[42:43]
	s_add_u32 s6, s64, -1
	v_readfirstlane_b32 s55, v2
	v_lshl_add_u64 v[2:3], s[4:5], 0, v[2:3]
	s_addc_u32 s7, s65, -1
	v_cmp_le_u64_e64 s[0:1], s[6:7], v[2:3]
	s_mov_b64 s[4:5], -1
	s_and_b64 vcc, exec, s[0:1]
	s_mul_i32 s33, s6, 0xffffeb00
	s_barrier
	s_barrier
	s_cbranch_vccz .LBB1402_69
; %bb.5:
	flat_load_dword v2, v[8:9]
	s_add_i32 s64, s33, s54
	v_cmp_gt_u32_e32 vcc, s64, v0
	s_waitcnt vmcnt(0) lgkmcnt(0)
	v_mov_b32_e32 v4, v2
	s_and_saveexec_b64 s[4:5], vcc
	s_cbranch_execz .LBB1402_7
; %bb.6:
	v_lshlrev_b32_e32 v4, 2, v0
	v_mov_b32_e32 v5, 0
	v_lshl_add_u64 v[4:5], v[8:9], 0, v[4:5]
	flat_load_dword v4, v[4:5]
.LBB1402_7:
	s_or_b64 exec, exec, s[4:5]
	v_or_b32_e32 v1, 0x100, v0
	v_cmp_gt_u32_e64 s[4:5], s64, v1
	v_mov_b32_e32 v5, v2
	s_and_saveexec_b64 s[6:7], s[4:5]
	s_cbranch_execz .LBB1402_9
; %bb.8:
	v_lshlrev_b32_e32 v10, 2, v0
	v_mov_b32_e32 v11, 0
	v_lshl_add_u64 v[10:11], v[8:9], 0, v[10:11]
	flat_load_dword v5, v[10:11] offset:1024
.LBB1402_9:
	s_or_b64 exec, exec, s[6:7]
	v_or_b32_e32 v1, 0x200, v0
	v_cmp_gt_u32_e64 s[6:7], s64, v1
	v_mov_b32_e32 v10, v2
	s_and_saveexec_b64 s[8:9], s[6:7]
	s_cbranch_execz .LBB1402_11
; %bb.10:
	v_lshlrev_b32_e32 v10, 2, v0
	v_mov_b32_e32 v11, 0
	v_lshl_add_u64 v[10:11], v[8:9], 0, v[10:11]
	flat_load_dword v10, v[10:11] offset:2048
.LBB1402_11:
	;; [unrolled: 12-line block ×3, first 2 shown]
	s_or_b64 exec, exec, s[10:11]
	v_or_b32_e32 v36, 0x400, v0
	v_cmp_gt_u32_e64 s[10:11], s64, v36
	v_mov_b32_e32 v12, v2
	s_and_saveexec_b64 s[12:13], s[10:11]
	s_cbranch_execz .LBB1402_15
; %bb.14:
	v_lshlrev_b32_e32 v12, 2, v36
	v_mov_b32_e32 v13, 0
	v_lshl_add_u64 v[12:13], v[8:9], 0, v[12:13]
	flat_load_dword v12, v[12:13]
.LBB1402_15:
	s_or_b64 exec, exec, s[12:13]
	v_or_b32_e32 v38, 0x500, v0
	v_cmp_gt_u32_e64 s[12:13], s64, v38
	v_mov_b32_e32 v13, v2
	s_and_saveexec_b64 s[14:15], s[12:13]
	s_cbranch_execz .LBB1402_17
; %bb.16:
	v_lshlrev_b32_e32 v14, 2, v38
	v_mov_b32_e32 v15, 0
	v_lshl_add_u64 v[14:15], v[8:9], 0, v[14:15]
	flat_load_dword v13, v[14:15]
.LBB1402_17:
	;; [unrolled: 12-line block ×16, first 2 shown]
	s_or_b64 exec, exec, s[44:45]
	v_or_b32_e32 v70, 0x1400, v0
	v_cmp_gt_u32_e64 s[44:45], s64, v70
	v_mov_b32_e32 v3, 0
	s_and_saveexec_b64 s[46:47], s[44:45]
	s_cbranch_execz .LBB1402_47
; %bb.46:
	v_lshlrev_b32_e32 v2, 2, v70
	v_lshl_add_u64 v[2:3], v[8:9], 0, v[2:3]
	flat_load_dword v2, v[2:3]
.LBB1402_47:
	s_or_b64 exec, exec, s[46:47]
	v_lshlrev_b32_e32 v3, 2, v0
	s_waitcnt vmcnt(0) lgkmcnt(0)
	ds_write2st64_b32 v3, v4, v5 offset1:4
	ds_write2st64_b32 v3, v10, v11 offset0:8 offset1:12
	ds_write2st64_b32 v3, v12, v13 offset0:16 offset1:20
	;; [unrolled: 1-line block ×9, first 2 shown]
	ds_write_b32 v3, v2 offset:20480
	s_waitcnt lgkmcnt(0)
	s_barrier
	flat_load_dword v84, v[8:9]
	s_movk_i32 s46, 0x50
	v_mad_u32_u24 v2, v0, s46, v3
	s_movk_i32 s46, 0xffb0
	v_mad_i32_i24 v71, v0, s46, v2
	s_movk_i32 s46, 0xff
	v_cmp_ne_u32_e64 s[46:47], s46, v0
	ds_read_b32 v86, v2
	ds_read2_b32 v[28:29], v2 offset0:1 offset1:2
	ds_read2_b32 v[26:27], v2 offset0:3 offset1:4
	;; [unrolled: 1-line block ×10, first 2 shown]
	s_waitcnt lgkmcnt(0)
	ds_write_b32 v71, v86 offset:22528
	s_waitcnt lgkmcnt(0)
	s_barrier
	s_and_saveexec_b64 s[58:59], s[46:47]
	s_cbranch_execz .LBB1402_49
; %bb.48:
	s_waitcnt vmcnt(0)
	ds_read_b32 v84, v3 offset:22532
.LBB1402_49:
	s_or_b64 exec, exec, s[58:59]
	v_mov_b32_e32 v5, 0
	s_waitcnt lgkmcnt(0)
	s_barrier
	s_waitcnt lgkmcnt(0)
                                        ; implicit-def: $vgpr2_vgpr3
	s_and_saveexec_b64 s[46:47], vcc
	s_cbranch_execz .LBB1402_70
; %bb.50:
	v_lshlrev_b32_e32 v4, 3, v0
	v_lshl_add_u64 v[2:3], v[6:7], 0, v[4:5]
	flat_load_dwordx2 v[2:3], v[2:3]
	s_or_b64 exec, exec, s[46:47]
                                        ; implicit-def: $vgpr4_vgpr5
	s_and_saveexec_b64 s[46:47], s[4:5]
	s_cbranch_execnz .LBB1402_71
.LBB1402_51:
	s_or_b64 exec, exec, s[46:47]
                                        ; implicit-def: $vgpr30_vgpr31
	s_and_saveexec_b64 s[4:5], s[6:7]
	s_cbranch_execz .LBB1402_72
.LBB1402_52:
	v_lshlrev_b32_e32 v30, 3, v1
	v_mov_b32_e32 v31, 0
	v_lshl_add_u64 v[30:31], v[6:7], 0, v[30:31]
	flat_load_dwordx2 v[30:31], v[30:31]
	s_or_b64 exec, exec, s[4:5]
                                        ; implicit-def: $vgpr32_vgpr33
	s_and_saveexec_b64 s[4:5], s[8:9]
	s_cbranch_execnz .LBB1402_73
.LBB1402_53:
	s_or_b64 exec, exec, s[4:5]
                                        ; implicit-def: $vgpr34_vgpr35
	s_and_saveexec_b64 s[4:5], s[10:11]
	s_cbranch_execz .LBB1402_74
.LBB1402_54:
	v_lshlrev_b32_e32 v34, 3, v36
	v_mov_b32_e32 v35, 0
	v_lshl_add_u64 v[34:35], v[6:7], 0, v[34:35]
	flat_load_dwordx2 v[34:35], v[34:35]
	s_or_b64 exec, exec, s[4:5]
                                        ; implicit-def: $vgpr36_vgpr37
	s_and_saveexec_b64 s[4:5], s[12:13]
	s_cbranch_execnz .LBB1402_75
.LBB1402_55:
	s_or_b64 exec, exec, s[4:5]
                                        ; implicit-def: $vgpr38_vgpr39
	s_and_saveexec_b64 s[4:5], s[14:15]
	s_cbranch_execz .LBB1402_76
.LBB1402_56:
	v_lshlrev_b32_e32 v38, 3, v40
	v_mov_b32_e32 v39, 0
	v_lshl_add_u64 v[38:39], v[6:7], 0, v[38:39]
	flat_load_dwordx2 v[38:39], v[38:39]
	s_or_b64 exec, exec, s[4:5]
                                        ; implicit-def: $vgpr40_vgpr41
	s_and_saveexec_b64 s[4:5], s[16:17]
	s_cbranch_execnz .LBB1402_77
.LBB1402_57:
	s_or_b64 exec, exec, s[4:5]
                                        ; implicit-def: $vgpr44_vgpr45
	s_and_saveexec_b64 s[4:5], s[18:19]
	s_cbranch_execz .LBB1402_78
.LBB1402_58:
	v_lshlrev_b32_e32 v44, 3, v46
	v_mov_b32_e32 v45, 0
	v_lshl_add_u64 v[44:45], v[6:7], 0, v[44:45]
	flat_load_dwordx2 v[44:45], v[44:45]
	s_or_b64 exec, exec, s[4:5]
                                        ; implicit-def: $vgpr46_vgpr47
	s_and_saveexec_b64 s[4:5], s[20:21]
	s_cbranch_execnz .LBB1402_79
.LBB1402_59:
	s_or_b64 exec, exec, s[4:5]
                                        ; implicit-def: $vgpr48_vgpr49
	s_and_saveexec_b64 s[4:5], s[22:23]
	s_cbranch_execz .LBB1402_80
.LBB1402_60:
	v_lshlrev_b32_e32 v48, 3, v50
	v_mov_b32_e32 v49, 0
	v_lshl_add_u64 v[48:49], v[6:7], 0, v[48:49]
	flat_load_dwordx2 v[48:49], v[48:49]
	s_or_b64 exec, exec, s[4:5]
                                        ; implicit-def: $vgpr50_vgpr51
	s_and_saveexec_b64 s[4:5], s[24:25]
	s_cbranch_execnz .LBB1402_81
.LBB1402_61:
	s_or_b64 exec, exec, s[4:5]
                                        ; implicit-def: $vgpr52_vgpr53
	s_and_saveexec_b64 s[4:5], s[26:27]
	s_cbranch_execz .LBB1402_82
.LBB1402_62:
	v_lshlrev_b32_e32 v52, 3, v54
	v_mov_b32_e32 v53, 0
	v_lshl_add_u64 v[52:53], v[6:7], 0, v[52:53]
	flat_load_dwordx2 v[52:53], v[52:53]
	s_or_b64 exec, exec, s[4:5]
                                        ; implicit-def: $vgpr54_vgpr55
	s_and_saveexec_b64 s[4:5], s[28:29]
	s_cbranch_execnz .LBB1402_83
.LBB1402_63:
	s_or_b64 exec, exec, s[4:5]
                                        ; implicit-def: $vgpr56_vgpr57
	s_and_saveexec_b64 s[4:5], s[30:31]
	s_cbranch_execz .LBB1402_84
.LBB1402_64:
	v_lshlrev_b32_e32 v56, 3, v58
	v_mov_b32_e32 v57, 0
	v_lshl_add_u64 v[56:57], v[6:7], 0, v[56:57]
	flat_load_dwordx2 v[56:57], v[56:57]
	s_or_b64 exec, exec, s[4:5]
                                        ; implicit-def: $vgpr58_vgpr59
	s_and_saveexec_b64 s[4:5], s[34:35]
	s_cbranch_execnz .LBB1402_85
.LBB1402_65:
	s_or_b64 exec, exec, s[4:5]
                                        ; implicit-def: $vgpr60_vgpr61
	s_and_saveexec_b64 s[4:5], s[36:37]
	s_cbranch_execz .LBB1402_86
.LBB1402_66:
	v_lshlrev_b32_e32 v60, 3, v62
	v_mov_b32_e32 v61, 0
	v_lshl_add_u64 v[60:61], v[6:7], 0, v[60:61]
	flat_load_dwordx2 v[60:61], v[60:61]
	s_or_b64 exec, exec, s[4:5]
                                        ; implicit-def: $vgpr62_vgpr63
	s_and_saveexec_b64 s[4:5], s[38:39]
	s_cbranch_execnz .LBB1402_87
.LBB1402_67:
	s_or_b64 exec, exec, s[4:5]
                                        ; implicit-def: $vgpr64_vgpr65
	s_and_saveexec_b64 s[4:5], s[40:41]
	s_cbranch_execz .LBB1402_88
.LBB1402_68:
	v_lshlrev_b32_e32 v64, 3, v66
	v_mov_b32_e32 v65, 0
	v_lshl_add_u64 v[64:65], v[6:7], 0, v[64:65]
	flat_load_dwordx2 v[64:65], v[64:65]
	s_or_b64 exec, exec, s[4:5]
                                        ; implicit-def: $vgpr66_vgpr67
	s_and_saveexec_b64 s[4:5], s[42:43]
	s_cbranch_execz .LBB1402_90
	s_branch .LBB1402_89
.LBB1402_69:
	s_mov_b64 s[10:11], 0
                                        ; implicit-def: $sgpr8_sgpr9
                                        ; implicit-def: $vgpr2_vgpr3
                                        ; implicit-def: $vgpr44_vgpr45
                                        ; implicit-def: $vgpr112
                                        ; implicit-def: $vgpr50_vgpr51
                                        ; implicit-def: $vgpr128
                                        ; implicit-def: $vgpr82_vgpr83
                                        ; implicit-def: $vgpr127
                                        ; implicit-def: $vgpr80_vgpr81
                                        ; implicit-def: $vgpr126
                                        ; implicit-def: $vgpr78_vgpr79
                                        ; implicit-def: $vgpr125
                                        ; implicit-def: $vgpr76_vgpr77
                                        ; implicit-def: $vgpr124
                                        ; implicit-def: $vgpr74_vgpr75
                                        ; implicit-def: $vgpr123
                                        ; implicit-def: $vgpr72_vgpr73
                                        ; implicit-def: $vgpr122
                                        ; implicit-def: $vgpr70_vgpr71
                                        ; implicit-def: $vgpr121
                                        ; implicit-def: $vgpr68_vgpr69
                                        ; implicit-def: $vgpr120
                                        ; implicit-def: $vgpr66_vgpr67
                                        ; implicit-def: $vgpr119
                                        ; implicit-def: $vgpr64_vgpr65
                                        ; implicit-def: $vgpr118
                                        ; implicit-def: $vgpr62_vgpr63
                                        ; implicit-def: $vgpr117
                                        ; implicit-def: $vgpr60_vgpr61
                                        ; implicit-def: $vgpr116
                                        ; implicit-def: $vgpr58_vgpr59
                                        ; implicit-def: $vgpr115
                                        ; implicit-def: $vgpr56_vgpr57
                                        ; implicit-def: $vgpr114
                                        ; implicit-def: $vgpr54_vgpr55
                                        ; implicit-def: $vgpr113
                                        ; implicit-def: $vgpr52_vgpr53
                                        ; implicit-def: $vgpr111
                                        ; implicit-def: $vgpr48_vgpr49
                                        ; implicit-def: $vgpr110
                                        ; implicit-def: $vgpr46_vgpr47
                                        ; implicit-def: $vgpr1
                                        ; implicit-def: $sgpr72
                                        ; implicit-def: $sgpr6_sgpr7
	s_and_b64 vcc, exec, s[4:5]
	s_cbranch_vccz .LBB1402_140
	s_branch .LBB1402_135
.LBB1402_70:
	s_or_b64 exec, exec, s[46:47]
                                        ; implicit-def: $vgpr4_vgpr5
	s_and_saveexec_b64 s[46:47], s[4:5]
	s_cbranch_execz .LBB1402_51
.LBB1402_71:
	v_lshlrev_b32_e32 v4, 3, v0
	v_mov_b32_e32 v5, 0
	v_lshl_add_u64 v[4:5], v[6:7], 0, v[4:5]
	flat_load_dwordx2 v[4:5], v[4:5] offset:2048
	s_or_b64 exec, exec, s[46:47]
                                        ; implicit-def: $vgpr30_vgpr31
	s_and_saveexec_b64 s[4:5], s[6:7]
	s_cbranch_execnz .LBB1402_52
.LBB1402_72:
	s_or_b64 exec, exec, s[4:5]
                                        ; implicit-def: $vgpr32_vgpr33
	s_and_saveexec_b64 s[4:5], s[8:9]
	s_cbranch_execz .LBB1402_53
.LBB1402_73:
	v_lshlrev_b32_e32 v32, 3, v34
	v_mov_b32_e32 v33, 0
	v_lshl_add_u64 v[32:33], v[6:7], 0, v[32:33]
	flat_load_dwordx2 v[32:33], v[32:33]
	s_or_b64 exec, exec, s[4:5]
                                        ; implicit-def: $vgpr34_vgpr35
	s_and_saveexec_b64 s[4:5], s[10:11]
	s_cbranch_execnz .LBB1402_54
.LBB1402_74:
	s_or_b64 exec, exec, s[4:5]
                                        ; implicit-def: $vgpr36_vgpr37
	s_and_saveexec_b64 s[4:5], s[12:13]
	s_cbranch_execz .LBB1402_55
.LBB1402_75:
	v_lshlrev_b32_e32 v36, 3, v38
	v_mov_b32_e32 v37, 0
	v_lshl_add_u64 v[36:37], v[6:7], 0, v[36:37]
	flat_load_dwordx2 v[36:37], v[36:37]
	s_or_b64 exec, exec, s[4:5]
                                        ; implicit-def: $vgpr38_vgpr39
	s_and_saveexec_b64 s[4:5], s[14:15]
	s_cbranch_execnz .LBB1402_56
.LBB1402_76:
	s_or_b64 exec, exec, s[4:5]
                                        ; implicit-def: $vgpr40_vgpr41
	s_and_saveexec_b64 s[4:5], s[16:17]
	s_cbranch_execz .LBB1402_57
.LBB1402_77:
	v_lshlrev_b32_e32 v40, 3, v44
	v_mov_b32_e32 v41, 0
	v_lshl_add_u64 v[40:41], v[6:7], 0, v[40:41]
	flat_load_dwordx2 v[40:41], v[40:41]
	s_or_b64 exec, exec, s[4:5]
                                        ; implicit-def: $vgpr44_vgpr45
	s_and_saveexec_b64 s[4:5], s[18:19]
	s_cbranch_execnz .LBB1402_58
.LBB1402_78:
	s_or_b64 exec, exec, s[4:5]
                                        ; implicit-def: $vgpr46_vgpr47
	s_and_saveexec_b64 s[4:5], s[20:21]
	s_cbranch_execz .LBB1402_59
.LBB1402_79:
	v_lshlrev_b32_e32 v46, 3, v48
	v_mov_b32_e32 v47, 0
	v_lshl_add_u64 v[46:47], v[6:7], 0, v[46:47]
	flat_load_dwordx2 v[46:47], v[46:47]
	s_or_b64 exec, exec, s[4:5]
                                        ; implicit-def: $vgpr48_vgpr49
	s_and_saveexec_b64 s[4:5], s[22:23]
	s_cbranch_execnz .LBB1402_60
.LBB1402_80:
	s_or_b64 exec, exec, s[4:5]
                                        ; implicit-def: $vgpr50_vgpr51
	s_and_saveexec_b64 s[4:5], s[24:25]
	s_cbranch_execz .LBB1402_61
.LBB1402_81:
	v_lshlrev_b32_e32 v50, 3, v52
	v_mov_b32_e32 v51, 0
	v_lshl_add_u64 v[50:51], v[6:7], 0, v[50:51]
	flat_load_dwordx2 v[50:51], v[50:51]
	s_or_b64 exec, exec, s[4:5]
                                        ; implicit-def: $vgpr52_vgpr53
	s_and_saveexec_b64 s[4:5], s[26:27]
	s_cbranch_execnz .LBB1402_62
.LBB1402_82:
	s_or_b64 exec, exec, s[4:5]
                                        ; implicit-def: $vgpr54_vgpr55
	s_and_saveexec_b64 s[4:5], s[28:29]
	s_cbranch_execz .LBB1402_63
.LBB1402_83:
	v_lshlrev_b32_e32 v54, 3, v56
	v_mov_b32_e32 v55, 0
	v_lshl_add_u64 v[54:55], v[6:7], 0, v[54:55]
	flat_load_dwordx2 v[54:55], v[54:55]
	s_or_b64 exec, exec, s[4:5]
                                        ; implicit-def: $vgpr56_vgpr57
	s_and_saveexec_b64 s[4:5], s[30:31]
	s_cbranch_execnz .LBB1402_64
.LBB1402_84:
	s_or_b64 exec, exec, s[4:5]
                                        ; implicit-def: $vgpr58_vgpr59
	s_and_saveexec_b64 s[4:5], s[34:35]
	s_cbranch_execz .LBB1402_65
.LBB1402_85:
	v_lshlrev_b32_e32 v58, 3, v60
	v_mov_b32_e32 v59, 0
	v_lshl_add_u64 v[58:59], v[6:7], 0, v[58:59]
	flat_load_dwordx2 v[58:59], v[58:59]
	s_or_b64 exec, exec, s[4:5]
                                        ; implicit-def: $vgpr60_vgpr61
	s_and_saveexec_b64 s[4:5], s[36:37]
	s_cbranch_execnz .LBB1402_66
.LBB1402_86:
	s_or_b64 exec, exec, s[4:5]
                                        ; implicit-def: $vgpr62_vgpr63
	s_and_saveexec_b64 s[4:5], s[38:39]
	s_cbranch_execz .LBB1402_67
.LBB1402_87:
	v_lshlrev_b32_e32 v62, 3, v64
	v_mov_b32_e32 v63, 0
	v_lshl_add_u64 v[62:63], v[6:7], 0, v[62:63]
	flat_load_dwordx2 v[62:63], v[62:63]
	s_or_b64 exec, exec, s[4:5]
                                        ; implicit-def: $vgpr64_vgpr65
	s_and_saveexec_b64 s[4:5], s[40:41]
	s_cbranch_execnz .LBB1402_68
.LBB1402_88:
	s_or_b64 exec, exec, s[4:5]
                                        ; implicit-def: $vgpr66_vgpr67
	s_and_saveexec_b64 s[4:5], s[42:43]
	s_cbranch_execz .LBB1402_90
.LBB1402_89:
	v_lshlrev_b32_e32 v66, 3, v68
	v_mov_b32_e32 v67, 0
	v_lshl_add_u64 v[66:67], v[6:7], 0, v[66:67]
	flat_load_dwordx2 v[66:67], v[66:67]
.LBB1402_90:
	s_or_b64 exec, exec, s[4:5]
	v_mul_u32_u24_e32 v85, 21, v0
                                        ; implicit-def: $vgpr68_vgpr69
	s_and_saveexec_b64 s[4:5], s[44:45]
	s_cbranch_execz .LBB1402_92
; %bb.91:
	v_lshlrev_b32_e32 v68, 3, v70
	v_mov_b32_e32 v69, 0
	v_lshl_add_u64 v[68:69], v[6:7], 0, v[68:69]
	flat_load_dwordx2 v[68:69], v[68:69]
.LBB1402_92:
	s_or_b64 exec, exec, s[4:5]
	v_lshl_add_u32 v87, v0, 2, v71
	s_waitcnt vmcnt(0) lgkmcnt(0)
	ds_write2st64_b64 v87, v[2:3], v[4:5] offset1:4
	ds_write2st64_b64 v87, v[30:31], v[32:33] offset0:8 offset1:12
	ds_write2st64_b64 v87, v[34:35], v[36:37] offset0:16 offset1:20
	;; [unrolled: 1-line block ×9, first 2 shown]
	ds_write_b64 v87, v[68:69] offset:40960
	v_mov_b64_e32 v[44:45], 0
	v_cmp_gt_u32_e32 vcc, s64, v85
	s_mov_b64 s[10:11], 0
	s_mov_b32 s72, 0
	s_mov_b64 s[4:5], 0
	v_mov_b32_e32 v112, 0
	v_mov_b64_e32 v[50:51], v[44:45]
	v_mov_b32_e32 v128, 0
	v_mov_b64_e32 v[82:83], v[44:45]
	;; [unrolled: 2-line block ×19, first 2 shown]
	v_mov_b32_e32 v1, 0
	s_waitcnt lgkmcnt(0)
	s_barrier
	s_waitcnt lgkmcnt(0)
                                        ; implicit-def: $sgpr8_sgpr9
                                        ; implicit-def: $vgpr2_vgpr3
	s_and_saveexec_b64 s[6:7], vcc
	s_cbranch_execz .LBB1402_134
; %bb.93:
	s_movk_i32 s8, 0xa0
	v_mad_u32_u24 v1, v0, s8, v87
	ds_read_b64 v[2:3], v1
	v_cmp_ne_u32_e32 vcc, v86, v28
	v_mov_b32_e32 v5, s69
	v_add_u32_e32 v4, 1, v85
	v_mov_b64_e32 v[50:51], 0
	s_waitcnt lgkmcnt(0)
	v_cndmask_b32_e32 v45, v3, v5, vcc
	v_mov_b32_e32 v3, s68
	v_cndmask_b32_e64 v1, 0, 1, vcc
	v_cndmask_b32_e32 v44, v2, v3, vcc
	v_cmp_gt_u32_e32 vcc, s64, v4
	s_mov_b64 s[12:13], 0
	v_mov_b32_e32 v112, 0
	v_mov_b32_e32 v128, 0
	v_mov_b64_e32 v[82:83], v[50:51]
	v_mov_b32_e32 v127, 0
	v_mov_b64_e32 v[80:81], v[50:51]
	;; [unrolled: 2-line block ×18, first 2 shown]
                                        ; implicit-def: $sgpr14_sgpr15
                                        ; implicit-def: $vgpr2_vgpr3
	s_and_saveexec_b64 s[8:9], vcc
	s_cbranch_execz .LBB1402_133
; %bb.94:
	v_mul_u32_u24_e32 v2, 0xa0, v0
	v_add_u32_e32 v30, v87, v2
	ds_read2_b64 v[2:5], v30 offset0:1 offset1:2
	v_cmp_ne_u32_e32 vcc, v28, v29
	v_mov_b32_e32 v28, s69
	v_add_u32_e32 v31, 2, v85
	v_mov_b64_e32 v[50:51], 0
	s_waitcnt lgkmcnt(0)
	v_cndmask_b32_e32 v47, v3, v28, vcc
	v_mov_b32_e32 v3, s68
	v_cndmask_b32_e64 v110, 0, 1, vcc
	v_cndmask_b32_e32 v46, v2, v3, vcc
	v_cmp_gt_u32_e32 vcc, s64, v31
	s_mov_b64 s[14:15], 0
	v_mov_b32_e32 v112, 0
	v_mov_b32_e32 v128, 0
	v_mov_b64_e32 v[82:83], v[50:51]
	v_mov_b32_e32 v127, 0
	v_mov_b64_e32 v[80:81], v[50:51]
	;; [unrolled: 2-line block ×17, first 2 shown]
                                        ; implicit-def: $sgpr16_sgpr17
                                        ; implicit-def: $vgpr2_vgpr3
	s_and_saveexec_b64 s[10:11], vcc
	s_cbranch_execz .LBB1402_132
; %bb.95:
	v_cmp_ne_u32_e32 vcc, v29, v26
	v_mov_b32_e32 v3, s69
	v_add_u32_e32 v2, 3, v85
	v_cndmask_b32_e32 v49, v5, v3, vcc
	v_mov_b32_e32 v3, s68
	v_mov_b64_e32 v[50:51], 0
	v_cndmask_b32_e64 v111, 0, 1, vcc
	v_cndmask_b32_e32 v48, v4, v3, vcc
	v_cmp_gt_u32_e32 vcc, s64, v2
	s_mov_b64 s[16:17], 0
	v_mov_b32_e32 v112, 0
	v_mov_b32_e32 v128, 0
	v_mov_b64_e32 v[82:83], v[50:51]
	v_mov_b32_e32 v127, 0
	v_mov_b64_e32 v[80:81], v[50:51]
	;; [unrolled: 2-line block ×16, first 2 shown]
                                        ; implicit-def: $sgpr18_sgpr19
                                        ; implicit-def: $vgpr2_vgpr3
	s_and_saveexec_b64 s[12:13], vcc
	s_cbranch_execz .LBB1402_131
; %bb.96:
	ds_read2_b64 v[2:5], v30 offset0:3 offset1:4
	v_cmp_ne_u32_e32 vcc, v26, v27
	v_mov_b32_e32 v26, s69
	v_add_u32_e32 v28, 4, v85
	v_mov_b64_e32 v[50:51], 0
	s_waitcnt lgkmcnt(0)
	v_cndmask_b32_e32 v53, v3, v26, vcc
	v_mov_b32_e32 v3, s68
	v_cndmask_b32_e64 v113, 0, 1, vcc
	v_cndmask_b32_e32 v52, v2, v3, vcc
	v_cmp_gt_u32_e32 vcc, s64, v28
	s_mov_b64 s[18:19], 0
	v_mov_b32_e32 v112, 0
	v_mov_b32_e32 v128, 0
	v_mov_b64_e32 v[82:83], v[50:51]
	v_mov_b32_e32 v127, 0
	v_mov_b64_e32 v[80:81], v[50:51]
	;; [unrolled: 2-line block ×15, first 2 shown]
                                        ; implicit-def: $sgpr20_sgpr21
                                        ; implicit-def: $vgpr2_vgpr3
	s_and_saveexec_b64 s[14:15], vcc
	s_cbranch_execz .LBB1402_130
; %bb.97:
	v_cmp_ne_u32_e32 vcc, v27, v24
	v_mov_b32_e32 v3, s69
	v_add_u32_e32 v2, 5, v85
	v_cndmask_b32_e32 v55, v5, v3, vcc
	v_mov_b32_e32 v3, s68
	v_mov_b64_e32 v[50:51], 0
	v_cndmask_b32_e64 v114, 0, 1, vcc
	v_cndmask_b32_e32 v54, v4, v3, vcc
	v_cmp_gt_u32_e32 vcc, s64, v2
	s_mov_b64 s[20:21], 0
	v_mov_b32_e32 v112, 0
	v_mov_b32_e32 v128, 0
	v_mov_b64_e32 v[82:83], v[50:51]
	v_mov_b32_e32 v127, 0
	v_mov_b64_e32 v[80:81], v[50:51]
	;; [unrolled: 2-line block ×14, first 2 shown]
                                        ; implicit-def: $sgpr22_sgpr23
                                        ; implicit-def: $vgpr2_vgpr3
	s_and_saveexec_b64 s[16:17], vcc
	s_cbranch_execz .LBB1402_129
; %bb.98:
	ds_read2_b64 v[2:5], v30 offset0:5 offset1:6
	v_cmp_ne_u32_e32 vcc, v24, v25
	v_mov_b32_e32 v24, s69
	v_add_u32_e32 v26, 6, v85
	v_mov_b64_e32 v[50:51], 0
	s_waitcnt lgkmcnt(0)
	v_cndmask_b32_e32 v57, v3, v24, vcc
	v_mov_b32_e32 v3, s68
	v_cndmask_b32_e64 v115, 0, 1, vcc
	v_cndmask_b32_e32 v56, v2, v3, vcc
	v_cmp_gt_u32_e32 vcc, s64, v26
	s_mov_b64 s[22:23], 0
	v_mov_b32_e32 v112, 0
	v_mov_b32_e32 v128, 0
	v_mov_b64_e32 v[82:83], v[50:51]
	v_mov_b32_e32 v127, 0
	v_mov_b64_e32 v[80:81], v[50:51]
	;; [unrolled: 2-line block ×13, first 2 shown]
                                        ; implicit-def: $sgpr24_sgpr25
                                        ; implicit-def: $vgpr2_vgpr3
	s_and_saveexec_b64 s[18:19], vcc
	s_cbranch_execz .LBB1402_128
; %bb.99:
	v_cmp_ne_u32_e32 vcc, v25, v22
	v_mov_b32_e32 v3, s69
	v_add_u32_e32 v2, 7, v85
	v_cndmask_b32_e32 v59, v5, v3, vcc
	v_mov_b32_e32 v3, s68
	v_mov_b64_e32 v[50:51], 0
	v_cndmask_b32_e64 v116, 0, 1, vcc
	v_cndmask_b32_e32 v58, v4, v3, vcc
	v_cmp_gt_u32_e32 vcc, s64, v2
	s_mov_b64 s[24:25], 0
	v_mov_b32_e32 v112, 0
	v_mov_b32_e32 v128, 0
	v_mov_b64_e32 v[82:83], v[50:51]
	v_mov_b32_e32 v127, 0
	v_mov_b64_e32 v[80:81], v[50:51]
	;; [unrolled: 2-line block ×12, first 2 shown]
                                        ; implicit-def: $sgpr26_sgpr27
                                        ; implicit-def: $vgpr2_vgpr3
	s_and_saveexec_b64 s[20:21], vcc
	s_cbranch_execz .LBB1402_127
; %bb.100:
	ds_read2_b64 v[2:5], v30 offset0:7 offset1:8
	v_cmp_ne_u32_e32 vcc, v22, v23
	v_mov_b32_e32 v22, s69
	v_add_u32_e32 v24, 8, v85
	v_mov_b64_e32 v[50:51], 0
	s_waitcnt lgkmcnt(0)
	v_cndmask_b32_e32 v61, v3, v22, vcc
	v_mov_b32_e32 v3, s68
	v_cndmask_b32_e64 v117, 0, 1, vcc
	v_cndmask_b32_e32 v60, v2, v3, vcc
	v_cmp_gt_u32_e32 vcc, s64, v24
	s_mov_b64 s[26:27], 0
	v_mov_b32_e32 v112, 0
	v_mov_b32_e32 v128, 0
	v_mov_b64_e32 v[82:83], v[50:51]
	v_mov_b32_e32 v127, 0
	v_mov_b64_e32 v[80:81], v[50:51]
	v_mov_b32_e32 v126, 0
	v_mov_b64_e32 v[78:79], v[50:51]
	v_mov_b32_e32 v125, 0
	v_mov_b64_e32 v[76:77], v[50:51]
	v_mov_b32_e32 v124, 0
	v_mov_b64_e32 v[74:75], v[50:51]
	v_mov_b32_e32 v123, 0
	v_mov_b64_e32 v[72:73], v[50:51]
	v_mov_b32_e32 v122, 0
	v_mov_b64_e32 v[70:71], v[50:51]
	v_mov_b32_e32 v121, 0
	v_mov_b64_e32 v[68:69], v[50:51]
	v_mov_b32_e32 v120, 0
	v_mov_b64_e32 v[66:67], v[50:51]
	v_mov_b32_e32 v119, 0
	v_mov_b64_e32 v[64:65], v[50:51]
	v_mov_b32_e32 v118, 0
	v_mov_b64_e32 v[62:63], v[50:51]
                                        ; implicit-def: $sgpr28_sgpr29
                                        ; implicit-def: $vgpr2_vgpr3
	s_and_saveexec_b64 s[22:23], vcc
	s_cbranch_execz .LBB1402_126
; %bb.101:
	v_cmp_ne_u32_e32 vcc, v23, v20
	v_mov_b32_e32 v3, s69
	v_add_u32_e32 v2, 9, v85
	v_cndmask_b32_e32 v63, v5, v3, vcc
	v_mov_b32_e32 v3, s68
	v_mov_b64_e32 v[50:51], 0
	v_cndmask_b32_e64 v118, 0, 1, vcc
	v_cndmask_b32_e32 v62, v4, v3, vcc
	v_cmp_gt_u32_e32 vcc, s64, v2
	s_mov_b64 s[28:29], 0
	v_mov_b32_e32 v112, 0
	v_mov_b32_e32 v128, 0
	v_mov_b64_e32 v[82:83], v[50:51]
	v_mov_b32_e32 v127, 0
	v_mov_b64_e32 v[80:81], v[50:51]
	v_mov_b32_e32 v126, 0
	v_mov_b64_e32 v[78:79], v[50:51]
	v_mov_b32_e32 v125, 0
	v_mov_b64_e32 v[76:77], v[50:51]
	v_mov_b32_e32 v124, 0
	v_mov_b64_e32 v[74:75], v[50:51]
	v_mov_b32_e32 v123, 0
	v_mov_b64_e32 v[72:73], v[50:51]
	v_mov_b32_e32 v122, 0
	v_mov_b64_e32 v[70:71], v[50:51]
	v_mov_b32_e32 v121, 0
	v_mov_b64_e32 v[68:69], v[50:51]
	v_mov_b32_e32 v120, 0
	v_mov_b64_e32 v[66:67], v[50:51]
	v_mov_b32_e32 v119, 0
	v_mov_b64_e32 v[64:65], v[50:51]
                                        ; implicit-def: $sgpr30_sgpr31
                                        ; implicit-def: $vgpr2_vgpr3
	s_and_saveexec_b64 s[24:25], vcc
	s_cbranch_execz .LBB1402_125
; %bb.102:
	ds_read2_b64 v[2:5], v30 offset0:9 offset1:10
	v_cmp_ne_u32_e32 vcc, v20, v21
	v_mov_b32_e32 v20, s69
	v_add_u32_e32 v22, 10, v85
	v_mov_b64_e32 v[50:51], 0
	s_waitcnt lgkmcnt(0)
	v_cndmask_b32_e32 v65, v3, v20, vcc
	v_mov_b32_e32 v3, s68
	v_cndmask_b32_e64 v119, 0, 1, vcc
	v_cndmask_b32_e32 v64, v2, v3, vcc
	v_cmp_gt_u32_e32 vcc, s64, v22
	s_mov_b64 s[30:31], 0
	v_mov_b32_e32 v112, 0
	v_mov_b32_e32 v128, 0
	v_mov_b64_e32 v[82:83], v[50:51]
	v_mov_b32_e32 v127, 0
	v_mov_b64_e32 v[80:81], v[50:51]
	;; [unrolled: 2-line block ×9, first 2 shown]
                                        ; implicit-def: $sgpr34_sgpr35
                                        ; implicit-def: $vgpr2_vgpr3
	s_and_saveexec_b64 s[26:27], vcc
	s_cbranch_execz .LBB1402_124
; %bb.103:
	v_cmp_ne_u32_e32 vcc, v21, v18
	v_mov_b32_e32 v3, s69
	v_add_u32_e32 v2, 11, v85
	v_cndmask_b32_e32 v67, v5, v3, vcc
	v_mov_b32_e32 v3, s68
	v_mov_b64_e32 v[50:51], 0
	v_cndmask_b32_e64 v120, 0, 1, vcc
	v_cndmask_b32_e32 v66, v4, v3, vcc
	v_cmp_gt_u32_e32 vcc, s64, v2
	s_mov_b64 s[34:35], 0
	v_mov_b32_e32 v112, 0
	v_mov_b32_e32 v128, 0
	v_mov_b64_e32 v[82:83], v[50:51]
	v_mov_b32_e32 v127, 0
	v_mov_b64_e32 v[80:81], v[50:51]
	;; [unrolled: 2-line block ×8, first 2 shown]
                                        ; implicit-def: $sgpr36_sgpr37
                                        ; implicit-def: $vgpr2_vgpr3
	s_and_saveexec_b64 s[28:29], vcc
	s_cbranch_execz .LBB1402_123
; %bb.104:
	ds_read2_b64 v[2:5], v30 offset0:11 offset1:12
	v_cmp_ne_u32_e32 vcc, v18, v19
	v_mov_b32_e32 v18, s69
	v_add_u32_e32 v20, 12, v85
	v_mov_b64_e32 v[50:51], 0
	s_waitcnt lgkmcnt(0)
	v_cndmask_b32_e32 v69, v3, v18, vcc
	v_mov_b32_e32 v3, s68
	v_cndmask_b32_e64 v121, 0, 1, vcc
	v_cndmask_b32_e32 v68, v2, v3, vcc
	v_cmp_gt_u32_e32 vcc, s64, v20
	s_mov_b64 s[36:37], 0
	v_mov_b32_e32 v112, 0
	v_mov_b32_e32 v128, 0
	v_mov_b64_e32 v[82:83], v[50:51]
	v_mov_b32_e32 v127, 0
	v_mov_b64_e32 v[80:81], v[50:51]
	;; [unrolled: 2-line block ×7, first 2 shown]
                                        ; implicit-def: $sgpr38_sgpr39
                                        ; implicit-def: $vgpr2_vgpr3
	s_and_saveexec_b64 s[30:31], vcc
	s_cbranch_execz .LBB1402_122
; %bb.105:
	v_cmp_ne_u32_e32 vcc, v19, v16
	v_mov_b32_e32 v3, s69
	v_add_u32_e32 v2, 13, v85
	v_cndmask_b32_e32 v71, v5, v3, vcc
	v_mov_b32_e32 v3, s68
	v_mov_b64_e32 v[50:51], 0
	v_cndmask_b32_e64 v122, 0, 1, vcc
	v_cndmask_b32_e32 v70, v4, v3, vcc
	v_cmp_gt_u32_e32 vcc, s64, v2
	s_mov_b64 s[38:39], 0
	v_mov_b32_e32 v112, 0
	v_mov_b32_e32 v128, 0
	v_mov_b64_e32 v[82:83], v[50:51]
	v_mov_b32_e32 v127, 0
	v_mov_b64_e32 v[80:81], v[50:51]
	;; [unrolled: 2-line block ×6, first 2 shown]
                                        ; implicit-def: $sgpr40_sgpr41
                                        ; implicit-def: $vgpr2_vgpr3
	s_and_saveexec_b64 s[34:35], vcc
	s_cbranch_execz .LBB1402_121
; %bb.106:
	ds_read2_b64 v[2:5], v30 offset0:13 offset1:14
	v_cmp_ne_u32_e32 vcc, v16, v17
	v_mov_b32_e32 v16, s69
	v_add_u32_e32 v18, 14, v85
	v_mov_b64_e32 v[50:51], 0
	s_waitcnt lgkmcnt(0)
	v_cndmask_b32_e32 v73, v3, v16, vcc
	v_mov_b32_e32 v3, s68
	v_cndmask_b32_e64 v123, 0, 1, vcc
	v_cndmask_b32_e32 v72, v2, v3, vcc
	v_cmp_gt_u32_e32 vcc, s64, v18
	s_mov_b64 s[40:41], 0
	v_mov_b32_e32 v112, 0
	v_mov_b32_e32 v128, 0
	v_mov_b64_e32 v[82:83], v[50:51]
	v_mov_b32_e32 v127, 0
	v_mov_b64_e32 v[80:81], v[50:51]
	;; [unrolled: 2-line block ×5, first 2 shown]
                                        ; implicit-def: $sgpr42_sgpr43
                                        ; implicit-def: $vgpr2_vgpr3
	s_and_saveexec_b64 s[36:37], vcc
	s_cbranch_execz .LBB1402_120
; %bb.107:
	v_cmp_ne_u32_e32 vcc, v17, v14
	v_mov_b32_e32 v3, s69
	v_add_u32_e32 v2, 15, v85
	v_cndmask_b32_e32 v75, v5, v3, vcc
	v_mov_b32_e32 v3, s68
	v_mov_b64_e32 v[50:51], 0
	v_cndmask_b32_e64 v124, 0, 1, vcc
	v_cndmask_b32_e32 v74, v4, v3, vcc
	v_cmp_gt_u32_e32 vcc, s64, v2
	s_mov_b64 s[42:43], 0
	v_mov_b32_e32 v112, 0
	v_mov_b32_e32 v128, 0
	v_mov_b64_e32 v[82:83], v[50:51]
	v_mov_b32_e32 v127, 0
	v_mov_b64_e32 v[80:81], v[50:51]
	;; [unrolled: 2-line block ×4, first 2 shown]
                                        ; implicit-def: $sgpr44_sgpr45
                                        ; implicit-def: $vgpr2_vgpr3
	s_and_saveexec_b64 s[38:39], vcc
	s_cbranch_execz .LBB1402_119
; %bb.108:
	ds_read2_b64 v[2:5], v30 offset0:15 offset1:16
	v_cmp_ne_u32_e32 vcc, v14, v15
	v_mov_b32_e32 v14, s69
	v_add_u32_e32 v16, 16, v85
	v_mov_b64_e32 v[50:51], 0
	s_waitcnt lgkmcnt(0)
	v_cndmask_b32_e32 v77, v3, v14, vcc
	v_mov_b32_e32 v3, s68
	v_cndmask_b32_e64 v125, 0, 1, vcc
	v_cndmask_b32_e32 v76, v2, v3, vcc
	v_cmp_gt_u32_e32 vcc, s64, v16
	s_mov_b64 s[44:45], 0
	v_mov_b32_e32 v112, 0
	v_mov_b32_e32 v128, 0
	v_mov_b64_e32 v[82:83], v[50:51]
	v_mov_b32_e32 v127, 0
	v_mov_b64_e32 v[80:81], v[50:51]
	;; [unrolled: 2-line block ×3, first 2 shown]
                                        ; implicit-def: $sgpr46_sgpr47
                                        ; implicit-def: $vgpr2_vgpr3
	s_and_saveexec_b64 s[40:41], vcc
	s_cbranch_execz .LBB1402_118
; %bb.109:
	v_cmp_ne_u32_e32 vcc, v15, v12
	v_mov_b32_e32 v3, s69
	v_add_u32_e32 v2, 17, v85
	v_cndmask_b32_e32 v79, v5, v3, vcc
	v_mov_b32_e32 v3, s68
	v_mov_b64_e32 v[50:51], 0
	v_cndmask_b32_e64 v126, 0, 1, vcc
	v_cndmask_b32_e32 v78, v4, v3, vcc
	v_cmp_gt_u32_e32 vcc, s64, v2
	s_mov_b64 s[46:47], 0
	v_mov_b32_e32 v112, 0
	v_mov_b32_e32 v128, 0
	v_mov_b64_e32 v[82:83], v[50:51]
	v_mov_b32_e32 v127, 0
	v_mov_b64_e32 v[80:81], v[50:51]
                                        ; implicit-def: $sgpr58_sgpr59
                                        ; implicit-def: $vgpr2_vgpr3
	s_and_saveexec_b64 s[42:43], vcc
	s_cbranch_execz .LBB1402_117
; %bb.110:
	ds_read2_b64 v[2:5], v30 offset0:17 offset1:18
	v_cmp_ne_u32_e32 vcc, v12, v13
	v_mov_b32_e32 v12, s69
	v_add_u32_e32 v14, 18, v85
	v_mov_b64_e32 v[50:51], 0
	s_waitcnt lgkmcnt(0)
	v_cndmask_b32_e32 v81, v3, v12, vcc
	v_mov_b32_e32 v3, s68
	v_cndmask_b32_e64 v127, 0, 1, vcc
	v_cndmask_b32_e32 v80, v2, v3, vcc
	v_cmp_gt_u32_e32 vcc, s64, v14
	s_mov_b64 s[58:59], 0
	v_mov_b32_e32 v112, 0
	v_mov_b32_e32 v128, 0
	v_mov_b64_e32 v[82:83], v[50:51]
                                        ; implicit-def: $sgpr60_sgpr61
                                        ; implicit-def: $vgpr2_vgpr3
	s_and_saveexec_b64 s[44:45], vcc
	s_cbranch_execz .LBB1402_116
; %bb.111:
	v_cmp_ne_u32_e32 vcc, v13, v10
	v_mov_b32_e32 v3, s69
	v_add_u32_e32 v2, 19, v85
	v_cndmask_b32_e32 v83, v5, v3, vcc
	v_mov_b32_e32 v3, s68
	v_cndmask_b32_e64 v128, 0, 1, vcc
	v_cndmask_b32_e32 v82, v4, v3, vcc
	v_cmp_gt_u32_e32 vcc, s64, v2
	v_mov_b32_e32 v112, 0
	v_mov_b64_e32 v[50:51], 0
                                        ; implicit-def: $sgpr60_sgpr61
                                        ; implicit-def: $vgpr2_vgpr3
	s_and_saveexec_b64 s[46:47], vcc
	s_cbranch_execz .LBB1402_115
; %bb.112:
	ds_read2_b64 v[2:5], v30 offset0:19 offset1:20
	v_cmp_ne_u32_e32 vcc, v10, v11
	v_mov_b32_e32 v10, s69
	v_add_u32_e32 v12, 20, v85
	v_cndmask_b32_e64 v112, 0, 1, vcc
	s_waitcnt lgkmcnt(0)
	v_cndmask_b32_e32 v51, v3, v10, vcc
	v_mov_b32_e32 v3, s68
	v_cndmask_b32_e32 v50, v2, v3, vcc
	v_cmp_gt_u32_e32 vcc, s64, v12
                                        ; implicit-def: $sgpr60_sgpr61
                                        ; implicit-def: $vgpr2_vgpr3
	s_and_saveexec_b64 s[64:65], vcc
	s_xor_b64 s[64:65], exec, s[64:65]
; %bb.113:
	v_mov_b32_e32 v2, s69
	v_cmp_ne_u32_e32 vcc, v11, v84
	s_mov_b64 s[58:59], exec
	s_and_b64 s[60:61], vcc, exec
	v_cndmask_b32_e32 v3, v5, v2, vcc
	v_mov_b32_e32 v2, s68
	v_cndmask_b32_e32 v2, v4, v2, vcc
; %bb.114:
	s_or_b64 exec, exec, s[64:65]
	s_and_b64 s[60:61], s[60:61], exec
	s_and_b64 s[58:59], s[58:59], exec
.LBB1402_115:
	s_or_b64 exec, exec, s[46:47]
	s_and_b64 s[60:61], s[60:61], exec
	s_and_b64 s[46:47], s[58:59], exec
.LBB1402_116:
	s_or_b64 exec, exec, s[44:45]
	s_and_b64 s[58:59], s[60:61], exec
	s_and_b64 s[44:45], s[46:47], exec
.LBB1402_117:
	s_or_b64 exec, exec, s[42:43]
	s_and_b64 s[46:47], s[58:59], exec
	s_and_b64 s[42:43], s[44:45], exec
.LBB1402_118:
	s_or_b64 exec, exec, s[40:41]
	s_and_b64 s[44:45], s[46:47], exec
	s_and_b64 s[40:41], s[42:43], exec
.LBB1402_119:
	s_or_b64 exec, exec, s[38:39]
	s_and_b64 s[42:43], s[44:45], exec
	s_and_b64 s[38:39], s[40:41], exec
.LBB1402_120:
	s_or_b64 exec, exec, s[36:37]
	s_and_b64 s[40:41], s[42:43], exec
	s_and_b64 s[36:37], s[38:39], exec
.LBB1402_121:
	s_or_b64 exec, exec, s[34:35]
	s_and_b64 s[38:39], s[40:41], exec
	s_and_b64 s[34:35], s[36:37], exec
.LBB1402_122:
	s_or_b64 exec, exec, s[30:31]
	s_and_b64 s[36:37], s[38:39], exec
	s_and_b64 s[30:31], s[34:35], exec
.LBB1402_123:
	s_or_b64 exec, exec, s[28:29]
	s_and_b64 s[34:35], s[36:37], exec
	s_and_b64 s[28:29], s[30:31], exec
.LBB1402_124:
	s_or_b64 exec, exec, s[26:27]
	s_and_b64 s[30:31], s[34:35], exec
	s_and_b64 s[26:27], s[28:29], exec
.LBB1402_125:
	s_or_b64 exec, exec, s[24:25]
	s_and_b64 s[28:29], s[30:31], exec
	s_and_b64 s[24:25], s[26:27], exec
.LBB1402_126:
	s_or_b64 exec, exec, s[22:23]
	s_and_b64 s[26:27], s[28:29], exec
	s_and_b64 s[22:23], s[24:25], exec
.LBB1402_127:
	s_or_b64 exec, exec, s[20:21]
	s_and_b64 s[24:25], s[26:27], exec
	s_and_b64 s[20:21], s[22:23], exec
.LBB1402_128:
	s_or_b64 exec, exec, s[18:19]
	s_and_b64 s[22:23], s[24:25], exec
	s_and_b64 s[18:19], s[20:21], exec
.LBB1402_129:
	s_or_b64 exec, exec, s[16:17]
	s_and_b64 s[20:21], s[22:23], exec
	s_and_b64 s[16:17], s[18:19], exec
.LBB1402_130:
	s_or_b64 exec, exec, s[14:15]
	s_and_b64 s[18:19], s[20:21], exec
	s_and_b64 s[14:15], s[16:17], exec
.LBB1402_131:
	s_or_b64 exec, exec, s[12:13]
	s_and_b64 s[16:17], s[18:19], exec
	s_and_b64 s[12:13], s[14:15], exec
.LBB1402_132:
	s_or_b64 exec, exec, s[10:11]
	s_and_b64 s[14:15], s[16:17], exec
	s_and_b64 s[10:11], s[12:13], exec
.LBB1402_133:
	s_or_b64 exec, exec, s[8:9]
	s_and_b64 s[8:9], s[14:15], exec
	s_and_b64 s[10:11], s[10:11], exec
.LBB1402_134:
	s_or_b64 exec, exec, s[6:7]
	s_mov_b64 s[6:7], 0
	s_and_b64 vcc, exec, s[4:5]
	s_cbranch_vccz .LBB1402_140
.LBB1402_135:
	v_mov_b32_e32 v3, 0
	v_lshlrev_b32_e32 v2, 2, v0
	v_lshl_add_u64 v[4:5], v[8:9], 0, v[2:3]
	v_add_co_u32_e32 v10, vcc, 0x1000, v4
	s_movk_i32 s4, 0x50
	s_nop 0
	v_addc_co_u32_e32 v11, vcc, 0, v5, vcc
	flat_load_dword v1, v[4:5]
	flat_load_dword v14, v[4:5] offset:1024
	flat_load_dword v15, v[4:5] offset:2048
	;; [unrolled: 1-line block ×3, first 2 shown]
	flat_load_dword v17, v[10:11]
	flat_load_dword v18, v[10:11] offset:1024
	flat_load_dword v19, v[10:11] offset:2048
	;; [unrolled: 1-line block ×3, first 2 shown]
	v_add_co_u32_e32 v10, vcc, 0x2000, v4
	s_movk_i32 s10, 0x1000
	s_nop 0
	v_addc_co_u32_e32 v11, vcc, 0, v5, vcc
	v_add_co_u32_e32 v12, vcc, 0x3000, v4
	s_movk_i32 s9, 0x2000
	s_nop 0
	v_addc_co_u32_e32 v13, vcc, 0, v5, vcc
	flat_load_dword v21, v[10:11]
	flat_load_dword v22, v[10:11] offset:1024
	flat_load_dword v23, v[10:11] offset:2048
	;; [unrolled: 1-line block ×3, first 2 shown]
	flat_load_dword v25, v[12:13]
	flat_load_dword v26, v[12:13] offset:1024
	flat_load_dword v27, v[12:13] offset:2048
	;; [unrolled: 1-line block ×3, first 2 shown]
	v_add_co_u32_e32 v10, vcc, 0x4000, v4
	s_movk_i32 s8, 0x3000
	s_nop 0
	v_addc_co_u32_e32 v11, vcc, 0, v5, vcc
	v_add_co_u32_e32 v4, vcc, 0x5000, v4
	s_movk_i32 s7, 0x4000
	s_nop 0
	v_addc_co_u32_e32 v5, vcc, 0, v5, vcc
	flat_load_dword v12, v[10:11]
	flat_load_dword v13, v[10:11] offset:1024
	flat_load_dword v29, v[10:11] offset:2048
	;; [unrolled: 1-line block ×3, first 2 shown]
	flat_load_dword v31, v[4:5]
	v_add_co_u32_e32 v4, vcc, 0x5000, v8
	s_movk_i32 s6, 0x5000
	s_nop 0
	v_addc_co_u32_e32 v5, vcc, 0, v9, vcc
	s_waitcnt vmcnt(0) lgkmcnt(0)
	ds_write2st64_b32 v2, v1, v14 offset1:4
	ds_write2st64_b32 v2, v15, v16 offset0:8 offset1:12
	ds_write2st64_b32 v2, v17, v18 offset0:16 offset1:20
	;; [unrolled: 1-line block ×9, first 2 shown]
	ds_write_b32 v2, v31 offset:20480
	s_waitcnt lgkmcnt(0)
	s_barrier
	flat_load_dword v86, v[4:5] offset:1024
	v_mad_u32_u24 v4, v0, s4, v2
	s_movk_i32 s4, 0xffb0
	ds_read_b32 v1, v4
	ds_read2_b32 v[62:63], v4 offset0:1 offset1:2
	ds_read2_b32 v[60:61], v4 offset0:3 offset1:4
	;; [unrolled: 1-line block ×10, first 2 shown]
	v_mad_i32_i24 v4, v0, s4, v4
	s_movk_i32 s4, 0xff
	v_cmp_ne_u32_e32 vcc, s4, v0
	s_waitcnt lgkmcnt(0)
	ds_write_b32 v4, v1 offset:22528
	s_waitcnt lgkmcnt(0)
	s_barrier
	s_and_saveexec_b64 s[4:5], vcc
	s_cbranch_execz .LBB1402_137
; %bb.136:
	s_waitcnt vmcnt(0)
	ds_read_b32 v86, v2 offset:22532
.LBB1402_137:
	s_or_b64 exec, exec, s[4:5]
	v_lshlrev_b32_e32 v2, 3, v0
	v_lshl_add_u64 v[2:3], v[6:7], 0, v[2:3]
	v_add_co_u32_e32 v6, vcc, s10, v2
	s_waitcnt lgkmcnt(0)
	s_nop 0
	v_addc_co_u32_e32 v7, vcc, 0, v3, vcc
	s_barrier
	flat_load_dwordx2 v[8:9], v[2:3]
	flat_load_dwordx2 v[10:11], v[2:3] offset:2048
	flat_load_dwordx2 v[12:13], v[6:7]
	flat_load_dwordx2 v[14:15], v[6:7] offset:2048
	v_add_co_u32_e32 v6, vcc, s9, v2
	s_movk_i32 s4, 0x6000
	s_nop 0
	v_addc_co_u32_e32 v7, vcc, 0, v3, vcc
	v_add_co_u32_e32 v16, vcc, s8, v2
	v_lshl_add_u32 v64, v0, 2, v4
	s_nop 0
	v_addc_co_u32_e32 v17, vcc, 0, v3, vcc
	flat_load_dwordx2 v[18:19], v[6:7]
	flat_load_dwordx2 v[20:21], v[6:7] offset:2048
	flat_load_dwordx2 v[22:23], v[16:17]
	flat_load_dwordx2 v[24:25], v[16:17] offset:2048
	v_add_co_u32_e32 v6, vcc, s7, v2
	s_nop 1
	v_addc_co_u32_e32 v7, vcc, 0, v3, vcc
	v_add_co_u32_e32 v16, vcc, s6, v2
	s_nop 1
	v_addc_co_u32_e32 v17, vcc, 0, v3, vcc
	flat_load_dwordx2 v[26:27], v[6:7]
	flat_load_dwordx2 v[28:29], v[6:7] offset:2048
	flat_load_dwordx2 v[30:31], v[16:17]
	flat_load_dwordx2 v[32:33], v[16:17] offset:2048
	v_add_co_u32_e32 v6, vcc, s4, v2
	s_movk_i32 s4, 0x7000
	s_nop 0
	v_addc_co_u32_e32 v7, vcc, 0, v3, vcc
	v_add_co_u32_e32 v16, vcc, s4, v2
	s_mov_b32 s4, 0x8000
	s_nop 0
	v_addc_co_u32_e32 v17, vcc, 0, v3, vcc
	flat_load_dwordx2 v[34:35], v[6:7]
	flat_load_dwordx2 v[36:37], v[6:7] offset:2048
	flat_load_dwordx2 v[38:39], v[16:17]
	flat_load_dwordx2 v[40:41], v[16:17] offset:2048
	v_add_co_u32_e32 v6, vcc, s4, v2
	s_mov_b32 s4, 0x9000
	s_nop 0
	v_addc_co_u32_e32 v7, vcc, 0, v3, vcc
	v_add_co_u32_e32 v16, vcc, s4, v2
	s_mov_b32 s4, 0xa000
	s_nop 0
	v_addc_co_u32_e32 v17, vcc, 0, v3, vcc
	flat_load_dwordx2 v[44:45], v[6:7]
	flat_load_dwordx2 v[66:67], v[6:7] offset:2048
	flat_load_dwordx2 v[68:69], v[16:17]
	flat_load_dwordx2 v[70:71], v[16:17] offset:2048
	v_add_co_u32_e32 v2, vcc, s4, v2
	s_movk_i32 s4, 0xa0
	s_nop 0
	v_addc_co_u32_e32 v3, vcc, 0, v3, vcc
	flat_load_dwordx2 v[2:3], v[2:3]
	v_cmp_ne_u32_e32 vcc, v1, v62
	s_waitcnt vmcnt(0) lgkmcnt(0)
	ds_write2st64_b64 v64, v[8:9], v[10:11] offset1:4
	ds_write2st64_b64 v64, v[12:13], v[14:15] offset0:8 offset1:12
	ds_write2st64_b64 v64, v[18:19], v[20:21] offset0:16 offset1:20
	;; [unrolled: 1-line block ×9, first 2 shown]
	ds_write_b64 v64, v[2:3] offset:40960
	v_mad_u32_u24 v2, v0, s4, v64
	s_waitcnt lgkmcnt(0)
	s_barrier
	ds_read2_b64 v[38:41], v2 offset0:1 offset1:2
	ds_read2_b64 v[34:37], v2 offset0:3 offset1:4
	;; [unrolled: 1-line block ×10, first 2 shown]
	v_cmp_eq_u32_e64 s[4:5], v1, v62
	v_mov_b64_e32 v[44:45], s[68:69]
	s_and_saveexec_b64 s[6:7], s[4:5]
	s_cbranch_execz .LBB1402_139
; %bb.138:
	v_mul_u32_u24_e32 v1, 0xa0, v0
	v_add_u32_e32 v1, v64, v1
	ds_read_b64 v[44:45], v1
.LBB1402_139:
	s_or_b64 exec, exec, s[6:7]
	v_cndmask_b32_e64 v1, 0, 1, vcc
	v_cmp_ne_u32_e32 vcc, v62, v63
	v_cmp_ne_u32_e64 s[38:39], v47, v84
	v_cmp_ne_u32_e64 s[40:41], v84, v85
	v_mov_b32_e32 v84, s69
	v_cmp_ne_u32_e64 s[8:9], v61, v58
	v_cmp_ne_u32_e64 s[36:37], v46, v47
	s_waitcnt lgkmcnt(9)
	v_cndmask_b32_e32 v47, v39, v84, vcc
	v_mov_b32_e32 v39, s68
	v_cmp_ne_u32_e64 s[4:5], v63, v60
	v_cmp_ne_u32_e64 s[6:7], v60, v61
	v_cndmask_b32_e64 v114, 0, 1, s[8:9]
	v_cmp_ne_u32_e64 s[10:11], v58, v59
	v_cmp_ne_u32_e64 s[12:13], v59, v56
	v_cmp_ne_u32_e64 s[14:15], v56, v57
	v_cmp_ne_u32_e64 s[16:17], v57, v54
	v_cmp_ne_u32_e64 s[18:19], v54, v55
	v_cmp_ne_u32_e64 s[20:21], v55, v52
	v_cmp_ne_u32_e64 s[22:23], v52, v53
	v_cmp_ne_u32_e64 s[24:25], v53, v50
	v_cmp_ne_u32_e64 s[26:27], v50, v51
	v_cmp_ne_u32_e64 s[28:29], v51, v48
	v_cmp_ne_u32_e64 s[30:31], v48, v49
	v_cmp_ne_u32_e64 s[34:35], v49, v46
	s_waitcnt lgkmcnt(8)
	v_cndmask_b32_e64 v55, v37, v84, s[8:9]
	v_cndmask_b32_e64 v54, v36, v39, s[8:9]
	v_cmp_ne_u32_e64 s[8:9], v85, v86
	v_cndmask_b32_e64 v110, 0, 1, vcc
	v_cndmask_b32_e64 v111, 0, 1, s[4:5]
	v_cndmask_b32_e64 v113, 0, 1, s[6:7]
	v_cndmask_b32_e64 v115, 0, 1, s[10:11]
	v_cndmask_b32_e64 v116, 0, 1, s[12:13]
	v_cndmask_b32_e64 v117, 0, 1, s[14:15]
	v_cndmask_b32_e64 v118, 0, 1, s[16:17]
	v_cndmask_b32_e64 v119, 0, 1, s[18:19]
	v_cndmask_b32_e64 v120, 0, 1, s[20:21]
	v_cndmask_b32_e64 v121, 0, 1, s[22:23]
	v_cndmask_b32_e64 v122, 0, 1, s[24:25]
	v_cndmask_b32_e64 v123, 0, 1, s[26:27]
	v_cndmask_b32_e64 v124, 0, 1, s[28:29]
	v_cndmask_b32_e64 v125, 0, 1, s[30:31]
	v_cndmask_b32_e64 v126, 0, 1, s[34:35]
	v_cndmask_b32_e64 v127, 0, 1, s[36:37]
	v_cndmask_b32_e64 v128, 0, 1, s[38:39]
	v_cndmask_b32_e64 v112, 0, 1, s[40:41]
	v_cndmask_b32_e32 v46, v38, v39, vcc
	v_cndmask_b32_e64 v49, v41, v84, s[4:5]
	v_cndmask_b32_e64 v48, v40, v39, s[4:5]
	v_cndmask_b32_e64 v53, v35, v84, s[6:7]
	v_cndmask_b32_e64 v52, v34, v39, s[6:7]
	s_waitcnt lgkmcnt(7)
	v_cndmask_b32_e64 v57, v31, v84, s[10:11]
	v_cndmask_b32_e64 v56, v30, v39, s[10:11]
	v_cndmask_b32_e64 v59, v33, v84, s[12:13]
	v_cndmask_b32_e64 v58, v32, v39, s[12:13]
	s_waitcnt lgkmcnt(6)
	;; [unrolled: 5-line block ×8, first 2 shown]
	v_cndmask_b32_e64 v51, v3, v84, s[40:41]
	v_cndmask_b32_e64 v50, v2, v39, s[40:41]
	v_cndmask_b32_e64 v3, v5, v84, s[8:9]
	v_cndmask_b32_e64 v2, v4, v39, s[8:9]
	s_mov_b64 s[10:11], -1
                                        ; implicit-def: $sgpr72
                                        ; implicit-def: $sgpr6_sgpr7
.LBB1402_140:
	v_mov_b64_e32 v[84:85], s[6:7]
	v_mov_b32_e32 v129, s72
	s_and_saveexec_b64 s[4:5], s[10:11]
; %bb.141:
	v_cndmask_b32_e64 v129, 0, 1, s[8:9]
	v_mov_b64_e32 v[84:85], v[2:3]
; %bb.142:
	s_or_b64 exec, exec, s[4:5]
	v_or_b32_e32 v2, v129, v112
	s_cmp_lg_u32 s55, 0
	v_add_f64 v[86:87], v[46:47], v[44:45]
	v_or_b32_e32 v131, v2, v128
	v_mbcnt_lo_u32_b32 v130, -1, 0
	s_barrier
	s_cbranch_scc0 .LBB1402_213
; %bb.143:
	v_mov_b32_e32 v4, 0
	v_cmp_eq_u16_sdwa s[4:5], v110, v4 src0_sel:BYTE_0 src1_sel:DWORD
	v_cmp_eq_u16_sdwa s[6:7], v111, v4 src0_sel:BYTE_0 src1_sel:DWORD
	v_cmp_eq_u16_sdwa s[8:9], v113, v4 src0_sel:BYTE_0 src1_sel:DWORD
	v_cndmask_b32_e64 v3, v47, v87, s[4:5]
	v_cndmask_b32_e64 v2, v46, v86, s[4:5]
	v_add_f64 v[2:3], v[48:49], v[2:3]
	v_cndmask_b32_e64 v3, v49, v3, s[6:7]
	v_cndmask_b32_e64 v2, v48, v2, s[6:7]
	v_add_f64 v[2:3], v[52:53], v[2:3]
	v_cndmask_b32_e64 v3, v53, v3, s[8:9]
	v_cndmask_b32_e64 v2, v52, v2, s[8:9]
	v_add_f64 v[2:3], v[54:55], v[2:3]
	v_cmp_eq_u16_sdwa s[10:11], v114, v4 src0_sel:BYTE_0 src1_sel:DWORD
	v_cmp_eq_u16_sdwa s[12:13], v115, v4 src0_sel:BYTE_0 src1_sel:DWORD
	v_cmp_eq_u16_sdwa s[14:15], v116, v4 src0_sel:BYTE_0 src1_sel:DWORD
	v_cndmask_b32_e64 v3, v55, v3, s[10:11]
	v_cndmask_b32_e64 v2, v54, v2, s[10:11]
	v_add_f64 v[2:3], v[56:57], v[2:3]
	v_cndmask_b32_e64 v3, v57, v3, s[12:13]
	v_cndmask_b32_e64 v2, v56, v2, s[12:13]
	v_add_f64 v[2:3], v[58:59], v[2:3]
	v_cndmask_b32_e64 v3, v59, v3, s[14:15]
	v_cndmask_b32_e64 v2, v58, v2, s[14:15]
	v_add_f64 v[2:3], v[60:61], v[2:3]
	;; [unrolled: 12-line block ×3, first 2 shown]
	v_cmp_eq_u16_sdwa s[22:23], v120, v4 src0_sel:BYTE_0 src1_sel:DWORD
	v_cmp_eq_u16_sdwa s[24:25], v121, v4 src0_sel:BYTE_0 src1_sel:DWORD
	v_cmp_eq_u16_sdwa s[26:27], v122, v4 src0_sel:BYTE_0 src1_sel:DWORD
	v_cndmask_b32_e64 v3, v67, v3, s[22:23]
	v_cndmask_b32_e64 v2, v66, v2, s[22:23]
	v_add_f64 v[2:3], v[68:69], v[2:3]
	v_cndmask_b32_e64 v3, v69, v3, s[24:25]
	v_cndmask_b32_e64 v2, v68, v2, s[24:25]
	v_cmp_eq_u16_sdwa s[28:29], v123, v4 src0_sel:BYTE_0 src1_sel:DWORD
	v_cmp_eq_u16_sdwa s[30:31], v124, v4 src0_sel:BYTE_0 src1_sel:DWORD
	;; [unrolled: 1-line block ×7, first 2 shown]
	v_cmp_eq_u16_sdwa vcc, v129, v4 src0_sel:BYTE_0 src1_sel:DWORD
	v_or_b32_e32 v4, v131, v127
	v_add_f64 v[2:3], v[70:71], v[2:3]
	v_or_b32_e32 v4, v4, v126
	v_cndmask_b32_e64 v3, v71, v3, s[26:27]
	v_cndmask_b32_e64 v2, v70, v2, s[26:27]
	v_or_b32_e32 v4, v4, v125
	v_add_f64 v[2:3], v[72:73], v[2:3]
	v_or_b32_e32 v4, v4, v124
	v_cndmask_b32_e64 v3, v73, v3, s[28:29]
	v_cndmask_b32_e64 v2, v72, v2, s[28:29]
	;; [unrolled: 5-line block ×8, first 2 shown]
	v_or_b32_e32 v4, v4, v110
	v_add_f64 v[2:3], v[84:85], v[2:3]
	v_or_b32_e32 v4, v4, v1
	v_mbcnt_hi_u32_b32 v9, -1, v130
	v_cndmask_b32_e32 v3, v85, v3, vcc
	v_cndmask_b32_e32 v2, v84, v2, vcc
	v_and_b32_e32 v8, 1, v4
	v_and_b32_e32 v6, 15, v9
	v_cmp_eq_u32_e32 vcc, 1, v8
	v_mov_b32_dpp v4, v2 row_shr:1 row_mask:0xf bank_mask:0xf
	v_mov_b32_dpp v5, v3 row_shr:1 row_mask:0xf bank_mask:0xf
	;; [unrolled: 1-line block ×3, first 2 shown]
	v_cmp_ne_u32_e64 s[44:45], 0, v6
	v_mov_b32_e32 v7, v8
	s_and_saveexec_b64 s[46:47], s[44:45]
; %bb.144:
	v_add_f64 v[4:5], v[2:3], v[4:5]
	v_cndmask_b32_e32 v2, v4, v2, vcc
	v_and_b32_e32 v4, 1, v10
	v_or_b32_e32 v8, v4, v8
	v_cndmask_b32_e32 v3, v5, v3, vcc
	v_and_b32_e32 v7, 0xffff, v8
; %bb.145:
	s_or_b64 exec, exec, s[46:47]
	v_mov_b32_dpp v4, v2 row_shr:2 row_mask:0xf bank_mask:0xf
	v_mov_b32_dpp v5, v3 row_shr:2 row_mask:0xf bank_mask:0xf
	v_mov_b32_dpp v10, v7 row_shr:2 row_mask:0xf bank_mask:0xf
	v_cmp_lt_u32_e32 vcc, 1, v6
	s_and_saveexec_b64 s[46:47], vcc
; %bb.146:
	v_add_f64 v[4:5], v[2:3], v[4:5]
	v_cmp_eq_u16_e32 vcc, 0, v8
	s_nop 1
	v_cndmask_b32_e32 v2, v2, v4, vcc
	v_and_b32_e32 v4, 1, v8
	v_cndmask_b32_e32 v3, v3, v5, vcc
	v_cmp_eq_u32_e32 vcc, 1, v4
	v_and_b32_e32 v4, 1, v10
	v_cmp_eq_u32_e64 s[44:45], 1, v4
	s_or_b64 s[44:45], vcc, s[44:45]
	s_nop 0
	v_cndmask_b32_e64 v8, 0, 1, s[44:45]
	v_cndmask_b32_e64 v7, 0, 1, s[44:45]
; %bb.147:
	s_or_b64 exec, exec, s[46:47]
	v_mov_b32_dpp v4, v2 row_shr:4 row_mask:0xf bank_mask:0xf
	v_mov_b32_dpp v5, v3 row_shr:4 row_mask:0xf bank_mask:0xf
	v_mov_b32_dpp v10, v7 row_shr:4 row_mask:0xf bank_mask:0xf
	v_cmp_lt_u32_e32 vcc, 3, v6
	s_and_saveexec_b64 s[46:47], vcc
; %bb.148:
	v_add_f64 v[4:5], v[2:3], v[4:5]
	v_cmp_eq_u16_e32 vcc, 0, v8
	s_nop 1
	v_cndmask_b32_e32 v2, v2, v4, vcc
	v_and_b32_e32 v4, 1, v8
	v_cndmask_b32_e32 v3, v3, v5, vcc
	v_cmp_eq_u32_e32 vcc, 1, v4
	v_and_b32_e32 v4, 1, v10
	v_cmp_eq_u32_e64 s[44:45], 1, v4
	s_or_b64 s[44:45], vcc, s[44:45]
	s_nop 0
	v_cndmask_b32_e64 v8, 0, 1, s[44:45]
	v_cndmask_b32_e64 v7, 0, 1, s[44:45]
	;; [unrolled: 21-line block ×3, first 2 shown]
; %bb.151:
	s_or_b64 exec, exec, s[46:47]
	v_and_b32_e32 v10, 16, v9
	v_mov_b32_dpp v4, v2 row_bcast:15 row_mask:0xf bank_mask:0xf
	v_mov_b32_dpp v5, v3 row_bcast:15 row_mask:0xf bank_mask:0xf
	;; [unrolled: 1-line block ×3, first 2 shown]
	v_cmp_ne_u32_e32 vcc, 0, v10
	s_and_saveexec_b64 s[46:47], vcc
; %bb.152:
	v_add_f64 v[4:5], v[2:3], v[4:5]
	v_cmp_eq_u16_e32 vcc, 0, v8
	s_nop 1
	v_cndmask_b32_e32 v2, v2, v4, vcc
	v_and_b32_e32 v4, 1, v8
	v_cndmask_b32_e32 v3, v3, v5, vcc
	v_cmp_eq_u32_e32 vcc, 1, v4
	v_and_b32_e32 v4, 1, v6
	v_cmp_eq_u32_e64 s[44:45], 1, v4
	s_or_b64 s[44:45], vcc, s[44:45]
	s_nop 0
	v_cndmask_b32_e64 v8, 0, 1, s[44:45]
	v_cndmask_b32_e64 v7, 0, 1, s[44:45]
; %bb.153:
	s_or_b64 exec, exec, s[46:47]
	v_mov_b32_dpp v4, v2 row_bcast:31 row_mask:0xf bank_mask:0xf
	v_mov_b32_dpp v5, v3 row_bcast:31 row_mask:0xf bank_mask:0xf
	;; [unrolled: 1-line block ×3, first 2 shown]
	v_cmp_lt_u32_e32 vcc, 31, v9
	s_and_saveexec_b64 s[46:47], vcc
; %bb.154:
	v_add_f64 v[4:5], v[2:3], v[4:5]
	v_cmp_eq_u16_e32 vcc, 0, v8
	s_nop 1
	v_cndmask_b32_e32 v2, v2, v4, vcc
	v_and_b32_e32 v4, 1, v8
	v_cndmask_b32_e32 v3, v3, v5, vcc
	v_cmp_eq_u32_e32 vcc, 1, v4
	v_and_b32_e32 v4, 1, v6
	v_cmp_eq_u32_e64 s[44:45], 1, v4
	s_or_b64 s[44:45], vcc, s[44:45]
	s_nop 0
	v_cndmask_b32_e64 v8, 0, 1, s[44:45]
; %bb.155:
	s_or_b64 exec, exec, s[46:47]
	v_or_b32_e32 v4, 63, v0
	v_lshrrev_b32_e32 v10, 6, v0
	v_cmp_eq_u32_e32 vcc, v4, v0
	s_and_saveexec_b64 s[44:45], vcc
	s_cbranch_execz .LBB1402_157
; %bb.156:
	v_lshlrev_b32_e32 v4, 4, v10
	ds_write_b64 v4, v[2:3]
	ds_write_b8 v4, v8 offset:8
.LBB1402_157:
	s_or_b64 exec, exec, s[44:45]
	v_cmp_gt_u32_e32 vcc, 4, v0
	s_waitcnt lgkmcnt(0)
	s_barrier
	s_and_saveexec_b64 s[46:47], vcc
	s_cbranch_execz .LBB1402_163
; %bb.158:
	v_lshlrev_b32_e32 v11, 4, v0
	ds_read_b64 v[4:5], v11
	ds_read_b32 v12, v11 offset:8
	v_and_b32_e32 v13, 3, v9
	v_cmp_ne_u32_e32 vcc, 0, v13
	s_waitcnt lgkmcnt(1)
	v_mov_b32_dpp v6, v4 row_shr:1 row_mask:0xf bank_mask:0xf
	v_mov_b32_dpp v7, v5 row_shr:1 row_mask:0xf bank_mask:0xf
	s_waitcnt lgkmcnt(0)
	v_mov_b32_dpp v16, v12 row_shr:1 row_mask:0xf bank_mask:0xf
	v_mov_b32_e32 v15, v12
	v_mov_b32_e32 v14, v12
	s_and_saveexec_b64 s[44:45], vcc
; %bb.159:
	v_mov_b32_e32 v14, 0
	v_add_f64 v[6:7], v[4:5], v[6:7]
	v_cmp_eq_u16_sdwa vcc, v12, v14 src0_sel:BYTE_0 src1_sel:DWORD
	s_movk_i32 s58, 0xff00
	s_nop 0
	v_cndmask_b32_e32 v4, v4, v6, vcc
	v_or_b32_e32 v6, v16, v12
	v_and_b32_e32 v14, 1, v6
	v_cndmask_b32_e32 v5, v5, v7, vcc
	v_and_b32_e32 v15, 1, v6
	v_and_or_b32 v12, v12, s58, v14
; %bb.160:
	s_or_b64 exec, exec, s[44:45]
	v_mov_b32_dpp v6, v4 row_shr:2 row_mask:0xf bank_mask:0xf
	v_mov_b32_dpp v7, v5 row_shr:2 row_mask:0xf bank_mask:0xf
	;; [unrolled: 1-line block ×3, first 2 shown]
	v_cmp_lt_u32_e32 vcc, 1, v13
	s_and_saveexec_b64 s[58:59], vcc
; %bb.161:
	v_mov_b32_e32 v13, 0
	v_add_f64 v[6:7], v[4:5], v[6:7]
	v_cmp_eq_u16_sdwa vcc, v14, v13 src0_sel:BYTE_0 src1_sel:DWORD
	s_nop 1
	v_cndmask_b32_e32 v4, v4, v6, vcc
	v_and_b32_e32 v6, 1, v14
	v_cndmask_b32_e32 v5, v5, v7, vcc
	v_cmp_eq_u32_e32 vcc, 1, v6
	v_and_b32_e32 v6, 1, v12
	v_cmp_eq_u32_e64 s[44:45], 1, v6
	s_or_b64 s[44:45], vcc, s[44:45]
	s_nop 0
	v_cndmask_b32_e64 v15, 0, 1, s[44:45]
; %bb.162:
	s_or_b64 exec, exec, s[58:59]
	ds_write_b64 v11, v[4:5]
	ds_write_b8 v11, v15 offset:8
.LBB1402_163:
	s_or_b64 exec, exec, s[46:47]
	v_cmp_gt_u32_e32 vcc, 64, v0
	v_cmp_lt_u32_e64 s[44:45], 63, v0
	v_mov_b32_e32 v18, 0
	v_mov_b64_e32 v[6:7], 0
	s_waitcnt lgkmcnt(0)
	s_barrier
	s_and_saveexec_b64 s[46:47], s[44:45]
	s_cbranch_execz .LBB1402_165
; %bb.164:
	v_lshl_add_u32 v4, v10, 4, -16
	ds_read_b64 v[6:7], v4
	ds_read_u8 v18, v4 offset:8
	v_cmp_eq_u16_e64 s[44:45], 0, v8
	s_waitcnt lgkmcnt(1)
	v_add_f64 v[4:5], v[2:3], v[6:7]
	s_waitcnt lgkmcnt(0)
	v_or_b32_e32 v10, v8, v18
	v_cndmask_b32_e64 v3, v3, v5, s[44:45]
	v_cndmask_b32_e64 v2, v2, v4, s[44:45]
	v_and_b32_e32 v8, 1, v10
.LBB1402_165:
	s_or_b64 exec, exec, s[46:47]
	v_add_u32_e32 v4, -1, v9
	v_and_b32_e32 v5, 64, v9
	v_cmp_lt_i32_e64 s[44:45], v4, v5
	s_nop 1
	v_cndmask_b32_e64 v4, v4, v9, s[44:45]
	v_lshlrev_b32_e32 v4, 2, v4
	ds_bpermute_b32 v19, v4, v2
	v_and_b32_e32 v2, 0xffff, v8
	ds_bpermute_b32 v20, v4, v3
	ds_bpermute_b32 v21, v4, v2
	v_cmp_eq_u32_e64 s[44:45], 0, v9
	s_and_saveexec_b64 s[58:59], vcc
	s_cbranch_execz .LBB1402_212
; %bb.166:
	v_mov_b32_e32 v11, 0
	ds_read2_b64 v[2:5], v11 offset0:6 offset1:7
	s_and_saveexec_b64 s[46:47], s[44:45]
	s_cbranch_execz .LBB1402_168
; %bb.167:
	s_add_i32 s60, s55, 64
	s_mov_b32 s61, 0
	s_lshl_b64 s[64:65], s[60:61], 4
	s_add_u32 s64, s48, s64
	s_addc_u32 s65, s49, s65
	s_waitcnt lgkmcnt(0)
	global_store_dword v11, v2, s[64:65] sc1
	global_store_dword v11, v3, s[64:65] offset:4 sc1
	global_store_dword v11, v4, s[64:65] offset:8 sc1
	;; [unrolled: 1-line block ×3, first 2 shown]
	v_mov_b32_e32 v5, s60
	v_mov_b32_e32 v8, 1
	s_waitcnt vmcnt(0)
	global_store_byte v5, v8, s[52:53] sc1
.LBB1402_168:
	s_or_b64 exec, exec, s[46:47]
	v_xad_u32 v8, v9, -1, s55
	v_add_u32_e32 v10, 64, v8
	s_waitcnt lgkmcnt(0)
	global_load_ubyte v5, v10, s[52:53] sc1
	s_waitcnt vmcnt(0)
	v_cmp_eq_u16_e32 vcc, 0, v5
	s_and_saveexec_b64 s[46:47], vcc
	s_cbranch_execz .LBB1402_174
; %bb.169:
	v_lshl_add_u64 v[12:13], s[52:53], 0, v[10:11]
	s_mov_b32 s64, 1
	s_mov_b64 s[60:61], 0
.LBB1402_170:                           ; =>This Loop Header: Depth=1
                                        ;     Child Loop BB1402_171 Depth 2
	s_max_u32 s65, s64, 1
.LBB1402_171:                           ;   Parent Loop BB1402_170 Depth=1
                                        ; =>  This Inner Loop Header: Depth=2
	s_add_i32 s65, s65, -1
	s_cmp_eq_u32 s65, 0
	s_sleep 1
	s_cbranch_scc0 .LBB1402_171
; %bb.172:                              ;   in Loop: Header=BB1402_170 Depth=1
	global_load_ubyte v5, v[12:13], off sc1
	s_cmp_lt_u32 s64, 32
	s_cselect_b64 s[72:73], -1, 0
	s_cmp_lg_u64 s[72:73], 0
	s_addc_u32 s64, s64, 0
	s_waitcnt vmcnt(0)
	v_cmp_ne_u16_e32 vcc, 0, v5
	s_or_b64 s[60:61], vcc, s[60:61]
	s_andn2_b64 exec, exec, s[60:61]
	s_cbranch_execnz .LBB1402_170
; %bb.173:
	s_or_b64 exec, exec, s[60:61]
.LBB1402_174:
	s_or_b64 exec, exec, s[46:47]
	v_mov_b32_e32 v12, s51
	v_mov_b32_e32 v13, s49
	v_cmp_eq_u16_e32 vcc, 1, v5
	v_mov_b32_e32 v14, s48
	s_waitcnt vmcnt(0)
	v_cndmask_b32_e32 v13, v12, v13, vcc
	v_mov_b32_e32 v12, s50
	v_cndmask_b32_e32 v12, v12, v14, vcc
	v_lshl_add_u64 v[10:11], v[10:11], 4, v[12:13]
	global_load_dword v14, v[10:11], off sc1
	global_load_dword v15, v[10:11], off offset:4 sc1
	global_load_dword v16, v[10:11], off offset:8 sc1
	s_nop 0
	global_load_dword v10, v[10:11], off offset:12 sc1
	v_cmp_eq_u16_e32 vcc, 2, v5
	s_waitcnt vmcnt(0)
	v_lshlrev_b64 v[10:11], v9, -1
	v_and_b32_e32 v22, 63, v9
	v_and_b32_e32 v12, vcc_hi, v11
	v_and_b32_e32 v17, vcc_lo, v10
	v_cmp_ne_u32_e32 vcc, 63, v22
	v_or_b32_e32 v12, 0x80000000, v12
	v_ffbl_b32_e32 v25, v12
	v_addc_co_u32_e32 v13, vcc, 0, v9, vcc
	v_lshlrev_b32_e32 v23, 2, v13
	v_add_u32_e32 v25, 32, v25
	v_ffbl_b32_e32 v17, v17
	v_min_u32_e32 v17, v17, v25
	v_cmp_lt_u32_e32 vcc, v22, v17
	ds_bpermute_b32 v12, v23, v14
	ds_bpermute_b32 v13, v23, v15
	v_and_b32_e32 v32, 0xff, v16
	ds_bpermute_b32 v24, v23, v32
	s_and_saveexec_b64 s[46:47], vcc
	s_cbranch_execz .LBB1402_176
; %bb.175:
	v_mov_b32_e32 v25, 0
	s_waitcnt lgkmcnt(1)
	v_add_f64 v[12:13], v[14:15], v[12:13]
	v_cmp_eq_u16_sdwa vcc, v16, v25 src0_sel:BYTE_0 src1_sel:DWORD
	s_nop 1
	v_cndmask_b32_e32 v14, v14, v12, vcc
	s_waitcnt lgkmcnt(0)
	v_or_b32_e32 v12, v24, v16
	v_cndmask_b32_e32 v15, v15, v13, vcc
	v_and_b32_e32 v16, 1, v12
	v_and_b32_e32 v32, 1, v12
.LBB1402_176:
	s_or_b64 exec, exec, s[46:47]
	v_cmp_gt_u32_e32 vcc, 62, v22
	v_add_u32_e32 v25, 2, v22
	s_waitcnt lgkmcnt(2)
	v_cndmask_b32_e64 v12, 0, 1, vcc
	v_lshlrev_b32_e32 v12, 1, v12
	s_waitcnt lgkmcnt(0)
	v_add_lshl_u32 v24, v12, v9, 2
	ds_bpermute_b32 v12, v24, v14
	ds_bpermute_b32 v13, v24, v15
	ds_bpermute_b32 v26, v24, v32
	v_cmp_le_u32_e32 vcc, v25, v17
	s_and_saveexec_b64 s[60:61], vcc
	s_cbranch_execz .LBB1402_178
; %bb.177:
	v_mov_b32_e32 v27, 0
	s_waitcnt lgkmcnt(1)
	v_add_f64 v[12:13], v[14:15], v[12:13]
	v_cmp_eq_u16_sdwa vcc, v16, v27 src0_sel:BYTE_0 src1_sel:DWORD
	s_nop 1
	v_cndmask_b32_e32 v14, v14, v12, vcc
	v_and_b32_e32 v12, 1, v16
	v_cndmask_b32_e32 v15, v15, v13, vcc
	v_cmp_eq_u32_e32 vcc, 1, v12
	s_waitcnt lgkmcnt(0)
	v_and_b32_e32 v12, 1, v26
	v_cmp_eq_u32_e64 s[46:47], 1, v12
	s_or_b64 s[46:47], vcc, s[46:47]
	s_nop 0
	v_cndmask_b32_e64 v16, 0, 1, s[46:47]
	v_cndmask_b32_e64 v32, 0, 1, s[46:47]
.LBB1402_178:
	s_or_b64 exec, exec, s[60:61]
	v_cmp_gt_u32_e32 vcc, 60, v22
	v_add_u32_e32 v27, 4, v22
	s_waitcnt lgkmcnt(2)
	v_cndmask_b32_e64 v12, 0, 1, vcc
	v_lshlrev_b32_e32 v12, 2, v12
	s_waitcnt lgkmcnt(0)
	v_add_lshl_u32 v26, v12, v9, 2
	ds_bpermute_b32 v12, v26, v14
	ds_bpermute_b32 v13, v26, v15
	ds_bpermute_b32 v28, v26, v32
	v_cmp_le_u32_e32 vcc, v27, v17
	s_and_saveexec_b64 s[60:61], vcc
	s_cbranch_execz .LBB1402_180
; %bb.179:
	v_mov_b32_e32 v29, 0
	s_waitcnt lgkmcnt(1)
	v_add_f64 v[12:13], v[14:15], v[12:13]
	v_cmp_eq_u16_sdwa vcc, v16, v29 src0_sel:BYTE_0 src1_sel:DWORD
	s_nop 1
	v_cndmask_b32_e32 v14, v14, v12, vcc
	v_and_b32_e32 v12, 1, v16
	v_cndmask_b32_e32 v15, v15, v13, vcc
	v_cmp_eq_u32_e32 vcc, 1, v12
	s_waitcnt lgkmcnt(0)
	v_and_b32_e32 v12, 1, v28
	v_cmp_eq_u32_e64 s[46:47], 1, v12
	s_or_b64 s[46:47], vcc, s[46:47]
	s_nop 0
	v_cndmask_b32_e64 v16, 0, 1, s[46:47]
	v_cndmask_b32_e64 v32, 0, 1, s[46:47]
.LBB1402_180:
	;; [unrolled: 32-line block ×4, first 2 shown]
	s_or_b64 exec, exec, s[60:61]
	v_cmp_gt_u32_e32 vcc, 32, v22
	v_add_u32_e32 v34, 32, v22
	s_waitcnt lgkmcnt(2)
	v_cndmask_b32_e64 v12, 0, 1, vcc
	v_lshlrev_b32_e32 v12, 5, v12
	s_waitcnt lgkmcnt(0)
	v_add_lshl_u32 v33, v12, v9, 2
	ds_bpermute_b32 v12, v33, v14
	ds_bpermute_b32 v13, v33, v15
	;; [unrolled: 1-line block ×3, first 2 shown]
	v_cmp_le_u32_e32 vcc, v34, v17
	s_and_saveexec_b64 s[60:61], vcc
	s_cbranch_execz .LBB1402_186
; %bb.185:
	v_mov_b32_e32 v17, 0
	s_waitcnt lgkmcnt(1)
	v_add_f64 v[12:13], v[14:15], v[12:13]
	v_cmp_eq_u16_sdwa vcc, v16, v17 src0_sel:BYTE_0 src1_sel:DWORD
	s_waitcnt lgkmcnt(0)
	v_and_b32_e32 v9, 1, v9
	v_cmp_eq_u32_e64 s[46:47], 1, v9
	v_cndmask_b32_e32 v14, v14, v12, vcc
	v_and_b32_e32 v12, 1, v16
	v_cndmask_b32_e32 v15, v15, v13, vcc
	v_cmp_eq_u32_e32 vcc, 1, v12
	s_or_b64 s[46:47], vcc, s[46:47]
	v_cndmask_b32_e64 v16, 0, 1, s[46:47]
.LBB1402_186:
	s_or_b64 exec, exec, s[60:61]
	s_waitcnt lgkmcnt(0)
	v_mov_b32_e32 v9, 0
	v_mov_b32_e32 v35, 2
	s_branch .LBB1402_188
.LBB1402_187:                           ;   in Loop: Header=BB1402_188 Depth=1
	s_or_b64 exec, exec, s[64:65]
	v_add_f64 v[14:15], v[12:13], v[14:15]
	v_cmp_eq_u16_sdwa vcc, v32, v9 src0_sel:BYTE_0 src1_sel:DWORD
	s_waitcnt lgkmcnt(2)
	v_and_b32_e32 v16, 1, v32
	v_subrev_u32_e32 v8, 64, v8
	v_cndmask_b32_e32 v15, v13, v15, vcc
	v_cndmask_b32_e32 v14, v12, v14, vcc
	v_cmp_eq_u32_e32 vcc, 1, v16
	s_or_b64 s[46:47], vcc, s[60:61]
	v_cndmask_b32_e64 v16, 0, 1, s[46:47]
.LBB1402_188:                           ; =>This Loop Header: Depth=1
                                        ;     Child Loop BB1402_191 Depth 2
                                        ;       Child Loop BB1402_192 Depth 3
	v_cmp_ne_u16_sdwa s[46:47], v5, v35 src0_sel:BYTE_0 src1_sel:DWORD
	v_mov_b32_e32 v32, v16
	v_mov_b64_e32 v[12:13], v[14:15]
	v_cndmask_b32_e64 v5, 0, 1, s[46:47]
	;;#ASMSTART
	;;#ASMEND
	s_nop 0
	v_cmp_ne_u32_e32 vcc, 0, v5
	s_cmp_lg_u64 vcc, exec
	s_cbranch_scc1 .LBB1402_207
; %bb.189:                              ;   in Loop: Header=BB1402_188 Depth=1
	global_load_ubyte v5, v8, s[52:53] sc1
	s_waitcnt vmcnt(0)
	v_cmp_eq_u16_e32 vcc, 0, v5
	s_and_saveexec_b64 s[46:47], vcc
	s_cbranch_execz .LBB1402_195
; %bb.190:                              ;   in Loop: Header=BB1402_188 Depth=1
	v_lshl_add_u64 v[14:15], s[52:53], 0, v[8:9]
	s_mov_b32 s64, 1
	s_mov_b64 s[60:61], 0
.LBB1402_191:                           ;   Parent Loop BB1402_188 Depth=1
                                        ; =>  This Loop Header: Depth=2
                                        ;       Child Loop BB1402_192 Depth 3
	s_max_u32 s65, s64, 1
.LBB1402_192:                           ;   Parent Loop BB1402_188 Depth=1
                                        ;     Parent Loop BB1402_191 Depth=2
                                        ; =>    This Inner Loop Header: Depth=3
	s_add_i32 s65, s65, -1
	s_cmp_eq_u32 s65, 0
	s_sleep 1
	s_cbranch_scc0 .LBB1402_192
; %bb.193:                              ;   in Loop: Header=BB1402_191 Depth=2
	global_load_ubyte v5, v[14:15], off sc1
	s_cmp_lt_u32 s64, 32
	s_cselect_b64 s[72:73], -1, 0
	s_cmp_lg_u64 s[72:73], 0
	s_addc_u32 s64, s64, 0
	s_waitcnt vmcnt(0)
	v_cmp_ne_u16_e32 vcc, 0, v5
	s_or_b64 s[60:61], vcc, s[60:61]
	s_andn2_b64 exec, exec, s[60:61]
	s_cbranch_execnz .LBB1402_191
; %bb.194:                              ;   in Loop: Header=BB1402_188 Depth=1
	s_or_b64 exec, exec, s[60:61]
.LBB1402_195:                           ;   in Loop: Header=BB1402_188 Depth=1
	s_or_b64 exec, exec, s[46:47]
	v_mov_b32_e32 v14, s51
	v_mov_b32_e32 v15, s49
	v_cmp_eq_u16_e32 vcc, 1, v5
	v_mov_b32_e32 v16, s48
	s_waitcnt vmcnt(0)
	v_cndmask_b32_e32 v15, v14, v15, vcc
	v_mov_b32_e32 v14, s50
	v_cndmask_b32_e32 v14, v14, v16, vcc
	s_waitcnt lgkmcnt(1)
	v_lshl_add_u64 v[16:17], v[8:9], 4, v[14:15]
	global_load_dword v14, v[16:17], off sc1
	global_load_dword v15, v[16:17], off offset:4 sc1
	global_load_dword v36, v[16:17], off offset:8 sc1
	s_nop 0
	global_load_dword v16, v[16:17], off offset:12 sc1
	v_cmp_eq_u16_e32 vcc, 2, v5
	s_waitcnt vmcnt(2)
	ds_bpermute_b32 v17, v23, v15
	s_waitcnt vmcnt(0)
	v_and_b32_e32 v16, vcc_hi, v11
	v_or_b32_e32 v16, 0x80000000, v16
	s_waitcnt lgkmcnt(1)
	v_and_b32_e32 v38, 0xff, v36
	v_ffbl_b32_e32 v40, v16
	ds_bpermute_b32 v16, v23, v14
	ds_bpermute_b32 v39, v23, v38
	v_and_b32_e32 v37, vcc_lo, v10
	v_add_u32_e32 v40, 32, v40
	v_ffbl_b32_e32 v37, v37
	v_min_u32_e32 v37, v37, v40
	v_cmp_lt_u32_e32 vcc, v22, v37
	s_and_saveexec_b64 s[46:47], vcc
	s_cbranch_execz .LBB1402_197
; %bb.196:                              ;   in Loop: Header=BB1402_188 Depth=1
	s_waitcnt lgkmcnt(1)
	v_add_f64 v[16:17], v[14:15], v[16:17]
	v_cmp_eq_u16_sdwa vcc, v36, v9 src0_sel:BYTE_0 src1_sel:DWORD
	s_nop 1
	v_cndmask_b32_e32 v14, v14, v16, vcc
	s_waitcnt lgkmcnt(0)
	v_or_b32_e32 v16, v39, v36
	v_cndmask_b32_e32 v15, v15, v17, vcc
	v_and_b32_e32 v36, 1, v16
	v_and_b32_e32 v38, 1, v16
.LBB1402_197:                           ;   in Loop: Header=BB1402_188 Depth=1
	s_or_b64 exec, exec, s[46:47]
	s_waitcnt lgkmcnt(1)
	ds_bpermute_b32 v16, v24, v14
	ds_bpermute_b32 v17, v24, v15
	s_waitcnt lgkmcnt(2)
	ds_bpermute_b32 v39, v24, v38
	v_and_b32_e32 v40, 1, v36
	v_cmp_le_u32_e32 vcc, v25, v37
	v_cmp_eq_u32_e64 s[60:61], 1, v40
	s_and_saveexec_b64 s[46:47], vcc
	s_cbranch_execz .LBB1402_199
; %bb.198:                              ;   in Loop: Header=BB1402_188 Depth=1
	s_waitcnt lgkmcnt(1)
	v_add_f64 v[16:17], v[14:15], v[16:17]
	v_cmp_eq_u16_sdwa vcc, v36, v9 src0_sel:BYTE_0 src1_sel:DWORD
	s_nop 1
	v_cndmask_b32_e32 v14, v14, v16, vcc
	s_waitcnt lgkmcnt(0)
	v_and_b32_e32 v16, 1, v39
	v_cndmask_b32_e32 v15, v15, v17, vcc
	v_cmp_eq_u32_e32 vcc, 1, v16
	s_or_b64 s[64:65], s[60:61], vcc
	v_cndmask_b32_e64 v36, 0, 1, s[64:65]
	v_cndmask_b32_e64 v38, 0, 1, s[64:65]
	s_andn2_b64 s[60:61], s[60:61], exec
	s_and_b64 s[64:65], s[64:65], exec
	s_or_b64 s[60:61], s[60:61], s[64:65]
.LBB1402_199:                           ;   in Loop: Header=BB1402_188 Depth=1
	s_or_b64 exec, exec, s[46:47]
	s_waitcnt lgkmcnt(2)
	ds_bpermute_b32 v16, v26, v14
	s_waitcnt lgkmcnt(2)
	ds_bpermute_b32 v17, v26, v15
	s_waitcnt lgkmcnt(2)
	ds_bpermute_b32 v39, v26, v38
	v_cmp_le_u32_e32 vcc, v27, v37
	s_and_saveexec_b64 s[64:65], vcc
	s_cbranch_execz .LBB1402_201
; %bb.200:                              ;   in Loop: Header=BB1402_188 Depth=1
	s_waitcnt lgkmcnt(1)
	v_add_f64 v[16:17], v[14:15], v[16:17]
	v_cmp_eq_u16_sdwa vcc, v36, v9 src0_sel:BYTE_0 src1_sel:DWORD
	s_andn2_b64 s[60:61], s[60:61], exec
	s_nop 0
	v_cndmask_b32_e32 v14, v14, v16, vcc
	v_and_b32_e32 v16, 1, v36
	v_cndmask_b32_e32 v15, v15, v17, vcc
	v_cmp_eq_u32_e32 vcc, 1, v16
	s_waitcnt lgkmcnt(0)
	v_and_b32_e32 v16, 1, v39
	v_cmp_eq_u32_e64 s[46:47], 1, v16
	s_or_b64 s[46:47], vcc, s[46:47]
	s_nop 0
	v_cndmask_b32_e64 v36, 0, 1, s[46:47]
	v_cndmask_b32_e64 v38, 0, 1, s[46:47]
	s_and_b64 s[46:47], s[46:47], exec
	s_or_b64 s[60:61], s[60:61], s[46:47]
.LBB1402_201:                           ;   in Loop: Header=BB1402_188 Depth=1
	s_or_b64 exec, exec, s[64:65]
	s_waitcnt lgkmcnt(2)
	ds_bpermute_b32 v16, v28, v14
	s_waitcnt lgkmcnt(2)
	ds_bpermute_b32 v17, v28, v15
	s_waitcnt lgkmcnt(2)
	ds_bpermute_b32 v39, v28, v38
	v_cmp_le_u32_e32 vcc, v29, v37
	s_and_saveexec_b64 s[64:65], vcc
	s_cbranch_execz .LBB1402_203
; %bb.202:                              ;   in Loop: Header=BB1402_188 Depth=1
	s_waitcnt lgkmcnt(1)
	v_add_f64 v[16:17], v[14:15], v[16:17]
	v_cmp_eq_u16_sdwa vcc, v36, v9 src0_sel:BYTE_0 src1_sel:DWORD
	s_andn2_b64 s[60:61], s[60:61], exec
	s_nop 0
	v_cndmask_b32_e32 v14, v14, v16, vcc
	v_and_b32_e32 v16, 1, v36
	v_cndmask_b32_e32 v15, v15, v17, vcc
	v_cmp_eq_u32_e32 vcc, 1, v16
	s_waitcnt lgkmcnt(0)
	v_and_b32_e32 v16, 1, v39
	v_cmp_eq_u32_e64 s[46:47], 1, v16
	s_or_b64 s[46:47], vcc, s[46:47]
	s_nop 0
	v_cndmask_b32_e64 v36, 0, 1, s[46:47]
	v_cndmask_b32_e64 v38, 0, 1, s[46:47]
	s_and_b64 s[46:47], s[46:47], exec
	s_or_b64 s[60:61], s[60:61], s[46:47]
.LBB1402_203:                           ;   in Loop: Header=BB1402_188 Depth=1
	;; [unrolled: 30-line block ×3, first 2 shown]
	s_or_b64 exec, exec, s[64:65]
	s_waitcnt lgkmcnt(2)
	ds_bpermute_b32 v16, v33, v14
	s_waitcnt lgkmcnt(2)
	ds_bpermute_b32 v17, v33, v15
	ds_bpermute_b32 v38, v33, v38
	v_cmp_le_u32_e32 vcc, v34, v37
	s_and_saveexec_b64 s[64:65], vcc
	s_cbranch_execz .LBB1402_187
; %bb.206:                              ;   in Loop: Header=BB1402_188 Depth=1
	s_waitcnt lgkmcnt(1)
	v_add_f64 v[16:17], v[14:15], v[16:17]
	v_cmp_eq_u16_sdwa vcc, v36, v9 src0_sel:BYTE_0 src1_sel:DWORD
	s_andn2_b64 s[60:61], s[60:61], exec
	s_nop 0
	v_cndmask_b32_e32 v14, v14, v16, vcc
	v_and_b32_e32 v16, 1, v36
	v_cndmask_b32_e32 v15, v15, v17, vcc
	v_cmp_eq_u32_e32 vcc, 1, v16
	s_waitcnt lgkmcnt(0)
	v_and_b32_e32 v16, 1, v38
	v_cmp_eq_u32_e64 s[46:47], 1, v16
	s_or_b64 s[46:47], vcc, s[46:47]
	s_and_b64 s[46:47], s[46:47], exec
	s_or_b64 s[60:61], s[60:61], s[46:47]
	s_branch .LBB1402_187
.LBB1402_207:                           ;   in Loop: Header=BB1402_188 Depth=1
                                        ; implicit-def: $vgpr16
                                        ; implicit-def: $vgpr14_vgpr15
                                        ; implicit-def: $vgpr5
	s_cbranch_execz .LBB1402_188
; %bb.208:
	s_and_saveexec_b64 s[46:47], s[44:45]
	s_cbranch_execz .LBB1402_210
; %bb.209:
	s_mov_b32 s49, 0
	s_add_i32 s48, s55, 64
	v_mov_b32_e32 v5, 0
	s_lshl_b64 s[60:61], s[48:49], 4
	v_add_f64 v[8:9], v[2:3], v[12:13]
	v_cmp_eq_u32_sdwa vcc, v4, v5 src0_sel:BYTE_0 src1_sel:DWORD
	v_and_b32_e32 v4, 1, v4
	s_add_u32 s60, s50, s60
	v_cndmask_b32_e32 v3, v3, v9, vcc
	v_cndmask_b32_e32 v2, v2, v8, vcc
	v_and_b32_e32 v8, 1, v32
	v_cmp_eq_u32_e32 vcc, 1, v4
	s_addc_u32 s61, s51, s61
	s_nop 0
	v_cndmask_b32_e64 v4, v8, 1, vcc
	global_store_dword v5, v2, s[60:61] sc1
	global_store_dword v5, v3, s[60:61] offset:4 sc1
	global_store_dword v5, v4, s[60:61] offset:8 sc1
	;; [unrolled: 1-line block ×3, first 2 shown]
	v_mov_b32_e32 v2, s48
	v_mov_b32_e32 v3, 2
	s_waitcnt vmcnt(0) lgkmcnt(0)
	global_store_byte v2, v3, s[52:53] sc1
.LBB1402_210:
	s_or_b64 exec, exec, s[46:47]
	s_and_b64 exec, exec, s[2:3]
	s_cbranch_execz .LBB1402_212
; %bb.211:
	v_mov_b32_e32 v2, 0
	ds_write_b64 v2, v[12:13] offset:48
	ds_write_b8 v2, v32 offset:56
.LBB1402_212:
	s_or_b64 exec, exec, s[58:59]
	v_mov_b32_e32 v8, 0
	s_waitcnt lgkmcnt(0)
	s_barrier
	ds_read_b64 v[2:3], v8 offset:48
	v_cndmask_b32_e64 v5, v20, v7, s[44:45]
	v_cndmask_b32_e64 v4, v19, v6, s[44:45]
	;; [unrolled: 1-line block ×3, first 2 shown]
	v_cmp_eq_u16_sdwa vcc, v9, v8 src0_sel:BYTE_0 src1_sel:DWORD
	s_waitcnt lgkmcnt(0)
	v_add_f64 v[6:7], v[4:5], v[2:3]
	v_cndmask_b32_e32 v4, v4, v6, vcc
	v_cndmask_b32_e32 v5, v5, v7, vcc
	v_cndmask_b32_e64 v89, v5, v3, s[2:3]
	v_cndmask_b32_e64 v88, v4, v2, s[2:3]
	v_add_f64 v[2:3], v[44:45], v[88:89]
	v_cmp_eq_u16_sdwa vcc, v1, v8 src0_sel:BYTE_0 src1_sel:DWORD
	s_nop 1
	v_cndmask_b32_e32 v5, v45, v3, vcc
	v_cndmask_b32_e32 v4, v44, v2, vcc
	v_add_f64 v[2:3], v[46:47], v[4:5]
	v_cndmask_b32_e64 v7, v47, v3, s[4:5]
	v_cndmask_b32_e64 v6, v46, v2, s[4:5]
	v_add_f64 v[2:3], v[48:49], v[6:7]
	v_cndmask_b32_e64 v91, v49, v3, s[6:7]
	v_cndmask_b32_e64 v90, v48, v2, s[6:7]
	;; [unrolled: 3-line block ×19, first 2 shown]
	s_branch .LBB1402_241
.LBB1402_213:
                                        ; implicit-def: $vgpr88_vgpr89
                                        ; implicit-def: $vgpr108_vgpr109
                                        ; implicit-def: $vgpr106_vgpr107
                                        ; implicit-def: $vgpr104_vgpr105
                                        ; implicit-def: $vgpr102_vgpr103
                                        ; implicit-def: $vgpr100_vgpr101
                                        ; implicit-def: $vgpr98_vgpr99
                                        ; implicit-def: $vgpr96_vgpr97
                                        ; implicit-def: $vgpr94_vgpr95
                                        ; implicit-def: $vgpr92_vgpr93
                                        ; implicit-def: $vgpr90_vgpr91
                                        ; implicit-def: $vgpr38_vgpr39_vgpr40_vgpr41
                                        ; implicit-def: $vgpr34_vgpr35_vgpr36_vgpr37
                                        ; implicit-def: $vgpr30_vgpr31_vgpr32_vgpr33
                                        ; implicit-def: $vgpr26_vgpr27_vgpr28_vgpr29
                                        ; implicit-def: $vgpr22_vgpr23_vgpr24_vgpr25
                                        ; implicit-def: $vgpr18_vgpr19_vgpr20_vgpr21
                                        ; implicit-def: $vgpr14_vgpr15_vgpr16_vgpr17
                                        ; implicit-def: $vgpr10_vgpr11_vgpr12_vgpr13
                                        ; implicit-def: $vgpr6_vgpr7_vgpr8_vgpr9
                                        ; implicit-def: $vgpr2_vgpr3_vgpr4_vgpr5
	s_cbranch_execz .LBB1402_241
; %bb.214:
	s_cmp_lg_u64 s[70:71], 0
	s_cselect_b32 s5, s67, 0
	s_cselect_b32 s4, s66, 0
	s_cmp_eq_u64 s[4:5], 0
	v_mov_b64_e32 v[2:3], s[68:69]
	s_cbranch_scc1 .LBB1402_216
; %bb.215:
	v_mov_b32_e32 v2, 0
	global_load_dwordx2 v[2:3], v2, s[4:5]
.LBB1402_216:
	v_mov_b32_e32 v6, 0
	v_cmp_eq_u16_sdwa vcc, v110, v6 src0_sel:BYTE_0 src1_sel:DWORD
	v_cmp_eq_u16_sdwa s[4:5], v111, v6 src0_sel:BYTE_0 src1_sel:DWORD
	v_cmp_eq_u16_sdwa s[6:7], v113, v6 src0_sel:BYTE_0 src1_sel:DWORD
	v_cndmask_b32_e32 v5, v47, v87, vcc
	v_cndmask_b32_e32 v4, v46, v86, vcc
	v_add_f64 v[4:5], v[48:49], v[4:5]
	v_cndmask_b32_e64 v5, v49, v5, s[4:5]
	v_cndmask_b32_e64 v4, v48, v4, s[4:5]
	v_add_f64 v[4:5], v[52:53], v[4:5]
	v_cndmask_b32_e64 v5, v53, v5, s[6:7]
	v_cndmask_b32_e64 v4, v52, v4, s[6:7]
	v_add_f64 v[4:5], v[54:55], v[4:5]
	v_cmp_eq_u16_sdwa s[8:9], v114, v6 src0_sel:BYTE_0 src1_sel:DWORD
	v_cmp_eq_u16_sdwa s[10:11], v115, v6 src0_sel:BYTE_0 src1_sel:DWORD
	v_cmp_eq_u16_sdwa s[12:13], v116, v6 src0_sel:BYTE_0 src1_sel:DWORD
	v_cndmask_b32_e64 v5, v55, v5, s[8:9]
	v_cndmask_b32_e64 v4, v54, v4, s[8:9]
	v_add_f64 v[4:5], v[56:57], v[4:5]
	v_cndmask_b32_e64 v5, v57, v5, s[10:11]
	v_cndmask_b32_e64 v4, v56, v4, s[10:11]
	v_add_f64 v[4:5], v[58:59], v[4:5]
	v_cndmask_b32_e64 v5, v59, v5, s[12:13]
	v_cndmask_b32_e64 v4, v58, v4, s[12:13]
	v_add_f64 v[4:5], v[60:61], v[4:5]
	v_cmp_eq_u16_sdwa s[14:15], v117, v6 src0_sel:BYTE_0 src1_sel:DWORD
	v_cmp_eq_u16_sdwa s[16:17], v118, v6 src0_sel:BYTE_0 src1_sel:DWORD
	v_cmp_eq_u16_sdwa s[18:19], v119, v6 src0_sel:BYTE_0 src1_sel:DWORD
	v_cndmask_b32_e64 v5, v61, v5, s[14:15]
	v_cndmask_b32_e64 v4, v60, v4, s[14:15]
	;; [unrolled: 12-line block ×3, first 2 shown]
	v_add_f64 v[4:5], v[68:69], v[4:5]
	v_cndmask_b32_e64 v5, v69, v5, s[22:23]
	v_cndmask_b32_e64 v4, v68, v4, s[22:23]
	v_cmp_eq_u16_sdwa s[26:27], v123, v6 src0_sel:BYTE_0 src1_sel:DWORD
	v_cmp_eq_u16_sdwa s[28:29], v124, v6 src0_sel:BYTE_0 src1_sel:DWORD
	;; [unrolled: 1-line block ×8, first 2 shown]
	v_or_b32_e32 v6, v131, v127
	v_add_f64 v[4:5], v[70:71], v[4:5]
	v_or_b32_e32 v6, v6, v126
	v_cndmask_b32_e64 v5, v71, v5, s[24:25]
	v_cndmask_b32_e64 v4, v70, v4, s[24:25]
	v_or_b32_e32 v6, v6, v125
	v_add_f64 v[4:5], v[72:73], v[4:5]
	v_or_b32_e32 v6, v6, v124
	v_cndmask_b32_e64 v5, v73, v5, s[26:27]
	v_cndmask_b32_e64 v4, v72, v4, s[26:27]
	;; [unrolled: 5-line block ×8, first 2 shown]
	v_or_b32_e32 v6, v6, v110
	v_add_f64 v[4:5], v[84:85], v[4:5]
	v_or_b32_e32 v6, v6, v1
	v_mbcnt_hi_u32_b32 v10, -1, v130
	v_cndmask_b32_e64 v5, v85, v5, s[42:43]
	v_cndmask_b32_e64 v4, v84, v4, s[42:43]
	v_and_b32_e32 v11, 1, v6
	v_and_b32_e32 v8, 15, v10
	v_cmp_eq_u32_e64 s[42:43], 1, v11
	v_mov_b32_dpp v6, v4 row_shr:1 row_mask:0xf bank_mask:0xf
	v_mov_b32_dpp v7, v5 row_shr:1 row_mask:0xf bank_mask:0xf
	;; [unrolled: 1-line block ×3, first 2 shown]
	v_cmp_ne_u32_e64 s[44:45], 0, v8
	v_mov_b32_e32 v9, v11
	s_and_saveexec_b64 s[46:47], s[44:45]
; %bb.217:
	v_add_f64 v[6:7], v[4:5], v[6:7]
	v_cndmask_b32_e64 v4, v6, v4, s[42:43]
	v_and_b32_e32 v6, 1, v12
	v_or_b32_e32 v11, v6, v11
	v_cndmask_b32_e64 v5, v7, v5, s[42:43]
	v_and_b32_e32 v9, 0xffff, v11
; %bb.218:
	s_or_b64 exec, exec, s[46:47]
	v_mov_b32_dpp v6, v4 row_shr:2 row_mask:0xf bank_mask:0xf
	v_mov_b32_dpp v7, v5 row_shr:2 row_mask:0xf bank_mask:0xf
	v_mov_b32_dpp v12, v9 row_shr:2 row_mask:0xf bank_mask:0xf
	v_cmp_lt_u32_e64 s[42:43], 1, v8
	s_and_saveexec_b64 s[46:47], s[42:43]
; %bb.219:
	v_add_f64 v[6:7], v[4:5], v[6:7]
	v_cmp_eq_u16_e64 s[42:43], 0, v11
	s_nop 1
	v_cndmask_b32_e64 v4, v4, v6, s[42:43]
	v_and_b32_e32 v6, 1, v11
	v_cndmask_b32_e64 v5, v5, v7, s[42:43]
	v_cmp_eq_u32_e64 s[42:43], 1, v6
	v_and_b32_e32 v6, 1, v12
	v_cmp_eq_u32_e64 s[44:45], 1, v6
	s_or_b64 s[42:43], s[42:43], s[44:45]
	v_cndmask_b32_e64 v11, 0, 1, s[42:43]
	v_cndmask_b32_e64 v9, 0, 1, s[42:43]
; %bb.220:
	s_or_b64 exec, exec, s[46:47]
	v_mov_b32_dpp v6, v4 row_shr:4 row_mask:0xf bank_mask:0xf
	v_mov_b32_dpp v7, v5 row_shr:4 row_mask:0xf bank_mask:0xf
	v_mov_b32_dpp v12, v9 row_shr:4 row_mask:0xf bank_mask:0xf
	v_cmp_lt_u32_e64 s[42:43], 3, v8
	s_and_saveexec_b64 s[46:47], s[42:43]
; %bb.221:
	v_add_f64 v[6:7], v[4:5], v[6:7]
	v_cmp_eq_u16_e64 s[42:43], 0, v11
	s_nop 1
	v_cndmask_b32_e64 v4, v4, v6, s[42:43]
	v_and_b32_e32 v6, 1, v11
	v_cndmask_b32_e64 v5, v5, v7, s[42:43]
	v_cmp_eq_u32_e64 s[42:43], 1, v6
	v_and_b32_e32 v6, 1, v12
	v_cmp_eq_u32_e64 s[44:45], 1, v6
	s_or_b64 s[42:43], s[42:43], s[44:45]
	v_cndmask_b32_e64 v11, 0, 1, s[42:43]
	v_cndmask_b32_e64 v9, 0, 1, s[42:43]
	;; [unrolled: 20-line block ×3, first 2 shown]
; %bb.224:
	s_or_b64 exec, exec, s[46:47]
	v_and_b32_e32 v12, 16, v10
	v_mov_b32_dpp v6, v4 row_bcast:15 row_mask:0xf bank_mask:0xf
	v_mov_b32_dpp v7, v5 row_bcast:15 row_mask:0xf bank_mask:0xf
	;; [unrolled: 1-line block ×3, first 2 shown]
	v_cmp_ne_u32_e64 s[42:43], 0, v12
	s_and_saveexec_b64 s[46:47], s[42:43]
; %bb.225:
	v_add_f64 v[6:7], v[4:5], v[6:7]
	v_cmp_eq_u16_e64 s[42:43], 0, v11
	s_nop 1
	v_cndmask_b32_e64 v4, v4, v6, s[42:43]
	v_and_b32_e32 v6, 1, v11
	v_cndmask_b32_e64 v5, v5, v7, s[42:43]
	v_cmp_eq_u32_e64 s[42:43], 1, v6
	v_and_b32_e32 v6, 1, v8
	v_cmp_eq_u32_e64 s[44:45], 1, v6
	s_or_b64 s[42:43], s[42:43], s[44:45]
	v_cndmask_b32_e64 v11, 0, 1, s[42:43]
	v_cndmask_b32_e64 v9, 0, 1, s[42:43]
; %bb.226:
	s_or_b64 exec, exec, s[46:47]
	v_mov_b32_dpp v6, v4 row_bcast:31 row_mask:0xf bank_mask:0xf
	v_mov_b32_dpp v7, v5 row_bcast:31 row_mask:0xf bank_mask:0xf
	;; [unrolled: 1-line block ×3, first 2 shown]
	v_cmp_lt_u32_e64 s[42:43], 31, v10
	s_and_saveexec_b64 s[46:47], s[42:43]
; %bb.227:
	v_add_f64 v[6:7], v[4:5], v[6:7]
	v_cmp_eq_u16_e64 s[42:43], 0, v11
	s_nop 1
	v_cndmask_b32_e64 v4, v4, v6, s[42:43]
	v_and_b32_e32 v6, 1, v11
	v_cndmask_b32_e64 v5, v5, v7, s[42:43]
	v_cmp_eq_u32_e64 s[42:43], 1, v6
	v_and_b32_e32 v6, 1, v8
	v_cmp_eq_u32_e64 s[44:45], 1, v6
	s_or_b64 s[42:43], s[42:43], s[44:45]
	v_cndmask_b32_e64 v11, 0, 1, s[42:43]
; %bb.228:
	s_or_b64 exec, exec, s[46:47]
	v_or_b32_e32 v6, 63, v0
	v_lshrrev_b32_e32 v12, 6, v0
	v_cmp_eq_u32_e64 s[42:43], v6, v0
	s_and_saveexec_b64 s[44:45], s[42:43]
	s_cbranch_execz .LBB1402_230
; %bb.229:
	v_lshlrev_b32_e32 v6, 4, v12
	ds_write_b64 v6, v[4:5]
	ds_write_b8 v6, v11 offset:8
.LBB1402_230:
	s_or_b64 exec, exec, s[44:45]
	v_cmp_gt_u32_e64 s[42:43], 4, v0
	s_waitcnt lgkmcnt(0)
	s_barrier
	s_and_saveexec_b64 s[46:47], s[42:43]
	s_cbranch_execz .LBB1402_236
; %bb.231:
	v_lshlrev_b32_e32 v13, 4, v0
	ds_read_b64 v[6:7], v13
	ds_read_b32 v14, v13 offset:8
	v_and_b32_e32 v15, 3, v10
	v_cmp_ne_u32_e64 s[42:43], 0, v15
	s_waitcnt lgkmcnt(1)
	v_mov_b32_dpp v8, v6 row_shr:1 row_mask:0xf bank_mask:0xf
	v_mov_b32_dpp v9, v7 row_shr:1 row_mask:0xf bank_mask:0xf
	s_waitcnt lgkmcnt(0)
	v_mov_b32_dpp v18, v14 row_shr:1 row_mask:0xf bank_mask:0xf
	v_mov_b32_e32 v17, v14
	v_mov_b32_e32 v16, v14
	s_and_saveexec_b64 s[44:45], s[42:43]
; %bb.232:
	v_mov_b32_e32 v16, 0
	v_add_f64 v[8:9], v[6:7], v[8:9]
	v_cmp_eq_u16_sdwa s[42:43], v14, v16 src0_sel:BYTE_0 src1_sel:DWORD
	s_nop 1
	v_cndmask_b32_e64 v6, v6, v8, s[42:43]
	v_or_b32_e32 v8, v18, v14
	v_cndmask_b32_e64 v7, v7, v9, s[42:43]
	v_and_b32_e32 v16, 1, v8
	s_movk_i32 s42, 0xff00
	v_and_b32_e32 v17, 1, v8
	v_and_or_b32 v14, v14, s42, v16
; %bb.233:
	s_or_b64 exec, exec, s[44:45]
	v_mov_b32_dpp v8, v6 row_shr:2 row_mask:0xf bank_mask:0xf
	v_mov_b32_dpp v9, v7 row_shr:2 row_mask:0xf bank_mask:0xf
	;; [unrolled: 1-line block ×3, first 2 shown]
	v_cmp_lt_u32_e64 s[42:43], 1, v15
	s_and_saveexec_b64 s[48:49], s[42:43]
; %bb.234:
	v_mov_b32_e32 v15, 0
	v_add_f64 v[8:9], v[6:7], v[8:9]
	v_cmp_eq_u16_sdwa s[42:43], v16, v15 src0_sel:BYTE_0 src1_sel:DWORD
	s_nop 1
	v_cndmask_b32_e64 v6, v6, v8, s[42:43]
	v_and_b32_e32 v8, 1, v16
	v_cndmask_b32_e64 v7, v7, v9, s[42:43]
	v_cmp_eq_u32_e64 s[42:43], 1, v8
	v_and_b32_e32 v8, 1, v14
	v_cmp_eq_u32_e64 s[44:45], 1, v8
	s_or_b64 s[42:43], s[42:43], s[44:45]
	v_cndmask_b32_e64 v17, 0, 1, s[42:43]
; %bb.235:
	s_or_b64 exec, exec, s[48:49]
	ds_write_b64 v13, v[6:7]
	ds_write_b8 v13, v17 offset:8
.LBB1402_236:
	s_or_b64 exec, exec, s[46:47]
	v_cmp_lt_u32_e64 s[42:43], 63, v0
	s_waitcnt vmcnt(0)
	v_mov_b64_e32 v[6:7], v[2:3]
	s_waitcnt lgkmcnt(0)
	s_barrier
	s_and_saveexec_b64 s[44:45], s[42:43]
	s_cbranch_execz .LBB1402_238
; %bb.237:
	v_lshl_add_u32 v8, v12, 4, -16
	ds_read_b64 v[6:7], v8
	ds_read_u8 v12, v8 offset:8
	s_waitcnt lgkmcnt(1)
	v_add_f64 v[8:9], v[2:3], v[6:7]
	s_waitcnt lgkmcnt(0)
	v_cmp_eq_u16_e64 s[42:43], 0, v12
	s_nop 1
	v_cndmask_b32_e64 v7, v7, v9, s[42:43]
	v_cndmask_b32_e64 v6, v6, v8, s[42:43]
.LBB1402_238:
	s_or_b64 exec, exec, s[44:45]
	v_add_f64 v[8:9], v[4:5], v[6:7]
	v_cmp_eq_u16_e64 s[42:43], 0, v11
	s_nop 1
	v_cndmask_b32_e64 v5, v5, v9, s[42:43]
	v_cndmask_b32_e64 v4, v4, v8, s[42:43]
	v_add_u32_e32 v8, -1, v10
	v_and_b32_e32 v9, 64, v10
	v_cmp_lt_i32_e64 s[42:43], v8, v9
	s_nop 1
	v_cndmask_b32_e64 v8, v8, v10, s[42:43]
	v_lshlrev_b32_e32 v8, 2, v8
	ds_bpermute_b32 v5, v8, v5
	ds_bpermute_b32 v4, v8, v4
	v_cmp_eq_u32_e64 s[42:43], 0, v10
	v_mov_b32_e32 v8, 0
	s_waitcnt lgkmcnt(1)
	v_cndmask_b32_e64 v89, v5, v7, s[42:43]
	s_waitcnt lgkmcnt(0)
	v_cndmask_b32_e64 v88, v4, v6, s[42:43]
	v_cndmask_b32_e64 v5, v89, v3, s[2:3]
	v_cndmask_b32_e64 v4, v88, v2, s[2:3]
	v_add_f64 v[4:5], v[44:45], v[4:5]
	v_cmp_eq_u16_sdwa s[42:43], v1, v8 src0_sel:BYTE_0 src1_sel:DWORD
	s_nop 1
	v_cndmask_b32_e64 v5, v45, v5, s[42:43]
	v_cndmask_b32_e64 v4, v44, v4, s[42:43]
	v_add_f64 v[6:7], v[46:47], v[4:5]
	v_cndmask_b32_e32 v7, v47, v7, vcc
	v_cndmask_b32_e32 v6, v46, v6, vcc
	v_add_f64 v[10:11], v[48:49], v[6:7]
	v_cndmask_b32_e64 v91, v49, v11, s[4:5]
	v_cndmask_b32_e64 v90, v48, v10, s[4:5]
	v_add_f64 v[10:11], v[52:53], v[90:91]
	v_cndmask_b32_e64 v11, v53, v11, s[6:7]
	v_cndmask_b32_e64 v10, v52, v10, s[6:7]
	;; [unrolled: 3-line block ×18, first 2 shown]
	s_and_saveexec_b64 s[4:5], s[2:3]
	s_cbranch_execz .LBB1402_240
; %bb.239:
	ds_read_b64 v[12:13], v8 offset:48
	ds_read_u8 v1, v8 offset:56
	v_mov_b64_e32 v[88:89], v[2:3]
	s_waitcnt lgkmcnt(1)
	v_add_f64 v[16:17], v[2:3], v[12:13]
	s_waitcnt lgkmcnt(0)
	v_cmp_eq_u32_e32 vcc, 0, v1
	s_nop 1
	v_cndmask_b32_e32 v12, v12, v16, vcc
	v_cndmask_b32_e32 v9, v13, v17, vcc
	global_store_dword v8, v12, s[50:51] offset:1024 sc1
	global_store_dword v8, v9, s[50:51] offset:1028 sc1
	;; [unrolled: 1-line block ×4, first 2 shown]
	v_mov_b32_e32 v1, 2
	s_waitcnt vmcnt(0)
	global_store_byte v8, v1, s[52:53] offset:64 sc1
.LBB1402_240:
	s_or_b64 exec, exec, s[4:5]
.LBB1402_241:
	s_add_u32 s2, s62, s56
	s_addc_u32 s3, s63, s57
	v_lshl_add_u64 v[2:3], s[2:3], 0, v[42:43]
	s_and_b64 vcc, exec, s[0:1]
	v_lshlrev_b32_e32 v8, 3, v0
	s_cbranch_vccz .LBB1402_283
; %bb.242:
	s_movk_i32 s0, 0xa8
	v_mul_i32_i24_e32 v16, 0xffffff60, v0
	v_mul_u32_u24_e32 v1, 0xa8, v0
	v_mad_u32_u24 v9, v0, s0, v16
	s_barrier
	ds_write2_b64 v1, v[88:89], v[4:5] offset1:1
	ds_write2_b64 v1, v[6:7], v[90:91] offset0:2 offset1:3
	ds_write2_b64 v1, v[10:11], v[92:93] offset0:4 offset1:5
	;; [unrolled: 1-line block ×9, first 2 shown]
	ds_write_b64 v1, v[108:109] offset:160
	s_waitcnt lgkmcnt(0)
	s_barrier
	ds_read2st64_b64 v[76:79], v9 offset0:4 offset1:8
	ds_read2st64_b64 v[72:75], v9 offset0:12 offset1:16
	;; [unrolled: 1-line block ×10, first 2 shown]
	s_add_i32 s33, s33, s54
	v_mov_b32_e32 v9, 0
	v_lshl_add_u64 v[12:13], v[2:3], 0, v[8:9]
	v_cmp_gt_u32_e32 vcc, s33, v0
	s_and_saveexec_b64 s[0:1], vcc
	s_cbranch_execz .LBB1402_244
; %bb.243:
	v_add_u32_e32 v1, v1, v16
	ds_read_b64 v[16:17], v1
	s_waitcnt lgkmcnt(0)
	flat_store_dwordx2 v[12:13], v[16:17]
.LBB1402_244:
	s_or_b64 exec, exec, s[0:1]
	v_or_b32_e32 v1, 0x100, v0
	v_cmp_gt_u32_e32 vcc, s33, v1
	s_and_saveexec_b64 s[0:1], vcc
	s_cbranch_execz .LBB1402_246
; %bb.245:
	s_waitcnt lgkmcnt(0)
	flat_store_dwordx2 v[12:13], v[76:77] offset:2048
.LBB1402_246:
	s_or_b64 exec, exec, s[0:1]
	v_or_b32_e32 v1, 0x200, v0
	v_cmp_gt_u32_e32 vcc, s33, v1
	s_and_saveexec_b64 s[0:1], vcc
	s_cbranch_execz .LBB1402_248
; %bb.247:
	v_add_co_u32_e32 v16, vcc, 0x1000, v12
	s_nop 1
	v_addc_co_u32_e32 v17, vcc, 0, v13, vcc
	s_waitcnt lgkmcnt(0)
	flat_store_dwordx2 v[16:17], v[78:79]
.LBB1402_248:
	s_or_b64 exec, exec, s[0:1]
	v_or_b32_e32 v1, 0x300, v0
	v_cmp_gt_u32_e32 vcc, s33, v1
	s_and_saveexec_b64 s[0:1], vcc
	s_cbranch_execz .LBB1402_250
; %bb.249:
	v_add_co_u32_e32 v16, vcc, 0x1000, v12
	s_nop 1
	v_addc_co_u32_e32 v17, vcc, 0, v13, vcc
	s_waitcnt lgkmcnt(0)
	flat_store_dwordx2 v[16:17], v[72:73] offset:2048
.LBB1402_250:
	s_or_b64 exec, exec, s[0:1]
	v_or_b32_e32 v1, 0x400, v0
	v_cmp_gt_u32_e32 vcc, s33, v1
	s_and_saveexec_b64 s[0:1], vcc
	s_cbranch_execz .LBB1402_252
; %bb.251:
	v_add_co_u32_e32 v16, vcc, 0x2000, v12
	s_nop 1
	v_addc_co_u32_e32 v17, vcc, 0, v13, vcc
	s_waitcnt lgkmcnt(0)
	flat_store_dwordx2 v[16:17], v[74:75]
.LBB1402_252:
	s_or_b64 exec, exec, s[0:1]
	v_or_b32_e32 v1, 0x500, v0
	v_cmp_gt_u32_e32 vcc, s33, v1
	s_and_saveexec_b64 s[0:1], vcc
	s_cbranch_execz .LBB1402_254
; %bb.253:
	v_add_co_u32_e32 v16, vcc, 0x2000, v12
	s_nop 1
	v_addc_co_u32_e32 v17, vcc, 0, v13, vcc
	s_waitcnt lgkmcnt(0)
	flat_store_dwordx2 v[16:17], v[68:69] offset:2048
.LBB1402_254:
	;; [unrolled: 24-line block ×9, first 2 shown]
	s_or_b64 exec, exec, s[0:1]
	v_mov_b32_e32 v1, v9
	v_or_b32_e32 v9, 0x1400, v0
	v_cmp_gt_u32_e64 s[0:1], s33, v9
	s_branch .LBB1402_285
.LBB1402_283:
	s_mov_b64 s[0:1], 0
                                        ; implicit-def: $vgpr42_vgpr43
	s_cbranch_execz .LBB1402_285
; %bb.284:
	v_mul_u32_u24_e32 v1, 0xa8, v0
	s_waitcnt lgkmcnt(0)
	s_barrier
	s_movk_i32 s2, 0xa8
	ds_write2_b64 v1, v[88:89], v[4:5] offset1:1
	ds_write2_b64 v1, v[6:7], v[90:91] offset0:2 offset1:3
	ds_write2_b64 v1, v[10:11], v[92:93] offset0:4 offset1:5
	;; [unrolled: 1-line block ×9, first 2 shown]
	ds_write_b64 v1, v[108:109] offset:160
	v_mul_i32_i24_e32 v4, 0xffffff60, v0
	v_mov_b32_e32 v1, 0
	v_mad_u32_u24 v9, v0, s2, v4
	s_waitcnt lgkmcnt(0)
	s_barrier
	ds_read2st64_b64 v[4:7], v9 offset1:4
	ds_read2st64_b64 v[10:13], v9 offset0:8 offset1:12
	ds_read2st64_b64 v[14:17], v9 offset0:16 offset1:20
	;; [unrolled: 1-line block ×9, first 2 shown]
	ds_read_b64 v[42:43], v9 offset:40960
	v_mov_b32_e32 v9, v1
	v_lshl_add_u64 v[8:9], v[2:3], 0, v[8:9]
	s_movk_i32 s2, 0x1000
	s_waitcnt lgkmcnt(0)
	flat_store_dwordx2 v[8:9], v[4:5]
	flat_store_dwordx2 v[8:9], v[6:7] offset:2048
	v_add_co_u32_e32 v4, vcc, s2, v8
	s_movk_i32 s2, 0x2000
	s_nop 0
	v_addc_co_u32_e32 v5, vcc, 0, v9, vcc
	flat_store_dwordx2 v[4:5], v[10:11]
	flat_store_dwordx2 v[4:5], v[12:13] offset:2048
	v_add_co_u32_e32 v4, vcc, s2, v8
	s_movk_i32 s2, 0x3000
	s_nop 0
	v_addc_co_u32_e32 v5, vcc, 0, v9, vcc
	;; [unrolled: 6-line block ×6, first 2 shown]
	flat_store_dwordx2 v[4:5], v[30:31]
	flat_store_dwordx2 v[4:5], v[32:33] offset:2048
	v_add_co_u32_e32 v4, vcc, s2, v8
	s_or_b64 s[0:1], s[0:1], exec
	s_nop 0
	v_addc_co_u32_e32 v5, vcc, 0, v9, vcc
	flat_store_dwordx2 v[4:5], v[34:35]
	flat_store_dwordx2 v[4:5], v[36:37] offset:2048
	v_add_co_u32_e32 v4, vcc, 0x8000, v8
	s_nop 1
	v_addc_co_u32_e32 v5, vcc, 0, v9, vcc
	flat_store_dwordx2 v[4:5], v[38:39]
	flat_store_dwordx2 v[4:5], v[40:41] offset:2048
	v_add_co_u32_e32 v4, vcc, 0x9000, v8
	s_nop 1
	v_addc_co_u32_e32 v5, vcc, 0, v9, vcc
	flat_store_dwordx2 v[4:5], v[44:45]
	flat_store_dwordx2 v[4:5], v[46:47] offset:2048
.LBB1402_285:
	s_and_saveexec_b64 s[2:3], s[0:1]
	s_cbranch_execz .LBB1402_287
; %bb.286:
	v_lshl_add_u64 v[0:1], v[0:1], 3, v[2:3]
	v_add_co_u32_e32 v0, vcc, 0xa000, v0
	s_nop 1
	v_addc_co_u32_e32 v1, vcc, 0, v1, vcc
	s_waitcnt lgkmcnt(0)
	flat_store_dwordx2 v[0:1], v[42:43]
	s_endpgm
.LBB1402_287:
	s_endpgm
	.section	.rodata,"a",@progbits
	.p2align	6, 0x0
	.amdhsa_kernel _ZN7rocprim17ROCPRIM_400000_NS6detail17trampoline_kernelINS0_14default_configENS1_27scan_by_key_config_selectorIidEEZZNS1_16scan_by_key_implILNS1_25lookback_scan_determinismE0ELb1ES3_N6thrust23THRUST_200600_302600_NS6detail15normal_iteratorINS9_10device_ptrIiEEEENSB_INSC_IdEEEESG_dNS9_4plusIvEENS9_8equal_toIvEEdEE10hipError_tPvRmT2_T3_T4_T5_mT6_T7_P12ihipStream_tbENKUlT_T0_E_clISt17integral_constantIbLb1EES11_EEDaSW_SX_EUlSW_E_NS1_11comp_targetILNS1_3genE5ELNS1_11target_archE942ELNS1_3gpuE9ELNS1_3repE0EEENS1_30default_config_static_selectorELNS0_4arch9wavefront6targetE1EEEvT1_
		.amdhsa_group_segment_fixed_size 43008
		.amdhsa_private_segment_fixed_size 0
		.amdhsa_kernarg_size 136
		.amdhsa_user_sgpr_count 2
		.amdhsa_user_sgpr_dispatch_ptr 0
		.amdhsa_user_sgpr_queue_ptr 0
		.amdhsa_user_sgpr_kernarg_segment_ptr 1
		.amdhsa_user_sgpr_dispatch_id 0
		.amdhsa_user_sgpr_kernarg_preload_length 0
		.amdhsa_user_sgpr_kernarg_preload_offset 0
		.amdhsa_user_sgpr_private_segment_size 0
		.amdhsa_uses_dynamic_stack 0
		.amdhsa_enable_private_segment 0
		.amdhsa_system_sgpr_workgroup_id_x 1
		.amdhsa_system_sgpr_workgroup_id_y 0
		.amdhsa_system_sgpr_workgroup_id_z 0
		.amdhsa_system_sgpr_workgroup_info 0
		.amdhsa_system_vgpr_workitem_id 0
		.amdhsa_next_free_vgpr 132
		.amdhsa_next_free_sgpr 74
		.amdhsa_accum_offset 132
		.amdhsa_reserve_vcc 1
		.amdhsa_float_round_mode_32 0
		.amdhsa_float_round_mode_16_64 0
		.amdhsa_float_denorm_mode_32 3
		.amdhsa_float_denorm_mode_16_64 3
		.amdhsa_dx10_clamp 1
		.amdhsa_ieee_mode 1
		.amdhsa_fp16_overflow 0
		.amdhsa_tg_split 0
		.amdhsa_exception_fp_ieee_invalid_op 0
		.amdhsa_exception_fp_denorm_src 0
		.amdhsa_exception_fp_ieee_div_zero 0
		.amdhsa_exception_fp_ieee_overflow 0
		.amdhsa_exception_fp_ieee_underflow 0
		.amdhsa_exception_fp_ieee_inexact 0
		.amdhsa_exception_int_div_zero 0
	.end_amdhsa_kernel
	.section	.text._ZN7rocprim17ROCPRIM_400000_NS6detail17trampoline_kernelINS0_14default_configENS1_27scan_by_key_config_selectorIidEEZZNS1_16scan_by_key_implILNS1_25lookback_scan_determinismE0ELb1ES3_N6thrust23THRUST_200600_302600_NS6detail15normal_iteratorINS9_10device_ptrIiEEEENSB_INSC_IdEEEESG_dNS9_4plusIvEENS9_8equal_toIvEEdEE10hipError_tPvRmT2_T3_T4_T5_mT6_T7_P12ihipStream_tbENKUlT_T0_E_clISt17integral_constantIbLb1EES11_EEDaSW_SX_EUlSW_E_NS1_11comp_targetILNS1_3genE5ELNS1_11target_archE942ELNS1_3gpuE9ELNS1_3repE0EEENS1_30default_config_static_selectorELNS0_4arch9wavefront6targetE1EEEvT1_,"axG",@progbits,_ZN7rocprim17ROCPRIM_400000_NS6detail17trampoline_kernelINS0_14default_configENS1_27scan_by_key_config_selectorIidEEZZNS1_16scan_by_key_implILNS1_25lookback_scan_determinismE0ELb1ES3_N6thrust23THRUST_200600_302600_NS6detail15normal_iteratorINS9_10device_ptrIiEEEENSB_INSC_IdEEEESG_dNS9_4plusIvEENS9_8equal_toIvEEdEE10hipError_tPvRmT2_T3_T4_T5_mT6_T7_P12ihipStream_tbENKUlT_T0_E_clISt17integral_constantIbLb1EES11_EEDaSW_SX_EUlSW_E_NS1_11comp_targetILNS1_3genE5ELNS1_11target_archE942ELNS1_3gpuE9ELNS1_3repE0EEENS1_30default_config_static_selectorELNS0_4arch9wavefront6targetE1EEEvT1_,comdat
.Lfunc_end1402:
	.size	_ZN7rocprim17ROCPRIM_400000_NS6detail17trampoline_kernelINS0_14default_configENS1_27scan_by_key_config_selectorIidEEZZNS1_16scan_by_key_implILNS1_25lookback_scan_determinismE0ELb1ES3_N6thrust23THRUST_200600_302600_NS6detail15normal_iteratorINS9_10device_ptrIiEEEENSB_INSC_IdEEEESG_dNS9_4plusIvEENS9_8equal_toIvEEdEE10hipError_tPvRmT2_T3_T4_T5_mT6_T7_P12ihipStream_tbENKUlT_T0_E_clISt17integral_constantIbLb1EES11_EEDaSW_SX_EUlSW_E_NS1_11comp_targetILNS1_3genE5ELNS1_11target_archE942ELNS1_3gpuE9ELNS1_3repE0EEENS1_30default_config_static_selectorELNS0_4arch9wavefront6targetE1EEEvT1_, .Lfunc_end1402-_ZN7rocprim17ROCPRIM_400000_NS6detail17trampoline_kernelINS0_14default_configENS1_27scan_by_key_config_selectorIidEEZZNS1_16scan_by_key_implILNS1_25lookback_scan_determinismE0ELb1ES3_N6thrust23THRUST_200600_302600_NS6detail15normal_iteratorINS9_10device_ptrIiEEEENSB_INSC_IdEEEESG_dNS9_4plusIvEENS9_8equal_toIvEEdEE10hipError_tPvRmT2_T3_T4_T5_mT6_T7_P12ihipStream_tbENKUlT_T0_E_clISt17integral_constantIbLb1EES11_EEDaSW_SX_EUlSW_E_NS1_11comp_targetILNS1_3genE5ELNS1_11target_archE942ELNS1_3gpuE9ELNS1_3repE0EEENS1_30default_config_static_selectorELNS0_4arch9wavefront6targetE1EEEvT1_
                                        ; -- End function
	.section	.AMDGPU.csdata,"",@progbits
; Kernel info:
; codeLenInByte = 17408
; NumSgprs: 80
; NumVgprs: 132
; NumAgprs: 0
; TotalNumVgprs: 132
; ScratchSize: 0
; MemoryBound: 0
; FloatMode: 240
; IeeeMode: 1
; LDSByteSize: 43008 bytes/workgroup (compile time only)
; SGPRBlocks: 9
; VGPRBlocks: 16
; NumSGPRsForWavesPerEU: 80
; NumVGPRsForWavesPerEU: 132
; AccumOffset: 132
; Occupancy: 1
; WaveLimiterHint : 1
; COMPUTE_PGM_RSRC2:SCRATCH_EN: 0
; COMPUTE_PGM_RSRC2:USER_SGPR: 2
; COMPUTE_PGM_RSRC2:TRAP_HANDLER: 0
; COMPUTE_PGM_RSRC2:TGID_X_EN: 1
; COMPUTE_PGM_RSRC2:TGID_Y_EN: 0
; COMPUTE_PGM_RSRC2:TGID_Z_EN: 0
; COMPUTE_PGM_RSRC2:TIDIG_COMP_CNT: 0
; COMPUTE_PGM_RSRC3_GFX90A:ACCUM_OFFSET: 32
; COMPUTE_PGM_RSRC3_GFX90A:TG_SPLIT: 0
	.section	.text._ZN7rocprim17ROCPRIM_400000_NS6detail17trampoline_kernelINS0_14default_configENS1_27scan_by_key_config_selectorIidEEZZNS1_16scan_by_key_implILNS1_25lookback_scan_determinismE0ELb1ES3_N6thrust23THRUST_200600_302600_NS6detail15normal_iteratorINS9_10device_ptrIiEEEENSB_INSC_IdEEEESG_dNS9_4plusIvEENS9_8equal_toIvEEdEE10hipError_tPvRmT2_T3_T4_T5_mT6_T7_P12ihipStream_tbENKUlT_T0_E_clISt17integral_constantIbLb1EES11_EEDaSW_SX_EUlSW_E_NS1_11comp_targetILNS1_3genE4ELNS1_11target_archE910ELNS1_3gpuE8ELNS1_3repE0EEENS1_30default_config_static_selectorELNS0_4arch9wavefront6targetE1EEEvT1_,"axG",@progbits,_ZN7rocprim17ROCPRIM_400000_NS6detail17trampoline_kernelINS0_14default_configENS1_27scan_by_key_config_selectorIidEEZZNS1_16scan_by_key_implILNS1_25lookback_scan_determinismE0ELb1ES3_N6thrust23THRUST_200600_302600_NS6detail15normal_iteratorINS9_10device_ptrIiEEEENSB_INSC_IdEEEESG_dNS9_4plusIvEENS9_8equal_toIvEEdEE10hipError_tPvRmT2_T3_T4_T5_mT6_T7_P12ihipStream_tbENKUlT_T0_E_clISt17integral_constantIbLb1EES11_EEDaSW_SX_EUlSW_E_NS1_11comp_targetILNS1_3genE4ELNS1_11target_archE910ELNS1_3gpuE8ELNS1_3repE0EEENS1_30default_config_static_selectorELNS0_4arch9wavefront6targetE1EEEvT1_,comdat
	.protected	_ZN7rocprim17ROCPRIM_400000_NS6detail17trampoline_kernelINS0_14default_configENS1_27scan_by_key_config_selectorIidEEZZNS1_16scan_by_key_implILNS1_25lookback_scan_determinismE0ELb1ES3_N6thrust23THRUST_200600_302600_NS6detail15normal_iteratorINS9_10device_ptrIiEEEENSB_INSC_IdEEEESG_dNS9_4plusIvEENS9_8equal_toIvEEdEE10hipError_tPvRmT2_T3_T4_T5_mT6_T7_P12ihipStream_tbENKUlT_T0_E_clISt17integral_constantIbLb1EES11_EEDaSW_SX_EUlSW_E_NS1_11comp_targetILNS1_3genE4ELNS1_11target_archE910ELNS1_3gpuE8ELNS1_3repE0EEENS1_30default_config_static_selectorELNS0_4arch9wavefront6targetE1EEEvT1_ ; -- Begin function _ZN7rocprim17ROCPRIM_400000_NS6detail17trampoline_kernelINS0_14default_configENS1_27scan_by_key_config_selectorIidEEZZNS1_16scan_by_key_implILNS1_25lookback_scan_determinismE0ELb1ES3_N6thrust23THRUST_200600_302600_NS6detail15normal_iteratorINS9_10device_ptrIiEEEENSB_INSC_IdEEEESG_dNS9_4plusIvEENS9_8equal_toIvEEdEE10hipError_tPvRmT2_T3_T4_T5_mT6_T7_P12ihipStream_tbENKUlT_T0_E_clISt17integral_constantIbLb1EES11_EEDaSW_SX_EUlSW_E_NS1_11comp_targetILNS1_3genE4ELNS1_11target_archE910ELNS1_3gpuE8ELNS1_3repE0EEENS1_30default_config_static_selectorELNS0_4arch9wavefront6targetE1EEEvT1_
	.globl	_ZN7rocprim17ROCPRIM_400000_NS6detail17trampoline_kernelINS0_14default_configENS1_27scan_by_key_config_selectorIidEEZZNS1_16scan_by_key_implILNS1_25lookback_scan_determinismE0ELb1ES3_N6thrust23THRUST_200600_302600_NS6detail15normal_iteratorINS9_10device_ptrIiEEEENSB_INSC_IdEEEESG_dNS9_4plusIvEENS9_8equal_toIvEEdEE10hipError_tPvRmT2_T3_T4_T5_mT6_T7_P12ihipStream_tbENKUlT_T0_E_clISt17integral_constantIbLb1EES11_EEDaSW_SX_EUlSW_E_NS1_11comp_targetILNS1_3genE4ELNS1_11target_archE910ELNS1_3gpuE8ELNS1_3repE0EEENS1_30default_config_static_selectorELNS0_4arch9wavefront6targetE1EEEvT1_
	.p2align	8
	.type	_ZN7rocprim17ROCPRIM_400000_NS6detail17trampoline_kernelINS0_14default_configENS1_27scan_by_key_config_selectorIidEEZZNS1_16scan_by_key_implILNS1_25lookback_scan_determinismE0ELb1ES3_N6thrust23THRUST_200600_302600_NS6detail15normal_iteratorINS9_10device_ptrIiEEEENSB_INSC_IdEEEESG_dNS9_4plusIvEENS9_8equal_toIvEEdEE10hipError_tPvRmT2_T3_T4_T5_mT6_T7_P12ihipStream_tbENKUlT_T0_E_clISt17integral_constantIbLb1EES11_EEDaSW_SX_EUlSW_E_NS1_11comp_targetILNS1_3genE4ELNS1_11target_archE910ELNS1_3gpuE8ELNS1_3repE0EEENS1_30default_config_static_selectorELNS0_4arch9wavefront6targetE1EEEvT1_,@function
_ZN7rocprim17ROCPRIM_400000_NS6detail17trampoline_kernelINS0_14default_configENS1_27scan_by_key_config_selectorIidEEZZNS1_16scan_by_key_implILNS1_25lookback_scan_determinismE0ELb1ES3_N6thrust23THRUST_200600_302600_NS6detail15normal_iteratorINS9_10device_ptrIiEEEENSB_INSC_IdEEEESG_dNS9_4plusIvEENS9_8equal_toIvEEdEE10hipError_tPvRmT2_T3_T4_T5_mT6_T7_P12ihipStream_tbENKUlT_T0_E_clISt17integral_constantIbLb1EES11_EEDaSW_SX_EUlSW_E_NS1_11comp_targetILNS1_3genE4ELNS1_11target_archE910ELNS1_3gpuE8ELNS1_3repE0EEENS1_30default_config_static_selectorELNS0_4arch9wavefront6targetE1EEEvT1_: ; @_ZN7rocprim17ROCPRIM_400000_NS6detail17trampoline_kernelINS0_14default_configENS1_27scan_by_key_config_selectorIidEEZZNS1_16scan_by_key_implILNS1_25lookback_scan_determinismE0ELb1ES3_N6thrust23THRUST_200600_302600_NS6detail15normal_iteratorINS9_10device_ptrIiEEEENSB_INSC_IdEEEESG_dNS9_4plusIvEENS9_8equal_toIvEEdEE10hipError_tPvRmT2_T3_T4_T5_mT6_T7_P12ihipStream_tbENKUlT_T0_E_clISt17integral_constantIbLb1EES11_EEDaSW_SX_EUlSW_E_NS1_11comp_targetILNS1_3genE4ELNS1_11target_archE910ELNS1_3gpuE8ELNS1_3repE0EEENS1_30default_config_static_selectorELNS0_4arch9wavefront6targetE1EEEvT1_
; %bb.0:
	.section	.rodata,"a",@progbits
	.p2align	6, 0x0
	.amdhsa_kernel _ZN7rocprim17ROCPRIM_400000_NS6detail17trampoline_kernelINS0_14default_configENS1_27scan_by_key_config_selectorIidEEZZNS1_16scan_by_key_implILNS1_25lookback_scan_determinismE0ELb1ES3_N6thrust23THRUST_200600_302600_NS6detail15normal_iteratorINS9_10device_ptrIiEEEENSB_INSC_IdEEEESG_dNS9_4plusIvEENS9_8equal_toIvEEdEE10hipError_tPvRmT2_T3_T4_T5_mT6_T7_P12ihipStream_tbENKUlT_T0_E_clISt17integral_constantIbLb1EES11_EEDaSW_SX_EUlSW_E_NS1_11comp_targetILNS1_3genE4ELNS1_11target_archE910ELNS1_3gpuE8ELNS1_3repE0EEENS1_30default_config_static_selectorELNS0_4arch9wavefront6targetE1EEEvT1_
		.amdhsa_group_segment_fixed_size 0
		.amdhsa_private_segment_fixed_size 0
		.amdhsa_kernarg_size 136
		.amdhsa_user_sgpr_count 2
		.amdhsa_user_sgpr_dispatch_ptr 0
		.amdhsa_user_sgpr_queue_ptr 0
		.amdhsa_user_sgpr_kernarg_segment_ptr 1
		.amdhsa_user_sgpr_dispatch_id 0
		.amdhsa_user_sgpr_kernarg_preload_length 0
		.amdhsa_user_sgpr_kernarg_preload_offset 0
		.amdhsa_user_sgpr_private_segment_size 0
		.amdhsa_uses_dynamic_stack 0
		.amdhsa_enable_private_segment 0
		.amdhsa_system_sgpr_workgroup_id_x 1
		.amdhsa_system_sgpr_workgroup_id_y 0
		.amdhsa_system_sgpr_workgroup_id_z 0
		.amdhsa_system_sgpr_workgroup_info 0
		.amdhsa_system_vgpr_workitem_id 0
		.amdhsa_next_free_vgpr 1
		.amdhsa_next_free_sgpr 0
		.amdhsa_accum_offset 4
		.amdhsa_reserve_vcc 0
		.amdhsa_float_round_mode_32 0
		.amdhsa_float_round_mode_16_64 0
		.amdhsa_float_denorm_mode_32 3
		.amdhsa_float_denorm_mode_16_64 3
		.amdhsa_dx10_clamp 1
		.amdhsa_ieee_mode 1
		.amdhsa_fp16_overflow 0
		.amdhsa_tg_split 0
		.amdhsa_exception_fp_ieee_invalid_op 0
		.amdhsa_exception_fp_denorm_src 0
		.amdhsa_exception_fp_ieee_div_zero 0
		.amdhsa_exception_fp_ieee_overflow 0
		.amdhsa_exception_fp_ieee_underflow 0
		.amdhsa_exception_fp_ieee_inexact 0
		.amdhsa_exception_int_div_zero 0
	.end_amdhsa_kernel
	.section	.text._ZN7rocprim17ROCPRIM_400000_NS6detail17trampoline_kernelINS0_14default_configENS1_27scan_by_key_config_selectorIidEEZZNS1_16scan_by_key_implILNS1_25lookback_scan_determinismE0ELb1ES3_N6thrust23THRUST_200600_302600_NS6detail15normal_iteratorINS9_10device_ptrIiEEEENSB_INSC_IdEEEESG_dNS9_4plusIvEENS9_8equal_toIvEEdEE10hipError_tPvRmT2_T3_T4_T5_mT6_T7_P12ihipStream_tbENKUlT_T0_E_clISt17integral_constantIbLb1EES11_EEDaSW_SX_EUlSW_E_NS1_11comp_targetILNS1_3genE4ELNS1_11target_archE910ELNS1_3gpuE8ELNS1_3repE0EEENS1_30default_config_static_selectorELNS0_4arch9wavefront6targetE1EEEvT1_,"axG",@progbits,_ZN7rocprim17ROCPRIM_400000_NS6detail17trampoline_kernelINS0_14default_configENS1_27scan_by_key_config_selectorIidEEZZNS1_16scan_by_key_implILNS1_25lookback_scan_determinismE0ELb1ES3_N6thrust23THRUST_200600_302600_NS6detail15normal_iteratorINS9_10device_ptrIiEEEENSB_INSC_IdEEEESG_dNS9_4plusIvEENS9_8equal_toIvEEdEE10hipError_tPvRmT2_T3_T4_T5_mT6_T7_P12ihipStream_tbENKUlT_T0_E_clISt17integral_constantIbLb1EES11_EEDaSW_SX_EUlSW_E_NS1_11comp_targetILNS1_3genE4ELNS1_11target_archE910ELNS1_3gpuE8ELNS1_3repE0EEENS1_30default_config_static_selectorELNS0_4arch9wavefront6targetE1EEEvT1_,comdat
.Lfunc_end1403:
	.size	_ZN7rocprim17ROCPRIM_400000_NS6detail17trampoline_kernelINS0_14default_configENS1_27scan_by_key_config_selectorIidEEZZNS1_16scan_by_key_implILNS1_25lookback_scan_determinismE0ELb1ES3_N6thrust23THRUST_200600_302600_NS6detail15normal_iteratorINS9_10device_ptrIiEEEENSB_INSC_IdEEEESG_dNS9_4plusIvEENS9_8equal_toIvEEdEE10hipError_tPvRmT2_T3_T4_T5_mT6_T7_P12ihipStream_tbENKUlT_T0_E_clISt17integral_constantIbLb1EES11_EEDaSW_SX_EUlSW_E_NS1_11comp_targetILNS1_3genE4ELNS1_11target_archE910ELNS1_3gpuE8ELNS1_3repE0EEENS1_30default_config_static_selectorELNS0_4arch9wavefront6targetE1EEEvT1_, .Lfunc_end1403-_ZN7rocprim17ROCPRIM_400000_NS6detail17trampoline_kernelINS0_14default_configENS1_27scan_by_key_config_selectorIidEEZZNS1_16scan_by_key_implILNS1_25lookback_scan_determinismE0ELb1ES3_N6thrust23THRUST_200600_302600_NS6detail15normal_iteratorINS9_10device_ptrIiEEEENSB_INSC_IdEEEESG_dNS9_4plusIvEENS9_8equal_toIvEEdEE10hipError_tPvRmT2_T3_T4_T5_mT6_T7_P12ihipStream_tbENKUlT_T0_E_clISt17integral_constantIbLb1EES11_EEDaSW_SX_EUlSW_E_NS1_11comp_targetILNS1_3genE4ELNS1_11target_archE910ELNS1_3gpuE8ELNS1_3repE0EEENS1_30default_config_static_selectorELNS0_4arch9wavefront6targetE1EEEvT1_
                                        ; -- End function
	.section	.AMDGPU.csdata,"",@progbits
; Kernel info:
; codeLenInByte = 0
; NumSgprs: 6
; NumVgprs: 0
; NumAgprs: 0
; TotalNumVgprs: 0
; ScratchSize: 0
; MemoryBound: 0
; FloatMode: 240
; IeeeMode: 1
; LDSByteSize: 0 bytes/workgroup (compile time only)
; SGPRBlocks: 0
; VGPRBlocks: 0
; NumSGPRsForWavesPerEU: 6
; NumVGPRsForWavesPerEU: 1
; AccumOffset: 4
; Occupancy: 8
; WaveLimiterHint : 0
; COMPUTE_PGM_RSRC2:SCRATCH_EN: 0
; COMPUTE_PGM_RSRC2:USER_SGPR: 2
; COMPUTE_PGM_RSRC2:TRAP_HANDLER: 0
; COMPUTE_PGM_RSRC2:TGID_X_EN: 1
; COMPUTE_PGM_RSRC2:TGID_Y_EN: 0
; COMPUTE_PGM_RSRC2:TGID_Z_EN: 0
; COMPUTE_PGM_RSRC2:TIDIG_COMP_CNT: 0
; COMPUTE_PGM_RSRC3_GFX90A:ACCUM_OFFSET: 0
; COMPUTE_PGM_RSRC3_GFX90A:TG_SPLIT: 0
	.section	.text._ZN7rocprim17ROCPRIM_400000_NS6detail17trampoline_kernelINS0_14default_configENS1_27scan_by_key_config_selectorIidEEZZNS1_16scan_by_key_implILNS1_25lookback_scan_determinismE0ELb1ES3_N6thrust23THRUST_200600_302600_NS6detail15normal_iteratorINS9_10device_ptrIiEEEENSB_INSC_IdEEEESG_dNS9_4plusIvEENS9_8equal_toIvEEdEE10hipError_tPvRmT2_T3_T4_T5_mT6_T7_P12ihipStream_tbENKUlT_T0_E_clISt17integral_constantIbLb1EES11_EEDaSW_SX_EUlSW_E_NS1_11comp_targetILNS1_3genE3ELNS1_11target_archE908ELNS1_3gpuE7ELNS1_3repE0EEENS1_30default_config_static_selectorELNS0_4arch9wavefront6targetE1EEEvT1_,"axG",@progbits,_ZN7rocprim17ROCPRIM_400000_NS6detail17trampoline_kernelINS0_14default_configENS1_27scan_by_key_config_selectorIidEEZZNS1_16scan_by_key_implILNS1_25lookback_scan_determinismE0ELb1ES3_N6thrust23THRUST_200600_302600_NS6detail15normal_iteratorINS9_10device_ptrIiEEEENSB_INSC_IdEEEESG_dNS9_4plusIvEENS9_8equal_toIvEEdEE10hipError_tPvRmT2_T3_T4_T5_mT6_T7_P12ihipStream_tbENKUlT_T0_E_clISt17integral_constantIbLb1EES11_EEDaSW_SX_EUlSW_E_NS1_11comp_targetILNS1_3genE3ELNS1_11target_archE908ELNS1_3gpuE7ELNS1_3repE0EEENS1_30default_config_static_selectorELNS0_4arch9wavefront6targetE1EEEvT1_,comdat
	.protected	_ZN7rocprim17ROCPRIM_400000_NS6detail17trampoline_kernelINS0_14default_configENS1_27scan_by_key_config_selectorIidEEZZNS1_16scan_by_key_implILNS1_25lookback_scan_determinismE0ELb1ES3_N6thrust23THRUST_200600_302600_NS6detail15normal_iteratorINS9_10device_ptrIiEEEENSB_INSC_IdEEEESG_dNS9_4plusIvEENS9_8equal_toIvEEdEE10hipError_tPvRmT2_T3_T4_T5_mT6_T7_P12ihipStream_tbENKUlT_T0_E_clISt17integral_constantIbLb1EES11_EEDaSW_SX_EUlSW_E_NS1_11comp_targetILNS1_3genE3ELNS1_11target_archE908ELNS1_3gpuE7ELNS1_3repE0EEENS1_30default_config_static_selectorELNS0_4arch9wavefront6targetE1EEEvT1_ ; -- Begin function _ZN7rocprim17ROCPRIM_400000_NS6detail17trampoline_kernelINS0_14default_configENS1_27scan_by_key_config_selectorIidEEZZNS1_16scan_by_key_implILNS1_25lookback_scan_determinismE0ELb1ES3_N6thrust23THRUST_200600_302600_NS6detail15normal_iteratorINS9_10device_ptrIiEEEENSB_INSC_IdEEEESG_dNS9_4plusIvEENS9_8equal_toIvEEdEE10hipError_tPvRmT2_T3_T4_T5_mT6_T7_P12ihipStream_tbENKUlT_T0_E_clISt17integral_constantIbLb1EES11_EEDaSW_SX_EUlSW_E_NS1_11comp_targetILNS1_3genE3ELNS1_11target_archE908ELNS1_3gpuE7ELNS1_3repE0EEENS1_30default_config_static_selectorELNS0_4arch9wavefront6targetE1EEEvT1_
	.globl	_ZN7rocprim17ROCPRIM_400000_NS6detail17trampoline_kernelINS0_14default_configENS1_27scan_by_key_config_selectorIidEEZZNS1_16scan_by_key_implILNS1_25lookback_scan_determinismE0ELb1ES3_N6thrust23THRUST_200600_302600_NS6detail15normal_iteratorINS9_10device_ptrIiEEEENSB_INSC_IdEEEESG_dNS9_4plusIvEENS9_8equal_toIvEEdEE10hipError_tPvRmT2_T3_T4_T5_mT6_T7_P12ihipStream_tbENKUlT_T0_E_clISt17integral_constantIbLb1EES11_EEDaSW_SX_EUlSW_E_NS1_11comp_targetILNS1_3genE3ELNS1_11target_archE908ELNS1_3gpuE7ELNS1_3repE0EEENS1_30default_config_static_selectorELNS0_4arch9wavefront6targetE1EEEvT1_
	.p2align	8
	.type	_ZN7rocprim17ROCPRIM_400000_NS6detail17trampoline_kernelINS0_14default_configENS1_27scan_by_key_config_selectorIidEEZZNS1_16scan_by_key_implILNS1_25lookback_scan_determinismE0ELb1ES3_N6thrust23THRUST_200600_302600_NS6detail15normal_iteratorINS9_10device_ptrIiEEEENSB_INSC_IdEEEESG_dNS9_4plusIvEENS9_8equal_toIvEEdEE10hipError_tPvRmT2_T3_T4_T5_mT6_T7_P12ihipStream_tbENKUlT_T0_E_clISt17integral_constantIbLb1EES11_EEDaSW_SX_EUlSW_E_NS1_11comp_targetILNS1_3genE3ELNS1_11target_archE908ELNS1_3gpuE7ELNS1_3repE0EEENS1_30default_config_static_selectorELNS0_4arch9wavefront6targetE1EEEvT1_,@function
_ZN7rocprim17ROCPRIM_400000_NS6detail17trampoline_kernelINS0_14default_configENS1_27scan_by_key_config_selectorIidEEZZNS1_16scan_by_key_implILNS1_25lookback_scan_determinismE0ELb1ES3_N6thrust23THRUST_200600_302600_NS6detail15normal_iteratorINS9_10device_ptrIiEEEENSB_INSC_IdEEEESG_dNS9_4plusIvEENS9_8equal_toIvEEdEE10hipError_tPvRmT2_T3_T4_T5_mT6_T7_P12ihipStream_tbENKUlT_T0_E_clISt17integral_constantIbLb1EES11_EEDaSW_SX_EUlSW_E_NS1_11comp_targetILNS1_3genE3ELNS1_11target_archE908ELNS1_3gpuE7ELNS1_3repE0EEENS1_30default_config_static_selectorELNS0_4arch9wavefront6targetE1EEEvT1_: ; @_ZN7rocprim17ROCPRIM_400000_NS6detail17trampoline_kernelINS0_14default_configENS1_27scan_by_key_config_selectorIidEEZZNS1_16scan_by_key_implILNS1_25lookback_scan_determinismE0ELb1ES3_N6thrust23THRUST_200600_302600_NS6detail15normal_iteratorINS9_10device_ptrIiEEEENSB_INSC_IdEEEESG_dNS9_4plusIvEENS9_8equal_toIvEEdEE10hipError_tPvRmT2_T3_T4_T5_mT6_T7_P12ihipStream_tbENKUlT_T0_E_clISt17integral_constantIbLb1EES11_EEDaSW_SX_EUlSW_E_NS1_11comp_targetILNS1_3genE3ELNS1_11target_archE908ELNS1_3gpuE7ELNS1_3repE0EEENS1_30default_config_static_selectorELNS0_4arch9wavefront6targetE1EEEvT1_
; %bb.0:
	.section	.rodata,"a",@progbits
	.p2align	6, 0x0
	.amdhsa_kernel _ZN7rocprim17ROCPRIM_400000_NS6detail17trampoline_kernelINS0_14default_configENS1_27scan_by_key_config_selectorIidEEZZNS1_16scan_by_key_implILNS1_25lookback_scan_determinismE0ELb1ES3_N6thrust23THRUST_200600_302600_NS6detail15normal_iteratorINS9_10device_ptrIiEEEENSB_INSC_IdEEEESG_dNS9_4plusIvEENS9_8equal_toIvEEdEE10hipError_tPvRmT2_T3_T4_T5_mT6_T7_P12ihipStream_tbENKUlT_T0_E_clISt17integral_constantIbLb1EES11_EEDaSW_SX_EUlSW_E_NS1_11comp_targetILNS1_3genE3ELNS1_11target_archE908ELNS1_3gpuE7ELNS1_3repE0EEENS1_30default_config_static_selectorELNS0_4arch9wavefront6targetE1EEEvT1_
		.amdhsa_group_segment_fixed_size 0
		.amdhsa_private_segment_fixed_size 0
		.amdhsa_kernarg_size 136
		.amdhsa_user_sgpr_count 2
		.amdhsa_user_sgpr_dispatch_ptr 0
		.amdhsa_user_sgpr_queue_ptr 0
		.amdhsa_user_sgpr_kernarg_segment_ptr 1
		.amdhsa_user_sgpr_dispatch_id 0
		.amdhsa_user_sgpr_kernarg_preload_length 0
		.amdhsa_user_sgpr_kernarg_preload_offset 0
		.amdhsa_user_sgpr_private_segment_size 0
		.amdhsa_uses_dynamic_stack 0
		.amdhsa_enable_private_segment 0
		.amdhsa_system_sgpr_workgroup_id_x 1
		.amdhsa_system_sgpr_workgroup_id_y 0
		.amdhsa_system_sgpr_workgroup_id_z 0
		.amdhsa_system_sgpr_workgroup_info 0
		.amdhsa_system_vgpr_workitem_id 0
		.amdhsa_next_free_vgpr 1
		.amdhsa_next_free_sgpr 0
		.amdhsa_accum_offset 4
		.amdhsa_reserve_vcc 0
		.amdhsa_float_round_mode_32 0
		.amdhsa_float_round_mode_16_64 0
		.amdhsa_float_denorm_mode_32 3
		.amdhsa_float_denorm_mode_16_64 3
		.amdhsa_dx10_clamp 1
		.amdhsa_ieee_mode 1
		.amdhsa_fp16_overflow 0
		.amdhsa_tg_split 0
		.amdhsa_exception_fp_ieee_invalid_op 0
		.amdhsa_exception_fp_denorm_src 0
		.amdhsa_exception_fp_ieee_div_zero 0
		.amdhsa_exception_fp_ieee_overflow 0
		.amdhsa_exception_fp_ieee_underflow 0
		.amdhsa_exception_fp_ieee_inexact 0
		.amdhsa_exception_int_div_zero 0
	.end_amdhsa_kernel
	.section	.text._ZN7rocprim17ROCPRIM_400000_NS6detail17trampoline_kernelINS0_14default_configENS1_27scan_by_key_config_selectorIidEEZZNS1_16scan_by_key_implILNS1_25lookback_scan_determinismE0ELb1ES3_N6thrust23THRUST_200600_302600_NS6detail15normal_iteratorINS9_10device_ptrIiEEEENSB_INSC_IdEEEESG_dNS9_4plusIvEENS9_8equal_toIvEEdEE10hipError_tPvRmT2_T3_T4_T5_mT6_T7_P12ihipStream_tbENKUlT_T0_E_clISt17integral_constantIbLb1EES11_EEDaSW_SX_EUlSW_E_NS1_11comp_targetILNS1_3genE3ELNS1_11target_archE908ELNS1_3gpuE7ELNS1_3repE0EEENS1_30default_config_static_selectorELNS0_4arch9wavefront6targetE1EEEvT1_,"axG",@progbits,_ZN7rocprim17ROCPRIM_400000_NS6detail17trampoline_kernelINS0_14default_configENS1_27scan_by_key_config_selectorIidEEZZNS1_16scan_by_key_implILNS1_25lookback_scan_determinismE0ELb1ES3_N6thrust23THRUST_200600_302600_NS6detail15normal_iteratorINS9_10device_ptrIiEEEENSB_INSC_IdEEEESG_dNS9_4plusIvEENS9_8equal_toIvEEdEE10hipError_tPvRmT2_T3_T4_T5_mT6_T7_P12ihipStream_tbENKUlT_T0_E_clISt17integral_constantIbLb1EES11_EEDaSW_SX_EUlSW_E_NS1_11comp_targetILNS1_3genE3ELNS1_11target_archE908ELNS1_3gpuE7ELNS1_3repE0EEENS1_30default_config_static_selectorELNS0_4arch9wavefront6targetE1EEEvT1_,comdat
.Lfunc_end1404:
	.size	_ZN7rocprim17ROCPRIM_400000_NS6detail17trampoline_kernelINS0_14default_configENS1_27scan_by_key_config_selectorIidEEZZNS1_16scan_by_key_implILNS1_25lookback_scan_determinismE0ELb1ES3_N6thrust23THRUST_200600_302600_NS6detail15normal_iteratorINS9_10device_ptrIiEEEENSB_INSC_IdEEEESG_dNS9_4plusIvEENS9_8equal_toIvEEdEE10hipError_tPvRmT2_T3_T4_T5_mT6_T7_P12ihipStream_tbENKUlT_T0_E_clISt17integral_constantIbLb1EES11_EEDaSW_SX_EUlSW_E_NS1_11comp_targetILNS1_3genE3ELNS1_11target_archE908ELNS1_3gpuE7ELNS1_3repE0EEENS1_30default_config_static_selectorELNS0_4arch9wavefront6targetE1EEEvT1_, .Lfunc_end1404-_ZN7rocprim17ROCPRIM_400000_NS6detail17trampoline_kernelINS0_14default_configENS1_27scan_by_key_config_selectorIidEEZZNS1_16scan_by_key_implILNS1_25lookback_scan_determinismE0ELb1ES3_N6thrust23THRUST_200600_302600_NS6detail15normal_iteratorINS9_10device_ptrIiEEEENSB_INSC_IdEEEESG_dNS9_4plusIvEENS9_8equal_toIvEEdEE10hipError_tPvRmT2_T3_T4_T5_mT6_T7_P12ihipStream_tbENKUlT_T0_E_clISt17integral_constantIbLb1EES11_EEDaSW_SX_EUlSW_E_NS1_11comp_targetILNS1_3genE3ELNS1_11target_archE908ELNS1_3gpuE7ELNS1_3repE0EEENS1_30default_config_static_selectorELNS0_4arch9wavefront6targetE1EEEvT1_
                                        ; -- End function
	.section	.AMDGPU.csdata,"",@progbits
; Kernel info:
; codeLenInByte = 0
; NumSgprs: 6
; NumVgprs: 0
; NumAgprs: 0
; TotalNumVgprs: 0
; ScratchSize: 0
; MemoryBound: 0
; FloatMode: 240
; IeeeMode: 1
; LDSByteSize: 0 bytes/workgroup (compile time only)
; SGPRBlocks: 0
; VGPRBlocks: 0
; NumSGPRsForWavesPerEU: 6
; NumVGPRsForWavesPerEU: 1
; AccumOffset: 4
; Occupancy: 8
; WaveLimiterHint : 0
; COMPUTE_PGM_RSRC2:SCRATCH_EN: 0
; COMPUTE_PGM_RSRC2:USER_SGPR: 2
; COMPUTE_PGM_RSRC2:TRAP_HANDLER: 0
; COMPUTE_PGM_RSRC2:TGID_X_EN: 1
; COMPUTE_PGM_RSRC2:TGID_Y_EN: 0
; COMPUTE_PGM_RSRC2:TGID_Z_EN: 0
; COMPUTE_PGM_RSRC2:TIDIG_COMP_CNT: 0
; COMPUTE_PGM_RSRC3_GFX90A:ACCUM_OFFSET: 0
; COMPUTE_PGM_RSRC3_GFX90A:TG_SPLIT: 0
	.section	.text._ZN7rocprim17ROCPRIM_400000_NS6detail17trampoline_kernelINS0_14default_configENS1_27scan_by_key_config_selectorIidEEZZNS1_16scan_by_key_implILNS1_25lookback_scan_determinismE0ELb1ES3_N6thrust23THRUST_200600_302600_NS6detail15normal_iteratorINS9_10device_ptrIiEEEENSB_INSC_IdEEEESG_dNS9_4plusIvEENS9_8equal_toIvEEdEE10hipError_tPvRmT2_T3_T4_T5_mT6_T7_P12ihipStream_tbENKUlT_T0_E_clISt17integral_constantIbLb1EES11_EEDaSW_SX_EUlSW_E_NS1_11comp_targetILNS1_3genE2ELNS1_11target_archE906ELNS1_3gpuE6ELNS1_3repE0EEENS1_30default_config_static_selectorELNS0_4arch9wavefront6targetE1EEEvT1_,"axG",@progbits,_ZN7rocprim17ROCPRIM_400000_NS6detail17trampoline_kernelINS0_14default_configENS1_27scan_by_key_config_selectorIidEEZZNS1_16scan_by_key_implILNS1_25lookback_scan_determinismE0ELb1ES3_N6thrust23THRUST_200600_302600_NS6detail15normal_iteratorINS9_10device_ptrIiEEEENSB_INSC_IdEEEESG_dNS9_4plusIvEENS9_8equal_toIvEEdEE10hipError_tPvRmT2_T3_T4_T5_mT6_T7_P12ihipStream_tbENKUlT_T0_E_clISt17integral_constantIbLb1EES11_EEDaSW_SX_EUlSW_E_NS1_11comp_targetILNS1_3genE2ELNS1_11target_archE906ELNS1_3gpuE6ELNS1_3repE0EEENS1_30default_config_static_selectorELNS0_4arch9wavefront6targetE1EEEvT1_,comdat
	.protected	_ZN7rocprim17ROCPRIM_400000_NS6detail17trampoline_kernelINS0_14default_configENS1_27scan_by_key_config_selectorIidEEZZNS1_16scan_by_key_implILNS1_25lookback_scan_determinismE0ELb1ES3_N6thrust23THRUST_200600_302600_NS6detail15normal_iteratorINS9_10device_ptrIiEEEENSB_INSC_IdEEEESG_dNS9_4plusIvEENS9_8equal_toIvEEdEE10hipError_tPvRmT2_T3_T4_T5_mT6_T7_P12ihipStream_tbENKUlT_T0_E_clISt17integral_constantIbLb1EES11_EEDaSW_SX_EUlSW_E_NS1_11comp_targetILNS1_3genE2ELNS1_11target_archE906ELNS1_3gpuE6ELNS1_3repE0EEENS1_30default_config_static_selectorELNS0_4arch9wavefront6targetE1EEEvT1_ ; -- Begin function _ZN7rocprim17ROCPRIM_400000_NS6detail17trampoline_kernelINS0_14default_configENS1_27scan_by_key_config_selectorIidEEZZNS1_16scan_by_key_implILNS1_25lookback_scan_determinismE0ELb1ES3_N6thrust23THRUST_200600_302600_NS6detail15normal_iteratorINS9_10device_ptrIiEEEENSB_INSC_IdEEEESG_dNS9_4plusIvEENS9_8equal_toIvEEdEE10hipError_tPvRmT2_T3_T4_T5_mT6_T7_P12ihipStream_tbENKUlT_T0_E_clISt17integral_constantIbLb1EES11_EEDaSW_SX_EUlSW_E_NS1_11comp_targetILNS1_3genE2ELNS1_11target_archE906ELNS1_3gpuE6ELNS1_3repE0EEENS1_30default_config_static_selectorELNS0_4arch9wavefront6targetE1EEEvT1_
	.globl	_ZN7rocprim17ROCPRIM_400000_NS6detail17trampoline_kernelINS0_14default_configENS1_27scan_by_key_config_selectorIidEEZZNS1_16scan_by_key_implILNS1_25lookback_scan_determinismE0ELb1ES3_N6thrust23THRUST_200600_302600_NS6detail15normal_iteratorINS9_10device_ptrIiEEEENSB_INSC_IdEEEESG_dNS9_4plusIvEENS9_8equal_toIvEEdEE10hipError_tPvRmT2_T3_T4_T5_mT6_T7_P12ihipStream_tbENKUlT_T0_E_clISt17integral_constantIbLb1EES11_EEDaSW_SX_EUlSW_E_NS1_11comp_targetILNS1_3genE2ELNS1_11target_archE906ELNS1_3gpuE6ELNS1_3repE0EEENS1_30default_config_static_selectorELNS0_4arch9wavefront6targetE1EEEvT1_
	.p2align	8
	.type	_ZN7rocprim17ROCPRIM_400000_NS6detail17trampoline_kernelINS0_14default_configENS1_27scan_by_key_config_selectorIidEEZZNS1_16scan_by_key_implILNS1_25lookback_scan_determinismE0ELb1ES3_N6thrust23THRUST_200600_302600_NS6detail15normal_iteratorINS9_10device_ptrIiEEEENSB_INSC_IdEEEESG_dNS9_4plusIvEENS9_8equal_toIvEEdEE10hipError_tPvRmT2_T3_T4_T5_mT6_T7_P12ihipStream_tbENKUlT_T0_E_clISt17integral_constantIbLb1EES11_EEDaSW_SX_EUlSW_E_NS1_11comp_targetILNS1_3genE2ELNS1_11target_archE906ELNS1_3gpuE6ELNS1_3repE0EEENS1_30default_config_static_selectorELNS0_4arch9wavefront6targetE1EEEvT1_,@function
_ZN7rocprim17ROCPRIM_400000_NS6detail17trampoline_kernelINS0_14default_configENS1_27scan_by_key_config_selectorIidEEZZNS1_16scan_by_key_implILNS1_25lookback_scan_determinismE0ELb1ES3_N6thrust23THRUST_200600_302600_NS6detail15normal_iteratorINS9_10device_ptrIiEEEENSB_INSC_IdEEEESG_dNS9_4plusIvEENS9_8equal_toIvEEdEE10hipError_tPvRmT2_T3_T4_T5_mT6_T7_P12ihipStream_tbENKUlT_T0_E_clISt17integral_constantIbLb1EES11_EEDaSW_SX_EUlSW_E_NS1_11comp_targetILNS1_3genE2ELNS1_11target_archE906ELNS1_3gpuE6ELNS1_3repE0EEENS1_30default_config_static_selectorELNS0_4arch9wavefront6targetE1EEEvT1_: ; @_ZN7rocprim17ROCPRIM_400000_NS6detail17trampoline_kernelINS0_14default_configENS1_27scan_by_key_config_selectorIidEEZZNS1_16scan_by_key_implILNS1_25lookback_scan_determinismE0ELb1ES3_N6thrust23THRUST_200600_302600_NS6detail15normal_iteratorINS9_10device_ptrIiEEEENSB_INSC_IdEEEESG_dNS9_4plusIvEENS9_8equal_toIvEEdEE10hipError_tPvRmT2_T3_T4_T5_mT6_T7_P12ihipStream_tbENKUlT_T0_E_clISt17integral_constantIbLb1EES11_EEDaSW_SX_EUlSW_E_NS1_11comp_targetILNS1_3genE2ELNS1_11target_archE906ELNS1_3gpuE6ELNS1_3repE0EEENS1_30default_config_static_selectorELNS0_4arch9wavefront6targetE1EEEvT1_
; %bb.0:
	.section	.rodata,"a",@progbits
	.p2align	6, 0x0
	.amdhsa_kernel _ZN7rocprim17ROCPRIM_400000_NS6detail17trampoline_kernelINS0_14default_configENS1_27scan_by_key_config_selectorIidEEZZNS1_16scan_by_key_implILNS1_25lookback_scan_determinismE0ELb1ES3_N6thrust23THRUST_200600_302600_NS6detail15normal_iteratorINS9_10device_ptrIiEEEENSB_INSC_IdEEEESG_dNS9_4plusIvEENS9_8equal_toIvEEdEE10hipError_tPvRmT2_T3_T4_T5_mT6_T7_P12ihipStream_tbENKUlT_T0_E_clISt17integral_constantIbLb1EES11_EEDaSW_SX_EUlSW_E_NS1_11comp_targetILNS1_3genE2ELNS1_11target_archE906ELNS1_3gpuE6ELNS1_3repE0EEENS1_30default_config_static_selectorELNS0_4arch9wavefront6targetE1EEEvT1_
		.amdhsa_group_segment_fixed_size 0
		.amdhsa_private_segment_fixed_size 0
		.amdhsa_kernarg_size 136
		.amdhsa_user_sgpr_count 2
		.amdhsa_user_sgpr_dispatch_ptr 0
		.amdhsa_user_sgpr_queue_ptr 0
		.amdhsa_user_sgpr_kernarg_segment_ptr 1
		.amdhsa_user_sgpr_dispatch_id 0
		.amdhsa_user_sgpr_kernarg_preload_length 0
		.amdhsa_user_sgpr_kernarg_preload_offset 0
		.amdhsa_user_sgpr_private_segment_size 0
		.amdhsa_uses_dynamic_stack 0
		.amdhsa_enable_private_segment 0
		.amdhsa_system_sgpr_workgroup_id_x 1
		.amdhsa_system_sgpr_workgroup_id_y 0
		.amdhsa_system_sgpr_workgroup_id_z 0
		.amdhsa_system_sgpr_workgroup_info 0
		.amdhsa_system_vgpr_workitem_id 0
		.amdhsa_next_free_vgpr 1
		.amdhsa_next_free_sgpr 0
		.amdhsa_accum_offset 4
		.amdhsa_reserve_vcc 0
		.amdhsa_float_round_mode_32 0
		.amdhsa_float_round_mode_16_64 0
		.amdhsa_float_denorm_mode_32 3
		.amdhsa_float_denorm_mode_16_64 3
		.amdhsa_dx10_clamp 1
		.amdhsa_ieee_mode 1
		.amdhsa_fp16_overflow 0
		.amdhsa_tg_split 0
		.amdhsa_exception_fp_ieee_invalid_op 0
		.amdhsa_exception_fp_denorm_src 0
		.amdhsa_exception_fp_ieee_div_zero 0
		.amdhsa_exception_fp_ieee_overflow 0
		.amdhsa_exception_fp_ieee_underflow 0
		.amdhsa_exception_fp_ieee_inexact 0
		.amdhsa_exception_int_div_zero 0
	.end_amdhsa_kernel
	.section	.text._ZN7rocprim17ROCPRIM_400000_NS6detail17trampoline_kernelINS0_14default_configENS1_27scan_by_key_config_selectorIidEEZZNS1_16scan_by_key_implILNS1_25lookback_scan_determinismE0ELb1ES3_N6thrust23THRUST_200600_302600_NS6detail15normal_iteratorINS9_10device_ptrIiEEEENSB_INSC_IdEEEESG_dNS9_4plusIvEENS9_8equal_toIvEEdEE10hipError_tPvRmT2_T3_T4_T5_mT6_T7_P12ihipStream_tbENKUlT_T0_E_clISt17integral_constantIbLb1EES11_EEDaSW_SX_EUlSW_E_NS1_11comp_targetILNS1_3genE2ELNS1_11target_archE906ELNS1_3gpuE6ELNS1_3repE0EEENS1_30default_config_static_selectorELNS0_4arch9wavefront6targetE1EEEvT1_,"axG",@progbits,_ZN7rocprim17ROCPRIM_400000_NS6detail17trampoline_kernelINS0_14default_configENS1_27scan_by_key_config_selectorIidEEZZNS1_16scan_by_key_implILNS1_25lookback_scan_determinismE0ELb1ES3_N6thrust23THRUST_200600_302600_NS6detail15normal_iteratorINS9_10device_ptrIiEEEENSB_INSC_IdEEEESG_dNS9_4plusIvEENS9_8equal_toIvEEdEE10hipError_tPvRmT2_T3_T4_T5_mT6_T7_P12ihipStream_tbENKUlT_T0_E_clISt17integral_constantIbLb1EES11_EEDaSW_SX_EUlSW_E_NS1_11comp_targetILNS1_3genE2ELNS1_11target_archE906ELNS1_3gpuE6ELNS1_3repE0EEENS1_30default_config_static_selectorELNS0_4arch9wavefront6targetE1EEEvT1_,comdat
.Lfunc_end1405:
	.size	_ZN7rocprim17ROCPRIM_400000_NS6detail17trampoline_kernelINS0_14default_configENS1_27scan_by_key_config_selectorIidEEZZNS1_16scan_by_key_implILNS1_25lookback_scan_determinismE0ELb1ES3_N6thrust23THRUST_200600_302600_NS6detail15normal_iteratorINS9_10device_ptrIiEEEENSB_INSC_IdEEEESG_dNS9_4plusIvEENS9_8equal_toIvEEdEE10hipError_tPvRmT2_T3_T4_T5_mT6_T7_P12ihipStream_tbENKUlT_T0_E_clISt17integral_constantIbLb1EES11_EEDaSW_SX_EUlSW_E_NS1_11comp_targetILNS1_3genE2ELNS1_11target_archE906ELNS1_3gpuE6ELNS1_3repE0EEENS1_30default_config_static_selectorELNS0_4arch9wavefront6targetE1EEEvT1_, .Lfunc_end1405-_ZN7rocprim17ROCPRIM_400000_NS6detail17trampoline_kernelINS0_14default_configENS1_27scan_by_key_config_selectorIidEEZZNS1_16scan_by_key_implILNS1_25lookback_scan_determinismE0ELb1ES3_N6thrust23THRUST_200600_302600_NS6detail15normal_iteratorINS9_10device_ptrIiEEEENSB_INSC_IdEEEESG_dNS9_4plusIvEENS9_8equal_toIvEEdEE10hipError_tPvRmT2_T3_T4_T5_mT6_T7_P12ihipStream_tbENKUlT_T0_E_clISt17integral_constantIbLb1EES11_EEDaSW_SX_EUlSW_E_NS1_11comp_targetILNS1_3genE2ELNS1_11target_archE906ELNS1_3gpuE6ELNS1_3repE0EEENS1_30default_config_static_selectorELNS0_4arch9wavefront6targetE1EEEvT1_
                                        ; -- End function
	.section	.AMDGPU.csdata,"",@progbits
; Kernel info:
; codeLenInByte = 0
; NumSgprs: 6
; NumVgprs: 0
; NumAgprs: 0
; TotalNumVgprs: 0
; ScratchSize: 0
; MemoryBound: 0
; FloatMode: 240
; IeeeMode: 1
; LDSByteSize: 0 bytes/workgroup (compile time only)
; SGPRBlocks: 0
; VGPRBlocks: 0
; NumSGPRsForWavesPerEU: 6
; NumVGPRsForWavesPerEU: 1
; AccumOffset: 4
; Occupancy: 8
; WaveLimiterHint : 0
; COMPUTE_PGM_RSRC2:SCRATCH_EN: 0
; COMPUTE_PGM_RSRC2:USER_SGPR: 2
; COMPUTE_PGM_RSRC2:TRAP_HANDLER: 0
; COMPUTE_PGM_RSRC2:TGID_X_EN: 1
; COMPUTE_PGM_RSRC2:TGID_Y_EN: 0
; COMPUTE_PGM_RSRC2:TGID_Z_EN: 0
; COMPUTE_PGM_RSRC2:TIDIG_COMP_CNT: 0
; COMPUTE_PGM_RSRC3_GFX90A:ACCUM_OFFSET: 0
; COMPUTE_PGM_RSRC3_GFX90A:TG_SPLIT: 0
	.section	.text._ZN7rocprim17ROCPRIM_400000_NS6detail17trampoline_kernelINS0_14default_configENS1_27scan_by_key_config_selectorIidEEZZNS1_16scan_by_key_implILNS1_25lookback_scan_determinismE0ELb1ES3_N6thrust23THRUST_200600_302600_NS6detail15normal_iteratorINS9_10device_ptrIiEEEENSB_INSC_IdEEEESG_dNS9_4plusIvEENS9_8equal_toIvEEdEE10hipError_tPvRmT2_T3_T4_T5_mT6_T7_P12ihipStream_tbENKUlT_T0_E_clISt17integral_constantIbLb1EES11_EEDaSW_SX_EUlSW_E_NS1_11comp_targetILNS1_3genE10ELNS1_11target_archE1200ELNS1_3gpuE4ELNS1_3repE0EEENS1_30default_config_static_selectorELNS0_4arch9wavefront6targetE1EEEvT1_,"axG",@progbits,_ZN7rocprim17ROCPRIM_400000_NS6detail17trampoline_kernelINS0_14default_configENS1_27scan_by_key_config_selectorIidEEZZNS1_16scan_by_key_implILNS1_25lookback_scan_determinismE0ELb1ES3_N6thrust23THRUST_200600_302600_NS6detail15normal_iteratorINS9_10device_ptrIiEEEENSB_INSC_IdEEEESG_dNS9_4plusIvEENS9_8equal_toIvEEdEE10hipError_tPvRmT2_T3_T4_T5_mT6_T7_P12ihipStream_tbENKUlT_T0_E_clISt17integral_constantIbLb1EES11_EEDaSW_SX_EUlSW_E_NS1_11comp_targetILNS1_3genE10ELNS1_11target_archE1200ELNS1_3gpuE4ELNS1_3repE0EEENS1_30default_config_static_selectorELNS0_4arch9wavefront6targetE1EEEvT1_,comdat
	.protected	_ZN7rocprim17ROCPRIM_400000_NS6detail17trampoline_kernelINS0_14default_configENS1_27scan_by_key_config_selectorIidEEZZNS1_16scan_by_key_implILNS1_25lookback_scan_determinismE0ELb1ES3_N6thrust23THRUST_200600_302600_NS6detail15normal_iteratorINS9_10device_ptrIiEEEENSB_INSC_IdEEEESG_dNS9_4plusIvEENS9_8equal_toIvEEdEE10hipError_tPvRmT2_T3_T4_T5_mT6_T7_P12ihipStream_tbENKUlT_T0_E_clISt17integral_constantIbLb1EES11_EEDaSW_SX_EUlSW_E_NS1_11comp_targetILNS1_3genE10ELNS1_11target_archE1200ELNS1_3gpuE4ELNS1_3repE0EEENS1_30default_config_static_selectorELNS0_4arch9wavefront6targetE1EEEvT1_ ; -- Begin function _ZN7rocprim17ROCPRIM_400000_NS6detail17trampoline_kernelINS0_14default_configENS1_27scan_by_key_config_selectorIidEEZZNS1_16scan_by_key_implILNS1_25lookback_scan_determinismE0ELb1ES3_N6thrust23THRUST_200600_302600_NS6detail15normal_iteratorINS9_10device_ptrIiEEEENSB_INSC_IdEEEESG_dNS9_4plusIvEENS9_8equal_toIvEEdEE10hipError_tPvRmT2_T3_T4_T5_mT6_T7_P12ihipStream_tbENKUlT_T0_E_clISt17integral_constantIbLb1EES11_EEDaSW_SX_EUlSW_E_NS1_11comp_targetILNS1_3genE10ELNS1_11target_archE1200ELNS1_3gpuE4ELNS1_3repE0EEENS1_30default_config_static_selectorELNS0_4arch9wavefront6targetE1EEEvT1_
	.globl	_ZN7rocprim17ROCPRIM_400000_NS6detail17trampoline_kernelINS0_14default_configENS1_27scan_by_key_config_selectorIidEEZZNS1_16scan_by_key_implILNS1_25lookback_scan_determinismE0ELb1ES3_N6thrust23THRUST_200600_302600_NS6detail15normal_iteratorINS9_10device_ptrIiEEEENSB_INSC_IdEEEESG_dNS9_4plusIvEENS9_8equal_toIvEEdEE10hipError_tPvRmT2_T3_T4_T5_mT6_T7_P12ihipStream_tbENKUlT_T0_E_clISt17integral_constantIbLb1EES11_EEDaSW_SX_EUlSW_E_NS1_11comp_targetILNS1_3genE10ELNS1_11target_archE1200ELNS1_3gpuE4ELNS1_3repE0EEENS1_30default_config_static_selectorELNS0_4arch9wavefront6targetE1EEEvT1_
	.p2align	8
	.type	_ZN7rocprim17ROCPRIM_400000_NS6detail17trampoline_kernelINS0_14default_configENS1_27scan_by_key_config_selectorIidEEZZNS1_16scan_by_key_implILNS1_25lookback_scan_determinismE0ELb1ES3_N6thrust23THRUST_200600_302600_NS6detail15normal_iteratorINS9_10device_ptrIiEEEENSB_INSC_IdEEEESG_dNS9_4plusIvEENS9_8equal_toIvEEdEE10hipError_tPvRmT2_T3_T4_T5_mT6_T7_P12ihipStream_tbENKUlT_T0_E_clISt17integral_constantIbLb1EES11_EEDaSW_SX_EUlSW_E_NS1_11comp_targetILNS1_3genE10ELNS1_11target_archE1200ELNS1_3gpuE4ELNS1_3repE0EEENS1_30default_config_static_selectorELNS0_4arch9wavefront6targetE1EEEvT1_,@function
_ZN7rocprim17ROCPRIM_400000_NS6detail17trampoline_kernelINS0_14default_configENS1_27scan_by_key_config_selectorIidEEZZNS1_16scan_by_key_implILNS1_25lookback_scan_determinismE0ELb1ES3_N6thrust23THRUST_200600_302600_NS6detail15normal_iteratorINS9_10device_ptrIiEEEENSB_INSC_IdEEEESG_dNS9_4plusIvEENS9_8equal_toIvEEdEE10hipError_tPvRmT2_T3_T4_T5_mT6_T7_P12ihipStream_tbENKUlT_T0_E_clISt17integral_constantIbLb1EES11_EEDaSW_SX_EUlSW_E_NS1_11comp_targetILNS1_3genE10ELNS1_11target_archE1200ELNS1_3gpuE4ELNS1_3repE0EEENS1_30default_config_static_selectorELNS0_4arch9wavefront6targetE1EEEvT1_: ; @_ZN7rocprim17ROCPRIM_400000_NS6detail17trampoline_kernelINS0_14default_configENS1_27scan_by_key_config_selectorIidEEZZNS1_16scan_by_key_implILNS1_25lookback_scan_determinismE0ELb1ES3_N6thrust23THRUST_200600_302600_NS6detail15normal_iteratorINS9_10device_ptrIiEEEENSB_INSC_IdEEEESG_dNS9_4plusIvEENS9_8equal_toIvEEdEE10hipError_tPvRmT2_T3_T4_T5_mT6_T7_P12ihipStream_tbENKUlT_T0_E_clISt17integral_constantIbLb1EES11_EEDaSW_SX_EUlSW_E_NS1_11comp_targetILNS1_3genE10ELNS1_11target_archE1200ELNS1_3gpuE4ELNS1_3repE0EEENS1_30default_config_static_selectorELNS0_4arch9wavefront6targetE1EEEvT1_
; %bb.0:
	.section	.rodata,"a",@progbits
	.p2align	6, 0x0
	.amdhsa_kernel _ZN7rocprim17ROCPRIM_400000_NS6detail17trampoline_kernelINS0_14default_configENS1_27scan_by_key_config_selectorIidEEZZNS1_16scan_by_key_implILNS1_25lookback_scan_determinismE0ELb1ES3_N6thrust23THRUST_200600_302600_NS6detail15normal_iteratorINS9_10device_ptrIiEEEENSB_INSC_IdEEEESG_dNS9_4plusIvEENS9_8equal_toIvEEdEE10hipError_tPvRmT2_T3_T4_T5_mT6_T7_P12ihipStream_tbENKUlT_T0_E_clISt17integral_constantIbLb1EES11_EEDaSW_SX_EUlSW_E_NS1_11comp_targetILNS1_3genE10ELNS1_11target_archE1200ELNS1_3gpuE4ELNS1_3repE0EEENS1_30default_config_static_selectorELNS0_4arch9wavefront6targetE1EEEvT1_
		.amdhsa_group_segment_fixed_size 0
		.amdhsa_private_segment_fixed_size 0
		.amdhsa_kernarg_size 136
		.amdhsa_user_sgpr_count 2
		.amdhsa_user_sgpr_dispatch_ptr 0
		.amdhsa_user_sgpr_queue_ptr 0
		.amdhsa_user_sgpr_kernarg_segment_ptr 1
		.amdhsa_user_sgpr_dispatch_id 0
		.amdhsa_user_sgpr_kernarg_preload_length 0
		.amdhsa_user_sgpr_kernarg_preload_offset 0
		.amdhsa_user_sgpr_private_segment_size 0
		.amdhsa_uses_dynamic_stack 0
		.amdhsa_enable_private_segment 0
		.amdhsa_system_sgpr_workgroup_id_x 1
		.amdhsa_system_sgpr_workgroup_id_y 0
		.amdhsa_system_sgpr_workgroup_id_z 0
		.amdhsa_system_sgpr_workgroup_info 0
		.amdhsa_system_vgpr_workitem_id 0
		.amdhsa_next_free_vgpr 1
		.amdhsa_next_free_sgpr 0
		.amdhsa_accum_offset 4
		.amdhsa_reserve_vcc 0
		.amdhsa_float_round_mode_32 0
		.amdhsa_float_round_mode_16_64 0
		.amdhsa_float_denorm_mode_32 3
		.amdhsa_float_denorm_mode_16_64 3
		.amdhsa_dx10_clamp 1
		.amdhsa_ieee_mode 1
		.amdhsa_fp16_overflow 0
		.amdhsa_tg_split 0
		.amdhsa_exception_fp_ieee_invalid_op 0
		.amdhsa_exception_fp_denorm_src 0
		.amdhsa_exception_fp_ieee_div_zero 0
		.amdhsa_exception_fp_ieee_overflow 0
		.amdhsa_exception_fp_ieee_underflow 0
		.amdhsa_exception_fp_ieee_inexact 0
		.amdhsa_exception_int_div_zero 0
	.end_amdhsa_kernel
	.section	.text._ZN7rocprim17ROCPRIM_400000_NS6detail17trampoline_kernelINS0_14default_configENS1_27scan_by_key_config_selectorIidEEZZNS1_16scan_by_key_implILNS1_25lookback_scan_determinismE0ELb1ES3_N6thrust23THRUST_200600_302600_NS6detail15normal_iteratorINS9_10device_ptrIiEEEENSB_INSC_IdEEEESG_dNS9_4plusIvEENS9_8equal_toIvEEdEE10hipError_tPvRmT2_T3_T4_T5_mT6_T7_P12ihipStream_tbENKUlT_T0_E_clISt17integral_constantIbLb1EES11_EEDaSW_SX_EUlSW_E_NS1_11comp_targetILNS1_3genE10ELNS1_11target_archE1200ELNS1_3gpuE4ELNS1_3repE0EEENS1_30default_config_static_selectorELNS0_4arch9wavefront6targetE1EEEvT1_,"axG",@progbits,_ZN7rocprim17ROCPRIM_400000_NS6detail17trampoline_kernelINS0_14default_configENS1_27scan_by_key_config_selectorIidEEZZNS1_16scan_by_key_implILNS1_25lookback_scan_determinismE0ELb1ES3_N6thrust23THRUST_200600_302600_NS6detail15normal_iteratorINS9_10device_ptrIiEEEENSB_INSC_IdEEEESG_dNS9_4plusIvEENS9_8equal_toIvEEdEE10hipError_tPvRmT2_T3_T4_T5_mT6_T7_P12ihipStream_tbENKUlT_T0_E_clISt17integral_constantIbLb1EES11_EEDaSW_SX_EUlSW_E_NS1_11comp_targetILNS1_3genE10ELNS1_11target_archE1200ELNS1_3gpuE4ELNS1_3repE0EEENS1_30default_config_static_selectorELNS0_4arch9wavefront6targetE1EEEvT1_,comdat
.Lfunc_end1406:
	.size	_ZN7rocprim17ROCPRIM_400000_NS6detail17trampoline_kernelINS0_14default_configENS1_27scan_by_key_config_selectorIidEEZZNS1_16scan_by_key_implILNS1_25lookback_scan_determinismE0ELb1ES3_N6thrust23THRUST_200600_302600_NS6detail15normal_iteratorINS9_10device_ptrIiEEEENSB_INSC_IdEEEESG_dNS9_4plusIvEENS9_8equal_toIvEEdEE10hipError_tPvRmT2_T3_T4_T5_mT6_T7_P12ihipStream_tbENKUlT_T0_E_clISt17integral_constantIbLb1EES11_EEDaSW_SX_EUlSW_E_NS1_11comp_targetILNS1_3genE10ELNS1_11target_archE1200ELNS1_3gpuE4ELNS1_3repE0EEENS1_30default_config_static_selectorELNS0_4arch9wavefront6targetE1EEEvT1_, .Lfunc_end1406-_ZN7rocprim17ROCPRIM_400000_NS6detail17trampoline_kernelINS0_14default_configENS1_27scan_by_key_config_selectorIidEEZZNS1_16scan_by_key_implILNS1_25lookback_scan_determinismE0ELb1ES3_N6thrust23THRUST_200600_302600_NS6detail15normal_iteratorINS9_10device_ptrIiEEEENSB_INSC_IdEEEESG_dNS9_4plusIvEENS9_8equal_toIvEEdEE10hipError_tPvRmT2_T3_T4_T5_mT6_T7_P12ihipStream_tbENKUlT_T0_E_clISt17integral_constantIbLb1EES11_EEDaSW_SX_EUlSW_E_NS1_11comp_targetILNS1_3genE10ELNS1_11target_archE1200ELNS1_3gpuE4ELNS1_3repE0EEENS1_30default_config_static_selectorELNS0_4arch9wavefront6targetE1EEEvT1_
                                        ; -- End function
	.section	.AMDGPU.csdata,"",@progbits
; Kernel info:
; codeLenInByte = 0
; NumSgprs: 6
; NumVgprs: 0
; NumAgprs: 0
; TotalNumVgprs: 0
; ScratchSize: 0
; MemoryBound: 0
; FloatMode: 240
; IeeeMode: 1
; LDSByteSize: 0 bytes/workgroup (compile time only)
; SGPRBlocks: 0
; VGPRBlocks: 0
; NumSGPRsForWavesPerEU: 6
; NumVGPRsForWavesPerEU: 1
; AccumOffset: 4
; Occupancy: 8
; WaveLimiterHint : 0
; COMPUTE_PGM_RSRC2:SCRATCH_EN: 0
; COMPUTE_PGM_RSRC2:USER_SGPR: 2
; COMPUTE_PGM_RSRC2:TRAP_HANDLER: 0
; COMPUTE_PGM_RSRC2:TGID_X_EN: 1
; COMPUTE_PGM_RSRC2:TGID_Y_EN: 0
; COMPUTE_PGM_RSRC2:TGID_Z_EN: 0
; COMPUTE_PGM_RSRC2:TIDIG_COMP_CNT: 0
; COMPUTE_PGM_RSRC3_GFX90A:ACCUM_OFFSET: 0
; COMPUTE_PGM_RSRC3_GFX90A:TG_SPLIT: 0
	.section	.text._ZN7rocprim17ROCPRIM_400000_NS6detail17trampoline_kernelINS0_14default_configENS1_27scan_by_key_config_selectorIidEEZZNS1_16scan_by_key_implILNS1_25lookback_scan_determinismE0ELb1ES3_N6thrust23THRUST_200600_302600_NS6detail15normal_iteratorINS9_10device_ptrIiEEEENSB_INSC_IdEEEESG_dNS9_4plusIvEENS9_8equal_toIvEEdEE10hipError_tPvRmT2_T3_T4_T5_mT6_T7_P12ihipStream_tbENKUlT_T0_E_clISt17integral_constantIbLb1EES11_EEDaSW_SX_EUlSW_E_NS1_11comp_targetILNS1_3genE9ELNS1_11target_archE1100ELNS1_3gpuE3ELNS1_3repE0EEENS1_30default_config_static_selectorELNS0_4arch9wavefront6targetE1EEEvT1_,"axG",@progbits,_ZN7rocprim17ROCPRIM_400000_NS6detail17trampoline_kernelINS0_14default_configENS1_27scan_by_key_config_selectorIidEEZZNS1_16scan_by_key_implILNS1_25lookback_scan_determinismE0ELb1ES3_N6thrust23THRUST_200600_302600_NS6detail15normal_iteratorINS9_10device_ptrIiEEEENSB_INSC_IdEEEESG_dNS9_4plusIvEENS9_8equal_toIvEEdEE10hipError_tPvRmT2_T3_T4_T5_mT6_T7_P12ihipStream_tbENKUlT_T0_E_clISt17integral_constantIbLb1EES11_EEDaSW_SX_EUlSW_E_NS1_11comp_targetILNS1_3genE9ELNS1_11target_archE1100ELNS1_3gpuE3ELNS1_3repE0EEENS1_30default_config_static_selectorELNS0_4arch9wavefront6targetE1EEEvT1_,comdat
	.protected	_ZN7rocprim17ROCPRIM_400000_NS6detail17trampoline_kernelINS0_14default_configENS1_27scan_by_key_config_selectorIidEEZZNS1_16scan_by_key_implILNS1_25lookback_scan_determinismE0ELb1ES3_N6thrust23THRUST_200600_302600_NS6detail15normal_iteratorINS9_10device_ptrIiEEEENSB_INSC_IdEEEESG_dNS9_4plusIvEENS9_8equal_toIvEEdEE10hipError_tPvRmT2_T3_T4_T5_mT6_T7_P12ihipStream_tbENKUlT_T0_E_clISt17integral_constantIbLb1EES11_EEDaSW_SX_EUlSW_E_NS1_11comp_targetILNS1_3genE9ELNS1_11target_archE1100ELNS1_3gpuE3ELNS1_3repE0EEENS1_30default_config_static_selectorELNS0_4arch9wavefront6targetE1EEEvT1_ ; -- Begin function _ZN7rocprim17ROCPRIM_400000_NS6detail17trampoline_kernelINS0_14default_configENS1_27scan_by_key_config_selectorIidEEZZNS1_16scan_by_key_implILNS1_25lookback_scan_determinismE0ELb1ES3_N6thrust23THRUST_200600_302600_NS6detail15normal_iteratorINS9_10device_ptrIiEEEENSB_INSC_IdEEEESG_dNS9_4plusIvEENS9_8equal_toIvEEdEE10hipError_tPvRmT2_T3_T4_T5_mT6_T7_P12ihipStream_tbENKUlT_T0_E_clISt17integral_constantIbLb1EES11_EEDaSW_SX_EUlSW_E_NS1_11comp_targetILNS1_3genE9ELNS1_11target_archE1100ELNS1_3gpuE3ELNS1_3repE0EEENS1_30default_config_static_selectorELNS0_4arch9wavefront6targetE1EEEvT1_
	.globl	_ZN7rocprim17ROCPRIM_400000_NS6detail17trampoline_kernelINS0_14default_configENS1_27scan_by_key_config_selectorIidEEZZNS1_16scan_by_key_implILNS1_25lookback_scan_determinismE0ELb1ES3_N6thrust23THRUST_200600_302600_NS6detail15normal_iteratorINS9_10device_ptrIiEEEENSB_INSC_IdEEEESG_dNS9_4plusIvEENS9_8equal_toIvEEdEE10hipError_tPvRmT2_T3_T4_T5_mT6_T7_P12ihipStream_tbENKUlT_T0_E_clISt17integral_constantIbLb1EES11_EEDaSW_SX_EUlSW_E_NS1_11comp_targetILNS1_3genE9ELNS1_11target_archE1100ELNS1_3gpuE3ELNS1_3repE0EEENS1_30default_config_static_selectorELNS0_4arch9wavefront6targetE1EEEvT1_
	.p2align	8
	.type	_ZN7rocprim17ROCPRIM_400000_NS6detail17trampoline_kernelINS0_14default_configENS1_27scan_by_key_config_selectorIidEEZZNS1_16scan_by_key_implILNS1_25lookback_scan_determinismE0ELb1ES3_N6thrust23THRUST_200600_302600_NS6detail15normal_iteratorINS9_10device_ptrIiEEEENSB_INSC_IdEEEESG_dNS9_4plusIvEENS9_8equal_toIvEEdEE10hipError_tPvRmT2_T3_T4_T5_mT6_T7_P12ihipStream_tbENKUlT_T0_E_clISt17integral_constantIbLb1EES11_EEDaSW_SX_EUlSW_E_NS1_11comp_targetILNS1_3genE9ELNS1_11target_archE1100ELNS1_3gpuE3ELNS1_3repE0EEENS1_30default_config_static_selectorELNS0_4arch9wavefront6targetE1EEEvT1_,@function
_ZN7rocprim17ROCPRIM_400000_NS6detail17trampoline_kernelINS0_14default_configENS1_27scan_by_key_config_selectorIidEEZZNS1_16scan_by_key_implILNS1_25lookback_scan_determinismE0ELb1ES3_N6thrust23THRUST_200600_302600_NS6detail15normal_iteratorINS9_10device_ptrIiEEEENSB_INSC_IdEEEESG_dNS9_4plusIvEENS9_8equal_toIvEEdEE10hipError_tPvRmT2_T3_T4_T5_mT6_T7_P12ihipStream_tbENKUlT_T0_E_clISt17integral_constantIbLb1EES11_EEDaSW_SX_EUlSW_E_NS1_11comp_targetILNS1_3genE9ELNS1_11target_archE1100ELNS1_3gpuE3ELNS1_3repE0EEENS1_30default_config_static_selectorELNS0_4arch9wavefront6targetE1EEEvT1_: ; @_ZN7rocprim17ROCPRIM_400000_NS6detail17trampoline_kernelINS0_14default_configENS1_27scan_by_key_config_selectorIidEEZZNS1_16scan_by_key_implILNS1_25lookback_scan_determinismE0ELb1ES3_N6thrust23THRUST_200600_302600_NS6detail15normal_iteratorINS9_10device_ptrIiEEEENSB_INSC_IdEEEESG_dNS9_4plusIvEENS9_8equal_toIvEEdEE10hipError_tPvRmT2_T3_T4_T5_mT6_T7_P12ihipStream_tbENKUlT_T0_E_clISt17integral_constantIbLb1EES11_EEDaSW_SX_EUlSW_E_NS1_11comp_targetILNS1_3genE9ELNS1_11target_archE1100ELNS1_3gpuE3ELNS1_3repE0EEENS1_30default_config_static_selectorELNS0_4arch9wavefront6targetE1EEEvT1_
; %bb.0:
	.section	.rodata,"a",@progbits
	.p2align	6, 0x0
	.amdhsa_kernel _ZN7rocprim17ROCPRIM_400000_NS6detail17trampoline_kernelINS0_14default_configENS1_27scan_by_key_config_selectorIidEEZZNS1_16scan_by_key_implILNS1_25lookback_scan_determinismE0ELb1ES3_N6thrust23THRUST_200600_302600_NS6detail15normal_iteratorINS9_10device_ptrIiEEEENSB_INSC_IdEEEESG_dNS9_4plusIvEENS9_8equal_toIvEEdEE10hipError_tPvRmT2_T3_T4_T5_mT6_T7_P12ihipStream_tbENKUlT_T0_E_clISt17integral_constantIbLb1EES11_EEDaSW_SX_EUlSW_E_NS1_11comp_targetILNS1_3genE9ELNS1_11target_archE1100ELNS1_3gpuE3ELNS1_3repE0EEENS1_30default_config_static_selectorELNS0_4arch9wavefront6targetE1EEEvT1_
		.amdhsa_group_segment_fixed_size 0
		.amdhsa_private_segment_fixed_size 0
		.amdhsa_kernarg_size 136
		.amdhsa_user_sgpr_count 2
		.amdhsa_user_sgpr_dispatch_ptr 0
		.amdhsa_user_sgpr_queue_ptr 0
		.amdhsa_user_sgpr_kernarg_segment_ptr 1
		.amdhsa_user_sgpr_dispatch_id 0
		.amdhsa_user_sgpr_kernarg_preload_length 0
		.amdhsa_user_sgpr_kernarg_preload_offset 0
		.amdhsa_user_sgpr_private_segment_size 0
		.amdhsa_uses_dynamic_stack 0
		.amdhsa_enable_private_segment 0
		.amdhsa_system_sgpr_workgroup_id_x 1
		.amdhsa_system_sgpr_workgroup_id_y 0
		.amdhsa_system_sgpr_workgroup_id_z 0
		.amdhsa_system_sgpr_workgroup_info 0
		.amdhsa_system_vgpr_workitem_id 0
		.amdhsa_next_free_vgpr 1
		.amdhsa_next_free_sgpr 0
		.amdhsa_accum_offset 4
		.amdhsa_reserve_vcc 0
		.amdhsa_float_round_mode_32 0
		.amdhsa_float_round_mode_16_64 0
		.amdhsa_float_denorm_mode_32 3
		.amdhsa_float_denorm_mode_16_64 3
		.amdhsa_dx10_clamp 1
		.amdhsa_ieee_mode 1
		.amdhsa_fp16_overflow 0
		.amdhsa_tg_split 0
		.amdhsa_exception_fp_ieee_invalid_op 0
		.amdhsa_exception_fp_denorm_src 0
		.amdhsa_exception_fp_ieee_div_zero 0
		.amdhsa_exception_fp_ieee_overflow 0
		.amdhsa_exception_fp_ieee_underflow 0
		.amdhsa_exception_fp_ieee_inexact 0
		.amdhsa_exception_int_div_zero 0
	.end_amdhsa_kernel
	.section	.text._ZN7rocprim17ROCPRIM_400000_NS6detail17trampoline_kernelINS0_14default_configENS1_27scan_by_key_config_selectorIidEEZZNS1_16scan_by_key_implILNS1_25lookback_scan_determinismE0ELb1ES3_N6thrust23THRUST_200600_302600_NS6detail15normal_iteratorINS9_10device_ptrIiEEEENSB_INSC_IdEEEESG_dNS9_4plusIvEENS9_8equal_toIvEEdEE10hipError_tPvRmT2_T3_T4_T5_mT6_T7_P12ihipStream_tbENKUlT_T0_E_clISt17integral_constantIbLb1EES11_EEDaSW_SX_EUlSW_E_NS1_11comp_targetILNS1_3genE9ELNS1_11target_archE1100ELNS1_3gpuE3ELNS1_3repE0EEENS1_30default_config_static_selectorELNS0_4arch9wavefront6targetE1EEEvT1_,"axG",@progbits,_ZN7rocprim17ROCPRIM_400000_NS6detail17trampoline_kernelINS0_14default_configENS1_27scan_by_key_config_selectorIidEEZZNS1_16scan_by_key_implILNS1_25lookback_scan_determinismE0ELb1ES3_N6thrust23THRUST_200600_302600_NS6detail15normal_iteratorINS9_10device_ptrIiEEEENSB_INSC_IdEEEESG_dNS9_4plusIvEENS9_8equal_toIvEEdEE10hipError_tPvRmT2_T3_T4_T5_mT6_T7_P12ihipStream_tbENKUlT_T0_E_clISt17integral_constantIbLb1EES11_EEDaSW_SX_EUlSW_E_NS1_11comp_targetILNS1_3genE9ELNS1_11target_archE1100ELNS1_3gpuE3ELNS1_3repE0EEENS1_30default_config_static_selectorELNS0_4arch9wavefront6targetE1EEEvT1_,comdat
.Lfunc_end1407:
	.size	_ZN7rocprim17ROCPRIM_400000_NS6detail17trampoline_kernelINS0_14default_configENS1_27scan_by_key_config_selectorIidEEZZNS1_16scan_by_key_implILNS1_25lookback_scan_determinismE0ELb1ES3_N6thrust23THRUST_200600_302600_NS6detail15normal_iteratorINS9_10device_ptrIiEEEENSB_INSC_IdEEEESG_dNS9_4plusIvEENS9_8equal_toIvEEdEE10hipError_tPvRmT2_T3_T4_T5_mT6_T7_P12ihipStream_tbENKUlT_T0_E_clISt17integral_constantIbLb1EES11_EEDaSW_SX_EUlSW_E_NS1_11comp_targetILNS1_3genE9ELNS1_11target_archE1100ELNS1_3gpuE3ELNS1_3repE0EEENS1_30default_config_static_selectorELNS0_4arch9wavefront6targetE1EEEvT1_, .Lfunc_end1407-_ZN7rocprim17ROCPRIM_400000_NS6detail17trampoline_kernelINS0_14default_configENS1_27scan_by_key_config_selectorIidEEZZNS1_16scan_by_key_implILNS1_25lookback_scan_determinismE0ELb1ES3_N6thrust23THRUST_200600_302600_NS6detail15normal_iteratorINS9_10device_ptrIiEEEENSB_INSC_IdEEEESG_dNS9_4plusIvEENS9_8equal_toIvEEdEE10hipError_tPvRmT2_T3_T4_T5_mT6_T7_P12ihipStream_tbENKUlT_T0_E_clISt17integral_constantIbLb1EES11_EEDaSW_SX_EUlSW_E_NS1_11comp_targetILNS1_3genE9ELNS1_11target_archE1100ELNS1_3gpuE3ELNS1_3repE0EEENS1_30default_config_static_selectorELNS0_4arch9wavefront6targetE1EEEvT1_
                                        ; -- End function
	.section	.AMDGPU.csdata,"",@progbits
; Kernel info:
; codeLenInByte = 0
; NumSgprs: 6
; NumVgprs: 0
; NumAgprs: 0
; TotalNumVgprs: 0
; ScratchSize: 0
; MemoryBound: 0
; FloatMode: 240
; IeeeMode: 1
; LDSByteSize: 0 bytes/workgroup (compile time only)
; SGPRBlocks: 0
; VGPRBlocks: 0
; NumSGPRsForWavesPerEU: 6
; NumVGPRsForWavesPerEU: 1
; AccumOffset: 4
; Occupancy: 8
; WaveLimiterHint : 0
; COMPUTE_PGM_RSRC2:SCRATCH_EN: 0
; COMPUTE_PGM_RSRC2:USER_SGPR: 2
; COMPUTE_PGM_RSRC2:TRAP_HANDLER: 0
; COMPUTE_PGM_RSRC2:TGID_X_EN: 1
; COMPUTE_PGM_RSRC2:TGID_Y_EN: 0
; COMPUTE_PGM_RSRC2:TGID_Z_EN: 0
; COMPUTE_PGM_RSRC2:TIDIG_COMP_CNT: 0
; COMPUTE_PGM_RSRC3_GFX90A:ACCUM_OFFSET: 0
; COMPUTE_PGM_RSRC3_GFX90A:TG_SPLIT: 0
	.section	.text._ZN7rocprim17ROCPRIM_400000_NS6detail17trampoline_kernelINS0_14default_configENS1_27scan_by_key_config_selectorIidEEZZNS1_16scan_by_key_implILNS1_25lookback_scan_determinismE0ELb1ES3_N6thrust23THRUST_200600_302600_NS6detail15normal_iteratorINS9_10device_ptrIiEEEENSB_INSC_IdEEEESG_dNS9_4plusIvEENS9_8equal_toIvEEdEE10hipError_tPvRmT2_T3_T4_T5_mT6_T7_P12ihipStream_tbENKUlT_T0_E_clISt17integral_constantIbLb1EES11_EEDaSW_SX_EUlSW_E_NS1_11comp_targetILNS1_3genE8ELNS1_11target_archE1030ELNS1_3gpuE2ELNS1_3repE0EEENS1_30default_config_static_selectorELNS0_4arch9wavefront6targetE1EEEvT1_,"axG",@progbits,_ZN7rocprim17ROCPRIM_400000_NS6detail17trampoline_kernelINS0_14default_configENS1_27scan_by_key_config_selectorIidEEZZNS1_16scan_by_key_implILNS1_25lookback_scan_determinismE0ELb1ES3_N6thrust23THRUST_200600_302600_NS6detail15normal_iteratorINS9_10device_ptrIiEEEENSB_INSC_IdEEEESG_dNS9_4plusIvEENS9_8equal_toIvEEdEE10hipError_tPvRmT2_T3_T4_T5_mT6_T7_P12ihipStream_tbENKUlT_T0_E_clISt17integral_constantIbLb1EES11_EEDaSW_SX_EUlSW_E_NS1_11comp_targetILNS1_3genE8ELNS1_11target_archE1030ELNS1_3gpuE2ELNS1_3repE0EEENS1_30default_config_static_selectorELNS0_4arch9wavefront6targetE1EEEvT1_,comdat
	.protected	_ZN7rocprim17ROCPRIM_400000_NS6detail17trampoline_kernelINS0_14default_configENS1_27scan_by_key_config_selectorIidEEZZNS1_16scan_by_key_implILNS1_25lookback_scan_determinismE0ELb1ES3_N6thrust23THRUST_200600_302600_NS6detail15normal_iteratorINS9_10device_ptrIiEEEENSB_INSC_IdEEEESG_dNS9_4plusIvEENS9_8equal_toIvEEdEE10hipError_tPvRmT2_T3_T4_T5_mT6_T7_P12ihipStream_tbENKUlT_T0_E_clISt17integral_constantIbLb1EES11_EEDaSW_SX_EUlSW_E_NS1_11comp_targetILNS1_3genE8ELNS1_11target_archE1030ELNS1_3gpuE2ELNS1_3repE0EEENS1_30default_config_static_selectorELNS0_4arch9wavefront6targetE1EEEvT1_ ; -- Begin function _ZN7rocprim17ROCPRIM_400000_NS6detail17trampoline_kernelINS0_14default_configENS1_27scan_by_key_config_selectorIidEEZZNS1_16scan_by_key_implILNS1_25lookback_scan_determinismE0ELb1ES3_N6thrust23THRUST_200600_302600_NS6detail15normal_iteratorINS9_10device_ptrIiEEEENSB_INSC_IdEEEESG_dNS9_4plusIvEENS9_8equal_toIvEEdEE10hipError_tPvRmT2_T3_T4_T5_mT6_T7_P12ihipStream_tbENKUlT_T0_E_clISt17integral_constantIbLb1EES11_EEDaSW_SX_EUlSW_E_NS1_11comp_targetILNS1_3genE8ELNS1_11target_archE1030ELNS1_3gpuE2ELNS1_3repE0EEENS1_30default_config_static_selectorELNS0_4arch9wavefront6targetE1EEEvT1_
	.globl	_ZN7rocprim17ROCPRIM_400000_NS6detail17trampoline_kernelINS0_14default_configENS1_27scan_by_key_config_selectorIidEEZZNS1_16scan_by_key_implILNS1_25lookback_scan_determinismE0ELb1ES3_N6thrust23THRUST_200600_302600_NS6detail15normal_iteratorINS9_10device_ptrIiEEEENSB_INSC_IdEEEESG_dNS9_4plusIvEENS9_8equal_toIvEEdEE10hipError_tPvRmT2_T3_T4_T5_mT6_T7_P12ihipStream_tbENKUlT_T0_E_clISt17integral_constantIbLb1EES11_EEDaSW_SX_EUlSW_E_NS1_11comp_targetILNS1_3genE8ELNS1_11target_archE1030ELNS1_3gpuE2ELNS1_3repE0EEENS1_30default_config_static_selectorELNS0_4arch9wavefront6targetE1EEEvT1_
	.p2align	8
	.type	_ZN7rocprim17ROCPRIM_400000_NS6detail17trampoline_kernelINS0_14default_configENS1_27scan_by_key_config_selectorIidEEZZNS1_16scan_by_key_implILNS1_25lookback_scan_determinismE0ELb1ES3_N6thrust23THRUST_200600_302600_NS6detail15normal_iteratorINS9_10device_ptrIiEEEENSB_INSC_IdEEEESG_dNS9_4plusIvEENS9_8equal_toIvEEdEE10hipError_tPvRmT2_T3_T4_T5_mT6_T7_P12ihipStream_tbENKUlT_T0_E_clISt17integral_constantIbLb1EES11_EEDaSW_SX_EUlSW_E_NS1_11comp_targetILNS1_3genE8ELNS1_11target_archE1030ELNS1_3gpuE2ELNS1_3repE0EEENS1_30default_config_static_selectorELNS0_4arch9wavefront6targetE1EEEvT1_,@function
_ZN7rocprim17ROCPRIM_400000_NS6detail17trampoline_kernelINS0_14default_configENS1_27scan_by_key_config_selectorIidEEZZNS1_16scan_by_key_implILNS1_25lookback_scan_determinismE0ELb1ES3_N6thrust23THRUST_200600_302600_NS6detail15normal_iteratorINS9_10device_ptrIiEEEENSB_INSC_IdEEEESG_dNS9_4plusIvEENS9_8equal_toIvEEdEE10hipError_tPvRmT2_T3_T4_T5_mT6_T7_P12ihipStream_tbENKUlT_T0_E_clISt17integral_constantIbLb1EES11_EEDaSW_SX_EUlSW_E_NS1_11comp_targetILNS1_3genE8ELNS1_11target_archE1030ELNS1_3gpuE2ELNS1_3repE0EEENS1_30default_config_static_selectorELNS0_4arch9wavefront6targetE1EEEvT1_: ; @_ZN7rocprim17ROCPRIM_400000_NS6detail17trampoline_kernelINS0_14default_configENS1_27scan_by_key_config_selectorIidEEZZNS1_16scan_by_key_implILNS1_25lookback_scan_determinismE0ELb1ES3_N6thrust23THRUST_200600_302600_NS6detail15normal_iteratorINS9_10device_ptrIiEEEENSB_INSC_IdEEEESG_dNS9_4plusIvEENS9_8equal_toIvEEdEE10hipError_tPvRmT2_T3_T4_T5_mT6_T7_P12ihipStream_tbENKUlT_T0_E_clISt17integral_constantIbLb1EES11_EEDaSW_SX_EUlSW_E_NS1_11comp_targetILNS1_3genE8ELNS1_11target_archE1030ELNS1_3gpuE2ELNS1_3repE0EEENS1_30default_config_static_selectorELNS0_4arch9wavefront6targetE1EEEvT1_
; %bb.0:
	.section	.rodata,"a",@progbits
	.p2align	6, 0x0
	.amdhsa_kernel _ZN7rocprim17ROCPRIM_400000_NS6detail17trampoline_kernelINS0_14default_configENS1_27scan_by_key_config_selectorIidEEZZNS1_16scan_by_key_implILNS1_25lookback_scan_determinismE0ELb1ES3_N6thrust23THRUST_200600_302600_NS6detail15normal_iteratorINS9_10device_ptrIiEEEENSB_INSC_IdEEEESG_dNS9_4plusIvEENS9_8equal_toIvEEdEE10hipError_tPvRmT2_T3_T4_T5_mT6_T7_P12ihipStream_tbENKUlT_T0_E_clISt17integral_constantIbLb1EES11_EEDaSW_SX_EUlSW_E_NS1_11comp_targetILNS1_3genE8ELNS1_11target_archE1030ELNS1_3gpuE2ELNS1_3repE0EEENS1_30default_config_static_selectorELNS0_4arch9wavefront6targetE1EEEvT1_
		.amdhsa_group_segment_fixed_size 0
		.amdhsa_private_segment_fixed_size 0
		.amdhsa_kernarg_size 136
		.amdhsa_user_sgpr_count 2
		.amdhsa_user_sgpr_dispatch_ptr 0
		.amdhsa_user_sgpr_queue_ptr 0
		.amdhsa_user_sgpr_kernarg_segment_ptr 1
		.amdhsa_user_sgpr_dispatch_id 0
		.amdhsa_user_sgpr_kernarg_preload_length 0
		.amdhsa_user_sgpr_kernarg_preload_offset 0
		.amdhsa_user_sgpr_private_segment_size 0
		.amdhsa_uses_dynamic_stack 0
		.amdhsa_enable_private_segment 0
		.amdhsa_system_sgpr_workgroup_id_x 1
		.amdhsa_system_sgpr_workgroup_id_y 0
		.amdhsa_system_sgpr_workgroup_id_z 0
		.amdhsa_system_sgpr_workgroup_info 0
		.amdhsa_system_vgpr_workitem_id 0
		.amdhsa_next_free_vgpr 1
		.amdhsa_next_free_sgpr 0
		.amdhsa_accum_offset 4
		.amdhsa_reserve_vcc 0
		.amdhsa_float_round_mode_32 0
		.amdhsa_float_round_mode_16_64 0
		.amdhsa_float_denorm_mode_32 3
		.amdhsa_float_denorm_mode_16_64 3
		.amdhsa_dx10_clamp 1
		.amdhsa_ieee_mode 1
		.amdhsa_fp16_overflow 0
		.amdhsa_tg_split 0
		.amdhsa_exception_fp_ieee_invalid_op 0
		.amdhsa_exception_fp_denorm_src 0
		.amdhsa_exception_fp_ieee_div_zero 0
		.amdhsa_exception_fp_ieee_overflow 0
		.amdhsa_exception_fp_ieee_underflow 0
		.amdhsa_exception_fp_ieee_inexact 0
		.amdhsa_exception_int_div_zero 0
	.end_amdhsa_kernel
	.section	.text._ZN7rocprim17ROCPRIM_400000_NS6detail17trampoline_kernelINS0_14default_configENS1_27scan_by_key_config_selectorIidEEZZNS1_16scan_by_key_implILNS1_25lookback_scan_determinismE0ELb1ES3_N6thrust23THRUST_200600_302600_NS6detail15normal_iteratorINS9_10device_ptrIiEEEENSB_INSC_IdEEEESG_dNS9_4plusIvEENS9_8equal_toIvEEdEE10hipError_tPvRmT2_T3_T4_T5_mT6_T7_P12ihipStream_tbENKUlT_T0_E_clISt17integral_constantIbLb1EES11_EEDaSW_SX_EUlSW_E_NS1_11comp_targetILNS1_3genE8ELNS1_11target_archE1030ELNS1_3gpuE2ELNS1_3repE0EEENS1_30default_config_static_selectorELNS0_4arch9wavefront6targetE1EEEvT1_,"axG",@progbits,_ZN7rocprim17ROCPRIM_400000_NS6detail17trampoline_kernelINS0_14default_configENS1_27scan_by_key_config_selectorIidEEZZNS1_16scan_by_key_implILNS1_25lookback_scan_determinismE0ELb1ES3_N6thrust23THRUST_200600_302600_NS6detail15normal_iteratorINS9_10device_ptrIiEEEENSB_INSC_IdEEEESG_dNS9_4plusIvEENS9_8equal_toIvEEdEE10hipError_tPvRmT2_T3_T4_T5_mT6_T7_P12ihipStream_tbENKUlT_T0_E_clISt17integral_constantIbLb1EES11_EEDaSW_SX_EUlSW_E_NS1_11comp_targetILNS1_3genE8ELNS1_11target_archE1030ELNS1_3gpuE2ELNS1_3repE0EEENS1_30default_config_static_selectorELNS0_4arch9wavefront6targetE1EEEvT1_,comdat
.Lfunc_end1408:
	.size	_ZN7rocprim17ROCPRIM_400000_NS6detail17trampoline_kernelINS0_14default_configENS1_27scan_by_key_config_selectorIidEEZZNS1_16scan_by_key_implILNS1_25lookback_scan_determinismE0ELb1ES3_N6thrust23THRUST_200600_302600_NS6detail15normal_iteratorINS9_10device_ptrIiEEEENSB_INSC_IdEEEESG_dNS9_4plusIvEENS9_8equal_toIvEEdEE10hipError_tPvRmT2_T3_T4_T5_mT6_T7_P12ihipStream_tbENKUlT_T0_E_clISt17integral_constantIbLb1EES11_EEDaSW_SX_EUlSW_E_NS1_11comp_targetILNS1_3genE8ELNS1_11target_archE1030ELNS1_3gpuE2ELNS1_3repE0EEENS1_30default_config_static_selectorELNS0_4arch9wavefront6targetE1EEEvT1_, .Lfunc_end1408-_ZN7rocprim17ROCPRIM_400000_NS6detail17trampoline_kernelINS0_14default_configENS1_27scan_by_key_config_selectorIidEEZZNS1_16scan_by_key_implILNS1_25lookback_scan_determinismE0ELb1ES3_N6thrust23THRUST_200600_302600_NS6detail15normal_iteratorINS9_10device_ptrIiEEEENSB_INSC_IdEEEESG_dNS9_4plusIvEENS9_8equal_toIvEEdEE10hipError_tPvRmT2_T3_T4_T5_mT6_T7_P12ihipStream_tbENKUlT_T0_E_clISt17integral_constantIbLb1EES11_EEDaSW_SX_EUlSW_E_NS1_11comp_targetILNS1_3genE8ELNS1_11target_archE1030ELNS1_3gpuE2ELNS1_3repE0EEENS1_30default_config_static_selectorELNS0_4arch9wavefront6targetE1EEEvT1_
                                        ; -- End function
	.section	.AMDGPU.csdata,"",@progbits
; Kernel info:
; codeLenInByte = 0
; NumSgprs: 6
; NumVgprs: 0
; NumAgprs: 0
; TotalNumVgprs: 0
; ScratchSize: 0
; MemoryBound: 0
; FloatMode: 240
; IeeeMode: 1
; LDSByteSize: 0 bytes/workgroup (compile time only)
; SGPRBlocks: 0
; VGPRBlocks: 0
; NumSGPRsForWavesPerEU: 6
; NumVGPRsForWavesPerEU: 1
; AccumOffset: 4
; Occupancy: 8
; WaveLimiterHint : 0
; COMPUTE_PGM_RSRC2:SCRATCH_EN: 0
; COMPUTE_PGM_RSRC2:USER_SGPR: 2
; COMPUTE_PGM_RSRC2:TRAP_HANDLER: 0
; COMPUTE_PGM_RSRC2:TGID_X_EN: 1
; COMPUTE_PGM_RSRC2:TGID_Y_EN: 0
; COMPUTE_PGM_RSRC2:TGID_Z_EN: 0
; COMPUTE_PGM_RSRC2:TIDIG_COMP_CNT: 0
; COMPUTE_PGM_RSRC3_GFX90A:ACCUM_OFFSET: 0
; COMPUTE_PGM_RSRC3_GFX90A:TG_SPLIT: 0
	.section	.text._ZN7rocprim17ROCPRIM_400000_NS6detail17trampoline_kernelINS0_14default_configENS1_27scan_by_key_config_selectorIidEEZZNS1_16scan_by_key_implILNS1_25lookback_scan_determinismE0ELb1ES3_N6thrust23THRUST_200600_302600_NS6detail15normal_iteratorINS9_10device_ptrIiEEEENSB_INSC_IdEEEESG_dNS9_4plusIvEENS9_8equal_toIvEEdEE10hipError_tPvRmT2_T3_T4_T5_mT6_T7_P12ihipStream_tbENKUlT_T0_E_clISt17integral_constantIbLb1EES10_IbLb0EEEEDaSW_SX_EUlSW_E_NS1_11comp_targetILNS1_3genE0ELNS1_11target_archE4294967295ELNS1_3gpuE0ELNS1_3repE0EEENS1_30default_config_static_selectorELNS0_4arch9wavefront6targetE1EEEvT1_,"axG",@progbits,_ZN7rocprim17ROCPRIM_400000_NS6detail17trampoline_kernelINS0_14default_configENS1_27scan_by_key_config_selectorIidEEZZNS1_16scan_by_key_implILNS1_25lookback_scan_determinismE0ELb1ES3_N6thrust23THRUST_200600_302600_NS6detail15normal_iteratorINS9_10device_ptrIiEEEENSB_INSC_IdEEEESG_dNS9_4plusIvEENS9_8equal_toIvEEdEE10hipError_tPvRmT2_T3_T4_T5_mT6_T7_P12ihipStream_tbENKUlT_T0_E_clISt17integral_constantIbLb1EES10_IbLb0EEEEDaSW_SX_EUlSW_E_NS1_11comp_targetILNS1_3genE0ELNS1_11target_archE4294967295ELNS1_3gpuE0ELNS1_3repE0EEENS1_30default_config_static_selectorELNS0_4arch9wavefront6targetE1EEEvT1_,comdat
	.protected	_ZN7rocprim17ROCPRIM_400000_NS6detail17trampoline_kernelINS0_14default_configENS1_27scan_by_key_config_selectorIidEEZZNS1_16scan_by_key_implILNS1_25lookback_scan_determinismE0ELb1ES3_N6thrust23THRUST_200600_302600_NS6detail15normal_iteratorINS9_10device_ptrIiEEEENSB_INSC_IdEEEESG_dNS9_4plusIvEENS9_8equal_toIvEEdEE10hipError_tPvRmT2_T3_T4_T5_mT6_T7_P12ihipStream_tbENKUlT_T0_E_clISt17integral_constantIbLb1EES10_IbLb0EEEEDaSW_SX_EUlSW_E_NS1_11comp_targetILNS1_3genE0ELNS1_11target_archE4294967295ELNS1_3gpuE0ELNS1_3repE0EEENS1_30default_config_static_selectorELNS0_4arch9wavefront6targetE1EEEvT1_ ; -- Begin function _ZN7rocprim17ROCPRIM_400000_NS6detail17trampoline_kernelINS0_14default_configENS1_27scan_by_key_config_selectorIidEEZZNS1_16scan_by_key_implILNS1_25lookback_scan_determinismE0ELb1ES3_N6thrust23THRUST_200600_302600_NS6detail15normal_iteratorINS9_10device_ptrIiEEEENSB_INSC_IdEEEESG_dNS9_4plusIvEENS9_8equal_toIvEEdEE10hipError_tPvRmT2_T3_T4_T5_mT6_T7_P12ihipStream_tbENKUlT_T0_E_clISt17integral_constantIbLb1EES10_IbLb0EEEEDaSW_SX_EUlSW_E_NS1_11comp_targetILNS1_3genE0ELNS1_11target_archE4294967295ELNS1_3gpuE0ELNS1_3repE0EEENS1_30default_config_static_selectorELNS0_4arch9wavefront6targetE1EEEvT1_
	.globl	_ZN7rocprim17ROCPRIM_400000_NS6detail17trampoline_kernelINS0_14default_configENS1_27scan_by_key_config_selectorIidEEZZNS1_16scan_by_key_implILNS1_25lookback_scan_determinismE0ELb1ES3_N6thrust23THRUST_200600_302600_NS6detail15normal_iteratorINS9_10device_ptrIiEEEENSB_INSC_IdEEEESG_dNS9_4plusIvEENS9_8equal_toIvEEdEE10hipError_tPvRmT2_T3_T4_T5_mT6_T7_P12ihipStream_tbENKUlT_T0_E_clISt17integral_constantIbLb1EES10_IbLb0EEEEDaSW_SX_EUlSW_E_NS1_11comp_targetILNS1_3genE0ELNS1_11target_archE4294967295ELNS1_3gpuE0ELNS1_3repE0EEENS1_30default_config_static_selectorELNS0_4arch9wavefront6targetE1EEEvT1_
	.p2align	8
	.type	_ZN7rocprim17ROCPRIM_400000_NS6detail17trampoline_kernelINS0_14default_configENS1_27scan_by_key_config_selectorIidEEZZNS1_16scan_by_key_implILNS1_25lookback_scan_determinismE0ELb1ES3_N6thrust23THRUST_200600_302600_NS6detail15normal_iteratorINS9_10device_ptrIiEEEENSB_INSC_IdEEEESG_dNS9_4plusIvEENS9_8equal_toIvEEdEE10hipError_tPvRmT2_T3_T4_T5_mT6_T7_P12ihipStream_tbENKUlT_T0_E_clISt17integral_constantIbLb1EES10_IbLb0EEEEDaSW_SX_EUlSW_E_NS1_11comp_targetILNS1_3genE0ELNS1_11target_archE4294967295ELNS1_3gpuE0ELNS1_3repE0EEENS1_30default_config_static_selectorELNS0_4arch9wavefront6targetE1EEEvT1_,@function
_ZN7rocprim17ROCPRIM_400000_NS6detail17trampoline_kernelINS0_14default_configENS1_27scan_by_key_config_selectorIidEEZZNS1_16scan_by_key_implILNS1_25lookback_scan_determinismE0ELb1ES3_N6thrust23THRUST_200600_302600_NS6detail15normal_iteratorINS9_10device_ptrIiEEEENSB_INSC_IdEEEESG_dNS9_4plusIvEENS9_8equal_toIvEEdEE10hipError_tPvRmT2_T3_T4_T5_mT6_T7_P12ihipStream_tbENKUlT_T0_E_clISt17integral_constantIbLb1EES10_IbLb0EEEEDaSW_SX_EUlSW_E_NS1_11comp_targetILNS1_3genE0ELNS1_11target_archE4294967295ELNS1_3gpuE0ELNS1_3repE0EEENS1_30default_config_static_selectorELNS0_4arch9wavefront6targetE1EEEvT1_: ; @_ZN7rocprim17ROCPRIM_400000_NS6detail17trampoline_kernelINS0_14default_configENS1_27scan_by_key_config_selectorIidEEZZNS1_16scan_by_key_implILNS1_25lookback_scan_determinismE0ELb1ES3_N6thrust23THRUST_200600_302600_NS6detail15normal_iteratorINS9_10device_ptrIiEEEENSB_INSC_IdEEEESG_dNS9_4plusIvEENS9_8equal_toIvEEdEE10hipError_tPvRmT2_T3_T4_T5_mT6_T7_P12ihipStream_tbENKUlT_T0_E_clISt17integral_constantIbLb1EES10_IbLb0EEEEDaSW_SX_EUlSW_E_NS1_11comp_targetILNS1_3genE0ELNS1_11target_archE4294967295ELNS1_3gpuE0ELNS1_3repE0EEENS1_30default_config_static_selectorELNS0_4arch9wavefront6targetE1EEEvT1_
; %bb.0:
	.section	.rodata,"a",@progbits
	.p2align	6, 0x0
	.amdhsa_kernel _ZN7rocprim17ROCPRIM_400000_NS6detail17trampoline_kernelINS0_14default_configENS1_27scan_by_key_config_selectorIidEEZZNS1_16scan_by_key_implILNS1_25lookback_scan_determinismE0ELb1ES3_N6thrust23THRUST_200600_302600_NS6detail15normal_iteratorINS9_10device_ptrIiEEEENSB_INSC_IdEEEESG_dNS9_4plusIvEENS9_8equal_toIvEEdEE10hipError_tPvRmT2_T3_T4_T5_mT6_T7_P12ihipStream_tbENKUlT_T0_E_clISt17integral_constantIbLb1EES10_IbLb0EEEEDaSW_SX_EUlSW_E_NS1_11comp_targetILNS1_3genE0ELNS1_11target_archE4294967295ELNS1_3gpuE0ELNS1_3repE0EEENS1_30default_config_static_selectorELNS0_4arch9wavefront6targetE1EEEvT1_
		.amdhsa_group_segment_fixed_size 0
		.amdhsa_private_segment_fixed_size 0
		.amdhsa_kernarg_size 136
		.amdhsa_user_sgpr_count 2
		.amdhsa_user_sgpr_dispatch_ptr 0
		.amdhsa_user_sgpr_queue_ptr 0
		.amdhsa_user_sgpr_kernarg_segment_ptr 1
		.amdhsa_user_sgpr_dispatch_id 0
		.amdhsa_user_sgpr_kernarg_preload_length 0
		.amdhsa_user_sgpr_kernarg_preload_offset 0
		.amdhsa_user_sgpr_private_segment_size 0
		.amdhsa_uses_dynamic_stack 0
		.amdhsa_enable_private_segment 0
		.amdhsa_system_sgpr_workgroup_id_x 1
		.amdhsa_system_sgpr_workgroup_id_y 0
		.amdhsa_system_sgpr_workgroup_id_z 0
		.amdhsa_system_sgpr_workgroup_info 0
		.amdhsa_system_vgpr_workitem_id 0
		.amdhsa_next_free_vgpr 1
		.amdhsa_next_free_sgpr 0
		.amdhsa_accum_offset 4
		.amdhsa_reserve_vcc 0
		.amdhsa_float_round_mode_32 0
		.amdhsa_float_round_mode_16_64 0
		.amdhsa_float_denorm_mode_32 3
		.amdhsa_float_denorm_mode_16_64 3
		.amdhsa_dx10_clamp 1
		.amdhsa_ieee_mode 1
		.amdhsa_fp16_overflow 0
		.amdhsa_tg_split 0
		.amdhsa_exception_fp_ieee_invalid_op 0
		.amdhsa_exception_fp_denorm_src 0
		.amdhsa_exception_fp_ieee_div_zero 0
		.amdhsa_exception_fp_ieee_overflow 0
		.amdhsa_exception_fp_ieee_underflow 0
		.amdhsa_exception_fp_ieee_inexact 0
		.amdhsa_exception_int_div_zero 0
	.end_amdhsa_kernel
	.section	.text._ZN7rocprim17ROCPRIM_400000_NS6detail17trampoline_kernelINS0_14default_configENS1_27scan_by_key_config_selectorIidEEZZNS1_16scan_by_key_implILNS1_25lookback_scan_determinismE0ELb1ES3_N6thrust23THRUST_200600_302600_NS6detail15normal_iteratorINS9_10device_ptrIiEEEENSB_INSC_IdEEEESG_dNS9_4plusIvEENS9_8equal_toIvEEdEE10hipError_tPvRmT2_T3_T4_T5_mT6_T7_P12ihipStream_tbENKUlT_T0_E_clISt17integral_constantIbLb1EES10_IbLb0EEEEDaSW_SX_EUlSW_E_NS1_11comp_targetILNS1_3genE0ELNS1_11target_archE4294967295ELNS1_3gpuE0ELNS1_3repE0EEENS1_30default_config_static_selectorELNS0_4arch9wavefront6targetE1EEEvT1_,"axG",@progbits,_ZN7rocprim17ROCPRIM_400000_NS6detail17trampoline_kernelINS0_14default_configENS1_27scan_by_key_config_selectorIidEEZZNS1_16scan_by_key_implILNS1_25lookback_scan_determinismE0ELb1ES3_N6thrust23THRUST_200600_302600_NS6detail15normal_iteratorINS9_10device_ptrIiEEEENSB_INSC_IdEEEESG_dNS9_4plusIvEENS9_8equal_toIvEEdEE10hipError_tPvRmT2_T3_T4_T5_mT6_T7_P12ihipStream_tbENKUlT_T0_E_clISt17integral_constantIbLb1EES10_IbLb0EEEEDaSW_SX_EUlSW_E_NS1_11comp_targetILNS1_3genE0ELNS1_11target_archE4294967295ELNS1_3gpuE0ELNS1_3repE0EEENS1_30default_config_static_selectorELNS0_4arch9wavefront6targetE1EEEvT1_,comdat
.Lfunc_end1409:
	.size	_ZN7rocprim17ROCPRIM_400000_NS6detail17trampoline_kernelINS0_14default_configENS1_27scan_by_key_config_selectorIidEEZZNS1_16scan_by_key_implILNS1_25lookback_scan_determinismE0ELb1ES3_N6thrust23THRUST_200600_302600_NS6detail15normal_iteratorINS9_10device_ptrIiEEEENSB_INSC_IdEEEESG_dNS9_4plusIvEENS9_8equal_toIvEEdEE10hipError_tPvRmT2_T3_T4_T5_mT6_T7_P12ihipStream_tbENKUlT_T0_E_clISt17integral_constantIbLb1EES10_IbLb0EEEEDaSW_SX_EUlSW_E_NS1_11comp_targetILNS1_3genE0ELNS1_11target_archE4294967295ELNS1_3gpuE0ELNS1_3repE0EEENS1_30default_config_static_selectorELNS0_4arch9wavefront6targetE1EEEvT1_, .Lfunc_end1409-_ZN7rocprim17ROCPRIM_400000_NS6detail17trampoline_kernelINS0_14default_configENS1_27scan_by_key_config_selectorIidEEZZNS1_16scan_by_key_implILNS1_25lookback_scan_determinismE0ELb1ES3_N6thrust23THRUST_200600_302600_NS6detail15normal_iteratorINS9_10device_ptrIiEEEENSB_INSC_IdEEEESG_dNS9_4plusIvEENS9_8equal_toIvEEdEE10hipError_tPvRmT2_T3_T4_T5_mT6_T7_P12ihipStream_tbENKUlT_T0_E_clISt17integral_constantIbLb1EES10_IbLb0EEEEDaSW_SX_EUlSW_E_NS1_11comp_targetILNS1_3genE0ELNS1_11target_archE4294967295ELNS1_3gpuE0ELNS1_3repE0EEENS1_30default_config_static_selectorELNS0_4arch9wavefront6targetE1EEEvT1_
                                        ; -- End function
	.section	.AMDGPU.csdata,"",@progbits
; Kernel info:
; codeLenInByte = 0
; NumSgprs: 6
; NumVgprs: 0
; NumAgprs: 0
; TotalNumVgprs: 0
; ScratchSize: 0
; MemoryBound: 0
; FloatMode: 240
; IeeeMode: 1
; LDSByteSize: 0 bytes/workgroup (compile time only)
; SGPRBlocks: 0
; VGPRBlocks: 0
; NumSGPRsForWavesPerEU: 6
; NumVGPRsForWavesPerEU: 1
; AccumOffset: 4
; Occupancy: 8
; WaveLimiterHint : 0
; COMPUTE_PGM_RSRC2:SCRATCH_EN: 0
; COMPUTE_PGM_RSRC2:USER_SGPR: 2
; COMPUTE_PGM_RSRC2:TRAP_HANDLER: 0
; COMPUTE_PGM_RSRC2:TGID_X_EN: 1
; COMPUTE_PGM_RSRC2:TGID_Y_EN: 0
; COMPUTE_PGM_RSRC2:TGID_Z_EN: 0
; COMPUTE_PGM_RSRC2:TIDIG_COMP_CNT: 0
; COMPUTE_PGM_RSRC3_GFX90A:ACCUM_OFFSET: 0
; COMPUTE_PGM_RSRC3_GFX90A:TG_SPLIT: 0
	.section	.text._ZN7rocprim17ROCPRIM_400000_NS6detail17trampoline_kernelINS0_14default_configENS1_27scan_by_key_config_selectorIidEEZZNS1_16scan_by_key_implILNS1_25lookback_scan_determinismE0ELb1ES3_N6thrust23THRUST_200600_302600_NS6detail15normal_iteratorINS9_10device_ptrIiEEEENSB_INSC_IdEEEESG_dNS9_4plusIvEENS9_8equal_toIvEEdEE10hipError_tPvRmT2_T3_T4_T5_mT6_T7_P12ihipStream_tbENKUlT_T0_E_clISt17integral_constantIbLb1EES10_IbLb0EEEEDaSW_SX_EUlSW_E_NS1_11comp_targetILNS1_3genE10ELNS1_11target_archE1201ELNS1_3gpuE5ELNS1_3repE0EEENS1_30default_config_static_selectorELNS0_4arch9wavefront6targetE1EEEvT1_,"axG",@progbits,_ZN7rocprim17ROCPRIM_400000_NS6detail17trampoline_kernelINS0_14default_configENS1_27scan_by_key_config_selectorIidEEZZNS1_16scan_by_key_implILNS1_25lookback_scan_determinismE0ELb1ES3_N6thrust23THRUST_200600_302600_NS6detail15normal_iteratorINS9_10device_ptrIiEEEENSB_INSC_IdEEEESG_dNS9_4plusIvEENS9_8equal_toIvEEdEE10hipError_tPvRmT2_T3_T4_T5_mT6_T7_P12ihipStream_tbENKUlT_T0_E_clISt17integral_constantIbLb1EES10_IbLb0EEEEDaSW_SX_EUlSW_E_NS1_11comp_targetILNS1_3genE10ELNS1_11target_archE1201ELNS1_3gpuE5ELNS1_3repE0EEENS1_30default_config_static_selectorELNS0_4arch9wavefront6targetE1EEEvT1_,comdat
	.protected	_ZN7rocprim17ROCPRIM_400000_NS6detail17trampoline_kernelINS0_14default_configENS1_27scan_by_key_config_selectorIidEEZZNS1_16scan_by_key_implILNS1_25lookback_scan_determinismE0ELb1ES3_N6thrust23THRUST_200600_302600_NS6detail15normal_iteratorINS9_10device_ptrIiEEEENSB_INSC_IdEEEESG_dNS9_4plusIvEENS9_8equal_toIvEEdEE10hipError_tPvRmT2_T3_T4_T5_mT6_T7_P12ihipStream_tbENKUlT_T0_E_clISt17integral_constantIbLb1EES10_IbLb0EEEEDaSW_SX_EUlSW_E_NS1_11comp_targetILNS1_3genE10ELNS1_11target_archE1201ELNS1_3gpuE5ELNS1_3repE0EEENS1_30default_config_static_selectorELNS0_4arch9wavefront6targetE1EEEvT1_ ; -- Begin function _ZN7rocprim17ROCPRIM_400000_NS6detail17trampoline_kernelINS0_14default_configENS1_27scan_by_key_config_selectorIidEEZZNS1_16scan_by_key_implILNS1_25lookback_scan_determinismE0ELb1ES3_N6thrust23THRUST_200600_302600_NS6detail15normal_iteratorINS9_10device_ptrIiEEEENSB_INSC_IdEEEESG_dNS9_4plusIvEENS9_8equal_toIvEEdEE10hipError_tPvRmT2_T3_T4_T5_mT6_T7_P12ihipStream_tbENKUlT_T0_E_clISt17integral_constantIbLb1EES10_IbLb0EEEEDaSW_SX_EUlSW_E_NS1_11comp_targetILNS1_3genE10ELNS1_11target_archE1201ELNS1_3gpuE5ELNS1_3repE0EEENS1_30default_config_static_selectorELNS0_4arch9wavefront6targetE1EEEvT1_
	.globl	_ZN7rocprim17ROCPRIM_400000_NS6detail17trampoline_kernelINS0_14default_configENS1_27scan_by_key_config_selectorIidEEZZNS1_16scan_by_key_implILNS1_25lookback_scan_determinismE0ELb1ES3_N6thrust23THRUST_200600_302600_NS6detail15normal_iteratorINS9_10device_ptrIiEEEENSB_INSC_IdEEEESG_dNS9_4plusIvEENS9_8equal_toIvEEdEE10hipError_tPvRmT2_T3_T4_T5_mT6_T7_P12ihipStream_tbENKUlT_T0_E_clISt17integral_constantIbLb1EES10_IbLb0EEEEDaSW_SX_EUlSW_E_NS1_11comp_targetILNS1_3genE10ELNS1_11target_archE1201ELNS1_3gpuE5ELNS1_3repE0EEENS1_30default_config_static_selectorELNS0_4arch9wavefront6targetE1EEEvT1_
	.p2align	8
	.type	_ZN7rocprim17ROCPRIM_400000_NS6detail17trampoline_kernelINS0_14default_configENS1_27scan_by_key_config_selectorIidEEZZNS1_16scan_by_key_implILNS1_25lookback_scan_determinismE0ELb1ES3_N6thrust23THRUST_200600_302600_NS6detail15normal_iteratorINS9_10device_ptrIiEEEENSB_INSC_IdEEEESG_dNS9_4plusIvEENS9_8equal_toIvEEdEE10hipError_tPvRmT2_T3_T4_T5_mT6_T7_P12ihipStream_tbENKUlT_T0_E_clISt17integral_constantIbLb1EES10_IbLb0EEEEDaSW_SX_EUlSW_E_NS1_11comp_targetILNS1_3genE10ELNS1_11target_archE1201ELNS1_3gpuE5ELNS1_3repE0EEENS1_30default_config_static_selectorELNS0_4arch9wavefront6targetE1EEEvT1_,@function
_ZN7rocprim17ROCPRIM_400000_NS6detail17trampoline_kernelINS0_14default_configENS1_27scan_by_key_config_selectorIidEEZZNS1_16scan_by_key_implILNS1_25lookback_scan_determinismE0ELb1ES3_N6thrust23THRUST_200600_302600_NS6detail15normal_iteratorINS9_10device_ptrIiEEEENSB_INSC_IdEEEESG_dNS9_4plusIvEENS9_8equal_toIvEEdEE10hipError_tPvRmT2_T3_T4_T5_mT6_T7_P12ihipStream_tbENKUlT_T0_E_clISt17integral_constantIbLb1EES10_IbLb0EEEEDaSW_SX_EUlSW_E_NS1_11comp_targetILNS1_3genE10ELNS1_11target_archE1201ELNS1_3gpuE5ELNS1_3repE0EEENS1_30default_config_static_selectorELNS0_4arch9wavefront6targetE1EEEvT1_: ; @_ZN7rocprim17ROCPRIM_400000_NS6detail17trampoline_kernelINS0_14default_configENS1_27scan_by_key_config_selectorIidEEZZNS1_16scan_by_key_implILNS1_25lookback_scan_determinismE0ELb1ES3_N6thrust23THRUST_200600_302600_NS6detail15normal_iteratorINS9_10device_ptrIiEEEENSB_INSC_IdEEEESG_dNS9_4plusIvEENS9_8equal_toIvEEdEE10hipError_tPvRmT2_T3_T4_T5_mT6_T7_P12ihipStream_tbENKUlT_T0_E_clISt17integral_constantIbLb1EES10_IbLb0EEEEDaSW_SX_EUlSW_E_NS1_11comp_targetILNS1_3genE10ELNS1_11target_archE1201ELNS1_3gpuE5ELNS1_3repE0EEENS1_30default_config_static_selectorELNS0_4arch9wavefront6targetE1EEEvT1_
; %bb.0:
	.section	.rodata,"a",@progbits
	.p2align	6, 0x0
	.amdhsa_kernel _ZN7rocprim17ROCPRIM_400000_NS6detail17trampoline_kernelINS0_14default_configENS1_27scan_by_key_config_selectorIidEEZZNS1_16scan_by_key_implILNS1_25lookback_scan_determinismE0ELb1ES3_N6thrust23THRUST_200600_302600_NS6detail15normal_iteratorINS9_10device_ptrIiEEEENSB_INSC_IdEEEESG_dNS9_4plusIvEENS9_8equal_toIvEEdEE10hipError_tPvRmT2_T3_T4_T5_mT6_T7_P12ihipStream_tbENKUlT_T0_E_clISt17integral_constantIbLb1EES10_IbLb0EEEEDaSW_SX_EUlSW_E_NS1_11comp_targetILNS1_3genE10ELNS1_11target_archE1201ELNS1_3gpuE5ELNS1_3repE0EEENS1_30default_config_static_selectorELNS0_4arch9wavefront6targetE1EEEvT1_
		.amdhsa_group_segment_fixed_size 0
		.amdhsa_private_segment_fixed_size 0
		.amdhsa_kernarg_size 136
		.amdhsa_user_sgpr_count 2
		.amdhsa_user_sgpr_dispatch_ptr 0
		.amdhsa_user_sgpr_queue_ptr 0
		.amdhsa_user_sgpr_kernarg_segment_ptr 1
		.amdhsa_user_sgpr_dispatch_id 0
		.amdhsa_user_sgpr_kernarg_preload_length 0
		.amdhsa_user_sgpr_kernarg_preload_offset 0
		.amdhsa_user_sgpr_private_segment_size 0
		.amdhsa_uses_dynamic_stack 0
		.amdhsa_enable_private_segment 0
		.amdhsa_system_sgpr_workgroup_id_x 1
		.amdhsa_system_sgpr_workgroup_id_y 0
		.amdhsa_system_sgpr_workgroup_id_z 0
		.amdhsa_system_sgpr_workgroup_info 0
		.amdhsa_system_vgpr_workitem_id 0
		.amdhsa_next_free_vgpr 1
		.amdhsa_next_free_sgpr 0
		.amdhsa_accum_offset 4
		.amdhsa_reserve_vcc 0
		.amdhsa_float_round_mode_32 0
		.amdhsa_float_round_mode_16_64 0
		.amdhsa_float_denorm_mode_32 3
		.amdhsa_float_denorm_mode_16_64 3
		.amdhsa_dx10_clamp 1
		.amdhsa_ieee_mode 1
		.amdhsa_fp16_overflow 0
		.amdhsa_tg_split 0
		.amdhsa_exception_fp_ieee_invalid_op 0
		.amdhsa_exception_fp_denorm_src 0
		.amdhsa_exception_fp_ieee_div_zero 0
		.amdhsa_exception_fp_ieee_overflow 0
		.amdhsa_exception_fp_ieee_underflow 0
		.amdhsa_exception_fp_ieee_inexact 0
		.amdhsa_exception_int_div_zero 0
	.end_amdhsa_kernel
	.section	.text._ZN7rocprim17ROCPRIM_400000_NS6detail17trampoline_kernelINS0_14default_configENS1_27scan_by_key_config_selectorIidEEZZNS1_16scan_by_key_implILNS1_25lookback_scan_determinismE0ELb1ES3_N6thrust23THRUST_200600_302600_NS6detail15normal_iteratorINS9_10device_ptrIiEEEENSB_INSC_IdEEEESG_dNS9_4plusIvEENS9_8equal_toIvEEdEE10hipError_tPvRmT2_T3_T4_T5_mT6_T7_P12ihipStream_tbENKUlT_T0_E_clISt17integral_constantIbLb1EES10_IbLb0EEEEDaSW_SX_EUlSW_E_NS1_11comp_targetILNS1_3genE10ELNS1_11target_archE1201ELNS1_3gpuE5ELNS1_3repE0EEENS1_30default_config_static_selectorELNS0_4arch9wavefront6targetE1EEEvT1_,"axG",@progbits,_ZN7rocprim17ROCPRIM_400000_NS6detail17trampoline_kernelINS0_14default_configENS1_27scan_by_key_config_selectorIidEEZZNS1_16scan_by_key_implILNS1_25lookback_scan_determinismE0ELb1ES3_N6thrust23THRUST_200600_302600_NS6detail15normal_iteratorINS9_10device_ptrIiEEEENSB_INSC_IdEEEESG_dNS9_4plusIvEENS9_8equal_toIvEEdEE10hipError_tPvRmT2_T3_T4_T5_mT6_T7_P12ihipStream_tbENKUlT_T0_E_clISt17integral_constantIbLb1EES10_IbLb0EEEEDaSW_SX_EUlSW_E_NS1_11comp_targetILNS1_3genE10ELNS1_11target_archE1201ELNS1_3gpuE5ELNS1_3repE0EEENS1_30default_config_static_selectorELNS0_4arch9wavefront6targetE1EEEvT1_,comdat
.Lfunc_end1410:
	.size	_ZN7rocprim17ROCPRIM_400000_NS6detail17trampoline_kernelINS0_14default_configENS1_27scan_by_key_config_selectorIidEEZZNS1_16scan_by_key_implILNS1_25lookback_scan_determinismE0ELb1ES3_N6thrust23THRUST_200600_302600_NS6detail15normal_iteratorINS9_10device_ptrIiEEEENSB_INSC_IdEEEESG_dNS9_4plusIvEENS9_8equal_toIvEEdEE10hipError_tPvRmT2_T3_T4_T5_mT6_T7_P12ihipStream_tbENKUlT_T0_E_clISt17integral_constantIbLb1EES10_IbLb0EEEEDaSW_SX_EUlSW_E_NS1_11comp_targetILNS1_3genE10ELNS1_11target_archE1201ELNS1_3gpuE5ELNS1_3repE0EEENS1_30default_config_static_selectorELNS0_4arch9wavefront6targetE1EEEvT1_, .Lfunc_end1410-_ZN7rocprim17ROCPRIM_400000_NS6detail17trampoline_kernelINS0_14default_configENS1_27scan_by_key_config_selectorIidEEZZNS1_16scan_by_key_implILNS1_25lookback_scan_determinismE0ELb1ES3_N6thrust23THRUST_200600_302600_NS6detail15normal_iteratorINS9_10device_ptrIiEEEENSB_INSC_IdEEEESG_dNS9_4plusIvEENS9_8equal_toIvEEdEE10hipError_tPvRmT2_T3_T4_T5_mT6_T7_P12ihipStream_tbENKUlT_T0_E_clISt17integral_constantIbLb1EES10_IbLb0EEEEDaSW_SX_EUlSW_E_NS1_11comp_targetILNS1_3genE10ELNS1_11target_archE1201ELNS1_3gpuE5ELNS1_3repE0EEENS1_30default_config_static_selectorELNS0_4arch9wavefront6targetE1EEEvT1_
                                        ; -- End function
	.section	.AMDGPU.csdata,"",@progbits
; Kernel info:
; codeLenInByte = 0
; NumSgprs: 6
; NumVgprs: 0
; NumAgprs: 0
; TotalNumVgprs: 0
; ScratchSize: 0
; MemoryBound: 0
; FloatMode: 240
; IeeeMode: 1
; LDSByteSize: 0 bytes/workgroup (compile time only)
; SGPRBlocks: 0
; VGPRBlocks: 0
; NumSGPRsForWavesPerEU: 6
; NumVGPRsForWavesPerEU: 1
; AccumOffset: 4
; Occupancy: 8
; WaveLimiterHint : 0
; COMPUTE_PGM_RSRC2:SCRATCH_EN: 0
; COMPUTE_PGM_RSRC2:USER_SGPR: 2
; COMPUTE_PGM_RSRC2:TRAP_HANDLER: 0
; COMPUTE_PGM_RSRC2:TGID_X_EN: 1
; COMPUTE_PGM_RSRC2:TGID_Y_EN: 0
; COMPUTE_PGM_RSRC2:TGID_Z_EN: 0
; COMPUTE_PGM_RSRC2:TIDIG_COMP_CNT: 0
; COMPUTE_PGM_RSRC3_GFX90A:ACCUM_OFFSET: 0
; COMPUTE_PGM_RSRC3_GFX90A:TG_SPLIT: 0
	.section	.text._ZN7rocprim17ROCPRIM_400000_NS6detail17trampoline_kernelINS0_14default_configENS1_27scan_by_key_config_selectorIidEEZZNS1_16scan_by_key_implILNS1_25lookback_scan_determinismE0ELb1ES3_N6thrust23THRUST_200600_302600_NS6detail15normal_iteratorINS9_10device_ptrIiEEEENSB_INSC_IdEEEESG_dNS9_4plusIvEENS9_8equal_toIvEEdEE10hipError_tPvRmT2_T3_T4_T5_mT6_T7_P12ihipStream_tbENKUlT_T0_E_clISt17integral_constantIbLb1EES10_IbLb0EEEEDaSW_SX_EUlSW_E_NS1_11comp_targetILNS1_3genE5ELNS1_11target_archE942ELNS1_3gpuE9ELNS1_3repE0EEENS1_30default_config_static_selectorELNS0_4arch9wavefront6targetE1EEEvT1_,"axG",@progbits,_ZN7rocprim17ROCPRIM_400000_NS6detail17trampoline_kernelINS0_14default_configENS1_27scan_by_key_config_selectorIidEEZZNS1_16scan_by_key_implILNS1_25lookback_scan_determinismE0ELb1ES3_N6thrust23THRUST_200600_302600_NS6detail15normal_iteratorINS9_10device_ptrIiEEEENSB_INSC_IdEEEESG_dNS9_4plusIvEENS9_8equal_toIvEEdEE10hipError_tPvRmT2_T3_T4_T5_mT6_T7_P12ihipStream_tbENKUlT_T0_E_clISt17integral_constantIbLb1EES10_IbLb0EEEEDaSW_SX_EUlSW_E_NS1_11comp_targetILNS1_3genE5ELNS1_11target_archE942ELNS1_3gpuE9ELNS1_3repE0EEENS1_30default_config_static_selectorELNS0_4arch9wavefront6targetE1EEEvT1_,comdat
	.protected	_ZN7rocprim17ROCPRIM_400000_NS6detail17trampoline_kernelINS0_14default_configENS1_27scan_by_key_config_selectorIidEEZZNS1_16scan_by_key_implILNS1_25lookback_scan_determinismE0ELb1ES3_N6thrust23THRUST_200600_302600_NS6detail15normal_iteratorINS9_10device_ptrIiEEEENSB_INSC_IdEEEESG_dNS9_4plusIvEENS9_8equal_toIvEEdEE10hipError_tPvRmT2_T3_T4_T5_mT6_T7_P12ihipStream_tbENKUlT_T0_E_clISt17integral_constantIbLb1EES10_IbLb0EEEEDaSW_SX_EUlSW_E_NS1_11comp_targetILNS1_3genE5ELNS1_11target_archE942ELNS1_3gpuE9ELNS1_3repE0EEENS1_30default_config_static_selectorELNS0_4arch9wavefront6targetE1EEEvT1_ ; -- Begin function _ZN7rocprim17ROCPRIM_400000_NS6detail17trampoline_kernelINS0_14default_configENS1_27scan_by_key_config_selectorIidEEZZNS1_16scan_by_key_implILNS1_25lookback_scan_determinismE0ELb1ES3_N6thrust23THRUST_200600_302600_NS6detail15normal_iteratorINS9_10device_ptrIiEEEENSB_INSC_IdEEEESG_dNS9_4plusIvEENS9_8equal_toIvEEdEE10hipError_tPvRmT2_T3_T4_T5_mT6_T7_P12ihipStream_tbENKUlT_T0_E_clISt17integral_constantIbLb1EES10_IbLb0EEEEDaSW_SX_EUlSW_E_NS1_11comp_targetILNS1_3genE5ELNS1_11target_archE942ELNS1_3gpuE9ELNS1_3repE0EEENS1_30default_config_static_selectorELNS0_4arch9wavefront6targetE1EEEvT1_
	.globl	_ZN7rocprim17ROCPRIM_400000_NS6detail17trampoline_kernelINS0_14default_configENS1_27scan_by_key_config_selectorIidEEZZNS1_16scan_by_key_implILNS1_25lookback_scan_determinismE0ELb1ES3_N6thrust23THRUST_200600_302600_NS6detail15normal_iteratorINS9_10device_ptrIiEEEENSB_INSC_IdEEEESG_dNS9_4plusIvEENS9_8equal_toIvEEdEE10hipError_tPvRmT2_T3_T4_T5_mT6_T7_P12ihipStream_tbENKUlT_T0_E_clISt17integral_constantIbLb1EES10_IbLb0EEEEDaSW_SX_EUlSW_E_NS1_11comp_targetILNS1_3genE5ELNS1_11target_archE942ELNS1_3gpuE9ELNS1_3repE0EEENS1_30default_config_static_selectorELNS0_4arch9wavefront6targetE1EEEvT1_
	.p2align	8
	.type	_ZN7rocprim17ROCPRIM_400000_NS6detail17trampoline_kernelINS0_14default_configENS1_27scan_by_key_config_selectorIidEEZZNS1_16scan_by_key_implILNS1_25lookback_scan_determinismE0ELb1ES3_N6thrust23THRUST_200600_302600_NS6detail15normal_iteratorINS9_10device_ptrIiEEEENSB_INSC_IdEEEESG_dNS9_4plusIvEENS9_8equal_toIvEEdEE10hipError_tPvRmT2_T3_T4_T5_mT6_T7_P12ihipStream_tbENKUlT_T0_E_clISt17integral_constantIbLb1EES10_IbLb0EEEEDaSW_SX_EUlSW_E_NS1_11comp_targetILNS1_3genE5ELNS1_11target_archE942ELNS1_3gpuE9ELNS1_3repE0EEENS1_30default_config_static_selectorELNS0_4arch9wavefront6targetE1EEEvT1_,@function
_ZN7rocprim17ROCPRIM_400000_NS6detail17trampoline_kernelINS0_14default_configENS1_27scan_by_key_config_selectorIidEEZZNS1_16scan_by_key_implILNS1_25lookback_scan_determinismE0ELb1ES3_N6thrust23THRUST_200600_302600_NS6detail15normal_iteratorINS9_10device_ptrIiEEEENSB_INSC_IdEEEESG_dNS9_4plusIvEENS9_8equal_toIvEEdEE10hipError_tPvRmT2_T3_T4_T5_mT6_T7_P12ihipStream_tbENKUlT_T0_E_clISt17integral_constantIbLb1EES10_IbLb0EEEEDaSW_SX_EUlSW_E_NS1_11comp_targetILNS1_3genE5ELNS1_11target_archE942ELNS1_3gpuE9ELNS1_3repE0EEENS1_30default_config_static_selectorELNS0_4arch9wavefront6targetE1EEEvT1_: ; @_ZN7rocprim17ROCPRIM_400000_NS6detail17trampoline_kernelINS0_14default_configENS1_27scan_by_key_config_selectorIidEEZZNS1_16scan_by_key_implILNS1_25lookback_scan_determinismE0ELb1ES3_N6thrust23THRUST_200600_302600_NS6detail15normal_iteratorINS9_10device_ptrIiEEEENSB_INSC_IdEEEESG_dNS9_4plusIvEENS9_8equal_toIvEEdEE10hipError_tPvRmT2_T3_T4_T5_mT6_T7_P12ihipStream_tbENKUlT_T0_E_clISt17integral_constantIbLb1EES10_IbLb0EEEEDaSW_SX_EUlSW_E_NS1_11comp_targetILNS1_3genE5ELNS1_11target_archE942ELNS1_3gpuE9ELNS1_3repE0EEENS1_30default_config_static_selectorELNS0_4arch9wavefront6targetE1EEEvT1_
; %bb.0:
	s_load_dwordx8 s[56:63], s[0:1], 0x0
	s_load_dwordx2 s[68:69], s[0:1], 0x20
	s_load_dwordx8 s[48:55], s[0:1], 0x30
	s_load_dwordx2 s[70:71], s[0:1], 0x50
	s_load_dword s3, s[0:1], 0x58
	s_load_dwordx4 s[64:67], s[0:1], 0x60
	s_waitcnt lgkmcnt(0)
	s_lshl_b64 s[0:1], s[58:59], 2
	s_add_u32 s6, s56, s0
	s_addc_u32 s7, s57, s1
	s_lshl_b64 s[56:57], s[58:59], 3
	s_add_u32 s8, s60, s56
	s_mul_i32 s0, s71, s3
	s_mul_hi_u32 s1, s70, s3
	s_addc_u32 s9, s61, s57
	s_add_i32 s10, s1, s0
	s_mul_i32 s0, s2, 0x1500
	s_mov_b32 s1, 0
	s_lshl_b64 s[4:5], s[0:1], 2
	s_add_u32 s72, s6, s4
	s_addc_u32 s73, s7, s5
	s_lshl_b64 s[58:59], s[0:1], 3
	s_add_u32 s60, s8, s58
	s_mul_i32 s3, s70, s3
	s_addc_u32 s61, s9, s59
	s_add_u32 s0, s3, s2
	s_addc_u32 s1, s10, 0
	s_add_u32 s6, s64, -1
	s_addc_u32 s7, s65, -1
	v_mov_b64_e32 v[2:3], s[6:7]
	v_cmp_ge_u64_e64 s[0:1], s[0:1], v[2:3]
	s_mov_b64 s[4:5], -1
	s_and_b64 vcc, exec, s[0:1]
	s_mul_i32 s33, s6, 0xffffeb00
	s_barrier
	s_cbranch_vccz .LBB1411_65
; %bb.1:
	v_mov_b64_e32 v[2:3], s[72:73]
	flat_load_dword v2, v[2:3]
	s_add_i32 s55, s33, s54
	v_cmp_gt_u32_e32 vcc, s55, v0
	s_waitcnt vmcnt(0) lgkmcnt(0)
	v_mov_b32_e32 v4, v2
	s_and_saveexec_b64 s[4:5], vcc
	s_cbranch_execz .LBB1411_3
; %bb.2:
	v_lshlrev_b32_e32 v4, 2, v0
	v_mov_b32_e32 v5, 0
	v_lshl_add_u64 v[4:5], s[72:73], 0, v[4:5]
	flat_load_dword v4, v[4:5]
.LBB1411_3:
	s_or_b64 exec, exec, s[4:5]
	v_or_b32_e32 v1, 0x100, v0
	v_cmp_gt_u32_e64 s[44:45], s55, v1
	v_mov_b32_e32 v5, v2
	s_and_saveexec_b64 s[4:5], s[44:45]
	s_cbranch_execz .LBB1411_5
; %bb.4:
	v_lshlrev_b32_e32 v6, 2, v0
	v_mov_b32_e32 v7, 0
	v_lshl_add_u64 v[6:7], s[72:73], 0, v[6:7]
	flat_load_dword v5, v[6:7] offset:1024
.LBB1411_5:
	s_or_b64 exec, exec, s[4:5]
	v_or_b32_e32 v1, 0x200, v0
	v_cmp_gt_u32_e64 s[4:5], s55, v1
	v_mov_b32_e32 v6, v2
	s_and_saveexec_b64 s[6:7], s[4:5]
	s_cbranch_execz .LBB1411_7
; %bb.6:
	v_lshlrev_b32_e32 v6, 2, v0
	v_mov_b32_e32 v7, 0
	v_lshl_add_u64 v[6:7], s[72:73], 0, v[6:7]
	flat_load_dword v6, v[6:7] offset:2048
.LBB1411_7:
	;; [unrolled: 12-line block ×3, first 2 shown]
	s_or_b64 exec, exec, s[8:9]
	v_or_b32_e32 v32, 0x400, v0
	v_cmp_gt_u32_e64 s[8:9], s55, v32
	v_mov_b32_e32 v8, v2
	s_and_saveexec_b64 s[10:11], s[8:9]
	s_cbranch_execz .LBB1411_11
; %bb.10:
	v_lshlrev_b32_e32 v8, 2, v32
	v_mov_b32_e32 v9, 0
	v_lshl_add_u64 v[8:9], s[72:73], 0, v[8:9]
	flat_load_dword v8, v[8:9]
.LBB1411_11:
	s_or_b64 exec, exec, s[10:11]
	v_or_b32_e32 v34, 0x500, v0
	v_cmp_gt_u32_e64 s[10:11], s55, v34
	v_mov_b32_e32 v9, v2
	s_and_saveexec_b64 s[12:13], s[10:11]
	s_cbranch_execz .LBB1411_13
; %bb.12:
	v_lshlrev_b32_e32 v10, 2, v34
	v_mov_b32_e32 v11, 0
	v_lshl_add_u64 v[10:11], s[72:73], 0, v[10:11]
	flat_load_dword v9, v[10:11]
.LBB1411_13:
	;; [unrolled: 12-line block ×16, first 2 shown]
	s_or_b64 exec, exec, s[42:43]
	v_or_b32_e32 v64, 0x1400, v0
	v_cmp_gt_u32_e64 s[42:43], s55, v64
	v_mov_b32_e32 v3, 0
	s_and_saveexec_b64 s[46:47], s[42:43]
	s_cbranch_execz .LBB1411_43
; %bb.42:
	v_lshlrev_b32_e32 v2, 2, v64
	v_lshl_add_u64 v[2:3], s[72:73], 0, v[2:3]
	flat_load_dword v2, v[2:3]
.LBB1411_43:
	s_or_b64 exec, exec, s[46:47]
	v_lshlrev_b32_e32 v3, 2, v0
	s_waitcnt vmcnt(0) lgkmcnt(0)
	ds_write2st64_b32 v3, v4, v5 offset1:4
	ds_write2st64_b32 v3, v6, v7 offset0:8 offset1:12
	ds_write2st64_b32 v3, v8, v9 offset0:16 offset1:20
	;; [unrolled: 1-line block ×9, first 2 shown]
	ds_write_b32 v3, v2 offset:20480
	v_mov_b64_e32 v[4:5], s[72:73]
	s_waitcnt lgkmcnt(0)
	s_barrier
	flat_load_dword v82, v[4:5]
	s_movk_i32 s3, 0x50
	v_mad_u32_u24 v2, v0, s3, v3
	s_movk_i32 s3, 0xffb0
	v_mad_i32_i24 v65, v0, s3, v2
	s_movk_i32 s3, 0xff
	v_cmp_ne_u32_e64 s[46:47], s3, v0
	ds_read_b32 v84, v2
	ds_read2_b32 v[24:25], v2 offset0:1 offset1:2
	ds_read2_b32 v[22:23], v2 offset0:3 offset1:4
	ds_read2_b32 v[20:21], v2 offset0:5 offset1:6
	ds_read2_b32 v[18:19], v2 offset0:7 offset1:8
	ds_read2_b32 v[16:17], v2 offset0:9 offset1:10
	ds_read2_b32 v[14:15], v2 offset0:11 offset1:12
	ds_read2_b32 v[12:13], v2 offset0:13 offset1:14
	ds_read2_b32 v[10:11], v2 offset0:15 offset1:16
	ds_read2_b32 v[8:9], v2 offset0:17 offset1:18
	ds_read2_b32 v[6:7], v2 offset0:19 offset1:20
	s_waitcnt lgkmcnt(0)
	ds_write_b32 v65, v84 offset:22528
	s_waitcnt lgkmcnt(0)
	s_barrier
	s_and_saveexec_b64 s[64:65], s[46:47]
	s_cbranch_execz .LBB1411_45
; %bb.44:
	s_waitcnt vmcnt(0)
	ds_read_b32 v82, v3 offset:22532
.LBB1411_45:
	s_or_b64 exec, exec, s[64:65]
	v_mov_b32_e32 v5, 0
	s_waitcnt lgkmcnt(0)
	s_barrier
	s_waitcnt lgkmcnt(0)
                                        ; implicit-def: $vgpr2_vgpr3
	s_and_saveexec_b64 s[46:47], vcc
	s_cbranch_execz .LBB1411_66
; %bb.46:
	v_lshlrev_b32_e32 v4, 3, v0
	v_lshl_add_u64 v[2:3], s[60:61], 0, v[4:5]
	flat_load_dwordx2 v[2:3], v[2:3]
	s_or_b64 exec, exec, s[46:47]
                                        ; implicit-def: $vgpr4_vgpr5
	s_and_saveexec_b64 s[46:47], s[44:45]
	s_cbranch_execnz .LBB1411_67
.LBB1411_47:
	s_or_b64 exec, exec, s[46:47]
                                        ; implicit-def: $vgpr26_vgpr27
	s_and_saveexec_b64 s[44:45], s[4:5]
	s_cbranch_execz .LBB1411_68
.LBB1411_48:
	v_lshlrev_b32_e32 v26, 3, v1
	v_mov_b32_e32 v27, 0
	v_lshl_add_u64 v[26:27], s[60:61], 0, v[26:27]
	flat_load_dwordx2 v[26:27], v[26:27]
	s_or_b64 exec, exec, s[44:45]
                                        ; implicit-def: $vgpr28_vgpr29
	s_and_saveexec_b64 s[4:5], s[6:7]
	s_cbranch_execnz .LBB1411_69
.LBB1411_49:
	s_or_b64 exec, exec, s[4:5]
                                        ; implicit-def: $vgpr30_vgpr31
	s_and_saveexec_b64 s[4:5], s[8:9]
	s_cbranch_execz .LBB1411_70
.LBB1411_50:
	v_lshlrev_b32_e32 v30, 3, v32
	v_mov_b32_e32 v31, 0
	v_lshl_add_u64 v[30:31], s[60:61], 0, v[30:31]
	flat_load_dwordx2 v[30:31], v[30:31]
	s_or_b64 exec, exec, s[4:5]
                                        ; implicit-def: $vgpr32_vgpr33
	s_and_saveexec_b64 s[4:5], s[10:11]
	s_cbranch_execnz .LBB1411_71
.LBB1411_51:
	s_or_b64 exec, exec, s[4:5]
                                        ; implicit-def: $vgpr34_vgpr35
	s_and_saveexec_b64 s[4:5], s[12:13]
	s_cbranch_execz .LBB1411_72
.LBB1411_52:
	v_lshlrev_b32_e32 v34, 3, v36
	v_mov_b32_e32 v35, 0
	v_lshl_add_u64 v[34:35], s[60:61], 0, v[34:35]
	flat_load_dwordx2 v[34:35], v[34:35]
	s_or_b64 exec, exec, s[4:5]
                                        ; implicit-def: $vgpr36_vgpr37
	s_and_saveexec_b64 s[4:5], s[14:15]
	s_cbranch_execnz .LBB1411_73
.LBB1411_53:
	s_or_b64 exec, exec, s[4:5]
                                        ; implicit-def: $vgpr38_vgpr39
	s_and_saveexec_b64 s[4:5], s[16:17]
	s_cbranch_execz .LBB1411_74
.LBB1411_54:
	v_lshlrev_b32_e32 v38, 3, v40
	v_mov_b32_e32 v39, 0
	v_lshl_add_u64 v[38:39], s[60:61], 0, v[38:39]
	flat_load_dwordx2 v[38:39], v[38:39]
	s_or_b64 exec, exec, s[4:5]
                                        ; implicit-def: $vgpr40_vgpr41
	s_and_saveexec_b64 s[4:5], s[18:19]
	s_cbranch_execnz .LBB1411_75
.LBB1411_55:
	s_or_b64 exec, exec, s[4:5]
                                        ; implicit-def: $vgpr42_vgpr43
	s_and_saveexec_b64 s[4:5], s[20:21]
	s_cbranch_execz .LBB1411_76
.LBB1411_56:
	v_lshlrev_b32_e32 v42, 3, v44
	v_mov_b32_e32 v43, 0
	v_lshl_add_u64 v[42:43], s[60:61], 0, v[42:43]
	flat_load_dwordx2 v[42:43], v[42:43]
	s_or_b64 exec, exec, s[4:5]
                                        ; implicit-def: $vgpr44_vgpr45
	s_and_saveexec_b64 s[4:5], s[22:23]
	s_cbranch_execnz .LBB1411_77
.LBB1411_57:
	s_or_b64 exec, exec, s[4:5]
                                        ; implicit-def: $vgpr46_vgpr47
	s_and_saveexec_b64 s[4:5], s[24:25]
	s_cbranch_execz .LBB1411_78
.LBB1411_58:
	v_lshlrev_b32_e32 v46, 3, v48
	v_mov_b32_e32 v47, 0
	v_lshl_add_u64 v[46:47], s[60:61], 0, v[46:47]
	flat_load_dwordx2 v[46:47], v[46:47]
	s_or_b64 exec, exec, s[4:5]
                                        ; implicit-def: $vgpr48_vgpr49
	s_and_saveexec_b64 s[4:5], s[26:27]
	s_cbranch_execnz .LBB1411_79
.LBB1411_59:
	s_or_b64 exec, exec, s[4:5]
                                        ; implicit-def: $vgpr50_vgpr51
	s_and_saveexec_b64 s[4:5], s[28:29]
	s_cbranch_execz .LBB1411_80
.LBB1411_60:
	v_lshlrev_b32_e32 v50, 3, v52
	v_mov_b32_e32 v51, 0
	v_lshl_add_u64 v[50:51], s[60:61], 0, v[50:51]
	flat_load_dwordx2 v[50:51], v[50:51]
	s_or_b64 exec, exec, s[4:5]
                                        ; implicit-def: $vgpr52_vgpr53
	s_and_saveexec_b64 s[4:5], s[30:31]
	s_cbranch_execnz .LBB1411_81
.LBB1411_61:
	s_or_b64 exec, exec, s[4:5]
                                        ; implicit-def: $vgpr54_vgpr55
	s_and_saveexec_b64 s[4:5], s[34:35]
	s_cbranch_execz .LBB1411_82
.LBB1411_62:
	v_lshlrev_b32_e32 v54, 3, v56
	v_mov_b32_e32 v55, 0
	v_lshl_add_u64 v[54:55], s[60:61], 0, v[54:55]
	flat_load_dwordx2 v[54:55], v[54:55]
	s_or_b64 exec, exec, s[4:5]
                                        ; implicit-def: $vgpr56_vgpr57
	s_and_saveexec_b64 s[4:5], s[36:37]
	s_cbranch_execnz .LBB1411_83
.LBB1411_63:
	s_or_b64 exec, exec, s[4:5]
                                        ; implicit-def: $vgpr58_vgpr59
	s_and_saveexec_b64 s[4:5], s[38:39]
	s_cbranch_execz .LBB1411_84
.LBB1411_64:
	v_lshlrev_b32_e32 v58, 3, v60
	v_mov_b32_e32 v59, 0
	v_lshl_add_u64 v[58:59], s[60:61], 0, v[58:59]
	flat_load_dwordx2 v[58:59], v[58:59]
	s_or_b64 exec, exec, s[4:5]
                                        ; implicit-def: $vgpr60_vgpr61
	s_and_saveexec_b64 s[4:5], s[40:41]
	s_cbranch_execz .LBB1411_86
	s_branch .LBB1411_85
.LBB1411_65:
	s_mov_b64 s[10:11], 0
                                        ; implicit-def: $sgpr8_sgpr9
                                        ; implicit-def: $vgpr2_vgpr3
                                        ; implicit-def: $vgpr42_vgpr43
                                        ; implicit-def: $vgpr110
                                        ; implicit-def: $vgpr48_vgpr49
                                        ; implicit-def: $vgpr126
                                        ; implicit-def: $vgpr80_vgpr81
                                        ; implicit-def: $vgpr125
                                        ; implicit-def: $vgpr78_vgpr79
                                        ; implicit-def: $vgpr124
                                        ; implicit-def: $vgpr76_vgpr77
                                        ; implicit-def: $vgpr123
                                        ; implicit-def: $vgpr74_vgpr75
                                        ; implicit-def: $vgpr122
                                        ; implicit-def: $vgpr72_vgpr73
                                        ; implicit-def: $vgpr121
                                        ; implicit-def: $vgpr70_vgpr71
                                        ; implicit-def: $vgpr120
                                        ; implicit-def: $vgpr68_vgpr69
                                        ; implicit-def: $vgpr119
                                        ; implicit-def: $vgpr66_vgpr67
                                        ; implicit-def: $vgpr118
                                        ; implicit-def: $vgpr64_vgpr65
                                        ; implicit-def: $vgpr117
                                        ; implicit-def: $vgpr62_vgpr63
                                        ; implicit-def: $vgpr116
                                        ; implicit-def: $vgpr60_vgpr61
                                        ; implicit-def: $vgpr115
                                        ; implicit-def: $vgpr58_vgpr59
                                        ; implicit-def: $vgpr114
                                        ; implicit-def: $vgpr56_vgpr57
                                        ; implicit-def: $vgpr113
                                        ; implicit-def: $vgpr54_vgpr55
                                        ; implicit-def: $vgpr112
                                        ; implicit-def: $vgpr52_vgpr53
                                        ; implicit-def: $vgpr111
                                        ; implicit-def: $vgpr50_vgpr51
                                        ; implicit-def: $vgpr109
                                        ; implicit-def: $vgpr46_vgpr47
                                        ; implicit-def: $vgpr108
                                        ; implicit-def: $vgpr44_vgpr45
                                        ; implicit-def: $vgpr1
                                        ; implicit-def: $sgpr3
                                        ; implicit-def: $sgpr6_sgpr7
	s_and_b64 vcc, exec, s[4:5]
	s_cbranch_vccz .LBB1411_136
	s_branch .LBB1411_131
.LBB1411_66:
	s_or_b64 exec, exec, s[46:47]
                                        ; implicit-def: $vgpr4_vgpr5
	s_and_saveexec_b64 s[46:47], s[44:45]
	s_cbranch_execz .LBB1411_47
.LBB1411_67:
	v_lshlrev_b32_e32 v4, 3, v0
	v_mov_b32_e32 v5, 0
	v_lshl_add_u64 v[4:5], s[60:61], 0, v[4:5]
	flat_load_dwordx2 v[4:5], v[4:5] offset:2048
	s_or_b64 exec, exec, s[46:47]
                                        ; implicit-def: $vgpr26_vgpr27
	s_and_saveexec_b64 s[44:45], s[4:5]
	s_cbranch_execnz .LBB1411_48
.LBB1411_68:
	s_or_b64 exec, exec, s[44:45]
                                        ; implicit-def: $vgpr28_vgpr29
	s_and_saveexec_b64 s[4:5], s[6:7]
	s_cbranch_execz .LBB1411_49
.LBB1411_69:
	v_lshlrev_b32_e32 v28, 3, v30
	v_mov_b32_e32 v29, 0
	v_lshl_add_u64 v[28:29], s[60:61], 0, v[28:29]
	flat_load_dwordx2 v[28:29], v[28:29]
	s_or_b64 exec, exec, s[4:5]
                                        ; implicit-def: $vgpr30_vgpr31
	s_and_saveexec_b64 s[4:5], s[8:9]
	s_cbranch_execnz .LBB1411_50
.LBB1411_70:
	s_or_b64 exec, exec, s[4:5]
                                        ; implicit-def: $vgpr32_vgpr33
	s_and_saveexec_b64 s[4:5], s[10:11]
	s_cbranch_execz .LBB1411_51
.LBB1411_71:
	v_lshlrev_b32_e32 v32, 3, v34
	v_mov_b32_e32 v33, 0
	v_lshl_add_u64 v[32:33], s[60:61], 0, v[32:33]
	flat_load_dwordx2 v[32:33], v[32:33]
	s_or_b64 exec, exec, s[4:5]
                                        ; implicit-def: $vgpr34_vgpr35
	s_and_saveexec_b64 s[4:5], s[12:13]
	s_cbranch_execnz .LBB1411_52
.LBB1411_72:
	s_or_b64 exec, exec, s[4:5]
                                        ; implicit-def: $vgpr36_vgpr37
	s_and_saveexec_b64 s[4:5], s[14:15]
	s_cbranch_execz .LBB1411_53
.LBB1411_73:
	v_lshlrev_b32_e32 v36, 3, v38
	v_mov_b32_e32 v37, 0
	v_lshl_add_u64 v[36:37], s[60:61], 0, v[36:37]
	flat_load_dwordx2 v[36:37], v[36:37]
	s_or_b64 exec, exec, s[4:5]
                                        ; implicit-def: $vgpr38_vgpr39
	s_and_saveexec_b64 s[4:5], s[16:17]
	s_cbranch_execnz .LBB1411_54
.LBB1411_74:
	s_or_b64 exec, exec, s[4:5]
                                        ; implicit-def: $vgpr40_vgpr41
	s_and_saveexec_b64 s[4:5], s[18:19]
	s_cbranch_execz .LBB1411_55
.LBB1411_75:
	v_lshlrev_b32_e32 v40, 3, v42
	v_mov_b32_e32 v41, 0
	v_lshl_add_u64 v[40:41], s[60:61], 0, v[40:41]
	flat_load_dwordx2 v[40:41], v[40:41]
	s_or_b64 exec, exec, s[4:5]
                                        ; implicit-def: $vgpr42_vgpr43
	s_and_saveexec_b64 s[4:5], s[20:21]
	s_cbranch_execnz .LBB1411_56
.LBB1411_76:
	s_or_b64 exec, exec, s[4:5]
                                        ; implicit-def: $vgpr44_vgpr45
	s_and_saveexec_b64 s[4:5], s[22:23]
	s_cbranch_execz .LBB1411_57
.LBB1411_77:
	v_lshlrev_b32_e32 v44, 3, v46
	v_mov_b32_e32 v45, 0
	v_lshl_add_u64 v[44:45], s[60:61], 0, v[44:45]
	flat_load_dwordx2 v[44:45], v[44:45]
	s_or_b64 exec, exec, s[4:5]
                                        ; implicit-def: $vgpr46_vgpr47
	s_and_saveexec_b64 s[4:5], s[24:25]
	s_cbranch_execnz .LBB1411_58
.LBB1411_78:
	s_or_b64 exec, exec, s[4:5]
                                        ; implicit-def: $vgpr48_vgpr49
	s_and_saveexec_b64 s[4:5], s[26:27]
	s_cbranch_execz .LBB1411_59
.LBB1411_79:
	v_lshlrev_b32_e32 v48, 3, v50
	v_mov_b32_e32 v49, 0
	v_lshl_add_u64 v[48:49], s[60:61], 0, v[48:49]
	flat_load_dwordx2 v[48:49], v[48:49]
	s_or_b64 exec, exec, s[4:5]
                                        ; implicit-def: $vgpr50_vgpr51
	s_and_saveexec_b64 s[4:5], s[28:29]
	s_cbranch_execnz .LBB1411_60
.LBB1411_80:
	s_or_b64 exec, exec, s[4:5]
                                        ; implicit-def: $vgpr52_vgpr53
	s_and_saveexec_b64 s[4:5], s[30:31]
	s_cbranch_execz .LBB1411_61
.LBB1411_81:
	v_lshlrev_b32_e32 v52, 3, v54
	v_mov_b32_e32 v53, 0
	v_lshl_add_u64 v[52:53], s[60:61], 0, v[52:53]
	flat_load_dwordx2 v[52:53], v[52:53]
	s_or_b64 exec, exec, s[4:5]
                                        ; implicit-def: $vgpr54_vgpr55
	s_and_saveexec_b64 s[4:5], s[34:35]
	s_cbranch_execnz .LBB1411_62
.LBB1411_82:
	s_or_b64 exec, exec, s[4:5]
                                        ; implicit-def: $vgpr56_vgpr57
	s_and_saveexec_b64 s[4:5], s[36:37]
	s_cbranch_execz .LBB1411_63
.LBB1411_83:
	v_lshlrev_b32_e32 v56, 3, v58
	v_mov_b32_e32 v57, 0
	v_lshl_add_u64 v[56:57], s[60:61], 0, v[56:57]
	flat_load_dwordx2 v[56:57], v[56:57]
	s_or_b64 exec, exec, s[4:5]
                                        ; implicit-def: $vgpr58_vgpr59
	s_and_saveexec_b64 s[4:5], s[38:39]
	s_cbranch_execnz .LBB1411_64
.LBB1411_84:
	s_or_b64 exec, exec, s[4:5]
                                        ; implicit-def: $vgpr60_vgpr61
	s_and_saveexec_b64 s[4:5], s[40:41]
	s_cbranch_execz .LBB1411_86
.LBB1411_85:
	v_lshlrev_b32_e32 v60, 3, v62
	v_mov_b32_e32 v61, 0
	v_lshl_add_u64 v[60:61], s[60:61], 0, v[60:61]
	flat_load_dwordx2 v[60:61], v[60:61]
.LBB1411_86:
	s_or_b64 exec, exec, s[4:5]
	v_mul_u32_u24_e32 v83, 21, v0
                                        ; implicit-def: $vgpr62_vgpr63
	s_and_saveexec_b64 s[4:5], s[42:43]
	s_cbranch_execz .LBB1411_88
; %bb.87:
	v_lshlrev_b32_e32 v62, 3, v64
	v_mov_b32_e32 v63, 0
	v_lshl_add_u64 v[62:63], s[60:61], 0, v[62:63]
	flat_load_dwordx2 v[62:63], v[62:63]
.LBB1411_88:
	s_or_b64 exec, exec, s[4:5]
	v_lshl_add_u32 v85, v0, 2, v65
	s_waitcnt vmcnt(0) lgkmcnt(0)
	ds_write2st64_b64 v85, v[2:3], v[4:5] offset1:4
	ds_write2st64_b64 v85, v[26:27], v[28:29] offset0:8 offset1:12
	ds_write2st64_b64 v85, v[30:31], v[32:33] offset0:16 offset1:20
	;; [unrolled: 1-line block ×9, first 2 shown]
	ds_write_b64 v85, v[62:63] offset:40960
	v_mov_b64_e32 v[42:43], 0
	v_cmp_gt_u32_e32 vcc, s55, v83
	s_mov_b64 s[10:11], 0
	s_mov_b32 s3, 0
	s_mov_b64 s[4:5], 0
	v_mov_b32_e32 v110, 0
	v_mov_b64_e32 v[48:49], v[42:43]
	v_mov_b32_e32 v126, 0
	v_mov_b64_e32 v[80:81], v[42:43]
	;; [unrolled: 2-line block ×19, first 2 shown]
	v_mov_b32_e32 v1, 0
	s_waitcnt lgkmcnt(0)
	s_barrier
	s_waitcnt lgkmcnt(0)
                                        ; implicit-def: $sgpr8_sgpr9
                                        ; implicit-def: $vgpr2_vgpr3
	s_and_saveexec_b64 s[6:7], vcc
	s_cbranch_execz .LBB1411_130
; %bb.89:
	s_movk_i32 s8, 0xa0
	v_mad_u32_u24 v1, v0, s8, v85
	ds_read_b64 v[2:3], v1
	v_cmp_ne_u32_e32 vcc, v84, v24
	v_mov_b32_e32 v5, s69
	v_add_u32_e32 v4, 1, v83
	v_mov_b64_e32 v[48:49], 0
	s_waitcnt lgkmcnt(0)
	v_cndmask_b32_e32 v43, v3, v5, vcc
	v_mov_b32_e32 v3, s68
	v_cndmask_b32_e64 v1, 0, 1, vcc
	v_cndmask_b32_e32 v42, v2, v3, vcc
	v_cmp_gt_u32_e32 vcc, s55, v4
	s_mov_b64 s[12:13], 0
	v_mov_b32_e32 v110, 0
	v_mov_b32_e32 v126, 0
	v_mov_b64_e32 v[80:81], v[48:49]
	v_mov_b32_e32 v125, 0
	v_mov_b64_e32 v[78:79], v[48:49]
	v_mov_b32_e32 v124, 0
	v_mov_b64_e32 v[76:77], v[48:49]
	v_mov_b32_e32 v123, 0
	v_mov_b64_e32 v[74:75], v[48:49]
	v_mov_b32_e32 v122, 0
	v_mov_b64_e32 v[72:73], v[48:49]
	v_mov_b32_e32 v121, 0
	v_mov_b64_e32 v[70:71], v[48:49]
	v_mov_b32_e32 v120, 0
	v_mov_b64_e32 v[68:69], v[48:49]
	v_mov_b32_e32 v119, 0
	v_mov_b64_e32 v[66:67], v[48:49]
	v_mov_b32_e32 v118, 0
	v_mov_b64_e32 v[64:65], v[48:49]
	v_mov_b32_e32 v117, 0
	v_mov_b64_e32 v[62:63], v[48:49]
	v_mov_b32_e32 v116, 0
	v_mov_b64_e32 v[60:61], v[48:49]
	v_mov_b32_e32 v115, 0
	v_mov_b64_e32 v[58:59], v[48:49]
	v_mov_b32_e32 v114, 0
	v_mov_b64_e32 v[56:57], v[48:49]
	v_mov_b32_e32 v113, 0
	v_mov_b64_e32 v[54:55], v[48:49]
	v_mov_b32_e32 v112, 0
	v_mov_b64_e32 v[52:53], v[48:49]
	v_mov_b32_e32 v111, 0
	v_mov_b64_e32 v[50:51], v[48:49]
	v_mov_b32_e32 v109, 0
	v_mov_b64_e32 v[46:47], v[48:49]
	v_mov_b32_e32 v108, 0
	v_mov_b64_e32 v[44:45], v[48:49]
                                        ; implicit-def: $sgpr14_sgpr15
                                        ; implicit-def: $vgpr2_vgpr3
	s_and_saveexec_b64 s[8:9], vcc
	s_cbranch_execz .LBB1411_129
; %bb.90:
	v_mul_u32_u24_e32 v2, 0xa0, v0
	v_add_u32_e32 v26, v85, v2
	ds_read2_b64 v[2:5], v26 offset0:1 offset1:2
	v_cmp_ne_u32_e32 vcc, v24, v25
	v_mov_b32_e32 v24, s69
	v_add_u32_e32 v27, 2, v83
	v_mov_b64_e32 v[48:49], 0
	s_waitcnt lgkmcnt(0)
	v_cndmask_b32_e32 v45, v3, v24, vcc
	v_mov_b32_e32 v3, s68
	v_cndmask_b32_e64 v108, 0, 1, vcc
	v_cndmask_b32_e32 v44, v2, v3, vcc
	v_cmp_gt_u32_e32 vcc, s55, v27
	s_mov_b64 s[14:15], 0
	v_mov_b32_e32 v110, 0
	v_mov_b32_e32 v126, 0
	v_mov_b64_e32 v[80:81], v[48:49]
	v_mov_b32_e32 v125, 0
	v_mov_b64_e32 v[78:79], v[48:49]
	;; [unrolled: 2-line block ×17, first 2 shown]
                                        ; implicit-def: $sgpr16_sgpr17
                                        ; implicit-def: $vgpr2_vgpr3
	s_and_saveexec_b64 s[10:11], vcc
	s_cbranch_execz .LBB1411_128
; %bb.91:
	v_cmp_ne_u32_e32 vcc, v25, v22
	v_mov_b32_e32 v3, s69
	v_add_u32_e32 v2, 3, v83
	v_cndmask_b32_e32 v47, v5, v3, vcc
	v_mov_b32_e32 v3, s68
	v_mov_b64_e32 v[48:49], 0
	v_cndmask_b32_e64 v109, 0, 1, vcc
	v_cndmask_b32_e32 v46, v4, v3, vcc
	v_cmp_gt_u32_e32 vcc, s55, v2
	s_mov_b64 s[16:17], 0
	v_mov_b32_e32 v110, 0
	v_mov_b32_e32 v126, 0
	v_mov_b64_e32 v[80:81], v[48:49]
	v_mov_b32_e32 v125, 0
	v_mov_b64_e32 v[78:79], v[48:49]
	;; [unrolled: 2-line block ×16, first 2 shown]
                                        ; implicit-def: $sgpr18_sgpr19
                                        ; implicit-def: $vgpr2_vgpr3
	s_and_saveexec_b64 s[12:13], vcc
	s_cbranch_execz .LBB1411_127
; %bb.92:
	ds_read2_b64 v[2:5], v26 offset0:3 offset1:4
	v_cmp_ne_u32_e32 vcc, v22, v23
	v_mov_b32_e32 v22, s69
	v_add_u32_e32 v24, 4, v83
	v_mov_b64_e32 v[48:49], 0
	s_waitcnt lgkmcnt(0)
	v_cndmask_b32_e32 v51, v3, v22, vcc
	v_mov_b32_e32 v3, s68
	v_cndmask_b32_e64 v111, 0, 1, vcc
	v_cndmask_b32_e32 v50, v2, v3, vcc
	v_cmp_gt_u32_e32 vcc, s55, v24
	s_mov_b64 s[18:19], 0
	v_mov_b32_e32 v110, 0
	v_mov_b32_e32 v126, 0
	v_mov_b64_e32 v[80:81], v[48:49]
	v_mov_b32_e32 v125, 0
	v_mov_b64_e32 v[78:79], v[48:49]
	;; [unrolled: 2-line block ×15, first 2 shown]
                                        ; implicit-def: $sgpr20_sgpr21
                                        ; implicit-def: $vgpr2_vgpr3
	s_and_saveexec_b64 s[14:15], vcc
	s_cbranch_execz .LBB1411_126
; %bb.93:
	v_cmp_ne_u32_e32 vcc, v23, v20
	v_mov_b32_e32 v3, s69
	v_add_u32_e32 v2, 5, v83
	v_cndmask_b32_e32 v53, v5, v3, vcc
	v_mov_b32_e32 v3, s68
	v_mov_b64_e32 v[48:49], 0
	v_cndmask_b32_e64 v112, 0, 1, vcc
	v_cndmask_b32_e32 v52, v4, v3, vcc
	v_cmp_gt_u32_e32 vcc, s55, v2
	s_mov_b64 s[20:21], 0
	v_mov_b32_e32 v110, 0
	v_mov_b32_e32 v126, 0
	v_mov_b64_e32 v[80:81], v[48:49]
	v_mov_b32_e32 v125, 0
	v_mov_b64_e32 v[78:79], v[48:49]
	;; [unrolled: 2-line block ×14, first 2 shown]
                                        ; implicit-def: $sgpr22_sgpr23
                                        ; implicit-def: $vgpr2_vgpr3
	s_and_saveexec_b64 s[16:17], vcc
	s_cbranch_execz .LBB1411_125
; %bb.94:
	ds_read2_b64 v[2:5], v26 offset0:5 offset1:6
	v_cmp_ne_u32_e32 vcc, v20, v21
	v_mov_b32_e32 v20, s69
	v_add_u32_e32 v22, 6, v83
	v_mov_b64_e32 v[48:49], 0
	s_waitcnt lgkmcnt(0)
	v_cndmask_b32_e32 v55, v3, v20, vcc
	v_mov_b32_e32 v3, s68
	v_cndmask_b32_e64 v113, 0, 1, vcc
	v_cndmask_b32_e32 v54, v2, v3, vcc
	v_cmp_gt_u32_e32 vcc, s55, v22
	s_mov_b64 s[22:23], 0
	v_mov_b32_e32 v110, 0
	v_mov_b32_e32 v126, 0
	v_mov_b64_e32 v[80:81], v[48:49]
	v_mov_b32_e32 v125, 0
	v_mov_b64_e32 v[78:79], v[48:49]
	;; [unrolled: 2-line block ×13, first 2 shown]
                                        ; implicit-def: $sgpr24_sgpr25
                                        ; implicit-def: $vgpr2_vgpr3
	s_and_saveexec_b64 s[18:19], vcc
	s_cbranch_execz .LBB1411_124
; %bb.95:
	v_cmp_ne_u32_e32 vcc, v21, v18
	v_mov_b32_e32 v3, s69
	v_add_u32_e32 v2, 7, v83
	v_cndmask_b32_e32 v57, v5, v3, vcc
	v_mov_b32_e32 v3, s68
	v_mov_b64_e32 v[48:49], 0
	v_cndmask_b32_e64 v114, 0, 1, vcc
	v_cndmask_b32_e32 v56, v4, v3, vcc
	v_cmp_gt_u32_e32 vcc, s55, v2
	s_mov_b64 s[24:25], 0
	v_mov_b32_e32 v110, 0
	v_mov_b32_e32 v126, 0
	v_mov_b64_e32 v[80:81], v[48:49]
	v_mov_b32_e32 v125, 0
	v_mov_b64_e32 v[78:79], v[48:49]
	;; [unrolled: 2-line block ×12, first 2 shown]
                                        ; implicit-def: $sgpr26_sgpr27
                                        ; implicit-def: $vgpr2_vgpr3
	s_and_saveexec_b64 s[20:21], vcc
	s_cbranch_execz .LBB1411_123
; %bb.96:
	ds_read2_b64 v[2:5], v26 offset0:7 offset1:8
	v_cmp_ne_u32_e32 vcc, v18, v19
	v_mov_b32_e32 v18, s69
	v_add_u32_e32 v20, 8, v83
	v_mov_b64_e32 v[48:49], 0
	s_waitcnt lgkmcnt(0)
	v_cndmask_b32_e32 v59, v3, v18, vcc
	v_mov_b32_e32 v3, s68
	v_cndmask_b32_e64 v115, 0, 1, vcc
	v_cndmask_b32_e32 v58, v2, v3, vcc
	v_cmp_gt_u32_e32 vcc, s55, v20
	s_mov_b64 s[26:27], 0
	v_mov_b32_e32 v110, 0
	v_mov_b32_e32 v126, 0
	v_mov_b64_e32 v[80:81], v[48:49]
	v_mov_b32_e32 v125, 0
	v_mov_b64_e32 v[78:79], v[48:49]
	;; [unrolled: 2-line block ×11, first 2 shown]
                                        ; implicit-def: $sgpr28_sgpr29
                                        ; implicit-def: $vgpr2_vgpr3
	s_and_saveexec_b64 s[22:23], vcc
	s_cbranch_execz .LBB1411_122
; %bb.97:
	v_cmp_ne_u32_e32 vcc, v19, v16
	v_mov_b32_e32 v3, s69
	v_add_u32_e32 v2, 9, v83
	v_cndmask_b32_e32 v61, v5, v3, vcc
	v_mov_b32_e32 v3, s68
	v_mov_b64_e32 v[48:49], 0
	v_cndmask_b32_e64 v116, 0, 1, vcc
	v_cndmask_b32_e32 v60, v4, v3, vcc
	v_cmp_gt_u32_e32 vcc, s55, v2
	s_mov_b64 s[28:29], 0
	v_mov_b32_e32 v110, 0
	v_mov_b32_e32 v126, 0
	v_mov_b64_e32 v[80:81], v[48:49]
	v_mov_b32_e32 v125, 0
	v_mov_b64_e32 v[78:79], v[48:49]
	;; [unrolled: 2-line block ×10, first 2 shown]
                                        ; implicit-def: $sgpr30_sgpr31
                                        ; implicit-def: $vgpr2_vgpr3
	s_and_saveexec_b64 s[24:25], vcc
	s_cbranch_execz .LBB1411_121
; %bb.98:
	ds_read2_b64 v[2:5], v26 offset0:9 offset1:10
	v_cmp_ne_u32_e32 vcc, v16, v17
	v_mov_b32_e32 v16, s69
	v_add_u32_e32 v18, 10, v83
	v_mov_b64_e32 v[48:49], 0
	s_waitcnt lgkmcnt(0)
	v_cndmask_b32_e32 v63, v3, v16, vcc
	v_mov_b32_e32 v3, s68
	v_cndmask_b32_e64 v117, 0, 1, vcc
	v_cndmask_b32_e32 v62, v2, v3, vcc
	v_cmp_gt_u32_e32 vcc, s55, v18
	s_mov_b64 s[30:31], 0
	v_mov_b32_e32 v110, 0
	v_mov_b32_e32 v126, 0
	v_mov_b64_e32 v[80:81], v[48:49]
	v_mov_b32_e32 v125, 0
	v_mov_b64_e32 v[78:79], v[48:49]
	;; [unrolled: 2-line block ×9, first 2 shown]
                                        ; implicit-def: $sgpr34_sgpr35
                                        ; implicit-def: $vgpr2_vgpr3
	s_and_saveexec_b64 s[26:27], vcc
	s_cbranch_execz .LBB1411_120
; %bb.99:
	v_cmp_ne_u32_e32 vcc, v17, v14
	v_mov_b32_e32 v3, s69
	v_add_u32_e32 v2, 11, v83
	v_cndmask_b32_e32 v65, v5, v3, vcc
	v_mov_b32_e32 v3, s68
	v_mov_b64_e32 v[48:49], 0
	v_cndmask_b32_e64 v118, 0, 1, vcc
	v_cndmask_b32_e32 v64, v4, v3, vcc
	v_cmp_gt_u32_e32 vcc, s55, v2
	s_mov_b64 s[34:35], 0
	v_mov_b32_e32 v110, 0
	v_mov_b32_e32 v126, 0
	v_mov_b64_e32 v[80:81], v[48:49]
	v_mov_b32_e32 v125, 0
	v_mov_b64_e32 v[78:79], v[48:49]
	;; [unrolled: 2-line block ×8, first 2 shown]
                                        ; implicit-def: $sgpr36_sgpr37
                                        ; implicit-def: $vgpr2_vgpr3
	s_and_saveexec_b64 s[28:29], vcc
	s_cbranch_execz .LBB1411_119
; %bb.100:
	ds_read2_b64 v[2:5], v26 offset0:11 offset1:12
	v_cmp_ne_u32_e32 vcc, v14, v15
	v_mov_b32_e32 v14, s69
	v_add_u32_e32 v16, 12, v83
	v_mov_b64_e32 v[48:49], 0
	s_waitcnt lgkmcnt(0)
	v_cndmask_b32_e32 v67, v3, v14, vcc
	v_mov_b32_e32 v3, s68
	v_cndmask_b32_e64 v119, 0, 1, vcc
	v_cndmask_b32_e32 v66, v2, v3, vcc
	v_cmp_gt_u32_e32 vcc, s55, v16
	s_mov_b64 s[36:37], 0
	v_mov_b32_e32 v110, 0
	v_mov_b32_e32 v126, 0
	v_mov_b64_e32 v[80:81], v[48:49]
	v_mov_b32_e32 v125, 0
	v_mov_b64_e32 v[78:79], v[48:49]
	;; [unrolled: 2-line block ×7, first 2 shown]
                                        ; implicit-def: $sgpr38_sgpr39
                                        ; implicit-def: $vgpr2_vgpr3
	s_and_saveexec_b64 s[30:31], vcc
	s_cbranch_execz .LBB1411_118
; %bb.101:
	v_cmp_ne_u32_e32 vcc, v15, v12
	v_mov_b32_e32 v3, s69
	v_add_u32_e32 v2, 13, v83
	v_cndmask_b32_e32 v69, v5, v3, vcc
	v_mov_b32_e32 v3, s68
	v_mov_b64_e32 v[48:49], 0
	v_cndmask_b32_e64 v120, 0, 1, vcc
	v_cndmask_b32_e32 v68, v4, v3, vcc
	v_cmp_gt_u32_e32 vcc, s55, v2
	s_mov_b64 s[38:39], 0
	v_mov_b32_e32 v110, 0
	v_mov_b32_e32 v126, 0
	v_mov_b64_e32 v[80:81], v[48:49]
	v_mov_b32_e32 v125, 0
	v_mov_b64_e32 v[78:79], v[48:49]
	;; [unrolled: 2-line block ×6, first 2 shown]
                                        ; implicit-def: $sgpr40_sgpr41
                                        ; implicit-def: $vgpr2_vgpr3
	s_and_saveexec_b64 s[34:35], vcc
	s_cbranch_execz .LBB1411_117
; %bb.102:
	ds_read2_b64 v[2:5], v26 offset0:13 offset1:14
	v_cmp_ne_u32_e32 vcc, v12, v13
	v_mov_b32_e32 v12, s69
	v_add_u32_e32 v14, 14, v83
	v_mov_b64_e32 v[48:49], 0
	s_waitcnt lgkmcnt(0)
	v_cndmask_b32_e32 v71, v3, v12, vcc
	v_mov_b32_e32 v3, s68
	v_cndmask_b32_e64 v121, 0, 1, vcc
	v_cndmask_b32_e32 v70, v2, v3, vcc
	v_cmp_gt_u32_e32 vcc, s55, v14
	s_mov_b64 s[40:41], 0
	v_mov_b32_e32 v110, 0
	v_mov_b32_e32 v126, 0
	v_mov_b64_e32 v[80:81], v[48:49]
	v_mov_b32_e32 v125, 0
	v_mov_b64_e32 v[78:79], v[48:49]
	;; [unrolled: 2-line block ×5, first 2 shown]
                                        ; implicit-def: $sgpr42_sgpr43
                                        ; implicit-def: $vgpr2_vgpr3
	s_and_saveexec_b64 s[36:37], vcc
	s_cbranch_execz .LBB1411_116
; %bb.103:
	v_cmp_ne_u32_e32 vcc, v13, v10
	v_mov_b32_e32 v3, s69
	v_add_u32_e32 v2, 15, v83
	v_cndmask_b32_e32 v73, v5, v3, vcc
	v_mov_b32_e32 v3, s68
	v_mov_b64_e32 v[48:49], 0
	v_cndmask_b32_e64 v122, 0, 1, vcc
	v_cndmask_b32_e32 v72, v4, v3, vcc
	v_cmp_gt_u32_e32 vcc, s55, v2
	s_mov_b64 s[42:43], 0
	v_mov_b32_e32 v110, 0
	v_mov_b32_e32 v126, 0
	v_mov_b64_e32 v[80:81], v[48:49]
	v_mov_b32_e32 v125, 0
	v_mov_b64_e32 v[78:79], v[48:49]
	;; [unrolled: 2-line block ×4, first 2 shown]
                                        ; implicit-def: $sgpr44_sgpr45
                                        ; implicit-def: $vgpr2_vgpr3
	s_and_saveexec_b64 s[38:39], vcc
	s_cbranch_execz .LBB1411_115
; %bb.104:
	ds_read2_b64 v[2:5], v26 offset0:15 offset1:16
	v_cmp_ne_u32_e32 vcc, v10, v11
	v_mov_b32_e32 v10, s69
	v_add_u32_e32 v12, 16, v83
	v_mov_b64_e32 v[48:49], 0
	s_waitcnt lgkmcnt(0)
	v_cndmask_b32_e32 v75, v3, v10, vcc
	v_mov_b32_e32 v3, s68
	v_cndmask_b32_e64 v123, 0, 1, vcc
	v_cndmask_b32_e32 v74, v2, v3, vcc
	v_cmp_gt_u32_e32 vcc, s55, v12
	s_mov_b64 s[44:45], 0
	v_mov_b32_e32 v110, 0
	v_mov_b32_e32 v126, 0
	v_mov_b64_e32 v[80:81], v[48:49]
	v_mov_b32_e32 v125, 0
	v_mov_b64_e32 v[78:79], v[48:49]
	;; [unrolled: 2-line block ×3, first 2 shown]
                                        ; implicit-def: $sgpr46_sgpr47
                                        ; implicit-def: $vgpr2_vgpr3
	s_and_saveexec_b64 s[40:41], vcc
	s_cbranch_execz .LBB1411_114
; %bb.105:
	v_cmp_ne_u32_e32 vcc, v11, v8
	v_mov_b32_e32 v3, s69
	v_add_u32_e32 v2, 17, v83
	v_cndmask_b32_e32 v77, v5, v3, vcc
	v_mov_b32_e32 v3, s68
	v_mov_b64_e32 v[48:49], 0
	v_cndmask_b32_e64 v124, 0, 1, vcc
	v_cndmask_b32_e32 v76, v4, v3, vcc
	v_cmp_gt_u32_e32 vcc, s55, v2
	s_mov_b64 s[46:47], 0
	v_mov_b32_e32 v110, 0
	v_mov_b32_e32 v126, 0
	v_mov_b64_e32 v[80:81], v[48:49]
	v_mov_b32_e32 v125, 0
	v_mov_b64_e32 v[78:79], v[48:49]
                                        ; implicit-def: $sgpr64_sgpr65
                                        ; implicit-def: $vgpr2_vgpr3
	s_and_saveexec_b64 s[42:43], vcc
	s_cbranch_execz .LBB1411_113
; %bb.106:
	ds_read2_b64 v[2:5], v26 offset0:17 offset1:18
	v_cmp_ne_u32_e32 vcc, v8, v9
	v_mov_b32_e32 v8, s69
	v_add_u32_e32 v10, 18, v83
	v_mov_b64_e32 v[48:49], 0
	s_waitcnt lgkmcnt(0)
	v_cndmask_b32_e32 v79, v3, v8, vcc
	v_mov_b32_e32 v3, s68
	v_cndmask_b32_e64 v125, 0, 1, vcc
	v_cndmask_b32_e32 v78, v2, v3, vcc
	v_cmp_gt_u32_e32 vcc, s55, v10
	s_mov_b64 s[64:65], 0
	v_mov_b32_e32 v110, 0
	v_mov_b32_e32 v126, 0
	v_mov_b64_e32 v[80:81], v[48:49]
                                        ; implicit-def: $sgpr74_sgpr75
                                        ; implicit-def: $vgpr2_vgpr3
	s_and_saveexec_b64 s[44:45], vcc
	s_cbranch_execz .LBB1411_112
; %bb.107:
	v_cmp_ne_u32_e32 vcc, v9, v6
	v_mov_b32_e32 v3, s69
	v_add_u32_e32 v2, 19, v83
	v_cndmask_b32_e32 v81, v5, v3, vcc
	v_mov_b32_e32 v3, s68
	v_cndmask_b32_e64 v126, 0, 1, vcc
	v_cndmask_b32_e32 v80, v4, v3, vcc
	v_cmp_gt_u32_e32 vcc, s55, v2
	v_mov_b32_e32 v110, 0
	v_mov_b64_e32 v[48:49], 0
                                        ; implicit-def: $sgpr74_sgpr75
                                        ; implicit-def: $vgpr2_vgpr3
	s_and_saveexec_b64 s[46:47], vcc
	s_cbranch_execz .LBB1411_111
; %bb.108:
	ds_read2_b64 v[2:5], v26 offset0:19 offset1:20
	v_cmp_ne_u32_e32 vcc, v6, v7
	v_mov_b32_e32 v6, s69
	v_add_u32_e32 v8, 20, v83
	v_cndmask_b32_e64 v110, 0, 1, vcc
	s_waitcnt lgkmcnt(0)
	v_cndmask_b32_e32 v49, v3, v6, vcc
	v_mov_b32_e32 v3, s68
	v_cndmask_b32_e32 v48, v2, v3, vcc
	v_cmp_gt_u32_e32 vcc, s55, v8
                                        ; implicit-def: $sgpr74_sgpr75
                                        ; implicit-def: $vgpr2_vgpr3
	s_and_saveexec_b64 s[76:77], vcc
	s_xor_b64 s[76:77], exec, s[76:77]
; %bb.109:
	v_mov_b32_e32 v2, s69
	v_cmp_ne_u32_e32 vcc, v7, v82
	s_mov_b64 s[64:65], exec
	s_and_b64 s[74:75], vcc, exec
	v_cndmask_b32_e32 v3, v5, v2, vcc
	v_mov_b32_e32 v2, s68
	v_cndmask_b32_e32 v2, v4, v2, vcc
; %bb.110:
	s_or_b64 exec, exec, s[76:77]
	s_and_b64 s[74:75], s[74:75], exec
	s_and_b64 s[64:65], s[64:65], exec
.LBB1411_111:
	s_or_b64 exec, exec, s[46:47]
	s_and_b64 s[74:75], s[74:75], exec
	s_and_b64 s[46:47], s[64:65], exec
.LBB1411_112:
	s_or_b64 exec, exec, s[44:45]
	s_and_b64 s[64:65], s[74:75], exec
	s_and_b64 s[44:45], s[46:47], exec
.LBB1411_113:
	s_or_b64 exec, exec, s[42:43]
	s_and_b64 s[46:47], s[64:65], exec
	s_and_b64 s[42:43], s[44:45], exec
.LBB1411_114:
	s_or_b64 exec, exec, s[40:41]
	s_and_b64 s[44:45], s[46:47], exec
	s_and_b64 s[40:41], s[42:43], exec
.LBB1411_115:
	s_or_b64 exec, exec, s[38:39]
	s_and_b64 s[42:43], s[44:45], exec
	s_and_b64 s[38:39], s[40:41], exec
.LBB1411_116:
	s_or_b64 exec, exec, s[36:37]
	s_and_b64 s[40:41], s[42:43], exec
	s_and_b64 s[36:37], s[38:39], exec
.LBB1411_117:
	s_or_b64 exec, exec, s[34:35]
	s_and_b64 s[38:39], s[40:41], exec
	s_and_b64 s[34:35], s[36:37], exec
.LBB1411_118:
	s_or_b64 exec, exec, s[30:31]
	s_and_b64 s[36:37], s[38:39], exec
	s_and_b64 s[30:31], s[34:35], exec
.LBB1411_119:
	s_or_b64 exec, exec, s[28:29]
	s_and_b64 s[34:35], s[36:37], exec
	s_and_b64 s[28:29], s[30:31], exec
.LBB1411_120:
	s_or_b64 exec, exec, s[26:27]
	s_and_b64 s[30:31], s[34:35], exec
	s_and_b64 s[26:27], s[28:29], exec
.LBB1411_121:
	s_or_b64 exec, exec, s[24:25]
	s_and_b64 s[28:29], s[30:31], exec
	s_and_b64 s[24:25], s[26:27], exec
.LBB1411_122:
	s_or_b64 exec, exec, s[22:23]
	s_and_b64 s[26:27], s[28:29], exec
	s_and_b64 s[22:23], s[24:25], exec
.LBB1411_123:
	s_or_b64 exec, exec, s[20:21]
	s_and_b64 s[24:25], s[26:27], exec
	s_and_b64 s[20:21], s[22:23], exec
.LBB1411_124:
	s_or_b64 exec, exec, s[18:19]
	s_and_b64 s[22:23], s[24:25], exec
	s_and_b64 s[18:19], s[20:21], exec
.LBB1411_125:
	s_or_b64 exec, exec, s[16:17]
	s_and_b64 s[20:21], s[22:23], exec
	s_and_b64 s[16:17], s[18:19], exec
.LBB1411_126:
	s_or_b64 exec, exec, s[14:15]
	s_and_b64 s[18:19], s[20:21], exec
	s_and_b64 s[14:15], s[16:17], exec
.LBB1411_127:
	s_or_b64 exec, exec, s[12:13]
	s_and_b64 s[16:17], s[18:19], exec
	s_and_b64 s[12:13], s[14:15], exec
.LBB1411_128:
	s_or_b64 exec, exec, s[10:11]
	s_and_b64 s[14:15], s[16:17], exec
	s_and_b64 s[10:11], s[12:13], exec
.LBB1411_129:
	s_or_b64 exec, exec, s[8:9]
	s_and_b64 s[8:9], s[14:15], exec
	s_and_b64 s[10:11], s[10:11], exec
.LBB1411_130:
	s_or_b64 exec, exec, s[6:7]
	s_mov_b64 s[6:7], 0
	s_and_b64 vcc, exec, s[4:5]
	s_cbranch_vccz .LBB1411_136
.LBB1411_131:
	v_mov_b32_e32 v3, 0
	v_lshlrev_b32_e32 v2, 2, v0
	v_lshl_add_u64 v[4:5], s[72:73], 0, v[2:3]
	v_add_co_u32_e32 v6, vcc, 0x1000, v4
	s_movk_i32 s4, 0x50
	s_nop 0
	v_addc_co_u32_e32 v7, vcc, 0, v5, vcc
	flat_load_dword v1, v[4:5]
	flat_load_dword v10, v[4:5] offset:1024
	flat_load_dword v11, v[4:5] offset:2048
	;; [unrolled: 1-line block ×3, first 2 shown]
	flat_load_dword v13, v[6:7]
	flat_load_dword v14, v[6:7] offset:1024
	flat_load_dword v15, v[6:7] offset:2048
	;; [unrolled: 1-line block ×3, first 2 shown]
	v_add_co_u32_e32 v6, vcc, 0x2000, v4
	s_movk_i32 s9, 0x1000
	s_nop 0
	v_addc_co_u32_e32 v7, vcc, 0, v5, vcc
	v_add_co_u32_e32 v8, vcc, 0x3000, v4
	s_movk_i32 s8, 0x2000
	s_nop 0
	v_addc_co_u32_e32 v9, vcc, 0, v5, vcc
	flat_load_dword v17, v[6:7]
	flat_load_dword v18, v[6:7] offset:1024
	flat_load_dword v19, v[6:7] offset:2048
	;; [unrolled: 1-line block ×3, first 2 shown]
	flat_load_dword v21, v[8:9]
	flat_load_dword v22, v[8:9] offset:1024
	flat_load_dword v23, v[8:9] offset:2048
	;; [unrolled: 1-line block ×3, first 2 shown]
	v_add_co_u32_e32 v6, vcc, 0x4000, v4
	s_movk_i32 s7, 0x3000
	s_nop 0
	v_addc_co_u32_e32 v7, vcc, 0, v5, vcc
	v_add_co_u32_e32 v4, vcc, 0x5000, v4
	s_movk_i32 s6, 0x4000
	s_nop 0
	v_addc_co_u32_e32 v5, vcc, 0, v5, vcc
	flat_load_dword v8, v[6:7]
	flat_load_dword v9, v[6:7] offset:1024
	flat_load_dword v25, v[6:7] offset:2048
	;; [unrolled: 1-line block ×3, first 2 shown]
	flat_load_dword v27, v[4:5]
	v_mov_b32_e32 v4, s72
	v_mov_b32_e32 v5, s73
	v_add_co_u32_e32 v4, vcc, 0x5000, v4
	s_movk_i32 s3, 0x5000
	s_nop 0
	v_addc_co_u32_e32 v5, vcc, 0, v5, vcc
	s_waitcnt vmcnt(0) lgkmcnt(0)
	ds_write2st64_b32 v2, v1, v10 offset1:4
	ds_write2st64_b32 v2, v11, v12 offset0:8 offset1:12
	ds_write2st64_b32 v2, v13, v14 offset0:16 offset1:20
	;; [unrolled: 1-line block ×9, first 2 shown]
	ds_write_b32 v2, v27 offset:20480
	s_waitcnt lgkmcnt(0)
	s_barrier
	flat_load_dword v84, v[4:5] offset:1024
	v_mad_u32_u24 v4, v0, s4, v2
	s_movk_i32 s4, 0xffb0
	ds_read_b32 v1, v4
	ds_read2_b32 v[60:61], v4 offset0:1 offset1:2
	ds_read2_b32 v[58:59], v4 offset0:3 offset1:4
	;; [unrolled: 1-line block ×10, first 2 shown]
	v_mad_i32_i24 v4, v0, s4, v4
	s_movk_i32 s4, 0xff
	v_cmp_ne_u32_e32 vcc, s4, v0
	s_waitcnt lgkmcnt(0)
	ds_write_b32 v4, v1 offset:22528
	s_waitcnt lgkmcnt(0)
	s_barrier
	s_and_saveexec_b64 s[4:5], vcc
	s_cbranch_execz .LBB1411_133
; %bb.132:
	s_waitcnt vmcnt(0)
	ds_read_b32 v84, v2 offset:22532
.LBB1411_133:
	s_or_b64 exec, exec, s[4:5]
	v_lshlrev_b32_e32 v2, 3, v0
	v_lshl_add_u64 v[2:3], s[60:61], 0, v[2:3]
	v_add_co_u32_e32 v6, vcc, s9, v2
	s_waitcnt lgkmcnt(0)
	s_nop 0
	v_addc_co_u32_e32 v7, vcc, 0, v3, vcc
	s_barrier
	flat_load_dwordx2 v[8:9], v[2:3]
	flat_load_dwordx2 v[10:11], v[2:3] offset:2048
	flat_load_dwordx2 v[12:13], v[6:7]
	flat_load_dwordx2 v[14:15], v[6:7] offset:2048
	v_add_co_u32_e32 v6, vcc, s8, v2
	v_lshl_add_u32 v62, v0, 2, v4
	s_nop 0
	v_addc_co_u32_e32 v7, vcc, 0, v3, vcc
	v_add_co_u32_e32 v16, vcc, s7, v2
	v_cmp_eq_u32_e64 s[4:5], v1, v60
	s_nop 0
	v_addc_co_u32_e32 v17, vcc, 0, v3, vcc
	flat_load_dwordx2 v[18:19], v[6:7]
	flat_load_dwordx2 v[20:21], v[6:7] offset:2048
	flat_load_dwordx2 v[22:23], v[16:17]
	flat_load_dwordx2 v[24:25], v[16:17] offset:2048
	v_add_co_u32_e32 v6, vcc, s6, v2
	s_nop 1
	v_addc_co_u32_e32 v7, vcc, 0, v3, vcc
	v_add_co_u32_e32 v16, vcc, s3, v2
	s_movk_i32 s3, 0x6000
	s_nop 0
	v_addc_co_u32_e32 v17, vcc, 0, v3, vcc
	flat_load_dwordx2 v[26:27], v[6:7]
	flat_load_dwordx2 v[28:29], v[6:7] offset:2048
	flat_load_dwordx2 v[30:31], v[16:17]
	flat_load_dwordx2 v[32:33], v[16:17] offset:2048
	v_add_co_u32_e32 v6, vcc, s3, v2
	s_movk_i32 s3, 0x7000
	s_nop 0
	v_addc_co_u32_e32 v7, vcc, 0, v3, vcc
	v_add_co_u32_e32 v16, vcc, s3, v2
	s_mov_b32 s3, 0x8000
	s_nop 0
	v_addc_co_u32_e32 v17, vcc, 0, v3, vcc
	flat_load_dwordx2 v[34:35], v[6:7]
	flat_load_dwordx2 v[36:37], v[6:7] offset:2048
	flat_load_dwordx2 v[38:39], v[16:17]
	flat_load_dwordx2 v[40:41], v[16:17] offset:2048
	v_add_co_u32_e32 v6, vcc, s3, v2
	s_mov_b32 s3, 0x9000
	s_nop 0
	v_addc_co_u32_e32 v7, vcc, 0, v3, vcc
	v_add_co_u32_e32 v16, vcc, s3, v2
	s_mov_b32 s3, 0xa000
	s_nop 0
	v_addc_co_u32_e32 v17, vcc, 0, v3, vcc
	flat_load_dwordx2 v[42:43], v[6:7]
	flat_load_dwordx2 v[64:65], v[6:7] offset:2048
	flat_load_dwordx2 v[66:67], v[16:17]
	flat_load_dwordx2 v[68:69], v[16:17] offset:2048
	v_add_co_u32_e32 v2, vcc, s3, v2
	s_movk_i32 s3, 0xa0
	s_nop 0
	v_addc_co_u32_e32 v3, vcc, 0, v3, vcc
	flat_load_dwordx2 v[2:3], v[2:3]
	v_cmp_ne_u32_e32 vcc, v1, v60
	s_waitcnt vmcnt(0) lgkmcnt(0)
	ds_write2st64_b64 v62, v[8:9], v[10:11] offset1:4
	ds_write2st64_b64 v62, v[12:13], v[14:15] offset0:8 offset1:12
	ds_write2st64_b64 v62, v[18:19], v[20:21] offset0:16 offset1:20
	;; [unrolled: 1-line block ×9, first 2 shown]
	ds_write_b64 v62, v[2:3] offset:40960
	v_mad_u32_u24 v2, v0, s3, v62
	s_waitcnt lgkmcnt(0)
	s_barrier
	ds_read2_b64 v[38:41], v2 offset0:1 offset1:2
	ds_read2_b64 v[34:37], v2 offset0:3 offset1:4
	;; [unrolled: 1-line block ×10, first 2 shown]
	v_mov_b64_e32 v[42:43], s[68:69]
	s_and_saveexec_b64 s[6:7], s[4:5]
	s_cbranch_execz .LBB1411_135
; %bb.134:
	v_mul_u32_u24_e32 v1, 0xa0, v0
	v_add_u32_e32 v1, v62, v1
	ds_read_b64 v[42:43], v1
.LBB1411_135:
	s_or_b64 exec, exec, s[6:7]
	v_cndmask_b32_e64 v1, 0, 1, vcc
	v_cmp_ne_u32_e32 vcc, v60, v61
	v_cmp_ne_u32_e64 s[38:39], v45, v82
	v_cmp_ne_u32_e64 s[40:41], v82, v83
	v_mov_b32_e32 v82, s69
	v_cmp_ne_u32_e64 s[8:9], v59, v56
	v_cmp_ne_u32_e64 s[36:37], v44, v45
	s_waitcnt lgkmcnt(9)
	v_cndmask_b32_e32 v45, v39, v82, vcc
	v_mov_b32_e32 v39, s68
	v_cmp_ne_u32_e64 s[4:5], v61, v58
	v_cmp_ne_u32_e64 s[6:7], v58, v59
	v_cndmask_b32_e64 v112, 0, 1, s[8:9]
	v_cmp_ne_u32_e64 s[10:11], v56, v57
	v_cmp_ne_u32_e64 s[12:13], v57, v54
	;; [unrolled: 1-line block ×12, first 2 shown]
	s_waitcnt lgkmcnt(8)
	v_cndmask_b32_e64 v53, v37, v82, s[8:9]
	v_cndmask_b32_e64 v52, v36, v39, s[8:9]
	v_cmp_ne_u32_e64 s[8:9], v83, v84
	v_cndmask_b32_e64 v108, 0, 1, vcc
	v_cndmask_b32_e64 v109, 0, 1, s[4:5]
	v_cndmask_b32_e64 v111, 0, 1, s[6:7]
	;; [unrolled: 1-line block ×17, first 2 shown]
	v_cndmask_b32_e32 v44, v38, v39, vcc
	v_cndmask_b32_e64 v47, v41, v82, s[4:5]
	v_cndmask_b32_e64 v46, v40, v39, s[4:5]
	v_cndmask_b32_e64 v51, v35, v82, s[6:7]
	v_cndmask_b32_e64 v50, v34, v39, s[6:7]
	s_waitcnt lgkmcnt(7)
	v_cndmask_b32_e64 v55, v31, v82, s[10:11]
	v_cndmask_b32_e64 v54, v30, v39, s[10:11]
	v_cndmask_b32_e64 v57, v33, v82, s[12:13]
	v_cndmask_b32_e64 v56, v32, v39, s[12:13]
	s_waitcnt lgkmcnt(6)
	;; [unrolled: 5-line block ×8, first 2 shown]
	v_cndmask_b32_e64 v49, v3, v82, s[40:41]
	v_cndmask_b32_e64 v48, v2, v39, s[40:41]
	;; [unrolled: 1-line block ×4, first 2 shown]
	s_mov_b64 s[10:11], -1
                                        ; implicit-def: $sgpr3
                                        ; implicit-def: $sgpr6_sgpr7
.LBB1411_136:
	v_mov_b64_e32 v[82:83], s[6:7]
	v_mov_b32_e32 v127, s3
	s_and_saveexec_b64 s[4:5], s[10:11]
; %bb.137:
	v_cndmask_b32_e64 v127, 0, 1, s[8:9]
	v_mov_b64_e32 v[82:83], v[2:3]
; %bb.138:
	s_or_b64 exec, exec, s[4:5]
	v_or_b32_e32 v2, v127, v110
	s_cmp_lg_u32 s2, 0
	v_add_f64 v[84:85], v[44:45], v[42:43]
	v_or_b32_e32 v129, v2, v126
	v_mbcnt_lo_u32_b32 v128, -1, 0
	s_barrier
	s_cbranch_scc0 .LBB1411_209
; %bb.139:
	v_mov_b32_e32 v4, 0
	v_cmp_eq_u16_sdwa s[44:45], v108, v4 src0_sel:BYTE_0 src1_sel:DWORD
	v_cmp_eq_u16_sdwa s[4:5], v109, v4 src0_sel:BYTE_0 src1_sel:DWORD
	v_cmp_eq_u16_sdwa s[6:7], v111, v4 src0_sel:BYTE_0 src1_sel:DWORD
	v_cndmask_b32_e64 v3, v45, v85, s[44:45]
	v_cndmask_b32_e64 v2, v44, v84, s[44:45]
	v_add_f64 v[2:3], v[46:47], v[2:3]
	v_cndmask_b32_e64 v3, v47, v3, s[4:5]
	v_cndmask_b32_e64 v2, v46, v2, s[4:5]
	v_add_f64 v[2:3], v[50:51], v[2:3]
	v_cndmask_b32_e64 v3, v51, v3, s[6:7]
	v_cndmask_b32_e64 v2, v50, v2, s[6:7]
	v_add_f64 v[2:3], v[52:53], v[2:3]
	v_cmp_eq_u16_sdwa s[8:9], v112, v4 src0_sel:BYTE_0 src1_sel:DWORD
	v_cmp_eq_u16_sdwa s[10:11], v113, v4 src0_sel:BYTE_0 src1_sel:DWORD
	v_cmp_eq_u16_sdwa s[12:13], v114, v4 src0_sel:BYTE_0 src1_sel:DWORD
	v_cndmask_b32_e64 v3, v53, v3, s[8:9]
	v_cndmask_b32_e64 v2, v52, v2, s[8:9]
	v_add_f64 v[2:3], v[54:55], v[2:3]
	v_cndmask_b32_e64 v3, v55, v3, s[10:11]
	v_cndmask_b32_e64 v2, v54, v2, s[10:11]
	v_add_f64 v[2:3], v[56:57], v[2:3]
	v_cndmask_b32_e64 v3, v57, v3, s[12:13]
	v_cndmask_b32_e64 v2, v56, v2, s[12:13]
	v_add_f64 v[2:3], v[58:59], v[2:3]
	;; [unrolled: 12-line block ×3, first 2 shown]
	v_cmp_eq_u16_sdwa s[20:21], v118, v4 src0_sel:BYTE_0 src1_sel:DWORD
	v_cmp_eq_u16_sdwa s[22:23], v119, v4 src0_sel:BYTE_0 src1_sel:DWORD
	;; [unrolled: 1-line block ×3, first 2 shown]
	v_cndmask_b32_e64 v3, v65, v3, s[20:21]
	v_cndmask_b32_e64 v2, v64, v2, s[20:21]
	v_add_f64 v[2:3], v[66:67], v[2:3]
	v_cndmask_b32_e64 v3, v67, v3, s[22:23]
	v_cndmask_b32_e64 v2, v66, v2, s[22:23]
	v_cmp_eq_u16_sdwa s[26:27], v121, v4 src0_sel:BYTE_0 src1_sel:DWORD
	v_cmp_eq_u16_sdwa s[28:29], v122, v4 src0_sel:BYTE_0 src1_sel:DWORD
	v_cmp_eq_u16_sdwa s[30:31], v123, v4 src0_sel:BYTE_0 src1_sel:DWORD
	v_cmp_eq_u16_sdwa s[34:35], v124, v4 src0_sel:BYTE_0 src1_sel:DWORD
	v_cmp_eq_u16_sdwa s[36:37], v125, v4 src0_sel:BYTE_0 src1_sel:DWORD
	v_cmp_eq_u16_sdwa s[38:39], v126, v4 src0_sel:BYTE_0 src1_sel:DWORD
	v_cmp_eq_u16_sdwa s[40:41], v110, v4 src0_sel:BYTE_0 src1_sel:DWORD
	v_cmp_eq_u16_sdwa vcc, v127, v4 src0_sel:BYTE_0 src1_sel:DWORD
	v_or_b32_e32 v4, v129, v125
	v_add_f64 v[2:3], v[68:69], v[2:3]
	v_or_b32_e32 v4, v4, v124
	v_cndmask_b32_e64 v3, v69, v3, s[24:25]
	v_cndmask_b32_e64 v2, v68, v2, s[24:25]
	v_or_b32_e32 v4, v4, v123
	v_add_f64 v[2:3], v[70:71], v[2:3]
	v_or_b32_e32 v4, v4, v122
	v_cndmask_b32_e64 v3, v71, v3, s[26:27]
	v_cndmask_b32_e64 v2, v70, v2, s[26:27]
	;; [unrolled: 5-line block ×8, first 2 shown]
	v_or_b32_e32 v4, v4, v108
	v_add_f64 v[2:3], v[82:83], v[2:3]
	v_or_b32_e32 v4, v4, v1
	v_mbcnt_hi_u32_b32 v9, -1, v128
	v_cndmask_b32_e32 v3, v83, v3, vcc
	v_cndmask_b32_e32 v2, v82, v2, vcc
	v_and_b32_e32 v8, 1, v4
	v_and_b32_e32 v6, 15, v9
	v_cmp_eq_u32_e32 vcc, 1, v8
	v_mov_b32_dpp v4, v2 row_shr:1 row_mask:0xf bank_mask:0xf
	v_mov_b32_dpp v5, v3 row_shr:1 row_mask:0xf bank_mask:0xf
	;; [unrolled: 1-line block ×3, first 2 shown]
	v_cmp_ne_u32_e64 s[42:43], 0, v6
	v_mov_b32_e32 v7, v8
	s_and_saveexec_b64 s[46:47], s[42:43]
; %bb.140:
	v_add_f64 v[4:5], v[2:3], v[4:5]
	v_cndmask_b32_e32 v2, v4, v2, vcc
	v_and_b32_e32 v4, 1, v10
	v_or_b32_e32 v8, v4, v8
	v_cndmask_b32_e32 v3, v5, v3, vcc
	v_and_b32_e32 v7, 0xffff, v8
; %bb.141:
	s_or_b64 exec, exec, s[46:47]
	v_mov_b32_dpp v4, v2 row_shr:2 row_mask:0xf bank_mask:0xf
	v_mov_b32_dpp v5, v3 row_shr:2 row_mask:0xf bank_mask:0xf
	v_mov_b32_dpp v10, v7 row_shr:2 row_mask:0xf bank_mask:0xf
	v_cmp_lt_u32_e32 vcc, 1, v6
	s_and_saveexec_b64 s[46:47], vcc
; %bb.142:
	v_add_f64 v[4:5], v[2:3], v[4:5]
	v_cmp_eq_u16_e32 vcc, 0, v8
	s_nop 1
	v_cndmask_b32_e32 v2, v2, v4, vcc
	v_and_b32_e32 v4, 1, v8
	v_cndmask_b32_e32 v3, v3, v5, vcc
	v_cmp_eq_u32_e32 vcc, 1, v4
	v_and_b32_e32 v4, 1, v10
	v_cmp_eq_u32_e64 s[42:43], 1, v4
	s_or_b64 s[42:43], vcc, s[42:43]
	s_nop 0
	v_cndmask_b32_e64 v8, 0, 1, s[42:43]
	v_cndmask_b32_e64 v7, 0, 1, s[42:43]
; %bb.143:
	s_or_b64 exec, exec, s[46:47]
	v_mov_b32_dpp v4, v2 row_shr:4 row_mask:0xf bank_mask:0xf
	v_mov_b32_dpp v5, v3 row_shr:4 row_mask:0xf bank_mask:0xf
	v_mov_b32_dpp v10, v7 row_shr:4 row_mask:0xf bank_mask:0xf
	v_cmp_lt_u32_e32 vcc, 3, v6
	s_and_saveexec_b64 s[46:47], vcc
; %bb.144:
	v_add_f64 v[4:5], v[2:3], v[4:5]
	v_cmp_eq_u16_e32 vcc, 0, v8
	s_nop 1
	v_cndmask_b32_e32 v2, v2, v4, vcc
	v_and_b32_e32 v4, 1, v8
	v_cndmask_b32_e32 v3, v3, v5, vcc
	v_cmp_eq_u32_e32 vcc, 1, v4
	v_and_b32_e32 v4, 1, v10
	v_cmp_eq_u32_e64 s[42:43], 1, v4
	s_or_b64 s[42:43], vcc, s[42:43]
	s_nop 0
	v_cndmask_b32_e64 v8, 0, 1, s[42:43]
	v_cndmask_b32_e64 v7, 0, 1, s[42:43]
	;; [unrolled: 21-line block ×3, first 2 shown]
; %bb.147:
	s_or_b64 exec, exec, s[46:47]
	v_and_b32_e32 v10, 16, v9
	v_mov_b32_dpp v4, v2 row_bcast:15 row_mask:0xf bank_mask:0xf
	v_mov_b32_dpp v5, v3 row_bcast:15 row_mask:0xf bank_mask:0xf
	;; [unrolled: 1-line block ×3, first 2 shown]
	v_cmp_ne_u32_e32 vcc, 0, v10
	s_and_saveexec_b64 s[46:47], vcc
; %bb.148:
	v_add_f64 v[4:5], v[2:3], v[4:5]
	v_cmp_eq_u16_e32 vcc, 0, v8
	s_nop 1
	v_cndmask_b32_e32 v2, v2, v4, vcc
	v_and_b32_e32 v4, 1, v8
	v_cndmask_b32_e32 v3, v3, v5, vcc
	v_cmp_eq_u32_e32 vcc, 1, v4
	v_and_b32_e32 v4, 1, v6
	v_cmp_eq_u32_e64 s[42:43], 1, v4
	s_or_b64 s[42:43], vcc, s[42:43]
	s_nop 0
	v_cndmask_b32_e64 v8, 0, 1, s[42:43]
	v_cndmask_b32_e64 v7, 0, 1, s[42:43]
; %bb.149:
	s_or_b64 exec, exec, s[46:47]
	v_mov_b32_dpp v4, v2 row_bcast:31 row_mask:0xf bank_mask:0xf
	v_mov_b32_dpp v5, v3 row_bcast:31 row_mask:0xf bank_mask:0xf
	;; [unrolled: 1-line block ×3, first 2 shown]
	v_cmp_lt_u32_e32 vcc, 31, v9
	s_and_saveexec_b64 s[46:47], vcc
; %bb.150:
	v_add_f64 v[4:5], v[2:3], v[4:5]
	v_cmp_eq_u16_e32 vcc, 0, v8
	s_nop 1
	v_cndmask_b32_e32 v2, v2, v4, vcc
	v_and_b32_e32 v4, 1, v8
	v_cndmask_b32_e32 v3, v3, v5, vcc
	v_cmp_eq_u32_e32 vcc, 1, v4
	v_and_b32_e32 v4, 1, v6
	v_cmp_eq_u32_e64 s[42:43], 1, v4
	s_or_b64 s[42:43], vcc, s[42:43]
	s_nop 0
	v_cndmask_b32_e64 v8, 0, 1, s[42:43]
; %bb.151:
	s_or_b64 exec, exec, s[46:47]
	v_or_b32_e32 v4, 63, v0
	v_lshrrev_b32_e32 v10, 6, v0
	v_cmp_eq_u32_e32 vcc, v4, v0
	s_and_saveexec_b64 s[42:43], vcc
	s_cbranch_execz .LBB1411_153
; %bb.152:
	v_lshlrev_b32_e32 v4, 4, v10
	ds_write_b64 v4, v[2:3]
	ds_write_b8 v4, v8 offset:8
.LBB1411_153:
	s_or_b64 exec, exec, s[42:43]
	v_cmp_gt_u32_e32 vcc, 4, v0
	s_waitcnt lgkmcnt(0)
	s_barrier
	s_and_saveexec_b64 s[46:47], vcc
	s_cbranch_execz .LBB1411_159
; %bb.154:
	v_lshlrev_b32_e32 v11, 4, v0
	ds_read_b64 v[4:5], v11
	ds_read_b32 v12, v11 offset:8
	v_and_b32_e32 v13, 3, v9
	v_cmp_ne_u32_e32 vcc, 0, v13
	s_waitcnt lgkmcnt(1)
	v_mov_b32_dpp v6, v4 row_shr:1 row_mask:0xf bank_mask:0xf
	v_mov_b32_dpp v7, v5 row_shr:1 row_mask:0xf bank_mask:0xf
	s_waitcnt lgkmcnt(0)
	v_mov_b32_dpp v16, v12 row_shr:1 row_mask:0xf bank_mask:0xf
	v_mov_b32_e32 v15, v12
	v_mov_b32_e32 v14, v12
	s_and_saveexec_b64 s[42:43], vcc
; %bb.155:
	v_mov_b32_e32 v14, 0
	v_add_f64 v[6:7], v[4:5], v[6:7]
	v_cmp_eq_u16_sdwa vcc, v12, v14 src0_sel:BYTE_0 src1_sel:DWORD
	s_movk_i32 s3, 0xff00
	s_nop 0
	v_cndmask_b32_e32 v4, v4, v6, vcc
	v_or_b32_e32 v6, v16, v12
	v_and_b32_e32 v14, 1, v6
	v_cndmask_b32_e32 v5, v5, v7, vcc
	v_and_b32_e32 v15, 1, v6
	v_and_or_b32 v12, v12, s3, v14
; %bb.156:
	s_or_b64 exec, exec, s[42:43]
	v_mov_b32_dpp v6, v4 row_shr:2 row_mask:0xf bank_mask:0xf
	v_mov_b32_dpp v7, v5 row_shr:2 row_mask:0xf bank_mask:0xf
	;; [unrolled: 1-line block ×3, first 2 shown]
	v_cmp_lt_u32_e32 vcc, 1, v13
	s_and_saveexec_b64 s[60:61], vcc
; %bb.157:
	v_mov_b32_e32 v13, 0
	v_add_f64 v[6:7], v[4:5], v[6:7]
	v_cmp_eq_u16_sdwa vcc, v14, v13 src0_sel:BYTE_0 src1_sel:DWORD
	s_nop 1
	v_cndmask_b32_e32 v4, v4, v6, vcc
	v_and_b32_e32 v6, 1, v14
	v_cndmask_b32_e32 v5, v5, v7, vcc
	v_cmp_eq_u32_e32 vcc, 1, v6
	v_and_b32_e32 v6, 1, v12
	v_cmp_eq_u32_e64 s[42:43], 1, v6
	s_or_b64 s[42:43], vcc, s[42:43]
	s_nop 0
	v_cndmask_b32_e64 v15, 0, 1, s[42:43]
; %bb.158:
	s_or_b64 exec, exec, s[60:61]
	ds_write_b64 v11, v[4:5]
	ds_write_b8 v11, v15 offset:8
.LBB1411_159:
	s_or_b64 exec, exec, s[46:47]
	v_cmp_gt_u32_e32 vcc, 64, v0
	v_cmp_lt_u32_e64 s[42:43], 63, v0
	v_mov_b32_e32 v18, 0
	v_mov_b64_e32 v[6:7], 0
	s_waitcnt lgkmcnt(0)
	s_barrier
	s_and_saveexec_b64 s[46:47], s[42:43]
	s_cbranch_execz .LBB1411_161
; %bb.160:
	v_lshl_add_u32 v4, v10, 4, -16
	ds_read_b64 v[6:7], v4
	ds_read_u8 v18, v4 offset:8
	v_cmp_eq_u16_e64 s[42:43], 0, v8
	s_waitcnt lgkmcnt(1)
	v_add_f64 v[4:5], v[2:3], v[6:7]
	s_waitcnt lgkmcnt(0)
	v_or_b32_e32 v10, v8, v18
	v_cndmask_b32_e64 v3, v3, v5, s[42:43]
	v_cndmask_b32_e64 v2, v2, v4, s[42:43]
	v_and_b32_e32 v8, 1, v10
.LBB1411_161:
	s_or_b64 exec, exec, s[46:47]
	v_add_u32_e32 v4, -1, v9
	v_and_b32_e32 v5, 64, v9
	v_cmp_lt_i32_e64 s[42:43], v4, v5
	s_nop 1
	v_cndmask_b32_e64 v4, v4, v9, s[42:43]
	v_lshlrev_b32_e32 v4, 2, v4
	ds_bpermute_b32 v19, v4, v2
	v_and_b32_e32 v2, 0xffff, v8
	ds_bpermute_b32 v20, v4, v3
	ds_bpermute_b32 v21, v4, v2
	v_cmp_eq_u32_e64 s[42:43], 0, v9
	s_and_saveexec_b64 s[60:61], vcc
	s_cbranch_execz .LBB1411_208
; %bb.162:
	v_mov_b32_e32 v11, 0
	ds_read2_b64 v[2:5], v11 offset0:6 offset1:7
	s_and_saveexec_b64 s[46:47], s[42:43]
	s_cbranch_execz .LBB1411_164
; %bb.163:
	s_add_i32 s64, s2, 64
	s_mov_b32 s65, 0
	s_lshl_b64 s[72:73], s[64:65], 4
	s_add_u32 s72, s48, s72
	s_addc_u32 s73, s49, s73
	s_waitcnt lgkmcnt(0)
	global_store_dword v11, v2, s[72:73] sc1
	global_store_dword v11, v3, s[72:73] offset:4 sc1
	global_store_dword v11, v4, s[72:73] offset:8 sc1
	global_store_dword v11, v5, s[72:73] offset:12 sc1
	v_mov_b32_e32 v5, s64
	v_mov_b32_e32 v8, 1
	s_waitcnt vmcnt(0)
	global_store_byte v5, v8, s[52:53] sc1
.LBB1411_164:
	s_or_b64 exec, exec, s[46:47]
	v_xad_u32 v8, v9, -1, s2
	v_add_u32_e32 v10, 64, v8
	s_waitcnt lgkmcnt(0)
	global_load_ubyte v5, v10, s[52:53] sc1
	s_waitcnt vmcnt(0)
	v_cmp_eq_u16_e32 vcc, 0, v5
	s_and_saveexec_b64 s[46:47], vcc
	s_cbranch_execz .LBB1411_170
; %bb.165:
	v_lshl_add_u64 v[12:13], s[52:53], 0, v[10:11]
	s_mov_b32 s3, 1
	s_mov_b64 s[64:65], 0
.LBB1411_166:                           ; =>This Loop Header: Depth=1
                                        ;     Child Loop BB1411_167 Depth 2
	s_max_u32 s55, s3, 1
.LBB1411_167:                           ;   Parent Loop BB1411_166 Depth=1
                                        ; =>  This Inner Loop Header: Depth=2
	s_add_i32 s55, s55, -1
	s_cmp_eq_u32 s55, 0
	s_sleep 1
	s_cbranch_scc0 .LBB1411_167
; %bb.168:                              ;   in Loop: Header=BB1411_166 Depth=1
	global_load_ubyte v5, v[12:13], off sc1
	s_cmp_lt_u32 s3, 32
	s_cselect_b64 s[72:73], -1, 0
	s_cmp_lg_u64 s[72:73], 0
	s_addc_u32 s3, s3, 0
	s_waitcnt vmcnt(0)
	v_cmp_ne_u16_e32 vcc, 0, v5
	s_or_b64 s[64:65], vcc, s[64:65]
	s_andn2_b64 exec, exec, s[64:65]
	s_cbranch_execnz .LBB1411_166
; %bb.169:
	s_or_b64 exec, exec, s[64:65]
.LBB1411_170:
	s_or_b64 exec, exec, s[46:47]
	v_mov_b32_e32 v12, s51
	v_mov_b32_e32 v13, s49
	v_cmp_eq_u16_e32 vcc, 1, v5
	v_mov_b32_e32 v14, s48
	s_waitcnt vmcnt(0)
	v_cndmask_b32_e32 v13, v12, v13, vcc
	v_mov_b32_e32 v12, s50
	v_cndmask_b32_e32 v12, v12, v14, vcc
	v_lshl_add_u64 v[10:11], v[10:11], 4, v[12:13]
	global_load_dword v14, v[10:11], off sc1
	global_load_dword v15, v[10:11], off offset:4 sc1
	global_load_dword v16, v[10:11], off offset:8 sc1
	s_nop 0
	global_load_dword v10, v[10:11], off offset:12 sc1
	v_cmp_eq_u16_e32 vcc, 2, v5
	s_waitcnt vmcnt(0)
	v_lshlrev_b64 v[10:11], v9, -1
	v_and_b32_e32 v22, 63, v9
	v_and_b32_e32 v12, vcc_hi, v11
	v_and_b32_e32 v17, vcc_lo, v10
	v_cmp_ne_u32_e32 vcc, 63, v22
	v_or_b32_e32 v12, 0x80000000, v12
	v_ffbl_b32_e32 v25, v12
	v_addc_co_u32_e32 v13, vcc, 0, v9, vcc
	v_lshlrev_b32_e32 v23, 2, v13
	v_add_u32_e32 v25, 32, v25
	v_ffbl_b32_e32 v17, v17
	v_min_u32_e32 v17, v17, v25
	v_cmp_lt_u32_e32 vcc, v22, v17
	ds_bpermute_b32 v12, v23, v14
	ds_bpermute_b32 v13, v23, v15
	v_and_b32_e32 v32, 0xff, v16
	ds_bpermute_b32 v24, v23, v32
	s_and_saveexec_b64 s[46:47], vcc
	s_cbranch_execz .LBB1411_172
; %bb.171:
	v_mov_b32_e32 v25, 0
	s_waitcnt lgkmcnt(1)
	v_add_f64 v[12:13], v[14:15], v[12:13]
	v_cmp_eq_u16_sdwa vcc, v16, v25 src0_sel:BYTE_0 src1_sel:DWORD
	s_nop 1
	v_cndmask_b32_e32 v14, v14, v12, vcc
	s_waitcnt lgkmcnt(0)
	v_or_b32_e32 v12, v24, v16
	v_cndmask_b32_e32 v15, v15, v13, vcc
	v_and_b32_e32 v16, 1, v12
	v_and_b32_e32 v32, 1, v12
.LBB1411_172:
	s_or_b64 exec, exec, s[46:47]
	v_cmp_gt_u32_e32 vcc, 62, v22
	v_add_u32_e32 v25, 2, v22
	s_waitcnt lgkmcnt(2)
	v_cndmask_b32_e64 v12, 0, 1, vcc
	v_lshlrev_b32_e32 v12, 1, v12
	s_waitcnt lgkmcnt(0)
	v_add_lshl_u32 v24, v12, v9, 2
	ds_bpermute_b32 v12, v24, v14
	ds_bpermute_b32 v13, v24, v15
	ds_bpermute_b32 v26, v24, v32
	v_cmp_le_u32_e32 vcc, v25, v17
	s_and_saveexec_b64 s[64:65], vcc
	s_cbranch_execz .LBB1411_174
; %bb.173:
	v_mov_b32_e32 v27, 0
	s_waitcnt lgkmcnt(1)
	v_add_f64 v[12:13], v[14:15], v[12:13]
	v_cmp_eq_u16_sdwa vcc, v16, v27 src0_sel:BYTE_0 src1_sel:DWORD
	s_nop 1
	v_cndmask_b32_e32 v14, v14, v12, vcc
	v_and_b32_e32 v12, 1, v16
	v_cndmask_b32_e32 v15, v15, v13, vcc
	v_cmp_eq_u32_e32 vcc, 1, v12
	s_waitcnt lgkmcnt(0)
	v_and_b32_e32 v12, 1, v26
	v_cmp_eq_u32_e64 s[46:47], 1, v12
	s_or_b64 s[46:47], vcc, s[46:47]
	s_nop 0
	v_cndmask_b32_e64 v16, 0, 1, s[46:47]
	v_cndmask_b32_e64 v32, 0, 1, s[46:47]
.LBB1411_174:
	s_or_b64 exec, exec, s[64:65]
	v_cmp_gt_u32_e32 vcc, 60, v22
	v_add_u32_e32 v27, 4, v22
	s_waitcnt lgkmcnt(2)
	v_cndmask_b32_e64 v12, 0, 1, vcc
	v_lshlrev_b32_e32 v12, 2, v12
	s_waitcnt lgkmcnt(0)
	v_add_lshl_u32 v26, v12, v9, 2
	ds_bpermute_b32 v12, v26, v14
	ds_bpermute_b32 v13, v26, v15
	ds_bpermute_b32 v28, v26, v32
	v_cmp_le_u32_e32 vcc, v27, v17
	s_and_saveexec_b64 s[64:65], vcc
	s_cbranch_execz .LBB1411_176
; %bb.175:
	v_mov_b32_e32 v29, 0
	s_waitcnt lgkmcnt(1)
	v_add_f64 v[12:13], v[14:15], v[12:13]
	v_cmp_eq_u16_sdwa vcc, v16, v29 src0_sel:BYTE_0 src1_sel:DWORD
	s_nop 1
	v_cndmask_b32_e32 v14, v14, v12, vcc
	v_and_b32_e32 v12, 1, v16
	v_cndmask_b32_e32 v15, v15, v13, vcc
	v_cmp_eq_u32_e32 vcc, 1, v12
	s_waitcnt lgkmcnt(0)
	v_and_b32_e32 v12, 1, v28
	v_cmp_eq_u32_e64 s[46:47], 1, v12
	s_or_b64 s[46:47], vcc, s[46:47]
	s_nop 0
	v_cndmask_b32_e64 v16, 0, 1, s[46:47]
	v_cndmask_b32_e64 v32, 0, 1, s[46:47]
.LBB1411_176:
	;; [unrolled: 32-line block ×4, first 2 shown]
	s_or_b64 exec, exec, s[64:65]
	v_cmp_gt_u32_e32 vcc, 32, v22
	v_add_u32_e32 v34, 32, v22
	s_waitcnt lgkmcnt(2)
	v_cndmask_b32_e64 v12, 0, 1, vcc
	v_lshlrev_b32_e32 v12, 5, v12
	s_waitcnt lgkmcnt(0)
	v_add_lshl_u32 v33, v12, v9, 2
	ds_bpermute_b32 v12, v33, v14
	ds_bpermute_b32 v13, v33, v15
	;; [unrolled: 1-line block ×3, first 2 shown]
	v_cmp_le_u32_e32 vcc, v34, v17
	s_and_saveexec_b64 s[64:65], vcc
	s_cbranch_execz .LBB1411_182
; %bb.181:
	v_mov_b32_e32 v17, 0
	s_waitcnt lgkmcnt(1)
	v_add_f64 v[12:13], v[14:15], v[12:13]
	v_cmp_eq_u16_sdwa vcc, v16, v17 src0_sel:BYTE_0 src1_sel:DWORD
	s_waitcnt lgkmcnt(0)
	v_and_b32_e32 v9, 1, v9
	v_cmp_eq_u32_e64 s[46:47], 1, v9
	v_cndmask_b32_e32 v14, v14, v12, vcc
	v_and_b32_e32 v12, 1, v16
	v_cndmask_b32_e32 v15, v15, v13, vcc
	v_cmp_eq_u32_e32 vcc, 1, v12
	s_or_b64 s[46:47], vcc, s[46:47]
	v_cndmask_b32_e64 v16, 0, 1, s[46:47]
.LBB1411_182:
	s_or_b64 exec, exec, s[64:65]
	s_waitcnt lgkmcnt(0)
	v_mov_b32_e32 v9, 0
	v_mov_b32_e32 v35, 2
	s_branch .LBB1411_184
.LBB1411_183:                           ;   in Loop: Header=BB1411_184 Depth=1
	s_or_b64 exec, exec, s[72:73]
	v_add_f64 v[14:15], v[12:13], v[14:15]
	v_cmp_eq_u16_sdwa vcc, v32, v9 src0_sel:BYTE_0 src1_sel:DWORD
	s_waitcnt lgkmcnt(2)
	v_and_b32_e32 v16, 1, v32
	v_subrev_u32_e32 v8, 64, v8
	v_cndmask_b32_e32 v15, v13, v15, vcc
	v_cndmask_b32_e32 v14, v12, v14, vcc
	v_cmp_eq_u32_e32 vcc, 1, v16
	s_or_b64 s[46:47], vcc, s[64:65]
	v_cndmask_b32_e64 v16, 0, 1, s[46:47]
.LBB1411_184:                           ; =>This Loop Header: Depth=1
                                        ;     Child Loop BB1411_187 Depth 2
                                        ;       Child Loop BB1411_188 Depth 3
	v_cmp_ne_u16_sdwa s[46:47], v5, v35 src0_sel:BYTE_0 src1_sel:DWORD
	v_mov_b32_e32 v32, v16
	v_mov_b64_e32 v[12:13], v[14:15]
	v_cndmask_b32_e64 v5, 0, 1, s[46:47]
	;;#ASMSTART
	;;#ASMEND
	s_nop 0
	v_cmp_ne_u32_e32 vcc, 0, v5
	s_cmp_lg_u64 vcc, exec
	s_cbranch_scc1 .LBB1411_203
; %bb.185:                              ;   in Loop: Header=BB1411_184 Depth=1
	global_load_ubyte v5, v8, s[52:53] sc1
	s_waitcnt vmcnt(0)
	v_cmp_eq_u16_e32 vcc, 0, v5
	s_and_saveexec_b64 s[46:47], vcc
	s_cbranch_execz .LBB1411_191
; %bb.186:                              ;   in Loop: Header=BB1411_184 Depth=1
	v_lshl_add_u64 v[14:15], s[52:53], 0, v[8:9]
	s_mov_b32 s3, 1
	s_mov_b64 s[64:65], 0
.LBB1411_187:                           ;   Parent Loop BB1411_184 Depth=1
                                        ; =>  This Loop Header: Depth=2
                                        ;       Child Loop BB1411_188 Depth 3
	s_max_u32 s55, s3, 1
.LBB1411_188:                           ;   Parent Loop BB1411_184 Depth=1
                                        ;     Parent Loop BB1411_187 Depth=2
                                        ; =>    This Inner Loop Header: Depth=3
	s_add_i32 s55, s55, -1
	s_cmp_eq_u32 s55, 0
	s_sleep 1
	s_cbranch_scc0 .LBB1411_188
; %bb.189:                              ;   in Loop: Header=BB1411_187 Depth=2
	global_load_ubyte v5, v[14:15], off sc1
	s_cmp_lt_u32 s3, 32
	s_cselect_b64 s[72:73], -1, 0
	s_cmp_lg_u64 s[72:73], 0
	s_addc_u32 s3, s3, 0
	s_waitcnt vmcnt(0)
	v_cmp_ne_u16_e32 vcc, 0, v5
	s_or_b64 s[64:65], vcc, s[64:65]
	s_andn2_b64 exec, exec, s[64:65]
	s_cbranch_execnz .LBB1411_187
; %bb.190:                              ;   in Loop: Header=BB1411_184 Depth=1
	s_or_b64 exec, exec, s[64:65]
.LBB1411_191:                           ;   in Loop: Header=BB1411_184 Depth=1
	s_or_b64 exec, exec, s[46:47]
	v_mov_b32_e32 v14, s51
	v_mov_b32_e32 v15, s49
	v_cmp_eq_u16_e32 vcc, 1, v5
	v_mov_b32_e32 v16, s48
	s_waitcnt vmcnt(0)
	v_cndmask_b32_e32 v15, v14, v15, vcc
	v_mov_b32_e32 v14, s50
	v_cndmask_b32_e32 v14, v14, v16, vcc
	s_waitcnt lgkmcnt(1)
	v_lshl_add_u64 v[16:17], v[8:9], 4, v[14:15]
	global_load_dword v14, v[16:17], off sc1
	global_load_dword v15, v[16:17], off offset:4 sc1
	global_load_dword v36, v[16:17], off offset:8 sc1
	s_nop 0
	global_load_dword v16, v[16:17], off offset:12 sc1
	v_cmp_eq_u16_e32 vcc, 2, v5
	s_waitcnt vmcnt(2)
	ds_bpermute_b32 v17, v23, v15
	s_waitcnt vmcnt(0)
	v_and_b32_e32 v16, vcc_hi, v11
	v_or_b32_e32 v16, 0x80000000, v16
	s_waitcnt lgkmcnt(1)
	v_and_b32_e32 v38, 0xff, v36
	v_ffbl_b32_e32 v40, v16
	ds_bpermute_b32 v16, v23, v14
	ds_bpermute_b32 v39, v23, v38
	v_and_b32_e32 v37, vcc_lo, v10
	v_add_u32_e32 v40, 32, v40
	v_ffbl_b32_e32 v37, v37
	v_min_u32_e32 v37, v37, v40
	v_cmp_lt_u32_e32 vcc, v22, v37
	s_and_saveexec_b64 s[46:47], vcc
	s_cbranch_execz .LBB1411_193
; %bb.192:                              ;   in Loop: Header=BB1411_184 Depth=1
	s_waitcnt lgkmcnt(1)
	v_add_f64 v[16:17], v[14:15], v[16:17]
	v_cmp_eq_u16_sdwa vcc, v36, v9 src0_sel:BYTE_0 src1_sel:DWORD
	s_nop 1
	v_cndmask_b32_e32 v14, v14, v16, vcc
	s_waitcnt lgkmcnt(0)
	v_or_b32_e32 v16, v39, v36
	v_cndmask_b32_e32 v15, v15, v17, vcc
	v_and_b32_e32 v36, 1, v16
	v_and_b32_e32 v38, 1, v16
.LBB1411_193:                           ;   in Loop: Header=BB1411_184 Depth=1
	s_or_b64 exec, exec, s[46:47]
	s_waitcnt lgkmcnt(1)
	ds_bpermute_b32 v16, v24, v14
	ds_bpermute_b32 v17, v24, v15
	s_waitcnt lgkmcnt(2)
	ds_bpermute_b32 v39, v24, v38
	v_and_b32_e32 v40, 1, v36
	v_cmp_le_u32_e32 vcc, v25, v37
	v_cmp_eq_u32_e64 s[64:65], 1, v40
	s_and_saveexec_b64 s[46:47], vcc
	s_cbranch_execz .LBB1411_195
; %bb.194:                              ;   in Loop: Header=BB1411_184 Depth=1
	s_waitcnt lgkmcnt(1)
	v_add_f64 v[16:17], v[14:15], v[16:17]
	v_cmp_eq_u16_sdwa vcc, v36, v9 src0_sel:BYTE_0 src1_sel:DWORD
	s_nop 1
	v_cndmask_b32_e32 v14, v14, v16, vcc
	s_waitcnt lgkmcnt(0)
	v_and_b32_e32 v16, 1, v39
	v_cndmask_b32_e32 v15, v15, v17, vcc
	v_cmp_eq_u32_e32 vcc, 1, v16
	s_or_b64 s[72:73], s[64:65], vcc
	v_cndmask_b32_e64 v36, 0, 1, s[72:73]
	v_cndmask_b32_e64 v38, 0, 1, s[72:73]
	s_andn2_b64 s[64:65], s[64:65], exec
	s_and_b64 s[72:73], s[72:73], exec
	s_or_b64 s[64:65], s[64:65], s[72:73]
.LBB1411_195:                           ;   in Loop: Header=BB1411_184 Depth=1
	s_or_b64 exec, exec, s[46:47]
	s_waitcnt lgkmcnt(2)
	ds_bpermute_b32 v16, v26, v14
	s_waitcnt lgkmcnt(2)
	ds_bpermute_b32 v17, v26, v15
	s_waitcnt lgkmcnt(2)
	ds_bpermute_b32 v39, v26, v38
	v_cmp_le_u32_e32 vcc, v27, v37
	s_and_saveexec_b64 s[72:73], vcc
	s_cbranch_execz .LBB1411_197
; %bb.196:                              ;   in Loop: Header=BB1411_184 Depth=1
	s_waitcnt lgkmcnt(1)
	v_add_f64 v[16:17], v[14:15], v[16:17]
	v_cmp_eq_u16_sdwa vcc, v36, v9 src0_sel:BYTE_0 src1_sel:DWORD
	s_andn2_b64 s[64:65], s[64:65], exec
	s_nop 0
	v_cndmask_b32_e32 v14, v14, v16, vcc
	v_and_b32_e32 v16, 1, v36
	v_cndmask_b32_e32 v15, v15, v17, vcc
	v_cmp_eq_u32_e32 vcc, 1, v16
	s_waitcnt lgkmcnt(0)
	v_and_b32_e32 v16, 1, v39
	v_cmp_eq_u32_e64 s[46:47], 1, v16
	s_or_b64 s[46:47], vcc, s[46:47]
	s_nop 0
	v_cndmask_b32_e64 v36, 0, 1, s[46:47]
	v_cndmask_b32_e64 v38, 0, 1, s[46:47]
	s_and_b64 s[46:47], s[46:47], exec
	s_or_b64 s[64:65], s[64:65], s[46:47]
.LBB1411_197:                           ;   in Loop: Header=BB1411_184 Depth=1
	s_or_b64 exec, exec, s[72:73]
	s_waitcnt lgkmcnt(2)
	ds_bpermute_b32 v16, v28, v14
	s_waitcnt lgkmcnt(2)
	ds_bpermute_b32 v17, v28, v15
	s_waitcnt lgkmcnt(2)
	ds_bpermute_b32 v39, v28, v38
	v_cmp_le_u32_e32 vcc, v29, v37
	s_and_saveexec_b64 s[72:73], vcc
	s_cbranch_execz .LBB1411_199
; %bb.198:                              ;   in Loop: Header=BB1411_184 Depth=1
	s_waitcnt lgkmcnt(1)
	v_add_f64 v[16:17], v[14:15], v[16:17]
	v_cmp_eq_u16_sdwa vcc, v36, v9 src0_sel:BYTE_0 src1_sel:DWORD
	s_andn2_b64 s[64:65], s[64:65], exec
	s_nop 0
	v_cndmask_b32_e32 v14, v14, v16, vcc
	v_and_b32_e32 v16, 1, v36
	v_cndmask_b32_e32 v15, v15, v17, vcc
	v_cmp_eq_u32_e32 vcc, 1, v16
	s_waitcnt lgkmcnt(0)
	v_and_b32_e32 v16, 1, v39
	v_cmp_eq_u32_e64 s[46:47], 1, v16
	s_or_b64 s[46:47], vcc, s[46:47]
	s_nop 0
	v_cndmask_b32_e64 v36, 0, 1, s[46:47]
	v_cndmask_b32_e64 v38, 0, 1, s[46:47]
	s_and_b64 s[46:47], s[46:47], exec
	s_or_b64 s[64:65], s[64:65], s[46:47]
.LBB1411_199:                           ;   in Loop: Header=BB1411_184 Depth=1
	;; [unrolled: 30-line block ×3, first 2 shown]
	s_or_b64 exec, exec, s[72:73]
	s_waitcnt lgkmcnt(2)
	ds_bpermute_b32 v16, v33, v14
	s_waitcnt lgkmcnt(2)
	ds_bpermute_b32 v17, v33, v15
	ds_bpermute_b32 v38, v33, v38
	v_cmp_le_u32_e32 vcc, v34, v37
	s_and_saveexec_b64 s[72:73], vcc
	s_cbranch_execz .LBB1411_183
; %bb.202:                              ;   in Loop: Header=BB1411_184 Depth=1
	s_waitcnt lgkmcnt(1)
	v_add_f64 v[16:17], v[14:15], v[16:17]
	v_cmp_eq_u16_sdwa vcc, v36, v9 src0_sel:BYTE_0 src1_sel:DWORD
	s_andn2_b64 s[64:65], s[64:65], exec
	s_nop 0
	v_cndmask_b32_e32 v14, v14, v16, vcc
	v_and_b32_e32 v16, 1, v36
	v_cndmask_b32_e32 v15, v15, v17, vcc
	v_cmp_eq_u32_e32 vcc, 1, v16
	s_waitcnt lgkmcnt(0)
	v_and_b32_e32 v16, 1, v38
	v_cmp_eq_u32_e64 s[46:47], 1, v16
	s_or_b64 s[46:47], vcc, s[46:47]
	s_and_b64 s[46:47], s[46:47], exec
	s_or_b64 s[64:65], s[64:65], s[46:47]
	s_branch .LBB1411_183
.LBB1411_203:                           ;   in Loop: Header=BB1411_184 Depth=1
                                        ; implicit-def: $vgpr16
                                        ; implicit-def: $vgpr14_vgpr15
                                        ; implicit-def: $vgpr5
	s_cbranch_execz .LBB1411_184
; %bb.204:
	s_and_saveexec_b64 s[46:47], s[42:43]
	s_cbranch_execz .LBB1411_206
; %bb.205:
	s_mov_b32 s3, 0
	s_add_i32 s2, s2, 64
	v_mov_b32_e32 v5, 0
	s_lshl_b64 s[48:49], s[2:3], 4
	v_add_f64 v[8:9], v[2:3], v[12:13]
	v_cmp_eq_u32_sdwa vcc, v4, v5 src0_sel:BYTE_0 src1_sel:DWORD
	v_and_b32_e32 v4, 1, v4
	s_add_u32 s48, s50, s48
	v_cndmask_b32_e32 v3, v3, v9, vcc
	v_cndmask_b32_e32 v2, v2, v8, vcc
	v_and_b32_e32 v8, 1, v32
	v_cmp_eq_u32_e32 vcc, 1, v4
	s_addc_u32 s49, s51, s49
	s_nop 0
	v_cndmask_b32_e64 v4, v8, 1, vcc
	global_store_dword v5, v2, s[48:49] sc1
	global_store_dword v5, v3, s[48:49] offset:4 sc1
	global_store_dword v5, v4, s[48:49] offset:8 sc1
	;; [unrolled: 1-line block ×3, first 2 shown]
	v_mov_b32_e32 v2, s2
	v_mov_b32_e32 v3, 2
	s_waitcnt vmcnt(0) lgkmcnt(0)
	global_store_byte v2, v3, s[52:53] sc1
.LBB1411_206:
	s_or_b64 exec, exec, s[46:47]
	v_cmp_eq_u32_e32 vcc, 0, v0
	s_and_b64 exec, exec, vcc
	s_cbranch_execz .LBB1411_208
; %bb.207:
	v_mov_b32_e32 v2, 0
	ds_write_b64 v2, v[12:13] offset:48
	ds_write_b8 v2, v32 offset:56
.LBB1411_208:
	s_or_b64 exec, exec, s[60:61]
	v_mov_b32_e32 v8, 0
	s_waitcnt lgkmcnt(0)
	s_barrier
	ds_read_b64 v[2:3], v8 offset:48
	v_cndmask_b32_e64 v5, v20, v7, s[42:43]
	v_cndmask_b32_e64 v4, v19, v6, s[42:43]
	;; [unrolled: 1-line block ×3, first 2 shown]
	v_cmp_eq_u16_sdwa vcc, v9, v8 src0_sel:BYTE_0 src1_sel:DWORD
	s_waitcnt lgkmcnt(0)
	v_add_f64 v[6:7], v[4:5], v[2:3]
	v_cndmask_b32_e32 v4, v4, v6, vcc
	v_cndmask_b32_e32 v5, v5, v7, vcc
	v_cmp_eq_u32_e32 vcc, 0, v0
	s_nop 1
	v_cndmask_b32_e32 v87, v5, v3, vcc
	v_cndmask_b32_e32 v86, v4, v2, vcc
	v_add_f64 v[2:3], v[42:43], v[86:87]
	v_cmp_eq_u16_sdwa vcc, v1, v8 src0_sel:BYTE_0 src1_sel:DWORD
	s_nop 1
	v_cndmask_b32_e32 v5, v43, v3, vcc
	v_cndmask_b32_e32 v4, v42, v2, vcc
	v_add_f64 v[2:3], v[44:45], v[4:5]
	v_cndmask_b32_e64 v7, v45, v3, s[44:45]
	v_cndmask_b32_e64 v6, v44, v2, s[44:45]
	v_add_f64 v[2:3], v[46:47], v[6:7]
	v_cndmask_b32_e64 v89, v47, v3, s[4:5]
	v_cndmask_b32_e64 v88, v46, v2, s[4:5]
	;; [unrolled: 3-line block ×19, first 2 shown]
	s_branch .LBB1411_237
.LBB1411_209:
                                        ; implicit-def: $vgpr86_vgpr87
                                        ; implicit-def: $vgpr106_vgpr107
                                        ; implicit-def: $vgpr104_vgpr105
                                        ; implicit-def: $vgpr102_vgpr103
                                        ; implicit-def: $vgpr100_vgpr101
                                        ; implicit-def: $vgpr98_vgpr99
                                        ; implicit-def: $vgpr96_vgpr97
                                        ; implicit-def: $vgpr94_vgpr95
                                        ; implicit-def: $vgpr92_vgpr93
                                        ; implicit-def: $vgpr90_vgpr91
                                        ; implicit-def: $vgpr88_vgpr89
                                        ; implicit-def: $vgpr38_vgpr39_vgpr40_vgpr41
                                        ; implicit-def: $vgpr34_vgpr35_vgpr36_vgpr37
                                        ; implicit-def: $vgpr30_vgpr31_vgpr32_vgpr33
                                        ; implicit-def: $vgpr26_vgpr27_vgpr28_vgpr29
                                        ; implicit-def: $vgpr22_vgpr23_vgpr24_vgpr25
                                        ; implicit-def: $vgpr18_vgpr19_vgpr20_vgpr21
                                        ; implicit-def: $vgpr14_vgpr15_vgpr16_vgpr17
                                        ; implicit-def: $vgpr10_vgpr11_vgpr12_vgpr13
                                        ; implicit-def: $vgpr6_vgpr7_vgpr8_vgpr9
                                        ; implicit-def: $vgpr2_vgpr3_vgpr4_vgpr5
	s_cbranch_execz .LBB1411_237
; %bb.210:
	s_cmp_lg_u64 s[70:71], 0
	s_cselect_b32 s3, s67, 0
	s_cselect_b32 s2, s66, 0
	s_cmp_eq_u64 s[2:3], 0
	v_mov_b64_e32 v[2:3], s[68:69]
	s_cbranch_scc1 .LBB1411_212
; %bb.211:
	v_mov_b32_e32 v2, 0
	global_load_dwordx2 v[2:3], v2, s[2:3]
.LBB1411_212:
	v_mov_b32_e32 v6, 0
	v_cmp_eq_u16_sdwa vcc, v108, v6 src0_sel:BYTE_0 src1_sel:DWORD
	v_cmp_eq_u16_sdwa s[2:3], v109, v6 src0_sel:BYTE_0 src1_sel:DWORD
	v_cmp_eq_u16_sdwa s[4:5], v111, v6 src0_sel:BYTE_0 src1_sel:DWORD
	v_cndmask_b32_e32 v5, v45, v85, vcc
	v_cndmask_b32_e32 v4, v44, v84, vcc
	v_add_f64 v[4:5], v[46:47], v[4:5]
	v_cndmask_b32_e64 v5, v47, v5, s[2:3]
	v_cndmask_b32_e64 v4, v46, v4, s[2:3]
	v_add_f64 v[4:5], v[50:51], v[4:5]
	v_cndmask_b32_e64 v5, v51, v5, s[4:5]
	v_cndmask_b32_e64 v4, v50, v4, s[4:5]
	v_add_f64 v[4:5], v[52:53], v[4:5]
	v_cmp_eq_u16_sdwa s[6:7], v112, v6 src0_sel:BYTE_0 src1_sel:DWORD
	v_cmp_eq_u16_sdwa s[8:9], v113, v6 src0_sel:BYTE_0 src1_sel:DWORD
	v_cmp_eq_u16_sdwa s[10:11], v114, v6 src0_sel:BYTE_0 src1_sel:DWORD
	v_cndmask_b32_e64 v5, v53, v5, s[6:7]
	v_cndmask_b32_e64 v4, v52, v4, s[6:7]
	v_add_f64 v[4:5], v[54:55], v[4:5]
	v_cndmask_b32_e64 v5, v55, v5, s[8:9]
	v_cndmask_b32_e64 v4, v54, v4, s[8:9]
	v_add_f64 v[4:5], v[56:57], v[4:5]
	v_cndmask_b32_e64 v5, v57, v5, s[10:11]
	v_cndmask_b32_e64 v4, v56, v4, s[10:11]
	v_add_f64 v[4:5], v[58:59], v[4:5]
	v_cmp_eq_u16_sdwa s[12:13], v115, v6 src0_sel:BYTE_0 src1_sel:DWORD
	v_cmp_eq_u16_sdwa s[14:15], v116, v6 src0_sel:BYTE_0 src1_sel:DWORD
	v_cmp_eq_u16_sdwa s[16:17], v117, v6 src0_sel:BYTE_0 src1_sel:DWORD
	v_cndmask_b32_e64 v5, v59, v5, s[12:13]
	v_cndmask_b32_e64 v4, v58, v4, s[12:13]
	;; [unrolled: 12-line block ×3, first 2 shown]
	v_add_f64 v[4:5], v[66:67], v[4:5]
	v_cndmask_b32_e64 v5, v67, v5, s[20:21]
	v_cndmask_b32_e64 v4, v66, v4, s[20:21]
	v_cmp_eq_u16_sdwa s[24:25], v121, v6 src0_sel:BYTE_0 src1_sel:DWORD
	v_cmp_eq_u16_sdwa s[26:27], v122, v6 src0_sel:BYTE_0 src1_sel:DWORD
	;; [unrolled: 1-line block ×8, first 2 shown]
	v_or_b32_e32 v6, v129, v125
	v_add_f64 v[4:5], v[68:69], v[4:5]
	v_or_b32_e32 v6, v6, v124
	v_cndmask_b32_e64 v5, v69, v5, s[22:23]
	v_cndmask_b32_e64 v4, v68, v4, s[22:23]
	v_or_b32_e32 v6, v6, v123
	v_add_f64 v[4:5], v[70:71], v[4:5]
	v_or_b32_e32 v6, v6, v122
	v_cndmask_b32_e64 v5, v71, v5, s[24:25]
	v_cndmask_b32_e64 v4, v70, v4, s[24:25]
	;; [unrolled: 5-line block ×8, first 2 shown]
	v_or_b32_e32 v6, v6, v108
	v_add_f64 v[4:5], v[82:83], v[4:5]
	v_or_b32_e32 v6, v6, v1
	v_mbcnt_hi_u32_b32 v10, -1, v128
	v_cndmask_b32_e64 v5, v83, v5, s[40:41]
	v_cndmask_b32_e64 v4, v82, v4, s[40:41]
	v_and_b32_e32 v11, 1, v6
	v_and_b32_e32 v8, 15, v10
	v_cmp_eq_u32_e64 s[40:41], 1, v11
	v_mov_b32_dpp v6, v4 row_shr:1 row_mask:0xf bank_mask:0xf
	v_mov_b32_dpp v7, v5 row_shr:1 row_mask:0xf bank_mask:0xf
	;; [unrolled: 1-line block ×3, first 2 shown]
	v_cmp_ne_u32_e64 s[42:43], 0, v8
	v_mov_b32_e32 v9, v11
	s_and_saveexec_b64 s[44:45], s[42:43]
; %bb.213:
	v_add_f64 v[6:7], v[4:5], v[6:7]
	v_cndmask_b32_e64 v4, v6, v4, s[40:41]
	v_and_b32_e32 v6, 1, v12
	v_or_b32_e32 v11, v6, v11
	v_cndmask_b32_e64 v5, v7, v5, s[40:41]
	v_and_b32_e32 v9, 0xffff, v11
; %bb.214:
	s_or_b64 exec, exec, s[44:45]
	v_mov_b32_dpp v6, v4 row_shr:2 row_mask:0xf bank_mask:0xf
	v_mov_b32_dpp v7, v5 row_shr:2 row_mask:0xf bank_mask:0xf
	v_mov_b32_dpp v12, v9 row_shr:2 row_mask:0xf bank_mask:0xf
	v_cmp_lt_u32_e64 s[40:41], 1, v8
	s_and_saveexec_b64 s[44:45], s[40:41]
; %bb.215:
	v_add_f64 v[6:7], v[4:5], v[6:7]
	v_cmp_eq_u16_e64 s[40:41], 0, v11
	s_nop 1
	v_cndmask_b32_e64 v4, v4, v6, s[40:41]
	v_and_b32_e32 v6, 1, v11
	v_cndmask_b32_e64 v5, v5, v7, s[40:41]
	v_cmp_eq_u32_e64 s[40:41], 1, v6
	v_and_b32_e32 v6, 1, v12
	v_cmp_eq_u32_e64 s[42:43], 1, v6
	s_or_b64 s[40:41], s[40:41], s[42:43]
	v_cndmask_b32_e64 v11, 0, 1, s[40:41]
	v_cndmask_b32_e64 v9, 0, 1, s[40:41]
; %bb.216:
	s_or_b64 exec, exec, s[44:45]
	v_mov_b32_dpp v6, v4 row_shr:4 row_mask:0xf bank_mask:0xf
	v_mov_b32_dpp v7, v5 row_shr:4 row_mask:0xf bank_mask:0xf
	v_mov_b32_dpp v12, v9 row_shr:4 row_mask:0xf bank_mask:0xf
	v_cmp_lt_u32_e64 s[40:41], 3, v8
	s_and_saveexec_b64 s[44:45], s[40:41]
; %bb.217:
	v_add_f64 v[6:7], v[4:5], v[6:7]
	v_cmp_eq_u16_e64 s[40:41], 0, v11
	s_nop 1
	v_cndmask_b32_e64 v4, v4, v6, s[40:41]
	v_and_b32_e32 v6, 1, v11
	v_cndmask_b32_e64 v5, v5, v7, s[40:41]
	v_cmp_eq_u32_e64 s[40:41], 1, v6
	v_and_b32_e32 v6, 1, v12
	v_cmp_eq_u32_e64 s[42:43], 1, v6
	s_or_b64 s[40:41], s[40:41], s[42:43]
	v_cndmask_b32_e64 v11, 0, 1, s[40:41]
	v_cndmask_b32_e64 v9, 0, 1, s[40:41]
	;; [unrolled: 20-line block ×3, first 2 shown]
; %bb.220:
	s_or_b64 exec, exec, s[44:45]
	v_and_b32_e32 v12, 16, v10
	v_mov_b32_dpp v6, v4 row_bcast:15 row_mask:0xf bank_mask:0xf
	v_mov_b32_dpp v7, v5 row_bcast:15 row_mask:0xf bank_mask:0xf
	;; [unrolled: 1-line block ×3, first 2 shown]
	v_cmp_ne_u32_e64 s[40:41], 0, v12
	s_and_saveexec_b64 s[44:45], s[40:41]
; %bb.221:
	v_add_f64 v[6:7], v[4:5], v[6:7]
	v_cmp_eq_u16_e64 s[40:41], 0, v11
	s_nop 1
	v_cndmask_b32_e64 v4, v4, v6, s[40:41]
	v_and_b32_e32 v6, 1, v11
	v_cndmask_b32_e64 v5, v5, v7, s[40:41]
	v_cmp_eq_u32_e64 s[40:41], 1, v6
	v_and_b32_e32 v6, 1, v8
	v_cmp_eq_u32_e64 s[42:43], 1, v6
	s_or_b64 s[40:41], s[40:41], s[42:43]
	v_cndmask_b32_e64 v11, 0, 1, s[40:41]
	v_cndmask_b32_e64 v9, 0, 1, s[40:41]
; %bb.222:
	s_or_b64 exec, exec, s[44:45]
	v_mov_b32_dpp v6, v4 row_bcast:31 row_mask:0xf bank_mask:0xf
	v_mov_b32_dpp v7, v5 row_bcast:31 row_mask:0xf bank_mask:0xf
	v_mov_b32_dpp v8, v9 row_bcast:31 row_mask:0xf bank_mask:0xf
	v_cmp_lt_u32_e64 s[40:41], 31, v10
	s_and_saveexec_b64 s[44:45], s[40:41]
; %bb.223:
	v_add_f64 v[6:7], v[4:5], v[6:7]
	v_cmp_eq_u16_e64 s[40:41], 0, v11
	s_nop 1
	v_cndmask_b32_e64 v4, v4, v6, s[40:41]
	v_and_b32_e32 v6, 1, v11
	v_cndmask_b32_e64 v5, v5, v7, s[40:41]
	v_cmp_eq_u32_e64 s[40:41], 1, v6
	v_and_b32_e32 v6, 1, v8
	v_cmp_eq_u32_e64 s[42:43], 1, v6
	s_or_b64 s[40:41], s[40:41], s[42:43]
	v_cndmask_b32_e64 v11, 0, 1, s[40:41]
; %bb.224:
	s_or_b64 exec, exec, s[44:45]
	v_or_b32_e32 v6, 63, v0
	v_lshrrev_b32_e32 v12, 6, v0
	v_cmp_eq_u32_e64 s[40:41], v6, v0
	s_and_saveexec_b64 s[42:43], s[40:41]
	s_cbranch_execz .LBB1411_226
; %bb.225:
	v_lshlrev_b32_e32 v6, 4, v12
	ds_write_b64 v6, v[4:5]
	ds_write_b8 v6, v11 offset:8
.LBB1411_226:
	s_or_b64 exec, exec, s[42:43]
	v_cmp_gt_u32_e64 s[40:41], 4, v0
	s_waitcnt lgkmcnt(0)
	s_barrier
	s_and_saveexec_b64 s[44:45], s[40:41]
	s_cbranch_execz .LBB1411_232
; %bb.227:
	v_lshlrev_b32_e32 v13, 4, v0
	ds_read_b64 v[6:7], v13
	ds_read_b32 v14, v13 offset:8
	v_and_b32_e32 v15, 3, v10
	v_cmp_ne_u32_e64 s[40:41], 0, v15
	s_waitcnt lgkmcnt(1)
	v_mov_b32_dpp v8, v6 row_shr:1 row_mask:0xf bank_mask:0xf
	v_mov_b32_dpp v9, v7 row_shr:1 row_mask:0xf bank_mask:0xf
	s_waitcnt lgkmcnt(0)
	v_mov_b32_dpp v18, v14 row_shr:1 row_mask:0xf bank_mask:0xf
	v_mov_b32_e32 v17, v14
	v_mov_b32_e32 v16, v14
	s_and_saveexec_b64 s[42:43], s[40:41]
; %bb.228:
	v_mov_b32_e32 v16, 0
	v_add_f64 v[8:9], v[6:7], v[8:9]
	v_cmp_eq_u16_sdwa s[40:41], v14, v16 src0_sel:BYTE_0 src1_sel:DWORD
	s_nop 1
	v_cndmask_b32_e64 v6, v6, v8, s[40:41]
	v_or_b32_e32 v8, v18, v14
	v_cndmask_b32_e64 v7, v7, v9, s[40:41]
	v_and_b32_e32 v16, 1, v8
	s_movk_i32 s40, 0xff00
	v_and_b32_e32 v17, 1, v8
	v_and_or_b32 v14, v14, s40, v16
; %bb.229:
	s_or_b64 exec, exec, s[42:43]
	v_mov_b32_dpp v8, v6 row_shr:2 row_mask:0xf bank_mask:0xf
	v_mov_b32_dpp v9, v7 row_shr:2 row_mask:0xf bank_mask:0xf
	v_mov_b32_dpp v14, v14 row_shr:2 row_mask:0xf bank_mask:0xf
	v_cmp_lt_u32_e64 s[40:41], 1, v15
	s_and_saveexec_b64 s[46:47], s[40:41]
; %bb.230:
	v_mov_b32_e32 v15, 0
	v_add_f64 v[8:9], v[6:7], v[8:9]
	v_cmp_eq_u16_sdwa s[40:41], v16, v15 src0_sel:BYTE_0 src1_sel:DWORD
	s_nop 1
	v_cndmask_b32_e64 v6, v6, v8, s[40:41]
	v_and_b32_e32 v8, 1, v16
	v_cndmask_b32_e64 v7, v7, v9, s[40:41]
	v_cmp_eq_u32_e64 s[40:41], 1, v8
	v_and_b32_e32 v8, 1, v14
	v_cmp_eq_u32_e64 s[42:43], 1, v8
	s_or_b64 s[40:41], s[40:41], s[42:43]
	v_cndmask_b32_e64 v17, 0, 1, s[40:41]
; %bb.231:
	s_or_b64 exec, exec, s[46:47]
	ds_write_b64 v13, v[6:7]
	ds_write_b8 v13, v17 offset:8
.LBB1411_232:
	s_or_b64 exec, exec, s[44:45]
	v_cmp_lt_u32_e64 s[40:41], 63, v0
	s_waitcnt vmcnt(0)
	v_mov_b64_e32 v[6:7], v[2:3]
	s_waitcnt lgkmcnt(0)
	s_barrier
	s_and_saveexec_b64 s[42:43], s[40:41]
	s_cbranch_execz .LBB1411_234
; %bb.233:
	v_lshl_add_u32 v8, v12, 4, -16
	ds_read_b64 v[6:7], v8
	ds_read_u8 v12, v8 offset:8
	s_waitcnt lgkmcnt(1)
	v_add_f64 v[8:9], v[2:3], v[6:7]
	s_waitcnt lgkmcnt(0)
	v_cmp_eq_u16_e64 s[40:41], 0, v12
	s_nop 1
	v_cndmask_b32_e64 v7, v7, v9, s[40:41]
	v_cndmask_b32_e64 v6, v6, v8, s[40:41]
.LBB1411_234:
	s_or_b64 exec, exec, s[42:43]
	v_add_f64 v[8:9], v[4:5], v[6:7]
	v_cmp_eq_u16_e64 s[40:41], 0, v11
	s_nop 1
	v_cndmask_b32_e64 v5, v5, v9, s[40:41]
	v_cndmask_b32_e64 v4, v4, v8, s[40:41]
	v_add_u32_e32 v8, -1, v10
	v_and_b32_e32 v9, 64, v10
	v_cmp_lt_i32_e64 s[40:41], v8, v9
	s_nop 1
	v_cndmask_b32_e64 v8, v8, v10, s[40:41]
	v_lshlrev_b32_e32 v8, 2, v8
	ds_bpermute_b32 v5, v8, v5
	ds_bpermute_b32 v4, v8, v4
	v_cmp_eq_u32_e64 s[40:41], 0, v10
	v_mov_b32_e32 v8, 0
	v_cmp_eq_u16_sdwa s[42:43], v1, v8 src0_sel:BYTE_0 src1_sel:DWORD
	s_waitcnt lgkmcnt(1)
	v_cndmask_b32_e64 v87, v5, v7, s[40:41]
	s_waitcnt lgkmcnt(0)
	v_cndmask_b32_e64 v86, v4, v6, s[40:41]
	v_cmp_eq_u32_e64 s[40:41], 0, v0
	s_nop 1
	v_cndmask_b32_e64 v5, v87, v3, s[40:41]
	v_cndmask_b32_e64 v4, v86, v2, s[40:41]
	v_add_f64 v[4:5], v[42:43], v[4:5]
	v_cndmask_b32_e64 v5, v43, v5, s[42:43]
	v_cndmask_b32_e64 v4, v42, v4, s[42:43]
	v_add_f64 v[6:7], v[44:45], v[4:5]
	v_cndmask_b32_e32 v7, v45, v7, vcc
	v_cndmask_b32_e32 v6, v44, v6, vcc
	v_add_f64 v[10:11], v[46:47], v[6:7]
	v_cndmask_b32_e64 v89, v47, v11, s[2:3]
	v_cndmask_b32_e64 v88, v46, v10, s[2:3]
	v_add_f64 v[10:11], v[50:51], v[88:89]
	v_cndmask_b32_e64 v11, v51, v11, s[4:5]
	v_cndmask_b32_e64 v10, v50, v10, s[4:5]
	;; [unrolled: 3-line block ×18, first 2 shown]
	s_and_saveexec_b64 s[2:3], s[40:41]
	s_cbranch_execz .LBB1411_236
; %bb.235:
	ds_read_b64 v[12:13], v8 offset:48
	ds_read_u8 v1, v8 offset:56
	v_mov_b64_e32 v[86:87], v[2:3]
	s_waitcnt lgkmcnt(1)
	v_add_f64 v[16:17], v[2:3], v[12:13]
	s_waitcnt lgkmcnt(0)
	v_cmp_eq_u32_e32 vcc, 0, v1
	s_nop 1
	v_cndmask_b32_e32 v12, v12, v16, vcc
	v_cndmask_b32_e32 v9, v13, v17, vcc
	global_store_dword v8, v12, s[50:51] offset:1024 sc1
	global_store_dword v8, v9, s[50:51] offset:1028 sc1
	;; [unrolled: 1-line block ×4, first 2 shown]
	v_mov_b32_e32 v1, 2
	s_waitcnt vmcnt(0)
	global_store_byte v8, v1, s[52:53] offset:64 sc1
.LBB1411_236:
	s_or_b64 exec, exec, s[2:3]
.LBB1411_237:
	s_add_u32 s2, s62, s56
	s_addc_u32 s3, s63, s57
	s_add_u32 s2, s2, s58
	s_addc_u32 s3, s3, s59
	s_and_b64 vcc, exec, s[0:1]
	v_lshlrev_b32_e32 v2, 3, v0
	s_cbranch_vccz .LBB1411_279
; %bb.238:
	s_movk_i32 s0, 0xa8
	v_mul_i32_i24_e32 v12, 0xffffff60, v0
	v_mul_u32_u24_e32 v1, 0xa8, v0
	v_mad_u32_u24 v3, v0, s0, v12
	s_barrier
	ds_write2_b64 v1, v[86:87], v[4:5] offset1:1
	ds_write2_b64 v1, v[6:7], v[88:89] offset0:2 offset1:3
	ds_write2_b64 v1, v[10:11], v[90:91] offset0:4 offset1:5
	ds_write2_b64 v1, v[14:15], v[92:93] offset0:6 offset1:7
	ds_write2_b64 v1, v[18:19], v[94:95] offset0:8 offset1:9
	ds_write2_b64 v1, v[22:23], v[96:97] offset0:10 offset1:11
	ds_write2_b64 v1, v[26:27], v[98:99] offset0:12 offset1:13
	ds_write2_b64 v1, v[30:31], v[100:101] offset0:14 offset1:15
	ds_write2_b64 v1, v[34:35], v[102:103] offset0:16 offset1:17
	ds_write2_b64 v1, v[38:39], v[104:105] offset0:18 offset1:19
	ds_write_b64 v1, v[106:107] offset:160
	s_waitcnt lgkmcnt(0)
	s_barrier
	ds_read2st64_b64 v[76:79], v3 offset0:4 offset1:8
	ds_read2st64_b64 v[72:75], v3 offset0:12 offset1:16
	;; [unrolled: 1-line block ×10, first 2 shown]
	s_add_i32 s33, s33, s54
	v_mov_b32_e32 v3, 0
	v_lshl_add_u64 v[8:9], s[2:3], 0, v[2:3]
	v_cmp_gt_u32_e32 vcc, s33, v0
	s_and_saveexec_b64 s[0:1], vcc
	s_cbranch_execz .LBB1411_240
; %bb.239:
	v_add_u32_e32 v1, v1, v12
	ds_read_b64 v[12:13], v1
	s_waitcnt lgkmcnt(0)
	flat_store_dwordx2 v[8:9], v[12:13]
.LBB1411_240:
	s_or_b64 exec, exec, s[0:1]
	v_or_b32_e32 v1, 0x100, v0
	v_cmp_gt_u32_e32 vcc, s33, v1
	s_and_saveexec_b64 s[0:1], vcc
	s_cbranch_execz .LBB1411_242
; %bb.241:
	s_waitcnt lgkmcnt(0)
	flat_store_dwordx2 v[8:9], v[76:77] offset:2048
.LBB1411_242:
	s_or_b64 exec, exec, s[0:1]
	v_or_b32_e32 v1, 0x200, v0
	v_cmp_gt_u32_e32 vcc, s33, v1
	s_and_saveexec_b64 s[0:1], vcc
	s_cbranch_execz .LBB1411_244
; %bb.243:
	v_add_co_u32_e32 v12, vcc, 0x1000, v8
	s_nop 1
	v_addc_co_u32_e32 v13, vcc, 0, v9, vcc
	s_waitcnt lgkmcnt(0)
	flat_store_dwordx2 v[12:13], v[78:79]
.LBB1411_244:
	s_or_b64 exec, exec, s[0:1]
	v_or_b32_e32 v1, 0x300, v0
	v_cmp_gt_u32_e32 vcc, s33, v1
	s_and_saveexec_b64 s[0:1], vcc
	s_cbranch_execz .LBB1411_246
; %bb.245:
	v_add_co_u32_e32 v12, vcc, 0x1000, v8
	s_nop 1
	v_addc_co_u32_e32 v13, vcc, 0, v9, vcc
	s_waitcnt lgkmcnt(0)
	flat_store_dwordx2 v[12:13], v[72:73] offset:2048
.LBB1411_246:
	s_or_b64 exec, exec, s[0:1]
	v_or_b32_e32 v1, 0x400, v0
	v_cmp_gt_u32_e32 vcc, s33, v1
	s_and_saveexec_b64 s[0:1], vcc
	s_cbranch_execz .LBB1411_248
; %bb.247:
	v_add_co_u32_e32 v12, vcc, 0x2000, v8
	s_nop 1
	v_addc_co_u32_e32 v13, vcc, 0, v9, vcc
	s_waitcnt lgkmcnt(0)
	flat_store_dwordx2 v[12:13], v[74:75]
.LBB1411_248:
	s_or_b64 exec, exec, s[0:1]
	v_or_b32_e32 v1, 0x500, v0
	v_cmp_gt_u32_e32 vcc, s33, v1
	s_and_saveexec_b64 s[0:1], vcc
	s_cbranch_execz .LBB1411_250
; %bb.249:
	v_add_co_u32_e32 v12, vcc, 0x2000, v8
	s_nop 1
	v_addc_co_u32_e32 v13, vcc, 0, v9, vcc
	s_waitcnt lgkmcnt(0)
	flat_store_dwordx2 v[12:13], v[68:69] offset:2048
.LBB1411_250:
	;; [unrolled: 24-line block ×9, first 2 shown]
	s_or_b64 exec, exec, s[0:1]
	v_mov_b32_e32 v1, v3
	v_or_b32_e32 v3, 0x1400, v0
	v_cmp_gt_u32_e64 s[0:1], s33, v3
	s_branch .LBB1411_281
.LBB1411_279:
	s_mov_b64 s[0:1], 0
                                        ; implicit-def: $vgpr42_vgpr43
	s_cbranch_execz .LBB1411_281
; %bb.280:
	s_movk_i32 s4, 0xa8
	v_mul_u32_u24_e32 v1, 0xa8, v0
	v_mul_i32_i24_e32 v3, 0xffffff60, v0
	s_waitcnt lgkmcnt(0)
	s_barrier
	ds_write2_b64 v1, v[86:87], v[4:5] offset1:1
	ds_write2_b64 v1, v[6:7], v[88:89] offset0:2 offset1:3
	ds_write2_b64 v1, v[10:11], v[90:91] offset0:4 offset1:5
	;; [unrolled: 1-line block ×9, first 2 shown]
	ds_write_b64 v1, v[106:107] offset:160
	v_mov_b32_e32 v1, 0
	v_mad_u32_u24 v3, v0, s4, v3
	s_waitcnt lgkmcnt(0)
	s_barrier
	ds_read2st64_b64 v[4:7], v3 offset1:4
	ds_read2st64_b64 v[8:11], v3 offset0:8 offset1:12
	ds_read2st64_b64 v[12:15], v3 offset0:16 offset1:20
	;; [unrolled: 1-line block ×9, first 2 shown]
	ds_read_b64 v[42:43], v3 offset:40960
	v_mov_b32_e32 v3, v1
	v_lshl_add_u64 v[2:3], s[2:3], 0, v[2:3]
	s_movk_i32 s4, 0x1000
	s_waitcnt lgkmcnt(0)
	flat_store_dwordx2 v[2:3], v[4:5]
	flat_store_dwordx2 v[2:3], v[6:7] offset:2048
	v_add_co_u32_e32 v4, vcc, s4, v2
	s_movk_i32 s4, 0x2000
	s_nop 0
	v_addc_co_u32_e32 v5, vcc, 0, v3, vcc
	flat_store_dwordx2 v[4:5], v[8:9]
	flat_store_dwordx2 v[4:5], v[10:11] offset:2048
	v_add_co_u32_e32 v4, vcc, s4, v2
	s_movk_i32 s4, 0x3000
	s_nop 0
	v_addc_co_u32_e32 v5, vcc, 0, v3, vcc
	;; [unrolled: 6-line block ×6, first 2 shown]
	flat_store_dwordx2 v[4:5], v[28:29]
	flat_store_dwordx2 v[4:5], v[30:31] offset:2048
	v_add_co_u32_e32 v4, vcc, s4, v2
	s_or_b64 s[0:1], s[0:1], exec
	s_nop 0
	v_addc_co_u32_e32 v5, vcc, 0, v3, vcc
	flat_store_dwordx2 v[4:5], v[32:33]
	flat_store_dwordx2 v[4:5], v[34:35] offset:2048
	v_add_co_u32_e32 v4, vcc, 0x8000, v2
	s_nop 1
	v_addc_co_u32_e32 v5, vcc, 0, v3, vcc
	v_add_co_u32_e32 v2, vcc, 0x9000, v2
	flat_store_dwordx2 v[4:5], v[36:37]
	flat_store_dwordx2 v[4:5], v[38:39] offset:2048
	v_addc_co_u32_e32 v3, vcc, 0, v3, vcc
	flat_store_dwordx2 v[2:3], v[44:45]
	flat_store_dwordx2 v[2:3], v[46:47] offset:2048
.LBB1411_281:
	s_and_saveexec_b64 s[4:5], s[0:1]
	s_cbranch_execz .LBB1411_283
; %bb.282:
	v_lshl_add_u64 v[0:1], v[0:1], 3, s[2:3]
	v_add_co_u32_e32 v0, vcc, 0xa000, v0
	s_nop 1
	v_addc_co_u32_e32 v1, vcc, 0, v1, vcc
	s_waitcnt lgkmcnt(0)
	flat_store_dwordx2 v[0:1], v[42:43]
	s_endpgm
.LBB1411_283:
	s_endpgm
	.section	.rodata,"a",@progbits
	.p2align	6, 0x0
	.amdhsa_kernel _ZN7rocprim17ROCPRIM_400000_NS6detail17trampoline_kernelINS0_14default_configENS1_27scan_by_key_config_selectorIidEEZZNS1_16scan_by_key_implILNS1_25lookback_scan_determinismE0ELb1ES3_N6thrust23THRUST_200600_302600_NS6detail15normal_iteratorINS9_10device_ptrIiEEEENSB_INSC_IdEEEESG_dNS9_4plusIvEENS9_8equal_toIvEEdEE10hipError_tPvRmT2_T3_T4_T5_mT6_T7_P12ihipStream_tbENKUlT_T0_E_clISt17integral_constantIbLb1EES10_IbLb0EEEEDaSW_SX_EUlSW_E_NS1_11comp_targetILNS1_3genE5ELNS1_11target_archE942ELNS1_3gpuE9ELNS1_3repE0EEENS1_30default_config_static_selectorELNS0_4arch9wavefront6targetE1EEEvT1_
		.amdhsa_group_segment_fixed_size 43008
		.amdhsa_private_segment_fixed_size 0
		.amdhsa_kernarg_size 136
		.amdhsa_user_sgpr_count 2
		.amdhsa_user_sgpr_dispatch_ptr 0
		.amdhsa_user_sgpr_queue_ptr 0
		.amdhsa_user_sgpr_kernarg_segment_ptr 1
		.amdhsa_user_sgpr_dispatch_id 0
		.amdhsa_user_sgpr_kernarg_preload_length 0
		.amdhsa_user_sgpr_kernarg_preload_offset 0
		.amdhsa_user_sgpr_private_segment_size 0
		.amdhsa_uses_dynamic_stack 0
		.amdhsa_enable_private_segment 0
		.amdhsa_system_sgpr_workgroup_id_x 1
		.amdhsa_system_sgpr_workgroup_id_y 0
		.amdhsa_system_sgpr_workgroup_id_z 0
		.amdhsa_system_sgpr_workgroup_info 0
		.amdhsa_system_vgpr_workitem_id 0
		.amdhsa_next_free_vgpr 130
		.amdhsa_next_free_sgpr 78
		.amdhsa_accum_offset 132
		.amdhsa_reserve_vcc 1
		.amdhsa_float_round_mode_32 0
		.amdhsa_float_round_mode_16_64 0
		.amdhsa_float_denorm_mode_32 3
		.amdhsa_float_denorm_mode_16_64 3
		.amdhsa_dx10_clamp 1
		.amdhsa_ieee_mode 1
		.amdhsa_fp16_overflow 0
		.amdhsa_tg_split 0
		.amdhsa_exception_fp_ieee_invalid_op 0
		.amdhsa_exception_fp_denorm_src 0
		.amdhsa_exception_fp_ieee_div_zero 0
		.amdhsa_exception_fp_ieee_overflow 0
		.amdhsa_exception_fp_ieee_underflow 0
		.amdhsa_exception_fp_ieee_inexact 0
		.amdhsa_exception_int_div_zero 0
	.end_amdhsa_kernel
	.section	.text._ZN7rocprim17ROCPRIM_400000_NS6detail17trampoline_kernelINS0_14default_configENS1_27scan_by_key_config_selectorIidEEZZNS1_16scan_by_key_implILNS1_25lookback_scan_determinismE0ELb1ES3_N6thrust23THRUST_200600_302600_NS6detail15normal_iteratorINS9_10device_ptrIiEEEENSB_INSC_IdEEEESG_dNS9_4plusIvEENS9_8equal_toIvEEdEE10hipError_tPvRmT2_T3_T4_T5_mT6_T7_P12ihipStream_tbENKUlT_T0_E_clISt17integral_constantIbLb1EES10_IbLb0EEEEDaSW_SX_EUlSW_E_NS1_11comp_targetILNS1_3genE5ELNS1_11target_archE942ELNS1_3gpuE9ELNS1_3repE0EEENS1_30default_config_static_selectorELNS0_4arch9wavefront6targetE1EEEvT1_,"axG",@progbits,_ZN7rocprim17ROCPRIM_400000_NS6detail17trampoline_kernelINS0_14default_configENS1_27scan_by_key_config_selectorIidEEZZNS1_16scan_by_key_implILNS1_25lookback_scan_determinismE0ELb1ES3_N6thrust23THRUST_200600_302600_NS6detail15normal_iteratorINS9_10device_ptrIiEEEENSB_INSC_IdEEEESG_dNS9_4plusIvEENS9_8equal_toIvEEdEE10hipError_tPvRmT2_T3_T4_T5_mT6_T7_P12ihipStream_tbENKUlT_T0_E_clISt17integral_constantIbLb1EES10_IbLb0EEEEDaSW_SX_EUlSW_E_NS1_11comp_targetILNS1_3genE5ELNS1_11target_archE942ELNS1_3gpuE9ELNS1_3repE0EEENS1_30default_config_static_selectorELNS0_4arch9wavefront6targetE1EEEvT1_,comdat
.Lfunc_end1411:
	.size	_ZN7rocprim17ROCPRIM_400000_NS6detail17trampoline_kernelINS0_14default_configENS1_27scan_by_key_config_selectorIidEEZZNS1_16scan_by_key_implILNS1_25lookback_scan_determinismE0ELb1ES3_N6thrust23THRUST_200600_302600_NS6detail15normal_iteratorINS9_10device_ptrIiEEEENSB_INSC_IdEEEESG_dNS9_4plusIvEENS9_8equal_toIvEEdEE10hipError_tPvRmT2_T3_T4_T5_mT6_T7_P12ihipStream_tbENKUlT_T0_E_clISt17integral_constantIbLb1EES10_IbLb0EEEEDaSW_SX_EUlSW_E_NS1_11comp_targetILNS1_3genE5ELNS1_11target_archE942ELNS1_3gpuE9ELNS1_3repE0EEENS1_30default_config_static_selectorELNS0_4arch9wavefront6targetE1EEEvT1_, .Lfunc_end1411-_ZN7rocprim17ROCPRIM_400000_NS6detail17trampoline_kernelINS0_14default_configENS1_27scan_by_key_config_selectorIidEEZZNS1_16scan_by_key_implILNS1_25lookback_scan_determinismE0ELb1ES3_N6thrust23THRUST_200600_302600_NS6detail15normal_iteratorINS9_10device_ptrIiEEEENSB_INSC_IdEEEESG_dNS9_4plusIvEENS9_8equal_toIvEEdEE10hipError_tPvRmT2_T3_T4_T5_mT6_T7_P12ihipStream_tbENKUlT_T0_E_clISt17integral_constantIbLb1EES10_IbLb0EEEEDaSW_SX_EUlSW_E_NS1_11comp_targetILNS1_3genE5ELNS1_11target_archE942ELNS1_3gpuE9ELNS1_3repE0EEENS1_30default_config_static_selectorELNS0_4arch9wavefront6targetE1EEEvT1_
                                        ; -- End function
	.section	.AMDGPU.csdata,"",@progbits
; Kernel info:
; codeLenInByte = 17280
; NumSgprs: 84
; NumVgprs: 130
; NumAgprs: 0
; TotalNumVgprs: 130
; ScratchSize: 0
; MemoryBound: 0
; FloatMode: 240
; IeeeMode: 1
; LDSByteSize: 43008 bytes/workgroup (compile time only)
; SGPRBlocks: 10
; VGPRBlocks: 16
; NumSGPRsForWavesPerEU: 84
; NumVGPRsForWavesPerEU: 130
; AccumOffset: 132
; Occupancy: 1
; WaveLimiterHint : 1
; COMPUTE_PGM_RSRC2:SCRATCH_EN: 0
; COMPUTE_PGM_RSRC2:USER_SGPR: 2
; COMPUTE_PGM_RSRC2:TRAP_HANDLER: 0
; COMPUTE_PGM_RSRC2:TGID_X_EN: 1
; COMPUTE_PGM_RSRC2:TGID_Y_EN: 0
; COMPUTE_PGM_RSRC2:TGID_Z_EN: 0
; COMPUTE_PGM_RSRC2:TIDIG_COMP_CNT: 0
; COMPUTE_PGM_RSRC3_GFX90A:ACCUM_OFFSET: 32
; COMPUTE_PGM_RSRC3_GFX90A:TG_SPLIT: 0
	.section	.text._ZN7rocprim17ROCPRIM_400000_NS6detail17trampoline_kernelINS0_14default_configENS1_27scan_by_key_config_selectorIidEEZZNS1_16scan_by_key_implILNS1_25lookback_scan_determinismE0ELb1ES3_N6thrust23THRUST_200600_302600_NS6detail15normal_iteratorINS9_10device_ptrIiEEEENSB_INSC_IdEEEESG_dNS9_4plusIvEENS9_8equal_toIvEEdEE10hipError_tPvRmT2_T3_T4_T5_mT6_T7_P12ihipStream_tbENKUlT_T0_E_clISt17integral_constantIbLb1EES10_IbLb0EEEEDaSW_SX_EUlSW_E_NS1_11comp_targetILNS1_3genE4ELNS1_11target_archE910ELNS1_3gpuE8ELNS1_3repE0EEENS1_30default_config_static_selectorELNS0_4arch9wavefront6targetE1EEEvT1_,"axG",@progbits,_ZN7rocprim17ROCPRIM_400000_NS6detail17trampoline_kernelINS0_14default_configENS1_27scan_by_key_config_selectorIidEEZZNS1_16scan_by_key_implILNS1_25lookback_scan_determinismE0ELb1ES3_N6thrust23THRUST_200600_302600_NS6detail15normal_iteratorINS9_10device_ptrIiEEEENSB_INSC_IdEEEESG_dNS9_4plusIvEENS9_8equal_toIvEEdEE10hipError_tPvRmT2_T3_T4_T5_mT6_T7_P12ihipStream_tbENKUlT_T0_E_clISt17integral_constantIbLb1EES10_IbLb0EEEEDaSW_SX_EUlSW_E_NS1_11comp_targetILNS1_3genE4ELNS1_11target_archE910ELNS1_3gpuE8ELNS1_3repE0EEENS1_30default_config_static_selectorELNS0_4arch9wavefront6targetE1EEEvT1_,comdat
	.protected	_ZN7rocprim17ROCPRIM_400000_NS6detail17trampoline_kernelINS0_14default_configENS1_27scan_by_key_config_selectorIidEEZZNS1_16scan_by_key_implILNS1_25lookback_scan_determinismE0ELb1ES3_N6thrust23THRUST_200600_302600_NS6detail15normal_iteratorINS9_10device_ptrIiEEEENSB_INSC_IdEEEESG_dNS9_4plusIvEENS9_8equal_toIvEEdEE10hipError_tPvRmT2_T3_T4_T5_mT6_T7_P12ihipStream_tbENKUlT_T0_E_clISt17integral_constantIbLb1EES10_IbLb0EEEEDaSW_SX_EUlSW_E_NS1_11comp_targetILNS1_3genE4ELNS1_11target_archE910ELNS1_3gpuE8ELNS1_3repE0EEENS1_30default_config_static_selectorELNS0_4arch9wavefront6targetE1EEEvT1_ ; -- Begin function _ZN7rocprim17ROCPRIM_400000_NS6detail17trampoline_kernelINS0_14default_configENS1_27scan_by_key_config_selectorIidEEZZNS1_16scan_by_key_implILNS1_25lookback_scan_determinismE0ELb1ES3_N6thrust23THRUST_200600_302600_NS6detail15normal_iteratorINS9_10device_ptrIiEEEENSB_INSC_IdEEEESG_dNS9_4plusIvEENS9_8equal_toIvEEdEE10hipError_tPvRmT2_T3_T4_T5_mT6_T7_P12ihipStream_tbENKUlT_T0_E_clISt17integral_constantIbLb1EES10_IbLb0EEEEDaSW_SX_EUlSW_E_NS1_11comp_targetILNS1_3genE4ELNS1_11target_archE910ELNS1_3gpuE8ELNS1_3repE0EEENS1_30default_config_static_selectorELNS0_4arch9wavefront6targetE1EEEvT1_
	.globl	_ZN7rocprim17ROCPRIM_400000_NS6detail17trampoline_kernelINS0_14default_configENS1_27scan_by_key_config_selectorIidEEZZNS1_16scan_by_key_implILNS1_25lookback_scan_determinismE0ELb1ES3_N6thrust23THRUST_200600_302600_NS6detail15normal_iteratorINS9_10device_ptrIiEEEENSB_INSC_IdEEEESG_dNS9_4plusIvEENS9_8equal_toIvEEdEE10hipError_tPvRmT2_T3_T4_T5_mT6_T7_P12ihipStream_tbENKUlT_T0_E_clISt17integral_constantIbLb1EES10_IbLb0EEEEDaSW_SX_EUlSW_E_NS1_11comp_targetILNS1_3genE4ELNS1_11target_archE910ELNS1_3gpuE8ELNS1_3repE0EEENS1_30default_config_static_selectorELNS0_4arch9wavefront6targetE1EEEvT1_
	.p2align	8
	.type	_ZN7rocprim17ROCPRIM_400000_NS6detail17trampoline_kernelINS0_14default_configENS1_27scan_by_key_config_selectorIidEEZZNS1_16scan_by_key_implILNS1_25lookback_scan_determinismE0ELb1ES3_N6thrust23THRUST_200600_302600_NS6detail15normal_iteratorINS9_10device_ptrIiEEEENSB_INSC_IdEEEESG_dNS9_4plusIvEENS9_8equal_toIvEEdEE10hipError_tPvRmT2_T3_T4_T5_mT6_T7_P12ihipStream_tbENKUlT_T0_E_clISt17integral_constantIbLb1EES10_IbLb0EEEEDaSW_SX_EUlSW_E_NS1_11comp_targetILNS1_3genE4ELNS1_11target_archE910ELNS1_3gpuE8ELNS1_3repE0EEENS1_30default_config_static_selectorELNS0_4arch9wavefront6targetE1EEEvT1_,@function
_ZN7rocprim17ROCPRIM_400000_NS6detail17trampoline_kernelINS0_14default_configENS1_27scan_by_key_config_selectorIidEEZZNS1_16scan_by_key_implILNS1_25lookback_scan_determinismE0ELb1ES3_N6thrust23THRUST_200600_302600_NS6detail15normal_iteratorINS9_10device_ptrIiEEEENSB_INSC_IdEEEESG_dNS9_4plusIvEENS9_8equal_toIvEEdEE10hipError_tPvRmT2_T3_T4_T5_mT6_T7_P12ihipStream_tbENKUlT_T0_E_clISt17integral_constantIbLb1EES10_IbLb0EEEEDaSW_SX_EUlSW_E_NS1_11comp_targetILNS1_3genE4ELNS1_11target_archE910ELNS1_3gpuE8ELNS1_3repE0EEENS1_30default_config_static_selectorELNS0_4arch9wavefront6targetE1EEEvT1_: ; @_ZN7rocprim17ROCPRIM_400000_NS6detail17trampoline_kernelINS0_14default_configENS1_27scan_by_key_config_selectorIidEEZZNS1_16scan_by_key_implILNS1_25lookback_scan_determinismE0ELb1ES3_N6thrust23THRUST_200600_302600_NS6detail15normal_iteratorINS9_10device_ptrIiEEEENSB_INSC_IdEEEESG_dNS9_4plusIvEENS9_8equal_toIvEEdEE10hipError_tPvRmT2_T3_T4_T5_mT6_T7_P12ihipStream_tbENKUlT_T0_E_clISt17integral_constantIbLb1EES10_IbLb0EEEEDaSW_SX_EUlSW_E_NS1_11comp_targetILNS1_3genE4ELNS1_11target_archE910ELNS1_3gpuE8ELNS1_3repE0EEENS1_30default_config_static_selectorELNS0_4arch9wavefront6targetE1EEEvT1_
; %bb.0:
	.section	.rodata,"a",@progbits
	.p2align	6, 0x0
	.amdhsa_kernel _ZN7rocprim17ROCPRIM_400000_NS6detail17trampoline_kernelINS0_14default_configENS1_27scan_by_key_config_selectorIidEEZZNS1_16scan_by_key_implILNS1_25lookback_scan_determinismE0ELb1ES3_N6thrust23THRUST_200600_302600_NS6detail15normal_iteratorINS9_10device_ptrIiEEEENSB_INSC_IdEEEESG_dNS9_4plusIvEENS9_8equal_toIvEEdEE10hipError_tPvRmT2_T3_T4_T5_mT6_T7_P12ihipStream_tbENKUlT_T0_E_clISt17integral_constantIbLb1EES10_IbLb0EEEEDaSW_SX_EUlSW_E_NS1_11comp_targetILNS1_3genE4ELNS1_11target_archE910ELNS1_3gpuE8ELNS1_3repE0EEENS1_30default_config_static_selectorELNS0_4arch9wavefront6targetE1EEEvT1_
		.amdhsa_group_segment_fixed_size 0
		.amdhsa_private_segment_fixed_size 0
		.amdhsa_kernarg_size 136
		.amdhsa_user_sgpr_count 2
		.amdhsa_user_sgpr_dispatch_ptr 0
		.amdhsa_user_sgpr_queue_ptr 0
		.amdhsa_user_sgpr_kernarg_segment_ptr 1
		.amdhsa_user_sgpr_dispatch_id 0
		.amdhsa_user_sgpr_kernarg_preload_length 0
		.amdhsa_user_sgpr_kernarg_preload_offset 0
		.amdhsa_user_sgpr_private_segment_size 0
		.amdhsa_uses_dynamic_stack 0
		.amdhsa_enable_private_segment 0
		.amdhsa_system_sgpr_workgroup_id_x 1
		.amdhsa_system_sgpr_workgroup_id_y 0
		.amdhsa_system_sgpr_workgroup_id_z 0
		.amdhsa_system_sgpr_workgroup_info 0
		.amdhsa_system_vgpr_workitem_id 0
		.amdhsa_next_free_vgpr 1
		.amdhsa_next_free_sgpr 0
		.amdhsa_accum_offset 4
		.amdhsa_reserve_vcc 0
		.amdhsa_float_round_mode_32 0
		.amdhsa_float_round_mode_16_64 0
		.amdhsa_float_denorm_mode_32 3
		.amdhsa_float_denorm_mode_16_64 3
		.amdhsa_dx10_clamp 1
		.amdhsa_ieee_mode 1
		.amdhsa_fp16_overflow 0
		.amdhsa_tg_split 0
		.amdhsa_exception_fp_ieee_invalid_op 0
		.amdhsa_exception_fp_denorm_src 0
		.amdhsa_exception_fp_ieee_div_zero 0
		.amdhsa_exception_fp_ieee_overflow 0
		.amdhsa_exception_fp_ieee_underflow 0
		.amdhsa_exception_fp_ieee_inexact 0
		.amdhsa_exception_int_div_zero 0
	.end_amdhsa_kernel
	.section	.text._ZN7rocprim17ROCPRIM_400000_NS6detail17trampoline_kernelINS0_14default_configENS1_27scan_by_key_config_selectorIidEEZZNS1_16scan_by_key_implILNS1_25lookback_scan_determinismE0ELb1ES3_N6thrust23THRUST_200600_302600_NS6detail15normal_iteratorINS9_10device_ptrIiEEEENSB_INSC_IdEEEESG_dNS9_4plusIvEENS9_8equal_toIvEEdEE10hipError_tPvRmT2_T3_T4_T5_mT6_T7_P12ihipStream_tbENKUlT_T0_E_clISt17integral_constantIbLb1EES10_IbLb0EEEEDaSW_SX_EUlSW_E_NS1_11comp_targetILNS1_3genE4ELNS1_11target_archE910ELNS1_3gpuE8ELNS1_3repE0EEENS1_30default_config_static_selectorELNS0_4arch9wavefront6targetE1EEEvT1_,"axG",@progbits,_ZN7rocprim17ROCPRIM_400000_NS6detail17trampoline_kernelINS0_14default_configENS1_27scan_by_key_config_selectorIidEEZZNS1_16scan_by_key_implILNS1_25lookback_scan_determinismE0ELb1ES3_N6thrust23THRUST_200600_302600_NS6detail15normal_iteratorINS9_10device_ptrIiEEEENSB_INSC_IdEEEESG_dNS9_4plusIvEENS9_8equal_toIvEEdEE10hipError_tPvRmT2_T3_T4_T5_mT6_T7_P12ihipStream_tbENKUlT_T0_E_clISt17integral_constantIbLb1EES10_IbLb0EEEEDaSW_SX_EUlSW_E_NS1_11comp_targetILNS1_3genE4ELNS1_11target_archE910ELNS1_3gpuE8ELNS1_3repE0EEENS1_30default_config_static_selectorELNS0_4arch9wavefront6targetE1EEEvT1_,comdat
.Lfunc_end1412:
	.size	_ZN7rocprim17ROCPRIM_400000_NS6detail17trampoline_kernelINS0_14default_configENS1_27scan_by_key_config_selectorIidEEZZNS1_16scan_by_key_implILNS1_25lookback_scan_determinismE0ELb1ES3_N6thrust23THRUST_200600_302600_NS6detail15normal_iteratorINS9_10device_ptrIiEEEENSB_INSC_IdEEEESG_dNS9_4plusIvEENS9_8equal_toIvEEdEE10hipError_tPvRmT2_T3_T4_T5_mT6_T7_P12ihipStream_tbENKUlT_T0_E_clISt17integral_constantIbLb1EES10_IbLb0EEEEDaSW_SX_EUlSW_E_NS1_11comp_targetILNS1_3genE4ELNS1_11target_archE910ELNS1_3gpuE8ELNS1_3repE0EEENS1_30default_config_static_selectorELNS0_4arch9wavefront6targetE1EEEvT1_, .Lfunc_end1412-_ZN7rocprim17ROCPRIM_400000_NS6detail17trampoline_kernelINS0_14default_configENS1_27scan_by_key_config_selectorIidEEZZNS1_16scan_by_key_implILNS1_25lookback_scan_determinismE0ELb1ES3_N6thrust23THRUST_200600_302600_NS6detail15normal_iteratorINS9_10device_ptrIiEEEENSB_INSC_IdEEEESG_dNS9_4plusIvEENS9_8equal_toIvEEdEE10hipError_tPvRmT2_T3_T4_T5_mT6_T7_P12ihipStream_tbENKUlT_T0_E_clISt17integral_constantIbLb1EES10_IbLb0EEEEDaSW_SX_EUlSW_E_NS1_11comp_targetILNS1_3genE4ELNS1_11target_archE910ELNS1_3gpuE8ELNS1_3repE0EEENS1_30default_config_static_selectorELNS0_4arch9wavefront6targetE1EEEvT1_
                                        ; -- End function
	.section	.AMDGPU.csdata,"",@progbits
; Kernel info:
; codeLenInByte = 0
; NumSgprs: 6
; NumVgprs: 0
; NumAgprs: 0
; TotalNumVgprs: 0
; ScratchSize: 0
; MemoryBound: 0
; FloatMode: 240
; IeeeMode: 1
; LDSByteSize: 0 bytes/workgroup (compile time only)
; SGPRBlocks: 0
; VGPRBlocks: 0
; NumSGPRsForWavesPerEU: 6
; NumVGPRsForWavesPerEU: 1
; AccumOffset: 4
; Occupancy: 8
; WaveLimiterHint : 0
; COMPUTE_PGM_RSRC2:SCRATCH_EN: 0
; COMPUTE_PGM_RSRC2:USER_SGPR: 2
; COMPUTE_PGM_RSRC2:TRAP_HANDLER: 0
; COMPUTE_PGM_RSRC2:TGID_X_EN: 1
; COMPUTE_PGM_RSRC2:TGID_Y_EN: 0
; COMPUTE_PGM_RSRC2:TGID_Z_EN: 0
; COMPUTE_PGM_RSRC2:TIDIG_COMP_CNT: 0
; COMPUTE_PGM_RSRC3_GFX90A:ACCUM_OFFSET: 0
; COMPUTE_PGM_RSRC3_GFX90A:TG_SPLIT: 0
	.section	.text._ZN7rocprim17ROCPRIM_400000_NS6detail17trampoline_kernelINS0_14default_configENS1_27scan_by_key_config_selectorIidEEZZNS1_16scan_by_key_implILNS1_25lookback_scan_determinismE0ELb1ES3_N6thrust23THRUST_200600_302600_NS6detail15normal_iteratorINS9_10device_ptrIiEEEENSB_INSC_IdEEEESG_dNS9_4plusIvEENS9_8equal_toIvEEdEE10hipError_tPvRmT2_T3_T4_T5_mT6_T7_P12ihipStream_tbENKUlT_T0_E_clISt17integral_constantIbLb1EES10_IbLb0EEEEDaSW_SX_EUlSW_E_NS1_11comp_targetILNS1_3genE3ELNS1_11target_archE908ELNS1_3gpuE7ELNS1_3repE0EEENS1_30default_config_static_selectorELNS0_4arch9wavefront6targetE1EEEvT1_,"axG",@progbits,_ZN7rocprim17ROCPRIM_400000_NS6detail17trampoline_kernelINS0_14default_configENS1_27scan_by_key_config_selectorIidEEZZNS1_16scan_by_key_implILNS1_25lookback_scan_determinismE0ELb1ES3_N6thrust23THRUST_200600_302600_NS6detail15normal_iteratorINS9_10device_ptrIiEEEENSB_INSC_IdEEEESG_dNS9_4plusIvEENS9_8equal_toIvEEdEE10hipError_tPvRmT2_T3_T4_T5_mT6_T7_P12ihipStream_tbENKUlT_T0_E_clISt17integral_constantIbLb1EES10_IbLb0EEEEDaSW_SX_EUlSW_E_NS1_11comp_targetILNS1_3genE3ELNS1_11target_archE908ELNS1_3gpuE7ELNS1_3repE0EEENS1_30default_config_static_selectorELNS0_4arch9wavefront6targetE1EEEvT1_,comdat
	.protected	_ZN7rocprim17ROCPRIM_400000_NS6detail17trampoline_kernelINS0_14default_configENS1_27scan_by_key_config_selectorIidEEZZNS1_16scan_by_key_implILNS1_25lookback_scan_determinismE0ELb1ES3_N6thrust23THRUST_200600_302600_NS6detail15normal_iteratorINS9_10device_ptrIiEEEENSB_INSC_IdEEEESG_dNS9_4plusIvEENS9_8equal_toIvEEdEE10hipError_tPvRmT2_T3_T4_T5_mT6_T7_P12ihipStream_tbENKUlT_T0_E_clISt17integral_constantIbLb1EES10_IbLb0EEEEDaSW_SX_EUlSW_E_NS1_11comp_targetILNS1_3genE3ELNS1_11target_archE908ELNS1_3gpuE7ELNS1_3repE0EEENS1_30default_config_static_selectorELNS0_4arch9wavefront6targetE1EEEvT1_ ; -- Begin function _ZN7rocprim17ROCPRIM_400000_NS6detail17trampoline_kernelINS0_14default_configENS1_27scan_by_key_config_selectorIidEEZZNS1_16scan_by_key_implILNS1_25lookback_scan_determinismE0ELb1ES3_N6thrust23THRUST_200600_302600_NS6detail15normal_iteratorINS9_10device_ptrIiEEEENSB_INSC_IdEEEESG_dNS9_4plusIvEENS9_8equal_toIvEEdEE10hipError_tPvRmT2_T3_T4_T5_mT6_T7_P12ihipStream_tbENKUlT_T0_E_clISt17integral_constantIbLb1EES10_IbLb0EEEEDaSW_SX_EUlSW_E_NS1_11comp_targetILNS1_3genE3ELNS1_11target_archE908ELNS1_3gpuE7ELNS1_3repE0EEENS1_30default_config_static_selectorELNS0_4arch9wavefront6targetE1EEEvT1_
	.globl	_ZN7rocprim17ROCPRIM_400000_NS6detail17trampoline_kernelINS0_14default_configENS1_27scan_by_key_config_selectorIidEEZZNS1_16scan_by_key_implILNS1_25lookback_scan_determinismE0ELb1ES3_N6thrust23THRUST_200600_302600_NS6detail15normal_iteratorINS9_10device_ptrIiEEEENSB_INSC_IdEEEESG_dNS9_4plusIvEENS9_8equal_toIvEEdEE10hipError_tPvRmT2_T3_T4_T5_mT6_T7_P12ihipStream_tbENKUlT_T0_E_clISt17integral_constantIbLb1EES10_IbLb0EEEEDaSW_SX_EUlSW_E_NS1_11comp_targetILNS1_3genE3ELNS1_11target_archE908ELNS1_3gpuE7ELNS1_3repE0EEENS1_30default_config_static_selectorELNS0_4arch9wavefront6targetE1EEEvT1_
	.p2align	8
	.type	_ZN7rocprim17ROCPRIM_400000_NS6detail17trampoline_kernelINS0_14default_configENS1_27scan_by_key_config_selectorIidEEZZNS1_16scan_by_key_implILNS1_25lookback_scan_determinismE0ELb1ES3_N6thrust23THRUST_200600_302600_NS6detail15normal_iteratorINS9_10device_ptrIiEEEENSB_INSC_IdEEEESG_dNS9_4plusIvEENS9_8equal_toIvEEdEE10hipError_tPvRmT2_T3_T4_T5_mT6_T7_P12ihipStream_tbENKUlT_T0_E_clISt17integral_constantIbLb1EES10_IbLb0EEEEDaSW_SX_EUlSW_E_NS1_11comp_targetILNS1_3genE3ELNS1_11target_archE908ELNS1_3gpuE7ELNS1_3repE0EEENS1_30default_config_static_selectorELNS0_4arch9wavefront6targetE1EEEvT1_,@function
_ZN7rocprim17ROCPRIM_400000_NS6detail17trampoline_kernelINS0_14default_configENS1_27scan_by_key_config_selectorIidEEZZNS1_16scan_by_key_implILNS1_25lookback_scan_determinismE0ELb1ES3_N6thrust23THRUST_200600_302600_NS6detail15normal_iteratorINS9_10device_ptrIiEEEENSB_INSC_IdEEEESG_dNS9_4plusIvEENS9_8equal_toIvEEdEE10hipError_tPvRmT2_T3_T4_T5_mT6_T7_P12ihipStream_tbENKUlT_T0_E_clISt17integral_constantIbLb1EES10_IbLb0EEEEDaSW_SX_EUlSW_E_NS1_11comp_targetILNS1_3genE3ELNS1_11target_archE908ELNS1_3gpuE7ELNS1_3repE0EEENS1_30default_config_static_selectorELNS0_4arch9wavefront6targetE1EEEvT1_: ; @_ZN7rocprim17ROCPRIM_400000_NS6detail17trampoline_kernelINS0_14default_configENS1_27scan_by_key_config_selectorIidEEZZNS1_16scan_by_key_implILNS1_25lookback_scan_determinismE0ELb1ES3_N6thrust23THRUST_200600_302600_NS6detail15normal_iteratorINS9_10device_ptrIiEEEENSB_INSC_IdEEEESG_dNS9_4plusIvEENS9_8equal_toIvEEdEE10hipError_tPvRmT2_T3_T4_T5_mT6_T7_P12ihipStream_tbENKUlT_T0_E_clISt17integral_constantIbLb1EES10_IbLb0EEEEDaSW_SX_EUlSW_E_NS1_11comp_targetILNS1_3genE3ELNS1_11target_archE908ELNS1_3gpuE7ELNS1_3repE0EEENS1_30default_config_static_selectorELNS0_4arch9wavefront6targetE1EEEvT1_
; %bb.0:
	.section	.rodata,"a",@progbits
	.p2align	6, 0x0
	.amdhsa_kernel _ZN7rocprim17ROCPRIM_400000_NS6detail17trampoline_kernelINS0_14default_configENS1_27scan_by_key_config_selectorIidEEZZNS1_16scan_by_key_implILNS1_25lookback_scan_determinismE0ELb1ES3_N6thrust23THRUST_200600_302600_NS6detail15normal_iteratorINS9_10device_ptrIiEEEENSB_INSC_IdEEEESG_dNS9_4plusIvEENS9_8equal_toIvEEdEE10hipError_tPvRmT2_T3_T4_T5_mT6_T7_P12ihipStream_tbENKUlT_T0_E_clISt17integral_constantIbLb1EES10_IbLb0EEEEDaSW_SX_EUlSW_E_NS1_11comp_targetILNS1_3genE3ELNS1_11target_archE908ELNS1_3gpuE7ELNS1_3repE0EEENS1_30default_config_static_selectorELNS0_4arch9wavefront6targetE1EEEvT1_
		.amdhsa_group_segment_fixed_size 0
		.amdhsa_private_segment_fixed_size 0
		.amdhsa_kernarg_size 136
		.amdhsa_user_sgpr_count 2
		.amdhsa_user_sgpr_dispatch_ptr 0
		.amdhsa_user_sgpr_queue_ptr 0
		.amdhsa_user_sgpr_kernarg_segment_ptr 1
		.amdhsa_user_sgpr_dispatch_id 0
		.amdhsa_user_sgpr_kernarg_preload_length 0
		.amdhsa_user_sgpr_kernarg_preload_offset 0
		.amdhsa_user_sgpr_private_segment_size 0
		.amdhsa_uses_dynamic_stack 0
		.amdhsa_enable_private_segment 0
		.amdhsa_system_sgpr_workgroup_id_x 1
		.amdhsa_system_sgpr_workgroup_id_y 0
		.amdhsa_system_sgpr_workgroup_id_z 0
		.amdhsa_system_sgpr_workgroup_info 0
		.amdhsa_system_vgpr_workitem_id 0
		.amdhsa_next_free_vgpr 1
		.amdhsa_next_free_sgpr 0
		.amdhsa_accum_offset 4
		.amdhsa_reserve_vcc 0
		.amdhsa_float_round_mode_32 0
		.amdhsa_float_round_mode_16_64 0
		.amdhsa_float_denorm_mode_32 3
		.amdhsa_float_denorm_mode_16_64 3
		.amdhsa_dx10_clamp 1
		.amdhsa_ieee_mode 1
		.amdhsa_fp16_overflow 0
		.amdhsa_tg_split 0
		.amdhsa_exception_fp_ieee_invalid_op 0
		.amdhsa_exception_fp_denorm_src 0
		.amdhsa_exception_fp_ieee_div_zero 0
		.amdhsa_exception_fp_ieee_overflow 0
		.amdhsa_exception_fp_ieee_underflow 0
		.amdhsa_exception_fp_ieee_inexact 0
		.amdhsa_exception_int_div_zero 0
	.end_amdhsa_kernel
	.section	.text._ZN7rocprim17ROCPRIM_400000_NS6detail17trampoline_kernelINS0_14default_configENS1_27scan_by_key_config_selectorIidEEZZNS1_16scan_by_key_implILNS1_25lookback_scan_determinismE0ELb1ES3_N6thrust23THRUST_200600_302600_NS6detail15normal_iteratorINS9_10device_ptrIiEEEENSB_INSC_IdEEEESG_dNS9_4plusIvEENS9_8equal_toIvEEdEE10hipError_tPvRmT2_T3_T4_T5_mT6_T7_P12ihipStream_tbENKUlT_T0_E_clISt17integral_constantIbLb1EES10_IbLb0EEEEDaSW_SX_EUlSW_E_NS1_11comp_targetILNS1_3genE3ELNS1_11target_archE908ELNS1_3gpuE7ELNS1_3repE0EEENS1_30default_config_static_selectorELNS0_4arch9wavefront6targetE1EEEvT1_,"axG",@progbits,_ZN7rocprim17ROCPRIM_400000_NS6detail17trampoline_kernelINS0_14default_configENS1_27scan_by_key_config_selectorIidEEZZNS1_16scan_by_key_implILNS1_25lookback_scan_determinismE0ELb1ES3_N6thrust23THRUST_200600_302600_NS6detail15normal_iteratorINS9_10device_ptrIiEEEENSB_INSC_IdEEEESG_dNS9_4plusIvEENS9_8equal_toIvEEdEE10hipError_tPvRmT2_T3_T4_T5_mT6_T7_P12ihipStream_tbENKUlT_T0_E_clISt17integral_constantIbLb1EES10_IbLb0EEEEDaSW_SX_EUlSW_E_NS1_11comp_targetILNS1_3genE3ELNS1_11target_archE908ELNS1_3gpuE7ELNS1_3repE0EEENS1_30default_config_static_selectorELNS0_4arch9wavefront6targetE1EEEvT1_,comdat
.Lfunc_end1413:
	.size	_ZN7rocprim17ROCPRIM_400000_NS6detail17trampoline_kernelINS0_14default_configENS1_27scan_by_key_config_selectorIidEEZZNS1_16scan_by_key_implILNS1_25lookback_scan_determinismE0ELb1ES3_N6thrust23THRUST_200600_302600_NS6detail15normal_iteratorINS9_10device_ptrIiEEEENSB_INSC_IdEEEESG_dNS9_4plusIvEENS9_8equal_toIvEEdEE10hipError_tPvRmT2_T3_T4_T5_mT6_T7_P12ihipStream_tbENKUlT_T0_E_clISt17integral_constantIbLb1EES10_IbLb0EEEEDaSW_SX_EUlSW_E_NS1_11comp_targetILNS1_3genE3ELNS1_11target_archE908ELNS1_3gpuE7ELNS1_3repE0EEENS1_30default_config_static_selectorELNS0_4arch9wavefront6targetE1EEEvT1_, .Lfunc_end1413-_ZN7rocprim17ROCPRIM_400000_NS6detail17trampoline_kernelINS0_14default_configENS1_27scan_by_key_config_selectorIidEEZZNS1_16scan_by_key_implILNS1_25lookback_scan_determinismE0ELb1ES3_N6thrust23THRUST_200600_302600_NS6detail15normal_iteratorINS9_10device_ptrIiEEEENSB_INSC_IdEEEESG_dNS9_4plusIvEENS9_8equal_toIvEEdEE10hipError_tPvRmT2_T3_T4_T5_mT6_T7_P12ihipStream_tbENKUlT_T0_E_clISt17integral_constantIbLb1EES10_IbLb0EEEEDaSW_SX_EUlSW_E_NS1_11comp_targetILNS1_3genE3ELNS1_11target_archE908ELNS1_3gpuE7ELNS1_3repE0EEENS1_30default_config_static_selectorELNS0_4arch9wavefront6targetE1EEEvT1_
                                        ; -- End function
	.section	.AMDGPU.csdata,"",@progbits
; Kernel info:
; codeLenInByte = 0
; NumSgprs: 6
; NumVgprs: 0
; NumAgprs: 0
; TotalNumVgprs: 0
; ScratchSize: 0
; MemoryBound: 0
; FloatMode: 240
; IeeeMode: 1
; LDSByteSize: 0 bytes/workgroup (compile time only)
; SGPRBlocks: 0
; VGPRBlocks: 0
; NumSGPRsForWavesPerEU: 6
; NumVGPRsForWavesPerEU: 1
; AccumOffset: 4
; Occupancy: 8
; WaveLimiterHint : 0
; COMPUTE_PGM_RSRC2:SCRATCH_EN: 0
; COMPUTE_PGM_RSRC2:USER_SGPR: 2
; COMPUTE_PGM_RSRC2:TRAP_HANDLER: 0
; COMPUTE_PGM_RSRC2:TGID_X_EN: 1
; COMPUTE_PGM_RSRC2:TGID_Y_EN: 0
; COMPUTE_PGM_RSRC2:TGID_Z_EN: 0
; COMPUTE_PGM_RSRC2:TIDIG_COMP_CNT: 0
; COMPUTE_PGM_RSRC3_GFX90A:ACCUM_OFFSET: 0
; COMPUTE_PGM_RSRC3_GFX90A:TG_SPLIT: 0
	.section	.text._ZN7rocprim17ROCPRIM_400000_NS6detail17trampoline_kernelINS0_14default_configENS1_27scan_by_key_config_selectorIidEEZZNS1_16scan_by_key_implILNS1_25lookback_scan_determinismE0ELb1ES3_N6thrust23THRUST_200600_302600_NS6detail15normal_iteratorINS9_10device_ptrIiEEEENSB_INSC_IdEEEESG_dNS9_4plusIvEENS9_8equal_toIvEEdEE10hipError_tPvRmT2_T3_T4_T5_mT6_T7_P12ihipStream_tbENKUlT_T0_E_clISt17integral_constantIbLb1EES10_IbLb0EEEEDaSW_SX_EUlSW_E_NS1_11comp_targetILNS1_3genE2ELNS1_11target_archE906ELNS1_3gpuE6ELNS1_3repE0EEENS1_30default_config_static_selectorELNS0_4arch9wavefront6targetE1EEEvT1_,"axG",@progbits,_ZN7rocprim17ROCPRIM_400000_NS6detail17trampoline_kernelINS0_14default_configENS1_27scan_by_key_config_selectorIidEEZZNS1_16scan_by_key_implILNS1_25lookback_scan_determinismE0ELb1ES3_N6thrust23THRUST_200600_302600_NS6detail15normal_iteratorINS9_10device_ptrIiEEEENSB_INSC_IdEEEESG_dNS9_4plusIvEENS9_8equal_toIvEEdEE10hipError_tPvRmT2_T3_T4_T5_mT6_T7_P12ihipStream_tbENKUlT_T0_E_clISt17integral_constantIbLb1EES10_IbLb0EEEEDaSW_SX_EUlSW_E_NS1_11comp_targetILNS1_3genE2ELNS1_11target_archE906ELNS1_3gpuE6ELNS1_3repE0EEENS1_30default_config_static_selectorELNS0_4arch9wavefront6targetE1EEEvT1_,comdat
	.protected	_ZN7rocprim17ROCPRIM_400000_NS6detail17trampoline_kernelINS0_14default_configENS1_27scan_by_key_config_selectorIidEEZZNS1_16scan_by_key_implILNS1_25lookback_scan_determinismE0ELb1ES3_N6thrust23THRUST_200600_302600_NS6detail15normal_iteratorINS9_10device_ptrIiEEEENSB_INSC_IdEEEESG_dNS9_4plusIvEENS9_8equal_toIvEEdEE10hipError_tPvRmT2_T3_T4_T5_mT6_T7_P12ihipStream_tbENKUlT_T0_E_clISt17integral_constantIbLb1EES10_IbLb0EEEEDaSW_SX_EUlSW_E_NS1_11comp_targetILNS1_3genE2ELNS1_11target_archE906ELNS1_3gpuE6ELNS1_3repE0EEENS1_30default_config_static_selectorELNS0_4arch9wavefront6targetE1EEEvT1_ ; -- Begin function _ZN7rocprim17ROCPRIM_400000_NS6detail17trampoline_kernelINS0_14default_configENS1_27scan_by_key_config_selectorIidEEZZNS1_16scan_by_key_implILNS1_25lookback_scan_determinismE0ELb1ES3_N6thrust23THRUST_200600_302600_NS6detail15normal_iteratorINS9_10device_ptrIiEEEENSB_INSC_IdEEEESG_dNS9_4plusIvEENS9_8equal_toIvEEdEE10hipError_tPvRmT2_T3_T4_T5_mT6_T7_P12ihipStream_tbENKUlT_T0_E_clISt17integral_constantIbLb1EES10_IbLb0EEEEDaSW_SX_EUlSW_E_NS1_11comp_targetILNS1_3genE2ELNS1_11target_archE906ELNS1_3gpuE6ELNS1_3repE0EEENS1_30default_config_static_selectorELNS0_4arch9wavefront6targetE1EEEvT1_
	.globl	_ZN7rocprim17ROCPRIM_400000_NS6detail17trampoline_kernelINS0_14default_configENS1_27scan_by_key_config_selectorIidEEZZNS1_16scan_by_key_implILNS1_25lookback_scan_determinismE0ELb1ES3_N6thrust23THRUST_200600_302600_NS6detail15normal_iteratorINS9_10device_ptrIiEEEENSB_INSC_IdEEEESG_dNS9_4plusIvEENS9_8equal_toIvEEdEE10hipError_tPvRmT2_T3_T4_T5_mT6_T7_P12ihipStream_tbENKUlT_T0_E_clISt17integral_constantIbLb1EES10_IbLb0EEEEDaSW_SX_EUlSW_E_NS1_11comp_targetILNS1_3genE2ELNS1_11target_archE906ELNS1_3gpuE6ELNS1_3repE0EEENS1_30default_config_static_selectorELNS0_4arch9wavefront6targetE1EEEvT1_
	.p2align	8
	.type	_ZN7rocprim17ROCPRIM_400000_NS6detail17trampoline_kernelINS0_14default_configENS1_27scan_by_key_config_selectorIidEEZZNS1_16scan_by_key_implILNS1_25lookback_scan_determinismE0ELb1ES3_N6thrust23THRUST_200600_302600_NS6detail15normal_iteratorINS9_10device_ptrIiEEEENSB_INSC_IdEEEESG_dNS9_4plusIvEENS9_8equal_toIvEEdEE10hipError_tPvRmT2_T3_T4_T5_mT6_T7_P12ihipStream_tbENKUlT_T0_E_clISt17integral_constantIbLb1EES10_IbLb0EEEEDaSW_SX_EUlSW_E_NS1_11comp_targetILNS1_3genE2ELNS1_11target_archE906ELNS1_3gpuE6ELNS1_3repE0EEENS1_30default_config_static_selectorELNS0_4arch9wavefront6targetE1EEEvT1_,@function
_ZN7rocprim17ROCPRIM_400000_NS6detail17trampoline_kernelINS0_14default_configENS1_27scan_by_key_config_selectorIidEEZZNS1_16scan_by_key_implILNS1_25lookback_scan_determinismE0ELb1ES3_N6thrust23THRUST_200600_302600_NS6detail15normal_iteratorINS9_10device_ptrIiEEEENSB_INSC_IdEEEESG_dNS9_4plusIvEENS9_8equal_toIvEEdEE10hipError_tPvRmT2_T3_T4_T5_mT6_T7_P12ihipStream_tbENKUlT_T0_E_clISt17integral_constantIbLb1EES10_IbLb0EEEEDaSW_SX_EUlSW_E_NS1_11comp_targetILNS1_3genE2ELNS1_11target_archE906ELNS1_3gpuE6ELNS1_3repE0EEENS1_30default_config_static_selectorELNS0_4arch9wavefront6targetE1EEEvT1_: ; @_ZN7rocprim17ROCPRIM_400000_NS6detail17trampoline_kernelINS0_14default_configENS1_27scan_by_key_config_selectorIidEEZZNS1_16scan_by_key_implILNS1_25lookback_scan_determinismE0ELb1ES3_N6thrust23THRUST_200600_302600_NS6detail15normal_iteratorINS9_10device_ptrIiEEEENSB_INSC_IdEEEESG_dNS9_4plusIvEENS9_8equal_toIvEEdEE10hipError_tPvRmT2_T3_T4_T5_mT6_T7_P12ihipStream_tbENKUlT_T0_E_clISt17integral_constantIbLb1EES10_IbLb0EEEEDaSW_SX_EUlSW_E_NS1_11comp_targetILNS1_3genE2ELNS1_11target_archE906ELNS1_3gpuE6ELNS1_3repE0EEENS1_30default_config_static_selectorELNS0_4arch9wavefront6targetE1EEEvT1_
; %bb.0:
	.section	.rodata,"a",@progbits
	.p2align	6, 0x0
	.amdhsa_kernel _ZN7rocprim17ROCPRIM_400000_NS6detail17trampoline_kernelINS0_14default_configENS1_27scan_by_key_config_selectorIidEEZZNS1_16scan_by_key_implILNS1_25lookback_scan_determinismE0ELb1ES3_N6thrust23THRUST_200600_302600_NS6detail15normal_iteratorINS9_10device_ptrIiEEEENSB_INSC_IdEEEESG_dNS9_4plusIvEENS9_8equal_toIvEEdEE10hipError_tPvRmT2_T3_T4_T5_mT6_T7_P12ihipStream_tbENKUlT_T0_E_clISt17integral_constantIbLb1EES10_IbLb0EEEEDaSW_SX_EUlSW_E_NS1_11comp_targetILNS1_3genE2ELNS1_11target_archE906ELNS1_3gpuE6ELNS1_3repE0EEENS1_30default_config_static_selectorELNS0_4arch9wavefront6targetE1EEEvT1_
		.amdhsa_group_segment_fixed_size 0
		.amdhsa_private_segment_fixed_size 0
		.amdhsa_kernarg_size 136
		.amdhsa_user_sgpr_count 2
		.amdhsa_user_sgpr_dispatch_ptr 0
		.amdhsa_user_sgpr_queue_ptr 0
		.amdhsa_user_sgpr_kernarg_segment_ptr 1
		.amdhsa_user_sgpr_dispatch_id 0
		.amdhsa_user_sgpr_kernarg_preload_length 0
		.amdhsa_user_sgpr_kernarg_preload_offset 0
		.amdhsa_user_sgpr_private_segment_size 0
		.amdhsa_uses_dynamic_stack 0
		.amdhsa_enable_private_segment 0
		.amdhsa_system_sgpr_workgroup_id_x 1
		.amdhsa_system_sgpr_workgroup_id_y 0
		.amdhsa_system_sgpr_workgroup_id_z 0
		.amdhsa_system_sgpr_workgroup_info 0
		.amdhsa_system_vgpr_workitem_id 0
		.amdhsa_next_free_vgpr 1
		.amdhsa_next_free_sgpr 0
		.amdhsa_accum_offset 4
		.amdhsa_reserve_vcc 0
		.amdhsa_float_round_mode_32 0
		.amdhsa_float_round_mode_16_64 0
		.amdhsa_float_denorm_mode_32 3
		.amdhsa_float_denorm_mode_16_64 3
		.amdhsa_dx10_clamp 1
		.amdhsa_ieee_mode 1
		.amdhsa_fp16_overflow 0
		.amdhsa_tg_split 0
		.amdhsa_exception_fp_ieee_invalid_op 0
		.amdhsa_exception_fp_denorm_src 0
		.amdhsa_exception_fp_ieee_div_zero 0
		.amdhsa_exception_fp_ieee_overflow 0
		.amdhsa_exception_fp_ieee_underflow 0
		.amdhsa_exception_fp_ieee_inexact 0
		.amdhsa_exception_int_div_zero 0
	.end_amdhsa_kernel
	.section	.text._ZN7rocprim17ROCPRIM_400000_NS6detail17trampoline_kernelINS0_14default_configENS1_27scan_by_key_config_selectorIidEEZZNS1_16scan_by_key_implILNS1_25lookback_scan_determinismE0ELb1ES3_N6thrust23THRUST_200600_302600_NS6detail15normal_iteratorINS9_10device_ptrIiEEEENSB_INSC_IdEEEESG_dNS9_4plusIvEENS9_8equal_toIvEEdEE10hipError_tPvRmT2_T3_T4_T5_mT6_T7_P12ihipStream_tbENKUlT_T0_E_clISt17integral_constantIbLb1EES10_IbLb0EEEEDaSW_SX_EUlSW_E_NS1_11comp_targetILNS1_3genE2ELNS1_11target_archE906ELNS1_3gpuE6ELNS1_3repE0EEENS1_30default_config_static_selectorELNS0_4arch9wavefront6targetE1EEEvT1_,"axG",@progbits,_ZN7rocprim17ROCPRIM_400000_NS6detail17trampoline_kernelINS0_14default_configENS1_27scan_by_key_config_selectorIidEEZZNS1_16scan_by_key_implILNS1_25lookback_scan_determinismE0ELb1ES3_N6thrust23THRUST_200600_302600_NS6detail15normal_iteratorINS9_10device_ptrIiEEEENSB_INSC_IdEEEESG_dNS9_4plusIvEENS9_8equal_toIvEEdEE10hipError_tPvRmT2_T3_T4_T5_mT6_T7_P12ihipStream_tbENKUlT_T0_E_clISt17integral_constantIbLb1EES10_IbLb0EEEEDaSW_SX_EUlSW_E_NS1_11comp_targetILNS1_3genE2ELNS1_11target_archE906ELNS1_3gpuE6ELNS1_3repE0EEENS1_30default_config_static_selectorELNS0_4arch9wavefront6targetE1EEEvT1_,comdat
.Lfunc_end1414:
	.size	_ZN7rocprim17ROCPRIM_400000_NS6detail17trampoline_kernelINS0_14default_configENS1_27scan_by_key_config_selectorIidEEZZNS1_16scan_by_key_implILNS1_25lookback_scan_determinismE0ELb1ES3_N6thrust23THRUST_200600_302600_NS6detail15normal_iteratorINS9_10device_ptrIiEEEENSB_INSC_IdEEEESG_dNS9_4plusIvEENS9_8equal_toIvEEdEE10hipError_tPvRmT2_T3_T4_T5_mT6_T7_P12ihipStream_tbENKUlT_T0_E_clISt17integral_constantIbLb1EES10_IbLb0EEEEDaSW_SX_EUlSW_E_NS1_11comp_targetILNS1_3genE2ELNS1_11target_archE906ELNS1_3gpuE6ELNS1_3repE0EEENS1_30default_config_static_selectorELNS0_4arch9wavefront6targetE1EEEvT1_, .Lfunc_end1414-_ZN7rocprim17ROCPRIM_400000_NS6detail17trampoline_kernelINS0_14default_configENS1_27scan_by_key_config_selectorIidEEZZNS1_16scan_by_key_implILNS1_25lookback_scan_determinismE0ELb1ES3_N6thrust23THRUST_200600_302600_NS6detail15normal_iteratorINS9_10device_ptrIiEEEENSB_INSC_IdEEEESG_dNS9_4plusIvEENS9_8equal_toIvEEdEE10hipError_tPvRmT2_T3_T4_T5_mT6_T7_P12ihipStream_tbENKUlT_T0_E_clISt17integral_constantIbLb1EES10_IbLb0EEEEDaSW_SX_EUlSW_E_NS1_11comp_targetILNS1_3genE2ELNS1_11target_archE906ELNS1_3gpuE6ELNS1_3repE0EEENS1_30default_config_static_selectorELNS0_4arch9wavefront6targetE1EEEvT1_
                                        ; -- End function
	.section	.AMDGPU.csdata,"",@progbits
; Kernel info:
; codeLenInByte = 0
; NumSgprs: 6
; NumVgprs: 0
; NumAgprs: 0
; TotalNumVgprs: 0
; ScratchSize: 0
; MemoryBound: 0
; FloatMode: 240
; IeeeMode: 1
; LDSByteSize: 0 bytes/workgroup (compile time only)
; SGPRBlocks: 0
; VGPRBlocks: 0
; NumSGPRsForWavesPerEU: 6
; NumVGPRsForWavesPerEU: 1
; AccumOffset: 4
; Occupancy: 8
; WaveLimiterHint : 0
; COMPUTE_PGM_RSRC2:SCRATCH_EN: 0
; COMPUTE_PGM_RSRC2:USER_SGPR: 2
; COMPUTE_PGM_RSRC2:TRAP_HANDLER: 0
; COMPUTE_PGM_RSRC2:TGID_X_EN: 1
; COMPUTE_PGM_RSRC2:TGID_Y_EN: 0
; COMPUTE_PGM_RSRC2:TGID_Z_EN: 0
; COMPUTE_PGM_RSRC2:TIDIG_COMP_CNT: 0
; COMPUTE_PGM_RSRC3_GFX90A:ACCUM_OFFSET: 0
; COMPUTE_PGM_RSRC3_GFX90A:TG_SPLIT: 0
	.section	.text._ZN7rocprim17ROCPRIM_400000_NS6detail17trampoline_kernelINS0_14default_configENS1_27scan_by_key_config_selectorIidEEZZNS1_16scan_by_key_implILNS1_25lookback_scan_determinismE0ELb1ES3_N6thrust23THRUST_200600_302600_NS6detail15normal_iteratorINS9_10device_ptrIiEEEENSB_INSC_IdEEEESG_dNS9_4plusIvEENS9_8equal_toIvEEdEE10hipError_tPvRmT2_T3_T4_T5_mT6_T7_P12ihipStream_tbENKUlT_T0_E_clISt17integral_constantIbLb1EES10_IbLb0EEEEDaSW_SX_EUlSW_E_NS1_11comp_targetILNS1_3genE10ELNS1_11target_archE1200ELNS1_3gpuE4ELNS1_3repE0EEENS1_30default_config_static_selectorELNS0_4arch9wavefront6targetE1EEEvT1_,"axG",@progbits,_ZN7rocprim17ROCPRIM_400000_NS6detail17trampoline_kernelINS0_14default_configENS1_27scan_by_key_config_selectorIidEEZZNS1_16scan_by_key_implILNS1_25lookback_scan_determinismE0ELb1ES3_N6thrust23THRUST_200600_302600_NS6detail15normal_iteratorINS9_10device_ptrIiEEEENSB_INSC_IdEEEESG_dNS9_4plusIvEENS9_8equal_toIvEEdEE10hipError_tPvRmT2_T3_T4_T5_mT6_T7_P12ihipStream_tbENKUlT_T0_E_clISt17integral_constantIbLb1EES10_IbLb0EEEEDaSW_SX_EUlSW_E_NS1_11comp_targetILNS1_3genE10ELNS1_11target_archE1200ELNS1_3gpuE4ELNS1_3repE0EEENS1_30default_config_static_selectorELNS0_4arch9wavefront6targetE1EEEvT1_,comdat
	.protected	_ZN7rocprim17ROCPRIM_400000_NS6detail17trampoline_kernelINS0_14default_configENS1_27scan_by_key_config_selectorIidEEZZNS1_16scan_by_key_implILNS1_25lookback_scan_determinismE0ELb1ES3_N6thrust23THRUST_200600_302600_NS6detail15normal_iteratorINS9_10device_ptrIiEEEENSB_INSC_IdEEEESG_dNS9_4plusIvEENS9_8equal_toIvEEdEE10hipError_tPvRmT2_T3_T4_T5_mT6_T7_P12ihipStream_tbENKUlT_T0_E_clISt17integral_constantIbLb1EES10_IbLb0EEEEDaSW_SX_EUlSW_E_NS1_11comp_targetILNS1_3genE10ELNS1_11target_archE1200ELNS1_3gpuE4ELNS1_3repE0EEENS1_30default_config_static_selectorELNS0_4arch9wavefront6targetE1EEEvT1_ ; -- Begin function _ZN7rocprim17ROCPRIM_400000_NS6detail17trampoline_kernelINS0_14default_configENS1_27scan_by_key_config_selectorIidEEZZNS1_16scan_by_key_implILNS1_25lookback_scan_determinismE0ELb1ES3_N6thrust23THRUST_200600_302600_NS6detail15normal_iteratorINS9_10device_ptrIiEEEENSB_INSC_IdEEEESG_dNS9_4plusIvEENS9_8equal_toIvEEdEE10hipError_tPvRmT2_T3_T4_T5_mT6_T7_P12ihipStream_tbENKUlT_T0_E_clISt17integral_constantIbLb1EES10_IbLb0EEEEDaSW_SX_EUlSW_E_NS1_11comp_targetILNS1_3genE10ELNS1_11target_archE1200ELNS1_3gpuE4ELNS1_3repE0EEENS1_30default_config_static_selectorELNS0_4arch9wavefront6targetE1EEEvT1_
	.globl	_ZN7rocprim17ROCPRIM_400000_NS6detail17trampoline_kernelINS0_14default_configENS1_27scan_by_key_config_selectorIidEEZZNS1_16scan_by_key_implILNS1_25lookback_scan_determinismE0ELb1ES3_N6thrust23THRUST_200600_302600_NS6detail15normal_iteratorINS9_10device_ptrIiEEEENSB_INSC_IdEEEESG_dNS9_4plusIvEENS9_8equal_toIvEEdEE10hipError_tPvRmT2_T3_T4_T5_mT6_T7_P12ihipStream_tbENKUlT_T0_E_clISt17integral_constantIbLb1EES10_IbLb0EEEEDaSW_SX_EUlSW_E_NS1_11comp_targetILNS1_3genE10ELNS1_11target_archE1200ELNS1_3gpuE4ELNS1_3repE0EEENS1_30default_config_static_selectorELNS0_4arch9wavefront6targetE1EEEvT1_
	.p2align	8
	.type	_ZN7rocprim17ROCPRIM_400000_NS6detail17trampoline_kernelINS0_14default_configENS1_27scan_by_key_config_selectorIidEEZZNS1_16scan_by_key_implILNS1_25lookback_scan_determinismE0ELb1ES3_N6thrust23THRUST_200600_302600_NS6detail15normal_iteratorINS9_10device_ptrIiEEEENSB_INSC_IdEEEESG_dNS9_4plusIvEENS9_8equal_toIvEEdEE10hipError_tPvRmT2_T3_T4_T5_mT6_T7_P12ihipStream_tbENKUlT_T0_E_clISt17integral_constantIbLb1EES10_IbLb0EEEEDaSW_SX_EUlSW_E_NS1_11comp_targetILNS1_3genE10ELNS1_11target_archE1200ELNS1_3gpuE4ELNS1_3repE0EEENS1_30default_config_static_selectorELNS0_4arch9wavefront6targetE1EEEvT1_,@function
_ZN7rocprim17ROCPRIM_400000_NS6detail17trampoline_kernelINS0_14default_configENS1_27scan_by_key_config_selectorIidEEZZNS1_16scan_by_key_implILNS1_25lookback_scan_determinismE0ELb1ES3_N6thrust23THRUST_200600_302600_NS6detail15normal_iteratorINS9_10device_ptrIiEEEENSB_INSC_IdEEEESG_dNS9_4plusIvEENS9_8equal_toIvEEdEE10hipError_tPvRmT2_T3_T4_T5_mT6_T7_P12ihipStream_tbENKUlT_T0_E_clISt17integral_constantIbLb1EES10_IbLb0EEEEDaSW_SX_EUlSW_E_NS1_11comp_targetILNS1_3genE10ELNS1_11target_archE1200ELNS1_3gpuE4ELNS1_3repE0EEENS1_30default_config_static_selectorELNS0_4arch9wavefront6targetE1EEEvT1_: ; @_ZN7rocprim17ROCPRIM_400000_NS6detail17trampoline_kernelINS0_14default_configENS1_27scan_by_key_config_selectorIidEEZZNS1_16scan_by_key_implILNS1_25lookback_scan_determinismE0ELb1ES3_N6thrust23THRUST_200600_302600_NS6detail15normal_iteratorINS9_10device_ptrIiEEEENSB_INSC_IdEEEESG_dNS9_4plusIvEENS9_8equal_toIvEEdEE10hipError_tPvRmT2_T3_T4_T5_mT6_T7_P12ihipStream_tbENKUlT_T0_E_clISt17integral_constantIbLb1EES10_IbLb0EEEEDaSW_SX_EUlSW_E_NS1_11comp_targetILNS1_3genE10ELNS1_11target_archE1200ELNS1_3gpuE4ELNS1_3repE0EEENS1_30default_config_static_selectorELNS0_4arch9wavefront6targetE1EEEvT1_
; %bb.0:
	.section	.rodata,"a",@progbits
	.p2align	6, 0x0
	.amdhsa_kernel _ZN7rocprim17ROCPRIM_400000_NS6detail17trampoline_kernelINS0_14default_configENS1_27scan_by_key_config_selectorIidEEZZNS1_16scan_by_key_implILNS1_25lookback_scan_determinismE0ELb1ES3_N6thrust23THRUST_200600_302600_NS6detail15normal_iteratorINS9_10device_ptrIiEEEENSB_INSC_IdEEEESG_dNS9_4plusIvEENS9_8equal_toIvEEdEE10hipError_tPvRmT2_T3_T4_T5_mT6_T7_P12ihipStream_tbENKUlT_T0_E_clISt17integral_constantIbLb1EES10_IbLb0EEEEDaSW_SX_EUlSW_E_NS1_11comp_targetILNS1_3genE10ELNS1_11target_archE1200ELNS1_3gpuE4ELNS1_3repE0EEENS1_30default_config_static_selectorELNS0_4arch9wavefront6targetE1EEEvT1_
		.amdhsa_group_segment_fixed_size 0
		.amdhsa_private_segment_fixed_size 0
		.amdhsa_kernarg_size 136
		.amdhsa_user_sgpr_count 2
		.amdhsa_user_sgpr_dispatch_ptr 0
		.amdhsa_user_sgpr_queue_ptr 0
		.amdhsa_user_sgpr_kernarg_segment_ptr 1
		.amdhsa_user_sgpr_dispatch_id 0
		.amdhsa_user_sgpr_kernarg_preload_length 0
		.amdhsa_user_sgpr_kernarg_preload_offset 0
		.amdhsa_user_sgpr_private_segment_size 0
		.amdhsa_uses_dynamic_stack 0
		.amdhsa_enable_private_segment 0
		.amdhsa_system_sgpr_workgroup_id_x 1
		.amdhsa_system_sgpr_workgroup_id_y 0
		.amdhsa_system_sgpr_workgroup_id_z 0
		.amdhsa_system_sgpr_workgroup_info 0
		.amdhsa_system_vgpr_workitem_id 0
		.amdhsa_next_free_vgpr 1
		.amdhsa_next_free_sgpr 0
		.amdhsa_accum_offset 4
		.amdhsa_reserve_vcc 0
		.amdhsa_float_round_mode_32 0
		.amdhsa_float_round_mode_16_64 0
		.amdhsa_float_denorm_mode_32 3
		.amdhsa_float_denorm_mode_16_64 3
		.amdhsa_dx10_clamp 1
		.amdhsa_ieee_mode 1
		.amdhsa_fp16_overflow 0
		.amdhsa_tg_split 0
		.amdhsa_exception_fp_ieee_invalid_op 0
		.amdhsa_exception_fp_denorm_src 0
		.amdhsa_exception_fp_ieee_div_zero 0
		.amdhsa_exception_fp_ieee_overflow 0
		.amdhsa_exception_fp_ieee_underflow 0
		.amdhsa_exception_fp_ieee_inexact 0
		.amdhsa_exception_int_div_zero 0
	.end_amdhsa_kernel
	.section	.text._ZN7rocprim17ROCPRIM_400000_NS6detail17trampoline_kernelINS0_14default_configENS1_27scan_by_key_config_selectorIidEEZZNS1_16scan_by_key_implILNS1_25lookback_scan_determinismE0ELb1ES3_N6thrust23THRUST_200600_302600_NS6detail15normal_iteratorINS9_10device_ptrIiEEEENSB_INSC_IdEEEESG_dNS9_4plusIvEENS9_8equal_toIvEEdEE10hipError_tPvRmT2_T3_T4_T5_mT6_T7_P12ihipStream_tbENKUlT_T0_E_clISt17integral_constantIbLb1EES10_IbLb0EEEEDaSW_SX_EUlSW_E_NS1_11comp_targetILNS1_3genE10ELNS1_11target_archE1200ELNS1_3gpuE4ELNS1_3repE0EEENS1_30default_config_static_selectorELNS0_4arch9wavefront6targetE1EEEvT1_,"axG",@progbits,_ZN7rocprim17ROCPRIM_400000_NS6detail17trampoline_kernelINS0_14default_configENS1_27scan_by_key_config_selectorIidEEZZNS1_16scan_by_key_implILNS1_25lookback_scan_determinismE0ELb1ES3_N6thrust23THRUST_200600_302600_NS6detail15normal_iteratorINS9_10device_ptrIiEEEENSB_INSC_IdEEEESG_dNS9_4plusIvEENS9_8equal_toIvEEdEE10hipError_tPvRmT2_T3_T4_T5_mT6_T7_P12ihipStream_tbENKUlT_T0_E_clISt17integral_constantIbLb1EES10_IbLb0EEEEDaSW_SX_EUlSW_E_NS1_11comp_targetILNS1_3genE10ELNS1_11target_archE1200ELNS1_3gpuE4ELNS1_3repE0EEENS1_30default_config_static_selectorELNS0_4arch9wavefront6targetE1EEEvT1_,comdat
.Lfunc_end1415:
	.size	_ZN7rocprim17ROCPRIM_400000_NS6detail17trampoline_kernelINS0_14default_configENS1_27scan_by_key_config_selectorIidEEZZNS1_16scan_by_key_implILNS1_25lookback_scan_determinismE0ELb1ES3_N6thrust23THRUST_200600_302600_NS6detail15normal_iteratorINS9_10device_ptrIiEEEENSB_INSC_IdEEEESG_dNS9_4plusIvEENS9_8equal_toIvEEdEE10hipError_tPvRmT2_T3_T4_T5_mT6_T7_P12ihipStream_tbENKUlT_T0_E_clISt17integral_constantIbLb1EES10_IbLb0EEEEDaSW_SX_EUlSW_E_NS1_11comp_targetILNS1_3genE10ELNS1_11target_archE1200ELNS1_3gpuE4ELNS1_3repE0EEENS1_30default_config_static_selectorELNS0_4arch9wavefront6targetE1EEEvT1_, .Lfunc_end1415-_ZN7rocprim17ROCPRIM_400000_NS6detail17trampoline_kernelINS0_14default_configENS1_27scan_by_key_config_selectorIidEEZZNS1_16scan_by_key_implILNS1_25lookback_scan_determinismE0ELb1ES3_N6thrust23THRUST_200600_302600_NS6detail15normal_iteratorINS9_10device_ptrIiEEEENSB_INSC_IdEEEESG_dNS9_4plusIvEENS9_8equal_toIvEEdEE10hipError_tPvRmT2_T3_T4_T5_mT6_T7_P12ihipStream_tbENKUlT_T0_E_clISt17integral_constantIbLb1EES10_IbLb0EEEEDaSW_SX_EUlSW_E_NS1_11comp_targetILNS1_3genE10ELNS1_11target_archE1200ELNS1_3gpuE4ELNS1_3repE0EEENS1_30default_config_static_selectorELNS0_4arch9wavefront6targetE1EEEvT1_
                                        ; -- End function
	.section	.AMDGPU.csdata,"",@progbits
; Kernel info:
; codeLenInByte = 0
; NumSgprs: 6
; NumVgprs: 0
; NumAgprs: 0
; TotalNumVgprs: 0
; ScratchSize: 0
; MemoryBound: 0
; FloatMode: 240
; IeeeMode: 1
; LDSByteSize: 0 bytes/workgroup (compile time only)
; SGPRBlocks: 0
; VGPRBlocks: 0
; NumSGPRsForWavesPerEU: 6
; NumVGPRsForWavesPerEU: 1
; AccumOffset: 4
; Occupancy: 8
; WaveLimiterHint : 0
; COMPUTE_PGM_RSRC2:SCRATCH_EN: 0
; COMPUTE_PGM_RSRC2:USER_SGPR: 2
; COMPUTE_PGM_RSRC2:TRAP_HANDLER: 0
; COMPUTE_PGM_RSRC2:TGID_X_EN: 1
; COMPUTE_PGM_RSRC2:TGID_Y_EN: 0
; COMPUTE_PGM_RSRC2:TGID_Z_EN: 0
; COMPUTE_PGM_RSRC2:TIDIG_COMP_CNT: 0
; COMPUTE_PGM_RSRC3_GFX90A:ACCUM_OFFSET: 0
; COMPUTE_PGM_RSRC3_GFX90A:TG_SPLIT: 0
	.section	.text._ZN7rocprim17ROCPRIM_400000_NS6detail17trampoline_kernelINS0_14default_configENS1_27scan_by_key_config_selectorIidEEZZNS1_16scan_by_key_implILNS1_25lookback_scan_determinismE0ELb1ES3_N6thrust23THRUST_200600_302600_NS6detail15normal_iteratorINS9_10device_ptrIiEEEENSB_INSC_IdEEEESG_dNS9_4plusIvEENS9_8equal_toIvEEdEE10hipError_tPvRmT2_T3_T4_T5_mT6_T7_P12ihipStream_tbENKUlT_T0_E_clISt17integral_constantIbLb1EES10_IbLb0EEEEDaSW_SX_EUlSW_E_NS1_11comp_targetILNS1_3genE9ELNS1_11target_archE1100ELNS1_3gpuE3ELNS1_3repE0EEENS1_30default_config_static_selectorELNS0_4arch9wavefront6targetE1EEEvT1_,"axG",@progbits,_ZN7rocprim17ROCPRIM_400000_NS6detail17trampoline_kernelINS0_14default_configENS1_27scan_by_key_config_selectorIidEEZZNS1_16scan_by_key_implILNS1_25lookback_scan_determinismE0ELb1ES3_N6thrust23THRUST_200600_302600_NS6detail15normal_iteratorINS9_10device_ptrIiEEEENSB_INSC_IdEEEESG_dNS9_4plusIvEENS9_8equal_toIvEEdEE10hipError_tPvRmT2_T3_T4_T5_mT6_T7_P12ihipStream_tbENKUlT_T0_E_clISt17integral_constantIbLb1EES10_IbLb0EEEEDaSW_SX_EUlSW_E_NS1_11comp_targetILNS1_3genE9ELNS1_11target_archE1100ELNS1_3gpuE3ELNS1_3repE0EEENS1_30default_config_static_selectorELNS0_4arch9wavefront6targetE1EEEvT1_,comdat
	.protected	_ZN7rocprim17ROCPRIM_400000_NS6detail17trampoline_kernelINS0_14default_configENS1_27scan_by_key_config_selectorIidEEZZNS1_16scan_by_key_implILNS1_25lookback_scan_determinismE0ELb1ES3_N6thrust23THRUST_200600_302600_NS6detail15normal_iteratorINS9_10device_ptrIiEEEENSB_INSC_IdEEEESG_dNS9_4plusIvEENS9_8equal_toIvEEdEE10hipError_tPvRmT2_T3_T4_T5_mT6_T7_P12ihipStream_tbENKUlT_T0_E_clISt17integral_constantIbLb1EES10_IbLb0EEEEDaSW_SX_EUlSW_E_NS1_11comp_targetILNS1_3genE9ELNS1_11target_archE1100ELNS1_3gpuE3ELNS1_3repE0EEENS1_30default_config_static_selectorELNS0_4arch9wavefront6targetE1EEEvT1_ ; -- Begin function _ZN7rocprim17ROCPRIM_400000_NS6detail17trampoline_kernelINS0_14default_configENS1_27scan_by_key_config_selectorIidEEZZNS1_16scan_by_key_implILNS1_25lookback_scan_determinismE0ELb1ES3_N6thrust23THRUST_200600_302600_NS6detail15normal_iteratorINS9_10device_ptrIiEEEENSB_INSC_IdEEEESG_dNS9_4plusIvEENS9_8equal_toIvEEdEE10hipError_tPvRmT2_T3_T4_T5_mT6_T7_P12ihipStream_tbENKUlT_T0_E_clISt17integral_constantIbLb1EES10_IbLb0EEEEDaSW_SX_EUlSW_E_NS1_11comp_targetILNS1_3genE9ELNS1_11target_archE1100ELNS1_3gpuE3ELNS1_3repE0EEENS1_30default_config_static_selectorELNS0_4arch9wavefront6targetE1EEEvT1_
	.globl	_ZN7rocprim17ROCPRIM_400000_NS6detail17trampoline_kernelINS0_14default_configENS1_27scan_by_key_config_selectorIidEEZZNS1_16scan_by_key_implILNS1_25lookback_scan_determinismE0ELb1ES3_N6thrust23THRUST_200600_302600_NS6detail15normal_iteratorINS9_10device_ptrIiEEEENSB_INSC_IdEEEESG_dNS9_4plusIvEENS9_8equal_toIvEEdEE10hipError_tPvRmT2_T3_T4_T5_mT6_T7_P12ihipStream_tbENKUlT_T0_E_clISt17integral_constantIbLb1EES10_IbLb0EEEEDaSW_SX_EUlSW_E_NS1_11comp_targetILNS1_3genE9ELNS1_11target_archE1100ELNS1_3gpuE3ELNS1_3repE0EEENS1_30default_config_static_selectorELNS0_4arch9wavefront6targetE1EEEvT1_
	.p2align	8
	.type	_ZN7rocprim17ROCPRIM_400000_NS6detail17trampoline_kernelINS0_14default_configENS1_27scan_by_key_config_selectorIidEEZZNS1_16scan_by_key_implILNS1_25lookback_scan_determinismE0ELb1ES3_N6thrust23THRUST_200600_302600_NS6detail15normal_iteratorINS9_10device_ptrIiEEEENSB_INSC_IdEEEESG_dNS9_4plusIvEENS9_8equal_toIvEEdEE10hipError_tPvRmT2_T3_T4_T5_mT6_T7_P12ihipStream_tbENKUlT_T0_E_clISt17integral_constantIbLb1EES10_IbLb0EEEEDaSW_SX_EUlSW_E_NS1_11comp_targetILNS1_3genE9ELNS1_11target_archE1100ELNS1_3gpuE3ELNS1_3repE0EEENS1_30default_config_static_selectorELNS0_4arch9wavefront6targetE1EEEvT1_,@function
_ZN7rocprim17ROCPRIM_400000_NS6detail17trampoline_kernelINS0_14default_configENS1_27scan_by_key_config_selectorIidEEZZNS1_16scan_by_key_implILNS1_25lookback_scan_determinismE0ELb1ES3_N6thrust23THRUST_200600_302600_NS6detail15normal_iteratorINS9_10device_ptrIiEEEENSB_INSC_IdEEEESG_dNS9_4plusIvEENS9_8equal_toIvEEdEE10hipError_tPvRmT2_T3_T4_T5_mT6_T7_P12ihipStream_tbENKUlT_T0_E_clISt17integral_constantIbLb1EES10_IbLb0EEEEDaSW_SX_EUlSW_E_NS1_11comp_targetILNS1_3genE9ELNS1_11target_archE1100ELNS1_3gpuE3ELNS1_3repE0EEENS1_30default_config_static_selectorELNS0_4arch9wavefront6targetE1EEEvT1_: ; @_ZN7rocprim17ROCPRIM_400000_NS6detail17trampoline_kernelINS0_14default_configENS1_27scan_by_key_config_selectorIidEEZZNS1_16scan_by_key_implILNS1_25lookback_scan_determinismE0ELb1ES3_N6thrust23THRUST_200600_302600_NS6detail15normal_iteratorINS9_10device_ptrIiEEEENSB_INSC_IdEEEESG_dNS9_4plusIvEENS9_8equal_toIvEEdEE10hipError_tPvRmT2_T3_T4_T5_mT6_T7_P12ihipStream_tbENKUlT_T0_E_clISt17integral_constantIbLb1EES10_IbLb0EEEEDaSW_SX_EUlSW_E_NS1_11comp_targetILNS1_3genE9ELNS1_11target_archE1100ELNS1_3gpuE3ELNS1_3repE0EEENS1_30default_config_static_selectorELNS0_4arch9wavefront6targetE1EEEvT1_
; %bb.0:
	.section	.rodata,"a",@progbits
	.p2align	6, 0x0
	.amdhsa_kernel _ZN7rocprim17ROCPRIM_400000_NS6detail17trampoline_kernelINS0_14default_configENS1_27scan_by_key_config_selectorIidEEZZNS1_16scan_by_key_implILNS1_25lookback_scan_determinismE0ELb1ES3_N6thrust23THRUST_200600_302600_NS6detail15normal_iteratorINS9_10device_ptrIiEEEENSB_INSC_IdEEEESG_dNS9_4plusIvEENS9_8equal_toIvEEdEE10hipError_tPvRmT2_T3_T4_T5_mT6_T7_P12ihipStream_tbENKUlT_T0_E_clISt17integral_constantIbLb1EES10_IbLb0EEEEDaSW_SX_EUlSW_E_NS1_11comp_targetILNS1_3genE9ELNS1_11target_archE1100ELNS1_3gpuE3ELNS1_3repE0EEENS1_30default_config_static_selectorELNS0_4arch9wavefront6targetE1EEEvT1_
		.amdhsa_group_segment_fixed_size 0
		.amdhsa_private_segment_fixed_size 0
		.amdhsa_kernarg_size 136
		.amdhsa_user_sgpr_count 2
		.amdhsa_user_sgpr_dispatch_ptr 0
		.amdhsa_user_sgpr_queue_ptr 0
		.amdhsa_user_sgpr_kernarg_segment_ptr 1
		.amdhsa_user_sgpr_dispatch_id 0
		.amdhsa_user_sgpr_kernarg_preload_length 0
		.amdhsa_user_sgpr_kernarg_preload_offset 0
		.amdhsa_user_sgpr_private_segment_size 0
		.amdhsa_uses_dynamic_stack 0
		.amdhsa_enable_private_segment 0
		.amdhsa_system_sgpr_workgroup_id_x 1
		.amdhsa_system_sgpr_workgroup_id_y 0
		.amdhsa_system_sgpr_workgroup_id_z 0
		.amdhsa_system_sgpr_workgroup_info 0
		.amdhsa_system_vgpr_workitem_id 0
		.amdhsa_next_free_vgpr 1
		.amdhsa_next_free_sgpr 0
		.amdhsa_accum_offset 4
		.amdhsa_reserve_vcc 0
		.amdhsa_float_round_mode_32 0
		.amdhsa_float_round_mode_16_64 0
		.amdhsa_float_denorm_mode_32 3
		.amdhsa_float_denorm_mode_16_64 3
		.amdhsa_dx10_clamp 1
		.amdhsa_ieee_mode 1
		.amdhsa_fp16_overflow 0
		.amdhsa_tg_split 0
		.amdhsa_exception_fp_ieee_invalid_op 0
		.amdhsa_exception_fp_denorm_src 0
		.amdhsa_exception_fp_ieee_div_zero 0
		.amdhsa_exception_fp_ieee_overflow 0
		.amdhsa_exception_fp_ieee_underflow 0
		.amdhsa_exception_fp_ieee_inexact 0
		.amdhsa_exception_int_div_zero 0
	.end_amdhsa_kernel
	.section	.text._ZN7rocprim17ROCPRIM_400000_NS6detail17trampoline_kernelINS0_14default_configENS1_27scan_by_key_config_selectorIidEEZZNS1_16scan_by_key_implILNS1_25lookback_scan_determinismE0ELb1ES3_N6thrust23THRUST_200600_302600_NS6detail15normal_iteratorINS9_10device_ptrIiEEEENSB_INSC_IdEEEESG_dNS9_4plusIvEENS9_8equal_toIvEEdEE10hipError_tPvRmT2_T3_T4_T5_mT6_T7_P12ihipStream_tbENKUlT_T0_E_clISt17integral_constantIbLb1EES10_IbLb0EEEEDaSW_SX_EUlSW_E_NS1_11comp_targetILNS1_3genE9ELNS1_11target_archE1100ELNS1_3gpuE3ELNS1_3repE0EEENS1_30default_config_static_selectorELNS0_4arch9wavefront6targetE1EEEvT1_,"axG",@progbits,_ZN7rocprim17ROCPRIM_400000_NS6detail17trampoline_kernelINS0_14default_configENS1_27scan_by_key_config_selectorIidEEZZNS1_16scan_by_key_implILNS1_25lookback_scan_determinismE0ELb1ES3_N6thrust23THRUST_200600_302600_NS6detail15normal_iteratorINS9_10device_ptrIiEEEENSB_INSC_IdEEEESG_dNS9_4plusIvEENS9_8equal_toIvEEdEE10hipError_tPvRmT2_T3_T4_T5_mT6_T7_P12ihipStream_tbENKUlT_T0_E_clISt17integral_constantIbLb1EES10_IbLb0EEEEDaSW_SX_EUlSW_E_NS1_11comp_targetILNS1_3genE9ELNS1_11target_archE1100ELNS1_3gpuE3ELNS1_3repE0EEENS1_30default_config_static_selectorELNS0_4arch9wavefront6targetE1EEEvT1_,comdat
.Lfunc_end1416:
	.size	_ZN7rocprim17ROCPRIM_400000_NS6detail17trampoline_kernelINS0_14default_configENS1_27scan_by_key_config_selectorIidEEZZNS1_16scan_by_key_implILNS1_25lookback_scan_determinismE0ELb1ES3_N6thrust23THRUST_200600_302600_NS6detail15normal_iteratorINS9_10device_ptrIiEEEENSB_INSC_IdEEEESG_dNS9_4plusIvEENS9_8equal_toIvEEdEE10hipError_tPvRmT2_T3_T4_T5_mT6_T7_P12ihipStream_tbENKUlT_T0_E_clISt17integral_constantIbLb1EES10_IbLb0EEEEDaSW_SX_EUlSW_E_NS1_11comp_targetILNS1_3genE9ELNS1_11target_archE1100ELNS1_3gpuE3ELNS1_3repE0EEENS1_30default_config_static_selectorELNS0_4arch9wavefront6targetE1EEEvT1_, .Lfunc_end1416-_ZN7rocprim17ROCPRIM_400000_NS6detail17trampoline_kernelINS0_14default_configENS1_27scan_by_key_config_selectorIidEEZZNS1_16scan_by_key_implILNS1_25lookback_scan_determinismE0ELb1ES3_N6thrust23THRUST_200600_302600_NS6detail15normal_iteratorINS9_10device_ptrIiEEEENSB_INSC_IdEEEESG_dNS9_4plusIvEENS9_8equal_toIvEEdEE10hipError_tPvRmT2_T3_T4_T5_mT6_T7_P12ihipStream_tbENKUlT_T0_E_clISt17integral_constantIbLb1EES10_IbLb0EEEEDaSW_SX_EUlSW_E_NS1_11comp_targetILNS1_3genE9ELNS1_11target_archE1100ELNS1_3gpuE3ELNS1_3repE0EEENS1_30default_config_static_selectorELNS0_4arch9wavefront6targetE1EEEvT1_
                                        ; -- End function
	.section	.AMDGPU.csdata,"",@progbits
; Kernel info:
; codeLenInByte = 0
; NumSgprs: 6
; NumVgprs: 0
; NumAgprs: 0
; TotalNumVgprs: 0
; ScratchSize: 0
; MemoryBound: 0
; FloatMode: 240
; IeeeMode: 1
; LDSByteSize: 0 bytes/workgroup (compile time only)
; SGPRBlocks: 0
; VGPRBlocks: 0
; NumSGPRsForWavesPerEU: 6
; NumVGPRsForWavesPerEU: 1
; AccumOffset: 4
; Occupancy: 8
; WaveLimiterHint : 0
; COMPUTE_PGM_RSRC2:SCRATCH_EN: 0
; COMPUTE_PGM_RSRC2:USER_SGPR: 2
; COMPUTE_PGM_RSRC2:TRAP_HANDLER: 0
; COMPUTE_PGM_RSRC2:TGID_X_EN: 1
; COMPUTE_PGM_RSRC2:TGID_Y_EN: 0
; COMPUTE_PGM_RSRC2:TGID_Z_EN: 0
; COMPUTE_PGM_RSRC2:TIDIG_COMP_CNT: 0
; COMPUTE_PGM_RSRC3_GFX90A:ACCUM_OFFSET: 0
; COMPUTE_PGM_RSRC3_GFX90A:TG_SPLIT: 0
	.section	.text._ZN7rocprim17ROCPRIM_400000_NS6detail17trampoline_kernelINS0_14default_configENS1_27scan_by_key_config_selectorIidEEZZNS1_16scan_by_key_implILNS1_25lookback_scan_determinismE0ELb1ES3_N6thrust23THRUST_200600_302600_NS6detail15normal_iteratorINS9_10device_ptrIiEEEENSB_INSC_IdEEEESG_dNS9_4plusIvEENS9_8equal_toIvEEdEE10hipError_tPvRmT2_T3_T4_T5_mT6_T7_P12ihipStream_tbENKUlT_T0_E_clISt17integral_constantIbLb1EES10_IbLb0EEEEDaSW_SX_EUlSW_E_NS1_11comp_targetILNS1_3genE8ELNS1_11target_archE1030ELNS1_3gpuE2ELNS1_3repE0EEENS1_30default_config_static_selectorELNS0_4arch9wavefront6targetE1EEEvT1_,"axG",@progbits,_ZN7rocprim17ROCPRIM_400000_NS6detail17trampoline_kernelINS0_14default_configENS1_27scan_by_key_config_selectorIidEEZZNS1_16scan_by_key_implILNS1_25lookback_scan_determinismE0ELb1ES3_N6thrust23THRUST_200600_302600_NS6detail15normal_iteratorINS9_10device_ptrIiEEEENSB_INSC_IdEEEESG_dNS9_4plusIvEENS9_8equal_toIvEEdEE10hipError_tPvRmT2_T3_T4_T5_mT6_T7_P12ihipStream_tbENKUlT_T0_E_clISt17integral_constantIbLb1EES10_IbLb0EEEEDaSW_SX_EUlSW_E_NS1_11comp_targetILNS1_3genE8ELNS1_11target_archE1030ELNS1_3gpuE2ELNS1_3repE0EEENS1_30default_config_static_selectorELNS0_4arch9wavefront6targetE1EEEvT1_,comdat
	.protected	_ZN7rocprim17ROCPRIM_400000_NS6detail17trampoline_kernelINS0_14default_configENS1_27scan_by_key_config_selectorIidEEZZNS1_16scan_by_key_implILNS1_25lookback_scan_determinismE0ELb1ES3_N6thrust23THRUST_200600_302600_NS6detail15normal_iteratorINS9_10device_ptrIiEEEENSB_INSC_IdEEEESG_dNS9_4plusIvEENS9_8equal_toIvEEdEE10hipError_tPvRmT2_T3_T4_T5_mT6_T7_P12ihipStream_tbENKUlT_T0_E_clISt17integral_constantIbLb1EES10_IbLb0EEEEDaSW_SX_EUlSW_E_NS1_11comp_targetILNS1_3genE8ELNS1_11target_archE1030ELNS1_3gpuE2ELNS1_3repE0EEENS1_30default_config_static_selectorELNS0_4arch9wavefront6targetE1EEEvT1_ ; -- Begin function _ZN7rocprim17ROCPRIM_400000_NS6detail17trampoline_kernelINS0_14default_configENS1_27scan_by_key_config_selectorIidEEZZNS1_16scan_by_key_implILNS1_25lookback_scan_determinismE0ELb1ES3_N6thrust23THRUST_200600_302600_NS6detail15normal_iteratorINS9_10device_ptrIiEEEENSB_INSC_IdEEEESG_dNS9_4plusIvEENS9_8equal_toIvEEdEE10hipError_tPvRmT2_T3_T4_T5_mT6_T7_P12ihipStream_tbENKUlT_T0_E_clISt17integral_constantIbLb1EES10_IbLb0EEEEDaSW_SX_EUlSW_E_NS1_11comp_targetILNS1_3genE8ELNS1_11target_archE1030ELNS1_3gpuE2ELNS1_3repE0EEENS1_30default_config_static_selectorELNS0_4arch9wavefront6targetE1EEEvT1_
	.globl	_ZN7rocprim17ROCPRIM_400000_NS6detail17trampoline_kernelINS0_14default_configENS1_27scan_by_key_config_selectorIidEEZZNS1_16scan_by_key_implILNS1_25lookback_scan_determinismE0ELb1ES3_N6thrust23THRUST_200600_302600_NS6detail15normal_iteratorINS9_10device_ptrIiEEEENSB_INSC_IdEEEESG_dNS9_4plusIvEENS9_8equal_toIvEEdEE10hipError_tPvRmT2_T3_T4_T5_mT6_T7_P12ihipStream_tbENKUlT_T0_E_clISt17integral_constantIbLb1EES10_IbLb0EEEEDaSW_SX_EUlSW_E_NS1_11comp_targetILNS1_3genE8ELNS1_11target_archE1030ELNS1_3gpuE2ELNS1_3repE0EEENS1_30default_config_static_selectorELNS0_4arch9wavefront6targetE1EEEvT1_
	.p2align	8
	.type	_ZN7rocprim17ROCPRIM_400000_NS6detail17trampoline_kernelINS0_14default_configENS1_27scan_by_key_config_selectorIidEEZZNS1_16scan_by_key_implILNS1_25lookback_scan_determinismE0ELb1ES3_N6thrust23THRUST_200600_302600_NS6detail15normal_iteratorINS9_10device_ptrIiEEEENSB_INSC_IdEEEESG_dNS9_4plusIvEENS9_8equal_toIvEEdEE10hipError_tPvRmT2_T3_T4_T5_mT6_T7_P12ihipStream_tbENKUlT_T0_E_clISt17integral_constantIbLb1EES10_IbLb0EEEEDaSW_SX_EUlSW_E_NS1_11comp_targetILNS1_3genE8ELNS1_11target_archE1030ELNS1_3gpuE2ELNS1_3repE0EEENS1_30default_config_static_selectorELNS0_4arch9wavefront6targetE1EEEvT1_,@function
_ZN7rocprim17ROCPRIM_400000_NS6detail17trampoline_kernelINS0_14default_configENS1_27scan_by_key_config_selectorIidEEZZNS1_16scan_by_key_implILNS1_25lookback_scan_determinismE0ELb1ES3_N6thrust23THRUST_200600_302600_NS6detail15normal_iteratorINS9_10device_ptrIiEEEENSB_INSC_IdEEEESG_dNS9_4plusIvEENS9_8equal_toIvEEdEE10hipError_tPvRmT2_T3_T4_T5_mT6_T7_P12ihipStream_tbENKUlT_T0_E_clISt17integral_constantIbLb1EES10_IbLb0EEEEDaSW_SX_EUlSW_E_NS1_11comp_targetILNS1_3genE8ELNS1_11target_archE1030ELNS1_3gpuE2ELNS1_3repE0EEENS1_30default_config_static_selectorELNS0_4arch9wavefront6targetE1EEEvT1_: ; @_ZN7rocprim17ROCPRIM_400000_NS6detail17trampoline_kernelINS0_14default_configENS1_27scan_by_key_config_selectorIidEEZZNS1_16scan_by_key_implILNS1_25lookback_scan_determinismE0ELb1ES3_N6thrust23THRUST_200600_302600_NS6detail15normal_iteratorINS9_10device_ptrIiEEEENSB_INSC_IdEEEESG_dNS9_4plusIvEENS9_8equal_toIvEEdEE10hipError_tPvRmT2_T3_T4_T5_mT6_T7_P12ihipStream_tbENKUlT_T0_E_clISt17integral_constantIbLb1EES10_IbLb0EEEEDaSW_SX_EUlSW_E_NS1_11comp_targetILNS1_3genE8ELNS1_11target_archE1030ELNS1_3gpuE2ELNS1_3repE0EEENS1_30default_config_static_selectorELNS0_4arch9wavefront6targetE1EEEvT1_
; %bb.0:
	.section	.rodata,"a",@progbits
	.p2align	6, 0x0
	.amdhsa_kernel _ZN7rocprim17ROCPRIM_400000_NS6detail17trampoline_kernelINS0_14default_configENS1_27scan_by_key_config_selectorIidEEZZNS1_16scan_by_key_implILNS1_25lookback_scan_determinismE0ELb1ES3_N6thrust23THRUST_200600_302600_NS6detail15normal_iteratorINS9_10device_ptrIiEEEENSB_INSC_IdEEEESG_dNS9_4plusIvEENS9_8equal_toIvEEdEE10hipError_tPvRmT2_T3_T4_T5_mT6_T7_P12ihipStream_tbENKUlT_T0_E_clISt17integral_constantIbLb1EES10_IbLb0EEEEDaSW_SX_EUlSW_E_NS1_11comp_targetILNS1_3genE8ELNS1_11target_archE1030ELNS1_3gpuE2ELNS1_3repE0EEENS1_30default_config_static_selectorELNS0_4arch9wavefront6targetE1EEEvT1_
		.amdhsa_group_segment_fixed_size 0
		.amdhsa_private_segment_fixed_size 0
		.amdhsa_kernarg_size 136
		.amdhsa_user_sgpr_count 2
		.amdhsa_user_sgpr_dispatch_ptr 0
		.amdhsa_user_sgpr_queue_ptr 0
		.amdhsa_user_sgpr_kernarg_segment_ptr 1
		.amdhsa_user_sgpr_dispatch_id 0
		.amdhsa_user_sgpr_kernarg_preload_length 0
		.amdhsa_user_sgpr_kernarg_preload_offset 0
		.amdhsa_user_sgpr_private_segment_size 0
		.amdhsa_uses_dynamic_stack 0
		.amdhsa_enable_private_segment 0
		.amdhsa_system_sgpr_workgroup_id_x 1
		.amdhsa_system_sgpr_workgroup_id_y 0
		.amdhsa_system_sgpr_workgroup_id_z 0
		.amdhsa_system_sgpr_workgroup_info 0
		.amdhsa_system_vgpr_workitem_id 0
		.amdhsa_next_free_vgpr 1
		.amdhsa_next_free_sgpr 0
		.amdhsa_accum_offset 4
		.amdhsa_reserve_vcc 0
		.amdhsa_float_round_mode_32 0
		.amdhsa_float_round_mode_16_64 0
		.amdhsa_float_denorm_mode_32 3
		.amdhsa_float_denorm_mode_16_64 3
		.amdhsa_dx10_clamp 1
		.amdhsa_ieee_mode 1
		.amdhsa_fp16_overflow 0
		.amdhsa_tg_split 0
		.amdhsa_exception_fp_ieee_invalid_op 0
		.amdhsa_exception_fp_denorm_src 0
		.amdhsa_exception_fp_ieee_div_zero 0
		.amdhsa_exception_fp_ieee_overflow 0
		.amdhsa_exception_fp_ieee_underflow 0
		.amdhsa_exception_fp_ieee_inexact 0
		.amdhsa_exception_int_div_zero 0
	.end_amdhsa_kernel
	.section	.text._ZN7rocprim17ROCPRIM_400000_NS6detail17trampoline_kernelINS0_14default_configENS1_27scan_by_key_config_selectorIidEEZZNS1_16scan_by_key_implILNS1_25lookback_scan_determinismE0ELb1ES3_N6thrust23THRUST_200600_302600_NS6detail15normal_iteratorINS9_10device_ptrIiEEEENSB_INSC_IdEEEESG_dNS9_4plusIvEENS9_8equal_toIvEEdEE10hipError_tPvRmT2_T3_T4_T5_mT6_T7_P12ihipStream_tbENKUlT_T0_E_clISt17integral_constantIbLb1EES10_IbLb0EEEEDaSW_SX_EUlSW_E_NS1_11comp_targetILNS1_3genE8ELNS1_11target_archE1030ELNS1_3gpuE2ELNS1_3repE0EEENS1_30default_config_static_selectorELNS0_4arch9wavefront6targetE1EEEvT1_,"axG",@progbits,_ZN7rocprim17ROCPRIM_400000_NS6detail17trampoline_kernelINS0_14default_configENS1_27scan_by_key_config_selectorIidEEZZNS1_16scan_by_key_implILNS1_25lookback_scan_determinismE0ELb1ES3_N6thrust23THRUST_200600_302600_NS6detail15normal_iteratorINS9_10device_ptrIiEEEENSB_INSC_IdEEEESG_dNS9_4plusIvEENS9_8equal_toIvEEdEE10hipError_tPvRmT2_T3_T4_T5_mT6_T7_P12ihipStream_tbENKUlT_T0_E_clISt17integral_constantIbLb1EES10_IbLb0EEEEDaSW_SX_EUlSW_E_NS1_11comp_targetILNS1_3genE8ELNS1_11target_archE1030ELNS1_3gpuE2ELNS1_3repE0EEENS1_30default_config_static_selectorELNS0_4arch9wavefront6targetE1EEEvT1_,comdat
.Lfunc_end1417:
	.size	_ZN7rocprim17ROCPRIM_400000_NS6detail17trampoline_kernelINS0_14default_configENS1_27scan_by_key_config_selectorIidEEZZNS1_16scan_by_key_implILNS1_25lookback_scan_determinismE0ELb1ES3_N6thrust23THRUST_200600_302600_NS6detail15normal_iteratorINS9_10device_ptrIiEEEENSB_INSC_IdEEEESG_dNS9_4plusIvEENS9_8equal_toIvEEdEE10hipError_tPvRmT2_T3_T4_T5_mT6_T7_P12ihipStream_tbENKUlT_T0_E_clISt17integral_constantIbLb1EES10_IbLb0EEEEDaSW_SX_EUlSW_E_NS1_11comp_targetILNS1_3genE8ELNS1_11target_archE1030ELNS1_3gpuE2ELNS1_3repE0EEENS1_30default_config_static_selectorELNS0_4arch9wavefront6targetE1EEEvT1_, .Lfunc_end1417-_ZN7rocprim17ROCPRIM_400000_NS6detail17trampoline_kernelINS0_14default_configENS1_27scan_by_key_config_selectorIidEEZZNS1_16scan_by_key_implILNS1_25lookback_scan_determinismE0ELb1ES3_N6thrust23THRUST_200600_302600_NS6detail15normal_iteratorINS9_10device_ptrIiEEEENSB_INSC_IdEEEESG_dNS9_4plusIvEENS9_8equal_toIvEEdEE10hipError_tPvRmT2_T3_T4_T5_mT6_T7_P12ihipStream_tbENKUlT_T0_E_clISt17integral_constantIbLb1EES10_IbLb0EEEEDaSW_SX_EUlSW_E_NS1_11comp_targetILNS1_3genE8ELNS1_11target_archE1030ELNS1_3gpuE2ELNS1_3repE0EEENS1_30default_config_static_selectorELNS0_4arch9wavefront6targetE1EEEvT1_
                                        ; -- End function
	.section	.AMDGPU.csdata,"",@progbits
; Kernel info:
; codeLenInByte = 0
; NumSgprs: 6
; NumVgprs: 0
; NumAgprs: 0
; TotalNumVgprs: 0
; ScratchSize: 0
; MemoryBound: 0
; FloatMode: 240
; IeeeMode: 1
; LDSByteSize: 0 bytes/workgroup (compile time only)
; SGPRBlocks: 0
; VGPRBlocks: 0
; NumSGPRsForWavesPerEU: 6
; NumVGPRsForWavesPerEU: 1
; AccumOffset: 4
; Occupancy: 8
; WaveLimiterHint : 0
; COMPUTE_PGM_RSRC2:SCRATCH_EN: 0
; COMPUTE_PGM_RSRC2:USER_SGPR: 2
; COMPUTE_PGM_RSRC2:TRAP_HANDLER: 0
; COMPUTE_PGM_RSRC2:TGID_X_EN: 1
; COMPUTE_PGM_RSRC2:TGID_Y_EN: 0
; COMPUTE_PGM_RSRC2:TGID_Z_EN: 0
; COMPUTE_PGM_RSRC2:TIDIG_COMP_CNT: 0
; COMPUTE_PGM_RSRC3_GFX90A:ACCUM_OFFSET: 0
; COMPUTE_PGM_RSRC3_GFX90A:TG_SPLIT: 0
	.section	.text._ZN7rocprim17ROCPRIM_400000_NS6detail17trampoline_kernelINS0_14default_configENS1_27scan_by_key_config_selectorIidEEZZNS1_16scan_by_key_implILNS1_25lookback_scan_determinismE0ELb1ES3_N6thrust23THRUST_200600_302600_NS6detail15normal_iteratorINS9_10device_ptrIiEEEENSB_INSC_IdEEEESG_dNS9_4plusIvEENS9_8equal_toIvEEdEE10hipError_tPvRmT2_T3_T4_T5_mT6_T7_P12ihipStream_tbENKUlT_T0_E_clISt17integral_constantIbLb0EES10_IbLb1EEEEDaSW_SX_EUlSW_E_NS1_11comp_targetILNS1_3genE0ELNS1_11target_archE4294967295ELNS1_3gpuE0ELNS1_3repE0EEENS1_30default_config_static_selectorELNS0_4arch9wavefront6targetE1EEEvT1_,"axG",@progbits,_ZN7rocprim17ROCPRIM_400000_NS6detail17trampoline_kernelINS0_14default_configENS1_27scan_by_key_config_selectorIidEEZZNS1_16scan_by_key_implILNS1_25lookback_scan_determinismE0ELb1ES3_N6thrust23THRUST_200600_302600_NS6detail15normal_iteratorINS9_10device_ptrIiEEEENSB_INSC_IdEEEESG_dNS9_4plusIvEENS9_8equal_toIvEEdEE10hipError_tPvRmT2_T3_T4_T5_mT6_T7_P12ihipStream_tbENKUlT_T0_E_clISt17integral_constantIbLb0EES10_IbLb1EEEEDaSW_SX_EUlSW_E_NS1_11comp_targetILNS1_3genE0ELNS1_11target_archE4294967295ELNS1_3gpuE0ELNS1_3repE0EEENS1_30default_config_static_selectorELNS0_4arch9wavefront6targetE1EEEvT1_,comdat
	.protected	_ZN7rocprim17ROCPRIM_400000_NS6detail17trampoline_kernelINS0_14default_configENS1_27scan_by_key_config_selectorIidEEZZNS1_16scan_by_key_implILNS1_25lookback_scan_determinismE0ELb1ES3_N6thrust23THRUST_200600_302600_NS6detail15normal_iteratorINS9_10device_ptrIiEEEENSB_INSC_IdEEEESG_dNS9_4plusIvEENS9_8equal_toIvEEdEE10hipError_tPvRmT2_T3_T4_T5_mT6_T7_P12ihipStream_tbENKUlT_T0_E_clISt17integral_constantIbLb0EES10_IbLb1EEEEDaSW_SX_EUlSW_E_NS1_11comp_targetILNS1_3genE0ELNS1_11target_archE4294967295ELNS1_3gpuE0ELNS1_3repE0EEENS1_30default_config_static_selectorELNS0_4arch9wavefront6targetE1EEEvT1_ ; -- Begin function _ZN7rocprim17ROCPRIM_400000_NS6detail17trampoline_kernelINS0_14default_configENS1_27scan_by_key_config_selectorIidEEZZNS1_16scan_by_key_implILNS1_25lookback_scan_determinismE0ELb1ES3_N6thrust23THRUST_200600_302600_NS6detail15normal_iteratorINS9_10device_ptrIiEEEENSB_INSC_IdEEEESG_dNS9_4plusIvEENS9_8equal_toIvEEdEE10hipError_tPvRmT2_T3_T4_T5_mT6_T7_P12ihipStream_tbENKUlT_T0_E_clISt17integral_constantIbLb0EES10_IbLb1EEEEDaSW_SX_EUlSW_E_NS1_11comp_targetILNS1_3genE0ELNS1_11target_archE4294967295ELNS1_3gpuE0ELNS1_3repE0EEENS1_30default_config_static_selectorELNS0_4arch9wavefront6targetE1EEEvT1_
	.globl	_ZN7rocprim17ROCPRIM_400000_NS6detail17trampoline_kernelINS0_14default_configENS1_27scan_by_key_config_selectorIidEEZZNS1_16scan_by_key_implILNS1_25lookback_scan_determinismE0ELb1ES3_N6thrust23THRUST_200600_302600_NS6detail15normal_iteratorINS9_10device_ptrIiEEEENSB_INSC_IdEEEESG_dNS9_4plusIvEENS9_8equal_toIvEEdEE10hipError_tPvRmT2_T3_T4_T5_mT6_T7_P12ihipStream_tbENKUlT_T0_E_clISt17integral_constantIbLb0EES10_IbLb1EEEEDaSW_SX_EUlSW_E_NS1_11comp_targetILNS1_3genE0ELNS1_11target_archE4294967295ELNS1_3gpuE0ELNS1_3repE0EEENS1_30default_config_static_selectorELNS0_4arch9wavefront6targetE1EEEvT1_
	.p2align	8
	.type	_ZN7rocprim17ROCPRIM_400000_NS6detail17trampoline_kernelINS0_14default_configENS1_27scan_by_key_config_selectorIidEEZZNS1_16scan_by_key_implILNS1_25lookback_scan_determinismE0ELb1ES3_N6thrust23THRUST_200600_302600_NS6detail15normal_iteratorINS9_10device_ptrIiEEEENSB_INSC_IdEEEESG_dNS9_4plusIvEENS9_8equal_toIvEEdEE10hipError_tPvRmT2_T3_T4_T5_mT6_T7_P12ihipStream_tbENKUlT_T0_E_clISt17integral_constantIbLb0EES10_IbLb1EEEEDaSW_SX_EUlSW_E_NS1_11comp_targetILNS1_3genE0ELNS1_11target_archE4294967295ELNS1_3gpuE0ELNS1_3repE0EEENS1_30default_config_static_selectorELNS0_4arch9wavefront6targetE1EEEvT1_,@function
_ZN7rocprim17ROCPRIM_400000_NS6detail17trampoline_kernelINS0_14default_configENS1_27scan_by_key_config_selectorIidEEZZNS1_16scan_by_key_implILNS1_25lookback_scan_determinismE0ELb1ES3_N6thrust23THRUST_200600_302600_NS6detail15normal_iteratorINS9_10device_ptrIiEEEENSB_INSC_IdEEEESG_dNS9_4plusIvEENS9_8equal_toIvEEdEE10hipError_tPvRmT2_T3_T4_T5_mT6_T7_P12ihipStream_tbENKUlT_T0_E_clISt17integral_constantIbLb0EES10_IbLb1EEEEDaSW_SX_EUlSW_E_NS1_11comp_targetILNS1_3genE0ELNS1_11target_archE4294967295ELNS1_3gpuE0ELNS1_3repE0EEENS1_30default_config_static_selectorELNS0_4arch9wavefront6targetE1EEEvT1_: ; @_ZN7rocprim17ROCPRIM_400000_NS6detail17trampoline_kernelINS0_14default_configENS1_27scan_by_key_config_selectorIidEEZZNS1_16scan_by_key_implILNS1_25lookback_scan_determinismE0ELb1ES3_N6thrust23THRUST_200600_302600_NS6detail15normal_iteratorINS9_10device_ptrIiEEEENSB_INSC_IdEEEESG_dNS9_4plusIvEENS9_8equal_toIvEEdEE10hipError_tPvRmT2_T3_T4_T5_mT6_T7_P12ihipStream_tbENKUlT_T0_E_clISt17integral_constantIbLb0EES10_IbLb1EEEEDaSW_SX_EUlSW_E_NS1_11comp_targetILNS1_3genE0ELNS1_11target_archE4294967295ELNS1_3gpuE0ELNS1_3repE0EEENS1_30default_config_static_selectorELNS0_4arch9wavefront6targetE1EEEvT1_
; %bb.0:
	.section	.rodata,"a",@progbits
	.p2align	6, 0x0
	.amdhsa_kernel _ZN7rocprim17ROCPRIM_400000_NS6detail17trampoline_kernelINS0_14default_configENS1_27scan_by_key_config_selectorIidEEZZNS1_16scan_by_key_implILNS1_25lookback_scan_determinismE0ELb1ES3_N6thrust23THRUST_200600_302600_NS6detail15normal_iteratorINS9_10device_ptrIiEEEENSB_INSC_IdEEEESG_dNS9_4plusIvEENS9_8equal_toIvEEdEE10hipError_tPvRmT2_T3_T4_T5_mT6_T7_P12ihipStream_tbENKUlT_T0_E_clISt17integral_constantIbLb0EES10_IbLb1EEEEDaSW_SX_EUlSW_E_NS1_11comp_targetILNS1_3genE0ELNS1_11target_archE4294967295ELNS1_3gpuE0ELNS1_3repE0EEENS1_30default_config_static_selectorELNS0_4arch9wavefront6targetE1EEEvT1_
		.amdhsa_group_segment_fixed_size 0
		.amdhsa_private_segment_fixed_size 0
		.amdhsa_kernarg_size 136
		.amdhsa_user_sgpr_count 2
		.amdhsa_user_sgpr_dispatch_ptr 0
		.amdhsa_user_sgpr_queue_ptr 0
		.amdhsa_user_sgpr_kernarg_segment_ptr 1
		.amdhsa_user_sgpr_dispatch_id 0
		.amdhsa_user_sgpr_kernarg_preload_length 0
		.amdhsa_user_sgpr_kernarg_preload_offset 0
		.amdhsa_user_sgpr_private_segment_size 0
		.amdhsa_uses_dynamic_stack 0
		.amdhsa_enable_private_segment 0
		.amdhsa_system_sgpr_workgroup_id_x 1
		.amdhsa_system_sgpr_workgroup_id_y 0
		.amdhsa_system_sgpr_workgroup_id_z 0
		.amdhsa_system_sgpr_workgroup_info 0
		.amdhsa_system_vgpr_workitem_id 0
		.amdhsa_next_free_vgpr 1
		.amdhsa_next_free_sgpr 0
		.amdhsa_accum_offset 4
		.amdhsa_reserve_vcc 0
		.amdhsa_float_round_mode_32 0
		.amdhsa_float_round_mode_16_64 0
		.amdhsa_float_denorm_mode_32 3
		.amdhsa_float_denorm_mode_16_64 3
		.amdhsa_dx10_clamp 1
		.amdhsa_ieee_mode 1
		.amdhsa_fp16_overflow 0
		.amdhsa_tg_split 0
		.amdhsa_exception_fp_ieee_invalid_op 0
		.amdhsa_exception_fp_denorm_src 0
		.amdhsa_exception_fp_ieee_div_zero 0
		.amdhsa_exception_fp_ieee_overflow 0
		.amdhsa_exception_fp_ieee_underflow 0
		.amdhsa_exception_fp_ieee_inexact 0
		.amdhsa_exception_int_div_zero 0
	.end_amdhsa_kernel
	.section	.text._ZN7rocprim17ROCPRIM_400000_NS6detail17trampoline_kernelINS0_14default_configENS1_27scan_by_key_config_selectorIidEEZZNS1_16scan_by_key_implILNS1_25lookback_scan_determinismE0ELb1ES3_N6thrust23THRUST_200600_302600_NS6detail15normal_iteratorINS9_10device_ptrIiEEEENSB_INSC_IdEEEESG_dNS9_4plusIvEENS9_8equal_toIvEEdEE10hipError_tPvRmT2_T3_T4_T5_mT6_T7_P12ihipStream_tbENKUlT_T0_E_clISt17integral_constantIbLb0EES10_IbLb1EEEEDaSW_SX_EUlSW_E_NS1_11comp_targetILNS1_3genE0ELNS1_11target_archE4294967295ELNS1_3gpuE0ELNS1_3repE0EEENS1_30default_config_static_selectorELNS0_4arch9wavefront6targetE1EEEvT1_,"axG",@progbits,_ZN7rocprim17ROCPRIM_400000_NS6detail17trampoline_kernelINS0_14default_configENS1_27scan_by_key_config_selectorIidEEZZNS1_16scan_by_key_implILNS1_25lookback_scan_determinismE0ELb1ES3_N6thrust23THRUST_200600_302600_NS6detail15normal_iteratorINS9_10device_ptrIiEEEENSB_INSC_IdEEEESG_dNS9_4plusIvEENS9_8equal_toIvEEdEE10hipError_tPvRmT2_T3_T4_T5_mT6_T7_P12ihipStream_tbENKUlT_T0_E_clISt17integral_constantIbLb0EES10_IbLb1EEEEDaSW_SX_EUlSW_E_NS1_11comp_targetILNS1_3genE0ELNS1_11target_archE4294967295ELNS1_3gpuE0ELNS1_3repE0EEENS1_30default_config_static_selectorELNS0_4arch9wavefront6targetE1EEEvT1_,comdat
.Lfunc_end1418:
	.size	_ZN7rocprim17ROCPRIM_400000_NS6detail17trampoline_kernelINS0_14default_configENS1_27scan_by_key_config_selectorIidEEZZNS1_16scan_by_key_implILNS1_25lookback_scan_determinismE0ELb1ES3_N6thrust23THRUST_200600_302600_NS6detail15normal_iteratorINS9_10device_ptrIiEEEENSB_INSC_IdEEEESG_dNS9_4plusIvEENS9_8equal_toIvEEdEE10hipError_tPvRmT2_T3_T4_T5_mT6_T7_P12ihipStream_tbENKUlT_T0_E_clISt17integral_constantIbLb0EES10_IbLb1EEEEDaSW_SX_EUlSW_E_NS1_11comp_targetILNS1_3genE0ELNS1_11target_archE4294967295ELNS1_3gpuE0ELNS1_3repE0EEENS1_30default_config_static_selectorELNS0_4arch9wavefront6targetE1EEEvT1_, .Lfunc_end1418-_ZN7rocprim17ROCPRIM_400000_NS6detail17trampoline_kernelINS0_14default_configENS1_27scan_by_key_config_selectorIidEEZZNS1_16scan_by_key_implILNS1_25lookback_scan_determinismE0ELb1ES3_N6thrust23THRUST_200600_302600_NS6detail15normal_iteratorINS9_10device_ptrIiEEEENSB_INSC_IdEEEESG_dNS9_4plusIvEENS9_8equal_toIvEEdEE10hipError_tPvRmT2_T3_T4_T5_mT6_T7_P12ihipStream_tbENKUlT_T0_E_clISt17integral_constantIbLb0EES10_IbLb1EEEEDaSW_SX_EUlSW_E_NS1_11comp_targetILNS1_3genE0ELNS1_11target_archE4294967295ELNS1_3gpuE0ELNS1_3repE0EEENS1_30default_config_static_selectorELNS0_4arch9wavefront6targetE1EEEvT1_
                                        ; -- End function
	.section	.AMDGPU.csdata,"",@progbits
; Kernel info:
; codeLenInByte = 0
; NumSgprs: 6
; NumVgprs: 0
; NumAgprs: 0
; TotalNumVgprs: 0
; ScratchSize: 0
; MemoryBound: 0
; FloatMode: 240
; IeeeMode: 1
; LDSByteSize: 0 bytes/workgroup (compile time only)
; SGPRBlocks: 0
; VGPRBlocks: 0
; NumSGPRsForWavesPerEU: 6
; NumVGPRsForWavesPerEU: 1
; AccumOffset: 4
; Occupancy: 8
; WaveLimiterHint : 0
; COMPUTE_PGM_RSRC2:SCRATCH_EN: 0
; COMPUTE_PGM_RSRC2:USER_SGPR: 2
; COMPUTE_PGM_RSRC2:TRAP_HANDLER: 0
; COMPUTE_PGM_RSRC2:TGID_X_EN: 1
; COMPUTE_PGM_RSRC2:TGID_Y_EN: 0
; COMPUTE_PGM_RSRC2:TGID_Z_EN: 0
; COMPUTE_PGM_RSRC2:TIDIG_COMP_CNT: 0
; COMPUTE_PGM_RSRC3_GFX90A:ACCUM_OFFSET: 0
; COMPUTE_PGM_RSRC3_GFX90A:TG_SPLIT: 0
	.section	.text._ZN7rocprim17ROCPRIM_400000_NS6detail17trampoline_kernelINS0_14default_configENS1_27scan_by_key_config_selectorIidEEZZNS1_16scan_by_key_implILNS1_25lookback_scan_determinismE0ELb1ES3_N6thrust23THRUST_200600_302600_NS6detail15normal_iteratorINS9_10device_ptrIiEEEENSB_INSC_IdEEEESG_dNS9_4plusIvEENS9_8equal_toIvEEdEE10hipError_tPvRmT2_T3_T4_T5_mT6_T7_P12ihipStream_tbENKUlT_T0_E_clISt17integral_constantIbLb0EES10_IbLb1EEEEDaSW_SX_EUlSW_E_NS1_11comp_targetILNS1_3genE10ELNS1_11target_archE1201ELNS1_3gpuE5ELNS1_3repE0EEENS1_30default_config_static_selectorELNS0_4arch9wavefront6targetE1EEEvT1_,"axG",@progbits,_ZN7rocprim17ROCPRIM_400000_NS6detail17trampoline_kernelINS0_14default_configENS1_27scan_by_key_config_selectorIidEEZZNS1_16scan_by_key_implILNS1_25lookback_scan_determinismE0ELb1ES3_N6thrust23THRUST_200600_302600_NS6detail15normal_iteratorINS9_10device_ptrIiEEEENSB_INSC_IdEEEESG_dNS9_4plusIvEENS9_8equal_toIvEEdEE10hipError_tPvRmT2_T3_T4_T5_mT6_T7_P12ihipStream_tbENKUlT_T0_E_clISt17integral_constantIbLb0EES10_IbLb1EEEEDaSW_SX_EUlSW_E_NS1_11comp_targetILNS1_3genE10ELNS1_11target_archE1201ELNS1_3gpuE5ELNS1_3repE0EEENS1_30default_config_static_selectorELNS0_4arch9wavefront6targetE1EEEvT1_,comdat
	.protected	_ZN7rocprim17ROCPRIM_400000_NS6detail17trampoline_kernelINS0_14default_configENS1_27scan_by_key_config_selectorIidEEZZNS1_16scan_by_key_implILNS1_25lookback_scan_determinismE0ELb1ES3_N6thrust23THRUST_200600_302600_NS6detail15normal_iteratorINS9_10device_ptrIiEEEENSB_INSC_IdEEEESG_dNS9_4plusIvEENS9_8equal_toIvEEdEE10hipError_tPvRmT2_T3_T4_T5_mT6_T7_P12ihipStream_tbENKUlT_T0_E_clISt17integral_constantIbLb0EES10_IbLb1EEEEDaSW_SX_EUlSW_E_NS1_11comp_targetILNS1_3genE10ELNS1_11target_archE1201ELNS1_3gpuE5ELNS1_3repE0EEENS1_30default_config_static_selectorELNS0_4arch9wavefront6targetE1EEEvT1_ ; -- Begin function _ZN7rocprim17ROCPRIM_400000_NS6detail17trampoline_kernelINS0_14default_configENS1_27scan_by_key_config_selectorIidEEZZNS1_16scan_by_key_implILNS1_25lookback_scan_determinismE0ELb1ES3_N6thrust23THRUST_200600_302600_NS6detail15normal_iteratorINS9_10device_ptrIiEEEENSB_INSC_IdEEEESG_dNS9_4plusIvEENS9_8equal_toIvEEdEE10hipError_tPvRmT2_T3_T4_T5_mT6_T7_P12ihipStream_tbENKUlT_T0_E_clISt17integral_constantIbLb0EES10_IbLb1EEEEDaSW_SX_EUlSW_E_NS1_11comp_targetILNS1_3genE10ELNS1_11target_archE1201ELNS1_3gpuE5ELNS1_3repE0EEENS1_30default_config_static_selectorELNS0_4arch9wavefront6targetE1EEEvT1_
	.globl	_ZN7rocprim17ROCPRIM_400000_NS6detail17trampoline_kernelINS0_14default_configENS1_27scan_by_key_config_selectorIidEEZZNS1_16scan_by_key_implILNS1_25lookback_scan_determinismE0ELb1ES3_N6thrust23THRUST_200600_302600_NS6detail15normal_iteratorINS9_10device_ptrIiEEEENSB_INSC_IdEEEESG_dNS9_4plusIvEENS9_8equal_toIvEEdEE10hipError_tPvRmT2_T3_T4_T5_mT6_T7_P12ihipStream_tbENKUlT_T0_E_clISt17integral_constantIbLb0EES10_IbLb1EEEEDaSW_SX_EUlSW_E_NS1_11comp_targetILNS1_3genE10ELNS1_11target_archE1201ELNS1_3gpuE5ELNS1_3repE0EEENS1_30default_config_static_selectorELNS0_4arch9wavefront6targetE1EEEvT1_
	.p2align	8
	.type	_ZN7rocprim17ROCPRIM_400000_NS6detail17trampoline_kernelINS0_14default_configENS1_27scan_by_key_config_selectorIidEEZZNS1_16scan_by_key_implILNS1_25lookback_scan_determinismE0ELb1ES3_N6thrust23THRUST_200600_302600_NS6detail15normal_iteratorINS9_10device_ptrIiEEEENSB_INSC_IdEEEESG_dNS9_4plusIvEENS9_8equal_toIvEEdEE10hipError_tPvRmT2_T3_T4_T5_mT6_T7_P12ihipStream_tbENKUlT_T0_E_clISt17integral_constantIbLb0EES10_IbLb1EEEEDaSW_SX_EUlSW_E_NS1_11comp_targetILNS1_3genE10ELNS1_11target_archE1201ELNS1_3gpuE5ELNS1_3repE0EEENS1_30default_config_static_selectorELNS0_4arch9wavefront6targetE1EEEvT1_,@function
_ZN7rocprim17ROCPRIM_400000_NS6detail17trampoline_kernelINS0_14default_configENS1_27scan_by_key_config_selectorIidEEZZNS1_16scan_by_key_implILNS1_25lookback_scan_determinismE0ELb1ES3_N6thrust23THRUST_200600_302600_NS6detail15normal_iteratorINS9_10device_ptrIiEEEENSB_INSC_IdEEEESG_dNS9_4plusIvEENS9_8equal_toIvEEdEE10hipError_tPvRmT2_T3_T4_T5_mT6_T7_P12ihipStream_tbENKUlT_T0_E_clISt17integral_constantIbLb0EES10_IbLb1EEEEDaSW_SX_EUlSW_E_NS1_11comp_targetILNS1_3genE10ELNS1_11target_archE1201ELNS1_3gpuE5ELNS1_3repE0EEENS1_30default_config_static_selectorELNS0_4arch9wavefront6targetE1EEEvT1_: ; @_ZN7rocprim17ROCPRIM_400000_NS6detail17trampoline_kernelINS0_14default_configENS1_27scan_by_key_config_selectorIidEEZZNS1_16scan_by_key_implILNS1_25lookback_scan_determinismE0ELb1ES3_N6thrust23THRUST_200600_302600_NS6detail15normal_iteratorINS9_10device_ptrIiEEEENSB_INSC_IdEEEESG_dNS9_4plusIvEENS9_8equal_toIvEEdEE10hipError_tPvRmT2_T3_T4_T5_mT6_T7_P12ihipStream_tbENKUlT_T0_E_clISt17integral_constantIbLb0EES10_IbLb1EEEEDaSW_SX_EUlSW_E_NS1_11comp_targetILNS1_3genE10ELNS1_11target_archE1201ELNS1_3gpuE5ELNS1_3repE0EEENS1_30default_config_static_selectorELNS0_4arch9wavefront6targetE1EEEvT1_
; %bb.0:
	.section	.rodata,"a",@progbits
	.p2align	6, 0x0
	.amdhsa_kernel _ZN7rocprim17ROCPRIM_400000_NS6detail17trampoline_kernelINS0_14default_configENS1_27scan_by_key_config_selectorIidEEZZNS1_16scan_by_key_implILNS1_25lookback_scan_determinismE0ELb1ES3_N6thrust23THRUST_200600_302600_NS6detail15normal_iteratorINS9_10device_ptrIiEEEENSB_INSC_IdEEEESG_dNS9_4plusIvEENS9_8equal_toIvEEdEE10hipError_tPvRmT2_T3_T4_T5_mT6_T7_P12ihipStream_tbENKUlT_T0_E_clISt17integral_constantIbLb0EES10_IbLb1EEEEDaSW_SX_EUlSW_E_NS1_11comp_targetILNS1_3genE10ELNS1_11target_archE1201ELNS1_3gpuE5ELNS1_3repE0EEENS1_30default_config_static_selectorELNS0_4arch9wavefront6targetE1EEEvT1_
		.amdhsa_group_segment_fixed_size 0
		.amdhsa_private_segment_fixed_size 0
		.amdhsa_kernarg_size 136
		.amdhsa_user_sgpr_count 2
		.amdhsa_user_sgpr_dispatch_ptr 0
		.amdhsa_user_sgpr_queue_ptr 0
		.amdhsa_user_sgpr_kernarg_segment_ptr 1
		.amdhsa_user_sgpr_dispatch_id 0
		.amdhsa_user_sgpr_kernarg_preload_length 0
		.amdhsa_user_sgpr_kernarg_preload_offset 0
		.amdhsa_user_sgpr_private_segment_size 0
		.amdhsa_uses_dynamic_stack 0
		.amdhsa_enable_private_segment 0
		.amdhsa_system_sgpr_workgroup_id_x 1
		.amdhsa_system_sgpr_workgroup_id_y 0
		.amdhsa_system_sgpr_workgroup_id_z 0
		.amdhsa_system_sgpr_workgroup_info 0
		.amdhsa_system_vgpr_workitem_id 0
		.amdhsa_next_free_vgpr 1
		.amdhsa_next_free_sgpr 0
		.amdhsa_accum_offset 4
		.amdhsa_reserve_vcc 0
		.amdhsa_float_round_mode_32 0
		.amdhsa_float_round_mode_16_64 0
		.amdhsa_float_denorm_mode_32 3
		.amdhsa_float_denorm_mode_16_64 3
		.amdhsa_dx10_clamp 1
		.amdhsa_ieee_mode 1
		.amdhsa_fp16_overflow 0
		.amdhsa_tg_split 0
		.amdhsa_exception_fp_ieee_invalid_op 0
		.amdhsa_exception_fp_denorm_src 0
		.amdhsa_exception_fp_ieee_div_zero 0
		.amdhsa_exception_fp_ieee_overflow 0
		.amdhsa_exception_fp_ieee_underflow 0
		.amdhsa_exception_fp_ieee_inexact 0
		.amdhsa_exception_int_div_zero 0
	.end_amdhsa_kernel
	.section	.text._ZN7rocprim17ROCPRIM_400000_NS6detail17trampoline_kernelINS0_14default_configENS1_27scan_by_key_config_selectorIidEEZZNS1_16scan_by_key_implILNS1_25lookback_scan_determinismE0ELb1ES3_N6thrust23THRUST_200600_302600_NS6detail15normal_iteratorINS9_10device_ptrIiEEEENSB_INSC_IdEEEESG_dNS9_4plusIvEENS9_8equal_toIvEEdEE10hipError_tPvRmT2_T3_T4_T5_mT6_T7_P12ihipStream_tbENKUlT_T0_E_clISt17integral_constantIbLb0EES10_IbLb1EEEEDaSW_SX_EUlSW_E_NS1_11comp_targetILNS1_3genE10ELNS1_11target_archE1201ELNS1_3gpuE5ELNS1_3repE0EEENS1_30default_config_static_selectorELNS0_4arch9wavefront6targetE1EEEvT1_,"axG",@progbits,_ZN7rocprim17ROCPRIM_400000_NS6detail17trampoline_kernelINS0_14default_configENS1_27scan_by_key_config_selectorIidEEZZNS1_16scan_by_key_implILNS1_25lookback_scan_determinismE0ELb1ES3_N6thrust23THRUST_200600_302600_NS6detail15normal_iteratorINS9_10device_ptrIiEEEENSB_INSC_IdEEEESG_dNS9_4plusIvEENS9_8equal_toIvEEdEE10hipError_tPvRmT2_T3_T4_T5_mT6_T7_P12ihipStream_tbENKUlT_T0_E_clISt17integral_constantIbLb0EES10_IbLb1EEEEDaSW_SX_EUlSW_E_NS1_11comp_targetILNS1_3genE10ELNS1_11target_archE1201ELNS1_3gpuE5ELNS1_3repE0EEENS1_30default_config_static_selectorELNS0_4arch9wavefront6targetE1EEEvT1_,comdat
.Lfunc_end1419:
	.size	_ZN7rocprim17ROCPRIM_400000_NS6detail17trampoline_kernelINS0_14default_configENS1_27scan_by_key_config_selectorIidEEZZNS1_16scan_by_key_implILNS1_25lookback_scan_determinismE0ELb1ES3_N6thrust23THRUST_200600_302600_NS6detail15normal_iteratorINS9_10device_ptrIiEEEENSB_INSC_IdEEEESG_dNS9_4plusIvEENS9_8equal_toIvEEdEE10hipError_tPvRmT2_T3_T4_T5_mT6_T7_P12ihipStream_tbENKUlT_T0_E_clISt17integral_constantIbLb0EES10_IbLb1EEEEDaSW_SX_EUlSW_E_NS1_11comp_targetILNS1_3genE10ELNS1_11target_archE1201ELNS1_3gpuE5ELNS1_3repE0EEENS1_30default_config_static_selectorELNS0_4arch9wavefront6targetE1EEEvT1_, .Lfunc_end1419-_ZN7rocprim17ROCPRIM_400000_NS6detail17trampoline_kernelINS0_14default_configENS1_27scan_by_key_config_selectorIidEEZZNS1_16scan_by_key_implILNS1_25lookback_scan_determinismE0ELb1ES3_N6thrust23THRUST_200600_302600_NS6detail15normal_iteratorINS9_10device_ptrIiEEEENSB_INSC_IdEEEESG_dNS9_4plusIvEENS9_8equal_toIvEEdEE10hipError_tPvRmT2_T3_T4_T5_mT6_T7_P12ihipStream_tbENKUlT_T0_E_clISt17integral_constantIbLb0EES10_IbLb1EEEEDaSW_SX_EUlSW_E_NS1_11comp_targetILNS1_3genE10ELNS1_11target_archE1201ELNS1_3gpuE5ELNS1_3repE0EEENS1_30default_config_static_selectorELNS0_4arch9wavefront6targetE1EEEvT1_
                                        ; -- End function
	.section	.AMDGPU.csdata,"",@progbits
; Kernel info:
; codeLenInByte = 0
; NumSgprs: 6
; NumVgprs: 0
; NumAgprs: 0
; TotalNumVgprs: 0
; ScratchSize: 0
; MemoryBound: 0
; FloatMode: 240
; IeeeMode: 1
; LDSByteSize: 0 bytes/workgroup (compile time only)
; SGPRBlocks: 0
; VGPRBlocks: 0
; NumSGPRsForWavesPerEU: 6
; NumVGPRsForWavesPerEU: 1
; AccumOffset: 4
; Occupancy: 8
; WaveLimiterHint : 0
; COMPUTE_PGM_RSRC2:SCRATCH_EN: 0
; COMPUTE_PGM_RSRC2:USER_SGPR: 2
; COMPUTE_PGM_RSRC2:TRAP_HANDLER: 0
; COMPUTE_PGM_RSRC2:TGID_X_EN: 1
; COMPUTE_PGM_RSRC2:TGID_Y_EN: 0
; COMPUTE_PGM_RSRC2:TGID_Z_EN: 0
; COMPUTE_PGM_RSRC2:TIDIG_COMP_CNT: 0
; COMPUTE_PGM_RSRC3_GFX90A:ACCUM_OFFSET: 0
; COMPUTE_PGM_RSRC3_GFX90A:TG_SPLIT: 0
	.section	.text._ZN7rocprim17ROCPRIM_400000_NS6detail17trampoline_kernelINS0_14default_configENS1_27scan_by_key_config_selectorIidEEZZNS1_16scan_by_key_implILNS1_25lookback_scan_determinismE0ELb1ES3_N6thrust23THRUST_200600_302600_NS6detail15normal_iteratorINS9_10device_ptrIiEEEENSB_INSC_IdEEEESG_dNS9_4plusIvEENS9_8equal_toIvEEdEE10hipError_tPvRmT2_T3_T4_T5_mT6_T7_P12ihipStream_tbENKUlT_T0_E_clISt17integral_constantIbLb0EES10_IbLb1EEEEDaSW_SX_EUlSW_E_NS1_11comp_targetILNS1_3genE5ELNS1_11target_archE942ELNS1_3gpuE9ELNS1_3repE0EEENS1_30default_config_static_selectorELNS0_4arch9wavefront6targetE1EEEvT1_,"axG",@progbits,_ZN7rocprim17ROCPRIM_400000_NS6detail17trampoline_kernelINS0_14default_configENS1_27scan_by_key_config_selectorIidEEZZNS1_16scan_by_key_implILNS1_25lookback_scan_determinismE0ELb1ES3_N6thrust23THRUST_200600_302600_NS6detail15normal_iteratorINS9_10device_ptrIiEEEENSB_INSC_IdEEEESG_dNS9_4plusIvEENS9_8equal_toIvEEdEE10hipError_tPvRmT2_T3_T4_T5_mT6_T7_P12ihipStream_tbENKUlT_T0_E_clISt17integral_constantIbLb0EES10_IbLb1EEEEDaSW_SX_EUlSW_E_NS1_11comp_targetILNS1_3genE5ELNS1_11target_archE942ELNS1_3gpuE9ELNS1_3repE0EEENS1_30default_config_static_selectorELNS0_4arch9wavefront6targetE1EEEvT1_,comdat
	.protected	_ZN7rocprim17ROCPRIM_400000_NS6detail17trampoline_kernelINS0_14default_configENS1_27scan_by_key_config_selectorIidEEZZNS1_16scan_by_key_implILNS1_25lookback_scan_determinismE0ELb1ES3_N6thrust23THRUST_200600_302600_NS6detail15normal_iteratorINS9_10device_ptrIiEEEENSB_INSC_IdEEEESG_dNS9_4plusIvEENS9_8equal_toIvEEdEE10hipError_tPvRmT2_T3_T4_T5_mT6_T7_P12ihipStream_tbENKUlT_T0_E_clISt17integral_constantIbLb0EES10_IbLb1EEEEDaSW_SX_EUlSW_E_NS1_11comp_targetILNS1_3genE5ELNS1_11target_archE942ELNS1_3gpuE9ELNS1_3repE0EEENS1_30default_config_static_selectorELNS0_4arch9wavefront6targetE1EEEvT1_ ; -- Begin function _ZN7rocprim17ROCPRIM_400000_NS6detail17trampoline_kernelINS0_14default_configENS1_27scan_by_key_config_selectorIidEEZZNS1_16scan_by_key_implILNS1_25lookback_scan_determinismE0ELb1ES3_N6thrust23THRUST_200600_302600_NS6detail15normal_iteratorINS9_10device_ptrIiEEEENSB_INSC_IdEEEESG_dNS9_4plusIvEENS9_8equal_toIvEEdEE10hipError_tPvRmT2_T3_T4_T5_mT6_T7_P12ihipStream_tbENKUlT_T0_E_clISt17integral_constantIbLb0EES10_IbLb1EEEEDaSW_SX_EUlSW_E_NS1_11comp_targetILNS1_3genE5ELNS1_11target_archE942ELNS1_3gpuE9ELNS1_3repE0EEENS1_30default_config_static_selectorELNS0_4arch9wavefront6targetE1EEEvT1_
	.globl	_ZN7rocprim17ROCPRIM_400000_NS6detail17trampoline_kernelINS0_14default_configENS1_27scan_by_key_config_selectorIidEEZZNS1_16scan_by_key_implILNS1_25lookback_scan_determinismE0ELb1ES3_N6thrust23THRUST_200600_302600_NS6detail15normal_iteratorINS9_10device_ptrIiEEEENSB_INSC_IdEEEESG_dNS9_4plusIvEENS9_8equal_toIvEEdEE10hipError_tPvRmT2_T3_T4_T5_mT6_T7_P12ihipStream_tbENKUlT_T0_E_clISt17integral_constantIbLb0EES10_IbLb1EEEEDaSW_SX_EUlSW_E_NS1_11comp_targetILNS1_3genE5ELNS1_11target_archE942ELNS1_3gpuE9ELNS1_3repE0EEENS1_30default_config_static_selectorELNS0_4arch9wavefront6targetE1EEEvT1_
	.p2align	8
	.type	_ZN7rocprim17ROCPRIM_400000_NS6detail17trampoline_kernelINS0_14default_configENS1_27scan_by_key_config_selectorIidEEZZNS1_16scan_by_key_implILNS1_25lookback_scan_determinismE0ELb1ES3_N6thrust23THRUST_200600_302600_NS6detail15normal_iteratorINS9_10device_ptrIiEEEENSB_INSC_IdEEEESG_dNS9_4plusIvEENS9_8equal_toIvEEdEE10hipError_tPvRmT2_T3_T4_T5_mT6_T7_P12ihipStream_tbENKUlT_T0_E_clISt17integral_constantIbLb0EES10_IbLb1EEEEDaSW_SX_EUlSW_E_NS1_11comp_targetILNS1_3genE5ELNS1_11target_archE942ELNS1_3gpuE9ELNS1_3repE0EEENS1_30default_config_static_selectorELNS0_4arch9wavefront6targetE1EEEvT1_,@function
_ZN7rocprim17ROCPRIM_400000_NS6detail17trampoline_kernelINS0_14default_configENS1_27scan_by_key_config_selectorIidEEZZNS1_16scan_by_key_implILNS1_25lookback_scan_determinismE0ELb1ES3_N6thrust23THRUST_200600_302600_NS6detail15normal_iteratorINS9_10device_ptrIiEEEENSB_INSC_IdEEEESG_dNS9_4plusIvEENS9_8equal_toIvEEdEE10hipError_tPvRmT2_T3_T4_T5_mT6_T7_P12ihipStream_tbENKUlT_T0_E_clISt17integral_constantIbLb0EES10_IbLb1EEEEDaSW_SX_EUlSW_E_NS1_11comp_targetILNS1_3genE5ELNS1_11target_archE942ELNS1_3gpuE9ELNS1_3repE0EEENS1_30default_config_static_selectorELNS0_4arch9wavefront6targetE1EEEvT1_: ; @_ZN7rocprim17ROCPRIM_400000_NS6detail17trampoline_kernelINS0_14default_configENS1_27scan_by_key_config_selectorIidEEZZNS1_16scan_by_key_implILNS1_25lookback_scan_determinismE0ELb1ES3_N6thrust23THRUST_200600_302600_NS6detail15normal_iteratorINS9_10device_ptrIiEEEENSB_INSC_IdEEEESG_dNS9_4plusIvEENS9_8equal_toIvEEdEE10hipError_tPvRmT2_T3_T4_T5_mT6_T7_P12ihipStream_tbENKUlT_T0_E_clISt17integral_constantIbLb0EES10_IbLb1EEEEDaSW_SX_EUlSW_E_NS1_11comp_targetILNS1_3genE5ELNS1_11target_archE942ELNS1_3gpuE9ELNS1_3repE0EEENS1_30default_config_static_selectorELNS0_4arch9wavefront6targetE1EEEvT1_
; %bb.0:
	s_load_dwordx8 s[56:63], s[0:1], 0x0
	s_load_dwordx2 s[68:69], s[0:1], 0x20
	s_load_dwordx8 s[48:55], s[0:1], 0x30
	s_load_dwordx2 s[70:71], s[0:1], 0x50
	v_cmp_eq_u32_e64 s[2:3], 0, v0
	s_and_saveexec_b64 s[4:5], s[2:3]
	s_cbranch_execz .LBB1420_4
; %bb.1:
	s_mov_b64 s[8:9], exec
	v_mbcnt_lo_u32_b32 v1, s8, 0
	v_mbcnt_hi_u32_b32 v1, s9, v1
	v_cmp_eq_u32_e32 vcc, 0, v1
                                        ; implicit-def: $vgpr2
	s_and_saveexec_b64 s[6:7], vcc
	s_cbranch_execz .LBB1420_3
; %bb.2:
	s_load_dwordx2 s[10:11], s[0:1], 0x80
	s_bcnt1_i32_b64 s8, s[8:9]
	v_mov_b32_e32 v2, 0
	v_mov_b32_e32 v3, s8
	s_waitcnt lgkmcnt(0)
	global_atomic_add v2, v2, v3, s[10:11] sc0
.LBB1420_3:
	s_or_b64 exec, exec, s[6:7]
	s_waitcnt vmcnt(0)
	v_readfirstlane_b32 s6, v2
	v_mov_b32_e32 v2, 0
	s_nop 0
	v_add_u32_e32 v1, s6, v1
	ds_write_b32 v2, v1
.LBB1420_4:
	s_or_b64 exec, exec, s[4:5]
	s_load_dword s4, s[0:1], 0x58
	s_load_dwordx4 s[64:67], s[0:1], 0x60
	v_mov_b32_e32 v3, 0
	s_waitcnt lgkmcnt(0)
	s_lshl_b64 s[0:1], s[58:59], 2
	s_barrier
	ds_read_b32 v2, v3
	s_add_u32 s0, s56, s0
	s_addc_u32 s1, s57, s1
	s_lshl_b64 s[56:57], s[58:59], 3
	s_add_u32 s6, s60, s56
	s_mul_i32 s5, s71, s4
	s_mul_hi_u32 s8, s70, s4
	s_addc_u32 s7, s61, s57
	s_add_i32 s5, s8, s5
	s_movk_i32 s8, 0x1500
	s_waitcnt lgkmcnt(0)
	v_mul_lo_u32 v4, v2, s8
	v_mov_b32_e32 v5, v3
	v_lshlrev_b64 v[6:7], 2, v[4:5]
	v_lshlrev_b64 v[42:43], 3, v[4:5]
	s_mul_i32 s4, s70, s4
	v_lshl_add_u64 v[8:9], s[0:1], 0, v[6:7]
	v_lshl_add_u64 v[6:7], s[6:7], 0, v[42:43]
	s_add_u32 s6, s64, -1
	v_readfirstlane_b32 s55, v2
	v_lshl_add_u64 v[2:3], s[4:5], 0, v[2:3]
	s_addc_u32 s7, s65, -1
	v_cmp_le_u64_e64 s[0:1], s[6:7], v[2:3]
	s_mov_b64 s[4:5], -1
	s_and_b64 vcc, exec, s[0:1]
	s_mul_i32 s33, s6, 0xffffeb00
	s_barrier
	s_barrier
	s_cbranch_vccz .LBB1420_69
; %bb.5:
	flat_load_dword v2, v[8:9]
	s_add_i32 s64, s33, s54
	v_cmp_gt_u32_e32 vcc, s64, v0
	s_waitcnt vmcnt(0) lgkmcnt(0)
	v_mov_b32_e32 v4, v2
	s_and_saveexec_b64 s[4:5], vcc
	s_cbranch_execz .LBB1420_7
; %bb.6:
	v_lshlrev_b32_e32 v4, 2, v0
	v_mov_b32_e32 v5, 0
	v_lshl_add_u64 v[4:5], v[8:9], 0, v[4:5]
	flat_load_dword v4, v[4:5]
.LBB1420_7:
	s_or_b64 exec, exec, s[4:5]
	v_or_b32_e32 v1, 0x100, v0
	v_cmp_gt_u32_e64 s[4:5], s64, v1
	v_mov_b32_e32 v5, v2
	s_and_saveexec_b64 s[6:7], s[4:5]
	s_cbranch_execz .LBB1420_9
; %bb.8:
	v_lshlrev_b32_e32 v10, 2, v0
	v_mov_b32_e32 v11, 0
	v_lshl_add_u64 v[10:11], v[8:9], 0, v[10:11]
	flat_load_dword v5, v[10:11] offset:1024
.LBB1420_9:
	s_or_b64 exec, exec, s[6:7]
	v_or_b32_e32 v1, 0x200, v0
	v_cmp_gt_u32_e64 s[6:7], s64, v1
	v_mov_b32_e32 v10, v2
	s_and_saveexec_b64 s[8:9], s[6:7]
	s_cbranch_execz .LBB1420_11
; %bb.10:
	v_lshlrev_b32_e32 v10, 2, v0
	v_mov_b32_e32 v11, 0
	v_lshl_add_u64 v[10:11], v[8:9], 0, v[10:11]
	flat_load_dword v10, v[10:11] offset:2048
.LBB1420_11:
	;; [unrolled: 12-line block ×3, first 2 shown]
	s_or_b64 exec, exec, s[10:11]
	v_or_b32_e32 v36, 0x400, v0
	v_cmp_gt_u32_e64 s[10:11], s64, v36
	v_mov_b32_e32 v12, v2
	s_and_saveexec_b64 s[12:13], s[10:11]
	s_cbranch_execz .LBB1420_15
; %bb.14:
	v_lshlrev_b32_e32 v12, 2, v36
	v_mov_b32_e32 v13, 0
	v_lshl_add_u64 v[12:13], v[8:9], 0, v[12:13]
	flat_load_dword v12, v[12:13]
.LBB1420_15:
	s_or_b64 exec, exec, s[12:13]
	v_or_b32_e32 v38, 0x500, v0
	v_cmp_gt_u32_e64 s[12:13], s64, v38
	v_mov_b32_e32 v13, v2
	s_and_saveexec_b64 s[14:15], s[12:13]
	s_cbranch_execz .LBB1420_17
; %bb.16:
	v_lshlrev_b32_e32 v14, 2, v38
	v_mov_b32_e32 v15, 0
	v_lshl_add_u64 v[14:15], v[8:9], 0, v[14:15]
	flat_load_dword v13, v[14:15]
.LBB1420_17:
	;; [unrolled: 12-line block ×16, first 2 shown]
	s_or_b64 exec, exec, s[44:45]
	v_or_b32_e32 v70, 0x1400, v0
	v_cmp_gt_u32_e64 s[44:45], s64, v70
	v_mov_b32_e32 v3, 0
	s_and_saveexec_b64 s[46:47], s[44:45]
	s_cbranch_execz .LBB1420_47
; %bb.46:
	v_lshlrev_b32_e32 v2, 2, v70
	v_lshl_add_u64 v[2:3], v[8:9], 0, v[2:3]
	flat_load_dword v2, v[2:3]
.LBB1420_47:
	s_or_b64 exec, exec, s[46:47]
	v_lshlrev_b32_e32 v3, 2, v0
	s_waitcnt vmcnt(0) lgkmcnt(0)
	ds_write2st64_b32 v3, v4, v5 offset1:4
	ds_write2st64_b32 v3, v10, v11 offset0:8 offset1:12
	ds_write2st64_b32 v3, v12, v13 offset0:16 offset1:20
	;; [unrolled: 1-line block ×9, first 2 shown]
	ds_write_b32 v3, v2 offset:20480
	s_waitcnt lgkmcnt(0)
	s_barrier
	flat_load_dword v84, v[8:9]
	s_movk_i32 s46, 0x50
	v_mad_u32_u24 v2, v0, s46, v3
	s_movk_i32 s46, 0xffb0
	v_mad_i32_i24 v71, v0, s46, v2
	s_movk_i32 s46, 0xff
	v_cmp_ne_u32_e64 s[46:47], s46, v0
	ds_read_b32 v86, v2
	ds_read2_b32 v[28:29], v2 offset0:1 offset1:2
	ds_read2_b32 v[26:27], v2 offset0:3 offset1:4
	;; [unrolled: 1-line block ×10, first 2 shown]
	s_waitcnt lgkmcnt(0)
	ds_write_b32 v71, v86 offset:22528
	s_waitcnt lgkmcnt(0)
	s_barrier
	s_and_saveexec_b64 s[58:59], s[46:47]
	s_cbranch_execz .LBB1420_49
; %bb.48:
	s_waitcnt vmcnt(0)
	ds_read_b32 v84, v3 offset:22532
.LBB1420_49:
	s_or_b64 exec, exec, s[58:59]
	v_mov_b32_e32 v5, 0
	s_waitcnt lgkmcnt(0)
	s_barrier
	s_waitcnt lgkmcnt(0)
                                        ; implicit-def: $vgpr2_vgpr3
	s_and_saveexec_b64 s[46:47], vcc
	s_cbranch_execz .LBB1420_70
; %bb.50:
	v_lshlrev_b32_e32 v4, 3, v0
	v_lshl_add_u64 v[2:3], v[6:7], 0, v[4:5]
	flat_load_dwordx2 v[2:3], v[2:3]
	s_or_b64 exec, exec, s[46:47]
                                        ; implicit-def: $vgpr4_vgpr5
	s_and_saveexec_b64 s[46:47], s[4:5]
	s_cbranch_execnz .LBB1420_71
.LBB1420_51:
	s_or_b64 exec, exec, s[46:47]
                                        ; implicit-def: $vgpr30_vgpr31
	s_and_saveexec_b64 s[4:5], s[6:7]
	s_cbranch_execz .LBB1420_72
.LBB1420_52:
	v_lshlrev_b32_e32 v30, 3, v1
	v_mov_b32_e32 v31, 0
	v_lshl_add_u64 v[30:31], v[6:7], 0, v[30:31]
	flat_load_dwordx2 v[30:31], v[30:31]
	s_or_b64 exec, exec, s[4:5]
                                        ; implicit-def: $vgpr32_vgpr33
	s_and_saveexec_b64 s[4:5], s[8:9]
	s_cbranch_execnz .LBB1420_73
.LBB1420_53:
	s_or_b64 exec, exec, s[4:5]
                                        ; implicit-def: $vgpr34_vgpr35
	s_and_saveexec_b64 s[4:5], s[10:11]
	s_cbranch_execz .LBB1420_74
.LBB1420_54:
	v_lshlrev_b32_e32 v34, 3, v36
	v_mov_b32_e32 v35, 0
	v_lshl_add_u64 v[34:35], v[6:7], 0, v[34:35]
	flat_load_dwordx2 v[34:35], v[34:35]
	s_or_b64 exec, exec, s[4:5]
                                        ; implicit-def: $vgpr36_vgpr37
	s_and_saveexec_b64 s[4:5], s[12:13]
	s_cbranch_execnz .LBB1420_75
.LBB1420_55:
	s_or_b64 exec, exec, s[4:5]
                                        ; implicit-def: $vgpr38_vgpr39
	s_and_saveexec_b64 s[4:5], s[14:15]
	s_cbranch_execz .LBB1420_76
.LBB1420_56:
	v_lshlrev_b32_e32 v38, 3, v40
	v_mov_b32_e32 v39, 0
	v_lshl_add_u64 v[38:39], v[6:7], 0, v[38:39]
	flat_load_dwordx2 v[38:39], v[38:39]
	s_or_b64 exec, exec, s[4:5]
                                        ; implicit-def: $vgpr40_vgpr41
	s_and_saveexec_b64 s[4:5], s[16:17]
	s_cbranch_execnz .LBB1420_77
.LBB1420_57:
	s_or_b64 exec, exec, s[4:5]
                                        ; implicit-def: $vgpr44_vgpr45
	s_and_saveexec_b64 s[4:5], s[18:19]
	s_cbranch_execz .LBB1420_78
.LBB1420_58:
	v_lshlrev_b32_e32 v44, 3, v46
	v_mov_b32_e32 v45, 0
	v_lshl_add_u64 v[44:45], v[6:7], 0, v[44:45]
	flat_load_dwordx2 v[44:45], v[44:45]
	s_or_b64 exec, exec, s[4:5]
                                        ; implicit-def: $vgpr46_vgpr47
	s_and_saveexec_b64 s[4:5], s[20:21]
	s_cbranch_execnz .LBB1420_79
.LBB1420_59:
	s_or_b64 exec, exec, s[4:5]
                                        ; implicit-def: $vgpr48_vgpr49
	s_and_saveexec_b64 s[4:5], s[22:23]
	s_cbranch_execz .LBB1420_80
.LBB1420_60:
	v_lshlrev_b32_e32 v48, 3, v50
	v_mov_b32_e32 v49, 0
	v_lshl_add_u64 v[48:49], v[6:7], 0, v[48:49]
	flat_load_dwordx2 v[48:49], v[48:49]
	s_or_b64 exec, exec, s[4:5]
                                        ; implicit-def: $vgpr50_vgpr51
	s_and_saveexec_b64 s[4:5], s[24:25]
	s_cbranch_execnz .LBB1420_81
.LBB1420_61:
	s_or_b64 exec, exec, s[4:5]
                                        ; implicit-def: $vgpr52_vgpr53
	s_and_saveexec_b64 s[4:5], s[26:27]
	s_cbranch_execz .LBB1420_82
.LBB1420_62:
	v_lshlrev_b32_e32 v52, 3, v54
	v_mov_b32_e32 v53, 0
	v_lshl_add_u64 v[52:53], v[6:7], 0, v[52:53]
	flat_load_dwordx2 v[52:53], v[52:53]
	s_or_b64 exec, exec, s[4:5]
                                        ; implicit-def: $vgpr54_vgpr55
	s_and_saveexec_b64 s[4:5], s[28:29]
	s_cbranch_execnz .LBB1420_83
.LBB1420_63:
	s_or_b64 exec, exec, s[4:5]
                                        ; implicit-def: $vgpr56_vgpr57
	s_and_saveexec_b64 s[4:5], s[30:31]
	s_cbranch_execz .LBB1420_84
.LBB1420_64:
	v_lshlrev_b32_e32 v56, 3, v58
	v_mov_b32_e32 v57, 0
	v_lshl_add_u64 v[56:57], v[6:7], 0, v[56:57]
	flat_load_dwordx2 v[56:57], v[56:57]
	s_or_b64 exec, exec, s[4:5]
                                        ; implicit-def: $vgpr58_vgpr59
	s_and_saveexec_b64 s[4:5], s[34:35]
	s_cbranch_execnz .LBB1420_85
.LBB1420_65:
	s_or_b64 exec, exec, s[4:5]
                                        ; implicit-def: $vgpr60_vgpr61
	s_and_saveexec_b64 s[4:5], s[36:37]
	s_cbranch_execz .LBB1420_86
.LBB1420_66:
	v_lshlrev_b32_e32 v60, 3, v62
	v_mov_b32_e32 v61, 0
	v_lshl_add_u64 v[60:61], v[6:7], 0, v[60:61]
	flat_load_dwordx2 v[60:61], v[60:61]
	s_or_b64 exec, exec, s[4:5]
                                        ; implicit-def: $vgpr62_vgpr63
	s_and_saveexec_b64 s[4:5], s[38:39]
	s_cbranch_execnz .LBB1420_87
.LBB1420_67:
	s_or_b64 exec, exec, s[4:5]
                                        ; implicit-def: $vgpr64_vgpr65
	s_and_saveexec_b64 s[4:5], s[40:41]
	s_cbranch_execz .LBB1420_88
.LBB1420_68:
	v_lshlrev_b32_e32 v64, 3, v66
	v_mov_b32_e32 v65, 0
	v_lshl_add_u64 v[64:65], v[6:7], 0, v[64:65]
	flat_load_dwordx2 v[64:65], v[64:65]
	s_or_b64 exec, exec, s[4:5]
                                        ; implicit-def: $vgpr66_vgpr67
	s_and_saveexec_b64 s[4:5], s[42:43]
	s_cbranch_execz .LBB1420_90
	s_branch .LBB1420_89
.LBB1420_69:
	s_mov_b64 s[10:11], 0
                                        ; implicit-def: $sgpr8_sgpr9
                                        ; implicit-def: $vgpr2_vgpr3
                                        ; implicit-def: $vgpr44_vgpr45
                                        ; implicit-def: $vgpr112
                                        ; implicit-def: $vgpr50_vgpr51
                                        ; implicit-def: $vgpr128
                                        ; implicit-def: $vgpr82_vgpr83
                                        ; implicit-def: $vgpr127
                                        ; implicit-def: $vgpr80_vgpr81
                                        ; implicit-def: $vgpr126
                                        ; implicit-def: $vgpr78_vgpr79
                                        ; implicit-def: $vgpr125
                                        ; implicit-def: $vgpr76_vgpr77
                                        ; implicit-def: $vgpr124
                                        ; implicit-def: $vgpr74_vgpr75
                                        ; implicit-def: $vgpr123
                                        ; implicit-def: $vgpr72_vgpr73
                                        ; implicit-def: $vgpr122
                                        ; implicit-def: $vgpr70_vgpr71
                                        ; implicit-def: $vgpr121
                                        ; implicit-def: $vgpr68_vgpr69
                                        ; implicit-def: $vgpr120
                                        ; implicit-def: $vgpr66_vgpr67
                                        ; implicit-def: $vgpr119
                                        ; implicit-def: $vgpr64_vgpr65
                                        ; implicit-def: $vgpr118
                                        ; implicit-def: $vgpr62_vgpr63
                                        ; implicit-def: $vgpr117
                                        ; implicit-def: $vgpr60_vgpr61
                                        ; implicit-def: $vgpr116
                                        ; implicit-def: $vgpr58_vgpr59
                                        ; implicit-def: $vgpr115
                                        ; implicit-def: $vgpr56_vgpr57
                                        ; implicit-def: $vgpr114
                                        ; implicit-def: $vgpr54_vgpr55
                                        ; implicit-def: $vgpr113
                                        ; implicit-def: $vgpr52_vgpr53
                                        ; implicit-def: $vgpr111
                                        ; implicit-def: $vgpr48_vgpr49
                                        ; implicit-def: $vgpr110
                                        ; implicit-def: $vgpr46_vgpr47
                                        ; implicit-def: $vgpr1
                                        ; implicit-def: $sgpr72
                                        ; implicit-def: $sgpr6_sgpr7
	s_and_b64 vcc, exec, s[4:5]
	s_cbranch_vccz .LBB1420_140
	s_branch .LBB1420_135
.LBB1420_70:
	s_or_b64 exec, exec, s[46:47]
                                        ; implicit-def: $vgpr4_vgpr5
	s_and_saveexec_b64 s[46:47], s[4:5]
	s_cbranch_execz .LBB1420_51
.LBB1420_71:
	v_lshlrev_b32_e32 v4, 3, v0
	v_mov_b32_e32 v5, 0
	v_lshl_add_u64 v[4:5], v[6:7], 0, v[4:5]
	flat_load_dwordx2 v[4:5], v[4:5] offset:2048
	s_or_b64 exec, exec, s[46:47]
                                        ; implicit-def: $vgpr30_vgpr31
	s_and_saveexec_b64 s[4:5], s[6:7]
	s_cbranch_execnz .LBB1420_52
.LBB1420_72:
	s_or_b64 exec, exec, s[4:5]
                                        ; implicit-def: $vgpr32_vgpr33
	s_and_saveexec_b64 s[4:5], s[8:9]
	s_cbranch_execz .LBB1420_53
.LBB1420_73:
	v_lshlrev_b32_e32 v32, 3, v34
	v_mov_b32_e32 v33, 0
	v_lshl_add_u64 v[32:33], v[6:7], 0, v[32:33]
	flat_load_dwordx2 v[32:33], v[32:33]
	s_or_b64 exec, exec, s[4:5]
                                        ; implicit-def: $vgpr34_vgpr35
	s_and_saveexec_b64 s[4:5], s[10:11]
	s_cbranch_execnz .LBB1420_54
.LBB1420_74:
	s_or_b64 exec, exec, s[4:5]
                                        ; implicit-def: $vgpr36_vgpr37
	s_and_saveexec_b64 s[4:5], s[12:13]
	s_cbranch_execz .LBB1420_55
.LBB1420_75:
	v_lshlrev_b32_e32 v36, 3, v38
	v_mov_b32_e32 v37, 0
	v_lshl_add_u64 v[36:37], v[6:7], 0, v[36:37]
	flat_load_dwordx2 v[36:37], v[36:37]
	s_or_b64 exec, exec, s[4:5]
                                        ; implicit-def: $vgpr38_vgpr39
	s_and_saveexec_b64 s[4:5], s[14:15]
	s_cbranch_execnz .LBB1420_56
.LBB1420_76:
	s_or_b64 exec, exec, s[4:5]
                                        ; implicit-def: $vgpr40_vgpr41
	s_and_saveexec_b64 s[4:5], s[16:17]
	s_cbranch_execz .LBB1420_57
.LBB1420_77:
	v_lshlrev_b32_e32 v40, 3, v44
	v_mov_b32_e32 v41, 0
	v_lshl_add_u64 v[40:41], v[6:7], 0, v[40:41]
	flat_load_dwordx2 v[40:41], v[40:41]
	s_or_b64 exec, exec, s[4:5]
                                        ; implicit-def: $vgpr44_vgpr45
	s_and_saveexec_b64 s[4:5], s[18:19]
	s_cbranch_execnz .LBB1420_58
.LBB1420_78:
	s_or_b64 exec, exec, s[4:5]
                                        ; implicit-def: $vgpr46_vgpr47
	s_and_saveexec_b64 s[4:5], s[20:21]
	s_cbranch_execz .LBB1420_59
.LBB1420_79:
	v_lshlrev_b32_e32 v46, 3, v48
	v_mov_b32_e32 v47, 0
	v_lshl_add_u64 v[46:47], v[6:7], 0, v[46:47]
	flat_load_dwordx2 v[46:47], v[46:47]
	s_or_b64 exec, exec, s[4:5]
                                        ; implicit-def: $vgpr48_vgpr49
	s_and_saveexec_b64 s[4:5], s[22:23]
	s_cbranch_execnz .LBB1420_60
.LBB1420_80:
	s_or_b64 exec, exec, s[4:5]
                                        ; implicit-def: $vgpr50_vgpr51
	s_and_saveexec_b64 s[4:5], s[24:25]
	s_cbranch_execz .LBB1420_61
.LBB1420_81:
	v_lshlrev_b32_e32 v50, 3, v52
	v_mov_b32_e32 v51, 0
	v_lshl_add_u64 v[50:51], v[6:7], 0, v[50:51]
	flat_load_dwordx2 v[50:51], v[50:51]
	s_or_b64 exec, exec, s[4:5]
                                        ; implicit-def: $vgpr52_vgpr53
	s_and_saveexec_b64 s[4:5], s[26:27]
	s_cbranch_execnz .LBB1420_62
.LBB1420_82:
	s_or_b64 exec, exec, s[4:5]
                                        ; implicit-def: $vgpr54_vgpr55
	s_and_saveexec_b64 s[4:5], s[28:29]
	s_cbranch_execz .LBB1420_63
.LBB1420_83:
	v_lshlrev_b32_e32 v54, 3, v56
	v_mov_b32_e32 v55, 0
	v_lshl_add_u64 v[54:55], v[6:7], 0, v[54:55]
	flat_load_dwordx2 v[54:55], v[54:55]
	s_or_b64 exec, exec, s[4:5]
                                        ; implicit-def: $vgpr56_vgpr57
	s_and_saveexec_b64 s[4:5], s[30:31]
	s_cbranch_execnz .LBB1420_64
.LBB1420_84:
	s_or_b64 exec, exec, s[4:5]
                                        ; implicit-def: $vgpr58_vgpr59
	s_and_saveexec_b64 s[4:5], s[34:35]
	s_cbranch_execz .LBB1420_65
.LBB1420_85:
	v_lshlrev_b32_e32 v58, 3, v60
	v_mov_b32_e32 v59, 0
	v_lshl_add_u64 v[58:59], v[6:7], 0, v[58:59]
	flat_load_dwordx2 v[58:59], v[58:59]
	s_or_b64 exec, exec, s[4:5]
                                        ; implicit-def: $vgpr60_vgpr61
	s_and_saveexec_b64 s[4:5], s[36:37]
	s_cbranch_execnz .LBB1420_66
.LBB1420_86:
	s_or_b64 exec, exec, s[4:5]
                                        ; implicit-def: $vgpr62_vgpr63
	s_and_saveexec_b64 s[4:5], s[38:39]
	s_cbranch_execz .LBB1420_67
.LBB1420_87:
	v_lshlrev_b32_e32 v62, 3, v64
	v_mov_b32_e32 v63, 0
	v_lshl_add_u64 v[62:63], v[6:7], 0, v[62:63]
	flat_load_dwordx2 v[62:63], v[62:63]
	s_or_b64 exec, exec, s[4:5]
                                        ; implicit-def: $vgpr64_vgpr65
	s_and_saveexec_b64 s[4:5], s[40:41]
	s_cbranch_execnz .LBB1420_68
.LBB1420_88:
	s_or_b64 exec, exec, s[4:5]
                                        ; implicit-def: $vgpr66_vgpr67
	s_and_saveexec_b64 s[4:5], s[42:43]
	s_cbranch_execz .LBB1420_90
.LBB1420_89:
	v_lshlrev_b32_e32 v66, 3, v68
	v_mov_b32_e32 v67, 0
	v_lshl_add_u64 v[66:67], v[6:7], 0, v[66:67]
	flat_load_dwordx2 v[66:67], v[66:67]
.LBB1420_90:
	s_or_b64 exec, exec, s[4:5]
	v_mul_u32_u24_e32 v85, 21, v0
                                        ; implicit-def: $vgpr68_vgpr69
	s_and_saveexec_b64 s[4:5], s[44:45]
	s_cbranch_execz .LBB1420_92
; %bb.91:
	v_lshlrev_b32_e32 v68, 3, v70
	v_mov_b32_e32 v69, 0
	v_lshl_add_u64 v[68:69], v[6:7], 0, v[68:69]
	flat_load_dwordx2 v[68:69], v[68:69]
.LBB1420_92:
	s_or_b64 exec, exec, s[4:5]
	v_lshl_add_u32 v87, v0, 2, v71
	s_waitcnt vmcnt(0) lgkmcnt(0)
	ds_write2st64_b64 v87, v[2:3], v[4:5] offset1:4
	ds_write2st64_b64 v87, v[30:31], v[32:33] offset0:8 offset1:12
	ds_write2st64_b64 v87, v[34:35], v[36:37] offset0:16 offset1:20
	;; [unrolled: 1-line block ×9, first 2 shown]
	ds_write_b64 v87, v[68:69] offset:40960
	v_mov_b64_e32 v[44:45], 0
	v_cmp_gt_u32_e32 vcc, s64, v85
	s_mov_b64 s[10:11], 0
	s_mov_b32 s72, 0
	s_mov_b64 s[4:5], 0
	v_mov_b32_e32 v112, 0
	v_mov_b64_e32 v[50:51], v[44:45]
	v_mov_b32_e32 v128, 0
	v_mov_b64_e32 v[82:83], v[44:45]
	;; [unrolled: 2-line block ×19, first 2 shown]
	v_mov_b32_e32 v1, 0
	s_waitcnt lgkmcnt(0)
	s_barrier
	s_waitcnt lgkmcnt(0)
                                        ; implicit-def: $sgpr8_sgpr9
                                        ; implicit-def: $vgpr2_vgpr3
	s_and_saveexec_b64 s[6:7], vcc
	s_cbranch_execz .LBB1420_134
; %bb.93:
	s_movk_i32 s8, 0xa0
	v_mad_u32_u24 v1, v0, s8, v87
	ds_read_b64 v[2:3], v1
	v_cmp_ne_u32_e32 vcc, v86, v28
	v_mov_b32_e32 v5, s69
	v_add_u32_e32 v4, 1, v85
	v_mov_b64_e32 v[50:51], 0
	s_waitcnt lgkmcnt(0)
	v_cndmask_b32_e32 v45, v3, v5, vcc
	v_mov_b32_e32 v3, s68
	v_cndmask_b32_e64 v1, 0, 1, vcc
	v_cndmask_b32_e32 v44, v2, v3, vcc
	v_cmp_gt_u32_e32 vcc, s64, v4
	s_mov_b64 s[12:13], 0
	v_mov_b32_e32 v112, 0
	v_mov_b32_e32 v128, 0
	v_mov_b64_e32 v[82:83], v[50:51]
	v_mov_b32_e32 v127, 0
	v_mov_b64_e32 v[80:81], v[50:51]
	;; [unrolled: 2-line block ×18, first 2 shown]
                                        ; implicit-def: $sgpr14_sgpr15
                                        ; implicit-def: $vgpr2_vgpr3
	s_and_saveexec_b64 s[8:9], vcc
	s_cbranch_execz .LBB1420_133
; %bb.94:
	v_mul_u32_u24_e32 v2, 0xa0, v0
	v_add_u32_e32 v30, v87, v2
	ds_read2_b64 v[2:5], v30 offset0:1 offset1:2
	v_cmp_ne_u32_e32 vcc, v28, v29
	v_mov_b32_e32 v28, s69
	v_add_u32_e32 v31, 2, v85
	v_mov_b64_e32 v[50:51], 0
	s_waitcnt lgkmcnt(0)
	v_cndmask_b32_e32 v47, v3, v28, vcc
	v_mov_b32_e32 v3, s68
	v_cndmask_b32_e64 v110, 0, 1, vcc
	v_cndmask_b32_e32 v46, v2, v3, vcc
	v_cmp_gt_u32_e32 vcc, s64, v31
	s_mov_b64 s[14:15], 0
	v_mov_b32_e32 v112, 0
	v_mov_b32_e32 v128, 0
	v_mov_b64_e32 v[82:83], v[50:51]
	v_mov_b32_e32 v127, 0
	v_mov_b64_e32 v[80:81], v[50:51]
	;; [unrolled: 2-line block ×17, first 2 shown]
                                        ; implicit-def: $sgpr16_sgpr17
                                        ; implicit-def: $vgpr2_vgpr3
	s_and_saveexec_b64 s[10:11], vcc
	s_cbranch_execz .LBB1420_132
; %bb.95:
	v_cmp_ne_u32_e32 vcc, v29, v26
	v_mov_b32_e32 v3, s69
	v_add_u32_e32 v2, 3, v85
	v_cndmask_b32_e32 v49, v5, v3, vcc
	v_mov_b32_e32 v3, s68
	v_mov_b64_e32 v[50:51], 0
	v_cndmask_b32_e64 v111, 0, 1, vcc
	v_cndmask_b32_e32 v48, v4, v3, vcc
	v_cmp_gt_u32_e32 vcc, s64, v2
	s_mov_b64 s[16:17], 0
	v_mov_b32_e32 v112, 0
	v_mov_b32_e32 v128, 0
	v_mov_b64_e32 v[82:83], v[50:51]
	v_mov_b32_e32 v127, 0
	v_mov_b64_e32 v[80:81], v[50:51]
	v_mov_b32_e32 v126, 0
	v_mov_b64_e32 v[78:79], v[50:51]
	v_mov_b32_e32 v125, 0
	v_mov_b64_e32 v[76:77], v[50:51]
	v_mov_b32_e32 v124, 0
	v_mov_b64_e32 v[74:75], v[50:51]
	v_mov_b32_e32 v123, 0
	v_mov_b64_e32 v[72:73], v[50:51]
	v_mov_b32_e32 v122, 0
	v_mov_b64_e32 v[70:71], v[50:51]
	v_mov_b32_e32 v121, 0
	v_mov_b64_e32 v[68:69], v[50:51]
	v_mov_b32_e32 v120, 0
	v_mov_b64_e32 v[66:67], v[50:51]
	v_mov_b32_e32 v119, 0
	v_mov_b64_e32 v[64:65], v[50:51]
	v_mov_b32_e32 v118, 0
	v_mov_b64_e32 v[62:63], v[50:51]
	v_mov_b32_e32 v117, 0
	v_mov_b64_e32 v[60:61], v[50:51]
	v_mov_b32_e32 v116, 0
	v_mov_b64_e32 v[58:59], v[50:51]
	v_mov_b32_e32 v115, 0
	v_mov_b64_e32 v[56:57], v[50:51]
	v_mov_b32_e32 v114, 0
	v_mov_b64_e32 v[54:55], v[50:51]
	v_mov_b32_e32 v113, 0
	v_mov_b64_e32 v[52:53], v[50:51]
                                        ; implicit-def: $sgpr18_sgpr19
                                        ; implicit-def: $vgpr2_vgpr3
	s_and_saveexec_b64 s[12:13], vcc
	s_cbranch_execz .LBB1420_131
; %bb.96:
	ds_read2_b64 v[2:5], v30 offset0:3 offset1:4
	v_cmp_ne_u32_e32 vcc, v26, v27
	v_mov_b32_e32 v26, s69
	v_add_u32_e32 v28, 4, v85
	v_mov_b64_e32 v[50:51], 0
	s_waitcnt lgkmcnt(0)
	v_cndmask_b32_e32 v53, v3, v26, vcc
	v_mov_b32_e32 v3, s68
	v_cndmask_b32_e64 v113, 0, 1, vcc
	v_cndmask_b32_e32 v52, v2, v3, vcc
	v_cmp_gt_u32_e32 vcc, s64, v28
	s_mov_b64 s[18:19], 0
	v_mov_b32_e32 v112, 0
	v_mov_b32_e32 v128, 0
	v_mov_b64_e32 v[82:83], v[50:51]
	v_mov_b32_e32 v127, 0
	v_mov_b64_e32 v[80:81], v[50:51]
	;; [unrolled: 2-line block ×15, first 2 shown]
                                        ; implicit-def: $sgpr20_sgpr21
                                        ; implicit-def: $vgpr2_vgpr3
	s_and_saveexec_b64 s[14:15], vcc
	s_cbranch_execz .LBB1420_130
; %bb.97:
	v_cmp_ne_u32_e32 vcc, v27, v24
	v_mov_b32_e32 v3, s69
	v_add_u32_e32 v2, 5, v85
	v_cndmask_b32_e32 v55, v5, v3, vcc
	v_mov_b32_e32 v3, s68
	v_mov_b64_e32 v[50:51], 0
	v_cndmask_b32_e64 v114, 0, 1, vcc
	v_cndmask_b32_e32 v54, v4, v3, vcc
	v_cmp_gt_u32_e32 vcc, s64, v2
	s_mov_b64 s[20:21], 0
	v_mov_b32_e32 v112, 0
	v_mov_b32_e32 v128, 0
	v_mov_b64_e32 v[82:83], v[50:51]
	v_mov_b32_e32 v127, 0
	v_mov_b64_e32 v[80:81], v[50:51]
	;; [unrolled: 2-line block ×14, first 2 shown]
                                        ; implicit-def: $sgpr22_sgpr23
                                        ; implicit-def: $vgpr2_vgpr3
	s_and_saveexec_b64 s[16:17], vcc
	s_cbranch_execz .LBB1420_129
; %bb.98:
	ds_read2_b64 v[2:5], v30 offset0:5 offset1:6
	v_cmp_ne_u32_e32 vcc, v24, v25
	v_mov_b32_e32 v24, s69
	v_add_u32_e32 v26, 6, v85
	v_mov_b64_e32 v[50:51], 0
	s_waitcnt lgkmcnt(0)
	v_cndmask_b32_e32 v57, v3, v24, vcc
	v_mov_b32_e32 v3, s68
	v_cndmask_b32_e64 v115, 0, 1, vcc
	v_cndmask_b32_e32 v56, v2, v3, vcc
	v_cmp_gt_u32_e32 vcc, s64, v26
	s_mov_b64 s[22:23], 0
	v_mov_b32_e32 v112, 0
	v_mov_b32_e32 v128, 0
	v_mov_b64_e32 v[82:83], v[50:51]
	v_mov_b32_e32 v127, 0
	v_mov_b64_e32 v[80:81], v[50:51]
	;; [unrolled: 2-line block ×13, first 2 shown]
                                        ; implicit-def: $sgpr24_sgpr25
                                        ; implicit-def: $vgpr2_vgpr3
	s_and_saveexec_b64 s[18:19], vcc
	s_cbranch_execz .LBB1420_128
; %bb.99:
	v_cmp_ne_u32_e32 vcc, v25, v22
	v_mov_b32_e32 v3, s69
	v_add_u32_e32 v2, 7, v85
	v_cndmask_b32_e32 v59, v5, v3, vcc
	v_mov_b32_e32 v3, s68
	v_mov_b64_e32 v[50:51], 0
	v_cndmask_b32_e64 v116, 0, 1, vcc
	v_cndmask_b32_e32 v58, v4, v3, vcc
	v_cmp_gt_u32_e32 vcc, s64, v2
	s_mov_b64 s[24:25], 0
	v_mov_b32_e32 v112, 0
	v_mov_b32_e32 v128, 0
	v_mov_b64_e32 v[82:83], v[50:51]
	v_mov_b32_e32 v127, 0
	v_mov_b64_e32 v[80:81], v[50:51]
	;; [unrolled: 2-line block ×12, first 2 shown]
                                        ; implicit-def: $sgpr26_sgpr27
                                        ; implicit-def: $vgpr2_vgpr3
	s_and_saveexec_b64 s[20:21], vcc
	s_cbranch_execz .LBB1420_127
; %bb.100:
	ds_read2_b64 v[2:5], v30 offset0:7 offset1:8
	v_cmp_ne_u32_e32 vcc, v22, v23
	v_mov_b32_e32 v22, s69
	v_add_u32_e32 v24, 8, v85
	v_mov_b64_e32 v[50:51], 0
	s_waitcnt lgkmcnt(0)
	v_cndmask_b32_e32 v61, v3, v22, vcc
	v_mov_b32_e32 v3, s68
	v_cndmask_b32_e64 v117, 0, 1, vcc
	v_cndmask_b32_e32 v60, v2, v3, vcc
	v_cmp_gt_u32_e32 vcc, s64, v24
	s_mov_b64 s[26:27], 0
	v_mov_b32_e32 v112, 0
	v_mov_b32_e32 v128, 0
	v_mov_b64_e32 v[82:83], v[50:51]
	v_mov_b32_e32 v127, 0
	v_mov_b64_e32 v[80:81], v[50:51]
	;; [unrolled: 2-line block ×11, first 2 shown]
                                        ; implicit-def: $sgpr28_sgpr29
                                        ; implicit-def: $vgpr2_vgpr3
	s_and_saveexec_b64 s[22:23], vcc
	s_cbranch_execz .LBB1420_126
; %bb.101:
	v_cmp_ne_u32_e32 vcc, v23, v20
	v_mov_b32_e32 v3, s69
	v_add_u32_e32 v2, 9, v85
	v_cndmask_b32_e32 v63, v5, v3, vcc
	v_mov_b32_e32 v3, s68
	v_mov_b64_e32 v[50:51], 0
	v_cndmask_b32_e64 v118, 0, 1, vcc
	v_cndmask_b32_e32 v62, v4, v3, vcc
	v_cmp_gt_u32_e32 vcc, s64, v2
	s_mov_b64 s[28:29], 0
	v_mov_b32_e32 v112, 0
	v_mov_b32_e32 v128, 0
	v_mov_b64_e32 v[82:83], v[50:51]
	v_mov_b32_e32 v127, 0
	v_mov_b64_e32 v[80:81], v[50:51]
	;; [unrolled: 2-line block ×10, first 2 shown]
                                        ; implicit-def: $sgpr30_sgpr31
                                        ; implicit-def: $vgpr2_vgpr3
	s_and_saveexec_b64 s[24:25], vcc
	s_cbranch_execz .LBB1420_125
; %bb.102:
	ds_read2_b64 v[2:5], v30 offset0:9 offset1:10
	v_cmp_ne_u32_e32 vcc, v20, v21
	v_mov_b32_e32 v20, s69
	v_add_u32_e32 v22, 10, v85
	v_mov_b64_e32 v[50:51], 0
	s_waitcnt lgkmcnt(0)
	v_cndmask_b32_e32 v65, v3, v20, vcc
	v_mov_b32_e32 v3, s68
	v_cndmask_b32_e64 v119, 0, 1, vcc
	v_cndmask_b32_e32 v64, v2, v3, vcc
	v_cmp_gt_u32_e32 vcc, s64, v22
	s_mov_b64 s[30:31], 0
	v_mov_b32_e32 v112, 0
	v_mov_b32_e32 v128, 0
	v_mov_b64_e32 v[82:83], v[50:51]
	v_mov_b32_e32 v127, 0
	v_mov_b64_e32 v[80:81], v[50:51]
	;; [unrolled: 2-line block ×9, first 2 shown]
                                        ; implicit-def: $sgpr34_sgpr35
                                        ; implicit-def: $vgpr2_vgpr3
	s_and_saveexec_b64 s[26:27], vcc
	s_cbranch_execz .LBB1420_124
; %bb.103:
	v_cmp_ne_u32_e32 vcc, v21, v18
	v_mov_b32_e32 v3, s69
	v_add_u32_e32 v2, 11, v85
	v_cndmask_b32_e32 v67, v5, v3, vcc
	v_mov_b32_e32 v3, s68
	v_mov_b64_e32 v[50:51], 0
	v_cndmask_b32_e64 v120, 0, 1, vcc
	v_cndmask_b32_e32 v66, v4, v3, vcc
	v_cmp_gt_u32_e32 vcc, s64, v2
	s_mov_b64 s[34:35], 0
	v_mov_b32_e32 v112, 0
	v_mov_b32_e32 v128, 0
	v_mov_b64_e32 v[82:83], v[50:51]
	v_mov_b32_e32 v127, 0
	v_mov_b64_e32 v[80:81], v[50:51]
	;; [unrolled: 2-line block ×8, first 2 shown]
                                        ; implicit-def: $sgpr36_sgpr37
                                        ; implicit-def: $vgpr2_vgpr3
	s_and_saveexec_b64 s[28:29], vcc
	s_cbranch_execz .LBB1420_123
; %bb.104:
	ds_read2_b64 v[2:5], v30 offset0:11 offset1:12
	v_cmp_ne_u32_e32 vcc, v18, v19
	v_mov_b32_e32 v18, s69
	v_add_u32_e32 v20, 12, v85
	v_mov_b64_e32 v[50:51], 0
	s_waitcnt lgkmcnt(0)
	v_cndmask_b32_e32 v69, v3, v18, vcc
	v_mov_b32_e32 v3, s68
	v_cndmask_b32_e64 v121, 0, 1, vcc
	v_cndmask_b32_e32 v68, v2, v3, vcc
	v_cmp_gt_u32_e32 vcc, s64, v20
	s_mov_b64 s[36:37], 0
	v_mov_b32_e32 v112, 0
	v_mov_b32_e32 v128, 0
	v_mov_b64_e32 v[82:83], v[50:51]
	v_mov_b32_e32 v127, 0
	v_mov_b64_e32 v[80:81], v[50:51]
	;; [unrolled: 2-line block ×7, first 2 shown]
                                        ; implicit-def: $sgpr38_sgpr39
                                        ; implicit-def: $vgpr2_vgpr3
	s_and_saveexec_b64 s[30:31], vcc
	s_cbranch_execz .LBB1420_122
; %bb.105:
	v_cmp_ne_u32_e32 vcc, v19, v16
	v_mov_b32_e32 v3, s69
	v_add_u32_e32 v2, 13, v85
	v_cndmask_b32_e32 v71, v5, v3, vcc
	v_mov_b32_e32 v3, s68
	v_mov_b64_e32 v[50:51], 0
	v_cndmask_b32_e64 v122, 0, 1, vcc
	v_cndmask_b32_e32 v70, v4, v3, vcc
	v_cmp_gt_u32_e32 vcc, s64, v2
	s_mov_b64 s[38:39], 0
	v_mov_b32_e32 v112, 0
	v_mov_b32_e32 v128, 0
	v_mov_b64_e32 v[82:83], v[50:51]
	v_mov_b32_e32 v127, 0
	v_mov_b64_e32 v[80:81], v[50:51]
	;; [unrolled: 2-line block ×6, first 2 shown]
                                        ; implicit-def: $sgpr40_sgpr41
                                        ; implicit-def: $vgpr2_vgpr3
	s_and_saveexec_b64 s[34:35], vcc
	s_cbranch_execz .LBB1420_121
; %bb.106:
	ds_read2_b64 v[2:5], v30 offset0:13 offset1:14
	v_cmp_ne_u32_e32 vcc, v16, v17
	v_mov_b32_e32 v16, s69
	v_add_u32_e32 v18, 14, v85
	v_mov_b64_e32 v[50:51], 0
	s_waitcnt lgkmcnt(0)
	v_cndmask_b32_e32 v73, v3, v16, vcc
	v_mov_b32_e32 v3, s68
	v_cndmask_b32_e64 v123, 0, 1, vcc
	v_cndmask_b32_e32 v72, v2, v3, vcc
	v_cmp_gt_u32_e32 vcc, s64, v18
	s_mov_b64 s[40:41], 0
	v_mov_b32_e32 v112, 0
	v_mov_b32_e32 v128, 0
	v_mov_b64_e32 v[82:83], v[50:51]
	v_mov_b32_e32 v127, 0
	v_mov_b64_e32 v[80:81], v[50:51]
	;; [unrolled: 2-line block ×5, first 2 shown]
                                        ; implicit-def: $sgpr42_sgpr43
                                        ; implicit-def: $vgpr2_vgpr3
	s_and_saveexec_b64 s[36:37], vcc
	s_cbranch_execz .LBB1420_120
; %bb.107:
	v_cmp_ne_u32_e32 vcc, v17, v14
	v_mov_b32_e32 v3, s69
	v_add_u32_e32 v2, 15, v85
	v_cndmask_b32_e32 v75, v5, v3, vcc
	v_mov_b32_e32 v3, s68
	v_mov_b64_e32 v[50:51], 0
	v_cndmask_b32_e64 v124, 0, 1, vcc
	v_cndmask_b32_e32 v74, v4, v3, vcc
	v_cmp_gt_u32_e32 vcc, s64, v2
	s_mov_b64 s[42:43], 0
	v_mov_b32_e32 v112, 0
	v_mov_b32_e32 v128, 0
	v_mov_b64_e32 v[82:83], v[50:51]
	v_mov_b32_e32 v127, 0
	v_mov_b64_e32 v[80:81], v[50:51]
	;; [unrolled: 2-line block ×4, first 2 shown]
                                        ; implicit-def: $sgpr44_sgpr45
                                        ; implicit-def: $vgpr2_vgpr3
	s_and_saveexec_b64 s[38:39], vcc
	s_cbranch_execz .LBB1420_119
; %bb.108:
	ds_read2_b64 v[2:5], v30 offset0:15 offset1:16
	v_cmp_ne_u32_e32 vcc, v14, v15
	v_mov_b32_e32 v14, s69
	v_add_u32_e32 v16, 16, v85
	v_mov_b64_e32 v[50:51], 0
	s_waitcnt lgkmcnt(0)
	v_cndmask_b32_e32 v77, v3, v14, vcc
	v_mov_b32_e32 v3, s68
	v_cndmask_b32_e64 v125, 0, 1, vcc
	v_cndmask_b32_e32 v76, v2, v3, vcc
	v_cmp_gt_u32_e32 vcc, s64, v16
	s_mov_b64 s[44:45], 0
	v_mov_b32_e32 v112, 0
	v_mov_b32_e32 v128, 0
	v_mov_b64_e32 v[82:83], v[50:51]
	v_mov_b32_e32 v127, 0
	v_mov_b64_e32 v[80:81], v[50:51]
	;; [unrolled: 2-line block ×3, first 2 shown]
                                        ; implicit-def: $sgpr46_sgpr47
                                        ; implicit-def: $vgpr2_vgpr3
	s_and_saveexec_b64 s[40:41], vcc
	s_cbranch_execz .LBB1420_118
; %bb.109:
	v_cmp_ne_u32_e32 vcc, v15, v12
	v_mov_b32_e32 v3, s69
	v_add_u32_e32 v2, 17, v85
	v_cndmask_b32_e32 v79, v5, v3, vcc
	v_mov_b32_e32 v3, s68
	v_mov_b64_e32 v[50:51], 0
	v_cndmask_b32_e64 v126, 0, 1, vcc
	v_cndmask_b32_e32 v78, v4, v3, vcc
	v_cmp_gt_u32_e32 vcc, s64, v2
	s_mov_b64 s[46:47], 0
	v_mov_b32_e32 v112, 0
	v_mov_b32_e32 v128, 0
	v_mov_b64_e32 v[82:83], v[50:51]
	v_mov_b32_e32 v127, 0
	v_mov_b64_e32 v[80:81], v[50:51]
                                        ; implicit-def: $sgpr58_sgpr59
                                        ; implicit-def: $vgpr2_vgpr3
	s_and_saveexec_b64 s[42:43], vcc
	s_cbranch_execz .LBB1420_117
; %bb.110:
	ds_read2_b64 v[2:5], v30 offset0:17 offset1:18
	v_cmp_ne_u32_e32 vcc, v12, v13
	v_mov_b32_e32 v12, s69
	v_add_u32_e32 v14, 18, v85
	v_mov_b64_e32 v[50:51], 0
	s_waitcnt lgkmcnt(0)
	v_cndmask_b32_e32 v81, v3, v12, vcc
	v_mov_b32_e32 v3, s68
	v_cndmask_b32_e64 v127, 0, 1, vcc
	v_cndmask_b32_e32 v80, v2, v3, vcc
	v_cmp_gt_u32_e32 vcc, s64, v14
	s_mov_b64 s[58:59], 0
	v_mov_b32_e32 v112, 0
	v_mov_b32_e32 v128, 0
	v_mov_b64_e32 v[82:83], v[50:51]
                                        ; implicit-def: $sgpr60_sgpr61
                                        ; implicit-def: $vgpr2_vgpr3
	s_and_saveexec_b64 s[44:45], vcc
	s_cbranch_execz .LBB1420_116
; %bb.111:
	v_cmp_ne_u32_e32 vcc, v13, v10
	v_mov_b32_e32 v3, s69
	v_add_u32_e32 v2, 19, v85
	v_cndmask_b32_e32 v83, v5, v3, vcc
	v_mov_b32_e32 v3, s68
	v_cndmask_b32_e64 v128, 0, 1, vcc
	v_cndmask_b32_e32 v82, v4, v3, vcc
	v_cmp_gt_u32_e32 vcc, s64, v2
	v_mov_b32_e32 v112, 0
	v_mov_b64_e32 v[50:51], 0
                                        ; implicit-def: $sgpr60_sgpr61
                                        ; implicit-def: $vgpr2_vgpr3
	s_and_saveexec_b64 s[46:47], vcc
	s_cbranch_execz .LBB1420_115
; %bb.112:
	ds_read2_b64 v[2:5], v30 offset0:19 offset1:20
	v_cmp_ne_u32_e32 vcc, v10, v11
	v_mov_b32_e32 v10, s69
	v_add_u32_e32 v12, 20, v85
	v_cndmask_b32_e64 v112, 0, 1, vcc
	s_waitcnt lgkmcnt(0)
	v_cndmask_b32_e32 v51, v3, v10, vcc
	v_mov_b32_e32 v3, s68
	v_cndmask_b32_e32 v50, v2, v3, vcc
	v_cmp_gt_u32_e32 vcc, s64, v12
                                        ; implicit-def: $sgpr60_sgpr61
                                        ; implicit-def: $vgpr2_vgpr3
	s_and_saveexec_b64 s[64:65], vcc
	s_xor_b64 s[64:65], exec, s[64:65]
; %bb.113:
	v_mov_b32_e32 v2, s69
	v_cmp_ne_u32_e32 vcc, v11, v84
	s_mov_b64 s[58:59], exec
	s_and_b64 s[60:61], vcc, exec
	v_cndmask_b32_e32 v3, v5, v2, vcc
	v_mov_b32_e32 v2, s68
	v_cndmask_b32_e32 v2, v4, v2, vcc
; %bb.114:
	s_or_b64 exec, exec, s[64:65]
	s_and_b64 s[60:61], s[60:61], exec
	s_and_b64 s[58:59], s[58:59], exec
.LBB1420_115:
	s_or_b64 exec, exec, s[46:47]
	s_and_b64 s[60:61], s[60:61], exec
	s_and_b64 s[46:47], s[58:59], exec
.LBB1420_116:
	s_or_b64 exec, exec, s[44:45]
	s_and_b64 s[58:59], s[60:61], exec
	s_and_b64 s[44:45], s[46:47], exec
.LBB1420_117:
	s_or_b64 exec, exec, s[42:43]
	s_and_b64 s[46:47], s[58:59], exec
	s_and_b64 s[42:43], s[44:45], exec
.LBB1420_118:
	s_or_b64 exec, exec, s[40:41]
	s_and_b64 s[44:45], s[46:47], exec
	s_and_b64 s[40:41], s[42:43], exec
.LBB1420_119:
	s_or_b64 exec, exec, s[38:39]
	s_and_b64 s[42:43], s[44:45], exec
	s_and_b64 s[38:39], s[40:41], exec
.LBB1420_120:
	s_or_b64 exec, exec, s[36:37]
	s_and_b64 s[40:41], s[42:43], exec
	s_and_b64 s[36:37], s[38:39], exec
.LBB1420_121:
	s_or_b64 exec, exec, s[34:35]
	s_and_b64 s[38:39], s[40:41], exec
	s_and_b64 s[34:35], s[36:37], exec
.LBB1420_122:
	s_or_b64 exec, exec, s[30:31]
	s_and_b64 s[36:37], s[38:39], exec
	s_and_b64 s[30:31], s[34:35], exec
.LBB1420_123:
	s_or_b64 exec, exec, s[28:29]
	s_and_b64 s[34:35], s[36:37], exec
	s_and_b64 s[28:29], s[30:31], exec
.LBB1420_124:
	s_or_b64 exec, exec, s[26:27]
	s_and_b64 s[30:31], s[34:35], exec
	s_and_b64 s[26:27], s[28:29], exec
.LBB1420_125:
	s_or_b64 exec, exec, s[24:25]
	s_and_b64 s[28:29], s[30:31], exec
	s_and_b64 s[24:25], s[26:27], exec
.LBB1420_126:
	s_or_b64 exec, exec, s[22:23]
	s_and_b64 s[26:27], s[28:29], exec
	s_and_b64 s[22:23], s[24:25], exec
.LBB1420_127:
	s_or_b64 exec, exec, s[20:21]
	s_and_b64 s[24:25], s[26:27], exec
	s_and_b64 s[20:21], s[22:23], exec
.LBB1420_128:
	s_or_b64 exec, exec, s[18:19]
	s_and_b64 s[22:23], s[24:25], exec
	s_and_b64 s[18:19], s[20:21], exec
.LBB1420_129:
	s_or_b64 exec, exec, s[16:17]
	s_and_b64 s[20:21], s[22:23], exec
	s_and_b64 s[16:17], s[18:19], exec
.LBB1420_130:
	s_or_b64 exec, exec, s[14:15]
	s_and_b64 s[18:19], s[20:21], exec
	s_and_b64 s[14:15], s[16:17], exec
.LBB1420_131:
	s_or_b64 exec, exec, s[12:13]
	s_and_b64 s[16:17], s[18:19], exec
	s_and_b64 s[12:13], s[14:15], exec
.LBB1420_132:
	s_or_b64 exec, exec, s[10:11]
	s_and_b64 s[14:15], s[16:17], exec
	s_and_b64 s[10:11], s[12:13], exec
.LBB1420_133:
	s_or_b64 exec, exec, s[8:9]
	s_and_b64 s[8:9], s[14:15], exec
	s_and_b64 s[10:11], s[10:11], exec
.LBB1420_134:
	s_or_b64 exec, exec, s[6:7]
	s_mov_b64 s[6:7], 0
	s_and_b64 vcc, exec, s[4:5]
	s_cbranch_vccz .LBB1420_140
.LBB1420_135:
	v_mov_b32_e32 v3, 0
	v_lshlrev_b32_e32 v2, 2, v0
	v_lshl_add_u64 v[4:5], v[8:9], 0, v[2:3]
	v_add_co_u32_e32 v10, vcc, 0x1000, v4
	s_movk_i32 s4, 0x50
	s_nop 0
	v_addc_co_u32_e32 v11, vcc, 0, v5, vcc
	flat_load_dword v1, v[4:5]
	flat_load_dword v14, v[4:5] offset:1024
	flat_load_dword v15, v[4:5] offset:2048
	;; [unrolled: 1-line block ×3, first 2 shown]
	flat_load_dword v17, v[10:11]
	flat_load_dword v18, v[10:11] offset:1024
	flat_load_dword v19, v[10:11] offset:2048
	;; [unrolled: 1-line block ×3, first 2 shown]
	v_add_co_u32_e32 v10, vcc, 0x2000, v4
	s_movk_i32 s10, 0x1000
	s_nop 0
	v_addc_co_u32_e32 v11, vcc, 0, v5, vcc
	v_add_co_u32_e32 v12, vcc, 0x3000, v4
	s_movk_i32 s9, 0x2000
	s_nop 0
	v_addc_co_u32_e32 v13, vcc, 0, v5, vcc
	flat_load_dword v21, v[10:11]
	flat_load_dword v22, v[10:11] offset:1024
	flat_load_dword v23, v[10:11] offset:2048
	;; [unrolled: 1-line block ×3, first 2 shown]
	flat_load_dword v25, v[12:13]
	flat_load_dword v26, v[12:13] offset:1024
	flat_load_dword v27, v[12:13] offset:2048
	;; [unrolled: 1-line block ×3, first 2 shown]
	v_add_co_u32_e32 v10, vcc, 0x4000, v4
	s_movk_i32 s8, 0x3000
	s_nop 0
	v_addc_co_u32_e32 v11, vcc, 0, v5, vcc
	v_add_co_u32_e32 v4, vcc, 0x5000, v4
	s_movk_i32 s7, 0x4000
	s_nop 0
	v_addc_co_u32_e32 v5, vcc, 0, v5, vcc
	flat_load_dword v12, v[10:11]
	flat_load_dword v13, v[10:11] offset:1024
	flat_load_dword v29, v[10:11] offset:2048
	;; [unrolled: 1-line block ×3, first 2 shown]
	flat_load_dword v31, v[4:5]
	v_add_co_u32_e32 v4, vcc, 0x5000, v8
	s_movk_i32 s6, 0x5000
	s_nop 0
	v_addc_co_u32_e32 v5, vcc, 0, v9, vcc
	s_waitcnt vmcnt(0) lgkmcnt(0)
	ds_write2st64_b32 v2, v1, v14 offset1:4
	ds_write2st64_b32 v2, v15, v16 offset0:8 offset1:12
	ds_write2st64_b32 v2, v17, v18 offset0:16 offset1:20
	;; [unrolled: 1-line block ×9, first 2 shown]
	ds_write_b32 v2, v31 offset:20480
	s_waitcnt lgkmcnt(0)
	s_barrier
	flat_load_dword v86, v[4:5] offset:1024
	v_mad_u32_u24 v4, v0, s4, v2
	s_movk_i32 s4, 0xffb0
	ds_read_b32 v1, v4
	ds_read2_b32 v[62:63], v4 offset0:1 offset1:2
	ds_read2_b32 v[60:61], v4 offset0:3 offset1:4
	;; [unrolled: 1-line block ×10, first 2 shown]
	v_mad_i32_i24 v4, v0, s4, v4
	s_movk_i32 s4, 0xff
	v_cmp_ne_u32_e32 vcc, s4, v0
	s_waitcnt lgkmcnt(0)
	ds_write_b32 v4, v1 offset:22528
	s_waitcnt lgkmcnt(0)
	s_barrier
	s_and_saveexec_b64 s[4:5], vcc
	s_cbranch_execz .LBB1420_137
; %bb.136:
	s_waitcnt vmcnt(0)
	ds_read_b32 v86, v2 offset:22532
.LBB1420_137:
	s_or_b64 exec, exec, s[4:5]
	v_lshlrev_b32_e32 v2, 3, v0
	v_lshl_add_u64 v[2:3], v[6:7], 0, v[2:3]
	v_add_co_u32_e32 v6, vcc, s10, v2
	s_waitcnt lgkmcnt(0)
	s_nop 0
	v_addc_co_u32_e32 v7, vcc, 0, v3, vcc
	s_barrier
	flat_load_dwordx2 v[8:9], v[2:3]
	flat_load_dwordx2 v[10:11], v[2:3] offset:2048
	flat_load_dwordx2 v[12:13], v[6:7]
	flat_load_dwordx2 v[14:15], v[6:7] offset:2048
	v_add_co_u32_e32 v6, vcc, s9, v2
	s_movk_i32 s4, 0x6000
	s_nop 0
	v_addc_co_u32_e32 v7, vcc, 0, v3, vcc
	v_add_co_u32_e32 v16, vcc, s8, v2
	v_lshl_add_u32 v64, v0, 2, v4
	s_nop 0
	v_addc_co_u32_e32 v17, vcc, 0, v3, vcc
	flat_load_dwordx2 v[18:19], v[6:7]
	flat_load_dwordx2 v[20:21], v[6:7] offset:2048
	flat_load_dwordx2 v[22:23], v[16:17]
	flat_load_dwordx2 v[24:25], v[16:17] offset:2048
	v_add_co_u32_e32 v6, vcc, s7, v2
	s_nop 1
	v_addc_co_u32_e32 v7, vcc, 0, v3, vcc
	v_add_co_u32_e32 v16, vcc, s6, v2
	s_nop 1
	v_addc_co_u32_e32 v17, vcc, 0, v3, vcc
	flat_load_dwordx2 v[26:27], v[6:7]
	flat_load_dwordx2 v[28:29], v[6:7] offset:2048
	flat_load_dwordx2 v[30:31], v[16:17]
	flat_load_dwordx2 v[32:33], v[16:17] offset:2048
	v_add_co_u32_e32 v6, vcc, s4, v2
	s_movk_i32 s4, 0x7000
	s_nop 0
	v_addc_co_u32_e32 v7, vcc, 0, v3, vcc
	v_add_co_u32_e32 v16, vcc, s4, v2
	s_mov_b32 s4, 0x8000
	s_nop 0
	v_addc_co_u32_e32 v17, vcc, 0, v3, vcc
	flat_load_dwordx2 v[34:35], v[6:7]
	flat_load_dwordx2 v[36:37], v[6:7] offset:2048
	flat_load_dwordx2 v[38:39], v[16:17]
	flat_load_dwordx2 v[40:41], v[16:17] offset:2048
	v_add_co_u32_e32 v6, vcc, s4, v2
	s_mov_b32 s4, 0x9000
	s_nop 0
	v_addc_co_u32_e32 v7, vcc, 0, v3, vcc
	v_add_co_u32_e32 v16, vcc, s4, v2
	s_mov_b32 s4, 0xa000
	s_nop 0
	v_addc_co_u32_e32 v17, vcc, 0, v3, vcc
	flat_load_dwordx2 v[44:45], v[6:7]
	flat_load_dwordx2 v[66:67], v[6:7] offset:2048
	flat_load_dwordx2 v[68:69], v[16:17]
	flat_load_dwordx2 v[70:71], v[16:17] offset:2048
	v_add_co_u32_e32 v2, vcc, s4, v2
	s_movk_i32 s4, 0xa0
	s_nop 0
	v_addc_co_u32_e32 v3, vcc, 0, v3, vcc
	flat_load_dwordx2 v[2:3], v[2:3]
	v_cmp_ne_u32_e32 vcc, v1, v62
	s_waitcnt vmcnt(0) lgkmcnt(0)
	ds_write2st64_b64 v64, v[8:9], v[10:11] offset1:4
	ds_write2st64_b64 v64, v[12:13], v[14:15] offset0:8 offset1:12
	ds_write2st64_b64 v64, v[18:19], v[20:21] offset0:16 offset1:20
	;; [unrolled: 1-line block ×9, first 2 shown]
	ds_write_b64 v64, v[2:3] offset:40960
	v_mad_u32_u24 v2, v0, s4, v64
	s_waitcnt lgkmcnt(0)
	s_barrier
	ds_read2_b64 v[38:41], v2 offset0:1 offset1:2
	ds_read2_b64 v[34:37], v2 offset0:3 offset1:4
	;; [unrolled: 1-line block ×10, first 2 shown]
	v_cmp_eq_u32_e64 s[4:5], v1, v62
	v_mov_b64_e32 v[44:45], s[68:69]
	s_and_saveexec_b64 s[6:7], s[4:5]
	s_cbranch_execz .LBB1420_139
; %bb.138:
	v_mul_u32_u24_e32 v1, 0xa0, v0
	v_add_u32_e32 v1, v64, v1
	ds_read_b64 v[44:45], v1
.LBB1420_139:
	s_or_b64 exec, exec, s[6:7]
	v_cndmask_b32_e64 v1, 0, 1, vcc
	v_cmp_ne_u32_e32 vcc, v62, v63
	v_cmp_ne_u32_e64 s[38:39], v47, v84
	v_cmp_ne_u32_e64 s[40:41], v84, v85
	v_mov_b32_e32 v84, s69
	v_cmp_ne_u32_e64 s[8:9], v61, v58
	v_cmp_ne_u32_e64 s[36:37], v46, v47
	s_waitcnt lgkmcnt(9)
	v_cndmask_b32_e32 v47, v39, v84, vcc
	v_mov_b32_e32 v39, s68
	v_cmp_ne_u32_e64 s[4:5], v63, v60
	v_cmp_ne_u32_e64 s[6:7], v60, v61
	v_cndmask_b32_e64 v114, 0, 1, s[8:9]
	v_cmp_ne_u32_e64 s[10:11], v58, v59
	v_cmp_ne_u32_e64 s[12:13], v59, v56
	;; [unrolled: 1-line block ×12, first 2 shown]
	s_waitcnt lgkmcnt(8)
	v_cndmask_b32_e64 v55, v37, v84, s[8:9]
	v_cndmask_b32_e64 v54, v36, v39, s[8:9]
	v_cmp_ne_u32_e64 s[8:9], v85, v86
	v_cndmask_b32_e64 v110, 0, 1, vcc
	v_cndmask_b32_e64 v111, 0, 1, s[4:5]
	v_cndmask_b32_e64 v113, 0, 1, s[6:7]
	;; [unrolled: 1-line block ×17, first 2 shown]
	v_cndmask_b32_e32 v46, v38, v39, vcc
	v_cndmask_b32_e64 v49, v41, v84, s[4:5]
	v_cndmask_b32_e64 v48, v40, v39, s[4:5]
	v_cndmask_b32_e64 v53, v35, v84, s[6:7]
	v_cndmask_b32_e64 v52, v34, v39, s[6:7]
	s_waitcnt lgkmcnt(7)
	v_cndmask_b32_e64 v57, v31, v84, s[10:11]
	v_cndmask_b32_e64 v56, v30, v39, s[10:11]
	v_cndmask_b32_e64 v59, v33, v84, s[12:13]
	v_cndmask_b32_e64 v58, v32, v39, s[12:13]
	s_waitcnt lgkmcnt(6)
	;; [unrolled: 5-line block ×8, first 2 shown]
	v_cndmask_b32_e64 v51, v3, v84, s[40:41]
	v_cndmask_b32_e64 v50, v2, v39, s[40:41]
	;; [unrolled: 1-line block ×4, first 2 shown]
	s_mov_b64 s[10:11], -1
                                        ; implicit-def: $sgpr72
                                        ; implicit-def: $sgpr6_sgpr7
.LBB1420_140:
	v_mov_b64_e32 v[84:85], s[6:7]
	v_mov_b32_e32 v129, s72
	s_and_saveexec_b64 s[4:5], s[10:11]
; %bb.141:
	v_cndmask_b32_e64 v129, 0, 1, s[8:9]
	v_mov_b64_e32 v[84:85], v[2:3]
; %bb.142:
	s_or_b64 exec, exec, s[4:5]
	v_or_b32_e32 v2, v129, v112
	s_cmp_lg_u32 s55, 0
	v_add_f64 v[86:87], v[46:47], v[44:45]
	v_or_b32_e32 v131, v2, v128
	v_mbcnt_lo_u32_b32 v130, -1, 0
	s_barrier
	s_cbranch_scc0 .LBB1420_209
; %bb.143:
	v_mov_b32_e32 v4, 0
	v_cmp_eq_u16_sdwa s[4:5], v110, v4 src0_sel:BYTE_0 src1_sel:DWORD
	v_cmp_eq_u16_sdwa s[6:7], v111, v4 src0_sel:BYTE_0 src1_sel:DWORD
	v_cmp_eq_u16_sdwa s[8:9], v113, v4 src0_sel:BYTE_0 src1_sel:DWORD
	v_cndmask_b32_e64 v3, v47, v87, s[4:5]
	v_cndmask_b32_e64 v2, v46, v86, s[4:5]
	v_add_f64 v[2:3], v[48:49], v[2:3]
	v_cndmask_b32_e64 v3, v49, v3, s[6:7]
	v_cndmask_b32_e64 v2, v48, v2, s[6:7]
	v_add_f64 v[2:3], v[52:53], v[2:3]
	v_cndmask_b32_e64 v3, v53, v3, s[8:9]
	v_cndmask_b32_e64 v2, v52, v2, s[8:9]
	v_add_f64 v[2:3], v[54:55], v[2:3]
	v_cmp_eq_u16_sdwa s[10:11], v114, v4 src0_sel:BYTE_0 src1_sel:DWORD
	v_cmp_eq_u16_sdwa s[12:13], v115, v4 src0_sel:BYTE_0 src1_sel:DWORD
	v_cmp_eq_u16_sdwa s[14:15], v116, v4 src0_sel:BYTE_0 src1_sel:DWORD
	v_cndmask_b32_e64 v3, v55, v3, s[10:11]
	v_cndmask_b32_e64 v2, v54, v2, s[10:11]
	v_add_f64 v[2:3], v[56:57], v[2:3]
	v_cndmask_b32_e64 v3, v57, v3, s[12:13]
	v_cndmask_b32_e64 v2, v56, v2, s[12:13]
	v_add_f64 v[2:3], v[58:59], v[2:3]
	v_cndmask_b32_e64 v3, v59, v3, s[14:15]
	v_cndmask_b32_e64 v2, v58, v2, s[14:15]
	v_add_f64 v[2:3], v[60:61], v[2:3]
	;; [unrolled: 12-line block ×3, first 2 shown]
	v_cmp_eq_u16_sdwa s[22:23], v120, v4 src0_sel:BYTE_0 src1_sel:DWORD
	v_cmp_eq_u16_sdwa s[24:25], v121, v4 src0_sel:BYTE_0 src1_sel:DWORD
	;; [unrolled: 1-line block ×3, first 2 shown]
	v_cndmask_b32_e64 v3, v67, v3, s[22:23]
	v_cndmask_b32_e64 v2, v66, v2, s[22:23]
	v_add_f64 v[2:3], v[68:69], v[2:3]
	v_cndmask_b32_e64 v3, v69, v3, s[24:25]
	v_cndmask_b32_e64 v2, v68, v2, s[24:25]
	v_cmp_eq_u16_sdwa s[28:29], v123, v4 src0_sel:BYTE_0 src1_sel:DWORD
	v_cmp_eq_u16_sdwa s[30:31], v124, v4 src0_sel:BYTE_0 src1_sel:DWORD
	;; [unrolled: 1-line block ×7, first 2 shown]
	v_cmp_eq_u16_sdwa vcc, v129, v4 src0_sel:BYTE_0 src1_sel:DWORD
	v_or_b32_e32 v4, v131, v127
	v_add_f64 v[2:3], v[70:71], v[2:3]
	v_or_b32_e32 v4, v4, v126
	v_cndmask_b32_e64 v3, v71, v3, s[26:27]
	v_cndmask_b32_e64 v2, v70, v2, s[26:27]
	v_or_b32_e32 v4, v4, v125
	v_add_f64 v[2:3], v[72:73], v[2:3]
	v_or_b32_e32 v4, v4, v124
	v_cndmask_b32_e64 v3, v73, v3, s[28:29]
	v_cndmask_b32_e64 v2, v72, v2, s[28:29]
	;; [unrolled: 5-line block ×8, first 2 shown]
	v_or_b32_e32 v4, v4, v110
	v_add_f64 v[2:3], v[84:85], v[2:3]
	v_or_b32_e32 v4, v4, v1
	v_mbcnt_hi_u32_b32 v9, -1, v130
	v_cndmask_b32_e32 v3, v85, v3, vcc
	v_cndmask_b32_e32 v2, v84, v2, vcc
	v_and_b32_e32 v8, 1, v4
	v_and_b32_e32 v6, 15, v9
	v_cmp_eq_u32_e32 vcc, 1, v8
	v_mov_b32_dpp v4, v2 row_shr:1 row_mask:0xf bank_mask:0xf
	v_mov_b32_dpp v5, v3 row_shr:1 row_mask:0xf bank_mask:0xf
	;; [unrolled: 1-line block ×3, first 2 shown]
	v_cmp_ne_u32_e64 s[44:45], 0, v6
	v_mov_b32_e32 v7, v8
	s_and_saveexec_b64 s[46:47], s[44:45]
; %bb.144:
	v_add_f64 v[4:5], v[2:3], v[4:5]
	v_cndmask_b32_e32 v2, v4, v2, vcc
	v_and_b32_e32 v4, 1, v10
	v_or_b32_e32 v8, v4, v8
	v_cndmask_b32_e32 v3, v5, v3, vcc
	v_and_b32_e32 v7, 0xffff, v8
; %bb.145:
	s_or_b64 exec, exec, s[46:47]
	v_mov_b32_dpp v4, v2 row_shr:2 row_mask:0xf bank_mask:0xf
	v_mov_b32_dpp v5, v3 row_shr:2 row_mask:0xf bank_mask:0xf
	v_mov_b32_dpp v10, v7 row_shr:2 row_mask:0xf bank_mask:0xf
	v_cmp_lt_u32_e32 vcc, 1, v6
	s_and_saveexec_b64 s[46:47], vcc
; %bb.146:
	v_add_f64 v[4:5], v[2:3], v[4:5]
	v_cmp_eq_u16_e32 vcc, 0, v8
	s_nop 1
	v_cndmask_b32_e32 v2, v2, v4, vcc
	v_and_b32_e32 v4, 1, v8
	v_cndmask_b32_e32 v3, v3, v5, vcc
	v_cmp_eq_u32_e32 vcc, 1, v4
	v_and_b32_e32 v4, 1, v10
	v_cmp_eq_u32_e64 s[44:45], 1, v4
	s_or_b64 s[44:45], vcc, s[44:45]
	s_nop 0
	v_cndmask_b32_e64 v8, 0, 1, s[44:45]
	v_cndmask_b32_e64 v7, 0, 1, s[44:45]
; %bb.147:
	s_or_b64 exec, exec, s[46:47]
	v_mov_b32_dpp v4, v2 row_shr:4 row_mask:0xf bank_mask:0xf
	v_mov_b32_dpp v5, v3 row_shr:4 row_mask:0xf bank_mask:0xf
	v_mov_b32_dpp v10, v7 row_shr:4 row_mask:0xf bank_mask:0xf
	v_cmp_lt_u32_e32 vcc, 3, v6
	s_and_saveexec_b64 s[46:47], vcc
; %bb.148:
	v_add_f64 v[4:5], v[2:3], v[4:5]
	v_cmp_eq_u16_e32 vcc, 0, v8
	s_nop 1
	v_cndmask_b32_e32 v2, v2, v4, vcc
	v_and_b32_e32 v4, 1, v8
	v_cndmask_b32_e32 v3, v3, v5, vcc
	v_cmp_eq_u32_e32 vcc, 1, v4
	v_and_b32_e32 v4, 1, v10
	v_cmp_eq_u32_e64 s[44:45], 1, v4
	s_or_b64 s[44:45], vcc, s[44:45]
	s_nop 0
	v_cndmask_b32_e64 v8, 0, 1, s[44:45]
	v_cndmask_b32_e64 v7, 0, 1, s[44:45]
	;; [unrolled: 21-line block ×3, first 2 shown]
; %bb.151:
	s_or_b64 exec, exec, s[46:47]
	v_and_b32_e32 v10, 16, v9
	v_mov_b32_dpp v4, v2 row_bcast:15 row_mask:0xf bank_mask:0xf
	v_mov_b32_dpp v5, v3 row_bcast:15 row_mask:0xf bank_mask:0xf
	;; [unrolled: 1-line block ×3, first 2 shown]
	v_cmp_ne_u32_e32 vcc, 0, v10
	s_and_saveexec_b64 s[46:47], vcc
; %bb.152:
	v_add_f64 v[4:5], v[2:3], v[4:5]
	v_cmp_eq_u16_e32 vcc, 0, v8
	s_nop 1
	v_cndmask_b32_e32 v2, v2, v4, vcc
	v_and_b32_e32 v4, 1, v8
	v_cndmask_b32_e32 v3, v3, v5, vcc
	v_cmp_eq_u32_e32 vcc, 1, v4
	v_and_b32_e32 v4, 1, v6
	v_cmp_eq_u32_e64 s[44:45], 1, v4
	s_or_b64 s[44:45], vcc, s[44:45]
	s_nop 0
	v_cndmask_b32_e64 v8, 0, 1, s[44:45]
	v_cndmask_b32_e64 v7, 0, 1, s[44:45]
; %bb.153:
	s_or_b64 exec, exec, s[46:47]
	v_mov_b32_dpp v4, v2 row_bcast:31 row_mask:0xf bank_mask:0xf
	v_mov_b32_dpp v5, v3 row_bcast:31 row_mask:0xf bank_mask:0xf
	;; [unrolled: 1-line block ×3, first 2 shown]
	v_cmp_lt_u32_e32 vcc, 31, v9
	s_and_saveexec_b64 s[46:47], vcc
; %bb.154:
	v_add_f64 v[4:5], v[2:3], v[4:5]
	v_cmp_eq_u16_e32 vcc, 0, v8
	s_nop 1
	v_cndmask_b32_e32 v2, v2, v4, vcc
	v_and_b32_e32 v4, 1, v8
	v_cndmask_b32_e32 v3, v3, v5, vcc
	v_cmp_eq_u32_e32 vcc, 1, v4
	v_and_b32_e32 v4, 1, v6
	v_cmp_eq_u32_e64 s[44:45], 1, v4
	s_or_b64 s[44:45], vcc, s[44:45]
	s_nop 0
	v_cndmask_b32_e64 v8, 0, 1, s[44:45]
; %bb.155:
	s_or_b64 exec, exec, s[46:47]
	v_or_b32_e32 v4, 63, v0
	v_lshrrev_b32_e32 v10, 6, v0
	v_cmp_eq_u32_e32 vcc, v4, v0
	s_and_saveexec_b64 s[44:45], vcc
	s_cbranch_execz .LBB1420_157
; %bb.156:
	v_lshlrev_b32_e32 v4, 4, v10
	ds_write_b64 v4, v[2:3]
	ds_write_b8 v4, v8 offset:8
.LBB1420_157:
	s_or_b64 exec, exec, s[44:45]
	v_cmp_gt_u32_e32 vcc, 4, v0
	s_waitcnt lgkmcnt(0)
	s_barrier
	s_and_saveexec_b64 s[46:47], vcc
	s_cbranch_execz .LBB1420_163
; %bb.158:
	v_lshlrev_b32_e32 v11, 4, v0
	ds_read_b64 v[4:5], v11
	ds_read_b32 v12, v11 offset:8
	v_and_b32_e32 v13, 3, v9
	v_cmp_ne_u32_e32 vcc, 0, v13
	s_waitcnt lgkmcnt(1)
	v_mov_b32_dpp v6, v4 row_shr:1 row_mask:0xf bank_mask:0xf
	v_mov_b32_dpp v7, v5 row_shr:1 row_mask:0xf bank_mask:0xf
	s_waitcnt lgkmcnt(0)
	v_mov_b32_dpp v16, v12 row_shr:1 row_mask:0xf bank_mask:0xf
	v_mov_b32_e32 v15, v12
	v_mov_b32_e32 v14, v12
	s_and_saveexec_b64 s[44:45], vcc
; %bb.159:
	v_mov_b32_e32 v14, 0
	v_add_f64 v[6:7], v[4:5], v[6:7]
	v_cmp_eq_u16_sdwa vcc, v12, v14 src0_sel:BYTE_0 src1_sel:DWORD
	s_movk_i32 s58, 0xff00
	s_nop 0
	v_cndmask_b32_e32 v4, v4, v6, vcc
	v_or_b32_e32 v6, v16, v12
	v_and_b32_e32 v14, 1, v6
	v_cndmask_b32_e32 v5, v5, v7, vcc
	v_and_b32_e32 v15, 1, v6
	v_and_or_b32 v12, v12, s58, v14
; %bb.160:
	s_or_b64 exec, exec, s[44:45]
	v_mov_b32_dpp v6, v4 row_shr:2 row_mask:0xf bank_mask:0xf
	v_mov_b32_dpp v7, v5 row_shr:2 row_mask:0xf bank_mask:0xf
	;; [unrolled: 1-line block ×3, first 2 shown]
	v_cmp_lt_u32_e32 vcc, 1, v13
	s_and_saveexec_b64 s[58:59], vcc
; %bb.161:
	v_mov_b32_e32 v13, 0
	v_add_f64 v[6:7], v[4:5], v[6:7]
	v_cmp_eq_u16_sdwa vcc, v14, v13 src0_sel:BYTE_0 src1_sel:DWORD
	s_nop 1
	v_cndmask_b32_e32 v4, v4, v6, vcc
	v_and_b32_e32 v6, 1, v14
	v_cndmask_b32_e32 v5, v5, v7, vcc
	v_cmp_eq_u32_e32 vcc, 1, v6
	v_and_b32_e32 v6, 1, v12
	v_cmp_eq_u32_e64 s[44:45], 1, v6
	s_or_b64 s[44:45], vcc, s[44:45]
	s_nop 0
	v_cndmask_b32_e64 v15, 0, 1, s[44:45]
; %bb.162:
	s_or_b64 exec, exec, s[58:59]
	ds_write_b64 v11, v[4:5]
	ds_write_b8 v11, v15 offset:8
.LBB1420_163:
	s_or_b64 exec, exec, s[46:47]
	v_cmp_gt_u32_e32 vcc, 64, v0
	v_cmp_lt_u32_e64 s[44:45], 63, v0
	v_mov_b32_e32 v18, 0
	v_mov_b64_e32 v[6:7], 0
	s_waitcnt lgkmcnt(0)
	s_barrier
	s_and_saveexec_b64 s[46:47], s[44:45]
	s_cbranch_execz .LBB1420_165
; %bb.164:
	v_lshl_add_u32 v4, v10, 4, -16
	ds_read_b64 v[6:7], v4
	ds_read_u8 v18, v4 offset:8
	v_cmp_eq_u16_e64 s[44:45], 0, v8
	s_waitcnt lgkmcnt(1)
	v_add_f64 v[4:5], v[2:3], v[6:7]
	s_waitcnt lgkmcnt(0)
	v_or_b32_e32 v10, v8, v18
	v_cndmask_b32_e64 v3, v3, v5, s[44:45]
	v_cndmask_b32_e64 v2, v2, v4, s[44:45]
	v_and_b32_e32 v8, 1, v10
.LBB1420_165:
	s_or_b64 exec, exec, s[46:47]
	v_add_u32_e32 v4, -1, v9
	v_and_b32_e32 v5, 64, v9
	v_cmp_lt_i32_e64 s[44:45], v4, v5
	s_nop 1
	v_cndmask_b32_e64 v4, v4, v9, s[44:45]
	v_lshlrev_b32_e32 v4, 2, v4
	ds_bpermute_b32 v19, v4, v2
	v_and_b32_e32 v2, 0xffff, v8
	ds_bpermute_b32 v20, v4, v3
	ds_bpermute_b32 v21, v4, v2
	v_cmp_eq_u32_e64 s[44:45], 0, v9
	s_and_saveexec_b64 s[58:59], vcc
	s_cbranch_execz .LBB1420_208
; %bb.166:
	v_mov_b32_e32 v11, 0
	ds_read2_b64 v[2:5], v11 offset0:6 offset1:7
	s_and_saveexec_b64 s[46:47], s[44:45]
	s_cbranch_execz .LBB1420_168
; %bb.167:
	s_add_i32 s60, s55, 64
	s_mov_b32 s61, 0
	s_lshl_b64 s[64:65], s[60:61], 4
	s_add_u32 s64, s48, s64
	s_addc_u32 s65, s49, s65
	s_waitcnt lgkmcnt(0)
	global_store_dword v11, v2, s[64:65] sc1
	global_store_dword v11, v3, s[64:65] offset:4 sc1
	global_store_dword v11, v4, s[64:65] offset:8 sc1
	;; [unrolled: 1-line block ×3, first 2 shown]
	v_mov_b32_e32 v5, s60
	v_mov_b32_e32 v8, 1
	s_waitcnt vmcnt(0)
	global_store_byte v5, v8, s[52:53] sc1
.LBB1420_168:
	s_or_b64 exec, exec, s[46:47]
	v_xad_u32 v8, v9, -1, s55
	v_add_u32_e32 v10, 64, v8
	s_waitcnt lgkmcnt(0)
	global_load_ubyte v5, v10, s[52:53] sc1
	s_waitcnt vmcnt(0)
	v_cmp_eq_u16_e32 vcc, 0, v5
	s_and_saveexec_b64 s[46:47], vcc
	s_cbranch_execz .LBB1420_172
; %bb.169:
	v_lshl_add_u64 v[12:13], s[52:53], 0, v[10:11]
	s_mov_b64 s[60:61], 0
.LBB1420_170:                           ; =>This Inner Loop Header: Depth=1
	global_load_ubyte v5, v[12:13], off sc1
	s_waitcnt vmcnt(0)
	v_cmp_ne_u16_e32 vcc, 0, v5
	s_or_b64 s[60:61], vcc, s[60:61]
	s_andn2_b64 exec, exec, s[60:61]
	s_cbranch_execnz .LBB1420_170
; %bb.171:
	s_or_b64 exec, exec, s[60:61]
.LBB1420_172:
	s_or_b64 exec, exec, s[46:47]
	v_mov_b32_e32 v12, s51
	v_mov_b32_e32 v13, s49
	v_cmp_eq_u16_e32 vcc, 1, v5
	v_mov_b32_e32 v14, s48
	s_waitcnt vmcnt(0)
	v_cndmask_b32_e32 v13, v12, v13, vcc
	v_mov_b32_e32 v12, s50
	v_cndmask_b32_e32 v12, v12, v14, vcc
	v_lshl_add_u64 v[10:11], v[10:11], 4, v[12:13]
	global_load_dword v14, v[10:11], off sc1
	global_load_dword v15, v[10:11], off offset:4 sc1
	global_load_dword v16, v[10:11], off offset:8 sc1
	s_nop 0
	global_load_dword v10, v[10:11], off offset:12 sc1
	v_cmp_eq_u16_e32 vcc, 2, v5
	s_waitcnt vmcnt(0)
	v_lshlrev_b64 v[10:11], v9, -1
	v_and_b32_e32 v22, 63, v9
	v_and_b32_e32 v12, vcc_hi, v11
	v_and_b32_e32 v17, vcc_lo, v10
	v_cmp_ne_u32_e32 vcc, 63, v22
	v_or_b32_e32 v12, 0x80000000, v12
	v_ffbl_b32_e32 v25, v12
	v_addc_co_u32_e32 v13, vcc, 0, v9, vcc
	v_lshlrev_b32_e32 v23, 2, v13
	v_add_u32_e32 v25, 32, v25
	v_ffbl_b32_e32 v17, v17
	v_min_u32_e32 v17, v17, v25
	v_cmp_lt_u32_e32 vcc, v22, v17
	ds_bpermute_b32 v12, v23, v14
	ds_bpermute_b32 v13, v23, v15
	v_and_b32_e32 v32, 0xff, v16
	ds_bpermute_b32 v24, v23, v32
	s_and_saveexec_b64 s[46:47], vcc
	s_cbranch_execz .LBB1420_174
; %bb.173:
	v_mov_b32_e32 v25, 0
	s_waitcnt lgkmcnt(1)
	v_add_f64 v[12:13], v[14:15], v[12:13]
	v_cmp_eq_u16_sdwa vcc, v16, v25 src0_sel:BYTE_0 src1_sel:DWORD
	s_nop 1
	v_cndmask_b32_e32 v14, v14, v12, vcc
	s_waitcnt lgkmcnt(0)
	v_or_b32_e32 v12, v24, v16
	v_cndmask_b32_e32 v15, v15, v13, vcc
	v_and_b32_e32 v16, 1, v12
	v_and_b32_e32 v32, 1, v12
.LBB1420_174:
	s_or_b64 exec, exec, s[46:47]
	v_cmp_gt_u32_e32 vcc, 62, v22
	v_add_u32_e32 v25, 2, v22
	s_waitcnt lgkmcnt(2)
	v_cndmask_b32_e64 v12, 0, 1, vcc
	v_lshlrev_b32_e32 v12, 1, v12
	s_waitcnt lgkmcnt(0)
	v_add_lshl_u32 v24, v12, v9, 2
	ds_bpermute_b32 v12, v24, v14
	ds_bpermute_b32 v13, v24, v15
	ds_bpermute_b32 v26, v24, v32
	v_cmp_le_u32_e32 vcc, v25, v17
	s_and_saveexec_b64 s[60:61], vcc
	s_cbranch_execz .LBB1420_176
; %bb.175:
	v_mov_b32_e32 v27, 0
	s_waitcnt lgkmcnt(1)
	v_add_f64 v[12:13], v[14:15], v[12:13]
	v_cmp_eq_u16_sdwa vcc, v16, v27 src0_sel:BYTE_0 src1_sel:DWORD
	s_nop 1
	v_cndmask_b32_e32 v14, v14, v12, vcc
	v_and_b32_e32 v12, 1, v16
	v_cndmask_b32_e32 v15, v15, v13, vcc
	v_cmp_eq_u32_e32 vcc, 1, v12
	s_waitcnt lgkmcnt(0)
	v_and_b32_e32 v12, 1, v26
	v_cmp_eq_u32_e64 s[46:47], 1, v12
	s_or_b64 s[46:47], vcc, s[46:47]
	s_nop 0
	v_cndmask_b32_e64 v16, 0, 1, s[46:47]
	v_cndmask_b32_e64 v32, 0, 1, s[46:47]
.LBB1420_176:
	s_or_b64 exec, exec, s[60:61]
	v_cmp_gt_u32_e32 vcc, 60, v22
	v_add_u32_e32 v27, 4, v22
	s_waitcnt lgkmcnt(2)
	v_cndmask_b32_e64 v12, 0, 1, vcc
	v_lshlrev_b32_e32 v12, 2, v12
	s_waitcnt lgkmcnt(0)
	v_add_lshl_u32 v26, v12, v9, 2
	ds_bpermute_b32 v12, v26, v14
	ds_bpermute_b32 v13, v26, v15
	ds_bpermute_b32 v28, v26, v32
	v_cmp_le_u32_e32 vcc, v27, v17
	s_and_saveexec_b64 s[60:61], vcc
	s_cbranch_execz .LBB1420_178
; %bb.177:
	v_mov_b32_e32 v29, 0
	s_waitcnt lgkmcnt(1)
	v_add_f64 v[12:13], v[14:15], v[12:13]
	v_cmp_eq_u16_sdwa vcc, v16, v29 src0_sel:BYTE_0 src1_sel:DWORD
	s_nop 1
	v_cndmask_b32_e32 v14, v14, v12, vcc
	v_and_b32_e32 v12, 1, v16
	v_cndmask_b32_e32 v15, v15, v13, vcc
	v_cmp_eq_u32_e32 vcc, 1, v12
	s_waitcnt lgkmcnt(0)
	v_and_b32_e32 v12, 1, v28
	v_cmp_eq_u32_e64 s[46:47], 1, v12
	s_or_b64 s[46:47], vcc, s[46:47]
	s_nop 0
	v_cndmask_b32_e64 v16, 0, 1, s[46:47]
	v_cndmask_b32_e64 v32, 0, 1, s[46:47]
.LBB1420_178:
	;; [unrolled: 32-line block ×4, first 2 shown]
	s_or_b64 exec, exec, s[60:61]
	v_cmp_gt_u32_e32 vcc, 32, v22
	v_add_u32_e32 v34, 32, v22
	s_waitcnt lgkmcnt(2)
	v_cndmask_b32_e64 v12, 0, 1, vcc
	v_lshlrev_b32_e32 v12, 5, v12
	s_waitcnt lgkmcnt(0)
	v_add_lshl_u32 v33, v12, v9, 2
	ds_bpermute_b32 v12, v33, v14
	ds_bpermute_b32 v13, v33, v15
	;; [unrolled: 1-line block ×3, first 2 shown]
	v_cmp_le_u32_e32 vcc, v34, v17
	s_and_saveexec_b64 s[60:61], vcc
	s_cbranch_execz .LBB1420_184
; %bb.183:
	v_mov_b32_e32 v17, 0
	s_waitcnt lgkmcnt(1)
	v_add_f64 v[12:13], v[14:15], v[12:13]
	v_cmp_eq_u16_sdwa vcc, v16, v17 src0_sel:BYTE_0 src1_sel:DWORD
	s_waitcnt lgkmcnt(0)
	v_and_b32_e32 v9, 1, v9
	v_cmp_eq_u32_e64 s[46:47], 1, v9
	v_cndmask_b32_e32 v14, v14, v12, vcc
	v_and_b32_e32 v12, 1, v16
	v_cndmask_b32_e32 v15, v15, v13, vcc
	v_cmp_eq_u32_e32 vcc, 1, v12
	s_or_b64 s[46:47], vcc, s[46:47]
	v_cndmask_b32_e64 v16, 0, 1, s[46:47]
.LBB1420_184:
	s_or_b64 exec, exec, s[60:61]
	s_waitcnt lgkmcnt(0)
	v_mov_b32_e32 v9, 0
	v_mov_b32_e32 v35, 2
	s_branch .LBB1420_186
.LBB1420_185:                           ;   in Loop: Header=BB1420_186 Depth=1
	s_or_b64 exec, exec, s[64:65]
	v_add_f64 v[14:15], v[12:13], v[14:15]
	v_cmp_eq_u16_sdwa vcc, v32, v9 src0_sel:BYTE_0 src1_sel:DWORD
	s_waitcnt lgkmcnt(2)
	v_and_b32_e32 v16, 1, v32
	v_subrev_u32_e32 v8, 64, v8
	v_cndmask_b32_e32 v15, v13, v15, vcc
	v_cndmask_b32_e32 v14, v12, v14, vcc
	v_cmp_eq_u32_e32 vcc, 1, v16
	s_or_b64 s[46:47], vcc, s[60:61]
	v_cndmask_b32_e64 v16, 0, 1, s[46:47]
.LBB1420_186:                           ; =>This Loop Header: Depth=1
                                        ;     Child Loop BB1420_189 Depth 2
	v_cmp_ne_u16_sdwa s[46:47], v5, v35 src0_sel:BYTE_0 src1_sel:DWORD
	v_mov_b32_e32 v32, v16
	v_mov_b64_e32 v[12:13], v[14:15]
	v_cndmask_b32_e64 v5, 0, 1, s[46:47]
	;;#ASMSTART
	;;#ASMEND
	s_nop 0
	v_cmp_ne_u32_e32 vcc, 0, v5
	s_cmp_lg_u64 vcc, exec
	s_cbranch_scc1 .LBB1420_203
; %bb.187:                              ;   in Loop: Header=BB1420_186 Depth=1
	global_load_ubyte v5, v8, s[52:53] sc1
	s_waitcnt vmcnt(0)
	v_cmp_eq_u16_e32 vcc, 0, v5
	s_and_saveexec_b64 s[46:47], vcc
	s_cbranch_execz .LBB1420_191
; %bb.188:                              ;   in Loop: Header=BB1420_186 Depth=1
	v_lshl_add_u64 v[14:15], s[52:53], 0, v[8:9]
	s_mov_b64 s[60:61], 0
.LBB1420_189:                           ;   Parent Loop BB1420_186 Depth=1
                                        ; =>  This Inner Loop Header: Depth=2
	global_load_ubyte v5, v[14:15], off sc1
	s_waitcnt vmcnt(0)
	v_cmp_ne_u16_e32 vcc, 0, v5
	s_or_b64 s[60:61], vcc, s[60:61]
	s_andn2_b64 exec, exec, s[60:61]
	s_cbranch_execnz .LBB1420_189
; %bb.190:                              ;   in Loop: Header=BB1420_186 Depth=1
	s_or_b64 exec, exec, s[60:61]
.LBB1420_191:                           ;   in Loop: Header=BB1420_186 Depth=1
	s_or_b64 exec, exec, s[46:47]
	v_mov_b32_e32 v14, s51
	v_mov_b32_e32 v15, s49
	v_cmp_eq_u16_e32 vcc, 1, v5
	v_mov_b32_e32 v16, s48
	s_waitcnt vmcnt(0)
	v_cndmask_b32_e32 v15, v14, v15, vcc
	v_mov_b32_e32 v14, s50
	v_cndmask_b32_e32 v14, v14, v16, vcc
	s_waitcnt lgkmcnt(1)
	v_lshl_add_u64 v[16:17], v[8:9], 4, v[14:15]
	global_load_dword v14, v[16:17], off sc1
	global_load_dword v15, v[16:17], off offset:4 sc1
	global_load_dword v36, v[16:17], off offset:8 sc1
	s_nop 0
	global_load_dword v16, v[16:17], off offset:12 sc1
	v_cmp_eq_u16_e32 vcc, 2, v5
	s_waitcnt vmcnt(2)
	ds_bpermute_b32 v17, v23, v15
	s_waitcnt vmcnt(0)
	v_and_b32_e32 v16, vcc_hi, v11
	v_or_b32_e32 v16, 0x80000000, v16
	s_waitcnt lgkmcnt(1)
	v_and_b32_e32 v38, 0xff, v36
	v_ffbl_b32_e32 v40, v16
	ds_bpermute_b32 v16, v23, v14
	ds_bpermute_b32 v39, v23, v38
	v_and_b32_e32 v37, vcc_lo, v10
	v_add_u32_e32 v40, 32, v40
	v_ffbl_b32_e32 v37, v37
	v_min_u32_e32 v37, v37, v40
	v_cmp_lt_u32_e32 vcc, v22, v37
	s_and_saveexec_b64 s[46:47], vcc
	s_cbranch_execz .LBB1420_193
; %bb.192:                              ;   in Loop: Header=BB1420_186 Depth=1
	s_waitcnt lgkmcnt(1)
	v_add_f64 v[16:17], v[14:15], v[16:17]
	v_cmp_eq_u16_sdwa vcc, v36, v9 src0_sel:BYTE_0 src1_sel:DWORD
	s_nop 1
	v_cndmask_b32_e32 v14, v14, v16, vcc
	s_waitcnt lgkmcnt(0)
	v_or_b32_e32 v16, v39, v36
	v_cndmask_b32_e32 v15, v15, v17, vcc
	v_and_b32_e32 v36, 1, v16
	v_and_b32_e32 v38, 1, v16
.LBB1420_193:                           ;   in Loop: Header=BB1420_186 Depth=1
	s_or_b64 exec, exec, s[46:47]
	s_waitcnt lgkmcnt(1)
	ds_bpermute_b32 v16, v24, v14
	ds_bpermute_b32 v17, v24, v15
	s_waitcnt lgkmcnt(2)
	ds_bpermute_b32 v39, v24, v38
	v_and_b32_e32 v40, 1, v36
	v_cmp_le_u32_e32 vcc, v25, v37
	v_cmp_eq_u32_e64 s[60:61], 1, v40
	s_and_saveexec_b64 s[46:47], vcc
	s_cbranch_execz .LBB1420_195
; %bb.194:                              ;   in Loop: Header=BB1420_186 Depth=1
	s_waitcnt lgkmcnt(1)
	v_add_f64 v[16:17], v[14:15], v[16:17]
	v_cmp_eq_u16_sdwa vcc, v36, v9 src0_sel:BYTE_0 src1_sel:DWORD
	s_nop 1
	v_cndmask_b32_e32 v14, v14, v16, vcc
	s_waitcnt lgkmcnt(0)
	v_and_b32_e32 v16, 1, v39
	v_cndmask_b32_e32 v15, v15, v17, vcc
	v_cmp_eq_u32_e32 vcc, 1, v16
	s_or_b64 s[64:65], s[60:61], vcc
	v_cndmask_b32_e64 v36, 0, 1, s[64:65]
	v_cndmask_b32_e64 v38, 0, 1, s[64:65]
	s_andn2_b64 s[60:61], s[60:61], exec
	s_and_b64 s[64:65], s[64:65], exec
	s_or_b64 s[60:61], s[60:61], s[64:65]
.LBB1420_195:                           ;   in Loop: Header=BB1420_186 Depth=1
	s_or_b64 exec, exec, s[46:47]
	s_waitcnt lgkmcnt(2)
	ds_bpermute_b32 v16, v26, v14
	s_waitcnt lgkmcnt(2)
	ds_bpermute_b32 v17, v26, v15
	s_waitcnt lgkmcnt(2)
	ds_bpermute_b32 v39, v26, v38
	v_cmp_le_u32_e32 vcc, v27, v37
	s_and_saveexec_b64 s[64:65], vcc
	s_cbranch_execz .LBB1420_197
; %bb.196:                              ;   in Loop: Header=BB1420_186 Depth=1
	s_waitcnt lgkmcnt(1)
	v_add_f64 v[16:17], v[14:15], v[16:17]
	v_cmp_eq_u16_sdwa vcc, v36, v9 src0_sel:BYTE_0 src1_sel:DWORD
	s_andn2_b64 s[60:61], s[60:61], exec
	s_nop 0
	v_cndmask_b32_e32 v14, v14, v16, vcc
	v_and_b32_e32 v16, 1, v36
	v_cndmask_b32_e32 v15, v15, v17, vcc
	v_cmp_eq_u32_e32 vcc, 1, v16
	s_waitcnt lgkmcnt(0)
	v_and_b32_e32 v16, 1, v39
	v_cmp_eq_u32_e64 s[46:47], 1, v16
	s_or_b64 s[46:47], vcc, s[46:47]
	s_nop 0
	v_cndmask_b32_e64 v36, 0, 1, s[46:47]
	v_cndmask_b32_e64 v38, 0, 1, s[46:47]
	s_and_b64 s[46:47], s[46:47], exec
	s_or_b64 s[60:61], s[60:61], s[46:47]
.LBB1420_197:                           ;   in Loop: Header=BB1420_186 Depth=1
	s_or_b64 exec, exec, s[64:65]
	s_waitcnt lgkmcnt(2)
	ds_bpermute_b32 v16, v28, v14
	s_waitcnt lgkmcnt(2)
	ds_bpermute_b32 v17, v28, v15
	s_waitcnt lgkmcnt(2)
	ds_bpermute_b32 v39, v28, v38
	v_cmp_le_u32_e32 vcc, v29, v37
	s_and_saveexec_b64 s[64:65], vcc
	s_cbranch_execz .LBB1420_199
; %bb.198:                              ;   in Loop: Header=BB1420_186 Depth=1
	s_waitcnt lgkmcnt(1)
	v_add_f64 v[16:17], v[14:15], v[16:17]
	v_cmp_eq_u16_sdwa vcc, v36, v9 src0_sel:BYTE_0 src1_sel:DWORD
	s_andn2_b64 s[60:61], s[60:61], exec
	s_nop 0
	v_cndmask_b32_e32 v14, v14, v16, vcc
	v_and_b32_e32 v16, 1, v36
	v_cndmask_b32_e32 v15, v15, v17, vcc
	v_cmp_eq_u32_e32 vcc, 1, v16
	s_waitcnt lgkmcnt(0)
	v_and_b32_e32 v16, 1, v39
	v_cmp_eq_u32_e64 s[46:47], 1, v16
	s_or_b64 s[46:47], vcc, s[46:47]
	s_nop 0
	v_cndmask_b32_e64 v36, 0, 1, s[46:47]
	v_cndmask_b32_e64 v38, 0, 1, s[46:47]
	s_and_b64 s[46:47], s[46:47], exec
	s_or_b64 s[60:61], s[60:61], s[46:47]
.LBB1420_199:                           ;   in Loop: Header=BB1420_186 Depth=1
	;; [unrolled: 30-line block ×3, first 2 shown]
	s_or_b64 exec, exec, s[64:65]
	s_waitcnt lgkmcnt(2)
	ds_bpermute_b32 v16, v33, v14
	s_waitcnt lgkmcnt(2)
	ds_bpermute_b32 v17, v33, v15
	ds_bpermute_b32 v38, v33, v38
	v_cmp_le_u32_e32 vcc, v34, v37
	s_and_saveexec_b64 s[64:65], vcc
	s_cbranch_execz .LBB1420_185
; %bb.202:                              ;   in Loop: Header=BB1420_186 Depth=1
	s_waitcnt lgkmcnt(1)
	v_add_f64 v[16:17], v[14:15], v[16:17]
	v_cmp_eq_u16_sdwa vcc, v36, v9 src0_sel:BYTE_0 src1_sel:DWORD
	s_andn2_b64 s[60:61], s[60:61], exec
	s_nop 0
	v_cndmask_b32_e32 v14, v14, v16, vcc
	v_and_b32_e32 v16, 1, v36
	v_cndmask_b32_e32 v15, v15, v17, vcc
	v_cmp_eq_u32_e32 vcc, 1, v16
	s_waitcnt lgkmcnt(0)
	v_and_b32_e32 v16, 1, v38
	v_cmp_eq_u32_e64 s[46:47], 1, v16
	s_or_b64 s[46:47], vcc, s[46:47]
	s_and_b64 s[46:47], s[46:47], exec
	s_or_b64 s[60:61], s[60:61], s[46:47]
	s_branch .LBB1420_185
.LBB1420_203:                           ;   in Loop: Header=BB1420_186 Depth=1
                                        ; implicit-def: $vgpr16
                                        ; implicit-def: $vgpr14_vgpr15
                                        ; implicit-def: $vgpr5
	s_cbranch_execz .LBB1420_186
; %bb.204:
	s_and_saveexec_b64 s[46:47], s[44:45]
	s_cbranch_execz .LBB1420_206
; %bb.205:
	s_mov_b32 s49, 0
	s_add_i32 s48, s55, 64
	v_mov_b32_e32 v5, 0
	s_lshl_b64 s[60:61], s[48:49], 4
	v_add_f64 v[8:9], v[2:3], v[12:13]
	v_cmp_eq_u32_sdwa vcc, v4, v5 src0_sel:BYTE_0 src1_sel:DWORD
	v_and_b32_e32 v4, 1, v4
	s_add_u32 s60, s50, s60
	v_cndmask_b32_e32 v3, v3, v9, vcc
	v_cndmask_b32_e32 v2, v2, v8, vcc
	v_and_b32_e32 v8, 1, v32
	v_cmp_eq_u32_e32 vcc, 1, v4
	s_addc_u32 s61, s51, s61
	s_nop 0
	v_cndmask_b32_e64 v4, v8, 1, vcc
	global_store_dword v5, v2, s[60:61] sc1
	global_store_dword v5, v3, s[60:61] offset:4 sc1
	global_store_dword v5, v4, s[60:61] offset:8 sc1
	;; [unrolled: 1-line block ×3, first 2 shown]
	v_mov_b32_e32 v2, s48
	v_mov_b32_e32 v3, 2
	s_waitcnt vmcnt(0) lgkmcnt(0)
	global_store_byte v2, v3, s[52:53] sc1
.LBB1420_206:
	s_or_b64 exec, exec, s[46:47]
	s_and_b64 exec, exec, s[2:3]
	s_cbranch_execz .LBB1420_208
; %bb.207:
	v_mov_b32_e32 v2, 0
	ds_write_b64 v2, v[12:13] offset:48
	ds_write_b8 v2, v32 offset:56
.LBB1420_208:
	s_or_b64 exec, exec, s[58:59]
	v_mov_b32_e32 v8, 0
	s_waitcnt lgkmcnt(0)
	s_barrier
	ds_read_b64 v[2:3], v8 offset:48
	v_cndmask_b32_e64 v5, v20, v7, s[44:45]
	v_cndmask_b32_e64 v4, v19, v6, s[44:45]
	;; [unrolled: 1-line block ×3, first 2 shown]
	v_cmp_eq_u16_sdwa vcc, v9, v8 src0_sel:BYTE_0 src1_sel:DWORD
	s_waitcnt lgkmcnt(0)
	v_add_f64 v[6:7], v[4:5], v[2:3]
	v_cndmask_b32_e32 v4, v4, v6, vcc
	v_cndmask_b32_e32 v5, v5, v7, vcc
	v_cndmask_b32_e64 v89, v5, v3, s[2:3]
	v_cndmask_b32_e64 v88, v4, v2, s[2:3]
	v_add_f64 v[2:3], v[44:45], v[88:89]
	v_cmp_eq_u16_sdwa vcc, v1, v8 src0_sel:BYTE_0 src1_sel:DWORD
	s_nop 1
	v_cndmask_b32_e32 v5, v45, v3, vcc
	v_cndmask_b32_e32 v4, v44, v2, vcc
	v_add_f64 v[2:3], v[46:47], v[4:5]
	v_cndmask_b32_e64 v7, v47, v3, s[4:5]
	v_cndmask_b32_e64 v6, v46, v2, s[4:5]
	v_add_f64 v[2:3], v[48:49], v[6:7]
	v_cndmask_b32_e64 v91, v49, v3, s[6:7]
	v_cndmask_b32_e64 v90, v48, v2, s[6:7]
	;; [unrolled: 3-line block ×19, first 2 shown]
	s_branch .LBB1420_237
.LBB1420_209:
                                        ; implicit-def: $vgpr88_vgpr89
                                        ; implicit-def: $vgpr108_vgpr109
                                        ; implicit-def: $vgpr106_vgpr107
                                        ; implicit-def: $vgpr104_vgpr105
                                        ; implicit-def: $vgpr102_vgpr103
                                        ; implicit-def: $vgpr100_vgpr101
                                        ; implicit-def: $vgpr98_vgpr99
                                        ; implicit-def: $vgpr96_vgpr97
                                        ; implicit-def: $vgpr94_vgpr95
                                        ; implicit-def: $vgpr92_vgpr93
                                        ; implicit-def: $vgpr90_vgpr91
                                        ; implicit-def: $vgpr38_vgpr39_vgpr40_vgpr41
                                        ; implicit-def: $vgpr34_vgpr35_vgpr36_vgpr37
                                        ; implicit-def: $vgpr30_vgpr31_vgpr32_vgpr33
                                        ; implicit-def: $vgpr26_vgpr27_vgpr28_vgpr29
                                        ; implicit-def: $vgpr22_vgpr23_vgpr24_vgpr25
                                        ; implicit-def: $vgpr18_vgpr19_vgpr20_vgpr21
                                        ; implicit-def: $vgpr14_vgpr15_vgpr16_vgpr17
                                        ; implicit-def: $vgpr10_vgpr11_vgpr12_vgpr13
                                        ; implicit-def: $vgpr6_vgpr7_vgpr8_vgpr9
                                        ; implicit-def: $vgpr2_vgpr3_vgpr4_vgpr5
	s_cbranch_execz .LBB1420_237
; %bb.210:
	s_cmp_lg_u64 s[70:71], 0
	s_cselect_b32 s5, s67, 0
	s_cselect_b32 s4, s66, 0
	s_cmp_eq_u64 s[4:5], 0
	v_mov_b64_e32 v[2:3], s[68:69]
	s_cbranch_scc1 .LBB1420_212
; %bb.211:
	v_mov_b32_e32 v2, 0
	global_load_dwordx2 v[2:3], v2, s[4:5]
.LBB1420_212:
	v_mov_b32_e32 v6, 0
	v_cmp_eq_u16_sdwa vcc, v110, v6 src0_sel:BYTE_0 src1_sel:DWORD
	v_cmp_eq_u16_sdwa s[4:5], v111, v6 src0_sel:BYTE_0 src1_sel:DWORD
	v_cmp_eq_u16_sdwa s[6:7], v113, v6 src0_sel:BYTE_0 src1_sel:DWORD
	v_cndmask_b32_e32 v5, v47, v87, vcc
	v_cndmask_b32_e32 v4, v46, v86, vcc
	v_add_f64 v[4:5], v[48:49], v[4:5]
	v_cndmask_b32_e64 v5, v49, v5, s[4:5]
	v_cndmask_b32_e64 v4, v48, v4, s[4:5]
	v_add_f64 v[4:5], v[52:53], v[4:5]
	v_cndmask_b32_e64 v5, v53, v5, s[6:7]
	v_cndmask_b32_e64 v4, v52, v4, s[6:7]
	v_add_f64 v[4:5], v[54:55], v[4:5]
	v_cmp_eq_u16_sdwa s[8:9], v114, v6 src0_sel:BYTE_0 src1_sel:DWORD
	v_cmp_eq_u16_sdwa s[10:11], v115, v6 src0_sel:BYTE_0 src1_sel:DWORD
	v_cmp_eq_u16_sdwa s[12:13], v116, v6 src0_sel:BYTE_0 src1_sel:DWORD
	v_cndmask_b32_e64 v5, v55, v5, s[8:9]
	v_cndmask_b32_e64 v4, v54, v4, s[8:9]
	v_add_f64 v[4:5], v[56:57], v[4:5]
	v_cndmask_b32_e64 v5, v57, v5, s[10:11]
	v_cndmask_b32_e64 v4, v56, v4, s[10:11]
	v_add_f64 v[4:5], v[58:59], v[4:5]
	v_cndmask_b32_e64 v5, v59, v5, s[12:13]
	v_cndmask_b32_e64 v4, v58, v4, s[12:13]
	v_add_f64 v[4:5], v[60:61], v[4:5]
	v_cmp_eq_u16_sdwa s[14:15], v117, v6 src0_sel:BYTE_0 src1_sel:DWORD
	v_cmp_eq_u16_sdwa s[16:17], v118, v6 src0_sel:BYTE_0 src1_sel:DWORD
	v_cmp_eq_u16_sdwa s[18:19], v119, v6 src0_sel:BYTE_0 src1_sel:DWORD
	v_cndmask_b32_e64 v5, v61, v5, s[14:15]
	v_cndmask_b32_e64 v4, v60, v4, s[14:15]
	;; [unrolled: 12-line block ×3, first 2 shown]
	v_add_f64 v[4:5], v[68:69], v[4:5]
	v_cndmask_b32_e64 v5, v69, v5, s[22:23]
	v_cndmask_b32_e64 v4, v68, v4, s[22:23]
	v_cmp_eq_u16_sdwa s[26:27], v123, v6 src0_sel:BYTE_0 src1_sel:DWORD
	v_cmp_eq_u16_sdwa s[28:29], v124, v6 src0_sel:BYTE_0 src1_sel:DWORD
	;; [unrolled: 1-line block ×8, first 2 shown]
	v_or_b32_e32 v6, v131, v127
	v_add_f64 v[4:5], v[70:71], v[4:5]
	v_or_b32_e32 v6, v6, v126
	v_cndmask_b32_e64 v5, v71, v5, s[24:25]
	v_cndmask_b32_e64 v4, v70, v4, s[24:25]
	v_or_b32_e32 v6, v6, v125
	v_add_f64 v[4:5], v[72:73], v[4:5]
	v_or_b32_e32 v6, v6, v124
	v_cndmask_b32_e64 v5, v73, v5, s[26:27]
	v_cndmask_b32_e64 v4, v72, v4, s[26:27]
	;; [unrolled: 5-line block ×8, first 2 shown]
	v_or_b32_e32 v6, v6, v110
	v_add_f64 v[4:5], v[84:85], v[4:5]
	v_or_b32_e32 v6, v6, v1
	v_mbcnt_hi_u32_b32 v10, -1, v130
	v_cndmask_b32_e64 v5, v85, v5, s[42:43]
	v_cndmask_b32_e64 v4, v84, v4, s[42:43]
	v_and_b32_e32 v11, 1, v6
	v_and_b32_e32 v8, 15, v10
	v_cmp_eq_u32_e64 s[42:43], 1, v11
	v_mov_b32_dpp v6, v4 row_shr:1 row_mask:0xf bank_mask:0xf
	v_mov_b32_dpp v7, v5 row_shr:1 row_mask:0xf bank_mask:0xf
	;; [unrolled: 1-line block ×3, first 2 shown]
	v_cmp_ne_u32_e64 s[44:45], 0, v8
	v_mov_b32_e32 v9, v11
	s_and_saveexec_b64 s[46:47], s[44:45]
; %bb.213:
	v_add_f64 v[6:7], v[4:5], v[6:7]
	v_cndmask_b32_e64 v4, v6, v4, s[42:43]
	v_and_b32_e32 v6, 1, v12
	v_or_b32_e32 v11, v6, v11
	v_cndmask_b32_e64 v5, v7, v5, s[42:43]
	v_and_b32_e32 v9, 0xffff, v11
; %bb.214:
	s_or_b64 exec, exec, s[46:47]
	v_mov_b32_dpp v6, v4 row_shr:2 row_mask:0xf bank_mask:0xf
	v_mov_b32_dpp v7, v5 row_shr:2 row_mask:0xf bank_mask:0xf
	v_mov_b32_dpp v12, v9 row_shr:2 row_mask:0xf bank_mask:0xf
	v_cmp_lt_u32_e64 s[42:43], 1, v8
	s_and_saveexec_b64 s[46:47], s[42:43]
; %bb.215:
	v_add_f64 v[6:7], v[4:5], v[6:7]
	v_cmp_eq_u16_e64 s[42:43], 0, v11
	s_nop 1
	v_cndmask_b32_e64 v4, v4, v6, s[42:43]
	v_and_b32_e32 v6, 1, v11
	v_cndmask_b32_e64 v5, v5, v7, s[42:43]
	v_cmp_eq_u32_e64 s[42:43], 1, v6
	v_and_b32_e32 v6, 1, v12
	v_cmp_eq_u32_e64 s[44:45], 1, v6
	s_or_b64 s[42:43], s[42:43], s[44:45]
	v_cndmask_b32_e64 v11, 0, 1, s[42:43]
	v_cndmask_b32_e64 v9, 0, 1, s[42:43]
; %bb.216:
	s_or_b64 exec, exec, s[46:47]
	v_mov_b32_dpp v6, v4 row_shr:4 row_mask:0xf bank_mask:0xf
	v_mov_b32_dpp v7, v5 row_shr:4 row_mask:0xf bank_mask:0xf
	v_mov_b32_dpp v12, v9 row_shr:4 row_mask:0xf bank_mask:0xf
	v_cmp_lt_u32_e64 s[42:43], 3, v8
	s_and_saveexec_b64 s[46:47], s[42:43]
; %bb.217:
	v_add_f64 v[6:7], v[4:5], v[6:7]
	v_cmp_eq_u16_e64 s[42:43], 0, v11
	s_nop 1
	v_cndmask_b32_e64 v4, v4, v6, s[42:43]
	v_and_b32_e32 v6, 1, v11
	v_cndmask_b32_e64 v5, v5, v7, s[42:43]
	v_cmp_eq_u32_e64 s[42:43], 1, v6
	v_and_b32_e32 v6, 1, v12
	v_cmp_eq_u32_e64 s[44:45], 1, v6
	s_or_b64 s[42:43], s[42:43], s[44:45]
	v_cndmask_b32_e64 v11, 0, 1, s[42:43]
	v_cndmask_b32_e64 v9, 0, 1, s[42:43]
	;; [unrolled: 20-line block ×3, first 2 shown]
; %bb.220:
	s_or_b64 exec, exec, s[46:47]
	v_and_b32_e32 v12, 16, v10
	v_mov_b32_dpp v6, v4 row_bcast:15 row_mask:0xf bank_mask:0xf
	v_mov_b32_dpp v7, v5 row_bcast:15 row_mask:0xf bank_mask:0xf
	;; [unrolled: 1-line block ×3, first 2 shown]
	v_cmp_ne_u32_e64 s[42:43], 0, v12
	s_and_saveexec_b64 s[46:47], s[42:43]
; %bb.221:
	v_add_f64 v[6:7], v[4:5], v[6:7]
	v_cmp_eq_u16_e64 s[42:43], 0, v11
	s_nop 1
	v_cndmask_b32_e64 v4, v4, v6, s[42:43]
	v_and_b32_e32 v6, 1, v11
	v_cndmask_b32_e64 v5, v5, v7, s[42:43]
	v_cmp_eq_u32_e64 s[42:43], 1, v6
	v_and_b32_e32 v6, 1, v8
	v_cmp_eq_u32_e64 s[44:45], 1, v6
	s_or_b64 s[42:43], s[42:43], s[44:45]
	v_cndmask_b32_e64 v11, 0, 1, s[42:43]
	v_cndmask_b32_e64 v9, 0, 1, s[42:43]
; %bb.222:
	s_or_b64 exec, exec, s[46:47]
	v_mov_b32_dpp v6, v4 row_bcast:31 row_mask:0xf bank_mask:0xf
	v_mov_b32_dpp v7, v5 row_bcast:31 row_mask:0xf bank_mask:0xf
	;; [unrolled: 1-line block ×3, first 2 shown]
	v_cmp_lt_u32_e64 s[42:43], 31, v10
	s_and_saveexec_b64 s[46:47], s[42:43]
; %bb.223:
	v_add_f64 v[6:7], v[4:5], v[6:7]
	v_cmp_eq_u16_e64 s[42:43], 0, v11
	s_nop 1
	v_cndmask_b32_e64 v4, v4, v6, s[42:43]
	v_and_b32_e32 v6, 1, v11
	v_cndmask_b32_e64 v5, v5, v7, s[42:43]
	v_cmp_eq_u32_e64 s[42:43], 1, v6
	v_and_b32_e32 v6, 1, v8
	v_cmp_eq_u32_e64 s[44:45], 1, v6
	s_or_b64 s[42:43], s[42:43], s[44:45]
	v_cndmask_b32_e64 v11, 0, 1, s[42:43]
; %bb.224:
	s_or_b64 exec, exec, s[46:47]
	v_or_b32_e32 v6, 63, v0
	v_lshrrev_b32_e32 v12, 6, v0
	v_cmp_eq_u32_e64 s[42:43], v6, v0
	s_and_saveexec_b64 s[44:45], s[42:43]
	s_cbranch_execz .LBB1420_226
; %bb.225:
	v_lshlrev_b32_e32 v6, 4, v12
	ds_write_b64 v6, v[4:5]
	ds_write_b8 v6, v11 offset:8
.LBB1420_226:
	s_or_b64 exec, exec, s[44:45]
	v_cmp_gt_u32_e64 s[42:43], 4, v0
	s_waitcnt lgkmcnt(0)
	s_barrier
	s_and_saveexec_b64 s[46:47], s[42:43]
	s_cbranch_execz .LBB1420_232
; %bb.227:
	v_lshlrev_b32_e32 v13, 4, v0
	ds_read_b64 v[6:7], v13
	ds_read_b32 v14, v13 offset:8
	v_and_b32_e32 v15, 3, v10
	v_cmp_ne_u32_e64 s[42:43], 0, v15
	s_waitcnt lgkmcnt(1)
	v_mov_b32_dpp v8, v6 row_shr:1 row_mask:0xf bank_mask:0xf
	v_mov_b32_dpp v9, v7 row_shr:1 row_mask:0xf bank_mask:0xf
	s_waitcnt lgkmcnt(0)
	v_mov_b32_dpp v18, v14 row_shr:1 row_mask:0xf bank_mask:0xf
	v_mov_b32_e32 v17, v14
	v_mov_b32_e32 v16, v14
	s_and_saveexec_b64 s[44:45], s[42:43]
; %bb.228:
	v_mov_b32_e32 v16, 0
	v_add_f64 v[8:9], v[6:7], v[8:9]
	v_cmp_eq_u16_sdwa s[42:43], v14, v16 src0_sel:BYTE_0 src1_sel:DWORD
	s_nop 1
	v_cndmask_b32_e64 v6, v6, v8, s[42:43]
	v_or_b32_e32 v8, v18, v14
	v_cndmask_b32_e64 v7, v7, v9, s[42:43]
	v_and_b32_e32 v16, 1, v8
	s_movk_i32 s42, 0xff00
	v_and_b32_e32 v17, 1, v8
	v_and_or_b32 v14, v14, s42, v16
; %bb.229:
	s_or_b64 exec, exec, s[44:45]
	v_mov_b32_dpp v8, v6 row_shr:2 row_mask:0xf bank_mask:0xf
	v_mov_b32_dpp v9, v7 row_shr:2 row_mask:0xf bank_mask:0xf
	;; [unrolled: 1-line block ×3, first 2 shown]
	v_cmp_lt_u32_e64 s[42:43], 1, v15
	s_and_saveexec_b64 s[48:49], s[42:43]
; %bb.230:
	v_mov_b32_e32 v15, 0
	v_add_f64 v[8:9], v[6:7], v[8:9]
	v_cmp_eq_u16_sdwa s[42:43], v16, v15 src0_sel:BYTE_0 src1_sel:DWORD
	s_nop 1
	v_cndmask_b32_e64 v6, v6, v8, s[42:43]
	v_and_b32_e32 v8, 1, v16
	v_cndmask_b32_e64 v7, v7, v9, s[42:43]
	v_cmp_eq_u32_e64 s[42:43], 1, v8
	v_and_b32_e32 v8, 1, v14
	v_cmp_eq_u32_e64 s[44:45], 1, v8
	s_or_b64 s[42:43], s[42:43], s[44:45]
	v_cndmask_b32_e64 v17, 0, 1, s[42:43]
; %bb.231:
	s_or_b64 exec, exec, s[48:49]
	ds_write_b64 v13, v[6:7]
	ds_write_b8 v13, v17 offset:8
.LBB1420_232:
	s_or_b64 exec, exec, s[46:47]
	v_cmp_lt_u32_e64 s[42:43], 63, v0
	s_waitcnt vmcnt(0)
	v_mov_b64_e32 v[6:7], v[2:3]
	s_waitcnt lgkmcnt(0)
	s_barrier
	s_and_saveexec_b64 s[44:45], s[42:43]
	s_cbranch_execz .LBB1420_234
; %bb.233:
	v_lshl_add_u32 v8, v12, 4, -16
	ds_read_b64 v[6:7], v8
	ds_read_u8 v12, v8 offset:8
	s_waitcnt lgkmcnt(1)
	v_add_f64 v[8:9], v[2:3], v[6:7]
	s_waitcnt lgkmcnt(0)
	v_cmp_eq_u16_e64 s[42:43], 0, v12
	s_nop 1
	v_cndmask_b32_e64 v7, v7, v9, s[42:43]
	v_cndmask_b32_e64 v6, v6, v8, s[42:43]
.LBB1420_234:
	s_or_b64 exec, exec, s[44:45]
	v_add_f64 v[8:9], v[4:5], v[6:7]
	v_cmp_eq_u16_e64 s[42:43], 0, v11
	s_nop 1
	v_cndmask_b32_e64 v5, v5, v9, s[42:43]
	v_cndmask_b32_e64 v4, v4, v8, s[42:43]
	v_add_u32_e32 v8, -1, v10
	v_and_b32_e32 v9, 64, v10
	v_cmp_lt_i32_e64 s[42:43], v8, v9
	s_nop 1
	v_cndmask_b32_e64 v8, v8, v10, s[42:43]
	v_lshlrev_b32_e32 v8, 2, v8
	ds_bpermute_b32 v5, v8, v5
	ds_bpermute_b32 v4, v8, v4
	v_cmp_eq_u32_e64 s[42:43], 0, v10
	v_mov_b32_e32 v8, 0
	s_waitcnt lgkmcnt(1)
	v_cndmask_b32_e64 v89, v5, v7, s[42:43]
	s_waitcnt lgkmcnt(0)
	v_cndmask_b32_e64 v88, v4, v6, s[42:43]
	v_cndmask_b32_e64 v5, v89, v3, s[2:3]
	;; [unrolled: 1-line block ×3, first 2 shown]
	v_add_f64 v[4:5], v[44:45], v[4:5]
	v_cmp_eq_u16_sdwa s[42:43], v1, v8 src0_sel:BYTE_0 src1_sel:DWORD
	s_nop 1
	v_cndmask_b32_e64 v5, v45, v5, s[42:43]
	v_cndmask_b32_e64 v4, v44, v4, s[42:43]
	v_add_f64 v[6:7], v[46:47], v[4:5]
	v_cndmask_b32_e32 v7, v47, v7, vcc
	v_cndmask_b32_e32 v6, v46, v6, vcc
	v_add_f64 v[10:11], v[48:49], v[6:7]
	v_cndmask_b32_e64 v91, v49, v11, s[4:5]
	v_cndmask_b32_e64 v90, v48, v10, s[4:5]
	v_add_f64 v[10:11], v[52:53], v[90:91]
	v_cndmask_b32_e64 v11, v53, v11, s[6:7]
	v_cndmask_b32_e64 v10, v52, v10, s[6:7]
	;; [unrolled: 3-line block ×18, first 2 shown]
	s_and_saveexec_b64 s[4:5], s[2:3]
	s_cbranch_execz .LBB1420_236
; %bb.235:
	ds_read_b64 v[12:13], v8 offset:48
	ds_read_u8 v1, v8 offset:56
	v_mov_b64_e32 v[88:89], v[2:3]
	s_waitcnt lgkmcnt(1)
	v_add_f64 v[16:17], v[2:3], v[12:13]
	s_waitcnt lgkmcnt(0)
	v_cmp_eq_u32_e32 vcc, 0, v1
	s_nop 1
	v_cndmask_b32_e32 v12, v12, v16, vcc
	v_cndmask_b32_e32 v9, v13, v17, vcc
	global_store_dword v8, v12, s[50:51] offset:1024 sc1
	global_store_dword v8, v9, s[50:51] offset:1028 sc1
	;; [unrolled: 1-line block ×4, first 2 shown]
	v_mov_b32_e32 v1, 2
	s_waitcnt vmcnt(0)
	global_store_byte v8, v1, s[52:53] offset:64 sc1
.LBB1420_236:
	s_or_b64 exec, exec, s[4:5]
.LBB1420_237:
	s_add_u32 s2, s62, s56
	s_addc_u32 s3, s63, s57
	v_lshl_add_u64 v[2:3], s[2:3], 0, v[42:43]
	s_and_b64 vcc, exec, s[0:1]
	v_lshlrev_b32_e32 v8, 3, v0
	s_cbranch_vccz .LBB1420_279
; %bb.238:
	s_movk_i32 s0, 0xa8
	v_mul_i32_i24_e32 v16, 0xffffff60, v0
	v_mul_u32_u24_e32 v1, 0xa8, v0
	v_mad_u32_u24 v9, v0, s0, v16
	s_barrier
	ds_write2_b64 v1, v[88:89], v[4:5] offset1:1
	ds_write2_b64 v1, v[6:7], v[90:91] offset0:2 offset1:3
	ds_write2_b64 v1, v[10:11], v[92:93] offset0:4 offset1:5
	ds_write2_b64 v1, v[14:15], v[94:95] offset0:6 offset1:7
	ds_write2_b64 v1, v[18:19], v[96:97] offset0:8 offset1:9
	ds_write2_b64 v1, v[22:23], v[98:99] offset0:10 offset1:11
	ds_write2_b64 v1, v[26:27], v[100:101] offset0:12 offset1:13
	ds_write2_b64 v1, v[30:31], v[102:103] offset0:14 offset1:15
	ds_write2_b64 v1, v[34:35], v[104:105] offset0:16 offset1:17
	ds_write2_b64 v1, v[38:39], v[106:107] offset0:18 offset1:19
	ds_write_b64 v1, v[108:109] offset:160
	s_waitcnt lgkmcnt(0)
	s_barrier
	ds_read2st64_b64 v[76:79], v9 offset0:4 offset1:8
	ds_read2st64_b64 v[72:75], v9 offset0:12 offset1:16
	;; [unrolled: 1-line block ×10, first 2 shown]
	s_add_i32 s33, s33, s54
	v_mov_b32_e32 v9, 0
	v_lshl_add_u64 v[12:13], v[2:3], 0, v[8:9]
	v_cmp_gt_u32_e32 vcc, s33, v0
	s_and_saveexec_b64 s[0:1], vcc
	s_cbranch_execz .LBB1420_240
; %bb.239:
	v_add_u32_e32 v1, v1, v16
	ds_read_b64 v[16:17], v1
	s_waitcnt lgkmcnt(0)
	flat_store_dwordx2 v[12:13], v[16:17]
.LBB1420_240:
	s_or_b64 exec, exec, s[0:1]
	v_or_b32_e32 v1, 0x100, v0
	v_cmp_gt_u32_e32 vcc, s33, v1
	s_and_saveexec_b64 s[0:1], vcc
	s_cbranch_execz .LBB1420_242
; %bb.241:
	s_waitcnt lgkmcnt(0)
	flat_store_dwordx2 v[12:13], v[76:77] offset:2048
.LBB1420_242:
	s_or_b64 exec, exec, s[0:1]
	v_or_b32_e32 v1, 0x200, v0
	v_cmp_gt_u32_e32 vcc, s33, v1
	s_and_saveexec_b64 s[0:1], vcc
	s_cbranch_execz .LBB1420_244
; %bb.243:
	v_add_co_u32_e32 v16, vcc, 0x1000, v12
	s_nop 1
	v_addc_co_u32_e32 v17, vcc, 0, v13, vcc
	s_waitcnt lgkmcnt(0)
	flat_store_dwordx2 v[16:17], v[78:79]
.LBB1420_244:
	s_or_b64 exec, exec, s[0:1]
	v_or_b32_e32 v1, 0x300, v0
	v_cmp_gt_u32_e32 vcc, s33, v1
	s_and_saveexec_b64 s[0:1], vcc
	s_cbranch_execz .LBB1420_246
; %bb.245:
	v_add_co_u32_e32 v16, vcc, 0x1000, v12
	s_nop 1
	v_addc_co_u32_e32 v17, vcc, 0, v13, vcc
	s_waitcnt lgkmcnt(0)
	flat_store_dwordx2 v[16:17], v[72:73] offset:2048
.LBB1420_246:
	s_or_b64 exec, exec, s[0:1]
	v_or_b32_e32 v1, 0x400, v0
	v_cmp_gt_u32_e32 vcc, s33, v1
	s_and_saveexec_b64 s[0:1], vcc
	s_cbranch_execz .LBB1420_248
; %bb.247:
	v_add_co_u32_e32 v16, vcc, 0x2000, v12
	s_nop 1
	v_addc_co_u32_e32 v17, vcc, 0, v13, vcc
	s_waitcnt lgkmcnt(0)
	flat_store_dwordx2 v[16:17], v[74:75]
.LBB1420_248:
	s_or_b64 exec, exec, s[0:1]
	v_or_b32_e32 v1, 0x500, v0
	v_cmp_gt_u32_e32 vcc, s33, v1
	s_and_saveexec_b64 s[0:1], vcc
	s_cbranch_execz .LBB1420_250
; %bb.249:
	v_add_co_u32_e32 v16, vcc, 0x2000, v12
	s_nop 1
	v_addc_co_u32_e32 v17, vcc, 0, v13, vcc
	s_waitcnt lgkmcnt(0)
	flat_store_dwordx2 v[16:17], v[68:69] offset:2048
.LBB1420_250:
	;; [unrolled: 24-line block ×9, first 2 shown]
	s_or_b64 exec, exec, s[0:1]
	v_mov_b32_e32 v1, v9
	v_or_b32_e32 v9, 0x1400, v0
	v_cmp_gt_u32_e64 s[0:1], s33, v9
	s_branch .LBB1420_281
.LBB1420_279:
	s_mov_b64 s[0:1], 0
                                        ; implicit-def: $vgpr42_vgpr43
	s_cbranch_execz .LBB1420_281
; %bb.280:
	v_mul_u32_u24_e32 v1, 0xa8, v0
	s_waitcnt lgkmcnt(0)
	s_barrier
	s_movk_i32 s2, 0xa8
	ds_write2_b64 v1, v[88:89], v[4:5] offset1:1
	ds_write2_b64 v1, v[6:7], v[90:91] offset0:2 offset1:3
	ds_write2_b64 v1, v[10:11], v[92:93] offset0:4 offset1:5
	;; [unrolled: 1-line block ×9, first 2 shown]
	ds_write_b64 v1, v[108:109] offset:160
	v_mul_i32_i24_e32 v4, 0xffffff60, v0
	v_mov_b32_e32 v1, 0
	v_mad_u32_u24 v9, v0, s2, v4
	s_waitcnt lgkmcnt(0)
	s_barrier
	ds_read2st64_b64 v[4:7], v9 offset1:4
	ds_read2st64_b64 v[10:13], v9 offset0:8 offset1:12
	ds_read2st64_b64 v[14:17], v9 offset0:16 offset1:20
	ds_read2st64_b64 v[18:21], v9 offset0:24 offset1:28
	ds_read2st64_b64 v[22:25], v9 offset0:32 offset1:36
	ds_read2st64_b64 v[26:29], v9 offset0:40 offset1:44
	ds_read2st64_b64 v[30:33], v9 offset0:48 offset1:52
	ds_read2st64_b64 v[34:37], v9 offset0:56 offset1:60
	ds_read2st64_b64 v[38:41], v9 offset0:64 offset1:68
	ds_read2st64_b64 v[44:47], v9 offset0:72 offset1:76
	ds_read_b64 v[42:43], v9 offset:40960
	v_mov_b32_e32 v9, v1
	v_lshl_add_u64 v[8:9], v[2:3], 0, v[8:9]
	s_movk_i32 s2, 0x1000
	s_waitcnt lgkmcnt(0)
	flat_store_dwordx2 v[8:9], v[4:5]
	flat_store_dwordx2 v[8:9], v[6:7] offset:2048
	v_add_co_u32_e32 v4, vcc, s2, v8
	s_movk_i32 s2, 0x2000
	s_nop 0
	v_addc_co_u32_e32 v5, vcc, 0, v9, vcc
	flat_store_dwordx2 v[4:5], v[10:11]
	flat_store_dwordx2 v[4:5], v[12:13] offset:2048
	v_add_co_u32_e32 v4, vcc, s2, v8
	s_movk_i32 s2, 0x3000
	s_nop 0
	v_addc_co_u32_e32 v5, vcc, 0, v9, vcc
	;; [unrolled: 6-line block ×6, first 2 shown]
	flat_store_dwordx2 v[4:5], v[30:31]
	flat_store_dwordx2 v[4:5], v[32:33] offset:2048
	v_add_co_u32_e32 v4, vcc, s2, v8
	s_or_b64 s[0:1], s[0:1], exec
	s_nop 0
	v_addc_co_u32_e32 v5, vcc, 0, v9, vcc
	flat_store_dwordx2 v[4:5], v[34:35]
	flat_store_dwordx2 v[4:5], v[36:37] offset:2048
	v_add_co_u32_e32 v4, vcc, 0x8000, v8
	s_nop 1
	v_addc_co_u32_e32 v5, vcc, 0, v9, vcc
	flat_store_dwordx2 v[4:5], v[38:39]
	flat_store_dwordx2 v[4:5], v[40:41] offset:2048
	v_add_co_u32_e32 v4, vcc, 0x9000, v8
	s_nop 1
	v_addc_co_u32_e32 v5, vcc, 0, v9, vcc
	flat_store_dwordx2 v[4:5], v[44:45]
	flat_store_dwordx2 v[4:5], v[46:47] offset:2048
.LBB1420_281:
	s_and_saveexec_b64 s[2:3], s[0:1]
	s_cbranch_execz .LBB1420_283
; %bb.282:
	v_lshl_add_u64 v[0:1], v[0:1], 3, v[2:3]
	v_add_co_u32_e32 v0, vcc, 0xa000, v0
	s_nop 1
	v_addc_co_u32_e32 v1, vcc, 0, v1, vcc
	s_waitcnt lgkmcnt(0)
	flat_store_dwordx2 v[0:1], v[42:43]
	s_endpgm
.LBB1420_283:
	s_endpgm
	.section	.rodata,"a",@progbits
	.p2align	6, 0x0
	.amdhsa_kernel _ZN7rocprim17ROCPRIM_400000_NS6detail17trampoline_kernelINS0_14default_configENS1_27scan_by_key_config_selectorIidEEZZNS1_16scan_by_key_implILNS1_25lookback_scan_determinismE0ELb1ES3_N6thrust23THRUST_200600_302600_NS6detail15normal_iteratorINS9_10device_ptrIiEEEENSB_INSC_IdEEEESG_dNS9_4plusIvEENS9_8equal_toIvEEdEE10hipError_tPvRmT2_T3_T4_T5_mT6_T7_P12ihipStream_tbENKUlT_T0_E_clISt17integral_constantIbLb0EES10_IbLb1EEEEDaSW_SX_EUlSW_E_NS1_11comp_targetILNS1_3genE5ELNS1_11target_archE942ELNS1_3gpuE9ELNS1_3repE0EEENS1_30default_config_static_selectorELNS0_4arch9wavefront6targetE1EEEvT1_
		.amdhsa_group_segment_fixed_size 43008
		.amdhsa_private_segment_fixed_size 0
		.amdhsa_kernarg_size 136
		.amdhsa_user_sgpr_count 2
		.amdhsa_user_sgpr_dispatch_ptr 0
		.amdhsa_user_sgpr_queue_ptr 0
		.amdhsa_user_sgpr_kernarg_segment_ptr 1
		.amdhsa_user_sgpr_dispatch_id 0
		.amdhsa_user_sgpr_kernarg_preload_length 0
		.amdhsa_user_sgpr_kernarg_preload_offset 0
		.amdhsa_user_sgpr_private_segment_size 0
		.amdhsa_uses_dynamic_stack 0
		.amdhsa_enable_private_segment 0
		.amdhsa_system_sgpr_workgroup_id_x 1
		.amdhsa_system_sgpr_workgroup_id_y 0
		.amdhsa_system_sgpr_workgroup_id_z 0
		.amdhsa_system_sgpr_workgroup_info 0
		.amdhsa_system_vgpr_workitem_id 0
		.amdhsa_next_free_vgpr 132
		.amdhsa_next_free_sgpr 73
		.amdhsa_accum_offset 132
		.amdhsa_reserve_vcc 1
		.amdhsa_float_round_mode_32 0
		.amdhsa_float_round_mode_16_64 0
		.amdhsa_float_denorm_mode_32 3
		.amdhsa_float_denorm_mode_16_64 3
		.amdhsa_dx10_clamp 1
		.amdhsa_ieee_mode 1
		.amdhsa_fp16_overflow 0
		.amdhsa_tg_split 0
		.amdhsa_exception_fp_ieee_invalid_op 0
		.amdhsa_exception_fp_denorm_src 0
		.amdhsa_exception_fp_ieee_div_zero 0
		.amdhsa_exception_fp_ieee_overflow 0
		.amdhsa_exception_fp_ieee_underflow 0
		.amdhsa_exception_fp_ieee_inexact 0
		.amdhsa_exception_int_div_zero 0
	.end_amdhsa_kernel
	.section	.text._ZN7rocprim17ROCPRIM_400000_NS6detail17trampoline_kernelINS0_14default_configENS1_27scan_by_key_config_selectorIidEEZZNS1_16scan_by_key_implILNS1_25lookback_scan_determinismE0ELb1ES3_N6thrust23THRUST_200600_302600_NS6detail15normal_iteratorINS9_10device_ptrIiEEEENSB_INSC_IdEEEESG_dNS9_4plusIvEENS9_8equal_toIvEEdEE10hipError_tPvRmT2_T3_T4_T5_mT6_T7_P12ihipStream_tbENKUlT_T0_E_clISt17integral_constantIbLb0EES10_IbLb1EEEEDaSW_SX_EUlSW_E_NS1_11comp_targetILNS1_3genE5ELNS1_11target_archE942ELNS1_3gpuE9ELNS1_3repE0EEENS1_30default_config_static_selectorELNS0_4arch9wavefront6targetE1EEEvT1_,"axG",@progbits,_ZN7rocprim17ROCPRIM_400000_NS6detail17trampoline_kernelINS0_14default_configENS1_27scan_by_key_config_selectorIidEEZZNS1_16scan_by_key_implILNS1_25lookback_scan_determinismE0ELb1ES3_N6thrust23THRUST_200600_302600_NS6detail15normal_iteratorINS9_10device_ptrIiEEEENSB_INSC_IdEEEESG_dNS9_4plusIvEENS9_8equal_toIvEEdEE10hipError_tPvRmT2_T3_T4_T5_mT6_T7_P12ihipStream_tbENKUlT_T0_E_clISt17integral_constantIbLb0EES10_IbLb1EEEEDaSW_SX_EUlSW_E_NS1_11comp_targetILNS1_3genE5ELNS1_11target_archE942ELNS1_3gpuE9ELNS1_3repE0EEENS1_30default_config_static_selectorELNS0_4arch9wavefront6targetE1EEEvT1_,comdat
.Lfunc_end1420:
	.size	_ZN7rocprim17ROCPRIM_400000_NS6detail17trampoline_kernelINS0_14default_configENS1_27scan_by_key_config_selectorIidEEZZNS1_16scan_by_key_implILNS1_25lookback_scan_determinismE0ELb1ES3_N6thrust23THRUST_200600_302600_NS6detail15normal_iteratorINS9_10device_ptrIiEEEENSB_INSC_IdEEEESG_dNS9_4plusIvEENS9_8equal_toIvEEdEE10hipError_tPvRmT2_T3_T4_T5_mT6_T7_P12ihipStream_tbENKUlT_T0_E_clISt17integral_constantIbLb0EES10_IbLb1EEEEDaSW_SX_EUlSW_E_NS1_11comp_targetILNS1_3genE5ELNS1_11target_archE942ELNS1_3gpuE9ELNS1_3repE0EEENS1_30default_config_static_selectorELNS0_4arch9wavefront6targetE1EEEvT1_, .Lfunc_end1420-_ZN7rocprim17ROCPRIM_400000_NS6detail17trampoline_kernelINS0_14default_configENS1_27scan_by_key_config_selectorIidEEZZNS1_16scan_by_key_implILNS1_25lookback_scan_determinismE0ELb1ES3_N6thrust23THRUST_200600_302600_NS6detail15normal_iteratorINS9_10device_ptrIiEEEENSB_INSC_IdEEEESG_dNS9_4plusIvEENS9_8equal_toIvEEdEE10hipError_tPvRmT2_T3_T4_T5_mT6_T7_P12ihipStream_tbENKUlT_T0_E_clISt17integral_constantIbLb0EES10_IbLb1EEEEDaSW_SX_EUlSW_E_NS1_11comp_targetILNS1_3genE5ELNS1_11target_archE942ELNS1_3gpuE9ELNS1_3repE0EEENS1_30default_config_static_selectorELNS0_4arch9wavefront6targetE1EEEvT1_
                                        ; -- End function
	.section	.AMDGPU.csdata,"",@progbits
; Kernel info:
; codeLenInByte = 17328
; NumSgprs: 79
; NumVgprs: 132
; NumAgprs: 0
; TotalNumVgprs: 132
; ScratchSize: 0
; MemoryBound: 0
; FloatMode: 240
; IeeeMode: 1
; LDSByteSize: 43008 bytes/workgroup (compile time only)
; SGPRBlocks: 9
; VGPRBlocks: 16
; NumSGPRsForWavesPerEU: 79
; NumVGPRsForWavesPerEU: 132
; AccumOffset: 132
; Occupancy: 1
; WaveLimiterHint : 1
; COMPUTE_PGM_RSRC2:SCRATCH_EN: 0
; COMPUTE_PGM_RSRC2:USER_SGPR: 2
; COMPUTE_PGM_RSRC2:TRAP_HANDLER: 0
; COMPUTE_PGM_RSRC2:TGID_X_EN: 1
; COMPUTE_PGM_RSRC2:TGID_Y_EN: 0
; COMPUTE_PGM_RSRC2:TGID_Z_EN: 0
; COMPUTE_PGM_RSRC2:TIDIG_COMP_CNT: 0
; COMPUTE_PGM_RSRC3_GFX90A:ACCUM_OFFSET: 32
; COMPUTE_PGM_RSRC3_GFX90A:TG_SPLIT: 0
	.section	.text._ZN7rocprim17ROCPRIM_400000_NS6detail17trampoline_kernelINS0_14default_configENS1_27scan_by_key_config_selectorIidEEZZNS1_16scan_by_key_implILNS1_25lookback_scan_determinismE0ELb1ES3_N6thrust23THRUST_200600_302600_NS6detail15normal_iteratorINS9_10device_ptrIiEEEENSB_INSC_IdEEEESG_dNS9_4plusIvEENS9_8equal_toIvEEdEE10hipError_tPvRmT2_T3_T4_T5_mT6_T7_P12ihipStream_tbENKUlT_T0_E_clISt17integral_constantIbLb0EES10_IbLb1EEEEDaSW_SX_EUlSW_E_NS1_11comp_targetILNS1_3genE4ELNS1_11target_archE910ELNS1_3gpuE8ELNS1_3repE0EEENS1_30default_config_static_selectorELNS0_4arch9wavefront6targetE1EEEvT1_,"axG",@progbits,_ZN7rocprim17ROCPRIM_400000_NS6detail17trampoline_kernelINS0_14default_configENS1_27scan_by_key_config_selectorIidEEZZNS1_16scan_by_key_implILNS1_25lookback_scan_determinismE0ELb1ES3_N6thrust23THRUST_200600_302600_NS6detail15normal_iteratorINS9_10device_ptrIiEEEENSB_INSC_IdEEEESG_dNS9_4plusIvEENS9_8equal_toIvEEdEE10hipError_tPvRmT2_T3_T4_T5_mT6_T7_P12ihipStream_tbENKUlT_T0_E_clISt17integral_constantIbLb0EES10_IbLb1EEEEDaSW_SX_EUlSW_E_NS1_11comp_targetILNS1_3genE4ELNS1_11target_archE910ELNS1_3gpuE8ELNS1_3repE0EEENS1_30default_config_static_selectorELNS0_4arch9wavefront6targetE1EEEvT1_,comdat
	.protected	_ZN7rocprim17ROCPRIM_400000_NS6detail17trampoline_kernelINS0_14default_configENS1_27scan_by_key_config_selectorIidEEZZNS1_16scan_by_key_implILNS1_25lookback_scan_determinismE0ELb1ES3_N6thrust23THRUST_200600_302600_NS6detail15normal_iteratorINS9_10device_ptrIiEEEENSB_INSC_IdEEEESG_dNS9_4plusIvEENS9_8equal_toIvEEdEE10hipError_tPvRmT2_T3_T4_T5_mT6_T7_P12ihipStream_tbENKUlT_T0_E_clISt17integral_constantIbLb0EES10_IbLb1EEEEDaSW_SX_EUlSW_E_NS1_11comp_targetILNS1_3genE4ELNS1_11target_archE910ELNS1_3gpuE8ELNS1_3repE0EEENS1_30default_config_static_selectorELNS0_4arch9wavefront6targetE1EEEvT1_ ; -- Begin function _ZN7rocprim17ROCPRIM_400000_NS6detail17trampoline_kernelINS0_14default_configENS1_27scan_by_key_config_selectorIidEEZZNS1_16scan_by_key_implILNS1_25lookback_scan_determinismE0ELb1ES3_N6thrust23THRUST_200600_302600_NS6detail15normal_iteratorINS9_10device_ptrIiEEEENSB_INSC_IdEEEESG_dNS9_4plusIvEENS9_8equal_toIvEEdEE10hipError_tPvRmT2_T3_T4_T5_mT6_T7_P12ihipStream_tbENKUlT_T0_E_clISt17integral_constantIbLb0EES10_IbLb1EEEEDaSW_SX_EUlSW_E_NS1_11comp_targetILNS1_3genE4ELNS1_11target_archE910ELNS1_3gpuE8ELNS1_3repE0EEENS1_30default_config_static_selectorELNS0_4arch9wavefront6targetE1EEEvT1_
	.globl	_ZN7rocprim17ROCPRIM_400000_NS6detail17trampoline_kernelINS0_14default_configENS1_27scan_by_key_config_selectorIidEEZZNS1_16scan_by_key_implILNS1_25lookback_scan_determinismE0ELb1ES3_N6thrust23THRUST_200600_302600_NS6detail15normal_iteratorINS9_10device_ptrIiEEEENSB_INSC_IdEEEESG_dNS9_4plusIvEENS9_8equal_toIvEEdEE10hipError_tPvRmT2_T3_T4_T5_mT6_T7_P12ihipStream_tbENKUlT_T0_E_clISt17integral_constantIbLb0EES10_IbLb1EEEEDaSW_SX_EUlSW_E_NS1_11comp_targetILNS1_3genE4ELNS1_11target_archE910ELNS1_3gpuE8ELNS1_3repE0EEENS1_30default_config_static_selectorELNS0_4arch9wavefront6targetE1EEEvT1_
	.p2align	8
	.type	_ZN7rocprim17ROCPRIM_400000_NS6detail17trampoline_kernelINS0_14default_configENS1_27scan_by_key_config_selectorIidEEZZNS1_16scan_by_key_implILNS1_25lookback_scan_determinismE0ELb1ES3_N6thrust23THRUST_200600_302600_NS6detail15normal_iteratorINS9_10device_ptrIiEEEENSB_INSC_IdEEEESG_dNS9_4plusIvEENS9_8equal_toIvEEdEE10hipError_tPvRmT2_T3_T4_T5_mT6_T7_P12ihipStream_tbENKUlT_T0_E_clISt17integral_constantIbLb0EES10_IbLb1EEEEDaSW_SX_EUlSW_E_NS1_11comp_targetILNS1_3genE4ELNS1_11target_archE910ELNS1_3gpuE8ELNS1_3repE0EEENS1_30default_config_static_selectorELNS0_4arch9wavefront6targetE1EEEvT1_,@function
_ZN7rocprim17ROCPRIM_400000_NS6detail17trampoline_kernelINS0_14default_configENS1_27scan_by_key_config_selectorIidEEZZNS1_16scan_by_key_implILNS1_25lookback_scan_determinismE0ELb1ES3_N6thrust23THRUST_200600_302600_NS6detail15normal_iteratorINS9_10device_ptrIiEEEENSB_INSC_IdEEEESG_dNS9_4plusIvEENS9_8equal_toIvEEdEE10hipError_tPvRmT2_T3_T4_T5_mT6_T7_P12ihipStream_tbENKUlT_T0_E_clISt17integral_constantIbLb0EES10_IbLb1EEEEDaSW_SX_EUlSW_E_NS1_11comp_targetILNS1_3genE4ELNS1_11target_archE910ELNS1_3gpuE8ELNS1_3repE0EEENS1_30default_config_static_selectorELNS0_4arch9wavefront6targetE1EEEvT1_: ; @_ZN7rocprim17ROCPRIM_400000_NS6detail17trampoline_kernelINS0_14default_configENS1_27scan_by_key_config_selectorIidEEZZNS1_16scan_by_key_implILNS1_25lookback_scan_determinismE0ELb1ES3_N6thrust23THRUST_200600_302600_NS6detail15normal_iteratorINS9_10device_ptrIiEEEENSB_INSC_IdEEEESG_dNS9_4plusIvEENS9_8equal_toIvEEdEE10hipError_tPvRmT2_T3_T4_T5_mT6_T7_P12ihipStream_tbENKUlT_T0_E_clISt17integral_constantIbLb0EES10_IbLb1EEEEDaSW_SX_EUlSW_E_NS1_11comp_targetILNS1_3genE4ELNS1_11target_archE910ELNS1_3gpuE8ELNS1_3repE0EEENS1_30default_config_static_selectorELNS0_4arch9wavefront6targetE1EEEvT1_
; %bb.0:
	.section	.rodata,"a",@progbits
	.p2align	6, 0x0
	.amdhsa_kernel _ZN7rocprim17ROCPRIM_400000_NS6detail17trampoline_kernelINS0_14default_configENS1_27scan_by_key_config_selectorIidEEZZNS1_16scan_by_key_implILNS1_25lookback_scan_determinismE0ELb1ES3_N6thrust23THRUST_200600_302600_NS6detail15normal_iteratorINS9_10device_ptrIiEEEENSB_INSC_IdEEEESG_dNS9_4plusIvEENS9_8equal_toIvEEdEE10hipError_tPvRmT2_T3_T4_T5_mT6_T7_P12ihipStream_tbENKUlT_T0_E_clISt17integral_constantIbLb0EES10_IbLb1EEEEDaSW_SX_EUlSW_E_NS1_11comp_targetILNS1_3genE4ELNS1_11target_archE910ELNS1_3gpuE8ELNS1_3repE0EEENS1_30default_config_static_selectorELNS0_4arch9wavefront6targetE1EEEvT1_
		.amdhsa_group_segment_fixed_size 0
		.amdhsa_private_segment_fixed_size 0
		.amdhsa_kernarg_size 136
		.amdhsa_user_sgpr_count 2
		.amdhsa_user_sgpr_dispatch_ptr 0
		.amdhsa_user_sgpr_queue_ptr 0
		.amdhsa_user_sgpr_kernarg_segment_ptr 1
		.amdhsa_user_sgpr_dispatch_id 0
		.amdhsa_user_sgpr_kernarg_preload_length 0
		.amdhsa_user_sgpr_kernarg_preload_offset 0
		.amdhsa_user_sgpr_private_segment_size 0
		.amdhsa_uses_dynamic_stack 0
		.amdhsa_enable_private_segment 0
		.amdhsa_system_sgpr_workgroup_id_x 1
		.amdhsa_system_sgpr_workgroup_id_y 0
		.amdhsa_system_sgpr_workgroup_id_z 0
		.amdhsa_system_sgpr_workgroup_info 0
		.amdhsa_system_vgpr_workitem_id 0
		.amdhsa_next_free_vgpr 1
		.amdhsa_next_free_sgpr 0
		.amdhsa_accum_offset 4
		.amdhsa_reserve_vcc 0
		.amdhsa_float_round_mode_32 0
		.amdhsa_float_round_mode_16_64 0
		.amdhsa_float_denorm_mode_32 3
		.amdhsa_float_denorm_mode_16_64 3
		.amdhsa_dx10_clamp 1
		.amdhsa_ieee_mode 1
		.amdhsa_fp16_overflow 0
		.amdhsa_tg_split 0
		.amdhsa_exception_fp_ieee_invalid_op 0
		.amdhsa_exception_fp_denorm_src 0
		.amdhsa_exception_fp_ieee_div_zero 0
		.amdhsa_exception_fp_ieee_overflow 0
		.amdhsa_exception_fp_ieee_underflow 0
		.amdhsa_exception_fp_ieee_inexact 0
		.amdhsa_exception_int_div_zero 0
	.end_amdhsa_kernel
	.section	.text._ZN7rocprim17ROCPRIM_400000_NS6detail17trampoline_kernelINS0_14default_configENS1_27scan_by_key_config_selectorIidEEZZNS1_16scan_by_key_implILNS1_25lookback_scan_determinismE0ELb1ES3_N6thrust23THRUST_200600_302600_NS6detail15normal_iteratorINS9_10device_ptrIiEEEENSB_INSC_IdEEEESG_dNS9_4plusIvEENS9_8equal_toIvEEdEE10hipError_tPvRmT2_T3_T4_T5_mT6_T7_P12ihipStream_tbENKUlT_T0_E_clISt17integral_constantIbLb0EES10_IbLb1EEEEDaSW_SX_EUlSW_E_NS1_11comp_targetILNS1_3genE4ELNS1_11target_archE910ELNS1_3gpuE8ELNS1_3repE0EEENS1_30default_config_static_selectorELNS0_4arch9wavefront6targetE1EEEvT1_,"axG",@progbits,_ZN7rocprim17ROCPRIM_400000_NS6detail17trampoline_kernelINS0_14default_configENS1_27scan_by_key_config_selectorIidEEZZNS1_16scan_by_key_implILNS1_25lookback_scan_determinismE0ELb1ES3_N6thrust23THRUST_200600_302600_NS6detail15normal_iteratorINS9_10device_ptrIiEEEENSB_INSC_IdEEEESG_dNS9_4plusIvEENS9_8equal_toIvEEdEE10hipError_tPvRmT2_T3_T4_T5_mT6_T7_P12ihipStream_tbENKUlT_T0_E_clISt17integral_constantIbLb0EES10_IbLb1EEEEDaSW_SX_EUlSW_E_NS1_11comp_targetILNS1_3genE4ELNS1_11target_archE910ELNS1_3gpuE8ELNS1_3repE0EEENS1_30default_config_static_selectorELNS0_4arch9wavefront6targetE1EEEvT1_,comdat
.Lfunc_end1421:
	.size	_ZN7rocprim17ROCPRIM_400000_NS6detail17trampoline_kernelINS0_14default_configENS1_27scan_by_key_config_selectorIidEEZZNS1_16scan_by_key_implILNS1_25lookback_scan_determinismE0ELb1ES3_N6thrust23THRUST_200600_302600_NS6detail15normal_iteratorINS9_10device_ptrIiEEEENSB_INSC_IdEEEESG_dNS9_4plusIvEENS9_8equal_toIvEEdEE10hipError_tPvRmT2_T3_T4_T5_mT6_T7_P12ihipStream_tbENKUlT_T0_E_clISt17integral_constantIbLb0EES10_IbLb1EEEEDaSW_SX_EUlSW_E_NS1_11comp_targetILNS1_3genE4ELNS1_11target_archE910ELNS1_3gpuE8ELNS1_3repE0EEENS1_30default_config_static_selectorELNS0_4arch9wavefront6targetE1EEEvT1_, .Lfunc_end1421-_ZN7rocprim17ROCPRIM_400000_NS6detail17trampoline_kernelINS0_14default_configENS1_27scan_by_key_config_selectorIidEEZZNS1_16scan_by_key_implILNS1_25lookback_scan_determinismE0ELb1ES3_N6thrust23THRUST_200600_302600_NS6detail15normal_iteratorINS9_10device_ptrIiEEEENSB_INSC_IdEEEESG_dNS9_4plusIvEENS9_8equal_toIvEEdEE10hipError_tPvRmT2_T3_T4_T5_mT6_T7_P12ihipStream_tbENKUlT_T0_E_clISt17integral_constantIbLb0EES10_IbLb1EEEEDaSW_SX_EUlSW_E_NS1_11comp_targetILNS1_3genE4ELNS1_11target_archE910ELNS1_3gpuE8ELNS1_3repE0EEENS1_30default_config_static_selectorELNS0_4arch9wavefront6targetE1EEEvT1_
                                        ; -- End function
	.section	.AMDGPU.csdata,"",@progbits
; Kernel info:
; codeLenInByte = 0
; NumSgprs: 6
; NumVgprs: 0
; NumAgprs: 0
; TotalNumVgprs: 0
; ScratchSize: 0
; MemoryBound: 0
; FloatMode: 240
; IeeeMode: 1
; LDSByteSize: 0 bytes/workgroup (compile time only)
; SGPRBlocks: 0
; VGPRBlocks: 0
; NumSGPRsForWavesPerEU: 6
; NumVGPRsForWavesPerEU: 1
; AccumOffset: 4
; Occupancy: 8
; WaveLimiterHint : 0
; COMPUTE_PGM_RSRC2:SCRATCH_EN: 0
; COMPUTE_PGM_RSRC2:USER_SGPR: 2
; COMPUTE_PGM_RSRC2:TRAP_HANDLER: 0
; COMPUTE_PGM_RSRC2:TGID_X_EN: 1
; COMPUTE_PGM_RSRC2:TGID_Y_EN: 0
; COMPUTE_PGM_RSRC2:TGID_Z_EN: 0
; COMPUTE_PGM_RSRC2:TIDIG_COMP_CNT: 0
; COMPUTE_PGM_RSRC3_GFX90A:ACCUM_OFFSET: 0
; COMPUTE_PGM_RSRC3_GFX90A:TG_SPLIT: 0
	.section	.text._ZN7rocprim17ROCPRIM_400000_NS6detail17trampoline_kernelINS0_14default_configENS1_27scan_by_key_config_selectorIidEEZZNS1_16scan_by_key_implILNS1_25lookback_scan_determinismE0ELb1ES3_N6thrust23THRUST_200600_302600_NS6detail15normal_iteratorINS9_10device_ptrIiEEEENSB_INSC_IdEEEESG_dNS9_4plusIvEENS9_8equal_toIvEEdEE10hipError_tPvRmT2_T3_T4_T5_mT6_T7_P12ihipStream_tbENKUlT_T0_E_clISt17integral_constantIbLb0EES10_IbLb1EEEEDaSW_SX_EUlSW_E_NS1_11comp_targetILNS1_3genE3ELNS1_11target_archE908ELNS1_3gpuE7ELNS1_3repE0EEENS1_30default_config_static_selectorELNS0_4arch9wavefront6targetE1EEEvT1_,"axG",@progbits,_ZN7rocprim17ROCPRIM_400000_NS6detail17trampoline_kernelINS0_14default_configENS1_27scan_by_key_config_selectorIidEEZZNS1_16scan_by_key_implILNS1_25lookback_scan_determinismE0ELb1ES3_N6thrust23THRUST_200600_302600_NS6detail15normal_iteratorINS9_10device_ptrIiEEEENSB_INSC_IdEEEESG_dNS9_4plusIvEENS9_8equal_toIvEEdEE10hipError_tPvRmT2_T3_T4_T5_mT6_T7_P12ihipStream_tbENKUlT_T0_E_clISt17integral_constantIbLb0EES10_IbLb1EEEEDaSW_SX_EUlSW_E_NS1_11comp_targetILNS1_3genE3ELNS1_11target_archE908ELNS1_3gpuE7ELNS1_3repE0EEENS1_30default_config_static_selectorELNS0_4arch9wavefront6targetE1EEEvT1_,comdat
	.protected	_ZN7rocprim17ROCPRIM_400000_NS6detail17trampoline_kernelINS0_14default_configENS1_27scan_by_key_config_selectorIidEEZZNS1_16scan_by_key_implILNS1_25lookback_scan_determinismE0ELb1ES3_N6thrust23THRUST_200600_302600_NS6detail15normal_iteratorINS9_10device_ptrIiEEEENSB_INSC_IdEEEESG_dNS9_4plusIvEENS9_8equal_toIvEEdEE10hipError_tPvRmT2_T3_T4_T5_mT6_T7_P12ihipStream_tbENKUlT_T0_E_clISt17integral_constantIbLb0EES10_IbLb1EEEEDaSW_SX_EUlSW_E_NS1_11comp_targetILNS1_3genE3ELNS1_11target_archE908ELNS1_3gpuE7ELNS1_3repE0EEENS1_30default_config_static_selectorELNS0_4arch9wavefront6targetE1EEEvT1_ ; -- Begin function _ZN7rocprim17ROCPRIM_400000_NS6detail17trampoline_kernelINS0_14default_configENS1_27scan_by_key_config_selectorIidEEZZNS1_16scan_by_key_implILNS1_25lookback_scan_determinismE0ELb1ES3_N6thrust23THRUST_200600_302600_NS6detail15normal_iteratorINS9_10device_ptrIiEEEENSB_INSC_IdEEEESG_dNS9_4plusIvEENS9_8equal_toIvEEdEE10hipError_tPvRmT2_T3_T4_T5_mT6_T7_P12ihipStream_tbENKUlT_T0_E_clISt17integral_constantIbLb0EES10_IbLb1EEEEDaSW_SX_EUlSW_E_NS1_11comp_targetILNS1_3genE3ELNS1_11target_archE908ELNS1_3gpuE7ELNS1_3repE0EEENS1_30default_config_static_selectorELNS0_4arch9wavefront6targetE1EEEvT1_
	.globl	_ZN7rocprim17ROCPRIM_400000_NS6detail17trampoline_kernelINS0_14default_configENS1_27scan_by_key_config_selectorIidEEZZNS1_16scan_by_key_implILNS1_25lookback_scan_determinismE0ELb1ES3_N6thrust23THRUST_200600_302600_NS6detail15normal_iteratorINS9_10device_ptrIiEEEENSB_INSC_IdEEEESG_dNS9_4plusIvEENS9_8equal_toIvEEdEE10hipError_tPvRmT2_T3_T4_T5_mT6_T7_P12ihipStream_tbENKUlT_T0_E_clISt17integral_constantIbLb0EES10_IbLb1EEEEDaSW_SX_EUlSW_E_NS1_11comp_targetILNS1_3genE3ELNS1_11target_archE908ELNS1_3gpuE7ELNS1_3repE0EEENS1_30default_config_static_selectorELNS0_4arch9wavefront6targetE1EEEvT1_
	.p2align	8
	.type	_ZN7rocprim17ROCPRIM_400000_NS6detail17trampoline_kernelINS0_14default_configENS1_27scan_by_key_config_selectorIidEEZZNS1_16scan_by_key_implILNS1_25lookback_scan_determinismE0ELb1ES3_N6thrust23THRUST_200600_302600_NS6detail15normal_iteratorINS9_10device_ptrIiEEEENSB_INSC_IdEEEESG_dNS9_4plusIvEENS9_8equal_toIvEEdEE10hipError_tPvRmT2_T3_T4_T5_mT6_T7_P12ihipStream_tbENKUlT_T0_E_clISt17integral_constantIbLb0EES10_IbLb1EEEEDaSW_SX_EUlSW_E_NS1_11comp_targetILNS1_3genE3ELNS1_11target_archE908ELNS1_3gpuE7ELNS1_3repE0EEENS1_30default_config_static_selectorELNS0_4arch9wavefront6targetE1EEEvT1_,@function
_ZN7rocprim17ROCPRIM_400000_NS6detail17trampoline_kernelINS0_14default_configENS1_27scan_by_key_config_selectorIidEEZZNS1_16scan_by_key_implILNS1_25lookback_scan_determinismE0ELb1ES3_N6thrust23THRUST_200600_302600_NS6detail15normal_iteratorINS9_10device_ptrIiEEEENSB_INSC_IdEEEESG_dNS9_4plusIvEENS9_8equal_toIvEEdEE10hipError_tPvRmT2_T3_T4_T5_mT6_T7_P12ihipStream_tbENKUlT_T0_E_clISt17integral_constantIbLb0EES10_IbLb1EEEEDaSW_SX_EUlSW_E_NS1_11comp_targetILNS1_3genE3ELNS1_11target_archE908ELNS1_3gpuE7ELNS1_3repE0EEENS1_30default_config_static_selectorELNS0_4arch9wavefront6targetE1EEEvT1_: ; @_ZN7rocprim17ROCPRIM_400000_NS6detail17trampoline_kernelINS0_14default_configENS1_27scan_by_key_config_selectorIidEEZZNS1_16scan_by_key_implILNS1_25lookback_scan_determinismE0ELb1ES3_N6thrust23THRUST_200600_302600_NS6detail15normal_iteratorINS9_10device_ptrIiEEEENSB_INSC_IdEEEESG_dNS9_4plusIvEENS9_8equal_toIvEEdEE10hipError_tPvRmT2_T3_T4_T5_mT6_T7_P12ihipStream_tbENKUlT_T0_E_clISt17integral_constantIbLb0EES10_IbLb1EEEEDaSW_SX_EUlSW_E_NS1_11comp_targetILNS1_3genE3ELNS1_11target_archE908ELNS1_3gpuE7ELNS1_3repE0EEENS1_30default_config_static_selectorELNS0_4arch9wavefront6targetE1EEEvT1_
; %bb.0:
	.section	.rodata,"a",@progbits
	.p2align	6, 0x0
	.amdhsa_kernel _ZN7rocprim17ROCPRIM_400000_NS6detail17trampoline_kernelINS0_14default_configENS1_27scan_by_key_config_selectorIidEEZZNS1_16scan_by_key_implILNS1_25lookback_scan_determinismE0ELb1ES3_N6thrust23THRUST_200600_302600_NS6detail15normal_iteratorINS9_10device_ptrIiEEEENSB_INSC_IdEEEESG_dNS9_4plusIvEENS9_8equal_toIvEEdEE10hipError_tPvRmT2_T3_T4_T5_mT6_T7_P12ihipStream_tbENKUlT_T0_E_clISt17integral_constantIbLb0EES10_IbLb1EEEEDaSW_SX_EUlSW_E_NS1_11comp_targetILNS1_3genE3ELNS1_11target_archE908ELNS1_3gpuE7ELNS1_3repE0EEENS1_30default_config_static_selectorELNS0_4arch9wavefront6targetE1EEEvT1_
		.amdhsa_group_segment_fixed_size 0
		.amdhsa_private_segment_fixed_size 0
		.amdhsa_kernarg_size 136
		.amdhsa_user_sgpr_count 2
		.amdhsa_user_sgpr_dispatch_ptr 0
		.amdhsa_user_sgpr_queue_ptr 0
		.amdhsa_user_sgpr_kernarg_segment_ptr 1
		.amdhsa_user_sgpr_dispatch_id 0
		.amdhsa_user_sgpr_kernarg_preload_length 0
		.amdhsa_user_sgpr_kernarg_preload_offset 0
		.amdhsa_user_sgpr_private_segment_size 0
		.amdhsa_uses_dynamic_stack 0
		.amdhsa_enable_private_segment 0
		.amdhsa_system_sgpr_workgroup_id_x 1
		.amdhsa_system_sgpr_workgroup_id_y 0
		.amdhsa_system_sgpr_workgroup_id_z 0
		.amdhsa_system_sgpr_workgroup_info 0
		.amdhsa_system_vgpr_workitem_id 0
		.amdhsa_next_free_vgpr 1
		.amdhsa_next_free_sgpr 0
		.amdhsa_accum_offset 4
		.amdhsa_reserve_vcc 0
		.amdhsa_float_round_mode_32 0
		.amdhsa_float_round_mode_16_64 0
		.amdhsa_float_denorm_mode_32 3
		.amdhsa_float_denorm_mode_16_64 3
		.amdhsa_dx10_clamp 1
		.amdhsa_ieee_mode 1
		.amdhsa_fp16_overflow 0
		.amdhsa_tg_split 0
		.amdhsa_exception_fp_ieee_invalid_op 0
		.amdhsa_exception_fp_denorm_src 0
		.amdhsa_exception_fp_ieee_div_zero 0
		.amdhsa_exception_fp_ieee_overflow 0
		.amdhsa_exception_fp_ieee_underflow 0
		.amdhsa_exception_fp_ieee_inexact 0
		.amdhsa_exception_int_div_zero 0
	.end_amdhsa_kernel
	.section	.text._ZN7rocprim17ROCPRIM_400000_NS6detail17trampoline_kernelINS0_14default_configENS1_27scan_by_key_config_selectorIidEEZZNS1_16scan_by_key_implILNS1_25lookback_scan_determinismE0ELb1ES3_N6thrust23THRUST_200600_302600_NS6detail15normal_iteratorINS9_10device_ptrIiEEEENSB_INSC_IdEEEESG_dNS9_4plusIvEENS9_8equal_toIvEEdEE10hipError_tPvRmT2_T3_T4_T5_mT6_T7_P12ihipStream_tbENKUlT_T0_E_clISt17integral_constantIbLb0EES10_IbLb1EEEEDaSW_SX_EUlSW_E_NS1_11comp_targetILNS1_3genE3ELNS1_11target_archE908ELNS1_3gpuE7ELNS1_3repE0EEENS1_30default_config_static_selectorELNS0_4arch9wavefront6targetE1EEEvT1_,"axG",@progbits,_ZN7rocprim17ROCPRIM_400000_NS6detail17trampoline_kernelINS0_14default_configENS1_27scan_by_key_config_selectorIidEEZZNS1_16scan_by_key_implILNS1_25lookback_scan_determinismE0ELb1ES3_N6thrust23THRUST_200600_302600_NS6detail15normal_iteratorINS9_10device_ptrIiEEEENSB_INSC_IdEEEESG_dNS9_4plusIvEENS9_8equal_toIvEEdEE10hipError_tPvRmT2_T3_T4_T5_mT6_T7_P12ihipStream_tbENKUlT_T0_E_clISt17integral_constantIbLb0EES10_IbLb1EEEEDaSW_SX_EUlSW_E_NS1_11comp_targetILNS1_3genE3ELNS1_11target_archE908ELNS1_3gpuE7ELNS1_3repE0EEENS1_30default_config_static_selectorELNS0_4arch9wavefront6targetE1EEEvT1_,comdat
.Lfunc_end1422:
	.size	_ZN7rocprim17ROCPRIM_400000_NS6detail17trampoline_kernelINS0_14default_configENS1_27scan_by_key_config_selectorIidEEZZNS1_16scan_by_key_implILNS1_25lookback_scan_determinismE0ELb1ES3_N6thrust23THRUST_200600_302600_NS6detail15normal_iteratorINS9_10device_ptrIiEEEENSB_INSC_IdEEEESG_dNS9_4plusIvEENS9_8equal_toIvEEdEE10hipError_tPvRmT2_T3_T4_T5_mT6_T7_P12ihipStream_tbENKUlT_T0_E_clISt17integral_constantIbLb0EES10_IbLb1EEEEDaSW_SX_EUlSW_E_NS1_11comp_targetILNS1_3genE3ELNS1_11target_archE908ELNS1_3gpuE7ELNS1_3repE0EEENS1_30default_config_static_selectorELNS0_4arch9wavefront6targetE1EEEvT1_, .Lfunc_end1422-_ZN7rocprim17ROCPRIM_400000_NS6detail17trampoline_kernelINS0_14default_configENS1_27scan_by_key_config_selectorIidEEZZNS1_16scan_by_key_implILNS1_25lookback_scan_determinismE0ELb1ES3_N6thrust23THRUST_200600_302600_NS6detail15normal_iteratorINS9_10device_ptrIiEEEENSB_INSC_IdEEEESG_dNS9_4plusIvEENS9_8equal_toIvEEdEE10hipError_tPvRmT2_T3_T4_T5_mT6_T7_P12ihipStream_tbENKUlT_T0_E_clISt17integral_constantIbLb0EES10_IbLb1EEEEDaSW_SX_EUlSW_E_NS1_11comp_targetILNS1_3genE3ELNS1_11target_archE908ELNS1_3gpuE7ELNS1_3repE0EEENS1_30default_config_static_selectorELNS0_4arch9wavefront6targetE1EEEvT1_
                                        ; -- End function
	.section	.AMDGPU.csdata,"",@progbits
; Kernel info:
; codeLenInByte = 0
; NumSgprs: 6
; NumVgprs: 0
; NumAgprs: 0
; TotalNumVgprs: 0
; ScratchSize: 0
; MemoryBound: 0
; FloatMode: 240
; IeeeMode: 1
; LDSByteSize: 0 bytes/workgroup (compile time only)
; SGPRBlocks: 0
; VGPRBlocks: 0
; NumSGPRsForWavesPerEU: 6
; NumVGPRsForWavesPerEU: 1
; AccumOffset: 4
; Occupancy: 8
; WaveLimiterHint : 0
; COMPUTE_PGM_RSRC2:SCRATCH_EN: 0
; COMPUTE_PGM_RSRC2:USER_SGPR: 2
; COMPUTE_PGM_RSRC2:TRAP_HANDLER: 0
; COMPUTE_PGM_RSRC2:TGID_X_EN: 1
; COMPUTE_PGM_RSRC2:TGID_Y_EN: 0
; COMPUTE_PGM_RSRC2:TGID_Z_EN: 0
; COMPUTE_PGM_RSRC2:TIDIG_COMP_CNT: 0
; COMPUTE_PGM_RSRC3_GFX90A:ACCUM_OFFSET: 0
; COMPUTE_PGM_RSRC3_GFX90A:TG_SPLIT: 0
	.section	.text._ZN7rocprim17ROCPRIM_400000_NS6detail17trampoline_kernelINS0_14default_configENS1_27scan_by_key_config_selectorIidEEZZNS1_16scan_by_key_implILNS1_25lookback_scan_determinismE0ELb1ES3_N6thrust23THRUST_200600_302600_NS6detail15normal_iteratorINS9_10device_ptrIiEEEENSB_INSC_IdEEEESG_dNS9_4plusIvEENS9_8equal_toIvEEdEE10hipError_tPvRmT2_T3_T4_T5_mT6_T7_P12ihipStream_tbENKUlT_T0_E_clISt17integral_constantIbLb0EES10_IbLb1EEEEDaSW_SX_EUlSW_E_NS1_11comp_targetILNS1_3genE2ELNS1_11target_archE906ELNS1_3gpuE6ELNS1_3repE0EEENS1_30default_config_static_selectorELNS0_4arch9wavefront6targetE1EEEvT1_,"axG",@progbits,_ZN7rocprim17ROCPRIM_400000_NS6detail17trampoline_kernelINS0_14default_configENS1_27scan_by_key_config_selectorIidEEZZNS1_16scan_by_key_implILNS1_25lookback_scan_determinismE0ELb1ES3_N6thrust23THRUST_200600_302600_NS6detail15normal_iteratorINS9_10device_ptrIiEEEENSB_INSC_IdEEEESG_dNS9_4plusIvEENS9_8equal_toIvEEdEE10hipError_tPvRmT2_T3_T4_T5_mT6_T7_P12ihipStream_tbENKUlT_T0_E_clISt17integral_constantIbLb0EES10_IbLb1EEEEDaSW_SX_EUlSW_E_NS1_11comp_targetILNS1_3genE2ELNS1_11target_archE906ELNS1_3gpuE6ELNS1_3repE0EEENS1_30default_config_static_selectorELNS0_4arch9wavefront6targetE1EEEvT1_,comdat
	.protected	_ZN7rocprim17ROCPRIM_400000_NS6detail17trampoline_kernelINS0_14default_configENS1_27scan_by_key_config_selectorIidEEZZNS1_16scan_by_key_implILNS1_25lookback_scan_determinismE0ELb1ES3_N6thrust23THRUST_200600_302600_NS6detail15normal_iteratorINS9_10device_ptrIiEEEENSB_INSC_IdEEEESG_dNS9_4plusIvEENS9_8equal_toIvEEdEE10hipError_tPvRmT2_T3_T4_T5_mT6_T7_P12ihipStream_tbENKUlT_T0_E_clISt17integral_constantIbLb0EES10_IbLb1EEEEDaSW_SX_EUlSW_E_NS1_11comp_targetILNS1_3genE2ELNS1_11target_archE906ELNS1_3gpuE6ELNS1_3repE0EEENS1_30default_config_static_selectorELNS0_4arch9wavefront6targetE1EEEvT1_ ; -- Begin function _ZN7rocprim17ROCPRIM_400000_NS6detail17trampoline_kernelINS0_14default_configENS1_27scan_by_key_config_selectorIidEEZZNS1_16scan_by_key_implILNS1_25lookback_scan_determinismE0ELb1ES3_N6thrust23THRUST_200600_302600_NS6detail15normal_iteratorINS9_10device_ptrIiEEEENSB_INSC_IdEEEESG_dNS9_4plusIvEENS9_8equal_toIvEEdEE10hipError_tPvRmT2_T3_T4_T5_mT6_T7_P12ihipStream_tbENKUlT_T0_E_clISt17integral_constantIbLb0EES10_IbLb1EEEEDaSW_SX_EUlSW_E_NS1_11comp_targetILNS1_3genE2ELNS1_11target_archE906ELNS1_3gpuE6ELNS1_3repE0EEENS1_30default_config_static_selectorELNS0_4arch9wavefront6targetE1EEEvT1_
	.globl	_ZN7rocprim17ROCPRIM_400000_NS6detail17trampoline_kernelINS0_14default_configENS1_27scan_by_key_config_selectorIidEEZZNS1_16scan_by_key_implILNS1_25lookback_scan_determinismE0ELb1ES3_N6thrust23THRUST_200600_302600_NS6detail15normal_iteratorINS9_10device_ptrIiEEEENSB_INSC_IdEEEESG_dNS9_4plusIvEENS9_8equal_toIvEEdEE10hipError_tPvRmT2_T3_T4_T5_mT6_T7_P12ihipStream_tbENKUlT_T0_E_clISt17integral_constantIbLb0EES10_IbLb1EEEEDaSW_SX_EUlSW_E_NS1_11comp_targetILNS1_3genE2ELNS1_11target_archE906ELNS1_3gpuE6ELNS1_3repE0EEENS1_30default_config_static_selectorELNS0_4arch9wavefront6targetE1EEEvT1_
	.p2align	8
	.type	_ZN7rocprim17ROCPRIM_400000_NS6detail17trampoline_kernelINS0_14default_configENS1_27scan_by_key_config_selectorIidEEZZNS1_16scan_by_key_implILNS1_25lookback_scan_determinismE0ELb1ES3_N6thrust23THRUST_200600_302600_NS6detail15normal_iteratorINS9_10device_ptrIiEEEENSB_INSC_IdEEEESG_dNS9_4plusIvEENS9_8equal_toIvEEdEE10hipError_tPvRmT2_T3_T4_T5_mT6_T7_P12ihipStream_tbENKUlT_T0_E_clISt17integral_constantIbLb0EES10_IbLb1EEEEDaSW_SX_EUlSW_E_NS1_11comp_targetILNS1_3genE2ELNS1_11target_archE906ELNS1_3gpuE6ELNS1_3repE0EEENS1_30default_config_static_selectorELNS0_4arch9wavefront6targetE1EEEvT1_,@function
_ZN7rocprim17ROCPRIM_400000_NS6detail17trampoline_kernelINS0_14default_configENS1_27scan_by_key_config_selectorIidEEZZNS1_16scan_by_key_implILNS1_25lookback_scan_determinismE0ELb1ES3_N6thrust23THRUST_200600_302600_NS6detail15normal_iteratorINS9_10device_ptrIiEEEENSB_INSC_IdEEEESG_dNS9_4plusIvEENS9_8equal_toIvEEdEE10hipError_tPvRmT2_T3_T4_T5_mT6_T7_P12ihipStream_tbENKUlT_T0_E_clISt17integral_constantIbLb0EES10_IbLb1EEEEDaSW_SX_EUlSW_E_NS1_11comp_targetILNS1_3genE2ELNS1_11target_archE906ELNS1_3gpuE6ELNS1_3repE0EEENS1_30default_config_static_selectorELNS0_4arch9wavefront6targetE1EEEvT1_: ; @_ZN7rocprim17ROCPRIM_400000_NS6detail17trampoline_kernelINS0_14default_configENS1_27scan_by_key_config_selectorIidEEZZNS1_16scan_by_key_implILNS1_25lookback_scan_determinismE0ELb1ES3_N6thrust23THRUST_200600_302600_NS6detail15normal_iteratorINS9_10device_ptrIiEEEENSB_INSC_IdEEEESG_dNS9_4plusIvEENS9_8equal_toIvEEdEE10hipError_tPvRmT2_T3_T4_T5_mT6_T7_P12ihipStream_tbENKUlT_T0_E_clISt17integral_constantIbLb0EES10_IbLb1EEEEDaSW_SX_EUlSW_E_NS1_11comp_targetILNS1_3genE2ELNS1_11target_archE906ELNS1_3gpuE6ELNS1_3repE0EEENS1_30default_config_static_selectorELNS0_4arch9wavefront6targetE1EEEvT1_
; %bb.0:
	.section	.rodata,"a",@progbits
	.p2align	6, 0x0
	.amdhsa_kernel _ZN7rocprim17ROCPRIM_400000_NS6detail17trampoline_kernelINS0_14default_configENS1_27scan_by_key_config_selectorIidEEZZNS1_16scan_by_key_implILNS1_25lookback_scan_determinismE0ELb1ES3_N6thrust23THRUST_200600_302600_NS6detail15normal_iteratorINS9_10device_ptrIiEEEENSB_INSC_IdEEEESG_dNS9_4plusIvEENS9_8equal_toIvEEdEE10hipError_tPvRmT2_T3_T4_T5_mT6_T7_P12ihipStream_tbENKUlT_T0_E_clISt17integral_constantIbLb0EES10_IbLb1EEEEDaSW_SX_EUlSW_E_NS1_11comp_targetILNS1_3genE2ELNS1_11target_archE906ELNS1_3gpuE6ELNS1_3repE0EEENS1_30default_config_static_selectorELNS0_4arch9wavefront6targetE1EEEvT1_
		.amdhsa_group_segment_fixed_size 0
		.amdhsa_private_segment_fixed_size 0
		.amdhsa_kernarg_size 136
		.amdhsa_user_sgpr_count 2
		.amdhsa_user_sgpr_dispatch_ptr 0
		.amdhsa_user_sgpr_queue_ptr 0
		.amdhsa_user_sgpr_kernarg_segment_ptr 1
		.amdhsa_user_sgpr_dispatch_id 0
		.amdhsa_user_sgpr_kernarg_preload_length 0
		.amdhsa_user_sgpr_kernarg_preload_offset 0
		.amdhsa_user_sgpr_private_segment_size 0
		.amdhsa_uses_dynamic_stack 0
		.amdhsa_enable_private_segment 0
		.amdhsa_system_sgpr_workgroup_id_x 1
		.amdhsa_system_sgpr_workgroup_id_y 0
		.amdhsa_system_sgpr_workgroup_id_z 0
		.amdhsa_system_sgpr_workgroup_info 0
		.amdhsa_system_vgpr_workitem_id 0
		.amdhsa_next_free_vgpr 1
		.amdhsa_next_free_sgpr 0
		.amdhsa_accum_offset 4
		.amdhsa_reserve_vcc 0
		.amdhsa_float_round_mode_32 0
		.amdhsa_float_round_mode_16_64 0
		.amdhsa_float_denorm_mode_32 3
		.amdhsa_float_denorm_mode_16_64 3
		.amdhsa_dx10_clamp 1
		.amdhsa_ieee_mode 1
		.amdhsa_fp16_overflow 0
		.amdhsa_tg_split 0
		.amdhsa_exception_fp_ieee_invalid_op 0
		.amdhsa_exception_fp_denorm_src 0
		.amdhsa_exception_fp_ieee_div_zero 0
		.amdhsa_exception_fp_ieee_overflow 0
		.amdhsa_exception_fp_ieee_underflow 0
		.amdhsa_exception_fp_ieee_inexact 0
		.amdhsa_exception_int_div_zero 0
	.end_amdhsa_kernel
	.section	.text._ZN7rocprim17ROCPRIM_400000_NS6detail17trampoline_kernelINS0_14default_configENS1_27scan_by_key_config_selectorIidEEZZNS1_16scan_by_key_implILNS1_25lookback_scan_determinismE0ELb1ES3_N6thrust23THRUST_200600_302600_NS6detail15normal_iteratorINS9_10device_ptrIiEEEENSB_INSC_IdEEEESG_dNS9_4plusIvEENS9_8equal_toIvEEdEE10hipError_tPvRmT2_T3_T4_T5_mT6_T7_P12ihipStream_tbENKUlT_T0_E_clISt17integral_constantIbLb0EES10_IbLb1EEEEDaSW_SX_EUlSW_E_NS1_11comp_targetILNS1_3genE2ELNS1_11target_archE906ELNS1_3gpuE6ELNS1_3repE0EEENS1_30default_config_static_selectorELNS0_4arch9wavefront6targetE1EEEvT1_,"axG",@progbits,_ZN7rocprim17ROCPRIM_400000_NS6detail17trampoline_kernelINS0_14default_configENS1_27scan_by_key_config_selectorIidEEZZNS1_16scan_by_key_implILNS1_25lookback_scan_determinismE0ELb1ES3_N6thrust23THRUST_200600_302600_NS6detail15normal_iteratorINS9_10device_ptrIiEEEENSB_INSC_IdEEEESG_dNS9_4plusIvEENS9_8equal_toIvEEdEE10hipError_tPvRmT2_T3_T4_T5_mT6_T7_P12ihipStream_tbENKUlT_T0_E_clISt17integral_constantIbLb0EES10_IbLb1EEEEDaSW_SX_EUlSW_E_NS1_11comp_targetILNS1_3genE2ELNS1_11target_archE906ELNS1_3gpuE6ELNS1_3repE0EEENS1_30default_config_static_selectorELNS0_4arch9wavefront6targetE1EEEvT1_,comdat
.Lfunc_end1423:
	.size	_ZN7rocprim17ROCPRIM_400000_NS6detail17trampoline_kernelINS0_14default_configENS1_27scan_by_key_config_selectorIidEEZZNS1_16scan_by_key_implILNS1_25lookback_scan_determinismE0ELb1ES3_N6thrust23THRUST_200600_302600_NS6detail15normal_iteratorINS9_10device_ptrIiEEEENSB_INSC_IdEEEESG_dNS9_4plusIvEENS9_8equal_toIvEEdEE10hipError_tPvRmT2_T3_T4_T5_mT6_T7_P12ihipStream_tbENKUlT_T0_E_clISt17integral_constantIbLb0EES10_IbLb1EEEEDaSW_SX_EUlSW_E_NS1_11comp_targetILNS1_3genE2ELNS1_11target_archE906ELNS1_3gpuE6ELNS1_3repE0EEENS1_30default_config_static_selectorELNS0_4arch9wavefront6targetE1EEEvT1_, .Lfunc_end1423-_ZN7rocprim17ROCPRIM_400000_NS6detail17trampoline_kernelINS0_14default_configENS1_27scan_by_key_config_selectorIidEEZZNS1_16scan_by_key_implILNS1_25lookback_scan_determinismE0ELb1ES3_N6thrust23THRUST_200600_302600_NS6detail15normal_iteratorINS9_10device_ptrIiEEEENSB_INSC_IdEEEESG_dNS9_4plusIvEENS9_8equal_toIvEEdEE10hipError_tPvRmT2_T3_T4_T5_mT6_T7_P12ihipStream_tbENKUlT_T0_E_clISt17integral_constantIbLb0EES10_IbLb1EEEEDaSW_SX_EUlSW_E_NS1_11comp_targetILNS1_3genE2ELNS1_11target_archE906ELNS1_3gpuE6ELNS1_3repE0EEENS1_30default_config_static_selectorELNS0_4arch9wavefront6targetE1EEEvT1_
                                        ; -- End function
	.section	.AMDGPU.csdata,"",@progbits
; Kernel info:
; codeLenInByte = 0
; NumSgprs: 6
; NumVgprs: 0
; NumAgprs: 0
; TotalNumVgprs: 0
; ScratchSize: 0
; MemoryBound: 0
; FloatMode: 240
; IeeeMode: 1
; LDSByteSize: 0 bytes/workgroup (compile time only)
; SGPRBlocks: 0
; VGPRBlocks: 0
; NumSGPRsForWavesPerEU: 6
; NumVGPRsForWavesPerEU: 1
; AccumOffset: 4
; Occupancy: 8
; WaveLimiterHint : 0
; COMPUTE_PGM_RSRC2:SCRATCH_EN: 0
; COMPUTE_PGM_RSRC2:USER_SGPR: 2
; COMPUTE_PGM_RSRC2:TRAP_HANDLER: 0
; COMPUTE_PGM_RSRC2:TGID_X_EN: 1
; COMPUTE_PGM_RSRC2:TGID_Y_EN: 0
; COMPUTE_PGM_RSRC2:TGID_Z_EN: 0
; COMPUTE_PGM_RSRC2:TIDIG_COMP_CNT: 0
; COMPUTE_PGM_RSRC3_GFX90A:ACCUM_OFFSET: 0
; COMPUTE_PGM_RSRC3_GFX90A:TG_SPLIT: 0
	.section	.text._ZN7rocprim17ROCPRIM_400000_NS6detail17trampoline_kernelINS0_14default_configENS1_27scan_by_key_config_selectorIidEEZZNS1_16scan_by_key_implILNS1_25lookback_scan_determinismE0ELb1ES3_N6thrust23THRUST_200600_302600_NS6detail15normal_iteratorINS9_10device_ptrIiEEEENSB_INSC_IdEEEESG_dNS9_4plusIvEENS9_8equal_toIvEEdEE10hipError_tPvRmT2_T3_T4_T5_mT6_T7_P12ihipStream_tbENKUlT_T0_E_clISt17integral_constantIbLb0EES10_IbLb1EEEEDaSW_SX_EUlSW_E_NS1_11comp_targetILNS1_3genE10ELNS1_11target_archE1200ELNS1_3gpuE4ELNS1_3repE0EEENS1_30default_config_static_selectorELNS0_4arch9wavefront6targetE1EEEvT1_,"axG",@progbits,_ZN7rocprim17ROCPRIM_400000_NS6detail17trampoline_kernelINS0_14default_configENS1_27scan_by_key_config_selectorIidEEZZNS1_16scan_by_key_implILNS1_25lookback_scan_determinismE0ELb1ES3_N6thrust23THRUST_200600_302600_NS6detail15normal_iteratorINS9_10device_ptrIiEEEENSB_INSC_IdEEEESG_dNS9_4plusIvEENS9_8equal_toIvEEdEE10hipError_tPvRmT2_T3_T4_T5_mT6_T7_P12ihipStream_tbENKUlT_T0_E_clISt17integral_constantIbLb0EES10_IbLb1EEEEDaSW_SX_EUlSW_E_NS1_11comp_targetILNS1_3genE10ELNS1_11target_archE1200ELNS1_3gpuE4ELNS1_3repE0EEENS1_30default_config_static_selectorELNS0_4arch9wavefront6targetE1EEEvT1_,comdat
	.protected	_ZN7rocprim17ROCPRIM_400000_NS6detail17trampoline_kernelINS0_14default_configENS1_27scan_by_key_config_selectorIidEEZZNS1_16scan_by_key_implILNS1_25lookback_scan_determinismE0ELb1ES3_N6thrust23THRUST_200600_302600_NS6detail15normal_iteratorINS9_10device_ptrIiEEEENSB_INSC_IdEEEESG_dNS9_4plusIvEENS9_8equal_toIvEEdEE10hipError_tPvRmT2_T3_T4_T5_mT6_T7_P12ihipStream_tbENKUlT_T0_E_clISt17integral_constantIbLb0EES10_IbLb1EEEEDaSW_SX_EUlSW_E_NS1_11comp_targetILNS1_3genE10ELNS1_11target_archE1200ELNS1_3gpuE4ELNS1_3repE0EEENS1_30default_config_static_selectorELNS0_4arch9wavefront6targetE1EEEvT1_ ; -- Begin function _ZN7rocprim17ROCPRIM_400000_NS6detail17trampoline_kernelINS0_14default_configENS1_27scan_by_key_config_selectorIidEEZZNS1_16scan_by_key_implILNS1_25lookback_scan_determinismE0ELb1ES3_N6thrust23THRUST_200600_302600_NS6detail15normal_iteratorINS9_10device_ptrIiEEEENSB_INSC_IdEEEESG_dNS9_4plusIvEENS9_8equal_toIvEEdEE10hipError_tPvRmT2_T3_T4_T5_mT6_T7_P12ihipStream_tbENKUlT_T0_E_clISt17integral_constantIbLb0EES10_IbLb1EEEEDaSW_SX_EUlSW_E_NS1_11comp_targetILNS1_3genE10ELNS1_11target_archE1200ELNS1_3gpuE4ELNS1_3repE0EEENS1_30default_config_static_selectorELNS0_4arch9wavefront6targetE1EEEvT1_
	.globl	_ZN7rocprim17ROCPRIM_400000_NS6detail17trampoline_kernelINS0_14default_configENS1_27scan_by_key_config_selectorIidEEZZNS1_16scan_by_key_implILNS1_25lookback_scan_determinismE0ELb1ES3_N6thrust23THRUST_200600_302600_NS6detail15normal_iteratorINS9_10device_ptrIiEEEENSB_INSC_IdEEEESG_dNS9_4plusIvEENS9_8equal_toIvEEdEE10hipError_tPvRmT2_T3_T4_T5_mT6_T7_P12ihipStream_tbENKUlT_T0_E_clISt17integral_constantIbLb0EES10_IbLb1EEEEDaSW_SX_EUlSW_E_NS1_11comp_targetILNS1_3genE10ELNS1_11target_archE1200ELNS1_3gpuE4ELNS1_3repE0EEENS1_30default_config_static_selectorELNS0_4arch9wavefront6targetE1EEEvT1_
	.p2align	8
	.type	_ZN7rocprim17ROCPRIM_400000_NS6detail17trampoline_kernelINS0_14default_configENS1_27scan_by_key_config_selectorIidEEZZNS1_16scan_by_key_implILNS1_25lookback_scan_determinismE0ELb1ES3_N6thrust23THRUST_200600_302600_NS6detail15normal_iteratorINS9_10device_ptrIiEEEENSB_INSC_IdEEEESG_dNS9_4plusIvEENS9_8equal_toIvEEdEE10hipError_tPvRmT2_T3_T4_T5_mT6_T7_P12ihipStream_tbENKUlT_T0_E_clISt17integral_constantIbLb0EES10_IbLb1EEEEDaSW_SX_EUlSW_E_NS1_11comp_targetILNS1_3genE10ELNS1_11target_archE1200ELNS1_3gpuE4ELNS1_3repE0EEENS1_30default_config_static_selectorELNS0_4arch9wavefront6targetE1EEEvT1_,@function
_ZN7rocprim17ROCPRIM_400000_NS6detail17trampoline_kernelINS0_14default_configENS1_27scan_by_key_config_selectorIidEEZZNS1_16scan_by_key_implILNS1_25lookback_scan_determinismE0ELb1ES3_N6thrust23THRUST_200600_302600_NS6detail15normal_iteratorINS9_10device_ptrIiEEEENSB_INSC_IdEEEESG_dNS9_4plusIvEENS9_8equal_toIvEEdEE10hipError_tPvRmT2_T3_T4_T5_mT6_T7_P12ihipStream_tbENKUlT_T0_E_clISt17integral_constantIbLb0EES10_IbLb1EEEEDaSW_SX_EUlSW_E_NS1_11comp_targetILNS1_3genE10ELNS1_11target_archE1200ELNS1_3gpuE4ELNS1_3repE0EEENS1_30default_config_static_selectorELNS0_4arch9wavefront6targetE1EEEvT1_: ; @_ZN7rocprim17ROCPRIM_400000_NS6detail17trampoline_kernelINS0_14default_configENS1_27scan_by_key_config_selectorIidEEZZNS1_16scan_by_key_implILNS1_25lookback_scan_determinismE0ELb1ES3_N6thrust23THRUST_200600_302600_NS6detail15normal_iteratorINS9_10device_ptrIiEEEENSB_INSC_IdEEEESG_dNS9_4plusIvEENS9_8equal_toIvEEdEE10hipError_tPvRmT2_T3_T4_T5_mT6_T7_P12ihipStream_tbENKUlT_T0_E_clISt17integral_constantIbLb0EES10_IbLb1EEEEDaSW_SX_EUlSW_E_NS1_11comp_targetILNS1_3genE10ELNS1_11target_archE1200ELNS1_3gpuE4ELNS1_3repE0EEENS1_30default_config_static_selectorELNS0_4arch9wavefront6targetE1EEEvT1_
; %bb.0:
	.section	.rodata,"a",@progbits
	.p2align	6, 0x0
	.amdhsa_kernel _ZN7rocprim17ROCPRIM_400000_NS6detail17trampoline_kernelINS0_14default_configENS1_27scan_by_key_config_selectorIidEEZZNS1_16scan_by_key_implILNS1_25lookback_scan_determinismE0ELb1ES3_N6thrust23THRUST_200600_302600_NS6detail15normal_iteratorINS9_10device_ptrIiEEEENSB_INSC_IdEEEESG_dNS9_4plusIvEENS9_8equal_toIvEEdEE10hipError_tPvRmT2_T3_T4_T5_mT6_T7_P12ihipStream_tbENKUlT_T0_E_clISt17integral_constantIbLb0EES10_IbLb1EEEEDaSW_SX_EUlSW_E_NS1_11comp_targetILNS1_3genE10ELNS1_11target_archE1200ELNS1_3gpuE4ELNS1_3repE0EEENS1_30default_config_static_selectorELNS0_4arch9wavefront6targetE1EEEvT1_
		.amdhsa_group_segment_fixed_size 0
		.amdhsa_private_segment_fixed_size 0
		.amdhsa_kernarg_size 136
		.amdhsa_user_sgpr_count 2
		.amdhsa_user_sgpr_dispatch_ptr 0
		.amdhsa_user_sgpr_queue_ptr 0
		.amdhsa_user_sgpr_kernarg_segment_ptr 1
		.amdhsa_user_sgpr_dispatch_id 0
		.amdhsa_user_sgpr_kernarg_preload_length 0
		.amdhsa_user_sgpr_kernarg_preload_offset 0
		.amdhsa_user_sgpr_private_segment_size 0
		.amdhsa_uses_dynamic_stack 0
		.amdhsa_enable_private_segment 0
		.amdhsa_system_sgpr_workgroup_id_x 1
		.amdhsa_system_sgpr_workgroup_id_y 0
		.amdhsa_system_sgpr_workgroup_id_z 0
		.amdhsa_system_sgpr_workgroup_info 0
		.amdhsa_system_vgpr_workitem_id 0
		.amdhsa_next_free_vgpr 1
		.amdhsa_next_free_sgpr 0
		.amdhsa_accum_offset 4
		.amdhsa_reserve_vcc 0
		.amdhsa_float_round_mode_32 0
		.amdhsa_float_round_mode_16_64 0
		.amdhsa_float_denorm_mode_32 3
		.amdhsa_float_denorm_mode_16_64 3
		.amdhsa_dx10_clamp 1
		.amdhsa_ieee_mode 1
		.amdhsa_fp16_overflow 0
		.amdhsa_tg_split 0
		.amdhsa_exception_fp_ieee_invalid_op 0
		.amdhsa_exception_fp_denorm_src 0
		.amdhsa_exception_fp_ieee_div_zero 0
		.amdhsa_exception_fp_ieee_overflow 0
		.amdhsa_exception_fp_ieee_underflow 0
		.amdhsa_exception_fp_ieee_inexact 0
		.amdhsa_exception_int_div_zero 0
	.end_amdhsa_kernel
	.section	.text._ZN7rocprim17ROCPRIM_400000_NS6detail17trampoline_kernelINS0_14default_configENS1_27scan_by_key_config_selectorIidEEZZNS1_16scan_by_key_implILNS1_25lookback_scan_determinismE0ELb1ES3_N6thrust23THRUST_200600_302600_NS6detail15normal_iteratorINS9_10device_ptrIiEEEENSB_INSC_IdEEEESG_dNS9_4plusIvEENS9_8equal_toIvEEdEE10hipError_tPvRmT2_T3_T4_T5_mT6_T7_P12ihipStream_tbENKUlT_T0_E_clISt17integral_constantIbLb0EES10_IbLb1EEEEDaSW_SX_EUlSW_E_NS1_11comp_targetILNS1_3genE10ELNS1_11target_archE1200ELNS1_3gpuE4ELNS1_3repE0EEENS1_30default_config_static_selectorELNS0_4arch9wavefront6targetE1EEEvT1_,"axG",@progbits,_ZN7rocprim17ROCPRIM_400000_NS6detail17trampoline_kernelINS0_14default_configENS1_27scan_by_key_config_selectorIidEEZZNS1_16scan_by_key_implILNS1_25lookback_scan_determinismE0ELb1ES3_N6thrust23THRUST_200600_302600_NS6detail15normal_iteratorINS9_10device_ptrIiEEEENSB_INSC_IdEEEESG_dNS9_4plusIvEENS9_8equal_toIvEEdEE10hipError_tPvRmT2_T3_T4_T5_mT6_T7_P12ihipStream_tbENKUlT_T0_E_clISt17integral_constantIbLb0EES10_IbLb1EEEEDaSW_SX_EUlSW_E_NS1_11comp_targetILNS1_3genE10ELNS1_11target_archE1200ELNS1_3gpuE4ELNS1_3repE0EEENS1_30default_config_static_selectorELNS0_4arch9wavefront6targetE1EEEvT1_,comdat
.Lfunc_end1424:
	.size	_ZN7rocprim17ROCPRIM_400000_NS6detail17trampoline_kernelINS0_14default_configENS1_27scan_by_key_config_selectorIidEEZZNS1_16scan_by_key_implILNS1_25lookback_scan_determinismE0ELb1ES3_N6thrust23THRUST_200600_302600_NS6detail15normal_iteratorINS9_10device_ptrIiEEEENSB_INSC_IdEEEESG_dNS9_4plusIvEENS9_8equal_toIvEEdEE10hipError_tPvRmT2_T3_T4_T5_mT6_T7_P12ihipStream_tbENKUlT_T0_E_clISt17integral_constantIbLb0EES10_IbLb1EEEEDaSW_SX_EUlSW_E_NS1_11comp_targetILNS1_3genE10ELNS1_11target_archE1200ELNS1_3gpuE4ELNS1_3repE0EEENS1_30default_config_static_selectorELNS0_4arch9wavefront6targetE1EEEvT1_, .Lfunc_end1424-_ZN7rocprim17ROCPRIM_400000_NS6detail17trampoline_kernelINS0_14default_configENS1_27scan_by_key_config_selectorIidEEZZNS1_16scan_by_key_implILNS1_25lookback_scan_determinismE0ELb1ES3_N6thrust23THRUST_200600_302600_NS6detail15normal_iteratorINS9_10device_ptrIiEEEENSB_INSC_IdEEEESG_dNS9_4plusIvEENS9_8equal_toIvEEdEE10hipError_tPvRmT2_T3_T4_T5_mT6_T7_P12ihipStream_tbENKUlT_T0_E_clISt17integral_constantIbLb0EES10_IbLb1EEEEDaSW_SX_EUlSW_E_NS1_11comp_targetILNS1_3genE10ELNS1_11target_archE1200ELNS1_3gpuE4ELNS1_3repE0EEENS1_30default_config_static_selectorELNS0_4arch9wavefront6targetE1EEEvT1_
                                        ; -- End function
	.section	.AMDGPU.csdata,"",@progbits
; Kernel info:
; codeLenInByte = 0
; NumSgprs: 6
; NumVgprs: 0
; NumAgprs: 0
; TotalNumVgprs: 0
; ScratchSize: 0
; MemoryBound: 0
; FloatMode: 240
; IeeeMode: 1
; LDSByteSize: 0 bytes/workgroup (compile time only)
; SGPRBlocks: 0
; VGPRBlocks: 0
; NumSGPRsForWavesPerEU: 6
; NumVGPRsForWavesPerEU: 1
; AccumOffset: 4
; Occupancy: 8
; WaveLimiterHint : 0
; COMPUTE_PGM_RSRC2:SCRATCH_EN: 0
; COMPUTE_PGM_RSRC2:USER_SGPR: 2
; COMPUTE_PGM_RSRC2:TRAP_HANDLER: 0
; COMPUTE_PGM_RSRC2:TGID_X_EN: 1
; COMPUTE_PGM_RSRC2:TGID_Y_EN: 0
; COMPUTE_PGM_RSRC2:TGID_Z_EN: 0
; COMPUTE_PGM_RSRC2:TIDIG_COMP_CNT: 0
; COMPUTE_PGM_RSRC3_GFX90A:ACCUM_OFFSET: 0
; COMPUTE_PGM_RSRC3_GFX90A:TG_SPLIT: 0
	.section	.text._ZN7rocprim17ROCPRIM_400000_NS6detail17trampoline_kernelINS0_14default_configENS1_27scan_by_key_config_selectorIidEEZZNS1_16scan_by_key_implILNS1_25lookback_scan_determinismE0ELb1ES3_N6thrust23THRUST_200600_302600_NS6detail15normal_iteratorINS9_10device_ptrIiEEEENSB_INSC_IdEEEESG_dNS9_4plusIvEENS9_8equal_toIvEEdEE10hipError_tPvRmT2_T3_T4_T5_mT6_T7_P12ihipStream_tbENKUlT_T0_E_clISt17integral_constantIbLb0EES10_IbLb1EEEEDaSW_SX_EUlSW_E_NS1_11comp_targetILNS1_3genE9ELNS1_11target_archE1100ELNS1_3gpuE3ELNS1_3repE0EEENS1_30default_config_static_selectorELNS0_4arch9wavefront6targetE1EEEvT1_,"axG",@progbits,_ZN7rocprim17ROCPRIM_400000_NS6detail17trampoline_kernelINS0_14default_configENS1_27scan_by_key_config_selectorIidEEZZNS1_16scan_by_key_implILNS1_25lookback_scan_determinismE0ELb1ES3_N6thrust23THRUST_200600_302600_NS6detail15normal_iteratorINS9_10device_ptrIiEEEENSB_INSC_IdEEEESG_dNS9_4plusIvEENS9_8equal_toIvEEdEE10hipError_tPvRmT2_T3_T4_T5_mT6_T7_P12ihipStream_tbENKUlT_T0_E_clISt17integral_constantIbLb0EES10_IbLb1EEEEDaSW_SX_EUlSW_E_NS1_11comp_targetILNS1_3genE9ELNS1_11target_archE1100ELNS1_3gpuE3ELNS1_3repE0EEENS1_30default_config_static_selectorELNS0_4arch9wavefront6targetE1EEEvT1_,comdat
	.protected	_ZN7rocprim17ROCPRIM_400000_NS6detail17trampoline_kernelINS0_14default_configENS1_27scan_by_key_config_selectorIidEEZZNS1_16scan_by_key_implILNS1_25lookback_scan_determinismE0ELb1ES3_N6thrust23THRUST_200600_302600_NS6detail15normal_iteratorINS9_10device_ptrIiEEEENSB_INSC_IdEEEESG_dNS9_4plusIvEENS9_8equal_toIvEEdEE10hipError_tPvRmT2_T3_T4_T5_mT6_T7_P12ihipStream_tbENKUlT_T0_E_clISt17integral_constantIbLb0EES10_IbLb1EEEEDaSW_SX_EUlSW_E_NS1_11comp_targetILNS1_3genE9ELNS1_11target_archE1100ELNS1_3gpuE3ELNS1_3repE0EEENS1_30default_config_static_selectorELNS0_4arch9wavefront6targetE1EEEvT1_ ; -- Begin function _ZN7rocprim17ROCPRIM_400000_NS6detail17trampoline_kernelINS0_14default_configENS1_27scan_by_key_config_selectorIidEEZZNS1_16scan_by_key_implILNS1_25lookback_scan_determinismE0ELb1ES3_N6thrust23THRUST_200600_302600_NS6detail15normal_iteratorINS9_10device_ptrIiEEEENSB_INSC_IdEEEESG_dNS9_4plusIvEENS9_8equal_toIvEEdEE10hipError_tPvRmT2_T3_T4_T5_mT6_T7_P12ihipStream_tbENKUlT_T0_E_clISt17integral_constantIbLb0EES10_IbLb1EEEEDaSW_SX_EUlSW_E_NS1_11comp_targetILNS1_3genE9ELNS1_11target_archE1100ELNS1_3gpuE3ELNS1_3repE0EEENS1_30default_config_static_selectorELNS0_4arch9wavefront6targetE1EEEvT1_
	.globl	_ZN7rocprim17ROCPRIM_400000_NS6detail17trampoline_kernelINS0_14default_configENS1_27scan_by_key_config_selectorIidEEZZNS1_16scan_by_key_implILNS1_25lookback_scan_determinismE0ELb1ES3_N6thrust23THRUST_200600_302600_NS6detail15normal_iteratorINS9_10device_ptrIiEEEENSB_INSC_IdEEEESG_dNS9_4plusIvEENS9_8equal_toIvEEdEE10hipError_tPvRmT2_T3_T4_T5_mT6_T7_P12ihipStream_tbENKUlT_T0_E_clISt17integral_constantIbLb0EES10_IbLb1EEEEDaSW_SX_EUlSW_E_NS1_11comp_targetILNS1_3genE9ELNS1_11target_archE1100ELNS1_3gpuE3ELNS1_3repE0EEENS1_30default_config_static_selectorELNS0_4arch9wavefront6targetE1EEEvT1_
	.p2align	8
	.type	_ZN7rocprim17ROCPRIM_400000_NS6detail17trampoline_kernelINS0_14default_configENS1_27scan_by_key_config_selectorIidEEZZNS1_16scan_by_key_implILNS1_25lookback_scan_determinismE0ELb1ES3_N6thrust23THRUST_200600_302600_NS6detail15normal_iteratorINS9_10device_ptrIiEEEENSB_INSC_IdEEEESG_dNS9_4plusIvEENS9_8equal_toIvEEdEE10hipError_tPvRmT2_T3_T4_T5_mT6_T7_P12ihipStream_tbENKUlT_T0_E_clISt17integral_constantIbLb0EES10_IbLb1EEEEDaSW_SX_EUlSW_E_NS1_11comp_targetILNS1_3genE9ELNS1_11target_archE1100ELNS1_3gpuE3ELNS1_3repE0EEENS1_30default_config_static_selectorELNS0_4arch9wavefront6targetE1EEEvT1_,@function
_ZN7rocprim17ROCPRIM_400000_NS6detail17trampoline_kernelINS0_14default_configENS1_27scan_by_key_config_selectorIidEEZZNS1_16scan_by_key_implILNS1_25lookback_scan_determinismE0ELb1ES3_N6thrust23THRUST_200600_302600_NS6detail15normal_iteratorINS9_10device_ptrIiEEEENSB_INSC_IdEEEESG_dNS9_4plusIvEENS9_8equal_toIvEEdEE10hipError_tPvRmT2_T3_T4_T5_mT6_T7_P12ihipStream_tbENKUlT_T0_E_clISt17integral_constantIbLb0EES10_IbLb1EEEEDaSW_SX_EUlSW_E_NS1_11comp_targetILNS1_3genE9ELNS1_11target_archE1100ELNS1_3gpuE3ELNS1_3repE0EEENS1_30default_config_static_selectorELNS0_4arch9wavefront6targetE1EEEvT1_: ; @_ZN7rocprim17ROCPRIM_400000_NS6detail17trampoline_kernelINS0_14default_configENS1_27scan_by_key_config_selectorIidEEZZNS1_16scan_by_key_implILNS1_25lookback_scan_determinismE0ELb1ES3_N6thrust23THRUST_200600_302600_NS6detail15normal_iteratorINS9_10device_ptrIiEEEENSB_INSC_IdEEEESG_dNS9_4plusIvEENS9_8equal_toIvEEdEE10hipError_tPvRmT2_T3_T4_T5_mT6_T7_P12ihipStream_tbENKUlT_T0_E_clISt17integral_constantIbLb0EES10_IbLb1EEEEDaSW_SX_EUlSW_E_NS1_11comp_targetILNS1_3genE9ELNS1_11target_archE1100ELNS1_3gpuE3ELNS1_3repE0EEENS1_30default_config_static_selectorELNS0_4arch9wavefront6targetE1EEEvT1_
; %bb.0:
	.section	.rodata,"a",@progbits
	.p2align	6, 0x0
	.amdhsa_kernel _ZN7rocprim17ROCPRIM_400000_NS6detail17trampoline_kernelINS0_14default_configENS1_27scan_by_key_config_selectorIidEEZZNS1_16scan_by_key_implILNS1_25lookback_scan_determinismE0ELb1ES3_N6thrust23THRUST_200600_302600_NS6detail15normal_iteratorINS9_10device_ptrIiEEEENSB_INSC_IdEEEESG_dNS9_4plusIvEENS9_8equal_toIvEEdEE10hipError_tPvRmT2_T3_T4_T5_mT6_T7_P12ihipStream_tbENKUlT_T0_E_clISt17integral_constantIbLb0EES10_IbLb1EEEEDaSW_SX_EUlSW_E_NS1_11comp_targetILNS1_3genE9ELNS1_11target_archE1100ELNS1_3gpuE3ELNS1_3repE0EEENS1_30default_config_static_selectorELNS0_4arch9wavefront6targetE1EEEvT1_
		.amdhsa_group_segment_fixed_size 0
		.amdhsa_private_segment_fixed_size 0
		.amdhsa_kernarg_size 136
		.amdhsa_user_sgpr_count 2
		.amdhsa_user_sgpr_dispatch_ptr 0
		.amdhsa_user_sgpr_queue_ptr 0
		.amdhsa_user_sgpr_kernarg_segment_ptr 1
		.amdhsa_user_sgpr_dispatch_id 0
		.amdhsa_user_sgpr_kernarg_preload_length 0
		.amdhsa_user_sgpr_kernarg_preload_offset 0
		.amdhsa_user_sgpr_private_segment_size 0
		.amdhsa_uses_dynamic_stack 0
		.amdhsa_enable_private_segment 0
		.amdhsa_system_sgpr_workgroup_id_x 1
		.amdhsa_system_sgpr_workgroup_id_y 0
		.amdhsa_system_sgpr_workgroup_id_z 0
		.amdhsa_system_sgpr_workgroup_info 0
		.amdhsa_system_vgpr_workitem_id 0
		.amdhsa_next_free_vgpr 1
		.amdhsa_next_free_sgpr 0
		.amdhsa_accum_offset 4
		.amdhsa_reserve_vcc 0
		.amdhsa_float_round_mode_32 0
		.amdhsa_float_round_mode_16_64 0
		.amdhsa_float_denorm_mode_32 3
		.amdhsa_float_denorm_mode_16_64 3
		.amdhsa_dx10_clamp 1
		.amdhsa_ieee_mode 1
		.amdhsa_fp16_overflow 0
		.amdhsa_tg_split 0
		.amdhsa_exception_fp_ieee_invalid_op 0
		.amdhsa_exception_fp_denorm_src 0
		.amdhsa_exception_fp_ieee_div_zero 0
		.amdhsa_exception_fp_ieee_overflow 0
		.amdhsa_exception_fp_ieee_underflow 0
		.amdhsa_exception_fp_ieee_inexact 0
		.amdhsa_exception_int_div_zero 0
	.end_amdhsa_kernel
	.section	.text._ZN7rocprim17ROCPRIM_400000_NS6detail17trampoline_kernelINS0_14default_configENS1_27scan_by_key_config_selectorIidEEZZNS1_16scan_by_key_implILNS1_25lookback_scan_determinismE0ELb1ES3_N6thrust23THRUST_200600_302600_NS6detail15normal_iteratorINS9_10device_ptrIiEEEENSB_INSC_IdEEEESG_dNS9_4plusIvEENS9_8equal_toIvEEdEE10hipError_tPvRmT2_T3_T4_T5_mT6_T7_P12ihipStream_tbENKUlT_T0_E_clISt17integral_constantIbLb0EES10_IbLb1EEEEDaSW_SX_EUlSW_E_NS1_11comp_targetILNS1_3genE9ELNS1_11target_archE1100ELNS1_3gpuE3ELNS1_3repE0EEENS1_30default_config_static_selectorELNS0_4arch9wavefront6targetE1EEEvT1_,"axG",@progbits,_ZN7rocprim17ROCPRIM_400000_NS6detail17trampoline_kernelINS0_14default_configENS1_27scan_by_key_config_selectorIidEEZZNS1_16scan_by_key_implILNS1_25lookback_scan_determinismE0ELb1ES3_N6thrust23THRUST_200600_302600_NS6detail15normal_iteratorINS9_10device_ptrIiEEEENSB_INSC_IdEEEESG_dNS9_4plusIvEENS9_8equal_toIvEEdEE10hipError_tPvRmT2_T3_T4_T5_mT6_T7_P12ihipStream_tbENKUlT_T0_E_clISt17integral_constantIbLb0EES10_IbLb1EEEEDaSW_SX_EUlSW_E_NS1_11comp_targetILNS1_3genE9ELNS1_11target_archE1100ELNS1_3gpuE3ELNS1_3repE0EEENS1_30default_config_static_selectorELNS0_4arch9wavefront6targetE1EEEvT1_,comdat
.Lfunc_end1425:
	.size	_ZN7rocprim17ROCPRIM_400000_NS6detail17trampoline_kernelINS0_14default_configENS1_27scan_by_key_config_selectorIidEEZZNS1_16scan_by_key_implILNS1_25lookback_scan_determinismE0ELb1ES3_N6thrust23THRUST_200600_302600_NS6detail15normal_iteratorINS9_10device_ptrIiEEEENSB_INSC_IdEEEESG_dNS9_4plusIvEENS9_8equal_toIvEEdEE10hipError_tPvRmT2_T3_T4_T5_mT6_T7_P12ihipStream_tbENKUlT_T0_E_clISt17integral_constantIbLb0EES10_IbLb1EEEEDaSW_SX_EUlSW_E_NS1_11comp_targetILNS1_3genE9ELNS1_11target_archE1100ELNS1_3gpuE3ELNS1_3repE0EEENS1_30default_config_static_selectorELNS0_4arch9wavefront6targetE1EEEvT1_, .Lfunc_end1425-_ZN7rocprim17ROCPRIM_400000_NS6detail17trampoline_kernelINS0_14default_configENS1_27scan_by_key_config_selectorIidEEZZNS1_16scan_by_key_implILNS1_25lookback_scan_determinismE0ELb1ES3_N6thrust23THRUST_200600_302600_NS6detail15normal_iteratorINS9_10device_ptrIiEEEENSB_INSC_IdEEEESG_dNS9_4plusIvEENS9_8equal_toIvEEdEE10hipError_tPvRmT2_T3_T4_T5_mT6_T7_P12ihipStream_tbENKUlT_T0_E_clISt17integral_constantIbLb0EES10_IbLb1EEEEDaSW_SX_EUlSW_E_NS1_11comp_targetILNS1_3genE9ELNS1_11target_archE1100ELNS1_3gpuE3ELNS1_3repE0EEENS1_30default_config_static_selectorELNS0_4arch9wavefront6targetE1EEEvT1_
                                        ; -- End function
	.section	.AMDGPU.csdata,"",@progbits
; Kernel info:
; codeLenInByte = 0
; NumSgprs: 6
; NumVgprs: 0
; NumAgprs: 0
; TotalNumVgprs: 0
; ScratchSize: 0
; MemoryBound: 0
; FloatMode: 240
; IeeeMode: 1
; LDSByteSize: 0 bytes/workgroup (compile time only)
; SGPRBlocks: 0
; VGPRBlocks: 0
; NumSGPRsForWavesPerEU: 6
; NumVGPRsForWavesPerEU: 1
; AccumOffset: 4
; Occupancy: 8
; WaveLimiterHint : 0
; COMPUTE_PGM_RSRC2:SCRATCH_EN: 0
; COMPUTE_PGM_RSRC2:USER_SGPR: 2
; COMPUTE_PGM_RSRC2:TRAP_HANDLER: 0
; COMPUTE_PGM_RSRC2:TGID_X_EN: 1
; COMPUTE_PGM_RSRC2:TGID_Y_EN: 0
; COMPUTE_PGM_RSRC2:TGID_Z_EN: 0
; COMPUTE_PGM_RSRC2:TIDIG_COMP_CNT: 0
; COMPUTE_PGM_RSRC3_GFX90A:ACCUM_OFFSET: 0
; COMPUTE_PGM_RSRC3_GFX90A:TG_SPLIT: 0
	.section	.text._ZN7rocprim17ROCPRIM_400000_NS6detail17trampoline_kernelINS0_14default_configENS1_27scan_by_key_config_selectorIidEEZZNS1_16scan_by_key_implILNS1_25lookback_scan_determinismE0ELb1ES3_N6thrust23THRUST_200600_302600_NS6detail15normal_iteratorINS9_10device_ptrIiEEEENSB_INSC_IdEEEESG_dNS9_4plusIvEENS9_8equal_toIvEEdEE10hipError_tPvRmT2_T3_T4_T5_mT6_T7_P12ihipStream_tbENKUlT_T0_E_clISt17integral_constantIbLb0EES10_IbLb1EEEEDaSW_SX_EUlSW_E_NS1_11comp_targetILNS1_3genE8ELNS1_11target_archE1030ELNS1_3gpuE2ELNS1_3repE0EEENS1_30default_config_static_selectorELNS0_4arch9wavefront6targetE1EEEvT1_,"axG",@progbits,_ZN7rocprim17ROCPRIM_400000_NS6detail17trampoline_kernelINS0_14default_configENS1_27scan_by_key_config_selectorIidEEZZNS1_16scan_by_key_implILNS1_25lookback_scan_determinismE0ELb1ES3_N6thrust23THRUST_200600_302600_NS6detail15normal_iteratorINS9_10device_ptrIiEEEENSB_INSC_IdEEEESG_dNS9_4plusIvEENS9_8equal_toIvEEdEE10hipError_tPvRmT2_T3_T4_T5_mT6_T7_P12ihipStream_tbENKUlT_T0_E_clISt17integral_constantIbLb0EES10_IbLb1EEEEDaSW_SX_EUlSW_E_NS1_11comp_targetILNS1_3genE8ELNS1_11target_archE1030ELNS1_3gpuE2ELNS1_3repE0EEENS1_30default_config_static_selectorELNS0_4arch9wavefront6targetE1EEEvT1_,comdat
	.protected	_ZN7rocprim17ROCPRIM_400000_NS6detail17trampoline_kernelINS0_14default_configENS1_27scan_by_key_config_selectorIidEEZZNS1_16scan_by_key_implILNS1_25lookback_scan_determinismE0ELb1ES3_N6thrust23THRUST_200600_302600_NS6detail15normal_iteratorINS9_10device_ptrIiEEEENSB_INSC_IdEEEESG_dNS9_4plusIvEENS9_8equal_toIvEEdEE10hipError_tPvRmT2_T3_T4_T5_mT6_T7_P12ihipStream_tbENKUlT_T0_E_clISt17integral_constantIbLb0EES10_IbLb1EEEEDaSW_SX_EUlSW_E_NS1_11comp_targetILNS1_3genE8ELNS1_11target_archE1030ELNS1_3gpuE2ELNS1_3repE0EEENS1_30default_config_static_selectorELNS0_4arch9wavefront6targetE1EEEvT1_ ; -- Begin function _ZN7rocprim17ROCPRIM_400000_NS6detail17trampoline_kernelINS0_14default_configENS1_27scan_by_key_config_selectorIidEEZZNS1_16scan_by_key_implILNS1_25lookback_scan_determinismE0ELb1ES3_N6thrust23THRUST_200600_302600_NS6detail15normal_iteratorINS9_10device_ptrIiEEEENSB_INSC_IdEEEESG_dNS9_4plusIvEENS9_8equal_toIvEEdEE10hipError_tPvRmT2_T3_T4_T5_mT6_T7_P12ihipStream_tbENKUlT_T0_E_clISt17integral_constantIbLb0EES10_IbLb1EEEEDaSW_SX_EUlSW_E_NS1_11comp_targetILNS1_3genE8ELNS1_11target_archE1030ELNS1_3gpuE2ELNS1_3repE0EEENS1_30default_config_static_selectorELNS0_4arch9wavefront6targetE1EEEvT1_
	.globl	_ZN7rocprim17ROCPRIM_400000_NS6detail17trampoline_kernelINS0_14default_configENS1_27scan_by_key_config_selectorIidEEZZNS1_16scan_by_key_implILNS1_25lookback_scan_determinismE0ELb1ES3_N6thrust23THRUST_200600_302600_NS6detail15normal_iteratorINS9_10device_ptrIiEEEENSB_INSC_IdEEEESG_dNS9_4plusIvEENS9_8equal_toIvEEdEE10hipError_tPvRmT2_T3_T4_T5_mT6_T7_P12ihipStream_tbENKUlT_T0_E_clISt17integral_constantIbLb0EES10_IbLb1EEEEDaSW_SX_EUlSW_E_NS1_11comp_targetILNS1_3genE8ELNS1_11target_archE1030ELNS1_3gpuE2ELNS1_3repE0EEENS1_30default_config_static_selectorELNS0_4arch9wavefront6targetE1EEEvT1_
	.p2align	8
	.type	_ZN7rocprim17ROCPRIM_400000_NS6detail17trampoline_kernelINS0_14default_configENS1_27scan_by_key_config_selectorIidEEZZNS1_16scan_by_key_implILNS1_25lookback_scan_determinismE0ELb1ES3_N6thrust23THRUST_200600_302600_NS6detail15normal_iteratorINS9_10device_ptrIiEEEENSB_INSC_IdEEEESG_dNS9_4plusIvEENS9_8equal_toIvEEdEE10hipError_tPvRmT2_T3_T4_T5_mT6_T7_P12ihipStream_tbENKUlT_T0_E_clISt17integral_constantIbLb0EES10_IbLb1EEEEDaSW_SX_EUlSW_E_NS1_11comp_targetILNS1_3genE8ELNS1_11target_archE1030ELNS1_3gpuE2ELNS1_3repE0EEENS1_30default_config_static_selectorELNS0_4arch9wavefront6targetE1EEEvT1_,@function
_ZN7rocprim17ROCPRIM_400000_NS6detail17trampoline_kernelINS0_14default_configENS1_27scan_by_key_config_selectorIidEEZZNS1_16scan_by_key_implILNS1_25lookback_scan_determinismE0ELb1ES3_N6thrust23THRUST_200600_302600_NS6detail15normal_iteratorINS9_10device_ptrIiEEEENSB_INSC_IdEEEESG_dNS9_4plusIvEENS9_8equal_toIvEEdEE10hipError_tPvRmT2_T3_T4_T5_mT6_T7_P12ihipStream_tbENKUlT_T0_E_clISt17integral_constantIbLb0EES10_IbLb1EEEEDaSW_SX_EUlSW_E_NS1_11comp_targetILNS1_3genE8ELNS1_11target_archE1030ELNS1_3gpuE2ELNS1_3repE0EEENS1_30default_config_static_selectorELNS0_4arch9wavefront6targetE1EEEvT1_: ; @_ZN7rocprim17ROCPRIM_400000_NS6detail17trampoline_kernelINS0_14default_configENS1_27scan_by_key_config_selectorIidEEZZNS1_16scan_by_key_implILNS1_25lookback_scan_determinismE0ELb1ES3_N6thrust23THRUST_200600_302600_NS6detail15normal_iteratorINS9_10device_ptrIiEEEENSB_INSC_IdEEEESG_dNS9_4plusIvEENS9_8equal_toIvEEdEE10hipError_tPvRmT2_T3_T4_T5_mT6_T7_P12ihipStream_tbENKUlT_T0_E_clISt17integral_constantIbLb0EES10_IbLb1EEEEDaSW_SX_EUlSW_E_NS1_11comp_targetILNS1_3genE8ELNS1_11target_archE1030ELNS1_3gpuE2ELNS1_3repE0EEENS1_30default_config_static_selectorELNS0_4arch9wavefront6targetE1EEEvT1_
; %bb.0:
	.section	.rodata,"a",@progbits
	.p2align	6, 0x0
	.amdhsa_kernel _ZN7rocprim17ROCPRIM_400000_NS6detail17trampoline_kernelINS0_14default_configENS1_27scan_by_key_config_selectorIidEEZZNS1_16scan_by_key_implILNS1_25lookback_scan_determinismE0ELb1ES3_N6thrust23THRUST_200600_302600_NS6detail15normal_iteratorINS9_10device_ptrIiEEEENSB_INSC_IdEEEESG_dNS9_4plusIvEENS9_8equal_toIvEEdEE10hipError_tPvRmT2_T3_T4_T5_mT6_T7_P12ihipStream_tbENKUlT_T0_E_clISt17integral_constantIbLb0EES10_IbLb1EEEEDaSW_SX_EUlSW_E_NS1_11comp_targetILNS1_3genE8ELNS1_11target_archE1030ELNS1_3gpuE2ELNS1_3repE0EEENS1_30default_config_static_selectorELNS0_4arch9wavefront6targetE1EEEvT1_
		.amdhsa_group_segment_fixed_size 0
		.amdhsa_private_segment_fixed_size 0
		.amdhsa_kernarg_size 136
		.amdhsa_user_sgpr_count 2
		.amdhsa_user_sgpr_dispatch_ptr 0
		.amdhsa_user_sgpr_queue_ptr 0
		.amdhsa_user_sgpr_kernarg_segment_ptr 1
		.amdhsa_user_sgpr_dispatch_id 0
		.amdhsa_user_sgpr_kernarg_preload_length 0
		.amdhsa_user_sgpr_kernarg_preload_offset 0
		.amdhsa_user_sgpr_private_segment_size 0
		.amdhsa_uses_dynamic_stack 0
		.amdhsa_enable_private_segment 0
		.amdhsa_system_sgpr_workgroup_id_x 1
		.amdhsa_system_sgpr_workgroup_id_y 0
		.amdhsa_system_sgpr_workgroup_id_z 0
		.amdhsa_system_sgpr_workgroup_info 0
		.amdhsa_system_vgpr_workitem_id 0
		.amdhsa_next_free_vgpr 1
		.amdhsa_next_free_sgpr 0
		.amdhsa_accum_offset 4
		.amdhsa_reserve_vcc 0
		.amdhsa_float_round_mode_32 0
		.amdhsa_float_round_mode_16_64 0
		.amdhsa_float_denorm_mode_32 3
		.amdhsa_float_denorm_mode_16_64 3
		.amdhsa_dx10_clamp 1
		.amdhsa_ieee_mode 1
		.amdhsa_fp16_overflow 0
		.amdhsa_tg_split 0
		.amdhsa_exception_fp_ieee_invalid_op 0
		.amdhsa_exception_fp_denorm_src 0
		.amdhsa_exception_fp_ieee_div_zero 0
		.amdhsa_exception_fp_ieee_overflow 0
		.amdhsa_exception_fp_ieee_underflow 0
		.amdhsa_exception_fp_ieee_inexact 0
		.amdhsa_exception_int_div_zero 0
	.end_amdhsa_kernel
	.section	.text._ZN7rocprim17ROCPRIM_400000_NS6detail17trampoline_kernelINS0_14default_configENS1_27scan_by_key_config_selectorIidEEZZNS1_16scan_by_key_implILNS1_25lookback_scan_determinismE0ELb1ES3_N6thrust23THRUST_200600_302600_NS6detail15normal_iteratorINS9_10device_ptrIiEEEENSB_INSC_IdEEEESG_dNS9_4plusIvEENS9_8equal_toIvEEdEE10hipError_tPvRmT2_T3_T4_T5_mT6_T7_P12ihipStream_tbENKUlT_T0_E_clISt17integral_constantIbLb0EES10_IbLb1EEEEDaSW_SX_EUlSW_E_NS1_11comp_targetILNS1_3genE8ELNS1_11target_archE1030ELNS1_3gpuE2ELNS1_3repE0EEENS1_30default_config_static_selectorELNS0_4arch9wavefront6targetE1EEEvT1_,"axG",@progbits,_ZN7rocprim17ROCPRIM_400000_NS6detail17trampoline_kernelINS0_14default_configENS1_27scan_by_key_config_selectorIidEEZZNS1_16scan_by_key_implILNS1_25lookback_scan_determinismE0ELb1ES3_N6thrust23THRUST_200600_302600_NS6detail15normal_iteratorINS9_10device_ptrIiEEEENSB_INSC_IdEEEESG_dNS9_4plusIvEENS9_8equal_toIvEEdEE10hipError_tPvRmT2_T3_T4_T5_mT6_T7_P12ihipStream_tbENKUlT_T0_E_clISt17integral_constantIbLb0EES10_IbLb1EEEEDaSW_SX_EUlSW_E_NS1_11comp_targetILNS1_3genE8ELNS1_11target_archE1030ELNS1_3gpuE2ELNS1_3repE0EEENS1_30default_config_static_selectorELNS0_4arch9wavefront6targetE1EEEvT1_,comdat
.Lfunc_end1426:
	.size	_ZN7rocprim17ROCPRIM_400000_NS6detail17trampoline_kernelINS0_14default_configENS1_27scan_by_key_config_selectorIidEEZZNS1_16scan_by_key_implILNS1_25lookback_scan_determinismE0ELb1ES3_N6thrust23THRUST_200600_302600_NS6detail15normal_iteratorINS9_10device_ptrIiEEEENSB_INSC_IdEEEESG_dNS9_4plusIvEENS9_8equal_toIvEEdEE10hipError_tPvRmT2_T3_T4_T5_mT6_T7_P12ihipStream_tbENKUlT_T0_E_clISt17integral_constantIbLb0EES10_IbLb1EEEEDaSW_SX_EUlSW_E_NS1_11comp_targetILNS1_3genE8ELNS1_11target_archE1030ELNS1_3gpuE2ELNS1_3repE0EEENS1_30default_config_static_selectorELNS0_4arch9wavefront6targetE1EEEvT1_, .Lfunc_end1426-_ZN7rocprim17ROCPRIM_400000_NS6detail17trampoline_kernelINS0_14default_configENS1_27scan_by_key_config_selectorIidEEZZNS1_16scan_by_key_implILNS1_25lookback_scan_determinismE0ELb1ES3_N6thrust23THRUST_200600_302600_NS6detail15normal_iteratorINS9_10device_ptrIiEEEENSB_INSC_IdEEEESG_dNS9_4plusIvEENS9_8equal_toIvEEdEE10hipError_tPvRmT2_T3_T4_T5_mT6_T7_P12ihipStream_tbENKUlT_T0_E_clISt17integral_constantIbLb0EES10_IbLb1EEEEDaSW_SX_EUlSW_E_NS1_11comp_targetILNS1_3genE8ELNS1_11target_archE1030ELNS1_3gpuE2ELNS1_3repE0EEENS1_30default_config_static_selectorELNS0_4arch9wavefront6targetE1EEEvT1_
                                        ; -- End function
	.section	.AMDGPU.csdata,"",@progbits
; Kernel info:
; codeLenInByte = 0
; NumSgprs: 6
; NumVgprs: 0
; NumAgprs: 0
; TotalNumVgprs: 0
; ScratchSize: 0
; MemoryBound: 0
; FloatMode: 240
; IeeeMode: 1
; LDSByteSize: 0 bytes/workgroup (compile time only)
; SGPRBlocks: 0
; VGPRBlocks: 0
; NumSGPRsForWavesPerEU: 6
; NumVGPRsForWavesPerEU: 1
; AccumOffset: 4
; Occupancy: 8
; WaveLimiterHint : 0
; COMPUTE_PGM_RSRC2:SCRATCH_EN: 0
; COMPUTE_PGM_RSRC2:USER_SGPR: 2
; COMPUTE_PGM_RSRC2:TRAP_HANDLER: 0
; COMPUTE_PGM_RSRC2:TGID_X_EN: 1
; COMPUTE_PGM_RSRC2:TGID_Y_EN: 0
; COMPUTE_PGM_RSRC2:TGID_Z_EN: 0
; COMPUTE_PGM_RSRC2:TIDIG_COMP_CNT: 0
; COMPUTE_PGM_RSRC3_GFX90A:ACCUM_OFFSET: 0
; COMPUTE_PGM_RSRC3_GFX90A:TG_SPLIT: 0
	.section	.text._ZN7rocprim17ROCPRIM_400000_NS6detail17trampoline_kernelINS0_14default_configENS1_27scan_by_key_config_selectorIifEEZZNS1_16scan_by_key_implILNS1_25lookback_scan_determinismE0ELb1ES3_N6thrust23THRUST_200600_302600_NS6detail15normal_iteratorINS9_10device_ptrIiEEEENSB_INSC_IfEEEESG_fNS9_4plusIvEENS9_8equal_toIvEEfEE10hipError_tPvRmT2_T3_T4_T5_mT6_T7_P12ihipStream_tbENKUlT_T0_E_clISt17integral_constantIbLb0EES11_EEDaSW_SX_EUlSW_E_NS1_11comp_targetILNS1_3genE0ELNS1_11target_archE4294967295ELNS1_3gpuE0ELNS1_3repE0EEENS1_30default_config_static_selectorELNS0_4arch9wavefront6targetE1EEEvT1_,"axG",@progbits,_ZN7rocprim17ROCPRIM_400000_NS6detail17trampoline_kernelINS0_14default_configENS1_27scan_by_key_config_selectorIifEEZZNS1_16scan_by_key_implILNS1_25lookback_scan_determinismE0ELb1ES3_N6thrust23THRUST_200600_302600_NS6detail15normal_iteratorINS9_10device_ptrIiEEEENSB_INSC_IfEEEESG_fNS9_4plusIvEENS9_8equal_toIvEEfEE10hipError_tPvRmT2_T3_T4_T5_mT6_T7_P12ihipStream_tbENKUlT_T0_E_clISt17integral_constantIbLb0EES11_EEDaSW_SX_EUlSW_E_NS1_11comp_targetILNS1_3genE0ELNS1_11target_archE4294967295ELNS1_3gpuE0ELNS1_3repE0EEENS1_30default_config_static_selectorELNS0_4arch9wavefront6targetE1EEEvT1_,comdat
	.protected	_ZN7rocprim17ROCPRIM_400000_NS6detail17trampoline_kernelINS0_14default_configENS1_27scan_by_key_config_selectorIifEEZZNS1_16scan_by_key_implILNS1_25lookback_scan_determinismE0ELb1ES3_N6thrust23THRUST_200600_302600_NS6detail15normal_iteratorINS9_10device_ptrIiEEEENSB_INSC_IfEEEESG_fNS9_4plusIvEENS9_8equal_toIvEEfEE10hipError_tPvRmT2_T3_T4_T5_mT6_T7_P12ihipStream_tbENKUlT_T0_E_clISt17integral_constantIbLb0EES11_EEDaSW_SX_EUlSW_E_NS1_11comp_targetILNS1_3genE0ELNS1_11target_archE4294967295ELNS1_3gpuE0ELNS1_3repE0EEENS1_30default_config_static_selectorELNS0_4arch9wavefront6targetE1EEEvT1_ ; -- Begin function _ZN7rocprim17ROCPRIM_400000_NS6detail17trampoline_kernelINS0_14default_configENS1_27scan_by_key_config_selectorIifEEZZNS1_16scan_by_key_implILNS1_25lookback_scan_determinismE0ELb1ES3_N6thrust23THRUST_200600_302600_NS6detail15normal_iteratorINS9_10device_ptrIiEEEENSB_INSC_IfEEEESG_fNS9_4plusIvEENS9_8equal_toIvEEfEE10hipError_tPvRmT2_T3_T4_T5_mT6_T7_P12ihipStream_tbENKUlT_T0_E_clISt17integral_constantIbLb0EES11_EEDaSW_SX_EUlSW_E_NS1_11comp_targetILNS1_3genE0ELNS1_11target_archE4294967295ELNS1_3gpuE0ELNS1_3repE0EEENS1_30default_config_static_selectorELNS0_4arch9wavefront6targetE1EEEvT1_
	.globl	_ZN7rocprim17ROCPRIM_400000_NS6detail17trampoline_kernelINS0_14default_configENS1_27scan_by_key_config_selectorIifEEZZNS1_16scan_by_key_implILNS1_25lookback_scan_determinismE0ELb1ES3_N6thrust23THRUST_200600_302600_NS6detail15normal_iteratorINS9_10device_ptrIiEEEENSB_INSC_IfEEEESG_fNS9_4plusIvEENS9_8equal_toIvEEfEE10hipError_tPvRmT2_T3_T4_T5_mT6_T7_P12ihipStream_tbENKUlT_T0_E_clISt17integral_constantIbLb0EES11_EEDaSW_SX_EUlSW_E_NS1_11comp_targetILNS1_3genE0ELNS1_11target_archE4294967295ELNS1_3gpuE0ELNS1_3repE0EEENS1_30default_config_static_selectorELNS0_4arch9wavefront6targetE1EEEvT1_
	.p2align	8
	.type	_ZN7rocprim17ROCPRIM_400000_NS6detail17trampoline_kernelINS0_14default_configENS1_27scan_by_key_config_selectorIifEEZZNS1_16scan_by_key_implILNS1_25lookback_scan_determinismE0ELb1ES3_N6thrust23THRUST_200600_302600_NS6detail15normal_iteratorINS9_10device_ptrIiEEEENSB_INSC_IfEEEESG_fNS9_4plusIvEENS9_8equal_toIvEEfEE10hipError_tPvRmT2_T3_T4_T5_mT6_T7_P12ihipStream_tbENKUlT_T0_E_clISt17integral_constantIbLb0EES11_EEDaSW_SX_EUlSW_E_NS1_11comp_targetILNS1_3genE0ELNS1_11target_archE4294967295ELNS1_3gpuE0ELNS1_3repE0EEENS1_30default_config_static_selectorELNS0_4arch9wavefront6targetE1EEEvT1_,@function
_ZN7rocprim17ROCPRIM_400000_NS6detail17trampoline_kernelINS0_14default_configENS1_27scan_by_key_config_selectorIifEEZZNS1_16scan_by_key_implILNS1_25lookback_scan_determinismE0ELb1ES3_N6thrust23THRUST_200600_302600_NS6detail15normal_iteratorINS9_10device_ptrIiEEEENSB_INSC_IfEEEESG_fNS9_4plusIvEENS9_8equal_toIvEEfEE10hipError_tPvRmT2_T3_T4_T5_mT6_T7_P12ihipStream_tbENKUlT_T0_E_clISt17integral_constantIbLb0EES11_EEDaSW_SX_EUlSW_E_NS1_11comp_targetILNS1_3genE0ELNS1_11target_archE4294967295ELNS1_3gpuE0ELNS1_3repE0EEENS1_30default_config_static_selectorELNS0_4arch9wavefront6targetE1EEEvT1_: ; @_ZN7rocprim17ROCPRIM_400000_NS6detail17trampoline_kernelINS0_14default_configENS1_27scan_by_key_config_selectorIifEEZZNS1_16scan_by_key_implILNS1_25lookback_scan_determinismE0ELb1ES3_N6thrust23THRUST_200600_302600_NS6detail15normal_iteratorINS9_10device_ptrIiEEEENSB_INSC_IfEEEESG_fNS9_4plusIvEENS9_8equal_toIvEEfEE10hipError_tPvRmT2_T3_T4_T5_mT6_T7_P12ihipStream_tbENKUlT_T0_E_clISt17integral_constantIbLb0EES11_EEDaSW_SX_EUlSW_E_NS1_11comp_targetILNS1_3genE0ELNS1_11target_archE4294967295ELNS1_3gpuE0ELNS1_3repE0EEENS1_30default_config_static_selectorELNS0_4arch9wavefront6targetE1EEEvT1_
; %bb.0:
	.section	.rodata,"a",@progbits
	.p2align	6, 0x0
	.amdhsa_kernel _ZN7rocprim17ROCPRIM_400000_NS6detail17trampoline_kernelINS0_14default_configENS1_27scan_by_key_config_selectorIifEEZZNS1_16scan_by_key_implILNS1_25lookback_scan_determinismE0ELb1ES3_N6thrust23THRUST_200600_302600_NS6detail15normal_iteratorINS9_10device_ptrIiEEEENSB_INSC_IfEEEESG_fNS9_4plusIvEENS9_8equal_toIvEEfEE10hipError_tPvRmT2_T3_T4_T5_mT6_T7_P12ihipStream_tbENKUlT_T0_E_clISt17integral_constantIbLb0EES11_EEDaSW_SX_EUlSW_E_NS1_11comp_targetILNS1_3genE0ELNS1_11target_archE4294967295ELNS1_3gpuE0ELNS1_3repE0EEENS1_30default_config_static_selectorELNS0_4arch9wavefront6targetE1EEEvT1_
		.amdhsa_group_segment_fixed_size 0
		.amdhsa_private_segment_fixed_size 0
		.amdhsa_kernarg_size 112
		.amdhsa_user_sgpr_count 2
		.amdhsa_user_sgpr_dispatch_ptr 0
		.amdhsa_user_sgpr_queue_ptr 0
		.amdhsa_user_sgpr_kernarg_segment_ptr 1
		.amdhsa_user_sgpr_dispatch_id 0
		.amdhsa_user_sgpr_kernarg_preload_length 0
		.amdhsa_user_sgpr_kernarg_preload_offset 0
		.amdhsa_user_sgpr_private_segment_size 0
		.amdhsa_uses_dynamic_stack 0
		.amdhsa_enable_private_segment 0
		.amdhsa_system_sgpr_workgroup_id_x 1
		.amdhsa_system_sgpr_workgroup_id_y 0
		.amdhsa_system_sgpr_workgroup_id_z 0
		.amdhsa_system_sgpr_workgroup_info 0
		.amdhsa_system_vgpr_workitem_id 0
		.amdhsa_next_free_vgpr 1
		.amdhsa_next_free_sgpr 0
		.amdhsa_accum_offset 4
		.amdhsa_reserve_vcc 0
		.amdhsa_float_round_mode_32 0
		.amdhsa_float_round_mode_16_64 0
		.amdhsa_float_denorm_mode_32 3
		.amdhsa_float_denorm_mode_16_64 3
		.amdhsa_dx10_clamp 1
		.amdhsa_ieee_mode 1
		.amdhsa_fp16_overflow 0
		.amdhsa_tg_split 0
		.amdhsa_exception_fp_ieee_invalid_op 0
		.amdhsa_exception_fp_denorm_src 0
		.amdhsa_exception_fp_ieee_div_zero 0
		.amdhsa_exception_fp_ieee_overflow 0
		.amdhsa_exception_fp_ieee_underflow 0
		.amdhsa_exception_fp_ieee_inexact 0
		.amdhsa_exception_int_div_zero 0
	.end_amdhsa_kernel
	.section	.text._ZN7rocprim17ROCPRIM_400000_NS6detail17trampoline_kernelINS0_14default_configENS1_27scan_by_key_config_selectorIifEEZZNS1_16scan_by_key_implILNS1_25lookback_scan_determinismE0ELb1ES3_N6thrust23THRUST_200600_302600_NS6detail15normal_iteratorINS9_10device_ptrIiEEEENSB_INSC_IfEEEESG_fNS9_4plusIvEENS9_8equal_toIvEEfEE10hipError_tPvRmT2_T3_T4_T5_mT6_T7_P12ihipStream_tbENKUlT_T0_E_clISt17integral_constantIbLb0EES11_EEDaSW_SX_EUlSW_E_NS1_11comp_targetILNS1_3genE0ELNS1_11target_archE4294967295ELNS1_3gpuE0ELNS1_3repE0EEENS1_30default_config_static_selectorELNS0_4arch9wavefront6targetE1EEEvT1_,"axG",@progbits,_ZN7rocprim17ROCPRIM_400000_NS6detail17trampoline_kernelINS0_14default_configENS1_27scan_by_key_config_selectorIifEEZZNS1_16scan_by_key_implILNS1_25lookback_scan_determinismE0ELb1ES3_N6thrust23THRUST_200600_302600_NS6detail15normal_iteratorINS9_10device_ptrIiEEEENSB_INSC_IfEEEESG_fNS9_4plusIvEENS9_8equal_toIvEEfEE10hipError_tPvRmT2_T3_T4_T5_mT6_T7_P12ihipStream_tbENKUlT_T0_E_clISt17integral_constantIbLb0EES11_EEDaSW_SX_EUlSW_E_NS1_11comp_targetILNS1_3genE0ELNS1_11target_archE4294967295ELNS1_3gpuE0ELNS1_3repE0EEENS1_30default_config_static_selectorELNS0_4arch9wavefront6targetE1EEEvT1_,comdat
.Lfunc_end1427:
	.size	_ZN7rocprim17ROCPRIM_400000_NS6detail17trampoline_kernelINS0_14default_configENS1_27scan_by_key_config_selectorIifEEZZNS1_16scan_by_key_implILNS1_25lookback_scan_determinismE0ELb1ES3_N6thrust23THRUST_200600_302600_NS6detail15normal_iteratorINS9_10device_ptrIiEEEENSB_INSC_IfEEEESG_fNS9_4plusIvEENS9_8equal_toIvEEfEE10hipError_tPvRmT2_T3_T4_T5_mT6_T7_P12ihipStream_tbENKUlT_T0_E_clISt17integral_constantIbLb0EES11_EEDaSW_SX_EUlSW_E_NS1_11comp_targetILNS1_3genE0ELNS1_11target_archE4294967295ELNS1_3gpuE0ELNS1_3repE0EEENS1_30default_config_static_selectorELNS0_4arch9wavefront6targetE1EEEvT1_, .Lfunc_end1427-_ZN7rocprim17ROCPRIM_400000_NS6detail17trampoline_kernelINS0_14default_configENS1_27scan_by_key_config_selectorIifEEZZNS1_16scan_by_key_implILNS1_25lookback_scan_determinismE0ELb1ES3_N6thrust23THRUST_200600_302600_NS6detail15normal_iteratorINS9_10device_ptrIiEEEENSB_INSC_IfEEEESG_fNS9_4plusIvEENS9_8equal_toIvEEfEE10hipError_tPvRmT2_T3_T4_T5_mT6_T7_P12ihipStream_tbENKUlT_T0_E_clISt17integral_constantIbLb0EES11_EEDaSW_SX_EUlSW_E_NS1_11comp_targetILNS1_3genE0ELNS1_11target_archE4294967295ELNS1_3gpuE0ELNS1_3repE0EEENS1_30default_config_static_selectorELNS0_4arch9wavefront6targetE1EEEvT1_
                                        ; -- End function
	.section	.AMDGPU.csdata,"",@progbits
; Kernel info:
; codeLenInByte = 0
; NumSgprs: 6
; NumVgprs: 0
; NumAgprs: 0
; TotalNumVgprs: 0
; ScratchSize: 0
; MemoryBound: 0
; FloatMode: 240
; IeeeMode: 1
; LDSByteSize: 0 bytes/workgroup (compile time only)
; SGPRBlocks: 0
; VGPRBlocks: 0
; NumSGPRsForWavesPerEU: 6
; NumVGPRsForWavesPerEU: 1
; AccumOffset: 4
; Occupancy: 8
; WaveLimiterHint : 0
; COMPUTE_PGM_RSRC2:SCRATCH_EN: 0
; COMPUTE_PGM_RSRC2:USER_SGPR: 2
; COMPUTE_PGM_RSRC2:TRAP_HANDLER: 0
; COMPUTE_PGM_RSRC2:TGID_X_EN: 1
; COMPUTE_PGM_RSRC2:TGID_Y_EN: 0
; COMPUTE_PGM_RSRC2:TGID_Z_EN: 0
; COMPUTE_PGM_RSRC2:TIDIG_COMP_CNT: 0
; COMPUTE_PGM_RSRC3_GFX90A:ACCUM_OFFSET: 0
; COMPUTE_PGM_RSRC3_GFX90A:TG_SPLIT: 0
	.section	.text._ZN7rocprim17ROCPRIM_400000_NS6detail17trampoline_kernelINS0_14default_configENS1_27scan_by_key_config_selectorIifEEZZNS1_16scan_by_key_implILNS1_25lookback_scan_determinismE0ELb1ES3_N6thrust23THRUST_200600_302600_NS6detail15normal_iteratorINS9_10device_ptrIiEEEENSB_INSC_IfEEEESG_fNS9_4plusIvEENS9_8equal_toIvEEfEE10hipError_tPvRmT2_T3_T4_T5_mT6_T7_P12ihipStream_tbENKUlT_T0_E_clISt17integral_constantIbLb0EES11_EEDaSW_SX_EUlSW_E_NS1_11comp_targetILNS1_3genE10ELNS1_11target_archE1201ELNS1_3gpuE5ELNS1_3repE0EEENS1_30default_config_static_selectorELNS0_4arch9wavefront6targetE1EEEvT1_,"axG",@progbits,_ZN7rocprim17ROCPRIM_400000_NS6detail17trampoline_kernelINS0_14default_configENS1_27scan_by_key_config_selectorIifEEZZNS1_16scan_by_key_implILNS1_25lookback_scan_determinismE0ELb1ES3_N6thrust23THRUST_200600_302600_NS6detail15normal_iteratorINS9_10device_ptrIiEEEENSB_INSC_IfEEEESG_fNS9_4plusIvEENS9_8equal_toIvEEfEE10hipError_tPvRmT2_T3_T4_T5_mT6_T7_P12ihipStream_tbENKUlT_T0_E_clISt17integral_constantIbLb0EES11_EEDaSW_SX_EUlSW_E_NS1_11comp_targetILNS1_3genE10ELNS1_11target_archE1201ELNS1_3gpuE5ELNS1_3repE0EEENS1_30default_config_static_selectorELNS0_4arch9wavefront6targetE1EEEvT1_,comdat
	.protected	_ZN7rocprim17ROCPRIM_400000_NS6detail17trampoline_kernelINS0_14default_configENS1_27scan_by_key_config_selectorIifEEZZNS1_16scan_by_key_implILNS1_25lookback_scan_determinismE0ELb1ES3_N6thrust23THRUST_200600_302600_NS6detail15normal_iteratorINS9_10device_ptrIiEEEENSB_INSC_IfEEEESG_fNS9_4plusIvEENS9_8equal_toIvEEfEE10hipError_tPvRmT2_T3_T4_T5_mT6_T7_P12ihipStream_tbENKUlT_T0_E_clISt17integral_constantIbLb0EES11_EEDaSW_SX_EUlSW_E_NS1_11comp_targetILNS1_3genE10ELNS1_11target_archE1201ELNS1_3gpuE5ELNS1_3repE0EEENS1_30default_config_static_selectorELNS0_4arch9wavefront6targetE1EEEvT1_ ; -- Begin function _ZN7rocprim17ROCPRIM_400000_NS6detail17trampoline_kernelINS0_14default_configENS1_27scan_by_key_config_selectorIifEEZZNS1_16scan_by_key_implILNS1_25lookback_scan_determinismE0ELb1ES3_N6thrust23THRUST_200600_302600_NS6detail15normal_iteratorINS9_10device_ptrIiEEEENSB_INSC_IfEEEESG_fNS9_4plusIvEENS9_8equal_toIvEEfEE10hipError_tPvRmT2_T3_T4_T5_mT6_T7_P12ihipStream_tbENKUlT_T0_E_clISt17integral_constantIbLb0EES11_EEDaSW_SX_EUlSW_E_NS1_11comp_targetILNS1_3genE10ELNS1_11target_archE1201ELNS1_3gpuE5ELNS1_3repE0EEENS1_30default_config_static_selectorELNS0_4arch9wavefront6targetE1EEEvT1_
	.globl	_ZN7rocprim17ROCPRIM_400000_NS6detail17trampoline_kernelINS0_14default_configENS1_27scan_by_key_config_selectorIifEEZZNS1_16scan_by_key_implILNS1_25lookback_scan_determinismE0ELb1ES3_N6thrust23THRUST_200600_302600_NS6detail15normal_iteratorINS9_10device_ptrIiEEEENSB_INSC_IfEEEESG_fNS9_4plusIvEENS9_8equal_toIvEEfEE10hipError_tPvRmT2_T3_T4_T5_mT6_T7_P12ihipStream_tbENKUlT_T0_E_clISt17integral_constantIbLb0EES11_EEDaSW_SX_EUlSW_E_NS1_11comp_targetILNS1_3genE10ELNS1_11target_archE1201ELNS1_3gpuE5ELNS1_3repE0EEENS1_30default_config_static_selectorELNS0_4arch9wavefront6targetE1EEEvT1_
	.p2align	8
	.type	_ZN7rocprim17ROCPRIM_400000_NS6detail17trampoline_kernelINS0_14default_configENS1_27scan_by_key_config_selectorIifEEZZNS1_16scan_by_key_implILNS1_25lookback_scan_determinismE0ELb1ES3_N6thrust23THRUST_200600_302600_NS6detail15normal_iteratorINS9_10device_ptrIiEEEENSB_INSC_IfEEEESG_fNS9_4plusIvEENS9_8equal_toIvEEfEE10hipError_tPvRmT2_T3_T4_T5_mT6_T7_P12ihipStream_tbENKUlT_T0_E_clISt17integral_constantIbLb0EES11_EEDaSW_SX_EUlSW_E_NS1_11comp_targetILNS1_3genE10ELNS1_11target_archE1201ELNS1_3gpuE5ELNS1_3repE0EEENS1_30default_config_static_selectorELNS0_4arch9wavefront6targetE1EEEvT1_,@function
_ZN7rocprim17ROCPRIM_400000_NS6detail17trampoline_kernelINS0_14default_configENS1_27scan_by_key_config_selectorIifEEZZNS1_16scan_by_key_implILNS1_25lookback_scan_determinismE0ELb1ES3_N6thrust23THRUST_200600_302600_NS6detail15normal_iteratorINS9_10device_ptrIiEEEENSB_INSC_IfEEEESG_fNS9_4plusIvEENS9_8equal_toIvEEfEE10hipError_tPvRmT2_T3_T4_T5_mT6_T7_P12ihipStream_tbENKUlT_T0_E_clISt17integral_constantIbLb0EES11_EEDaSW_SX_EUlSW_E_NS1_11comp_targetILNS1_3genE10ELNS1_11target_archE1201ELNS1_3gpuE5ELNS1_3repE0EEENS1_30default_config_static_selectorELNS0_4arch9wavefront6targetE1EEEvT1_: ; @_ZN7rocprim17ROCPRIM_400000_NS6detail17trampoline_kernelINS0_14default_configENS1_27scan_by_key_config_selectorIifEEZZNS1_16scan_by_key_implILNS1_25lookback_scan_determinismE0ELb1ES3_N6thrust23THRUST_200600_302600_NS6detail15normal_iteratorINS9_10device_ptrIiEEEENSB_INSC_IfEEEESG_fNS9_4plusIvEENS9_8equal_toIvEEfEE10hipError_tPvRmT2_T3_T4_T5_mT6_T7_P12ihipStream_tbENKUlT_T0_E_clISt17integral_constantIbLb0EES11_EEDaSW_SX_EUlSW_E_NS1_11comp_targetILNS1_3genE10ELNS1_11target_archE1201ELNS1_3gpuE5ELNS1_3repE0EEENS1_30default_config_static_selectorELNS0_4arch9wavefront6targetE1EEEvT1_
; %bb.0:
	.section	.rodata,"a",@progbits
	.p2align	6, 0x0
	.amdhsa_kernel _ZN7rocprim17ROCPRIM_400000_NS6detail17trampoline_kernelINS0_14default_configENS1_27scan_by_key_config_selectorIifEEZZNS1_16scan_by_key_implILNS1_25lookback_scan_determinismE0ELb1ES3_N6thrust23THRUST_200600_302600_NS6detail15normal_iteratorINS9_10device_ptrIiEEEENSB_INSC_IfEEEESG_fNS9_4plusIvEENS9_8equal_toIvEEfEE10hipError_tPvRmT2_T3_T4_T5_mT6_T7_P12ihipStream_tbENKUlT_T0_E_clISt17integral_constantIbLb0EES11_EEDaSW_SX_EUlSW_E_NS1_11comp_targetILNS1_3genE10ELNS1_11target_archE1201ELNS1_3gpuE5ELNS1_3repE0EEENS1_30default_config_static_selectorELNS0_4arch9wavefront6targetE1EEEvT1_
		.amdhsa_group_segment_fixed_size 0
		.amdhsa_private_segment_fixed_size 0
		.amdhsa_kernarg_size 112
		.amdhsa_user_sgpr_count 2
		.amdhsa_user_sgpr_dispatch_ptr 0
		.amdhsa_user_sgpr_queue_ptr 0
		.amdhsa_user_sgpr_kernarg_segment_ptr 1
		.amdhsa_user_sgpr_dispatch_id 0
		.amdhsa_user_sgpr_kernarg_preload_length 0
		.amdhsa_user_sgpr_kernarg_preload_offset 0
		.amdhsa_user_sgpr_private_segment_size 0
		.amdhsa_uses_dynamic_stack 0
		.amdhsa_enable_private_segment 0
		.amdhsa_system_sgpr_workgroup_id_x 1
		.amdhsa_system_sgpr_workgroup_id_y 0
		.amdhsa_system_sgpr_workgroup_id_z 0
		.amdhsa_system_sgpr_workgroup_info 0
		.amdhsa_system_vgpr_workitem_id 0
		.amdhsa_next_free_vgpr 1
		.amdhsa_next_free_sgpr 0
		.amdhsa_accum_offset 4
		.amdhsa_reserve_vcc 0
		.amdhsa_float_round_mode_32 0
		.amdhsa_float_round_mode_16_64 0
		.amdhsa_float_denorm_mode_32 3
		.amdhsa_float_denorm_mode_16_64 3
		.amdhsa_dx10_clamp 1
		.amdhsa_ieee_mode 1
		.amdhsa_fp16_overflow 0
		.amdhsa_tg_split 0
		.amdhsa_exception_fp_ieee_invalid_op 0
		.amdhsa_exception_fp_denorm_src 0
		.amdhsa_exception_fp_ieee_div_zero 0
		.amdhsa_exception_fp_ieee_overflow 0
		.amdhsa_exception_fp_ieee_underflow 0
		.amdhsa_exception_fp_ieee_inexact 0
		.amdhsa_exception_int_div_zero 0
	.end_amdhsa_kernel
	.section	.text._ZN7rocprim17ROCPRIM_400000_NS6detail17trampoline_kernelINS0_14default_configENS1_27scan_by_key_config_selectorIifEEZZNS1_16scan_by_key_implILNS1_25lookback_scan_determinismE0ELb1ES3_N6thrust23THRUST_200600_302600_NS6detail15normal_iteratorINS9_10device_ptrIiEEEENSB_INSC_IfEEEESG_fNS9_4plusIvEENS9_8equal_toIvEEfEE10hipError_tPvRmT2_T3_T4_T5_mT6_T7_P12ihipStream_tbENKUlT_T0_E_clISt17integral_constantIbLb0EES11_EEDaSW_SX_EUlSW_E_NS1_11comp_targetILNS1_3genE10ELNS1_11target_archE1201ELNS1_3gpuE5ELNS1_3repE0EEENS1_30default_config_static_selectorELNS0_4arch9wavefront6targetE1EEEvT1_,"axG",@progbits,_ZN7rocprim17ROCPRIM_400000_NS6detail17trampoline_kernelINS0_14default_configENS1_27scan_by_key_config_selectorIifEEZZNS1_16scan_by_key_implILNS1_25lookback_scan_determinismE0ELb1ES3_N6thrust23THRUST_200600_302600_NS6detail15normal_iteratorINS9_10device_ptrIiEEEENSB_INSC_IfEEEESG_fNS9_4plusIvEENS9_8equal_toIvEEfEE10hipError_tPvRmT2_T3_T4_T5_mT6_T7_P12ihipStream_tbENKUlT_T0_E_clISt17integral_constantIbLb0EES11_EEDaSW_SX_EUlSW_E_NS1_11comp_targetILNS1_3genE10ELNS1_11target_archE1201ELNS1_3gpuE5ELNS1_3repE0EEENS1_30default_config_static_selectorELNS0_4arch9wavefront6targetE1EEEvT1_,comdat
.Lfunc_end1428:
	.size	_ZN7rocprim17ROCPRIM_400000_NS6detail17trampoline_kernelINS0_14default_configENS1_27scan_by_key_config_selectorIifEEZZNS1_16scan_by_key_implILNS1_25lookback_scan_determinismE0ELb1ES3_N6thrust23THRUST_200600_302600_NS6detail15normal_iteratorINS9_10device_ptrIiEEEENSB_INSC_IfEEEESG_fNS9_4plusIvEENS9_8equal_toIvEEfEE10hipError_tPvRmT2_T3_T4_T5_mT6_T7_P12ihipStream_tbENKUlT_T0_E_clISt17integral_constantIbLb0EES11_EEDaSW_SX_EUlSW_E_NS1_11comp_targetILNS1_3genE10ELNS1_11target_archE1201ELNS1_3gpuE5ELNS1_3repE0EEENS1_30default_config_static_selectorELNS0_4arch9wavefront6targetE1EEEvT1_, .Lfunc_end1428-_ZN7rocprim17ROCPRIM_400000_NS6detail17trampoline_kernelINS0_14default_configENS1_27scan_by_key_config_selectorIifEEZZNS1_16scan_by_key_implILNS1_25lookback_scan_determinismE0ELb1ES3_N6thrust23THRUST_200600_302600_NS6detail15normal_iteratorINS9_10device_ptrIiEEEENSB_INSC_IfEEEESG_fNS9_4plusIvEENS9_8equal_toIvEEfEE10hipError_tPvRmT2_T3_T4_T5_mT6_T7_P12ihipStream_tbENKUlT_T0_E_clISt17integral_constantIbLb0EES11_EEDaSW_SX_EUlSW_E_NS1_11comp_targetILNS1_3genE10ELNS1_11target_archE1201ELNS1_3gpuE5ELNS1_3repE0EEENS1_30default_config_static_selectorELNS0_4arch9wavefront6targetE1EEEvT1_
                                        ; -- End function
	.section	.AMDGPU.csdata,"",@progbits
; Kernel info:
; codeLenInByte = 0
; NumSgprs: 6
; NumVgprs: 0
; NumAgprs: 0
; TotalNumVgprs: 0
; ScratchSize: 0
; MemoryBound: 0
; FloatMode: 240
; IeeeMode: 1
; LDSByteSize: 0 bytes/workgroup (compile time only)
; SGPRBlocks: 0
; VGPRBlocks: 0
; NumSGPRsForWavesPerEU: 6
; NumVGPRsForWavesPerEU: 1
; AccumOffset: 4
; Occupancy: 8
; WaveLimiterHint : 0
; COMPUTE_PGM_RSRC2:SCRATCH_EN: 0
; COMPUTE_PGM_RSRC2:USER_SGPR: 2
; COMPUTE_PGM_RSRC2:TRAP_HANDLER: 0
; COMPUTE_PGM_RSRC2:TGID_X_EN: 1
; COMPUTE_PGM_RSRC2:TGID_Y_EN: 0
; COMPUTE_PGM_RSRC2:TGID_Z_EN: 0
; COMPUTE_PGM_RSRC2:TIDIG_COMP_CNT: 0
; COMPUTE_PGM_RSRC3_GFX90A:ACCUM_OFFSET: 0
; COMPUTE_PGM_RSRC3_GFX90A:TG_SPLIT: 0
	.section	.text._ZN7rocprim17ROCPRIM_400000_NS6detail17trampoline_kernelINS0_14default_configENS1_27scan_by_key_config_selectorIifEEZZNS1_16scan_by_key_implILNS1_25lookback_scan_determinismE0ELb1ES3_N6thrust23THRUST_200600_302600_NS6detail15normal_iteratorINS9_10device_ptrIiEEEENSB_INSC_IfEEEESG_fNS9_4plusIvEENS9_8equal_toIvEEfEE10hipError_tPvRmT2_T3_T4_T5_mT6_T7_P12ihipStream_tbENKUlT_T0_E_clISt17integral_constantIbLb0EES11_EEDaSW_SX_EUlSW_E_NS1_11comp_targetILNS1_3genE5ELNS1_11target_archE942ELNS1_3gpuE9ELNS1_3repE0EEENS1_30default_config_static_selectorELNS0_4arch9wavefront6targetE1EEEvT1_,"axG",@progbits,_ZN7rocprim17ROCPRIM_400000_NS6detail17trampoline_kernelINS0_14default_configENS1_27scan_by_key_config_selectorIifEEZZNS1_16scan_by_key_implILNS1_25lookback_scan_determinismE0ELb1ES3_N6thrust23THRUST_200600_302600_NS6detail15normal_iteratorINS9_10device_ptrIiEEEENSB_INSC_IfEEEESG_fNS9_4plusIvEENS9_8equal_toIvEEfEE10hipError_tPvRmT2_T3_T4_T5_mT6_T7_P12ihipStream_tbENKUlT_T0_E_clISt17integral_constantIbLb0EES11_EEDaSW_SX_EUlSW_E_NS1_11comp_targetILNS1_3genE5ELNS1_11target_archE942ELNS1_3gpuE9ELNS1_3repE0EEENS1_30default_config_static_selectorELNS0_4arch9wavefront6targetE1EEEvT1_,comdat
	.protected	_ZN7rocprim17ROCPRIM_400000_NS6detail17trampoline_kernelINS0_14default_configENS1_27scan_by_key_config_selectorIifEEZZNS1_16scan_by_key_implILNS1_25lookback_scan_determinismE0ELb1ES3_N6thrust23THRUST_200600_302600_NS6detail15normal_iteratorINS9_10device_ptrIiEEEENSB_INSC_IfEEEESG_fNS9_4plusIvEENS9_8equal_toIvEEfEE10hipError_tPvRmT2_T3_T4_T5_mT6_T7_P12ihipStream_tbENKUlT_T0_E_clISt17integral_constantIbLb0EES11_EEDaSW_SX_EUlSW_E_NS1_11comp_targetILNS1_3genE5ELNS1_11target_archE942ELNS1_3gpuE9ELNS1_3repE0EEENS1_30default_config_static_selectorELNS0_4arch9wavefront6targetE1EEEvT1_ ; -- Begin function _ZN7rocprim17ROCPRIM_400000_NS6detail17trampoline_kernelINS0_14default_configENS1_27scan_by_key_config_selectorIifEEZZNS1_16scan_by_key_implILNS1_25lookback_scan_determinismE0ELb1ES3_N6thrust23THRUST_200600_302600_NS6detail15normal_iteratorINS9_10device_ptrIiEEEENSB_INSC_IfEEEESG_fNS9_4plusIvEENS9_8equal_toIvEEfEE10hipError_tPvRmT2_T3_T4_T5_mT6_T7_P12ihipStream_tbENKUlT_T0_E_clISt17integral_constantIbLb0EES11_EEDaSW_SX_EUlSW_E_NS1_11comp_targetILNS1_3genE5ELNS1_11target_archE942ELNS1_3gpuE9ELNS1_3repE0EEENS1_30default_config_static_selectorELNS0_4arch9wavefront6targetE1EEEvT1_
	.globl	_ZN7rocprim17ROCPRIM_400000_NS6detail17trampoline_kernelINS0_14default_configENS1_27scan_by_key_config_selectorIifEEZZNS1_16scan_by_key_implILNS1_25lookback_scan_determinismE0ELb1ES3_N6thrust23THRUST_200600_302600_NS6detail15normal_iteratorINS9_10device_ptrIiEEEENSB_INSC_IfEEEESG_fNS9_4plusIvEENS9_8equal_toIvEEfEE10hipError_tPvRmT2_T3_T4_T5_mT6_T7_P12ihipStream_tbENKUlT_T0_E_clISt17integral_constantIbLb0EES11_EEDaSW_SX_EUlSW_E_NS1_11comp_targetILNS1_3genE5ELNS1_11target_archE942ELNS1_3gpuE9ELNS1_3repE0EEENS1_30default_config_static_selectorELNS0_4arch9wavefront6targetE1EEEvT1_
	.p2align	8
	.type	_ZN7rocprim17ROCPRIM_400000_NS6detail17trampoline_kernelINS0_14default_configENS1_27scan_by_key_config_selectorIifEEZZNS1_16scan_by_key_implILNS1_25lookback_scan_determinismE0ELb1ES3_N6thrust23THRUST_200600_302600_NS6detail15normal_iteratorINS9_10device_ptrIiEEEENSB_INSC_IfEEEESG_fNS9_4plusIvEENS9_8equal_toIvEEfEE10hipError_tPvRmT2_T3_T4_T5_mT6_T7_P12ihipStream_tbENKUlT_T0_E_clISt17integral_constantIbLb0EES11_EEDaSW_SX_EUlSW_E_NS1_11comp_targetILNS1_3genE5ELNS1_11target_archE942ELNS1_3gpuE9ELNS1_3repE0EEENS1_30default_config_static_selectorELNS0_4arch9wavefront6targetE1EEEvT1_,@function
_ZN7rocprim17ROCPRIM_400000_NS6detail17trampoline_kernelINS0_14default_configENS1_27scan_by_key_config_selectorIifEEZZNS1_16scan_by_key_implILNS1_25lookback_scan_determinismE0ELb1ES3_N6thrust23THRUST_200600_302600_NS6detail15normal_iteratorINS9_10device_ptrIiEEEENSB_INSC_IfEEEESG_fNS9_4plusIvEENS9_8equal_toIvEEfEE10hipError_tPvRmT2_T3_T4_T5_mT6_T7_P12ihipStream_tbENKUlT_T0_E_clISt17integral_constantIbLb0EES11_EEDaSW_SX_EUlSW_E_NS1_11comp_targetILNS1_3genE5ELNS1_11target_archE942ELNS1_3gpuE9ELNS1_3repE0EEENS1_30default_config_static_selectorELNS0_4arch9wavefront6targetE1EEEvT1_: ; @_ZN7rocprim17ROCPRIM_400000_NS6detail17trampoline_kernelINS0_14default_configENS1_27scan_by_key_config_selectorIifEEZZNS1_16scan_by_key_implILNS1_25lookback_scan_determinismE0ELb1ES3_N6thrust23THRUST_200600_302600_NS6detail15normal_iteratorINS9_10device_ptrIiEEEENSB_INSC_IfEEEESG_fNS9_4plusIvEENS9_8equal_toIvEEfEE10hipError_tPvRmT2_T3_T4_T5_mT6_T7_P12ihipStream_tbENKUlT_T0_E_clISt17integral_constantIbLb0EES11_EEDaSW_SX_EUlSW_E_NS1_11comp_targetILNS1_3genE5ELNS1_11target_archE942ELNS1_3gpuE9ELNS1_3repE0EEENS1_30default_config_static_selectorELNS0_4arch9wavefront6targetE1EEEvT1_
; %bb.0:
	s_load_dwordx8 s[48:55], s[0:1], 0x0
	s_load_dword s76, s[0:1], 0x20
	s_load_dwordx4 s[56:59], s[0:1], 0x28
	s_load_dwordx2 s[66:67], s[0:1], 0x38
	s_load_dword s3, s[0:1], 0x40
	s_load_dwordx4 s[60:63], s[0:1], 0x48
	s_waitcnt lgkmcnt(0)
	s_lshl_b64 s[64:65], s[50:51], 2
	s_add_u32 s4, s48, s64
	s_addc_u32 s5, s49, s65
	s_add_u32 s6, s52, s64
	s_mul_i32 s0, s67, s3
	s_mul_hi_u32 s1, s66, s3
	s_addc_u32 s7, s53, s65
	s_add_i32 s8, s1, s0
	s_mul_i32 s0, s2, 0x1700
	s_mov_b32 s1, 0
	s_lshl_b64 s[52:53], s[0:1], 2
	s_add_u32 s70, s4, s52
	s_addc_u32 s71, s5, s53
	s_add_u32 s68, s6, s52
	s_mul_i32 s3, s66, s3
	s_addc_u32 s69, s7, s53
	s_add_u32 s0, s3, s2
	s_addc_u32 s1, s8, 0
	s_add_u32 s6, s60, -1
	s_addc_u32 s7, s61, -1
	v_mov_b64_e32 v[2:3], s[6:7]
	v_cmp_ge_u64_e64 s[0:1], s[0:1], v[2:3]
	s_mov_b64 s[4:5], -1
	s_and_b64 vcc, exec, s[0:1]
	s_mul_i32 s33, s6, 0xffffe900
	s_barrier
	s_cbranch_vccz .LBB1429_71
; %bb.1:
	v_mov_b64_e32 v[2:3], s[70:71]
	flat_load_dword v1, v[2:3]
	s_add_i32 s59, s33, s58
	v_cmp_gt_u32_e32 vcc, s59, v0
	s_waitcnt vmcnt(0) lgkmcnt(0)
	v_mov_b32_e32 v2, v1
	s_and_saveexec_b64 s[4:5], vcc
	s_cbranch_execz .LBB1429_3
; %bb.2:
	v_lshlrev_b32_e32 v2, 2, v0
	v_mov_b32_e32 v3, 0
	v_lshl_add_u64 v[2:3], s[70:71], 0, v[2:3]
	flat_load_dword v2, v[2:3]
.LBB1429_3:
	s_or_b64 exec, exec, s[4:5]
	v_or_b32_e32 v3, 0x100, v0
	v_cmp_gt_u32_e64 s[48:49], s59, v3
	v_mov_b32_e32 v3, v1
	s_and_saveexec_b64 s[4:5], s[48:49]
	s_cbranch_execz .LBB1429_5
; %bb.4:
	v_lshlrev_b32_e32 v4, 2, v0
	v_mov_b32_e32 v5, 0
	v_lshl_add_u64 v[4:5], s[70:71], 0, v[4:5]
	flat_load_dword v3, v[4:5] offset:1024
.LBB1429_5:
	s_or_b64 exec, exec, s[4:5]
	v_or_b32_e32 v4, 0x200, v0
	v_cmp_gt_u32_e64 s[4:5], s59, v4
	v_mov_b32_e32 v4, v1
	s_and_saveexec_b64 s[6:7], s[4:5]
	s_cbranch_execz .LBB1429_7
; %bb.6:
	v_lshlrev_b32_e32 v4, 2, v0
	v_mov_b32_e32 v5, 0
	v_lshl_add_u64 v[4:5], s[70:71], 0, v[4:5]
	flat_load_dword v4, v[4:5] offset:2048
.LBB1429_7:
	;; [unrolled: 12-line block ×3, first 2 shown]
	s_or_b64 exec, exec, s[8:9]
	v_or_b32_e32 v6, 0x400, v0
	v_cmp_gt_u32_e64 s[8:9], s59, v6
	v_lshlrev_b32_e32 v24, 2, v6
	v_mov_b32_e32 v6, v1
	s_and_saveexec_b64 s[10:11], s[8:9]
	s_cbranch_execz .LBB1429_11
; %bb.10:
	v_mov_b32_e32 v25, 0
	v_lshl_add_u64 v[6:7], s[70:71], 0, v[24:25]
	flat_load_dword v6, v[6:7]
.LBB1429_11:
	s_or_b64 exec, exec, s[10:11]
	v_or_b32_e32 v7, 0x500, v0
	v_cmp_gt_u32_e64 s[10:11], s59, v7
	v_lshlrev_b32_e32 v26, 2, v7
	v_mov_b32_e32 v7, v1
	s_and_saveexec_b64 s[12:13], s[10:11]
	s_cbranch_execz .LBB1429_13
; %bb.12:
	v_mov_b32_e32 v27, 0
	v_lshl_add_u64 v[8:9], s[70:71], 0, v[26:27]
	flat_load_dword v7, v[8:9]
.LBB1429_13:
	s_or_b64 exec, exec, s[12:13]
	v_or_b32_e32 v8, 0x600, v0
	v_cmp_gt_u32_e64 s[12:13], s59, v8
	v_lshlrev_b32_e32 v28, 2, v8
	v_mov_b32_e32 v8, v1
	s_and_saveexec_b64 s[14:15], s[12:13]
	s_cbranch_execz .LBB1429_15
; %bb.14:
	v_mov_b32_e32 v29, 0
	v_lshl_add_u64 v[8:9], s[70:71], 0, v[28:29]
	flat_load_dword v8, v[8:9]
.LBB1429_15:
	s_or_b64 exec, exec, s[14:15]
	v_or_b32_e32 v9, 0x700, v0
	v_cmp_gt_u32_e64 s[14:15], s59, v9
	v_lshlrev_b32_e32 v30, 2, v9
	v_mov_b32_e32 v9, v1
	s_and_saveexec_b64 s[16:17], s[14:15]
	s_cbranch_execz .LBB1429_17
; %bb.16:
	v_mov_b32_e32 v31, 0
	v_lshl_add_u64 v[10:11], s[70:71], 0, v[30:31]
	flat_load_dword v9, v[10:11]
.LBB1429_17:
	s_or_b64 exec, exec, s[16:17]
	v_or_b32_e32 v10, 0x800, v0
	v_cmp_gt_u32_e64 s[16:17], s59, v10
	v_lshlrev_b32_e32 v32, 2, v10
	v_mov_b32_e32 v10, v1
	s_and_saveexec_b64 s[18:19], s[16:17]
	s_cbranch_execz .LBB1429_19
; %bb.18:
	v_mov_b32_e32 v33, 0
	v_lshl_add_u64 v[10:11], s[70:71], 0, v[32:33]
	flat_load_dword v10, v[10:11]
.LBB1429_19:
	s_or_b64 exec, exec, s[18:19]
	v_or_b32_e32 v11, 0x900, v0
	v_cmp_gt_u32_e64 s[18:19], s59, v11
	v_lshlrev_b32_e32 v34, 2, v11
	v_mov_b32_e32 v11, v1
	s_and_saveexec_b64 s[20:21], s[18:19]
	s_cbranch_execz .LBB1429_21
; %bb.20:
	v_mov_b32_e32 v35, 0
	v_lshl_add_u64 v[12:13], s[70:71], 0, v[34:35]
	flat_load_dword v11, v[12:13]
.LBB1429_21:
	s_or_b64 exec, exec, s[20:21]
	v_or_b32_e32 v12, 0xa00, v0
	v_cmp_gt_u32_e64 s[20:21], s59, v12
	v_lshlrev_b32_e32 v36, 2, v12
	v_mov_b32_e32 v12, v1
	s_and_saveexec_b64 s[22:23], s[20:21]
	s_cbranch_execz .LBB1429_23
; %bb.22:
	v_mov_b32_e32 v37, 0
	v_lshl_add_u64 v[12:13], s[70:71], 0, v[36:37]
	flat_load_dword v12, v[12:13]
.LBB1429_23:
	s_or_b64 exec, exec, s[22:23]
	v_or_b32_e32 v13, 0xb00, v0
	v_cmp_gt_u32_e64 s[22:23], s59, v13
	v_lshlrev_b32_e32 v38, 2, v13
	v_mov_b32_e32 v13, v1
	s_and_saveexec_b64 s[24:25], s[22:23]
	s_cbranch_execz .LBB1429_25
; %bb.24:
	v_mov_b32_e32 v39, 0
	v_lshl_add_u64 v[14:15], s[70:71], 0, v[38:39]
	flat_load_dword v13, v[14:15]
.LBB1429_25:
	s_or_b64 exec, exec, s[24:25]
	v_or_b32_e32 v14, 0xc00, v0
	v_cmp_gt_u32_e64 s[24:25], s59, v14
	v_lshlrev_b32_e32 v40, 2, v14
	v_mov_b32_e32 v14, v1
	s_and_saveexec_b64 s[26:27], s[24:25]
	s_cbranch_execz .LBB1429_27
; %bb.26:
	v_mov_b32_e32 v41, 0
	v_lshl_add_u64 v[14:15], s[70:71], 0, v[40:41]
	flat_load_dword v14, v[14:15]
.LBB1429_27:
	s_or_b64 exec, exec, s[26:27]
	v_or_b32_e32 v15, 0xd00, v0
	v_cmp_gt_u32_e64 s[26:27], s59, v15
	v_lshlrev_b32_e32 v42, 2, v15
	v_mov_b32_e32 v15, v1
	s_and_saveexec_b64 s[28:29], s[26:27]
	s_cbranch_execz .LBB1429_29
; %bb.28:
	v_mov_b32_e32 v43, 0
	v_lshl_add_u64 v[16:17], s[70:71], 0, v[42:43]
	flat_load_dword v15, v[16:17]
.LBB1429_29:
	s_or_b64 exec, exec, s[28:29]
	v_or_b32_e32 v16, 0xe00, v0
	v_cmp_gt_u32_e64 s[28:29], s59, v16
	v_lshlrev_b32_e32 v44, 2, v16
	v_mov_b32_e32 v16, v1
	s_and_saveexec_b64 s[30:31], s[28:29]
	s_cbranch_execz .LBB1429_31
; %bb.30:
	v_mov_b32_e32 v45, 0
	v_lshl_add_u64 v[16:17], s[70:71], 0, v[44:45]
	flat_load_dword v16, v[16:17]
.LBB1429_31:
	s_or_b64 exec, exec, s[30:31]
	v_or_b32_e32 v17, 0xf00, v0
	v_cmp_gt_u32_e64 s[30:31], s59, v17
	v_lshlrev_b32_e32 v46, 2, v17
	v_mov_b32_e32 v17, v1
	s_and_saveexec_b64 s[34:35], s[30:31]
	s_cbranch_execz .LBB1429_33
; %bb.32:
	v_mov_b32_e32 v47, 0
	v_lshl_add_u64 v[18:19], s[70:71], 0, v[46:47]
	flat_load_dword v17, v[18:19]
.LBB1429_33:
	s_or_b64 exec, exec, s[34:35]
	v_or_b32_e32 v18, 0x1000, v0
	v_cmp_gt_u32_e64 s[34:35], s59, v18
	v_lshlrev_b32_e32 v48, 2, v18
	v_mov_b32_e32 v18, v1
	s_and_saveexec_b64 s[36:37], s[34:35]
	s_cbranch_execz .LBB1429_35
; %bb.34:
	v_mov_b32_e32 v49, 0
	v_lshl_add_u64 v[18:19], s[70:71], 0, v[48:49]
	flat_load_dword v18, v[18:19]
.LBB1429_35:
	s_or_b64 exec, exec, s[36:37]
	v_or_b32_e32 v19, 0x1100, v0
	v_cmp_gt_u32_e64 s[36:37], s59, v19
	v_lshlrev_b32_e32 v50, 2, v19
	v_mov_b32_e32 v19, v1
	s_and_saveexec_b64 s[38:39], s[36:37]
	s_cbranch_execz .LBB1429_37
; %bb.36:
	v_mov_b32_e32 v51, 0
	v_lshl_add_u64 v[20:21], s[70:71], 0, v[50:51]
	flat_load_dword v19, v[20:21]
.LBB1429_37:
	s_or_b64 exec, exec, s[38:39]
	v_or_b32_e32 v20, 0x1200, v0
	v_cmp_gt_u32_e64 s[38:39], s59, v20
	v_lshlrev_b32_e32 v52, 2, v20
	v_mov_b32_e32 v20, v1
	s_and_saveexec_b64 s[40:41], s[38:39]
	s_cbranch_execz .LBB1429_39
; %bb.38:
	v_mov_b32_e32 v53, 0
	v_lshl_add_u64 v[20:21], s[70:71], 0, v[52:53]
	flat_load_dword v20, v[20:21]
.LBB1429_39:
	s_or_b64 exec, exec, s[40:41]
	v_or_b32_e32 v21, 0x1300, v0
	v_cmp_gt_u32_e64 s[40:41], s59, v21
	v_lshlrev_b32_e32 v54, 2, v21
	v_mov_b32_e32 v21, v1
	s_and_saveexec_b64 s[42:43], s[40:41]
	s_cbranch_execz .LBB1429_41
; %bb.40:
	v_mov_b32_e32 v55, 0
	v_lshl_add_u64 v[22:23], s[70:71], 0, v[54:55]
	flat_load_dword v21, v[22:23]
.LBB1429_41:
	s_or_b64 exec, exec, s[42:43]
	v_or_b32_e32 v22, 0x1400, v0
	v_cmp_gt_u32_e64 s[42:43], s59, v22
	v_lshlrev_b32_e32 v56, 2, v22
	v_mov_b32_e32 v22, v1
	s_and_saveexec_b64 s[44:45], s[42:43]
	s_cbranch_execz .LBB1429_43
; %bb.42:
	v_mov_b32_e32 v57, 0
	v_lshl_add_u64 v[22:23], s[70:71], 0, v[56:57]
	flat_load_dword v22, v[22:23]
.LBB1429_43:
	s_or_b64 exec, exec, s[44:45]
	v_or_b32_e32 v23, 0x1500, v0
	v_cmp_gt_u32_e64 s[44:45], s59, v23
	v_lshlrev_b32_e32 v58, 2, v23
	v_mov_b32_e32 v23, v1
	s_and_saveexec_b64 s[46:47], s[44:45]
	s_cbranch_execz .LBB1429_45
; %bb.44:
	v_mov_b32_e32 v59, 0
	v_lshl_add_u64 v[60:61], s[70:71], 0, v[58:59]
	flat_load_dword v23, v[60:61]
.LBB1429_45:
	s_or_b64 exec, exec, s[46:47]
	v_or_b32_e32 v25, 0x1600, v0
	v_cmp_gt_u32_e64 s[46:47], s59, v25
	v_lshlrev_b32_e32 v60, 2, v25
	s_and_saveexec_b64 s[50:51], s[46:47]
	s_cbranch_execz .LBB1429_47
; %bb.46:
	v_mov_b32_e32 v61, 0
	v_lshl_add_u64 v[62:63], s[70:71], 0, v[60:61]
	flat_load_dword v1, v[62:63]
.LBB1429_47:
	s_or_b64 exec, exec, s[50:51]
	v_lshlrev_b32_e32 v62, 2, v0
	s_waitcnt vmcnt(0) lgkmcnt(0)
	ds_write2st64_b32 v62, v2, v3 offset1:4
	ds_write2st64_b32 v62, v4, v5 offset0:8 offset1:12
	ds_write2st64_b32 v62, v6, v7 offset0:16 offset1:20
	;; [unrolled: 1-line block ×10, first 2 shown]
	ds_write_b32 v62, v1 offset:22528
	v_mov_b64_e32 v[2:3], s[70:71]
	s_waitcnt lgkmcnt(0)
	s_barrier
	flat_load_dword v70, v[2:3]
	s_movk_i32 s3, 0x58
	v_mad_u32_u24 v71, v0, s3, v62
	s_movk_i32 s3, 0xffa8
	v_mad_i32_i24 v1, v0, s3, v71
	s_movk_i32 s3, 0xff
	v_cmp_ne_u32_e64 s[50:51], s3, v0
	ds_read_b32 v72, v71
	ds_read2_b32 v[22:23], v71 offset0:1 offset1:2
	ds_read2_b32 v[20:21], v71 offset0:3 offset1:4
	;; [unrolled: 1-line block ×11, first 2 shown]
	s_waitcnt lgkmcnt(0)
	ds_write_b32 v1, v72 offset:24576
	s_waitcnt lgkmcnt(0)
	s_barrier
	s_and_saveexec_b64 s[60:61], s[50:51]
	s_cbranch_execz .LBB1429_49
; %bb.48:
	s_waitcnt vmcnt(0)
	ds_read_b32 v70, v62 offset:24580
.LBB1429_49:
	s_or_b64 exec, exec, s[60:61]
	v_mov_b32_e32 v63, 0
	s_waitcnt lgkmcnt(0)
	s_barrier
	s_waitcnt lgkmcnt(0)
                                        ; implicit-def: $vgpr1
	s_and_saveexec_b64 s[50:51], vcc
	s_cbranch_execz .LBB1429_72
; %bb.50:
	v_lshl_add_u64 v[64:65], s[68:69], 0, v[62:63]
	flat_load_dword v1, v[64:65]
	s_or_b64 exec, exec, s[50:51]
                                        ; implicit-def: $vgpr64
	s_and_saveexec_b64 s[50:51], s[48:49]
	s_cbranch_execnz .LBB1429_73
.LBB1429_51:
	s_or_b64 exec, exec, s[50:51]
                                        ; implicit-def: $vgpr65
	s_and_saveexec_b64 s[48:49], s[4:5]
	s_cbranch_execz .LBB1429_74
.LBB1429_52:
	v_mov_b32_e32 v63, 0
	v_lshl_add_u64 v[66:67], s[68:69], 0, v[62:63]
	flat_load_dword v65, v[66:67] offset:2048
	s_or_b64 exec, exec, s[48:49]
                                        ; implicit-def: $vgpr63
	s_and_saveexec_b64 s[4:5], s[6:7]
	s_cbranch_execnz .LBB1429_75
.LBB1429_53:
	s_or_b64 exec, exec, s[4:5]
                                        ; implicit-def: $vgpr25
	s_and_saveexec_b64 s[4:5], s[8:9]
	s_cbranch_execz .LBB1429_76
.LBB1429_54:
	v_mov_b32_e32 v25, 0
	v_lshl_add_u64 v[24:25], s[68:69], 0, v[24:25]
	flat_load_dword v25, v[24:25]
	s_or_b64 exec, exec, s[4:5]
                                        ; implicit-def: $vgpr24
	s_and_saveexec_b64 s[4:5], s[10:11]
	s_cbranch_execnz .LBB1429_77
.LBB1429_55:
	s_or_b64 exec, exec, s[4:5]
                                        ; implicit-def: $vgpr26
	s_and_saveexec_b64 s[4:5], s[12:13]
	s_cbranch_execz .LBB1429_78
.LBB1429_56:
	v_mov_b32_e32 v29, 0
	v_lshl_add_u64 v[26:27], s[68:69], 0, v[28:29]
	flat_load_dword v26, v[26:27]
	s_or_b64 exec, exec, s[4:5]
                                        ; implicit-def: $vgpr27
	s_and_saveexec_b64 s[4:5], s[14:15]
	s_cbranch_execnz .LBB1429_79
.LBB1429_57:
	s_or_b64 exec, exec, s[4:5]
                                        ; implicit-def: $vgpr28
	s_and_saveexec_b64 s[4:5], s[16:17]
	s_cbranch_execz .LBB1429_80
.LBB1429_58:
	v_mov_b32_e32 v33, 0
	v_lshl_add_u64 v[28:29], s[68:69], 0, v[32:33]
	flat_load_dword v28, v[28:29]
	s_or_b64 exec, exec, s[4:5]
                                        ; implicit-def: $vgpr29
	s_and_saveexec_b64 s[4:5], s[18:19]
	s_cbranch_execnz .LBB1429_81
.LBB1429_59:
	s_or_b64 exec, exec, s[4:5]
                                        ; implicit-def: $vgpr30
	s_and_saveexec_b64 s[4:5], s[20:21]
	s_cbranch_execz .LBB1429_82
.LBB1429_60:
	v_mov_b32_e32 v37, 0
	v_lshl_add_u64 v[30:31], s[68:69], 0, v[36:37]
	flat_load_dword v30, v[30:31]
	s_or_b64 exec, exec, s[4:5]
                                        ; implicit-def: $vgpr31
	s_and_saveexec_b64 s[4:5], s[22:23]
	s_cbranch_execnz .LBB1429_83
.LBB1429_61:
	s_or_b64 exec, exec, s[4:5]
                                        ; implicit-def: $vgpr32
	s_and_saveexec_b64 s[4:5], s[24:25]
	s_cbranch_execz .LBB1429_84
.LBB1429_62:
	v_mov_b32_e32 v41, 0
	v_lshl_add_u64 v[32:33], s[68:69], 0, v[40:41]
	flat_load_dword v32, v[32:33]
	s_or_b64 exec, exec, s[4:5]
                                        ; implicit-def: $vgpr33
	s_and_saveexec_b64 s[4:5], s[26:27]
	s_cbranch_execnz .LBB1429_85
.LBB1429_63:
	s_or_b64 exec, exec, s[4:5]
                                        ; implicit-def: $vgpr34
	s_and_saveexec_b64 s[4:5], s[28:29]
	s_cbranch_execz .LBB1429_86
.LBB1429_64:
	v_mov_b32_e32 v45, 0
	v_lshl_add_u64 v[34:35], s[68:69], 0, v[44:45]
	flat_load_dword v34, v[34:35]
	s_or_b64 exec, exec, s[4:5]
                                        ; implicit-def: $vgpr35
	s_and_saveexec_b64 s[4:5], s[30:31]
	s_cbranch_execnz .LBB1429_87
.LBB1429_65:
	s_or_b64 exec, exec, s[4:5]
                                        ; implicit-def: $vgpr36
	s_and_saveexec_b64 s[4:5], s[34:35]
	s_cbranch_execz .LBB1429_88
.LBB1429_66:
	v_mov_b32_e32 v49, 0
	v_lshl_add_u64 v[36:37], s[68:69], 0, v[48:49]
	flat_load_dword v36, v[36:37]
	s_or_b64 exec, exec, s[4:5]
                                        ; implicit-def: $vgpr37
	s_and_saveexec_b64 s[4:5], s[36:37]
	s_cbranch_execnz .LBB1429_89
.LBB1429_67:
	s_or_b64 exec, exec, s[4:5]
                                        ; implicit-def: $vgpr38
	s_and_saveexec_b64 s[4:5], s[38:39]
	s_cbranch_execz .LBB1429_90
.LBB1429_68:
	v_mov_b32_e32 v53, 0
	v_lshl_add_u64 v[38:39], s[68:69], 0, v[52:53]
	flat_load_dword v38, v[38:39]
	s_or_b64 exec, exec, s[4:5]
                                        ; implicit-def: $vgpr39
	s_and_saveexec_b64 s[4:5], s[40:41]
	s_cbranch_execnz .LBB1429_91
.LBB1429_69:
	s_or_b64 exec, exec, s[4:5]
                                        ; implicit-def: $vgpr40
	s_and_saveexec_b64 s[4:5], s[42:43]
	s_cbranch_execz .LBB1429_92
.LBB1429_70:
	v_mov_b32_e32 v57, 0
	v_lshl_add_u64 v[40:41], s[68:69], 0, v[56:57]
	flat_load_dword v40, v[40:41]
	s_or_b64 exec, exec, s[4:5]
                                        ; implicit-def: $vgpr41
	s_and_saveexec_b64 s[4:5], s[44:45]
	s_cbranch_execz .LBB1429_94
	s_branch .LBB1429_93
.LBB1429_71:
	s_mov_b64 s[10:11], 0
                                        ; implicit-def: $sgpr8_sgpr9
                                        ; implicit-def: $vgpr27
                                        ; implicit-def: $vgpr1
                                        ; implicit-def: $vgpr26
                                        ; implicit-def: $vgpr52
                                        ; implicit-def: $vgpr48
                                        ; implicit-def: $vgpr29
                                        ; implicit-def: $vgpr69
                                        ; implicit-def: $vgpr49
                                        ; implicit-def: $vgpr28
                                        ; implicit-def: $vgpr68
                                        ; implicit-def: $vgpr24
                                        ; implicit-def: $vgpr31
                                        ; implicit-def: $vgpr67
                                        ; implicit-def: $vgpr50
                                        ; implicit-def: $vgpr30
                                        ; implicit-def: $vgpr66
                                        ; implicit-def: $vgpr46
                                        ; implicit-def: $vgpr33
                                        ; implicit-def: $vgpr65
                                        ; implicit-def: $vgpr51
                                        ; implicit-def: $vgpr32
                                        ; implicit-def: $vgpr64
                                        ; implicit-def: $vgpr44
                                        ; implicit-def: $vgpr35
                                        ; implicit-def: $vgpr63
                                        ; implicit-def: $vgpr53
                                        ; implicit-def: $vgpr34
                                        ; implicit-def: $vgpr62
                                        ; implicit-def: $vgpr45
                                        ; implicit-def: $vgpr37
                                        ; implicit-def: $vgpr61
                                        ; implicit-def: $vgpr54
                                        ; implicit-def: $vgpr36
                                        ; implicit-def: $vgpr60
                                        ; implicit-def: $vgpr42
                                        ; implicit-def: $vgpr39
                                        ; implicit-def: $vgpr59
                                        ; implicit-def: $vgpr55
                                        ; implicit-def: $vgpr38
                                        ; implicit-def: $vgpr58
                                        ; implicit-def: $vgpr43
                                        ; implicit-def: $vgpr41
                                        ; implicit-def: $vgpr57
                                        ; implicit-def: $vgpr56
                                        ; implicit-def: $vgpr40
                                        ; implicit-def: $sgpr6
                                        ; implicit-def: $sgpr3
	s_and_b64 vcc, exec, s[4:5]
	v_lshlrev_b32_e32 v10, 2, v0
	s_cbranch_vccz .LBB1429_148
	s_branch .LBB1429_143
.LBB1429_72:
	s_or_b64 exec, exec, s[50:51]
                                        ; implicit-def: $vgpr64
	s_and_saveexec_b64 s[50:51], s[48:49]
	s_cbranch_execz .LBB1429_51
.LBB1429_73:
	v_mov_b32_e32 v63, 0
	v_lshl_add_u64 v[64:65], s[68:69], 0, v[62:63]
	flat_load_dword v64, v[64:65] offset:1024
	s_or_b64 exec, exec, s[50:51]
                                        ; implicit-def: $vgpr65
	s_and_saveexec_b64 s[48:49], s[4:5]
	s_cbranch_execnz .LBB1429_52
.LBB1429_74:
	s_or_b64 exec, exec, s[48:49]
                                        ; implicit-def: $vgpr63
	s_and_saveexec_b64 s[4:5], s[6:7]
	s_cbranch_execz .LBB1429_53
.LBB1429_75:
	v_mov_b32_e32 v63, 0
	v_lshl_add_u64 v[66:67], s[68:69], 0, v[62:63]
	flat_load_dword v63, v[66:67] offset:3072
	s_or_b64 exec, exec, s[4:5]
                                        ; implicit-def: $vgpr25
	s_and_saveexec_b64 s[4:5], s[8:9]
	s_cbranch_execnz .LBB1429_54
.LBB1429_76:
	s_or_b64 exec, exec, s[4:5]
                                        ; implicit-def: $vgpr24
	s_and_saveexec_b64 s[4:5], s[10:11]
	s_cbranch_execz .LBB1429_55
.LBB1429_77:
	v_mov_b32_e32 v27, 0
	v_lshl_add_u64 v[26:27], s[68:69], 0, v[26:27]
	flat_load_dword v24, v[26:27]
	s_or_b64 exec, exec, s[4:5]
                                        ; implicit-def: $vgpr26
	s_and_saveexec_b64 s[4:5], s[12:13]
	s_cbranch_execnz .LBB1429_56
.LBB1429_78:
	s_or_b64 exec, exec, s[4:5]
                                        ; implicit-def: $vgpr27
	s_and_saveexec_b64 s[4:5], s[14:15]
	s_cbranch_execz .LBB1429_57
.LBB1429_79:
	v_mov_b32_e32 v31, 0
	v_lshl_add_u64 v[28:29], s[68:69], 0, v[30:31]
	flat_load_dword v27, v[28:29]
	s_or_b64 exec, exec, s[4:5]
                                        ; implicit-def: $vgpr28
	s_and_saveexec_b64 s[4:5], s[16:17]
	s_cbranch_execnz .LBB1429_58
.LBB1429_80:
	s_or_b64 exec, exec, s[4:5]
                                        ; implicit-def: $vgpr29
	s_and_saveexec_b64 s[4:5], s[18:19]
	s_cbranch_execz .LBB1429_59
.LBB1429_81:
	v_mov_b32_e32 v35, 0
	v_lshl_add_u64 v[30:31], s[68:69], 0, v[34:35]
	flat_load_dword v29, v[30:31]
	s_or_b64 exec, exec, s[4:5]
                                        ; implicit-def: $vgpr30
	s_and_saveexec_b64 s[4:5], s[20:21]
	s_cbranch_execnz .LBB1429_60
.LBB1429_82:
	s_or_b64 exec, exec, s[4:5]
                                        ; implicit-def: $vgpr31
	s_and_saveexec_b64 s[4:5], s[22:23]
	s_cbranch_execz .LBB1429_61
.LBB1429_83:
	v_mov_b32_e32 v39, 0
	v_lshl_add_u64 v[32:33], s[68:69], 0, v[38:39]
	flat_load_dword v31, v[32:33]
	s_or_b64 exec, exec, s[4:5]
                                        ; implicit-def: $vgpr32
	s_and_saveexec_b64 s[4:5], s[24:25]
	s_cbranch_execnz .LBB1429_62
.LBB1429_84:
	s_or_b64 exec, exec, s[4:5]
                                        ; implicit-def: $vgpr33
	s_and_saveexec_b64 s[4:5], s[26:27]
	s_cbranch_execz .LBB1429_63
.LBB1429_85:
	v_mov_b32_e32 v43, 0
	v_lshl_add_u64 v[34:35], s[68:69], 0, v[42:43]
	flat_load_dword v33, v[34:35]
	s_or_b64 exec, exec, s[4:5]
                                        ; implicit-def: $vgpr34
	s_and_saveexec_b64 s[4:5], s[28:29]
	s_cbranch_execnz .LBB1429_64
.LBB1429_86:
	s_or_b64 exec, exec, s[4:5]
                                        ; implicit-def: $vgpr35
	s_and_saveexec_b64 s[4:5], s[30:31]
	s_cbranch_execz .LBB1429_65
.LBB1429_87:
	v_mov_b32_e32 v47, 0
	v_lshl_add_u64 v[36:37], s[68:69], 0, v[46:47]
	flat_load_dword v35, v[36:37]
	s_or_b64 exec, exec, s[4:5]
                                        ; implicit-def: $vgpr36
	s_and_saveexec_b64 s[4:5], s[34:35]
	s_cbranch_execnz .LBB1429_66
.LBB1429_88:
	s_or_b64 exec, exec, s[4:5]
                                        ; implicit-def: $vgpr37
	s_and_saveexec_b64 s[4:5], s[36:37]
	s_cbranch_execz .LBB1429_67
.LBB1429_89:
	v_mov_b32_e32 v51, 0
	v_lshl_add_u64 v[38:39], s[68:69], 0, v[50:51]
	flat_load_dword v37, v[38:39]
	s_or_b64 exec, exec, s[4:5]
                                        ; implicit-def: $vgpr38
	s_and_saveexec_b64 s[4:5], s[38:39]
	s_cbranch_execnz .LBB1429_68
.LBB1429_90:
	s_or_b64 exec, exec, s[4:5]
                                        ; implicit-def: $vgpr39
	s_and_saveexec_b64 s[4:5], s[40:41]
	s_cbranch_execz .LBB1429_69
.LBB1429_91:
	v_mov_b32_e32 v55, 0
	v_lshl_add_u64 v[40:41], s[68:69], 0, v[54:55]
	flat_load_dword v39, v[40:41]
	s_or_b64 exec, exec, s[4:5]
                                        ; implicit-def: $vgpr40
	s_and_saveexec_b64 s[4:5], s[42:43]
	s_cbranch_execnz .LBB1429_70
.LBB1429_92:
	s_or_b64 exec, exec, s[4:5]
                                        ; implicit-def: $vgpr41
	s_and_saveexec_b64 s[4:5], s[44:45]
	s_cbranch_execz .LBB1429_94
.LBB1429_93:
	v_mov_b32_e32 v59, 0
	v_lshl_add_u64 v[42:43], s[68:69], 0, v[58:59]
	flat_load_dword v41, v[42:43]
.LBB1429_94:
	s_or_b64 exec, exec, s[4:5]
	v_mul_u32_u24_e32 v47, 23, v0
                                        ; implicit-def: $vgpr42
	s_and_saveexec_b64 s[4:5], s[46:47]
	s_cbranch_execz .LBB1429_96
; %bb.95:
	v_mov_b32_e32 v61, 0
	v_lshl_add_u64 v[42:43], s[68:69], 0, v[60:61]
	flat_load_dword v42, v[42:43]
.LBB1429_96:
	s_or_b64 exec, exec, s[4:5]
	s_waitcnt vmcnt(0) lgkmcnt(0)
	ds_write2st64_b32 v62, v1, v64 offset1:4
	ds_write2st64_b32 v62, v65, v63 offset0:8 offset1:12
	ds_write2st64_b32 v62, v25, v24 offset0:16 offset1:20
	;; [unrolled: 1-line block ×10, first 2 shown]
	ds_write_b32 v62, v42 offset:22528
	v_cmp_gt_u32_e32 vcc, s59, v47
	s_mov_b64 s[4:5], 0
	s_mov_b32 s3, 0
	v_mov_b32_e32 v1, 0
	v_mov_b32_e32 v26, 0
	s_mov_b64 s[10:11], 0
	v_mov_b32_e32 v52, 0
	v_mov_b32_e32 v48, 0
	;; [unrolled: 1-line block ×42, first 2 shown]
	s_waitcnt lgkmcnt(0)
	s_barrier
	s_waitcnt lgkmcnt(0)
                                        ; implicit-def: $sgpr8_sgpr9
                                        ; implicit-def: $vgpr27
	s_and_saveexec_b64 s[6:7], vcc
	s_cbranch_execz .LBB1429_142
; %bb.97:
	ds_read_b32 v24, v71
	v_add_u32_e32 v25, 1, v47
	v_cmp_ne_u32_e32 vcc, v72, v22
	v_mov_b32_e32 v26, s76
	v_mov_b32_e32 v52, 0
	v_cndmask_b32_e64 v1, 0, 1, vcc
	s_waitcnt lgkmcnt(0)
	v_cndmask_b32_e32 v48, v24, v26, vcc
	v_cmp_gt_u32_e32 vcc, s59, v25
	v_mov_b32_e32 v26, 0
	v_mov_b32_e32 v29, 0
	;; [unrolled: 1-line block ×41, first 2 shown]
                                        ; implicit-def: $sgpr12_sgpr13
                                        ; implicit-def: $vgpr27
	s_and_saveexec_b64 s[8:9], vcc
	s_cbranch_execz .LBB1429_141
; %bb.98:
	ds_read2_b32 v[24:25], v71 offset0:1 offset1:2
	v_add_u32_e32 v26, 2, v47
	v_cmp_ne_u32_e32 vcc, v22, v23
	v_mov_b32_e32 v22, s76
	s_mov_b64 s[14:15], 0
	v_cndmask_b32_e64 v49, 0, 1, vcc
	s_waitcnt lgkmcnt(0)
	v_cndmask_b32_e32 v24, v24, v22, vcc
	v_cmp_gt_u32_e32 vcc, s59, v26
	v_mov_b32_e32 v26, 0
	v_mov_b32_e32 v52, 0
	;; [unrolled: 1-line block ×40, first 2 shown]
                                        ; implicit-def: $sgpr12_sgpr13
                                        ; implicit-def: $vgpr27
	s_and_saveexec_b64 s[10:11], vcc
	s_cbranch_execz .LBB1429_140
; %bb.99:
	v_add_u32_e32 v22, 3, v47
	v_cmp_ne_u32_e32 vcc, v23, v20
	v_mov_b32_e32 v23, s76
	v_mov_b32_e32 v26, 0
	v_cndmask_b32_e64 v50, 0, 1, vcc
	v_cndmask_b32_e32 v46, v25, v23, vcc
	v_cmp_gt_u32_e32 vcc, s59, v22
	v_mov_b32_e32 v52, 0
	v_mov_b32_e32 v29, 0
	;; [unrolled: 1-line block ×37, first 2 shown]
                                        ; implicit-def: $sgpr16_sgpr17
                                        ; implicit-def: $vgpr27
	s_and_saveexec_b64 s[12:13], vcc
	s_cbranch_execz .LBB1429_139
; %bb.100:
	ds_read2_b32 v[22:23], v71 offset0:3 offset1:4
	v_add_u32_e32 v25, 4, v47
	v_cmp_ne_u32_e32 vcc, v20, v21
	v_mov_b32_e32 v20, s76
	s_mov_b64 s[18:19], 0
	v_cndmask_b32_e64 v51, 0, 1, vcc
	s_waitcnt lgkmcnt(0)
	v_cndmask_b32_e32 v44, v22, v20, vcc
	v_cmp_gt_u32_e32 vcc, s59, v25
	v_mov_b32_e32 v26, 0
	v_mov_b32_e32 v52, 0
	;; [unrolled: 1-line block ×36, first 2 shown]
                                        ; implicit-def: $sgpr16_sgpr17
                                        ; implicit-def: $vgpr27
	s_and_saveexec_b64 s[14:15], vcc
	s_cbranch_execz .LBB1429_138
; %bb.101:
	v_add_u32_e32 v20, 5, v47
	v_cmp_ne_u32_e32 vcc, v21, v18
	v_mov_b32_e32 v21, s76
	v_mov_b32_e32 v26, 0
	v_cndmask_b32_e64 v53, 0, 1, vcc
	v_cndmask_b32_e32 v45, v23, v21, vcc
	v_cmp_gt_u32_e32 vcc, s59, v20
	v_mov_b32_e32 v52, 0
	v_mov_b32_e32 v29, 0
	;; [unrolled: 1-line block ×33, first 2 shown]
                                        ; implicit-def: $sgpr20_sgpr21
                                        ; implicit-def: $vgpr27
	s_and_saveexec_b64 s[16:17], vcc
	s_cbranch_execz .LBB1429_137
; %bb.102:
	ds_read2_b32 v[20:21], v71 offset0:5 offset1:6
	v_add_u32_e32 v22, 6, v47
	v_cmp_ne_u32_e32 vcc, v18, v19
	v_mov_b32_e32 v18, s76
	s_mov_b64 s[22:23], 0
	v_cndmask_b32_e64 v54, 0, 1, vcc
	s_waitcnt lgkmcnt(0)
	v_cndmask_b32_e32 v42, v20, v18, vcc
	v_cmp_gt_u32_e32 vcc, s59, v22
	v_mov_b32_e32 v26, 0
	v_mov_b32_e32 v52, 0
	;; [unrolled: 1-line block ×32, first 2 shown]
                                        ; implicit-def: $sgpr20_sgpr21
                                        ; implicit-def: $vgpr27
	s_and_saveexec_b64 s[18:19], vcc
	s_cbranch_execz .LBB1429_136
; %bb.103:
	v_add_u32_e32 v18, 7, v47
	v_cmp_ne_u32_e32 vcc, v19, v16
	v_mov_b32_e32 v19, s76
	v_mov_b32_e32 v26, 0
	v_cndmask_b32_e64 v55, 0, 1, vcc
	v_cndmask_b32_e32 v43, v21, v19, vcc
	v_cmp_gt_u32_e32 vcc, s59, v18
	v_mov_b32_e32 v52, 0
	v_mov_b32_e32 v29, 0
	;; [unrolled: 1-line block ×29, first 2 shown]
                                        ; implicit-def: $sgpr24_sgpr25
                                        ; implicit-def: $vgpr27
	s_and_saveexec_b64 s[20:21], vcc
	s_cbranch_execz .LBB1429_135
; %bb.104:
	ds_read2_b32 v[18:19], v71 offset0:7 offset1:8
	v_add_u32_e32 v20, 8, v47
	v_cmp_ne_u32_e32 vcc, v16, v17
	v_mov_b32_e32 v16, s76
	s_mov_b64 s[26:27], 0
	v_cndmask_b32_e64 v56, 0, 1, vcc
	s_waitcnt lgkmcnt(0)
	v_cndmask_b32_e32 v40, v18, v16, vcc
	v_cmp_gt_u32_e32 vcc, s59, v20
	v_mov_b32_e32 v26, 0
	v_mov_b32_e32 v52, 0
	;; [unrolled: 1-line block ×28, first 2 shown]
                                        ; implicit-def: $sgpr24_sgpr25
                                        ; implicit-def: $vgpr27
	s_and_saveexec_b64 s[22:23], vcc
	s_cbranch_execz .LBB1429_134
; %bb.105:
	v_add_u32_e32 v16, 9, v47
	v_cmp_ne_u32_e32 vcc, v17, v14
	v_mov_b32_e32 v17, s76
	v_mov_b32_e32 v26, 0
	v_cndmask_b32_e64 v57, 0, 1, vcc
	v_cndmask_b32_e32 v41, v19, v17, vcc
	v_cmp_gt_u32_e32 vcc, s59, v16
	v_mov_b32_e32 v52, 0
	v_mov_b32_e32 v29, 0
	;; [unrolled: 1-line block ×25, first 2 shown]
                                        ; implicit-def: $sgpr28_sgpr29
                                        ; implicit-def: $vgpr27
	s_and_saveexec_b64 s[24:25], vcc
	s_cbranch_execz .LBB1429_133
; %bb.106:
	ds_read2_b32 v[16:17], v71 offset0:9 offset1:10
	v_add_u32_e32 v18, 10, v47
	v_cmp_ne_u32_e32 vcc, v14, v15
	v_mov_b32_e32 v14, s76
	s_mov_b64 s[30:31], 0
	v_cndmask_b32_e64 v58, 0, 1, vcc
	s_waitcnt lgkmcnt(0)
	v_cndmask_b32_e32 v38, v16, v14, vcc
	v_cmp_gt_u32_e32 vcc, s59, v18
	v_mov_b32_e32 v26, 0
	v_mov_b32_e32 v52, 0
	;; [unrolled: 1-line block ×24, first 2 shown]
                                        ; implicit-def: $sgpr28_sgpr29
                                        ; implicit-def: $vgpr27
	s_and_saveexec_b64 s[26:27], vcc
	s_cbranch_execz .LBB1429_132
; %bb.107:
	v_add_u32_e32 v14, 11, v47
	v_cmp_ne_u32_e32 vcc, v15, v12
	v_mov_b32_e32 v15, s76
	v_mov_b32_e32 v26, 0
	v_cndmask_b32_e64 v59, 0, 1, vcc
	v_cndmask_b32_e32 v39, v17, v15, vcc
	v_cmp_gt_u32_e32 vcc, s59, v14
	v_mov_b32_e32 v52, 0
	v_mov_b32_e32 v29, 0
	;; [unrolled: 1-line block ×21, first 2 shown]
                                        ; implicit-def: $sgpr34_sgpr35
                                        ; implicit-def: $vgpr27
	s_and_saveexec_b64 s[28:29], vcc
	s_cbranch_execz .LBB1429_131
; %bb.108:
	ds_read2_b32 v[14:15], v71 offset0:11 offset1:12
	v_add_u32_e32 v16, 12, v47
	v_cmp_ne_u32_e32 vcc, v12, v13
	v_mov_b32_e32 v12, s76
	s_mov_b64 s[36:37], 0
	v_cndmask_b32_e64 v60, 0, 1, vcc
	s_waitcnt lgkmcnt(0)
	v_cndmask_b32_e32 v36, v14, v12, vcc
	v_cmp_gt_u32_e32 vcc, s59, v16
	v_mov_b32_e32 v26, 0
	v_mov_b32_e32 v52, 0
	;; [unrolled: 1-line block ×20, first 2 shown]
                                        ; implicit-def: $sgpr34_sgpr35
                                        ; implicit-def: $vgpr27
	s_and_saveexec_b64 s[30:31], vcc
	s_cbranch_execz .LBB1429_130
; %bb.109:
	v_add_u32_e32 v12, 13, v47
	v_cmp_ne_u32_e32 vcc, v13, v10
	v_mov_b32_e32 v13, s76
	v_mov_b32_e32 v26, 0
	v_cndmask_b32_e64 v61, 0, 1, vcc
	v_cndmask_b32_e32 v37, v15, v13, vcc
	v_cmp_gt_u32_e32 vcc, s59, v12
	v_mov_b32_e32 v52, 0
	v_mov_b32_e32 v29, 0
	;; [unrolled: 1-line block ×17, first 2 shown]
                                        ; implicit-def: $sgpr38_sgpr39
                                        ; implicit-def: $vgpr27
	s_and_saveexec_b64 s[34:35], vcc
	s_cbranch_execz .LBB1429_129
; %bb.110:
	ds_read2_b32 v[12:13], v71 offset0:13 offset1:14
	v_add_u32_e32 v14, 14, v47
	v_cmp_ne_u32_e32 vcc, v10, v11
	v_mov_b32_e32 v10, s76
	s_mov_b64 s[40:41], 0
	v_cndmask_b32_e64 v62, 0, 1, vcc
	s_waitcnt lgkmcnt(0)
	v_cndmask_b32_e32 v34, v12, v10, vcc
	v_cmp_gt_u32_e32 vcc, s59, v14
	v_mov_b32_e32 v26, 0
	v_mov_b32_e32 v52, 0
	;; [unrolled: 1-line block ×16, first 2 shown]
                                        ; implicit-def: $sgpr38_sgpr39
                                        ; implicit-def: $vgpr27
	s_and_saveexec_b64 s[36:37], vcc
	s_cbranch_execz .LBB1429_128
; %bb.111:
	v_add_u32_e32 v10, 15, v47
	v_cmp_ne_u32_e32 vcc, v11, v8
	v_mov_b32_e32 v11, s76
	v_mov_b32_e32 v26, 0
	v_cndmask_b32_e64 v63, 0, 1, vcc
	v_cndmask_b32_e32 v35, v13, v11, vcc
	v_cmp_gt_u32_e32 vcc, s59, v10
	v_mov_b32_e32 v52, 0
	v_mov_b32_e32 v29, 0
	;; [unrolled: 1-line block ×13, first 2 shown]
                                        ; implicit-def: $sgpr42_sgpr43
                                        ; implicit-def: $vgpr27
	s_and_saveexec_b64 s[38:39], vcc
	s_cbranch_execz .LBB1429_127
; %bb.112:
	ds_read2_b32 v[10:11], v71 offset0:15 offset1:16
	v_add_u32_e32 v12, 16, v47
	v_cmp_ne_u32_e32 vcc, v8, v9
	v_mov_b32_e32 v8, s76
	s_mov_b64 s[44:45], 0
	v_cndmask_b32_e64 v64, 0, 1, vcc
	s_waitcnt lgkmcnt(0)
	v_cndmask_b32_e32 v32, v10, v8, vcc
	v_cmp_gt_u32_e32 vcc, s59, v12
	v_mov_b32_e32 v26, 0
	v_mov_b32_e32 v52, 0
	;; [unrolled: 1-line block ×12, first 2 shown]
                                        ; implicit-def: $sgpr42_sgpr43
                                        ; implicit-def: $vgpr27
	s_and_saveexec_b64 s[40:41], vcc
	s_cbranch_execz .LBB1429_126
; %bb.113:
	v_add_u32_e32 v8, 17, v47
	v_cmp_ne_u32_e32 vcc, v9, v6
	v_mov_b32_e32 v9, s76
	v_mov_b32_e32 v26, 0
	v_cndmask_b32_e64 v65, 0, 1, vcc
	v_cndmask_b32_e32 v33, v11, v9, vcc
	v_cmp_gt_u32_e32 vcc, s59, v8
	v_mov_b32_e32 v52, 0
	v_mov_b32_e32 v29, 0
	;; [unrolled: 1-line block ×9, first 2 shown]
                                        ; implicit-def: $sgpr46_sgpr47
                                        ; implicit-def: $vgpr27
	s_and_saveexec_b64 s[42:43], vcc
	s_cbranch_execz .LBB1429_125
; %bb.114:
	ds_read2_b32 v[8:9], v71 offset0:17 offset1:18
	v_add_u32_e32 v10, 18, v47
	v_cmp_ne_u32_e32 vcc, v6, v7
	v_mov_b32_e32 v6, s76
	s_mov_b64 s[48:49], 0
	v_cndmask_b32_e64 v66, 0, 1, vcc
	s_waitcnt lgkmcnt(0)
	v_cndmask_b32_e32 v30, v8, v6, vcc
	v_cmp_gt_u32_e32 vcc, s59, v10
	v_mov_b32_e32 v26, 0
	v_mov_b32_e32 v52, 0
	;; [unrolled: 1-line block ×8, first 2 shown]
                                        ; implicit-def: $sgpr46_sgpr47
                                        ; implicit-def: $vgpr27
	s_and_saveexec_b64 s[44:45], vcc
	s_cbranch_execz .LBB1429_124
; %bb.115:
	v_add_u32_e32 v6, 19, v47
	v_cmp_ne_u32_e32 vcc, v7, v4
	v_mov_b32_e32 v7, s76
	v_mov_b32_e32 v26, 0
	v_cndmask_b32_e64 v67, 0, 1, vcc
	v_cndmask_b32_e32 v31, v9, v7, vcc
	v_cmp_gt_u32_e32 vcc, s59, v6
	v_mov_b32_e32 v52, 0
	v_mov_b32_e32 v29, 0
	;; [unrolled: 1-line block ×5, first 2 shown]
                                        ; implicit-def: $sgpr50_sgpr51
                                        ; implicit-def: $vgpr27
	s_and_saveexec_b64 s[46:47], vcc
	s_cbranch_execz .LBB1429_123
; %bb.116:
	ds_read2_b32 v[6:7], v71 offset0:19 offset1:20
	v_add_u32_e32 v8, 20, v47
	v_cmp_ne_u32_e32 vcc, v4, v5
	v_mov_b32_e32 v4, s76
	s_mov_b64 s[60:61], 0
	v_cndmask_b32_e64 v68, 0, 1, vcc
	s_waitcnt lgkmcnt(0)
	v_cndmask_b32_e32 v28, v6, v4, vcc
	v_cmp_gt_u32_e32 vcc, s59, v8
	v_mov_b32_e32 v26, 0
	v_mov_b32_e32 v52, 0
	;; [unrolled: 1-line block ×4, first 2 shown]
                                        ; implicit-def: $sgpr50_sgpr51
                                        ; implicit-def: $vgpr27
	s_and_saveexec_b64 s[48:49], vcc
	s_cbranch_execz .LBB1429_122
; %bb.117:
	v_add_u32_e32 v4, 21, v47
	v_cmp_ne_u32_e32 vcc, v5, v2
	v_mov_b32_e32 v5, s76
	v_mov_b32_e32 v26, 0
	v_cndmask_b32_e64 v69, 0, 1, vcc
	v_cndmask_b32_e32 v29, v7, v5, vcc
	v_cmp_gt_u32_e32 vcc, s59, v4
	v_mov_b32_e32 v52, 0
                                        ; implicit-def: $sgpr72_sgpr73
                                        ; implicit-def: $vgpr27
	s_and_saveexec_b64 s[50:51], vcc
	s_cbranch_execz .LBB1429_121
; %bb.118:
	ds_read2_b32 v[4:5], v71 offset0:21 offset1:22
	v_add_u32_e32 v6, 22, v47
	v_cmp_ne_u32_e32 vcc, v2, v3
	v_mov_b32_e32 v2, s76
                                        ; implicit-def: $sgpr72_sgpr73
                                        ; implicit-def: $vgpr27
	s_nop 0
	v_cndmask_b32_e64 v52, 0, 1, vcc
	s_waitcnt lgkmcnt(0)
	v_cndmask_b32_e32 v26, v4, v2, vcc
	v_cmp_gt_u32_e32 vcc, s59, v6
	s_and_saveexec_b64 s[74:75], vcc
	s_xor_b64 s[74:75], exec, s[74:75]
; %bb.119:
	v_mov_b32_e32 v2, s76
	v_cmp_ne_u32_e32 vcc, v3, v70
	s_mov_b64 s[60:61], exec
	s_and_b64 s[72:73], vcc, exec
	v_cndmask_b32_e32 v27, v5, v2, vcc
; %bb.120:
	s_or_b64 exec, exec, s[74:75]
	s_and_b64 s[72:73], s[72:73], exec
	s_and_b64 s[60:61], s[60:61], exec
.LBB1429_121:
	s_or_b64 exec, exec, s[50:51]
	s_and_b64 s[50:51], s[72:73], exec
	s_and_b64 s[60:61], s[60:61], exec
.LBB1429_122:
	s_or_b64 exec, exec, s[48:49]
	s_and_b64 s[50:51], s[50:51], exec
	s_and_b64 s[48:49], s[60:61], exec
.LBB1429_123:
	s_or_b64 exec, exec, s[46:47]
	s_and_b64 s[46:47], s[50:51], exec
	s_and_b64 s[48:49], s[48:49], exec
.LBB1429_124:
	s_or_b64 exec, exec, s[44:45]
	s_and_b64 s[46:47], s[46:47], exec
	s_and_b64 s[44:45], s[48:49], exec
.LBB1429_125:
	s_or_b64 exec, exec, s[42:43]
	s_and_b64 s[42:43], s[46:47], exec
	s_and_b64 s[44:45], s[44:45], exec
.LBB1429_126:
	s_or_b64 exec, exec, s[40:41]
	s_and_b64 s[42:43], s[42:43], exec
	s_and_b64 s[40:41], s[44:45], exec
.LBB1429_127:
	s_or_b64 exec, exec, s[38:39]
	s_and_b64 s[38:39], s[42:43], exec
	s_and_b64 s[40:41], s[40:41], exec
.LBB1429_128:
	s_or_b64 exec, exec, s[36:37]
	s_and_b64 s[38:39], s[38:39], exec
	s_and_b64 s[36:37], s[40:41], exec
.LBB1429_129:
	s_or_b64 exec, exec, s[34:35]
	s_and_b64 s[34:35], s[38:39], exec
	s_and_b64 s[36:37], s[36:37], exec
.LBB1429_130:
	s_or_b64 exec, exec, s[30:31]
	s_and_b64 s[34:35], s[34:35], exec
	s_and_b64 s[30:31], s[36:37], exec
.LBB1429_131:
	s_or_b64 exec, exec, s[28:29]
	s_and_b64 s[28:29], s[34:35], exec
	s_and_b64 s[30:31], s[30:31], exec
.LBB1429_132:
	s_or_b64 exec, exec, s[26:27]
	s_and_b64 s[28:29], s[28:29], exec
	s_and_b64 s[26:27], s[30:31], exec
.LBB1429_133:
	s_or_b64 exec, exec, s[24:25]
	s_and_b64 s[24:25], s[28:29], exec
	s_and_b64 s[26:27], s[26:27], exec
.LBB1429_134:
	s_or_b64 exec, exec, s[22:23]
	s_and_b64 s[24:25], s[24:25], exec
	s_and_b64 s[22:23], s[26:27], exec
.LBB1429_135:
	s_or_b64 exec, exec, s[20:21]
	s_and_b64 s[20:21], s[24:25], exec
	s_and_b64 s[22:23], s[22:23], exec
.LBB1429_136:
	s_or_b64 exec, exec, s[18:19]
	s_and_b64 s[20:21], s[20:21], exec
	s_and_b64 s[18:19], s[22:23], exec
.LBB1429_137:
	s_or_b64 exec, exec, s[16:17]
	s_and_b64 s[16:17], s[20:21], exec
	s_and_b64 s[18:19], s[18:19], exec
.LBB1429_138:
	s_or_b64 exec, exec, s[14:15]
	s_and_b64 s[16:17], s[16:17], exec
	s_and_b64 s[14:15], s[18:19], exec
.LBB1429_139:
	s_or_b64 exec, exec, s[12:13]
	s_and_b64 s[12:13], s[16:17], exec
	s_and_b64 s[14:15], s[14:15], exec
.LBB1429_140:
	s_or_b64 exec, exec, s[10:11]
	s_and_b64 s[12:13], s[12:13], exec
	s_and_b64 s[10:11], s[14:15], exec
.LBB1429_141:
	s_or_b64 exec, exec, s[8:9]
	s_and_b64 s[8:9], s[12:13], exec
	s_and_b64 s[10:11], s[10:11], exec
.LBB1429_142:
	s_or_b64 exec, exec, s[6:7]
	s_mov_b32 s6, 0
	s_and_b64 vcc, exec, s[4:5]
	v_lshlrev_b32_e32 v10, 2, v0
	s_cbranch_vccz .LBB1429_148
.LBB1429_143:
	v_mov_b32_e32 v11, 0
	v_lshl_add_u64 v[2:3], s[70:71], 0, v[10:11]
	v_add_co_u32_e32 v4, vcc, 0x1000, v2
	s_movk_i32 s4, 0x58
	s_nop 0
	v_addc_co_u32_e32 v5, vcc, 0, v3, vcc
	flat_load_dword v1, v[2:3]
	flat_load_dword v8, v[2:3] offset:1024
	flat_load_dword v9, v[2:3] offset:2048
	;; [unrolled: 1-line block ×3, first 2 shown]
	flat_load_dword v13, v[4:5]
	flat_load_dword v14, v[4:5] offset:1024
	flat_load_dword v15, v[4:5] offset:2048
	;; [unrolled: 1-line block ×3, first 2 shown]
	v_add_co_u32_e32 v4, vcc, 0x2000, v2
	s_movk_i32 s9, 0x1000
	s_nop 0
	v_addc_co_u32_e32 v5, vcc, 0, v3, vcc
	v_add_co_u32_e32 v6, vcc, 0x3000, v2
	s_movk_i32 s8, 0x2000
	s_nop 0
	v_addc_co_u32_e32 v7, vcc, 0, v3, vcc
	flat_load_dword v17, v[4:5]
	flat_load_dword v18, v[4:5] offset:1024
	flat_load_dword v19, v[4:5] offset:2048
	;; [unrolled: 1-line block ×3, first 2 shown]
	flat_load_dword v21, v[6:7]
	flat_load_dword v22, v[6:7] offset:1024
	flat_load_dword v23, v[6:7] offset:2048
	;; [unrolled: 1-line block ×3, first 2 shown]
	v_add_co_u32_e32 v4, vcc, 0x4000, v2
	s_movk_i32 s7, 0x3000
	s_nop 0
	v_addc_co_u32_e32 v5, vcc, 0, v3, vcc
	v_add_co_u32_e32 v2, vcc, 0x5000, v2
	s_movk_i32 s6, 0x4000
	s_nop 0
	v_addc_co_u32_e32 v3, vcc, 0, v3, vcc
	flat_load_dword v6, v[4:5]
	flat_load_dword v7, v[4:5] offset:1024
	flat_load_dword v25, v[4:5] offset:2048
	flat_load_dword v26, v[4:5] offset:3072
	flat_load_dword v27, v[2:3]
	flat_load_dword v28, v[2:3] offset:1024
	flat_load_dword v29, v[2:3] offset:2048
	v_mov_b32_e32 v2, s70
	v_mov_b32_e32 v3, s71
	v_add_co_u32_e32 v2, vcc, 0x5000, v2
	s_movk_i32 s3, 0x5000
	s_nop 0
	v_addc_co_u32_e32 v3, vcc, 0, v3, vcc
	s_waitcnt vmcnt(0) lgkmcnt(0)
	ds_write2st64_b32 v10, v1, v8 offset1:4
	ds_write2st64_b32 v10, v9, v12 offset0:8 offset1:12
	ds_write2st64_b32 v10, v13, v14 offset0:16 offset1:20
	;; [unrolled: 1-line block ×10, first 2 shown]
	ds_write_b32 v10, v29 offset:22528
	s_waitcnt lgkmcnt(0)
	s_barrier
	flat_load_dword v70, v[2:3] offset:3072
	v_mad_u32_u24 v1, v0, s4, v10
	s_movk_i32 s4, 0xffa8
	v_mad_i32_i24 v26, v0, s4, v1
	s_movk_i32 s4, 0xff
	v_cmp_ne_u32_e32 vcc, s4, v0
	ds_read_b32 v48, v1
	ds_read2_b32 v[24:25], v1 offset0:1 offset1:2
	ds_read2_b32 v[22:23], v1 offset0:3 offset1:4
	;; [unrolled: 1-line block ×11, first 2 shown]
	s_waitcnt lgkmcnt(0)
	ds_write_b32 v26, v48 offset:24576
	s_waitcnt lgkmcnt(0)
	s_barrier
	s_and_saveexec_b64 s[4:5], vcc
	s_cbranch_execz .LBB1429_145
; %bb.144:
	s_waitcnt vmcnt(0)
	ds_read_b32 v70, v10 offset:24580
.LBB1429_145:
	s_or_b64 exec, exec, s[4:5]
	v_lshl_add_u64 v[26:27], s[68:69], 0, v[10:11]
	v_add_co_u32_e32 v28, vcc, s9, v26
	s_waitcnt lgkmcnt(0)
	s_nop 0
	v_addc_co_u32_e32 v29, vcc, 0, v27, vcc
	s_barrier
	flat_load_dword v11, v[26:27]
	flat_load_dword v32, v[26:27] offset:1024
	flat_load_dword v33, v[26:27] offset:2048
	flat_load_dword v34, v[26:27] offset:3072
	flat_load_dword v35, v[28:29]
	flat_load_dword v36, v[28:29] offset:1024
	flat_load_dword v37, v[28:29] offset:2048
	;; [unrolled: 1-line block ×3, first 2 shown]
	v_add_co_u32_e32 v28, vcc, s8, v26
	v_cmp_eq_u32_e64 s[4:5], v48, v24
	s_nop 0
	v_addc_co_u32_e32 v29, vcc, 0, v27, vcc
	v_add_co_u32_e32 v30, vcc, s7, v26
	s_nop 1
	v_addc_co_u32_e32 v31, vcc, 0, v27, vcc
	flat_load_dword v39, v[28:29]
	flat_load_dword v40, v[28:29] offset:1024
	flat_load_dword v41, v[28:29] offset:2048
	;; [unrolled: 1-line block ×3, first 2 shown]
	flat_load_dword v43, v[30:31]
	flat_load_dword v44, v[30:31] offset:1024
	flat_load_dword v45, v[30:31] offset:2048
	flat_load_dword v46, v[30:31] offset:3072
	v_add_co_u32_e32 v28, vcc, s6, v26
	s_nop 1
	v_addc_co_u32_e32 v29, vcc, 0, v27, vcc
	v_add_co_u32_e32 v26, vcc, s3, v26
	s_nop 1
	v_addc_co_u32_e32 v27, vcc, 0, v27, vcc
	flat_load_dword v30, v[28:29]
	flat_load_dword v31, v[28:29] offset:1024
	flat_load_dword v47, v[28:29] offset:2048
	flat_load_dword v49, v[28:29] offset:3072
	flat_load_dword v50, v[26:27]
	flat_load_dword v51, v[26:27] offset:1024
	flat_load_dword v52, v[26:27] offset:2048
	v_cmp_ne_u32_e32 vcc, v48, v24
	v_mov_b32_e32 v48, s76
	s_waitcnt vmcnt(0) lgkmcnt(0)
	ds_write2st64_b32 v10, v11, v32 offset1:4
	ds_write2st64_b32 v10, v33, v34 offset0:8 offset1:12
	ds_write2st64_b32 v10, v35, v36 offset0:16 offset1:20
	;; [unrolled: 1-line block ×10, first 2 shown]
	ds_write_b32 v10, v52 offset:22528
	s_waitcnt lgkmcnt(0)
	s_barrier
	ds_read2_b32 v[46:47], v1 offset0:1 offset1:2
	ds_read2_b32 v[44:45], v1 offset0:3 offset1:4
	;; [unrolled: 1-line block ×11, first 2 shown]
	s_and_saveexec_b64 s[6:7], s[4:5]
	s_cbranch_execz .LBB1429_147
; %bb.146:
	ds_read_b32 v48, v1
.LBB1429_147:
	s_or_b64 exec, exec, s[6:7]
	v_cmp_ne_u32_e64 s[8:9], v23, v20
	v_cmp_ne_u32_e64 s[42:43], v5, v2
	;; [unrolled: 1-line block ×3, first 2 shown]
	v_mov_b32_e32 v2, s76
	v_cndmask_b32_e64 v1, 0, 1, vcc
	v_cmp_ne_u32_e32 vcc, v24, v25
	v_cmp_ne_u32_e64 s[4:5], v25, v22
	v_cmp_ne_u32_e64 s[6:7], v22, v23
	v_cndmask_b32_e64 v53, 0, 1, s[8:9]
	v_cmp_ne_u32_e64 s[10:11], v20, v21
	v_cmp_ne_u32_e64 s[12:13], v21, v18
	;; [unrolled: 1-line block ×15, first 2 shown]
	s_waitcnt lgkmcnt(9)
	v_cndmask_b32_e64 v45, v45, v2, s[8:9]
	v_cmp_ne_u32_e64 s[8:9], v3, v70
	v_cndmask_b32_e64 v49, 0, 1, vcc
	v_cndmask_b32_e64 v50, 0, 1, s[4:5]
	v_cndmask_b32_e64 v51, 0, 1, s[6:7]
	;; [unrolled: 1-line block ×19, first 2 shown]
	v_cndmask_b32_e32 v24, v46, v2, vcc
	v_cndmask_b32_e64 v46, v47, v2, s[4:5]
	v_cndmask_b32_e64 v44, v44, v2, s[6:7]
	s_waitcnt lgkmcnt(8)
	v_cndmask_b32_e64 v42, v42, v2, s[10:11]
	v_cndmask_b32_e64 v43, v43, v2, s[12:13]
	s_waitcnt lgkmcnt(7)
	;; [unrolled: 3-line block ×9, first 2 shown]
	v_cndmask_b32_e64 v26, v26, v2, s[44:45]
	v_cndmask_b32_e64 v27, v27, v2, s[8:9]
	s_mov_b64 s[10:11], -1
                                        ; implicit-def: $sgpr6
                                        ; implicit-def: $sgpr3
.LBB1429_148:
	v_mov_b32_e32 v11, s3
	v_mov_b32_e32 v16, s6
	s_and_saveexec_b64 s[4:5], s[10:11]
; %bb.149:
	v_cndmask_b32_e64 v11, 0, 1, s[8:9]
	v_mov_b32_e32 v16, v27
; %bb.150:
	s_or_b64 exec, exec, s[4:5]
	v_or_b32_e32 v2, v11, v52
	s_cmp_lg_u32 s2, 0
	v_add_f32_e32 v19, v24, v48
	v_or_b32_e32 v18, v2, v69
	v_lshrrev_b32_e32 v17, 5, v0
	v_cmp_gt_u32_e32 vcc, 64, v0
	s_barrier
	s_cbranch_scc0 .LBB1429_209
; %bb.151:
	v_mov_b32_e32 v6, 0
	v_cmp_eq_u16_sdwa s[50:51], v49, v6 src0_sel:BYTE_0 src1_sel:DWORD
	v_cmp_eq_u16_sdwa s[4:5], v50, v6 src0_sel:BYTE_0 src1_sel:DWORD
	v_cmp_eq_u16_sdwa s[6:7], v51, v6 src0_sel:BYTE_0 src1_sel:DWORD
	v_cndmask_b32_e64 v2, v24, v19, s[50:51]
	v_add_f32_e32 v2, v46, v2
	v_cndmask_b32_e64 v2, v46, v2, s[4:5]
	v_add_f32_e32 v2, v44, v2
	v_cndmask_b32_e64 v2, v44, v2, s[6:7]
	v_add_f32_e32 v2, v45, v2
	v_cmp_eq_u16_sdwa s[8:9], v53, v6 src0_sel:BYTE_0 src1_sel:DWORD
	v_cmp_eq_u16_sdwa s[10:11], v54, v6 src0_sel:BYTE_0 src1_sel:DWORD
	v_cmp_eq_u16_sdwa s[12:13], v55, v6 src0_sel:BYTE_0 src1_sel:DWORD
	v_cndmask_b32_e64 v2, v45, v2, s[8:9]
	v_add_f32_e32 v2, v42, v2
	v_cndmask_b32_e64 v2, v42, v2, s[10:11]
	v_add_f32_e32 v2, v43, v2
	v_cndmask_b32_e64 v2, v43, v2, s[12:13]
	v_add_f32_e32 v2, v40, v2
	;; [unrolled: 9-line block ×7, first 2 shown]
	v_cmp_eq_u16_sdwa s[46:47], v11, v6 src0_sel:BYTE_0 src1_sel:DWORD
	v_and_b32_e32 v3, 0xff, v1
	s_nop 0
	v_cndmask_b32_e64 v20, v16, v2, s[46:47]
	v_or_b32_e32 v2, v18, v68
	v_or_b32_e32 v2, v2, v67
	;; [unrolled: 1-line block ×19, first 2 shown]
	v_and_b32_e32 v2, 1, v2
	v_cmp_eq_u32_e64 s[46:47], 1, v2
	v_add_lshl_u32 v2, v17, v0, 3
	s_nop 0
	v_cndmask_b32_e64 v21, v3, 1, s[46:47]
	ds_write_b32 v2, v20
	ds_write_b8 v2, v21 offset:4
	s_waitcnt lgkmcnt(0)
	s_barrier
	s_and_saveexec_b64 s[48:49], vcc
	s_cbranch_execz .LBB1429_165
; %bb.152:
	v_lshrrev_b32_e32 v2, 3, v0
	v_add_lshl_u32 v4, v2, v10, 3
	ds_read2_b32 v[8:9], v4 offset0:2 offset1:4
	ds_read_b64 v[2:3], v4
	ds_read_u8 v7, v4 offset:12
	ds_read_u8 v12, v4 offset:20
	ds_read_b32 v14, v4 offset:24
	ds_read_u8 v15, v4 offset:28
	s_waitcnt lgkmcnt(4)
	v_add_f32_e32 v5, v2, v8
	s_waitcnt lgkmcnt(3)
	v_cmp_eq_u16_sdwa s[46:47], v7, v6 src0_sel:BYTE_0 src1_sel:DWORD
	v_and_b32_e32 v13, 0xffffff00, v3
	s_nop 0
	v_cndmask_b32_e64 v8, v8, v5, s[46:47]
	v_add_f32_e32 v8, v9, v8
	s_waitcnt lgkmcnt(2)
	v_cmp_eq_u16_sdwa s[46:47], v12, v6 src0_sel:BYTE_0 src1_sel:DWORD
	v_and_b32_e32 v5, 1, v3
	s_nop 0
	v_cndmask_b32_e64 v6, v9, v8, s[46:47]
	s_waitcnt lgkmcnt(0)
	v_or_b32_e32 v8, v15, v12
	v_or_b32_e32 v7, v8, v7
	v_add_f32_e32 v6, v14, v6
	v_cmp_eq_u16_e64 s[46:47], 0, v15
	v_and_b32_e32 v7, 1, v7
	s_nop 0
	v_cndmask_b32_e64 v6, v14, v6, s[46:47]
	v_cmp_eq_u32_e64 s[46:47], 1, v7
	v_mbcnt_lo_u32_b32 v7, -1, 0
	v_mbcnt_hi_u32_b32 v7, -1, v7
	v_cndmask_b32_e64 v9, v5, 1, s[46:47]
	v_or_b32_e32 v8, v9, v13
	v_and_b32_e32 v12, 15, v7
	v_mov_b32_dpp v15, v6 row_shr:1 row_mask:0xf bank_mask:0xf
	v_mov_b32_dpp v14, v8 row_shr:1 row_mask:0xf bank_mask:0xf
	v_cmp_ne_u32_e64 s[46:47], 0, v12
	s_and_saveexec_b64 s[60:61], s[46:47]
; %bb.153:
	v_add_f32_e32 v8, v6, v15
	v_cmp_eq_u32_e64 s[46:47], 0, v9
	s_nop 1
	v_cndmask_b32_e64 v6, v6, v8, s[46:47]
	v_and_b32_e32 v8, 1, v9
	v_and_b32_e32 v9, 1, v14
	v_cmp_eq_u32_e64 s[46:47], 1, v8
	s_nop 1
	v_cndmask_b32_e64 v9, v9, 1, s[46:47]
	v_or_b32_e32 v8, v9, v13
; %bb.154:
	s_or_b64 exec, exec, s[60:61]
	v_mov_b32_dpp v14, v6 row_shr:2 row_mask:0xf bank_mask:0xf
	v_mov_b32_dpp v13, v8 row_shr:2 row_mask:0xf bank_mask:0xf
	v_cmp_lt_u32_e64 s[46:47], 1, v12
	s_and_saveexec_b64 s[60:61], s[46:47]
; %bb.155:
	v_add_f32_e32 v14, v6, v14
	v_cmp_eq_u32_e64 s[46:47], 0, v9
	v_and_b32_e32 v9, 1, v9
	v_and_b32_e32 v13, 1, v13
	v_cndmask_b32_e64 v6, v6, v14, s[46:47]
	v_cmp_eq_u32_e64 s[46:47], 1, v9
	s_movk_i32 s3, 0xff00
	s_nop 0
	v_cndmask_b32_e64 v9, v13, 1, s[46:47]
	v_and_or_b32 v8, v8, s3, v9
; %bb.156:
	s_or_b64 exec, exec, s[60:61]
	v_mov_b32_dpp v14, v6 row_shr:4 row_mask:0xf bank_mask:0xf
	v_mov_b32_dpp v13, v8 row_shr:4 row_mask:0xf bank_mask:0xf
	v_cmp_lt_u32_e64 s[46:47], 3, v12
	s_and_saveexec_b64 s[60:61], s[46:47]
; %bb.157:
	v_add_f32_e32 v14, v6, v14
	v_cmp_eq_u32_e64 s[46:47], 0, v9
	v_and_b32_e32 v9, 1, v9
	v_and_b32_e32 v13, 1, v13
	v_cndmask_b32_e64 v6, v6, v14, s[46:47]
	v_cmp_eq_u32_e64 s[46:47], 1, v9
	s_movk_i32 s3, 0xff00
	s_nop 0
	v_cndmask_b32_e64 v9, v13, 1, s[46:47]
	v_and_or_b32 v8, v8, s3, v9
; %bb.158:
	s_or_b64 exec, exec, s[60:61]
	v_mov_b32_dpp v14, v6 row_shr:8 row_mask:0xf bank_mask:0xf
	v_mov_b32_dpp v13, v8 row_shr:8 row_mask:0xf bank_mask:0xf
	v_cmp_lt_u32_e64 s[46:47], 7, v12
	s_and_saveexec_b64 s[60:61], s[46:47]
; %bb.159:
	v_add_f32_e32 v12, v6, v14
	v_cmp_eq_u32_e64 s[46:47], 0, v9
	v_and_b32_e32 v9, 1, v9
	s_movk_i32 s3, 0xff00
	v_cndmask_b32_e64 v6, v6, v12, s[46:47]
	v_and_b32_e32 v12, 1, v13
	v_cmp_eq_u32_e64 s[46:47], 1, v9
	s_nop 1
	v_cndmask_b32_e64 v9, v12, 1, s[46:47]
	v_and_or_b32 v8, v8, s3, v9
; %bb.160:
	s_or_b64 exec, exec, s[60:61]
	v_and_b32_e32 v14, 16, v7
	v_mov_b32_dpp v13, v6 row_bcast:15 row_mask:0xf bank_mask:0xf
	v_mov_b32_dpp v12, v8 row_bcast:15 row_mask:0xf bank_mask:0xf
	v_cmp_ne_u32_e64 s[46:47], 0, v14
	s_and_saveexec_b64 s[60:61], s[46:47]
; %bb.161:
	v_add_f32_e32 v13, v6, v13
	v_cmp_eq_u32_e64 s[46:47], 0, v9
	v_and_b32_e32 v9, 1, v9
	v_and_b32_e32 v12, 1, v12
	v_cndmask_b32_e64 v6, v6, v13, s[46:47]
	v_cmp_eq_u32_e64 s[46:47], 1, v9
	s_movk_i32 s3, 0xff00
	s_nop 0
	v_cndmask_b32_e64 v9, v12, 1, s[46:47]
	v_and_or_b32 v8, v8, s3, v9
; %bb.162:
	s_or_b64 exec, exec, s[60:61]
	v_mov_b32_dpp v13, v6 row_bcast:31 row_mask:0xf bank_mask:0xf
	v_mov_b32_dpp v12, v8 row_bcast:31 row_mask:0xf bank_mask:0xf
	v_cmp_lt_u32_e64 s[46:47], 31, v7
	s_and_saveexec_b64 s[60:61], s[46:47]
; %bb.163:
	v_add_f32_e32 v13, v6, v13
	v_cmp_eq_u32_e64 s[46:47], 0, v9
	v_and_b32_e32 v9, 1, v9
	v_and_b32_e32 v12, 1, v12
	v_cndmask_b32_e64 v6, v6, v13, s[46:47]
	v_cmp_eq_u32_e64 s[46:47], 1, v9
	s_movk_i32 s3, 0xff00
	s_nop 0
	v_cndmask_b32_e64 v9, v12, 1, s[46:47]
	v_and_or_b32 v8, v8, s3, v9
; %bb.164:
	s_or_b64 exec, exec, s[60:61]
	v_add_u32_e32 v9, -1, v7
	v_and_b32_e32 v12, 64, v7
	v_cmp_lt_i32_e64 s[46:47], v9, v12
	; wave barrier
	s_nop 1
	v_cndmask_b32_e64 v7, v9, v7, s[46:47]
	v_lshlrev_b32_e32 v7, 2, v7
	ds_bpermute_b32 v6, v7, v6
	ds_bpermute_b32 v7, v7, v8
	v_mov_b32_e32 v8, 0
	v_cmp_eq_u32_sdwa s[46:47], v3, v8 src0_sel:BYTE_0 src1_sel:DWORD
	s_waitcnt lgkmcnt(1)
	v_add_f32_e32 v6, v2, v6
	v_cndmask_b32_e64 v2, v2, v6, s[46:47]
	s_waitcnt lgkmcnt(0)
	v_and_b32_e32 v3, 1, v7
	v_cmp_eq_u32_e64 s[46:47], 1, v5
	s_nop 1
	v_cndmask_b32_e64 v3, v3, 1, s[46:47]
	v_cmp_eq_u32_e64 s[46:47], 0, v0
	s_nop 1
	v_cndmask_b32_e64 v5, v2, v20, s[46:47]
	v_cndmask_b32_e64 v6, v3, v21, s[46:47]
	ds_write_b32 v4, v5
	ds_write_b8 v4, v6 offset:4
	; wave barrier
	ds_read2_b32 v[2:3], v4 offset0:2 offset1:4
	ds_read_u8 v7, v4 offset:12
	ds_read_u8 v8, v4 offset:20
	ds_read_b32 v9, v4 offset:24
	ds_read_u8 v12, v4 offset:28
	s_waitcnt lgkmcnt(4)
	v_add_f32_e32 v5, v5, v2
	s_waitcnt lgkmcnt(3)
	v_cmp_eq_u16_e64 s[46:47], 0, v7
	s_nop 1
	v_cndmask_b32_e64 v2, v2, v5, s[46:47]
	v_and_b32_e32 v5, 1, v7
	v_cmp_eq_u32_e64 s[46:47], 1, v5
	s_nop 1
	v_cndmask_b32_e64 v5, v6, 1, s[46:47]
	v_add_f32_e32 v6, v2, v3
	s_waitcnt lgkmcnt(2)
	v_cmp_eq_u16_e64 s[46:47], 0, v8
	ds_write_b8 v4, v5 offset:12
	s_nop 0
	v_cndmask_b32_e64 v3, v3, v6, s[46:47]
	v_and_b32_e32 v6, 1, v8
	v_cmp_eq_u32_e64 s[46:47], 1, v6
	s_nop 1
	v_cndmask_b32_e64 v5, v5, 1, s[46:47]
	ds_write2_b32 v4, v2, v3 offset0:2 offset1:4
	ds_write_b8 v4, v5 offset:20
	s_waitcnt lgkmcnt(4)
	v_add_f32_e32 v2, v3, v9
	s_waitcnt lgkmcnt(3)
	v_cmp_eq_u16_e64 s[46:47], 0, v12
	v_and_b32_e32 v3, 1, v12
	s_nop 0
	v_cndmask_b32_e64 v2, v9, v2, s[46:47]
	v_cmp_eq_u32_e64 s[46:47], 1, v3
	s_nop 1
	v_cndmask_b32_e64 v3, v5, 1, s[46:47]
	ds_write_b32 v4, v2 offset:24
	ds_write_b8 v4, v3 offset:28
.LBB1429_165:
	s_or_b64 exec, exec, s[48:49]
	v_cmp_eq_u32_e64 s[46:47], 0, v0
	v_cmp_ne_u32_e64 s[48:49], 0, v0
	s_waitcnt lgkmcnt(0)
	s_barrier
	s_and_saveexec_b64 s[60:61], s[48:49]
	s_cbranch_execz .LBB1429_167
; %bb.166:
	v_add_u32_e32 v2, -1, v0
	v_lshrrev_b32_e32 v3, 5, v2
	v_add_lshl_u32 v2, v3, v2, 3
	ds_read_b32 v20, v2
	ds_read_u8 v21, v2 offset:4
.LBB1429_167:
	s_or_b64 exec, exec, s[60:61]
	s_and_saveexec_b64 s[60:61], vcc
	s_cbranch_execz .LBB1429_208
; %bb.168:
	v_mov_b32_e32 v5, 0
	ds_read_b64 v[2:3], v5 offset:2096
	v_mbcnt_lo_u32_b32 v4, -1, 0
	v_mbcnt_hi_u32_b32 v13, -1, v4
	s_mov_b32 s71, 0
	v_cmp_eq_u32_e64 s[48:49], 0, v13
	s_waitcnt lgkmcnt(0)
	v_readfirstlane_b32 s3, v3
	s_and_saveexec_b64 s[68:69], s[48:49]
	s_cbranch_execz .LBB1429_170
; %bb.169:
	s_add_i32 s70, s2, 64
	s_lshl_b64 s[72:73], s[70:71], 4
	s_add_u32 s72, s56, s72
	s_addc_u32 s73, s57, s73
	s_and_b32 s75, s3, 0xff000000
	s_mov_b32 s74, s71
	s_and_b32 s79, s3, 0xff0000
	s_mov_b32 s78, s71
	s_or_b64 s[74:75], s[78:79], s[74:75]
	s_and_b32 s79, s3, 0xff00
	s_or_b64 s[74:75], s[74:75], s[78:79]
	s_and_b32 s79, s3, 0xff
	s_or_b64 s[70:71], s[74:75], s[78:79]
	v_mov_b32_e32 v3, s71
	v_mov_b32_e32 v4, 1
	v_mov_b64_e32 v[6:7], s[72:73]
	;;#ASMSTART
	global_store_dwordx4 v[6:7], v[2:5] off sc1	
s_waitcnt vmcnt(0)
	;;#ASMEND
.LBB1429_170:
	s_or_b64 exec, exec, s[68:69]
	v_xad_u32 v12, v13, -1, s2
	v_add_u32_e32 v4, 64, v12
	v_lshl_add_u64 v[14:15], v[4:5], 4, s[56:57]
	;;#ASMSTART
	global_load_dwordx4 v[6:9], v[14:15] off sc1	
s_waitcnt vmcnt(0)
	;;#ASMEND
	s_nop 0
	v_cmp_eq_u16_sdwa s[70:71], v8, v5 src0_sel:BYTE_0 src1_sel:DWORD
	s_and_saveexec_b64 s[68:69], s[70:71]
	s_cbranch_execz .LBB1429_174
; %bb.171:
	s_mov_b64 s[70:71], 0
	v_mov_b32_e32 v3, 0
.LBB1429_172:                           ; =>This Inner Loop Header: Depth=1
	;;#ASMSTART
	global_load_dwordx4 v[6:9], v[14:15] off sc1	
s_waitcnt vmcnt(0)
	;;#ASMEND
	s_nop 0
	v_cmp_ne_u16_sdwa s[72:73], v8, v3 src0_sel:BYTE_0 src1_sel:DWORD
	s_or_b64 s[70:71], s[72:73], s[70:71]
	s_andn2_b64 exec, exec, s[70:71]
	s_cbranch_execnz .LBB1429_172
; %bb.173:
	s_or_b64 exec, exec, s[70:71]
.LBB1429_174:
	s_or_b64 exec, exec, s[68:69]
	v_mov_b32_e32 v3, 2
	v_cmp_eq_u16_sdwa s[68:69], v8, v3 src0_sel:BYTE_0 src1_sel:DWORD
	v_lshlrev_b64 v[4:5], v13, -1
	v_and_b32_e32 v14, 0xff, v7
	v_and_b32_e32 v3, s69, v5
	v_or_b32_e32 v3, 0x80000000, v3
	v_ffbl_b32_e32 v25, v3
	v_and_b32_e32 v3, 63, v13
	v_cmp_ne_u32_e32 vcc, 63, v3
	v_and_b32_e32 v9, s68, v4
	v_add_u32_e32 v25, 32, v25
	v_addc_co_u32_e32 v15, vcc, 0, v13, vcc
	v_lshlrev_b32_e32 v22, 2, v15
	ds_bpermute_b32 v23, v22, v6
	ds_bpermute_b32 v15, v22, v14
	v_ffbl_b32_e32 v9, v9
	v_min_u32_e32 v9, v9, v25
	v_cmp_lt_u32_e32 vcc, v3, v9
	s_and_saveexec_b64 s[68:69], vcc
	s_cbranch_execz .LBB1429_176
; %bb.175:
	v_mov_b32_e32 v14, 0
	s_waitcnt lgkmcnt(1)
	v_add_f32_e32 v23, v6, v23
	v_cmp_eq_u16_sdwa vcc, v7, v14 src0_sel:BYTE_0 src1_sel:DWORD
	v_and_b32_e32 v7, 1, v7
	s_waitcnt lgkmcnt(0)
	v_and_b32_e32 v14, 1, v15
	v_cndmask_b32_e32 v6, v6, v23, vcc
	v_cmp_eq_u32_e32 vcc, 1, v7
	s_nop 1
	v_cndmask_b32_e64 v7, v14, 1, vcc
	v_and_b32_e32 v14, 0xffff, v7
.LBB1429_176:
	s_or_b64 exec, exec, s[68:69]
	v_cmp_gt_u32_e32 vcc, 62, v3
	v_add_u32_e32 v25, 2, v3
	s_waitcnt lgkmcnt(0)
	v_cndmask_b32_e64 v15, 0, 1, vcc
	v_lshlrev_b32_e32 v15, 1, v15
	v_add_lshl_u32 v23, v15, v13, 2
	ds_bpermute_b32 v27, v23, v6
	ds_bpermute_b32 v15, v23, v14
	v_cmp_le_u32_e32 vcc, v25, v9
	s_and_saveexec_b64 s[68:69], vcc
	s_cbranch_execz .LBB1429_178
; %bb.177:
	v_mov_b32_e32 v14, 0
	s_waitcnt lgkmcnt(1)
	v_add_f32_e32 v27, v6, v27
	v_cmp_eq_u16_sdwa vcc, v7, v14 src0_sel:BYTE_0 src1_sel:DWORD
	v_and_b32_e32 v7, 1, v7
	s_waitcnt lgkmcnt(0)
	v_and_b32_e32 v14, 1, v15
	v_cndmask_b32_e32 v6, v6, v27, vcc
	v_cmp_eq_u32_e32 vcc, 1, v7
	s_nop 1
	v_cndmask_b32_e64 v7, v14, 1, vcc
	v_and_b32_e32 v14, 0xffff, v7
.LBB1429_178:
	s_or_b64 exec, exec, s[68:69]
	v_cmp_gt_u32_e32 vcc, 60, v3
	v_add_u32_e32 v47, 4, v3
	s_waitcnt lgkmcnt(0)
	v_cndmask_b32_e64 v15, 0, 1, vcc
	v_lshlrev_b32_e32 v15, 2, v15
	v_add_lshl_u32 v27, v15, v13, 2
	ds_bpermute_b32 v70, v27, v6
	ds_bpermute_b32 v15, v27, v14
	v_cmp_le_u32_e32 vcc, v47, v9
	;; [unrolled: 26-line block ×5, first 2 shown]
	s_and_saveexec_b64 s[68:69], vcc
	s_cbranch_execz .LBB1429_186
; %bb.185:
	v_mov_b32_e32 v9, 0
	s_waitcnt lgkmcnt(1)
	v_add_f32_e32 v14, v6, v15
	v_cmp_eq_u16_sdwa vcc, v7, v9 src0_sel:BYTE_0 src1_sel:DWORD
	v_and_b32_e32 v7, 1, v7
	s_waitcnt lgkmcnt(0)
	v_and_b32_e32 v9, 1, v13
	v_cndmask_b32_e32 v6, v6, v14, vcc
	v_cmp_eq_u32_e32 vcc, 1, v7
	s_nop 1
	v_cndmask_b32_e64 v7, v9, 1, vcc
.LBB1429_186:
	s_or_b64 exec, exec, s[68:69]
	s_waitcnt lgkmcnt(0)
	v_mov_b32_e32 v13, 0
	v_mov_b32_e32 v78, 2
	s_branch .LBB1429_188
.LBB1429_187:                           ;   in Loop: Header=BB1429_188 Depth=1
	s_or_b64 exec, exec, s[68:69]
	s_waitcnt lgkmcnt(0)
	ds_bpermute_b32 v15, v75, v6
	ds_bpermute_b32 v14, v75, v14
	v_and_b32_e32 v79, 1, v7
	v_cmp_eq_u16_sdwa vcc, v7, v13 src0_sel:BYTE_0 src1_sel:DWORD
	v_subrev_u32_e32 v12, 64, v12
	s_waitcnt lgkmcnt(1)
	v_add_f32_e32 v15, v6, v15
	v_cndmask_b32_e32 v15, v6, v15, vcc
	v_cmp_eq_u32_e32 vcc, 1, v79
	s_waitcnt lgkmcnt(0)
	s_nop 0
	v_cndmask_b32_e64 v14, v14, 1, vcc
	v_cmp_gt_u32_e32 vcc, v77, v9
	v_and_b32_e32 v9, 1, v74
	s_nop 0
	v_cndmask_b32_e32 v6, v15, v6, vcc
	v_cndmask_b32_e32 v7, v14, v7, vcc
	v_add_f32_e32 v6, v76, v6
	v_cmp_eq_u16_sdwa vcc, v74, v13 src0_sel:BYTE_0 src1_sel:DWORD
	v_and_b32_e32 v7, 1, v7
	s_nop 0
	v_cndmask_b32_e32 v6, v76, v6, vcc
	v_cmp_eq_u32_e32 vcc, 1, v9
	s_nop 1
	v_cndmask_b32_e64 v7, v7, 1, vcc
.LBB1429_188:                           ; =>This Loop Header: Depth=1
                                        ;     Child Loop BB1429_191 Depth 2
	v_cmp_ne_u16_sdwa s[68:69], v8, v78 src0_sel:BYTE_0 src1_sel:DWORD
	v_mov_b32_e32 v74, v7
	v_mov_b32_e32 v76, v6
	v_cndmask_b32_e64 v7, 0, 1, s[68:69]
	;;#ASMSTART
	;;#ASMEND
	s_nop 0
	v_cmp_ne_u32_e32 vcc, 0, v7
	s_cmp_lg_u64 vcc, exec
	s_cbranch_scc1 .LBB1429_203
; %bb.189:                              ;   in Loop: Header=BB1429_188 Depth=1
	v_lshl_add_u64 v[14:15], v[12:13], 4, s[56:57]
	;;#ASMSTART
	global_load_dwordx4 v[6:9], v[14:15] off sc1	
s_waitcnt vmcnt(0)
	;;#ASMEND
	s_nop 0
	v_cmp_eq_u16_sdwa s[70:71], v8, v13 src0_sel:BYTE_0 src1_sel:DWORD
	s_and_saveexec_b64 s[68:69], s[70:71]
	s_cbranch_execz .LBB1429_193
; %bb.190:                              ;   in Loop: Header=BB1429_188 Depth=1
	s_mov_b64 s[70:71], 0
.LBB1429_191:                           ;   Parent Loop BB1429_188 Depth=1
                                        ; =>  This Inner Loop Header: Depth=2
	;;#ASMSTART
	global_load_dwordx4 v[6:9], v[14:15] off sc1	
s_waitcnt vmcnt(0)
	;;#ASMEND
	s_nop 0
	v_cmp_ne_u16_sdwa s[72:73], v8, v13 src0_sel:BYTE_0 src1_sel:DWORD
	s_or_b64 s[70:71], s[72:73], s[70:71]
	s_andn2_b64 exec, exec, s[70:71]
	s_cbranch_execnz .LBB1429_191
; %bb.192:                              ;   in Loop: Header=BB1429_188 Depth=1
	s_or_b64 exec, exec, s[70:71]
.LBB1429_193:                           ;   in Loop: Header=BB1429_188 Depth=1
	s_or_b64 exec, exec, s[68:69]
	v_cmp_eq_u16_sdwa s[68:69], v8, v78 src0_sel:BYTE_0 src1_sel:DWORD
	v_and_b32_e32 v14, 0xff, v7
	ds_bpermute_b32 v79, v22, v6
	v_and_b32_e32 v9, s69, v5
	v_or_b32_e32 v9, 0x80000000, v9
	ds_bpermute_b32 v15, v22, v14
	v_and_b32_e32 v80, s68, v4
	v_ffbl_b32_e32 v9, v9
	v_add_u32_e32 v9, 32, v9
	v_ffbl_b32_e32 v80, v80
	v_min_u32_e32 v9, v80, v9
	v_cmp_lt_u32_e32 vcc, v3, v9
	s_and_saveexec_b64 s[68:69], vcc
	s_cbranch_execz .LBB1429_195
; %bb.194:                              ;   in Loop: Header=BB1429_188 Depth=1
	s_waitcnt lgkmcnt(1)
	v_add_f32_e32 v14, v6, v79
	v_cmp_eq_u16_sdwa vcc, v7, v13 src0_sel:BYTE_0 src1_sel:DWORD
	v_and_b32_e32 v7, 1, v7
	s_nop 0
	v_cndmask_b32_e32 v6, v6, v14, vcc
	s_waitcnt lgkmcnt(0)
	v_and_b32_e32 v14, 1, v15
	v_cmp_eq_u32_e32 vcc, 1, v7
	s_nop 1
	v_cndmask_b32_e64 v7, v14, 1, vcc
	v_and_b32_e32 v14, 0xffff, v7
.LBB1429_195:                           ;   in Loop: Header=BB1429_188 Depth=1
	s_or_b64 exec, exec, s[68:69]
	s_waitcnt lgkmcnt(1)
	ds_bpermute_b32 v79, v23, v6
	s_waitcnt lgkmcnt(1)
	ds_bpermute_b32 v15, v23, v14
	v_cmp_le_u32_e32 vcc, v25, v9
	s_and_saveexec_b64 s[68:69], vcc
	s_cbranch_execz .LBB1429_197
; %bb.196:                              ;   in Loop: Header=BB1429_188 Depth=1
	s_waitcnt lgkmcnt(1)
	v_add_f32_e32 v14, v6, v79
	v_cmp_eq_u16_sdwa vcc, v7, v13 src0_sel:BYTE_0 src1_sel:DWORD
	v_and_b32_e32 v7, 1, v7
	s_nop 0
	v_cndmask_b32_e32 v6, v6, v14, vcc
	s_waitcnt lgkmcnt(0)
	v_and_b32_e32 v14, 1, v15
	v_cmp_eq_u32_e32 vcc, 1, v7
	s_nop 1
	v_cndmask_b32_e64 v7, v14, 1, vcc
	v_and_b32_e32 v14, 0xffff, v7
.LBB1429_197:                           ;   in Loop: Header=BB1429_188 Depth=1
	s_or_b64 exec, exec, s[68:69]
	s_waitcnt lgkmcnt(1)
	ds_bpermute_b32 v79, v27, v6
	s_waitcnt lgkmcnt(1)
	ds_bpermute_b32 v15, v27, v14
	v_cmp_le_u32_e32 vcc, v47, v9
	;; [unrolled: 22-line block ×4, first 2 shown]
	s_and_saveexec_b64 s[68:69], vcc
	s_cbranch_execz .LBB1429_187
; %bb.202:                              ;   in Loop: Header=BB1429_188 Depth=1
	s_waitcnt lgkmcnt(1)
	v_add_f32_e32 v14, v6, v79
	v_cmp_eq_u16_sdwa vcc, v7, v13 src0_sel:BYTE_0 src1_sel:DWORD
	v_and_b32_e32 v7, 1, v7
	s_nop 0
	v_cndmask_b32_e32 v6, v6, v14, vcc
	s_waitcnt lgkmcnt(0)
	v_and_b32_e32 v14, 1, v15
	v_cmp_eq_u32_e32 vcc, 1, v7
	s_nop 1
	v_cndmask_b32_e64 v7, v14, 1, vcc
	v_and_b32_e32 v14, 0xffff, v7
	s_branch .LBB1429_187
.LBB1429_203:                           ;   in Loop: Header=BB1429_188 Depth=1
                                        ; implicit-def: $vgpr7
	s_cbranch_execz .LBB1429_188
; %bb.204:
	s_and_saveexec_b64 s[68:69], s[48:49]
	s_cbranch_execz .LBB1429_206
; %bb.205:
	s_and_b32 s48, s3, 0xff
	s_cmp_eq_u32 s48, 0
	s_cselect_b64 vcc, -1, 0
	s_bitcmp1_b32 s3, 0
	s_mov_b32 s49, 0
	s_cselect_b64 s[70:71], -1, 0
	s_add_i32 s48, s2, 64
	s_lshl_b64 s[2:3], s[48:49], 4
	v_add_f32_e32 v3, v76, v2
	s_add_u32 s2, s56, s2
	v_cndmask_b32_e32 v2, v2, v3, vcc
	v_and_b32_e32 v3, 1, v74
	s_addc_u32 s3, s57, s3
	v_cndmask_b32_e64 v3, v3, 1, s[70:71]
	v_mov_b32_e32 v4, 2
	v_mov_b32_e32 v5, 0
	v_mov_b64_e32 v[6:7], s[2:3]
	;;#ASMSTART
	global_store_dwordx4 v[6:7], v[2:5] off sc1	
s_waitcnt vmcnt(0)
	;;#ASMEND
.LBB1429_206:
	s_or_b64 exec, exec, s[68:69]
	s_and_b64 exec, exec, s[46:47]
	s_cbranch_execz .LBB1429_208
; %bb.207:
	v_mov_b32_e32 v2, 0
	ds_write_b32 v2, v76
	ds_write_b8 v2, v74 offset:4
.LBB1429_208:
	s_or_b64 exec, exec, s[60:61]
	v_mov_b32_e32 v2, 0
	s_waitcnt lgkmcnt(0)
	s_barrier
	ds_read_b32 v3, v2
	v_cmp_eq_u32_e32 vcc, 0, v21
	s_waitcnt lgkmcnt(0)
	v_add_f32_e32 v4, v20, v3
	v_cndmask_b32_e32 v4, v20, v4, vcc
	v_cndmask_b32_e64 v47, v4, v3, s[46:47]
	v_add_f32_e32 v3, v48, v47
	v_cmp_eq_u16_sdwa vcc, v1, v2 src0_sel:BYTE_0 src1_sel:DWORD
	s_nop 1
	v_cndmask_b32_e32 v70, v48, v3, vcc
	v_add_f32_e32 v2, v24, v70
	v_cndmask_b32_e64 v71, v24, v2, s[50:51]
	v_add_f32_e32 v2, v46, v71
	v_cndmask_b32_e64 v72, v46, v2, s[4:5]
	v_add_f32_e32 v2, v44, v72
	v_cndmask_b32_e64 v73, v44, v2, s[6:7]
	v_add_f32_e32 v2, v45, v73
	v_cndmask_b32_e64 v74, v45, v2, s[8:9]
	v_add_f32_e32 v2, v42, v74
	v_cndmask_b32_e64 v75, v42, v2, s[10:11]
	v_add_f32_e32 v2, v43, v75
	v_cndmask_b32_e64 v76, v43, v2, s[12:13]
	v_add_f32_e32 v2, v40, v76
	v_cndmask_b32_e64 v77, v40, v2, s[14:15]
	v_add_f32_e32 v2, v41, v77
	v_cndmask_b32_e64 v78, v41, v2, s[16:17]
	v_add_f32_e32 v2, v38, v78
	v_cndmask_b32_e64 v79, v38, v2, s[18:19]
	v_add_f32_e32 v2, v39, v79
	v_cndmask_b32_e64 v80, v39, v2, s[20:21]
	v_add_f32_e32 v2, v36, v80
	v_cndmask_b32_e64 v81, v36, v2, s[22:23]
	v_add_f32_e32 v2, v37, v81
	v_cndmask_b32_e64 v82, v37, v2, s[24:25]
	v_add_f32_e32 v2, v34, v82
	v_cndmask_b32_e64 v83, v34, v2, s[26:27]
	v_add_f32_e32 v2, v35, v83
	v_cndmask_b32_e64 v84, v35, v2, s[28:29]
	v_add_f32_e32 v2, v32, v84
	v_cndmask_b32_e64 v85, v32, v2, s[30:31]
	v_add_f32_e32 v2, v33, v85
	v_cndmask_b32_e64 v86, v33, v2, s[34:35]
	v_add_f32_e32 v2, v30, v86
	v_cndmask_b32_e64 v87, v30, v2, s[36:37]
	v_add_f32_e32 v2, v31, v87
	v_cndmask_b32_e64 v88, v31, v2, s[38:39]
	v_add_f32_e32 v2, v28, v88
	v_cndmask_b32_e64 v89, v28, v2, s[40:41]
	v_add_f32_e32 v2, v29, v89
	v_cndmask_b32_e64 v90, v29, v2, s[42:43]
	v_add_f32_e32 v2, v26, v90
	v_cndmask_b32_e64 v91, v26, v2, s[44:45]
	s_branch .LBB1429_231
.LBB1429_209:
                                        ; implicit-def: $vgpr90
                                        ; implicit-def: $vgpr89
                                        ; implicit-def: $vgpr88
                                        ; implicit-def: $vgpr87
                                        ; implicit-def: $vgpr86
                                        ; implicit-def: $vgpr85
                                        ; implicit-def: $vgpr84
                                        ; implicit-def: $vgpr83
                                        ; implicit-def: $vgpr82
                                        ; implicit-def: $vgpr81
                                        ; implicit-def: $vgpr80
                                        ; implicit-def: $vgpr79
                                        ; implicit-def: $vgpr78
                                        ; implicit-def: $vgpr77
                                        ; implicit-def: $vgpr76
                                        ; implicit-def: $vgpr75
                                        ; implicit-def: $vgpr74
                                        ; implicit-def: $vgpr73
                                        ; implicit-def: $vgpr72
                                        ; implicit-def: $vgpr71
                                        ; implicit-def: $vgpr70
                                        ; implicit-def: $vgpr47
                                        ; implicit-def: $vgpr91
	s_cbranch_execz .LBB1429_231
; %bb.210:
	s_cmp_lg_u64 s[66:67], 0
	s_cselect_b32 s3, s63, 0
	s_cselect_b32 s2, s62, 0
	s_cmp_eq_u64 s[2:3], 0
	v_mov_b32_e32 v4, s76
	s_cbranch_scc1 .LBB1429_212
; %bb.211:
	v_mov_b32_e32 v2, 0
	global_load_dword v4, v2, s[2:3]
.LBB1429_212:
	v_mov_b32_e32 v9, 0
	v_cmp_eq_u16_sdwa vcc, v49, v9 src0_sel:BYTE_0 src1_sel:DWORD
	v_cmp_eq_u16_sdwa s[2:3], v50, v9 src0_sel:BYTE_0 src1_sel:DWORD
	v_cmp_eq_u16_sdwa s[4:5], v51, v9 src0_sel:BYTE_0 src1_sel:DWORD
	v_cndmask_b32_e32 v2, v24, v19, vcc
	v_add_f32_e32 v2, v46, v2
	v_cndmask_b32_e64 v2, v46, v2, s[2:3]
	v_add_f32_e32 v2, v44, v2
	v_cndmask_b32_e64 v2, v44, v2, s[4:5]
	v_add_f32_e32 v2, v45, v2
	v_cmp_eq_u16_sdwa s[6:7], v53, v9 src0_sel:BYTE_0 src1_sel:DWORD
	v_cmp_eq_u16_sdwa s[8:9], v54, v9 src0_sel:BYTE_0 src1_sel:DWORD
	v_cmp_eq_u16_sdwa s[10:11], v55, v9 src0_sel:BYTE_0 src1_sel:DWORD
	v_cndmask_b32_e64 v2, v45, v2, s[6:7]
	v_add_f32_e32 v2, v42, v2
	v_cndmask_b32_e64 v2, v42, v2, s[8:9]
	v_add_f32_e32 v2, v43, v2
	v_cndmask_b32_e64 v2, v43, v2, s[10:11]
	v_add_f32_e32 v2, v40, v2
	v_cmp_eq_u16_sdwa s[14:15], v56, v9 src0_sel:BYTE_0 src1_sel:DWORD
	v_cmp_eq_u16_sdwa s[16:17], v57, v9 src0_sel:BYTE_0 src1_sel:DWORD
	v_cmp_eq_u16_sdwa s[18:19], v58, v9 src0_sel:BYTE_0 src1_sel:DWORD
	v_cndmask_b32_e64 v2, v40, v2, s[14:15]
	;; [unrolled: 9-line block ×6, first 2 shown]
	v_add_f32_e32 v2, v29, v2
	v_cndmask_b32_e64 v2, v29, v2, s[42:43]
	v_add_f32_e32 v2, v26, v2
	v_cndmask_b32_e64 v2, v26, v2, s[12:13]
	v_add_f32_e32 v2, v16, v2
	v_cmp_eq_u16_sdwa s[44:45], v11, v9 src0_sel:BYTE_0 src1_sel:DWORD
	v_and_b32_e32 v3, 0xff, v1
	s_nop 0
	v_cndmask_b32_e64 v6, v16, v2, s[44:45]
	v_or_b32_e32 v2, v18, v68
	v_or_b32_e32 v2, v2, v67
	v_or_b32_e32 v2, v2, v66
	v_or_b32_e32 v2, v2, v65
	v_or_b32_e32 v2, v2, v64
	v_or_b32_e32 v2, v2, v63
	v_or_b32_e32 v2, v2, v62
	v_or_b32_e32 v2, v2, v61
	v_or_b32_e32 v2, v2, v60
	v_or_b32_e32 v2, v2, v59
	v_or_b32_e32 v2, v2, v58
	v_or_b32_e32 v2, v2, v57
	v_or_b32_e32 v2, v2, v56
	v_or_b32_e32 v2, v2, v55
	v_or_b32_e32 v2, v2, v54
	v_or_b32_e32 v2, v2, v53
	v_or_b32_e32 v2, v2, v51
	v_or_b32_e32 v2, v2, v50
	v_or_b32_e32 v2, v2, v49
	v_and_b32_e32 v2, 1, v2
	v_cmp_eq_u32_e64 s[44:45], 1, v2
	v_add_lshl_u32 v2, v17, v0, 3
	s_nop 0
	v_cndmask_b32_e64 v7, v3, 1, s[44:45]
	v_cmp_gt_u32_e64 s[44:45], 64, v0
	ds_write_b32 v2, v6
	ds_write_b8 v2, v7 offset:4
	s_waitcnt lgkmcnt(0)
	s_barrier
	s_and_saveexec_b64 s[46:47], s[44:45]
	s_cbranch_execz .LBB1429_226
; %bb.213:
	v_lshrrev_b32_e32 v2, 3, v0
	v_add_lshl_u32 v5, v2, v10, 3
	ds_read2_b32 v[12:13], v5 offset0:2 offset1:4
	ds_read_b64 v[2:3], v5
	ds_read_u8 v11, v5 offset:12
	ds_read_u8 v14, v5 offset:20
	ds_read_b32 v16, v5 offset:24
	ds_read_u8 v17, v5 offset:28
	s_waitcnt lgkmcnt(4)
	v_add_f32_e32 v8, v2, v12
	s_waitcnt lgkmcnt(3)
	v_cmp_eq_u16_sdwa s[44:45], v11, v9 src0_sel:BYTE_0 src1_sel:DWORD
	v_and_b32_e32 v15, 0xffffff00, v3
	s_nop 0
	v_cndmask_b32_e64 v12, v12, v8, s[44:45]
	v_add_f32_e32 v12, v13, v12
	s_waitcnt lgkmcnt(2)
	v_cmp_eq_u16_sdwa s[44:45], v14, v9 src0_sel:BYTE_0 src1_sel:DWORD
	v_and_b32_e32 v8, 1, v3
	s_nop 0
	v_cndmask_b32_e64 v9, v13, v12, s[44:45]
	s_waitcnt lgkmcnt(0)
	v_or_b32_e32 v12, v17, v14
	v_or_b32_e32 v11, v12, v11
	v_add_f32_e32 v9, v16, v9
	v_cmp_eq_u16_e64 s[44:45], 0, v17
	v_and_b32_e32 v11, 1, v11
	s_nop 0
	v_cndmask_b32_e64 v9, v16, v9, s[44:45]
	v_cmp_eq_u32_e64 s[44:45], 1, v11
	v_mbcnt_lo_u32_b32 v11, -1, 0
	v_mbcnt_hi_u32_b32 v11, -1, v11
	v_cndmask_b32_e64 v13, v8, 1, s[44:45]
	v_or_b32_e32 v12, v13, v15
	v_and_b32_e32 v14, 15, v11
	v_mov_b32_dpp v17, v9 row_shr:1 row_mask:0xf bank_mask:0xf
	v_mov_b32_dpp v16, v12 row_shr:1 row_mask:0xf bank_mask:0xf
	v_cmp_ne_u32_e64 s[44:45], 0, v14
	s_and_saveexec_b64 s[48:49], s[44:45]
; %bb.214:
	v_add_f32_e32 v12, v9, v17
	v_cmp_eq_u32_e64 s[44:45], 0, v13
	s_nop 1
	v_cndmask_b32_e64 v9, v9, v12, s[44:45]
	v_and_b32_e32 v12, 1, v13
	v_and_b32_e32 v13, 1, v16
	v_cmp_eq_u32_e64 s[44:45], 1, v12
	s_nop 1
	v_cndmask_b32_e64 v13, v13, 1, s[44:45]
	v_or_b32_e32 v12, v13, v15
; %bb.215:
	s_or_b64 exec, exec, s[48:49]
	v_mov_b32_dpp v16, v9 row_shr:2 row_mask:0xf bank_mask:0xf
	v_mov_b32_dpp v15, v12 row_shr:2 row_mask:0xf bank_mask:0xf
	v_cmp_lt_u32_e64 s[44:45], 1, v14
	s_and_saveexec_b64 s[48:49], s[44:45]
; %bb.216:
	v_add_f32_e32 v16, v9, v16
	v_cmp_eq_u32_e64 s[44:45], 0, v13
	v_and_b32_e32 v13, 1, v13
	v_and_b32_e32 v15, 1, v15
	v_cndmask_b32_e64 v9, v9, v16, s[44:45]
	v_cmp_eq_u32_e64 s[44:45], 1, v13
	s_nop 1
	v_cndmask_b32_e64 v13, v15, 1, s[44:45]
	s_movk_i32 s44, 0xff00
	v_and_or_b32 v12, v12, s44, v13
; %bb.217:
	s_or_b64 exec, exec, s[48:49]
	v_mov_b32_dpp v16, v9 row_shr:4 row_mask:0xf bank_mask:0xf
	v_mov_b32_dpp v15, v12 row_shr:4 row_mask:0xf bank_mask:0xf
	v_cmp_lt_u32_e64 s[44:45], 3, v14
	s_and_saveexec_b64 s[48:49], s[44:45]
; %bb.218:
	v_add_f32_e32 v16, v9, v16
	v_cmp_eq_u32_e64 s[44:45], 0, v13
	v_and_b32_e32 v13, 1, v13
	v_and_b32_e32 v15, 1, v15
	v_cndmask_b32_e64 v9, v9, v16, s[44:45]
	v_cmp_eq_u32_e64 s[44:45], 1, v13
	s_nop 1
	v_cndmask_b32_e64 v13, v15, 1, s[44:45]
	s_movk_i32 s44, 0xff00
	v_and_or_b32 v12, v12, s44, v13
; %bb.219:
	s_or_b64 exec, exec, s[48:49]
	v_mov_b32_dpp v16, v9 row_shr:8 row_mask:0xf bank_mask:0xf
	v_mov_b32_dpp v15, v12 row_shr:8 row_mask:0xf bank_mask:0xf
	v_cmp_lt_u32_e64 s[44:45], 7, v14
	s_and_saveexec_b64 s[48:49], s[44:45]
; %bb.220:
	v_add_f32_e32 v14, v9, v16
	v_cmp_eq_u32_e64 s[44:45], 0, v13
	v_and_b32_e32 v13, 1, v13
	s_nop 0
	v_cndmask_b32_e64 v9, v9, v14, s[44:45]
	v_and_b32_e32 v14, 1, v15
	v_cmp_eq_u32_e64 s[44:45], 1, v13
	s_nop 1
	v_cndmask_b32_e64 v13, v14, 1, s[44:45]
	s_movk_i32 s44, 0xff00
	v_and_or_b32 v12, v12, s44, v13
; %bb.221:
	s_or_b64 exec, exec, s[48:49]
	v_and_b32_e32 v16, 16, v11
	v_mov_b32_dpp v15, v9 row_bcast:15 row_mask:0xf bank_mask:0xf
	v_mov_b32_dpp v14, v12 row_bcast:15 row_mask:0xf bank_mask:0xf
	v_cmp_ne_u32_e64 s[44:45], 0, v16
	s_and_saveexec_b64 s[48:49], s[44:45]
; %bb.222:
	v_add_f32_e32 v15, v9, v15
	v_cmp_eq_u32_e64 s[44:45], 0, v13
	v_and_b32_e32 v13, 1, v13
	v_and_b32_e32 v14, 1, v14
	v_cndmask_b32_e64 v9, v9, v15, s[44:45]
	v_cmp_eq_u32_e64 s[44:45], 1, v13
	s_nop 1
	v_cndmask_b32_e64 v13, v14, 1, s[44:45]
	s_movk_i32 s44, 0xff00
	v_and_or_b32 v12, v12, s44, v13
; %bb.223:
	s_or_b64 exec, exec, s[48:49]
	v_mov_b32_dpp v15, v9 row_bcast:31 row_mask:0xf bank_mask:0xf
	v_mov_b32_dpp v14, v12 row_bcast:31 row_mask:0xf bank_mask:0xf
	v_cmp_lt_u32_e64 s[44:45], 31, v11
	s_and_saveexec_b64 s[48:49], s[44:45]
; %bb.224:
	v_add_f32_e32 v15, v9, v15
	v_cmp_eq_u32_e64 s[44:45], 0, v13
	v_and_b32_e32 v13, 1, v13
	v_and_b32_e32 v14, 1, v14
	v_cndmask_b32_e64 v9, v9, v15, s[44:45]
	v_cmp_eq_u32_e64 s[44:45], 1, v13
	s_nop 1
	v_cndmask_b32_e64 v13, v14, 1, s[44:45]
	s_movk_i32 s44, 0xff00
	v_and_or_b32 v12, v12, s44, v13
; %bb.225:
	s_or_b64 exec, exec, s[48:49]
	v_add_u32_e32 v13, -1, v11
	v_and_b32_e32 v14, 64, v11
	v_cmp_lt_i32_e64 s[44:45], v13, v14
	; wave barrier
	s_nop 1
	v_cndmask_b32_e64 v11, v13, v11, s[44:45]
	v_lshlrev_b32_e32 v11, 2, v11
	ds_bpermute_b32 v9, v11, v9
	ds_bpermute_b32 v11, v11, v12
	v_mov_b32_e32 v12, 0
	v_cmp_eq_u32_sdwa s[44:45], v3, v12 src0_sel:BYTE_0 src1_sel:DWORD
	s_waitcnt lgkmcnt(1)
	v_add_f32_e32 v9, v2, v9
	v_cndmask_b32_e64 v2, v2, v9, s[44:45]
	s_waitcnt lgkmcnt(0)
	v_and_b32_e32 v3, 1, v11
	v_cmp_eq_u32_e64 s[44:45], 1, v8
	s_nop 1
	v_cndmask_b32_e64 v3, v3, 1, s[44:45]
	v_cmp_eq_u32_e64 s[44:45], 0, v0
	s_nop 1
	v_cndmask_b32_e64 v6, v2, v6, s[44:45]
	v_cndmask_b32_e64 v7, v3, v7, s[44:45]
	ds_write_b32 v5, v6
	ds_write_b8 v5, v7 offset:4
	; wave barrier
	ds_read2_b32 v[2:3], v5 offset0:2 offset1:4
	ds_read_u8 v8, v5 offset:12
	ds_read_u8 v9, v5 offset:20
	ds_read_b32 v11, v5 offset:24
	ds_read_u8 v12, v5 offset:28
	s_waitcnt lgkmcnt(4)
	v_add_f32_e32 v6, v6, v2
	s_waitcnt lgkmcnt(3)
	v_cmp_eq_u16_e64 s[44:45], 0, v8
	s_nop 1
	v_cndmask_b32_e64 v2, v2, v6, s[44:45]
	v_and_b32_e32 v6, 1, v8
	v_cmp_eq_u32_e64 s[44:45], 1, v6
	s_nop 1
	v_cndmask_b32_e64 v6, v7, 1, s[44:45]
	v_add_f32_e32 v7, v2, v3
	s_waitcnt lgkmcnt(2)
	v_cmp_eq_u16_e64 s[44:45], 0, v9
	ds_write_b8 v5, v6 offset:12
	s_nop 0
	v_cndmask_b32_e64 v3, v3, v7, s[44:45]
	v_and_b32_e32 v7, 1, v9
	v_cmp_eq_u32_e64 s[44:45], 1, v7
	s_nop 1
	v_cndmask_b32_e64 v6, v6, 1, s[44:45]
	ds_write2_b32 v5, v2, v3 offset0:2 offset1:4
	ds_write_b8 v5, v6 offset:20
	s_waitcnt lgkmcnt(4)
	v_add_f32_e32 v2, v3, v11
	s_waitcnt lgkmcnt(3)
	v_cmp_eq_u16_e64 s[44:45], 0, v12
	v_and_b32_e32 v3, 1, v12
	s_nop 0
	v_cndmask_b32_e64 v2, v11, v2, s[44:45]
	v_cmp_eq_u32_e64 s[44:45], 1, v3
	s_nop 1
	v_cndmask_b32_e64 v3, v6, 1, s[44:45]
	ds_write_b32 v5, v2 offset:24
	ds_write_b8 v5, v3 offset:28
.LBB1429_226:
	s_or_b64 exec, exec, s[46:47]
	v_cmp_eq_u32_e64 s[44:45], 0, v0
	v_cmp_ne_u32_e64 s[46:47], 0, v0
	s_waitcnt vmcnt(0)
	v_mov_b32_e32 v47, v4
	s_waitcnt lgkmcnt(0)
	s_barrier
	s_and_saveexec_b64 s[48:49], s[46:47]
	s_cbranch_execz .LBB1429_228
; %bb.227:
	v_add_u32_e32 v2, -1, v0
	v_lshrrev_b32_e32 v3, 5, v2
	v_add_lshl_u32 v2, v3, v2, 3
	ds_read_b32 v3, v2
	ds_read_u8 v2, v2 offset:4
	s_waitcnt lgkmcnt(1)
	v_add_f32_e32 v5, v4, v3
	s_waitcnt lgkmcnt(0)
	v_cmp_eq_u16_e64 s[46:47], 0, v2
	s_nop 1
	v_cndmask_b32_e64 v47, v3, v5, s[46:47]
.LBB1429_228:
	s_or_b64 exec, exec, s[48:49]
	v_mov_b32_e32 v5, 0
	v_add_f32_e32 v2, v48, v47
	v_cmp_eq_u16_sdwa s[46:47], v1, v5 src0_sel:BYTE_0 src1_sel:DWORD
	s_nop 1
	v_cndmask_b32_e64 v70, v48, v2, s[46:47]
	v_add_f32_e32 v1, v24, v70
	v_cndmask_b32_e32 v71, v24, v1, vcc
	v_add_f32_e32 v1, v46, v71
	v_cndmask_b32_e64 v72, v46, v1, s[2:3]
	v_add_f32_e32 v1, v44, v72
	v_cndmask_b32_e64 v73, v44, v1, s[4:5]
	;; [unrolled: 2-line block ×19, first 2 shown]
	v_add_f32_e32 v1, v26, v90
	s_and_saveexec_b64 s[2:3], s[44:45]
	s_cbranch_execz .LBB1429_230
; %bb.229:
	ds_read_b32 v2, v5 offset:2096
	ds_read_u8 v3, v5 offset:2100
	s_add_u32 s4, s56, 0x400
	s_addc_u32 s5, s57, 0
	v_mov_b64_e32 v[6:7], s[4:5]
	s_waitcnt lgkmcnt(1)
	v_add_f32_e32 v4, v4, v2
	s_waitcnt lgkmcnt(0)
	v_cmp_eq_u16_e32 vcc, 0, v3
	v_and_b32_e32 v3, 0xffff, v3
	s_nop 0
	v_cndmask_b32_e32 v2, v2, v4, vcc
	v_mov_b32_e32 v4, 2
	;;#ASMSTART
	global_store_dwordx4 v[6:7], v[2:5] off sc1	
s_waitcnt vmcnt(0)
	;;#ASMEND
.LBB1429_230:
	s_or_b64 exec, exec, s[2:3]
	v_cndmask_b32_e64 v91, v26, v1, s[12:13]
.LBB1429_231:
	s_add_u32 s2, s54, s64
	s_addc_u32 s3, s55, s65
	s_add_u32 s2, s2, s52
	s_addc_u32 s3, s3, s53
	s_and_b64 vcc, exec, s[0:1]
	s_cbranch_vccz .LBB1429_277
; %bb.232:
	s_movk_i32 s0, 0x5c
	v_mul_i32_i24_e32 v28, 0xffffffa8, v0
	v_mul_u32_u24_e32 v1, 0x5c, v0
	v_mad_u32_u24 v2, v0, s0, v28
	s_barrier
	ds_write2_b32 v1, v47, v70 offset1:1
	ds_write2_b32 v1, v71, v72 offset0:2 offset1:3
	ds_write2_b32 v1, v73, v74 offset0:4 offset1:5
	;; [unrolled: 1-line block ×10, first 2 shown]
	ds_write_b32 v1, v91 offset:88
	s_waitcnt lgkmcnt(0)
	s_barrier
	ds_read2st64_b32 v[26:27], v2 offset0:4 offset1:8
	ds_read2st64_b32 v[24:25], v2 offset0:12 offset1:16
	;; [unrolled: 1-line block ×11, first 2 shown]
	s_add_i32 s33, s33, s58
	v_mov_b32_e32 v11, 0
	v_lshl_add_u64 v[4:5], s[2:3], 0, v[10:11]
	v_cmp_gt_u32_e32 vcc, s33, v0
	s_and_saveexec_b64 s[0:1], vcc
	s_cbranch_execz .LBB1429_234
; %bb.233:
	v_add_u32_e32 v1, v1, v28
	ds_read_b32 v1, v1
	s_waitcnt lgkmcnt(0)
	flat_store_dword v[4:5], v1
.LBB1429_234:
	s_or_b64 exec, exec, s[0:1]
	v_or_b32_e32 v1, 0x100, v0
	v_cmp_gt_u32_e32 vcc, s33, v1
	s_and_saveexec_b64 s[0:1], vcc
	s_cbranch_execz .LBB1429_236
; %bb.235:
	s_waitcnt lgkmcnt(0)
	flat_store_dword v[4:5], v26 offset:1024
.LBB1429_236:
	s_or_b64 exec, exec, s[0:1]
	v_or_b32_e32 v1, 0x200, v0
	v_cmp_gt_u32_e32 vcc, s33, v1
	s_and_saveexec_b64 s[0:1], vcc
	s_cbranch_execz .LBB1429_238
; %bb.237:
	s_waitcnt lgkmcnt(0)
	flat_store_dword v[4:5], v27 offset:2048
.LBB1429_238:
	s_or_b64 exec, exec, s[0:1]
	v_or_b32_e32 v1, 0x300, v0
	v_cmp_gt_u32_e32 vcc, s33, v1
	s_and_saveexec_b64 s[0:1], vcc
	s_cbranch_execz .LBB1429_240
; %bb.239:
	s_waitcnt lgkmcnt(0)
	flat_store_dword v[4:5], v24 offset:3072
.LBB1429_240:
	s_or_b64 exec, exec, s[0:1]
	v_or_b32_e32 v1, 0x400, v0
	v_cmp_gt_u32_e32 vcc, s33, v1
	s_and_saveexec_b64 s[0:1], vcc
	s_cbranch_execz .LBB1429_242
; %bb.241:
	s_waitcnt lgkmcnt(0)
	v_add_co_u32_e32 v26, vcc, 0x1000, v4
	s_nop 1
	v_addc_co_u32_e32 v27, vcc, 0, v5, vcc
	flat_store_dword v[26:27], v25
.LBB1429_242:
	s_or_b64 exec, exec, s[0:1]
	v_or_b32_e32 v1, 0x500, v0
	v_cmp_gt_u32_e32 vcc, s33, v1
	s_and_saveexec_b64 s[0:1], vcc
	s_cbranch_execz .LBB1429_244
; %bb.243:
	s_waitcnt lgkmcnt(0)
	v_add_co_u32_e32 v24, vcc, 0x1000, v4
	s_nop 1
	v_addc_co_u32_e32 v25, vcc, 0, v5, vcc
	flat_store_dword v[24:25], v22 offset:1024
.LBB1429_244:
	s_or_b64 exec, exec, s[0:1]
	v_or_b32_e32 v1, 0x600, v0
	v_cmp_gt_u32_e32 vcc, s33, v1
	s_and_saveexec_b64 s[0:1], vcc
	s_cbranch_execz .LBB1429_246
; %bb.245:
	s_waitcnt lgkmcnt(0)
	v_add_co_u32_e32 v24, vcc, 0x1000, v4
	s_nop 1
	v_addc_co_u32_e32 v25, vcc, 0, v5, vcc
	flat_store_dword v[24:25], v23 offset:2048
.LBB1429_246:
	s_or_b64 exec, exec, s[0:1]
	v_or_b32_e32 v1, 0x700, v0
	v_cmp_gt_u32_e32 vcc, s33, v1
	s_and_saveexec_b64 s[0:1], vcc
	s_cbranch_execz .LBB1429_248
; %bb.247:
	s_waitcnt lgkmcnt(0)
	v_add_co_u32_e32 v22, vcc, 0x1000, v4
	s_nop 1
	v_addc_co_u32_e32 v23, vcc, 0, v5, vcc
	flat_store_dword v[22:23], v20 offset:3072
.LBB1429_248:
	s_or_b64 exec, exec, s[0:1]
	v_or_b32_e32 v1, 0x800, v0
	v_cmp_gt_u32_e32 vcc, s33, v1
	s_and_saveexec_b64 s[0:1], vcc
	s_cbranch_execz .LBB1429_250
; %bb.249:
	s_waitcnt lgkmcnt(0)
	v_add_co_u32_e32 v22, vcc, 0x2000, v4
	s_nop 1
	v_addc_co_u32_e32 v23, vcc, 0, v5, vcc
	flat_store_dword v[22:23], v21
.LBB1429_250:
	s_or_b64 exec, exec, s[0:1]
	v_or_b32_e32 v1, 0x900, v0
	v_cmp_gt_u32_e32 vcc, s33, v1
	s_and_saveexec_b64 s[0:1], vcc
	s_cbranch_execz .LBB1429_252
; %bb.251:
	s_waitcnt lgkmcnt(0)
	v_add_co_u32_e32 v20, vcc, 0x2000, v4
	s_nop 1
	v_addc_co_u32_e32 v21, vcc, 0, v5, vcc
	flat_store_dword v[20:21], v18 offset:1024
.LBB1429_252:
	s_or_b64 exec, exec, s[0:1]
	v_or_b32_e32 v1, 0xa00, v0
	v_cmp_gt_u32_e32 vcc, s33, v1
	s_and_saveexec_b64 s[0:1], vcc
	s_cbranch_execz .LBB1429_254
; %bb.253:
	s_waitcnt lgkmcnt(0)
	v_add_co_u32_e32 v20, vcc, 0x2000, v4
	s_nop 1
	v_addc_co_u32_e32 v21, vcc, 0, v5, vcc
	flat_store_dword v[20:21], v19 offset:2048
.LBB1429_254:
	s_or_b64 exec, exec, s[0:1]
	v_or_b32_e32 v1, 0xb00, v0
	v_cmp_gt_u32_e32 vcc, s33, v1
	s_and_saveexec_b64 s[0:1], vcc
	s_cbranch_execz .LBB1429_256
; %bb.255:
	s_waitcnt lgkmcnt(0)
	v_add_co_u32_e32 v18, vcc, 0x2000, v4
	s_nop 1
	v_addc_co_u32_e32 v19, vcc, 0, v5, vcc
	flat_store_dword v[18:19], v16 offset:3072
.LBB1429_256:
	;; [unrolled: 48-line block ×4, first 2 shown]
	s_or_b64 exec, exec, s[0:1]
	v_or_b32_e32 v1, 0x1400, v0
	v_cmp_gt_u32_e32 vcc, s33, v1
	s_and_saveexec_b64 s[0:1], vcc
	s_cbranch_execz .LBB1429_274
; %bb.273:
	s_waitcnt lgkmcnt(0)
	v_add_co_u32_e32 v8, vcc, 0x5000, v4
	s_nop 1
	v_addc_co_u32_e32 v9, vcc, 0, v5, vcc
	flat_store_dword v[8:9], v7
.LBB1429_274:
	s_or_b64 exec, exec, s[0:1]
	v_or_b32_e32 v1, 0x1500, v0
	v_cmp_gt_u32_e32 vcc, s33, v1
	s_and_saveexec_b64 s[0:1], vcc
	s_cbranch_execz .LBB1429_276
; %bb.275:
	v_add_co_u32_e32 v4, vcc, 0x5000, v4
	s_nop 1
	v_addc_co_u32_e32 v5, vcc, 0, v5, vcc
	s_waitcnt lgkmcnt(0)
	flat_store_dword v[4:5], v2 offset:1024
.LBB1429_276:
	s_or_b64 exec, exec, s[0:1]
	s_waitcnt lgkmcnt(0)
	v_or_b32_e32 v2, 0x1600, v0
	v_mov_b32_e32 v1, v11
	v_cmp_gt_u32_e64 s[0:1], s33, v2
	s_branch .LBB1429_279
.LBB1429_277:
	s_mov_b64 s[0:1], 0
                                        ; implicit-def: $vgpr3
	s_cbranch_execz .LBB1429_279
; %bb.278:
	v_mul_u32_u24_e32 v1, 0x5c, v0
	s_barrier
	s_movk_i32 s4, 0x5c
	ds_write2_b32 v1, v47, v70 offset1:1
	ds_write2_b32 v1, v71, v72 offset0:2 offset1:3
	ds_write2_b32 v1, v73, v74 offset0:4 offset1:5
	;; [unrolled: 1-line block ×10, first 2 shown]
	ds_write_b32 v1, v91 offset:88
	v_mov_b32_e32 v1, 0
	v_mul_i32_i24_e32 v2, 0xffffffa8, v0
	v_mad_u32_u24 v2, v0, s4, v2
	v_mov_b32_e32 v11, v1
	s_waitcnt lgkmcnt(0)
	s_barrier
	ds_read2st64_b32 v[4:5], v2 offset1:4
	ds_read2st64_b32 v[6:7], v2 offset0:8 offset1:12
	ds_read2st64_b32 v[8:9], v2 offset0:16 offset1:20
	;; [unrolled: 1-line block ×10, first 2 shown]
	ds_read_b32 v3, v2 offset:22528
	v_lshl_add_u64 v[10:11], s[2:3], 0, v[10:11]
	s_movk_i32 s4, 0x1000
	s_waitcnt lgkmcnt(0)
	flat_store_dword v[10:11], v4
	flat_store_dword v[10:11], v5 offset:1024
	flat_store_dword v[10:11], v6 offset:2048
	;; [unrolled: 1-line block ×3, first 2 shown]
	v_add_co_u32_e32 v4, vcc, s4, v10
	s_movk_i32 s4, 0x2000
	s_nop 0
	v_addc_co_u32_e32 v5, vcc, 0, v11, vcc
	flat_store_dword v[4:5], v8
	flat_store_dword v[4:5], v9 offset:1024
	flat_store_dword v[4:5], v12 offset:2048
	;; [unrolled: 1-line block ×3, first 2 shown]
	v_add_co_u32_e32 v4, vcc, s4, v10
	s_movk_i32 s4, 0x3000
	s_nop 0
	v_addc_co_u32_e32 v5, vcc, 0, v11, vcc
	flat_store_dword v[4:5], v14
	flat_store_dword v[4:5], v15 offset:1024
	flat_store_dword v[4:5], v16 offset:2048
	;; [unrolled: 1-line block ×3, first 2 shown]
	v_add_co_u32_e32 v4, vcc, s4, v10
	s_or_b64 s[0:1], s[0:1], exec
	s_nop 0
	v_addc_co_u32_e32 v5, vcc, 0, v11, vcc
	flat_store_dword v[4:5], v18
	flat_store_dword v[4:5], v19 offset:1024
	flat_store_dword v[4:5], v20 offset:2048
	;; [unrolled: 1-line block ×3, first 2 shown]
	v_add_co_u32_e32 v4, vcc, 0x4000, v10
	s_nop 1
	v_addc_co_u32_e32 v5, vcc, 0, v11, vcc
	flat_store_dword v[4:5], v22
	flat_store_dword v[4:5], v23 offset:1024
	flat_store_dword v[4:5], v24 offset:2048
	;; [unrolled: 1-line block ×3, first 2 shown]
	v_add_co_u32_e32 v4, vcc, 0x5000, v10
	s_nop 1
	v_addc_co_u32_e32 v5, vcc, 0, v11, vcc
	flat_store_dword v[4:5], v26
	flat_store_dword v[4:5], v27 offset:1024
.LBB1429_279:
	s_and_saveexec_b64 s[4:5], s[0:1]
	s_cbranch_execz .LBB1429_281
; %bb.280:
	v_lshl_add_u64 v[0:1], v[0:1], 2, s[2:3]
	v_add_co_u32_e32 v0, vcc, 0x5000, v0
	s_nop 1
	v_addc_co_u32_e32 v1, vcc, 0, v1, vcc
	flat_store_dword v[0:1], v3 offset:2048
	s_endpgm
.LBB1429_281:
	s_endpgm
	.section	.rodata,"a",@progbits
	.p2align	6, 0x0
	.amdhsa_kernel _ZN7rocprim17ROCPRIM_400000_NS6detail17trampoline_kernelINS0_14default_configENS1_27scan_by_key_config_selectorIifEEZZNS1_16scan_by_key_implILNS1_25lookback_scan_determinismE0ELb1ES3_N6thrust23THRUST_200600_302600_NS6detail15normal_iteratorINS9_10device_ptrIiEEEENSB_INSC_IfEEEESG_fNS9_4plusIvEENS9_8equal_toIvEEfEE10hipError_tPvRmT2_T3_T4_T5_mT6_T7_P12ihipStream_tbENKUlT_T0_E_clISt17integral_constantIbLb0EES11_EEDaSW_SX_EUlSW_E_NS1_11comp_targetILNS1_3genE5ELNS1_11target_archE942ELNS1_3gpuE9ELNS1_3repE0EEENS1_30default_config_static_selectorELNS0_4arch9wavefront6targetE1EEEvT1_
		.amdhsa_group_segment_fixed_size 25600
		.amdhsa_private_segment_fixed_size 0
		.amdhsa_kernarg_size 112
		.amdhsa_user_sgpr_count 2
		.amdhsa_user_sgpr_dispatch_ptr 0
		.amdhsa_user_sgpr_queue_ptr 0
		.amdhsa_user_sgpr_kernarg_segment_ptr 1
		.amdhsa_user_sgpr_dispatch_id 0
		.amdhsa_user_sgpr_kernarg_preload_length 0
		.amdhsa_user_sgpr_kernarg_preload_offset 0
		.amdhsa_user_sgpr_private_segment_size 0
		.amdhsa_uses_dynamic_stack 0
		.amdhsa_enable_private_segment 0
		.amdhsa_system_sgpr_workgroup_id_x 1
		.amdhsa_system_sgpr_workgroup_id_y 0
		.amdhsa_system_sgpr_workgroup_id_z 0
		.amdhsa_system_sgpr_workgroup_info 0
		.amdhsa_system_vgpr_workitem_id 0
		.amdhsa_next_free_vgpr 92
		.amdhsa_next_free_sgpr 80
		.amdhsa_accum_offset 92
		.amdhsa_reserve_vcc 1
		.amdhsa_float_round_mode_32 0
		.amdhsa_float_round_mode_16_64 0
		.amdhsa_float_denorm_mode_32 3
		.amdhsa_float_denorm_mode_16_64 3
		.amdhsa_dx10_clamp 1
		.amdhsa_ieee_mode 1
		.amdhsa_fp16_overflow 0
		.amdhsa_tg_split 0
		.amdhsa_exception_fp_ieee_invalid_op 0
		.amdhsa_exception_fp_denorm_src 0
		.amdhsa_exception_fp_ieee_div_zero 0
		.amdhsa_exception_fp_ieee_overflow 0
		.amdhsa_exception_fp_ieee_underflow 0
		.amdhsa_exception_fp_ieee_inexact 0
		.amdhsa_exception_int_div_zero 0
	.end_amdhsa_kernel
	.section	.text._ZN7rocprim17ROCPRIM_400000_NS6detail17trampoline_kernelINS0_14default_configENS1_27scan_by_key_config_selectorIifEEZZNS1_16scan_by_key_implILNS1_25lookback_scan_determinismE0ELb1ES3_N6thrust23THRUST_200600_302600_NS6detail15normal_iteratorINS9_10device_ptrIiEEEENSB_INSC_IfEEEESG_fNS9_4plusIvEENS9_8equal_toIvEEfEE10hipError_tPvRmT2_T3_T4_T5_mT6_T7_P12ihipStream_tbENKUlT_T0_E_clISt17integral_constantIbLb0EES11_EEDaSW_SX_EUlSW_E_NS1_11comp_targetILNS1_3genE5ELNS1_11target_archE942ELNS1_3gpuE9ELNS1_3repE0EEENS1_30default_config_static_selectorELNS0_4arch9wavefront6targetE1EEEvT1_,"axG",@progbits,_ZN7rocprim17ROCPRIM_400000_NS6detail17trampoline_kernelINS0_14default_configENS1_27scan_by_key_config_selectorIifEEZZNS1_16scan_by_key_implILNS1_25lookback_scan_determinismE0ELb1ES3_N6thrust23THRUST_200600_302600_NS6detail15normal_iteratorINS9_10device_ptrIiEEEENSB_INSC_IfEEEESG_fNS9_4plusIvEENS9_8equal_toIvEEfEE10hipError_tPvRmT2_T3_T4_T5_mT6_T7_P12ihipStream_tbENKUlT_T0_E_clISt17integral_constantIbLb0EES11_EEDaSW_SX_EUlSW_E_NS1_11comp_targetILNS1_3genE5ELNS1_11target_archE942ELNS1_3gpuE9ELNS1_3repE0EEENS1_30default_config_static_selectorELNS0_4arch9wavefront6targetE1EEEvT1_,comdat
.Lfunc_end1429:
	.size	_ZN7rocprim17ROCPRIM_400000_NS6detail17trampoline_kernelINS0_14default_configENS1_27scan_by_key_config_selectorIifEEZZNS1_16scan_by_key_implILNS1_25lookback_scan_determinismE0ELb1ES3_N6thrust23THRUST_200600_302600_NS6detail15normal_iteratorINS9_10device_ptrIiEEEENSB_INSC_IfEEEESG_fNS9_4plusIvEENS9_8equal_toIvEEfEE10hipError_tPvRmT2_T3_T4_T5_mT6_T7_P12ihipStream_tbENKUlT_T0_E_clISt17integral_constantIbLb0EES11_EEDaSW_SX_EUlSW_E_NS1_11comp_targetILNS1_3genE5ELNS1_11target_archE942ELNS1_3gpuE9ELNS1_3repE0EEENS1_30default_config_static_selectorELNS0_4arch9wavefront6targetE1EEEvT1_, .Lfunc_end1429-_ZN7rocprim17ROCPRIM_400000_NS6detail17trampoline_kernelINS0_14default_configENS1_27scan_by_key_config_selectorIifEEZZNS1_16scan_by_key_implILNS1_25lookback_scan_determinismE0ELb1ES3_N6thrust23THRUST_200600_302600_NS6detail15normal_iteratorINS9_10device_ptrIiEEEENSB_INSC_IfEEEESG_fNS9_4plusIvEENS9_8equal_toIvEEfEE10hipError_tPvRmT2_T3_T4_T5_mT6_T7_P12ihipStream_tbENKUlT_T0_E_clISt17integral_constantIbLb0EES11_EEDaSW_SX_EUlSW_E_NS1_11comp_targetILNS1_3genE5ELNS1_11target_archE942ELNS1_3gpuE9ELNS1_3repE0EEENS1_30default_config_static_selectorELNS0_4arch9wavefront6targetE1EEEvT1_
                                        ; -- End function
	.section	.AMDGPU.csdata,"",@progbits
; Kernel info:
; codeLenInByte = 16348
; NumSgprs: 86
; NumVgprs: 92
; NumAgprs: 0
; TotalNumVgprs: 92
; ScratchSize: 0
; MemoryBound: 0
; FloatMode: 240
; IeeeMode: 1
; LDSByteSize: 25600 bytes/workgroup (compile time only)
; SGPRBlocks: 10
; VGPRBlocks: 11
; NumSGPRsForWavesPerEU: 86
; NumVGPRsForWavesPerEU: 92
; AccumOffset: 92
; Occupancy: 2
; WaveLimiterHint : 1
; COMPUTE_PGM_RSRC2:SCRATCH_EN: 0
; COMPUTE_PGM_RSRC2:USER_SGPR: 2
; COMPUTE_PGM_RSRC2:TRAP_HANDLER: 0
; COMPUTE_PGM_RSRC2:TGID_X_EN: 1
; COMPUTE_PGM_RSRC2:TGID_Y_EN: 0
; COMPUTE_PGM_RSRC2:TGID_Z_EN: 0
; COMPUTE_PGM_RSRC2:TIDIG_COMP_CNT: 0
; COMPUTE_PGM_RSRC3_GFX90A:ACCUM_OFFSET: 22
; COMPUTE_PGM_RSRC3_GFX90A:TG_SPLIT: 0
	.section	.text._ZN7rocprim17ROCPRIM_400000_NS6detail17trampoline_kernelINS0_14default_configENS1_27scan_by_key_config_selectorIifEEZZNS1_16scan_by_key_implILNS1_25lookback_scan_determinismE0ELb1ES3_N6thrust23THRUST_200600_302600_NS6detail15normal_iteratorINS9_10device_ptrIiEEEENSB_INSC_IfEEEESG_fNS9_4plusIvEENS9_8equal_toIvEEfEE10hipError_tPvRmT2_T3_T4_T5_mT6_T7_P12ihipStream_tbENKUlT_T0_E_clISt17integral_constantIbLb0EES11_EEDaSW_SX_EUlSW_E_NS1_11comp_targetILNS1_3genE4ELNS1_11target_archE910ELNS1_3gpuE8ELNS1_3repE0EEENS1_30default_config_static_selectorELNS0_4arch9wavefront6targetE1EEEvT1_,"axG",@progbits,_ZN7rocprim17ROCPRIM_400000_NS6detail17trampoline_kernelINS0_14default_configENS1_27scan_by_key_config_selectorIifEEZZNS1_16scan_by_key_implILNS1_25lookback_scan_determinismE0ELb1ES3_N6thrust23THRUST_200600_302600_NS6detail15normal_iteratorINS9_10device_ptrIiEEEENSB_INSC_IfEEEESG_fNS9_4plusIvEENS9_8equal_toIvEEfEE10hipError_tPvRmT2_T3_T4_T5_mT6_T7_P12ihipStream_tbENKUlT_T0_E_clISt17integral_constantIbLb0EES11_EEDaSW_SX_EUlSW_E_NS1_11comp_targetILNS1_3genE4ELNS1_11target_archE910ELNS1_3gpuE8ELNS1_3repE0EEENS1_30default_config_static_selectorELNS0_4arch9wavefront6targetE1EEEvT1_,comdat
	.protected	_ZN7rocprim17ROCPRIM_400000_NS6detail17trampoline_kernelINS0_14default_configENS1_27scan_by_key_config_selectorIifEEZZNS1_16scan_by_key_implILNS1_25lookback_scan_determinismE0ELb1ES3_N6thrust23THRUST_200600_302600_NS6detail15normal_iteratorINS9_10device_ptrIiEEEENSB_INSC_IfEEEESG_fNS9_4plusIvEENS9_8equal_toIvEEfEE10hipError_tPvRmT2_T3_T4_T5_mT6_T7_P12ihipStream_tbENKUlT_T0_E_clISt17integral_constantIbLb0EES11_EEDaSW_SX_EUlSW_E_NS1_11comp_targetILNS1_3genE4ELNS1_11target_archE910ELNS1_3gpuE8ELNS1_3repE0EEENS1_30default_config_static_selectorELNS0_4arch9wavefront6targetE1EEEvT1_ ; -- Begin function _ZN7rocprim17ROCPRIM_400000_NS6detail17trampoline_kernelINS0_14default_configENS1_27scan_by_key_config_selectorIifEEZZNS1_16scan_by_key_implILNS1_25lookback_scan_determinismE0ELb1ES3_N6thrust23THRUST_200600_302600_NS6detail15normal_iteratorINS9_10device_ptrIiEEEENSB_INSC_IfEEEESG_fNS9_4plusIvEENS9_8equal_toIvEEfEE10hipError_tPvRmT2_T3_T4_T5_mT6_T7_P12ihipStream_tbENKUlT_T0_E_clISt17integral_constantIbLb0EES11_EEDaSW_SX_EUlSW_E_NS1_11comp_targetILNS1_3genE4ELNS1_11target_archE910ELNS1_3gpuE8ELNS1_3repE0EEENS1_30default_config_static_selectorELNS0_4arch9wavefront6targetE1EEEvT1_
	.globl	_ZN7rocprim17ROCPRIM_400000_NS6detail17trampoline_kernelINS0_14default_configENS1_27scan_by_key_config_selectorIifEEZZNS1_16scan_by_key_implILNS1_25lookback_scan_determinismE0ELb1ES3_N6thrust23THRUST_200600_302600_NS6detail15normal_iteratorINS9_10device_ptrIiEEEENSB_INSC_IfEEEESG_fNS9_4plusIvEENS9_8equal_toIvEEfEE10hipError_tPvRmT2_T3_T4_T5_mT6_T7_P12ihipStream_tbENKUlT_T0_E_clISt17integral_constantIbLb0EES11_EEDaSW_SX_EUlSW_E_NS1_11comp_targetILNS1_3genE4ELNS1_11target_archE910ELNS1_3gpuE8ELNS1_3repE0EEENS1_30default_config_static_selectorELNS0_4arch9wavefront6targetE1EEEvT1_
	.p2align	8
	.type	_ZN7rocprim17ROCPRIM_400000_NS6detail17trampoline_kernelINS0_14default_configENS1_27scan_by_key_config_selectorIifEEZZNS1_16scan_by_key_implILNS1_25lookback_scan_determinismE0ELb1ES3_N6thrust23THRUST_200600_302600_NS6detail15normal_iteratorINS9_10device_ptrIiEEEENSB_INSC_IfEEEESG_fNS9_4plusIvEENS9_8equal_toIvEEfEE10hipError_tPvRmT2_T3_T4_T5_mT6_T7_P12ihipStream_tbENKUlT_T0_E_clISt17integral_constantIbLb0EES11_EEDaSW_SX_EUlSW_E_NS1_11comp_targetILNS1_3genE4ELNS1_11target_archE910ELNS1_3gpuE8ELNS1_3repE0EEENS1_30default_config_static_selectorELNS0_4arch9wavefront6targetE1EEEvT1_,@function
_ZN7rocprim17ROCPRIM_400000_NS6detail17trampoline_kernelINS0_14default_configENS1_27scan_by_key_config_selectorIifEEZZNS1_16scan_by_key_implILNS1_25lookback_scan_determinismE0ELb1ES3_N6thrust23THRUST_200600_302600_NS6detail15normal_iteratorINS9_10device_ptrIiEEEENSB_INSC_IfEEEESG_fNS9_4plusIvEENS9_8equal_toIvEEfEE10hipError_tPvRmT2_T3_T4_T5_mT6_T7_P12ihipStream_tbENKUlT_T0_E_clISt17integral_constantIbLb0EES11_EEDaSW_SX_EUlSW_E_NS1_11comp_targetILNS1_3genE4ELNS1_11target_archE910ELNS1_3gpuE8ELNS1_3repE0EEENS1_30default_config_static_selectorELNS0_4arch9wavefront6targetE1EEEvT1_: ; @_ZN7rocprim17ROCPRIM_400000_NS6detail17trampoline_kernelINS0_14default_configENS1_27scan_by_key_config_selectorIifEEZZNS1_16scan_by_key_implILNS1_25lookback_scan_determinismE0ELb1ES3_N6thrust23THRUST_200600_302600_NS6detail15normal_iteratorINS9_10device_ptrIiEEEENSB_INSC_IfEEEESG_fNS9_4plusIvEENS9_8equal_toIvEEfEE10hipError_tPvRmT2_T3_T4_T5_mT6_T7_P12ihipStream_tbENKUlT_T0_E_clISt17integral_constantIbLb0EES11_EEDaSW_SX_EUlSW_E_NS1_11comp_targetILNS1_3genE4ELNS1_11target_archE910ELNS1_3gpuE8ELNS1_3repE0EEENS1_30default_config_static_selectorELNS0_4arch9wavefront6targetE1EEEvT1_
; %bb.0:
	.section	.rodata,"a",@progbits
	.p2align	6, 0x0
	.amdhsa_kernel _ZN7rocprim17ROCPRIM_400000_NS6detail17trampoline_kernelINS0_14default_configENS1_27scan_by_key_config_selectorIifEEZZNS1_16scan_by_key_implILNS1_25lookback_scan_determinismE0ELb1ES3_N6thrust23THRUST_200600_302600_NS6detail15normal_iteratorINS9_10device_ptrIiEEEENSB_INSC_IfEEEESG_fNS9_4plusIvEENS9_8equal_toIvEEfEE10hipError_tPvRmT2_T3_T4_T5_mT6_T7_P12ihipStream_tbENKUlT_T0_E_clISt17integral_constantIbLb0EES11_EEDaSW_SX_EUlSW_E_NS1_11comp_targetILNS1_3genE4ELNS1_11target_archE910ELNS1_3gpuE8ELNS1_3repE0EEENS1_30default_config_static_selectorELNS0_4arch9wavefront6targetE1EEEvT1_
		.amdhsa_group_segment_fixed_size 0
		.amdhsa_private_segment_fixed_size 0
		.amdhsa_kernarg_size 112
		.amdhsa_user_sgpr_count 2
		.amdhsa_user_sgpr_dispatch_ptr 0
		.amdhsa_user_sgpr_queue_ptr 0
		.amdhsa_user_sgpr_kernarg_segment_ptr 1
		.amdhsa_user_sgpr_dispatch_id 0
		.amdhsa_user_sgpr_kernarg_preload_length 0
		.amdhsa_user_sgpr_kernarg_preload_offset 0
		.amdhsa_user_sgpr_private_segment_size 0
		.amdhsa_uses_dynamic_stack 0
		.amdhsa_enable_private_segment 0
		.amdhsa_system_sgpr_workgroup_id_x 1
		.amdhsa_system_sgpr_workgroup_id_y 0
		.amdhsa_system_sgpr_workgroup_id_z 0
		.amdhsa_system_sgpr_workgroup_info 0
		.amdhsa_system_vgpr_workitem_id 0
		.amdhsa_next_free_vgpr 1
		.amdhsa_next_free_sgpr 0
		.amdhsa_accum_offset 4
		.amdhsa_reserve_vcc 0
		.amdhsa_float_round_mode_32 0
		.amdhsa_float_round_mode_16_64 0
		.amdhsa_float_denorm_mode_32 3
		.amdhsa_float_denorm_mode_16_64 3
		.amdhsa_dx10_clamp 1
		.amdhsa_ieee_mode 1
		.amdhsa_fp16_overflow 0
		.amdhsa_tg_split 0
		.amdhsa_exception_fp_ieee_invalid_op 0
		.amdhsa_exception_fp_denorm_src 0
		.amdhsa_exception_fp_ieee_div_zero 0
		.amdhsa_exception_fp_ieee_overflow 0
		.amdhsa_exception_fp_ieee_underflow 0
		.amdhsa_exception_fp_ieee_inexact 0
		.amdhsa_exception_int_div_zero 0
	.end_amdhsa_kernel
	.section	.text._ZN7rocprim17ROCPRIM_400000_NS6detail17trampoline_kernelINS0_14default_configENS1_27scan_by_key_config_selectorIifEEZZNS1_16scan_by_key_implILNS1_25lookback_scan_determinismE0ELb1ES3_N6thrust23THRUST_200600_302600_NS6detail15normal_iteratorINS9_10device_ptrIiEEEENSB_INSC_IfEEEESG_fNS9_4plusIvEENS9_8equal_toIvEEfEE10hipError_tPvRmT2_T3_T4_T5_mT6_T7_P12ihipStream_tbENKUlT_T0_E_clISt17integral_constantIbLb0EES11_EEDaSW_SX_EUlSW_E_NS1_11comp_targetILNS1_3genE4ELNS1_11target_archE910ELNS1_3gpuE8ELNS1_3repE0EEENS1_30default_config_static_selectorELNS0_4arch9wavefront6targetE1EEEvT1_,"axG",@progbits,_ZN7rocprim17ROCPRIM_400000_NS6detail17trampoline_kernelINS0_14default_configENS1_27scan_by_key_config_selectorIifEEZZNS1_16scan_by_key_implILNS1_25lookback_scan_determinismE0ELb1ES3_N6thrust23THRUST_200600_302600_NS6detail15normal_iteratorINS9_10device_ptrIiEEEENSB_INSC_IfEEEESG_fNS9_4plusIvEENS9_8equal_toIvEEfEE10hipError_tPvRmT2_T3_T4_T5_mT6_T7_P12ihipStream_tbENKUlT_T0_E_clISt17integral_constantIbLb0EES11_EEDaSW_SX_EUlSW_E_NS1_11comp_targetILNS1_3genE4ELNS1_11target_archE910ELNS1_3gpuE8ELNS1_3repE0EEENS1_30default_config_static_selectorELNS0_4arch9wavefront6targetE1EEEvT1_,comdat
.Lfunc_end1430:
	.size	_ZN7rocprim17ROCPRIM_400000_NS6detail17trampoline_kernelINS0_14default_configENS1_27scan_by_key_config_selectorIifEEZZNS1_16scan_by_key_implILNS1_25lookback_scan_determinismE0ELb1ES3_N6thrust23THRUST_200600_302600_NS6detail15normal_iteratorINS9_10device_ptrIiEEEENSB_INSC_IfEEEESG_fNS9_4plusIvEENS9_8equal_toIvEEfEE10hipError_tPvRmT2_T3_T4_T5_mT6_T7_P12ihipStream_tbENKUlT_T0_E_clISt17integral_constantIbLb0EES11_EEDaSW_SX_EUlSW_E_NS1_11comp_targetILNS1_3genE4ELNS1_11target_archE910ELNS1_3gpuE8ELNS1_3repE0EEENS1_30default_config_static_selectorELNS0_4arch9wavefront6targetE1EEEvT1_, .Lfunc_end1430-_ZN7rocprim17ROCPRIM_400000_NS6detail17trampoline_kernelINS0_14default_configENS1_27scan_by_key_config_selectorIifEEZZNS1_16scan_by_key_implILNS1_25lookback_scan_determinismE0ELb1ES3_N6thrust23THRUST_200600_302600_NS6detail15normal_iteratorINS9_10device_ptrIiEEEENSB_INSC_IfEEEESG_fNS9_4plusIvEENS9_8equal_toIvEEfEE10hipError_tPvRmT2_T3_T4_T5_mT6_T7_P12ihipStream_tbENKUlT_T0_E_clISt17integral_constantIbLb0EES11_EEDaSW_SX_EUlSW_E_NS1_11comp_targetILNS1_3genE4ELNS1_11target_archE910ELNS1_3gpuE8ELNS1_3repE0EEENS1_30default_config_static_selectorELNS0_4arch9wavefront6targetE1EEEvT1_
                                        ; -- End function
	.section	.AMDGPU.csdata,"",@progbits
; Kernel info:
; codeLenInByte = 0
; NumSgprs: 6
; NumVgprs: 0
; NumAgprs: 0
; TotalNumVgprs: 0
; ScratchSize: 0
; MemoryBound: 0
; FloatMode: 240
; IeeeMode: 1
; LDSByteSize: 0 bytes/workgroup (compile time only)
; SGPRBlocks: 0
; VGPRBlocks: 0
; NumSGPRsForWavesPerEU: 6
; NumVGPRsForWavesPerEU: 1
; AccumOffset: 4
; Occupancy: 8
; WaveLimiterHint : 0
; COMPUTE_PGM_RSRC2:SCRATCH_EN: 0
; COMPUTE_PGM_RSRC2:USER_SGPR: 2
; COMPUTE_PGM_RSRC2:TRAP_HANDLER: 0
; COMPUTE_PGM_RSRC2:TGID_X_EN: 1
; COMPUTE_PGM_RSRC2:TGID_Y_EN: 0
; COMPUTE_PGM_RSRC2:TGID_Z_EN: 0
; COMPUTE_PGM_RSRC2:TIDIG_COMP_CNT: 0
; COMPUTE_PGM_RSRC3_GFX90A:ACCUM_OFFSET: 0
; COMPUTE_PGM_RSRC3_GFX90A:TG_SPLIT: 0
	.section	.text._ZN7rocprim17ROCPRIM_400000_NS6detail17trampoline_kernelINS0_14default_configENS1_27scan_by_key_config_selectorIifEEZZNS1_16scan_by_key_implILNS1_25lookback_scan_determinismE0ELb1ES3_N6thrust23THRUST_200600_302600_NS6detail15normal_iteratorINS9_10device_ptrIiEEEENSB_INSC_IfEEEESG_fNS9_4plusIvEENS9_8equal_toIvEEfEE10hipError_tPvRmT2_T3_T4_T5_mT6_T7_P12ihipStream_tbENKUlT_T0_E_clISt17integral_constantIbLb0EES11_EEDaSW_SX_EUlSW_E_NS1_11comp_targetILNS1_3genE3ELNS1_11target_archE908ELNS1_3gpuE7ELNS1_3repE0EEENS1_30default_config_static_selectorELNS0_4arch9wavefront6targetE1EEEvT1_,"axG",@progbits,_ZN7rocprim17ROCPRIM_400000_NS6detail17trampoline_kernelINS0_14default_configENS1_27scan_by_key_config_selectorIifEEZZNS1_16scan_by_key_implILNS1_25lookback_scan_determinismE0ELb1ES3_N6thrust23THRUST_200600_302600_NS6detail15normal_iteratorINS9_10device_ptrIiEEEENSB_INSC_IfEEEESG_fNS9_4plusIvEENS9_8equal_toIvEEfEE10hipError_tPvRmT2_T3_T4_T5_mT6_T7_P12ihipStream_tbENKUlT_T0_E_clISt17integral_constantIbLb0EES11_EEDaSW_SX_EUlSW_E_NS1_11comp_targetILNS1_3genE3ELNS1_11target_archE908ELNS1_3gpuE7ELNS1_3repE0EEENS1_30default_config_static_selectorELNS0_4arch9wavefront6targetE1EEEvT1_,comdat
	.protected	_ZN7rocprim17ROCPRIM_400000_NS6detail17trampoline_kernelINS0_14default_configENS1_27scan_by_key_config_selectorIifEEZZNS1_16scan_by_key_implILNS1_25lookback_scan_determinismE0ELb1ES3_N6thrust23THRUST_200600_302600_NS6detail15normal_iteratorINS9_10device_ptrIiEEEENSB_INSC_IfEEEESG_fNS9_4plusIvEENS9_8equal_toIvEEfEE10hipError_tPvRmT2_T3_T4_T5_mT6_T7_P12ihipStream_tbENKUlT_T0_E_clISt17integral_constantIbLb0EES11_EEDaSW_SX_EUlSW_E_NS1_11comp_targetILNS1_3genE3ELNS1_11target_archE908ELNS1_3gpuE7ELNS1_3repE0EEENS1_30default_config_static_selectorELNS0_4arch9wavefront6targetE1EEEvT1_ ; -- Begin function _ZN7rocprim17ROCPRIM_400000_NS6detail17trampoline_kernelINS0_14default_configENS1_27scan_by_key_config_selectorIifEEZZNS1_16scan_by_key_implILNS1_25lookback_scan_determinismE0ELb1ES3_N6thrust23THRUST_200600_302600_NS6detail15normal_iteratorINS9_10device_ptrIiEEEENSB_INSC_IfEEEESG_fNS9_4plusIvEENS9_8equal_toIvEEfEE10hipError_tPvRmT2_T3_T4_T5_mT6_T7_P12ihipStream_tbENKUlT_T0_E_clISt17integral_constantIbLb0EES11_EEDaSW_SX_EUlSW_E_NS1_11comp_targetILNS1_3genE3ELNS1_11target_archE908ELNS1_3gpuE7ELNS1_3repE0EEENS1_30default_config_static_selectorELNS0_4arch9wavefront6targetE1EEEvT1_
	.globl	_ZN7rocprim17ROCPRIM_400000_NS6detail17trampoline_kernelINS0_14default_configENS1_27scan_by_key_config_selectorIifEEZZNS1_16scan_by_key_implILNS1_25lookback_scan_determinismE0ELb1ES3_N6thrust23THRUST_200600_302600_NS6detail15normal_iteratorINS9_10device_ptrIiEEEENSB_INSC_IfEEEESG_fNS9_4plusIvEENS9_8equal_toIvEEfEE10hipError_tPvRmT2_T3_T4_T5_mT6_T7_P12ihipStream_tbENKUlT_T0_E_clISt17integral_constantIbLb0EES11_EEDaSW_SX_EUlSW_E_NS1_11comp_targetILNS1_3genE3ELNS1_11target_archE908ELNS1_3gpuE7ELNS1_3repE0EEENS1_30default_config_static_selectorELNS0_4arch9wavefront6targetE1EEEvT1_
	.p2align	8
	.type	_ZN7rocprim17ROCPRIM_400000_NS6detail17trampoline_kernelINS0_14default_configENS1_27scan_by_key_config_selectorIifEEZZNS1_16scan_by_key_implILNS1_25lookback_scan_determinismE0ELb1ES3_N6thrust23THRUST_200600_302600_NS6detail15normal_iteratorINS9_10device_ptrIiEEEENSB_INSC_IfEEEESG_fNS9_4plusIvEENS9_8equal_toIvEEfEE10hipError_tPvRmT2_T3_T4_T5_mT6_T7_P12ihipStream_tbENKUlT_T0_E_clISt17integral_constantIbLb0EES11_EEDaSW_SX_EUlSW_E_NS1_11comp_targetILNS1_3genE3ELNS1_11target_archE908ELNS1_3gpuE7ELNS1_3repE0EEENS1_30default_config_static_selectorELNS0_4arch9wavefront6targetE1EEEvT1_,@function
_ZN7rocprim17ROCPRIM_400000_NS6detail17trampoline_kernelINS0_14default_configENS1_27scan_by_key_config_selectorIifEEZZNS1_16scan_by_key_implILNS1_25lookback_scan_determinismE0ELb1ES3_N6thrust23THRUST_200600_302600_NS6detail15normal_iteratorINS9_10device_ptrIiEEEENSB_INSC_IfEEEESG_fNS9_4plusIvEENS9_8equal_toIvEEfEE10hipError_tPvRmT2_T3_T4_T5_mT6_T7_P12ihipStream_tbENKUlT_T0_E_clISt17integral_constantIbLb0EES11_EEDaSW_SX_EUlSW_E_NS1_11comp_targetILNS1_3genE3ELNS1_11target_archE908ELNS1_3gpuE7ELNS1_3repE0EEENS1_30default_config_static_selectorELNS0_4arch9wavefront6targetE1EEEvT1_: ; @_ZN7rocprim17ROCPRIM_400000_NS6detail17trampoline_kernelINS0_14default_configENS1_27scan_by_key_config_selectorIifEEZZNS1_16scan_by_key_implILNS1_25lookback_scan_determinismE0ELb1ES3_N6thrust23THRUST_200600_302600_NS6detail15normal_iteratorINS9_10device_ptrIiEEEENSB_INSC_IfEEEESG_fNS9_4plusIvEENS9_8equal_toIvEEfEE10hipError_tPvRmT2_T3_T4_T5_mT6_T7_P12ihipStream_tbENKUlT_T0_E_clISt17integral_constantIbLb0EES11_EEDaSW_SX_EUlSW_E_NS1_11comp_targetILNS1_3genE3ELNS1_11target_archE908ELNS1_3gpuE7ELNS1_3repE0EEENS1_30default_config_static_selectorELNS0_4arch9wavefront6targetE1EEEvT1_
; %bb.0:
	.section	.rodata,"a",@progbits
	.p2align	6, 0x0
	.amdhsa_kernel _ZN7rocprim17ROCPRIM_400000_NS6detail17trampoline_kernelINS0_14default_configENS1_27scan_by_key_config_selectorIifEEZZNS1_16scan_by_key_implILNS1_25lookback_scan_determinismE0ELb1ES3_N6thrust23THRUST_200600_302600_NS6detail15normal_iteratorINS9_10device_ptrIiEEEENSB_INSC_IfEEEESG_fNS9_4plusIvEENS9_8equal_toIvEEfEE10hipError_tPvRmT2_T3_T4_T5_mT6_T7_P12ihipStream_tbENKUlT_T0_E_clISt17integral_constantIbLb0EES11_EEDaSW_SX_EUlSW_E_NS1_11comp_targetILNS1_3genE3ELNS1_11target_archE908ELNS1_3gpuE7ELNS1_3repE0EEENS1_30default_config_static_selectorELNS0_4arch9wavefront6targetE1EEEvT1_
		.amdhsa_group_segment_fixed_size 0
		.amdhsa_private_segment_fixed_size 0
		.amdhsa_kernarg_size 112
		.amdhsa_user_sgpr_count 2
		.amdhsa_user_sgpr_dispatch_ptr 0
		.amdhsa_user_sgpr_queue_ptr 0
		.amdhsa_user_sgpr_kernarg_segment_ptr 1
		.amdhsa_user_sgpr_dispatch_id 0
		.amdhsa_user_sgpr_kernarg_preload_length 0
		.amdhsa_user_sgpr_kernarg_preload_offset 0
		.amdhsa_user_sgpr_private_segment_size 0
		.amdhsa_uses_dynamic_stack 0
		.amdhsa_enable_private_segment 0
		.amdhsa_system_sgpr_workgroup_id_x 1
		.amdhsa_system_sgpr_workgroup_id_y 0
		.amdhsa_system_sgpr_workgroup_id_z 0
		.amdhsa_system_sgpr_workgroup_info 0
		.amdhsa_system_vgpr_workitem_id 0
		.amdhsa_next_free_vgpr 1
		.amdhsa_next_free_sgpr 0
		.amdhsa_accum_offset 4
		.amdhsa_reserve_vcc 0
		.amdhsa_float_round_mode_32 0
		.amdhsa_float_round_mode_16_64 0
		.amdhsa_float_denorm_mode_32 3
		.amdhsa_float_denorm_mode_16_64 3
		.amdhsa_dx10_clamp 1
		.amdhsa_ieee_mode 1
		.amdhsa_fp16_overflow 0
		.amdhsa_tg_split 0
		.amdhsa_exception_fp_ieee_invalid_op 0
		.amdhsa_exception_fp_denorm_src 0
		.amdhsa_exception_fp_ieee_div_zero 0
		.amdhsa_exception_fp_ieee_overflow 0
		.amdhsa_exception_fp_ieee_underflow 0
		.amdhsa_exception_fp_ieee_inexact 0
		.amdhsa_exception_int_div_zero 0
	.end_amdhsa_kernel
	.section	.text._ZN7rocprim17ROCPRIM_400000_NS6detail17trampoline_kernelINS0_14default_configENS1_27scan_by_key_config_selectorIifEEZZNS1_16scan_by_key_implILNS1_25lookback_scan_determinismE0ELb1ES3_N6thrust23THRUST_200600_302600_NS6detail15normal_iteratorINS9_10device_ptrIiEEEENSB_INSC_IfEEEESG_fNS9_4plusIvEENS9_8equal_toIvEEfEE10hipError_tPvRmT2_T3_T4_T5_mT6_T7_P12ihipStream_tbENKUlT_T0_E_clISt17integral_constantIbLb0EES11_EEDaSW_SX_EUlSW_E_NS1_11comp_targetILNS1_3genE3ELNS1_11target_archE908ELNS1_3gpuE7ELNS1_3repE0EEENS1_30default_config_static_selectorELNS0_4arch9wavefront6targetE1EEEvT1_,"axG",@progbits,_ZN7rocprim17ROCPRIM_400000_NS6detail17trampoline_kernelINS0_14default_configENS1_27scan_by_key_config_selectorIifEEZZNS1_16scan_by_key_implILNS1_25lookback_scan_determinismE0ELb1ES3_N6thrust23THRUST_200600_302600_NS6detail15normal_iteratorINS9_10device_ptrIiEEEENSB_INSC_IfEEEESG_fNS9_4plusIvEENS9_8equal_toIvEEfEE10hipError_tPvRmT2_T3_T4_T5_mT6_T7_P12ihipStream_tbENKUlT_T0_E_clISt17integral_constantIbLb0EES11_EEDaSW_SX_EUlSW_E_NS1_11comp_targetILNS1_3genE3ELNS1_11target_archE908ELNS1_3gpuE7ELNS1_3repE0EEENS1_30default_config_static_selectorELNS0_4arch9wavefront6targetE1EEEvT1_,comdat
.Lfunc_end1431:
	.size	_ZN7rocprim17ROCPRIM_400000_NS6detail17trampoline_kernelINS0_14default_configENS1_27scan_by_key_config_selectorIifEEZZNS1_16scan_by_key_implILNS1_25lookback_scan_determinismE0ELb1ES3_N6thrust23THRUST_200600_302600_NS6detail15normal_iteratorINS9_10device_ptrIiEEEENSB_INSC_IfEEEESG_fNS9_4plusIvEENS9_8equal_toIvEEfEE10hipError_tPvRmT2_T3_T4_T5_mT6_T7_P12ihipStream_tbENKUlT_T0_E_clISt17integral_constantIbLb0EES11_EEDaSW_SX_EUlSW_E_NS1_11comp_targetILNS1_3genE3ELNS1_11target_archE908ELNS1_3gpuE7ELNS1_3repE0EEENS1_30default_config_static_selectorELNS0_4arch9wavefront6targetE1EEEvT1_, .Lfunc_end1431-_ZN7rocprim17ROCPRIM_400000_NS6detail17trampoline_kernelINS0_14default_configENS1_27scan_by_key_config_selectorIifEEZZNS1_16scan_by_key_implILNS1_25lookback_scan_determinismE0ELb1ES3_N6thrust23THRUST_200600_302600_NS6detail15normal_iteratorINS9_10device_ptrIiEEEENSB_INSC_IfEEEESG_fNS9_4plusIvEENS9_8equal_toIvEEfEE10hipError_tPvRmT2_T3_T4_T5_mT6_T7_P12ihipStream_tbENKUlT_T0_E_clISt17integral_constantIbLb0EES11_EEDaSW_SX_EUlSW_E_NS1_11comp_targetILNS1_3genE3ELNS1_11target_archE908ELNS1_3gpuE7ELNS1_3repE0EEENS1_30default_config_static_selectorELNS0_4arch9wavefront6targetE1EEEvT1_
                                        ; -- End function
	.section	.AMDGPU.csdata,"",@progbits
; Kernel info:
; codeLenInByte = 0
; NumSgprs: 6
; NumVgprs: 0
; NumAgprs: 0
; TotalNumVgprs: 0
; ScratchSize: 0
; MemoryBound: 0
; FloatMode: 240
; IeeeMode: 1
; LDSByteSize: 0 bytes/workgroup (compile time only)
; SGPRBlocks: 0
; VGPRBlocks: 0
; NumSGPRsForWavesPerEU: 6
; NumVGPRsForWavesPerEU: 1
; AccumOffset: 4
; Occupancy: 8
; WaveLimiterHint : 0
; COMPUTE_PGM_RSRC2:SCRATCH_EN: 0
; COMPUTE_PGM_RSRC2:USER_SGPR: 2
; COMPUTE_PGM_RSRC2:TRAP_HANDLER: 0
; COMPUTE_PGM_RSRC2:TGID_X_EN: 1
; COMPUTE_PGM_RSRC2:TGID_Y_EN: 0
; COMPUTE_PGM_RSRC2:TGID_Z_EN: 0
; COMPUTE_PGM_RSRC2:TIDIG_COMP_CNT: 0
; COMPUTE_PGM_RSRC3_GFX90A:ACCUM_OFFSET: 0
; COMPUTE_PGM_RSRC3_GFX90A:TG_SPLIT: 0
	.section	.text._ZN7rocprim17ROCPRIM_400000_NS6detail17trampoline_kernelINS0_14default_configENS1_27scan_by_key_config_selectorIifEEZZNS1_16scan_by_key_implILNS1_25lookback_scan_determinismE0ELb1ES3_N6thrust23THRUST_200600_302600_NS6detail15normal_iteratorINS9_10device_ptrIiEEEENSB_INSC_IfEEEESG_fNS9_4plusIvEENS9_8equal_toIvEEfEE10hipError_tPvRmT2_T3_T4_T5_mT6_T7_P12ihipStream_tbENKUlT_T0_E_clISt17integral_constantIbLb0EES11_EEDaSW_SX_EUlSW_E_NS1_11comp_targetILNS1_3genE2ELNS1_11target_archE906ELNS1_3gpuE6ELNS1_3repE0EEENS1_30default_config_static_selectorELNS0_4arch9wavefront6targetE1EEEvT1_,"axG",@progbits,_ZN7rocprim17ROCPRIM_400000_NS6detail17trampoline_kernelINS0_14default_configENS1_27scan_by_key_config_selectorIifEEZZNS1_16scan_by_key_implILNS1_25lookback_scan_determinismE0ELb1ES3_N6thrust23THRUST_200600_302600_NS6detail15normal_iteratorINS9_10device_ptrIiEEEENSB_INSC_IfEEEESG_fNS9_4plusIvEENS9_8equal_toIvEEfEE10hipError_tPvRmT2_T3_T4_T5_mT6_T7_P12ihipStream_tbENKUlT_T0_E_clISt17integral_constantIbLb0EES11_EEDaSW_SX_EUlSW_E_NS1_11comp_targetILNS1_3genE2ELNS1_11target_archE906ELNS1_3gpuE6ELNS1_3repE0EEENS1_30default_config_static_selectorELNS0_4arch9wavefront6targetE1EEEvT1_,comdat
	.protected	_ZN7rocprim17ROCPRIM_400000_NS6detail17trampoline_kernelINS0_14default_configENS1_27scan_by_key_config_selectorIifEEZZNS1_16scan_by_key_implILNS1_25lookback_scan_determinismE0ELb1ES3_N6thrust23THRUST_200600_302600_NS6detail15normal_iteratorINS9_10device_ptrIiEEEENSB_INSC_IfEEEESG_fNS9_4plusIvEENS9_8equal_toIvEEfEE10hipError_tPvRmT2_T3_T4_T5_mT6_T7_P12ihipStream_tbENKUlT_T0_E_clISt17integral_constantIbLb0EES11_EEDaSW_SX_EUlSW_E_NS1_11comp_targetILNS1_3genE2ELNS1_11target_archE906ELNS1_3gpuE6ELNS1_3repE0EEENS1_30default_config_static_selectorELNS0_4arch9wavefront6targetE1EEEvT1_ ; -- Begin function _ZN7rocprim17ROCPRIM_400000_NS6detail17trampoline_kernelINS0_14default_configENS1_27scan_by_key_config_selectorIifEEZZNS1_16scan_by_key_implILNS1_25lookback_scan_determinismE0ELb1ES3_N6thrust23THRUST_200600_302600_NS6detail15normal_iteratorINS9_10device_ptrIiEEEENSB_INSC_IfEEEESG_fNS9_4plusIvEENS9_8equal_toIvEEfEE10hipError_tPvRmT2_T3_T4_T5_mT6_T7_P12ihipStream_tbENKUlT_T0_E_clISt17integral_constantIbLb0EES11_EEDaSW_SX_EUlSW_E_NS1_11comp_targetILNS1_3genE2ELNS1_11target_archE906ELNS1_3gpuE6ELNS1_3repE0EEENS1_30default_config_static_selectorELNS0_4arch9wavefront6targetE1EEEvT1_
	.globl	_ZN7rocprim17ROCPRIM_400000_NS6detail17trampoline_kernelINS0_14default_configENS1_27scan_by_key_config_selectorIifEEZZNS1_16scan_by_key_implILNS1_25lookback_scan_determinismE0ELb1ES3_N6thrust23THRUST_200600_302600_NS6detail15normal_iteratorINS9_10device_ptrIiEEEENSB_INSC_IfEEEESG_fNS9_4plusIvEENS9_8equal_toIvEEfEE10hipError_tPvRmT2_T3_T4_T5_mT6_T7_P12ihipStream_tbENKUlT_T0_E_clISt17integral_constantIbLb0EES11_EEDaSW_SX_EUlSW_E_NS1_11comp_targetILNS1_3genE2ELNS1_11target_archE906ELNS1_3gpuE6ELNS1_3repE0EEENS1_30default_config_static_selectorELNS0_4arch9wavefront6targetE1EEEvT1_
	.p2align	8
	.type	_ZN7rocprim17ROCPRIM_400000_NS6detail17trampoline_kernelINS0_14default_configENS1_27scan_by_key_config_selectorIifEEZZNS1_16scan_by_key_implILNS1_25lookback_scan_determinismE0ELb1ES3_N6thrust23THRUST_200600_302600_NS6detail15normal_iteratorINS9_10device_ptrIiEEEENSB_INSC_IfEEEESG_fNS9_4plusIvEENS9_8equal_toIvEEfEE10hipError_tPvRmT2_T3_T4_T5_mT6_T7_P12ihipStream_tbENKUlT_T0_E_clISt17integral_constantIbLb0EES11_EEDaSW_SX_EUlSW_E_NS1_11comp_targetILNS1_3genE2ELNS1_11target_archE906ELNS1_3gpuE6ELNS1_3repE0EEENS1_30default_config_static_selectorELNS0_4arch9wavefront6targetE1EEEvT1_,@function
_ZN7rocprim17ROCPRIM_400000_NS6detail17trampoline_kernelINS0_14default_configENS1_27scan_by_key_config_selectorIifEEZZNS1_16scan_by_key_implILNS1_25lookback_scan_determinismE0ELb1ES3_N6thrust23THRUST_200600_302600_NS6detail15normal_iteratorINS9_10device_ptrIiEEEENSB_INSC_IfEEEESG_fNS9_4plusIvEENS9_8equal_toIvEEfEE10hipError_tPvRmT2_T3_T4_T5_mT6_T7_P12ihipStream_tbENKUlT_T0_E_clISt17integral_constantIbLb0EES11_EEDaSW_SX_EUlSW_E_NS1_11comp_targetILNS1_3genE2ELNS1_11target_archE906ELNS1_3gpuE6ELNS1_3repE0EEENS1_30default_config_static_selectorELNS0_4arch9wavefront6targetE1EEEvT1_: ; @_ZN7rocprim17ROCPRIM_400000_NS6detail17trampoline_kernelINS0_14default_configENS1_27scan_by_key_config_selectorIifEEZZNS1_16scan_by_key_implILNS1_25lookback_scan_determinismE0ELb1ES3_N6thrust23THRUST_200600_302600_NS6detail15normal_iteratorINS9_10device_ptrIiEEEENSB_INSC_IfEEEESG_fNS9_4plusIvEENS9_8equal_toIvEEfEE10hipError_tPvRmT2_T3_T4_T5_mT6_T7_P12ihipStream_tbENKUlT_T0_E_clISt17integral_constantIbLb0EES11_EEDaSW_SX_EUlSW_E_NS1_11comp_targetILNS1_3genE2ELNS1_11target_archE906ELNS1_3gpuE6ELNS1_3repE0EEENS1_30default_config_static_selectorELNS0_4arch9wavefront6targetE1EEEvT1_
; %bb.0:
	.section	.rodata,"a",@progbits
	.p2align	6, 0x0
	.amdhsa_kernel _ZN7rocprim17ROCPRIM_400000_NS6detail17trampoline_kernelINS0_14default_configENS1_27scan_by_key_config_selectorIifEEZZNS1_16scan_by_key_implILNS1_25lookback_scan_determinismE0ELb1ES3_N6thrust23THRUST_200600_302600_NS6detail15normal_iteratorINS9_10device_ptrIiEEEENSB_INSC_IfEEEESG_fNS9_4plusIvEENS9_8equal_toIvEEfEE10hipError_tPvRmT2_T3_T4_T5_mT6_T7_P12ihipStream_tbENKUlT_T0_E_clISt17integral_constantIbLb0EES11_EEDaSW_SX_EUlSW_E_NS1_11comp_targetILNS1_3genE2ELNS1_11target_archE906ELNS1_3gpuE6ELNS1_3repE0EEENS1_30default_config_static_selectorELNS0_4arch9wavefront6targetE1EEEvT1_
		.amdhsa_group_segment_fixed_size 0
		.amdhsa_private_segment_fixed_size 0
		.amdhsa_kernarg_size 112
		.amdhsa_user_sgpr_count 2
		.amdhsa_user_sgpr_dispatch_ptr 0
		.amdhsa_user_sgpr_queue_ptr 0
		.amdhsa_user_sgpr_kernarg_segment_ptr 1
		.amdhsa_user_sgpr_dispatch_id 0
		.amdhsa_user_sgpr_kernarg_preload_length 0
		.amdhsa_user_sgpr_kernarg_preload_offset 0
		.amdhsa_user_sgpr_private_segment_size 0
		.amdhsa_uses_dynamic_stack 0
		.amdhsa_enable_private_segment 0
		.amdhsa_system_sgpr_workgroup_id_x 1
		.amdhsa_system_sgpr_workgroup_id_y 0
		.amdhsa_system_sgpr_workgroup_id_z 0
		.amdhsa_system_sgpr_workgroup_info 0
		.amdhsa_system_vgpr_workitem_id 0
		.amdhsa_next_free_vgpr 1
		.amdhsa_next_free_sgpr 0
		.amdhsa_accum_offset 4
		.amdhsa_reserve_vcc 0
		.amdhsa_float_round_mode_32 0
		.amdhsa_float_round_mode_16_64 0
		.amdhsa_float_denorm_mode_32 3
		.amdhsa_float_denorm_mode_16_64 3
		.amdhsa_dx10_clamp 1
		.amdhsa_ieee_mode 1
		.amdhsa_fp16_overflow 0
		.amdhsa_tg_split 0
		.amdhsa_exception_fp_ieee_invalid_op 0
		.amdhsa_exception_fp_denorm_src 0
		.amdhsa_exception_fp_ieee_div_zero 0
		.amdhsa_exception_fp_ieee_overflow 0
		.amdhsa_exception_fp_ieee_underflow 0
		.amdhsa_exception_fp_ieee_inexact 0
		.amdhsa_exception_int_div_zero 0
	.end_amdhsa_kernel
	.section	.text._ZN7rocprim17ROCPRIM_400000_NS6detail17trampoline_kernelINS0_14default_configENS1_27scan_by_key_config_selectorIifEEZZNS1_16scan_by_key_implILNS1_25lookback_scan_determinismE0ELb1ES3_N6thrust23THRUST_200600_302600_NS6detail15normal_iteratorINS9_10device_ptrIiEEEENSB_INSC_IfEEEESG_fNS9_4plusIvEENS9_8equal_toIvEEfEE10hipError_tPvRmT2_T3_T4_T5_mT6_T7_P12ihipStream_tbENKUlT_T0_E_clISt17integral_constantIbLb0EES11_EEDaSW_SX_EUlSW_E_NS1_11comp_targetILNS1_3genE2ELNS1_11target_archE906ELNS1_3gpuE6ELNS1_3repE0EEENS1_30default_config_static_selectorELNS0_4arch9wavefront6targetE1EEEvT1_,"axG",@progbits,_ZN7rocprim17ROCPRIM_400000_NS6detail17trampoline_kernelINS0_14default_configENS1_27scan_by_key_config_selectorIifEEZZNS1_16scan_by_key_implILNS1_25lookback_scan_determinismE0ELb1ES3_N6thrust23THRUST_200600_302600_NS6detail15normal_iteratorINS9_10device_ptrIiEEEENSB_INSC_IfEEEESG_fNS9_4plusIvEENS9_8equal_toIvEEfEE10hipError_tPvRmT2_T3_T4_T5_mT6_T7_P12ihipStream_tbENKUlT_T0_E_clISt17integral_constantIbLb0EES11_EEDaSW_SX_EUlSW_E_NS1_11comp_targetILNS1_3genE2ELNS1_11target_archE906ELNS1_3gpuE6ELNS1_3repE0EEENS1_30default_config_static_selectorELNS0_4arch9wavefront6targetE1EEEvT1_,comdat
.Lfunc_end1432:
	.size	_ZN7rocprim17ROCPRIM_400000_NS6detail17trampoline_kernelINS0_14default_configENS1_27scan_by_key_config_selectorIifEEZZNS1_16scan_by_key_implILNS1_25lookback_scan_determinismE0ELb1ES3_N6thrust23THRUST_200600_302600_NS6detail15normal_iteratorINS9_10device_ptrIiEEEENSB_INSC_IfEEEESG_fNS9_4plusIvEENS9_8equal_toIvEEfEE10hipError_tPvRmT2_T3_T4_T5_mT6_T7_P12ihipStream_tbENKUlT_T0_E_clISt17integral_constantIbLb0EES11_EEDaSW_SX_EUlSW_E_NS1_11comp_targetILNS1_3genE2ELNS1_11target_archE906ELNS1_3gpuE6ELNS1_3repE0EEENS1_30default_config_static_selectorELNS0_4arch9wavefront6targetE1EEEvT1_, .Lfunc_end1432-_ZN7rocprim17ROCPRIM_400000_NS6detail17trampoline_kernelINS0_14default_configENS1_27scan_by_key_config_selectorIifEEZZNS1_16scan_by_key_implILNS1_25lookback_scan_determinismE0ELb1ES3_N6thrust23THRUST_200600_302600_NS6detail15normal_iteratorINS9_10device_ptrIiEEEENSB_INSC_IfEEEESG_fNS9_4plusIvEENS9_8equal_toIvEEfEE10hipError_tPvRmT2_T3_T4_T5_mT6_T7_P12ihipStream_tbENKUlT_T0_E_clISt17integral_constantIbLb0EES11_EEDaSW_SX_EUlSW_E_NS1_11comp_targetILNS1_3genE2ELNS1_11target_archE906ELNS1_3gpuE6ELNS1_3repE0EEENS1_30default_config_static_selectorELNS0_4arch9wavefront6targetE1EEEvT1_
                                        ; -- End function
	.section	.AMDGPU.csdata,"",@progbits
; Kernel info:
; codeLenInByte = 0
; NumSgprs: 6
; NumVgprs: 0
; NumAgprs: 0
; TotalNumVgprs: 0
; ScratchSize: 0
; MemoryBound: 0
; FloatMode: 240
; IeeeMode: 1
; LDSByteSize: 0 bytes/workgroup (compile time only)
; SGPRBlocks: 0
; VGPRBlocks: 0
; NumSGPRsForWavesPerEU: 6
; NumVGPRsForWavesPerEU: 1
; AccumOffset: 4
; Occupancy: 8
; WaveLimiterHint : 0
; COMPUTE_PGM_RSRC2:SCRATCH_EN: 0
; COMPUTE_PGM_RSRC2:USER_SGPR: 2
; COMPUTE_PGM_RSRC2:TRAP_HANDLER: 0
; COMPUTE_PGM_RSRC2:TGID_X_EN: 1
; COMPUTE_PGM_RSRC2:TGID_Y_EN: 0
; COMPUTE_PGM_RSRC2:TGID_Z_EN: 0
; COMPUTE_PGM_RSRC2:TIDIG_COMP_CNT: 0
; COMPUTE_PGM_RSRC3_GFX90A:ACCUM_OFFSET: 0
; COMPUTE_PGM_RSRC3_GFX90A:TG_SPLIT: 0
	.section	.text._ZN7rocprim17ROCPRIM_400000_NS6detail17trampoline_kernelINS0_14default_configENS1_27scan_by_key_config_selectorIifEEZZNS1_16scan_by_key_implILNS1_25lookback_scan_determinismE0ELb1ES3_N6thrust23THRUST_200600_302600_NS6detail15normal_iteratorINS9_10device_ptrIiEEEENSB_INSC_IfEEEESG_fNS9_4plusIvEENS9_8equal_toIvEEfEE10hipError_tPvRmT2_T3_T4_T5_mT6_T7_P12ihipStream_tbENKUlT_T0_E_clISt17integral_constantIbLb0EES11_EEDaSW_SX_EUlSW_E_NS1_11comp_targetILNS1_3genE10ELNS1_11target_archE1200ELNS1_3gpuE4ELNS1_3repE0EEENS1_30default_config_static_selectorELNS0_4arch9wavefront6targetE1EEEvT1_,"axG",@progbits,_ZN7rocprim17ROCPRIM_400000_NS6detail17trampoline_kernelINS0_14default_configENS1_27scan_by_key_config_selectorIifEEZZNS1_16scan_by_key_implILNS1_25lookback_scan_determinismE0ELb1ES3_N6thrust23THRUST_200600_302600_NS6detail15normal_iteratorINS9_10device_ptrIiEEEENSB_INSC_IfEEEESG_fNS9_4plusIvEENS9_8equal_toIvEEfEE10hipError_tPvRmT2_T3_T4_T5_mT6_T7_P12ihipStream_tbENKUlT_T0_E_clISt17integral_constantIbLb0EES11_EEDaSW_SX_EUlSW_E_NS1_11comp_targetILNS1_3genE10ELNS1_11target_archE1200ELNS1_3gpuE4ELNS1_3repE0EEENS1_30default_config_static_selectorELNS0_4arch9wavefront6targetE1EEEvT1_,comdat
	.protected	_ZN7rocprim17ROCPRIM_400000_NS6detail17trampoline_kernelINS0_14default_configENS1_27scan_by_key_config_selectorIifEEZZNS1_16scan_by_key_implILNS1_25lookback_scan_determinismE0ELb1ES3_N6thrust23THRUST_200600_302600_NS6detail15normal_iteratorINS9_10device_ptrIiEEEENSB_INSC_IfEEEESG_fNS9_4plusIvEENS9_8equal_toIvEEfEE10hipError_tPvRmT2_T3_T4_T5_mT6_T7_P12ihipStream_tbENKUlT_T0_E_clISt17integral_constantIbLb0EES11_EEDaSW_SX_EUlSW_E_NS1_11comp_targetILNS1_3genE10ELNS1_11target_archE1200ELNS1_3gpuE4ELNS1_3repE0EEENS1_30default_config_static_selectorELNS0_4arch9wavefront6targetE1EEEvT1_ ; -- Begin function _ZN7rocprim17ROCPRIM_400000_NS6detail17trampoline_kernelINS0_14default_configENS1_27scan_by_key_config_selectorIifEEZZNS1_16scan_by_key_implILNS1_25lookback_scan_determinismE0ELb1ES3_N6thrust23THRUST_200600_302600_NS6detail15normal_iteratorINS9_10device_ptrIiEEEENSB_INSC_IfEEEESG_fNS9_4plusIvEENS9_8equal_toIvEEfEE10hipError_tPvRmT2_T3_T4_T5_mT6_T7_P12ihipStream_tbENKUlT_T0_E_clISt17integral_constantIbLb0EES11_EEDaSW_SX_EUlSW_E_NS1_11comp_targetILNS1_3genE10ELNS1_11target_archE1200ELNS1_3gpuE4ELNS1_3repE0EEENS1_30default_config_static_selectorELNS0_4arch9wavefront6targetE1EEEvT1_
	.globl	_ZN7rocprim17ROCPRIM_400000_NS6detail17trampoline_kernelINS0_14default_configENS1_27scan_by_key_config_selectorIifEEZZNS1_16scan_by_key_implILNS1_25lookback_scan_determinismE0ELb1ES3_N6thrust23THRUST_200600_302600_NS6detail15normal_iteratorINS9_10device_ptrIiEEEENSB_INSC_IfEEEESG_fNS9_4plusIvEENS9_8equal_toIvEEfEE10hipError_tPvRmT2_T3_T4_T5_mT6_T7_P12ihipStream_tbENKUlT_T0_E_clISt17integral_constantIbLb0EES11_EEDaSW_SX_EUlSW_E_NS1_11comp_targetILNS1_3genE10ELNS1_11target_archE1200ELNS1_3gpuE4ELNS1_3repE0EEENS1_30default_config_static_selectorELNS0_4arch9wavefront6targetE1EEEvT1_
	.p2align	8
	.type	_ZN7rocprim17ROCPRIM_400000_NS6detail17trampoline_kernelINS0_14default_configENS1_27scan_by_key_config_selectorIifEEZZNS1_16scan_by_key_implILNS1_25lookback_scan_determinismE0ELb1ES3_N6thrust23THRUST_200600_302600_NS6detail15normal_iteratorINS9_10device_ptrIiEEEENSB_INSC_IfEEEESG_fNS9_4plusIvEENS9_8equal_toIvEEfEE10hipError_tPvRmT2_T3_T4_T5_mT6_T7_P12ihipStream_tbENKUlT_T0_E_clISt17integral_constantIbLb0EES11_EEDaSW_SX_EUlSW_E_NS1_11comp_targetILNS1_3genE10ELNS1_11target_archE1200ELNS1_3gpuE4ELNS1_3repE0EEENS1_30default_config_static_selectorELNS0_4arch9wavefront6targetE1EEEvT1_,@function
_ZN7rocprim17ROCPRIM_400000_NS6detail17trampoline_kernelINS0_14default_configENS1_27scan_by_key_config_selectorIifEEZZNS1_16scan_by_key_implILNS1_25lookback_scan_determinismE0ELb1ES3_N6thrust23THRUST_200600_302600_NS6detail15normal_iteratorINS9_10device_ptrIiEEEENSB_INSC_IfEEEESG_fNS9_4plusIvEENS9_8equal_toIvEEfEE10hipError_tPvRmT2_T3_T4_T5_mT6_T7_P12ihipStream_tbENKUlT_T0_E_clISt17integral_constantIbLb0EES11_EEDaSW_SX_EUlSW_E_NS1_11comp_targetILNS1_3genE10ELNS1_11target_archE1200ELNS1_3gpuE4ELNS1_3repE0EEENS1_30default_config_static_selectorELNS0_4arch9wavefront6targetE1EEEvT1_: ; @_ZN7rocprim17ROCPRIM_400000_NS6detail17trampoline_kernelINS0_14default_configENS1_27scan_by_key_config_selectorIifEEZZNS1_16scan_by_key_implILNS1_25lookback_scan_determinismE0ELb1ES3_N6thrust23THRUST_200600_302600_NS6detail15normal_iteratorINS9_10device_ptrIiEEEENSB_INSC_IfEEEESG_fNS9_4plusIvEENS9_8equal_toIvEEfEE10hipError_tPvRmT2_T3_T4_T5_mT6_T7_P12ihipStream_tbENKUlT_T0_E_clISt17integral_constantIbLb0EES11_EEDaSW_SX_EUlSW_E_NS1_11comp_targetILNS1_3genE10ELNS1_11target_archE1200ELNS1_3gpuE4ELNS1_3repE0EEENS1_30default_config_static_selectorELNS0_4arch9wavefront6targetE1EEEvT1_
; %bb.0:
	.section	.rodata,"a",@progbits
	.p2align	6, 0x0
	.amdhsa_kernel _ZN7rocprim17ROCPRIM_400000_NS6detail17trampoline_kernelINS0_14default_configENS1_27scan_by_key_config_selectorIifEEZZNS1_16scan_by_key_implILNS1_25lookback_scan_determinismE0ELb1ES3_N6thrust23THRUST_200600_302600_NS6detail15normal_iteratorINS9_10device_ptrIiEEEENSB_INSC_IfEEEESG_fNS9_4plusIvEENS9_8equal_toIvEEfEE10hipError_tPvRmT2_T3_T4_T5_mT6_T7_P12ihipStream_tbENKUlT_T0_E_clISt17integral_constantIbLb0EES11_EEDaSW_SX_EUlSW_E_NS1_11comp_targetILNS1_3genE10ELNS1_11target_archE1200ELNS1_3gpuE4ELNS1_3repE0EEENS1_30default_config_static_selectorELNS0_4arch9wavefront6targetE1EEEvT1_
		.amdhsa_group_segment_fixed_size 0
		.amdhsa_private_segment_fixed_size 0
		.amdhsa_kernarg_size 112
		.amdhsa_user_sgpr_count 2
		.amdhsa_user_sgpr_dispatch_ptr 0
		.amdhsa_user_sgpr_queue_ptr 0
		.amdhsa_user_sgpr_kernarg_segment_ptr 1
		.amdhsa_user_sgpr_dispatch_id 0
		.amdhsa_user_sgpr_kernarg_preload_length 0
		.amdhsa_user_sgpr_kernarg_preload_offset 0
		.amdhsa_user_sgpr_private_segment_size 0
		.amdhsa_uses_dynamic_stack 0
		.amdhsa_enable_private_segment 0
		.amdhsa_system_sgpr_workgroup_id_x 1
		.amdhsa_system_sgpr_workgroup_id_y 0
		.amdhsa_system_sgpr_workgroup_id_z 0
		.amdhsa_system_sgpr_workgroup_info 0
		.amdhsa_system_vgpr_workitem_id 0
		.amdhsa_next_free_vgpr 1
		.amdhsa_next_free_sgpr 0
		.amdhsa_accum_offset 4
		.amdhsa_reserve_vcc 0
		.amdhsa_float_round_mode_32 0
		.amdhsa_float_round_mode_16_64 0
		.amdhsa_float_denorm_mode_32 3
		.amdhsa_float_denorm_mode_16_64 3
		.amdhsa_dx10_clamp 1
		.amdhsa_ieee_mode 1
		.amdhsa_fp16_overflow 0
		.amdhsa_tg_split 0
		.amdhsa_exception_fp_ieee_invalid_op 0
		.amdhsa_exception_fp_denorm_src 0
		.amdhsa_exception_fp_ieee_div_zero 0
		.amdhsa_exception_fp_ieee_overflow 0
		.amdhsa_exception_fp_ieee_underflow 0
		.amdhsa_exception_fp_ieee_inexact 0
		.amdhsa_exception_int_div_zero 0
	.end_amdhsa_kernel
	.section	.text._ZN7rocprim17ROCPRIM_400000_NS6detail17trampoline_kernelINS0_14default_configENS1_27scan_by_key_config_selectorIifEEZZNS1_16scan_by_key_implILNS1_25lookback_scan_determinismE0ELb1ES3_N6thrust23THRUST_200600_302600_NS6detail15normal_iteratorINS9_10device_ptrIiEEEENSB_INSC_IfEEEESG_fNS9_4plusIvEENS9_8equal_toIvEEfEE10hipError_tPvRmT2_T3_T4_T5_mT6_T7_P12ihipStream_tbENKUlT_T0_E_clISt17integral_constantIbLb0EES11_EEDaSW_SX_EUlSW_E_NS1_11comp_targetILNS1_3genE10ELNS1_11target_archE1200ELNS1_3gpuE4ELNS1_3repE0EEENS1_30default_config_static_selectorELNS0_4arch9wavefront6targetE1EEEvT1_,"axG",@progbits,_ZN7rocprim17ROCPRIM_400000_NS6detail17trampoline_kernelINS0_14default_configENS1_27scan_by_key_config_selectorIifEEZZNS1_16scan_by_key_implILNS1_25lookback_scan_determinismE0ELb1ES3_N6thrust23THRUST_200600_302600_NS6detail15normal_iteratorINS9_10device_ptrIiEEEENSB_INSC_IfEEEESG_fNS9_4plusIvEENS9_8equal_toIvEEfEE10hipError_tPvRmT2_T3_T4_T5_mT6_T7_P12ihipStream_tbENKUlT_T0_E_clISt17integral_constantIbLb0EES11_EEDaSW_SX_EUlSW_E_NS1_11comp_targetILNS1_3genE10ELNS1_11target_archE1200ELNS1_3gpuE4ELNS1_3repE0EEENS1_30default_config_static_selectorELNS0_4arch9wavefront6targetE1EEEvT1_,comdat
.Lfunc_end1433:
	.size	_ZN7rocprim17ROCPRIM_400000_NS6detail17trampoline_kernelINS0_14default_configENS1_27scan_by_key_config_selectorIifEEZZNS1_16scan_by_key_implILNS1_25lookback_scan_determinismE0ELb1ES3_N6thrust23THRUST_200600_302600_NS6detail15normal_iteratorINS9_10device_ptrIiEEEENSB_INSC_IfEEEESG_fNS9_4plusIvEENS9_8equal_toIvEEfEE10hipError_tPvRmT2_T3_T4_T5_mT6_T7_P12ihipStream_tbENKUlT_T0_E_clISt17integral_constantIbLb0EES11_EEDaSW_SX_EUlSW_E_NS1_11comp_targetILNS1_3genE10ELNS1_11target_archE1200ELNS1_3gpuE4ELNS1_3repE0EEENS1_30default_config_static_selectorELNS0_4arch9wavefront6targetE1EEEvT1_, .Lfunc_end1433-_ZN7rocprim17ROCPRIM_400000_NS6detail17trampoline_kernelINS0_14default_configENS1_27scan_by_key_config_selectorIifEEZZNS1_16scan_by_key_implILNS1_25lookback_scan_determinismE0ELb1ES3_N6thrust23THRUST_200600_302600_NS6detail15normal_iteratorINS9_10device_ptrIiEEEENSB_INSC_IfEEEESG_fNS9_4plusIvEENS9_8equal_toIvEEfEE10hipError_tPvRmT2_T3_T4_T5_mT6_T7_P12ihipStream_tbENKUlT_T0_E_clISt17integral_constantIbLb0EES11_EEDaSW_SX_EUlSW_E_NS1_11comp_targetILNS1_3genE10ELNS1_11target_archE1200ELNS1_3gpuE4ELNS1_3repE0EEENS1_30default_config_static_selectorELNS0_4arch9wavefront6targetE1EEEvT1_
                                        ; -- End function
	.section	.AMDGPU.csdata,"",@progbits
; Kernel info:
; codeLenInByte = 0
; NumSgprs: 6
; NumVgprs: 0
; NumAgprs: 0
; TotalNumVgprs: 0
; ScratchSize: 0
; MemoryBound: 0
; FloatMode: 240
; IeeeMode: 1
; LDSByteSize: 0 bytes/workgroup (compile time only)
; SGPRBlocks: 0
; VGPRBlocks: 0
; NumSGPRsForWavesPerEU: 6
; NumVGPRsForWavesPerEU: 1
; AccumOffset: 4
; Occupancy: 8
; WaveLimiterHint : 0
; COMPUTE_PGM_RSRC2:SCRATCH_EN: 0
; COMPUTE_PGM_RSRC2:USER_SGPR: 2
; COMPUTE_PGM_RSRC2:TRAP_HANDLER: 0
; COMPUTE_PGM_RSRC2:TGID_X_EN: 1
; COMPUTE_PGM_RSRC2:TGID_Y_EN: 0
; COMPUTE_PGM_RSRC2:TGID_Z_EN: 0
; COMPUTE_PGM_RSRC2:TIDIG_COMP_CNT: 0
; COMPUTE_PGM_RSRC3_GFX90A:ACCUM_OFFSET: 0
; COMPUTE_PGM_RSRC3_GFX90A:TG_SPLIT: 0
	.section	.text._ZN7rocprim17ROCPRIM_400000_NS6detail17trampoline_kernelINS0_14default_configENS1_27scan_by_key_config_selectorIifEEZZNS1_16scan_by_key_implILNS1_25lookback_scan_determinismE0ELb1ES3_N6thrust23THRUST_200600_302600_NS6detail15normal_iteratorINS9_10device_ptrIiEEEENSB_INSC_IfEEEESG_fNS9_4plusIvEENS9_8equal_toIvEEfEE10hipError_tPvRmT2_T3_T4_T5_mT6_T7_P12ihipStream_tbENKUlT_T0_E_clISt17integral_constantIbLb0EES11_EEDaSW_SX_EUlSW_E_NS1_11comp_targetILNS1_3genE9ELNS1_11target_archE1100ELNS1_3gpuE3ELNS1_3repE0EEENS1_30default_config_static_selectorELNS0_4arch9wavefront6targetE1EEEvT1_,"axG",@progbits,_ZN7rocprim17ROCPRIM_400000_NS6detail17trampoline_kernelINS0_14default_configENS1_27scan_by_key_config_selectorIifEEZZNS1_16scan_by_key_implILNS1_25lookback_scan_determinismE0ELb1ES3_N6thrust23THRUST_200600_302600_NS6detail15normal_iteratorINS9_10device_ptrIiEEEENSB_INSC_IfEEEESG_fNS9_4plusIvEENS9_8equal_toIvEEfEE10hipError_tPvRmT2_T3_T4_T5_mT6_T7_P12ihipStream_tbENKUlT_T0_E_clISt17integral_constantIbLb0EES11_EEDaSW_SX_EUlSW_E_NS1_11comp_targetILNS1_3genE9ELNS1_11target_archE1100ELNS1_3gpuE3ELNS1_3repE0EEENS1_30default_config_static_selectorELNS0_4arch9wavefront6targetE1EEEvT1_,comdat
	.protected	_ZN7rocprim17ROCPRIM_400000_NS6detail17trampoline_kernelINS0_14default_configENS1_27scan_by_key_config_selectorIifEEZZNS1_16scan_by_key_implILNS1_25lookback_scan_determinismE0ELb1ES3_N6thrust23THRUST_200600_302600_NS6detail15normal_iteratorINS9_10device_ptrIiEEEENSB_INSC_IfEEEESG_fNS9_4plusIvEENS9_8equal_toIvEEfEE10hipError_tPvRmT2_T3_T4_T5_mT6_T7_P12ihipStream_tbENKUlT_T0_E_clISt17integral_constantIbLb0EES11_EEDaSW_SX_EUlSW_E_NS1_11comp_targetILNS1_3genE9ELNS1_11target_archE1100ELNS1_3gpuE3ELNS1_3repE0EEENS1_30default_config_static_selectorELNS0_4arch9wavefront6targetE1EEEvT1_ ; -- Begin function _ZN7rocprim17ROCPRIM_400000_NS6detail17trampoline_kernelINS0_14default_configENS1_27scan_by_key_config_selectorIifEEZZNS1_16scan_by_key_implILNS1_25lookback_scan_determinismE0ELb1ES3_N6thrust23THRUST_200600_302600_NS6detail15normal_iteratorINS9_10device_ptrIiEEEENSB_INSC_IfEEEESG_fNS9_4plusIvEENS9_8equal_toIvEEfEE10hipError_tPvRmT2_T3_T4_T5_mT6_T7_P12ihipStream_tbENKUlT_T0_E_clISt17integral_constantIbLb0EES11_EEDaSW_SX_EUlSW_E_NS1_11comp_targetILNS1_3genE9ELNS1_11target_archE1100ELNS1_3gpuE3ELNS1_3repE0EEENS1_30default_config_static_selectorELNS0_4arch9wavefront6targetE1EEEvT1_
	.globl	_ZN7rocprim17ROCPRIM_400000_NS6detail17trampoline_kernelINS0_14default_configENS1_27scan_by_key_config_selectorIifEEZZNS1_16scan_by_key_implILNS1_25lookback_scan_determinismE0ELb1ES3_N6thrust23THRUST_200600_302600_NS6detail15normal_iteratorINS9_10device_ptrIiEEEENSB_INSC_IfEEEESG_fNS9_4plusIvEENS9_8equal_toIvEEfEE10hipError_tPvRmT2_T3_T4_T5_mT6_T7_P12ihipStream_tbENKUlT_T0_E_clISt17integral_constantIbLb0EES11_EEDaSW_SX_EUlSW_E_NS1_11comp_targetILNS1_3genE9ELNS1_11target_archE1100ELNS1_3gpuE3ELNS1_3repE0EEENS1_30default_config_static_selectorELNS0_4arch9wavefront6targetE1EEEvT1_
	.p2align	8
	.type	_ZN7rocprim17ROCPRIM_400000_NS6detail17trampoline_kernelINS0_14default_configENS1_27scan_by_key_config_selectorIifEEZZNS1_16scan_by_key_implILNS1_25lookback_scan_determinismE0ELb1ES3_N6thrust23THRUST_200600_302600_NS6detail15normal_iteratorINS9_10device_ptrIiEEEENSB_INSC_IfEEEESG_fNS9_4plusIvEENS9_8equal_toIvEEfEE10hipError_tPvRmT2_T3_T4_T5_mT6_T7_P12ihipStream_tbENKUlT_T0_E_clISt17integral_constantIbLb0EES11_EEDaSW_SX_EUlSW_E_NS1_11comp_targetILNS1_3genE9ELNS1_11target_archE1100ELNS1_3gpuE3ELNS1_3repE0EEENS1_30default_config_static_selectorELNS0_4arch9wavefront6targetE1EEEvT1_,@function
_ZN7rocprim17ROCPRIM_400000_NS6detail17trampoline_kernelINS0_14default_configENS1_27scan_by_key_config_selectorIifEEZZNS1_16scan_by_key_implILNS1_25lookback_scan_determinismE0ELb1ES3_N6thrust23THRUST_200600_302600_NS6detail15normal_iteratorINS9_10device_ptrIiEEEENSB_INSC_IfEEEESG_fNS9_4plusIvEENS9_8equal_toIvEEfEE10hipError_tPvRmT2_T3_T4_T5_mT6_T7_P12ihipStream_tbENKUlT_T0_E_clISt17integral_constantIbLb0EES11_EEDaSW_SX_EUlSW_E_NS1_11comp_targetILNS1_3genE9ELNS1_11target_archE1100ELNS1_3gpuE3ELNS1_3repE0EEENS1_30default_config_static_selectorELNS0_4arch9wavefront6targetE1EEEvT1_: ; @_ZN7rocprim17ROCPRIM_400000_NS6detail17trampoline_kernelINS0_14default_configENS1_27scan_by_key_config_selectorIifEEZZNS1_16scan_by_key_implILNS1_25lookback_scan_determinismE0ELb1ES3_N6thrust23THRUST_200600_302600_NS6detail15normal_iteratorINS9_10device_ptrIiEEEENSB_INSC_IfEEEESG_fNS9_4plusIvEENS9_8equal_toIvEEfEE10hipError_tPvRmT2_T3_T4_T5_mT6_T7_P12ihipStream_tbENKUlT_T0_E_clISt17integral_constantIbLb0EES11_EEDaSW_SX_EUlSW_E_NS1_11comp_targetILNS1_3genE9ELNS1_11target_archE1100ELNS1_3gpuE3ELNS1_3repE0EEENS1_30default_config_static_selectorELNS0_4arch9wavefront6targetE1EEEvT1_
; %bb.0:
	.section	.rodata,"a",@progbits
	.p2align	6, 0x0
	.amdhsa_kernel _ZN7rocprim17ROCPRIM_400000_NS6detail17trampoline_kernelINS0_14default_configENS1_27scan_by_key_config_selectorIifEEZZNS1_16scan_by_key_implILNS1_25lookback_scan_determinismE0ELb1ES3_N6thrust23THRUST_200600_302600_NS6detail15normal_iteratorINS9_10device_ptrIiEEEENSB_INSC_IfEEEESG_fNS9_4plusIvEENS9_8equal_toIvEEfEE10hipError_tPvRmT2_T3_T4_T5_mT6_T7_P12ihipStream_tbENKUlT_T0_E_clISt17integral_constantIbLb0EES11_EEDaSW_SX_EUlSW_E_NS1_11comp_targetILNS1_3genE9ELNS1_11target_archE1100ELNS1_3gpuE3ELNS1_3repE0EEENS1_30default_config_static_selectorELNS0_4arch9wavefront6targetE1EEEvT1_
		.amdhsa_group_segment_fixed_size 0
		.amdhsa_private_segment_fixed_size 0
		.amdhsa_kernarg_size 112
		.amdhsa_user_sgpr_count 2
		.amdhsa_user_sgpr_dispatch_ptr 0
		.amdhsa_user_sgpr_queue_ptr 0
		.amdhsa_user_sgpr_kernarg_segment_ptr 1
		.amdhsa_user_sgpr_dispatch_id 0
		.amdhsa_user_sgpr_kernarg_preload_length 0
		.amdhsa_user_sgpr_kernarg_preload_offset 0
		.amdhsa_user_sgpr_private_segment_size 0
		.amdhsa_uses_dynamic_stack 0
		.amdhsa_enable_private_segment 0
		.amdhsa_system_sgpr_workgroup_id_x 1
		.amdhsa_system_sgpr_workgroup_id_y 0
		.amdhsa_system_sgpr_workgroup_id_z 0
		.amdhsa_system_sgpr_workgroup_info 0
		.amdhsa_system_vgpr_workitem_id 0
		.amdhsa_next_free_vgpr 1
		.amdhsa_next_free_sgpr 0
		.amdhsa_accum_offset 4
		.amdhsa_reserve_vcc 0
		.amdhsa_float_round_mode_32 0
		.amdhsa_float_round_mode_16_64 0
		.amdhsa_float_denorm_mode_32 3
		.amdhsa_float_denorm_mode_16_64 3
		.amdhsa_dx10_clamp 1
		.amdhsa_ieee_mode 1
		.amdhsa_fp16_overflow 0
		.amdhsa_tg_split 0
		.amdhsa_exception_fp_ieee_invalid_op 0
		.amdhsa_exception_fp_denorm_src 0
		.amdhsa_exception_fp_ieee_div_zero 0
		.amdhsa_exception_fp_ieee_overflow 0
		.amdhsa_exception_fp_ieee_underflow 0
		.amdhsa_exception_fp_ieee_inexact 0
		.amdhsa_exception_int_div_zero 0
	.end_amdhsa_kernel
	.section	.text._ZN7rocprim17ROCPRIM_400000_NS6detail17trampoline_kernelINS0_14default_configENS1_27scan_by_key_config_selectorIifEEZZNS1_16scan_by_key_implILNS1_25lookback_scan_determinismE0ELb1ES3_N6thrust23THRUST_200600_302600_NS6detail15normal_iteratorINS9_10device_ptrIiEEEENSB_INSC_IfEEEESG_fNS9_4plusIvEENS9_8equal_toIvEEfEE10hipError_tPvRmT2_T3_T4_T5_mT6_T7_P12ihipStream_tbENKUlT_T0_E_clISt17integral_constantIbLb0EES11_EEDaSW_SX_EUlSW_E_NS1_11comp_targetILNS1_3genE9ELNS1_11target_archE1100ELNS1_3gpuE3ELNS1_3repE0EEENS1_30default_config_static_selectorELNS0_4arch9wavefront6targetE1EEEvT1_,"axG",@progbits,_ZN7rocprim17ROCPRIM_400000_NS6detail17trampoline_kernelINS0_14default_configENS1_27scan_by_key_config_selectorIifEEZZNS1_16scan_by_key_implILNS1_25lookback_scan_determinismE0ELb1ES3_N6thrust23THRUST_200600_302600_NS6detail15normal_iteratorINS9_10device_ptrIiEEEENSB_INSC_IfEEEESG_fNS9_4plusIvEENS9_8equal_toIvEEfEE10hipError_tPvRmT2_T3_T4_T5_mT6_T7_P12ihipStream_tbENKUlT_T0_E_clISt17integral_constantIbLb0EES11_EEDaSW_SX_EUlSW_E_NS1_11comp_targetILNS1_3genE9ELNS1_11target_archE1100ELNS1_3gpuE3ELNS1_3repE0EEENS1_30default_config_static_selectorELNS0_4arch9wavefront6targetE1EEEvT1_,comdat
.Lfunc_end1434:
	.size	_ZN7rocprim17ROCPRIM_400000_NS6detail17trampoline_kernelINS0_14default_configENS1_27scan_by_key_config_selectorIifEEZZNS1_16scan_by_key_implILNS1_25lookback_scan_determinismE0ELb1ES3_N6thrust23THRUST_200600_302600_NS6detail15normal_iteratorINS9_10device_ptrIiEEEENSB_INSC_IfEEEESG_fNS9_4plusIvEENS9_8equal_toIvEEfEE10hipError_tPvRmT2_T3_T4_T5_mT6_T7_P12ihipStream_tbENKUlT_T0_E_clISt17integral_constantIbLb0EES11_EEDaSW_SX_EUlSW_E_NS1_11comp_targetILNS1_3genE9ELNS1_11target_archE1100ELNS1_3gpuE3ELNS1_3repE0EEENS1_30default_config_static_selectorELNS0_4arch9wavefront6targetE1EEEvT1_, .Lfunc_end1434-_ZN7rocprim17ROCPRIM_400000_NS6detail17trampoline_kernelINS0_14default_configENS1_27scan_by_key_config_selectorIifEEZZNS1_16scan_by_key_implILNS1_25lookback_scan_determinismE0ELb1ES3_N6thrust23THRUST_200600_302600_NS6detail15normal_iteratorINS9_10device_ptrIiEEEENSB_INSC_IfEEEESG_fNS9_4plusIvEENS9_8equal_toIvEEfEE10hipError_tPvRmT2_T3_T4_T5_mT6_T7_P12ihipStream_tbENKUlT_T0_E_clISt17integral_constantIbLb0EES11_EEDaSW_SX_EUlSW_E_NS1_11comp_targetILNS1_3genE9ELNS1_11target_archE1100ELNS1_3gpuE3ELNS1_3repE0EEENS1_30default_config_static_selectorELNS0_4arch9wavefront6targetE1EEEvT1_
                                        ; -- End function
	.section	.AMDGPU.csdata,"",@progbits
; Kernel info:
; codeLenInByte = 0
; NumSgprs: 6
; NumVgprs: 0
; NumAgprs: 0
; TotalNumVgprs: 0
; ScratchSize: 0
; MemoryBound: 0
; FloatMode: 240
; IeeeMode: 1
; LDSByteSize: 0 bytes/workgroup (compile time only)
; SGPRBlocks: 0
; VGPRBlocks: 0
; NumSGPRsForWavesPerEU: 6
; NumVGPRsForWavesPerEU: 1
; AccumOffset: 4
; Occupancy: 8
; WaveLimiterHint : 0
; COMPUTE_PGM_RSRC2:SCRATCH_EN: 0
; COMPUTE_PGM_RSRC2:USER_SGPR: 2
; COMPUTE_PGM_RSRC2:TRAP_HANDLER: 0
; COMPUTE_PGM_RSRC2:TGID_X_EN: 1
; COMPUTE_PGM_RSRC2:TGID_Y_EN: 0
; COMPUTE_PGM_RSRC2:TGID_Z_EN: 0
; COMPUTE_PGM_RSRC2:TIDIG_COMP_CNT: 0
; COMPUTE_PGM_RSRC3_GFX90A:ACCUM_OFFSET: 0
; COMPUTE_PGM_RSRC3_GFX90A:TG_SPLIT: 0
	.section	.text._ZN7rocprim17ROCPRIM_400000_NS6detail17trampoline_kernelINS0_14default_configENS1_27scan_by_key_config_selectorIifEEZZNS1_16scan_by_key_implILNS1_25lookback_scan_determinismE0ELb1ES3_N6thrust23THRUST_200600_302600_NS6detail15normal_iteratorINS9_10device_ptrIiEEEENSB_INSC_IfEEEESG_fNS9_4plusIvEENS9_8equal_toIvEEfEE10hipError_tPvRmT2_T3_T4_T5_mT6_T7_P12ihipStream_tbENKUlT_T0_E_clISt17integral_constantIbLb0EES11_EEDaSW_SX_EUlSW_E_NS1_11comp_targetILNS1_3genE8ELNS1_11target_archE1030ELNS1_3gpuE2ELNS1_3repE0EEENS1_30default_config_static_selectorELNS0_4arch9wavefront6targetE1EEEvT1_,"axG",@progbits,_ZN7rocprim17ROCPRIM_400000_NS6detail17trampoline_kernelINS0_14default_configENS1_27scan_by_key_config_selectorIifEEZZNS1_16scan_by_key_implILNS1_25lookback_scan_determinismE0ELb1ES3_N6thrust23THRUST_200600_302600_NS6detail15normal_iteratorINS9_10device_ptrIiEEEENSB_INSC_IfEEEESG_fNS9_4plusIvEENS9_8equal_toIvEEfEE10hipError_tPvRmT2_T3_T4_T5_mT6_T7_P12ihipStream_tbENKUlT_T0_E_clISt17integral_constantIbLb0EES11_EEDaSW_SX_EUlSW_E_NS1_11comp_targetILNS1_3genE8ELNS1_11target_archE1030ELNS1_3gpuE2ELNS1_3repE0EEENS1_30default_config_static_selectorELNS0_4arch9wavefront6targetE1EEEvT1_,comdat
	.protected	_ZN7rocprim17ROCPRIM_400000_NS6detail17trampoline_kernelINS0_14default_configENS1_27scan_by_key_config_selectorIifEEZZNS1_16scan_by_key_implILNS1_25lookback_scan_determinismE0ELb1ES3_N6thrust23THRUST_200600_302600_NS6detail15normal_iteratorINS9_10device_ptrIiEEEENSB_INSC_IfEEEESG_fNS9_4plusIvEENS9_8equal_toIvEEfEE10hipError_tPvRmT2_T3_T4_T5_mT6_T7_P12ihipStream_tbENKUlT_T0_E_clISt17integral_constantIbLb0EES11_EEDaSW_SX_EUlSW_E_NS1_11comp_targetILNS1_3genE8ELNS1_11target_archE1030ELNS1_3gpuE2ELNS1_3repE0EEENS1_30default_config_static_selectorELNS0_4arch9wavefront6targetE1EEEvT1_ ; -- Begin function _ZN7rocprim17ROCPRIM_400000_NS6detail17trampoline_kernelINS0_14default_configENS1_27scan_by_key_config_selectorIifEEZZNS1_16scan_by_key_implILNS1_25lookback_scan_determinismE0ELb1ES3_N6thrust23THRUST_200600_302600_NS6detail15normal_iteratorINS9_10device_ptrIiEEEENSB_INSC_IfEEEESG_fNS9_4plusIvEENS9_8equal_toIvEEfEE10hipError_tPvRmT2_T3_T4_T5_mT6_T7_P12ihipStream_tbENKUlT_T0_E_clISt17integral_constantIbLb0EES11_EEDaSW_SX_EUlSW_E_NS1_11comp_targetILNS1_3genE8ELNS1_11target_archE1030ELNS1_3gpuE2ELNS1_3repE0EEENS1_30default_config_static_selectorELNS0_4arch9wavefront6targetE1EEEvT1_
	.globl	_ZN7rocprim17ROCPRIM_400000_NS6detail17trampoline_kernelINS0_14default_configENS1_27scan_by_key_config_selectorIifEEZZNS1_16scan_by_key_implILNS1_25lookback_scan_determinismE0ELb1ES3_N6thrust23THRUST_200600_302600_NS6detail15normal_iteratorINS9_10device_ptrIiEEEENSB_INSC_IfEEEESG_fNS9_4plusIvEENS9_8equal_toIvEEfEE10hipError_tPvRmT2_T3_T4_T5_mT6_T7_P12ihipStream_tbENKUlT_T0_E_clISt17integral_constantIbLb0EES11_EEDaSW_SX_EUlSW_E_NS1_11comp_targetILNS1_3genE8ELNS1_11target_archE1030ELNS1_3gpuE2ELNS1_3repE0EEENS1_30default_config_static_selectorELNS0_4arch9wavefront6targetE1EEEvT1_
	.p2align	8
	.type	_ZN7rocprim17ROCPRIM_400000_NS6detail17trampoline_kernelINS0_14default_configENS1_27scan_by_key_config_selectorIifEEZZNS1_16scan_by_key_implILNS1_25lookback_scan_determinismE0ELb1ES3_N6thrust23THRUST_200600_302600_NS6detail15normal_iteratorINS9_10device_ptrIiEEEENSB_INSC_IfEEEESG_fNS9_4plusIvEENS9_8equal_toIvEEfEE10hipError_tPvRmT2_T3_T4_T5_mT6_T7_P12ihipStream_tbENKUlT_T0_E_clISt17integral_constantIbLb0EES11_EEDaSW_SX_EUlSW_E_NS1_11comp_targetILNS1_3genE8ELNS1_11target_archE1030ELNS1_3gpuE2ELNS1_3repE0EEENS1_30default_config_static_selectorELNS0_4arch9wavefront6targetE1EEEvT1_,@function
_ZN7rocprim17ROCPRIM_400000_NS6detail17trampoline_kernelINS0_14default_configENS1_27scan_by_key_config_selectorIifEEZZNS1_16scan_by_key_implILNS1_25lookback_scan_determinismE0ELb1ES3_N6thrust23THRUST_200600_302600_NS6detail15normal_iteratorINS9_10device_ptrIiEEEENSB_INSC_IfEEEESG_fNS9_4plusIvEENS9_8equal_toIvEEfEE10hipError_tPvRmT2_T3_T4_T5_mT6_T7_P12ihipStream_tbENKUlT_T0_E_clISt17integral_constantIbLb0EES11_EEDaSW_SX_EUlSW_E_NS1_11comp_targetILNS1_3genE8ELNS1_11target_archE1030ELNS1_3gpuE2ELNS1_3repE0EEENS1_30default_config_static_selectorELNS0_4arch9wavefront6targetE1EEEvT1_: ; @_ZN7rocprim17ROCPRIM_400000_NS6detail17trampoline_kernelINS0_14default_configENS1_27scan_by_key_config_selectorIifEEZZNS1_16scan_by_key_implILNS1_25lookback_scan_determinismE0ELb1ES3_N6thrust23THRUST_200600_302600_NS6detail15normal_iteratorINS9_10device_ptrIiEEEENSB_INSC_IfEEEESG_fNS9_4plusIvEENS9_8equal_toIvEEfEE10hipError_tPvRmT2_T3_T4_T5_mT6_T7_P12ihipStream_tbENKUlT_T0_E_clISt17integral_constantIbLb0EES11_EEDaSW_SX_EUlSW_E_NS1_11comp_targetILNS1_3genE8ELNS1_11target_archE1030ELNS1_3gpuE2ELNS1_3repE0EEENS1_30default_config_static_selectorELNS0_4arch9wavefront6targetE1EEEvT1_
; %bb.0:
	.section	.rodata,"a",@progbits
	.p2align	6, 0x0
	.amdhsa_kernel _ZN7rocprim17ROCPRIM_400000_NS6detail17trampoline_kernelINS0_14default_configENS1_27scan_by_key_config_selectorIifEEZZNS1_16scan_by_key_implILNS1_25lookback_scan_determinismE0ELb1ES3_N6thrust23THRUST_200600_302600_NS6detail15normal_iteratorINS9_10device_ptrIiEEEENSB_INSC_IfEEEESG_fNS9_4plusIvEENS9_8equal_toIvEEfEE10hipError_tPvRmT2_T3_T4_T5_mT6_T7_P12ihipStream_tbENKUlT_T0_E_clISt17integral_constantIbLb0EES11_EEDaSW_SX_EUlSW_E_NS1_11comp_targetILNS1_3genE8ELNS1_11target_archE1030ELNS1_3gpuE2ELNS1_3repE0EEENS1_30default_config_static_selectorELNS0_4arch9wavefront6targetE1EEEvT1_
		.amdhsa_group_segment_fixed_size 0
		.amdhsa_private_segment_fixed_size 0
		.amdhsa_kernarg_size 112
		.amdhsa_user_sgpr_count 2
		.amdhsa_user_sgpr_dispatch_ptr 0
		.amdhsa_user_sgpr_queue_ptr 0
		.amdhsa_user_sgpr_kernarg_segment_ptr 1
		.amdhsa_user_sgpr_dispatch_id 0
		.amdhsa_user_sgpr_kernarg_preload_length 0
		.amdhsa_user_sgpr_kernarg_preload_offset 0
		.amdhsa_user_sgpr_private_segment_size 0
		.amdhsa_uses_dynamic_stack 0
		.amdhsa_enable_private_segment 0
		.amdhsa_system_sgpr_workgroup_id_x 1
		.amdhsa_system_sgpr_workgroup_id_y 0
		.amdhsa_system_sgpr_workgroup_id_z 0
		.amdhsa_system_sgpr_workgroup_info 0
		.amdhsa_system_vgpr_workitem_id 0
		.amdhsa_next_free_vgpr 1
		.amdhsa_next_free_sgpr 0
		.amdhsa_accum_offset 4
		.amdhsa_reserve_vcc 0
		.amdhsa_float_round_mode_32 0
		.amdhsa_float_round_mode_16_64 0
		.amdhsa_float_denorm_mode_32 3
		.amdhsa_float_denorm_mode_16_64 3
		.amdhsa_dx10_clamp 1
		.amdhsa_ieee_mode 1
		.amdhsa_fp16_overflow 0
		.amdhsa_tg_split 0
		.amdhsa_exception_fp_ieee_invalid_op 0
		.amdhsa_exception_fp_denorm_src 0
		.amdhsa_exception_fp_ieee_div_zero 0
		.amdhsa_exception_fp_ieee_overflow 0
		.amdhsa_exception_fp_ieee_underflow 0
		.amdhsa_exception_fp_ieee_inexact 0
		.amdhsa_exception_int_div_zero 0
	.end_amdhsa_kernel
	.section	.text._ZN7rocprim17ROCPRIM_400000_NS6detail17trampoline_kernelINS0_14default_configENS1_27scan_by_key_config_selectorIifEEZZNS1_16scan_by_key_implILNS1_25lookback_scan_determinismE0ELb1ES3_N6thrust23THRUST_200600_302600_NS6detail15normal_iteratorINS9_10device_ptrIiEEEENSB_INSC_IfEEEESG_fNS9_4plusIvEENS9_8equal_toIvEEfEE10hipError_tPvRmT2_T3_T4_T5_mT6_T7_P12ihipStream_tbENKUlT_T0_E_clISt17integral_constantIbLb0EES11_EEDaSW_SX_EUlSW_E_NS1_11comp_targetILNS1_3genE8ELNS1_11target_archE1030ELNS1_3gpuE2ELNS1_3repE0EEENS1_30default_config_static_selectorELNS0_4arch9wavefront6targetE1EEEvT1_,"axG",@progbits,_ZN7rocprim17ROCPRIM_400000_NS6detail17trampoline_kernelINS0_14default_configENS1_27scan_by_key_config_selectorIifEEZZNS1_16scan_by_key_implILNS1_25lookback_scan_determinismE0ELb1ES3_N6thrust23THRUST_200600_302600_NS6detail15normal_iteratorINS9_10device_ptrIiEEEENSB_INSC_IfEEEESG_fNS9_4plusIvEENS9_8equal_toIvEEfEE10hipError_tPvRmT2_T3_T4_T5_mT6_T7_P12ihipStream_tbENKUlT_T0_E_clISt17integral_constantIbLb0EES11_EEDaSW_SX_EUlSW_E_NS1_11comp_targetILNS1_3genE8ELNS1_11target_archE1030ELNS1_3gpuE2ELNS1_3repE0EEENS1_30default_config_static_selectorELNS0_4arch9wavefront6targetE1EEEvT1_,comdat
.Lfunc_end1435:
	.size	_ZN7rocprim17ROCPRIM_400000_NS6detail17trampoline_kernelINS0_14default_configENS1_27scan_by_key_config_selectorIifEEZZNS1_16scan_by_key_implILNS1_25lookback_scan_determinismE0ELb1ES3_N6thrust23THRUST_200600_302600_NS6detail15normal_iteratorINS9_10device_ptrIiEEEENSB_INSC_IfEEEESG_fNS9_4plusIvEENS9_8equal_toIvEEfEE10hipError_tPvRmT2_T3_T4_T5_mT6_T7_P12ihipStream_tbENKUlT_T0_E_clISt17integral_constantIbLb0EES11_EEDaSW_SX_EUlSW_E_NS1_11comp_targetILNS1_3genE8ELNS1_11target_archE1030ELNS1_3gpuE2ELNS1_3repE0EEENS1_30default_config_static_selectorELNS0_4arch9wavefront6targetE1EEEvT1_, .Lfunc_end1435-_ZN7rocprim17ROCPRIM_400000_NS6detail17trampoline_kernelINS0_14default_configENS1_27scan_by_key_config_selectorIifEEZZNS1_16scan_by_key_implILNS1_25lookback_scan_determinismE0ELb1ES3_N6thrust23THRUST_200600_302600_NS6detail15normal_iteratorINS9_10device_ptrIiEEEENSB_INSC_IfEEEESG_fNS9_4plusIvEENS9_8equal_toIvEEfEE10hipError_tPvRmT2_T3_T4_T5_mT6_T7_P12ihipStream_tbENKUlT_T0_E_clISt17integral_constantIbLb0EES11_EEDaSW_SX_EUlSW_E_NS1_11comp_targetILNS1_3genE8ELNS1_11target_archE1030ELNS1_3gpuE2ELNS1_3repE0EEENS1_30default_config_static_selectorELNS0_4arch9wavefront6targetE1EEEvT1_
                                        ; -- End function
	.section	.AMDGPU.csdata,"",@progbits
; Kernel info:
; codeLenInByte = 0
; NumSgprs: 6
; NumVgprs: 0
; NumAgprs: 0
; TotalNumVgprs: 0
; ScratchSize: 0
; MemoryBound: 0
; FloatMode: 240
; IeeeMode: 1
; LDSByteSize: 0 bytes/workgroup (compile time only)
; SGPRBlocks: 0
; VGPRBlocks: 0
; NumSGPRsForWavesPerEU: 6
; NumVGPRsForWavesPerEU: 1
; AccumOffset: 4
; Occupancy: 8
; WaveLimiterHint : 0
; COMPUTE_PGM_RSRC2:SCRATCH_EN: 0
; COMPUTE_PGM_RSRC2:USER_SGPR: 2
; COMPUTE_PGM_RSRC2:TRAP_HANDLER: 0
; COMPUTE_PGM_RSRC2:TGID_X_EN: 1
; COMPUTE_PGM_RSRC2:TGID_Y_EN: 0
; COMPUTE_PGM_RSRC2:TGID_Z_EN: 0
; COMPUTE_PGM_RSRC2:TIDIG_COMP_CNT: 0
; COMPUTE_PGM_RSRC3_GFX90A:ACCUM_OFFSET: 0
; COMPUTE_PGM_RSRC3_GFX90A:TG_SPLIT: 0
	.section	.text._ZN7rocprim17ROCPRIM_400000_NS6detail17trampoline_kernelINS0_14default_configENS1_27scan_by_key_config_selectorIifEEZZNS1_16scan_by_key_implILNS1_25lookback_scan_determinismE0ELb1ES3_N6thrust23THRUST_200600_302600_NS6detail15normal_iteratorINS9_10device_ptrIiEEEENSB_INSC_IfEEEESG_fNS9_4plusIvEENS9_8equal_toIvEEfEE10hipError_tPvRmT2_T3_T4_T5_mT6_T7_P12ihipStream_tbENKUlT_T0_E_clISt17integral_constantIbLb1EES11_EEDaSW_SX_EUlSW_E_NS1_11comp_targetILNS1_3genE0ELNS1_11target_archE4294967295ELNS1_3gpuE0ELNS1_3repE0EEENS1_30default_config_static_selectorELNS0_4arch9wavefront6targetE1EEEvT1_,"axG",@progbits,_ZN7rocprim17ROCPRIM_400000_NS6detail17trampoline_kernelINS0_14default_configENS1_27scan_by_key_config_selectorIifEEZZNS1_16scan_by_key_implILNS1_25lookback_scan_determinismE0ELb1ES3_N6thrust23THRUST_200600_302600_NS6detail15normal_iteratorINS9_10device_ptrIiEEEENSB_INSC_IfEEEESG_fNS9_4plusIvEENS9_8equal_toIvEEfEE10hipError_tPvRmT2_T3_T4_T5_mT6_T7_P12ihipStream_tbENKUlT_T0_E_clISt17integral_constantIbLb1EES11_EEDaSW_SX_EUlSW_E_NS1_11comp_targetILNS1_3genE0ELNS1_11target_archE4294967295ELNS1_3gpuE0ELNS1_3repE0EEENS1_30default_config_static_selectorELNS0_4arch9wavefront6targetE1EEEvT1_,comdat
	.protected	_ZN7rocprim17ROCPRIM_400000_NS6detail17trampoline_kernelINS0_14default_configENS1_27scan_by_key_config_selectorIifEEZZNS1_16scan_by_key_implILNS1_25lookback_scan_determinismE0ELb1ES3_N6thrust23THRUST_200600_302600_NS6detail15normal_iteratorINS9_10device_ptrIiEEEENSB_INSC_IfEEEESG_fNS9_4plusIvEENS9_8equal_toIvEEfEE10hipError_tPvRmT2_T3_T4_T5_mT6_T7_P12ihipStream_tbENKUlT_T0_E_clISt17integral_constantIbLb1EES11_EEDaSW_SX_EUlSW_E_NS1_11comp_targetILNS1_3genE0ELNS1_11target_archE4294967295ELNS1_3gpuE0ELNS1_3repE0EEENS1_30default_config_static_selectorELNS0_4arch9wavefront6targetE1EEEvT1_ ; -- Begin function _ZN7rocprim17ROCPRIM_400000_NS6detail17trampoline_kernelINS0_14default_configENS1_27scan_by_key_config_selectorIifEEZZNS1_16scan_by_key_implILNS1_25lookback_scan_determinismE0ELb1ES3_N6thrust23THRUST_200600_302600_NS6detail15normal_iteratorINS9_10device_ptrIiEEEENSB_INSC_IfEEEESG_fNS9_4plusIvEENS9_8equal_toIvEEfEE10hipError_tPvRmT2_T3_T4_T5_mT6_T7_P12ihipStream_tbENKUlT_T0_E_clISt17integral_constantIbLb1EES11_EEDaSW_SX_EUlSW_E_NS1_11comp_targetILNS1_3genE0ELNS1_11target_archE4294967295ELNS1_3gpuE0ELNS1_3repE0EEENS1_30default_config_static_selectorELNS0_4arch9wavefront6targetE1EEEvT1_
	.globl	_ZN7rocprim17ROCPRIM_400000_NS6detail17trampoline_kernelINS0_14default_configENS1_27scan_by_key_config_selectorIifEEZZNS1_16scan_by_key_implILNS1_25lookback_scan_determinismE0ELb1ES3_N6thrust23THRUST_200600_302600_NS6detail15normal_iteratorINS9_10device_ptrIiEEEENSB_INSC_IfEEEESG_fNS9_4plusIvEENS9_8equal_toIvEEfEE10hipError_tPvRmT2_T3_T4_T5_mT6_T7_P12ihipStream_tbENKUlT_T0_E_clISt17integral_constantIbLb1EES11_EEDaSW_SX_EUlSW_E_NS1_11comp_targetILNS1_3genE0ELNS1_11target_archE4294967295ELNS1_3gpuE0ELNS1_3repE0EEENS1_30default_config_static_selectorELNS0_4arch9wavefront6targetE1EEEvT1_
	.p2align	8
	.type	_ZN7rocprim17ROCPRIM_400000_NS6detail17trampoline_kernelINS0_14default_configENS1_27scan_by_key_config_selectorIifEEZZNS1_16scan_by_key_implILNS1_25lookback_scan_determinismE0ELb1ES3_N6thrust23THRUST_200600_302600_NS6detail15normal_iteratorINS9_10device_ptrIiEEEENSB_INSC_IfEEEESG_fNS9_4plusIvEENS9_8equal_toIvEEfEE10hipError_tPvRmT2_T3_T4_T5_mT6_T7_P12ihipStream_tbENKUlT_T0_E_clISt17integral_constantIbLb1EES11_EEDaSW_SX_EUlSW_E_NS1_11comp_targetILNS1_3genE0ELNS1_11target_archE4294967295ELNS1_3gpuE0ELNS1_3repE0EEENS1_30default_config_static_selectorELNS0_4arch9wavefront6targetE1EEEvT1_,@function
_ZN7rocprim17ROCPRIM_400000_NS6detail17trampoline_kernelINS0_14default_configENS1_27scan_by_key_config_selectorIifEEZZNS1_16scan_by_key_implILNS1_25lookback_scan_determinismE0ELb1ES3_N6thrust23THRUST_200600_302600_NS6detail15normal_iteratorINS9_10device_ptrIiEEEENSB_INSC_IfEEEESG_fNS9_4plusIvEENS9_8equal_toIvEEfEE10hipError_tPvRmT2_T3_T4_T5_mT6_T7_P12ihipStream_tbENKUlT_T0_E_clISt17integral_constantIbLb1EES11_EEDaSW_SX_EUlSW_E_NS1_11comp_targetILNS1_3genE0ELNS1_11target_archE4294967295ELNS1_3gpuE0ELNS1_3repE0EEENS1_30default_config_static_selectorELNS0_4arch9wavefront6targetE1EEEvT1_: ; @_ZN7rocprim17ROCPRIM_400000_NS6detail17trampoline_kernelINS0_14default_configENS1_27scan_by_key_config_selectorIifEEZZNS1_16scan_by_key_implILNS1_25lookback_scan_determinismE0ELb1ES3_N6thrust23THRUST_200600_302600_NS6detail15normal_iteratorINS9_10device_ptrIiEEEENSB_INSC_IfEEEESG_fNS9_4plusIvEENS9_8equal_toIvEEfEE10hipError_tPvRmT2_T3_T4_T5_mT6_T7_P12ihipStream_tbENKUlT_T0_E_clISt17integral_constantIbLb1EES11_EEDaSW_SX_EUlSW_E_NS1_11comp_targetILNS1_3genE0ELNS1_11target_archE4294967295ELNS1_3gpuE0ELNS1_3repE0EEENS1_30default_config_static_selectorELNS0_4arch9wavefront6targetE1EEEvT1_
; %bb.0:
	.section	.rodata,"a",@progbits
	.p2align	6, 0x0
	.amdhsa_kernel _ZN7rocprim17ROCPRIM_400000_NS6detail17trampoline_kernelINS0_14default_configENS1_27scan_by_key_config_selectorIifEEZZNS1_16scan_by_key_implILNS1_25lookback_scan_determinismE0ELb1ES3_N6thrust23THRUST_200600_302600_NS6detail15normal_iteratorINS9_10device_ptrIiEEEENSB_INSC_IfEEEESG_fNS9_4plusIvEENS9_8equal_toIvEEfEE10hipError_tPvRmT2_T3_T4_T5_mT6_T7_P12ihipStream_tbENKUlT_T0_E_clISt17integral_constantIbLb1EES11_EEDaSW_SX_EUlSW_E_NS1_11comp_targetILNS1_3genE0ELNS1_11target_archE4294967295ELNS1_3gpuE0ELNS1_3repE0EEENS1_30default_config_static_selectorELNS0_4arch9wavefront6targetE1EEEvT1_
		.amdhsa_group_segment_fixed_size 0
		.amdhsa_private_segment_fixed_size 0
		.amdhsa_kernarg_size 112
		.amdhsa_user_sgpr_count 2
		.amdhsa_user_sgpr_dispatch_ptr 0
		.amdhsa_user_sgpr_queue_ptr 0
		.amdhsa_user_sgpr_kernarg_segment_ptr 1
		.amdhsa_user_sgpr_dispatch_id 0
		.amdhsa_user_sgpr_kernarg_preload_length 0
		.amdhsa_user_sgpr_kernarg_preload_offset 0
		.amdhsa_user_sgpr_private_segment_size 0
		.amdhsa_uses_dynamic_stack 0
		.amdhsa_enable_private_segment 0
		.amdhsa_system_sgpr_workgroup_id_x 1
		.amdhsa_system_sgpr_workgroup_id_y 0
		.amdhsa_system_sgpr_workgroup_id_z 0
		.amdhsa_system_sgpr_workgroup_info 0
		.amdhsa_system_vgpr_workitem_id 0
		.amdhsa_next_free_vgpr 1
		.amdhsa_next_free_sgpr 0
		.amdhsa_accum_offset 4
		.amdhsa_reserve_vcc 0
		.amdhsa_float_round_mode_32 0
		.amdhsa_float_round_mode_16_64 0
		.amdhsa_float_denorm_mode_32 3
		.amdhsa_float_denorm_mode_16_64 3
		.amdhsa_dx10_clamp 1
		.amdhsa_ieee_mode 1
		.amdhsa_fp16_overflow 0
		.amdhsa_tg_split 0
		.amdhsa_exception_fp_ieee_invalid_op 0
		.amdhsa_exception_fp_denorm_src 0
		.amdhsa_exception_fp_ieee_div_zero 0
		.amdhsa_exception_fp_ieee_overflow 0
		.amdhsa_exception_fp_ieee_underflow 0
		.amdhsa_exception_fp_ieee_inexact 0
		.amdhsa_exception_int_div_zero 0
	.end_amdhsa_kernel
	.section	.text._ZN7rocprim17ROCPRIM_400000_NS6detail17trampoline_kernelINS0_14default_configENS1_27scan_by_key_config_selectorIifEEZZNS1_16scan_by_key_implILNS1_25lookback_scan_determinismE0ELb1ES3_N6thrust23THRUST_200600_302600_NS6detail15normal_iteratorINS9_10device_ptrIiEEEENSB_INSC_IfEEEESG_fNS9_4plusIvEENS9_8equal_toIvEEfEE10hipError_tPvRmT2_T3_T4_T5_mT6_T7_P12ihipStream_tbENKUlT_T0_E_clISt17integral_constantIbLb1EES11_EEDaSW_SX_EUlSW_E_NS1_11comp_targetILNS1_3genE0ELNS1_11target_archE4294967295ELNS1_3gpuE0ELNS1_3repE0EEENS1_30default_config_static_selectorELNS0_4arch9wavefront6targetE1EEEvT1_,"axG",@progbits,_ZN7rocprim17ROCPRIM_400000_NS6detail17trampoline_kernelINS0_14default_configENS1_27scan_by_key_config_selectorIifEEZZNS1_16scan_by_key_implILNS1_25lookback_scan_determinismE0ELb1ES3_N6thrust23THRUST_200600_302600_NS6detail15normal_iteratorINS9_10device_ptrIiEEEENSB_INSC_IfEEEESG_fNS9_4plusIvEENS9_8equal_toIvEEfEE10hipError_tPvRmT2_T3_T4_T5_mT6_T7_P12ihipStream_tbENKUlT_T0_E_clISt17integral_constantIbLb1EES11_EEDaSW_SX_EUlSW_E_NS1_11comp_targetILNS1_3genE0ELNS1_11target_archE4294967295ELNS1_3gpuE0ELNS1_3repE0EEENS1_30default_config_static_selectorELNS0_4arch9wavefront6targetE1EEEvT1_,comdat
.Lfunc_end1436:
	.size	_ZN7rocprim17ROCPRIM_400000_NS6detail17trampoline_kernelINS0_14default_configENS1_27scan_by_key_config_selectorIifEEZZNS1_16scan_by_key_implILNS1_25lookback_scan_determinismE0ELb1ES3_N6thrust23THRUST_200600_302600_NS6detail15normal_iteratorINS9_10device_ptrIiEEEENSB_INSC_IfEEEESG_fNS9_4plusIvEENS9_8equal_toIvEEfEE10hipError_tPvRmT2_T3_T4_T5_mT6_T7_P12ihipStream_tbENKUlT_T0_E_clISt17integral_constantIbLb1EES11_EEDaSW_SX_EUlSW_E_NS1_11comp_targetILNS1_3genE0ELNS1_11target_archE4294967295ELNS1_3gpuE0ELNS1_3repE0EEENS1_30default_config_static_selectorELNS0_4arch9wavefront6targetE1EEEvT1_, .Lfunc_end1436-_ZN7rocprim17ROCPRIM_400000_NS6detail17trampoline_kernelINS0_14default_configENS1_27scan_by_key_config_selectorIifEEZZNS1_16scan_by_key_implILNS1_25lookback_scan_determinismE0ELb1ES3_N6thrust23THRUST_200600_302600_NS6detail15normal_iteratorINS9_10device_ptrIiEEEENSB_INSC_IfEEEESG_fNS9_4plusIvEENS9_8equal_toIvEEfEE10hipError_tPvRmT2_T3_T4_T5_mT6_T7_P12ihipStream_tbENKUlT_T0_E_clISt17integral_constantIbLb1EES11_EEDaSW_SX_EUlSW_E_NS1_11comp_targetILNS1_3genE0ELNS1_11target_archE4294967295ELNS1_3gpuE0ELNS1_3repE0EEENS1_30default_config_static_selectorELNS0_4arch9wavefront6targetE1EEEvT1_
                                        ; -- End function
	.section	.AMDGPU.csdata,"",@progbits
; Kernel info:
; codeLenInByte = 0
; NumSgprs: 6
; NumVgprs: 0
; NumAgprs: 0
; TotalNumVgprs: 0
; ScratchSize: 0
; MemoryBound: 0
; FloatMode: 240
; IeeeMode: 1
; LDSByteSize: 0 bytes/workgroup (compile time only)
; SGPRBlocks: 0
; VGPRBlocks: 0
; NumSGPRsForWavesPerEU: 6
; NumVGPRsForWavesPerEU: 1
; AccumOffset: 4
; Occupancy: 8
; WaveLimiterHint : 0
; COMPUTE_PGM_RSRC2:SCRATCH_EN: 0
; COMPUTE_PGM_RSRC2:USER_SGPR: 2
; COMPUTE_PGM_RSRC2:TRAP_HANDLER: 0
; COMPUTE_PGM_RSRC2:TGID_X_EN: 1
; COMPUTE_PGM_RSRC2:TGID_Y_EN: 0
; COMPUTE_PGM_RSRC2:TGID_Z_EN: 0
; COMPUTE_PGM_RSRC2:TIDIG_COMP_CNT: 0
; COMPUTE_PGM_RSRC3_GFX90A:ACCUM_OFFSET: 0
; COMPUTE_PGM_RSRC3_GFX90A:TG_SPLIT: 0
	.section	.text._ZN7rocprim17ROCPRIM_400000_NS6detail17trampoline_kernelINS0_14default_configENS1_27scan_by_key_config_selectorIifEEZZNS1_16scan_by_key_implILNS1_25lookback_scan_determinismE0ELb1ES3_N6thrust23THRUST_200600_302600_NS6detail15normal_iteratorINS9_10device_ptrIiEEEENSB_INSC_IfEEEESG_fNS9_4plusIvEENS9_8equal_toIvEEfEE10hipError_tPvRmT2_T3_T4_T5_mT6_T7_P12ihipStream_tbENKUlT_T0_E_clISt17integral_constantIbLb1EES11_EEDaSW_SX_EUlSW_E_NS1_11comp_targetILNS1_3genE10ELNS1_11target_archE1201ELNS1_3gpuE5ELNS1_3repE0EEENS1_30default_config_static_selectorELNS0_4arch9wavefront6targetE1EEEvT1_,"axG",@progbits,_ZN7rocprim17ROCPRIM_400000_NS6detail17trampoline_kernelINS0_14default_configENS1_27scan_by_key_config_selectorIifEEZZNS1_16scan_by_key_implILNS1_25lookback_scan_determinismE0ELb1ES3_N6thrust23THRUST_200600_302600_NS6detail15normal_iteratorINS9_10device_ptrIiEEEENSB_INSC_IfEEEESG_fNS9_4plusIvEENS9_8equal_toIvEEfEE10hipError_tPvRmT2_T3_T4_T5_mT6_T7_P12ihipStream_tbENKUlT_T0_E_clISt17integral_constantIbLb1EES11_EEDaSW_SX_EUlSW_E_NS1_11comp_targetILNS1_3genE10ELNS1_11target_archE1201ELNS1_3gpuE5ELNS1_3repE0EEENS1_30default_config_static_selectorELNS0_4arch9wavefront6targetE1EEEvT1_,comdat
	.protected	_ZN7rocprim17ROCPRIM_400000_NS6detail17trampoline_kernelINS0_14default_configENS1_27scan_by_key_config_selectorIifEEZZNS1_16scan_by_key_implILNS1_25lookback_scan_determinismE0ELb1ES3_N6thrust23THRUST_200600_302600_NS6detail15normal_iteratorINS9_10device_ptrIiEEEENSB_INSC_IfEEEESG_fNS9_4plusIvEENS9_8equal_toIvEEfEE10hipError_tPvRmT2_T3_T4_T5_mT6_T7_P12ihipStream_tbENKUlT_T0_E_clISt17integral_constantIbLb1EES11_EEDaSW_SX_EUlSW_E_NS1_11comp_targetILNS1_3genE10ELNS1_11target_archE1201ELNS1_3gpuE5ELNS1_3repE0EEENS1_30default_config_static_selectorELNS0_4arch9wavefront6targetE1EEEvT1_ ; -- Begin function _ZN7rocprim17ROCPRIM_400000_NS6detail17trampoline_kernelINS0_14default_configENS1_27scan_by_key_config_selectorIifEEZZNS1_16scan_by_key_implILNS1_25lookback_scan_determinismE0ELb1ES3_N6thrust23THRUST_200600_302600_NS6detail15normal_iteratorINS9_10device_ptrIiEEEENSB_INSC_IfEEEESG_fNS9_4plusIvEENS9_8equal_toIvEEfEE10hipError_tPvRmT2_T3_T4_T5_mT6_T7_P12ihipStream_tbENKUlT_T0_E_clISt17integral_constantIbLb1EES11_EEDaSW_SX_EUlSW_E_NS1_11comp_targetILNS1_3genE10ELNS1_11target_archE1201ELNS1_3gpuE5ELNS1_3repE0EEENS1_30default_config_static_selectorELNS0_4arch9wavefront6targetE1EEEvT1_
	.globl	_ZN7rocprim17ROCPRIM_400000_NS6detail17trampoline_kernelINS0_14default_configENS1_27scan_by_key_config_selectorIifEEZZNS1_16scan_by_key_implILNS1_25lookback_scan_determinismE0ELb1ES3_N6thrust23THRUST_200600_302600_NS6detail15normal_iteratorINS9_10device_ptrIiEEEENSB_INSC_IfEEEESG_fNS9_4plusIvEENS9_8equal_toIvEEfEE10hipError_tPvRmT2_T3_T4_T5_mT6_T7_P12ihipStream_tbENKUlT_T0_E_clISt17integral_constantIbLb1EES11_EEDaSW_SX_EUlSW_E_NS1_11comp_targetILNS1_3genE10ELNS1_11target_archE1201ELNS1_3gpuE5ELNS1_3repE0EEENS1_30default_config_static_selectorELNS0_4arch9wavefront6targetE1EEEvT1_
	.p2align	8
	.type	_ZN7rocprim17ROCPRIM_400000_NS6detail17trampoline_kernelINS0_14default_configENS1_27scan_by_key_config_selectorIifEEZZNS1_16scan_by_key_implILNS1_25lookback_scan_determinismE0ELb1ES3_N6thrust23THRUST_200600_302600_NS6detail15normal_iteratorINS9_10device_ptrIiEEEENSB_INSC_IfEEEESG_fNS9_4plusIvEENS9_8equal_toIvEEfEE10hipError_tPvRmT2_T3_T4_T5_mT6_T7_P12ihipStream_tbENKUlT_T0_E_clISt17integral_constantIbLb1EES11_EEDaSW_SX_EUlSW_E_NS1_11comp_targetILNS1_3genE10ELNS1_11target_archE1201ELNS1_3gpuE5ELNS1_3repE0EEENS1_30default_config_static_selectorELNS0_4arch9wavefront6targetE1EEEvT1_,@function
_ZN7rocprim17ROCPRIM_400000_NS6detail17trampoline_kernelINS0_14default_configENS1_27scan_by_key_config_selectorIifEEZZNS1_16scan_by_key_implILNS1_25lookback_scan_determinismE0ELb1ES3_N6thrust23THRUST_200600_302600_NS6detail15normal_iteratorINS9_10device_ptrIiEEEENSB_INSC_IfEEEESG_fNS9_4plusIvEENS9_8equal_toIvEEfEE10hipError_tPvRmT2_T3_T4_T5_mT6_T7_P12ihipStream_tbENKUlT_T0_E_clISt17integral_constantIbLb1EES11_EEDaSW_SX_EUlSW_E_NS1_11comp_targetILNS1_3genE10ELNS1_11target_archE1201ELNS1_3gpuE5ELNS1_3repE0EEENS1_30default_config_static_selectorELNS0_4arch9wavefront6targetE1EEEvT1_: ; @_ZN7rocprim17ROCPRIM_400000_NS6detail17trampoline_kernelINS0_14default_configENS1_27scan_by_key_config_selectorIifEEZZNS1_16scan_by_key_implILNS1_25lookback_scan_determinismE0ELb1ES3_N6thrust23THRUST_200600_302600_NS6detail15normal_iteratorINS9_10device_ptrIiEEEENSB_INSC_IfEEEESG_fNS9_4plusIvEENS9_8equal_toIvEEfEE10hipError_tPvRmT2_T3_T4_T5_mT6_T7_P12ihipStream_tbENKUlT_T0_E_clISt17integral_constantIbLb1EES11_EEDaSW_SX_EUlSW_E_NS1_11comp_targetILNS1_3genE10ELNS1_11target_archE1201ELNS1_3gpuE5ELNS1_3repE0EEENS1_30default_config_static_selectorELNS0_4arch9wavefront6targetE1EEEvT1_
; %bb.0:
	.section	.rodata,"a",@progbits
	.p2align	6, 0x0
	.amdhsa_kernel _ZN7rocprim17ROCPRIM_400000_NS6detail17trampoline_kernelINS0_14default_configENS1_27scan_by_key_config_selectorIifEEZZNS1_16scan_by_key_implILNS1_25lookback_scan_determinismE0ELb1ES3_N6thrust23THRUST_200600_302600_NS6detail15normal_iteratorINS9_10device_ptrIiEEEENSB_INSC_IfEEEESG_fNS9_4plusIvEENS9_8equal_toIvEEfEE10hipError_tPvRmT2_T3_T4_T5_mT6_T7_P12ihipStream_tbENKUlT_T0_E_clISt17integral_constantIbLb1EES11_EEDaSW_SX_EUlSW_E_NS1_11comp_targetILNS1_3genE10ELNS1_11target_archE1201ELNS1_3gpuE5ELNS1_3repE0EEENS1_30default_config_static_selectorELNS0_4arch9wavefront6targetE1EEEvT1_
		.amdhsa_group_segment_fixed_size 0
		.amdhsa_private_segment_fixed_size 0
		.amdhsa_kernarg_size 112
		.amdhsa_user_sgpr_count 2
		.amdhsa_user_sgpr_dispatch_ptr 0
		.amdhsa_user_sgpr_queue_ptr 0
		.amdhsa_user_sgpr_kernarg_segment_ptr 1
		.amdhsa_user_sgpr_dispatch_id 0
		.amdhsa_user_sgpr_kernarg_preload_length 0
		.amdhsa_user_sgpr_kernarg_preload_offset 0
		.amdhsa_user_sgpr_private_segment_size 0
		.amdhsa_uses_dynamic_stack 0
		.amdhsa_enable_private_segment 0
		.amdhsa_system_sgpr_workgroup_id_x 1
		.amdhsa_system_sgpr_workgroup_id_y 0
		.amdhsa_system_sgpr_workgroup_id_z 0
		.amdhsa_system_sgpr_workgroup_info 0
		.amdhsa_system_vgpr_workitem_id 0
		.amdhsa_next_free_vgpr 1
		.amdhsa_next_free_sgpr 0
		.amdhsa_accum_offset 4
		.amdhsa_reserve_vcc 0
		.amdhsa_float_round_mode_32 0
		.amdhsa_float_round_mode_16_64 0
		.amdhsa_float_denorm_mode_32 3
		.amdhsa_float_denorm_mode_16_64 3
		.amdhsa_dx10_clamp 1
		.amdhsa_ieee_mode 1
		.amdhsa_fp16_overflow 0
		.amdhsa_tg_split 0
		.amdhsa_exception_fp_ieee_invalid_op 0
		.amdhsa_exception_fp_denorm_src 0
		.amdhsa_exception_fp_ieee_div_zero 0
		.amdhsa_exception_fp_ieee_overflow 0
		.amdhsa_exception_fp_ieee_underflow 0
		.amdhsa_exception_fp_ieee_inexact 0
		.amdhsa_exception_int_div_zero 0
	.end_amdhsa_kernel
	.section	.text._ZN7rocprim17ROCPRIM_400000_NS6detail17trampoline_kernelINS0_14default_configENS1_27scan_by_key_config_selectorIifEEZZNS1_16scan_by_key_implILNS1_25lookback_scan_determinismE0ELb1ES3_N6thrust23THRUST_200600_302600_NS6detail15normal_iteratorINS9_10device_ptrIiEEEENSB_INSC_IfEEEESG_fNS9_4plusIvEENS9_8equal_toIvEEfEE10hipError_tPvRmT2_T3_T4_T5_mT6_T7_P12ihipStream_tbENKUlT_T0_E_clISt17integral_constantIbLb1EES11_EEDaSW_SX_EUlSW_E_NS1_11comp_targetILNS1_3genE10ELNS1_11target_archE1201ELNS1_3gpuE5ELNS1_3repE0EEENS1_30default_config_static_selectorELNS0_4arch9wavefront6targetE1EEEvT1_,"axG",@progbits,_ZN7rocprim17ROCPRIM_400000_NS6detail17trampoline_kernelINS0_14default_configENS1_27scan_by_key_config_selectorIifEEZZNS1_16scan_by_key_implILNS1_25lookback_scan_determinismE0ELb1ES3_N6thrust23THRUST_200600_302600_NS6detail15normal_iteratorINS9_10device_ptrIiEEEENSB_INSC_IfEEEESG_fNS9_4plusIvEENS9_8equal_toIvEEfEE10hipError_tPvRmT2_T3_T4_T5_mT6_T7_P12ihipStream_tbENKUlT_T0_E_clISt17integral_constantIbLb1EES11_EEDaSW_SX_EUlSW_E_NS1_11comp_targetILNS1_3genE10ELNS1_11target_archE1201ELNS1_3gpuE5ELNS1_3repE0EEENS1_30default_config_static_selectorELNS0_4arch9wavefront6targetE1EEEvT1_,comdat
.Lfunc_end1437:
	.size	_ZN7rocprim17ROCPRIM_400000_NS6detail17trampoline_kernelINS0_14default_configENS1_27scan_by_key_config_selectorIifEEZZNS1_16scan_by_key_implILNS1_25lookback_scan_determinismE0ELb1ES3_N6thrust23THRUST_200600_302600_NS6detail15normal_iteratorINS9_10device_ptrIiEEEENSB_INSC_IfEEEESG_fNS9_4plusIvEENS9_8equal_toIvEEfEE10hipError_tPvRmT2_T3_T4_T5_mT6_T7_P12ihipStream_tbENKUlT_T0_E_clISt17integral_constantIbLb1EES11_EEDaSW_SX_EUlSW_E_NS1_11comp_targetILNS1_3genE10ELNS1_11target_archE1201ELNS1_3gpuE5ELNS1_3repE0EEENS1_30default_config_static_selectorELNS0_4arch9wavefront6targetE1EEEvT1_, .Lfunc_end1437-_ZN7rocprim17ROCPRIM_400000_NS6detail17trampoline_kernelINS0_14default_configENS1_27scan_by_key_config_selectorIifEEZZNS1_16scan_by_key_implILNS1_25lookback_scan_determinismE0ELb1ES3_N6thrust23THRUST_200600_302600_NS6detail15normal_iteratorINS9_10device_ptrIiEEEENSB_INSC_IfEEEESG_fNS9_4plusIvEENS9_8equal_toIvEEfEE10hipError_tPvRmT2_T3_T4_T5_mT6_T7_P12ihipStream_tbENKUlT_T0_E_clISt17integral_constantIbLb1EES11_EEDaSW_SX_EUlSW_E_NS1_11comp_targetILNS1_3genE10ELNS1_11target_archE1201ELNS1_3gpuE5ELNS1_3repE0EEENS1_30default_config_static_selectorELNS0_4arch9wavefront6targetE1EEEvT1_
                                        ; -- End function
	.section	.AMDGPU.csdata,"",@progbits
; Kernel info:
; codeLenInByte = 0
; NumSgprs: 6
; NumVgprs: 0
; NumAgprs: 0
; TotalNumVgprs: 0
; ScratchSize: 0
; MemoryBound: 0
; FloatMode: 240
; IeeeMode: 1
; LDSByteSize: 0 bytes/workgroup (compile time only)
; SGPRBlocks: 0
; VGPRBlocks: 0
; NumSGPRsForWavesPerEU: 6
; NumVGPRsForWavesPerEU: 1
; AccumOffset: 4
; Occupancy: 8
; WaveLimiterHint : 0
; COMPUTE_PGM_RSRC2:SCRATCH_EN: 0
; COMPUTE_PGM_RSRC2:USER_SGPR: 2
; COMPUTE_PGM_RSRC2:TRAP_HANDLER: 0
; COMPUTE_PGM_RSRC2:TGID_X_EN: 1
; COMPUTE_PGM_RSRC2:TGID_Y_EN: 0
; COMPUTE_PGM_RSRC2:TGID_Z_EN: 0
; COMPUTE_PGM_RSRC2:TIDIG_COMP_CNT: 0
; COMPUTE_PGM_RSRC3_GFX90A:ACCUM_OFFSET: 0
; COMPUTE_PGM_RSRC3_GFX90A:TG_SPLIT: 0
	.section	.text._ZN7rocprim17ROCPRIM_400000_NS6detail17trampoline_kernelINS0_14default_configENS1_27scan_by_key_config_selectorIifEEZZNS1_16scan_by_key_implILNS1_25lookback_scan_determinismE0ELb1ES3_N6thrust23THRUST_200600_302600_NS6detail15normal_iteratorINS9_10device_ptrIiEEEENSB_INSC_IfEEEESG_fNS9_4plusIvEENS9_8equal_toIvEEfEE10hipError_tPvRmT2_T3_T4_T5_mT6_T7_P12ihipStream_tbENKUlT_T0_E_clISt17integral_constantIbLb1EES11_EEDaSW_SX_EUlSW_E_NS1_11comp_targetILNS1_3genE5ELNS1_11target_archE942ELNS1_3gpuE9ELNS1_3repE0EEENS1_30default_config_static_selectorELNS0_4arch9wavefront6targetE1EEEvT1_,"axG",@progbits,_ZN7rocprim17ROCPRIM_400000_NS6detail17trampoline_kernelINS0_14default_configENS1_27scan_by_key_config_selectorIifEEZZNS1_16scan_by_key_implILNS1_25lookback_scan_determinismE0ELb1ES3_N6thrust23THRUST_200600_302600_NS6detail15normal_iteratorINS9_10device_ptrIiEEEENSB_INSC_IfEEEESG_fNS9_4plusIvEENS9_8equal_toIvEEfEE10hipError_tPvRmT2_T3_T4_T5_mT6_T7_P12ihipStream_tbENKUlT_T0_E_clISt17integral_constantIbLb1EES11_EEDaSW_SX_EUlSW_E_NS1_11comp_targetILNS1_3genE5ELNS1_11target_archE942ELNS1_3gpuE9ELNS1_3repE0EEENS1_30default_config_static_selectorELNS0_4arch9wavefront6targetE1EEEvT1_,comdat
	.protected	_ZN7rocprim17ROCPRIM_400000_NS6detail17trampoline_kernelINS0_14default_configENS1_27scan_by_key_config_selectorIifEEZZNS1_16scan_by_key_implILNS1_25lookback_scan_determinismE0ELb1ES3_N6thrust23THRUST_200600_302600_NS6detail15normal_iteratorINS9_10device_ptrIiEEEENSB_INSC_IfEEEESG_fNS9_4plusIvEENS9_8equal_toIvEEfEE10hipError_tPvRmT2_T3_T4_T5_mT6_T7_P12ihipStream_tbENKUlT_T0_E_clISt17integral_constantIbLb1EES11_EEDaSW_SX_EUlSW_E_NS1_11comp_targetILNS1_3genE5ELNS1_11target_archE942ELNS1_3gpuE9ELNS1_3repE0EEENS1_30default_config_static_selectorELNS0_4arch9wavefront6targetE1EEEvT1_ ; -- Begin function _ZN7rocprim17ROCPRIM_400000_NS6detail17trampoline_kernelINS0_14default_configENS1_27scan_by_key_config_selectorIifEEZZNS1_16scan_by_key_implILNS1_25lookback_scan_determinismE0ELb1ES3_N6thrust23THRUST_200600_302600_NS6detail15normal_iteratorINS9_10device_ptrIiEEEENSB_INSC_IfEEEESG_fNS9_4plusIvEENS9_8equal_toIvEEfEE10hipError_tPvRmT2_T3_T4_T5_mT6_T7_P12ihipStream_tbENKUlT_T0_E_clISt17integral_constantIbLb1EES11_EEDaSW_SX_EUlSW_E_NS1_11comp_targetILNS1_3genE5ELNS1_11target_archE942ELNS1_3gpuE9ELNS1_3repE0EEENS1_30default_config_static_selectorELNS0_4arch9wavefront6targetE1EEEvT1_
	.globl	_ZN7rocprim17ROCPRIM_400000_NS6detail17trampoline_kernelINS0_14default_configENS1_27scan_by_key_config_selectorIifEEZZNS1_16scan_by_key_implILNS1_25lookback_scan_determinismE0ELb1ES3_N6thrust23THRUST_200600_302600_NS6detail15normal_iteratorINS9_10device_ptrIiEEEENSB_INSC_IfEEEESG_fNS9_4plusIvEENS9_8equal_toIvEEfEE10hipError_tPvRmT2_T3_T4_T5_mT6_T7_P12ihipStream_tbENKUlT_T0_E_clISt17integral_constantIbLb1EES11_EEDaSW_SX_EUlSW_E_NS1_11comp_targetILNS1_3genE5ELNS1_11target_archE942ELNS1_3gpuE9ELNS1_3repE0EEENS1_30default_config_static_selectorELNS0_4arch9wavefront6targetE1EEEvT1_
	.p2align	8
	.type	_ZN7rocprim17ROCPRIM_400000_NS6detail17trampoline_kernelINS0_14default_configENS1_27scan_by_key_config_selectorIifEEZZNS1_16scan_by_key_implILNS1_25lookback_scan_determinismE0ELb1ES3_N6thrust23THRUST_200600_302600_NS6detail15normal_iteratorINS9_10device_ptrIiEEEENSB_INSC_IfEEEESG_fNS9_4plusIvEENS9_8equal_toIvEEfEE10hipError_tPvRmT2_T3_T4_T5_mT6_T7_P12ihipStream_tbENKUlT_T0_E_clISt17integral_constantIbLb1EES11_EEDaSW_SX_EUlSW_E_NS1_11comp_targetILNS1_3genE5ELNS1_11target_archE942ELNS1_3gpuE9ELNS1_3repE0EEENS1_30default_config_static_selectorELNS0_4arch9wavefront6targetE1EEEvT1_,@function
_ZN7rocprim17ROCPRIM_400000_NS6detail17trampoline_kernelINS0_14default_configENS1_27scan_by_key_config_selectorIifEEZZNS1_16scan_by_key_implILNS1_25lookback_scan_determinismE0ELb1ES3_N6thrust23THRUST_200600_302600_NS6detail15normal_iteratorINS9_10device_ptrIiEEEENSB_INSC_IfEEEESG_fNS9_4plusIvEENS9_8equal_toIvEEfEE10hipError_tPvRmT2_T3_T4_T5_mT6_T7_P12ihipStream_tbENKUlT_T0_E_clISt17integral_constantIbLb1EES11_EEDaSW_SX_EUlSW_E_NS1_11comp_targetILNS1_3genE5ELNS1_11target_archE942ELNS1_3gpuE9ELNS1_3repE0EEENS1_30default_config_static_selectorELNS0_4arch9wavefront6targetE1EEEvT1_: ; @_ZN7rocprim17ROCPRIM_400000_NS6detail17trampoline_kernelINS0_14default_configENS1_27scan_by_key_config_selectorIifEEZZNS1_16scan_by_key_implILNS1_25lookback_scan_determinismE0ELb1ES3_N6thrust23THRUST_200600_302600_NS6detail15normal_iteratorINS9_10device_ptrIiEEEENSB_INSC_IfEEEESG_fNS9_4plusIvEENS9_8equal_toIvEEfEE10hipError_tPvRmT2_T3_T4_T5_mT6_T7_P12ihipStream_tbENKUlT_T0_E_clISt17integral_constantIbLb1EES11_EEDaSW_SX_EUlSW_E_NS1_11comp_targetILNS1_3genE5ELNS1_11target_archE942ELNS1_3gpuE9ELNS1_3repE0EEENS1_30default_config_static_selectorELNS0_4arch9wavefront6targetE1EEEvT1_
; %bb.0:
	s_load_dword s74, s[0:1], 0x20
	s_load_dwordx4 s[64:67], s[0:1], 0x28
	s_load_dwordx2 s[72:73], s[0:1], 0x38
	v_cmp_ne_u32_e64 s[4:5], 0, v0
	v_cmp_eq_u32_e64 s[52:53], 0, v0
	s_and_saveexec_b64 s[2:3], s[52:53]
	s_cbranch_execz .LBB1438_4
; %bb.1:
	s_mov_b64 s[8:9], exec
	v_mbcnt_lo_u32_b32 v1, s8, 0
	v_mbcnt_hi_u32_b32 v1, s9, v1
	v_cmp_eq_u32_e32 vcc, 0, v1
                                        ; implicit-def: $vgpr2
	s_and_saveexec_b64 s[6:7], vcc
	s_cbranch_execz .LBB1438_3
; %bb.2:
	s_load_dwordx2 s[10:11], s[0:1], 0x68
	s_bcnt1_i32_b64 s8, s[8:9]
	v_mov_b32_e32 v2, 0
	v_mov_b32_e32 v3, s8
	s_waitcnt lgkmcnt(0)
	global_atomic_add v2, v2, v3, s[10:11] sc0
.LBB1438_3:
	s_or_b64 exec, exec, s[6:7]
	s_waitcnt vmcnt(0)
	v_readfirstlane_b32 s6, v2
	v_mov_b32_e32 v2, 0
	s_nop 0
	v_add_u32_e32 v1, s6, v1
	ds_write_b32 v2, v1
.LBB1438_4:
	s_or_b64 exec, exec, s[2:3]
	s_load_dwordx8 s[56:63], s[0:1], 0x0
	s_load_dword s2, s[0:1], 0x40
	s_load_dwordx4 s[68:71], s[0:1], 0x48
	v_mov_b32_e32 v7, 0
	s_waitcnt lgkmcnt(0)
	s_lshl_b64 s[54:55], s[58:59], 2
	s_barrier
	ds_read_b32 v6, v7
	s_add_u32 s0, s56, s54
	s_addc_u32 s1, s57, s55
	s_add_u32 s6, s60, s54
	s_mul_i32 s3, s73, s2
	s_mul_hi_u32 s8, s72, s2
	s_addc_u32 s7, s61, s55
	s_add_i32 s3, s8, s3
	s_movk_i32 s8, 0x1700
	s_waitcnt lgkmcnt(0)
	v_mul_lo_u32 v2, v6, s8
	v_mov_b32_e32 v3, v7
	v_lshlrev_b64 v[10:11], 2, v[2:3]
	s_mul_i32 s2, s72, s2
	v_lshl_add_u64 v[2:3], s[6:7], 0, v[10:11]
	s_add_u32 s6, s68, -1
	v_readfirstlane_b32 s67, v6
	v_lshl_add_u64 v[6:7], s[2:3], 0, v[6:7]
	s_addc_u32 s7, s69, -1
	v_cmp_le_u64_e64 s[2:3], s[6:7], v[6:7]
	v_lshl_add_u64 v[4:5], s[0:1], 0, v[10:11]
	s_mov_b64 s[0:1], -1
	s_and_b64 vcc, exec, s[2:3]
	s_mul_i32 s33, s6, 0xffffe900
	s_barrier
	s_barrier
	s_cbranch_vccz .LBB1438_75
; %bb.5:
	flat_load_dword v6, v[4:5]
	s_add_i32 s60, s33, s66
	v_cmp_gt_u32_e32 vcc, s60, v0
	s_waitcnt vmcnt(0) lgkmcnt(0)
	v_mov_b32_e32 v7, v6
	s_and_saveexec_b64 s[0:1], vcc
	s_cbranch_execz .LBB1438_7
; %bb.6:
	v_lshlrev_b32_e32 v8, 2, v0
	v_mov_b32_e32 v9, 0
	v_lshl_add_u64 v[8:9], v[4:5], 0, v[8:9]
	flat_load_dword v7, v[8:9]
.LBB1438_7:
	s_or_b64 exec, exec, s[0:1]
	v_or_b32_e32 v1, 0x100, v0
	v_cmp_gt_u32_e64 s[6:7], s60, v1
	v_mov_b32_e32 v8, v6
	s_and_saveexec_b64 s[0:1], s[6:7]
	s_cbranch_execz .LBB1438_9
; %bb.8:
	v_lshlrev_b32_e32 v8, 2, v0
	v_mov_b32_e32 v9, 0
	v_lshl_add_u64 v[8:9], v[4:5], 0, v[8:9]
	flat_load_dword v8, v[8:9] offset:1024
.LBB1438_9:
	s_or_b64 exec, exec, s[0:1]
	v_or_b32_e32 v1, 0x200, v0
	v_cmp_gt_u32_e64 s[8:9], s60, v1
	v_mov_b32_e32 v9, v6
	s_and_saveexec_b64 s[0:1], s[8:9]
	s_cbranch_execz .LBB1438_11
; %bb.10:
	v_lshlrev_b32_e32 v12, 2, v0
	v_mov_b32_e32 v13, 0
	v_lshl_add_u64 v[12:13], v[4:5], 0, v[12:13]
	flat_load_dword v9, v[12:13] offset:2048
.LBB1438_11:
	;; [unrolled: 12-line block ×3, first 2 shown]
	s_or_b64 exec, exec, s[0:1]
	v_or_b32_e32 v1, 0x400, v0
	v_cmp_gt_u32_e64 s[12:13], s60, v1
	v_mov_b32_e32 v13, v6
	s_and_saveexec_b64 s[0:1], s[12:13]
	s_cbranch_execz .LBB1438_15
; %bb.14:
	v_lshlrev_b32_e32 v14, 2, v1
	v_mov_b32_e32 v15, 0
	v_lshl_add_u64 v[14:15], v[4:5], 0, v[14:15]
	flat_load_dword v13, v[14:15]
.LBB1438_15:
	s_or_b64 exec, exec, s[0:1]
	v_or_b32_e32 v32, 0x500, v0
	v_cmp_gt_u32_e64 s[14:15], s60, v32
	v_mov_b32_e32 v14, v6
	s_and_saveexec_b64 s[0:1], s[14:15]
	s_cbranch_execz .LBB1438_17
; %bb.16:
	v_lshlrev_b32_e32 v14, 2, v32
	v_mov_b32_e32 v15, 0
	v_lshl_add_u64 v[14:15], v[4:5], 0, v[14:15]
	flat_load_dword v14, v[14:15]
.LBB1438_17:
	;; [unrolled: 12-line block ×18, first 2 shown]
	s_or_b64 exec, exec, s[0:1]
	v_or_b32_e32 v49, 0x1600, v0
	v_cmp_gt_u32_e64 s[50:51], s60, v49
	s_and_saveexec_b64 s[0:1], s[50:51]
	s_cbranch_execz .LBB1438_51
; %bb.50:
	v_lshlrev_b32_e32 v50, 2, v49
	v_mov_b32_e32 v51, 0
	v_lshl_add_u64 v[50:51], v[4:5], 0, v[50:51]
	flat_load_dword v6, v[50:51]
.LBB1438_51:
	s_or_b64 exec, exec, s[0:1]
	v_lshlrev_b32_e32 v30, 2, v0
	s_waitcnt vmcnt(0) lgkmcnt(0)
	ds_write2st64_b32 v30, v7, v8 offset1:4
	ds_write2st64_b32 v30, v9, v12 offset0:8 offset1:12
	ds_write2st64_b32 v30, v13, v14 offset0:16 offset1:20
	;; [unrolled: 1-line block ×10, first 2 shown]
	ds_write_b32 v30, v6 offset:22528
	s_waitcnt lgkmcnt(0)
	s_barrier
	flat_load_dword v75, v[4:5]
	s_movk_i32 s0, 0x58
	v_mad_u32_u24 v76, v0, s0, v30
	s_movk_i32 s0, 0xffa8
	v_mad_i32_i24 v31, v0, s0, v76
	s_movk_i32 s0, 0xff
	v_cmp_ne_u32_e64 s[0:1], s0, v0
	ds_read_b32 v78, v76
	ds_read2_b32 v[28:29], v76 offset0:1 offset1:2
	ds_read2_b32 v[26:27], v76 offset0:3 offset1:4
	;; [unrolled: 1-line block ×11, first 2 shown]
	s_waitcnt lgkmcnt(0)
	ds_write_b32 v31, v78 offset:24576
	s_waitcnt lgkmcnt(0)
	s_barrier
	s_and_saveexec_b64 s[56:57], s[0:1]
	s_cbranch_execz .LBB1438_53
; %bb.52:
	s_waitcnt vmcnt(0)
	ds_read_b32 v75, v30 offset:24580
.LBB1438_53:
	s_or_b64 exec, exec, s[56:57]
	v_mov_b32_e32 v31, 0
	s_waitcnt lgkmcnt(0)
	s_barrier
	s_waitcnt lgkmcnt(0)
                                        ; implicit-def: $vgpr50
	s_and_saveexec_b64 s[0:1], vcc
	s_cbranch_execz .LBB1438_76
; %bb.54:
	v_lshl_add_u64 v[50:51], v[2:3], 0, v[30:31]
	flat_load_dword v50, v[50:51]
	s_or_b64 exec, exec, s[0:1]
                                        ; implicit-def: $vgpr51
	s_and_saveexec_b64 s[0:1], s[6:7]
	s_cbranch_execnz .LBB1438_77
.LBB1438_55:
	s_or_b64 exec, exec, s[0:1]
                                        ; implicit-def: $vgpr52
	s_and_saveexec_b64 s[0:1], s[8:9]
	s_cbranch_execz .LBB1438_78
.LBB1438_56:
	v_mov_b32_e32 v31, 0
	v_lshl_add_u64 v[52:53], v[2:3], 0, v[30:31]
	flat_load_dword v52, v[52:53] offset:2048
	s_or_b64 exec, exec, s[0:1]
                                        ; implicit-def: $vgpr31
	s_and_saveexec_b64 s[0:1], s[10:11]
	s_cbranch_execnz .LBB1438_79
.LBB1438_57:
	s_or_b64 exec, exec, s[0:1]
                                        ; implicit-def: $vgpr53
	s_and_saveexec_b64 s[0:1], s[12:13]
	s_cbranch_execz .LBB1438_80
.LBB1438_58:
	v_lshlrev_b32_e32 v54, 2, v1
	v_mov_b32_e32 v55, 0
	v_lshl_add_u64 v[54:55], v[2:3], 0, v[54:55]
	flat_load_dword v53, v[54:55]
	s_or_b64 exec, exec, s[0:1]
                                        ; implicit-def: $vgpr1
	s_and_saveexec_b64 s[0:1], s[14:15]
	s_cbranch_execnz .LBB1438_81
.LBB1438_59:
	s_or_b64 exec, exec, s[0:1]
                                        ; implicit-def: $vgpr32
	s_and_saveexec_b64 s[0:1], s[16:17]
	s_cbranch_execz .LBB1438_82
.LBB1438_60:
	v_lshlrev_b32_e32 v32, 2, v33
	v_mov_b32_e32 v33, 0
	v_lshl_add_u64 v[32:33], v[2:3], 0, v[32:33]
	flat_load_dword v32, v[32:33]
	s_or_b64 exec, exec, s[0:1]
                                        ; implicit-def: $vgpr33
	s_and_saveexec_b64 s[0:1], s[18:19]
	s_cbranch_execnz .LBB1438_83
.LBB1438_61:
	s_or_b64 exec, exec, s[0:1]
                                        ; implicit-def: $vgpr34
	s_and_saveexec_b64 s[0:1], s[20:21]
	s_cbranch_execz .LBB1438_84
.LBB1438_62:
	v_lshlrev_b32_e32 v34, 2, v35
	v_mov_b32_e32 v35, 0
	v_lshl_add_u64 v[34:35], v[2:3], 0, v[34:35]
	flat_load_dword v34, v[34:35]
	s_or_b64 exec, exec, s[0:1]
                                        ; implicit-def: $vgpr35
	s_and_saveexec_b64 s[0:1], s[22:23]
	s_cbranch_execnz .LBB1438_85
.LBB1438_63:
	s_or_b64 exec, exec, s[0:1]
                                        ; implicit-def: $vgpr36
	s_and_saveexec_b64 s[0:1], s[24:25]
	s_cbranch_execz .LBB1438_86
.LBB1438_64:
	v_lshlrev_b32_e32 v36, 2, v37
	v_mov_b32_e32 v37, 0
	v_lshl_add_u64 v[36:37], v[2:3], 0, v[36:37]
	flat_load_dword v36, v[36:37]
	s_or_b64 exec, exec, s[0:1]
                                        ; implicit-def: $vgpr37
	s_and_saveexec_b64 s[0:1], s[26:27]
	s_cbranch_execnz .LBB1438_87
.LBB1438_65:
	s_or_b64 exec, exec, s[0:1]
                                        ; implicit-def: $vgpr38
	s_and_saveexec_b64 s[0:1], s[28:29]
	s_cbranch_execz .LBB1438_88
.LBB1438_66:
	v_lshlrev_b32_e32 v38, 2, v39
	v_mov_b32_e32 v39, 0
	v_lshl_add_u64 v[38:39], v[2:3], 0, v[38:39]
	flat_load_dword v38, v[38:39]
	s_or_b64 exec, exec, s[0:1]
                                        ; implicit-def: $vgpr39
	s_and_saveexec_b64 s[0:1], s[30:31]
	s_cbranch_execnz .LBB1438_89
.LBB1438_67:
	s_or_b64 exec, exec, s[0:1]
                                        ; implicit-def: $vgpr40
	s_and_saveexec_b64 s[0:1], s[34:35]
	s_cbranch_execz .LBB1438_90
.LBB1438_68:
	v_lshlrev_b32_e32 v40, 2, v41
	v_mov_b32_e32 v41, 0
	v_lshl_add_u64 v[40:41], v[2:3], 0, v[40:41]
	flat_load_dword v40, v[40:41]
	s_or_b64 exec, exec, s[0:1]
                                        ; implicit-def: $vgpr41
	s_and_saveexec_b64 s[0:1], s[36:37]
	s_cbranch_execnz .LBB1438_91
.LBB1438_69:
	s_or_b64 exec, exec, s[0:1]
                                        ; implicit-def: $vgpr42
	s_and_saveexec_b64 s[0:1], s[38:39]
	s_cbranch_execz .LBB1438_92
.LBB1438_70:
	v_lshlrev_b32_e32 v42, 2, v43
	v_mov_b32_e32 v43, 0
	v_lshl_add_u64 v[42:43], v[2:3], 0, v[42:43]
	flat_load_dword v42, v[42:43]
	s_or_b64 exec, exec, s[0:1]
                                        ; implicit-def: $vgpr43
	s_and_saveexec_b64 s[0:1], s[40:41]
	s_cbranch_execnz .LBB1438_93
.LBB1438_71:
	s_or_b64 exec, exec, s[0:1]
                                        ; implicit-def: $vgpr44
	s_and_saveexec_b64 s[0:1], s[42:43]
	s_cbranch_execz .LBB1438_94
.LBB1438_72:
	v_lshlrev_b32_e32 v44, 2, v45
	v_mov_b32_e32 v45, 0
	v_lshl_add_u64 v[44:45], v[2:3], 0, v[44:45]
	flat_load_dword v44, v[44:45]
	s_or_b64 exec, exec, s[0:1]
                                        ; implicit-def: $vgpr45
	s_and_saveexec_b64 s[0:1], s[44:45]
	s_cbranch_execnz .LBB1438_95
.LBB1438_73:
	s_or_b64 exec, exec, s[0:1]
                                        ; implicit-def: $vgpr46
	s_and_saveexec_b64 s[0:1], s[46:47]
	s_cbranch_execz .LBB1438_96
.LBB1438_74:
	v_lshlrev_b32_e32 v46, 2, v47
	v_mov_b32_e32 v47, 0
	v_lshl_add_u64 v[46:47], v[2:3], 0, v[46:47]
	flat_load_dword v46, v[46:47]
	s_or_b64 exec, exec, s[0:1]
                                        ; implicit-def: $vgpr47
	s_and_saveexec_b64 s[0:1], s[48:49]
	s_cbranch_execz .LBB1438_98
	s_branch .LBB1438_97
.LBB1438_75:
	s_mov_b64 s[10:11], 0
                                        ; implicit-def: $sgpr8_sgpr9
                                        ; implicit-def: $vgpr74
                                        ; implicit-def: $vgpr1
                                        ; implicit-def: $vgpr30
                                        ; implicit-def: $vgpr54
                                        ; implicit-def: $vgpr50
                                        ; implicit-def: $vgpr62
                                        ; implicit-def: $vgpr73
                                        ; implicit-def: $vgpr51
                                        ; implicit-def: $vgpr60
                                        ; implicit-def: $vgpr72
                                        ; implicit-def: $vgpr48
                                        ; implicit-def: $vgpr33
                                        ; implicit-def: $vgpr71
                                        ; implicit-def: $vgpr52
                                        ; implicit-def: $vgpr32
                                        ; implicit-def: $vgpr70
                                        ; implicit-def: $vgpr49
                                        ; implicit-def: $vgpr35
                                        ; implicit-def: $vgpr69
                                        ; implicit-def: $vgpr53
                                        ; implicit-def: $vgpr34
                                        ; implicit-def: $vgpr68
                                        ; implicit-def: $vgpr46
                                        ; implicit-def: $vgpr37
                                        ; implicit-def: $vgpr67
                                        ; implicit-def: $vgpr55
                                        ; implicit-def: $vgpr36
                                        ; implicit-def: $vgpr66
                                        ; implicit-def: $vgpr47
                                        ; implicit-def: $vgpr39
                                        ; implicit-def: $vgpr65
                                        ; implicit-def: $vgpr56
                                        ; implicit-def: $vgpr38
                                        ; implicit-def: $vgpr64
                                        ; implicit-def: $vgpr44
                                        ; implicit-def: $vgpr41
                                        ; implicit-def: $vgpr63
                                        ; implicit-def: $vgpr57
                                        ; implicit-def: $vgpr40
                                        ; implicit-def: $vgpr61
                                        ; implicit-def: $vgpr45
                                        ; implicit-def: $vgpr43
                                        ; implicit-def: $vgpr59
                                        ; implicit-def: $vgpr58
                                        ; implicit-def: $vgpr42
                                        ; implicit-def: $sgpr6
                                        ; implicit-def: $sgpr68
	s_and_b64 vcc, exec, s[0:1]
	v_lshlrev_b32_e32 v12, 2, v0
	s_cbranch_vccz .LBB1438_152
	s_branch .LBB1438_147
.LBB1438_76:
	s_or_b64 exec, exec, s[0:1]
                                        ; implicit-def: $vgpr51
	s_and_saveexec_b64 s[0:1], s[6:7]
	s_cbranch_execz .LBB1438_55
.LBB1438_77:
	v_mov_b32_e32 v31, 0
	v_lshl_add_u64 v[52:53], v[2:3], 0, v[30:31]
	flat_load_dword v51, v[52:53] offset:1024
	s_or_b64 exec, exec, s[0:1]
                                        ; implicit-def: $vgpr52
	s_and_saveexec_b64 s[0:1], s[8:9]
	s_cbranch_execnz .LBB1438_56
.LBB1438_78:
	s_or_b64 exec, exec, s[0:1]
                                        ; implicit-def: $vgpr31
	s_and_saveexec_b64 s[0:1], s[10:11]
	s_cbranch_execz .LBB1438_57
.LBB1438_79:
	v_mov_b32_e32 v31, 0
	v_lshl_add_u64 v[54:55], v[2:3], 0, v[30:31]
	flat_load_dword v31, v[54:55] offset:3072
	s_or_b64 exec, exec, s[0:1]
                                        ; implicit-def: $vgpr53
	s_and_saveexec_b64 s[0:1], s[12:13]
	s_cbranch_execnz .LBB1438_58
.LBB1438_80:
	s_or_b64 exec, exec, s[0:1]
                                        ; implicit-def: $vgpr1
	s_and_saveexec_b64 s[0:1], s[14:15]
	s_cbranch_execz .LBB1438_59
.LBB1438_81:
	v_lshlrev_b32_e32 v54, 2, v32
	v_mov_b32_e32 v55, 0
	v_lshl_add_u64 v[54:55], v[2:3], 0, v[54:55]
	flat_load_dword v1, v[54:55]
	s_or_b64 exec, exec, s[0:1]
                                        ; implicit-def: $vgpr32
	s_and_saveexec_b64 s[0:1], s[16:17]
	s_cbranch_execnz .LBB1438_60
.LBB1438_82:
	s_or_b64 exec, exec, s[0:1]
                                        ; implicit-def: $vgpr33
	s_and_saveexec_b64 s[0:1], s[18:19]
	s_cbranch_execz .LBB1438_61
.LBB1438_83:
	v_lshlrev_b32_e32 v54, 2, v34
	v_mov_b32_e32 v55, 0
	v_lshl_add_u64 v[54:55], v[2:3], 0, v[54:55]
	flat_load_dword v33, v[54:55]
	s_or_b64 exec, exec, s[0:1]
                                        ; implicit-def: $vgpr34
	s_and_saveexec_b64 s[0:1], s[20:21]
	s_cbranch_execnz .LBB1438_62
.LBB1438_84:
	s_or_b64 exec, exec, s[0:1]
                                        ; implicit-def: $vgpr35
	s_and_saveexec_b64 s[0:1], s[22:23]
	s_cbranch_execz .LBB1438_63
.LBB1438_85:
	v_lshlrev_b32_e32 v54, 2, v36
	v_mov_b32_e32 v55, 0
	v_lshl_add_u64 v[54:55], v[2:3], 0, v[54:55]
	flat_load_dword v35, v[54:55]
	s_or_b64 exec, exec, s[0:1]
                                        ; implicit-def: $vgpr36
	s_and_saveexec_b64 s[0:1], s[24:25]
	s_cbranch_execnz .LBB1438_64
.LBB1438_86:
	s_or_b64 exec, exec, s[0:1]
                                        ; implicit-def: $vgpr37
	s_and_saveexec_b64 s[0:1], s[26:27]
	s_cbranch_execz .LBB1438_65
.LBB1438_87:
	v_lshlrev_b32_e32 v54, 2, v38
	v_mov_b32_e32 v55, 0
	v_lshl_add_u64 v[54:55], v[2:3], 0, v[54:55]
	flat_load_dword v37, v[54:55]
	s_or_b64 exec, exec, s[0:1]
                                        ; implicit-def: $vgpr38
	s_and_saveexec_b64 s[0:1], s[28:29]
	s_cbranch_execnz .LBB1438_66
.LBB1438_88:
	s_or_b64 exec, exec, s[0:1]
                                        ; implicit-def: $vgpr39
	s_and_saveexec_b64 s[0:1], s[30:31]
	s_cbranch_execz .LBB1438_67
.LBB1438_89:
	v_lshlrev_b32_e32 v54, 2, v40
	v_mov_b32_e32 v55, 0
	v_lshl_add_u64 v[54:55], v[2:3], 0, v[54:55]
	flat_load_dword v39, v[54:55]
	s_or_b64 exec, exec, s[0:1]
                                        ; implicit-def: $vgpr40
	s_and_saveexec_b64 s[0:1], s[34:35]
	s_cbranch_execnz .LBB1438_68
.LBB1438_90:
	s_or_b64 exec, exec, s[0:1]
                                        ; implicit-def: $vgpr41
	s_and_saveexec_b64 s[0:1], s[36:37]
	s_cbranch_execz .LBB1438_69
.LBB1438_91:
	v_lshlrev_b32_e32 v54, 2, v42
	v_mov_b32_e32 v55, 0
	v_lshl_add_u64 v[54:55], v[2:3], 0, v[54:55]
	flat_load_dword v41, v[54:55]
	s_or_b64 exec, exec, s[0:1]
                                        ; implicit-def: $vgpr42
	s_and_saveexec_b64 s[0:1], s[38:39]
	s_cbranch_execnz .LBB1438_70
.LBB1438_92:
	s_or_b64 exec, exec, s[0:1]
                                        ; implicit-def: $vgpr43
	s_and_saveexec_b64 s[0:1], s[40:41]
	s_cbranch_execz .LBB1438_71
.LBB1438_93:
	v_lshlrev_b32_e32 v54, 2, v44
	v_mov_b32_e32 v55, 0
	v_lshl_add_u64 v[54:55], v[2:3], 0, v[54:55]
	flat_load_dword v43, v[54:55]
	s_or_b64 exec, exec, s[0:1]
                                        ; implicit-def: $vgpr44
	s_and_saveexec_b64 s[0:1], s[42:43]
	s_cbranch_execnz .LBB1438_72
.LBB1438_94:
	s_or_b64 exec, exec, s[0:1]
                                        ; implicit-def: $vgpr45
	s_and_saveexec_b64 s[0:1], s[44:45]
	s_cbranch_execz .LBB1438_73
.LBB1438_95:
	v_lshlrev_b32_e32 v54, 2, v46
	v_mov_b32_e32 v55, 0
	v_lshl_add_u64 v[54:55], v[2:3], 0, v[54:55]
	flat_load_dword v45, v[54:55]
	s_or_b64 exec, exec, s[0:1]
                                        ; implicit-def: $vgpr46
	s_and_saveexec_b64 s[0:1], s[46:47]
	s_cbranch_execnz .LBB1438_74
.LBB1438_96:
	s_or_b64 exec, exec, s[0:1]
                                        ; implicit-def: $vgpr47
	s_and_saveexec_b64 s[0:1], s[48:49]
	s_cbranch_execz .LBB1438_98
.LBB1438_97:
	v_lshlrev_b32_e32 v54, 2, v48
	v_mov_b32_e32 v55, 0
	v_lshl_add_u64 v[54:55], v[2:3], 0, v[54:55]
	flat_load_dword v47, v[54:55]
.LBB1438_98:
	s_or_b64 exec, exec, s[0:1]
	v_mul_u32_u24_e32 v77, 23, v0
                                        ; implicit-def: $vgpr48
	s_and_saveexec_b64 s[0:1], s[50:51]
	s_cbranch_execz .LBB1438_100
; %bb.99:
	v_lshlrev_b32_e32 v48, 2, v49
	v_mov_b32_e32 v49, 0
	v_lshl_add_u64 v[48:49], v[2:3], 0, v[48:49]
	flat_load_dword v48, v[48:49]
.LBB1438_100:
	s_or_b64 exec, exec, s[0:1]
	s_waitcnt vmcnt(0) lgkmcnt(0)
	ds_write2st64_b32 v30, v50, v51 offset1:4
	ds_write2st64_b32 v30, v52, v31 offset0:8 offset1:12
	ds_write2st64_b32 v30, v53, v1 offset0:16 offset1:20
	;; [unrolled: 1-line block ×10, first 2 shown]
	ds_write_b32 v30, v48 offset:22528
	v_cmp_gt_u32_e32 vcc, s60, v77
	s_mov_b64 s[0:1], 0
	s_mov_b32 s68, 0
	v_mov_b32_e32 v1, 0
	v_mov_b32_e32 v30, 0
	s_mov_b64 s[10:11], 0
	v_mov_b32_e32 v54, 0
	v_mov_b32_e32 v50, 0
	;; [unrolled: 1-line block ×42, first 2 shown]
	s_waitcnt lgkmcnt(0)
	s_barrier
	s_waitcnt lgkmcnt(0)
                                        ; implicit-def: $sgpr8_sgpr9
                                        ; implicit-def: $vgpr74
	s_and_saveexec_b64 s[6:7], vcc
	s_cbranch_execz .LBB1438_146
; %bb.101:
	ds_read_b32 v30, v76
	v_add_u32_e32 v31, 1, v77
	v_cmp_ne_u32_e32 vcc, v78, v28
	v_mov_b32_e32 v32, s74
	v_mov_b32_e32 v54, 0
	v_cndmask_b32_e64 v1, 0, 1, vcc
	s_waitcnt lgkmcnt(0)
	v_cndmask_b32_e32 v50, v30, v32, vcc
	v_cmp_gt_u32_e32 vcc, s60, v31
	v_mov_b32_e32 v30, 0
	v_mov_b32_e32 v62, 0
	v_mov_b32_e32 v73, 0
	v_mov_b32_e32 v51, 0
	v_mov_b32_e32 v60, 0
	v_mov_b32_e32 v72, 0
	v_mov_b32_e32 v48, 0
	v_mov_b32_e32 v33, 0
	v_mov_b32_e32 v71, 0
	v_mov_b32_e32 v52, 0
	v_mov_b32_e32 v32, 0
	v_mov_b32_e32 v70, 0
	v_mov_b32_e32 v49, 0
	v_mov_b32_e32 v35, 0
	v_mov_b32_e32 v69, 0
	v_mov_b32_e32 v53, 0
	v_mov_b32_e32 v34, 0
	v_mov_b32_e32 v68, 0
	v_mov_b32_e32 v46, 0
	v_mov_b32_e32 v37, 0
	v_mov_b32_e32 v67, 0
	v_mov_b32_e32 v55, 0
	v_mov_b32_e32 v36, 0
	v_mov_b32_e32 v66, 0
	v_mov_b32_e32 v47, 0
	v_mov_b32_e32 v39, 0
	v_mov_b32_e32 v65, 0
	v_mov_b32_e32 v56, 0
	v_mov_b32_e32 v38, 0
	v_mov_b32_e32 v64, 0
	v_mov_b32_e32 v44, 0
	v_mov_b32_e32 v41, 0
	v_mov_b32_e32 v63, 0
	v_mov_b32_e32 v57, 0
	v_mov_b32_e32 v40, 0
	v_mov_b32_e32 v61, 0
	v_mov_b32_e32 v45, 0
	v_mov_b32_e32 v43, 0
	v_mov_b32_e32 v59, 0
	v_mov_b32_e32 v58, 0
	v_mov_b32_e32 v42, 0
                                        ; implicit-def: $sgpr12_sgpr13
                                        ; implicit-def: $vgpr74
	s_and_saveexec_b64 s[8:9], vcc
	s_cbranch_execz .LBB1438_145
; %bb.102:
	ds_read2_b32 v[30:31], v76 offset0:1 offset1:2
	v_add_u32_e32 v32, 2, v77
	v_cmp_ne_u32_e32 vcc, v28, v29
	v_mov_b32_e32 v28, s74
	s_mov_b64 s[14:15], 0
	v_cndmask_b32_e64 v51, 0, 1, vcc
	s_waitcnt lgkmcnt(0)
	v_cndmask_b32_e32 v48, v30, v28, vcc
	v_cmp_gt_u32_e32 vcc, s60, v32
	v_mov_b32_e32 v30, 0
	v_mov_b32_e32 v54, 0
	;; [unrolled: 1-line block ×40, first 2 shown]
                                        ; implicit-def: $sgpr12_sgpr13
                                        ; implicit-def: $vgpr74
	s_and_saveexec_b64 s[10:11], vcc
	s_cbranch_execz .LBB1438_144
; %bb.103:
	v_add_u32_e32 v28, 3, v77
	v_cmp_ne_u32_e32 vcc, v29, v26
	v_mov_b32_e32 v29, s74
	v_mov_b32_e32 v30, 0
	v_cndmask_b32_e64 v52, 0, 1, vcc
	v_cndmask_b32_e32 v49, v31, v29, vcc
	v_cmp_gt_u32_e32 vcc, s60, v28
	v_mov_b32_e32 v54, 0
	v_mov_b32_e32 v62, 0
	;; [unrolled: 1-line block ×37, first 2 shown]
                                        ; implicit-def: $sgpr16_sgpr17
                                        ; implicit-def: $vgpr74
	s_and_saveexec_b64 s[12:13], vcc
	s_cbranch_execz .LBB1438_143
; %bb.104:
	ds_read2_b32 v[28:29], v76 offset0:3 offset1:4
	v_add_u32_e32 v30, 4, v77
	v_cmp_ne_u32_e32 vcc, v26, v27
	v_mov_b32_e32 v26, s74
	s_mov_b64 s[18:19], 0
	v_cndmask_b32_e64 v53, 0, 1, vcc
	s_waitcnt lgkmcnt(0)
	v_cndmask_b32_e32 v46, v28, v26, vcc
	v_cmp_gt_u32_e32 vcc, s60, v30
	v_mov_b32_e32 v30, 0
	v_mov_b32_e32 v54, 0
	;; [unrolled: 1-line block ×36, first 2 shown]
                                        ; implicit-def: $sgpr16_sgpr17
                                        ; implicit-def: $vgpr74
	s_and_saveexec_b64 s[14:15], vcc
	s_cbranch_execz .LBB1438_142
; %bb.105:
	v_add_u32_e32 v26, 5, v77
	v_cmp_ne_u32_e32 vcc, v27, v24
	v_mov_b32_e32 v27, s74
	v_mov_b32_e32 v30, 0
	v_cndmask_b32_e64 v55, 0, 1, vcc
	v_cndmask_b32_e32 v47, v29, v27, vcc
	v_cmp_gt_u32_e32 vcc, s60, v26
	v_mov_b32_e32 v54, 0
	v_mov_b32_e32 v62, 0
	;; [unrolled: 1-line block ×33, first 2 shown]
                                        ; implicit-def: $sgpr20_sgpr21
                                        ; implicit-def: $vgpr74
	s_and_saveexec_b64 s[16:17], vcc
	s_cbranch_execz .LBB1438_141
; %bb.106:
	ds_read2_b32 v[26:27], v76 offset0:5 offset1:6
	v_add_u32_e32 v28, 6, v77
	v_cmp_ne_u32_e32 vcc, v24, v25
	v_mov_b32_e32 v24, s74
	s_mov_b64 s[22:23], 0
	v_cndmask_b32_e64 v56, 0, 1, vcc
	s_waitcnt lgkmcnt(0)
	v_cndmask_b32_e32 v44, v26, v24, vcc
	v_cmp_gt_u32_e32 vcc, s60, v28
	v_mov_b32_e32 v30, 0
	v_mov_b32_e32 v54, 0
	;; [unrolled: 1-line block ×32, first 2 shown]
                                        ; implicit-def: $sgpr20_sgpr21
                                        ; implicit-def: $vgpr74
	s_and_saveexec_b64 s[18:19], vcc
	s_cbranch_execz .LBB1438_140
; %bb.107:
	v_add_u32_e32 v24, 7, v77
	v_cmp_ne_u32_e32 vcc, v25, v22
	v_mov_b32_e32 v25, s74
	v_mov_b32_e32 v30, 0
	v_cndmask_b32_e64 v57, 0, 1, vcc
	v_cndmask_b32_e32 v45, v27, v25, vcc
	v_cmp_gt_u32_e32 vcc, s60, v24
	v_mov_b32_e32 v54, 0
	v_mov_b32_e32 v62, 0
	;; [unrolled: 1-line block ×29, first 2 shown]
                                        ; implicit-def: $sgpr24_sgpr25
                                        ; implicit-def: $vgpr74
	s_and_saveexec_b64 s[20:21], vcc
	s_cbranch_execz .LBB1438_139
; %bb.108:
	ds_read2_b32 v[24:25], v76 offset0:7 offset1:8
	v_add_u32_e32 v26, 8, v77
	v_cmp_ne_u32_e32 vcc, v22, v23
	v_mov_b32_e32 v22, s74
	s_mov_b64 s[26:27], 0
	v_cndmask_b32_e64 v58, 0, 1, vcc
	s_waitcnt lgkmcnt(0)
	v_cndmask_b32_e32 v42, v24, v22, vcc
	v_cmp_gt_u32_e32 vcc, s60, v26
	v_mov_b32_e32 v30, 0
	v_mov_b32_e32 v54, 0
	v_mov_b32_e32 v62, 0
	v_mov_b32_e32 v73, 0
	v_mov_b32_e32 v60, 0
	v_mov_b32_e32 v72, 0
	v_mov_b32_e32 v33, 0
	v_mov_b32_e32 v71, 0
	v_mov_b32_e32 v32, 0
	v_mov_b32_e32 v70, 0
	v_mov_b32_e32 v35, 0
	v_mov_b32_e32 v69, 0
	v_mov_b32_e32 v34, 0
	v_mov_b32_e32 v68, 0
	v_mov_b32_e32 v37, 0
	v_mov_b32_e32 v67, 0
	v_mov_b32_e32 v36, 0
	v_mov_b32_e32 v66, 0
	v_mov_b32_e32 v39, 0
	v_mov_b32_e32 v65, 0
	v_mov_b32_e32 v38, 0
	v_mov_b32_e32 v64, 0
	v_mov_b32_e32 v41, 0
	v_mov_b32_e32 v63, 0
	v_mov_b32_e32 v40, 0
	v_mov_b32_e32 v61, 0
	v_mov_b32_e32 v43, 0
	v_mov_b32_e32 v59, 0
                                        ; implicit-def: $sgpr24_sgpr25
                                        ; implicit-def: $vgpr74
	s_and_saveexec_b64 s[22:23], vcc
	s_cbranch_execz .LBB1438_138
; %bb.109:
	v_add_u32_e32 v22, 9, v77
	v_cmp_ne_u32_e32 vcc, v23, v20
	v_mov_b32_e32 v23, s74
	v_mov_b32_e32 v30, 0
	v_cndmask_b32_e64 v59, 0, 1, vcc
	v_cndmask_b32_e32 v43, v25, v23, vcc
	v_cmp_gt_u32_e32 vcc, s60, v22
	v_mov_b32_e32 v54, 0
	v_mov_b32_e32 v62, 0
	;; [unrolled: 1-line block ×25, first 2 shown]
                                        ; implicit-def: $sgpr28_sgpr29
                                        ; implicit-def: $vgpr74
	s_and_saveexec_b64 s[24:25], vcc
	s_cbranch_execz .LBB1438_137
; %bb.110:
	ds_read2_b32 v[22:23], v76 offset0:9 offset1:10
	v_add_u32_e32 v24, 10, v77
	v_cmp_ne_u32_e32 vcc, v20, v21
	v_mov_b32_e32 v20, s74
	s_mov_b64 s[30:31], 0
	v_cndmask_b32_e64 v61, 0, 1, vcc
	s_waitcnt lgkmcnt(0)
	v_cndmask_b32_e32 v40, v22, v20, vcc
	v_cmp_gt_u32_e32 vcc, s60, v24
	v_mov_b32_e32 v30, 0
	v_mov_b32_e32 v54, 0
	;; [unrolled: 1-line block ×24, first 2 shown]
                                        ; implicit-def: $sgpr28_sgpr29
                                        ; implicit-def: $vgpr74
	s_and_saveexec_b64 s[26:27], vcc
	s_cbranch_execz .LBB1438_136
; %bb.111:
	v_add_u32_e32 v20, 11, v77
	v_cmp_ne_u32_e32 vcc, v21, v18
	v_mov_b32_e32 v21, s74
	v_mov_b32_e32 v30, 0
	v_cndmask_b32_e64 v63, 0, 1, vcc
	v_cndmask_b32_e32 v41, v23, v21, vcc
	v_cmp_gt_u32_e32 vcc, s60, v20
	v_mov_b32_e32 v54, 0
	v_mov_b32_e32 v62, 0
	;; [unrolled: 1-line block ×21, first 2 shown]
                                        ; implicit-def: $sgpr34_sgpr35
                                        ; implicit-def: $vgpr74
	s_and_saveexec_b64 s[28:29], vcc
	s_cbranch_execz .LBB1438_135
; %bb.112:
	ds_read2_b32 v[20:21], v76 offset0:11 offset1:12
	v_add_u32_e32 v22, 12, v77
	v_cmp_ne_u32_e32 vcc, v18, v19
	v_mov_b32_e32 v18, s74
	s_mov_b64 s[36:37], 0
	v_cndmask_b32_e64 v64, 0, 1, vcc
	s_waitcnt lgkmcnt(0)
	v_cndmask_b32_e32 v38, v20, v18, vcc
	v_cmp_gt_u32_e32 vcc, s60, v22
	v_mov_b32_e32 v30, 0
	v_mov_b32_e32 v54, 0
	;; [unrolled: 1-line block ×20, first 2 shown]
                                        ; implicit-def: $sgpr34_sgpr35
                                        ; implicit-def: $vgpr74
	s_and_saveexec_b64 s[30:31], vcc
	s_cbranch_execz .LBB1438_134
; %bb.113:
	v_add_u32_e32 v18, 13, v77
	v_cmp_ne_u32_e32 vcc, v19, v16
	v_mov_b32_e32 v19, s74
	v_mov_b32_e32 v30, 0
	v_cndmask_b32_e64 v65, 0, 1, vcc
	v_cndmask_b32_e32 v39, v21, v19, vcc
	v_cmp_gt_u32_e32 vcc, s60, v18
	v_mov_b32_e32 v54, 0
	v_mov_b32_e32 v62, 0
	;; [unrolled: 1-line block ×17, first 2 shown]
                                        ; implicit-def: $sgpr38_sgpr39
                                        ; implicit-def: $vgpr74
	s_and_saveexec_b64 s[34:35], vcc
	s_cbranch_execz .LBB1438_133
; %bb.114:
	ds_read2_b32 v[18:19], v76 offset0:13 offset1:14
	v_add_u32_e32 v20, 14, v77
	v_cmp_ne_u32_e32 vcc, v16, v17
	v_mov_b32_e32 v16, s74
	s_mov_b64 s[40:41], 0
	v_cndmask_b32_e64 v66, 0, 1, vcc
	s_waitcnt lgkmcnt(0)
	v_cndmask_b32_e32 v36, v18, v16, vcc
	v_cmp_gt_u32_e32 vcc, s60, v20
	v_mov_b32_e32 v30, 0
	v_mov_b32_e32 v54, 0
	;; [unrolled: 1-line block ×16, first 2 shown]
                                        ; implicit-def: $sgpr38_sgpr39
                                        ; implicit-def: $vgpr74
	s_and_saveexec_b64 s[36:37], vcc
	s_cbranch_execz .LBB1438_132
; %bb.115:
	v_add_u32_e32 v16, 15, v77
	v_cmp_ne_u32_e32 vcc, v17, v14
	v_mov_b32_e32 v17, s74
	v_mov_b32_e32 v30, 0
	v_cndmask_b32_e64 v67, 0, 1, vcc
	v_cndmask_b32_e32 v37, v19, v17, vcc
	v_cmp_gt_u32_e32 vcc, s60, v16
	v_mov_b32_e32 v54, 0
	v_mov_b32_e32 v62, 0
	;; [unrolled: 1-line block ×13, first 2 shown]
                                        ; implicit-def: $sgpr42_sgpr43
                                        ; implicit-def: $vgpr74
	s_and_saveexec_b64 s[38:39], vcc
	s_cbranch_execz .LBB1438_131
; %bb.116:
	ds_read2_b32 v[16:17], v76 offset0:15 offset1:16
	v_add_u32_e32 v18, 16, v77
	v_cmp_ne_u32_e32 vcc, v14, v15
	v_mov_b32_e32 v14, s74
	s_mov_b64 s[44:45], 0
	v_cndmask_b32_e64 v68, 0, 1, vcc
	s_waitcnt lgkmcnt(0)
	v_cndmask_b32_e32 v34, v16, v14, vcc
	v_cmp_gt_u32_e32 vcc, s60, v18
	v_mov_b32_e32 v30, 0
	v_mov_b32_e32 v54, 0
	v_mov_b32_e32 v62, 0
	v_mov_b32_e32 v73, 0
	v_mov_b32_e32 v60, 0
	v_mov_b32_e32 v72, 0
	v_mov_b32_e32 v33, 0
	v_mov_b32_e32 v71, 0
	v_mov_b32_e32 v32, 0
	v_mov_b32_e32 v70, 0
	v_mov_b32_e32 v35, 0
	v_mov_b32_e32 v69, 0
                                        ; implicit-def: $sgpr42_sgpr43
                                        ; implicit-def: $vgpr74
	s_and_saveexec_b64 s[40:41], vcc
	s_cbranch_execz .LBB1438_130
; %bb.117:
	v_add_u32_e32 v14, 17, v77
	v_cmp_ne_u32_e32 vcc, v15, v12
	v_mov_b32_e32 v15, s74
	v_mov_b32_e32 v30, 0
	v_cndmask_b32_e64 v69, 0, 1, vcc
	v_cndmask_b32_e32 v35, v17, v15, vcc
	v_cmp_gt_u32_e32 vcc, s60, v14
	v_mov_b32_e32 v54, 0
	v_mov_b32_e32 v62, 0
	v_mov_b32_e32 v73, 0
	v_mov_b32_e32 v60, 0
	v_mov_b32_e32 v72, 0
	v_mov_b32_e32 v33, 0
	v_mov_b32_e32 v71, 0
	v_mov_b32_e32 v32, 0
	v_mov_b32_e32 v70, 0
                                        ; implicit-def: $sgpr46_sgpr47
                                        ; implicit-def: $vgpr74
	s_and_saveexec_b64 s[42:43], vcc
	s_cbranch_execz .LBB1438_129
; %bb.118:
	ds_read2_b32 v[14:15], v76 offset0:17 offset1:18
	v_add_u32_e32 v16, 18, v77
	v_cmp_ne_u32_e32 vcc, v12, v13
	v_mov_b32_e32 v12, s74
	s_mov_b64 s[48:49], 0
	v_cndmask_b32_e64 v70, 0, 1, vcc
	s_waitcnt lgkmcnt(0)
	v_cndmask_b32_e32 v32, v14, v12, vcc
	v_cmp_gt_u32_e32 vcc, s60, v16
	v_mov_b32_e32 v30, 0
	v_mov_b32_e32 v54, 0
	;; [unrolled: 1-line block ×8, first 2 shown]
                                        ; implicit-def: $sgpr46_sgpr47
                                        ; implicit-def: $vgpr74
	s_and_saveexec_b64 s[44:45], vcc
	s_cbranch_execz .LBB1438_128
; %bb.119:
	v_add_u32_e32 v12, 19, v77
	v_cmp_ne_u32_e32 vcc, v13, v8
	v_mov_b32_e32 v13, s74
	v_mov_b32_e32 v30, 0
	v_cndmask_b32_e64 v71, 0, 1, vcc
	v_cndmask_b32_e32 v33, v15, v13, vcc
	v_cmp_gt_u32_e32 vcc, s60, v12
	v_mov_b32_e32 v54, 0
	v_mov_b32_e32 v62, 0
	;; [unrolled: 1-line block ×5, first 2 shown]
                                        ; implicit-def: $sgpr50_sgpr51
                                        ; implicit-def: $vgpr74
	s_and_saveexec_b64 s[46:47], vcc
	s_cbranch_execz .LBB1438_127
; %bb.120:
	ds_read2_b32 v[12:13], v76 offset0:19 offset1:20
	v_add_u32_e32 v14, 20, v77
	v_cmp_ne_u32_e32 vcc, v8, v9
	v_mov_b32_e32 v8, s74
	s_mov_b64 s[56:57], 0
	v_cndmask_b32_e64 v72, 0, 1, vcc
	s_waitcnt lgkmcnt(0)
	v_cndmask_b32_e32 v60, v12, v8, vcc
	v_cmp_gt_u32_e32 vcc, s60, v14
	v_mov_b32_e32 v30, 0
	v_mov_b32_e32 v54, 0
	;; [unrolled: 1-line block ×4, first 2 shown]
                                        ; implicit-def: $sgpr50_sgpr51
                                        ; implicit-def: $vgpr74
	s_and_saveexec_b64 s[48:49], vcc
	s_cbranch_execz .LBB1438_126
; %bb.121:
	v_add_u32_e32 v8, 21, v77
	v_cmp_ne_u32_e32 vcc, v9, v6
	v_mov_b32_e32 v9, s74
	v_mov_b32_e32 v30, 0
	v_cndmask_b32_e64 v73, 0, 1, vcc
	v_cndmask_b32_e32 v62, v13, v9, vcc
	v_cmp_gt_u32_e32 vcc, s60, v8
	v_mov_b32_e32 v54, 0
                                        ; implicit-def: $sgpr58_sgpr59
                                        ; implicit-def: $vgpr74
	s_and_saveexec_b64 s[50:51], vcc
	s_cbranch_execz .LBB1438_125
; %bb.122:
	ds_read2_b32 v[8:9], v76 offset0:21 offset1:22
	v_add_u32_e32 v12, 22, v77
	v_cmp_ne_u32_e32 vcc, v6, v7
	v_mov_b32_e32 v6, s74
                                        ; implicit-def: $sgpr58_sgpr59
                                        ; implicit-def: $vgpr74
	s_nop 0
	v_cndmask_b32_e64 v54, 0, 1, vcc
	s_waitcnt lgkmcnt(0)
	v_cndmask_b32_e32 v30, v8, v6, vcc
	v_cmp_gt_u32_e32 vcc, s60, v12
	s_and_saveexec_b64 s[60:61], vcc
	s_xor_b64 s[60:61], exec, s[60:61]
; %bb.123:
	v_mov_b32_e32 v6, s74
	v_cmp_ne_u32_e32 vcc, v7, v75
	s_mov_b64 s[56:57], exec
	s_and_b64 s[58:59], vcc, exec
	v_cndmask_b32_e32 v74, v9, v6, vcc
; %bb.124:
	s_or_b64 exec, exec, s[60:61]
	s_and_b64 s[58:59], s[58:59], exec
	s_and_b64 s[56:57], s[56:57], exec
.LBB1438_125:
	s_or_b64 exec, exec, s[50:51]
	s_and_b64 s[50:51], s[58:59], exec
	s_and_b64 s[56:57], s[56:57], exec
.LBB1438_126:
	s_or_b64 exec, exec, s[48:49]
	s_and_b64 s[50:51], s[50:51], exec
	s_and_b64 s[48:49], s[56:57], exec
.LBB1438_127:
	s_or_b64 exec, exec, s[46:47]
	s_and_b64 s[46:47], s[50:51], exec
	s_and_b64 s[48:49], s[48:49], exec
.LBB1438_128:
	s_or_b64 exec, exec, s[44:45]
	s_and_b64 s[46:47], s[46:47], exec
	s_and_b64 s[44:45], s[48:49], exec
.LBB1438_129:
	s_or_b64 exec, exec, s[42:43]
	s_and_b64 s[42:43], s[46:47], exec
	s_and_b64 s[44:45], s[44:45], exec
.LBB1438_130:
	s_or_b64 exec, exec, s[40:41]
	s_and_b64 s[42:43], s[42:43], exec
	s_and_b64 s[40:41], s[44:45], exec
.LBB1438_131:
	s_or_b64 exec, exec, s[38:39]
	s_and_b64 s[38:39], s[42:43], exec
	s_and_b64 s[40:41], s[40:41], exec
.LBB1438_132:
	s_or_b64 exec, exec, s[36:37]
	s_and_b64 s[38:39], s[38:39], exec
	s_and_b64 s[36:37], s[40:41], exec
.LBB1438_133:
	s_or_b64 exec, exec, s[34:35]
	s_and_b64 s[34:35], s[38:39], exec
	s_and_b64 s[36:37], s[36:37], exec
.LBB1438_134:
	s_or_b64 exec, exec, s[30:31]
	s_and_b64 s[34:35], s[34:35], exec
	s_and_b64 s[30:31], s[36:37], exec
.LBB1438_135:
	s_or_b64 exec, exec, s[28:29]
	s_and_b64 s[28:29], s[34:35], exec
	s_and_b64 s[30:31], s[30:31], exec
.LBB1438_136:
	s_or_b64 exec, exec, s[26:27]
	s_and_b64 s[28:29], s[28:29], exec
	s_and_b64 s[26:27], s[30:31], exec
.LBB1438_137:
	s_or_b64 exec, exec, s[24:25]
	s_and_b64 s[24:25], s[28:29], exec
	s_and_b64 s[26:27], s[26:27], exec
.LBB1438_138:
	s_or_b64 exec, exec, s[22:23]
	s_and_b64 s[24:25], s[24:25], exec
	s_and_b64 s[22:23], s[26:27], exec
.LBB1438_139:
	s_or_b64 exec, exec, s[20:21]
	s_and_b64 s[20:21], s[24:25], exec
	s_and_b64 s[22:23], s[22:23], exec
.LBB1438_140:
	s_or_b64 exec, exec, s[18:19]
	s_and_b64 s[20:21], s[20:21], exec
	s_and_b64 s[18:19], s[22:23], exec
.LBB1438_141:
	s_or_b64 exec, exec, s[16:17]
	s_and_b64 s[16:17], s[20:21], exec
	s_and_b64 s[18:19], s[18:19], exec
.LBB1438_142:
	s_or_b64 exec, exec, s[14:15]
	s_and_b64 s[16:17], s[16:17], exec
	s_and_b64 s[14:15], s[18:19], exec
.LBB1438_143:
	s_or_b64 exec, exec, s[12:13]
	s_and_b64 s[12:13], s[16:17], exec
	s_and_b64 s[14:15], s[14:15], exec
.LBB1438_144:
	s_or_b64 exec, exec, s[10:11]
	s_and_b64 s[12:13], s[12:13], exec
	s_and_b64 s[10:11], s[14:15], exec
.LBB1438_145:
	s_or_b64 exec, exec, s[8:9]
	s_and_b64 s[8:9], s[12:13], exec
	s_and_b64 s[10:11], s[10:11], exec
.LBB1438_146:
	s_or_b64 exec, exec, s[6:7]
	s_mov_b32 s6, 0
	s_and_b64 vcc, exec, s[0:1]
	v_lshlrev_b32_e32 v12, 2, v0
	s_cbranch_vccz .LBB1438_152
.LBB1438_147:
	v_mov_b32_e32 v13, 0
	v_lshl_add_u64 v[6:7], v[4:5], 0, v[12:13]
	v_add_co_u32_e32 v8, vcc, 0x1000, v6
	s_movk_i32 s0, 0x58
	s_nop 0
	v_addc_co_u32_e32 v9, vcc, 0, v7, vcc
	flat_load_dword v1, v[6:7]
	flat_load_dword v16, v[6:7] offset:1024
	flat_load_dword v17, v[6:7] offset:2048
	;; [unrolled: 1-line block ×3, first 2 shown]
	flat_load_dword v19, v[8:9]
	flat_load_dword v20, v[8:9] offset:1024
	flat_load_dword v21, v[8:9] offset:2048
	;; [unrolled: 1-line block ×3, first 2 shown]
	v_add_co_u32_e32 v8, vcc, 0x2000, v6
	s_movk_i32 s10, 0x1000
	s_nop 0
	v_addc_co_u32_e32 v9, vcc, 0, v7, vcc
	v_add_co_u32_e32 v14, vcc, 0x3000, v6
	s_movk_i32 s9, 0x2000
	s_nop 0
	v_addc_co_u32_e32 v15, vcc, 0, v7, vcc
	flat_load_dword v23, v[8:9]
	flat_load_dword v24, v[8:9] offset:1024
	flat_load_dword v25, v[8:9] offset:2048
	;; [unrolled: 1-line block ×3, first 2 shown]
	flat_load_dword v27, v[14:15]
	flat_load_dword v28, v[14:15] offset:1024
	flat_load_dword v29, v[14:15] offset:2048
	;; [unrolled: 1-line block ×3, first 2 shown]
	v_add_co_u32_e32 v8, vcc, 0x4000, v6
	s_movk_i32 s8, 0x3000
	s_nop 0
	v_addc_co_u32_e32 v9, vcc, 0, v7, vcc
	v_add_co_u32_e32 v6, vcc, 0x5000, v6
	s_movk_i32 s7, 0x4000
	s_nop 0
	v_addc_co_u32_e32 v7, vcc, 0, v7, vcc
	flat_load_dword v14, v[8:9]
	flat_load_dword v15, v[8:9] offset:1024
	flat_load_dword v31, v[8:9] offset:2048
	;; [unrolled: 1-line block ×3, first 2 shown]
	flat_load_dword v33, v[6:7]
	flat_load_dword v34, v[6:7] offset:1024
	flat_load_dword v35, v[6:7] offset:2048
	v_add_co_u32_e32 v4, vcc, 0x5000, v4
	s_movk_i32 s6, 0x5000
	s_nop 0
	v_addc_co_u32_e32 v5, vcc, 0, v5, vcc
	s_waitcnt vmcnt(0) lgkmcnt(0)
	ds_write2st64_b32 v12, v1, v16 offset1:4
	ds_write2st64_b32 v12, v17, v18 offset0:8 offset1:12
	ds_write2st64_b32 v12, v19, v20 offset0:16 offset1:20
	;; [unrolled: 1-line block ×10, first 2 shown]
	ds_write_b32 v12, v35 offset:22528
	s_waitcnt lgkmcnt(0)
	s_barrier
	flat_load_dword v74, v[4:5] offset:3072
	v_mad_u32_u24 v1, v0, s0, v12
	s_movk_i32 s0, 0xffa8
	v_mad_i32_i24 v30, v0, s0, v1
	s_movk_i32 s0, 0xff
	v_cmp_ne_u32_e32 vcc, s0, v0
	ds_read_b32 v50, v1
	ds_read2_b32 v[28:29], v1 offset0:1 offset1:2
	ds_read2_b32 v[26:27], v1 offset0:3 offset1:4
	;; [unrolled: 1-line block ×11, first 2 shown]
	s_waitcnt lgkmcnt(0)
	ds_write_b32 v30, v50 offset:24576
	s_waitcnt lgkmcnt(0)
	s_barrier
	s_and_saveexec_b64 s[0:1], vcc
	s_cbranch_execz .LBB1438_149
; %bb.148:
	s_waitcnt vmcnt(0)
	ds_read_b32 v74, v12 offset:24580
.LBB1438_149:
	s_or_b64 exec, exec, s[0:1]
	v_lshl_add_u64 v[2:3], v[2:3], 0, v[12:13]
	v_add_co_u32_e32 v30, vcc, s10, v2
	s_waitcnt lgkmcnt(0)
	s_nop 0
	v_addc_co_u32_e32 v31, vcc, 0, v3, vcc
	s_barrier
	flat_load_dword v13, v[2:3]
	flat_load_dword v34, v[2:3] offset:1024
	flat_load_dword v35, v[2:3] offset:2048
	;; [unrolled: 1-line block ×3, first 2 shown]
	flat_load_dword v37, v[30:31]
	flat_load_dword v38, v[30:31] offset:1024
	flat_load_dword v39, v[30:31] offset:2048
	;; [unrolled: 1-line block ×3, first 2 shown]
	v_add_co_u32_e32 v30, vcc, s9, v2
	v_cmp_eq_u32_e64 s[0:1], v50, v28
	s_nop 0
	v_addc_co_u32_e32 v31, vcc, 0, v3, vcc
	v_add_co_u32_e32 v32, vcc, s8, v2
	s_nop 1
	v_addc_co_u32_e32 v33, vcc, 0, v3, vcc
	flat_load_dword v41, v[30:31]
	flat_load_dword v42, v[30:31] offset:1024
	flat_load_dword v43, v[30:31] offset:2048
	;; [unrolled: 1-line block ×3, first 2 shown]
	flat_load_dword v45, v[32:33]
	flat_load_dword v46, v[32:33] offset:1024
	flat_load_dword v47, v[32:33] offset:2048
	flat_load_dword v48, v[32:33] offset:3072
	v_add_co_u32_e32 v30, vcc, s7, v2
	s_nop 1
	v_addc_co_u32_e32 v31, vcc, 0, v3, vcc
	v_add_co_u32_e32 v2, vcc, s6, v2
	s_nop 1
	v_addc_co_u32_e32 v3, vcc, 0, v3, vcc
	flat_load_dword v32, v[30:31]
	flat_load_dword v33, v[30:31] offset:1024
	flat_load_dword v49, v[30:31] offset:2048
	;; [unrolled: 1-line block ×3, first 2 shown]
	flat_load_dword v52, v[2:3]
	flat_load_dword v53, v[2:3] offset:1024
	flat_load_dword v54, v[2:3] offset:2048
	v_cmp_ne_u32_e32 vcc, v50, v28
	v_mov_b32_e32 v50, s74
	s_waitcnt vmcnt(0) lgkmcnt(0)
	ds_write2st64_b32 v12, v13, v34 offset1:4
	ds_write2st64_b32 v12, v35, v36 offset0:8 offset1:12
	ds_write2st64_b32 v12, v37, v38 offset0:16 offset1:20
	;; [unrolled: 1-line block ×10, first 2 shown]
	ds_write_b32 v12, v54 offset:22528
	s_waitcnt lgkmcnt(0)
	s_barrier
	ds_read2_b32 v[48:49], v1 offset0:1 offset1:2
	ds_read2_b32 v[46:47], v1 offset0:3 offset1:4
	;; [unrolled: 1-line block ×11, first 2 shown]
	s_and_saveexec_b64 s[6:7], s[0:1]
	s_cbranch_execz .LBB1438_151
; %bb.150:
	ds_read_b32 v50, v1
.LBB1438_151:
	s_or_b64 exec, exec, s[6:7]
	v_cmp_ne_u32_e64 s[8:9], v27, v24
	v_cmp_ne_u32_e64 s[42:43], v7, v4
	;; [unrolled: 1-line block ×3, first 2 shown]
	v_mov_b32_e32 v4, s74
	v_cndmask_b32_e64 v1, 0, 1, vcc
	v_cmp_ne_u32_e32 vcc, v28, v29
	v_cmp_ne_u32_e64 s[0:1], v29, v26
	v_cmp_ne_u32_e64 s[6:7], v26, v27
	v_cndmask_b32_e64 v55, 0, 1, s[8:9]
	v_cmp_ne_u32_e64 s[10:11], v24, v25
	v_cmp_ne_u32_e64 s[12:13], v25, v22
	v_cmp_ne_u32_e64 s[14:15], v22, v23
	v_cmp_ne_u32_e64 s[16:17], v23, v20
	v_cmp_ne_u32_e64 s[18:19], v20, v21
	v_cmp_ne_u32_e64 s[20:21], v21, v18
	v_cmp_ne_u32_e64 s[22:23], v18, v19
	v_cmp_ne_u32_e64 s[24:25], v19, v16
	v_cmp_ne_u32_e64 s[26:27], v16, v17
	v_cmp_ne_u32_e64 s[28:29], v17, v14
	v_cmp_ne_u32_e64 s[30:31], v14, v15
	v_cmp_ne_u32_e64 s[34:35], v15, v8
	v_cmp_ne_u32_e64 s[36:37], v8, v9
	v_cmp_ne_u32_e64 s[38:39], v9, v6
	v_cmp_ne_u32_e64 s[40:41], v6, v7
	s_waitcnt lgkmcnt(9)
	v_cndmask_b32_e64 v47, v47, v4, s[8:9]
	v_cmp_ne_u32_e64 s[8:9], v5, v74
	v_cndmask_b32_e64 v51, 0, 1, vcc
	v_cndmask_b32_e64 v52, 0, 1, s[0:1]
	v_cndmask_b32_e64 v53, 0, 1, s[6:7]
	;; [unrolled: 1-line block ×19, first 2 shown]
	v_cndmask_b32_e32 v48, v48, v4, vcc
	v_cndmask_b32_e64 v49, v49, v4, s[0:1]
	v_cndmask_b32_e64 v46, v46, v4, s[6:7]
	s_waitcnt lgkmcnt(8)
	v_cndmask_b32_e64 v44, v44, v4, s[10:11]
	v_cndmask_b32_e64 v45, v45, v4, s[12:13]
	s_waitcnt lgkmcnt(7)
	;; [unrolled: 3-line block ×9, first 2 shown]
	v_cndmask_b32_e64 v30, v2, v4, s[44:45]
	v_cndmask_b32_e64 v74, v3, v4, s[8:9]
	s_mov_b64 s[10:11], -1
                                        ; implicit-def: $sgpr6
                                        ; implicit-def: $sgpr68
.LBB1438_152:
	v_mov_b32_e32 v13, s68
	v_mov_b32_e32 v18, s6
	s_and_saveexec_b64 s[0:1], s[10:11]
; %bb.153:
	v_cndmask_b32_e64 v13, 0, 1, s[8:9]
	v_mov_b32_e32 v18, v74
; %bb.154:
	s_or_b64 exec, exec, s[0:1]
	v_or_b32_e32 v2, v13, v54
	s_cmp_lg_u32 s67, 0
	v_add_f32_e32 v21, v48, v50
	v_or_b32_e32 v20, v2, v73
	v_lshrrev_b32_e32 v19, 5, v0
	v_cmp_gt_u32_e32 vcc, 64, v0
	s_barrier
	s_cbranch_scc0 .LBB1438_217
; %bb.155:
	v_mov_b32_e32 v6, 0
	v_cmp_eq_u16_sdwa s[6:7], v51, v6 src0_sel:BYTE_0 src1_sel:DWORD
	v_cmp_eq_u16_sdwa s[8:9], v52, v6 src0_sel:BYTE_0 src1_sel:DWORD
	v_cmp_eq_u16_sdwa s[10:11], v53, v6 src0_sel:BYTE_0 src1_sel:DWORD
	v_cndmask_b32_e64 v2, v48, v21, s[6:7]
	v_add_f32_e32 v2, v49, v2
	v_cndmask_b32_e64 v2, v49, v2, s[8:9]
	v_add_f32_e32 v2, v46, v2
	v_cndmask_b32_e64 v2, v46, v2, s[10:11]
	v_add_f32_e32 v2, v47, v2
	v_cmp_eq_u16_sdwa s[12:13], v55, v6 src0_sel:BYTE_0 src1_sel:DWORD
	v_cmp_eq_u16_sdwa s[14:15], v56, v6 src0_sel:BYTE_0 src1_sel:DWORD
	v_cmp_eq_u16_sdwa s[16:17], v57, v6 src0_sel:BYTE_0 src1_sel:DWORD
	v_cndmask_b32_e64 v2, v47, v2, s[12:13]
	v_add_f32_e32 v2, v44, v2
	v_cndmask_b32_e64 v2, v44, v2, s[14:15]
	v_add_f32_e32 v2, v45, v2
	v_cndmask_b32_e64 v2, v45, v2, s[16:17]
	v_add_f32_e32 v2, v42, v2
	;; [unrolled: 9-line block ×7, first 2 shown]
	v_cmp_eq_u16_sdwa s[0:1], v13, v6 src0_sel:BYTE_0 src1_sel:DWORD
	v_and_b32_e32 v3, 0xff, v1
	s_nop 0
	v_cndmask_b32_e64 v22, v18, v2, s[0:1]
	v_or_b32_e32 v2, v20, v72
	v_or_b32_e32 v2, v2, v71
	;; [unrolled: 1-line block ×19, first 2 shown]
	v_and_b32_e32 v2, 1, v2
	v_cmp_eq_u32_e64 s[0:1], 1, v2
	v_add_lshl_u32 v2, v19, v0, 3
	s_nop 0
	v_cndmask_b32_e64 v23, v3, 1, s[0:1]
	ds_write_b32 v2, v22
	ds_write_b8 v2, v23 offset:4
	s_waitcnt lgkmcnt(0)
	s_barrier
	s_and_saveexec_b64 s[50:51], vcc
	s_cbranch_execz .LBB1438_169
; %bb.156:
	v_lshrrev_b32_e32 v2, 3, v0
	v_add_lshl_u32 v4, v2, v12, 3
	ds_read2_b32 v[8:9], v4 offset0:2 offset1:4
	ds_read_b64 v[2:3], v4
	ds_read_u8 v7, v4 offset:12
	ds_read_u8 v14, v4 offset:20
	ds_read_b32 v16, v4 offset:24
	ds_read_u8 v17, v4 offset:28
	s_waitcnt lgkmcnt(4)
	v_add_f32_e32 v5, v2, v8
	s_waitcnt lgkmcnt(3)
	v_cmp_eq_u16_sdwa s[0:1], v7, v6 src0_sel:BYTE_0 src1_sel:DWORD
	v_and_b32_e32 v15, 0xffffff00, v3
	s_nop 0
	v_cndmask_b32_e64 v8, v8, v5, s[0:1]
	v_add_f32_e32 v8, v9, v8
	s_waitcnt lgkmcnt(2)
	v_cmp_eq_u16_sdwa s[0:1], v14, v6 src0_sel:BYTE_0 src1_sel:DWORD
	v_and_b32_e32 v5, 1, v3
	s_nop 0
	v_cndmask_b32_e64 v6, v9, v8, s[0:1]
	s_waitcnt lgkmcnt(0)
	v_or_b32_e32 v8, v17, v14
	v_or_b32_e32 v7, v8, v7
	v_add_f32_e32 v6, v16, v6
	v_cmp_eq_u16_e64 s[0:1], 0, v17
	v_and_b32_e32 v7, 1, v7
	s_nop 0
	v_cndmask_b32_e64 v6, v16, v6, s[0:1]
	v_cmp_eq_u32_e64 s[0:1], 1, v7
	v_mbcnt_lo_u32_b32 v7, -1, 0
	v_mbcnt_hi_u32_b32 v7, -1, v7
	v_cndmask_b32_e64 v9, v5, 1, s[0:1]
	v_or_b32_e32 v8, v9, v15
	v_and_b32_e32 v14, 15, v7
	v_mov_b32_dpp v17, v6 row_shr:1 row_mask:0xf bank_mask:0xf
	v_mov_b32_dpp v16, v8 row_shr:1 row_mask:0xf bank_mask:0xf
	v_cmp_ne_u32_e64 s[0:1], 0, v14
	s_and_saveexec_b64 s[56:57], s[0:1]
; %bb.157:
	v_add_f32_e32 v8, v6, v17
	v_cmp_eq_u32_e64 s[0:1], 0, v9
	s_nop 1
	v_cndmask_b32_e64 v6, v6, v8, s[0:1]
	v_and_b32_e32 v8, 1, v9
	v_and_b32_e32 v9, 1, v16
	v_cmp_eq_u32_e64 s[0:1], 1, v8
	s_nop 1
	v_cndmask_b32_e64 v9, v9, 1, s[0:1]
	v_or_b32_e32 v8, v9, v15
; %bb.158:
	s_or_b64 exec, exec, s[56:57]
	v_mov_b32_dpp v16, v6 row_shr:2 row_mask:0xf bank_mask:0xf
	v_mov_b32_dpp v15, v8 row_shr:2 row_mask:0xf bank_mask:0xf
	v_cmp_lt_u32_e64 s[0:1], 1, v14
	s_and_saveexec_b64 s[56:57], s[0:1]
; %bb.159:
	v_add_f32_e32 v16, v6, v16
	v_cmp_eq_u32_e64 s[0:1], 0, v9
	v_and_b32_e32 v9, 1, v9
	v_and_b32_e32 v15, 1, v15
	v_cndmask_b32_e64 v6, v6, v16, s[0:1]
	v_cmp_eq_u32_e64 s[0:1], 1, v9
	s_nop 1
	v_cndmask_b32_e64 v9, v15, 1, s[0:1]
	s_movk_i32 s0, 0xff00
	v_and_or_b32 v8, v8, s0, v9
; %bb.160:
	s_or_b64 exec, exec, s[56:57]
	v_mov_b32_dpp v16, v6 row_shr:4 row_mask:0xf bank_mask:0xf
	v_mov_b32_dpp v15, v8 row_shr:4 row_mask:0xf bank_mask:0xf
	v_cmp_lt_u32_e64 s[0:1], 3, v14
	s_and_saveexec_b64 s[56:57], s[0:1]
; %bb.161:
	v_add_f32_e32 v16, v6, v16
	v_cmp_eq_u32_e64 s[0:1], 0, v9
	v_and_b32_e32 v9, 1, v9
	v_and_b32_e32 v15, 1, v15
	v_cndmask_b32_e64 v6, v6, v16, s[0:1]
	v_cmp_eq_u32_e64 s[0:1], 1, v9
	s_nop 1
	v_cndmask_b32_e64 v9, v15, 1, s[0:1]
	s_movk_i32 s0, 0xff00
	v_and_or_b32 v8, v8, s0, v9
; %bb.162:
	s_or_b64 exec, exec, s[56:57]
	v_mov_b32_dpp v16, v6 row_shr:8 row_mask:0xf bank_mask:0xf
	v_mov_b32_dpp v15, v8 row_shr:8 row_mask:0xf bank_mask:0xf
	v_cmp_lt_u32_e64 s[0:1], 7, v14
	s_and_saveexec_b64 s[56:57], s[0:1]
; %bb.163:
	v_add_f32_e32 v14, v6, v16
	v_cmp_eq_u32_e64 s[0:1], 0, v9
	v_and_b32_e32 v9, 1, v9
	s_nop 0
	v_cndmask_b32_e64 v6, v6, v14, s[0:1]
	v_and_b32_e32 v14, 1, v15
	v_cmp_eq_u32_e64 s[0:1], 1, v9
	s_nop 1
	v_cndmask_b32_e64 v9, v14, 1, s[0:1]
	s_movk_i32 s0, 0xff00
	v_and_or_b32 v8, v8, s0, v9
; %bb.164:
	s_or_b64 exec, exec, s[56:57]
	v_and_b32_e32 v16, 16, v7
	v_mov_b32_dpp v15, v6 row_bcast:15 row_mask:0xf bank_mask:0xf
	v_mov_b32_dpp v14, v8 row_bcast:15 row_mask:0xf bank_mask:0xf
	v_cmp_ne_u32_e64 s[0:1], 0, v16
	s_and_saveexec_b64 s[56:57], s[0:1]
; %bb.165:
	v_add_f32_e32 v15, v6, v15
	v_cmp_eq_u32_e64 s[0:1], 0, v9
	v_and_b32_e32 v9, 1, v9
	v_and_b32_e32 v14, 1, v14
	v_cndmask_b32_e64 v6, v6, v15, s[0:1]
	v_cmp_eq_u32_e64 s[0:1], 1, v9
	s_nop 1
	v_cndmask_b32_e64 v9, v14, 1, s[0:1]
	s_movk_i32 s0, 0xff00
	v_and_or_b32 v8, v8, s0, v9
; %bb.166:
	s_or_b64 exec, exec, s[56:57]
	v_mov_b32_dpp v15, v6 row_bcast:31 row_mask:0xf bank_mask:0xf
	v_mov_b32_dpp v14, v8 row_bcast:31 row_mask:0xf bank_mask:0xf
	v_cmp_lt_u32_e64 s[0:1], 31, v7
	s_and_saveexec_b64 s[56:57], s[0:1]
; %bb.167:
	v_add_f32_e32 v15, v6, v15
	v_cmp_eq_u32_e64 s[0:1], 0, v9
	v_and_b32_e32 v9, 1, v9
	v_and_b32_e32 v14, 1, v14
	v_cndmask_b32_e64 v6, v6, v15, s[0:1]
	v_cmp_eq_u32_e64 s[0:1], 1, v9
	s_nop 1
	v_cndmask_b32_e64 v9, v14, 1, s[0:1]
	s_movk_i32 s0, 0xff00
	v_and_or_b32 v8, v8, s0, v9
; %bb.168:
	s_or_b64 exec, exec, s[56:57]
	v_add_u32_e32 v9, -1, v7
	v_and_b32_e32 v14, 64, v7
	v_cmp_lt_i32_e64 s[0:1], v9, v14
	; wave barrier
	s_nop 1
	v_cndmask_b32_e64 v7, v9, v7, s[0:1]
	v_lshlrev_b32_e32 v7, 2, v7
	ds_bpermute_b32 v6, v7, v6
	ds_bpermute_b32 v7, v7, v8
	v_mov_b32_e32 v8, 0
	v_cmp_eq_u32_sdwa s[0:1], v3, v8 src0_sel:BYTE_0 src1_sel:DWORD
	s_waitcnt lgkmcnt(1)
	v_add_f32_e32 v6, v2, v6
	v_cndmask_b32_e64 v2, v2, v6, s[0:1]
	s_waitcnt lgkmcnt(0)
	v_and_b32_e32 v3, 1, v7
	v_cmp_eq_u32_e64 s[0:1], 1, v5
	v_cndmask_b32_e64 v5, v2, v22, s[52:53]
	s_nop 0
	v_cndmask_b32_e64 v3, v3, 1, s[0:1]
	v_cndmask_b32_e64 v6, v3, v23, s[52:53]
	ds_write_b32 v4, v5
	ds_write_b8 v4, v6 offset:4
	; wave barrier
	ds_read2_b32 v[2:3], v4 offset0:2 offset1:4
	ds_read_u8 v7, v4 offset:12
	ds_read_u8 v8, v4 offset:20
	ds_read_b32 v9, v4 offset:24
	ds_read_u8 v14, v4 offset:28
	s_waitcnt lgkmcnt(4)
	v_add_f32_e32 v5, v5, v2
	s_waitcnt lgkmcnt(3)
	v_cmp_eq_u16_e64 s[0:1], 0, v7
	s_nop 1
	v_cndmask_b32_e64 v2, v2, v5, s[0:1]
	v_and_b32_e32 v5, 1, v7
	v_cmp_eq_u32_e64 s[0:1], 1, v5
	s_nop 1
	v_cndmask_b32_e64 v5, v6, 1, s[0:1]
	v_add_f32_e32 v6, v2, v3
	s_waitcnt lgkmcnt(2)
	v_cmp_eq_u16_e64 s[0:1], 0, v8
	ds_write_b8 v4, v5 offset:12
	s_nop 0
	v_cndmask_b32_e64 v3, v3, v6, s[0:1]
	v_and_b32_e32 v6, 1, v8
	v_cmp_eq_u32_e64 s[0:1], 1, v6
	s_nop 1
	v_cndmask_b32_e64 v5, v5, 1, s[0:1]
	ds_write2_b32 v4, v2, v3 offset0:2 offset1:4
	ds_write_b8 v4, v5 offset:20
	s_waitcnt lgkmcnt(4)
	v_add_f32_e32 v2, v3, v9
	s_waitcnt lgkmcnt(3)
	v_cmp_eq_u16_e64 s[0:1], 0, v14
	v_and_b32_e32 v3, 1, v14
	s_nop 0
	v_cndmask_b32_e64 v2, v9, v2, s[0:1]
	v_cmp_eq_u32_e64 s[0:1], 1, v3
	s_nop 1
	v_cndmask_b32_e64 v3, v5, 1, s[0:1]
	ds_write_b32 v4, v2 offset:24
	ds_write_b8 v4, v3 offset:28
.LBB1438_169:
	s_or_b64 exec, exec, s[50:51]
	s_waitcnt lgkmcnt(0)
	s_barrier
	s_and_saveexec_b64 s[0:1], s[4:5]
	s_cbranch_execz .LBB1438_171
; %bb.170:
	v_add_u32_e32 v2, -1, v0
	v_lshrrev_b32_e32 v3, 5, v2
	v_add_lshl_u32 v2, v3, v2, 3
	ds_read_b32 v22, v2
	ds_read_u8 v23, v2 offset:4
.LBB1438_171:
	s_or_b64 exec, exec, s[0:1]
	s_and_saveexec_b64 s[0:1], vcc
	s_cbranch_execz .LBB1438_216
; %bb.172:
	v_mov_b32_e32 v5, 0
	ds_read_b64 v[2:3], v5 offset:2096
	v_mbcnt_lo_u32_b32 v4, -1, 0
	v_mbcnt_hi_u32_b32 v15, -1, v4
	s_mov_b32 s59, 0
	v_cmp_eq_u32_e64 s[50:51], 0, v15
	s_waitcnt lgkmcnt(0)
	v_readfirstlane_b32 s60, v3
	s_and_saveexec_b64 s[56:57], s[50:51]
	s_cbranch_execz .LBB1438_174
; %bb.173:
	s_add_i32 s58, s67, 64
	s_lshl_b64 s[68:69], s[58:59], 4
	s_add_u32 s68, s64, s68
	s_addc_u32 s69, s65, s69
	s_and_b32 s77, s60, 0xff000000
	s_mov_b32 s76, s59
	s_and_b32 s79, s60, 0xff0000
	s_mov_b32 s78, s59
	s_or_b64 s[76:77], s[78:79], s[76:77]
	s_and_b32 s79, s60, 0xff00
	s_or_b64 s[76:77], s[76:77], s[78:79]
	s_and_b32 s79, s60, 0xff
	s_or_b64 s[58:59], s[76:77], s[78:79]
	v_mov_b32_e32 v3, s59
	v_mov_b32_e32 v4, 1
	v_mov_b64_e32 v[6:7], s[68:69]
	;;#ASMSTART
	global_store_dwordx4 v[6:7], v[2:5] off sc1	
s_waitcnt vmcnt(0)
	;;#ASMEND
.LBB1438_174:
	s_or_b64 exec, exec, s[56:57]
	v_xad_u32 v14, v15, -1, s67
	v_add_u32_e32 v4, 64, v14
	v_lshl_add_u64 v[16:17], v[4:5], 4, s[64:65]
	;;#ASMSTART
	global_load_dwordx4 v[6:9], v[16:17] off sc1	
s_waitcnt vmcnt(0)
	;;#ASMEND
	s_nop 0
	v_cmp_eq_u16_sdwa s[58:59], v8, v5 src0_sel:BYTE_0 src1_sel:DWORD
	s_and_saveexec_b64 s[56:57], s[58:59]
	s_cbranch_execz .LBB1438_180
; %bb.175:
	s_mov_b32 s61, 1
	s_mov_b64 s[58:59], 0
	v_mov_b32_e32 v3, 0
.LBB1438_176:                           ; =>This Loop Header: Depth=1
                                        ;     Child Loop BB1438_177 Depth 2
	s_max_u32 s68, s61, 1
.LBB1438_177:                           ;   Parent Loop BB1438_176 Depth=1
                                        ; =>  This Inner Loop Header: Depth=2
	s_add_i32 s68, s68, -1
	s_cmp_eq_u32 s68, 0
	s_sleep 1
	s_cbranch_scc0 .LBB1438_177
; %bb.178:                              ;   in Loop: Header=BB1438_176 Depth=1
	s_cmp_lt_u32 s61, 32
	s_cselect_b64 s[68:69], -1, 0
	s_cmp_lg_u64 s[68:69], 0
	s_addc_u32 s61, s61, 0
	;;#ASMSTART
	global_load_dwordx4 v[6:9], v[16:17] off sc1	
s_waitcnt vmcnt(0)
	;;#ASMEND
	s_nop 0
	v_cmp_ne_u16_sdwa s[68:69], v8, v3 src0_sel:BYTE_0 src1_sel:DWORD
	s_or_b64 s[58:59], s[68:69], s[58:59]
	s_andn2_b64 exec, exec, s[58:59]
	s_cbranch_execnz .LBB1438_176
; %bb.179:
	s_or_b64 exec, exec, s[58:59]
.LBB1438_180:
	s_or_b64 exec, exec, s[56:57]
	v_mov_b32_e32 v3, 2
	v_cmp_eq_u16_sdwa s[56:57], v8, v3 src0_sel:BYTE_0 src1_sel:DWORD
	v_lshlrev_b64 v[4:5], v15, -1
	v_and_b32_e32 v16, 0xff, v7
	v_and_b32_e32 v3, s57, v5
	v_or_b32_e32 v3, 0x80000000, v3
	v_ffbl_b32_e32 v26, v3
	v_and_b32_e32 v3, 63, v15
	v_cmp_ne_u32_e32 vcc, 63, v3
	v_and_b32_e32 v9, s56, v4
	v_add_u32_e32 v26, 32, v26
	v_addc_co_u32_e32 v17, vcc, 0, v15, vcc
	v_lshlrev_b32_e32 v24, 2, v17
	ds_bpermute_b32 v25, v24, v6
	ds_bpermute_b32 v17, v24, v16
	v_ffbl_b32_e32 v9, v9
	v_min_u32_e32 v9, v9, v26
	v_cmp_lt_u32_e32 vcc, v3, v9
	s_and_saveexec_b64 s[56:57], vcc
	s_cbranch_execz .LBB1438_182
; %bb.181:
	v_mov_b32_e32 v16, 0
	s_waitcnt lgkmcnt(1)
	v_add_f32_e32 v25, v6, v25
	v_cmp_eq_u16_sdwa vcc, v7, v16 src0_sel:BYTE_0 src1_sel:DWORD
	v_and_b32_e32 v7, 1, v7
	s_waitcnt lgkmcnt(0)
	v_and_b32_e32 v16, 1, v17
	v_cndmask_b32_e32 v6, v6, v25, vcc
	v_cmp_eq_u32_e32 vcc, 1, v7
	s_nop 1
	v_cndmask_b32_e64 v7, v16, 1, vcc
	v_and_b32_e32 v16, 0xffff, v7
.LBB1438_182:
	s_or_b64 exec, exec, s[56:57]
	v_cmp_gt_u32_e32 vcc, 62, v3
	v_add_u32_e32 v26, 2, v3
	s_waitcnt lgkmcnt(0)
	v_cndmask_b32_e64 v17, 0, 1, vcc
	v_lshlrev_b32_e32 v17, 1, v17
	v_add_lshl_u32 v25, v17, v15, 2
	ds_bpermute_b32 v27, v25, v6
	ds_bpermute_b32 v17, v25, v16
	v_cmp_le_u32_e32 vcc, v26, v9
	s_and_saveexec_b64 s[56:57], vcc
	s_cbranch_execz .LBB1438_184
; %bb.183:
	v_mov_b32_e32 v16, 0
	s_waitcnt lgkmcnt(1)
	v_add_f32_e32 v27, v6, v27
	v_cmp_eq_u16_sdwa vcc, v7, v16 src0_sel:BYTE_0 src1_sel:DWORD
	v_and_b32_e32 v7, 1, v7
	s_waitcnt lgkmcnt(0)
	v_and_b32_e32 v16, 1, v17
	v_cndmask_b32_e32 v6, v6, v27, vcc
	v_cmp_eq_u32_e32 vcc, 1, v7
	s_nop 1
	v_cndmask_b32_e64 v7, v16, 1, vcc
	v_and_b32_e32 v16, 0xffff, v7
.LBB1438_184:
	s_or_b64 exec, exec, s[56:57]
	v_cmp_gt_u32_e32 vcc, 60, v3
	v_add_u32_e32 v28, 4, v3
	s_waitcnt lgkmcnt(0)
	v_cndmask_b32_e64 v17, 0, 1, vcc
	v_lshlrev_b32_e32 v17, 2, v17
	v_add_lshl_u32 v27, v17, v15, 2
	ds_bpermute_b32 v29, v27, v6
	ds_bpermute_b32 v17, v27, v16
	v_cmp_le_u32_e32 vcc, v28, v9
	;; [unrolled: 26-line block ×5, first 2 shown]
	s_and_saveexec_b64 s[56:57], vcc
	s_cbranch_execz .LBB1438_192
; %bb.191:
	v_mov_b32_e32 v9, 0
	s_waitcnt lgkmcnt(1)
	v_add_f32_e32 v16, v6, v17
	v_cmp_eq_u16_sdwa vcc, v7, v9 src0_sel:BYTE_0 src1_sel:DWORD
	v_and_b32_e32 v7, 1, v7
	s_waitcnt lgkmcnt(0)
	v_and_b32_e32 v9, 1, v15
	v_cndmask_b32_e32 v6, v6, v16, vcc
	v_cmp_eq_u32_e32 vcc, 1, v7
	s_nop 1
	v_cndmask_b32_e64 v7, v9, 1, vcc
.LBB1438_192:
	s_or_b64 exec, exec, s[56:57]
	s_waitcnt lgkmcnt(0)
	v_mov_b32_e32 v15, 0
	v_mov_b32_e32 v80, 2
	s_branch .LBB1438_194
.LBB1438_193:                           ;   in Loop: Header=BB1438_194 Depth=1
	s_or_b64 exec, exec, s[56:57]
	s_waitcnt lgkmcnt(0)
	ds_bpermute_b32 v17, v77, v6
	ds_bpermute_b32 v16, v77, v16
	v_and_b32_e32 v81, 1, v7
	v_cmp_eq_u16_sdwa vcc, v7, v15 src0_sel:BYTE_0 src1_sel:DWORD
	v_subrev_u32_e32 v14, 64, v14
	s_waitcnt lgkmcnt(1)
	v_add_f32_e32 v17, v6, v17
	v_cndmask_b32_e32 v17, v6, v17, vcc
	v_cmp_eq_u32_e32 vcc, 1, v81
	s_waitcnt lgkmcnt(0)
	s_nop 0
	v_cndmask_b32_e64 v16, v16, 1, vcc
	v_cmp_gt_u32_e32 vcc, v79, v9
	v_and_b32_e32 v9, 1, v76
	s_nop 0
	v_cndmask_b32_e32 v6, v17, v6, vcc
	v_cndmask_b32_e32 v7, v16, v7, vcc
	v_add_f32_e32 v6, v78, v6
	v_cmp_eq_u16_sdwa vcc, v76, v15 src0_sel:BYTE_0 src1_sel:DWORD
	v_and_b32_e32 v7, 1, v7
	s_nop 0
	v_cndmask_b32_e32 v6, v78, v6, vcc
	v_cmp_eq_u32_e32 vcc, 1, v9
	s_nop 1
	v_cndmask_b32_e64 v7, v7, 1, vcc
.LBB1438_194:                           ; =>This Loop Header: Depth=1
                                        ;     Child Loop BB1438_197 Depth 2
                                        ;       Child Loop BB1438_198 Depth 3
	v_cmp_ne_u16_sdwa s[56:57], v8, v80 src0_sel:BYTE_0 src1_sel:DWORD
	v_mov_b32_e32 v76, v7
	v_mov_b32_e32 v78, v6
	v_cndmask_b32_e64 v7, 0, 1, s[56:57]
	;;#ASMSTART
	;;#ASMEND
	s_nop 0
	v_cmp_ne_u32_e32 vcc, 0, v7
	s_cmp_lg_u64 vcc, exec
	s_cbranch_scc1 .LBB1438_211
; %bb.195:                              ;   in Loop: Header=BB1438_194 Depth=1
	v_lshl_add_u64 v[16:17], v[14:15], 4, s[64:65]
	;;#ASMSTART
	global_load_dwordx4 v[6:9], v[16:17] off sc1	
s_waitcnt vmcnt(0)
	;;#ASMEND
	s_nop 0
	v_cmp_eq_u16_sdwa s[58:59], v8, v15 src0_sel:BYTE_0 src1_sel:DWORD
	s_and_saveexec_b64 s[56:57], s[58:59]
	s_cbranch_execz .LBB1438_201
; %bb.196:                              ;   in Loop: Header=BB1438_194 Depth=1
	s_mov_b32 s61, 1
	s_mov_b64 s[58:59], 0
.LBB1438_197:                           ;   Parent Loop BB1438_194 Depth=1
                                        ; =>  This Loop Header: Depth=2
                                        ;       Child Loop BB1438_198 Depth 3
	s_max_u32 s68, s61, 1
.LBB1438_198:                           ;   Parent Loop BB1438_194 Depth=1
                                        ;     Parent Loop BB1438_197 Depth=2
                                        ; =>    This Inner Loop Header: Depth=3
	s_add_i32 s68, s68, -1
	s_cmp_eq_u32 s68, 0
	s_sleep 1
	s_cbranch_scc0 .LBB1438_198
; %bb.199:                              ;   in Loop: Header=BB1438_197 Depth=2
	s_cmp_lt_u32 s61, 32
	s_cselect_b64 s[68:69], -1, 0
	s_cmp_lg_u64 s[68:69], 0
	s_addc_u32 s61, s61, 0
	;;#ASMSTART
	global_load_dwordx4 v[6:9], v[16:17] off sc1	
s_waitcnt vmcnt(0)
	;;#ASMEND
	s_nop 0
	v_cmp_ne_u16_sdwa s[68:69], v8, v15 src0_sel:BYTE_0 src1_sel:DWORD
	s_or_b64 s[58:59], s[68:69], s[58:59]
	s_andn2_b64 exec, exec, s[58:59]
	s_cbranch_execnz .LBB1438_197
; %bb.200:                              ;   in Loop: Header=BB1438_194 Depth=1
	s_or_b64 exec, exec, s[58:59]
.LBB1438_201:                           ;   in Loop: Header=BB1438_194 Depth=1
	s_or_b64 exec, exec, s[56:57]
	v_cmp_eq_u16_sdwa s[56:57], v8, v80 src0_sel:BYTE_0 src1_sel:DWORD
	v_and_b32_e32 v16, 0xff, v7
	ds_bpermute_b32 v81, v24, v6
	v_and_b32_e32 v9, s57, v5
	v_or_b32_e32 v9, 0x80000000, v9
	ds_bpermute_b32 v17, v24, v16
	v_and_b32_e32 v82, s56, v4
	v_ffbl_b32_e32 v9, v9
	v_add_u32_e32 v9, 32, v9
	v_ffbl_b32_e32 v82, v82
	v_min_u32_e32 v9, v82, v9
	v_cmp_lt_u32_e32 vcc, v3, v9
	s_and_saveexec_b64 s[56:57], vcc
	s_cbranch_execz .LBB1438_203
; %bb.202:                              ;   in Loop: Header=BB1438_194 Depth=1
	s_waitcnt lgkmcnt(1)
	v_add_f32_e32 v16, v6, v81
	v_cmp_eq_u16_sdwa vcc, v7, v15 src0_sel:BYTE_0 src1_sel:DWORD
	v_and_b32_e32 v7, 1, v7
	s_nop 0
	v_cndmask_b32_e32 v6, v6, v16, vcc
	s_waitcnt lgkmcnt(0)
	v_and_b32_e32 v16, 1, v17
	v_cmp_eq_u32_e32 vcc, 1, v7
	s_nop 1
	v_cndmask_b32_e64 v7, v16, 1, vcc
	v_and_b32_e32 v16, 0xffff, v7
.LBB1438_203:                           ;   in Loop: Header=BB1438_194 Depth=1
	s_or_b64 exec, exec, s[56:57]
	s_waitcnt lgkmcnt(1)
	ds_bpermute_b32 v81, v25, v6
	s_waitcnt lgkmcnt(1)
	ds_bpermute_b32 v17, v25, v16
	v_cmp_le_u32_e32 vcc, v26, v9
	s_and_saveexec_b64 s[56:57], vcc
	s_cbranch_execz .LBB1438_205
; %bb.204:                              ;   in Loop: Header=BB1438_194 Depth=1
	s_waitcnt lgkmcnt(1)
	v_add_f32_e32 v16, v6, v81
	v_cmp_eq_u16_sdwa vcc, v7, v15 src0_sel:BYTE_0 src1_sel:DWORD
	v_and_b32_e32 v7, 1, v7
	s_nop 0
	v_cndmask_b32_e32 v6, v6, v16, vcc
	s_waitcnt lgkmcnt(0)
	v_and_b32_e32 v16, 1, v17
	v_cmp_eq_u32_e32 vcc, 1, v7
	s_nop 1
	v_cndmask_b32_e64 v7, v16, 1, vcc
	v_and_b32_e32 v16, 0xffff, v7
.LBB1438_205:                           ;   in Loop: Header=BB1438_194 Depth=1
	s_or_b64 exec, exec, s[56:57]
	s_waitcnt lgkmcnt(1)
	ds_bpermute_b32 v81, v27, v6
	s_waitcnt lgkmcnt(1)
	ds_bpermute_b32 v17, v27, v16
	v_cmp_le_u32_e32 vcc, v28, v9
	;; [unrolled: 22-line block ×4, first 2 shown]
	s_and_saveexec_b64 s[56:57], vcc
	s_cbranch_execz .LBB1438_193
; %bb.210:                              ;   in Loop: Header=BB1438_194 Depth=1
	s_waitcnt lgkmcnt(1)
	v_add_f32_e32 v16, v6, v81
	v_cmp_eq_u16_sdwa vcc, v7, v15 src0_sel:BYTE_0 src1_sel:DWORD
	v_and_b32_e32 v7, 1, v7
	s_nop 0
	v_cndmask_b32_e32 v6, v6, v16, vcc
	s_waitcnt lgkmcnt(0)
	v_and_b32_e32 v16, 1, v17
	v_cmp_eq_u32_e32 vcc, 1, v7
	s_nop 1
	v_cndmask_b32_e64 v7, v16, 1, vcc
	v_and_b32_e32 v16, 0xffff, v7
	s_branch .LBB1438_193
.LBB1438_211:                           ;   in Loop: Header=BB1438_194 Depth=1
                                        ; implicit-def: $vgpr7
	s_cbranch_execz .LBB1438_194
; %bb.212:
	s_and_saveexec_b64 s[56:57], s[50:51]
	s_cbranch_execz .LBB1438_214
; %bb.213:
	s_and_b32 s50, s60, 0xff
	s_cmp_eq_u32 s50, 0
	s_cselect_b64 vcc, -1, 0
	s_bitcmp1_b32 s60, 0
	s_mov_b32 s51, 0
	s_cselect_b64 s[58:59], -1, 0
	s_add_i32 s50, s67, 64
	s_lshl_b64 s[50:51], s[50:51], 4
	v_add_f32_e32 v3, v78, v2
	s_add_u32 s50, s64, s50
	v_cndmask_b32_e32 v2, v2, v3, vcc
	v_and_b32_e32 v3, 1, v76
	s_addc_u32 s51, s65, s51
	v_cndmask_b32_e64 v3, v3, 1, s[58:59]
	v_mov_b32_e32 v4, 2
	v_mov_b32_e32 v5, 0
	v_mov_b64_e32 v[6:7], s[50:51]
	;;#ASMSTART
	global_store_dwordx4 v[6:7], v[2:5] off sc1	
s_waitcnt vmcnt(0)
	;;#ASMEND
.LBB1438_214:
	s_or_b64 exec, exec, s[56:57]
	s_and_b64 exec, exec, s[52:53]
	s_cbranch_execz .LBB1438_216
; %bb.215:
	v_mov_b32_e32 v2, 0
	ds_write_b32 v2, v78
	ds_write_b8 v2, v76 offset:4
.LBB1438_216:
	s_or_b64 exec, exec, s[0:1]
	v_mov_b32_e32 v2, 0
	s_waitcnt lgkmcnt(0)
	s_barrier
	ds_read_b32 v3, v2
	v_cmp_eq_u32_e32 vcc, 0, v23
	s_waitcnt lgkmcnt(0)
	v_add_f32_e32 v4, v22, v3
	v_cndmask_b32_e32 v4, v22, v4, vcc
	v_cndmask_b32_e64 v31, v4, v3, s[52:53]
	v_add_f32_e32 v3, v50, v31
	v_cmp_eq_u16_sdwa vcc, v1, v2 src0_sel:BYTE_0 src1_sel:DWORD
	s_nop 1
	v_cndmask_b32_e32 v74, v50, v3, vcc
	v_add_f32_e32 v2, v48, v74
	v_cndmask_b32_e64 v75, v48, v2, s[6:7]
	v_add_f32_e32 v2, v49, v75
	v_cndmask_b32_e64 v76, v49, v2, s[8:9]
	;; [unrolled: 2-line block ×21, first 2 shown]
	s_branch .LBB1438_239
.LBB1438_217:
                                        ; implicit-def: $vgpr94
                                        ; implicit-def: $vgpr93
                                        ; implicit-def: $vgpr92
                                        ; implicit-def: $vgpr91
                                        ; implicit-def: $vgpr90
                                        ; implicit-def: $vgpr89
                                        ; implicit-def: $vgpr88
                                        ; implicit-def: $vgpr87
                                        ; implicit-def: $vgpr86
                                        ; implicit-def: $vgpr85
                                        ; implicit-def: $vgpr84
                                        ; implicit-def: $vgpr83
                                        ; implicit-def: $vgpr82
                                        ; implicit-def: $vgpr81
                                        ; implicit-def: $vgpr80
                                        ; implicit-def: $vgpr79
                                        ; implicit-def: $vgpr78
                                        ; implicit-def: $vgpr77
                                        ; implicit-def: $vgpr76
                                        ; implicit-def: $vgpr75
                                        ; implicit-def: $vgpr74
                                        ; implicit-def: $vgpr31
                                        ; implicit-def: $vgpr95
	s_cbranch_execz .LBB1438_239
; %bb.218:
	s_cmp_lg_u64 s[72:73], 0
	s_cselect_b32 s1, s71, 0
	s_cselect_b32 s0, s70, 0
	s_cmp_eq_u64 s[0:1], 0
	v_mov_b32_e32 v4, s74
	s_cbranch_scc1 .LBB1438_220
; %bb.219:
	v_mov_b32_e32 v2, 0
	global_load_dword v4, v2, s[0:1]
.LBB1438_220:
	v_mov_b32_e32 v9, 0
	v_cmp_eq_u16_sdwa vcc, v51, v9 src0_sel:BYTE_0 src1_sel:DWORD
	v_cmp_eq_u16_sdwa s[6:7], v52, v9 src0_sel:BYTE_0 src1_sel:DWORD
	v_cmp_eq_u16_sdwa s[8:9], v53, v9 src0_sel:BYTE_0 src1_sel:DWORD
	v_cndmask_b32_e32 v2, v48, v21, vcc
	v_add_f32_e32 v2, v49, v2
	v_cndmask_b32_e64 v2, v49, v2, s[6:7]
	v_add_f32_e32 v2, v46, v2
	v_cndmask_b32_e64 v2, v46, v2, s[8:9]
	v_add_f32_e32 v2, v47, v2
	v_cmp_eq_u16_sdwa s[10:11], v55, v9 src0_sel:BYTE_0 src1_sel:DWORD
	v_cmp_eq_u16_sdwa s[12:13], v56, v9 src0_sel:BYTE_0 src1_sel:DWORD
	v_cmp_eq_u16_sdwa s[14:15], v57, v9 src0_sel:BYTE_0 src1_sel:DWORD
	v_cndmask_b32_e64 v2, v47, v2, s[10:11]
	v_add_f32_e32 v2, v44, v2
	v_cndmask_b32_e64 v2, v44, v2, s[12:13]
	v_add_f32_e32 v2, v45, v2
	v_cndmask_b32_e64 v2, v45, v2, s[14:15]
	v_add_f32_e32 v2, v42, v2
	v_cmp_eq_u16_sdwa s[18:19], v58, v9 src0_sel:BYTE_0 src1_sel:DWORD
	v_cmp_eq_u16_sdwa s[20:21], v59, v9 src0_sel:BYTE_0 src1_sel:DWORD
	v_cmp_eq_u16_sdwa s[22:23], v61, v9 src0_sel:BYTE_0 src1_sel:DWORD
	v_cndmask_b32_e64 v2, v42, v2, s[18:19]
	;; [unrolled: 9-line block ×6, first 2 shown]
	v_add_f32_e32 v2, v62, v2
	v_cndmask_b32_e64 v2, v62, v2, s[46:47]
	v_add_f32_e32 v2, v30, v2
	v_cndmask_b32_e64 v2, v30, v2, s[16:17]
	v_add_f32_e32 v2, v18, v2
	v_cmp_eq_u16_sdwa s[0:1], v13, v9 src0_sel:BYTE_0 src1_sel:DWORD
	v_and_b32_e32 v3, 0xff, v1
	s_nop 0
	v_cndmask_b32_e64 v6, v18, v2, s[0:1]
	v_or_b32_e32 v2, v20, v72
	v_or_b32_e32 v2, v2, v71
	;; [unrolled: 1-line block ×19, first 2 shown]
	v_and_b32_e32 v2, 1, v2
	v_cmp_eq_u32_e64 s[0:1], 1, v2
	v_add_lshl_u32 v2, v19, v0, 3
	s_nop 0
	v_cndmask_b32_e64 v7, v3, 1, s[0:1]
	v_cmp_gt_u32_e64 s[0:1], 64, v0
	ds_write_b32 v2, v6
	ds_write_b8 v2, v7 offset:4
	s_waitcnt lgkmcnt(0)
	s_barrier
	s_and_saveexec_b64 s[48:49], s[0:1]
	s_cbranch_execz .LBB1438_234
; %bb.221:
	v_lshrrev_b32_e32 v2, 3, v0
	v_add_lshl_u32 v5, v2, v12, 3
	ds_read2_b32 v[14:15], v5 offset0:2 offset1:4
	ds_read_b64 v[2:3], v5
	ds_read_u8 v13, v5 offset:12
	ds_read_u8 v16, v5 offset:20
	ds_read_b32 v18, v5 offset:24
	ds_read_u8 v19, v5 offset:28
	s_waitcnt lgkmcnt(4)
	v_add_f32_e32 v8, v2, v14
	s_waitcnt lgkmcnt(3)
	v_cmp_eq_u16_sdwa s[0:1], v13, v9 src0_sel:BYTE_0 src1_sel:DWORD
	v_and_b32_e32 v17, 0xffffff00, v3
	s_nop 0
	v_cndmask_b32_e64 v14, v14, v8, s[0:1]
	v_add_f32_e32 v14, v15, v14
	s_waitcnt lgkmcnt(2)
	v_cmp_eq_u16_sdwa s[0:1], v16, v9 src0_sel:BYTE_0 src1_sel:DWORD
	v_and_b32_e32 v8, 1, v3
	s_nop 0
	v_cndmask_b32_e64 v9, v15, v14, s[0:1]
	s_waitcnt lgkmcnt(0)
	v_or_b32_e32 v14, v19, v16
	v_or_b32_e32 v13, v14, v13
	v_add_f32_e32 v9, v18, v9
	v_cmp_eq_u16_e64 s[0:1], 0, v19
	v_and_b32_e32 v13, 1, v13
	s_nop 0
	v_cndmask_b32_e64 v9, v18, v9, s[0:1]
	v_cmp_eq_u32_e64 s[0:1], 1, v13
	v_mbcnt_lo_u32_b32 v13, -1, 0
	v_mbcnt_hi_u32_b32 v13, -1, v13
	v_cndmask_b32_e64 v15, v8, 1, s[0:1]
	v_or_b32_e32 v14, v15, v17
	v_and_b32_e32 v16, 15, v13
	v_mov_b32_dpp v19, v9 row_shr:1 row_mask:0xf bank_mask:0xf
	v_mov_b32_dpp v18, v14 row_shr:1 row_mask:0xf bank_mask:0xf
	v_cmp_ne_u32_e64 s[0:1], 0, v16
	s_and_saveexec_b64 s[50:51], s[0:1]
; %bb.222:
	v_add_f32_e32 v14, v9, v19
	v_cmp_eq_u32_e64 s[0:1], 0, v15
	s_nop 1
	v_cndmask_b32_e64 v9, v9, v14, s[0:1]
	v_and_b32_e32 v14, 1, v15
	v_and_b32_e32 v15, 1, v18
	v_cmp_eq_u32_e64 s[0:1], 1, v14
	s_nop 1
	v_cndmask_b32_e64 v15, v15, 1, s[0:1]
	v_or_b32_e32 v14, v15, v17
; %bb.223:
	s_or_b64 exec, exec, s[50:51]
	v_mov_b32_dpp v18, v9 row_shr:2 row_mask:0xf bank_mask:0xf
	v_mov_b32_dpp v17, v14 row_shr:2 row_mask:0xf bank_mask:0xf
	v_cmp_lt_u32_e64 s[0:1], 1, v16
	s_and_saveexec_b64 s[50:51], s[0:1]
; %bb.224:
	v_add_f32_e32 v18, v9, v18
	v_cmp_eq_u32_e64 s[0:1], 0, v15
	v_and_b32_e32 v15, 1, v15
	v_and_b32_e32 v17, 1, v17
	v_cndmask_b32_e64 v9, v9, v18, s[0:1]
	v_cmp_eq_u32_e64 s[0:1], 1, v15
	s_nop 1
	v_cndmask_b32_e64 v15, v17, 1, s[0:1]
	s_movk_i32 s0, 0xff00
	v_and_or_b32 v14, v14, s0, v15
; %bb.225:
	s_or_b64 exec, exec, s[50:51]
	v_mov_b32_dpp v18, v9 row_shr:4 row_mask:0xf bank_mask:0xf
	v_mov_b32_dpp v17, v14 row_shr:4 row_mask:0xf bank_mask:0xf
	v_cmp_lt_u32_e64 s[0:1], 3, v16
	s_and_saveexec_b64 s[50:51], s[0:1]
; %bb.226:
	v_add_f32_e32 v18, v9, v18
	v_cmp_eq_u32_e64 s[0:1], 0, v15
	v_and_b32_e32 v15, 1, v15
	v_and_b32_e32 v17, 1, v17
	v_cndmask_b32_e64 v9, v9, v18, s[0:1]
	v_cmp_eq_u32_e64 s[0:1], 1, v15
	s_nop 1
	v_cndmask_b32_e64 v15, v17, 1, s[0:1]
	s_movk_i32 s0, 0xff00
	v_and_or_b32 v14, v14, s0, v15
; %bb.227:
	s_or_b64 exec, exec, s[50:51]
	v_mov_b32_dpp v18, v9 row_shr:8 row_mask:0xf bank_mask:0xf
	v_mov_b32_dpp v17, v14 row_shr:8 row_mask:0xf bank_mask:0xf
	v_cmp_lt_u32_e64 s[0:1], 7, v16
	s_and_saveexec_b64 s[50:51], s[0:1]
; %bb.228:
	v_add_f32_e32 v16, v9, v18
	v_cmp_eq_u32_e64 s[0:1], 0, v15
	v_and_b32_e32 v15, 1, v15
	s_nop 0
	v_cndmask_b32_e64 v9, v9, v16, s[0:1]
	v_and_b32_e32 v16, 1, v17
	v_cmp_eq_u32_e64 s[0:1], 1, v15
	s_nop 1
	v_cndmask_b32_e64 v15, v16, 1, s[0:1]
	s_movk_i32 s0, 0xff00
	v_and_or_b32 v14, v14, s0, v15
; %bb.229:
	s_or_b64 exec, exec, s[50:51]
	v_and_b32_e32 v18, 16, v13
	v_mov_b32_dpp v17, v9 row_bcast:15 row_mask:0xf bank_mask:0xf
	v_mov_b32_dpp v16, v14 row_bcast:15 row_mask:0xf bank_mask:0xf
	v_cmp_ne_u32_e64 s[0:1], 0, v18
	s_and_saveexec_b64 s[50:51], s[0:1]
; %bb.230:
	v_add_f32_e32 v17, v9, v17
	v_cmp_eq_u32_e64 s[0:1], 0, v15
	v_and_b32_e32 v15, 1, v15
	v_and_b32_e32 v16, 1, v16
	v_cndmask_b32_e64 v9, v9, v17, s[0:1]
	v_cmp_eq_u32_e64 s[0:1], 1, v15
	s_nop 1
	v_cndmask_b32_e64 v15, v16, 1, s[0:1]
	s_movk_i32 s0, 0xff00
	v_and_or_b32 v14, v14, s0, v15
; %bb.231:
	s_or_b64 exec, exec, s[50:51]
	v_mov_b32_dpp v17, v9 row_bcast:31 row_mask:0xf bank_mask:0xf
	v_mov_b32_dpp v16, v14 row_bcast:31 row_mask:0xf bank_mask:0xf
	v_cmp_lt_u32_e64 s[0:1], 31, v13
	s_and_saveexec_b64 s[50:51], s[0:1]
; %bb.232:
	v_add_f32_e32 v17, v9, v17
	v_cmp_eq_u32_e64 s[0:1], 0, v15
	v_and_b32_e32 v15, 1, v15
	v_and_b32_e32 v16, 1, v16
	v_cndmask_b32_e64 v9, v9, v17, s[0:1]
	v_cmp_eq_u32_e64 s[0:1], 1, v15
	s_nop 1
	v_cndmask_b32_e64 v15, v16, 1, s[0:1]
	s_movk_i32 s0, 0xff00
	v_and_or_b32 v14, v14, s0, v15
; %bb.233:
	s_or_b64 exec, exec, s[50:51]
	v_add_u32_e32 v15, -1, v13
	v_and_b32_e32 v16, 64, v13
	v_cmp_lt_i32_e64 s[0:1], v15, v16
	; wave barrier
	s_nop 1
	v_cndmask_b32_e64 v13, v15, v13, s[0:1]
	v_lshlrev_b32_e32 v13, 2, v13
	ds_bpermute_b32 v9, v13, v9
	ds_bpermute_b32 v13, v13, v14
	v_mov_b32_e32 v14, 0
	v_cmp_eq_u32_sdwa s[0:1], v3, v14 src0_sel:BYTE_0 src1_sel:DWORD
	s_waitcnt lgkmcnt(1)
	v_add_f32_e32 v9, v2, v9
	v_cndmask_b32_e64 v2, v2, v9, s[0:1]
	s_waitcnt lgkmcnt(0)
	v_and_b32_e32 v3, 1, v13
	v_cmp_eq_u32_e64 s[0:1], 1, v8
	v_cndmask_b32_e64 v6, v2, v6, s[52:53]
	s_nop 0
	v_cndmask_b32_e64 v3, v3, 1, s[0:1]
	v_cndmask_b32_e64 v7, v3, v7, s[52:53]
	ds_write_b32 v5, v6
	ds_write_b8 v5, v7 offset:4
	; wave barrier
	ds_read2_b32 v[2:3], v5 offset0:2 offset1:4
	ds_read_u8 v8, v5 offset:12
	ds_read_u8 v9, v5 offset:20
	ds_read_b32 v13, v5 offset:24
	ds_read_u8 v14, v5 offset:28
	s_waitcnt lgkmcnt(4)
	v_add_f32_e32 v6, v6, v2
	s_waitcnt lgkmcnt(3)
	v_cmp_eq_u16_e64 s[0:1], 0, v8
	s_nop 1
	v_cndmask_b32_e64 v2, v2, v6, s[0:1]
	v_and_b32_e32 v6, 1, v8
	v_cmp_eq_u32_e64 s[0:1], 1, v6
	s_nop 1
	v_cndmask_b32_e64 v6, v7, 1, s[0:1]
	v_add_f32_e32 v7, v2, v3
	s_waitcnt lgkmcnt(2)
	v_cmp_eq_u16_e64 s[0:1], 0, v9
	ds_write_b8 v5, v6 offset:12
	s_nop 0
	v_cndmask_b32_e64 v3, v3, v7, s[0:1]
	v_and_b32_e32 v7, 1, v9
	v_cmp_eq_u32_e64 s[0:1], 1, v7
	s_nop 1
	v_cndmask_b32_e64 v6, v6, 1, s[0:1]
	ds_write2_b32 v5, v2, v3 offset0:2 offset1:4
	ds_write_b8 v5, v6 offset:20
	s_waitcnt lgkmcnt(4)
	v_add_f32_e32 v2, v3, v13
	s_waitcnt lgkmcnt(3)
	v_cmp_eq_u16_e64 s[0:1], 0, v14
	v_and_b32_e32 v3, 1, v14
	s_nop 0
	v_cndmask_b32_e64 v2, v13, v2, s[0:1]
	v_cmp_eq_u32_e64 s[0:1], 1, v3
	s_nop 1
	v_cndmask_b32_e64 v3, v6, 1, s[0:1]
	ds_write_b32 v5, v2 offset:24
	ds_write_b8 v5, v3 offset:28
.LBB1438_234:
	s_or_b64 exec, exec, s[48:49]
	s_waitcnt vmcnt(0)
	v_mov_b32_e32 v31, v4
	s_waitcnt lgkmcnt(0)
	s_barrier
	s_and_saveexec_b64 s[48:49], s[4:5]
	s_cbranch_execz .LBB1438_236
; %bb.235:
	v_add_u32_e32 v2, -1, v0
	v_lshrrev_b32_e32 v3, 5, v2
	v_add_lshl_u32 v2, v3, v2, 3
	ds_read_b32 v3, v2
	ds_read_u8 v2, v2 offset:4
	s_waitcnt lgkmcnt(1)
	v_add_f32_e32 v5, v4, v3
	s_waitcnt lgkmcnt(0)
	v_cmp_eq_u16_e64 s[0:1], 0, v2
	s_nop 1
	v_cndmask_b32_e64 v31, v3, v5, s[0:1]
.LBB1438_236:
	s_or_b64 exec, exec, s[48:49]
	v_mov_b32_e32 v5, 0
	v_add_f32_e32 v2, v50, v31
	v_cmp_eq_u16_sdwa s[0:1], v1, v5 src0_sel:BYTE_0 src1_sel:DWORD
	s_nop 1
	v_cndmask_b32_e64 v74, v50, v2, s[0:1]
	v_add_f32_e32 v1, v48, v74
	v_cndmask_b32_e32 v75, v48, v1, vcc
	v_add_f32_e32 v1, v49, v75
	v_cndmask_b32_e64 v76, v49, v1, s[6:7]
	v_add_f32_e32 v1, v46, v76
	v_cndmask_b32_e64 v77, v46, v1, s[8:9]
	;; [unrolled: 2-line block ×19, first 2 shown]
	v_add_f32_e32 v1, v30, v94
	s_and_saveexec_b64 s[0:1], s[52:53]
	s_cbranch_execz .LBB1438_238
; %bb.237:
	ds_read_b32 v2, v5 offset:2096
	ds_read_u8 v3, v5 offset:2100
	s_add_u32 s4, s64, 0x400
	s_addc_u32 s5, s65, 0
	v_mov_b64_e32 v[6:7], s[4:5]
	s_waitcnt lgkmcnt(1)
	v_add_f32_e32 v4, v4, v2
	s_waitcnt lgkmcnt(0)
	v_cmp_eq_u16_e32 vcc, 0, v3
	v_and_b32_e32 v3, 0xffff, v3
	s_nop 0
	v_cndmask_b32_e32 v2, v2, v4, vcc
	v_mov_b32_e32 v4, 2
	;;#ASMSTART
	global_store_dwordx4 v[6:7], v[2:5] off sc1	
s_waitcnt vmcnt(0)
	;;#ASMEND
.LBB1438_238:
	s_or_b64 exec, exec, s[0:1]
	v_cndmask_b32_e64 v95, v30, v1, s[16:17]
.LBB1438_239:
	s_add_u32 s0, s62, s54
	s_addc_u32 s1, s63, s55
	v_lshl_add_u64 v[2:3], s[0:1], 0, v[10:11]
	s_and_b64 vcc, exec, s[2:3]
	s_cbranch_vccz .LBB1438_285
; %bb.240:
	s_movk_i32 s0, 0x5c
	v_mul_i32_i24_e32 v30, 0xffffffa8, v0
	v_mul_u32_u24_e32 v1, 0x5c, v0
	v_mad_u32_u24 v4, v0, s0, v30
	s_barrier
	ds_write2_b32 v1, v31, v74 offset1:1
	ds_write2_b32 v1, v75, v76 offset0:2 offset1:3
	ds_write2_b32 v1, v77, v78 offset0:4 offset1:5
	;; [unrolled: 1-line block ×10, first 2 shown]
	ds_write_b32 v1, v95 offset:88
	s_waitcnt lgkmcnt(0)
	s_barrier
	ds_read2st64_b32 v[28:29], v4 offset0:4 offset1:8
	ds_read2st64_b32 v[26:27], v4 offset0:12 offset1:16
	;; [unrolled: 1-line block ×11, first 2 shown]
	s_add_i32 s33, s33, s66
	v_mov_b32_e32 v13, 0
	v_lshl_add_u64 v[6:7], v[2:3], 0, v[12:13]
	v_cmp_gt_u32_e32 vcc, s33, v0
	s_and_saveexec_b64 s[0:1], vcc
	s_cbranch_execz .LBB1438_242
; %bb.241:
	v_add_u32_e32 v1, v1, v30
	ds_read_b32 v1, v1
	s_waitcnt lgkmcnt(0)
	flat_store_dword v[6:7], v1
.LBB1438_242:
	s_or_b64 exec, exec, s[0:1]
	v_or_b32_e32 v1, 0x100, v0
	v_cmp_gt_u32_e32 vcc, s33, v1
	s_and_saveexec_b64 s[0:1], vcc
	s_cbranch_execz .LBB1438_244
; %bb.243:
	s_waitcnt lgkmcnt(0)
	flat_store_dword v[6:7], v28 offset:1024
.LBB1438_244:
	s_or_b64 exec, exec, s[0:1]
	v_or_b32_e32 v1, 0x200, v0
	v_cmp_gt_u32_e32 vcc, s33, v1
	s_and_saveexec_b64 s[0:1], vcc
	s_cbranch_execz .LBB1438_246
; %bb.245:
	s_waitcnt lgkmcnt(0)
	flat_store_dword v[6:7], v29 offset:2048
.LBB1438_246:
	;; [unrolled: 9-line block ×3, first 2 shown]
	s_or_b64 exec, exec, s[0:1]
	v_or_b32_e32 v1, 0x400, v0
	v_cmp_gt_u32_e32 vcc, s33, v1
	s_and_saveexec_b64 s[0:1], vcc
	s_cbranch_execz .LBB1438_250
; %bb.249:
	s_waitcnt lgkmcnt(0)
	v_add_co_u32_e32 v28, vcc, 0x1000, v6
	s_nop 1
	v_addc_co_u32_e32 v29, vcc, 0, v7, vcc
	flat_store_dword v[28:29], v27
.LBB1438_250:
	s_or_b64 exec, exec, s[0:1]
	v_or_b32_e32 v1, 0x500, v0
	v_cmp_gt_u32_e32 vcc, s33, v1
	s_and_saveexec_b64 s[0:1], vcc
	s_cbranch_execz .LBB1438_252
; %bb.251:
	s_waitcnt lgkmcnt(0)
	v_add_co_u32_e32 v26, vcc, 0x1000, v6
	s_nop 1
	v_addc_co_u32_e32 v27, vcc, 0, v7, vcc
	flat_store_dword v[26:27], v24 offset:1024
.LBB1438_252:
	s_or_b64 exec, exec, s[0:1]
	v_or_b32_e32 v1, 0x600, v0
	v_cmp_gt_u32_e32 vcc, s33, v1
	s_and_saveexec_b64 s[0:1], vcc
	s_cbranch_execz .LBB1438_254
; %bb.253:
	s_waitcnt lgkmcnt(0)
	v_add_co_u32_e32 v26, vcc, 0x1000, v6
	s_nop 1
	v_addc_co_u32_e32 v27, vcc, 0, v7, vcc
	flat_store_dword v[26:27], v25 offset:2048
.LBB1438_254:
	s_or_b64 exec, exec, s[0:1]
	v_or_b32_e32 v1, 0x700, v0
	v_cmp_gt_u32_e32 vcc, s33, v1
	s_and_saveexec_b64 s[0:1], vcc
	s_cbranch_execz .LBB1438_256
; %bb.255:
	s_waitcnt lgkmcnt(0)
	v_add_co_u32_e32 v24, vcc, 0x1000, v6
	s_nop 1
	v_addc_co_u32_e32 v25, vcc, 0, v7, vcc
	flat_store_dword v[24:25], v22 offset:3072
.LBB1438_256:
	s_or_b64 exec, exec, s[0:1]
	v_or_b32_e32 v1, 0x800, v0
	v_cmp_gt_u32_e32 vcc, s33, v1
	s_and_saveexec_b64 s[0:1], vcc
	s_cbranch_execz .LBB1438_258
; %bb.257:
	s_waitcnt lgkmcnt(0)
	v_add_co_u32_e32 v24, vcc, 0x2000, v6
	s_nop 1
	v_addc_co_u32_e32 v25, vcc, 0, v7, vcc
	flat_store_dword v[24:25], v23
.LBB1438_258:
	s_or_b64 exec, exec, s[0:1]
	v_or_b32_e32 v1, 0x900, v0
	v_cmp_gt_u32_e32 vcc, s33, v1
	s_and_saveexec_b64 s[0:1], vcc
	s_cbranch_execz .LBB1438_260
; %bb.259:
	s_waitcnt lgkmcnt(0)
	v_add_co_u32_e32 v22, vcc, 0x2000, v6
	s_nop 1
	v_addc_co_u32_e32 v23, vcc, 0, v7, vcc
	flat_store_dword v[22:23], v20 offset:1024
.LBB1438_260:
	s_or_b64 exec, exec, s[0:1]
	v_or_b32_e32 v1, 0xa00, v0
	v_cmp_gt_u32_e32 vcc, s33, v1
	s_and_saveexec_b64 s[0:1], vcc
	s_cbranch_execz .LBB1438_262
; %bb.261:
	s_waitcnt lgkmcnt(0)
	v_add_co_u32_e32 v22, vcc, 0x2000, v6
	s_nop 1
	v_addc_co_u32_e32 v23, vcc, 0, v7, vcc
	flat_store_dword v[22:23], v21 offset:2048
.LBB1438_262:
	s_or_b64 exec, exec, s[0:1]
	v_or_b32_e32 v1, 0xb00, v0
	v_cmp_gt_u32_e32 vcc, s33, v1
	s_and_saveexec_b64 s[0:1], vcc
	s_cbranch_execz .LBB1438_264
; %bb.263:
	s_waitcnt lgkmcnt(0)
	v_add_co_u32_e32 v20, vcc, 0x2000, v6
	s_nop 1
	v_addc_co_u32_e32 v21, vcc, 0, v7, vcc
	flat_store_dword v[20:21], v18 offset:3072
.LBB1438_264:
	;; [unrolled: 48-line block ×4, first 2 shown]
	s_or_b64 exec, exec, s[0:1]
	v_or_b32_e32 v1, 0x1400, v0
	v_cmp_gt_u32_e32 vcc, s33, v1
	s_and_saveexec_b64 s[0:1], vcc
	s_cbranch_execz .LBB1438_282
; %bb.281:
	s_waitcnt lgkmcnt(0)
	v_add_co_u32_e32 v10, vcc, 0x5000, v6
	s_nop 1
	v_addc_co_u32_e32 v11, vcc, 0, v7, vcc
	flat_store_dword v[10:11], v9
.LBB1438_282:
	s_or_b64 exec, exec, s[0:1]
	v_or_b32_e32 v1, 0x1500, v0
	v_cmp_gt_u32_e32 vcc, s33, v1
	s_and_saveexec_b64 s[0:1], vcc
	s_cbranch_execz .LBB1438_284
; %bb.283:
	v_add_co_u32_e32 v6, vcc, 0x5000, v6
	s_nop 1
	v_addc_co_u32_e32 v7, vcc, 0, v7, vcc
	s_waitcnt lgkmcnt(0)
	flat_store_dword v[6:7], v4 offset:1024
.LBB1438_284:
	s_or_b64 exec, exec, s[0:1]
	s_waitcnt lgkmcnt(0)
	v_or_b32_e32 v4, 0x1600, v0
	v_mov_b32_e32 v1, v13
	v_cmp_gt_u32_e64 s[0:1], s33, v4
	s_branch .LBB1438_287
.LBB1438_285:
	s_mov_b64 s[0:1], 0
                                        ; implicit-def: $vgpr5
	s_cbranch_execz .LBB1438_287
; %bb.286:
	v_mul_u32_u24_e32 v1, 0x5c, v0
	s_barrier
	s_movk_i32 s2, 0x5c
	ds_write2_b32 v1, v31, v74 offset1:1
	ds_write2_b32 v1, v75, v76 offset0:2 offset1:3
	ds_write2_b32 v1, v77, v78 offset0:4 offset1:5
	;; [unrolled: 1-line block ×10, first 2 shown]
	ds_write_b32 v1, v95 offset:88
	v_mov_b32_e32 v1, 0
	v_mul_i32_i24_e32 v4, 0xffffffa8, v0
	v_mad_u32_u24 v4, v0, s2, v4
	v_mov_b32_e32 v13, v1
	s_waitcnt lgkmcnt(0)
	s_barrier
	ds_read2st64_b32 v[6:7], v4 offset1:4
	ds_read2st64_b32 v[8:9], v4 offset0:8 offset1:12
	ds_read2st64_b32 v[10:11], v4 offset0:16 offset1:20
	;; [unrolled: 1-line block ×10, first 2 shown]
	ds_read_b32 v5, v4 offset:22528
	v_lshl_add_u64 v[12:13], v[2:3], 0, v[12:13]
	s_movk_i32 s2, 0x1000
	s_waitcnt lgkmcnt(0)
	flat_store_dword v[12:13], v6
	flat_store_dword v[12:13], v7 offset:1024
	flat_store_dword v[12:13], v8 offset:2048
	;; [unrolled: 1-line block ×3, first 2 shown]
	v_add_co_u32_e32 v6, vcc, s2, v12
	s_movk_i32 s2, 0x2000
	s_nop 0
	v_addc_co_u32_e32 v7, vcc, 0, v13, vcc
	flat_store_dword v[6:7], v10
	flat_store_dword v[6:7], v11 offset:1024
	flat_store_dword v[6:7], v14 offset:2048
	;; [unrolled: 1-line block ×3, first 2 shown]
	v_add_co_u32_e32 v6, vcc, s2, v12
	s_movk_i32 s2, 0x3000
	s_nop 0
	v_addc_co_u32_e32 v7, vcc, 0, v13, vcc
	flat_store_dword v[6:7], v16
	flat_store_dword v[6:7], v17 offset:1024
	flat_store_dword v[6:7], v18 offset:2048
	;; [unrolled: 1-line block ×3, first 2 shown]
	v_add_co_u32_e32 v6, vcc, s2, v12
	s_or_b64 s[0:1], s[0:1], exec
	s_nop 0
	v_addc_co_u32_e32 v7, vcc, 0, v13, vcc
	flat_store_dword v[6:7], v20
	flat_store_dword v[6:7], v21 offset:1024
	flat_store_dword v[6:7], v22 offset:2048
	;; [unrolled: 1-line block ×3, first 2 shown]
	v_add_co_u32_e32 v6, vcc, 0x4000, v12
	s_nop 1
	v_addc_co_u32_e32 v7, vcc, 0, v13, vcc
	flat_store_dword v[6:7], v24
	flat_store_dword v[6:7], v25 offset:1024
	flat_store_dword v[6:7], v26 offset:2048
	;; [unrolled: 1-line block ×3, first 2 shown]
	v_add_co_u32_e32 v6, vcc, 0x5000, v12
	s_nop 1
	v_addc_co_u32_e32 v7, vcc, 0, v13, vcc
	flat_store_dword v[6:7], v28
	flat_store_dword v[6:7], v29 offset:1024
.LBB1438_287:
	s_and_saveexec_b64 s[2:3], s[0:1]
	s_cbranch_execz .LBB1438_289
; %bb.288:
	v_lshl_add_u64 v[0:1], v[0:1], 2, v[2:3]
	v_add_co_u32_e32 v0, vcc, 0x5000, v0
	s_nop 1
	v_addc_co_u32_e32 v1, vcc, 0, v1, vcc
	flat_store_dword v[0:1], v5 offset:2048
	s_endpgm
.LBB1438_289:
	s_endpgm
	.section	.rodata,"a",@progbits
	.p2align	6, 0x0
	.amdhsa_kernel _ZN7rocprim17ROCPRIM_400000_NS6detail17trampoline_kernelINS0_14default_configENS1_27scan_by_key_config_selectorIifEEZZNS1_16scan_by_key_implILNS1_25lookback_scan_determinismE0ELb1ES3_N6thrust23THRUST_200600_302600_NS6detail15normal_iteratorINS9_10device_ptrIiEEEENSB_INSC_IfEEEESG_fNS9_4plusIvEENS9_8equal_toIvEEfEE10hipError_tPvRmT2_T3_T4_T5_mT6_T7_P12ihipStream_tbENKUlT_T0_E_clISt17integral_constantIbLb1EES11_EEDaSW_SX_EUlSW_E_NS1_11comp_targetILNS1_3genE5ELNS1_11target_archE942ELNS1_3gpuE9ELNS1_3repE0EEENS1_30default_config_static_selectorELNS0_4arch9wavefront6targetE1EEEvT1_
		.amdhsa_group_segment_fixed_size 25600
		.amdhsa_private_segment_fixed_size 0
		.amdhsa_kernarg_size 112
		.amdhsa_user_sgpr_count 2
		.amdhsa_user_sgpr_dispatch_ptr 0
		.amdhsa_user_sgpr_queue_ptr 0
		.amdhsa_user_sgpr_kernarg_segment_ptr 1
		.amdhsa_user_sgpr_dispatch_id 0
		.amdhsa_user_sgpr_kernarg_preload_length 0
		.amdhsa_user_sgpr_kernarg_preload_offset 0
		.amdhsa_user_sgpr_private_segment_size 0
		.amdhsa_uses_dynamic_stack 0
		.amdhsa_enable_private_segment 0
		.amdhsa_system_sgpr_workgroup_id_x 1
		.amdhsa_system_sgpr_workgroup_id_y 0
		.amdhsa_system_sgpr_workgroup_id_z 0
		.amdhsa_system_sgpr_workgroup_info 0
		.amdhsa_system_vgpr_workitem_id 0
		.amdhsa_next_free_vgpr 96
		.amdhsa_next_free_sgpr 80
		.amdhsa_accum_offset 96
		.amdhsa_reserve_vcc 1
		.amdhsa_float_round_mode_32 0
		.amdhsa_float_round_mode_16_64 0
		.amdhsa_float_denorm_mode_32 3
		.amdhsa_float_denorm_mode_16_64 3
		.amdhsa_dx10_clamp 1
		.amdhsa_ieee_mode 1
		.amdhsa_fp16_overflow 0
		.amdhsa_tg_split 0
		.amdhsa_exception_fp_ieee_invalid_op 0
		.amdhsa_exception_fp_denorm_src 0
		.amdhsa_exception_fp_ieee_div_zero 0
		.amdhsa_exception_fp_ieee_overflow 0
		.amdhsa_exception_fp_ieee_underflow 0
		.amdhsa_exception_fp_ieee_inexact 0
		.amdhsa_exception_int_div_zero 0
	.end_amdhsa_kernel
	.section	.text._ZN7rocprim17ROCPRIM_400000_NS6detail17trampoline_kernelINS0_14default_configENS1_27scan_by_key_config_selectorIifEEZZNS1_16scan_by_key_implILNS1_25lookback_scan_determinismE0ELb1ES3_N6thrust23THRUST_200600_302600_NS6detail15normal_iteratorINS9_10device_ptrIiEEEENSB_INSC_IfEEEESG_fNS9_4plusIvEENS9_8equal_toIvEEfEE10hipError_tPvRmT2_T3_T4_T5_mT6_T7_P12ihipStream_tbENKUlT_T0_E_clISt17integral_constantIbLb1EES11_EEDaSW_SX_EUlSW_E_NS1_11comp_targetILNS1_3genE5ELNS1_11target_archE942ELNS1_3gpuE9ELNS1_3repE0EEENS1_30default_config_static_selectorELNS0_4arch9wavefront6targetE1EEEvT1_,"axG",@progbits,_ZN7rocprim17ROCPRIM_400000_NS6detail17trampoline_kernelINS0_14default_configENS1_27scan_by_key_config_selectorIifEEZZNS1_16scan_by_key_implILNS1_25lookback_scan_determinismE0ELb1ES3_N6thrust23THRUST_200600_302600_NS6detail15normal_iteratorINS9_10device_ptrIiEEEENSB_INSC_IfEEEESG_fNS9_4plusIvEENS9_8equal_toIvEEfEE10hipError_tPvRmT2_T3_T4_T5_mT6_T7_P12ihipStream_tbENKUlT_T0_E_clISt17integral_constantIbLb1EES11_EEDaSW_SX_EUlSW_E_NS1_11comp_targetILNS1_3genE5ELNS1_11target_archE942ELNS1_3gpuE9ELNS1_3repE0EEENS1_30default_config_static_selectorELNS0_4arch9wavefront6targetE1EEEvT1_,comdat
.Lfunc_end1438:
	.size	_ZN7rocprim17ROCPRIM_400000_NS6detail17trampoline_kernelINS0_14default_configENS1_27scan_by_key_config_selectorIifEEZZNS1_16scan_by_key_implILNS1_25lookback_scan_determinismE0ELb1ES3_N6thrust23THRUST_200600_302600_NS6detail15normal_iteratorINS9_10device_ptrIiEEEENSB_INSC_IfEEEESG_fNS9_4plusIvEENS9_8equal_toIvEEfEE10hipError_tPvRmT2_T3_T4_T5_mT6_T7_P12ihipStream_tbENKUlT_T0_E_clISt17integral_constantIbLb1EES11_EEDaSW_SX_EUlSW_E_NS1_11comp_targetILNS1_3genE5ELNS1_11target_archE942ELNS1_3gpuE9ELNS1_3repE0EEENS1_30default_config_static_selectorELNS0_4arch9wavefront6targetE1EEEvT1_, .Lfunc_end1438-_ZN7rocprim17ROCPRIM_400000_NS6detail17trampoline_kernelINS0_14default_configENS1_27scan_by_key_config_selectorIifEEZZNS1_16scan_by_key_implILNS1_25lookback_scan_determinismE0ELb1ES3_N6thrust23THRUST_200600_302600_NS6detail15normal_iteratorINS9_10device_ptrIiEEEENSB_INSC_IfEEEESG_fNS9_4plusIvEENS9_8equal_toIvEEfEE10hipError_tPvRmT2_T3_T4_T5_mT6_T7_P12ihipStream_tbENKUlT_T0_E_clISt17integral_constantIbLb1EES11_EEDaSW_SX_EUlSW_E_NS1_11comp_targetILNS1_3genE5ELNS1_11target_archE942ELNS1_3gpuE9ELNS1_3repE0EEENS1_30default_config_static_selectorELNS0_4arch9wavefront6targetE1EEEvT1_
                                        ; -- End function
	.section	.AMDGPU.csdata,"",@progbits
; Kernel info:
; codeLenInByte = 16592
; NumSgprs: 86
; NumVgprs: 96
; NumAgprs: 0
; TotalNumVgprs: 96
; ScratchSize: 0
; MemoryBound: 0
; FloatMode: 240
; IeeeMode: 1
; LDSByteSize: 25600 bytes/workgroup (compile time only)
; SGPRBlocks: 10
; VGPRBlocks: 11
; NumSGPRsForWavesPerEU: 86
; NumVGPRsForWavesPerEU: 96
; AccumOffset: 96
; Occupancy: 2
; WaveLimiterHint : 1
; COMPUTE_PGM_RSRC2:SCRATCH_EN: 0
; COMPUTE_PGM_RSRC2:USER_SGPR: 2
; COMPUTE_PGM_RSRC2:TRAP_HANDLER: 0
; COMPUTE_PGM_RSRC2:TGID_X_EN: 1
; COMPUTE_PGM_RSRC2:TGID_Y_EN: 0
; COMPUTE_PGM_RSRC2:TGID_Z_EN: 0
; COMPUTE_PGM_RSRC2:TIDIG_COMP_CNT: 0
; COMPUTE_PGM_RSRC3_GFX90A:ACCUM_OFFSET: 23
; COMPUTE_PGM_RSRC3_GFX90A:TG_SPLIT: 0
	.section	.text._ZN7rocprim17ROCPRIM_400000_NS6detail17trampoline_kernelINS0_14default_configENS1_27scan_by_key_config_selectorIifEEZZNS1_16scan_by_key_implILNS1_25lookback_scan_determinismE0ELb1ES3_N6thrust23THRUST_200600_302600_NS6detail15normal_iteratorINS9_10device_ptrIiEEEENSB_INSC_IfEEEESG_fNS9_4plusIvEENS9_8equal_toIvEEfEE10hipError_tPvRmT2_T3_T4_T5_mT6_T7_P12ihipStream_tbENKUlT_T0_E_clISt17integral_constantIbLb1EES11_EEDaSW_SX_EUlSW_E_NS1_11comp_targetILNS1_3genE4ELNS1_11target_archE910ELNS1_3gpuE8ELNS1_3repE0EEENS1_30default_config_static_selectorELNS0_4arch9wavefront6targetE1EEEvT1_,"axG",@progbits,_ZN7rocprim17ROCPRIM_400000_NS6detail17trampoline_kernelINS0_14default_configENS1_27scan_by_key_config_selectorIifEEZZNS1_16scan_by_key_implILNS1_25lookback_scan_determinismE0ELb1ES3_N6thrust23THRUST_200600_302600_NS6detail15normal_iteratorINS9_10device_ptrIiEEEENSB_INSC_IfEEEESG_fNS9_4plusIvEENS9_8equal_toIvEEfEE10hipError_tPvRmT2_T3_T4_T5_mT6_T7_P12ihipStream_tbENKUlT_T0_E_clISt17integral_constantIbLb1EES11_EEDaSW_SX_EUlSW_E_NS1_11comp_targetILNS1_3genE4ELNS1_11target_archE910ELNS1_3gpuE8ELNS1_3repE0EEENS1_30default_config_static_selectorELNS0_4arch9wavefront6targetE1EEEvT1_,comdat
	.protected	_ZN7rocprim17ROCPRIM_400000_NS6detail17trampoline_kernelINS0_14default_configENS1_27scan_by_key_config_selectorIifEEZZNS1_16scan_by_key_implILNS1_25lookback_scan_determinismE0ELb1ES3_N6thrust23THRUST_200600_302600_NS6detail15normal_iteratorINS9_10device_ptrIiEEEENSB_INSC_IfEEEESG_fNS9_4plusIvEENS9_8equal_toIvEEfEE10hipError_tPvRmT2_T3_T4_T5_mT6_T7_P12ihipStream_tbENKUlT_T0_E_clISt17integral_constantIbLb1EES11_EEDaSW_SX_EUlSW_E_NS1_11comp_targetILNS1_3genE4ELNS1_11target_archE910ELNS1_3gpuE8ELNS1_3repE0EEENS1_30default_config_static_selectorELNS0_4arch9wavefront6targetE1EEEvT1_ ; -- Begin function _ZN7rocprim17ROCPRIM_400000_NS6detail17trampoline_kernelINS0_14default_configENS1_27scan_by_key_config_selectorIifEEZZNS1_16scan_by_key_implILNS1_25lookback_scan_determinismE0ELb1ES3_N6thrust23THRUST_200600_302600_NS6detail15normal_iteratorINS9_10device_ptrIiEEEENSB_INSC_IfEEEESG_fNS9_4plusIvEENS9_8equal_toIvEEfEE10hipError_tPvRmT2_T3_T4_T5_mT6_T7_P12ihipStream_tbENKUlT_T0_E_clISt17integral_constantIbLb1EES11_EEDaSW_SX_EUlSW_E_NS1_11comp_targetILNS1_3genE4ELNS1_11target_archE910ELNS1_3gpuE8ELNS1_3repE0EEENS1_30default_config_static_selectorELNS0_4arch9wavefront6targetE1EEEvT1_
	.globl	_ZN7rocprim17ROCPRIM_400000_NS6detail17trampoline_kernelINS0_14default_configENS1_27scan_by_key_config_selectorIifEEZZNS1_16scan_by_key_implILNS1_25lookback_scan_determinismE0ELb1ES3_N6thrust23THRUST_200600_302600_NS6detail15normal_iteratorINS9_10device_ptrIiEEEENSB_INSC_IfEEEESG_fNS9_4plusIvEENS9_8equal_toIvEEfEE10hipError_tPvRmT2_T3_T4_T5_mT6_T7_P12ihipStream_tbENKUlT_T0_E_clISt17integral_constantIbLb1EES11_EEDaSW_SX_EUlSW_E_NS1_11comp_targetILNS1_3genE4ELNS1_11target_archE910ELNS1_3gpuE8ELNS1_3repE0EEENS1_30default_config_static_selectorELNS0_4arch9wavefront6targetE1EEEvT1_
	.p2align	8
	.type	_ZN7rocprim17ROCPRIM_400000_NS6detail17trampoline_kernelINS0_14default_configENS1_27scan_by_key_config_selectorIifEEZZNS1_16scan_by_key_implILNS1_25lookback_scan_determinismE0ELb1ES3_N6thrust23THRUST_200600_302600_NS6detail15normal_iteratorINS9_10device_ptrIiEEEENSB_INSC_IfEEEESG_fNS9_4plusIvEENS9_8equal_toIvEEfEE10hipError_tPvRmT2_T3_T4_T5_mT6_T7_P12ihipStream_tbENKUlT_T0_E_clISt17integral_constantIbLb1EES11_EEDaSW_SX_EUlSW_E_NS1_11comp_targetILNS1_3genE4ELNS1_11target_archE910ELNS1_3gpuE8ELNS1_3repE0EEENS1_30default_config_static_selectorELNS0_4arch9wavefront6targetE1EEEvT1_,@function
_ZN7rocprim17ROCPRIM_400000_NS6detail17trampoline_kernelINS0_14default_configENS1_27scan_by_key_config_selectorIifEEZZNS1_16scan_by_key_implILNS1_25lookback_scan_determinismE0ELb1ES3_N6thrust23THRUST_200600_302600_NS6detail15normal_iteratorINS9_10device_ptrIiEEEENSB_INSC_IfEEEESG_fNS9_4plusIvEENS9_8equal_toIvEEfEE10hipError_tPvRmT2_T3_T4_T5_mT6_T7_P12ihipStream_tbENKUlT_T0_E_clISt17integral_constantIbLb1EES11_EEDaSW_SX_EUlSW_E_NS1_11comp_targetILNS1_3genE4ELNS1_11target_archE910ELNS1_3gpuE8ELNS1_3repE0EEENS1_30default_config_static_selectorELNS0_4arch9wavefront6targetE1EEEvT1_: ; @_ZN7rocprim17ROCPRIM_400000_NS6detail17trampoline_kernelINS0_14default_configENS1_27scan_by_key_config_selectorIifEEZZNS1_16scan_by_key_implILNS1_25lookback_scan_determinismE0ELb1ES3_N6thrust23THRUST_200600_302600_NS6detail15normal_iteratorINS9_10device_ptrIiEEEENSB_INSC_IfEEEESG_fNS9_4plusIvEENS9_8equal_toIvEEfEE10hipError_tPvRmT2_T3_T4_T5_mT6_T7_P12ihipStream_tbENKUlT_T0_E_clISt17integral_constantIbLb1EES11_EEDaSW_SX_EUlSW_E_NS1_11comp_targetILNS1_3genE4ELNS1_11target_archE910ELNS1_3gpuE8ELNS1_3repE0EEENS1_30default_config_static_selectorELNS0_4arch9wavefront6targetE1EEEvT1_
; %bb.0:
	.section	.rodata,"a",@progbits
	.p2align	6, 0x0
	.amdhsa_kernel _ZN7rocprim17ROCPRIM_400000_NS6detail17trampoline_kernelINS0_14default_configENS1_27scan_by_key_config_selectorIifEEZZNS1_16scan_by_key_implILNS1_25lookback_scan_determinismE0ELb1ES3_N6thrust23THRUST_200600_302600_NS6detail15normal_iteratorINS9_10device_ptrIiEEEENSB_INSC_IfEEEESG_fNS9_4plusIvEENS9_8equal_toIvEEfEE10hipError_tPvRmT2_T3_T4_T5_mT6_T7_P12ihipStream_tbENKUlT_T0_E_clISt17integral_constantIbLb1EES11_EEDaSW_SX_EUlSW_E_NS1_11comp_targetILNS1_3genE4ELNS1_11target_archE910ELNS1_3gpuE8ELNS1_3repE0EEENS1_30default_config_static_selectorELNS0_4arch9wavefront6targetE1EEEvT1_
		.amdhsa_group_segment_fixed_size 0
		.amdhsa_private_segment_fixed_size 0
		.amdhsa_kernarg_size 112
		.amdhsa_user_sgpr_count 2
		.amdhsa_user_sgpr_dispatch_ptr 0
		.amdhsa_user_sgpr_queue_ptr 0
		.amdhsa_user_sgpr_kernarg_segment_ptr 1
		.amdhsa_user_sgpr_dispatch_id 0
		.amdhsa_user_sgpr_kernarg_preload_length 0
		.amdhsa_user_sgpr_kernarg_preload_offset 0
		.amdhsa_user_sgpr_private_segment_size 0
		.amdhsa_uses_dynamic_stack 0
		.amdhsa_enable_private_segment 0
		.amdhsa_system_sgpr_workgroup_id_x 1
		.amdhsa_system_sgpr_workgroup_id_y 0
		.amdhsa_system_sgpr_workgroup_id_z 0
		.amdhsa_system_sgpr_workgroup_info 0
		.amdhsa_system_vgpr_workitem_id 0
		.amdhsa_next_free_vgpr 1
		.amdhsa_next_free_sgpr 0
		.amdhsa_accum_offset 4
		.amdhsa_reserve_vcc 0
		.amdhsa_float_round_mode_32 0
		.amdhsa_float_round_mode_16_64 0
		.amdhsa_float_denorm_mode_32 3
		.amdhsa_float_denorm_mode_16_64 3
		.amdhsa_dx10_clamp 1
		.amdhsa_ieee_mode 1
		.amdhsa_fp16_overflow 0
		.amdhsa_tg_split 0
		.amdhsa_exception_fp_ieee_invalid_op 0
		.amdhsa_exception_fp_denorm_src 0
		.amdhsa_exception_fp_ieee_div_zero 0
		.amdhsa_exception_fp_ieee_overflow 0
		.amdhsa_exception_fp_ieee_underflow 0
		.amdhsa_exception_fp_ieee_inexact 0
		.amdhsa_exception_int_div_zero 0
	.end_amdhsa_kernel
	.section	.text._ZN7rocprim17ROCPRIM_400000_NS6detail17trampoline_kernelINS0_14default_configENS1_27scan_by_key_config_selectorIifEEZZNS1_16scan_by_key_implILNS1_25lookback_scan_determinismE0ELb1ES3_N6thrust23THRUST_200600_302600_NS6detail15normal_iteratorINS9_10device_ptrIiEEEENSB_INSC_IfEEEESG_fNS9_4plusIvEENS9_8equal_toIvEEfEE10hipError_tPvRmT2_T3_T4_T5_mT6_T7_P12ihipStream_tbENKUlT_T0_E_clISt17integral_constantIbLb1EES11_EEDaSW_SX_EUlSW_E_NS1_11comp_targetILNS1_3genE4ELNS1_11target_archE910ELNS1_3gpuE8ELNS1_3repE0EEENS1_30default_config_static_selectorELNS0_4arch9wavefront6targetE1EEEvT1_,"axG",@progbits,_ZN7rocprim17ROCPRIM_400000_NS6detail17trampoline_kernelINS0_14default_configENS1_27scan_by_key_config_selectorIifEEZZNS1_16scan_by_key_implILNS1_25lookback_scan_determinismE0ELb1ES3_N6thrust23THRUST_200600_302600_NS6detail15normal_iteratorINS9_10device_ptrIiEEEENSB_INSC_IfEEEESG_fNS9_4plusIvEENS9_8equal_toIvEEfEE10hipError_tPvRmT2_T3_T4_T5_mT6_T7_P12ihipStream_tbENKUlT_T0_E_clISt17integral_constantIbLb1EES11_EEDaSW_SX_EUlSW_E_NS1_11comp_targetILNS1_3genE4ELNS1_11target_archE910ELNS1_3gpuE8ELNS1_3repE0EEENS1_30default_config_static_selectorELNS0_4arch9wavefront6targetE1EEEvT1_,comdat
.Lfunc_end1439:
	.size	_ZN7rocprim17ROCPRIM_400000_NS6detail17trampoline_kernelINS0_14default_configENS1_27scan_by_key_config_selectorIifEEZZNS1_16scan_by_key_implILNS1_25lookback_scan_determinismE0ELb1ES3_N6thrust23THRUST_200600_302600_NS6detail15normal_iteratorINS9_10device_ptrIiEEEENSB_INSC_IfEEEESG_fNS9_4plusIvEENS9_8equal_toIvEEfEE10hipError_tPvRmT2_T3_T4_T5_mT6_T7_P12ihipStream_tbENKUlT_T0_E_clISt17integral_constantIbLb1EES11_EEDaSW_SX_EUlSW_E_NS1_11comp_targetILNS1_3genE4ELNS1_11target_archE910ELNS1_3gpuE8ELNS1_3repE0EEENS1_30default_config_static_selectorELNS0_4arch9wavefront6targetE1EEEvT1_, .Lfunc_end1439-_ZN7rocprim17ROCPRIM_400000_NS6detail17trampoline_kernelINS0_14default_configENS1_27scan_by_key_config_selectorIifEEZZNS1_16scan_by_key_implILNS1_25lookback_scan_determinismE0ELb1ES3_N6thrust23THRUST_200600_302600_NS6detail15normal_iteratorINS9_10device_ptrIiEEEENSB_INSC_IfEEEESG_fNS9_4plusIvEENS9_8equal_toIvEEfEE10hipError_tPvRmT2_T3_T4_T5_mT6_T7_P12ihipStream_tbENKUlT_T0_E_clISt17integral_constantIbLb1EES11_EEDaSW_SX_EUlSW_E_NS1_11comp_targetILNS1_3genE4ELNS1_11target_archE910ELNS1_3gpuE8ELNS1_3repE0EEENS1_30default_config_static_selectorELNS0_4arch9wavefront6targetE1EEEvT1_
                                        ; -- End function
	.section	.AMDGPU.csdata,"",@progbits
; Kernel info:
; codeLenInByte = 0
; NumSgprs: 6
; NumVgprs: 0
; NumAgprs: 0
; TotalNumVgprs: 0
; ScratchSize: 0
; MemoryBound: 0
; FloatMode: 240
; IeeeMode: 1
; LDSByteSize: 0 bytes/workgroup (compile time only)
; SGPRBlocks: 0
; VGPRBlocks: 0
; NumSGPRsForWavesPerEU: 6
; NumVGPRsForWavesPerEU: 1
; AccumOffset: 4
; Occupancy: 8
; WaveLimiterHint : 0
; COMPUTE_PGM_RSRC2:SCRATCH_EN: 0
; COMPUTE_PGM_RSRC2:USER_SGPR: 2
; COMPUTE_PGM_RSRC2:TRAP_HANDLER: 0
; COMPUTE_PGM_RSRC2:TGID_X_EN: 1
; COMPUTE_PGM_RSRC2:TGID_Y_EN: 0
; COMPUTE_PGM_RSRC2:TGID_Z_EN: 0
; COMPUTE_PGM_RSRC2:TIDIG_COMP_CNT: 0
; COMPUTE_PGM_RSRC3_GFX90A:ACCUM_OFFSET: 0
; COMPUTE_PGM_RSRC3_GFX90A:TG_SPLIT: 0
	.section	.text._ZN7rocprim17ROCPRIM_400000_NS6detail17trampoline_kernelINS0_14default_configENS1_27scan_by_key_config_selectorIifEEZZNS1_16scan_by_key_implILNS1_25lookback_scan_determinismE0ELb1ES3_N6thrust23THRUST_200600_302600_NS6detail15normal_iteratorINS9_10device_ptrIiEEEENSB_INSC_IfEEEESG_fNS9_4plusIvEENS9_8equal_toIvEEfEE10hipError_tPvRmT2_T3_T4_T5_mT6_T7_P12ihipStream_tbENKUlT_T0_E_clISt17integral_constantIbLb1EES11_EEDaSW_SX_EUlSW_E_NS1_11comp_targetILNS1_3genE3ELNS1_11target_archE908ELNS1_3gpuE7ELNS1_3repE0EEENS1_30default_config_static_selectorELNS0_4arch9wavefront6targetE1EEEvT1_,"axG",@progbits,_ZN7rocprim17ROCPRIM_400000_NS6detail17trampoline_kernelINS0_14default_configENS1_27scan_by_key_config_selectorIifEEZZNS1_16scan_by_key_implILNS1_25lookback_scan_determinismE0ELb1ES3_N6thrust23THRUST_200600_302600_NS6detail15normal_iteratorINS9_10device_ptrIiEEEENSB_INSC_IfEEEESG_fNS9_4plusIvEENS9_8equal_toIvEEfEE10hipError_tPvRmT2_T3_T4_T5_mT6_T7_P12ihipStream_tbENKUlT_T0_E_clISt17integral_constantIbLb1EES11_EEDaSW_SX_EUlSW_E_NS1_11comp_targetILNS1_3genE3ELNS1_11target_archE908ELNS1_3gpuE7ELNS1_3repE0EEENS1_30default_config_static_selectorELNS0_4arch9wavefront6targetE1EEEvT1_,comdat
	.protected	_ZN7rocprim17ROCPRIM_400000_NS6detail17trampoline_kernelINS0_14default_configENS1_27scan_by_key_config_selectorIifEEZZNS1_16scan_by_key_implILNS1_25lookback_scan_determinismE0ELb1ES3_N6thrust23THRUST_200600_302600_NS6detail15normal_iteratorINS9_10device_ptrIiEEEENSB_INSC_IfEEEESG_fNS9_4plusIvEENS9_8equal_toIvEEfEE10hipError_tPvRmT2_T3_T4_T5_mT6_T7_P12ihipStream_tbENKUlT_T0_E_clISt17integral_constantIbLb1EES11_EEDaSW_SX_EUlSW_E_NS1_11comp_targetILNS1_3genE3ELNS1_11target_archE908ELNS1_3gpuE7ELNS1_3repE0EEENS1_30default_config_static_selectorELNS0_4arch9wavefront6targetE1EEEvT1_ ; -- Begin function _ZN7rocprim17ROCPRIM_400000_NS6detail17trampoline_kernelINS0_14default_configENS1_27scan_by_key_config_selectorIifEEZZNS1_16scan_by_key_implILNS1_25lookback_scan_determinismE0ELb1ES3_N6thrust23THRUST_200600_302600_NS6detail15normal_iteratorINS9_10device_ptrIiEEEENSB_INSC_IfEEEESG_fNS9_4plusIvEENS9_8equal_toIvEEfEE10hipError_tPvRmT2_T3_T4_T5_mT6_T7_P12ihipStream_tbENKUlT_T0_E_clISt17integral_constantIbLb1EES11_EEDaSW_SX_EUlSW_E_NS1_11comp_targetILNS1_3genE3ELNS1_11target_archE908ELNS1_3gpuE7ELNS1_3repE0EEENS1_30default_config_static_selectorELNS0_4arch9wavefront6targetE1EEEvT1_
	.globl	_ZN7rocprim17ROCPRIM_400000_NS6detail17trampoline_kernelINS0_14default_configENS1_27scan_by_key_config_selectorIifEEZZNS1_16scan_by_key_implILNS1_25lookback_scan_determinismE0ELb1ES3_N6thrust23THRUST_200600_302600_NS6detail15normal_iteratorINS9_10device_ptrIiEEEENSB_INSC_IfEEEESG_fNS9_4plusIvEENS9_8equal_toIvEEfEE10hipError_tPvRmT2_T3_T4_T5_mT6_T7_P12ihipStream_tbENKUlT_T0_E_clISt17integral_constantIbLb1EES11_EEDaSW_SX_EUlSW_E_NS1_11comp_targetILNS1_3genE3ELNS1_11target_archE908ELNS1_3gpuE7ELNS1_3repE0EEENS1_30default_config_static_selectorELNS0_4arch9wavefront6targetE1EEEvT1_
	.p2align	8
	.type	_ZN7rocprim17ROCPRIM_400000_NS6detail17trampoline_kernelINS0_14default_configENS1_27scan_by_key_config_selectorIifEEZZNS1_16scan_by_key_implILNS1_25lookback_scan_determinismE0ELb1ES3_N6thrust23THRUST_200600_302600_NS6detail15normal_iteratorINS9_10device_ptrIiEEEENSB_INSC_IfEEEESG_fNS9_4plusIvEENS9_8equal_toIvEEfEE10hipError_tPvRmT2_T3_T4_T5_mT6_T7_P12ihipStream_tbENKUlT_T0_E_clISt17integral_constantIbLb1EES11_EEDaSW_SX_EUlSW_E_NS1_11comp_targetILNS1_3genE3ELNS1_11target_archE908ELNS1_3gpuE7ELNS1_3repE0EEENS1_30default_config_static_selectorELNS0_4arch9wavefront6targetE1EEEvT1_,@function
_ZN7rocprim17ROCPRIM_400000_NS6detail17trampoline_kernelINS0_14default_configENS1_27scan_by_key_config_selectorIifEEZZNS1_16scan_by_key_implILNS1_25lookback_scan_determinismE0ELb1ES3_N6thrust23THRUST_200600_302600_NS6detail15normal_iteratorINS9_10device_ptrIiEEEENSB_INSC_IfEEEESG_fNS9_4plusIvEENS9_8equal_toIvEEfEE10hipError_tPvRmT2_T3_T4_T5_mT6_T7_P12ihipStream_tbENKUlT_T0_E_clISt17integral_constantIbLb1EES11_EEDaSW_SX_EUlSW_E_NS1_11comp_targetILNS1_3genE3ELNS1_11target_archE908ELNS1_3gpuE7ELNS1_3repE0EEENS1_30default_config_static_selectorELNS0_4arch9wavefront6targetE1EEEvT1_: ; @_ZN7rocprim17ROCPRIM_400000_NS6detail17trampoline_kernelINS0_14default_configENS1_27scan_by_key_config_selectorIifEEZZNS1_16scan_by_key_implILNS1_25lookback_scan_determinismE0ELb1ES3_N6thrust23THRUST_200600_302600_NS6detail15normal_iteratorINS9_10device_ptrIiEEEENSB_INSC_IfEEEESG_fNS9_4plusIvEENS9_8equal_toIvEEfEE10hipError_tPvRmT2_T3_T4_T5_mT6_T7_P12ihipStream_tbENKUlT_T0_E_clISt17integral_constantIbLb1EES11_EEDaSW_SX_EUlSW_E_NS1_11comp_targetILNS1_3genE3ELNS1_11target_archE908ELNS1_3gpuE7ELNS1_3repE0EEENS1_30default_config_static_selectorELNS0_4arch9wavefront6targetE1EEEvT1_
; %bb.0:
	.section	.rodata,"a",@progbits
	.p2align	6, 0x0
	.amdhsa_kernel _ZN7rocprim17ROCPRIM_400000_NS6detail17trampoline_kernelINS0_14default_configENS1_27scan_by_key_config_selectorIifEEZZNS1_16scan_by_key_implILNS1_25lookback_scan_determinismE0ELb1ES3_N6thrust23THRUST_200600_302600_NS6detail15normal_iteratorINS9_10device_ptrIiEEEENSB_INSC_IfEEEESG_fNS9_4plusIvEENS9_8equal_toIvEEfEE10hipError_tPvRmT2_T3_T4_T5_mT6_T7_P12ihipStream_tbENKUlT_T0_E_clISt17integral_constantIbLb1EES11_EEDaSW_SX_EUlSW_E_NS1_11comp_targetILNS1_3genE3ELNS1_11target_archE908ELNS1_3gpuE7ELNS1_3repE0EEENS1_30default_config_static_selectorELNS0_4arch9wavefront6targetE1EEEvT1_
		.amdhsa_group_segment_fixed_size 0
		.amdhsa_private_segment_fixed_size 0
		.amdhsa_kernarg_size 112
		.amdhsa_user_sgpr_count 2
		.amdhsa_user_sgpr_dispatch_ptr 0
		.amdhsa_user_sgpr_queue_ptr 0
		.amdhsa_user_sgpr_kernarg_segment_ptr 1
		.amdhsa_user_sgpr_dispatch_id 0
		.amdhsa_user_sgpr_kernarg_preload_length 0
		.amdhsa_user_sgpr_kernarg_preload_offset 0
		.amdhsa_user_sgpr_private_segment_size 0
		.amdhsa_uses_dynamic_stack 0
		.amdhsa_enable_private_segment 0
		.amdhsa_system_sgpr_workgroup_id_x 1
		.amdhsa_system_sgpr_workgroup_id_y 0
		.amdhsa_system_sgpr_workgroup_id_z 0
		.amdhsa_system_sgpr_workgroup_info 0
		.amdhsa_system_vgpr_workitem_id 0
		.amdhsa_next_free_vgpr 1
		.amdhsa_next_free_sgpr 0
		.amdhsa_accum_offset 4
		.amdhsa_reserve_vcc 0
		.amdhsa_float_round_mode_32 0
		.amdhsa_float_round_mode_16_64 0
		.amdhsa_float_denorm_mode_32 3
		.amdhsa_float_denorm_mode_16_64 3
		.amdhsa_dx10_clamp 1
		.amdhsa_ieee_mode 1
		.amdhsa_fp16_overflow 0
		.amdhsa_tg_split 0
		.amdhsa_exception_fp_ieee_invalid_op 0
		.amdhsa_exception_fp_denorm_src 0
		.amdhsa_exception_fp_ieee_div_zero 0
		.amdhsa_exception_fp_ieee_overflow 0
		.amdhsa_exception_fp_ieee_underflow 0
		.amdhsa_exception_fp_ieee_inexact 0
		.amdhsa_exception_int_div_zero 0
	.end_amdhsa_kernel
	.section	.text._ZN7rocprim17ROCPRIM_400000_NS6detail17trampoline_kernelINS0_14default_configENS1_27scan_by_key_config_selectorIifEEZZNS1_16scan_by_key_implILNS1_25lookback_scan_determinismE0ELb1ES3_N6thrust23THRUST_200600_302600_NS6detail15normal_iteratorINS9_10device_ptrIiEEEENSB_INSC_IfEEEESG_fNS9_4plusIvEENS9_8equal_toIvEEfEE10hipError_tPvRmT2_T3_T4_T5_mT6_T7_P12ihipStream_tbENKUlT_T0_E_clISt17integral_constantIbLb1EES11_EEDaSW_SX_EUlSW_E_NS1_11comp_targetILNS1_3genE3ELNS1_11target_archE908ELNS1_3gpuE7ELNS1_3repE0EEENS1_30default_config_static_selectorELNS0_4arch9wavefront6targetE1EEEvT1_,"axG",@progbits,_ZN7rocprim17ROCPRIM_400000_NS6detail17trampoline_kernelINS0_14default_configENS1_27scan_by_key_config_selectorIifEEZZNS1_16scan_by_key_implILNS1_25lookback_scan_determinismE0ELb1ES3_N6thrust23THRUST_200600_302600_NS6detail15normal_iteratorINS9_10device_ptrIiEEEENSB_INSC_IfEEEESG_fNS9_4plusIvEENS9_8equal_toIvEEfEE10hipError_tPvRmT2_T3_T4_T5_mT6_T7_P12ihipStream_tbENKUlT_T0_E_clISt17integral_constantIbLb1EES11_EEDaSW_SX_EUlSW_E_NS1_11comp_targetILNS1_3genE3ELNS1_11target_archE908ELNS1_3gpuE7ELNS1_3repE0EEENS1_30default_config_static_selectorELNS0_4arch9wavefront6targetE1EEEvT1_,comdat
.Lfunc_end1440:
	.size	_ZN7rocprim17ROCPRIM_400000_NS6detail17trampoline_kernelINS0_14default_configENS1_27scan_by_key_config_selectorIifEEZZNS1_16scan_by_key_implILNS1_25lookback_scan_determinismE0ELb1ES3_N6thrust23THRUST_200600_302600_NS6detail15normal_iteratorINS9_10device_ptrIiEEEENSB_INSC_IfEEEESG_fNS9_4plusIvEENS9_8equal_toIvEEfEE10hipError_tPvRmT2_T3_T4_T5_mT6_T7_P12ihipStream_tbENKUlT_T0_E_clISt17integral_constantIbLb1EES11_EEDaSW_SX_EUlSW_E_NS1_11comp_targetILNS1_3genE3ELNS1_11target_archE908ELNS1_3gpuE7ELNS1_3repE0EEENS1_30default_config_static_selectorELNS0_4arch9wavefront6targetE1EEEvT1_, .Lfunc_end1440-_ZN7rocprim17ROCPRIM_400000_NS6detail17trampoline_kernelINS0_14default_configENS1_27scan_by_key_config_selectorIifEEZZNS1_16scan_by_key_implILNS1_25lookback_scan_determinismE0ELb1ES3_N6thrust23THRUST_200600_302600_NS6detail15normal_iteratorINS9_10device_ptrIiEEEENSB_INSC_IfEEEESG_fNS9_4plusIvEENS9_8equal_toIvEEfEE10hipError_tPvRmT2_T3_T4_T5_mT6_T7_P12ihipStream_tbENKUlT_T0_E_clISt17integral_constantIbLb1EES11_EEDaSW_SX_EUlSW_E_NS1_11comp_targetILNS1_3genE3ELNS1_11target_archE908ELNS1_3gpuE7ELNS1_3repE0EEENS1_30default_config_static_selectorELNS0_4arch9wavefront6targetE1EEEvT1_
                                        ; -- End function
	.section	.AMDGPU.csdata,"",@progbits
; Kernel info:
; codeLenInByte = 0
; NumSgprs: 6
; NumVgprs: 0
; NumAgprs: 0
; TotalNumVgprs: 0
; ScratchSize: 0
; MemoryBound: 0
; FloatMode: 240
; IeeeMode: 1
; LDSByteSize: 0 bytes/workgroup (compile time only)
; SGPRBlocks: 0
; VGPRBlocks: 0
; NumSGPRsForWavesPerEU: 6
; NumVGPRsForWavesPerEU: 1
; AccumOffset: 4
; Occupancy: 8
; WaveLimiterHint : 0
; COMPUTE_PGM_RSRC2:SCRATCH_EN: 0
; COMPUTE_PGM_RSRC2:USER_SGPR: 2
; COMPUTE_PGM_RSRC2:TRAP_HANDLER: 0
; COMPUTE_PGM_RSRC2:TGID_X_EN: 1
; COMPUTE_PGM_RSRC2:TGID_Y_EN: 0
; COMPUTE_PGM_RSRC2:TGID_Z_EN: 0
; COMPUTE_PGM_RSRC2:TIDIG_COMP_CNT: 0
; COMPUTE_PGM_RSRC3_GFX90A:ACCUM_OFFSET: 0
; COMPUTE_PGM_RSRC3_GFX90A:TG_SPLIT: 0
	.section	.text._ZN7rocprim17ROCPRIM_400000_NS6detail17trampoline_kernelINS0_14default_configENS1_27scan_by_key_config_selectorIifEEZZNS1_16scan_by_key_implILNS1_25lookback_scan_determinismE0ELb1ES3_N6thrust23THRUST_200600_302600_NS6detail15normal_iteratorINS9_10device_ptrIiEEEENSB_INSC_IfEEEESG_fNS9_4plusIvEENS9_8equal_toIvEEfEE10hipError_tPvRmT2_T3_T4_T5_mT6_T7_P12ihipStream_tbENKUlT_T0_E_clISt17integral_constantIbLb1EES11_EEDaSW_SX_EUlSW_E_NS1_11comp_targetILNS1_3genE2ELNS1_11target_archE906ELNS1_3gpuE6ELNS1_3repE0EEENS1_30default_config_static_selectorELNS0_4arch9wavefront6targetE1EEEvT1_,"axG",@progbits,_ZN7rocprim17ROCPRIM_400000_NS6detail17trampoline_kernelINS0_14default_configENS1_27scan_by_key_config_selectorIifEEZZNS1_16scan_by_key_implILNS1_25lookback_scan_determinismE0ELb1ES3_N6thrust23THRUST_200600_302600_NS6detail15normal_iteratorINS9_10device_ptrIiEEEENSB_INSC_IfEEEESG_fNS9_4plusIvEENS9_8equal_toIvEEfEE10hipError_tPvRmT2_T3_T4_T5_mT6_T7_P12ihipStream_tbENKUlT_T0_E_clISt17integral_constantIbLb1EES11_EEDaSW_SX_EUlSW_E_NS1_11comp_targetILNS1_3genE2ELNS1_11target_archE906ELNS1_3gpuE6ELNS1_3repE0EEENS1_30default_config_static_selectorELNS0_4arch9wavefront6targetE1EEEvT1_,comdat
	.protected	_ZN7rocprim17ROCPRIM_400000_NS6detail17trampoline_kernelINS0_14default_configENS1_27scan_by_key_config_selectorIifEEZZNS1_16scan_by_key_implILNS1_25lookback_scan_determinismE0ELb1ES3_N6thrust23THRUST_200600_302600_NS6detail15normal_iteratorINS9_10device_ptrIiEEEENSB_INSC_IfEEEESG_fNS9_4plusIvEENS9_8equal_toIvEEfEE10hipError_tPvRmT2_T3_T4_T5_mT6_T7_P12ihipStream_tbENKUlT_T0_E_clISt17integral_constantIbLb1EES11_EEDaSW_SX_EUlSW_E_NS1_11comp_targetILNS1_3genE2ELNS1_11target_archE906ELNS1_3gpuE6ELNS1_3repE0EEENS1_30default_config_static_selectorELNS0_4arch9wavefront6targetE1EEEvT1_ ; -- Begin function _ZN7rocprim17ROCPRIM_400000_NS6detail17trampoline_kernelINS0_14default_configENS1_27scan_by_key_config_selectorIifEEZZNS1_16scan_by_key_implILNS1_25lookback_scan_determinismE0ELb1ES3_N6thrust23THRUST_200600_302600_NS6detail15normal_iteratorINS9_10device_ptrIiEEEENSB_INSC_IfEEEESG_fNS9_4plusIvEENS9_8equal_toIvEEfEE10hipError_tPvRmT2_T3_T4_T5_mT6_T7_P12ihipStream_tbENKUlT_T0_E_clISt17integral_constantIbLb1EES11_EEDaSW_SX_EUlSW_E_NS1_11comp_targetILNS1_3genE2ELNS1_11target_archE906ELNS1_3gpuE6ELNS1_3repE0EEENS1_30default_config_static_selectorELNS0_4arch9wavefront6targetE1EEEvT1_
	.globl	_ZN7rocprim17ROCPRIM_400000_NS6detail17trampoline_kernelINS0_14default_configENS1_27scan_by_key_config_selectorIifEEZZNS1_16scan_by_key_implILNS1_25lookback_scan_determinismE0ELb1ES3_N6thrust23THRUST_200600_302600_NS6detail15normal_iteratorINS9_10device_ptrIiEEEENSB_INSC_IfEEEESG_fNS9_4plusIvEENS9_8equal_toIvEEfEE10hipError_tPvRmT2_T3_T4_T5_mT6_T7_P12ihipStream_tbENKUlT_T0_E_clISt17integral_constantIbLb1EES11_EEDaSW_SX_EUlSW_E_NS1_11comp_targetILNS1_3genE2ELNS1_11target_archE906ELNS1_3gpuE6ELNS1_3repE0EEENS1_30default_config_static_selectorELNS0_4arch9wavefront6targetE1EEEvT1_
	.p2align	8
	.type	_ZN7rocprim17ROCPRIM_400000_NS6detail17trampoline_kernelINS0_14default_configENS1_27scan_by_key_config_selectorIifEEZZNS1_16scan_by_key_implILNS1_25lookback_scan_determinismE0ELb1ES3_N6thrust23THRUST_200600_302600_NS6detail15normal_iteratorINS9_10device_ptrIiEEEENSB_INSC_IfEEEESG_fNS9_4plusIvEENS9_8equal_toIvEEfEE10hipError_tPvRmT2_T3_T4_T5_mT6_T7_P12ihipStream_tbENKUlT_T0_E_clISt17integral_constantIbLb1EES11_EEDaSW_SX_EUlSW_E_NS1_11comp_targetILNS1_3genE2ELNS1_11target_archE906ELNS1_3gpuE6ELNS1_3repE0EEENS1_30default_config_static_selectorELNS0_4arch9wavefront6targetE1EEEvT1_,@function
_ZN7rocprim17ROCPRIM_400000_NS6detail17trampoline_kernelINS0_14default_configENS1_27scan_by_key_config_selectorIifEEZZNS1_16scan_by_key_implILNS1_25lookback_scan_determinismE0ELb1ES3_N6thrust23THRUST_200600_302600_NS6detail15normal_iteratorINS9_10device_ptrIiEEEENSB_INSC_IfEEEESG_fNS9_4plusIvEENS9_8equal_toIvEEfEE10hipError_tPvRmT2_T3_T4_T5_mT6_T7_P12ihipStream_tbENKUlT_T0_E_clISt17integral_constantIbLb1EES11_EEDaSW_SX_EUlSW_E_NS1_11comp_targetILNS1_3genE2ELNS1_11target_archE906ELNS1_3gpuE6ELNS1_3repE0EEENS1_30default_config_static_selectorELNS0_4arch9wavefront6targetE1EEEvT1_: ; @_ZN7rocprim17ROCPRIM_400000_NS6detail17trampoline_kernelINS0_14default_configENS1_27scan_by_key_config_selectorIifEEZZNS1_16scan_by_key_implILNS1_25lookback_scan_determinismE0ELb1ES3_N6thrust23THRUST_200600_302600_NS6detail15normal_iteratorINS9_10device_ptrIiEEEENSB_INSC_IfEEEESG_fNS9_4plusIvEENS9_8equal_toIvEEfEE10hipError_tPvRmT2_T3_T4_T5_mT6_T7_P12ihipStream_tbENKUlT_T0_E_clISt17integral_constantIbLb1EES11_EEDaSW_SX_EUlSW_E_NS1_11comp_targetILNS1_3genE2ELNS1_11target_archE906ELNS1_3gpuE6ELNS1_3repE0EEENS1_30default_config_static_selectorELNS0_4arch9wavefront6targetE1EEEvT1_
; %bb.0:
	.section	.rodata,"a",@progbits
	.p2align	6, 0x0
	.amdhsa_kernel _ZN7rocprim17ROCPRIM_400000_NS6detail17trampoline_kernelINS0_14default_configENS1_27scan_by_key_config_selectorIifEEZZNS1_16scan_by_key_implILNS1_25lookback_scan_determinismE0ELb1ES3_N6thrust23THRUST_200600_302600_NS6detail15normal_iteratorINS9_10device_ptrIiEEEENSB_INSC_IfEEEESG_fNS9_4plusIvEENS9_8equal_toIvEEfEE10hipError_tPvRmT2_T3_T4_T5_mT6_T7_P12ihipStream_tbENKUlT_T0_E_clISt17integral_constantIbLb1EES11_EEDaSW_SX_EUlSW_E_NS1_11comp_targetILNS1_3genE2ELNS1_11target_archE906ELNS1_3gpuE6ELNS1_3repE0EEENS1_30default_config_static_selectorELNS0_4arch9wavefront6targetE1EEEvT1_
		.amdhsa_group_segment_fixed_size 0
		.amdhsa_private_segment_fixed_size 0
		.amdhsa_kernarg_size 112
		.amdhsa_user_sgpr_count 2
		.amdhsa_user_sgpr_dispatch_ptr 0
		.amdhsa_user_sgpr_queue_ptr 0
		.amdhsa_user_sgpr_kernarg_segment_ptr 1
		.amdhsa_user_sgpr_dispatch_id 0
		.amdhsa_user_sgpr_kernarg_preload_length 0
		.amdhsa_user_sgpr_kernarg_preload_offset 0
		.amdhsa_user_sgpr_private_segment_size 0
		.amdhsa_uses_dynamic_stack 0
		.amdhsa_enable_private_segment 0
		.amdhsa_system_sgpr_workgroup_id_x 1
		.amdhsa_system_sgpr_workgroup_id_y 0
		.amdhsa_system_sgpr_workgroup_id_z 0
		.amdhsa_system_sgpr_workgroup_info 0
		.amdhsa_system_vgpr_workitem_id 0
		.amdhsa_next_free_vgpr 1
		.amdhsa_next_free_sgpr 0
		.amdhsa_accum_offset 4
		.amdhsa_reserve_vcc 0
		.amdhsa_float_round_mode_32 0
		.amdhsa_float_round_mode_16_64 0
		.amdhsa_float_denorm_mode_32 3
		.amdhsa_float_denorm_mode_16_64 3
		.amdhsa_dx10_clamp 1
		.amdhsa_ieee_mode 1
		.amdhsa_fp16_overflow 0
		.amdhsa_tg_split 0
		.amdhsa_exception_fp_ieee_invalid_op 0
		.amdhsa_exception_fp_denorm_src 0
		.amdhsa_exception_fp_ieee_div_zero 0
		.amdhsa_exception_fp_ieee_overflow 0
		.amdhsa_exception_fp_ieee_underflow 0
		.amdhsa_exception_fp_ieee_inexact 0
		.amdhsa_exception_int_div_zero 0
	.end_amdhsa_kernel
	.section	.text._ZN7rocprim17ROCPRIM_400000_NS6detail17trampoline_kernelINS0_14default_configENS1_27scan_by_key_config_selectorIifEEZZNS1_16scan_by_key_implILNS1_25lookback_scan_determinismE0ELb1ES3_N6thrust23THRUST_200600_302600_NS6detail15normal_iteratorINS9_10device_ptrIiEEEENSB_INSC_IfEEEESG_fNS9_4plusIvEENS9_8equal_toIvEEfEE10hipError_tPvRmT2_T3_T4_T5_mT6_T7_P12ihipStream_tbENKUlT_T0_E_clISt17integral_constantIbLb1EES11_EEDaSW_SX_EUlSW_E_NS1_11comp_targetILNS1_3genE2ELNS1_11target_archE906ELNS1_3gpuE6ELNS1_3repE0EEENS1_30default_config_static_selectorELNS0_4arch9wavefront6targetE1EEEvT1_,"axG",@progbits,_ZN7rocprim17ROCPRIM_400000_NS6detail17trampoline_kernelINS0_14default_configENS1_27scan_by_key_config_selectorIifEEZZNS1_16scan_by_key_implILNS1_25lookback_scan_determinismE0ELb1ES3_N6thrust23THRUST_200600_302600_NS6detail15normal_iteratorINS9_10device_ptrIiEEEENSB_INSC_IfEEEESG_fNS9_4plusIvEENS9_8equal_toIvEEfEE10hipError_tPvRmT2_T3_T4_T5_mT6_T7_P12ihipStream_tbENKUlT_T0_E_clISt17integral_constantIbLb1EES11_EEDaSW_SX_EUlSW_E_NS1_11comp_targetILNS1_3genE2ELNS1_11target_archE906ELNS1_3gpuE6ELNS1_3repE0EEENS1_30default_config_static_selectorELNS0_4arch9wavefront6targetE1EEEvT1_,comdat
.Lfunc_end1441:
	.size	_ZN7rocprim17ROCPRIM_400000_NS6detail17trampoline_kernelINS0_14default_configENS1_27scan_by_key_config_selectorIifEEZZNS1_16scan_by_key_implILNS1_25lookback_scan_determinismE0ELb1ES3_N6thrust23THRUST_200600_302600_NS6detail15normal_iteratorINS9_10device_ptrIiEEEENSB_INSC_IfEEEESG_fNS9_4plusIvEENS9_8equal_toIvEEfEE10hipError_tPvRmT2_T3_T4_T5_mT6_T7_P12ihipStream_tbENKUlT_T0_E_clISt17integral_constantIbLb1EES11_EEDaSW_SX_EUlSW_E_NS1_11comp_targetILNS1_3genE2ELNS1_11target_archE906ELNS1_3gpuE6ELNS1_3repE0EEENS1_30default_config_static_selectorELNS0_4arch9wavefront6targetE1EEEvT1_, .Lfunc_end1441-_ZN7rocprim17ROCPRIM_400000_NS6detail17trampoline_kernelINS0_14default_configENS1_27scan_by_key_config_selectorIifEEZZNS1_16scan_by_key_implILNS1_25lookback_scan_determinismE0ELb1ES3_N6thrust23THRUST_200600_302600_NS6detail15normal_iteratorINS9_10device_ptrIiEEEENSB_INSC_IfEEEESG_fNS9_4plusIvEENS9_8equal_toIvEEfEE10hipError_tPvRmT2_T3_T4_T5_mT6_T7_P12ihipStream_tbENKUlT_T0_E_clISt17integral_constantIbLb1EES11_EEDaSW_SX_EUlSW_E_NS1_11comp_targetILNS1_3genE2ELNS1_11target_archE906ELNS1_3gpuE6ELNS1_3repE0EEENS1_30default_config_static_selectorELNS0_4arch9wavefront6targetE1EEEvT1_
                                        ; -- End function
	.section	.AMDGPU.csdata,"",@progbits
; Kernel info:
; codeLenInByte = 0
; NumSgprs: 6
; NumVgprs: 0
; NumAgprs: 0
; TotalNumVgprs: 0
; ScratchSize: 0
; MemoryBound: 0
; FloatMode: 240
; IeeeMode: 1
; LDSByteSize: 0 bytes/workgroup (compile time only)
; SGPRBlocks: 0
; VGPRBlocks: 0
; NumSGPRsForWavesPerEU: 6
; NumVGPRsForWavesPerEU: 1
; AccumOffset: 4
; Occupancy: 8
; WaveLimiterHint : 0
; COMPUTE_PGM_RSRC2:SCRATCH_EN: 0
; COMPUTE_PGM_RSRC2:USER_SGPR: 2
; COMPUTE_PGM_RSRC2:TRAP_HANDLER: 0
; COMPUTE_PGM_RSRC2:TGID_X_EN: 1
; COMPUTE_PGM_RSRC2:TGID_Y_EN: 0
; COMPUTE_PGM_RSRC2:TGID_Z_EN: 0
; COMPUTE_PGM_RSRC2:TIDIG_COMP_CNT: 0
; COMPUTE_PGM_RSRC3_GFX90A:ACCUM_OFFSET: 0
; COMPUTE_PGM_RSRC3_GFX90A:TG_SPLIT: 0
	.section	.text._ZN7rocprim17ROCPRIM_400000_NS6detail17trampoline_kernelINS0_14default_configENS1_27scan_by_key_config_selectorIifEEZZNS1_16scan_by_key_implILNS1_25lookback_scan_determinismE0ELb1ES3_N6thrust23THRUST_200600_302600_NS6detail15normal_iteratorINS9_10device_ptrIiEEEENSB_INSC_IfEEEESG_fNS9_4plusIvEENS9_8equal_toIvEEfEE10hipError_tPvRmT2_T3_T4_T5_mT6_T7_P12ihipStream_tbENKUlT_T0_E_clISt17integral_constantIbLb1EES11_EEDaSW_SX_EUlSW_E_NS1_11comp_targetILNS1_3genE10ELNS1_11target_archE1200ELNS1_3gpuE4ELNS1_3repE0EEENS1_30default_config_static_selectorELNS0_4arch9wavefront6targetE1EEEvT1_,"axG",@progbits,_ZN7rocprim17ROCPRIM_400000_NS6detail17trampoline_kernelINS0_14default_configENS1_27scan_by_key_config_selectorIifEEZZNS1_16scan_by_key_implILNS1_25lookback_scan_determinismE0ELb1ES3_N6thrust23THRUST_200600_302600_NS6detail15normal_iteratorINS9_10device_ptrIiEEEENSB_INSC_IfEEEESG_fNS9_4plusIvEENS9_8equal_toIvEEfEE10hipError_tPvRmT2_T3_T4_T5_mT6_T7_P12ihipStream_tbENKUlT_T0_E_clISt17integral_constantIbLb1EES11_EEDaSW_SX_EUlSW_E_NS1_11comp_targetILNS1_3genE10ELNS1_11target_archE1200ELNS1_3gpuE4ELNS1_3repE0EEENS1_30default_config_static_selectorELNS0_4arch9wavefront6targetE1EEEvT1_,comdat
	.protected	_ZN7rocprim17ROCPRIM_400000_NS6detail17trampoline_kernelINS0_14default_configENS1_27scan_by_key_config_selectorIifEEZZNS1_16scan_by_key_implILNS1_25lookback_scan_determinismE0ELb1ES3_N6thrust23THRUST_200600_302600_NS6detail15normal_iteratorINS9_10device_ptrIiEEEENSB_INSC_IfEEEESG_fNS9_4plusIvEENS9_8equal_toIvEEfEE10hipError_tPvRmT2_T3_T4_T5_mT6_T7_P12ihipStream_tbENKUlT_T0_E_clISt17integral_constantIbLb1EES11_EEDaSW_SX_EUlSW_E_NS1_11comp_targetILNS1_3genE10ELNS1_11target_archE1200ELNS1_3gpuE4ELNS1_3repE0EEENS1_30default_config_static_selectorELNS0_4arch9wavefront6targetE1EEEvT1_ ; -- Begin function _ZN7rocprim17ROCPRIM_400000_NS6detail17trampoline_kernelINS0_14default_configENS1_27scan_by_key_config_selectorIifEEZZNS1_16scan_by_key_implILNS1_25lookback_scan_determinismE0ELb1ES3_N6thrust23THRUST_200600_302600_NS6detail15normal_iteratorINS9_10device_ptrIiEEEENSB_INSC_IfEEEESG_fNS9_4plusIvEENS9_8equal_toIvEEfEE10hipError_tPvRmT2_T3_T4_T5_mT6_T7_P12ihipStream_tbENKUlT_T0_E_clISt17integral_constantIbLb1EES11_EEDaSW_SX_EUlSW_E_NS1_11comp_targetILNS1_3genE10ELNS1_11target_archE1200ELNS1_3gpuE4ELNS1_3repE0EEENS1_30default_config_static_selectorELNS0_4arch9wavefront6targetE1EEEvT1_
	.globl	_ZN7rocprim17ROCPRIM_400000_NS6detail17trampoline_kernelINS0_14default_configENS1_27scan_by_key_config_selectorIifEEZZNS1_16scan_by_key_implILNS1_25lookback_scan_determinismE0ELb1ES3_N6thrust23THRUST_200600_302600_NS6detail15normal_iteratorINS9_10device_ptrIiEEEENSB_INSC_IfEEEESG_fNS9_4plusIvEENS9_8equal_toIvEEfEE10hipError_tPvRmT2_T3_T4_T5_mT6_T7_P12ihipStream_tbENKUlT_T0_E_clISt17integral_constantIbLb1EES11_EEDaSW_SX_EUlSW_E_NS1_11comp_targetILNS1_3genE10ELNS1_11target_archE1200ELNS1_3gpuE4ELNS1_3repE0EEENS1_30default_config_static_selectorELNS0_4arch9wavefront6targetE1EEEvT1_
	.p2align	8
	.type	_ZN7rocprim17ROCPRIM_400000_NS6detail17trampoline_kernelINS0_14default_configENS1_27scan_by_key_config_selectorIifEEZZNS1_16scan_by_key_implILNS1_25lookback_scan_determinismE0ELb1ES3_N6thrust23THRUST_200600_302600_NS6detail15normal_iteratorINS9_10device_ptrIiEEEENSB_INSC_IfEEEESG_fNS9_4plusIvEENS9_8equal_toIvEEfEE10hipError_tPvRmT2_T3_T4_T5_mT6_T7_P12ihipStream_tbENKUlT_T0_E_clISt17integral_constantIbLb1EES11_EEDaSW_SX_EUlSW_E_NS1_11comp_targetILNS1_3genE10ELNS1_11target_archE1200ELNS1_3gpuE4ELNS1_3repE0EEENS1_30default_config_static_selectorELNS0_4arch9wavefront6targetE1EEEvT1_,@function
_ZN7rocprim17ROCPRIM_400000_NS6detail17trampoline_kernelINS0_14default_configENS1_27scan_by_key_config_selectorIifEEZZNS1_16scan_by_key_implILNS1_25lookback_scan_determinismE0ELb1ES3_N6thrust23THRUST_200600_302600_NS6detail15normal_iteratorINS9_10device_ptrIiEEEENSB_INSC_IfEEEESG_fNS9_4plusIvEENS9_8equal_toIvEEfEE10hipError_tPvRmT2_T3_T4_T5_mT6_T7_P12ihipStream_tbENKUlT_T0_E_clISt17integral_constantIbLb1EES11_EEDaSW_SX_EUlSW_E_NS1_11comp_targetILNS1_3genE10ELNS1_11target_archE1200ELNS1_3gpuE4ELNS1_3repE0EEENS1_30default_config_static_selectorELNS0_4arch9wavefront6targetE1EEEvT1_: ; @_ZN7rocprim17ROCPRIM_400000_NS6detail17trampoline_kernelINS0_14default_configENS1_27scan_by_key_config_selectorIifEEZZNS1_16scan_by_key_implILNS1_25lookback_scan_determinismE0ELb1ES3_N6thrust23THRUST_200600_302600_NS6detail15normal_iteratorINS9_10device_ptrIiEEEENSB_INSC_IfEEEESG_fNS9_4plusIvEENS9_8equal_toIvEEfEE10hipError_tPvRmT2_T3_T4_T5_mT6_T7_P12ihipStream_tbENKUlT_T0_E_clISt17integral_constantIbLb1EES11_EEDaSW_SX_EUlSW_E_NS1_11comp_targetILNS1_3genE10ELNS1_11target_archE1200ELNS1_3gpuE4ELNS1_3repE0EEENS1_30default_config_static_selectorELNS0_4arch9wavefront6targetE1EEEvT1_
; %bb.0:
	.section	.rodata,"a",@progbits
	.p2align	6, 0x0
	.amdhsa_kernel _ZN7rocprim17ROCPRIM_400000_NS6detail17trampoline_kernelINS0_14default_configENS1_27scan_by_key_config_selectorIifEEZZNS1_16scan_by_key_implILNS1_25lookback_scan_determinismE0ELb1ES3_N6thrust23THRUST_200600_302600_NS6detail15normal_iteratorINS9_10device_ptrIiEEEENSB_INSC_IfEEEESG_fNS9_4plusIvEENS9_8equal_toIvEEfEE10hipError_tPvRmT2_T3_T4_T5_mT6_T7_P12ihipStream_tbENKUlT_T0_E_clISt17integral_constantIbLb1EES11_EEDaSW_SX_EUlSW_E_NS1_11comp_targetILNS1_3genE10ELNS1_11target_archE1200ELNS1_3gpuE4ELNS1_3repE0EEENS1_30default_config_static_selectorELNS0_4arch9wavefront6targetE1EEEvT1_
		.amdhsa_group_segment_fixed_size 0
		.amdhsa_private_segment_fixed_size 0
		.amdhsa_kernarg_size 112
		.amdhsa_user_sgpr_count 2
		.amdhsa_user_sgpr_dispatch_ptr 0
		.amdhsa_user_sgpr_queue_ptr 0
		.amdhsa_user_sgpr_kernarg_segment_ptr 1
		.amdhsa_user_sgpr_dispatch_id 0
		.amdhsa_user_sgpr_kernarg_preload_length 0
		.amdhsa_user_sgpr_kernarg_preload_offset 0
		.amdhsa_user_sgpr_private_segment_size 0
		.amdhsa_uses_dynamic_stack 0
		.amdhsa_enable_private_segment 0
		.amdhsa_system_sgpr_workgroup_id_x 1
		.amdhsa_system_sgpr_workgroup_id_y 0
		.amdhsa_system_sgpr_workgroup_id_z 0
		.amdhsa_system_sgpr_workgroup_info 0
		.amdhsa_system_vgpr_workitem_id 0
		.amdhsa_next_free_vgpr 1
		.amdhsa_next_free_sgpr 0
		.amdhsa_accum_offset 4
		.amdhsa_reserve_vcc 0
		.amdhsa_float_round_mode_32 0
		.amdhsa_float_round_mode_16_64 0
		.amdhsa_float_denorm_mode_32 3
		.amdhsa_float_denorm_mode_16_64 3
		.amdhsa_dx10_clamp 1
		.amdhsa_ieee_mode 1
		.amdhsa_fp16_overflow 0
		.amdhsa_tg_split 0
		.amdhsa_exception_fp_ieee_invalid_op 0
		.amdhsa_exception_fp_denorm_src 0
		.amdhsa_exception_fp_ieee_div_zero 0
		.amdhsa_exception_fp_ieee_overflow 0
		.amdhsa_exception_fp_ieee_underflow 0
		.amdhsa_exception_fp_ieee_inexact 0
		.amdhsa_exception_int_div_zero 0
	.end_amdhsa_kernel
	.section	.text._ZN7rocprim17ROCPRIM_400000_NS6detail17trampoline_kernelINS0_14default_configENS1_27scan_by_key_config_selectorIifEEZZNS1_16scan_by_key_implILNS1_25lookback_scan_determinismE0ELb1ES3_N6thrust23THRUST_200600_302600_NS6detail15normal_iteratorINS9_10device_ptrIiEEEENSB_INSC_IfEEEESG_fNS9_4plusIvEENS9_8equal_toIvEEfEE10hipError_tPvRmT2_T3_T4_T5_mT6_T7_P12ihipStream_tbENKUlT_T0_E_clISt17integral_constantIbLb1EES11_EEDaSW_SX_EUlSW_E_NS1_11comp_targetILNS1_3genE10ELNS1_11target_archE1200ELNS1_3gpuE4ELNS1_3repE0EEENS1_30default_config_static_selectorELNS0_4arch9wavefront6targetE1EEEvT1_,"axG",@progbits,_ZN7rocprim17ROCPRIM_400000_NS6detail17trampoline_kernelINS0_14default_configENS1_27scan_by_key_config_selectorIifEEZZNS1_16scan_by_key_implILNS1_25lookback_scan_determinismE0ELb1ES3_N6thrust23THRUST_200600_302600_NS6detail15normal_iteratorINS9_10device_ptrIiEEEENSB_INSC_IfEEEESG_fNS9_4plusIvEENS9_8equal_toIvEEfEE10hipError_tPvRmT2_T3_T4_T5_mT6_T7_P12ihipStream_tbENKUlT_T0_E_clISt17integral_constantIbLb1EES11_EEDaSW_SX_EUlSW_E_NS1_11comp_targetILNS1_3genE10ELNS1_11target_archE1200ELNS1_3gpuE4ELNS1_3repE0EEENS1_30default_config_static_selectorELNS0_4arch9wavefront6targetE1EEEvT1_,comdat
.Lfunc_end1442:
	.size	_ZN7rocprim17ROCPRIM_400000_NS6detail17trampoline_kernelINS0_14default_configENS1_27scan_by_key_config_selectorIifEEZZNS1_16scan_by_key_implILNS1_25lookback_scan_determinismE0ELb1ES3_N6thrust23THRUST_200600_302600_NS6detail15normal_iteratorINS9_10device_ptrIiEEEENSB_INSC_IfEEEESG_fNS9_4plusIvEENS9_8equal_toIvEEfEE10hipError_tPvRmT2_T3_T4_T5_mT6_T7_P12ihipStream_tbENKUlT_T0_E_clISt17integral_constantIbLb1EES11_EEDaSW_SX_EUlSW_E_NS1_11comp_targetILNS1_3genE10ELNS1_11target_archE1200ELNS1_3gpuE4ELNS1_3repE0EEENS1_30default_config_static_selectorELNS0_4arch9wavefront6targetE1EEEvT1_, .Lfunc_end1442-_ZN7rocprim17ROCPRIM_400000_NS6detail17trampoline_kernelINS0_14default_configENS1_27scan_by_key_config_selectorIifEEZZNS1_16scan_by_key_implILNS1_25lookback_scan_determinismE0ELb1ES3_N6thrust23THRUST_200600_302600_NS6detail15normal_iteratorINS9_10device_ptrIiEEEENSB_INSC_IfEEEESG_fNS9_4plusIvEENS9_8equal_toIvEEfEE10hipError_tPvRmT2_T3_T4_T5_mT6_T7_P12ihipStream_tbENKUlT_T0_E_clISt17integral_constantIbLb1EES11_EEDaSW_SX_EUlSW_E_NS1_11comp_targetILNS1_3genE10ELNS1_11target_archE1200ELNS1_3gpuE4ELNS1_3repE0EEENS1_30default_config_static_selectorELNS0_4arch9wavefront6targetE1EEEvT1_
                                        ; -- End function
	.section	.AMDGPU.csdata,"",@progbits
; Kernel info:
; codeLenInByte = 0
; NumSgprs: 6
; NumVgprs: 0
; NumAgprs: 0
; TotalNumVgprs: 0
; ScratchSize: 0
; MemoryBound: 0
; FloatMode: 240
; IeeeMode: 1
; LDSByteSize: 0 bytes/workgroup (compile time only)
; SGPRBlocks: 0
; VGPRBlocks: 0
; NumSGPRsForWavesPerEU: 6
; NumVGPRsForWavesPerEU: 1
; AccumOffset: 4
; Occupancy: 8
; WaveLimiterHint : 0
; COMPUTE_PGM_RSRC2:SCRATCH_EN: 0
; COMPUTE_PGM_RSRC2:USER_SGPR: 2
; COMPUTE_PGM_RSRC2:TRAP_HANDLER: 0
; COMPUTE_PGM_RSRC2:TGID_X_EN: 1
; COMPUTE_PGM_RSRC2:TGID_Y_EN: 0
; COMPUTE_PGM_RSRC2:TGID_Z_EN: 0
; COMPUTE_PGM_RSRC2:TIDIG_COMP_CNT: 0
; COMPUTE_PGM_RSRC3_GFX90A:ACCUM_OFFSET: 0
; COMPUTE_PGM_RSRC3_GFX90A:TG_SPLIT: 0
	.section	.text._ZN7rocprim17ROCPRIM_400000_NS6detail17trampoline_kernelINS0_14default_configENS1_27scan_by_key_config_selectorIifEEZZNS1_16scan_by_key_implILNS1_25lookback_scan_determinismE0ELb1ES3_N6thrust23THRUST_200600_302600_NS6detail15normal_iteratorINS9_10device_ptrIiEEEENSB_INSC_IfEEEESG_fNS9_4plusIvEENS9_8equal_toIvEEfEE10hipError_tPvRmT2_T3_T4_T5_mT6_T7_P12ihipStream_tbENKUlT_T0_E_clISt17integral_constantIbLb1EES11_EEDaSW_SX_EUlSW_E_NS1_11comp_targetILNS1_3genE9ELNS1_11target_archE1100ELNS1_3gpuE3ELNS1_3repE0EEENS1_30default_config_static_selectorELNS0_4arch9wavefront6targetE1EEEvT1_,"axG",@progbits,_ZN7rocprim17ROCPRIM_400000_NS6detail17trampoline_kernelINS0_14default_configENS1_27scan_by_key_config_selectorIifEEZZNS1_16scan_by_key_implILNS1_25lookback_scan_determinismE0ELb1ES3_N6thrust23THRUST_200600_302600_NS6detail15normal_iteratorINS9_10device_ptrIiEEEENSB_INSC_IfEEEESG_fNS9_4plusIvEENS9_8equal_toIvEEfEE10hipError_tPvRmT2_T3_T4_T5_mT6_T7_P12ihipStream_tbENKUlT_T0_E_clISt17integral_constantIbLb1EES11_EEDaSW_SX_EUlSW_E_NS1_11comp_targetILNS1_3genE9ELNS1_11target_archE1100ELNS1_3gpuE3ELNS1_3repE0EEENS1_30default_config_static_selectorELNS0_4arch9wavefront6targetE1EEEvT1_,comdat
	.protected	_ZN7rocprim17ROCPRIM_400000_NS6detail17trampoline_kernelINS0_14default_configENS1_27scan_by_key_config_selectorIifEEZZNS1_16scan_by_key_implILNS1_25lookback_scan_determinismE0ELb1ES3_N6thrust23THRUST_200600_302600_NS6detail15normal_iteratorINS9_10device_ptrIiEEEENSB_INSC_IfEEEESG_fNS9_4plusIvEENS9_8equal_toIvEEfEE10hipError_tPvRmT2_T3_T4_T5_mT6_T7_P12ihipStream_tbENKUlT_T0_E_clISt17integral_constantIbLb1EES11_EEDaSW_SX_EUlSW_E_NS1_11comp_targetILNS1_3genE9ELNS1_11target_archE1100ELNS1_3gpuE3ELNS1_3repE0EEENS1_30default_config_static_selectorELNS0_4arch9wavefront6targetE1EEEvT1_ ; -- Begin function _ZN7rocprim17ROCPRIM_400000_NS6detail17trampoline_kernelINS0_14default_configENS1_27scan_by_key_config_selectorIifEEZZNS1_16scan_by_key_implILNS1_25lookback_scan_determinismE0ELb1ES3_N6thrust23THRUST_200600_302600_NS6detail15normal_iteratorINS9_10device_ptrIiEEEENSB_INSC_IfEEEESG_fNS9_4plusIvEENS9_8equal_toIvEEfEE10hipError_tPvRmT2_T3_T4_T5_mT6_T7_P12ihipStream_tbENKUlT_T0_E_clISt17integral_constantIbLb1EES11_EEDaSW_SX_EUlSW_E_NS1_11comp_targetILNS1_3genE9ELNS1_11target_archE1100ELNS1_3gpuE3ELNS1_3repE0EEENS1_30default_config_static_selectorELNS0_4arch9wavefront6targetE1EEEvT1_
	.globl	_ZN7rocprim17ROCPRIM_400000_NS6detail17trampoline_kernelINS0_14default_configENS1_27scan_by_key_config_selectorIifEEZZNS1_16scan_by_key_implILNS1_25lookback_scan_determinismE0ELb1ES3_N6thrust23THRUST_200600_302600_NS6detail15normal_iteratorINS9_10device_ptrIiEEEENSB_INSC_IfEEEESG_fNS9_4plusIvEENS9_8equal_toIvEEfEE10hipError_tPvRmT2_T3_T4_T5_mT6_T7_P12ihipStream_tbENKUlT_T0_E_clISt17integral_constantIbLb1EES11_EEDaSW_SX_EUlSW_E_NS1_11comp_targetILNS1_3genE9ELNS1_11target_archE1100ELNS1_3gpuE3ELNS1_3repE0EEENS1_30default_config_static_selectorELNS0_4arch9wavefront6targetE1EEEvT1_
	.p2align	8
	.type	_ZN7rocprim17ROCPRIM_400000_NS6detail17trampoline_kernelINS0_14default_configENS1_27scan_by_key_config_selectorIifEEZZNS1_16scan_by_key_implILNS1_25lookback_scan_determinismE0ELb1ES3_N6thrust23THRUST_200600_302600_NS6detail15normal_iteratorINS9_10device_ptrIiEEEENSB_INSC_IfEEEESG_fNS9_4plusIvEENS9_8equal_toIvEEfEE10hipError_tPvRmT2_T3_T4_T5_mT6_T7_P12ihipStream_tbENKUlT_T0_E_clISt17integral_constantIbLb1EES11_EEDaSW_SX_EUlSW_E_NS1_11comp_targetILNS1_3genE9ELNS1_11target_archE1100ELNS1_3gpuE3ELNS1_3repE0EEENS1_30default_config_static_selectorELNS0_4arch9wavefront6targetE1EEEvT1_,@function
_ZN7rocprim17ROCPRIM_400000_NS6detail17trampoline_kernelINS0_14default_configENS1_27scan_by_key_config_selectorIifEEZZNS1_16scan_by_key_implILNS1_25lookback_scan_determinismE0ELb1ES3_N6thrust23THRUST_200600_302600_NS6detail15normal_iteratorINS9_10device_ptrIiEEEENSB_INSC_IfEEEESG_fNS9_4plusIvEENS9_8equal_toIvEEfEE10hipError_tPvRmT2_T3_T4_T5_mT6_T7_P12ihipStream_tbENKUlT_T0_E_clISt17integral_constantIbLb1EES11_EEDaSW_SX_EUlSW_E_NS1_11comp_targetILNS1_3genE9ELNS1_11target_archE1100ELNS1_3gpuE3ELNS1_3repE0EEENS1_30default_config_static_selectorELNS0_4arch9wavefront6targetE1EEEvT1_: ; @_ZN7rocprim17ROCPRIM_400000_NS6detail17trampoline_kernelINS0_14default_configENS1_27scan_by_key_config_selectorIifEEZZNS1_16scan_by_key_implILNS1_25lookback_scan_determinismE0ELb1ES3_N6thrust23THRUST_200600_302600_NS6detail15normal_iteratorINS9_10device_ptrIiEEEENSB_INSC_IfEEEESG_fNS9_4plusIvEENS9_8equal_toIvEEfEE10hipError_tPvRmT2_T3_T4_T5_mT6_T7_P12ihipStream_tbENKUlT_T0_E_clISt17integral_constantIbLb1EES11_EEDaSW_SX_EUlSW_E_NS1_11comp_targetILNS1_3genE9ELNS1_11target_archE1100ELNS1_3gpuE3ELNS1_3repE0EEENS1_30default_config_static_selectorELNS0_4arch9wavefront6targetE1EEEvT1_
; %bb.0:
	.section	.rodata,"a",@progbits
	.p2align	6, 0x0
	.amdhsa_kernel _ZN7rocprim17ROCPRIM_400000_NS6detail17trampoline_kernelINS0_14default_configENS1_27scan_by_key_config_selectorIifEEZZNS1_16scan_by_key_implILNS1_25lookback_scan_determinismE0ELb1ES3_N6thrust23THRUST_200600_302600_NS6detail15normal_iteratorINS9_10device_ptrIiEEEENSB_INSC_IfEEEESG_fNS9_4plusIvEENS9_8equal_toIvEEfEE10hipError_tPvRmT2_T3_T4_T5_mT6_T7_P12ihipStream_tbENKUlT_T0_E_clISt17integral_constantIbLb1EES11_EEDaSW_SX_EUlSW_E_NS1_11comp_targetILNS1_3genE9ELNS1_11target_archE1100ELNS1_3gpuE3ELNS1_3repE0EEENS1_30default_config_static_selectorELNS0_4arch9wavefront6targetE1EEEvT1_
		.amdhsa_group_segment_fixed_size 0
		.amdhsa_private_segment_fixed_size 0
		.amdhsa_kernarg_size 112
		.amdhsa_user_sgpr_count 2
		.amdhsa_user_sgpr_dispatch_ptr 0
		.amdhsa_user_sgpr_queue_ptr 0
		.amdhsa_user_sgpr_kernarg_segment_ptr 1
		.amdhsa_user_sgpr_dispatch_id 0
		.amdhsa_user_sgpr_kernarg_preload_length 0
		.amdhsa_user_sgpr_kernarg_preload_offset 0
		.amdhsa_user_sgpr_private_segment_size 0
		.amdhsa_uses_dynamic_stack 0
		.amdhsa_enable_private_segment 0
		.amdhsa_system_sgpr_workgroup_id_x 1
		.amdhsa_system_sgpr_workgroup_id_y 0
		.amdhsa_system_sgpr_workgroup_id_z 0
		.amdhsa_system_sgpr_workgroup_info 0
		.amdhsa_system_vgpr_workitem_id 0
		.amdhsa_next_free_vgpr 1
		.amdhsa_next_free_sgpr 0
		.amdhsa_accum_offset 4
		.amdhsa_reserve_vcc 0
		.amdhsa_float_round_mode_32 0
		.amdhsa_float_round_mode_16_64 0
		.amdhsa_float_denorm_mode_32 3
		.amdhsa_float_denorm_mode_16_64 3
		.amdhsa_dx10_clamp 1
		.amdhsa_ieee_mode 1
		.amdhsa_fp16_overflow 0
		.amdhsa_tg_split 0
		.amdhsa_exception_fp_ieee_invalid_op 0
		.amdhsa_exception_fp_denorm_src 0
		.amdhsa_exception_fp_ieee_div_zero 0
		.amdhsa_exception_fp_ieee_overflow 0
		.amdhsa_exception_fp_ieee_underflow 0
		.amdhsa_exception_fp_ieee_inexact 0
		.amdhsa_exception_int_div_zero 0
	.end_amdhsa_kernel
	.section	.text._ZN7rocprim17ROCPRIM_400000_NS6detail17trampoline_kernelINS0_14default_configENS1_27scan_by_key_config_selectorIifEEZZNS1_16scan_by_key_implILNS1_25lookback_scan_determinismE0ELb1ES3_N6thrust23THRUST_200600_302600_NS6detail15normal_iteratorINS9_10device_ptrIiEEEENSB_INSC_IfEEEESG_fNS9_4plusIvEENS9_8equal_toIvEEfEE10hipError_tPvRmT2_T3_T4_T5_mT6_T7_P12ihipStream_tbENKUlT_T0_E_clISt17integral_constantIbLb1EES11_EEDaSW_SX_EUlSW_E_NS1_11comp_targetILNS1_3genE9ELNS1_11target_archE1100ELNS1_3gpuE3ELNS1_3repE0EEENS1_30default_config_static_selectorELNS0_4arch9wavefront6targetE1EEEvT1_,"axG",@progbits,_ZN7rocprim17ROCPRIM_400000_NS6detail17trampoline_kernelINS0_14default_configENS1_27scan_by_key_config_selectorIifEEZZNS1_16scan_by_key_implILNS1_25lookback_scan_determinismE0ELb1ES3_N6thrust23THRUST_200600_302600_NS6detail15normal_iteratorINS9_10device_ptrIiEEEENSB_INSC_IfEEEESG_fNS9_4plusIvEENS9_8equal_toIvEEfEE10hipError_tPvRmT2_T3_T4_T5_mT6_T7_P12ihipStream_tbENKUlT_T0_E_clISt17integral_constantIbLb1EES11_EEDaSW_SX_EUlSW_E_NS1_11comp_targetILNS1_3genE9ELNS1_11target_archE1100ELNS1_3gpuE3ELNS1_3repE0EEENS1_30default_config_static_selectorELNS0_4arch9wavefront6targetE1EEEvT1_,comdat
.Lfunc_end1443:
	.size	_ZN7rocprim17ROCPRIM_400000_NS6detail17trampoline_kernelINS0_14default_configENS1_27scan_by_key_config_selectorIifEEZZNS1_16scan_by_key_implILNS1_25lookback_scan_determinismE0ELb1ES3_N6thrust23THRUST_200600_302600_NS6detail15normal_iteratorINS9_10device_ptrIiEEEENSB_INSC_IfEEEESG_fNS9_4plusIvEENS9_8equal_toIvEEfEE10hipError_tPvRmT2_T3_T4_T5_mT6_T7_P12ihipStream_tbENKUlT_T0_E_clISt17integral_constantIbLb1EES11_EEDaSW_SX_EUlSW_E_NS1_11comp_targetILNS1_3genE9ELNS1_11target_archE1100ELNS1_3gpuE3ELNS1_3repE0EEENS1_30default_config_static_selectorELNS0_4arch9wavefront6targetE1EEEvT1_, .Lfunc_end1443-_ZN7rocprim17ROCPRIM_400000_NS6detail17trampoline_kernelINS0_14default_configENS1_27scan_by_key_config_selectorIifEEZZNS1_16scan_by_key_implILNS1_25lookback_scan_determinismE0ELb1ES3_N6thrust23THRUST_200600_302600_NS6detail15normal_iteratorINS9_10device_ptrIiEEEENSB_INSC_IfEEEESG_fNS9_4plusIvEENS9_8equal_toIvEEfEE10hipError_tPvRmT2_T3_T4_T5_mT6_T7_P12ihipStream_tbENKUlT_T0_E_clISt17integral_constantIbLb1EES11_EEDaSW_SX_EUlSW_E_NS1_11comp_targetILNS1_3genE9ELNS1_11target_archE1100ELNS1_3gpuE3ELNS1_3repE0EEENS1_30default_config_static_selectorELNS0_4arch9wavefront6targetE1EEEvT1_
                                        ; -- End function
	.section	.AMDGPU.csdata,"",@progbits
; Kernel info:
; codeLenInByte = 0
; NumSgprs: 6
; NumVgprs: 0
; NumAgprs: 0
; TotalNumVgprs: 0
; ScratchSize: 0
; MemoryBound: 0
; FloatMode: 240
; IeeeMode: 1
; LDSByteSize: 0 bytes/workgroup (compile time only)
; SGPRBlocks: 0
; VGPRBlocks: 0
; NumSGPRsForWavesPerEU: 6
; NumVGPRsForWavesPerEU: 1
; AccumOffset: 4
; Occupancy: 8
; WaveLimiterHint : 0
; COMPUTE_PGM_RSRC2:SCRATCH_EN: 0
; COMPUTE_PGM_RSRC2:USER_SGPR: 2
; COMPUTE_PGM_RSRC2:TRAP_HANDLER: 0
; COMPUTE_PGM_RSRC2:TGID_X_EN: 1
; COMPUTE_PGM_RSRC2:TGID_Y_EN: 0
; COMPUTE_PGM_RSRC2:TGID_Z_EN: 0
; COMPUTE_PGM_RSRC2:TIDIG_COMP_CNT: 0
; COMPUTE_PGM_RSRC3_GFX90A:ACCUM_OFFSET: 0
; COMPUTE_PGM_RSRC3_GFX90A:TG_SPLIT: 0
	.section	.text._ZN7rocprim17ROCPRIM_400000_NS6detail17trampoline_kernelINS0_14default_configENS1_27scan_by_key_config_selectorIifEEZZNS1_16scan_by_key_implILNS1_25lookback_scan_determinismE0ELb1ES3_N6thrust23THRUST_200600_302600_NS6detail15normal_iteratorINS9_10device_ptrIiEEEENSB_INSC_IfEEEESG_fNS9_4plusIvEENS9_8equal_toIvEEfEE10hipError_tPvRmT2_T3_T4_T5_mT6_T7_P12ihipStream_tbENKUlT_T0_E_clISt17integral_constantIbLb1EES11_EEDaSW_SX_EUlSW_E_NS1_11comp_targetILNS1_3genE8ELNS1_11target_archE1030ELNS1_3gpuE2ELNS1_3repE0EEENS1_30default_config_static_selectorELNS0_4arch9wavefront6targetE1EEEvT1_,"axG",@progbits,_ZN7rocprim17ROCPRIM_400000_NS6detail17trampoline_kernelINS0_14default_configENS1_27scan_by_key_config_selectorIifEEZZNS1_16scan_by_key_implILNS1_25lookback_scan_determinismE0ELb1ES3_N6thrust23THRUST_200600_302600_NS6detail15normal_iteratorINS9_10device_ptrIiEEEENSB_INSC_IfEEEESG_fNS9_4plusIvEENS9_8equal_toIvEEfEE10hipError_tPvRmT2_T3_T4_T5_mT6_T7_P12ihipStream_tbENKUlT_T0_E_clISt17integral_constantIbLb1EES11_EEDaSW_SX_EUlSW_E_NS1_11comp_targetILNS1_3genE8ELNS1_11target_archE1030ELNS1_3gpuE2ELNS1_3repE0EEENS1_30default_config_static_selectorELNS0_4arch9wavefront6targetE1EEEvT1_,comdat
	.protected	_ZN7rocprim17ROCPRIM_400000_NS6detail17trampoline_kernelINS0_14default_configENS1_27scan_by_key_config_selectorIifEEZZNS1_16scan_by_key_implILNS1_25lookback_scan_determinismE0ELb1ES3_N6thrust23THRUST_200600_302600_NS6detail15normal_iteratorINS9_10device_ptrIiEEEENSB_INSC_IfEEEESG_fNS9_4plusIvEENS9_8equal_toIvEEfEE10hipError_tPvRmT2_T3_T4_T5_mT6_T7_P12ihipStream_tbENKUlT_T0_E_clISt17integral_constantIbLb1EES11_EEDaSW_SX_EUlSW_E_NS1_11comp_targetILNS1_3genE8ELNS1_11target_archE1030ELNS1_3gpuE2ELNS1_3repE0EEENS1_30default_config_static_selectorELNS0_4arch9wavefront6targetE1EEEvT1_ ; -- Begin function _ZN7rocprim17ROCPRIM_400000_NS6detail17trampoline_kernelINS0_14default_configENS1_27scan_by_key_config_selectorIifEEZZNS1_16scan_by_key_implILNS1_25lookback_scan_determinismE0ELb1ES3_N6thrust23THRUST_200600_302600_NS6detail15normal_iteratorINS9_10device_ptrIiEEEENSB_INSC_IfEEEESG_fNS9_4plusIvEENS9_8equal_toIvEEfEE10hipError_tPvRmT2_T3_T4_T5_mT6_T7_P12ihipStream_tbENKUlT_T0_E_clISt17integral_constantIbLb1EES11_EEDaSW_SX_EUlSW_E_NS1_11comp_targetILNS1_3genE8ELNS1_11target_archE1030ELNS1_3gpuE2ELNS1_3repE0EEENS1_30default_config_static_selectorELNS0_4arch9wavefront6targetE1EEEvT1_
	.globl	_ZN7rocprim17ROCPRIM_400000_NS6detail17trampoline_kernelINS0_14default_configENS1_27scan_by_key_config_selectorIifEEZZNS1_16scan_by_key_implILNS1_25lookback_scan_determinismE0ELb1ES3_N6thrust23THRUST_200600_302600_NS6detail15normal_iteratorINS9_10device_ptrIiEEEENSB_INSC_IfEEEESG_fNS9_4plusIvEENS9_8equal_toIvEEfEE10hipError_tPvRmT2_T3_T4_T5_mT6_T7_P12ihipStream_tbENKUlT_T0_E_clISt17integral_constantIbLb1EES11_EEDaSW_SX_EUlSW_E_NS1_11comp_targetILNS1_3genE8ELNS1_11target_archE1030ELNS1_3gpuE2ELNS1_3repE0EEENS1_30default_config_static_selectorELNS0_4arch9wavefront6targetE1EEEvT1_
	.p2align	8
	.type	_ZN7rocprim17ROCPRIM_400000_NS6detail17trampoline_kernelINS0_14default_configENS1_27scan_by_key_config_selectorIifEEZZNS1_16scan_by_key_implILNS1_25lookback_scan_determinismE0ELb1ES3_N6thrust23THRUST_200600_302600_NS6detail15normal_iteratorINS9_10device_ptrIiEEEENSB_INSC_IfEEEESG_fNS9_4plusIvEENS9_8equal_toIvEEfEE10hipError_tPvRmT2_T3_T4_T5_mT6_T7_P12ihipStream_tbENKUlT_T0_E_clISt17integral_constantIbLb1EES11_EEDaSW_SX_EUlSW_E_NS1_11comp_targetILNS1_3genE8ELNS1_11target_archE1030ELNS1_3gpuE2ELNS1_3repE0EEENS1_30default_config_static_selectorELNS0_4arch9wavefront6targetE1EEEvT1_,@function
_ZN7rocprim17ROCPRIM_400000_NS6detail17trampoline_kernelINS0_14default_configENS1_27scan_by_key_config_selectorIifEEZZNS1_16scan_by_key_implILNS1_25lookback_scan_determinismE0ELb1ES3_N6thrust23THRUST_200600_302600_NS6detail15normal_iteratorINS9_10device_ptrIiEEEENSB_INSC_IfEEEESG_fNS9_4plusIvEENS9_8equal_toIvEEfEE10hipError_tPvRmT2_T3_T4_T5_mT6_T7_P12ihipStream_tbENKUlT_T0_E_clISt17integral_constantIbLb1EES11_EEDaSW_SX_EUlSW_E_NS1_11comp_targetILNS1_3genE8ELNS1_11target_archE1030ELNS1_3gpuE2ELNS1_3repE0EEENS1_30default_config_static_selectorELNS0_4arch9wavefront6targetE1EEEvT1_: ; @_ZN7rocprim17ROCPRIM_400000_NS6detail17trampoline_kernelINS0_14default_configENS1_27scan_by_key_config_selectorIifEEZZNS1_16scan_by_key_implILNS1_25lookback_scan_determinismE0ELb1ES3_N6thrust23THRUST_200600_302600_NS6detail15normal_iteratorINS9_10device_ptrIiEEEENSB_INSC_IfEEEESG_fNS9_4plusIvEENS9_8equal_toIvEEfEE10hipError_tPvRmT2_T3_T4_T5_mT6_T7_P12ihipStream_tbENKUlT_T0_E_clISt17integral_constantIbLb1EES11_EEDaSW_SX_EUlSW_E_NS1_11comp_targetILNS1_3genE8ELNS1_11target_archE1030ELNS1_3gpuE2ELNS1_3repE0EEENS1_30default_config_static_selectorELNS0_4arch9wavefront6targetE1EEEvT1_
; %bb.0:
	.section	.rodata,"a",@progbits
	.p2align	6, 0x0
	.amdhsa_kernel _ZN7rocprim17ROCPRIM_400000_NS6detail17trampoline_kernelINS0_14default_configENS1_27scan_by_key_config_selectorIifEEZZNS1_16scan_by_key_implILNS1_25lookback_scan_determinismE0ELb1ES3_N6thrust23THRUST_200600_302600_NS6detail15normal_iteratorINS9_10device_ptrIiEEEENSB_INSC_IfEEEESG_fNS9_4plusIvEENS9_8equal_toIvEEfEE10hipError_tPvRmT2_T3_T4_T5_mT6_T7_P12ihipStream_tbENKUlT_T0_E_clISt17integral_constantIbLb1EES11_EEDaSW_SX_EUlSW_E_NS1_11comp_targetILNS1_3genE8ELNS1_11target_archE1030ELNS1_3gpuE2ELNS1_3repE0EEENS1_30default_config_static_selectorELNS0_4arch9wavefront6targetE1EEEvT1_
		.amdhsa_group_segment_fixed_size 0
		.amdhsa_private_segment_fixed_size 0
		.amdhsa_kernarg_size 112
		.amdhsa_user_sgpr_count 2
		.amdhsa_user_sgpr_dispatch_ptr 0
		.amdhsa_user_sgpr_queue_ptr 0
		.amdhsa_user_sgpr_kernarg_segment_ptr 1
		.amdhsa_user_sgpr_dispatch_id 0
		.amdhsa_user_sgpr_kernarg_preload_length 0
		.amdhsa_user_sgpr_kernarg_preload_offset 0
		.amdhsa_user_sgpr_private_segment_size 0
		.amdhsa_uses_dynamic_stack 0
		.amdhsa_enable_private_segment 0
		.amdhsa_system_sgpr_workgroup_id_x 1
		.amdhsa_system_sgpr_workgroup_id_y 0
		.amdhsa_system_sgpr_workgroup_id_z 0
		.amdhsa_system_sgpr_workgroup_info 0
		.amdhsa_system_vgpr_workitem_id 0
		.amdhsa_next_free_vgpr 1
		.amdhsa_next_free_sgpr 0
		.amdhsa_accum_offset 4
		.amdhsa_reserve_vcc 0
		.amdhsa_float_round_mode_32 0
		.amdhsa_float_round_mode_16_64 0
		.amdhsa_float_denorm_mode_32 3
		.amdhsa_float_denorm_mode_16_64 3
		.amdhsa_dx10_clamp 1
		.amdhsa_ieee_mode 1
		.amdhsa_fp16_overflow 0
		.amdhsa_tg_split 0
		.amdhsa_exception_fp_ieee_invalid_op 0
		.amdhsa_exception_fp_denorm_src 0
		.amdhsa_exception_fp_ieee_div_zero 0
		.amdhsa_exception_fp_ieee_overflow 0
		.amdhsa_exception_fp_ieee_underflow 0
		.amdhsa_exception_fp_ieee_inexact 0
		.amdhsa_exception_int_div_zero 0
	.end_amdhsa_kernel
	.section	.text._ZN7rocprim17ROCPRIM_400000_NS6detail17trampoline_kernelINS0_14default_configENS1_27scan_by_key_config_selectorIifEEZZNS1_16scan_by_key_implILNS1_25lookback_scan_determinismE0ELb1ES3_N6thrust23THRUST_200600_302600_NS6detail15normal_iteratorINS9_10device_ptrIiEEEENSB_INSC_IfEEEESG_fNS9_4plusIvEENS9_8equal_toIvEEfEE10hipError_tPvRmT2_T3_T4_T5_mT6_T7_P12ihipStream_tbENKUlT_T0_E_clISt17integral_constantIbLb1EES11_EEDaSW_SX_EUlSW_E_NS1_11comp_targetILNS1_3genE8ELNS1_11target_archE1030ELNS1_3gpuE2ELNS1_3repE0EEENS1_30default_config_static_selectorELNS0_4arch9wavefront6targetE1EEEvT1_,"axG",@progbits,_ZN7rocprim17ROCPRIM_400000_NS6detail17trampoline_kernelINS0_14default_configENS1_27scan_by_key_config_selectorIifEEZZNS1_16scan_by_key_implILNS1_25lookback_scan_determinismE0ELb1ES3_N6thrust23THRUST_200600_302600_NS6detail15normal_iteratorINS9_10device_ptrIiEEEENSB_INSC_IfEEEESG_fNS9_4plusIvEENS9_8equal_toIvEEfEE10hipError_tPvRmT2_T3_T4_T5_mT6_T7_P12ihipStream_tbENKUlT_T0_E_clISt17integral_constantIbLb1EES11_EEDaSW_SX_EUlSW_E_NS1_11comp_targetILNS1_3genE8ELNS1_11target_archE1030ELNS1_3gpuE2ELNS1_3repE0EEENS1_30default_config_static_selectorELNS0_4arch9wavefront6targetE1EEEvT1_,comdat
.Lfunc_end1444:
	.size	_ZN7rocprim17ROCPRIM_400000_NS6detail17trampoline_kernelINS0_14default_configENS1_27scan_by_key_config_selectorIifEEZZNS1_16scan_by_key_implILNS1_25lookback_scan_determinismE0ELb1ES3_N6thrust23THRUST_200600_302600_NS6detail15normal_iteratorINS9_10device_ptrIiEEEENSB_INSC_IfEEEESG_fNS9_4plusIvEENS9_8equal_toIvEEfEE10hipError_tPvRmT2_T3_T4_T5_mT6_T7_P12ihipStream_tbENKUlT_T0_E_clISt17integral_constantIbLb1EES11_EEDaSW_SX_EUlSW_E_NS1_11comp_targetILNS1_3genE8ELNS1_11target_archE1030ELNS1_3gpuE2ELNS1_3repE0EEENS1_30default_config_static_selectorELNS0_4arch9wavefront6targetE1EEEvT1_, .Lfunc_end1444-_ZN7rocprim17ROCPRIM_400000_NS6detail17trampoline_kernelINS0_14default_configENS1_27scan_by_key_config_selectorIifEEZZNS1_16scan_by_key_implILNS1_25lookback_scan_determinismE0ELb1ES3_N6thrust23THRUST_200600_302600_NS6detail15normal_iteratorINS9_10device_ptrIiEEEENSB_INSC_IfEEEESG_fNS9_4plusIvEENS9_8equal_toIvEEfEE10hipError_tPvRmT2_T3_T4_T5_mT6_T7_P12ihipStream_tbENKUlT_T0_E_clISt17integral_constantIbLb1EES11_EEDaSW_SX_EUlSW_E_NS1_11comp_targetILNS1_3genE8ELNS1_11target_archE1030ELNS1_3gpuE2ELNS1_3repE0EEENS1_30default_config_static_selectorELNS0_4arch9wavefront6targetE1EEEvT1_
                                        ; -- End function
	.section	.AMDGPU.csdata,"",@progbits
; Kernel info:
; codeLenInByte = 0
; NumSgprs: 6
; NumVgprs: 0
; NumAgprs: 0
; TotalNumVgprs: 0
; ScratchSize: 0
; MemoryBound: 0
; FloatMode: 240
; IeeeMode: 1
; LDSByteSize: 0 bytes/workgroup (compile time only)
; SGPRBlocks: 0
; VGPRBlocks: 0
; NumSGPRsForWavesPerEU: 6
; NumVGPRsForWavesPerEU: 1
; AccumOffset: 4
; Occupancy: 8
; WaveLimiterHint : 0
; COMPUTE_PGM_RSRC2:SCRATCH_EN: 0
; COMPUTE_PGM_RSRC2:USER_SGPR: 2
; COMPUTE_PGM_RSRC2:TRAP_HANDLER: 0
; COMPUTE_PGM_RSRC2:TGID_X_EN: 1
; COMPUTE_PGM_RSRC2:TGID_Y_EN: 0
; COMPUTE_PGM_RSRC2:TGID_Z_EN: 0
; COMPUTE_PGM_RSRC2:TIDIG_COMP_CNT: 0
; COMPUTE_PGM_RSRC3_GFX90A:ACCUM_OFFSET: 0
; COMPUTE_PGM_RSRC3_GFX90A:TG_SPLIT: 0
	.section	.text._ZN7rocprim17ROCPRIM_400000_NS6detail17trampoline_kernelINS0_14default_configENS1_27scan_by_key_config_selectorIifEEZZNS1_16scan_by_key_implILNS1_25lookback_scan_determinismE0ELb1ES3_N6thrust23THRUST_200600_302600_NS6detail15normal_iteratorINS9_10device_ptrIiEEEENSB_INSC_IfEEEESG_fNS9_4plusIvEENS9_8equal_toIvEEfEE10hipError_tPvRmT2_T3_T4_T5_mT6_T7_P12ihipStream_tbENKUlT_T0_E_clISt17integral_constantIbLb1EES10_IbLb0EEEEDaSW_SX_EUlSW_E_NS1_11comp_targetILNS1_3genE0ELNS1_11target_archE4294967295ELNS1_3gpuE0ELNS1_3repE0EEENS1_30default_config_static_selectorELNS0_4arch9wavefront6targetE1EEEvT1_,"axG",@progbits,_ZN7rocprim17ROCPRIM_400000_NS6detail17trampoline_kernelINS0_14default_configENS1_27scan_by_key_config_selectorIifEEZZNS1_16scan_by_key_implILNS1_25lookback_scan_determinismE0ELb1ES3_N6thrust23THRUST_200600_302600_NS6detail15normal_iteratorINS9_10device_ptrIiEEEENSB_INSC_IfEEEESG_fNS9_4plusIvEENS9_8equal_toIvEEfEE10hipError_tPvRmT2_T3_T4_T5_mT6_T7_P12ihipStream_tbENKUlT_T0_E_clISt17integral_constantIbLb1EES10_IbLb0EEEEDaSW_SX_EUlSW_E_NS1_11comp_targetILNS1_3genE0ELNS1_11target_archE4294967295ELNS1_3gpuE0ELNS1_3repE0EEENS1_30default_config_static_selectorELNS0_4arch9wavefront6targetE1EEEvT1_,comdat
	.protected	_ZN7rocprim17ROCPRIM_400000_NS6detail17trampoline_kernelINS0_14default_configENS1_27scan_by_key_config_selectorIifEEZZNS1_16scan_by_key_implILNS1_25lookback_scan_determinismE0ELb1ES3_N6thrust23THRUST_200600_302600_NS6detail15normal_iteratorINS9_10device_ptrIiEEEENSB_INSC_IfEEEESG_fNS9_4plusIvEENS9_8equal_toIvEEfEE10hipError_tPvRmT2_T3_T4_T5_mT6_T7_P12ihipStream_tbENKUlT_T0_E_clISt17integral_constantIbLb1EES10_IbLb0EEEEDaSW_SX_EUlSW_E_NS1_11comp_targetILNS1_3genE0ELNS1_11target_archE4294967295ELNS1_3gpuE0ELNS1_3repE0EEENS1_30default_config_static_selectorELNS0_4arch9wavefront6targetE1EEEvT1_ ; -- Begin function _ZN7rocprim17ROCPRIM_400000_NS6detail17trampoline_kernelINS0_14default_configENS1_27scan_by_key_config_selectorIifEEZZNS1_16scan_by_key_implILNS1_25lookback_scan_determinismE0ELb1ES3_N6thrust23THRUST_200600_302600_NS6detail15normal_iteratorINS9_10device_ptrIiEEEENSB_INSC_IfEEEESG_fNS9_4plusIvEENS9_8equal_toIvEEfEE10hipError_tPvRmT2_T3_T4_T5_mT6_T7_P12ihipStream_tbENKUlT_T0_E_clISt17integral_constantIbLb1EES10_IbLb0EEEEDaSW_SX_EUlSW_E_NS1_11comp_targetILNS1_3genE0ELNS1_11target_archE4294967295ELNS1_3gpuE0ELNS1_3repE0EEENS1_30default_config_static_selectorELNS0_4arch9wavefront6targetE1EEEvT1_
	.globl	_ZN7rocprim17ROCPRIM_400000_NS6detail17trampoline_kernelINS0_14default_configENS1_27scan_by_key_config_selectorIifEEZZNS1_16scan_by_key_implILNS1_25lookback_scan_determinismE0ELb1ES3_N6thrust23THRUST_200600_302600_NS6detail15normal_iteratorINS9_10device_ptrIiEEEENSB_INSC_IfEEEESG_fNS9_4plusIvEENS9_8equal_toIvEEfEE10hipError_tPvRmT2_T3_T4_T5_mT6_T7_P12ihipStream_tbENKUlT_T0_E_clISt17integral_constantIbLb1EES10_IbLb0EEEEDaSW_SX_EUlSW_E_NS1_11comp_targetILNS1_3genE0ELNS1_11target_archE4294967295ELNS1_3gpuE0ELNS1_3repE0EEENS1_30default_config_static_selectorELNS0_4arch9wavefront6targetE1EEEvT1_
	.p2align	8
	.type	_ZN7rocprim17ROCPRIM_400000_NS6detail17trampoline_kernelINS0_14default_configENS1_27scan_by_key_config_selectorIifEEZZNS1_16scan_by_key_implILNS1_25lookback_scan_determinismE0ELb1ES3_N6thrust23THRUST_200600_302600_NS6detail15normal_iteratorINS9_10device_ptrIiEEEENSB_INSC_IfEEEESG_fNS9_4plusIvEENS9_8equal_toIvEEfEE10hipError_tPvRmT2_T3_T4_T5_mT6_T7_P12ihipStream_tbENKUlT_T0_E_clISt17integral_constantIbLb1EES10_IbLb0EEEEDaSW_SX_EUlSW_E_NS1_11comp_targetILNS1_3genE0ELNS1_11target_archE4294967295ELNS1_3gpuE0ELNS1_3repE0EEENS1_30default_config_static_selectorELNS0_4arch9wavefront6targetE1EEEvT1_,@function
_ZN7rocprim17ROCPRIM_400000_NS6detail17trampoline_kernelINS0_14default_configENS1_27scan_by_key_config_selectorIifEEZZNS1_16scan_by_key_implILNS1_25lookback_scan_determinismE0ELb1ES3_N6thrust23THRUST_200600_302600_NS6detail15normal_iteratorINS9_10device_ptrIiEEEENSB_INSC_IfEEEESG_fNS9_4plusIvEENS9_8equal_toIvEEfEE10hipError_tPvRmT2_T3_T4_T5_mT6_T7_P12ihipStream_tbENKUlT_T0_E_clISt17integral_constantIbLb1EES10_IbLb0EEEEDaSW_SX_EUlSW_E_NS1_11comp_targetILNS1_3genE0ELNS1_11target_archE4294967295ELNS1_3gpuE0ELNS1_3repE0EEENS1_30default_config_static_selectorELNS0_4arch9wavefront6targetE1EEEvT1_: ; @_ZN7rocprim17ROCPRIM_400000_NS6detail17trampoline_kernelINS0_14default_configENS1_27scan_by_key_config_selectorIifEEZZNS1_16scan_by_key_implILNS1_25lookback_scan_determinismE0ELb1ES3_N6thrust23THRUST_200600_302600_NS6detail15normal_iteratorINS9_10device_ptrIiEEEENSB_INSC_IfEEEESG_fNS9_4plusIvEENS9_8equal_toIvEEfEE10hipError_tPvRmT2_T3_T4_T5_mT6_T7_P12ihipStream_tbENKUlT_T0_E_clISt17integral_constantIbLb1EES10_IbLb0EEEEDaSW_SX_EUlSW_E_NS1_11comp_targetILNS1_3genE0ELNS1_11target_archE4294967295ELNS1_3gpuE0ELNS1_3repE0EEENS1_30default_config_static_selectorELNS0_4arch9wavefront6targetE1EEEvT1_
; %bb.0:
	.section	.rodata,"a",@progbits
	.p2align	6, 0x0
	.amdhsa_kernel _ZN7rocprim17ROCPRIM_400000_NS6detail17trampoline_kernelINS0_14default_configENS1_27scan_by_key_config_selectorIifEEZZNS1_16scan_by_key_implILNS1_25lookback_scan_determinismE0ELb1ES3_N6thrust23THRUST_200600_302600_NS6detail15normal_iteratorINS9_10device_ptrIiEEEENSB_INSC_IfEEEESG_fNS9_4plusIvEENS9_8equal_toIvEEfEE10hipError_tPvRmT2_T3_T4_T5_mT6_T7_P12ihipStream_tbENKUlT_T0_E_clISt17integral_constantIbLb1EES10_IbLb0EEEEDaSW_SX_EUlSW_E_NS1_11comp_targetILNS1_3genE0ELNS1_11target_archE4294967295ELNS1_3gpuE0ELNS1_3repE0EEENS1_30default_config_static_selectorELNS0_4arch9wavefront6targetE1EEEvT1_
		.amdhsa_group_segment_fixed_size 0
		.amdhsa_private_segment_fixed_size 0
		.amdhsa_kernarg_size 112
		.amdhsa_user_sgpr_count 2
		.amdhsa_user_sgpr_dispatch_ptr 0
		.amdhsa_user_sgpr_queue_ptr 0
		.amdhsa_user_sgpr_kernarg_segment_ptr 1
		.amdhsa_user_sgpr_dispatch_id 0
		.amdhsa_user_sgpr_kernarg_preload_length 0
		.amdhsa_user_sgpr_kernarg_preload_offset 0
		.amdhsa_user_sgpr_private_segment_size 0
		.amdhsa_uses_dynamic_stack 0
		.amdhsa_enable_private_segment 0
		.amdhsa_system_sgpr_workgroup_id_x 1
		.amdhsa_system_sgpr_workgroup_id_y 0
		.amdhsa_system_sgpr_workgroup_id_z 0
		.amdhsa_system_sgpr_workgroup_info 0
		.amdhsa_system_vgpr_workitem_id 0
		.amdhsa_next_free_vgpr 1
		.amdhsa_next_free_sgpr 0
		.amdhsa_accum_offset 4
		.amdhsa_reserve_vcc 0
		.amdhsa_float_round_mode_32 0
		.amdhsa_float_round_mode_16_64 0
		.amdhsa_float_denorm_mode_32 3
		.amdhsa_float_denorm_mode_16_64 3
		.amdhsa_dx10_clamp 1
		.amdhsa_ieee_mode 1
		.amdhsa_fp16_overflow 0
		.amdhsa_tg_split 0
		.amdhsa_exception_fp_ieee_invalid_op 0
		.amdhsa_exception_fp_denorm_src 0
		.amdhsa_exception_fp_ieee_div_zero 0
		.amdhsa_exception_fp_ieee_overflow 0
		.amdhsa_exception_fp_ieee_underflow 0
		.amdhsa_exception_fp_ieee_inexact 0
		.amdhsa_exception_int_div_zero 0
	.end_amdhsa_kernel
	.section	.text._ZN7rocprim17ROCPRIM_400000_NS6detail17trampoline_kernelINS0_14default_configENS1_27scan_by_key_config_selectorIifEEZZNS1_16scan_by_key_implILNS1_25lookback_scan_determinismE0ELb1ES3_N6thrust23THRUST_200600_302600_NS6detail15normal_iteratorINS9_10device_ptrIiEEEENSB_INSC_IfEEEESG_fNS9_4plusIvEENS9_8equal_toIvEEfEE10hipError_tPvRmT2_T3_T4_T5_mT6_T7_P12ihipStream_tbENKUlT_T0_E_clISt17integral_constantIbLb1EES10_IbLb0EEEEDaSW_SX_EUlSW_E_NS1_11comp_targetILNS1_3genE0ELNS1_11target_archE4294967295ELNS1_3gpuE0ELNS1_3repE0EEENS1_30default_config_static_selectorELNS0_4arch9wavefront6targetE1EEEvT1_,"axG",@progbits,_ZN7rocprim17ROCPRIM_400000_NS6detail17trampoline_kernelINS0_14default_configENS1_27scan_by_key_config_selectorIifEEZZNS1_16scan_by_key_implILNS1_25lookback_scan_determinismE0ELb1ES3_N6thrust23THRUST_200600_302600_NS6detail15normal_iteratorINS9_10device_ptrIiEEEENSB_INSC_IfEEEESG_fNS9_4plusIvEENS9_8equal_toIvEEfEE10hipError_tPvRmT2_T3_T4_T5_mT6_T7_P12ihipStream_tbENKUlT_T0_E_clISt17integral_constantIbLb1EES10_IbLb0EEEEDaSW_SX_EUlSW_E_NS1_11comp_targetILNS1_3genE0ELNS1_11target_archE4294967295ELNS1_3gpuE0ELNS1_3repE0EEENS1_30default_config_static_selectorELNS0_4arch9wavefront6targetE1EEEvT1_,comdat
.Lfunc_end1445:
	.size	_ZN7rocprim17ROCPRIM_400000_NS6detail17trampoline_kernelINS0_14default_configENS1_27scan_by_key_config_selectorIifEEZZNS1_16scan_by_key_implILNS1_25lookback_scan_determinismE0ELb1ES3_N6thrust23THRUST_200600_302600_NS6detail15normal_iteratorINS9_10device_ptrIiEEEENSB_INSC_IfEEEESG_fNS9_4plusIvEENS9_8equal_toIvEEfEE10hipError_tPvRmT2_T3_T4_T5_mT6_T7_P12ihipStream_tbENKUlT_T0_E_clISt17integral_constantIbLb1EES10_IbLb0EEEEDaSW_SX_EUlSW_E_NS1_11comp_targetILNS1_3genE0ELNS1_11target_archE4294967295ELNS1_3gpuE0ELNS1_3repE0EEENS1_30default_config_static_selectorELNS0_4arch9wavefront6targetE1EEEvT1_, .Lfunc_end1445-_ZN7rocprim17ROCPRIM_400000_NS6detail17trampoline_kernelINS0_14default_configENS1_27scan_by_key_config_selectorIifEEZZNS1_16scan_by_key_implILNS1_25lookback_scan_determinismE0ELb1ES3_N6thrust23THRUST_200600_302600_NS6detail15normal_iteratorINS9_10device_ptrIiEEEENSB_INSC_IfEEEESG_fNS9_4plusIvEENS9_8equal_toIvEEfEE10hipError_tPvRmT2_T3_T4_T5_mT6_T7_P12ihipStream_tbENKUlT_T0_E_clISt17integral_constantIbLb1EES10_IbLb0EEEEDaSW_SX_EUlSW_E_NS1_11comp_targetILNS1_3genE0ELNS1_11target_archE4294967295ELNS1_3gpuE0ELNS1_3repE0EEENS1_30default_config_static_selectorELNS0_4arch9wavefront6targetE1EEEvT1_
                                        ; -- End function
	.section	.AMDGPU.csdata,"",@progbits
; Kernel info:
; codeLenInByte = 0
; NumSgprs: 6
; NumVgprs: 0
; NumAgprs: 0
; TotalNumVgprs: 0
; ScratchSize: 0
; MemoryBound: 0
; FloatMode: 240
; IeeeMode: 1
; LDSByteSize: 0 bytes/workgroup (compile time only)
; SGPRBlocks: 0
; VGPRBlocks: 0
; NumSGPRsForWavesPerEU: 6
; NumVGPRsForWavesPerEU: 1
; AccumOffset: 4
; Occupancy: 8
; WaveLimiterHint : 0
; COMPUTE_PGM_RSRC2:SCRATCH_EN: 0
; COMPUTE_PGM_RSRC2:USER_SGPR: 2
; COMPUTE_PGM_RSRC2:TRAP_HANDLER: 0
; COMPUTE_PGM_RSRC2:TGID_X_EN: 1
; COMPUTE_PGM_RSRC2:TGID_Y_EN: 0
; COMPUTE_PGM_RSRC2:TGID_Z_EN: 0
; COMPUTE_PGM_RSRC2:TIDIG_COMP_CNT: 0
; COMPUTE_PGM_RSRC3_GFX90A:ACCUM_OFFSET: 0
; COMPUTE_PGM_RSRC3_GFX90A:TG_SPLIT: 0
	.section	.text._ZN7rocprim17ROCPRIM_400000_NS6detail17trampoline_kernelINS0_14default_configENS1_27scan_by_key_config_selectorIifEEZZNS1_16scan_by_key_implILNS1_25lookback_scan_determinismE0ELb1ES3_N6thrust23THRUST_200600_302600_NS6detail15normal_iteratorINS9_10device_ptrIiEEEENSB_INSC_IfEEEESG_fNS9_4plusIvEENS9_8equal_toIvEEfEE10hipError_tPvRmT2_T3_T4_T5_mT6_T7_P12ihipStream_tbENKUlT_T0_E_clISt17integral_constantIbLb1EES10_IbLb0EEEEDaSW_SX_EUlSW_E_NS1_11comp_targetILNS1_3genE10ELNS1_11target_archE1201ELNS1_3gpuE5ELNS1_3repE0EEENS1_30default_config_static_selectorELNS0_4arch9wavefront6targetE1EEEvT1_,"axG",@progbits,_ZN7rocprim17ROCPRIM_400000_NS6detail17trampoline_kernelINS0_14default_configENS1_27scan_by_key_config_selectorIifEEZZNS1_16scan_by_key_implILNS1_25lookback_scan_determinismE0ELb1ES3_N6thrust23THRUST_200600_302600_NS6detail15normal_iteratorINS9_10device_ptrIiEEEENSB_INSC_IfEEEESG_fNS9_4plusIvEENS9_8equal_toIvEEfEE10hipError_tPvRmT2_T3_T4_T5_mT6_T7_P12ihipStream_tbENKUlT_T0_E_clISt17integral_constantIbLb1EES10_IbLb0EEEEDaSW_SX_EUlSW_E_NS1_11comp_targetILNS1_3genE10ELNS1_11target_archE1201ELNS1_3gpuE5ELNS1_3repE0EEENS1_30default_config_static_selectorELNS0_4arch9wavefront6targetE1EEEvT1_,comdat
	.protected	_ZN7rocprim17ROCPRIM_400000_NS6detail17trampoline_kernelINS0_14default_configENS1_27scan_by_key_config_selectorIifEEZZNS1_16scan_by_key_implILNS1_25lookback_scan_determinismE0ELb1ES3_N6thrust23THRUST_200600_302600_NS6detail15normal_iteratorINS9_10device_ptrIiEEEENSB_INSC_IfEEEESG_fNS9_4plusIvEENS9_8equal_toIvEEfEE10hipError_tPvRmT2_T3_T4_T5_mT6_T7_P12ihipStream_tbENKUlT_T0_E_clISt17integral_constantIbLb1EES10_IbLb0EEEEDaSW_SX_EUlSW_E_NS1_11comp_targetILNS1_3genE10ELNS1_11target_archE1201ELNS1_3gpuE5ELNS1_3repE0EEENS1_30default_config_static_selectorELNS0_4arch9wavefront6targetE1EEEvT1_ ; -- Begin function _ZN7rocprim17ROCPRIM_400000_NS6detail17trampoline_kernelINS0_14default_configENS1_27scan_by_key_config_selectorIifEEZZNS1_16scan_by_key_implILNS1_25lookback_scan_determinismE0ELb1ES3_N6thrust23THRUST_200600_302600_NS6detail15normal_iteratorINS9_10device_ptrIiEEEENSB_INSC_IfEEEESG_fNS9_4plusIvEENS9_8equal_toIvEEfEE10hipError_tPvRmT2_T3_T4_T5_mT6_T7_P12ihipStream_tbENKUlT_T0_E_clISt17integral_constantIbLb1EES10_IbLb0EEEEDaSW_SX_EUlSW_E_NS1_11comp_targetILNS1_3genE10ELNS1_11target_archE1201ELNS1_3gpuE5ELNS1_3repE0EEENS1_30default_config_static_selectorELNS0_4arch9wavefront6targetE1EEEvT1_
	.globl	_ZN7rocprim17ROCPRIM_400000_NS6detail17trampoline_kernelINS0_14default_configENS1_27scan_by_key_config_selectorIifEEZZNS1_16scan_by_key_implILNS1_25lookback_scan_determinismE0ELb1ES3_N6thrust23THRUST_200600_302600_NS6detail15normal_iteratorINS9_10device_ptrIiEEEENSB_INSC_IfEEEESG_fNS9_4plusIvEENS9_8equal_toIvEEfEE10hipError_tPvRmT2_T3_T4_T5_mT6_T7_P12ihipStream_tbENKUlT_T0_E_clISt17integral_constantIbLb1EES10_IbLb0EEEEDaSW_SX_EUlSW_E_NS1_11comp_targetILNS1_3genE10ELNS1_11target_archE1201ELNS1_3gpuE5ELNS1_3repE0EEENS1_30default_config_static_selectorELNS0_4arch9wavefront6targetE1EEEvT1_
	.p2align	8
	.type	_ZN7rocprim17ROCPRIM_400000_NS6detail17trampoline_kernelINS0_14default_configENS1_27scan_by_key_config_selectorIifEEZZNS1_16scan_by_key_implILNS1_25lookback_scan_determinismE0ELb1ES3_N6thrust23THRUST_200600_302600_NS6detail15normal_iteratorINS9_10device_ptrIiEEEENSB_INSC_IfEEEESG_fNS9_4plusIvEENS9_8equal_toIvEEfEE10hipError_tPvRmT2_T3_T4_T5_mT6_T7_P12ihipStream_tbENKUlT_T0_E_clISt17integral_constantIbLb1EES10_IbLb0EEEEDaSW_SX_EUlSW_E_NS1_11comp_targetILNS1_3genE10ELNS1_11target_archE1201ELNS1_3gpuE5ELNS1_3repE0EEENS1_30default_config_static_selectorELNS0_4arch9wavefront6targetE1EEEvT1_,@function
_ZN7rocprim17ROCPRIM_400000_NS6detail17trampoline_kernelINS0_14default_configENS1_27scan_by_key_config_selectorIifEEZZNS1_16scan_by_key_implILNS1_25lookback_scan_determinismE0ELb1ES3_N6thrust23THRUST_200600_302600_NS6detail15normal_iteratorINS9_10device_ptrIiEEEENSB_INSC_IfEEEESG_fNS9_4plusIvEENS9_8equal_toIvEEfEE10hipError_tPvRmT2_T3_T4_T5_mT6_T7_P12ihipStream_tbENKUlT_T0_E_clISt17integral_constantIbLb1EES10_IbLb0EEEEDaSW_SX_EUlSW_E_NS1_11comp_targetILNS1_3genE10ELNS1_11target_archE1201ELNS1_3gpuE5ELNS1_3repE0EEENS1_30default_config_static_selectorELNS0_4arch9wavefront6targetE1EEEvT1_: ; @_ZN7rocprim17ROCPRIM_400000_NS6detail17trampoline_kernelINS0_14default_configENS1_27scan_by_key_config_selectorIifEEZZNS1_16scan_by_key_implILNS1_25lookback_scan_determinismE0ELb1ES3_N6thrust23THRUST_200600_302600_NS6detail15normal_iteratorINS9_10device_ptrIiEEEENSB_INSC_IfEEEESG_fNS9_4plusIvEENS9_8equal_toIvEEfEE10hipError_tPvRmT2_T3_T4_T5_mT6_T7_P12ihipStream_tbENKUlT_T0_E_clISt17integral_constantIbLb1EES10_IbLb0EEEEDaSW_SX_EUlSW_E_NS1_11comp_targetILNS1_3genE10ELNS1_11target_archE1201ELNS1_3gpuE5ELNS1_3repE0EEENS1_30default_config_static_selectorELNS0_4arch9wavefront6targetE1EEEvT1_
; %bb.0:
	.section	.rodata,"a",@progbits
	.p2align	6, 0x0
	.amdhsa_kernel _ZN7rocprim17ROCPRIM_400000_NS6detail17trampoline_kernelINS0_14default_configENS1_27scan_by_key_config_selectorIifEEZZNS1_16scan_by_key_implILNS1_25lookback_scan_determinismE0ELb1ES3_N6thrust23THRUST_200600_302600_NS6detail15normal_iteratorINS9_10device_ptrIiEEEENSB_INSC_IfEEEESG_fNS9_4plusIvEENS9_8equal_toIvEEfEE10hipError_tPvRmT2_T3_T4_T5_mT6_T7_P12ihipStream_tbENKUlT_T0_E_clISt17integral_constantIbLb1EES10_IbLb0EEEEDaSW_SX_EUlSW_E_NS1_11comp_targetILNS1_3genE10ELNS1_11target_archE1201ELNS1_3gpuE5ELNS1_3repE0EEENS1_30default_config_static_selectorELNS0_4arch9wavefront6targetE1EEEvT1_
		.amdhsa_group_segment_fixed_size 0
		.amdhsa_private_segment_fixed_size 0
		.amdhsa_kernarg_size 112
		.amdhsa_user_sgpr_count 2
		.amdhsa_user_sgpr_dispatch_ptr 0
		.amdhsa_user_sgpr_queue_ptr 0
		.amdhsa_user_sgpr_kernarg_segment_ptr 1
		.amdhsa_user_sgpr_dispatch_id 0
		.amdhsa_user_sgpr_kernarg_preload_length 0
		.amdhsa_user_sgpr_kernarg_preload_offset 0
		.amdhsa_user_sgpr_private_segment_size 0
		.amdhsa_uses_dynamic_stack 0
		.amdhsa_enable_private_segment 0
		.amdhsa_system_sgpr_workgroup_id_x 1
		.amdhsa_system_sgpr_workgroup_id_y 0
		.amdhsa_system_sgpr_workgroup_id_z 0
		.amdhsa_system_sgpr_workgroup_info 0
		.amdhsa_system_vgpr_workitem_id 0
		.amdhsa_next_free_vgpr 1
		.amdhsa_next_free_sgpr 0
		.amdhsa_accum_offset 4
		.amdhsa_reserve_vcc 0
		.amdhsa_float_round_mode_32 0
		.amdhsa_float_round_mode_16_64 0
		.amdhsa_float_denorm_mode_32 3
		.amdhsa_float_denorm_mode_16_64 3
		.amdhsa_dx10_clamp 1
		.amdhsa_ieee_mode 1
		.amdhsa_fp16_overflow 0
		.amdhsa_tg_split 0
		.amdhsa_exception_fp_ieee_invalid_op 0
		.amdhsa_exception_fp_denorm_src 0
		.amdhsa_exception_fp_ieee_div_zero 0
		.amdhsa_exception_fp_ieee_overflow 0
		.amdhsa_exception_fp_ieee_underflow 0
		.amdhsa_exception_fp_ieee_inexact 0
		.amdhsa_exception_int_div_zero 0
	.end_amdhsa_kernel
	.section	.text._ZN7rocprim17ROCPRIM_400000_NS6detail17trampoline_kernelINS0_14default_configENS1_27scan_by_key_config_selectorIifEEZZNS1_16scan_by_key_implILNS1_25lookback_scan_determinismE0ELb1ES3_N6thrust23THRUST_200600_302600_NS6detail15normal_iteratorINS9_10device_ptrIiEEEENSB_INSC_IfEEEESG_fNS9_4plusIvEENS9_8equal_toIvEEfEE10hipError_tPvRmT2_T3_T4_T5_mT6_T7_P12ihipStream_tbENKUlT_T0_E_clISt17integral_constantIbLb1EES10_IbLb0EEEEDaSW_SX_EUlSW_E_NS1_11comp_targetILNS1_3genE10ELNS1_11target_archE1201ELNS1_3gpuE5ELNS1_3repE0EEENS1_30default_config_static_selectorELNS0_4arch9wavefront6targetE1EEEvT1_,"axG",@progbits,_ZN7rocprim17ROCPRIM_400000_NS6detail17trampoline_kernelINS0_14default_configENS1_27scan_by_key_config_selectorIifEEZZNS1_16scan_by_key_implILNS1_25lookback_scan_determinismE0ELb1ES3_N6thrust23THRUST_200600_302600_NS6detail15normal_iteratorINS9_10device_ptrIiEEEENSB_INSC_IfEEEESG_fNS9_4plusIvEENS9_8equal_toIvEEfEE10hipError_tPvRmT2_T3_T4_T5_mT6_T7_P12ihipStream_tbENKUlT_T0_E_clISt17integral_constantIbLb1EES10_IbLb0EEEEDaSW_SX_EUlSW_E_NS1_11comp_targetILNS1_3genE10ELNS1_11target_archE1201ELNS1_3gpuE5ELNS1_3repE0EEENS1_30default_config_static_selectorELNS0_4arch9wavefront6targetE1EEEvT1_,comdat
.Lfunc_end1446:
	.size	_ZN7rocprim17ROCPRIM_400000_NS6detail17trampoline_kernelINS0_14default_configENS1_27scan_by_key_config_selectorIifEEZZNS1_16scan_by_key_implILNS1_25lookback_scan_determinismE0ELb1ES3_N6thrust23THRUST_200600_302600_NS6detail15normal_iteratorINS9_10device_ptrIiEEEENSB_INSC_IfEEEESG_fNS9_4plusIvEENS9_8equal_toIvEEfEE10hipError_tPvRmT2_T3_T4_T5_mT6_T7_P12ihipStream_tbENKUlT_T0_E_clISt17integral_constantIbLb1EES10_IbLb0EEEEDaSW_SX_EUlSW_E_NS1_11comp_targetILNS1_3genE10ELNS1_11target_archE1201ELNS1_3gpuE5ELNS1_3repE0EEENS1_30default_config_static_selectorELNS0_4arch9wavefront6targetE1EEEvT1_, .Lfunc_end1446-_ZN7rocprim17ROCPRIM_400000_NS6detail17trampoline_kernelINS0_14default_configENS1_27scan_by_key_config_selectorIifEEZZNS1_16scan_by_key_implILNS1_25lookback_scan_determinismE0ELb1ES3_N6thrust23THRUST_200600_302600_NS6detail15normal_iteratorINS9_10device_ptrIiEEEENSB_INSC_IfEEEESG_fNS9_4plusIvEENS9_8equal_toIvEEfEE10hipError_tPvRmT2_T3_T4_T5_mT6_T7_P12ihipStream_tbENKUlT_T0_E_clISt17integral_constantIbLb1EES10_IbLb0EEEEDaSW_SX_EUlSW_E_NS1_11comp_targetILNS1_3genE10ELNS1_11target_archE1201ELNS1_3gpuE5ELNS1_3repE0EEENS1_30default_config_static_selectorELNS0_4arch9wavefront6targetE1EEEvT1_
                                        ; -- End function
	.section	.AMDGPU.csdata,"",@progbits
; Kernel info:
; codeLenInByte = 0
; NumSgprs: 6
; NumVgprs: 0
; NumAgprs: 0
; TotalNumVgprs: 0
; ScratchSize: 0
; MemoryBound: 0
; FloatMode: 240
; IeeeMode: 1
; LDSByteSize: 0 bytes/workgroup (compile time only)
; SGPRBlocks: 0
; VGPRBlocks: 0
; NumSGPRsForWavesPerEU: 6
; NumVGPRsForWavesPerEU: 1
; AccumOffset: 4
; Occupancy: 8
; WaveLimiterHint : 0
; COMPUTE_PGM_RSRC2:SCRATCH_EN: 0
; COMPUTE_PGM_RSRC2:USER_SGPR: 2
; COMPUTE_PGM_RSRC2:TRAP_HANDLER: 0
; COMPUTE_PGM_RSRC2:TGID_X_EN: 1
; COMPUTE_PGM_RSRC2:TGID_Y_EN: 0
; COMPUTE_PGM_RSRC2:TGID_Z_EN: 0
; COMPUTE_PGM_RSRC2:TIDIG_COMP_CNT: 0
; COMPUTE_PGM_RSRC3_GFX90A:ACCUM_OFFSET: 0
; COMPUTE_PGM_RSRC3_GFX90A:TG_SPLIT: 0
	.section	.text._ZN7rocprim17ROCPRIM_400000_NS6detail17trampoline_kernelINS0_14default_configENS1_27scan_by_key_config_selectorIifEEZZNS1_16scan_by_key_implILNS1_25lookback_scan_determinismE0ELb1ES3_N6thrust23THRUST_200600_302600_NS6detail15normal_iteratorINS9_10device_ptrIiEEEENSB_INSC_IfEEEESG_fNS9_4plusIvEENS9_8equal_toIvEEfEE10hipError_tPvRmT2_T3_T4_T5_mT6_T7_P12ihipStream_tbENKUlT_T0_E_clISt17integral_constantIbLb1EES10_IbLb0EEEEDaSW_SX_EUlSW_E_NS1_11comp_targetILNS1_3genE5ELNS1_11target_archE942ELNS1_3gpuE9ELNS1_3repE0EEENS1_30default_config_static_selectorELNS0_4arch9wavefront6targetE1EEEvT1_,"axG",@progbits,_ZN7rocprim17ROCPRIM_400000_NS6detail17trampoline_kernelINS0_14default_configENS1_27scan_by_key_config_selectorIifEEZZNS1_16scan_by_key_implILNS1_25lookback_scan_determinismE0ELb1ES3_N6thrust23THRUST_200600_302600_NS6detail15normal_iteratorINS9_10device_ptrIiEEEENSB_INSC_IfEEEESG_fNS9_4plusIvEENS9_8equal_toIvEEfEE10hipError_tPvRmT2_T3_T4_T5_mT6_T7_P12ihipStream_tbENKUlT_T0_E_clISt17integral_constantIbLb1EES10_IbLb0EEEEDaSW_SX_EUlSW_E_NS1_11comp_targetILNS1_3genE5ELNS1_11target_archE942ELNS1_3gpuE9ELNS1_3repE0EEENS1_30default_config_static_selectorELNS0_4arch9wavefront6targetE1EEEvT1_,comdat
	.protected	_ZN7rocprim17ROCPRIM_400000_NS6detail17trampoline_kernelINS0_14default_configENS1_27scan_by_key_config_selectorIifEEZZNS1_16scan_by_key_implILNS1_25lookback_scan_determinismE0ELb1ES3_N6thrust23THRUST_200600_302600_NS6detail15normal_iteratorINS9_10device_ptrIiEEEENSB_INSC_IfEEEESG_fNS9_4plusIvEENS9_8equal_toIvEEfEE10hipError_tPvRmT2_T3_T4_T5_mT6_T7_P12ihipStream_tbENKUlT_T0_E_clISt17integral_constantIbLb1EES10_IbLb0EEEEDaSW_SX_EUlSW_E_NS1_11comp_targetILNS1_3genE5ELNS1_11target_archE942ELNS1_3gpuE9ELNS1_3repE0EEENS1_30default_config_static_selectorELNS0_4arch9wavefront6targetE1EEEvT1_ ; -- Begin function _ZN7rocprim17ROCPRIM_400000_NS6detail17trampoline_kernelINS0_14default_configENS1_27scan_by_key_config_selectorIifEEZZNS1_16scan_by_key_implILNS1_25lookback_scan_determinismE0ELb1ES3_N6thrust23THRUST_200600_302600_NS6detail15normal_iteratorINS9_10device_ptrIiEEEENSB_INSC_IfEEEESG_fNS9_4plusIvEENS9_8equal_toIvEEfEE10hipError_tPvRmT2_T3_T4_T5_mT6_T7_P12ihipStream_tbENKUlT_T0_E_clISt17integral_constantIbLb1EES10_IbLb0EEEEDaSW_SX_EUlSW_E_NS1_11comp_targetILNS1_3genE5ELNS1_11target_archE942ELNS1_3gpuE9ELNS1_3repE0EEENS1_30default_config_static_selectorELNS0_4arch9wavefront6targetE1EEEvT1_
	.globl	_ZN7rocprim17ROCPRIM_400000_NS6detail17trampoline_kernelINS0_14default_configENS1_27scan_by_key_config_selectorIifEEZZNS1_16scan_by_key_implILNS1_25lookback_scan_determinismE0ELb1ES3_N6thrust23THRUST_200600_302600_NS6detail15normal_iteratorINS9_10device_ptrIiEEEENSB_INSC_IfEEEESG_fNS9_4plusIvEENS9_8equal_toIvEEfEE10hipError_tPvRmT2_T3_T4_T5_mT6_T7_P12ihipStream_tbENKUlT_T0_E_clISt17integral_constantIbLb1EES10_IbLb0EEEEDaSW_SX_EUlSW_E_NS1_11comp_targetILNS1_3genE5ELNS1_11target_archE942ELNS1_3gpuE9ELNS1_3repE0EEENS1_30default_config_static_selectorELNS0_4arch9wavefront6targetE1EEEvT1_
	.p2align	8
	.type	_ZN7rocprim17ROCPRIM_400000_NS6detail17trampoline_kernelINS0_14default_configENS1_27scan_by_key_config_selectorIifEEZZNS1_16scan_by_key_implILNS1_25lookback_scan_determinismE0ELb1ES3_N6thrust23THRUST_200600_302600_NS6detail15normal_iteratorINS9_10device_ptrIiEEEENSB_INSC_IfEEEESG_fNS9_4plusIvEENS9_8equal_toIvEEfEE10hipError_tPvRmT2_T3_T4_T5_mT6_T7_P12ihipStream_tbENKUlT_T0_E_clISt17integral_constantIbLb1EES10_IbLb0EEEEDaSW_SX_EUlSW_E_NS1_11comp_targetILNS1_3genE5ELNS1_11target_archE942ELNS1_3gpuE9ELNS1_3repE0EEENS1_30default_config_static_selectorELNS0_4arch9wavefront6targetE1EEEvT1_,@function
_ZN7rocprim17ROCPRIM_400000_NS6detail17trampoline_kernelINS0_14default_configENS1_27scan_by_key_config_selectorIifEEZZNS1_16scan_by_key_implILNS1_25lookback_scan_determinismE0ELb1ES3_N6thrust23THRUST_200600_302600_NS6detail15normal_iteratorINS9_10device_ptrIiEEEENSB_INSC_IfEEEESG_fNS9_4plusIvEENS9_8equal_toIvEEfEE10hipError_tPvRmT2_T3_T4_T5_mT6_T7_P12ihipStream_tbENKUlT_T0_E_clISt17integral_constantIbLb1EES10_IbLb0EEEEDaSW_SX_EUlSW_E_NS1_11comp_targetILNS1_3genE5ELNS1_11target_archE942ELNS1_3gpuE9ELNS1_3repE0EEENS1_30default_config_static_selectorELNS0_4arch9wavefront6targetE1EEEvT1_: ; @_ZN7rocprim17ROCPRIM_400000_NS6detail17trampoline_kernelINS0_14default_configENS1_27scan_by_key_config_selectorIifEEZZNS1_16scan_by_key_implILNS1_25lookback_scan_determinismE0ELb1ES3_N6thrust23THRUST_200600_302600_NS6detail15normal_iteratorINS9_10device_ptrIiEEEENSB_INSC_IfEEEESG_fNS9_4plusIvEENS9_8equal_toIvEEfEE10hipError_tPvRmT2_T3_T4_T5_mT6_T7_P12ihipStream_tbENKUlT_T0_E_clISt17integral_constantIbLb1EES10_IbLb0EEEEDaSW_SX_EUlSW_E_NS1_11comp_targetILNS1_3genE5ELNS1_11target_archE942ELNS1_3gpuE9ELNS1_3repE0EEENS1_30default_config_static_selectorELNS0_4arch9wavefront6targetE1EEEvT1_
; %bb.0:
	s_load_dwordx8 s[48:55], s[0:1], 0x0
	s_load_dword s76, s[0:1], 0x20
	s_load_dwordx4 s[56:59], s[0:1], 0x28
	s_load_dwordx2 s[66:67], s[0:1], 0x38
	s_load_dword s3, s[0:1], 0x40
	s_load_dwordx4 s[60:63], s[0:1], 0x48
	s_waitcnt lgkmcnt(0)
	s_lshl_b64 s[64:65], s[50:51], 2
	s_add_u32 s4, s48, s64
	s_addc_u32 s5, s49, s65
	s_add_u32 s6, s52, s64
	s_mul_i32 s0, s67, s3
	s_mul_hi_u32 s1, s66, s3
	s_addc_u32 s7, s53, s65
	s_add_i32 s8, s1, s0
	s_mul_i32 s0, s2, 0x1700
	s_mov_b32 s1, 0
	s_lshl_b64 s[52:53], s[0:1], 2
	s_add_u32 s70, s4, s52
	s_addc_u32 s71, s5, s53
	s_add_u32 s68, s6, s52
	s_mul_i32 s3, s66, s3
	s_addc_u32 s69, s7, s53
	s_add_u32 s0, s3, s2
	s_addc_u32 s1, s8, 0
	s_add_u32 s6, s60, -1
	s_addc_u32 s7, s61, -1
	v_mov_b64_e32 v[2:3], s[6:7]
	v_cmp_ge_u64_e64 s[0:1], s[0:1], v[2:3]
	s_mov_b64 s[4:5], -1
	s_and_b64 vcc, exec, s[0:1]
	s_mul_i32 s33, s6, 0xffffe900
	s_barrier
	s_cbranch_vccz .LBB1447_71
; %bb.1:
	v_mov_b64_e32 v[2:3], s[70:71]
	flat_load_dword v2, v[2:3]
	s_add_i32 s59, s33, s58
	v_cmp_gt_u32_e32 vcc, s59, v0
	s_waitcnt vmcnt(0) lgkmcnt(0)
	v_mov_b32_e32 v3, v2
	s_and_saveexec_b64 s[4:5], vcc
	s_cbranch_execz .LBB1447_3
; %bb.2:
	v_lshlrev_b32_e32 v4, 2, v0
	v_mov_b32_e32 v5, 0
	v_lshl_add_u64 v[4:5], s[70:71], 0, v[4:5]
	flat_load_dword v3, v[4:5]
.LBB1447_3:
	s_or_b64 exec, exec, s[4:5]
	v_or_b32_e32 v1, 0x100, v0
	v_cmp_gt_u32_e64 s[48:49], s59, v1
	v_mov_b32_e32 v4, v2
	s_and_saveexec_b64 s[4:5], s[48:49]
	s_cbranch_execz .LBB1447_5
; %bb.4:
	v_lshlrev_b32_e32 v4, 2, v0
	v_mov_b32_e32 v5, 0
	v_lshl_add_u64 v[4:5], s[70:71], 0, v[4:5]
	flat_load_dword v4, v[4:5] offset:1024
.LBB1447_5:
	s_or_b64 exec, exec, s[4:5]
	v_or_b32_e32 v1, 0x200, v0
	v_cmp_gt_u32_e64 s[4:5], s59, v1
	v_mov_b32_e32 v5, v2
	s_and_saveexec_b64 s[6:7], s[4:5]
	s_cbranch_execz .LBB1447_7
; %bb.6:
	v_lshlrev_b32_e32 v6, 2, v0
	v_mov_b32_e32 v7, 0
	v_lshl_add_u64 v[6:7], s[70:71], 0, v[6:7]
	flat_load_dword v5, v[6:7] offset:2048
.LBB1447_7:
	;; [unrolled: 12-line block ×3, first 2 shown]
	s_or_b64 exec, exec, s[8:9]
	v_or_b32_e32 v1, 0x400, v0
	v_cmp_gt_u32_e64 s[8:9], s59, v1
	v_mov_b32_e32 v7, v2
	s_and_saveexec_b64 s[10:11], s[8:9]
	s_cbranch_execz .LBB1447_11
; %bb.10:
	v_lshlrev_b32_e32 v8, 2, v1
	v_mov_b32_e32 v9, 0
	v_lshl_add_u64 v[8:9], s[70:71], 0, v[8:9]
	flat_load_dword v7, v[8:9]
.LBB1447_11:
	s_or_b64 exec, exec, s[10:11]
	v_or_b32_e32 v26, 0x500, v0
	v_cmp_gt_u32_e64 s[10:11], s59, v26
	v_mov_b32_e32 v8, v2
	s_and_saveexec_b64 s[12:13], s[10:11]
	s_cbranch_execz .LBB1447_13
; %bb.12:
	v_lshlrev_b32_e32 v8, 2, v26
	v_mov_b32_e32 v9, 0
	v_lshl_add_u64 v[8:9], s[70:71], 0, v[8:9]
	flat_load_dword v8, v[8:9]
.LBB1447_13:
	;; [unrolled: 12-line block ×18, first 2 shown]
	s_or_b64 exec, exec, s[46:47]
	v_or_b32_e32 v43, 0x1600, v0
	v_cmp_gt_u32_e64 s[46:47], s59, v43
	s_and_saveexec_b64 s[50:51], s[46:47]
	s_cbranch_execz .LBB1447_47
; %bb.46:
	v_lshlrev_b32_e32 v44, 2, v43
	v_mov_b32_e32 v45, 0
	v_lshl_add_u64 v[44:45], s[70:71], 0, v[44:45]
	flat_load_dword v2, v[44:45]
.LBB1447_47:
	s_or_b64 exec, exec, s[50:51]
	v_lshlrev_b32_e32 v24, 2, v0
	s_waitcnt vmcnt(0) lgkmcnt(0)
	ds_write2st64_b32 v24, v3, v4 offset1:4
	ds_write2st64_b32 v24, v5, v6 offset0:8 offset1:12
	ds_write2st64_b32 v24, v7, v8 offset0:16 offset1:20
	;; [unrolled: 1-line block ×10, first 2 shown]
	ds_write_b32 v24, v2 offset:22528
	v_mov_b64_e32 v[2:3], s[70:71]
	s_waitcnt lgkmcnt(0)
	s_barrier
	flat_load_dword v47, v[2:3]
	s_movk_i32 s3, 0x58
	v_mad_u32_u24 v70, v0, s3, v24
	s_movk_i32 s3, 0xffa8
	v_mad_i32_i24 v25, v0, s3, v70
	s_movk_i32 s3, 0xff
	v_cmp_ne_u32_e64 s[50:51], s3, v0
	ds_read_b32 v72, v70
	ds_read2_b32 v[22:23], v70 offset0:1 offset1:2
	ds_read2_b32 v[20:21], v70 offset0:3 offset1:4
	;; [unrolled: 1-line block ×11, first 2 shown]
	s_waitcnt lgkmcnt(0)
	ds_write_b32 v25, v72 offset:24576
	s_waitcnt lgkmcnt(0)
	s_barrier
	s_and_saveexec_b64 s[60:61], s[50:51]
	s_cbranch_execz .LBB1447_49
; %bb.48:
	s_waitcnt vmcnt(0)
	ds_read_b32 v47, v24 offset:24580
.LBB1447_49:
	s_or_b64 exec, exec, s[60:61]
	v_mov_b32_e32 v25, 0
	s_waitcnt lgkmcnt(0)
	s_barrier
	s_waitcnt lgkmcnt(0)
                                        ; implicit-def: $vgpr44
	s_and_saveexec_b64 s[50:51], vcc
	s_cbranch_execz .LBB1447_72
; %bb.50:
	v_lshl_add_u64 v[44:45], s[68:69], 0, v[24:25]
	flat_load_dword v44, v[44:45]
	s_or_b64 exec, exec, s[50:51]
                                        ; implicit-def: $vgpr45
	s_and_saveexec_b64 s[50:51], s[48:49]
	s_cbranch_execnz .LBB1447_73
.LBB1447_51:
	s_or_b64 exec, exec, s[50:51]
                                        ; implicit-def: $vgpr46
	s_and_saveexec_b64 s[48:49], s[4:5]
	s_cbranch_execz .LBB1447_74
.LBB1447_52:
	v_mov_b32_e32 v25, 0
	v_lshl_add_u64 v[48:49], s[68:69], 0, v[24:25]
	flat_load_dword v46, v[48:49] offset:2048
	s_or_b64 exec, exec, s[48:49]
                                        ; implicit-def: $vgpr25
	s_and_saveexec_b64 s[4:5], s[6:7]
	s_cbranch_execnz .LBB1447_75
.LBB1447_53:
	s_or_b64 exec, exec, s[4:5]
                                        ; implicit-def: $vgpr48
	s_and_saveexec_b64 s[4:5], s[8:9]
	s_cbranch_execz .LBB1447_76
.LBB1447_54:
	v_lshlrev_b32_e32 v48, 2, v1
	v_mov_b32_e32 v49, 0
	v_lshl_add_u64 v[48:49], s[68:69], 0, v[48:49]
	flat_load_dword v48, v[48:49]
	s_or_b64 exec, exec, s[4:5]
                                        ; implicit-def: $vgpr1
	s_and_saveexec_b64 s[4:5], s[10:11]
	s_cbranch_execnz .LBB1447_77
.LBB1447_55:
	s_or_b64 exec, exec, s[4:5]
                                        ; implicit-def: $vgpr26
	s_and_saveexec_b64 s[4:5], s[12:13]
	s_cbranch_execz .LBB1447_78
.LBB1447_56:
	v_lshlrev_b32_e32 v26, 2, v27
	v_mov_b32_e32 v27, 0
	v_lshl_add_u64 v[26:27], s[68:69], 0, v[26:27]
	flat_load_dword v26, v[26:27]
	s_or_b64 exec, exec, s[4:5]
                                        ; implicit-def: $vgpr27
	s_and_saveexec_b64 s[4:5], s[14:15]
	s_cbranch_execnz .LBB1447_79
.LBB1447_57:
	s_or_b64 exec, exec, s[4:5]
                                        ; implicit-def: $vgpr28
	s_and_saveexec_b64 s[4:5], s[16:17]
	s_cbranch_execz .LBB1447_80
.LBB1447_58:
	v_lshlrev_b32_e32 v28, 2, v29
	v_mov_b32_e32 v29, 0
	v_lshl_add_u64 v[28:29], s[68:69], 0, v[28:29]
	flat_load_dword v28, v[28:29]
	s_or_b64 exec, exec, s[4:5]
                                        ; implicit-def: $vgpr29
	s_and_saveexec_b64 s[4:5], s[18:19]
	s_cbranch_execnz .LBB1447_81
.LBB1447_59:
	s_or_b64 exec, exec, s[4:5]
                                        ; implicit-def: $vgpr30
	s_and_saveexec_b64 s[4:5], s[20:21]
	s_cbranch_execz .LBB1447_82
.LBB1447_60:
	v_lshlrev_b32_e32 v30, 2, v31
	v_mov_b32_e32 v31, 0
	v_lshl_add_u64 v[30:31], s[68:69], 0, v[30:31]
	flat_load_dword v30, v[30:31]
	s_or_b64 exec, exec, s[4:5]
                                        ; implicit-def: $vgpr31
	s_and_saveexec_b64 s[4:5], s[22:23]
	s_cbranch_execnz .LBB1447_83
.LBB1447_61:
	s_or_b64 exec, exec, s[4:5]
                                        ; implicit-def: $vgpr32
	s_and_saveexec_b64 s[4:5], s[24:25]
	s_cbranch_execz .LBB1447_84
.LBB1447_62:
	v_lshlrev_b32_e32 v32, 2, v33
	v_mov_b32_e32 v33, 0
	v_lshl_add_u64 v[32:33], s[68:69], 0, v[32:33]
	flat_load_dword v32, v[32:33]
	s_or_b64 exec, exec, s[4:5]
                                        ; implicit-def: $vgpr33
	s_and_saveexec_b64 s[4:5], s[26:27]
	s_cbranch_execnz .LBB1447_85
.LBB1447_63:
	s_or_b64 exec, exec, s[4:5]
                                        ; implicit-def: $vgpr34
	s_and_saveexec_b64 s[4:5], s[28:29]
	s_cbranch_execz .LBB1447_86
.LBB1447_64:
	v_lshlrev_b32_e32 v34, 2, v35
	v_mov_b32_e32 v35, 0
	v_lshl_add_u64 v[34:35], s[68:69], 0, v[34:35]
	flat_load_dword v34, v[34:35]
	s_or_b64 exec, exec, s[4:5]
                                        ; implicit-def: $vgpr35
	s_and_saveexec_b64 s[4:5], s[30:31]
	s_cbranch_execnz .LBB1447_87
.LBB1447_65:
	s_or_b64 exec, exec, s[4:5]
                                        ; implicit-def: $vgpr36
	s_and_saveexec_b64 s[4:5], s[34:35]
	s_cbranch_execz .LBB1447_88
.LBB1447_66:
	v_lshlrev_b32_e32 v36, 2, v37
	v_mov_b32_e32 v37, 0
	v_lshl_add_u64 v[36:37], s[68:69], 0, v[36:37]
	flat_load_dword v36, v[36:37]
	s_or_b64 exec, exec, s[4:5]
                                        ; implicit-def: $vgpr37
	s_and_saveexec_b64 s[4:5], s[36:37]
	s_cbranch_execnz .LBB1447_89
.LBB1447_67:
	s_or_b64 exec, exec, s[4:5]
                                        ; implicit-def: $vgpr38
	s_and_saveexec_b64 s[4:5], s[38:39]
	s_cbranch_execz .LBB1447_90
.LBB1447_68:
	v_lshlrev_b32_e32 v38, 2, v39
	v_mov_b32_e32 v39, 0
	v_lshl_add_u64 v[38:39], s[68:69], 0, v[38:39]
	flat_load_dword v38, v[38:39]
	s_or_b64 exec, exec, s[4:5]
                                        ; implicit-def: $vgpr39
	s_and_saveexec_b64 s[4:5], s[40:41]
	s_cbranch_execnz .LBB1447_91
.LBB1447_69:
	s_or_b64 exec, exec, s[4:5]
                                        ; implicit-def: $vgpr40
	s_and_saveexec_b64 s[4:5], s[42:43]
	s_cbranch_execz .LBB1447_92
.LBB1447_70:
	v_lshlrev_b32_e32 v40, 2, v41
	v_mov_b32_e32 v41, 0
	v_lshl_add_u64 v[40:41], s[68:69], 0, v[40:41]
	flat_load_dword v40, v[40:41]
	s_or_b64 exec, exec, s[4:5]
                                        ; implicit-def: $vgpr41
	s_and_saveexec_b64 s[4:5], s[44:45]
	s_cbranch_execz .LBB1447_94
	s_branch .LBB1447_93
.LBB1447_71:
	s_mov_b64 s[10:11], 0
                                        ; implicit-def: $sgpr8_sgpr9
                                        ; implicit-def: $vgpr27
                                        ; implicit-def: $vgpr1
                                        ; implicit-def: $vgpr26
                                        ; implicit-def: $vgpr52
                                        ; implicit-def: $vgpr48
                                        ; implicit-def: $vgpr29
                                        ; implicit-def: $vgpr69
                                        ; implicit-def: $vgpr49
                                        ; implicit-def: $vgpr28
                                        ; implicit-def: $vgpr68
                                        ; implicit-def: $vgpr24
                                        ; implicit-def: $vgpr31
                                        ; implicit-def: $vgpr67
                                        ; implicit-def: $vgpr50
                                        ; implicit-def: $vgpr30
                                        ; implicit-def: $vgpr66
                                        ; implicit-def: $vgpr46
                                        ; implicit-def: $vgpr33
                                        ; implicit-def: $vgpr65
                                        ; implicit-def: $vgpr51
                                        ; implicit-def: $vgpr32
                                        ; implicit-def: $vgpr64
                                        ; implicit-def: $vgpr44
                                        ; implicit-def: $vgpr35
                                        ; implicit-def: $vgpr63
                                        ; implicit-def: $vgpr53
                                        ; implicit-def: $vgpr34
                                        ; implicit-def: $vgpr62
                                        ; implicit-def: $vgpr45
                                        ; implicit-def: $vgpr37
                                        ; implicit-def: $vgpr61
                                        ; implicit-def: $vgpr54
                                        ; implicit-def: $vgpr36
                                        ; implicit-def: $vgpr60
                                        ; implicit-def: $vgpr42
                                        ; implicit-def: $vgpr39
                                        ; implicit-def: $vgpr59
                                        ; implicit-def: $vgpr55
                                        ; implicit-def: $vgpr38
                                        ; implicit-def: $vgpr58
                                        ; implicit-def: $vgpr43
                                        ; implicit-def: $vgpr41
                                        ; implicit-def: $vgpr57
                                        ; implicit-def: $vgpr56
                                        ; implicit-def: $vgpr40
                                        ; implicit-def: $sgpr6
                                        ; implicit-def: $sgpr3
	s_and_b64 vcc, exec, s[4:5]
	v_lshlrev_b32_e32 v10, 2, v0
	s_cbranch_vccz .LBB1447_148
	s_branch .LBB1447_143
.LBB1447_72:
	s_or_b64 exec, exec, s[50:51]
                                        ; implicit-def: $vgpr45
	s_and_saveexec_b64 s[50:51], s[48:49]
	s_cbranch_execz .LBB1447_51
.LBB1447_73:
	v_mov_b32_e32 v25, 0
	v_lshl_add_u64 v[48:49], s[68:69], 0, v[24:25]
	flat_load_dword v45, v[48:49] offset:1024
	s_or_b64 exec, exec, s[50:51]
                                        ; implicit-def: $vgpr46
	s_and_saveexec_b64 s[48:49], s[4:5]
	s_cbranch_execnz .LBB1447_52
.LBB1447_74:
	s_or_b64 exec, exec, s[48:49]
                                        ; implicit-def: $vgpr25
	s_and_saveexec_b64 s[4:5], s[6:7]
	s_cbranch_execz .LBB1447_53
.LBB1447_75:
	v_mov_b32_e32 v25, 0
	v_lshl_add_u64 v[48:49], s[68:69], 0, v[24:25]
	flat_load_dword v25, v[48:49] offset:3072
	s_or_b64 exec, exec, s[4:5]
                                        ; implicit-def: $vgpr48
	s_and_saveexec_b64 s[4:5], s[8:9]
	s_cbranch_execnz .LBB1447_54
.LBB1447_76:
	s_or_b64 exec, exec, s[4:5]
                                        ; implicit-def: $vgpr1
	s_and_saveexec_b64 s[4:5], s[10:11]
	s_cbranch_execz .LBB1447_55
.LBB1447_77:
	v_lshlrev_b32_e32 v50, 2, v26
	v_mov_b32_e32 v51, 0
	v_lshl_add_u64 v[50:51], s[68:69], 0, v[50:51]
	flat_load_dword v1, v[50:51]
	s_or_b64 exec, exec, s[4:5]
                                        ; implicit-def: $vgpr26
	s_and_saveexec_b64 s[4:5], s[12:13]
	s_cbranch_execnz .LBB1447_56
.LBB1447_78:
	s_or_b64 exec, exec, s[4:5]
                                        ; implicit-def: $vgpr27
	s_and_saveexec_b64 s[4:5], s[14:15]
	s_cbranch_execz .LBB1447_57
.LBB1447_79:
	v_lshlrev_b32_e32 v50, 2, v28
	v_mov_b32_e32 v51, 0
	v_lshl_add_u64 v[50:51], s[68:69], 0, v[50:51]
	flat_load_dword v27, v[50:51]
	s_or_b64 exec, exec, s[4:5]
                                        ; implicit-def: $vgpr28
	s_and_saveexec_b64 s[4:5], s[16:17]
	s_cbranch_execnz .LBB1447_58
.LBB1447_80:
	s_or_b64 exec, exec, s[4:5]
                                        ; implicit-def: $vgpr29
	s_and_saveexec_b64 s[4:5], s[18:19]
	s_cbranch_execz .LBB1447_59
.LBB1447_81:
	v_lshlrev_b32_e32 v50, 2, v30
	v_mov_b32_e32 v51, 0
	v_lshl_add_u64 v[50:51], s[68:69], 0, v[50:51]
	flat_load_dword v29, v[50:51]
	s_or_b64 exec, exec, s[4:5]
                                        ; implicit-def: $vgpr30
	s_and_saveexec_b64 s[4:5], s[20:21]
	s_cbranch_execnz .LBB1447_60
.LBB1447_82:
	s_or_b64 exec, exec, s[4:5]
                                        ; implicit-def: $vgpr31
	s_and_saveexec_b64 s[4:5], s[22:23]
	s_cbranch_execz .LBB1447_61
.LBB1447_83:
	v_lshlrev_b32_e32 v50, 2, v32
	v_mov_b32_e32 v51, 0
	v_lshl_add_u64 v[50:51], s[68:69], 0, v[50:51]
	flat_load_dword v31, v[50:51]
	s_or_b64 exec, exec, s[4:5]
                                        ; implicit-def: $vgpr32
	s_and_saveexec_b64 s[4:5], s[24:25]
	s_cbranch_execnz .LBB1447_62
.LBB1447_84:
	s_or_b64 exec, exec, s[4:5]
                                        ; implicit-def: $vgpr33
	s_and_saveexec_b64 s[4:5], s[26:27]
	s_cbranch_execz .LBB1447_63
.LBB1447_85:
	v_lshlrev_b32_e32 v50, 2, v34
	v_mov_b32_e32 v51, 0
	v_lshl_add_u64 v[50:51], s[68:69], 0, v[50:51]
	flat_load_dword v33, v[50:51]
	s_or_b64 exec, exec, s[4:5]
                                        ; implicit-def: $vgpr34
	s_and_saveexec_b64 s[4:5], s[28:29]
	s_cbranch_execnz .LBB1447_64
.LBB1447_86:
	s_or_b64 exec, exec, s[4:5]
                                        ; implicit-def: $vgpr35
	s_and_saveexec_b64 s[4:5], s[30:31]
	s_cbranch_execz .LBB1447_65
.LBB1447_87:
	v_lshlrev_b32_e32 v50, 2, v36
	v_mov_b32_e32 v51, 0
	v_lshl_add_u64 v[50:51], s[68:69], 0, v[50:51]
	flat_load_dword v35, v[50:51]
	s_or_b64 exec, exec, s[4:5]
                                        ; implicit-def: $vgpr36
	s_and_saveexec_b64 s[4:5], s[34:35]
	s_cbranch_execnz .LBB1447_66
.LBB1447_88:
	s_or_b64 exec, exec, s[4:5]
                                        ; implicit-def: $vgpr37
	s_and_saveexec_b64 s[4:5], s[36:37]
	s_cbranch_execz .LBB1447_67
.LBB1447_89:
	v_lshlrev_b32_e32 v50, 2, v38
	v_mov_b32_e32 v51, 0
	v_lshl_add_u64 v[50:51], s[68:69], 0, v[50:51]
	flat_load_dword v37, v[50:51]
	s_or_b64 exec, exec, s[4:5]
                                        ; implicit-def: $vgpr38
	s_and_saveexec_b64 s[4:5], s[38:39]
	s_cbranch_execnz .LBB1447_68
.LBB1447_90:
	s_or_b64 exec, exec, s[4:5]
                                        ; implicit-def: $vgpr39
	s_and_saveexec_b64 s[4:5], s[40:41]
	s_cbranch_execz .LBB1447_69
.LBB1447_91:
	v_lshlrev_b32_e32 v50, 2, v40
	v_mov_b32_e32 v51, 0
	v_lshl_add_u64 v[50:51], s[68:69], 0, v[50:51]
	flat_load_dword v39, v[50:51]
	s_or_b64 exec, exec, s[4:5]
                                        ; implicit-def: $vgpr40
	s_and_saveexec_b64 s[4:5], s[42:43]
	s_cbranch_execnz .LBB1447_70
.LBB1447_92:
	s_or_b64 exec, exec, s[4:5]
                                        ; implicit-def: $vgpr41
	s_and_saveexec_b64 s[4:5], s[44:45]
	s_cbranch_execz .LBB1447_94
.LBB1447_93:
	v_lshlrev_b32_e32 v50, 2, v42
	v_mov_b32_e32 v51, 0
	v_lshl_add_u64 v[50:51], s[68:69], 0, v[50:51]
	flat_load_dword v41, v[50:51]
.LBB1447_94:
	s_or_b64 exec, exec, s[4:5]
	v_mul_u32_u24_e32 v71, 23, v0
                                        ; implicit-def: $vgpr42
	s_and_saveexec_b64 s[4:5], s[46:47]
	s_cbranch_execz .LBB1447_96
; %bb.95:
	v_lshlrev_b32_e32 v42, 2, v43
	v_mov_b32_e32 v43, 0
	v_lshl_add_u64 v[42:43], s[68:69], 0, v[42:43]
	flat_load_dword v42, v[42:43]
.LBB1447_96:
	s_or_b64 exec, exec, s[4:5]
	s_waitcnt vmcnt(0) lgkmcnt(0)
	ds_write2st64_b32 v24, v44, v45 offset1:4
	ds_write2st64_b32 v24, v46, v25 offset0:8 offset1:12
	ds_write2st64_b32 v24, v48, v1 offset0:16 offset1:20
	;; [unrolled: 1-line block ×10, first 2 shown]
	ds_write_b32 v24, v42 offset:22528
	v_cmp_gt_u32_e32 vcc, s59, v71
	s_mov_b64 s[4:5], 0
	s_mov_b32 s3, 0
	v_mov_b32_e32 v1, 0
	v_mov_b32_e32 v26, 0
	s_mov_b64 s[10:11], 0
	v_mov_b32_e32 v52, 0
	v_mov_b32_e32 v48, 0
	;; [unrolled: 1-line block ×42, first 2 shown]
	s_waitcnt lgkmcnt(0)
	s_barrier
	s_waitcnt lgkmcnt(0)
                                        ; implicit-def: $sgpr8_sgpr9
                                        ; implicit-def: $vgpr27
	s_and_saveexec_b64 s[6:7], vcc
	s_cbranch_execz .LBB1447_142
; %bb.97:
	ds_read_b32 v24, v70
	v_add_u32_e32 v25, 1, v71
	v_cmp_ne_u32_e32 vcc, v72, v22
	v_mov_b32_e32 v26, s76
	v_mov_b32_e32 v52, 0
	v_cndmask_b32_e64 v1, 0, 1, vcc
	s_waitcnt lgkmcnt(0)
	v_cndmask_b32_e32 v48, v24, v26, vcc
	v_cmp_gt_u32_e32 vcc, s59, v25
	v_mov_b32_e32 v26, 0
	v_mov_b32_e32 v29, 0
	;; [unrolled: 1-line block ×41, first 2 shown]
                                        ; implicit-def: $sgpr12_sgpr13
                                        ; implicit-def: $vgpr27
	s_and_saveexec_b64 s[8:9], vcc
	s_cbranch_execz .LBB1447_141
; %bb.98:
	ds_read2_b32 v[24:25], v70 offset0:1 offset1:2
	v_add_u32_e32 v26, 2, v71
	v_cmp_ne_u32_e32 vcc, v22, v23
	v_mov_b32_e32 v22, s76
	s_mov_b64 s[14:15], 0
	v_cndmask_b32_e64 v49, 0, 1, vcc
	s_waitcnt lgkmcnt(0)
	v_cndmask_b32_e32 v24, v24, v22, vcc
	v_cmp_gt_u32_e32 vcc, s59, v26
	v_mov_b32_e32 v26, 0
	v_mov_b32_e32 v52, 0
	;; [unrolled: 1-line block ×40, first 2 shown]
                                        ; implicit-def: $sgpr12_sgpr13
                                        ; implicit-def: $vgpr27
	s_and_saveexec_b64 s[10:11], vcc
	s_cbranch_execz .LBB1447_140
; %bb.99:
	v_add_u32_e32 v22, 3, v71
	v_cmp_ne_u32_e32 vcc, v23, v20
	v_mov_b32_e32 v23, s76
	v_mov_b32_e32 v26, 0
	v_cndmask_b32_e64 v50, 0, 1, vcc
	v_cndmask_b32_e32 v46, v25, v23, vcc
	v_cmp_gt_u32_e32 vcc, s59, v22
	v_mov_b32_e32 v52, 0
	v_mov_b32_e32 v29, 0
	;; [unrolled: 1-line block ×37, first 2 shown]
                                        ; implicit-def: $sgpr16_sgpr17
                                        ; implicit-def: $vgpr27
	s_and_saveexec_b64 s[12:13], vcc
	s_cbranch_execz .LBB1447_139
; %bb.100:
	ds_read2_b32 v[22:23], v70 offset0:3 offset1:4
	v_add_u32_e32 v25, 4, v71
	v_cmp_ne_u32_e32 vcc, v20, v21
	v_mov_b32_e32 v20, s76
	s_mov_b64 s[18:19], 0
	v_cndmask_b32_e64 v51, 0, 1, vcc
	s_waitcnt lgkmcnt(0)
	v_cndmask_b32_e32 v44, v22, v20, vcc
	v_cmp_gt_u32_e32 vcc, s59, v25
	v_mov_b32_e32 v26, 0
	v_mov_b32_e32 v52, 0
	;; [unrolled: 1-line block ×36, first 2 shown]
                                        ; implicit-def: $sgpr16_sgpr17
                                        ; implicit-def: $vgpr27
	s_and_saveexec_b64 s[14:15], vcc
	s_cbranch_execz .LBB1447_138
; %bb.101:
	v_add_u32_e32 v20, 5, v71
	v_cmp_ne_u32_e32 vcc, v21, v18
	v_mov_b32_e32 v21, s76
	v_mov_b32_e32 v26, 0
	v_cndmask_b32_e64 v53, 0, 1, vcc
	v_cndmask_b32_e32 v45, v23, v21, vcc
	v_cmp_gt_u32_e32 vcc, s59, v20
	v_mov_b32_e32 v52, 0
	v_mov_b32_e32 v29, 0
	;; [unrolled: 1-line block ×33, first 2 shown]
                                        ; implicit-def: $sgpr20_sgpr21
                                        ; implicit-def: $vgpr27
	s_and_saveexec_b64 s[16:17], vcc
	s_cbranch_execz .LBB1447_137
; %bb.102:
	ds_read2_b32 v[20:21], v70 offset0:5 offset1:6
	v_add_u32_e32 v22, 6, v71
	v_cmp_ne_u32_e32 vcc, v18, v19
	v_mov_b32_e32 v18, s76
	s_mov_b64 s[22:23], 0
	v_cndmask_b32_e64 v54, 0, 1, vcc
	s_waitcnt lgkmcnt(0)
	v_cndmask_b32_e32 v42, v20, v18, vcc
	v_cmp_gt_u32_e32 vcc, s59, v22
	v_mov_b32_e32 v26, 0
	v_mov_b32_e32 v52, 0
	;; [unrolled: 1-line block ×32, first 2 shown]
                                        ; implicit-def: $sgpr20_sgpr21
                                        ; implicit-def: $vgpr27
	s_and_saveexec_b64 s[18:19], vcc
	s_cbranch_execz .LBB1447_136
; %bb.103:
	v_add_u32_e32 v18, 7, v71
	v_cmp_ne_u32_e32 vcc, v19, v16
	v_mov_b32_e32 v19, s76
	v_mov_b32_e32 v26, 0
	v_cndmask_b32_e64 v55, 0, 1, vcc
	v_cndmask_b32_e32 v43, v21, v19, vcc
	v_cmp_gt_u32_e32 vcc, s59, v18
	v_mov_b32_e32 v52, 0
	v_mov_b32_e32 v29, 0
	;; [unrolled: 1-line block ×29, first 2 shown]
                                        ; implicit-def: $sgpr24_sgpr25
                                        ; implicit-def: $vgpr27
	s_and_saveexec_b64 s[20:21], vcc
	s_cbranch_execz .LBB1447_135
; %bb.104:
	ds_read2_b32 v[18:19], v70 offset0:7 offset1:8
	v_add_u32_e32 v20, 8, v71
	v_cmp_ne_u32_e32 vcc, v16, v17
	v_mov_b32_e32 v16, s76
	s_mov_b64 s[26:27], 0
	v_cndmask_b32_e64 v56, 0, 1, vcc
	s_waitcnt lgkmcnt(0)
	v_cndmask_b32_e32 v40, v18, v16, vcc
	v_cmp_gt_u32_e32 vcc, s59, v20
	v_mov_b32_e32 v26, 0
	v_mov_b32_e32 v52, 0
	;; [unrolled: 1-line block ×28, first 2 shown]
                                        ; implicit-def: $sgpr24_sgpr25
                                        ; implicit-def: $vgpr27
	s_and_saveexec_b64 s[22:23], vcc
	s_cbranch_execz .LBB1447_134
; %bb.105:
	v_add_u32_e32 v16, 9, v71
	v_cmp_ne_u32_e32 vcc, v17, v14
	v_mov_b32_e32 v17, s76
	v_mov_b32_e32 v26, 0
	v_cndmask_b32_e64 v57, 0, 1, vcc
	v_cndmask_b32_e32 v41, v19, v17, vcc
	v_cmp_gt_u32_e32 vcc, s59, v16
	v_mov_b32_e32 v52, 0
	v_mov_b32_e32 v29, 0
	v_mov_b32_e32 v69, 0
	v_mov_b32_e32 v28, 0
	v_mov_b32_e32 v68, 0
	v_mov_b32_e32 v31, 0
	v_mov_b32_e32 v67, 0
	v_mov_b32_e32 v30, 0
	v_mov_b32_e32 v66, 0
	v_mov_b32_e32 v33, 0
	v_mov_b32_e32 v65, 0
	v_mov_b32_e32 v32, 0
	v_mov_b32_e32 v64, 0
	v_mov_b32_e32 v35, 0
	v_mov_b32_e32 v63, 0
	v_mov_b32_e32 v34, 0
	v_mov_b32_e32 v62, 0
	v_mov_b32_e32 v37, 0
	v_mov_b32_e32 v61, 0
	v_mov_b32_e32 v36, 0
	v_mov_b32_e32 v60, 0
	v_mov_b32_e32 v39, 0
	v_mov_b32_e32 v59, 0
	v_mov_b32_e32 v38, 0
	v_mov_b32_e32 v58, 0
                                        ; implicit-def: $sgpr28_sgpr29
                                        ; implicit-def: $vgpr27
	s_and_saveexec_b64 s[24:25], vcc
	s_cbranch_execz .LBB1447_133
; %bb.106:
	ds_read2_b32 v[16:17], v70 offset0:9 offset1:10
	v_add_u32_e32 v18, 10, v71
	v_cmp_ne_u32_e32 vcc, v14, v15
	v_mov_b32_e32 v14, s76
	s_mov_b64 s[30:31], 0
	v_cndmask_b32_e64 v58, 0, 1, vcc
	s_waitcnt lgkmcnt(0)
	v_cndmask_b32_e32 v38, v16, v14, vcc
	v_cmp_gt_u32_e32 vcc, s59, v18
	v_mov_b32_e32 v26, 0
	v_mov_b32_e32 v52, 0
	v_mov_b32_e32 v29, 0
	v_mov_b32_e32 v69, 0
	v_mov_b32_e32 v28, 0
	v_mov_b32_e32 v68, 0
	v_mov_b32_e32 v31, 0
	v_mov_b32_e32 v67, 0
	v_mov_b32_e32 v30, 0
	v_mov_b32_e32 v66, 0
	v_mov_b32_e32 v33, 0
	v_mov_b32_e32 v65, 0
	v_mov_b32_e32 v32, 0
	v_mov_b32_e32 v64, 0
	v_mov_b32_e32 v35, 0
	v_mov_b32_e32 v63, 0
	v_mov_b32_e32 v34, 0
	v_mov_b32_e32 v62, 0
	v_mov_b32_e32 v37, 0
	v_mov_b32_e32 v61, 0
	v_mov_b32_e32 v36, 0
	v_mov_b32_e32 v60, 0
	v_mov_b32_e32 v39, 0
	v_mov_b32_e32 v59, 0
                                        ; implicit-def: $sgpr28_sgpr29
                                        ; implicit-def: $vgpr27
	s_and_saveexec_b64 s[26:27], vcc
	s_cbranch_execz .LBB1447_132
; %bb.107:
	v_add_u32_e32 v14, 11, v71
	v_cmp_ne_u32_e32 vcc, v15, v12
	v_mov_b32_e32 v15, s76
	v_mov_b32_e32 v26, 0
	v_cndmask_b32_e64 v59, 0, 1, vcc
	v_cndmask_b32_e32 v39, v17, v15, vcc
	v_cmp_gt_u32_e32 vcc, s59, v14
	v_mov_b32_e32 v52, 0
	v_mov_b32_e32 v29, 0
	;; [unrolled: 1-line block ×21, first 2 shown]
                                        ; implicit-def: $sgpr34_sgpr35
                                        ; implicit-def: $vgpr27
	s_and_saveexec_b64 s[28:29], vcc
	s_cbranch_execz .LBB1447_131
; %bb.108:
	ds_read2_b32 v[14:15], v70 offset0:11 offset1:12
	v_add_u32_e32 v16, 12, v71
	v_cmp_ne_u32_e32 vcc, v12, v13
	v_mov_b32_e32 v12, s76
	s_mov_b64 s[36:37], 0
	v_cndmask_b32_e64 v60, 0, 1, vcc
	s_waitcnt lgkmcnt(0)
	v_cndmask_b32_e32 v36, v14, v12, vcc
	v_cmp_gt_u32_e32 vcc, s59, v16
	v_mov_b32_e32 v26, 0
	v_mov_b32_e32 v52, 0
	;; [unrolled: 1-line block ×20, first 2 shown]
                                        ; implicit-def: $sgpr34_sgpr35
                                        ; implicit-def: $vgpr27
	s_and_saveexec_b64 s[30:31], vcc
	s_cbranch_execz .LBB1447_130
; %bb.109:
	v_add_u32_e32 v12, 13, v71
	v_cmp_ne_u32_e32 vcc, v13, v10
	v_mov_b32_e32 v13, s76
	v_mov_b32_e32 v26, 0
	v_cndmask_b32_e64 v61, 0, 1, vcc
	v_cndmask_b32_e32 v37, v15, v13, vcc
	v_cmp_gt_u32_e32 vcc, s59, v12
	v_mov_b32_e32 v52, 0
	v_mov_b32_e32 v29, 0
	;; [unrolled: 1-line block ×17, first 2 shown]
                                        ; implicit-def: $sgpr38_sgpr39
                                        ; implicit-def: $vgpr27
	s_and_saveexec_b64 s[34:35], vcc
	s_cbranch_execz .LBB1447_129
; %bb.110:
	ds_read2_b32 v[12:13], v70 offset0:13 offset1:14
	v_add_u32_e32 v14, 14, v71
	v_cmp_ne_u32_e32 vcc, v10, v11
	v_mov_b32_e32 v10, s76
	s_mov_b64 s[40:41], 0
	v_cndmask_b32_e64 v62, 0, 1, vcc
	s_waitcnt lgkmcnt(0)
	v_cndmask_b32_e32 v34, v12, v10, vcc
	v_cmp_gt_u32_e32 vcc, s59, v14
	v_mov_b32_e32 v26, 0
	v_mov_b32_e32 v52, 0
	;; [unrolled: 1-line block ×16, first 2 shown]
                                        ; implicit-def: $sgpr38_sgpr39
                                        ; implicit-def: $vgpr27
	s_and_saveexec_b64 s[36:37], vcc
	s_cbranch_execz .LBB1447_128
; %bb.111:
	v_add_u32_e32 v10, 15, v71
	v_cmp_ne_u32_e32 vcc, v11, v8
	v_mov_b32_e32 v11, s76
	v_mov_b32_e32 v26, 0
	v_cndmask_b32_e64 v63, 0, 1, vcc
	v_cndmask_b32_e32 v35, v13, v11, vcc
	v_cmp_gt_u32_e32 vcc, s59, v10
	v_mov_b32_e32 v52, 0
	v_mov_b32_e32 v29, 0
	;; [unrolled: 1-line block ×13, first 2 shown]
                                        ; implicit-def: $sgpr42_sgpr43
                                        ; implicit-def: $vgpr27
	s_and_saveexec_b64 s[38:39], vcc
	s_cbranch_execz .LBB1447_127
; %bb.112:
	ds_read2_b32 v[10:11], v70 offset0:15 offset1:16
	v_add_u32_e32 v12, 16, v71
	v_cmp_ne_u32_e32 vcc, v8, v9
	v_mov_b32_e32 v8, s76
	s_mov_b64 s[44:45], 0
	v_cndmask_b32_e64 v64, 0, 1, vcc
	s_waitcnt lgkmcnt(0)
	v_cndmask_b32_e32 v32, v10, v8, vcc
	v_cmp_gt_u32_e32 vcc, s59, v12
	v_mov_b32_e32 v26, 0
	v_mov_b32_e32 v52, 0
	;; [unrolled: 1-line block ×12, first 2 shown]
                                        ; implicit-def: $sgpr42_sgpr43
                                        ; implicit-def: $vgpr27
	s_and_saveexec_b64 s[40:41], vcc
	s_cbranch_execz .LBB1447_126
; %bb.113:
	v_add_u32_e32 v8, 17, v71
	v_cmp_ne_u32_e32 vcc, v9, v6
	v_mov_b32_e32 v9, s76
	v_mov_b32_e32 v26, 0
	v_cndmask_b32_e64 v65, 0, 1, vcc
	v_cndmask_b32_e32 v33, v11, v9, vcc
	v_cmp_gt_u32_e32 vcc, s59, v8
	v_mov_b32_e32 v52, 0
	v_mov_b32_e32 v29, 0
	;; [unrolled: 1-line block ×9, first 2 shown]
                                        ; implicit-def: $sgpr46_sgpr47
                                        ; implicit-def: $vgpr27
	s_and_saveexec_b64 s[42:43], vcc
	s_cbranch_execz .LBB1447_125
; %bb.114:
	ds_read2_b32 v[8:9], v70 offset0:17 offset1:18
	v_add_u32_e32 v10, 18, v71
	v_cmp_ne_u32_e32 vcc, v6, v7
	v_mov_b32_e32 v6, s76
	s_mov_b64 s[48:49], 0
	v_cndmask_b32_e64 v66, 0, 1, vcc
	s_waitcnt lgkmcnt(0)
	v_cndmask_b32_e32 v30, v8, v6, vcc
	v_cmp_gt_u32_e32 vcc, s59, v10
	v_mov_b32_e32 v26, 0
	v_mov_b32_e32 v52, 0
	v_mov_b32_e32 v29, 0
	v_mov_b32_e32 v69, 0
	v_mov_b32_e32 v28, 0
	v_mov_b32_e32 v68, 0
	v_mov_b32_e32 v31, 0
	v_mov_b32_e32 v67, 0
                                        ; implicit-def: $sgpr46_sgpr47
                                        ; implicit-def: $vgpr27
	s_and_saveexec_b64 s[44:45], vcc
	s_cbranch_execz .LBB1447_124
; %bb.115:
	v_add_u32_e32 v6, 19, v71
	v_cmp_ne_u32_e32 vcc, v7, v4
	v_mov_b32_e32 v7, s76
	v_mov_b32_e32 v26, 0
	v_cndmask_b32_e64 v67, 0, 1, vcc
	v_cndmask_b32_e32 v31, v9, v7, vcc
	v_cmp_gt_u32_e32 vcc, s59, v6
	v_mov_b32_e32 v52, 0
	v_mov_b32_e32 v29, 0
	;; [unrolled: 1-line block ×5, first 2 shown]
                                        ; implicit-def: $sgpr50_sgpr51
                                        ; implicit-def: $vgpr27
	s_and_saveexec_b64 s[46:47], vcc
	s_cbranch_execz .LBB1447_123
; %bb.116:
	ds_read2_b32 v[6:7], v70 offset0:19 offset1:20
	v_add_u32_e32 v8, 20, v71
	v_cmp_ne_u32_e32 vcc, v4, v5
	v_mov_b32_e32 v4, s76
	s_mov_b64 s[60:61], 0
	v_cndmask_b32_e64 v68, 0, 1, vcc
	s_waitcnt lgkmcnt(0)
	v_cndmask_b32_e32 v28, v6, v4, vcc
	v_cmp_gt_u32_e32 vcc, s59, v8
	v_mov_b32_e32 v26, 0
	v_mov_b32_e32 v52, 0
	;; [unrolled: 1-line block ×4, first 2 shown]
                                        ; implicit-def: $sgpr50_sgpr51
                                        ; implicit-def: $vgpr27
	s_and_saveexec_b64 s[48:49], vcc
	s_cbranch_execz .LBB1447_122
; %bb.117:
	v_add_u32_e32 v4, 21, v71
	v_cmp_ne_u32_e32 vcc, v5, v2
	v_mov_b32_e32 v5, s76
	v_mov_b32_e32 v26, 0
	v_cndmask_b32_e64 v69, 0, 1, vcc
	v_cndmask_b32_e32 v29, v7, v5, vcc
	v_cmp_gt_u32_e32 vcc, s59, v4
	v_mov_b32_e32 v52, 0
                                        ; implicit-def: $sgpr72_sgpr73
                                        ; implicit-def: $vgpr27
	s_and_saveexec_b64 s[50:51], vcc
	s_cbranch_execz .LBB1447_121
; %bb.118:
	ds_read2_b32 v[4:5], v70 offset0:21 offset1:22
	v_add_u32_e32 v6, 22, v71
	v_cmp_ne_u32_e32 vcc, v2, v3
	v_mov_b32_e32 v2, s76
                                        ; implicit-def: $sgpr72_sgpr73
                                        ; implicit-def: $vgpr27
	s_nop 0
	v_cndmask_b32_e64 v52, 0, 1, vcc
	s_waitcnt lgkmcnt(0)
	v_cndmask_b32_e32 v26, v4, v2, vcc
	v_cmp_gt_u32_e32 vcc, s59, v6
	s_and_saveexec_b64 s[74:75], vcc
	s_xor_b64 s[74:75], exec, s[74:75]
; %bb.119:
	v_mov_b32_e32 v2, s76
	v_cmp_ne_u32_e32 vcc, v3, v47
	s_mov_b64 s[60:61], exec
	s_and_b64 s[72:73], vcc, exec
	v_cndmask_b32_e32 v27, v5, v2, vcc
; %bb.120:
	s_or_b64 exec, exec, s[74:75]
	s_and_b64 s[72:73], s[72:73], exec
	s_and_b64 s[60:61], s[60:61], exec
.LBB1447_121:
	s_or_b64 exec, exec, s[50:51]
	s_and_b64 s[50:51], s[72:73], exec
	s_and_b64 s[60:61], s[60:61], exec
.LBB1447_122:
	s_or_b64 exec, exec, s[48:49]
	s_and_b64 s[50:51], s[50:51], exec
	s_and_b64 s[48:49], s[60:61], exec
.LBB1447_123:
	s_or_b64 exec, exec, s[46:47]
	s_and_b64 s[46:47], s[50:51], exec
	s_and_b64 s[48:49], s[48:49], exec
.LBB1447_124:
	s_or_b64 exec, exec, s[44:45]
	s_and_b64 s[46:47], s[46:47], exec
	s_and_b64 s[44:45], s[48:49], exec
.LBB1447_125:
	s_or_b64 exec, exec, s[42:43]
	s_and_b64 s[42:43], s[46:47], exec
	s_and_b64 s[44:45], s[44:45], exec
.LBB1447_126:
	s_or_b64 exec, exec, s[40:41]
	s_and_b64 s[42:43], s[42:43], exec
	s_and_b64 s[40:41], s[44:45], exec
.LBB1447_127:
	s_or_b64 exec, exec, s[38:39]
	s_and_b64 s[38:39], s[42:43], exec
	s_and_b64 s[40:41], s[40:41], exec
.LBB1447_128:
	s_or_b64 exec, exec, s[36:37]
	s_and_b64 s[38:39], s[38:39], exec
	s_and_b64 s[36:37], s[40:41], exec
.LBB1447_129:
	s_or_b64 exec, exec, s[34:35]
	s_and_b64 s[34:35], s[38:39], exec
	s_and_b64 s[36:37], s[36:37], exec
.LBB1447_130:
	s_or_b64 exec, exec, s[30:31]
	s_and_b64 s[34:35], s[34:35], exec
	s_and_b64 s[30:31], s[36:37], exec
.LBB1447_131:
	s_or_b64 exec, exec, s[28:29]
	s_and_b64 s[28:29], s[34:35], exec
	s_and_b64 s[30:31], s[30:31], exec
.LBB1447_132:
	s_or_b64 exec, exec, s[26:27]
	s_and_b64 s[28:29], s[28:29], exec
	s_and_b64 s[26:27], s[30:31], exec
.LBB1447_133:
	s_or_b64 exec, exec, s[24:25]
	s_and_b64 s[24:25], s[28:29], exec
	s_and_b64 s[26:27], s[26:27], exec
.LBB1447_134:
	s_or_b64 exec, exec, s[22:23]
	s_and_b64 s[24:25], s[24:25], exec
	s_and_b64 s[22:23], s[26:27], exec
.LBB1447_135:
	s_or_b64 exec, exec, s[20:21]
	s_and_b64 s[20:21], s[24:25], exec
	s_and_b64 s[22:23], s[22:23], exec
.LBB1447_136:
	s_or_b64 exec, exec, s[18:19]
	s_and_b64 s[20:21], s[20:21], exec
	s_and_b64 s[18:19], s[22:23], exec
.LBB1447_137:
	s_or_b64 exec, exec, s[16:17]
	s_and_b64 s[16:17], s[20:21], exec
	s_and_b64 s[18:19], s[18:19], exec
.LBB1447_138:
	s_or_b64 exec, exec, s[14:15]
	s_and_b64 s[16:17], s[16:17], exec
	s_and_b64 s[14:15], s[18:19], exec
.LBB1447_139:
	s_or_b64 exec, exec, s[12:13]
	s_and_b64 s[12:13], s[16:17], exec
	s_and_b64 s[14:15], s[14:15], exec
.LBB1447_140:
	s_or_b64 exec, exec, s[10:11]
	s_and_b64 s[12:13], s[12:13], exec
	s_and_b64 s[10:11], s[14:15], exec
.LBB1447_141:
	s_or_b64 exec, exec, s[8:9]
	s_and_b64 s[8:9], s[12:13], exec
	s_and_b64 s[10:11], s[10:11], exec
.LBB1447_142:
	s_or_b64 exec, exec, s[6:7]
	s_mov_b32 s6, 0
	s_and_b64 vcc, exec, s[4:5]
	v_lshlrev_b32_e32 v10, 2, v0
	s_cbranch_vccz .LBB1447_148
.LBB1447_143:
	v_mov_b32_e32 v11, 0
	v_lshl_add_u64 v[2:3], s[70:71], 0, v[10:11]
	v_add_co_u32_e32 v4, vcc, 0x1000, v2
	s_movk_i32 s4, 0x58
	s_nop 0
	v_addc_co_u32_e32 v5, vcc, 0, v3, vcc
	flat_load_dword v1, v[2:3]
	flat_load_dword v8, v[2:3] offset:1024
	flat_load_dword v9, v[2:3] offset:2048
	;; [unrolled: 1-line block ×3, first 2 shown]
	flat_load_dword v13, v[4:5]
	flat_load_dword v14, v[4:5] offset:1024
	flat_load_dword v15, v[4:5] offset:2048
	flat_load_dword v16, v[4:5] offset:3072
	v_add_co_u32_e32 v4, vcc, 0x2000, v2
	s_movk_i32 s9, 0x1000
	s_nop 0
	v_addc_co_u32_e32 v5, vcc, 0, v3, vcc
	v_add_co_u32_e32 v6, vcc, 0x3000, v2
	s_movk_i32 s8, 0x2000
	s_nop 0
	v_addc_co_u32_e32 v7, vcc, 0, v3, vcc
	flat_load_dword v17, v[4:5]
	flat_load_dword v18, v[4:5] offset:1024
	flat_load_dword v19, v[4:5] offset:2048
	;; [unrolled: 1-line block ×3, first 2 shown]
	flat_load_dword v21, v[6:7]
	flat_load_dword v22, v[6:7] offset:1024
	flat_load_dword v23, v[6:7] offset:2048
	;; [unrolled: 1-line block ×3, first 2 shown]
	v_add_co_u32_e32 v4, vcc, 0x4000, v2
	s_movk_i32 s7, 0x3000
	s_nop 0
	v_addc_co_u32_e32 v5, vcc, 0, v3, vcc
	v_add_co_u32_e32 v2, vcc, 0x5000, v2
	s_movk_i32 s6, 0x4000
	s_nop 0
	v_addc_co_u32_e32 v3, vcc, 0, v3, vcc
	flat_load_dword v6, v[4:5]
	flat_load_dword v7, v[4:5] offset:1024
	flat_load_dword v25, v[4:5] offset:2048
	;; [unrolled: 1-line block ×3, first 2 shown]
	flat_load_dword v27, v[2:3]
	flat_load_dword v28, v[2:3] offset:1024
	flat_load_dword v29, v[2:3] offset:2048
	v_mov_b32_e32 v2, s70
	v_mov_b32_e32 v3, s71
	v_add_co_u32_e32 v2, vcc, 0x5000, v2
	s_movk_i32 s3, 0x5000
	s_nop 0
	v_addc_co_u32_e32 v3, vcc, 0, v3, vcc
	s_waitcnt vmcnt(0) lgkmcnt(0)
	ds_write2st64_b32 v10, v1, v8 offset1:4
	ds_write2st64_b32 v10, v9, v12 offset0:8 offset1:12
	ds_write2st64_b32 v10, v13, v14 offset0:16 offset1:20
	;; [unrolled: 1-line block ×10, first 2 shown]
	ds_write_b32 v10, v29 offset:22528
	s_waitcnt lgkmcnt(0)
	s_barrier
	flat_load_dword v70, v[2:3] offset:3072
	v_mad_u32_u24 v1, v0, s4, v10
	s_movk_i32 s4, 0xffa8
	v_mad_i32_i24 v26, v0, s4, v1
	s_movk_i32 s4, 0xff
	v_cmp_ne_u32_e32 vcc, s4, v0
	ds_read_b32 v48, v1
	ds_read2_b32 v[24:25], v1 offset0:1 offset1:2
	ds_read2_b32 v[22:23], v1 offset0:3 offset1:4
	;; [unrolled: 1-line block ×11, first 2 shown]
	s_waitcnt lgkmcnt(0)
	ds_write_b32 v26, v48 offset:24576
	s_waitcnt lgkmcnt(0)
	s_barrier
	s_and_saveexec_b64 s[4:5], vcc
	s_cbranch_execz .LBB1447_145
; %bb.144:
	s_waitcnt vmcnt(0)
	ds_read_b32 v70, v10 offset:24580
.LBB1447_145:
	s_or_b64 exec, exec, s[4:5]
	v_lshl_add_u64 v[26:27], s[68:69], 0, v[10:11]
	v_add_co_u32_e32 v28, vcc, s9, v26
	s_waitcnt lgkmcnt(0)
	s_nop 0
	v_addc_co_u32_e32 v29, vcc, 0, v27, vcc
	s_barrier
	flat_load_dword v11, v[26:27]
	flat_load_dword v32, v[26:27] offset:1024
	flat_load_dword v33, v[26:27] offset:2048
	;; [unrolled: 1-line block ×3, first 2 shown]
	flat_load_dword v35, v[28:29]
	flat_load_dword v36, v[28:29] offset:1024
	flat_load_dword v37, v[28:29] offset:2048
	;; [unrolled: 1-line block ×3, first 2 shown]
	v_add_co_u32_e32 v28, vcc, s8, v26
	v_cmp_eq_u32_e64 s[4:5], v48, v24
	s_nop 0
	v_addc_co_u32_e32 v29, vcc, 0, v27, vcc
	v_add_co_u32_e32 v30, vcc, s7, v26
	s_nop 1
	v_addc_co_u32_e32 v31, vcc, 0, v27, vcc
	flat_load_dword v39, v[28:29]
	flat_load_dword v40, v[28:29] offset:1024
	flat_load_dword v41, v[28:29] offset:2048
	;; [unrolled: 1-line block ×3, first 2 shown]
	flat_load_dword v43, v[30:31]
	flat_load_dword v44, v[30:31] offset:1024
	flat_load_dword v45, v[30:31] offset:2048
	flat_load_dword v46, v[30:31] offset:3072
	v_add_co_u32_e32 v28, vcc, s6, v26
	s_nop 1
	v_addc_co_u32_e32 v29, vcc, 0, v27, vcc
	v_add_co_u32_e32 v26, vcc, s3, v26
	s_nop 1
	v_addc_co_u32_e32 v27, vcc, 0, v27, vcc
	flat_load_dword v30, v[28:29]
	flat_load_dword v31, v[28:29] offset:1024
	flat_load_dword v47, v[28:29] offset:2048
	;; [unrolled: 1-line block ×3, first 2 shown]
	flat_load_dword v50, v[26:27]
	flat_load_dword v51, v[26:27] offset:1024
	flat_load_dword v52, v[26:27] offset:2048
	v_cmp_ne_u32_e32 vcc, v48, v24
	v_mov_b32_e32 v48, s76
	s_waitcnt vmcnt(0) lgkmcnt(0)
	ds_write2st64_b32 v10, v11, v32 offset1:4
	ds_write2st64_b32 v10, v33, v34 offset0:8 offset1:12
	ds_write2st64_b32 v10, v35, v36 offset0:16 offset1:20
	ds_write2st64_b32 v10, v37, v38 offset0:24 offset1:28
	ds_write2st64_b32 v10, v39, v40 offset0:32 offset1:36
	ds_write2st64_b32 v10, v41, v42 offset0:40 offset1:44
	ds_write2st64_b32 v10, v43, v44 offset0:48 offset1:52
	ds_write2st64_b32 v10, v45, v46 offset0:56 offset1:60
	ds_write2st64_b32 v10, v30, v31 offset0:64 offset1:68
	ds_write2st64_b32 v10, v47, v49 offset0:72 offset1:76
	ds_write2st64_b32 v10, v50, v51 offset0:80 offset1:84
	ds_write_b32 v10, v52 offset:22528
	s_waitcnt lgkmcnt(0)
	s_barrier
	ds_read2_b32 v[46:47], v1 offset0:1 offset1:2
	ds_read2_b32 v[44:45], v1 offset0:3 offset1:4
	;; [unrolled: 1-line block ×11, first 2 shown]
	s_and_saveexec_b64 s[6:7], s[4:5]
	s_cbranch_execz .LBB1447_147
; %bb.146:
	ds_read_b32 v48, v1
.LBB1447_147:
	s_or_b64 exec, exec, s[6:7]
	v_cmp_ne_u32_e64 s[8:9], v23, v20
	v_cmp_ne_u32_e64 s[42:43], v5, v2
	;; [unrolled: 1-line block ×3, first 2 shown]
	v_mov_b32_e32 v2, s76
	v_cndmask_b32_e64 v1, 0, 1, vcc
	v_cmp_ne_u32_e32 vcc, v24, v25
	v_cmp_ne_u32_e64 s[4:5], v25, v22
	v_cmp_ne_u32_e64 s[6:7], v22, v23
	v_cndmask_b32_e64 v53, 0, 1, s[8:9]
	v_cmp_ne_u32_e64 s[10:11], v20, v21
	v_cmp_ne_u32_e64 s[12:13], v21, v18
	;; [unrolled: 1-line block ×15, first 2 shown]
	s_waitcnt lgkmcnt(9)
	v_cndmask_b32_e64 v45, v45, v2, s[8:9]
	v_cmp_ne_u32_e64 s[8:9], v3, v70
	v_cndmask_b32_e64 v49, 0, 1, vcc
	v_cndmask_b32_e64 v50, 0, 1, s[4:5]
	v_cndmask_b32_e64 v51, 0, 1, s[6:7]
	;; [unrolled: 1-line block ×19, first 2 shown]
	v_cndmask_b32_e32 v24, v46, v2, vcc
	v_cndmask_b32_e64 v46, v47, v2, s[4:5]
	v_cndmask_b32_e64 v44, v44, v2, s[6:7]
	s_waitcnt lgkmcnt(8)
	v_cndmask_b32_e64 v42, v42, v2, s[10:11]
	v_cndmask_b32_e64 v43, v43, v2, s[12:13]
	s_waitcnt lgkmcnt(7)
	;; [unrolled: 3-line block ×9, first 2 shown]
	v_cndmask_b32_e64 v26, v26, v2, s[44:45]
	v_cndmask_b32_e64 v27, v27, v2, s[8:9]
	s_mov_b64 s[10:11], -1
                                        ; implicit-def: $sgpr6
                                        ; implicit-def: $sgpr3
.LBB1447_148:
	v_mov_b32_e32 v11, s3
	v_mov_b32_e32 v16, s6
	s_and_saveexec_b64 s[4:5], s[10:11]
; %bb.149:
	v_cndmask_b32_e64 v11, 0, 1, s[8:9]
	v_mov_b32_e32 v16, v27
; %bb.150:
	s_or_b64 exec, exec, s[4:5]
	v_or_b32_e32 v2, v11, v52
	s_cmp_lg_u32 s2, 0
	v_add_f32_e32 v19, v24, v48
	v_or_b32_e32 v18, v2, v69
	v_lshrrev_b32_e32 v17, 5, v0
	v_cmp_gt_u32_e32 vcc, 64, v0
	s_barrier
	s_cbranch_scc0 .LBB1447_213
; %bb.151:
	v_mov_b32_e32 v6, 0
	v_cmp_eq_u16_sdwa s[50:51], v49, v6 src0_sel:BYTE_0 src1_sel:DWORD
	v_cmp_eq_u16_sdwa s[4:5], v50, v6 src0_sel:BYTE_0 src1_sel:DWORD
	v_cmp_eq_u16_sdwa s[6:7], v51, v6 src0_sel:BYTE_0 src1_sel:DWORD
	v_cndmask_b32_e64 v2, v24, v19, s[50:51]
	v_add_f32_e32 v2, v46, v2
	v_cndmask_b32_e64 v2, v46, v2, s[4:5]
	v_add_f32_e32 v2, v44, v2
	v_cndmask_b32_e64 v2, v44, v2, s[6:7]
	v_add_f32_e32 v2, v45, v2
	v_cmp_eq_u16_sdwa s[8:9], v53, v6 src0_sel:BYTE_0 src1_sel:DWORD
	v_cmp_eq_u16_sdwa s[10:11], v54, v6 src0_sel:BYTE_0 src1_sel:DWORD
	v_cmp_eq_u16_sdwa s[12:13], v55, v6 src0_sel:BYTE_0 src1_sel:DWORD
	v_cndmask_b32_e64 v2, v45, v2, s[8:9]
	v_add_f32_e32 v2, v42, v2
	v_cndmask_b32_e64 v2, v42, v2, s[10:11]
	v_add_f32_e32 v2, v43, v2
	v_cndmask_b32_e64 v2, v43, v2, s[12:13]
	v_add_f32_e32 v2, v40, v2
	;; [unrolled: 9-line block ×7, first 2 shown]
	v_cmp_eq_u16_sdwa s[46:47], v11, v6 src0_sel:BYTE_0 src1_sel:DWORD
	v_and_b32_e32 v3, 0xff, v1
	s_nop 0
	v_cndmask_b32_e64 v20, v16, v2, s[46:47]
	v_or_b32_e32 v2, v18, v68
	v_or_b32_e32 v2, v2, v67
	;; [unrolled: 1-line block ×19, first 2 shown]
	v_and_b32_e32 v2, 1, v2
	v_cmp_eq_u32_e64 s[46:47], 1, v2
	v_add_lshl_u32 v2, v17, v0, 3
	s_nop 0
	v_cndmask_b32_e64 v21, v3, 1, s[46:47]
	ds_write_b32 v2, v20
	ds_write_b8 v2, v21 offset:4
	s_waitcnt lgkmcnt(0)
	s_barrier
	s_and_saveexec_b64 s[48:49], vcc
	s_cbranch_execz .LBB1447_165
; %bb.152:
	v_lshrrev_b32_e32 v2, 3, v0
	v_add_lshl_u32 v4, v2, v10, 3
	ds_read2_b32 v[8:9], v4 offset0:2 offset1:4
	ds_read_b64 v[2:3], v4
	ds_read_u8 v7, v4 offset:12
	ds_read_u8 v12, v4 offset:20
	ds_read_b32 v14, v4 offset:24
	ds_read_u8 v15, v4 offset:28
	s_waitcnt lgkmcnt(4)
	v_add_f32_e32 v5, v2, v8
	s_waitcnt lgkmcnt(3)
	v_cmp_eq_u16_sdwa s[46:47], v7, v6 src0_sel:BYTE_0 src1_sel:DWORD
	v_and_b32_e32 v13, 0xffffff00, v3
	s_nop 0
	v_cndmask_b32_e64 v8, v8, v5, s[46:47]
	v_add_f32_e32 v8, v9, v8
	s_waitcnt lgkmcnt(2)
	v_cmp_eq_u16_sdwa s[46:47], v12, v6 src0_sel:BYTE_0 src1_sel:DWORD
	v_and_b32_e32 v5, 1, v3
	s_nop 0
	v_cndmask_b32_e64 v6, v9, v8, s[46:47]
	s_waitcnt lgkmcnt(0)
	v_or_b32_e32 v8, v15, v12
	v_or_b32_e32 v7, v8, v7
	v_add_f32_e32 v6, v14, v6
	v_cmp_eq_u16_e64 s[46:47], 0, v15
	v_and_b32_e32 v7, 1, v7
	s_nop 0
	v_cndmask_b32_e64 v6, v14, v6, s[46:47]
	v_cmp_eq_u32_e64 s[46:47], 1, v7
	v_mbcnt_lo_u32_b32 v7, -1, 0
	v_mbcnt_hi_u32_b32 v7, -1, v7
	v_cndmask_b32_e64 v9, v5, 1, s[46:47]
	v_or_b32_e32 v8, v9, v13
	v_and_b32_e32 v12, 15, v7
	v_mov_b32_dpp v15, v6 row_shr:1 row_mask:0xf bank_mask:0xf
	v_mov_b32_dpp v14, v8 row_shr:1 row_mask:0xf bank_mask:0xf
	v_cmp_ne_u32_e64 s[46:47], 0, v12
	s_and_saveexec_b64 s[60:61], s[46:47]
; %bb.153:
	v_add_f32_e32 v8, v6, v15
	v_cmp_eq_u32_e64 s[46:47], 0, v9
	s_nop 1
	v_cndmask_b32_e64 v6, v6, v8, s[46:47]
	v_and_b32_e32 v8, 1, v9
	v_and_b32_e32 v9, 1, v14
	v_cmp_eq_u32_e64 s[46:47], 1, v8
	s_nop 1
	v_cndmask_b32_e64 v9, v9, 1, s[46:47]
	v_or_b32_e32 v8, v9, v13
; %bb.154:
	s_or_b64 exec, exec, s[60:61]
	v_mov_b32_dpp v14, v6 row_shr:2 row_mask:0xf bank_mask:0xf
	v_mov_b32_dpp v13, v8 row_shr:2 row_mask:0xf bank_mask:0xf
	v_cmp_lt_u32_e64 s[46:47], 1, v12
	s_and_saveexec_b64 s[60:61], s[46:47]
; %bb.155:
	v_add_f32_e32 v14, v6, v14
	v_cmp_eq_u32_e64 s[46:47], 0, v9
	v_and_b32_e32 v9, 1, v9
	v_and_b32_e32 v13, 1, v13
	v_cndmask_b32_e64 v6, v6, v14, s[46:47]
	v_cmp_eq_u32_e64 s[46:47], 1, v9
	s_movk_i32 s3, 0xff00
	s_nop 0
	v_cndmask_b32_e64 v9, v13, 1, s[46:47]
	v_and_or_b32 v8, v8, s3, v9
; %bb.156:
	s_or_b64 exec, exec, s[60:61]
	v_mov_b32_dpp v14, v6 row_shr:4 row_mask:0xf bank_mask:0xf
	v_mov_b32_dpp v13, v8 row_shr:4 row_mask:0xf bank_mask:0xf
	v_cmp_lt_u32_e64 s[46:47], 3, v12
	s_and_saveexec_b64 s[60:61], s[46:47]
; %bb.157:
	v_add_f32_e32 v14, v6, v14
	v_cmp_eq_u32_e64 s[46:47], 0, v9
	v_and_b32_e32 v9, 1, v9
	v_and_b32_e32 v13, 1, v13
	v_cndmask_b32_e64 v6, v6, v14, s[46:47]
	v_cmp_eq_u32_e64 s[46:47], 1, v9
	s_movk_i32 s3, 0xff00
	s_nop 0
	v_cndmask_b32_e64 v9, v13, 1, s[46:47]
	v_and_or_b32 v8, v8, s3, v9
; %bb.158:
	s_or_b64 exec, exec, s[60:61]
	v_mov_b32_dpp v14, v6 row_shr:8 row_mask:0xf bank_mask:0xf
	v_mov_b32_dpp v13, v8 row_shr:8 row_mask:0xf bank_mask:0xf
	v_cmp_lt_u32_e64 s[46:47], 7, v12
	s_and_saveexec_b64 s[60:61], s[46:47]
; %bb.159:
	v_add_f32_e32 v12, v6, v14
	v_cmp_eq_u32_e64 s[46:47], 0, v9
	v_and_b32_e32 v9, 1, v9
	s_movk_i32 s3, 0xff00
	v_cndmask_b32_e64 v6, v6, v12, s[46:47]
	v_and_b32_e32 v12, 1, v13
	v_cmp_eq_u32_e64 s[46:47], 1, v9
	s_nop 1
	v_cndmask_b32_e64 v9, v12, 1, s[46:47]
	v_and_or_b32 v8, v8, s3, v9
; %bb.160:
	s_or_b64 exec, exec, s[60:61]
	v_and_b32_e32 v14, 16, v7
	v_mov_b32_dpp v13, v6 row_bcast:15 row_mask:0xf bank_mask:0xf
	v_mov_b32_dpp v12, v8 row_bcast:15 row_mask:0xf bank_mask:0xf
	v_cmp_ne_u32_e64 s[46:47], 0, v14
	s_and_saveexec_b64 s[60:61], s[46:47]
; %bb.161:
	v_add_f32_e32 v13, v6, v13
	v_cmp_eq_u32_e64 s[46:47], 0, v9
	v_and_b32_e32 v9, 1, v9
	v_and_b32_e32 v12, 1, v12
	v_cndmask_b32_e64 v6, v6, v13, s[46:47]
	v_cmp_eq_u32_e64 s[46:47], 1, v9
	s_movk_i32 s3, 0xff00
	s_nop 0
	v_cndmask_b32_e64 v9, v12, 1, s[46:47]
	v_and_or_b32 v8, v8, s3, v9
; %bb.162:
	s_or_b64 exec, exec, s[60:61]
	v_mov_b32_dpp v13, v6 row_bcast:31 row_mask:0xf bank_mask:0xf
	v_mov_b32_dpp v12, v8 row_bcast:31 row_mask:0xf bank_mask:0xf
	v_cmp_lt_u32_e64 s[46:47], 31, v7
	s_and_saveexec_b64 s[60:61], s[46:47]
; %bb.163:
	v_add_f32_e32 v13, v6, v13
	v_cmp_eq_u32_e64 s[46:47], 0, v9
	v_and_b32_e32 v9, 1, v9
	v_and_b32_e32 v12, 1, v12
	v_cndmask_b32_e64 v6, v6, v13, s[46:47]
	v_cmp_eq_u32_e64 s[46:47], 1, v9
	s_movk_i32 s3, 0xff00
	s_nop 0
	v_cndmask_b32_e64 v9, v12, 1, s[46:47]
	v_and_or_b32 v8, v8, s3, v9
; %bb.164:
	s_or_b64 exec, exec, s[60:61]
	v_add_u32_e32 v9, -1, v7
	v_and_b32_e32 v12, 64, v7
	v_cmp_lt_i32_e64 s[46:47], v9, v12
	; wave barrier
	s_nop 1
	v_cndmask_b32_e64 v7, v9, v7, s[46:47]
	v_lshlrev_b32_e32 v7, 2, v7
	ds_bpermute_b32 v6, v7, v6
	ds_bpermute_b32 v7, v7, v8
	v_mov_b32_e32 v8, 0
	v_cmp_eq_u32_sdwa s[46:47], v3, v8 src0_sel:BYTE_0 src1_sel:DWORD
	s_waitcnt lgkmcnt(1)
	v_add_f32_e32 v6, v2, v6
	v_cndmask_b32_e64 v2, v2, v6, s[46:47]
	s_waitcnt lgkmcnt(0)
	v_and_b32_e32 v3, 1, v7
	v_cmp_eq_u32_e64 s[46:47], 1, v5
	s_nop 1
	v_cndmask_b32_e64 v3, v3, 1, s[46:47]
	v_cmp_eq_u32_e64 s[46:47], 0, v0
	s_nop 1
	v_cndmask_b32_e64 v5, v2, v20, s[46:47]
	v_cndmask_b32_e64 v6, v3, v21, s[46:47]
	ds_write_b32 v4, v5
	ds_write_b8 v4, v6 offset:4
	; wave barrier
	ds_read2_b32 v[2:3], v4 offset0:2 offset1:4
	ds_read_u8 v7, v4 offset:12
	ds_read_u8 v8, v4 offset:20
	ds_read_b32 v9, v4 offset:24
	ds_read_u8 v12, v4 offset:28
	s_waitcnt lgkmcnt(4)
	v_add_f32_e32 v5, v5, v2
	s_waitcnt lgkmcnt(3)
	v_cmp_eq_u16_e64 s[46:47], 0, v7
	s_nop 1
	v_cndmask_b32_e64 v2, v2, v5, s[46:47]
	v_and_b32_e32 v5, 1, v7
	v_cmp_eq_u32_e64 s[46:47], 1, v5
	s_nop 1
	v_cndmask_b32_e64 v5, v6, 1, s[46:47]
	v_add_f32_e32 v6, v2, v3
	s_waitcnt lgkmcnt(2)
	v_cmp_eq_u16_e64 s[46:47], 0, v8
	ds_write_b8 v4, v5 offset:12
	s_nop 0
	v_cndmask_b32_e64 v3, v3, v6, s[46:47]
	v_and_b32_e32 v6, 1, v8
	v_cmp_eq_u32_e64 s[46:47], 1, v6
	s_nop 1
	v_cndmask_b32_e64 v5, v5, 1, s[46:47]
	ds_write2_b32 v4, v2, v3 offset0:2 offset1:4
	ds_write_b8 v4, v5 offset:20
	s_waitcnt lgkmcnt(4)
	v_add_f32_e32 v2, v3, v9
	s_waitcnt lgkmcnt(3)
	v_cmp_eq_u16_e64 s[46:47], 0, v12
	v_and_b32_e32 v3, 1, v12
	s_nop 0
	v_cndmask_b32_e64 v2, v9, v2, s[46:47]
	v_cmp_eq_u32_e64 s[46:47], 1, v3
	s_nop 1
	v_cndmask_b32_e64 v3, v5, 1, s[46:47]
	ds_write_b32 v4, v2 offset:24
	ds_write_b8 v4, v3 offset:28
.LBB1447_165:
	s_or_b64 exec, exec, s[48:49]
	v_cmp_eq_u32_e64 s[46:47], 0, v0
	v_cmp_ne_u32_e64 s[48:49], 0, v0
	s_waitcnt lgkmcnt(0)
	s_barrier
	s_and_saveexec_b64 s[60:61], s[48:49]
	s_cbranch_execz .LBB1447_167
; %bb.166:
	v_add_u32_e32 v2, -1, v0
	v_lshrrev_b32_e32 v3, 5, v2
	v_add_lshl_u32 v2, v3, v2, 3
	ds_read_b32 v20, v2
	ds_read_u8 v21, v2 offset:4
.LBB1447_167:
	s_or_b64 exec, exec, s[60:61]
	s_and_saveexec_b64 s[60:61], vcc
	s_cbranch_execz .LBB1447_212
; %bb.168:
	v_mov_b32_e32 v5, 0
	ds_read_b64 v[2:3], v5 offset:2096
	v_mbcnt_lo_u32_b32 v4, -1, 0
	v_mbcnt_hi_u32_b32 v13, -1, v4
	s_mov_b32 s71, 0
	v_cmp_eq_u32_e64 s[48:49], 0, v13
	s_waitcnt lgkmcnt(0)
	v_readfirstlane_b32 s3, v3
	s_and_saveexec_b64 s[68:69], s[48:49]
	s_cbranch_execz .LBB1447_170
; %bb.169:
	s_add_i32 s70, s2, 64
	s_lshl_b64 s[72:73], s[70:71], 4
	s_add_u32 s72, s56, s72
	s_addc_u32 s73, s57, s73
	s_and_b32 s75, s3, 0xff000000
	s_mov_b32 s74, s71
	s_and_b32 s79, s3, 0xff0000
	s_mov_b32 s78, s71
	s_or_b64 s[74:75], s[78:79], s[74:75]
	s_and_b32 s79, s3, 0xff00
	s_or_b64 s[74:75], s[74:75], s[78:79]
	s_and_b32 s79, s3, 0xff
	s_or_b64 s[70:71], s[74:75], s[78:79]
	v_mov_b32_e32 v3, s71
	v_mov_b32_e32 v4, 1
	v_mov_b64_e32 v[6:7], s[72:73]
	;;#ASMSTART
	global_store_dwordx4 v[6:7], v[2:5] off sc1	
s_waitcnt vmcnt(0)
	;;#ASMEND
.LBB1447_170:
	s_or_b64 exec, exec, s[68:69]
	v_xad_u32 v12, v13, -1, s2
	v_add_u32_e32 v4, 64, v12
	v_lshl_add_u64 v[14:15], v[4:5], 4, s[56:57]
	;;#ASMSTART
	global_load_dwordx4 v[6:9], v[14:15] off sc1	
s_waitcnt vmcnt(0)
	;;#ASMEND
	s_nop 0
	v_cmp_eq_u16_sdwa s[70:71], v8, v5 src0_sel:BYTE_0 src1_sel:DWORD
	s_and_saveexec_b64 s[68:69], s[70:71]
	s_cbranch_execz .LBB1447_176
; %bb.171:
	s_mov_b32 s59, 1
	s_mov_b64 s[70:71], 0
	v_mov_b32_e32 v3, 0
.LBB1447_172:                           ; =>This Loop Header: Depth=1
                                        ;     Child Loop BB1447_173 Depth 2
	s_max_u32 s72, s59, 1
.LBB1447_173:                           ;   Parent Loop BB1447_172 Depth=1
                                        ; =>  This Inner Loop Header: Depth=2
	s_add_i32 s72, s72, -1
	s_cmp_eq_u32 s72, 0
	s_sleep 1
	s_cbranch_scc0 .LBB1447_173
; %bb.174:                              ;   in Loop: Header=BB1447_172 Depth=1
	s_cmp_lt_u32 s59, 32
	s_cselect_b64 s[72:73], -1, 0
	s_cmp_lg_u64 s[72:73], 0
	s_addc_u32 s59, s59, 0
	;;#ASMSTART
	global_load_dwordx4 v[6:9], v[14:15] off sc1	
s_waitcnt vmcnt(0)
	;;#ASMEND
	s_nop 0
	v_cmp_ne_u16_sdwa s[72:73], v8, v3 src0_sel:BYTE_0 src1_sel:DWORD
	s_or_b64 s[70:71], s[72:73], s[70:71]
	s_andn2_b64 exec, exec, s[70:71]
	s_cbranch_execnz .LBB1447_172
; %bb.175:
	s_or_b64 exec, exec, s[70:71]
.LBB1447_176:
	s_or_b64 exec, exec, s[68:69]
	v_mov_b32_e32 v3, 2
	v_cmp_eq_u16_sdwa s[68:69], v8, v3 src0_sel:BYTE_0 src1_sel:DWORD
	v_lshlrev_b64 v[4:5], v13, -1
	v_and_b32_e32 v14, 0xff, v7
	v_and_b32_e32 v3, s69, v5
	v_or_b32_e32 v3, 0x80000000, v3
	v_ffbl_b32_e32 v25, v3
	v_and_b32_e32 v3, 63, v13
	v_cmp_ne_u32_e32 vcc, 63, v3
	v_and_b32_e32 v9, s68, v4
	v_add_u32_e32 v25, 32, v25
	v_addc_co_u32_e32 v15, vcc, 0, v13, vcc
	v_lshlrev_b32_e32 v22, 2, v15
	ds_bpermute_b32 v23, v22, v6
	ds_bpermute_b32 v15, v22, v14
	v_ffbl_b32_e32 v9, v9
	v_min_u32_e32 v9, v9, v25
	v_cmp_lt_u32_e32 vcc, v3, v9
	s_and_saveexec_b64 s[68:69], vcc
	s_cbranch_execz .LBB1447_178
; %bb.177:
	v_mov_b32_e32 v14, 0
	s_waitcnt lgkmcnt(1)
	v_add_f32_e32 v23, v6, v23
	v_cmp_eq_u16_sdwa vcc, v7, v14 src0_sel:BYTE_0 src1_sel:DWORD
	v_and_b32_e32 v7, 1, v7
	s_waitcnt lgkmcnt(0)
	v_and_b32_e32 v14, 1, v15
	v_cndmask_b32_e32 v6, v6, v23, vcc
	v_cmp_eq_u32_e32 vcc, 1, v7
	s_nop 1
	v_cndmask_b32_e64 v7, v14, 1, vcc
	v_and_b32_e32 v14, 0xffff, v7
.LBB1447_178:
	s_or_b64 exec, exec, s[68:69]
	v_cmp_gt_u32_e32 vcc, 62, v3
	v_add_u32_e32 v25, 2, v3
	s_waitcnt lgkmcnt(0)
	v_cndmask_b32_e64 v15, 0, 1, vcc
	v_lshlrev_b32_e32 v15, 1, v15
	v_add_lshl_u32 v23, v15, v13, 2
	ds_bpermute_b32 v27, v23, v6
	ds_bpermute_b32 v15, v23, v14
	v_cmp_le_u32_e32 vcc, v25, v9
	s_and_saveexec_b64 s[68:69], vcc
	s_cbranch_execz .LBB1447_180
; %bb.179:
	v_mov_b32_e32 v14, 0
	s_waitcnt lgkmcnt(1)
	v_add_f32_e32 v27, v6, v27
	v_cmp_eq_u16_sdwa vcc, v7, v14 src0_sel:BYTE_0 src1_sel:DWORD
	v_and_b32_e32 v7, 1, v7
	s_waitcnt lgkmcnt(0)
	v_and_b32_e32 v14, 1, v15
	v_cndmask_b32_e32 v6, v6, v27, vcc
	v_cmp_eq_u32_e32 vcc, 1, v7
	s_nop 1
	v_cndmask_b32_e64 v7, v14, 1, vcc
	v_and_b32_e32 v14, 0xffff, v7
.LBB1447_180:
	s_or_b64 exec, exec, s[68:69]
	v_cmp_gt_u32_e32 vcc, 60, v3
	v_add_u32_e32 v47, 4, v3
	s_waitcnt lgkmcnt(0)
	v_cndmask_b32_e64 v15, 0, 1, vcc
	v_lshlrev_b32_e32 v15, 2, v15
	v_add_lshl_u32 v27, v15, v13, 2
	ds_bpermute_b32 v70, v27, v6
	ds_bpermute_b32 v15, v27, v14
	v_cmp_le_u32_e32 vcc, v47, v9
	;; [unrolled: 26-line block ×5, first 2 shown]
	s_and_saveexec_b64 s[68:69], vcc
	s_cbranch_execz .LBB1447_188
; %bb.187:
	v_mov_b32_e32 v9, 0
	s_waitcnt lgkmcnt(1)
	v_add_f32_e32 v14, v6, v15
	v_cmp_eq_u16_sdwa vcc, v7, v9 src0_sel:BYTE_0 src1_sel:DWORD
	v_and_b32_e32 v7, 1, v7
	s_waitcnt lgkmcnt(0)
	v_and_b32_e32 v9, 1, v13
	v_cndmask_b32_e32 v6, v6, v14, vcc
	v_cmp_eq_u32_e32 vcc, 1, v7
	s_nop 1
	v_cndmask_b32_e64 v7, v9, 1, vcc
.LBB1447_188:
	s_or_b64 exec, exec, s[68:69]
	s_waitcnt lgkmcnt(0)
	v_mov_b32_e32 v13, 0
	v_mov_b32_e32 v78, 2
	s_branch .LBB1447_190
.LBB1447_189:                           ;   in Loop: Header=BB1447_190 Depth=1
	s_or_b64 exec, exec, s[68:69]
	s_waitcnt lgkmcnt(0)
	ds_bpermute_b32 v15, v75, v6
	ds_bpermute_b32 v14, v75, v14
	v_and_b32_e32 v79, 1, v7
	v_cmp_eq_u16_sdwa vcc, v7, v13 src0_sel:BYTE_0 src1_sel:DWORD
	v_subrev_u32_e32 v12, 64, v12
	s_waitcnt lgkmcnt(1)
	v_add_f32_e32 v15, v6, v15
	v_cndmask_b32_e32 v15, v6, v15, vcc
	v_cmp_eq_u32_e32 vcc, 1, v79
	s_waitcnt lgkmcnt(0)
	s_nop 0
	v_cndmask_b32_e64 v14, v14, 1, vcc
	v_cmp_gt_u32_e32 vcc, v77, v9
	v_and_b32_e32 v9, 1, v74
	s_nop 0
	v_cndmask_b32_e32 v6, v15, v6, vcc
	v_cndmask_b32_e32 v7, v14, v7, vcc
	v_add_f32_e32 v6, v76, v6
	v_cmp_eq_u16_sdwa vcc, v74, v13 src0_sel:BYTE_0 src1_sel:DWORD
	v_and_b32_e32 v7, 1, v7
	s_nop 0
	v_cndmask_b32_e32 v6, v76, v6, vcc
	v_cmp_eq_u32_e32 vcc, 1, v9
	s_nop 1
	v_cndmask_b32_e64 v7, v7, 1, vcc
.LBB1447_190:                           ; =>This Loop Header: Depth=1
                                        ;     Child Loop BB1447_193 Depth 2
                                        ;       Child Loop BB1447_194 Depth 3
	v_cmp_ne_u16_sdwa s[68:69], v8, v78 src0_sel:BYTE_0 src1_sel:DWORD
	v_mov_b32_e32 v74, v7
	v_mov_b32_e32 v76, v6
	v_cndmask_b32_e64 v7, 0, 1, s[68:69]
	;;#ASMSTART
	;;#ASMEND
	s_nop 0
	v_cmp_ne_u32_e32 vcc, 0, v7
	s_cmp_lg_u64 vcc, exec
	s_cbranch_scc1 .LBB1447_207
; %bb.191:                              ;   in Loop: Header=BB1447_190 Depth=1
	v_lshl_add_u64 v[14:15], v[12:13], 4, s[56:57]
	;;#ASMSTART
	global_load_dwordx4 v[6:9], v[14:15] off sc1	
s_waitcnt vmcnt(0)
	;;#ASMEND
	s_nop 0
	v_cmp_eq_u16_sdwa s[70:71], v8, v13 src0_sel:BYTE_0 src1_sel:DWORD
	s_and_saveexec_b64 s[68:69], s[70:71]
	s_cbranch_execz .LBB1447_197
; %bb.192:                              ;   in Loop: Header=BB1447_190 Depth=1
	s_mov_b32 s59, 1
	s_mov_b64 s[70:71], 0
.LBB1447_193:                           ;   Parent Loop BB1447_190 Depth=1
                                        ; =>  This Loop Header: Depth=2
                                        ;       Child Loop BB1447_194 Depth 3
	s_max_u32 s72, s59, 1
.LBB1447_194:                           ;   Parent Loop BB1447_190 Depth=1
                                        ;     Parent Loop BB1447_193 Depth=2
                                        ; =>    This Inner Loop Header: Depth=3
	s_add_i32 s72, s72, -1
	s_cmp_eq_u32 s72, 0
	s_sleep 1
	s_cbranch_scc0 .LBB1447_194
; %bb.195:                              ;   in Loop: Header=BB1447_193 Depth=2
	s_cmp_lt_u32 s59, 32
	s_cselect_b64 s[72:73], -1, 0
	s_cmp_lg_u64 s[72:73], 0
	s_addc_u32 s59, s59, 0
	;;#ASMSTART
	global_load_dwordx4 v[6:9], v[14:15] off sc1	
s_waitcnt vmcnt(0)
	;;#ASMEND
	s_nop 0
	v_cmp_ne_u16_sdwa s[72:73], v8, v13 src0_sel:BYTE_0 src1_sel:DWORD
	s_or_b64 s[70:71], s[72:73], s[70:71]
	s_andn2_b64 exec, exec, s[70:71]
	s_cbranch_execnz .LBB1447_193
; %bb.196:                              ;   in Loop: Header=BB1447_190 Depth=1
	s_or_b64 exec, exec, s[70:71]
.LBB1447_197:                           ;   in Loop: Header=BB1447_190 Depth=1
	s_or_b64 exec, exec, s[68:69]
	v_cmp_eq_u16_sdwa s[68:69], v8, v78 src0_sel:BYTE_0 src1_sel:DWORD
	v_and_b32_e32 v14, 0xff, v7
	ds_bpermute_b32 v79, v22, v6
	v_and_b32_e32 v9, s69, v5
	v_or_b32_e32 v9, 0x80000000, v9
	ds_bpermute_b32 v15, v22, v14
	v_and_b32_e32 v80, s68, v4
	v_ffbl_b32_e32 v9, v9
	v_add_u32_e32 v9, 32, v9
	v_ffbl_b32_e32 v80, v80
	v_min_u32_e32 v9, v80, v9
	v_cmp_lt_u32_e32 vcc, v3, v9
	s_and_saveexec_b64 s[68:69], vcc
	s_cbranch_execz .LBB1447_199
; %bb.198:                              ;   in Loop: Header=BB1447_190 Depth=1
	s_waitcnt lgkmcnt(1)
	v_add_f32_e32 v14, v6, v79
	v_cmp_eq_u16_sdwa vcc, v7, v13 src0_sel:BYTE_0 src1_sel:DWORD
	v_and_b32_e32 v7, 1, v7
	s_nop 0
	v_cndmask_b32_e32 v6, v6, v14, vcc
	s_waitcnt lgkmcnt(0)
	v_and_b32_e32 v14, 1, v15
	v_cmp_eq_u32_e32 vcc, 1, v7
	s_nop 1
	v_cndmask_b32_e64 v7, v14, 1, vcc
	v_and_b32_e32 v14, 0xffff, v7
.LBB1447_199:                           ;   in Loop: Header=BB1447_190 Depth=1
	s_or_b64 exec, exec, s[68:69]
	s_waitcnt lgkmcnt(1)
	ds_bpermute_b32 v79, v23, v6
	s_waitcnt lgkmcnt(1)
	ds_bpermute_b32 v15, v23, v14
	v_cmp_le_u32_e32 vcc, v25, v9
	s_and_saveexec_b64 s[68:69], vcc
	s_cbranch_execz .LBB1447_201
; %bb.200:                              ;   in Loop: Header=BB1447_190 Depth=1
	s_waitcnt lgkmcnt(1)
	v_add_f32_e32 v14, v6, v79
	v_cmp_eq_u16_sdwa vcc, v7, v13 src0_sel:BYTE_0 src1_sel:DWORD
	v_and_b32_e32 v7, 1, v7
	s_nop 0
	v_cndmask_b32_e32 v6, v6, v14, vcc
	s_waitcnt lgkmcnt(0)
	v_and_b32_e32 v14, 1, v15
	v_cmp_eq_u32_e32 vcc, 1, v7
	s_nop 1
	v_cndmask_b32_e64 v7, v14, 1, vcc
	v_and_b32_e32 v14, 0xffff, v7
.LBB1447_201:                           ;   in Loop: Header=BB1447_190 Depth=1
	s_or_b64 exec, exec, s[68:69]
	s_waitcnt lgkmcnt(1)
	ds_bpermute_b32 v79, v27, v6
	s_waitcnt lgkmcnt(1)
	ds_bpermute_b32 v15, v27, v14
	v_cmp_le_u32_e32 vcc, v47, v9
	;; [unrolled: 22-line block ×4, first 2 shown]
	s_and_saveexec_b64 s[68:69], vcc
	s_cbranch_execz .LBB1447_189
; %bb.206:                              ;   in Loop: Header=BB1447_190 Depth=1
	s_waitcnt lgkmcnt(1)
	v_add_f32_e32 v14, v6, v79
	v_cmp_eq_u16_sdwa vcc, v7, v13 src0_sel:BYTE_0 src1_sel:DWORD
	v_and_b32_e32 v7, 1, v7
	s_nop 0
	v_cndmask_b32_e32 v6, v6, v14, vcc
	s_waitcnt lgkmcnt(0)
	v_and_b32_e32 v14, 1, v15
	v_cmp_eq_u32_e32 vcc, 1, v7
	s_nop 1
	v_cndmask_b32_e64 v7, v14, 1, vcc
	v_and_b32_e32 v14, 0xffff, v7
	s_branch .LBB1447_189
.LBB1447_207:                           ;   in Loop: Header=BB1447_190 Depth=1
                                        ; implicit-def: $vgpr7
	s_cbranch_execz .LBB1447_190
; %bb.208:
	s_and_saveexec_b64 s[68:69], s[48:49]
	s_cbranch_execz .LBB1447_210
; %bb.209:
	s_and_b32 s48, s3, 0xff
	s_cmp_eq_u32 s48, 0
	s_cselect_b64 vcc, -1, 0
	s_bitcmp1_b32 s3, 0
	s_mov_b32 s49, 0
	s_cselect_b64 s[70:71], -1, 0
	s_add_i32 s48, s2, 64
	s_lshl_b64 s[2:3], s[48:49], 4
	v_add_f32_e32 v3, v76, v2
	s_add_u32 s2, s56, s2
	v_cndmask_b32_e32 v2, v2, v3, vcc
	v_and_b32_e32 v3, 1, v74
	s_addc_u32 s3, s57, s3
	v_cndmask_b32_e64 v3, v3, 1, s[70:71]
	v_mov_b32_e32 v4, 2
	v_mov_b32_e32 v5, 0
	v_mov_b64_e32 v[6:7], s[2:3]
	;;#ASMSTART
	global_store_dwordx4 v[6:7], v[2:5] off sc1	
s_waitcnt vmcnt(0)
	;;#ASMEND
.LBB1447_210:
	s_or_b64 exec, exec, s[68:69]
	s_and_b64 exec, exec, s[46:47]
	s_cbranch_execz .LBB1447_212
; %bb.211:
	v_mov_b32_e32 v2, 0
	ds_write_b32 v2, v76
	ds_write_b8 v2, v74 offset:4
.LBB1447_212:
	s_or_b64 exec, exec, s[60:61]
	v_mov_b32_e32 v2, 0
	s_waitcnt lgkmcnt(0)
	s_barrier
	ds_read_b32 v3, v2
	v_cmp_eq_u32_e32 vcc, 0, v21
	s_waitcnt lgkmcnt(0)
	v_add_f32_e32 v4, v20, v3
	v_cndmask_b32_e32 v4, v20, v4, vcc
	v_cndmask_b32_e64 v47, v4, v3, s[46:47]
	v_add_f32_e32 v3, v48, v47
	v_cmp_eq_u16_sdwa vcc, v1, v2 src0_sel:BYTE_0 src1_sel:DWORD
	s_nop 1
	v_cndmask_b32_e32 v70, v48, v3, vcc
	v_add_f32_e32 v2, v24, v70
	v_cndmask_b32_e64 v71, v24, v2, s[50:51]
	v_add_f32_e32 v2, v46, v71
	v_cndmask_b32_e64 v72, v46, v2, s[4:5]
	v_add_f32_e32 v2, v44, v72
	v_cndmask_b32_e64 v73, v44, v2, s[6:7]
	v_add_f32_e32 v2, v45, v73
	v_cndmask_b32_e64 v74, v45, v2, s[8:9]
	v_add_f32_e32 v2, v42, v74
	v_cndmask_b32_e64 v75, v42, v2, s[10:11]
	v_add_f32_e32 v2, v43, v75
	v_cndmask_b32_e64 v76, v43, v2, s[12:13]
	v_add_f32_e32 v2, v40, v76
	v_cndmask_b32_e64 v77, v40, v2, s[14:15]
	v_add_f32_e32 v2, v41, v77
	v_cndmask_b32_e64 v78, v41, v2, s[16:17]
	v_add_f32_e32 v2, v38, v78
	v_cndmask_b32_e64 v79, v38, v2, s[18:19]
	v_add_f32_e32 v2, v39, v79
	v_cndmask_b32_e64 v80, v39, v2, s[20:21]
	v_add_f32_e32 v2, v36, v80
	v_cndmask_b32_e64 v81, v36, v2, s[22:23]
	v_add_f32_e32 v2, v37, v81
	v_cndmask_b32_e64 v82, v37, v2, s[24:25]
	v_add_f32_e32 v2, v34, v82
	v_cndmask_b32_e64 v83, v34, v2, s[26:27]
	v_add_f32_e32 v2, v35, v83
	v_cndmask_b32_e64 v84, v35, v2, s[28:29]
	v_add_f32_e32 v2, v32, v84
	v_cndmask_b32_e64 v85, v32, v2, s[30:31]
	v_add_f32_e32 v2, v33, v85
	v_cndmask_b32_e64 v86, v33, v2, s[34:35]
	v_add_f32_e32 v2, v30, v86
	v_cndmask_b32_e64 v87, v30, v2, s[36:37]
	v_add_f32_e32 v2, v31, v87
	v_cndmask_b32_e64 v88, v31, v2, s[38:39]
	v_add_f32_e32 v2, v28, v88
	v_cndmask_b32_e64 v89, v28, v2, s[40:41]
	v_add_f32_e32 v2, v29, v89
	v_cndmask_b32_e64 v90, v29, v2, s[42:43]
	v_add_f32_e32 v2, v26, v90
	v_cndmask_b32_e64 v91, v26, v2, s[44:45]
	s_branch .LBB1447_235
.LBB1447_213:
                                        ; implicit-def: $vgpr90
                                        ; implicit-def: $vgpr89
                                        ; implicit-def: $vgpr88
                                        ; implicit-def: $vgpr87
                                        ; implicit-def: $vgpr86
                                        ; implicit-def: $vgpr85
                                        ; implicit-def: $vgpr84
                                        ; implicit-def: $vgpr83
                                        ; implicit-def: $vgpr82
                                        ; implicit-def: $vgpr81
                                        ; implicit-def: $vgpr80
                                        ; implicit-def: $vgpr79
                                        ; implicit-def: $vgpr78
                                        ; implicit-def: $vgpr77
                                        ; implicit-def: $vgpr76
                                        ; implicit-def: $vgpr75
                                        ; implicit-def: $vgpr74
                                        ; implicit-def: $vgpr73
                                        ; implicit-def: $vgpr72
                                        ; implicit-def: $vgpr71
                                        ; implicit-def: $vgpr70
                                        ; implicit-def: $vgpr47
                                        ; implicit-def: $vgpr91
	s_cbranch_execz .LBB1447_235
; %bb.214:
	s_cmp_lg_u64 s[66:67], 0
	s_cselect_b32 s3, s63, 0
	s_cselect_b32 s2, s62, 0
	s_cmp_eq_u64 s[2:3], 0
	v_mov_b32_e32 v4, s76
	s_cbranch_scc1 .LBB1447_216
; %bb.215:
	v_mov_b32_e32 v2, 0
	global_load_dword v4, v2, s[2:3]
.LBB1447_216:
	v_mov_b32_e32 v9, 0
	v_cmp_eq_u16_sdwa vcc, v49, v9 src0_sel:BYTE_0 src1_sel:DWORD
	v_cmp_eq_u16_sdwa s[2:3], v50, v9 src0_sel:BYTE_0 src1_sel:DWORD
	v_cmp_eq_u16_sdwa s[4:5], v51, v9 src0_sel:BYTE_0 src1_sel:DWORD
	v_cndmask_b32_e32 v2, v24, v19, vcc
	v_add_f32_e32 v2, v46, v2
	v_cndmask_b32_e64 v2, v46, v2, s[2:3]
	v_add_f32_e32 v2, v44, v2
	v_cndmask_b32_e64 v2, v44, v2, s[4:5]
	v_add_f32_e32 v2, v45, v2
	v_cmp_eq_u16_sdwa s[6:7], v53, v9 src0_sel:BYTE_0 src1_sel:DWORD
	v_cmp_eq_u16_sdwa s[8:9], v54, v9 src0_sel:BYTE_0 src1_sel:DWORD
	v_cmp_eq_u16_sdwa s[10:11], v55, v9 src0_sel:BYTE_0 src1_sel:DWORD
	v_cndmask_b32_e64 v2, v45, v2, s[6:7]
	v_add_f32_e32 v2, v42, v2
	v_cndmask_b32_e64 v2, v42, v2, s[8:9]
	v_add_f32_e32 v2, v43, v2
	v_cndmask_b32_e64 v2, v43, v2, s[10:11]
	v_add_f32_e32 v2, v40, v2
	v_cmp_eq_u16_sdwa s[14:15], v56, v9 src0_sel:BYTE_0 src1_sel:DWORD
	v_cmp_eq_u16_sdwa s[16:17], v57, v9 src0_sel:BYTE_0 src1_sel:DWORD
	v_cmp_eq_u16_sdwa s[18:19], v58, v9 src0_sel:BYTE_0 src1_sel:DWORD
	v_cndmask_b32_e64 v2, v40, v2, s[14:15]
	;; [unrolled: 9-line block ×6, first 2 shown]
	v_add_f32_e32 v2, v29, v2
	v_cndmask_b32_e64 v2, v29, v2, s[42:43]
	v_add_f32_e32 v2, v26, v2
	v_cndmask_b32_e64 v2, v26, v2, s[12:13]
	v_add_f32_e32 v2, v16, v2
	v_cmp_eq_u16_sdwa s[44:45], v11, v9 src0_sel:BYTE_0 src1_sel:DWORD
	v_and_b32_e32 v3, 0xff, v1
	s_nop 0
	v_cndmask_b32_e64 v6, v16, v2, s[44:45]
	v_or_b32_e32 v2, v18, v68
	v_or_b32_e32 v2, v2, v67
	;; [unrolled: 1-line block ×19, first 2 shown]
	v_and_b32_e32 v2, 1, v2
	v_cmp_eq_u32_e64 s[44:45], 1, v2
	v_add_lshl_u32 v2, v17, v0, 3
	s_nop 0
	v_cndmask_b32_e64 v7, v3, 1, s[44:45]
	v_cmp_gt_u32_e64 s[44:45], 64, v0
	ds_write_b32 v2, v6
	ds_write_b8 v2, v7 offset:4
	s_waitcnt lgkmcnt(0)
	s_barrier
	s_and_saveexec_b64 s[46:47], s[44:45]
	s_cbranch_execz .LBB1447_230
; %bb.217:
	v_lshrrev_b32_e32 v2, 3, v0
	v_add_lshl_u32 v5, v2, v10, 3
	ds_read2_b32 v[12:13], v5 offset0:2 offset1:4
	ds_read_b64 v[2:3], v5
	ds_read_u8 v11, v5 offset:12
	ds_read_u8 v14, v5 offset:20
	ds_read_b32 v16, v5 offset:24
	ds_read_u8 v17, v5 offset:28
	s_waitcnt lgkmcnt(4)
	v_add_f32_e32 v8, v2, v12
	s_waitcnt lgkmcnt(3)
	v_cmp_eq_u16_sdwa s[44:45], v11, v9 src0_sel:BYTE_0 src1_sel:DWORD
	v_and_b32_e32 v15, 0xffffff00, v3
	s_nop 0
	v_cndmask_b32_e64 v12, v12, v8, s[44:45]
	v_add_f32_e32 v12, v13, v12
	s_waitcnt lgkmcnt(2)
	v_cmp_eq_u16_sdwa s[44:45], v14, v9 src0_sel:BYTE_0 src1_sel:DWORD
	v_and_b32_e32 v8, 1, v3
	s_nop 0
	v_cndmask_b32_e64 v9, v13, v12, s[44:45]
	s_waitcnt lgkmcnt(0)
	v_or_b32_e32 v12, v17, v14
	v_or_b32_e32 v11, v12, v11
	v_add_f32_e32 v9, v16, v9
	v_cmp_eq_u16_e64 s[44:45], 0, v17
	v_and_b32_e32 v11, 1, v11
	s_nop 0
	v_cndmask_b32_e64 v9, v16, v9, s[44:45]
	v_cmp_eq_u32_e64 s[44:45], 1, v11
	v_mbcnt_lo_u32_b32 v11, -1, 0
	v_mbcnt_hi_u32_b32 v11, -1, v11
	v_cndmask_b32_e64 v13, v8, 1, s[44:45]
	v_or_b32_e32 v12, v13, v15
	v_and_b32_e32 v14, 15, v11
	v_mov_b32_dpp v17, v9 row_shr:1 row_mask:0xf bank_mask:0xf
	v_mov_b32_dpp v16, v12 row_shr:1 row_mask:0xf bank_mask:0xf
	v_cmp_ne_u32_e64 s[44:45], 0, v14
	s_and_saveexec_b64 s[48:49], s[44:45]
; %bb.218:
	v_add_f32_e32 v12, v9, v17
	v_cmp_eq_u32_e64 s[44:45], 0, v13
	s_nop 1
	v_cndmask_b32_e64 v9, v9, v12, s[44:45]
	v_and_b32_e32 v12, 1, v13
	v_and_b32_e32 v13, 1, v16
	v_cmp_eq_u32_e64 s[44:45], 1, v12
	s_nop 1
	v_cndmask_b32_e64 v13, v13, 1, s[44:45]
	v_or_b32_e32 v12, v13, v15
; %bb.219:
	s_or_b64 exec, exec, s[48:49]
	v_mov_b32_dpp v16, v9 row_shr:2 row_mask:0xf bank_mask:0xf
	v_mov_b32_dpp v15, v12 row_shr:2 row_mask:0xf bank_mask:0xf
	v_cmp_lt_u32_e64 s[44:45], 1, v14
	s_and_saveexec_b64 s[48:49], s[44:45]
; %bb.220:
	v_add_f32_e32 v16, v9, v16
	v_cmp_eq_u32_e64 s[44:45], 0, v13
	v_and_b32_e32 v13, 1, v13
	v_and_b32_e32 v15, 1, v15
	v_cndmask_b32_e64 v9, v9, v16, s[44:45]
	v_cmp_eq_u32_e64 s[44:45], 1, v13
	s_nop 1
	v_cndmask_b32_e64 v13, v15, 1, s[44:45]
	s_movk_i32 s44, 0xff00
	v_and_or_b32 v12, v12, s44, v13
; %bb.221:
	s_or_b64 exec, exec, s[48:49]
	v_mov_b32_dpp v16, v9 row_shr:4 row_mask:0xf bank_mask:0xf
	v_mov_b32_dpp v15, v12 row_shr:4 row_mask:0xf bank_mask:0xf
	v_cmp_lt_u32_e64 s[44:45], 3, v14
	s_and_saveexec_b64 s[48:49], s[44:45]
; %bb.222:
	v_add_f32_e32 v16, v9, v16
	v_cmp_eq_u32_e64 s[44:45], 0, v13
	v_and_b32_e32 v13, 1, v13
	v_and_b32_e32 v15, 1, v15
	v_cndmask_b32_e64 v9, v9, v16, s[44:45]
	v_cmp_eq_u32_e64 s[44:45], 1, v13
	s_nop 1
	v_cndmask_b32_e64 v13, v15, 1, s[44:45]
	s_movk_i32 s44, 0xff00
	v_and_or_b32 v12, v12, s44, v13
; %bb.223:
	s_or_b64 exec, exec, s[48:49]
	v_mov_b32_dpp v16, v9 row_shr:8 row_mask:0xf bank_mask:0xf
	v_mov_b32_dpp v15, v12 row_shr:8 row_mask:0xf bank_mask:0xf
	v_cmp_lt_u32_e64 s[44:45], 7, v14
	s_and_saveexec_b64 s[48:49], s[44:45]
; %bb.224:
	v_add_f32_e32 v14, v9, v16
	v_cmp_eq_u32_e64 s[44:45], 0, v13
	v_and_b32_e32 v13, 1, v13
	s_nop 0
	v_cndmask_b32_e64 v9, v9, v14, s[44:45]
	v_and_b32_e32 v14, 1, v15
	v_cmp_eq_u32_e64 s[44:45], 1, v13
	s_nop 1
	v_cndmask_b32_e64 v13, v14, 1, s[44:45]
	s_movk_i32 s44, 0xff00
	v_and_or_b32 v12, v12, s44, v13
; %bb.225:
	s_or_b64 exec, exec, s[48:49]
	v_and_b32_e32 v16, 16, v11
	v_mov_b32_dpp v15, v9 row_bcast:15 row_mask:0xf bank_mask:0xf
	v_mov_b32_dpp v14, v12 row_bcast:15 row_mask:0xf bank_mask:0xf
	v_cmp_ne_u32_e64 s[44:45], 0, v16
	s_and_saveexec_b64 s[48:49], s[44:45]
; %bb.226:
	v_add_f32_e32 v15, v9, v15
	v_cmp_eq_u32_e64 s[44:45], 0, v13
	v_and_b32_e32 v13, 1, v13
	v_and_b32_e32 v14, 1, v14
	v_cndmask_b32_e64 v9, v9, v15, s[44:45]
	v_cmp_eq_u32_e64 s[44:45], 1, v13
	s_nop 1
	v_cndmask_b32_e64 v13, v14, 1, s[44:45]
	s_movk_i32 s44, 0xff00
	v_and_or_b32 v12, v12, s44, v13
; %bb.227:
	s_or_b64 exec, exec, s[48:49]
	v_mov_b32_dpp v15, v9 row_bcast:31 row_mask:0xf bank_mask:0xf
	v_mov_b32_dpp v14, v12 row_bcast:31 row_mask:0xf bank_mask:0xf
	v_cmp_lt_u32_e64 s[44:45], 31, v11
	s_and_saveexec_b64 s[48:49], s[44:45]
; %bb.228:
	v_add_f32_e32 v15, v9, v15
	v_cmp_eq_u32_e64 s[44:45], 0, v13
	v_and_b32_e32 v13, 1, v13
	v_and_b32_e32 v14, 1, v14
	v_cndmask_b32_e64 v9, v9, v15, s[44:45]
	v_cmp_eq_u32_e64 s[44:45], 1, v13
	s_nop 1
	v_cndmask_b32_e64 v13, v14, 1, s[44:45]
	s_movk_i32 s44, 0xff00
	v_and_or_b32 v12, v12, s44, v13
; %bb.229:
	s_or_b64 exec, exec, s[48:49]
	v_add_u32_e32 v13, -1, v11
	v_and_b32_e32 v14, 64, v11
	v_cmp_lt_i32_e64 s[44:45], v13, v14
	; wave barrier
	s_nop 1
	v_cndmask_b32_e64 v11, v13, v11, s[44:45]
	v_lshlrev_b32_e32 v11, 2, v11
	ds_bpermute_b32 v9, v11, v9
	ds_bpermute_b32 v11, v11, v12
	v_mov_b32_e32 v12, 0
	v_cmp_eq_u32_sdwa s[44:45], v3, v12 src0_sel:BYTE_0 src1_sel:DWORD
	s_waitcnt lgkmcnt(1)
	v_add_f32_e32 v9, v2, v9
	v_cndmask_b32_e64 v2, v2, v9, s[44:45]
	s_waitcnt lgkmcnt(0)
	v_and_b32_e32 v3, 1, v11
	v_cmp_eq_u32_e64 s[44:45], 1, v8
	s_nop 1
	v_cndmask_b32_e64 v3, v3, 1, s[44:45]
	v_cmp_eq_u32_e64 s[44:45], 0, v0
	s_nop 1
	v_cndmask_b32_e64 v6, v2, v6, s[44:45]
	v_cndmask_b32_e64 v7, v3, v7, s[44:45]
	ds_write_b32 v5, v6
	ds_write_b8 v5, v7 offset:4
	; wave barrier
	ds_read2_b32 v[2:3], v5 offset0:2 offset1:4
	ds_read_u8 v8, v5 offset:12
	ds_read_u8 v9, v5 offset:20
	ds_read_b32 v11, v5 offset:24
	ds_read_u8 v12, v5 offset:28
	s_waitcnt lgkmcnt(4)
	v_add_f32_e32 v6, v6, v2
	s_waitcnt lgkmcnt(3)
	v_cmp_eq_u16_e64 s[44:45], 0, v8
	s_nop 1
	v_cndmask_b32_e64 v2, v2, v6, s[44:45]
	v_and_b32_e32 v6, 1, v8
	v_cmp_eq_u32_e64 s[44:45], 1, v6
	s_nop 1
	v_cndmask_b32_e64 v6, v7, 1, s[44:45]
	v_add_f32_e32 v7, v2, v3
	s_waitcnt lgkmcnt(2)
	v_cmp_eq_u16_e64 s[44:45], 0, v9
	ds_write_b8 v5, v6 offset:12
	s_nop 0
	v_cndmask_b32_e64 v3, v3, v7, s[44:45]
	v_and_b32_e32 v7, 1, v9
	v_cmp_eq_u32_e64 s[44:45], 1, v7
	s_nop 1
	v_cndmask_b32_e64 v6, v6, 1, s[44:45]
	ds_write2_b32 v5, v2, v3 offset0:2 offset1:4
	ds_write_b8 v5, v6 offset:20
	s_waitcnt lgkmcnt(4)
	v_add_f32_e32 v2, v3, v11
	s_waitcnt lgkmcnt(3)
	v_cmp_eq_u16_e64 s[44:45], 0, v12
	v_and_b32_e32 v3, 1, v12
	s_nop 0
	v_cndmask_b32_e64 v2, v11, v2, s[44:45]
	v_cmp_eq_u32_e64 s[44:45], 1, v3
	s_nop 1
	v_cndmask_b32_e64 v3, v6, 1, s[44:45]
	ds_write_b32 v5, v2 offset:24
	ds_write_b8 v5, v3 offset:28
.LBB1447_230:
	s_or_b64 exec, exec, s[46:47]
	v_cmp_eq_u32_e64 s[44:45], 0, v0
	v_cmp_ne_u32_e64 s[46:47], 0, v0
	s_waitcnt vmcnt(0)
	v_mov_b32_e32 v47, v4
	s_waitcnt lgkmcnt(0)
	s_barrier
	s_and_saveexec_b64 s[48:49], s[46:47]
	s_cbranch_execz .LBB1447_232
; %bb.231:
	v_add_u32_e32 v2, -1, v0
	v_lshrrev_b32_e32 v3, 5, v2
	v_add_lshl_u32 v2, v3, v2, 3
	ds_read_b32 v3, v2
	ds_read_u8 v2, v2 offset:4
	s_waitcnt lgkmcnt(1)
	v_add_f32_e32 v5, v4, v3
	s_waitcnt lgkmcnt(0)
	v_cmp_eq_u16_e64 s[46:47], 0, v2
	s_nop 1
	v_cndmask_b32_e64 v47, v3, v5, s[46:47]
.LBB1447_232:
	s_or_b64 exec, exec, s[48:49]
	v_mov_b32_e32 v5, 0
	v_add_f32_e32 v2, v48, v47
	v_cmp_eq_u16_sdwa s[46:47], v1, v5 src0_sel:BYTE_0 src1_sel:DWORD
	s_nop 1
	v_cndmask_b32_e64 v70, v48, v2, s[46:47]
	v_add_f32_e32 v1, v24, v70
	v_cndmask_b32_e32 v71, v24, v1, vcc
	v_add_f32_e32 v1, v46, v71
	v_cndmask_b32_e64 v72, v46, v1, s[2:3]
	v_add_f32_e32 v1, v44, v72
	v_cndmask_b32_e64 v73, v44, v1, s[4:5]
	;; [unrolled: 2-line block ×19, first 2 shown]
	v_add_f32_e32 v1, v26, v90
	s_and_saveexec_b64 s[2:3], s[44:45]
	s_cbranch_execz .LBB1447_234
; %bb.233:
	ds_read_b32 v2, v5 offset:2096
	ds_read_u8 v3, v5 offset:2100
	s_add_u32 s4, s56, 0x400
	s_addc_u32 s5, s57, 0
	v_mov_b64_e32 v[6:7], s[4:5]
	s_waitcnt lgkmcnt(1)
	v_add_f32_e32 v4, v4, v2
	s_waitcnt lgkmcnt(0)
	v_cmp_eq_u16_e32 vcc, 0, v3
	v_and_b32_e32 v3, 0xffff, v3
	s_nop 0
	v_cndmask_b32_e32 v2, v2, v4, vcc
	v_mov_b32_e32 v4, 2
	;;#ASMSTART
	global_store_dwordx4 v[6:7], v[2:5] off sc1	
s_waitcnt vmcnt(0)
	;;#ASMEND
.LBB1447_234:
	s_or_b64 exec, exec, s[2:3]
	v_cndmask_b32_e64 v91, v26, v1, s[12:13]
.LBB1447_235:
	s_add_u32 s2, s54, s64
	s_addc_u32 s3, s55, s65
	s_add_u32 s2, s2, s52
	s_addc_u32 s3, s3, s53
	s_and_b64 vcc, exec, s[0:1]
	s_cbranch_vccz .LBB1447_281
; %bb.236:
	s_movk_i32 s0, 0x5c
	v_mul_i32_i24_e32 v28, 0xffffffa8, v0
	v_mul_u32_u24_e32 v1, 0x5c, v0
	v_mad_u32_u24 v2, v0, s0, v28
	s_barrier
	ds_write2_b32 v1, v47, v70 offset1:1
	ds_write2_b32 v1, v71, v72 offset0:2 offset1:3
	ds_write2_b32 v1, v73, v74 offset0:4 offset1:5
	;; [unrolled: 1-line block ×10, first 2 shown]
	ds_write_b32 v1, v91 offset:88
	s_waitcnt lgkmcnt(0)
	s_barrier
	ds_read2st64_b32 v[26:27], v2 offset0:4 offset1:8
	ds_read2st64_b32 v[24:25], v2 offset0:12 offset1:16
	;; [unrolled: 1-line block ×11, first 2 shown]
	s_add_i32 s33, s33, s58
	v_mov_b32_e32 v11, 0
	v_lshl_add_u64 v[4:5], s[2:3], 0, v[10:11]
	v_cmp_gt_u32_e32 vcc, s33, v0
	s_and_saveexec_b64 s[0:1], vcc
	s_cbranch_execz .LBB1447_238
; %bb.237:
	v_add_u32_e32 v1, v1, v28
	ds_read_b32 v1, v1
	s_waitcnt lgkmcnt(0)
	flat_store_dword v[4:5], v1
.LBB1447_238:
	s_or_b64 exec, exec, s[0:1]
	v_or_b32_e32 v1, 0x100, v0
	v_cmp_gt_u32_e32 vcc, s33, v1
	s_and_saveexec_b64 s[0:1], vcc
	s_cbranch_execz .LBB1447_240
; %bb.239:
	s_waitcnt lgkmcnt(0)
	flat_store_dword v[4:5], v26 offset:1024
.LBB1447_240:
	s_or_b64 exec, exec, s[0:1]
	v_or_b32_e32 v1, 0x200, v0
	v_cmp_gt_u32_e32 vcc, s33, v1
	s_and_saveexec_b64 s[0:1], vcc
	s_cbranch_execz .LBB1447_242
; %bb.241:
	s_waitcnt lgkmcnt(0)
	flat_store_dword v[4:5], v27 offset:2048
.LBB1447_242:
	;; [unrolled: 9-line block ×3, first 2 shown]
	s_or_b64 exec, exec, s[0:1]
	v_or_b32_e32 v1, 0x400, v0
	v_cmp_gt_u32_e32 vcc, s33, v1
	s_and_saveexec_b64 s[0:1], vcc
	s_cbranch_execz .LBB1447_246
; %bb.245:
	s_waitcnt lgkmcnt(0)
	v_add_co_u32_e32 v26, vcc, 0x1000, v4
	s_nop 1
	v_addc_co_u32_e32 v27, vcc, 0, v5, vcc
	flat_store_dword v[26:27], v25
.LBB1447_246:
	s_or_b64 exec, exec, s[0:1]
	v_or_b32_e32 v1, 0x500, v0
	v_cmp_gt_u32_e32 vcc, s33, v1
	s_and_saveexec_b64 s[0:1], vcc
	s_cbranch_execz .LBB1447_248
; %bb.247:
	s_waitcnt lgkmcnt(0)
	v_add_co_u32_e32 v24, vcc, 0x1000, v4
	s_nop 1
	v_addc_co_u32_e32 v25, vcc, 0, v5, vcc
	flat_store_dword v[24:25], v22 offset:1024
.LBB1447_248:
	s_or_b64 exec, exec, s[0:1]
	v_or_b32_e32 v1, 0x600, v0
	v_cmp_gt_u32_e32 vcc, s33, v1
	s_and_saveexec_b64 s[0:1], vcc
	s_cbranch_execz .LBB1447_250
; %bb.249:
	s_waitcnt lgkmcnt(0)
	v_add_co_u32_e32 v24, vcc, 0x1000, v4
	s_nop 1
	v_addc_co_u32_e32 v25, vcc, 0, v5, vcc
	flat_store_dword v[24:25], v23 offset:2048
.LBB1447_250:
	s_or_b64 exec, exec, s[0:1]
	v_or_b32_e32 v1, 0x700, v0
	v_cmp_gt_u32_e32 vcc, s33, v1
	s_and_saveexec_b64 s[0:1], vcc
	s_cbranch_execz .LBB1447_252
; %bb.251:
	s_waitcnt lgkmcnt(0)
	v_add_co_u32_e32 v22, vcc, 0x1000, v4
	s_nop 1
	v_addc_co_u32_e32 v23, vcc, 0, v5, vcc
	flat_store_dword v[22:23], v20 offset:3072
.LBB1447_252:
	s_or_b64 exec, exec, s[0:1]
	v_or_b32_e32 v1, 0x800, v0
	v_cmp_gt_u32_e32 vcc, s33, v1
	s_and_saveexec_b64 s[0:1], vcc
	s_cbranch_execz .LBB1447_254
; %bb.253:
	s_waitcnt lgkmcnt(0)
	v_add_co_u32_e32 v22, vcc, 0x2000, v4
	s_nop 1
	v_addc_co_u32_e32 v23, vcc, 0, v5, vcc
	flat_store_dword v[22:23], v21
.LBB1447_254:
	s_or_b64 exec, exec, s[0:1]
	v_or_b32_e32 v1, 0x900, v0
	v_cmp_gt_u32_e32 vcc, s33, v1
	s_and_saveexec_b64 s[0:1], vcc
	s_cbranch_execz .LBB1447_256
; %bb.255:
	s_waitcnt lgkmcnt(0)
	v_add_co_u32_e32 v20, vcc, 0x2000, v4
	s_nop 1
	v_addc_co_u32_e32 v21, vcc, 0, v5, vcc
	flat_store_dword v[20:21], v18 offset:1024
.LBB1447_256:
	s_or_b64 exec, exec, s[0:1]
	v_or_b32_e32 v1, 0xa00, v0
	v_cmp_gt_u32_e32 vcc, s33, v1
	s_and_saveexec_b64 s[0:1], vcc
	s_cbranch_execz .LBB1447_258
; %bb.257:
	s_waitcnt lgkmcnt(0)
	v_add_co_u32_e32 v20, vcc, 0x2000, v4
	s_nop 1
	v_addc_co_u32_e32 v21, vcc, 0, v5, vcc
	flat_store_dword v[20:21], v19 offset:2048
.LBB1447_258:
	s_or_b64 exec, exec, s[0:1]
	v_or_b32_e32 v1, 0xb00, v0
	v_cmp_gt_u32_e32 vcc, s33, v1
	s_and_saveexec_b64 s[0:1], vcc
	s_cbranch_execz .LBB1447_260
; %bb.259:
	s_waitcnt lgkmcnt(0)
	v_add_co_u32_e32 v18, vcc, 0x2000, v4
	s_nop 1
	v_addc_co_u32_e32 v19, vcc, 0, v5, vcc
	flat_store_dword v[18:19], v16 offset:3072
.LBB1447_260:
	;; [unrolled: 48-line block ×4, first 2 shown]
	s_or_b64 exec, exec, s[0:1]
	v_or_b32_e32 v1, 0x1400, v0
	v_cmp_gt_u32_e32 vcc, s33, v1
	s_and_saveexec_b64 s[0:1], vcc
	s_cbranch_execz .LBB1447_278
; %bb.277:
	s_waitcnt lgkmcnt(0)
	v_add_co_u32_e32 v8, vcc, 0x5000, v4
	s_nop 1
	v_addc_co_u32_e32 v9, vcc, 0, v5, vcc
	flat_store_dword v[8:9], v7
.LBB1447_278:
	s_or_b64 exec, exec, s[0:1]
	v_or_b32_e32 v1, 0x1500, v0
	v_cmp_gt_u32_e32 vcc, s33, v1
	s_and_saveexec_b64 s[0:1], vcc
	s_cbranch_execz .LBB1447_280
; %bb.279:
	v_add_co_u32_e32 v4, vcc, 0x5000, v4
	s_nop 1
	v_addc_co_u32_e32 v5, vcc, 0, v5, vcc
	s_waitcnt lgkmcnt(0)
	flat_store_dword v[4:5], v2 offset:1024
.LBB1447_280:
	s_or_b64 exec, exec, s[0:1]
	s_waitcnt lgkmcnt(0)
	v_or_b32_e32 v2, 0x1600, v0
	v_mov_b32_e32 v1, v11
	v_cmp_gt_u32_e64 s[0:1], s33, v2
	s_branch .LBB1447_283
.LBB1447_281:
	s_mov_b64 s[0:1], 0
                                        ; implicit-def: $vgpr3
	s_cbranch_execz .LBB1447_283
; %bb.282:
	v_mul_u32_u24_e32 v1, 0x5c, v0
	s_barrier
	s_movk_i32 s4, 0x5c
	ds_write2_b32 v1, v47, v70 offset1:1
	ds_write2_b32 v1, v71, v72 offset0:2 offset1:3
	ds_write2_b32 v1, v73, v74 offset0:4 offset1:5
	;; [unrolled: 1-line block ×10, first 2 shown]
	ds_write_b32 v1, v91 offset:88
	v_mov_b32_e32 v1, 0
	v_mul_i32_i24_e32 v2, 0xffffffa8, v0
	v_mad_u32_u24 v2, v0, s4, v2
	v_mov_b32_e32 v11, v1
	s_waitcnt lgkmcnt(0)
	s_barrier
	ds_read2st64_b32 v[4:5], v2 offset1:4
	ds_read2st64_b32 v[6:7], v2 offset0:8 offset1:12
	ds_read2st64_b32 v[8:9], v2 offset0:16 offset1:20
	;; [unrolled: 1-line block ×10, first 2 shown]
	ds_read_b32 v3, v2 offset:22528
	v_lshl_add_u64 v[10:11], s[2:3], 0, v[10:11]
	s_movk_i32 s4, 0x1000
	s_waitcnt lgkmcnt(0)
	flat_store_dword v[10:11], v4
	flat_store_dword v[10:11], v5 offset:1024
	flat_store_dword v[10:11], v6 offset:2048
	;; [unrolled: 1-line block ×3, first 2 shown]
	v_add_co_u32_e32 v4, vcc, s4, v10
	s_movk_i32 s4, 0x2000
	s_nop 0
	v_addc_co_u32_e32 v5, vcc, 0, v11, vcc
	flat_store_dword v[4:5], v8
	flat_store_dword v[4:5], v9 offset:1024
	flat_store_dword v[4:5], v12 offset:2048
	;; [unrolled: 1-line block ×3, first 2 shown]
	v_add_co_u32_e32 v4, vcc, s4, v10
	s_movk_i32 s4, 0x3000
	s_nop 0
	v_addc_co_u32_e32 v5, vcc, 0, v11, vcc
	flat_store_dword v[4:5], v14
	flat_store_dword v[4:5], v15 offset:1024
	flat_store_dword v[4:5], v16 offset:2048
	;; [unrolled: 1-line block ×3, first 2 shown]
	v_add_co_u32_e32 v4, vcc, s4, v10
	s_or_b64 s[0:1], s[0:1], exec
	s_nop 0
	v_addc_co_u32_e32 v5, vcc, 0, v11, vcc
	flat_store_dword v[4:5], v18
	flat_store_dword v[4:5], v19 offset:1024
	flat_store_dword v[4:5], v20 offset:2048
	;; [unrolled: 1-line block ×3, first 2 shown]
	v_add_co_u32_e32 v4, vcc, 0x4000, v10
	s_nop 1
	v_addc_co_u32_e32 v5, vcc, 0, v11, vcc
	flat_store_dword v[4:5], v22
	flat_store_dword v[4:5], v23 offset:1024
	flat_store_dword v[4:5], v24 offset:2048
	;; [unrolled: 1-line block ×3, first 2 shown]
	v_add_co_u32_e32 v4, vcc, 0x5000, v10
	s_nop 1
	v_addc_co_u32_e32 v5, vcc, 0, v11, vcc
	flat_store_dword v[4:5], v26
	flat_store_dword v[4:5], v27 offset:1024
.LBB1447_283:
	s_and_saveexec_b64 s[4:5], s[0:1]
	s_cbranch_execz .LBB1447_285
; %bb.284:
	v_lshl_add_u64 v[0:1], v[0:1], 2, s[2:3]
	v_add_co_u32_e32 v0, vcc, 0x5000, v0
	s_nop 1
	v_addc_co_u32_e32 v1, vcc, 0, v1, vcc
	flat_store_dword v[0:1], v3 offset:2048
	s_endpgm
.LBB1447_285:
	s_endpgm
	.section	.rodata,"a",@progbits
	.p2align	6, 0x0
	.amdhsa_kernel _ZN7rocprim17ROCPRIM_400000_NS6detail17trampoline_kernelINS0_14default_configENS1_27scan_by_key_config_selectorIifEEZZNS1_16scan_by_key_implILNS1_25lookback_scan_determinismE0ELb1ES3_N6thrust23THRUST_200600_302600_NS6detail15normal_iteratorINS9_10device_ptrIiEEEENSB_INSC_IfEEEESG_fNS9_4plusIvEENS9_8equal_toIvEEfEE10hipError_tPvRmT2_T3_T4_T5_mT6_T7_P12ihipStream_tbENKUlT_T0_E_clISt17integral_constantIbLb1EES10_IbLb0EEEEDaSW_SX_EUlSW_E_NS1_11comp_targetILNS1_3genE5ELNS1_11target_archE942ELNS1_3gpuE9ELNS1_3repE0EEENS1_30default_config_static_selectorELNS0_4arch9wavefront6targetE1EEEvT1_
		.amdhsa_group_segment_fixed_size 25600
		.amdhsa_private_segment_fixed_size 0
		.amdhsa_kernarg_size 112
		.amdhsa_user_sgpr_count 2
		.amdhsa_user_sgpr_dispatch_ptr 0
		.amdhsa_user_sgpr_queue_ptr 0
		.amdhsa_user_sgpr_kernarg_segment_ptr 1
		.amdhsa_user_sgpr_dispatch_id 0
		.amdhsa_user_sgpr_kernarg_preload_length 0
		.amdhsa_user_sgpr_kernarg_preload_offset 0
		.amdhsa_user_sgpr_private_segment_size 0
		.amdhsa_uses_dynamic_stack 0
		.amdhsa_enable_private_segment 0
		.amdhsa_system_sgpr_workgroup_id_x 1
		.amdhsa_system_sgpr_workgroup_id_y 0
		.amdhsa_system_sgpr_workgroup_id_z 0
		.amdhsa_system_sgpr_workgroup_info 0
		.amdhsa_system_vgpr_workitem_id 0
		.amdhsa_next_free_vgpr 92
		.amdhsa_next_free_sgpr 80
		.amdhsa_accum_offset 92
		.amdhsa_reserve_vcc 1
		.amdhsa_float_round_mode_32 0
		.amdhsa_float_round_mode_16_64 0
		.amdhsa_float_denorm_mode_32 3
		.amdhsa_float_denorm_mode_16_64 3
		.amdhsa_dx10_clamp 1
		.amdhsa_ieee_mode 1
		.amdhsa_fp16_overflow 0
		.amdhsa_tg_split 0
		.amdhsa_exception_fp_ieee_invalid_op 0
		.amdhsa_exception_fp_denorm_src 0
		.amdhsa_exception_fp_ieee_div_zero 0
		.amdhsa_exception_fp_ieee_overflow 0
		.amdhsa_exception_fp_ieee_underflow 0
		.amdhsa_exception_fp_ieee_inexact 0
		.amdhsa_exception_int_div_zero 0
	.end_amdhsa_kernel
	.section	.text._ZN7rocprim17ROCPRIM_400000_NS6detail17trampoline_kernelINS0_14default_configENS1_27scan_by_key_config_selectorIifEEZZNS1_16scan_by_key_implILNS1_25lookback_scan_determinismE0ELb1ES3_N6thrust23THRUST_200600_302600_NS6detail15normal_iteratorINS9_10device_ptrIiEEEENSB_INSC_IfEEEESG_fNS9_4plusIvEENS9_8equal_toIvEEfEE10hipError_tPvRmT2_T3_T4_T5_mT6_T7_P12ihipStream_tbENKUlT_T0_E_clISt17integral_constantIbLb1EES10_IbLb0EEEEDaSW_SX_EUlSW_E_NS1_11comp_targetILNS1_3genE5ELNS1_11target_archE942ELNS1_3gpuE9ELNS1_3repE0EEENS1_30default_config_static_selectorELNS0_4arch9wavefront6targetE1EEEvT1_,"axG",@progbits,_ZN7rocprim17ROCPRIM_400000_NS6detail17trampoline_kernelINS0_14default_configENS1_27scan_by_key_config_selectorIifEEZZNS1_16scan_by_key_implILNS1_25lookback_scan_determinismE0ELb1ES3_N6thrust23THRUST_200600_302600_NS6detail15normal_iteratorINS9_10device_ptrIiEEEENSB_INSC_IfEEEESG_fNS9_4plusIvEENS9_8equal_toIvEEfEE10hipError_tPvRmT2_T3_T4_T5_mT6_T7_P12ihipStream_tbENKUlT_T0_E_clISt17integral_constantIbLb1EES10_IbLb0EEEEDaSW_SX_EUlSW_E_NS1_11comp_targetILNS1_3genE5ELNS1_11target_archE942ELNS1_3gpuE9ELNS1_3repE0EEENS1_30default_config_static_selectorELNS0_4arch9wavefront6targetE1EEEvT1_,comdat
.Lfunc_end1447:
	.size	_ZN7rocprim17ROCPRIM_400000_NS6detail17trampoline_kernelINS0_14default_configENS1_27scan_by_key_config_selectorIifEEZZNS1_16scan_by_key_implILNS1_25lookback_scan_determinismE0ELb1ES3_N6thrust23THRUST_200600_302600_NS6detail15normal_iteratorINS9_10device_ptrIiEEEENSB_INSC_IfEEEESG_fNS9_4plusIvEENS9_8equal_toIvEEfEE10hipError_tPvRmT2_T3_T4_T5_mT6_T7_P12ihipStream_tbENKUlT_T0_E_clISt17integral_constantIbLb1EES10_IbLb0EEEEDaSW_SX_EUlSW_E_NS1_11comp_targetILNS1_3genE5ELNS1_11target_archE942ELNS1_3gpuE9ELNS1_3repE0EEENS1_30default_config_static_selectorELNS0_4arch9wavefront6targetE1EEEvT1_, .Lfunc_end1447-_ZN7rocprim17ROCPRIM_400000_NS6detail17trampoline_kernelINS0_14default_configENS1_27scan_by_key_config_selectorIifEEZZNS1_16scan_by_key_implILNS1_25lookback_scan_determinismE0ELb1ES3_N6thrust23THRUST_200600_302600_NS6detail15normal_iteratorINS9_10device_ptrIiEEEENSB_INSC_IfEEEESG_fNS9_4plusIvEENS9_8equal_toIvEEfEE10hipError_tPvRmT2_T3_T4_T5_mT6_T7_P12ihipStream_tbENKUlT_T0_E_clISt17integral_constantIbLb1EES10_IbLb0EEEEDaSW_SX_EUlSW_E_NS1_11comp_targetILNS1_3genE5ELNS1_11target_archE942ELNS1_3gpuE9ELNS1_3repE0EEENS1_30default_config_static_selectorELNS0_4arch9wavefront6targetE1EEEvT1_
                                        ; -- End function
	.section	.AMDGPU.csdata,"",@progbits
; Kernel info:
; codeLenInByte = 16504
; NumSgprs: 86
; NumVgprs: 92
; NumAgprs: 0
; TotalNumVgprs: 92
; ScratchSize: 0
; MemoryBound: 0
; FloatMode: 240
; IeeeMode: 1
; LDSByteSize: 25600 bytes/workgroup (compile time only)
; SGPRBlocks: 10
; VGPRBlocks: 11
; NumSGPRsForWavesPerEU: 86
; NumVGPRsForWavesPerEU: 92
; AccumOffset: 92
; Occupancy: 2
; WaveLimiterHint : 1
; COMPUTE_PGM_RSRC2:SCRATCH_EN: 0
; COMPUTE_PGM_RSRC2:USER_SGPR: 2
; COMPUTE_PGM_RSRC2:TRAP_HANDLER: 0
; COMPUTE_PGM_RSRC2:TGID_X_EN: 1
; COMPUTE_PGM_RSRC2:TGID_Y_EN: 0
; COMPUTE_PGM_RSRC2:TGID_Z_EN: 0
; COMPUTE_PGM_RSRC2:TIDIG_COMP_CNT: 0
; COMPUTE_PGM_RSRC3_GFX90A:ACCUM_OFFSET: 22
; COMPUTE_PGM_RSRC3_GFX90A:TG_SPLIT: 0
	.section	.text._ZN7rocprim17ROCPRIM_400000_NS6detail17trampoline_kernelINS0_14default_configENS1_27scan_by_key_config_selectorIifEEZZNS1_16scan_by_key_implILNS1_25lookback_scan_determinismE0ELb1ES3_N6thrust23THRUST_200600_302600_NS6detail15normal_iteratorINS9_10device_ptrIiEEEENSB_INSC_IfEEEESG_fNS9_4plusIvEENS9_8equal_toIvEEfEE10hipError_tPvRmT2_T3_T4_T5_mT6_T7_P12ihipStream_tbENKUlT_T0_E_clISt17integral_constantIbLb1EES10_IbLb0EEEEDaSW_SX_EUlSW_E_NS1_11comp_targetILNS1_3genE4ELNS1_11target_archE910ELNS1_3gpuE8ELNS1_3repE0EEENS1_30default_config_static_selectorELNS0_4arch9wavefront6targetE1EEEvT1_,"axG",@progbits,_ZN7rocprim17ROCPRIM_400000_NS6detail17trampoline_kernelINS0_14default_configENS1_27scan_by_key_config_selectorIifEEZZNS1_16scan_by_key_implILNS1_25lookback_scan_determinismE0ELb1ES3_N6thrust23THRUST_200600_302600_NS6detail15normal_iteratorINS9_10device_ptrIiEEEENSB_INSC_IfEEEESG_fNS9_4plusIvEENS9_8equal_toIvEEfEE10hipError_tPvRmT2_T3_T4_T5_mT6_T7_P12ihipStream_tbENKUlT_T0_E_clISt17integral_constantIbLb1EES10_IbLb0EEEEDaSW_SX_EUlSW_E_NS1_11comp_targetILNS1_3genE4ELNS1_11target_archE910ELNS1_3gpuE8ELNS1_3repE0EEENS1_30default_config_static_selectorELNS0_4arch9wavefront6targetE1EEEvT1_,comdat
	.protected	_ZN7rocprim17ROCPRIM_400000_NS6detail17trampoline_kernelINS0_14default_configENS1_27scan_by_key_config_selectorIifEEZZNS1_16scan_by_key_implILNS1_25lookback_scan_determinismE0ELb1ES3_N6thrust23THRUST_200600_302600_NS6detail15normal_iteratorINS9_10device_ptrIiEEEENSB_INSC_IfEEEESG_fNS9_4plusIvEENS9_8equal_toIvEEfEE10hipError_tPvRmT2_T3_T4_T5_mT6_T7_P12ihipStream_tbENKUlT_T0_E_clISt17integral_constantIbLb1EES10_IbLb0EEEEDaSW_SX_EUlSW_E_NS1_11comp_targetILNS1_3genE4ELNS1_11target_archE910ELNS1_3gpuE8ELNS1_3repE0EEENS1_30default_config_static_selectorELNS0_4arch9wavefront6targetE1EEEvT1_ ; -- Begin function _ZN7rocprim17ROCPRIM_400000_NS6detail17trampoline_kernelINS0_14default_configENS1_27scan_by_key_config_selectorIifEEZZNS1_16scan_by_key_implILNS1_25lookback_scan_determinismE0ELb1ES3_N6thrust23THRUST_200600_302600_NS6detail15normal_iteratorINS9_10device_ptrIiEEEENSB_INSC_IfEEEESG_fNS9_4plusIvEENS9_8equal_toIvEEfEE10hipError_tPvRmT2_T3_T4_T5_mT6_T7_P12ihipStream_tbENKUlT_T0_E_clISt17integral_constantIbLb1EES10_IbLb0EEEEDaSW_SX_EUlSW_E_NS1_11comp_targetILNS1_3genE4ELNS1_11target_archE910ELNS1_3gpuE8ELNS1_3repE0EEENS1_30default_config_static_selectorELNS0_4arch9wavefront6targetE1EEEvT1_
	.globl	_ZN7rocprim17ROCPRIM_400000_NS6detail17trampoline_kernelINS0_14default_configENS1_27scan_by_key_config_selectorIifEEZZNS1_16scan_by_key_implILNS1_25lookback_scan_determinismE0ELb1ES3_N6thrust23THRUST_200600_302600_NS6detail15normal_iteratorINS9_10device_ptrIiEEEENSB_INSC_IfEEEESG_fNS9_4plusIvEENS9_8equal_toIvEEfEE10hipError_tPvRmT2_T3_T4_T5_mT6_T7_P12ihipStream_tbENKUlT_T0_E_clISt17integral_constantIbLb1EES10_IbLb0EEEEDaSW_SX_EUlSW_E_NS1_11comp_targetILNS1_3genE4ELNS1_11target_archE910ELNS1_3gpuE8ELNS1_3repE0EEENS1_30default_config_static_selectorELNS0_4arch9wavefront6targetE1EEEvT1_
	.p2align	8
	.type	_ZN7rocprim17ROCPRIM_400000_NS6detail17trampoline_kernelINS0_14default_configENS1_27scan_by_key_config_selectorIifEEZZNS1_16scan_by_key_implILNS1_25lookback_scan_determinismE0ELb1ES3_N6thrust23THRUST_200600_302600_NS6detail15normal_iteratorINS9_10device_ptrIiEEEENSB_INSC_IfEEEESG_fNS9_4plusIvEENS9_8equal_toIvEEfEE10hipError_tPvRmT2_T3_T4_T5_mT6_T7_P12ihipStream_tbENKUlT_T0_E_clISt17integral_constantIbLb1EES10_IbLb0EEEEDaSW_SX_EUlSW_E_NS1_11comp_targetILNS1_3genE4ELNS1_11target_archE910ELNS1_3gpuE8ELNS1_3repE0EEENS1_30default_config_static_selectorELNS0_4arch9wavefront6targetE1EEEvT1_,@function
_ZN7rocprim17ROCPRIM_400000_NS6detail17trampoline_kernelINS0_14default_configENS1_27scan_by_key_config_selectorIifEEZZNS1_16scan_by_key_implILNS1_25lookback_scan_determinismE0ELb1ES3_N6thrust23THRUST_200600_302600_NS6detail15normal_iteratorINS9_10device_ptrIiEEEENSB_INSC_IfEEEESG_fNS9_4plusIvEENS9_8equal_toIvEEfEE10hipError_tPvRmT2_T3_T4_T5_mT6_T7_P12ihipStream_tbENKUlT_T0_E_clISt17integral_constantIbLb1EES10_IbLb0EEEEDaSW_SX_EUlSW_E_NS1_11comp_targetILNS1_3genE4ELNS1_11target_archE910ELNS1_3gpuE8ELNS1_3repE0EEENS1_30default_config_static_selectorELNS0_4arch9wavefront6targetE1EEEvT1_: ; @_ZN7rocprim17ROCPRIM_400000_NS6detail17trampoline_kernelINS0_14default_configENS1_27scan_by_key_config_selectorIifEEZZNS1_16scan_by_key_implILNS1_25lookback_scan_determinismE0ELb1ES3_N6thrust23THRUST_200600_302600_NS6detail15normal_iteratorINS9_10device_ptrIiEEEENSB_INSC_IfEEEESG_fNS9_4plusIvEENS9_8equal_toIvEEfEE10hipError_tPvRmT2_T3_T4_T5_mT6_T7_P12ihipStream_tbENKUlT_T0_E_clISt17integral_constantIbLb1EES10_IbLb0EEEEDaSW_SX_EUlSW_E_NS1_11comp_targetILNS1_3genE4ELNS1_11target_archE910ELNS1_3gpuE8ELNS1_3repE0EEENS1_30default_config_static_selectorELNS0_4arch9wavefront6targetE1EEEvT1_
; %bb.0:
	.section	.rodata,"a",@progbits
	.p2align	6, 0x0
	.amdhsa_kernel _ZN7rocprim17ROCPRIM_400000_NS6detail17trampoline_kernelINS0_14default_configENS1_27scan_by_key_config_selectorIifEEZZNS1_16scan_by_key_implILNS1_25lookback_scan_determinismE0ELb1ES3_N6thrust23THRUST_200600_302600_NS6detail15normal_iteratorINS9_10device_ptrIiEEEENSB_INSC_IfEEEESG_fNS9_4plusIvEENS9_8equal_toIvEEfEE10hipError_tPvRmT2_T3_T4_T5_mT6_T7_P12ihipStream_tbENKUlT_T0_E_clISt17integral_constantIbLb1EES10_IbLb0EEEEDaSW_SX_EUlSW_E_NS1_11comp_targetILNS1_3genE4ELNS1_11target_archE910ELNS1_3gpuE8ELNS1_3repE0EEENS1_30default_config_static_selectorELNS0_4arch9wavefront6targetE1EEEvT1_
		.amdhsa_group_segment_fixed_size 0
		.amdhsa_private_segment_fixed_size 0
		.amdhsa_kernarg_size 112
		.amdhsa_user_sgpr_count 2
		.amdhsa_user_sgpr_dispatch_ptr 0
		.amdhsa_user_sgpr_queue_ptr 0
		.amdhsa_user_sgpr_kernarg_segment_ptr 1
		.amdhsa_user_sgpr_dispatch_id 0
		.amdhsa_user_sgpr_kernarg_preload_length 0
		.amdhsa_user_sgpr_kernarg_preload_offset 0
		.amdhsa_user_sgpr_private_segment_size 0
		.amdhsa_uses_dynamic_stack 0
		.amdhsa_enable_private_segment 0
		.amdhsa_system_sgpr_workgroup_id_x 1
		.amdhsa_system_sgpr_workgroup_id_y 0
		.amdhsa_system_sgpr_workgroup_id_z 0
		.amdhsa_system_sgpr_workgroup_info 0
		.amdhsa_system_vgpr_workitem_id 0
		.amdhsa_next_free_vgpr 1
		.amdhsa_next_free_sgpr 0
		.amdhsa_accum_offset 4
		.amdhsa_reserve_vcc 0
		.amdhsa_float_round_mode_32 0
		.amdhsa_float_round_mode_16_64 0
		.amdhsa_float_denorm_mode_32 3
		.amdhsa_float_denorm_mode_16_64 3
		.amdhsa_dx10_clamp 1
		.amdhsa_ieee_mode 1
		.amdhsa_fp16_overflow 0
		.amdhsa_tg_split 0
		.amdhsa_exception_fp_ieee_invalid_op 0
		.amdhsa_exception_fp_denorm_src 0
		.amdhsa_exception_fp_ieee_div_zero 0
		.amdhsa_exception_fp_ieee_overflow 0
		.amdhsa_exception_fp_ieee_underflow 0
		.amdhsa_exception_fp_ieee_inexact 0
		.amdhsa_exception_int_div_zero 0
	.end_amdhsa_kernel
	.section	.text._ZN7rocprim17ROCPRIM_400000_NS6detail17trampoline_kernelINS0_14default_configENS1_27scan_by_key_config_selectorIifEEZZNS1_16scan_by_key_implILNS1_25lookback_scan_determinismE0ELb1ES3_N6thrust23THRUST_200600_302600_NS6detail15normal_iteratorINS9_10device_ptrIiEEEENSB_INSC_IfEEEESG_fNS9_4plusIvEENS9_8equal_toIvEEfEE10hipError_tPvRmT2_T3_T4_T5_mT6_T7_P12ihipStream_tbENKUlT_T0_E_clISt17integral_constantIbLb1EES10_IbLb0EEEEDaSW_SX_EUlSW_E_NS1_11comp_targetILNS1_3genE4ELNS1_11target_archE910ELNS1_3gpuE8ELNS1_3repE0EEENS1_30default_config_static_selectorELNS0_4arch9wavefront6targetE1EEEvT1_,"axG",@progbits,_ZN7rocprim17ROCPRIM_400000_NS6detail17trampoline_kernelINS0_14default_configENS1_27scan_by_key_config_selectorIifEEZZNS1_16scan_by_key_implILNS1_25lookback_scan_determinismE0ELb1ES3_N6thrust23THRUST_200600_302600_NS6detail15normal_iteratorINS9_10device_ptrIiEEEENSB_INSC_IfEEEESG_fNS9_4plusIvEENS9_8equal_toIvEEfEE10hipError_tPvRmT2_T3_T4_T5_mT6_T7_P12ihipStream_tbENKUlT_T0_E_clISt17integral_constantIbLb1EES10_IbLb0EEEEDaSW_SX_EUlSW_E_NS1_11comp_targetILNS1_3genE4ELNS1_11target_archE910ELNS1_3gpuE8ELNS1_3repE0EEENS1_30default_config_static_selectorELNS0_4arch9wavefront6targetE1EEEvT1_,comdat
.Lfunc_end1448:
	.size	_ZN7rocprim17ROCPRIM_400000_NS6detail17trampoline_kernelINS0_14default_configENS1_27scan_by_key_config_selectorIifEEZZNS1_16scan_by_key_implILNS1_25lookback_scan_determinismE0ELb1ES3_N6thrust23THRUST_200600_302600_NS6detail15normal_iteratorINS9_10device_ptrIiEEEENSB_INSC_IfEEEESG_fNS9_4plusIvEENS9_8equal_toIvEEfEE10hipError_tPvRmT2_T3_T4_T5_mT6_T7_P12ihipStream_tbENKUlT_T0_E_clISt17integral_constantIbLb1EES10_IbLb0EEEEDaSW_SX_EUlSW_E_NS1_11comp_targetILNS1_3genE4ELNS1_11target_archE910ELNS1_3gpuE8ELNS1_3repE0EEENS1_30default_config_static_selectorELNS0_4arch9wavefront6targetE1EEEvT1_, .Lfunc_end1448-_ZN7rocprim17ROCPRIM_400000_NS6detail17trampoline_kernelINS0_14default_configENS1_27scan_by_key_config_selectorIifEEZZNS1_16scan_by_key_implILNS1_25lookback_scan_determinismE0ELb1ES3_N6thrust23THRUST_200600_302600_NS6detail15normal_iteratorINS9_10device_ptrIiEEEENSB_INSC_IfEEEESG_fNS9_4plusIvEENS9_8equal_toIvEEfEE10hipError_tPvRmT2_T3_T4_T5_mT6_T7_P12ihipStream_tbENKUlT_T0_E_clISt17integral_constantIbLb1EES10_IbLb0EEEEDaSW_SX_EUlSW_E_NS1_11comp_targetILNS1_3genE4ELNS1_11target_archE910ELNS1_3gpuE8ELNS1_3repE0EEENS1_30default_config_static_selectorELNS0_4arch9wavefront6targetE1EEEvT1_
                                        ; -- End function
	.section	.AMDGPU.csdata,"",@progbits
; Kernel info:
; codeLenInByte = 0
; NumSgprs: 6
; NumVgprs: 0
; NumAgprs: 0
; TotalNumVgprs: 0
; ScratchSize: 0
; MemoryBound: 0
; FloatMode: 240
; IeeeMode: 1
; LDSByteSize: 0 bytes/workgroup (compile time only)
; SGPRBlocks: 0
; VGPRBlocks: 0
; NumSGPRsForWavesPerEU: 6
; NumVGPRsForWavesPerEU: 1
; AccumOffset: 4
; Occupancy: 8
; WaveLimiterHint : 0
; COMPUTE_PGM_RSRC2:SCRATCH_EN: 0
; COMPUTE_PGM_RSRC2:USER_SGPR: 2
; COMPUTE_PGM_RSRC2:TRAP_HANDLER: 0
; COMPUTE_PGM_RSRC2:TGID_X_EN: 1
; COMPUTE_PGM_RSRC2:TGID_Y_EN: 0
; COMPUTE_PGM_RSRC2:TGID_Z_EN: 0
; COMPUTE_PGM_RSRC2:TIDIG_COMP_CNT: 0
; COMPUTE_PGM_RSRC3_GFX90A:ACCUM_OFFSET: 0
; COMPUTE_PGM_RSRC3_GFX90A:TG_SPLIT: 0
	.section	.text._ZN7rocprim17ROCPRIM_400000_NS6detail17trampoline_kernelINS0_14default_configENS1_27scan_by_key_config_selectorIifEEZZNS1_16scan_by_key_implILNS1_25lookback_scan_determinismE0ELb1ES3_N6thrust23THRUST_200600_302600_NS6detail15normal_iteratorINS9_10device_ptrIiEEEENSB_INSC_IfEEEESG_fNS9_4plusIvEENS9_8equal_toIvEEfEE10hipError_tPvRmT2_T3_T4_T5_mT6_T7_P12ihipStream_tbENKUlT_T0_E_clISt17integral_constantIbLb1EES10_IbLb0EEEEDaSW_SX_EUlSW_E_NS1_11comp_targetILNS1_3genE3ELNS1_11target_archE908ELNS1_3gpuE7ELNS1_3repE0EEENS1_30default_config_static_selectorELNS0_4arch9wavefront6targetE1EEEvT1_,"axG",@progbits,_ZN7rocprim17ROCPRIM_400000_NS6detail17trampoline_kernelINS0_14default_configENS1_27scan_by_key_config_selectorIifEEZZNS1_16scan_by_key_implILNS1_25lookback_scan_determinismE0ELb1ES3_N6thrust23THRUST_200600_302600_NS6detail15normal_iteratorINS9_10device_ptrIiEEEENSB_INSC_IfEEEESG_fNS9_4plusIvEENS9_8equal_toIvEEfEE10hipError_tPvRmT2_T3_T4_T5_mT6_T7_P12ihipStream_tbENKUlT_T0_E_clISt17integral_constantIbLb1EES10_IbLb0EEEEDaSW_SX_EUlSW_E_NS1_11comp_targetILNS1_3genE3ELNS1_11target_archE908ELNS1_3gpuE7ELNS1_3repE0EEENS1_30default_config_static_selectorELNS0_4arch9wavefront6targetE1EEEvT1_,comdat
	.protected	_ZN7rocprim17ROCPRIM_400000_NS6detail17trampoline_kernelINS0_14default_configENS1_27scan_by_key_config_selectorIifEEZZNS1_16scan_by_key_implILNS1_25lookback_scan_determinismE0ELb1ES3_N6thrust23THRUST_200600_302600_NS6detail15normal_iteratorINS9_10device_ptrIiEEEENSB_INSC_IfEEEESG_fNS9_4plusIvEENS9_8equal_toIvEEfEE10hipError_tPvRmT2_T3_T4_T5_mT6_T7_P12ihipStream_tbENKUlT_T0_E_clISt17integral_constantIbLb1EES10_IbLb0EEEEDaSW_SX_EUlSW_E_NS1_11comp_targetILNS1_3genE3ELNS1_11target_archE908ELNS1_3gpuE7ELNS1_3repE0EEENS1_30default_config_static_selectorELNS0_4arch9wavefront6targetE1EEEvT1_ ; -- Begin function _ZN7rocprim17ROCPRIM_400000_NS6detail17trampoline_kernelINS0_14default_configENS1_27scan_by_key_config_selectorIifEEZZNS1_16scan_by_key_implILNS1_25lookback_scan_determinismE0ELb1ES3_N6thrust23THRUST_200600_302600_NS6detail15normal_iteratorINS9_10device_ptrIiEEEENSB_INSC_IfEEEESG_fNS9_4plusIvEENS9_8equal_toIvEEfEE10hipError_tPvRmT2_T3_T4_T5_mT6_T7_P12ihipStream_tbENKUlT_T0_E_clISt17integral_constantIbLb1EES10_IbLb0EEEEDaSW_SX_EUlSW_E_NS1_11comp_targetILNS1_3genE3ELNS1_11target_archE908ELNS1_3gpuE7ELNS1_3repE0EEENS1_30default_config_static_selectorELNS0_4arch9wavefront6targetE1EEEvT1_
	.globl	_ZN7rocprim17ROCPRIM_400000_NS6detail17trampoline_kernelINS0_14default_configENS1_27scan_by_key_config_selectorIifEEZZNS1_16scan_by_key_implILNS1_25lookback_scan_determinismE0ELb1ES3_N6thrust23THRUST_200600_302600_NS6detail15normal_iteratorINS9_10device_ptrIiEEEENSB_INSC_IfEEEESG_fNS9_4plusIvEENS9_8equal_toIvEEfEE10hipError_tPvRmT2_T3_T4_T5_mT6_T7_P12ihipStream_tbENKUlT_T0_E_clISt17integral_constantIbLb1EES10_IbLb0EEEEDaSW_SX_EUlSW_E_NS1_11comp_targetILNS1_3genE3ELNS1_11target_archE908ELNS1_3gpuE7ELNS1_3repE0EEENS1_30default_config_static_selectorELNS0_4arch9wavefront6targetE1EEEvT1_
	.p2align	8
	.type	_ZN7rocprim17ROCPRIM_400000_NS6detail17trampoline_kernelINS0_14default_configENS1_27scan_by_key_config_selectorIifEEZZNS1_16scan_by_key_implILNS1_25lookback_scan_determinismE0ELb1ES3_N6thrust23THRUST_200600_302600_NS6detail15normal_iteratorINS9_10device_ptrIiEEEENSB_INSC_IfEEEESG_fNS9_4plusIvEENS9_8equal_toIvEEfEE10hipError_tPvRmT2_T3_T4_T5_mT6_T7_P12ihipStream_tbENKUlT_T0_E_clISt17integral_constantIbLb1EES10_IbLb0EEEEDaSW_SX_EUlSW_E_NS1_11comp_targetILNS1_3genE3ELNS1_11target_archE908ELNS1_3gpuE7ELNS1_3repE0EEENS1_30default_config_static_selectorELNS0_4arch9wavefront6targetE1EEEvT1_,@function
_ZN7rocprim17ROCPRIM_400000_NS6detail17trampoline_kernelINS0_14default_configENS1_27scan_by_key_config_selectorIifEEZZNS1_16scan_by_key_implILNS1_25lookback_scan_determinismE0ELb1ES3_N6thrust23THRUST_200600_302600_NS6detail15normal_iteratorINS9_10device_ptrIiEEEENSB_INSC_IfEEEESG_fNS9_4plusIvEENS9_8equal_toIvEEfEE10hipError_tPvRmT2_T3_T4_T5_mT6_T7_P12ihipStream_tbENKUlT_T0_E_clISt17integral_constantIbLb1EES10_IbLb0EEEEDaSW_SX_EUlSW_E_NS1_11comp_targetILNS1_3genE3ELNS1_11target_archE908ELNS1_3gpuE7ELNS1_3repE0EEENS1_30default_config_static_selectorELNS0_4arch9wavefront6targetE1EEEvT1_: ; @_ZN7rocprim17ROCPRIM_400000_NS6detail17trampoline_kernelINS0_14default_configENS1_27scan_by_key_config_selectorIifEEZZNS1_16scan_by_key_implILNS1_25lookback_scan_determinismE0ELb1ES3_N6thrust23THRUST_200600_302600_NS6detail15normal_iteratorINS9_10device_ptrIiEEEENSB_INSC_IfEEEESG_fNS9_4plusIvEENS9_8equal_toIvEEfEE10hipError_tPvRmT2_T3_T4_T5_mT6_T7_P12ihipStream_tbENKUlT_T0_E_clISt17integral_constantIbLb1EES10_IbLb0EEEEDaSW_SX_EUlSW_E_NS1_11comp_targetILNS1_3genE3ELNS1_11target_archE908ELNS1_3gpuE7ELNS1_3repE0EEENS1_30default_config_static_selectorELNS0_4arch9wavefront6targetE1EEEvT1_
; %bb.0:
	.section	.rodata,"a",@progbits
	.p2align	6, 0x0
	.amdhsa_kernel _ZN7rocprim17ROCPRIM_400000_NS6detail17trampoline_kernelINS0_14default_configENS1_27scan_by_key_config_selectorIifEEZZNS1_16scan_by_key_implILNS1_25lookback_scan_determinismE0ELb1ES3_N6thrust23THRUST_200600_302600_NS6detail15normal_iteratorINS9_10device_ptrIiEEEENSB_INSC_IfEEEESG_fNS9_4plusIvEENS9_8equal_toIvEEfEE10hipError_tPvRmT2_T3_T4_T5_mT6_T7_P12ihipStream_tbENKUlT_T0_E_clISt17integral_constantIbLb1EES10_IbLb0EEEEDaSW_SX_EUlSW_E_NS1_11comp_targetILNS1_3genE3ELNS1_11target_archE908ELNS1_3gpuE7ELNS1_3repE0EEENS1_30default_config_static_selectorELNS0_4arch9wavefront6targetE1EEEvT1_
		.amdhsa_group_segment_fixed_size 0
		.amdhsa_private_segment_fixed_size 0
		.amdhsa_kernarg_size 112
		.amdhsa_user_sgpr_count 2
		.amdhsa_user_sgpr_dispatch_ptr 0
		.amdhsa_user_sgpr_queue_ptr 0
		.amdhsa_user_sgpr_kernarg_segment_ptr 1
		.amdhsa_user_sgpr_dispatch_id 0
		.amdhsa_user_sgpr_kernarg_preload_length 0
		.amdhsa_user_sgpr_kernarg_preload_offset 0
		.amdhsa_user_sgpr_private_segment_size 0
		.amdhsa_uses_dynamic_stack 0
		.amdhsa_enable_private_segment 0
		.amdhsa_system_sgpr_workgroup_id_x 1
		.amdhsa_system_sgpr_workgroup_id_y 0
		.amdhsa_system_sgpr_workgroup_id_z 0
		.amdhsa_system_sgpr_workgroup_info 0
		.amdhsa_system_vgpr_workitem_id 0
		.amdhsa_next_free_vgpr 1
		.amdhsa_next_free_sgpr 0
		.amdhsa_accum_offset 4
		.amdhsa_reserve_vcc 0
		.amdhsa_float_round_mode_32 0
		.amdhsa_float_round_mode_16_64 0
		.amdhsa_float_denorm_mode_32 3
		.amdhsa_float_denorm_mode_16_64 3
		.amdhsa_dx10_clamp 1
		.amdhsa_ieee_mode 1
		.amdhsa_fp16_overflow 0
		.amdhsa_tg_split 0
		.amdhsa_exception_fp_ieee_invalid_op 0
		.amdhsa_exception_fp_denorm_src 0
		.amdhsa_exception_fp_ieee_div_zero 0
		.amdhsa_exception_fp_ieee_overflow 0
		.amdhsa_exception_fp_ieee_underflow 0
		.amdhsa_exception_fp_ieee_inexact 0
		.amdhsa_exception_int_div_zero 0
	.end_amdhsa_kernel
	.section	.text._ZN7rocprim17ROCPRIM_400000_NS6detail17trampoline_kernelINS0_14default_configENS1_27scan_by_key_config_selectorIifEEZZNS1_16scan_by_key_implILNS1_25lookback_scan_determinismE0ELb1ES3_N6thrust23THRUST_200600_302600_NS6detail15normal_iteratorINS9_10device_ptrIiEEEENSB_INSC_IfEEEESG_fNS9_4plusIvEENS9_8equal_toIvEEfEE10hipError_tPvRmT2_T3_T4_T5_mT6_T7_P12ihipStream_tbENKUlT_T0_E_clISt17integral_constantIbLb1EES10_IbLb0EEEEDaSW_SX_EUlSW_E_NS1_11comp_targetILNS1_3genE3ELNS1_11target_archE908ELNS1_3gpuE7ELNS1_3repE0EEENS1_30default_config_static_selectorELNS0_4arch9wavefront6targetE1EEEvT1_,"axG",@progbits,_ZN7rocprim17ROCPRIM_400000_NS6detail17trampoline_kernelINS0_14default_configENS1_27scan_by_key_config_selectorIifEEZZNS1_16scan_by_key_implILNS1_25lookback_scan_determinismE0ELb1ES3_N6thrust23THRUST_200600_302600_NS6detail15normal_iteratorINS9_10device_ptrIiEEEENSB_INSC_IfEEEESG_fNS9_4plusIvEENS9_8equal_toIvEEfEE10hipError_tPvRmT2_T3_T4_T5_mT6_T7_P12ihipStream_tbENKUlT_T0_E_clISt17integral_constantIbLb1EES10_IbLb0EEEEDaSW_SX_EUlSW_E_NS1_11comp_targetILNS1_3genE3ELNS1_11target_archE908ELNS1_3gpuE7ELNS1_3repE0EEENS1_30default_config_static_selectorELNS0_4arch9wavefront6targetE1EEEvT1_,comdat
.Lfunc_end1449:
	.size	_ZN7rocprim17ROCPRIM_400000_NS6detail17trampoline_kernelINS0_14default_configENS1_27scan_by_key_config_selectorIifEEZZNS1_16scan_by_key_implILNS1_25lookback_scan_determinismE0ELb1ES3_N6thrust23THRUST_200600_302600_NS6detail15normal_iteratorINS9_10device_ptrIiEEEENSB_INSC_IfEEEESG_fNS9_4plusIvEENS9_8equal_toIvEEfEE10hipError_tPvRmT2_T3_T4_T5_mT6_T7_P12ihipStream_tbENKUlT_T0_E_clISt17integral_constantIbLb1EES10_IbLb0EEEEDaSW_SX_EUlSW_E_NS1_11comp_targetILNS1_3genE3ELNS1_11target_archE908ELNS1_3gpuE7ELNS1_3repE0EEENS1_30default_config_static_selectorELNS0_4arch9wavefront6targetE1EEEvT1_, .Lfunc_end1449-_ZN7rocprim17ROCPRIM_400000_NS6detail17trampoline_kernelINS0_14default_configENS1_27scan_by_key_config_selectorIifEEZZNS1_16scan_by_key_implILNS1_25lookback_scan_determinismE0ELb1ES3_N6thrust23THRUST_200600_302600_NS6detail15normal_iteratorINS9_10device_ptrIiEEEENSB_INSC_IfEEEESG_fNS9_4plusIvEENS9_8equal_toIvEEfEE10hipError_tPvRmT2_T3_T4_T5_mT6_T7_P12ihipStream_tbENKUlT_T0_E_clISt17integral_constantIbLb1EES10_IbLb0EEEEDaSW_SX_EUlSW_E_NS1_11comp_targetILNS1_3genE3ELNS1_11target_archE908ELNS1_3gpuE7ELNS1_3repE0EEENS1_30default_config_static_selectorELNS0_4arch9wavefront6targetE1EEEvT1_
                                        ; -- End function
	.section	.AMDGPU.csdata,"",@progbits
; Kernel info:
; codeLenInByte = 0
; NumSgprs: 6
; NumVgprs: 0
; NumAgprs: 0
; TotalNumVgprs: 0
; ScratchSize: 0
; MemoryBound: 0
; FloatMode: 240
; IeeeMode: 1
; LDSByteSize: 0 bytes/workgroup (compile time only)
; SGPRBlocks: 0
; VGPRBlocks: 0
; NumSGPRsForWavesPerEU: 6
; NumVGPRsForWavesPerEU: 1
; AccumOffset: 4
; Occupancy: 8
; WaveLimiterHint : 0
; COMPUTE_PGM_RSRC2:SCRATCH_EN: 0
; COMPUTE_PGM_RSRC2:USER_SGPR: 2
; COMPUTE_PGM_RSRC2:TRAP_HANDLER: 0
; COMPUTE_PGM_RSRC2:TGID_X_EN: 1
; COMPUTE_PGM_RSRC2:TGID_Y_EN: 0
; COMPUTE_PGM_RSRC2:TGID_Z_EN: 0
; COMPUTE_PGM_RSRC2:TIDIG_COMP_CNT: 0
; COMPUTE_PGM_RSRC3_GFX90A:ACCUM_OFFSET: 0
; COMPUTE_PGM_RSRC3_GFX90A:TG_SPLIT: 0
	.section	.text._ZN7rocprim17ROCPRIM_400000_NS6detail17trampoline_kernelINS0_14default_configENS1_27scan_by_key_config_selectorIifEEZZNS1_16scan_by_key_implILNS1_25lookback_scan_determinismE0ELb1ES3_N6thrust23THRUST_200600_302600_NS6detail15normal_iteratorINS9_10device_ptrIiEEEENSB_INSC_IfEEEESG_fNS9_4plusIvEENS9_8equal_toIvEEfEE10hipError_tPvRmT2_T3_T4_T5_mT6_T7_P12ihipStream_tbENKUlT_T0_E_clISt17integral_constantIbLb1EES10_IbLb0EEEEDaSW_SX_EUlSW_E_NS1_11comp_targetILNS1_3genE2ELNS1_11target_archE906ELNS1_3gpuE6ELNS1_3repE0EEENS1_30default_config_static_selectorELNS0_4arch9wavefront6targetE1EEEvT1_,"axG",@progbits,_ZN7rocprim17ROCPRIM_400000_NS6detail17trampoline_kernelINS0_14default_configENS1_27scan_by_key_config_selectorIifEEZZNS1_16scan_by_key_implILNS1_25lookback_scan_determinismE0ELb1ES3_N6thrust23THRUST_200600_302600_NS6detail15normal_iteratorINS9_10device_ptrIiEEEENSB_INSC_IfEEEESG_fNS9_4plusIvEENS9_8equal_toIvEEfEE10hipError_tPvRmT2_T3_T4_T5_mT6_T7_P12ihipStream_tbENKUlT_T0_E_clISt17integral_constantIbLb1EES10_IbLb0EEEEDaSW_SX_EUlSW_E_NS1_11comp_targetILNS1_3genE2ELNS1_11target_archE906ELNS1_3gpuE6ELNS1_3repE0EEENS1_30default_config_static_selectorELNS0_4arch9wavefront6targetE1EEEvT1_,comdat
	.protected	_ZN7rocprim17ROCPRIM_400000_NS6detail17trampoline_kernelINS0_14default_configENS1_27scan_by_key_config_selectorIifEEZZNS1_16scan_by_key_implILNS1_25lookback_scan_determinismE0ELb1ES3_N6thrust23THRUST_200600_302600_NS6detail15normal_iteratorINS9_10device_ptrIiEEEENSB_INSC_IfEEEESG_fNS9_4plusIvEENS9_8equal_toIvEEfEE10hipError_tPvRmT2_T3_T4_T5_mT6_T7_P12ihipStream_tbENKUlT_T0_E_clISt17integral_constantIbLb1EES10_IbLb0EEEEDaSW_SX_EUlSW_E_NS1_11comp_targetILNS1_3genE2ELNS1_11target_archE906ELNS1_3gpuE6ELNS1_3repE0EEENS1_30default_config_static_selectorELNS0_4arch9wavefront6targetE1EEEvT1_ ; -- Begin function _ZN7rocprim17ROCPRIM_400000_NS6detail17trampoline_kernelINS0_14default_configENS1_27scan_by_key_config_selectorIifEEZZNS1_16scan_by_key_implILNS1_25lookback_scan_determinismE0ELb1ES3_N6thrust23THRUST_200600_302600_NS6detail15normal_iteratorINS9_10device_ptrIiEEEENSB_INSC_IfEEEESG_fNS9_4plusIvEENS9_8equal_toIvEEfEE10hipError_tPvRmT2_T3_T4_T5_mT6_T7_P12ihipStream_tbENKUlT_T0_E_clISt17integral_constantIbLb1EES10_IbLb0EEEEDaSW_SX_EUlSW_E_NS1_11comp_targetILNS1_3genE2ELNS1_11target_archE906ELNS1_3gpuE6ELNS1_3repE0EEENS1_30default_config_static_selectorELNS0_4arch9wavefront6targetE1EEEvT1_
	.globl	_ZN7rocprim17ROCPRIM_400000_NS6detail17trampoline_kernelINS0_14default_configENS1_27scan_by_key_config_selectorIifEEZZNS1_16scan_by_key_implILNS1_25lookback_scan_determinismE0ELb1ES3_N6thrust23THRUST_200600_302600_NS6detail15normal_iteratorINS9_10device_ptrIiEEEENSB_INSC_IfEEEESG_fNS9_4plusIvEENS9_8equal_toIvEEfEE10hipError_tPvRmT2_T3_T4_T5_mT6_T7_P12ihipStream_tbENKUlT_T0_E_clISt17integral_constantIbLb1EES10_IbLb0EEEEDaSW_SX_EUlSW_E_NS1_11comp_targetILNS1_3genE2ELNS1_11target_archE906ELNS1_3gpuE6ELNS1_3repE0EEENS1_30default_config_static_selectorELNS0_4arch9wavefront6targetE1EEEvT1_
	.p2align	8
	.type	_ZN7rocprim17ROCPRIM_400000_NS6detail17trampoline_kernelINS0_14default_configENS1_27scan_by_key_config_selectorIifEEZZNS1_16scan_by_key_implILNS1_25lookback_scan_determinismE0ELb1ES3_N6thrust23THRUST_200600_302600_NS6detail15normal_iteratorINS9_10device_ptrIiEEEENSB_INSC_IfEEEESG_fNS9_4plusIvEENS9_8equal_toIvEEfEE10hipError_tPvRmT2_T3_T4_T5_mT6_T7_P12ihipStream_tbENKUlT_T0_E_clISt17integral_constantIbLb1EES10_IbLb0EEEEDaSW_SX_EUlSW_E_NS1_11comp_targetILNS1_3genE2ELNS1_11target_archE906ELNS1_3gpuE6ELNS1_3repE0EEENS1_30default_config_static_selectorELNS0_4arch9wavefront6targetE1EEEvT1_,@function
_ZN7rocprim17ROCPRIM_400000_NS6detail17trampoline_kernelINS0_14default_configENS1_27scan_by_key_config_selectorIifEEZZNS1_16scan_by_key_implILNS1_25lookback_scan_determinismE0ELb1ES3_N6thrust23THRUST_200600_302600_NS6detail15normal_iteratorINS9_10device_ptrIiEEEENSB_INSC_IfEEEESG_fNS9_4plusIvEENS9_8equal_toIvEEfEE10hipError_tPvRmT2_T3_T4_T5_mT6_T7_P12ihipStream_tbENKUlT_T0_E_clISt17integral_constantIbLb1EES10_IbLb0EEEEDaSW_SX_EUlSW_E_NS1_11comp_targetILNS1_3genE2ELNS1_11target_archE906ELNS1_3gpuE6ELNS1_3repE0EEENS1_30default_config_static_selectorELNS0_4arch9wavefront6targetE1EEEvT1_: ; @_ZN7rocprim17ROCPRIM_400000_NS6detail17trampoline_kernelINS0_14default_configENS1_27scan_by_key_config_selectorIifEEZZNS1_16scan_by_key_implILNS1_25lookback_scan_determinismE0ELb1ES3_N6thrust23THRUST_200600_302600_NS6detail15normal_iteratorINS9_10device_ptrIiEEEENSB_INSC_IfEEEESG_fNS9_4plusIvEENS9_8equal_toIvEEfEE10hipError_tPvRmT2_T3_T4_T5_mT6_T7_P12ihipStream_tbENKUlT_T0_E_clISt17integral_constantIbLb1EES10_IbLb0EEEEDaSW_SX_EUlSW_E_NS1_11comp_targetILNS1_3genE2ELNS1_11target_archE906ELNS1_3gpuE6ELNS1_3repE0EEENS1_30default_config_static_selectorELNS0_4arch9wavefront6targetE1EEEvT1_
; %bb.0:
	.section	.rodata,"a",@progbits
	.p2align	6, 0x0
	.amdhsa_kernel _ZN7rocprim17ROCPRIM_400000_NS6detail17trampoline_kernelINS0_14default_configENS1_27scan_by_key_config_selectorIifEEZZNS1_16scan_by_key_implILNS1_25lookback_scan_determinismE0ELb1ES3_N6thrust23THRUST_200600_302600_NS6detail15normal_iteratorINS9_10device_ptrIiEEEENSB_INSC_IfEEEESG_fNS9_4plusIvEENS9_8equal_toIvEEfEE10hipError_tPvRmT2_T3_T4_T5_mT6_T7_P12ihipStream_tbENKUlT_T0_E_clISt17integral_constantIbLb1EES10_IbLb0EEEEDaSW_SX_EUlSW_E_NS1_11comp_targetILNS1_3genE2ELNS1_11target_archE906ELNS1_3gpuE6ELNS1_3repE0EEENS1_30default_config_static_selectorELNS0_4arch9wavefront6targetE1EEEvT1_
		.amdhsa_group_segment_fixed_size 0
		.amdhsa_private_segment_fixed_size 0
		.amdhsa_kernarg_size 112
		.amdhsa_user_sgpr_count 2
		.amdhsa_user_sgpr_dispatch_ptr 0
		.amdhsa_user_sgpr_queue_ptr 0
		.amdhsa_user_sgpr_kernarg_segment_ptr 1
		.amdhsa_user_sgpr_dispatch_id 0
		.amdhsa_user_sgpr_kernarg_preload_length 0
		.amdhsa_user_sgpr_kernarg_preload_offset 0
		.amdhsa_user_sgpr_private_segment_size 0
		.amdhsa_uses_dynamic_stack 0
		.amdhsa_enable_private_segment 0
		.amdhsa_system_sgpr_workgroup_id_x 1
		.amdhsa_system_sgpr_workgroup_id_y 0
		.amdhsa_system_sgpr_workgroup_id_z 0
		.amdhsa_system_sgpr_workgroup_info 0
		.amdhsa_system_vgpr_workitem_id 0
		.amdhsa_next_free_vgpr 1
		.amdhsa_next_free_sgpr 0
		.amdhsa_accum_offset 4
		.amdhsa_reserve_vcc 0
		.amdhsa_float_round_mode_32 0
		.amdhsa_float_round_mode_16_64 0
		.amdhsa_float_denorm_mode_32 3
		.amdhsa_float_denorm_mode_16_64 3
		.amdhsa_dx10_clamp 1
		.amdhsa_ieee_mode 1
		.amdhsa_fp16_overflow 0
		.amdhsa_tg_split 0
		.amdhsa_exception_fp_ieee_invalid_op 0
		.amdhsa_exception_fp_denorm_src 0
		.amdhsa_exception_fp_ieee_div_zero 0
		.amdhsa_exception_fp_ieee_overflow 0
		.amdhsa_exception_fp_ieee_underflow 0
		.amdhsa_exception_fp_ieee_inexact 0
		.amdhsa_exception_int_div_zero 0
	.end_amdhsa_kernel
	.section	.text._ZN7rocprim17ROCPRIM_400000_NS6detail17trampoline_kernelINS0_14default_configENS1_27scan_by_key_config_selectorIifEEZZNS1_16scan_by_key_implILNS1_25lookback_scan_determinismE0ELb1ES3_N6thrust23THRUST_200600_302600_NS6detail15normal_iteratorINS9_10device_ptrIiEEEENSB_INSC_IfEEEESG_fNS9_4plusIvEENS9_8equal_toIvEEfEE10hipError_tPvRmT2_T3_T4_T5_mT6_T7_P12ihipStream_tbENKUlT_T0_E_clISt17integral_constantIbLb1EES10_IbLb0EEEEDaSW_SX_EUlSW_E_NS1_11comp_targetILNS1_3genE2ELNS1_11target_archE906ELNS1_3gpuE6ELNS1_3repE0EEENS1_30default_config_static_selectorELNS0_4arch9wavefront6targetE1EEEvT1_,"axG",@progbits,_ZN7rocprim17ROCPRIM_400000_NS6detail17trampoline_kernelINS0_14default_configENS1_27scan_by_key_config_selectorIifEEZZNS1_16scan_by_key_implILNS1_25lookback_scan_determinismE0ELb1ES3_N6thrust23THRUST_200600_302600_NS6detail15normal_iteratorINS9_10device_ptrIiEEEENSB_INSC_IfEEEESG_fNS9_4plusIvEENS9_8equal_toIvEEfEE10hipError_tPvRmT2_T3_T4_T5_mT6_T7_P12ihipStream_tbENKUlT_T0_E_clISt17integral_constantIbLb1EES10_IbLb0EEEEDaSW_SX_EUlSW_E_NS1_11comp_targetILNS1_3genE2ELNS1_11target_archE906ELNS1_3gpuE6ELNS1_3repE0EEENS1_30default_config_static_selectorELNS0_4arch9wavefront6targetE1EEEvT1_,comdat
.Lfunc_end1450:
	.size	_ZN7rocprim17ROCPRIM_400000_NS6detail17trampoline_kernelINS0_14default_configENS1_27scan_by_key_config_selectorIifEEZZNS1_16scan_by_key_implILNS1_25lookback_scan_determinismE0ELb1ES3_N6thrust23THRUST_200600_302600_NS6detail15normal_iteratorINS9_10device_ptrIiEEEENSB_INSC_IfEEEESG_fNS9_4plusIvEENS9_8equal_toIvEEfEE10hipError_tPvRmT2_T3_T4_T5_mT6_T7_P12ihipStream_tbENKUlT_T0_E_clISt17integral_constantIbLb1EES10_IbLb0EEEEDaSW_SX_EUlSW_E_NS1_11comp_targetILNS1_3genE2ELNS1_11target_archE906ELNS1_3gpuE6ELNS1_3repE0EEENS1_30default_config_static_selectorELNS0_4arch9wavefront6targetE1EEEvT1_, .Lfunc_end1450-_ZN7rocprim17ROCPRIM_400000_NS6detail17trampoline_kernelINS0_14default_configENS1_27scan_by_key_config_selectorIifEEZZNS1_16scan_by_key_implILNS1_25lookback_scan_determinismE0ELb1ES3_N6thrust23THRUST_200600_302600_NS6detail15normal_iteratorINS9_10device_ptrIiEEEENSB_INSC_IfEEEESG_fNS9_4plusIvEENS9_8equal_toIvEEfEE10hipError_tPvRmT2_T3_T4_T5_mT6_T7_P12ihipStream_tbENKUlT_T0_E_clISt17integral_constantIbLb1EES10_IbLb0EEEEDaSW_SX_EUlSW_E_NS1_11comp_targetILNS1_3genE2ELNS1_11target_archE906ELNS1_3gpuE6ELNS1_3repE0EEENS1_30default_config_static_selectorELNS0_4arch9wavefront6targetE1EEEvT1_
                                        ; -- End function
	.section	.AMDGPU.csdata,"",@progbits
; Kernel info:
; codeLenInByte = 0
; NumSgprs: 6
; NumVgprs: 0
; NumAgprs: 0
; TotalNumVgprs: 0
; ScratchSize: 0
; MemoryBound: 0
; FloatMode: 240
; IeeeMode: 1
; LDSByteSize: 0 bytes/workgroup (compile time only)
; SGPRBlocks: 0
; VGPRBlocks: 0
; NumSGPRsForWavesPerEU: 6
; NumVGPRsForWavesPerEU: 1
; AccumOffset: 4
; Occupancy: 8
; WaveLimiterHint : 0
; COMPUTE_PGM_RSRC2:SCRATCH_EN: 0
; COMPUTE_PGM_RSRC2:USER_SGPR: 2
; COMPUTE_PGM_RSRC2:TRAP_HANDLER: 0
; COMPUTE_PGM_RSRC2:TGID_X_EN: 1
; COMPUTE_PGM_RSRC2:TGID_Y_EN: 0
; COMPUTE_PGM_RSRC2:TGID_Z_EN: 0
; COMPUTE_PGM_RSRC2:TIDIG_COMP_CNT: 0
; COMPUTE_PGM_RSRC3_GFX90A:ACCUM_OFFSET: 0
; COMPUTE_PGM_RSRC3_GFX90A:TG_SPLIT: 0
	.section	.text._ZN7rocprim17ROCPRIM_400000_NS6detail17trampoline_kernelINS0_14default_configENS1_27scan_by_key_config_selectorIifEEZZNS1_16scan_by_key_implILNS1_25lookback_scan_determinismE0ELb1ES3_N6thrust23THRUST_200600_302600_NS6detail15normal_iteratorINS9_10device_ptrIiEEEENSB_INSC_IfEEEESG_fNS9_4plusIvEENS9_8equal_toIvEEfEE10hipError_tPvRmT2_T3_T4_T5_mT6_T7_P12ihipStream_tbENKUlT_T0_E_clISt17integral_constantIbLb1EES10_IbLb0EEEEDaSW_SX_EUlSW_E_NS1_11comp_targetILNS1_3genE10ELNS1_11target_archE1200ELNS1_3gpuE4ELNS1_3repE0EEENS1_30default_config_static_selectorELNS0_4arch9wavefront6targetE1EEEvT1_,"axG",@progbits,_ZN7rocprim17ROCPRIM_400000_NS6detail17trampoline_kernelINS0_14default_configENS1_27scan_by_key_config_selectorIifEEZZNS1_16scan_by_key_implILNS1_25lookback_scan_determinismE0ELb1ES3_N6thrust23THRUST_200600_302600_NS6detail15normal_iteratorINS9_10device_ptrIiEEEENSB_INSC_IfEEEESG_fNS9_4plusIvEENS9_8equal_toIvEEfEE10hipError_tPvRmT2_T3_T4_T5_mT6_T7_P12ihipStream_tbENKUlT_T0_E_clISt17integral_constantIbLb1EES10_IbLb0EEEEDaSW_SX_EUlSW_E_NS1_11comp_targetILNS1_3genE10ELNS1_11target_archE1200ELNS1_3gpuE4ELNS1_3repE0EEENS1_30default_config_static_selectorELNS0_4arch9wavefront6targetE1EEEvT1_,comdat
	.protected	_ZN7rocprim17ROCPRIM_400000_NS6detail17trampoline_kernelINS0_14default_configENS1_27scan_by_key_config_selectorIifEEZZNS1_16scan_by_key_implILNS1_25lookback_scan_determinismE0ELb1ES3_N6thrust23THRUST_200600_302600_NS6detail15normal_iteratorINS9_10device_ptrIiEEEENSB_INSC_IfEEEESG_fNS9_4plusIvEENS9_8equal_toIvEEfEE10hipError_tPvRmT2_T3_T4_T5_mT6_T7_P12ihipStream_tbENKUlT_T0_E_clISt17integral_constantIbLb1EES10_IbLb0EEEEDaSW_SX_EUlSW_E_NS1_11comp_targetILNS1_3genE10ELNS1_11target_archE1200ELNS1_3gpuE4ELNS1_3repE0EEENS1_30default_config_static_selectorELNS0_4arch9wavefront6targetE1EEEvT1_ ; -- Begin function _ZN7rocprim17ROCPRIM_400000_NS6detail17trampoline_kernelINS0_14default_configENS1_27scan_by_key_config_selectorIifEEZZNS1_16scan_by_key_implILNS1_25lookback_scan_determinismE0ELb1ES3_N6thrust23THRUST_200600_302600_NS6detail15normal_iteratorINS9_10device_ptrIiEEEENSB_INSC_IfEEEESG_fNS9_4plusIvEENS9_8equal_toIvEEfEE10hipError_tPvRmT2_T3_T4_T5_mT6_T7_P12ihipStream_tbENKUlT_T0_E_clISt17integral_constantIbLb1EES10_IbLb0EEEEDaSW_SX_EUlSW_E_NS1_11comp_targetILNS1_3genE10ELNS1_11target_archE1200ELNS1_3gpuE4ELNS1_3repE0EEENS1_30default_config_static_selectorELNS0_4arch9wavefront6targetE1EEEvT1_
	.globl	_ZN7rocprim17ROCPRIM_400000_NS6detail17trampoline_kernelINS0_14default_configENS1_27scan_by_key_config_selectorIifEEZZNS1_16scan_by_key_implILNS1_25lookback_scan_determinismE0ELb1ES3_N6thrust23THRUST_200600_302600_NS6detail15normal_iteratorINS9_10device_ptrIiEEEENSB_INSC_IfEEEESG_fNS9_4plusIvEENS9_8equal_toIvEEfEE10hipError_tPvRmT2_T3_T4_T5_mT6_T7_P12ihipStream_tbENKUlT_T0_E_clISt17integral_constantIbLb1EES10_IbLb0EEEEDaSW_SX_EUlSW_E_NS1_11comp_targetILNS1_3genE10ELNS1_11target_archE1200ELNS1_3gpuE4ELNS1_3repE0EEENS1_30default_config_static_selectorELNS0_4arch9wavefront6targetE1EEEvT1_
	.p2align	8
	.type	_ZN7rocprim17ROCPRIM_400000_NS6detail17trampoline_kernelINS0_14default_configENS1_27scan_by_key_config_selectorIifEEZZNS1_16scan_by_key_implILNS1_25lookback_scan_determinismE0ELb1ES3_N6thrust23THRUST_200600_302600_NS6detail15normal_iteratorINS9_10device_ptrIiEEEENSB_INSC_IfEEEESG_fNS9_4plusIvEENS9_8equal_toIvEEfEE10hipError_tPvRmT2_T3_T4_T5_mT6_T7_P12ihipStream_tbENKUlT_T0_E_clISt17integral_constantIbLb1EES10_IbLb0EEEEDaSW_SX_EUlSW_E_NS1_11comp_targetILNS1_3genE10ELNS1_11target_archE1200ELNS1_3gpuE4ELNS1_3repE0EEENS1_30default_config_static_selectorELNS0_4arch9wavefront6targetE1EEEvT1_,@function
_ZN7rocprim17ROCPRIM_400000_NS6detail17trampoline_kernelINS0_14default_configENS1_27scan_by_key_config_selectorIifEEZZNS1_16scan_by_key_implILNS1_25lookback_scan_determinismE0ELb1ES3_N6thrust23THRUST_200600_302600_NS6detail15normal_iteratorINS9_10device_ptrIiEEEENSB_INSC_IfEEEESG_fNS9_4plusIvEENS9_8equal_toIvEEfEE10hipError_tPvRmT2_T3_T4_T5_mT6_T7_P12ihipStream_tbENKUlT_T0_E_clISt17integral_constantIbLb1EES10_IbLb0EEEEDaSW_SX_EUlSW_E_NS1_11comp_targetILNS1_3genE10ELNS1_11target_archE1200ELNS1_3gpuE4ELNS1_3repE0EEENS1_30default_config_static_selectorELNS0_4arch9wavefront6targetE1EEEvT1_: ; @_ZN7rocprim17ROCPRIM_400000_NS6detail17trampoline_kernelINS0_14default_configENS1_27scan_by_key_config_selectorIifEEZZNS1_16scan_by_key_implILNS1_25lookback_scan_determinismE0ELb1ES3_N6thrust23THRUST_200600_302600_NS6detail15normal_iteratorINS9_10device_ptrIiEEEENSB_INSC_IfEEEESG_fNS9_4plusIvEENS9_8equal_toIvEEfEE10hipError_tPvRmT2_T3_T4_T5_mT6_T7_P12ihipStream_tbENKUlT_T0_E_clISt17integral_constantIbLb1EES10_IbLb0EEEEDaSW_SX_EUlSW_E_NS1_11comp_targetILNS1_3genE10ELNS1_11target_archE1200ELNS1_3gpuE4ELNS1_3repE0EEENS1_30default_config_static_selectorELNS0_4arch9wavefront6targetE1EEEvT1_
; %bb.0:
	.section	.rodata,"a",@progbits
	.p2align	6, 0x0
	.amdhsa_kernel _ZN7rocprim17ROCPRIM_400000_NS6detail17trampoline_kernelINS0_14default_configENS1_27scan_by_key_config_selectorIifEEZZNS1_16scan_by_key_implILNS1_25lookback_scan_determinismE0ELb1ES3_N6thrust23THRUST_200600_302600_NS6detail15normal_iteratorINS9_10device_ptrIiEEEENSB_INSC_IfEEEESG_fNS9_4plusIvEENS9_8equal_toIvEEfEE10hipError_tPvRmT2_T3_T4_T5_mT6_T7_P12ihipStream_tbENKUlT_T0_E_clISt17integral_constantIbLb1EES10_IbLb0EEEEDaSW_SX_EUlSW_E_NS1_11comp_targetILNS1_3genE10ELNS1_11target_archE1200ELNS1_3gpuE4ELNS1_3repE0EEENS1_30default_config_static_selectorELNS0_4arch9wavefront6targetE1EEEvT1_
		.amdhsa_group_segment_fixed_size 0
		.amdhsa_private_segment_fixed_size 0
		.amdhsa_kernarg_size 112
		.amdhsa_user_sgpr_count 2
		.amdhsa_user_sgpr_dispatch_ptr 0
		.amdhsa_user_sgpr_queue_ptr 0
		.amdhsa_user_sgpr_kernarg_segment_ptr 1
		.amdhsa_user_sgpr_dispatch_id 0
		.amdhsa_user_sgpr_kernarg_preload_length 0
		.amdhsa_user_sgpr_kernarg_preload_offset 0
		.amdhsa_user_sgpr_private_segment_size 0
		.amdhsa_uses_dynamic_stack 0
		.amdhsa_enable_private_segment 0
		.amdhsa_system_sgpr_workgroup_id_x 1
		.amdhsa_system_sgpr_workgroup_id_y 0
		.amdhsa_system_sgpr_workgroup_id_z 0
		.amdhsa_system_sgpr_workgroup_info 0
		.amdhsa_system_vgpr_workitem_id 0
		.amdhsa_next_free_vgpr 1
		.amdhsa_next_free_sgpr 0
		.amdhsa_accum_offset 4
		.amdhsa_reserve_vcc 0
		.amdhsa_float_round_mode_32 0
		.amdhsa_float_round_mode_16_64 0
		.amdhsa_float_denorm_mode_32 3
		.amdhsa_float_denorm_mode_16_64 3
		.amdhsa_dx10_clamp 1
		.amdhsa_ieee_mode 1
		.amdhsa_fp16_overflow 0
		.amdhsa_tg_split 0
		.amdhsa_exception_fp_ieee_invalid_op 0
		.amdhsa_exception_fp_denorm_src 0
		.amdhsa_exception_fp_ieee_div_zero 0
		.amdhsa_exception_fp_ieee_overflow 0
		.amdhsa_exception_fp_ieee_underflow 0
		.amdhsa_exception_fp_ieee_inexact 0
		.amdhsa_exception_int_div_zero 0
	.end_amdhsa_kernel
	.section	.text._ZN7rocprim17ROCPRIM_400000_NS6detail17trampoline_kernelINS0_14default_configENS1_27scan_by_key_config_selectorIifEEZZNS1_16scan_by_key_implILNS1_25lookback_scan_determinismE0ELb1ES3_N6thrust23THRUST_200600_302600_NS6detail15normal_iteratorINS9_10device_ptrIiEEEENSB_INSC_IfEEEESG_fNS9_4plusIvEENS9_8equal_toIvEEfEE10hipError_tPvRmT2_T3_T4_T5_mT6_T7_P12ihipStream_tbENKUlT_T0_E_clISt17integral_constantIbLb1EES10_IbLb0EEEEDaSW_SX_EUlSW_E_NS1_11comp_targetILNS1_3genE10ELNS1_11target_archE1200ELNS1_3gpuE4ELNS1_3repE0EEENS1_30default_config_static_selectorELNS0_4arch9wavefront6targetE1EEEvT1_,"axG",@progbits,_ZN7rocprim17ROCPRIM_400000_NS6detail17trampoline_kernelINS0_14default_configENS1_27scan_by_key_config_selectorIifEEZZNS1_16scan_by_key_implILNS1_25lookback_scan_determinismE0ELb1ES3_N6thrust23THRUST_200600_302600_NS6detail15normal_iteratorINS9_10device_ptrIiEEEENSB_INSC_IfEEEESG_fNS9_4plusIvEENS9_8equal_toIvEEfEE10hipError_tPvRmT2_T3_T4_T5_mT6_T7_P12ihipStream_tbENKUlT_T0_E_clISt17integral_constantIbLb1EES10_IbLb0EEEEDaSW_SX_EUlSW_E_NS1_11comp_targetILNS1_3genE10ELNS1_11target_archE1200ELNS1_3gpuE4ELNS1_3repE0EEENS1_30default_config_static_selectorELNS0_4arch9wavefront6targetE1EEEvT1_,comdat
.Lfunc_end1451:
	.size	_ZN7rocprim17ROCPRIM_400000_NS6detail17trampoline_kernelINS0_14default_configENS1_27scan_by_key_config_selectorIifEEZZNS1_16scan_by_key_implILNS1_25lookback_scan_determinismE0ELb1ES3_N6thrust23THRUST_200600_302600_NS6detail15normal_iteratorINS9_10device_ptrIiEEEENSB_INSC_IfEEEESG_fNS9_4plusIvEENS9_8equal_toIvEEfEE10hipError_tPvRmT2_T3_T4_T5_mT6_T7_P12ihipStream_tbENKUlT_T0_E_clISt17integral_constantIbLb1EES10_IbLb0EEEEDaSW_SX_EUlSW_E_NS1_11comp_targetILNS1_3genE10ELNS1_11target_archE1200ELNS1_3gpuE4ELNS1_3repE0EEENS1_30default_config_static_selectorELNS0_4arch9wavefront6targetE1EEEvT1_, .Lfunc_end1451-_ZN7rocprim17ROCPRIM_400000_NS6detail17trampoline_kernelINS0_14default_configENS1_27scan_by_key_config_selectorIifEEZZNS1_16scan_by_key_implILNS1_25lookback_scan_determinismE0ELb1ES3_N6thrust23THRUST_200600_302600_NS6detail15normal_iteratorINS9_10device_ptrIiEEEENSB_INSC_IfEEEESG_fNS9_4plusIvEENS9_8equal_toIvEEfEE10hipError_tPvRmT2_T3_T4_T5_mT6_T7_P12ihipStream_tbENKUlT_T0_E_clISt17integral_constantIbLb1EES10_IbLb0EEEEDaSW_SX_EUlSW_E_NS1_11comp_targetILNS1_3genE10ELNS1_11target_archE1200ELNS1_3gpuE4ELNS1_3repE0EEENS1_30default_config_static_selectorELNS0_4arch9wavefront6targetE1EEEvT1_
                                        ; -- End function
	.section	.AMDGPU.csdata,"",@progbits
; Kernel info:
; codeLenInByte = 0
; NumSgprs: 6
; NumVgprs: 0
; NumAgprs: 0
; TotalNumVgprs: 0
; ScratchSize: 0
; MemoryBound: 0
; FloatMode: 240
; IeeeMode: 1
; LDSByteSize: 0 bytes/workgroup (compile time only)
; SGPRBlocks: 0
; VGPRBlocks: 0
; NumSGPRsForWavesPerEU: 6
; NumVGPRsForWavesPerEU: 1
; AccumOffset: 4
; Occupancy: 8
; WaveLimiterHint : 0
; COMPUTE_PGM_RSRC2:SCRATCH_EN: 0
; COMPUTE_PGM_RSRC2:USER_SGPR: 2
; COMPUTE_PGM_RSRC2:TRAP_HANDLER: 0
; COMPUTE_PGM_RSRC2:TGID_X_EN: 1
; COMPUTE_PGM_RSRC2:TGID_Y_EN: 0
; COMPUTE_PGM_RSRC2:TGID_Z_EN: 0
; COMPUTE_PGM_RSRC2:TIDIG_COMP_CNT: 0
; COMPUTE_PGM_RSRC3_GFX90A:ACCUM_OFFSET: 0
; COMPUTE_PGM_RSRC3_GFX90A:TG_SPLIT: 0
	.section	.text._ZN7rocprim17ROCPRIM_400000_NS6detail17trampoline_kernelINS0_14default_configENS1_27scan_by_key_config_selectorIifEEZZNS1_16scan_by_key_implILNS1_25lookback_scan_determinismE0ELb1ES3_N6thrust23THRUST_200600_302600_NS6detail15normal_iteratorINS9_10device_ptrIiEEEENSB_INSC_IfEEEESG_fNS9_4plusIvEENS9_8equal_toIvEEfEE10hipError_tPvRmT2_T3_T4_T5_mT6_T7_P12ihipStream_tbENKUlT_T0_E_clISt17integral_constantIbLb1EES10_IbLb0EEEEDaSW_SX_EUlSW_E_NS1_11comp_targetILNS1_3genE9ELNS1_11target_archE1100ELNS1_3gpuE3ELNS1_3repE0EEENS1_30default_config_static_selectorELNS0_4arch9wavefront6targetE1EEEvT1_,"axG",@progbits,_ZN7rocprim17ROCPRIM_400000_NS6detail17trampoline_kernelINS0_14default_configENS1_27scan_by_key_config_selectorIifEEZZNS1_16scan_by_key_implILNS1_25lookback_scan_determinismE0ELb1ES3_N6thrust23THRUST_200600_302600_NS6detail15normal_iteratorINS9_10device_ptrIiEEEENSB_INSC_IfEEEESG_fNS9_4plusIvEENS9_8equal_toIvEEfEE10hipError_tPvRmT2_T3_T4_T5_mT6_T7_P12ihipStream_tbENKUlT_T0_E_clISt17integral_constantIbLb1EES10_IbLb0EEEEDaSW_SX_EUlSW_E_NS1_11comp_targetILNS1_3genE9ELNS1_11target_archE1100ELNS1_3gpuE3ELNS1_3repE0EEENS1_30default_config_static_selectorELNS0_4arch9wavefront6targetE1EEEvT1_,comdat
	.protected	_ZN7rocprim17ROCPRIM_400000_NS6detail17trampoline_kernelINS0_14default_configENS1_27scan_by_key_config_selectorIifEEZZNS1_16scan_by_key_implILNS1_25lookback_scan_determinismE0ELb1ES3_N6thrust23THRUST_200600_302600_NS6detail15normal_iteratorINS9_10device_ptrIiEEEENSB_INSC_IfEEEESG_fNS9_4plusIvEENS9_8equal_toIvEEfEE10hipError_tPvRmT2_T3_T4_T5_mT6_T7_P12ihipStream_tbENKUlT_T0_E_clISt17integral_constantIbLb1EES10_IbLb0EEEEDaSW_SX_EUlSW_E_NS1_11comp_targetILNS1_3genE9ELNS1_11target_archE1100ELNS1_3gpuE3ELNS1_3repE0EEENS1_30default_config_static_selectorELNS0_4arch9wavefront6targetE1EEEvT1_ ; -- Begin function _ZN7rocprim17ROCPRIM_400000_NS6detail17trampoline_kernelINS0_14default_configENS1_27scan_by_key_config_selectorIifEEZZNS1_16scan_by_key_implILNS1_25lookback_scan_determinismE0ELb1ES3_N6thrust23THRUST_200600_302600_NS6detail15normal_iteratorINS9_10device_ptrIiEEEENSB_INSC_IfEEEESG_fNS9_4plusIvEENS9_8equal_toIvEEfEE10hipError_tPvRmT2_T3_T4_T5_mT6_T7_P12ihipStream_tbENKUlT_T0_E_clISt17integral_constantIbLb1EES10_IbLb0EEEEDaSW_SX_EUlSW_E_NS1_11comp_targetILNS1_3genE9ELNS1_11target_archE1100ELNS1_3gpuE3ELNS1_3repE0EEENS1_30default_config_static_selectorELNS0_4arch9wavefront6targetE1EEEvT1_
	.globl	_ZN7rocprim17ROCPRIM_400000_NS6detail17trampoline_kernelINS0_14default_configENS1_27scan_by_key_config_selectorIifEEZZNS1_16scan_by_key_implILNS1_25lookback_scan_determinismE0ELb1ES3_N6thrust23THRUST_200600_302600_NS6detail15normal_iteratorINS9_10device_ptrIiEEEENSB_INSC_IfEEEESG_fNS9_4plusIvEENS9_8equal_toIvEEfEE10hipError_tPvRmT2_T3_T4_T5_mT6_T7_P12ihipStream_tbENKUlT_T0_E_clISt17integral_constantIbLb1EES10_IbLb0EEEEDaSW_SX_EUlSW_E_NS1_11comp_targetILNS1_3genE9ELNS1_11target_archE1100ELNS1_3gpuE3ELNS1_3repE0EEENS1_30default_config_static_selectorELNS0_4arch9wavefront6targetE1EEEvT1_
	.p2align	8
	.type	_ZN7rocprim17ROCPRIM_400000_NS6detail17trampoline_kernelINS0_14default_configENS1_27scan_by_key_config_selectorIifEEZZNS1_16scan_by_key_implILNS1_25lookback_scan_determinismE0ELb1ES3_N6thrust23THRUST_200600_302600_NS6detail15normal_iteratorINS9_10device_ptrIiEEEENSB_INSC_IfEEEESG_fNS9_4plusIvEENS9_8equal_toIvEEfEE10hipError_tPvRmT2_T3_T4_T5_mT6_T7_P12ihipStream_tbENKUlT_T0_E_clISt17integral_constantIbLb1EES10_IbLb0EEEEDaSW_SX_EUlSW_E_NS1_11comp_targetILNS1_3genE9ELNS1_11target_archE1100ELNS1_3gpuE3ELNS1_3repE0EEENS1_30default_config_static_selectorELNS0_4arch9wavefront6targetE1EEEvT1_,@function
_ZN7rocprim17ROCPRIM_400000_NS6detail17trampoline_kernelINS0_14default_configENS1_27scan_by_key_config_selectorIifEEZZNS1_16scan_by_key_implILNS1_25lookback_scan_determinismE0ELb1ES3_N6thrust23THRUST_200600_302600_NS6detail15normal_iteratorINS9_10device_ptrIiEEEENSB_INSC_IfEEEESG_fNS9_4plusIvEENS9_8equal_toIvEEfEE10hipError_tPvRmT2_T3_T4_T5_mT6_T7_P12ihipStream_tbENKUlT_T0_E_clISt17integral_constantIbLb1EES10_IbLb0EEEEDaSW_SX_EUlSW_E_NS1_11comp_targetILNS1_3genE9ELNS1_11target_archE1100ELNS1_3gpuE3ELNS1_3repE0EEENS1_30default_config_static_selectorELNS0_4arch9wavefront6targetE1EEEvT1_: ; @_ZN7rocprim17ROCPRIM_400000_NS6detail17trampoline_kernelINS0_14default_configENS1_27scan_by_key_config_selectorIifEEZZNS1_16scan_by_key_implILNS1_25lookback_scan_determinismE0ELb1ES3_N6thrust23THRUST_200600_302600_NS6detail15normal_iteratorINS9_10device_ptrIiEEEENSB_INSC_IfEEEESG_fNS9_4plusIvEENS9_8equal_toIvEEfEE10hipError_tPvRmT2_T3_T4_T5_mT6_T7_P12ihipStream_tbENKUlT_T0_E_clISt17integral_constantIbLb1EES10_IbLb0EEEEDaSW_SX_EUlSW_E_NS1_11comp_targetILNS1_3genE9ELNS1_11target_archE1100ELNS1_3gpuE3ELNS1_3repE0EEENS1_30default_config_static_selectorELNS0_4arch9wavefront6targetE1EEEvT1_
; %bb.0:
	.section	.rodata,"a",@progbits
	.p2align	6, 0x0
	.amdhsa_kernel _ZN7rocprim17ROCPRIM_400000_NS6detail17trampoline_kernelINS0_14default_configENS1_27scan_by_key_config_selectorIifEEZZNS1_16scan_by_key_implILNS1_25lookback_scan_determinismE0ELb1ES3_N6thrust23THRUST_200600_302600_NS6detail15normal_iteratorINS9_10device_ptrIiEEEENSB_INSC_IfEEEESG_fNS9_4plusIvEENS9_8equal_toIvEEfEE10hipError_tPvRmT2_T3_T4_T5_mT6_T7_P12ihipStream_tbENKUlT_T0_E_clISt17integral_constantIbLb1EES10_IbLb0EEEEDaSW_SX_EUlSW_E_NS1_11comp_targetILNS1_3genE9ELNS1_11target_archE1100ELNS1_3gpuE3ELNS1_3repE0EEENS1_30default_config_static_selectorELNS0_4arch9wavefront6targetE1EEEvT1_
		.amdhsa_group_segment_fixed_size 0
		.amdhsa_private_segment_fixed_size 0
		.amdhsa_kernarg_size 112
		.amdhsa_user_sgpr_count 2
		.amdhsa_user_sgpr_dispatch_ptr 0
		.amdhsa_user_sgpr_queue_ptr 0
		.amdhsa_user_sgpr_kernarg_segment_ptr 1
		.amdhsa_user_sgpr_dispatch_id 0
		.amdhsa_user_sgpr_kernarg_preload_length 0
		.amdhsa_user_sgpr_kernarg_preload_offset 0
		.amdhsa_user_sgpr_private_segment_size 0
		.amdhsa_uses_dynamic_stack 0
		.amdhsa_enable_private_segment 0
		.amdhsa_system_sgpr_workgroup_id_x 1
		.amdhsa_system_sgpr_workgroup_id_y 0
		.amdhsa_system_sgpr_workgroup_id_z 0
		.amdhsa_system_sgpr_workgroup_info 0
		.amdhsa_system_vgpr_workitem_id 0
		.amdhsa_next_free_vgpr 1
		.amdhsa_next_free_sgpr 0
		.amdhsa_accum_offset 4
		.amdhsa_reserve_vcc 0
		.amdhsa_float_round_mode_32 0
		.amdhsa_float_round_mode_16_64 0
		.amdhsa_float_denorm_mode_32 3
		.amdhsa_float_denorm_mode_16_64 3
		.amdhsa_dx10_clamp 1
		.amdhsa_ieee_mode 1
		.amdhsa_fp16_overflow 0
		.amdhsa_tg_split 0
		.amdhsa_exception_fp_ieee_invalid_op 0
		.amdhsa_exception_fp_denorm_src 0
		.amdhsa_exception_fp_ieee_div_zero 0
		.amdhsa_exception_fp_ieee_overflow 0
		.amdhsa_exception_fp_ieee_underflow 0
		.amdhsa_exception_fp_ieee_inexact 0
		.amdhsa_exception_int_div_zero 0
	.end_amdhsa_kernel
	.section	.text._ZN7rocprim17ROCPRIM_400000_NS6detail17trampoline_kernelINS0_14default_configENS1_27scan_by_key_config_selectorIifEEZZNS1_16scan_by_key_implILNS1_25lookback_scan_determinismE0ELb1ES3_N6thrust23THRUST_200600_302600_NS6detail15normal_iteratorINS9_10device_ptrIiEEEENSB_INSC_IfEEEESG_fNS9_4plusIvEENS9_8equal_toIvEEfEE10hipError_tPvRmT2_T3_T4_T5_mT6_T7_P12ihipStream_tbENKUlT_T0_E_clISt17integral_constantIbLb1EES10_IbLb0EEEEDaSW_SX_EUlSW_E_NS1_11comp_targetILNS1_3genE9ELNS1_11target_archE1100ELNS1_3gpuE3ELNS1_3repE0EEENS1_30default_config_static_selectorELNS0_4arch9wavefront6targetE1EEEvT1_,"axG",@progbits,_ZN7rocprim17ROCPRIM_400000_NS6detail17trampoline_kernelINS0_14default_configENS1_27scan_by_key_config_selectorIifEEZZNS1_16scan_by_key_implILNS1_25lookback_scan_determinismE0ELb1ES3_N6thrust23THRUST_200600_302600_NS6detail15normal_iteratorINS9_10device_ptrIiEEEENSB_INSC_IfEEEESG_fNS9_4plusIvEENS9_8equal_toIvEEfEE10hipError_tPvRmT2_T3_T4_T5_mT6_T7_P12ihipStream_tbENKUlT_T0_E_clISt17integral_constantIbLb1EES10_IbLb0EEEEDaSW_SX_EUlSW_E_NS1_11comp_targetILNS1_3genE9ELNS1_11target_archE1100ELNS1_3gpuE3ELNS1_3repE0EEENS1_30default_config_static_selectorELNS0_4arch9wavefront6targetE1EEEvT1_,comdat
.Lfunc_end1452:
	.size	_ZN7rocprim17ROCPRIM_400000_NS6detail17trampoline_kernelINS0_14default_configENS1_27scan_by_key_config_selectorIifEEZZNS1_16scan_by_key_implILNS1_25lookback_scan_determinismE0ELb1ES3_N6thrust23THRUST_200600_302600_NS6detail15normal_iteratorINS9_10device_ptrIiEEEENSB_INSC_IfEEEESG_fNS9_4plusIvEENS9_8equal_toIvEEfEE10hipError_tPvRmT2_T3_T4_T5_mT6_T7_P12ihipStream_tbENKUlT_T0_E_clISt17integral_constantIbLb1EES10_IbLb0EEEEDaSW_SX_EUlSW_E_NS1_11comp_targetILNS1_3genE9ELNS1_11target_archE1100ELNS1_3gpuE3ELNS1_3repE0EEENS1_30default_config_static_selectorELNS0_4arch9wavefront6targetE1EEEvT1_, .Lfunc_end1452-_ZN7rocprim17ROCPRIM_400000_NS6detail17trampoline_kernelINS0_14default_configENS1_27scan_by_key_config_selectorIifEEZZNS1_16scan_by_key_implILNS1_25lookback_scan_determinismE0ELb1ES3_N6thrust23THRUST_200600_302600_NS6detail15normal_iteratorINS9_10device_ptrIiEEEENSB_INSC_IfEEEESG_fNS9_4plusIvEENS9_8equal_toIvEEfEE10hipError_tPvRmT2_T3_T4_T5_mT6_T7_P12ihipStream_tbENKUlT_T0_E_clISt17integral_constantIbLb1EES10_IbLb0EEEEDaSW_SX_EUlSW_E_NS1_11comp_targetILNS1_3genE9ELNS1_11target_archE1100ELNS1_3gpuE3ELNS1_3repE0EEENS1_30default_config_static_selectorELNS0_4arch9wavefront6targetE1EEEvT1_
                                        ; -- End function
	.section	.AMDGPU.csdata,"",@progbits
; Kernel info:
; codeLenInByte = 0
; NumSgprs: 6
; NumVgprs: 0
; NumAgprs: 0
; TotalNumVgprs: 0
; ScratchSize: 0
; MemoryBound: 0
; FloatMode: 240
; IeeeMode: 1
; LDSByteSize: 0 bytes/workgroup (compile time only)
; SGPRBlocks: 0
; VGPRBlocks: 0
; NumSGPRsForWavesPerEU: 6
; NumVGPRsForWavesPerEU: 1
; AccumOffset: 4
; Occupancy: 8
; WaveLimiterHint : 0
; COMPUTE_PGM_RSRC2:SCRATCH_EN: 0
; COMPUTE_PGM_RSRC2:USER_SGPR: 2
; COMPUTE_PGM_RSRC2:TRAP_HANDLER: 0
; COMPUTE_PGM_RSRC2:TGID_X_EN: 1
; COMPUTE_PGM_RSRC2:TGID_Y_EN: 0
; COMPUTE_PGM_RSRC2:TGID_Z_EN: 0
; COMPUTE_PGM_RSRC2:TIDIG_COMP_CNT: 0
; COMPUTE_PGM_RSRC3_GFX90A:ACCUM_OFFSET: 0
; COMPUTE_PGM_RSRC3_GFX90A:TG_SPLIT: 0
	.section	.text._ZN7rocprim17ROCPRIM_400000_NS6detail17trampoline_kernelINS0_14default_configENS1_27scan_by_key_config_selectorIifEEZZNS1_16scan_by_key_implILNS1_25lookback_scan_determinismE0ELb1ES3_N6thrust23THRUST_200600_302600_NS6detail15normal_iteratorINS9_10device_ptrIiEEEENSB_INSC_IfEEEESG_fNS9_4plusIvEENS9_8equal_toIvEEfEE10hipError_tPvRmT2_T3_T4_T5_mT6_T7_P12ihipStream_tbENKUlT_T0_E_clISt17integral_constantIbLb1EES10_IbLb0EEEEDaSW_SX_EUlSW_E_NS1_11comp_targetILNS1_3genE8ELNS1_11target_archE1030ELNS1_3gpuE2ELNS1_3repE0EEENS1_30default_config_static_selectorELNS0_4arch9wavefront6targetE1EEEvT1_,"axG",@progbits,_ZN7rocprim17ROCPRIM_400000_NS6detail17trampoline_kernelINS0_14default_configENS1_27scan_by_key_config_selectorIifEEZZNS1_16scan_by_key_implILNS1_25lookback_scan_determinismE0ELb1ES3_N6thrust23THRUST_200600_302600_NS6detail15normal_iteratorINS9_10device_ptrIiEEEENSB_INSC_IfEEEESG_fNS9_4plusIvEENS9_8equal_toIvEEfEE10hipError_tPvRmT2_T3_T4_T5_mT6_T7_P12ihipStream_tbENKUlT_T0_E_clISt17integral_constantIbLb1EES10_IbLb0EEEEDaSW_SX_EUlSW_E_NS1_11comp_targetILNS1_3genE8ELNS1_11target_archE1030ELNS1_3gpuE2ELNS1_3repE0EEENS1_30default_config_static_selectorELNS0_4arch9wavefront6targetE1EEEvT1_,comdat
	.protected	_ZN7rocprim17ROCPRIM_400000_NS6detail17trampoline_kernelINS0_14default_configENS1_27scan_by_key_config_selectorIifEEZZNS1_16scan_by_key_implILNS1_25lookback_scan_determinismE0ELb1ES3_N6thrust23THRUST_200600_302600_NS6detail15normal_iteratorINS9_10device_ptrIiEEEENSB_INSC_IfEEEESG_fNS9_4plusIvEENS9_8equal_toIvEEfEE10hipError_tPvRmT2_T3_T4_T5_mT6_T7_P12ihipStream_tbENKUlT_T0_E_clISt17integral_constantIbLb1EES10_IbLb0EEEEDaSW_SX_EUlSW_E_NS1_11comp_targetILNS1_3genE8ELNS1_11target_archE1030ELNS1_3gpuE2ELNS1_3repE0EEENS1_30default_config_static_selectorELNS0_4arch9wavefront6targetE1EEEvT1_ ; -- Begin function _ZN7rocprim17ROCPRIM_400000_NS6detail17trampoline_kernelINS0_14default_configENS1_27scan_by_key_config_selectorIifEEZZNS1_16scan_by_key_implILNS1_25lookback_scan_determinismE0ELb1ES3_N6thrust23THRUST_200600_302600_NS6detail15normal_iteratorINS9_10device_ptrIiEEEENSB_INSC_IfEEEESG_fNS9_4plusIvEENS9_8equal_toIvEEfEE10hipError_tPvRmT2_T3_T4_T5_mT6_T7_P12ihipStream_tbENKUlT_T0_E_clISt17integral_constantIbLb1EES10_IbLb0EEEEDaSW_SX_EUlSW_E_NS1_11comp_targetILNS1_3genE8ELNS1_11target_archE1030ELNS1_3gpuE2ELNS1_3repE0EEENS1_30default_config_static_selectorELNS0_4arch9wavefront6targetE1EEEvT1_
	.globl	_ZN7rocprim17ROCPRIM_400000_NS6detail17trampoline_kernelINS0_14default_configENS1_27scan_by_key_config_selectorIifEEZZNS1_16scan_by_key_implILNS1_25lookback_scan_determinismE0ELb1ES3_N6thrust23THRUST_200600_302600_NS6detail15normal_iteratorINS9_10device_ptrIiEEEENSB_INSC_IfEEEESG_fNS9_4plusIvEENS9_8equal_toIvEEfEE10hipError_tPvRmT2_T3_T4_T5_mT6_T7_P12ihipStream_tbENKUlT_T0_E_clISt17integral_constantIbLb1EES10_IbLb0EEEEDaSW_SX_EUlSW_E_NS1_11comp_targetILNS1_3genE8ELNS1_11target_archE1030ELNS1_3gpuE2ELNS1_3repE0EEENS1_30default_config_static_selectorELNS0_4arch9wavefront6targetE1EEEvT1_
	.p2align	8
	.type	_ZN7rocprim17ROCPRIM_400000_NS6detail17trampoline_kernelINS0_14default_configENS1_27scan_by_key_config_selectorIifEEZZNS1_16scan_by_key_implILNS1_25lookback_scan_determinismE0ELb1ES3_N6thrust23THRUST_200600_302600_NS6detail15normal_iteratorINS9_10device_ptrIiEEEENSB_INSC_IfEEEESG_fNS9_4plusIvEENS9_8equal_toIvEEfEE10hipError_tPvRmT2_T3_T4_T5_mT6_T7_P12ihipStream_tbENKUlT_T0_E_clISt17integral_constantIbLb1EES10_IbLb0EEEEDaSW_SX_EUlSW_E_NS1_11comp_targetILNS1_3genE8ELNS1_11target_archE1030ELNS1_3gpuE2ELNS1_3repE0EEENS1_30default_config_static_selectorELNS0_4arch9wavefront6targetE1EEEvT1_,@function
_ZN7rocprim17ROCPRIM_400000_NS6detail17trampoline_kernelINS0_14default_configENS1_27scan_by_key_config_selectorIifEEZZNS1_16scan_by_key_implILNS1_25lookback_scan_determinismE0ELb1ES3_N6thrust23THRUST_200600_302600_NS6detail15normal_iteratorINS9_10device_ptrIiEEEENSB_INSC_IfEEEESG_fNS9_4plusIvEENS9_8equal_toIvEEfEE10hipError_tPvRmT2_T3_T4_T5_mT6_T7_P12ihipStream_tbENKUlT_T0_E_clISt17integral_constantIbLb1EES10_IbLb0EEEEDaSW_SX_EUlSW_E_NS1_11comp_targetILNS1_3genE8ELNS1_11target_archE1030ELNS1_3gpuE2ELNS1_3repE0EEENS1_30default_config_static_selectorELNS0_4arch9wavefront6targetE1EEEvT1_: ; @_ZN7rocprim17ROCPRIM_400000_NS6detail17trampoline_kernelINS0_14default_configENS1_27scan_by_key_config_selectorIifEEZZNS1_16scan_by_key_implILNS1_25lookback_scan_determinismE0ELb1ES3_N6thrust23THRUST_200600_302600_NS6detail15normal_iteratorINS9_10device_ptrIiEEEENSB_INSC_IfEEEESG_fNS9_4plusIvEENS9_8equal_toIvEEfEE10hipError_tPvRmT2_T3_T4_T5_mT6_T7_P12ihipStream_tbENKUlT_T0_E_clISt17integral_constantIbLb1EES10_IbLb0EEEEDaSW_SX_EUlSW_E_NS1_11comp_targetILNS1_3genE8ELNS1_11target_archE1030ELNS1_3gpuE2ELNS1_3repE0EEENS1_30default_config_static_selectorELNS0_4arch9wavefront6targetE1EEEvT1_
; %bb.0:
	.section	.rodata,"a",@progbits
	.p2align	6, 0x0
	.amdhsa_kernel _ZN7rocprim17ROCPRIM_400000_NS6detail17trampoline_kernelINS0_14default_configENS1_27scan_by_key_config_selectorIifEEZZNS1_16scan_by_key_implILNS1_25lookback_scan_determinismE0ELb1ES3_N6thrust23THRUST_200600_302600_NS6detail15normal_iteratorINS9_10device_ptrIiEEEENSB_INSC_IfEEEESG_fNS9_4plusIvEENS9_8equal_toIvEEfEE10hipError_tPvRmT2_T3_T4_T5_mT6_T7_P12ihipStream_tbENKUlT_T0_E_clISt17integral_constantIbLb1EES10_IbLb0EEEEDaSW_SX_EUlSW_E_NS1_11comp_targetILNS1_3genE8ELNS1_11target_archE1030ELNS1_3gpuE2ELNS1_3repE0EEENS1_30default_config_static_selectorELNS0_4arch9wavefront6targetE1EEEvT1_
		.amdhsa_group_segment_fixed_size 0
		.amdhsa_private_segment_fixed_size 0
		.amdhsa_kernarg_size 112
		.amdhsa_user_sgpr_count 2
		.amdhsa_user_sgpr_dispatch_ptr 0
		.amdhsa_user_sgpr_queue_ptr 0
		.amdhsa_user_sgpr_kernarg_segment_ptr 1
		.amdhsa_user_sgpr_dispatch_id 0
		.amdhsa_user_sgpr_kernarg_preload_length 0
		.amdhsa_user_sgpr_kernarg_preload_offset 0
		.amdhsa_user_sgpr_private_segment_size 0
		.amdhsa_uses_dynamic_stack 0
		.amdhsa_enable_private_segment 0
		.amdhsa_system_sgpr_workgroup_id_x 1
		.amdhsa_system_sgpr_workgroup_id_y 0
		.amdhsa_system_sgpr_workgroup_id_z 0
		.amdhsa_system_sgpr_workgroup_info 0
		.amdhsa_system_vgpr_workitem_id 0
		.amdhsa_next_free_vgpr 1
		.amdhsa_next_free_sgpr 0
		.amdhsa_accum_offset 4
		.amdhsa_reserve_vcc 0
		.amdhsa_float_round_mode_32 0
		.amdhsa_float_round_mode_16_64 0
		.amdhsa_float_denorm_mode_32 3
		.amdhsa_float_denorm_mode_16_64 3
		.amdhsa_dx10_clamp 1
		.amdhsa_ieee_mode 1
		.amdhsa_fp16_overflow 0
		.amdhsa_tg_split 0
		.amdhsa_exception_fp_ieee_invalid_op 0
		.amdhsa_exception_fp_denorm_src 0
		.amdhsa_exception_fp_ieee_div_zero 0
		.amdhsa_exception_fp_ieee_overflow 0
		.amdhsa_exception_fp_ieee_underflow 0
		.amdhsa_exception_fp_ieee_inexact 0
		.amdhsa_exception_int_div_zero 0
	.end_amdhsa_kernel
	.section	.text._ZN7rocprim17ROCPRIM_400000_NS6detail17trampoline_kernelINS0_14default_configENS1_27scan_by_key_config_selectorIifEEZZNS1_16scan_by_key_implILNS1_25lookback_scan_determinismE0ELb1ES3_N6thrust23THRUST_200600_302600_NS6detail15normal_iteratorINS9_10device_ptrIiEEEENSB_INSC_IfEEEESG_fNS9_4plusIvEENS9_8equal_toIvEEfEE10hipError_tPvRmT2_T3_T4_T5_mT6_T7_P12ihipStream_tbENKUlT_T0_E_clISt17integral_constantIbLb1EES10_IbLb0EEEEDaSW_SX_EUlSW_E_NS1_11comp_targetILNS1_3genE8ELNS1_11target_archE1030ELNS1_3gpuE2ELNS1_3repE0EEENS1_30default_config_static_selectorELNS0_4arch9wavefront6targetE1EEEvT1_,"axG",@progbits,_ZN7rocprim17ROCPRIM_400000_NS6detail17trampoline_kernelINS0_14default_configENS1_27scan_by_key_config_selectorIifEEZZNS1_16scan_by_key_implILNS1_25lookback_scan_determinismE0ELb1ES3_N6thrust23THRUST_200600_302600_NS6detail15normal_iteratorINS9_10device_ptrIiEEEENSB_INSC_IfEEEESG_fNS9_4plusIvEENS9_8equal_toIvEEfEE10hipError_tPvRmT2_T3_T4_T5_mT6_T7_P12ihipStream_tbENKUlT_T0_E_clISt17integral_constantIbLb1EES10_IbLb0EEEEDaSW_SX_EUlSW_E_NS1_11comp_targetILNS1_3genE8ELNS1_11target_archE1030ELNS1_3gpuE2ELNS1_3repE0EEENS1_30default_config_static_selectorELNS0_4arch9wavefront6targetE1EEEvT1_,comdat
.Lfunc_end1453:
	.size	_ZN7rocprim17ROCPRIM_400000_NS6detail17trampoline_kernelINS0_14default_configENS1_27scan_by_key_config_selectorIifEEZZNS1_16scan_by_key_implILNS1_25lookback_scan_determinismE0ELb1ES3_N6thrust23THRUST_200600_302600_NS6detail15normal_iteratorINS9_10device_ptrIiEEEENSB_INSC_IfEEEESG_fNS9_4plusIvEENS9_8equal_toIvEEfEE10hipError_tPvRmT2_T3_T4_T5_mT6_T7_P12ihipStream_tbENKUlT_T0_E_clISt17integral_constantIbLb1EES10_IbLb0EEEEDaSW_SX_EUlSW_E_NS1_11comp_targetILNS1_3genE8ELNS1_11target_archE1030ELNS1_3gpuE2ELNS1_3repE0EEENS1_30default_config_static_selectorELNS0_4arch9wavefront6targetE1EEEvT1_, .Lfunc_end1453-_ZN7rocprim17ROCPRIM_400000_NS6detail17trampoline_kernelINS0_14default_configENS1_27scan_by_key_config_selectorIifEEZZNS1_16scan_by_key_implILNS1_25lookback_scan_determinismE0ELb1ES3_N6thrust23THRUST_200600_302600_NS6detail15normal_iteratorINS9_10device_ptrIiEEEENSB_INSC_IfEEEESG_fNS9_4plusIvEENS9_8equal_toIvEEfEE10hipError_tPvRmT2_T3_T4_T5_mT6_T7_P12ihipStream_tbENKUlT_T0_E_clISt17integral_constantIbLb1EES10_IbLb0EEEEDaSW_SX_EUlSW_E_NS1_11comp_targetILNS1_3genE8ELNS1_11target_archE1030ELNS1_3gpuE2ELNS1_3repE0EEENS1_30default_config_static_selectorELNS0_4arch9wavefront6targetE1EEEvT1_
                                        ; -- End function
	.section	.AMDGPU.csdata,"",@progbits
; Kernel info:
; codeLenInByte = 0
; NumSgprs: 6
; NumVgprs: 0
; NumAgprs: 0
; TotalNumVgprs: 0
; ScratchSize: 0
; MemoryBound: 0
; FloatMode: 240
; IeeeMode: 1
; LDSByteSize: 0 bytes/workgroup (compile time only)
; SGPRBlocks: 0
; VGPRBlocks: 0
; NumSGPRsForWavesPerEU: 6
; NumVGPRsForWavesPerEU: 1
; AccumOffset: 4
; Occupancy: 8
; WaveLimiterHint : 0
; COMPUTE_PGM_RSRC2:SCRATCH_EN: 0
; COMPUTE_PGM_RSRC2:USER_SGPR: 2
; COMPUTE_PGM_RSRC2:TRAP_HANDLER: 0
; COMPUTE_PGM_RSRC2:TGID_X_EN: 1
; COMPUTE_PGM_RSRC2:TGID_Y_EN: 0
; COMPUTE_PGM_RSRC2:TGID_Z_EN: 0
; COMPUTE_PGM_RSRC2:TIDIG_COMP_CNT: 0
; COMPUTE_PGM_RSRC3_GFX90A:ACCUM_OFFSET: 0
; COMPUTE_PGM_RSRC3_GFX90A:TG_SPLIT: 0
	.section	.text._ZN7rocprim17ROCPRIM_400000_NS6detail17trampoline_kernelINS0_14default_configENS1_27scan_by_key_config_selectorIifEEZZNS1_16scan_by_key_implILNS1_25lookback_scan_determinismE0ELb1ES3_N6thrust23THRUST_200600_302600_NS6detail15normal_iteratorINS9_10device_ptrIiEEEENSB_INSC_IfEEEESG_fNS9_4plusIvEENS9_8equal_toIvEEfEE10hipError_tPvRmT2_T3_T4_T5_mT6_T7_P12ihipStream_tbENKUlT_T0_E_clISt17integral_constantIbLb0EES10_IbLb1EEEEDaSW_SX_EUlSW_E_NS1_11comp_targetILNS1_3genE0ELNS1_11target_archE4294967295ELNS1_3gpuE0ELNS1_3repE0EEENS1_30default_config_static_selectorELNS0_4arch9wavefront6targetE1EEEvT1_,"axG",@progbits,_ZN7rocprim17ROCPRIM_400000_NS6detail17trampoline_kernelINS0_14default_configENS1_27scan_by_key_config_selectorIifEEZZNS1_16scan_by_key_implILNS1_25lookback_scan_determinismE0ELb1ES3_N6thrust23THRUST_200600_302600_NS6detail15normal_iteratorINS9_10device_ptrIiEEEENSB_INSC_IfEEEESG_fNS9_4plusIvEENS9_8equal_toIvEEfEE10hipError_tPvRmT2_T3_T4_T5_mT6_T7_P12ihipStream_tbENKUlT_T0_E_clISt17integral_constantIbLb0EES10_IbLb1EEEEDaSW_SX_EUlSW_E_NS1_11comp_targetILNS1_3genE0ELNS1_11target_archE4294967295ELNS1_3gpuE0ELNS1_3repE0EEENS1_30default_config_static_selectorELNS0_4arch9wavefront6targetE1EEEvT1_,comdat
	.protected	_ZN7rocprim17ROCPRIM_400000_NS6detail17trampoline_kernelINS0_14default_configENS1_27scan_by_key_config_selectorIifEEZZNS1_16scan_by_key_implILNS1_25lookback_scan_determinismE0ELb1ES3_N6thrust23THRUST_200600_302600_NS6detail15normal_iteratorINS9_10device_ptrIiEEEENSB_INSC_IfEEEESG_fNS9_4plusIvEENS9_8equal_toIvEEfEE10hipError_tPvRmT2_T3_T4_T5_mT6_T7_P12ihipStream_tbENKUlT_T0_E_clISt17integral_constantIbLb0EES10_IbLb1EEEEDaSW_SX_EUlSW_E_NS1_11comp_targetILNS1_3genE0ELNS1_11target_archE4294967295ELNS1_3gpuE0ELNS1_3repE0EEENS1_30default_config_static_selectorELNS0_4arch9wavefront6targetE1EEEvT1_ ; -- Begin function _ZN7rocprim17ROCPRIM_400000_NS6detail17trampoline_kernelINS0_14default_configENS1_27scan_by_key_config_selectorIifEEZZNS1_16scan_by_key_implILNS1_25lookback_scan_determinismE0ELb1ES3_N6thrust23THRUST_200600_302600_NS6detail15normal_iteratorINS9_10device_ptrIiEEEENSB_INSC_IfEEEESG_fNS9_4plusIvEENS9_8equal_toIvEEfEE10hipError_tPvRmT2_T3_T4_T5_mT6_T7_P12ihipStream_tbENKUlT_T0_E_clISt17integral_constantIbLb0EES10_IbLb1EEEEDaSW_SX_EUlSW_E_NS1_11comp_targetILNS1_3genE0ELNS1_11target_archE4294967295ELNS1_3gpuE0ELNS1_3repE0EEENS1_30default_config_static_selectorELNS0_4arch9wavefront6targetE1EEEvT1_
	.globl	_ZN7rocprim17ROCPRIM_400000_NS6detail17trampoline_kernelINS0_14default_configENS1_27scan_by_key_config_selectorIifEEZZNS1_16scan_by_key_implILNS1_25lookback_scan_determinismE0ELb1ES3_N6thrust23THRUST_200600_302600_NS6detail15normal_iteratorINS9_10device_ptrIiEEEENSB_INSC_IfEEEESG_fNS9_4plusIvEENS9_8equal_toIvEEfEE10hipError_tPvRmT2_T3_T4_T5_mT6_T7_P12ihipStream_tbENKUlT_T0_E_clISt17integral_constantIbLb0EES10_IbLb1EEEEDaSW_SX_EUlSW_E_NS1_11comp_targetILNS1_3genE0ELNS1_11target_archE4294967295ELNS1_3gpuE0ELNS1_3repE0EEENS1_30default_config_static_selectorELNS0_4arch9wavefront6targetE1EEEvT1_
	.p2align	8
	.type	_ZN7rocprim17ROCPRIM_400000_NS6detail17trampoline_kernelINS0_14default_configENS1_27scan_by_key_config_selectorIifEEZZNS1_16scan_by_key_implILNS1_25lookback_scan_determinismE0ELb1ES3_N6thrust23THRUST_200600_302600_NS6detail15normal_iteratorINS9_10device_ptrIiEEEENSB_INSC_IfEEEESG_fNS9_4plusIvEENS9_8equal_toIvEEfEE10hipError_tPvRmT2_T3_T4_T5_mT6_T7_P12ihipStream_tbENKUlT_T0_E_clISt17integral_constantIbLb0EES10_IbLb1EEEEDaSW_SX_EUlSW_E_NS1_11comp_targetILNS1_3genE0ELNS1_11target_archE4294967295ELNS1_3gpuE0ELNS1_3repE0EEENS1_30default_config_static_selectorELNS0_4arch9wavefront6targetE1EEEvT1_,@function
_ZN7rocprim17ROCPRIM_400000_NS6detail17trampoline_kernelINS0_14default_configENS1_27scan_by_key_config_selectorIifEEZZNS1_16scan_by_key_implILNS1_25lookback_scan_determinismE0ELb1ES3_N6thrust23THRUST_200600_302600_NS6detail15normal_iteratorINS9_10device_ptrIiEEEENSB_INSC_IfEEEESG_fNS9_4plusIvEENS9_8equal_toIvEEfEE10hipError_tPvRmT2_T3_T4_T5_mT6_T7_P12ihipStream_tbENKUlT_T0_E_clISt17integral_constantIbLb0EES10_IbLb1EEEEDaSW_SX_EUlSW_E_NS1_11comp_targetILNS1_3genE0ELNS1_11target_archE4294967295ELNS1_3gpuE0ELNS1_3repE0EEENS1_30default_config_static_selectorELNS0_4arch9wavefront6targetE1EEEvT1_: ; @_ZN7rocprim17ROCPRIM_400000_NS6detail17trampoline_kernelINS0_14default_configENS1_27scan_by_key_config_selectorIifEEZZNS1_16scan_by_key_implILNS1_25lookback_scan_determinismE0ELb1ES3_N6thrust23THRUST_200600_302600_NS6detail15normal_iteratorINS9_10device_ptrIiEEEENSB_INSC_IfEEEESG_fNS9_4plusIvEENS9_8equal_toIvEEfEE10hipError_tPvRmT2_T3_T4_T5_mT6_T7_P12ihipStream_tbENKUlT_T0_E_clISt17integral_constantIbLb0EES10_IbLb1EEEEDaSW_SX_EUlSW_E_NS1_11comp_targetILNS1_3genE0ELNS1_11target_archE4294967295ELNS1_3gpuE0ELNS1_3repE0EEENS1_30default_config_static_selectorELNS0_4arch9wavefront6targetE1EEEvT1_
; %bb.0:
	.section	.rodata,"a",@progbits
	.p2align	6, 0x0
	.amdhsa_kernel _ZN7rocprim17ROCPRIM_400000_NS6detail17trampoline_kernelINS0_14default_configENS1_27scan_by_key_config_selectorIifEEZZNS1_16scan_by_key_implILNS1_25lookback_scan_determinismE0ELb1ES3_N6thrust23THRUST_200600_302600_NS6detail15normal_iteratorINS9_10device_ptrIiEEEENSB_INSC_IfEEEESG_fNS9_4plusIvEENS9_8equal_toIvEEfEE10hipError_tPvRmT2_T3_T4_T5_mT6_T7_P12ihipStream_tbENKUlT_T0_E_clISt17integral_constantIbLb0EES10_IbLb1EEEEDaSW_SX_EUlSW_E_NS1_11comp_targetILNS1_3genE0ELNS1_11target_archE4294967295ELNS1_3gpuE0ELNS1_3repE0EEENS1_30default_config_static_selectorELNS0_4arch9wavefront6targetE1EEEvT1_
		.amdhsa_group_segment_fixed_size 0
		.amdhsa_private_segment_fixed_size 0
		.amdhsa_kernarg_size 112
		.amdhsa_user_sgpr_count 2
		.amdhsa_user_sgpr_dispatch_ptr 0
		.amdhsa_user_sgpr_queue_ptr 0
		.amdhsa_user_sgpr_kernarg_segment_ptr 1
		.amdhsa_user_sgpr_dispatch_id 0
		.amdhsa_user_sgpr_kernarg_preload_length 0
		.amdhsa_user_sgpr_kernarg_preload_offset 0
		.amdhsa_user_sgpr_private_segment_size 0
		.amdhsa_uses_dynamic_stack 0
		.amdhsa_enable_private_segment 0
		.amdhsa_system_sgpr_workgroup_id_x 1
		.amdhsa_system_sgpr_workgroup_id_y 0
		.amdhsa_system_sgpr_workgroup_id_z 0
		.amdhsa_system_sgpr_workgroup_info 0
		.amdhsa_system_vgpr_workitem_id 0
		.amdhsa_next_free_vgpr 1
		.amdhsa_next_free_sgpr 0
		.amdhsa_accum_offset 4
		.amdhsa_reserve_vcc 0
		.amdhsa_float_round_mode_32 0
		.amdhsa_float_round_mode_16_64 0
		.amdhsa_float_denorm_mode_32 3
		.amdhsa_float_denorm_mode_16_64 3
		.amdhsa_dx10_clamp 1
		.amdhsa_ieee_mode 1
		.amdhsa_fp16_overflow 0
		.amdhsa_tg_split 0
		.amdhsa_exception_fp_ieee_invalid_op 0
		.amdhsa_exception_fp_denorm_src 0
		.amdhsa_exception_fp_ieee_div_zero 0
		.amdhsa_exception_fp_ieee_overflow 0
		.amdhsa_exception_fp_ieee_underflow 0
		.amdhsa_exception_fp_ieee_inexact 0
		.amdhsa_exception_int_div_zero 0
	.end_amdhsa_kernel
	.section	.text._ZN7rocprim17ROCPRIM_400000_NS6detail17trampoline_kernelINS0_14default_configENS1_27scan_by_key_config_selectorIifEEZZNS1_16scan_by_key_implILNS1_25lookback_scan_determinismE0ELb1ES3_N6thrust23THRUST_200600_302600_NS6detail15normal_iteratorINS9_10device_ptrIiEEEENSB_INSC_IfEEEESG_fNS9_4plusIvEENS9_8equal_toIvEEfEE10hipError_tPvRmT2_T3_T4_T5_mT6_T7_P12ihipStream_tbENKUlT_T0_E_clISt17integral_constantIbLb0EES10_IbLb1EEEEDaSW_SX_EUlSW_E_NS1_11comp_targetILNS1_3genE0ELNS1_11target_archE4294967295ELNS1_3gpuE0ELNS1_3repE0EEENS1_30default_config_static_selectorELNS0_4arch9wavefront6targetE1EEEvT1_,"axG",@progbits,_ZN7rocprim17ROCPRIM_400000_NS6detail17trampoline_kernelINS0_14default_configENS1_27scan_by_key_config_selectorIifEEZZNS1_16scan_by_key_implILNS1_25lookback_scan_determinismE0ELb1ES3_N6thrust23THRUST_200600_302600_NS6detail15normal_iteratorINS9_10device_ptrIiEEEENSB_INSC_IfEEEESG_fNS9_4plusIvEENS9_8equal_toIvEEfEE10hipError_tPvRmT2_T3_T4_T5_mT6_T7_P12ihipStream_tbENKUlT_T0_E_clISt17integral_constantIbLb0EES10_IbLb1EEEEDaSW_SX_EUlSW_E_NS1_11comp_targetILNS1_3genE0ELNS1_11target_archE4294967295ELNS1_3gpuE0ELNS1_3repE0EEENS1_30default_config_static_selectorELNS0_4arch9wavefront6targetE1EEEvT1_,comdat
.Lfunc_end1454:
	.size	_ZN7rocprim17ROCPRIM_400000_NS6detail17trampoline_kernelINS0_14default_configENS1_27scan_by_key_config_selectorIifEEZZNS1_16scan_by_key_implILNS1_25lookback_scan_determinismE0ELb1ES3_N6thrust23THRUST_200600_302600_NS6detail15normal_iteratorINS9_10device_ptrIiEEEENSB_INSC_IfEEEESG_fNS9_4plusIvEENS9_8equal_toIvEEfEE10hipError_tPvRmT2_T3_T4_T5_mT6_T7_P12ihipStream_tbENKUlT_T0_E_clISt17integral_constantIbLb0EES10_IbLb1EEEEDaSW_SX_EUlSW_E_NS1_11comp_targetILNS1_3genE0ELNS1_11target_archE4294967295ELNS1_3gpuE0ELNS1_3repE0EEENS1_30default_config_static_selectorELNS0_4arch9wavefront6targetE1EEEvT1_, .Lfunc_end1454-_ZN7rocprim17ROCPRIM_400000_NS6detail17trampoline_kernelINS0_14default_configENS1_27scan_by_key_config_selectorIifEEZZNS1_16scan_by_key_implILNS1_25lookback_scan_determinismE0ELb1ES3_N6thrust23THRUST_200600_302600_NS6detail15normal_iteratorINS9_10device_ptrIiEEEENSB_INSC_IfEEEESG_fNS9_4plusIvEENS9_8equal_toIvEEfEE10hipError_tPvRmT2_T3_T4_T5_mT6_T7_P12ihipStream_tbENKUlT_T0_E_clISt17integral_constantIbLb0EES10_IbLb1EEEEDaSW_SX_EUlSW_E_NS1_11comp_targetILNS1_3genE0ELNS1_11target_archE4294967295ELNS1_3gpuE0ELNS1_3repE0EEENS1_30default_config_static_selectorELNS0_4arch9wavefront6targetE1EEEvT1_
                                        ; -- End function
	.section	.AMDGPU.csdata,"",@progbits
; Kernel info:
; codeLenInByte = 0
; NumSgprs: 6
; NumVgprs: 0
; NumAgprs: 0
; TotalNumVgprs: 0
; ScratchSize: 0
; MemoryBound: 0
; FloatMode: 240
; IeeeMode: 1
; LDSByteSize: 0 bytes/workgroup (compile time only)
; SGPRBlocks: 0
; VGPRBlocks: 0
; NumSGPRsForWavesPerEU: 6
; NumVGPRsForWavesPerEU: 1
; AccumOffset: 4
; Occupancy: 8
; WaveLimiterHint : 0
; COMPUTE_PGM_RSRC2:SCRATCH_EN: 0
; COMPUTE_PGM_RSRC2:USER_SGPR: 2
; COMPUTE_PGM_RSRC2:TRAP_HANDLER: 0
; COMPUTE_PGM_RSRC2:TGID_X_EN: 1
; COMPUTE_PGM_RSRC2:TGID_Y_EN: 0
; COMPUTE_PGM_RSRC2:TGID_Z_EN: 0
; COMPUTE_PGM_RSRC2:TIDIG_COMP_CNT: 0
; COMPUTE_PGM_RSRC3_GFX90A:ACCUM_OFFSET: 0
; COMPUTE_PGM_RSRC3_GFX90A:TG_SPLIT: 0
	.section	.text._ZN7rocprim17ROCPRIM_400000_NS6detail17trampoline_kernelINS0_14default_configENS1_27scan_by_key_config_selectorIifEEZZNS1_16scan_by_key_implILNS1_25lookback_scan_determinismE0ELb1ES3_N6thrust23THRUST_200600_302600_NS6detail15normal_iteratorINS9_10device_ptrIiEEEENSB_INSC_IfEEEESG_fNS9_4plusIvEENS9_8equal_toIvEEfEE10hipError_tPvRmT2_T3_T4_T5_mT6_T7_P12ihipStream_tbENKUlT_T0_E_clISt17integral_constantIbLb0EES10_IbLb1EEEEDaSW_SX_EUlSW_E_NS1_11comp_targetILNS1_3genE10ELNS1_11target_archE1201ELNS1_3gpuE5ELNS1_3repE0EEENS1_30default_config_static_selectorELNS0_4arch9wavefront6targetE1EEEvT1_,"axG",@progbits,_ZN7rocprim17ROCPRIM_400000_NS6detail17trampoline_kernelINS0_14default_configENS1_27scan_by_key_config_selectorIifEEZZNS1_16scan_by_key_implILNS1_25lookback_scan_determinismE0ELb1ES3_N6thrust23THRUST_200600_302600_NS6detail15normal_iteratorINS9_10device_ptrIiEEEENSB_INSC_IfEEEESG_fNS9_4plusIvEENS9_8equal_toIvEEfEE10hipError_tPvRmT2_T3_T4_T5_mT6_T7_P12ihipStream_tbENKUlT_T0_E_clISt17integral_constantIbLb0EES10_IbLb1EEEEDaSW_SX_EUlSW_E_NS1_11comp_targetILNS1_3genE10ELNS1_11target_archE1201ELNS1_3gpuE5ELNS1_3repE0EEENS1_30default_config_static_selectorELNS0_4arch9wavefront6targetE1EEEvT1_,comdat
	.protected	_ZN7rocprim17ROCPRIM_400000_NS6detail17trampoline_kernelINS0_14default_configENS1_27scan_by_key_config_selectorIifEEZZNS1_16scan_by_key_implILNS1_25lookback_scan_determinismE0ELb1ES3_N6thrust23THRUST_200600_302600_NS6detail15normal_iteratorINS9_10device_ptrIiEEEENSB_INSC_IfEEEESG_fNS9_4plusIvEENS9_8equal_toIvEEfEE10hipError_tPvRmT2_T3_T4_T5_mT6_T7_P12ihipStream_tbENKUlT_T0_E_clISt17integral_constantIbLb0EES10_IbLb1EEEEDaSW_SX_EUlSW_E_NS1_11comp_targetILNS1_3genE10ELNS1_11target_archE1201ELNS1_3gpuE5ELNS1_3repE0EEENS1_30default_config_static_selectorELNS0_4arch9wavefront6targetE1EEEvT1_ ; -- Begin function _ZN7rocprim17ROCPRIM_400000_NS6detail17trampoline_kernelINS0_14default_configENS1_27scan_by_key_config_selectorIifEEZZNS1_16scan_by_key_implILNS1_25lookback_scan_determinismE0ELb1ES3_N6thrust23THRUST_200600_302600_NS6detail15normal_iteratorINS9_10device_ptrIiEEEENSB_INSC_IfEEEESG_fNS9_4plusIvEENS9_8equal_toIvEEfEE10hipError_tPvRmT2_T3_T4_T5_mT6_T7_P12ihipStream_tbENKUlT_T0_E_clISt17integral_constantIbLb0EES10_IbLb1EEEEDaSW_SX_EUlSW_E_NS1_11comp_targetILNS1_3genE10ELNS1_11target_archE1201ELNS1_3gpuE5ELNS1_3repE0EEENS1_30default_config_static_selectorELNS0_4arch9wavefront6targetE1EEEvT1_
	.globl	_ZN7rocprim17ROCPRIM_400000_NS6detail17trampoline_kernelINS0_14default_configENS1_27scan_by_key_config_selectorIifEEZZNS1_16scan_by_key_implILNS1_25lookback_scan_determinismE0ELb1ES3_N6thrust23THRUST_200600_302600_NS6detail15normal_iteratorINS9_10device_ptrIiEEEENSB_INSC_IfEEEESG_fNS9_4plusIvEENS9_8equal_toIvEEfEE10hipError_tPvRmT2_T3_T4_T5_mT6_T7_P12ihipStream_tbENKUlT_T0_E_clISt17integral_constantIbLb0EES10_IbLb1EEEEDaSW_SX_EUlSW_E_NS1_11comp_targetILNS1_3genE10ELNS1_11target_archE1201ELNS1_3gpuE5ELNS1_3repE0EEENS1_30default_config_static_selectorELNS0_4arch9wavefront6targetE1EEEvT1_
	.p2align	8
	.type	_ZN7rocprim17ROCPRIM_400000_NS6detail17trampoline_kernelINS0_14default_configENS1_27scan_by_key_config_selectorIifEEZZNS1_16scan_by_key_implILNS1_25lookback_scan_determinismE0ELb1ES3_N6thrust23THRUST_200600_302600_NS6detail15normal_iteratorINS9_10device_ptrIiEEEENSB_INSC_IfEEEESG_fNS9_4plusIvEENS9_8equal_toIvEEfEE10hipError_tPvRmT2_T3_T4_T5_mT6_T7_P12ihipStream_tbENKUlT_T0_E_clISt17integral_constantIbLb0EES10_IbLb1EEEEDaSW_SX_EUlSW_E_NS1_11comp_targetILNS1_3genE10ELNS1_11target_archE1201ELNS1_3gpuE5ELNS1_3repE0EEENS1_30default_config_static_selectorELNS0_4arch9wavefront6targetE1EEEvT1_,@function
_ZN7rocprim17ROCPRIM_400000_NS6detail17trampoline_kernelINS0_14default_configENS1_27scan_by_key_config_selectorIifEEZZNS1_16scan_by_key_implILNS1_25lookback_scan_determinismE0ELb1ES3_N6thrust23THRUST_200600_302600_NS6detail15normal_iteratorINS9_10device_ptrIiEEEENSB_INSC_IfEEEESG_fNS9_4plusIvEENS9_8equal_toIvEEfEE10hipError_tPvRmT2_T3_T4_T5_mT6_T7_P12ihipStream_tbENKUlT_T0_E_clISt17integral_constantIbLb0EES10_IbLb1EEEEDaSW_SX_EUlSW_E_NS1_11comp_targetILNS1_3genE10ELNS1_11target_archE1201ELNS1_3gpuE5ELNS1_3repE0EEENS1_30default_config_static_selectorELNS0_4arch9wavefront6targetE1EEEvT1_: ; @_ZN7rocprim17ROCPRIM_400000_NS6detail17trampoline_kernelINS0_14default_configENS1_27scan_by_key_config_selectorIifEEZZNS1_16scan_by_key_implILNS1_25lookback_scan_determinismE0ELb1ES3_N6thrust23THRUST_200600_302600_NS6detail15normal_iteratorINS9_10device_ptrIiEEEENSB_INSC_IfEEEESG_fNS9_4plusIvEENS9_8equal_toIvEEfEE10hipError_tPvRmT2_T3_T4_T5_mT6_T7_P12ihipStream_tbENKUlT_T0_E_clISt17integral_constantIbLb0EES10_IbLb1EEEEDaSW_SX_EUlSW_E_NS1_11comp_targetILNS1_3genE10ELNS1_11target_archE1201ELNS1_3gpuE5ELNS1_3repE0EEENS1_30default_config_static_selectorELNS0_4arch9wavefront6targetE1EEEvT1_
; %bb.0:
	.section	.rodata,"a",@progbits
	.p2align	6, 0x0
	.amdhsa_kernel _ZN7rocprim17ROCPRIM_400000_NS6detail17trampoline_kernelINS0_14default_configENS1_27scan_by_key_config_selectorIifEEZZNS1_16scan_by_key_implILNS1_25lookback_scan_determinismE0ELb1ES3_N6thrust23THRUST_200600_302600_NS6detail15normal_iteratorINS9_10device_ptrIiEEEENSB_INSC_IfEEEESG_fNS9_4plusIvEENS9_8equal_toIvEEfEE10hipError_tPvRmT2_T3_T4_T5_mT6_T7_P12ihipStream_tbENKUlT_T0_E_clISt17integral_constantIbLb0EES10_IbLb1EEEEDaSW_SX_EUlSW_E_NS1_11comp_targetILNS1_3genE10ELNS1_11target_archE1201ELNS1_3gpuE5ELNS1_3repE0EEENS1_30default_config_static_selectorELNS0_4arch9wavefront6targetE1EEEvT1_
		.amdhsa_group_segment_fixed_size 0
		.amdhsa_private_segment_fixed_size 0
		.amdhsa_kernarg_size 112
		.amdhsa_user_sgpr_count 2
		.amdhsa_user_sgpr_dispatch_ptr 0
		.amdhsa_user_sgpr_queue_ptr 0
		.amdhsa_user_sgpr_kernarg_segment_ptr 1
		.amdhsa_user_sgpr_dispatch_id 0
		.amdhsa_user_sgpr_kernarg_preload_length 0
		.amdhsa_user_sgpr_kernarg_preload_offset 0
		.amdhsa_user_sgpr_private_segment_size 0
		.amdhsa_uses_dynamic_stack 0
		.amdhsa_enable_private_segment 0
		.amdhsa_system_sgpr_workgroup_id_x 1
		.amdhsa_system_sgpr_workgroup_id_y 0
		.amdhsa_system_sgpr_workgroup_id_z 0
		.amdhsa_system_sgpr_workgroup_info 0
		.amdhsa_system_vgpr_workitem_id 0
		.amdhsa_next_free_vgpr 1
		.amdhsa_next_free_sgpr 0
		.amdhsa_accum_offset 4
		.amdhsa_reserve_vcc 0
		.amdhsa_float_round_mode_32 0
		.amdhsa_float_round_mode_16_64 0
		.amdhsa_float_denorm_mode_32 3
		.amdhsa_float_denorm_mode_16_64 3
		.amdhsa_dx10_clamp 1
		.amdhsa_ieee_mode 1
		.amdhsa_fp16_overflow 0
		.amdhsa_tg_split 0
		.amdhsa_exception_fp_ieee_invalid_op 0
		.amdhsa_exception_fp_denorm_src 0
		.amdhsa_exception_fp_ieee_div_zero 0
		.amdhsa_exception_fp_ieee_overflow 0
		.amdhsa_exception_fp_ieee_underflow 0
		.amdhsa_exception_fp_ieee_inexact 0
		.amdhsa_exception_int_div_zero 0
	.end_amdhsa_kernel
	.section	.text._ZN7rocprim17ROCPRIM_400000_NS6detail17trampoline_kernelINS0_14default_configENS1_27scan_by_key_config_selectorIifEEZZNS1_16scan_by_key_implILNS1_25lookback_scan_determinismE0ELb1ES3_N6thrust23THRUST_200600_302600_NS6detail15normal_iteratorINS9_10device_ptrIiEEEENSB_INSC_IfEEEESG_fNS9_4plusIvEENS9_8equal_toIvEEfEE10hipError_tPvRmT2_T3_T4_T5_mT6_T7_P12ihipStream_tbENKUlT_T0_E_clISt17integral_constantIbLb0EES10_IbLb1EEEEDaSW_SX_EUlSW_E_NS1_11comp_targetILNS1_3genE10ELNS1_11target_archE1201ELNS1_3gpuE5ELNS1_3repE0EEENS1_30default_config_static_selectorELNS0_4arch9wavefront6targetE1EEEvT1_,"axG",@progbits,_ZN7rocprim17ROCPRIM_400000_NS6detail17trampoline_kernelINS0_14default_configENS1_27scan_by_key_config_selectorIifEEZZNS1_16scan_by_key_implILNS1_25lookback_scan_determinismE0ELb1ES3_N6thrust23THRUST_200600_302600_NS6detail15normal_iteratorINS9_10device_ptrIiEEEENSB_INSC_IfEEEESG_fNS9_4plusIvEENS9_8equal_toIvEEfEE10hipError_tPvRmT2_T3_T4_T5_mT6_T7_P12ihipStream_tbENKUlT_T0_E_clISt17integral_constantIbLb0EES10_IbLb1EEEEDaSW_SX_EUlSW_E_NS1_11comp_targetILNS1_3genE10ELNS1_11target_archE1201ELNS1_3gpuE5ELNS1_3repE0EEENS1_30default_config_static_selectorELNS0_4arch9wavefront6targetE1EEEvT1_,comdat
.Lfunc_end1455:
	.size	_ZN7rocprim17ROCPRIM_400000_NS6detail17trampoline_kernelINS0_14default_configENS1_27scan_by_key_config_selectorIifEEZZNS1_16scan_by_key_implILNS1_25lookback_scan_determinismE0ELb1ES3_N6thrust23THRUST_200600_302600_NS6detail15normal_iteratorINS9_10device_ptrIiEEEENSB_INSC_IfEEEESG_fNS9_4plusIvEENS9_8equal_toIvEEfEE10hipError_tPvRmT2_T3_T4_T5_mT6_T7_P12ihipStream_tbENKUlT_T0_E_clISt17integral_constantIbLb0EES10_IbLb1EEEEDaSW_SX_EUlSW_E_NS1_11comp_targetILNS1_3genE10ELNS1_11target_archE1201ELNS1_3gpuE5ELNS1_3repE0EEENS1_30default_config_static_selectorELNS0_4arch9wavefront6targetE1EEEvT1_, .Lfunc_end1455-_ZN7rocprim17ROCPRIM_400000_NS6detail17trampoline_kernelINS0_14default_configENS1_27scan_by_key_config_selectorIifEEZZNS1_16scan_by_key_implILNS1_25lookback_scan_determinismE0ELb1ES3_N6thrust23THRUST_200600_302600_NS6detail15normal_iteratorINS9_10device_ptrIiEEEENSB_INSC_IfEEEESG_fNS9_4plusIvEENS9_8equal_toIvEEfEE10hipError_tPvRmT2_T3_T4_T5_mT6_T7_P12ihipStream_tbENKUlT_T0_E_clISt17integral_constantIbLb0EES10_IbLb1EEEEDaSW_SX_EUlSW_E_NS1_11comp_targetILNS1_3genE10ELNS1_11target_archE1201ELNS1_3gpuE5ELNS1_3repE0EEENS1_30default_config_static_selectorELNS0_4arch9wavefront6targetE1EEEvT1_
                                        ; -- End function
	.section	.AMDGPU.csdata,"",@progbits
; Kernel info:
; codeLenInByte = 0
; NumSgprs: 6
; NumVgprs: 0
; NumAgprs: 0
; TotalNumVgprs: 0
; ScratchSize: 0
; MemoryBound: 0
; FloatMode: 240
; IeeeMode: 1
; LDSByteSize: 0 bytes/workgroup (compile time only)
; SGPRBlocks: 0
; VGPRBlocks: 0
; NumSGPRsForWavesPerEU: 6
; NumVGPRsForWavesPerEU: 1
; AccumOffset: 4
; Occupancy: 8
; WaveLimiterHint : 0
; COMPUTE_PGM_RSRC2:SCRATCH_EN: 0
; COMPUTE_PGM_RSRC2:USER_SGPR: 2
; COMPUTE_PGM_RSRC2:TRAP_HANDLER: 0
; COMPUTE_PGM_RSRC2:TGID_X_EN: 1
; COMPUTE_PGM_RSRC2:TGID_Y_EN: 0
; COMPUTE_PGM_RSRC2:TGID_Z_EN: 0
; COMPUTE_PGM_RSRC2:TIDIG_COMP_CNT: 0
; COMPUTE_PGM_RSRC3_GFX90A:ACCUM_OFFSET: 0
; COMPUTE_PGM_RSRC3_GFX90A:TG_SPLIT: 0
	.section	.text._ZN7rocprim17ROCPRIM_400000_NS6detail17trampoline_kernelINS0_14default_configENS1_27scan_by_key_config_selectorIifEEZZNS1_16scan_by_key_implILNS1_25lookback_scan_determinismE0ELb1ES3_N6thrust23THRUST_200600_302600_NS6detail15normal_iteratorINS9_10device_ptrIiEEEENSB_INSC_IfEEEESG_fNS9_4plusIvEENS9_8equal_toIvEEfEE10hipError_tPvRmT2_T3_T4_T5_mT6_T7_P12ihipStream_tbENKUlT_T0_E_clISt17integral_constantIbLb0EES10_IbLb1EEEEDaSW_SX_EUlSW_E_NS1_11comp_targetILNS1_3genE5ELNS1_11target_archE942ELNS1_3gpuE9ELNS1_3repE0EEENS1_30default_config_static_selectorELNS0_4arch9wavefront6targetE1EEEvT1_,"axG",@progbits,_ZN7rocprim17ROCPRIM_400000_NS6detail17trampoline_kernelINS0_14default_configENS1_27scan_by_key_config_selectorIifEEZZNS1_16scan_by_key_implILNS1_25lookback_scan_determinismE0ELb1ES3_N6thrust23THRUST_200600_302600_NS6detail15normal_iteratorINS9_10device_ptrIiEEEENSB_INSC_IfEEEESG_fNS9_4plusIvEENS9_8equal_toIvEEfEE10hipError_tPvRmT2_T3_T4_T5_mT6_T7_P12ihipStream_tbENKUlT_T0_E_clISt17integral_constantIbLb0EES10_IbLb1EEEEDaSW_SX_EUlSW_E_NS1_11comp_targetILNS1_3genE5ELNS1_11target_archE942ELNS1_3gpuE9ELNS1_3repE0EEENS1_30default_config_static_selectorELNS0_4arch9wavefront6targetE1EEEvT1_,comdat
	.protected	_ZN7rocprim17ROCPRIM_400000_NS6detail17trampoline_kernelINS0_14default_configENS1_27scan_by_key_config_selectorIifEEZZNS1_16scan_by_key_implILNS1_25lookback_scan_determinismE0ELb1ES3_N6thrust23THRUST_200600_302600_NS6detail15normal_iteratorINS9_10device_ptrIiEEEENSB_INSC_IfEEEESG_fNS9_4plusIvEENS9_8equal_toIvEEfEE10hipError_tPvRmT2_T3_T4_T5_mT6_T7_P12ihipStream_tbENKUlT_T0_E_clISt17integral_constantIbLb0EES10_IbLb1EEEEDaSW_SX_EUlSW_E_NS1_11comp_targetILNS1_3genE5ELNS1_11target_archE942ELNS1_3gpuE9ELNS1_3repE0EEENS1_30default_config_static_selectorELNS0_4arch9wavefront6targetE1EEEvT1_ ; -- Begin function _ZN7rocprim17ROCPRIM_400000_NS6detail17trampoline_kernelINS0_14default_configENS1_27scan_by_key_config_selectorIifEEZZNS1_16scan_by_key_implILNS1_25lookback_scan_determinismE0ELb1ES3_N6thrust23THRUST_200600_302600_NS6detail15normal_iteratorINS9_10device_ptrIiEEEENSB_INSC_IfEEEESG_fNS9_4plusIvEENS9_8equal_toIvEEfEE10hipError_tPvRmT2_T3_T4_T5_mT6_T7_P12ihipStream_tbENKUlT_T0_E_clISt17integral_constantIbLb0EES10_IbLb1EEEEDaSW_SX_EUlSW_E_NS1_11comp_targetILNS1_3genE5ELNS1_11target_archE942ELNS1_3gpuE9ELNS1_3repE0EEENS1_30default_config_static_selectorELNS0_4arch9wavefront6targetE1EEEvT1_
	.globl	_ZN7rocprim17ROCPRIM_400000_NS6detail17trampoline_kernelINS0_14default_configENS1_27scan_by_key_config_selectorIifEEZZNS1_16scan_by_key_implILNS1_25lookback_scan_determinismE0ELb1ES3_N6thrust23THRUST_200600_302600_NS6detail15normal_iteratorINS9_10device_ptrIiEEEENSB_INSC_IfEEEESG_fNS9_4plusIvEENS9_8equal_toIvEEfEE10hipError_tPvRmT2_T3_T4_T5_mT6_T7_P12ihipStream_tbENKUlT_T0_E_clISt17integral_constantIbLb0EES10_IbLb1EEEEDaSW_SX_EUlSW_E_NS1_11comp_targetILNS1_3genE5ELNS1_11target_archE942ELNS1_3gpuE9ELNS1_3repE0EEENS1_30default_config_static_selectorELNS0_4arch9wavefront6targetE1EEEvT1_
	.p2align	8
	.type	_ZN7rocprim17ROCPRIM_400000_NS6detail17trampoline_kernelINS0_14default_configENS1_27scan_by_key_config_selectorIifEEZZNS1_16scan_by_key_implILNS1_25lookback_scan_determinismE0ELb1ES3_N6thrust23THRUST_200600_302600_NS6detail15normal_iteratorINS9_10device_ptrIiEEEENSB_INSC_IfEEEESG_fNS9_4plusIvEENS9_8equal_toIvEEfEE10hipError_tPvRmT2_T3_T4_T5_mT6_T7_P12ihipStream_tbENKUlT_T0_E_clISt17integral_constantIbLb0EES10_IbLb1EEEEDaSW_SX_EUlSW_E_NS1_11comp_targetILNS1_3genE5ELNS1_11target_archE942ELNS1_3gpuE9ELNS1_3repE0EEENS1_30default_config_static_selectorELNS0_4arch9wavefront6targetE1EEEvT1_,@function
_ZN7rocprim17ROCPRIM_400000_NS6detail17trampoline_kernelINS0_14default_configENS1_27scan_by_key_config_selectorIifEEZZNS1_16scan_by_key_implILNS1_25lookback_scan_determinismE0ELb1ES3_N6thrust23THRUST_200600_302600_NS6detail15normal_iteratorINS9_10device_ptrIiEEEENSB_INSC_IfEEEESG_fNS9_4plusIvEENS9_8equal_toIvEEfEE10hipError_tPvRmT2_T3_T4_T5_mT6_T7_P12ihipStream_tbENKUlT_T0_E_clISt17integral_constantIbLb0EES10_IbLb1EEEEDaSW_SX_EUlSW_E_NS1_11comp_targetILNS1_3genE5ELNS1_11target_archE942ELNS1_3gpuE9ELNS1_3repE0EEENS1_30default_config_static_selectorELNS0_4arch9wavefront6targetE1EEEvT1_: ; @_ZN7rocprim17ROCPRIM_400000_NS6detail17trampoline_kernelINS0_14default_configENS1_27scan_by_key_config_selectorIifEEZZNS1_16scan_by_key_implILNS1_25lookback_scan_determinismE0ELb1ES3_N6thrust23THRUST_200600_302600_NS6detail15normal_iteratorINS9_10device_ptrIiEEEENSB_INSC_IfEEEESG_fNS9_4plusIvEENS9_8equal_toIvEEfEE10hipError_tPvRmT2_T3_T4_T5_mT6_T7_P12ihipStream_tbENKUlT_T0_E_clISt17integral_constantIbLb0EES10_IbLb1EEEEDaSW_SX_EUlSW_E_NS1_11comp_targetILNS1_3genE5ELNS1_11target_archE942ELNS1_3gpuE9ELNS1_3repE0EEENS1_30default_config_static_selectorELNS0_4arch9wavefront6targetE1EEEvT1_
; %bb.0:
	s_load_dword s74, s[0:1], 0x20
	s_load_dwordx4 s[64:67], s[0:1], 0x28
	s_load_dwordx2 s[72:73], s[0:1], 0x38
	v_cmp_ne_u32_e64 s[4:5], 0, v0
	v_cmp_eq_u32_e64 s[52:53], 0, v0
	s_and_saveexec_b64 s[2:3], s[52:53]
	s_cbranch_execz .LBB1456_4
; %bb.1:
	s_mov_b64 s[8:9], exec
	v_mbcnt_lo_u32_b32 v1, s8, 0
	v_mbcnt_hi_u32_b32 v1, s9, v1
	v_cmp_eq_u32_e32 vcc, 0, v1
                                        ; implicit-def: $vgpr2
	s_and_saveexec_b64 s[6:7], vcc
	s_cbranch_execz .LBB1456_3
; %bb.2:
	s_load_dwordx2 s[10:11], s[0:1], 0x68
	s_bcnt1_i32_b64 s8, s[8:9]
	v_mov_b32_e32 v2, 0
	v_mov_b32_e32 v3, s8
	s_waitcnt lgkmcnt(0)
	global_atomic_add v2, v2, v3, s[10:11] sc0
.LBB1456_3:
	s_or_b64 exec, exec, s[6:7]
	s_waitcnt vmcnt(0)
	v_readfirstlane_b32 s6, v2
	v_mov_b32_e32 v2, 0
	s_nop 0
	v_add_u32_e32 v1, s6, v1
	ds_write_b32 v2, v1
.LBB1456_4:
	s_or_b64 exec, exec, s[2:3]
	s_load_dwordx8 s[56:63], s[0:1], 0x0
	s_load_dword s2, s[0:1], 0x40
	s_load_dwordx4 s[68:71], s[0:1], 0x48
	v_mov_b32_e32 v7, 0
	s_waitcnt lgkmcnt(0)
	s_lshl_b64 s[54:55], s[58:59], 2
	s_barrier
	ds_read_b32 v6, v7
	s_add_u32 s0, s56, s54
	s_addc_u32 s1, s57, s55
	s_add_u32 s6, s60, s54
	s_mul_i32 s3, s73, s2
	s_mul_hi_u32 s8, s72, s2
	s_addc_u32 s7, s61, s55
	s_add_i32 s3, s8, s3
	s_movk_i32 s8, 0x1700
	s_waitcnt lgkmcnt(0)
	v_mul_lo_u32 v2, v6, s8
	v_mov_b32_e32 v3, v7
	v_lshlrev_b64 v[10:11], 2, v[2:3]
	s_mul_i32 s2, s72, s2
	v_lshl_add_u64 v[2:3], s[6:7], 0, v[10:11]
	s_add_u32 s6, s68, -1
	v_readfirstlane_b32 s67, v6
	v_lshl_add_u64 v[6:7], s[2:3], 0, v[6:7]
	s_addc_u32 s7, s69, -1
	v_cmp_le_u64_e64 s[2:3], s[6:7], v[6:7]
	v_lshl_add_u64 v[4:5], s[0:1], 0, v[10:11]
	s_mov_b64 s[0:1], -1
	s_and_b64 vcc, exec, s[2:3]
	s_mul_i32 s33, s6, 0xffffe900
	s_barrier
	s_barrier
	s_cbranch_vccz .LBB1456_75
; %bb.5:
	flat_load_dword v1, v[4:5]
	s_add_i32 s60, s33, s66
	v_cmp_gt_u32_e32 vcc, s60, v0
	s_waitcnt vmcnt(0) lgkmcnt(0)
	v_mov_b32_e32 v6, v1
	s_and_saveexec_b64 s[0:1], vcc
	s_cbranch_execz .LBB1456_7
; %bb.6:
	v_lshlrev_b32_e32 v6, 2, v0
	v_mov_b32_e32 v7, 0
	v_lshl_add_u64 v[6:7], v[4:5], 0, v[6:7]
	flat_load_dword v6, v[6:7]
.LBB1456_7:
	s_or_b64 exec, exec, s[0:1]
	v_or_b32_e32 v7, 0x100, v0
	v_cmp_gt_u32_e64 s[6:7], s60, v7
	v_mov_b32_e32 v7, v1
	s_and_saveexec_b64 s[0:1], s[6:7]
	s_cbranch_execz .LBB1456_9
; %bb.8:
	v_lshlrev_b32_e32 v8, 2, v0
	v_mov_b32_e32 v9, 0
	v_lshl_add_u64 v[8:9], v[4:5], 0, v[8:9]
	flat_load_dword v7, v[8:9] offset:1024
.LBB1456_9:
	s_or_b64 exec, exec, s[0:1]
	v_or_b32_e32 v8, 0x200, v0
	v_cmp_gt_u32_e64 s[8:9], s60, v8
	v_mov_b32_e32 v8, v1
	s_and_saveexec_b64 s[0:1], s[8:9]
	s_cbranch_execz .LBB1456_11
; %bb.10:
	v_lshlrev_b32_e32 v8, 2, v0
	v_mov_b32_e32 v9, 0
	v_lshl_add_u64 v[8:9], v[4:5], 0, v[8:9]
	flat_load_dword v8, v[8:9] offset:2048
.LBB1456_11:
	;; [unrolled: 12-line block ×3, first 2 shown]
	s_or_b64 exec, exec, s[0:1]
	v_or_b32_e32 v12, 0x400, v0
	v_cmp_gt_u32_e64 s[12:13], s60, v12
	v_lshlrev_b32_e32 v30, 2, v12
	v_mov_b32_e32 v12, v1
	s_and_saveexec_b64 s[0:1], s[12:13]
	s_cbranch_execz .LBB1456_15
; %bb.14:
	v_mov_b32_e32 v31, 0
	v_lshl_add_u64 v[12:13], v[4:5], 0, v[30:31]
	flat_load_dword v12, v[12:13]
.LBB1456_15:
	s_or_b64 exec, exec, s[0:1]
	v_or_b32_e32 v13, 0x500, v0
	v_cmp_gt_u32_e64 s[14:15], s60, v13
	v_lshlrev_b32_e32 v32, 2, v13
	v_mov_b32_e32 v13, v1
	s_and_saveexec_b64 s[0:1], s[14:15]
	s_cbranch_execz .LBB1456_17
; %bb.16:
	v_mov_b32_e32 v33, 0
	v_lshl_add_u64 v[14:15], v[4:5], 0, v[32:33]
	flat_load_dword v13, v[14:15]
.LBB1456_17:
	;; [unrolled: 12-line block ×18, first 2 shown]
	s_or_b64 exec, exec, s[0:1]
	v_or_b32_e32 v31, 0x1600, v0
	v_cmp_gt_u32_e64 s[50:51], s60, v31
	v_lshlrev_b32_e32 v66, 2, v31
	s_and_saveexec_b64 s[0:1], s[50:51]
	s_cbranch_execz .LBB1456_51
; %bb.50:
	v_mov_b32_e32 v67, 0
	v_lshl_add_u64 v[68:69], v[4:5], 0, v[66:67]
	flat_load_dword v1, v[68:69]
.LBB1456_51:
	s_or_b64 exec, exec, s[0:1]
	v_lshlrev_b32_e32 v68, 2, v0
	s_waitcnt vmcnt(0) lgkmcnt(0)
	ds_write2st64_b32 v68, v6, v7 offset1:4
	ds_write2st64_b32 v68, v8, v9 offset0:8 offset1:12
	ds_write2st64_b32 v68, v12, v13 offset0:16 offset1:20
	;; [unrolled: 1-line block ×10, first 2 shown]
	ds_write_b32 v68, v1 offset:22528
	s_waitcnt lgkmcnt(0)
	s_barrier
	flat_load_dword v75, v[4:5]
	s_movk_i32 s0, 0x58
	v_mad_u32_u24 v76, v0, s0, v68
	s_movk_i32 s0, 0xffa8
	v_mad_i32_i24 v1, v0, s0, v76
	s_movk_i32 s0, 0xff
	v_cmp_ne_u32_e64 s[0:1], s0, v0
	ds_read_b32 v78, v76
	ds_read2_b32 v[28:29], v76 offset0:1 offset1:2
	ds_read2_b32 v[26:27], v76 offset0:3 offset1:4
	;; [unrolled: 1-line block ×11, first 2 shown]
	s_waitcnt lgkmcnt(0)
	ds_write_b32 v1, v78 offset:24576
	s_waitcnt lgkmcnt(0)
	s_barrier
	s_and_saveexec_b64 s[56:57], s[0:1]
	s_cbranch_execz .LBB1456_53
; %bb.52:
	s_waitcnt vmcnt(0)
	ds_read_b32 v75, v68 offset:24580
.LBB1456_53:
	s_or_b64 exec, exec, s[56:57]
	v_mov_b32_e32 v69, 0
	s_waitcnt lgkmcnt(0)
	s_barrier
	s_waitcnt lgkmcnt(0)
                                        ; implicit-def: $vgpr1
	s_and_saveexec_b64 s[0:1], vcc
	s_cbranch_execz .LBB1456_76
; %bb.54:
	v_lshl_add_u64 v[70:71], v[2:3], 0, v[68:69]
	flat_load_dword v1, v[70:71]
	s_or_b64 exec, exec, s[0:1]
                                        ; implicit-def: $vgpr70
	s_and_saveexec_b64 s[0:1], s[6:7]
	s_cbranch_execnz .LBB1456_77
.LBB1456_55:
	s_or_b64 exec, exec, s[0:1]
                                        ; implicit-def: $vgpr71
	s_and_saveexec_b64 s[0:1], s[8:9]
	s_cbranch_execz .LBB1456_78
.LBB1456_56:
	v_mov_b32_e32 v69, 0
	v_lshl_add_u64 v[72:73], v[2:3], 0, v[68:69]
	flat_load_dword v71, v[72:73] offset:2048
	s_or_b64 exec, exec, s[0:1]
                                        ; implicit-def: $vgpr69
	s_and_saveexec_b64 s[0:1], s[10:11]
	s_cbranch_execnz .LBB1456_79
.LBB1456_57:
	s_or_b64 exec, exec, s[0:1]
                                        ; implicit-def: $vgpr31
	s_and_saveexec_b64 s[0:1], s[12:13]
	s_cbranch_execz .LBB1456_80
.LBB1456_58:
	v_mov_b32_e32 v31, 0
	v_lshl_add_u64 v[30:31], v[2:3], 0, v[30:31]
	flat_load_dword v31, v[30:31]
	s_or_b64 exec, exec, s[0:1]
                                        ; implicit-def: $vgpr30
	s_and_saveexec_b64 s[0:1], s[14:15]
	s_cbranch_execnz .LBB1456_81
.LBB1456_59:
	s_or_b64 exec, exec, s[0:1]
                                        ; implicit-def: $vgpr32
	s_and_saveexec_b64 s[0:1], s[16:17]
	s_cbranch_execz .LBB1456_82
.LBB1456_60:
	v_mov_b32_e32 v35, 0
	v_lshl_add_u64 v[32:33], v[2:3], 0, v[34:35]
	flat_load_dword v32, v[32:33]
	s_or_b64 exec, exec, s[0:1]
                                        ; implicit-def: $vgpr33
	s_and_saveexec_b64 s[0:1], s[18:19]
	s_cbranch_execnz .LBB1456_83
.LBB1456_61:
	s_or_b64 exec, exec, s[0:1]
                                        ; implicit-def: $vgpr34
	s_and_saveexec_b64 s[0:1], s[20:21]
	s_cbranch_execz .LBB1456_84
.LBB1456_62:
	v_mov_b32_e32 v39, 0
	v_lshl_add_u64 v[34:35], v[2:3], 0, v[38:39]
	flat_load_dword v34, v[34:35]
	s_or_b64 exec, exec, s[0:1]
                                        ; implicit-def: $vgpr35
	s_and_saveexec_b64 s[0:1], s[22:23]
	s_cbranch_execnz .LBB1456_85
.LBB1456_63:
	s_or_b64 exec, exec, s[0:1]
                                        ; implicit-def: $vgpr36
	s_and_saveexec_b64 s[0:1], s[24:25]
	s_cbranch_execz .LBB1456_86
.LBB1456_64:
	v_mov_b32_e32 v43, 0
	v_lshl_add_u64 v[36:37], v[2:3], 0, v[42:43]
	flat_load_dword v36, v[36:37]
	s_or_b64 exec, exec, s[0:1]
                                        ; implicit-def: $vgpr37
	s_and_saveexec_b64 s[0:1], s[26:27]
	s_cbranch_execnz .LBB1456_87
.LBB1456_65:
	s_or_b64 exec, exec, s[0:1]
                                        ; implicit-def: $vgpr38
	s_and_saveexec_b64 s[0:1], s[28:29]
	s_cbranch_execz .LBB1456_88
.LBB1456_66:
	v_mov_b32_e32 v47, 0
	v_lshl_add_u64 v[38:39], v[2:3], 0, v[46:47]
	flat_load_dword v38, v[38:39]
	s_or_b64 exec, exec, s[0:1]
                                        ; implicit-def: $vgpr39
	s_and_saveexec_b64 s[0:1], s[30:31]
	s_cbranch_execnz .LBB1456_89
.LBB1456_67:
	s_or_b64 exec, exec, s[0:1]
                                        ; implicit-def: $vgpr40
	s_and_saveexec_b64 s[0:1], s[34:35]
	s_cbranch_execz .LBB1456_90
.LBB1456_68:
	v_mov_b32_e32 v51, 0
	v_lshl_add_u64 v[40:41], v[2:3], 0, v[50:51]
	flat_load_dword v40, v[40:41]
	s_or_b64 exec, exec, s[0:1]
                                        ; implicit-def: $vgpr41
	s_and_saveexec_b64 s[0:1], s[36:37]
	s_cbranch_execnz .LBB1456_91
.LBB1456_69:
	s_or_b64 exec, exec, s[0:1]
                                        ; implicit-def: $vgpr42
	s_and_saveexec_b64 s[0:1], s[38:39]
	s_cbranch_execz .LBB1456_92
.LBB1456_70:
	v_mov_b32_e32 v55, 0
	v_lshl_add_u64 v[42:43], v[2:3], 0, v[54:55]
	flat_load_dword v42, v[42:43]
	s_or_b64 exec, exec, s[0:1]
                                        ; implicit-def: $vgpr43
	s_and_saveexec_b64 s[0:1], s[40:41]
	s_cbranch_execnz .LBB1456_93
.LBB1456_71:
	s_or_b64 exec, exec, s[0:1]
                                        ; implicit-def: $vgpr44
	s_and_saveexec_b64 s[0:1], s[42:43]
	s_cbranch_execz .LBB1456_94
.LBB1456_72:
	v_mov_b32_e32 v59, 0
	v_lshl_add_u64 v[44:45], v[2:3], 0, v[58:59]
	flat_load_dword v44, v[44:45]
	s_or_b64 exec, exec, s[0:1]
                                        ; implicit-def: $vgpr45
	s_and_saveexec_b64 s[0:1], s[44:45]
	s_cbranch_execnz .LBB1456_95
.LBB1456_73:
	s_or_b64 exec, exec, s[0:1]
                                        ; implicit-def: $vgpr46
	s_and_saveexec_b64 s[0:1], s[46:47]
	s_cbranch_execz .LBB1456_96
.LBB1456_74:
	v_mov_b32_e32 v63, 0
	v_lshl_add_u64 v[46:47], v[2:3], 0, v[62:63]
	flat_load_dword v46, v[46:47]
	s_or_b64 exec, exec, s[0:1]
                                        ; implicit-def: $vgpr47
	s_and_saveexec_b64 s[0:1], s[48:49]
	s_cbranch_execz .LBB1456_98
	s_branch .LBB1456_97
.LBB1456_75:
	s_mov_b64 s[10:11], 0
                                        ; implicit-def: $sgpr8_sgpr9
                                        ; implicit-def: $vgpr74
                                        ; implicit-def: $vgpr1
                                        ; implicit-def: $vgpr30
                                        ; implicit-def: $vgpr54
                                        ; implicit-def: $vgpr50
                                        ; implicit-def: $vgpr62
                                        ; implicit-def: $vgpr73
                                        ; implicit-def: $vgpr51
                                        ; implicit-def: $vgpr60
                                        ; implicit-def: $vgpr72
                                        ; implicit-def: $vgpr48
                                        ; implicit-def: $vgpr33
                                        ; implicit-def: $vgpr71
                                        ; implicit-def: $vgpr52
                                        ; implicit-def: $vgpr32
                                        ; implicit-def: $vgpr70
                                        ; implicit-def: $vgpr49
                                        ; implicit-def: $vgpr35
                                        ; implicit-def: $vgpr69
                                        ; implicit-def: $vgpr53
                                        ; implicit-def: $vgpr34
                                        ; implicit-def: $vgpr68
                                        ; implicit-def: $vgpr46
                                        ; implicit-def: $vgpr37
                                        ; implicit-def: $vgpr67
                                        ; implicit-def: $vgpr55
                                        ; implicit-def: $vgpr36
                                        ; implicit-def: $vgpr66
                                        ; implicit-def: $vgpr47
                                        ; implicit-def: $vgpr39
                                        ; implicit-def: $vgpr65
                                        ; implicit-def: $vgpr56
                                        ; implicit-def: $vgpr38
                                        ; implicit-def: $vgpr64
                                        ; implicit-def: $vgpr44
                                        ; implicit-def: $vgpr41
                                        ; implicit-def: $vgpr63
                                        ; implicit-def: $vgpr57
                                        ; implicit-def: $vgpr40
                                        ; implicit-def: $vgpr61
                                        ; implicit-def: $vgpr45
                                        ; implicit-def: $vgpr43
                                        ; implicit-def: $vgpr59
                                        ; implicit-def: $vgpr58
                                        ; implicit-def: $vgpr42
                                        ; implicit-def: $sgpr6
                                        ; implicit-def: $sgpr68
	s_and_b64 vcc, exec, s[0:1]
	v_lshlrev_b32_e32 v12, 2, v0
	s_cbranch_vccz .LBB1456_152
	s_branch .LBB1456_147
.LBB1456_76:
	s_or_b64 exec, exec, s[0:1]
                                        ; implicit-def: $vgpr70
	s_and_saveexec_b64 s[0:1], s[6:7]
	s_cbranch_execz .LBB1456_55
.LBB1456_77:
	v_mov_b32_e32 v69, 0
	v_lshl_add_u64 v[70:71], v[2:3], 0, v[68:69]
	flat_load_dword v70, v[70:71] offset:1024
	s_or_b64 exec, exec, s[0:1]
                                        ; implicit-def: $vgpr71
	s_and_saveexec_b64 s[0:1], s[8:9]
	s_cbranch_execnz .LBB1456_56
.LBB1456_78:
	s_or_b64 exec, exec, s[0:1]
                                        ; implicit-def: $vgpr69
	s_and_saveexec_b64 s[0:1], s[10:11]
	s_cbranch_execz .LBB1456_57
.LBB1456_79:
	v_mov_b32_e32 v69, 0
	v_lshl_add_u64 v[72:73], v[2:3], 0, v[68:69]
	flat_load_dword v69, v[72:73] offset:3072
	s_or_b64 exec, exec, s[0:1]
                                        ; implicit-def: $vgpr31
	s_and_saveexec_b64 s[0:1], s[12:13]
	s_cbranch_execnz .LBB1456_58
.LBB1456_80:
	s_or_b64 exec, exec, s[0:1]
                                        ; implicit-def: $vgpr30
	s_and_saveexec_b64 s[0:1], s[14:15]
	s_cbranch_execz .LBB1456_59
.LBB1456_81:
	v_mov_b32_e32 v33, 0
	v_lshl_add_u64 v[32:33], v[2:3], 0, v[32:33]
	flat_load_dword v30, v[32:33]
	s_or_b64 exec, exec, s[0:1]
                                        ; implicit-def: $vgpr32
	s_and_saveexec_b64 s[0:1], s[16:17]
	s_cbranch_execnz .LBB1456_60
.LBB1456_82:
	s_or_b64 exec, exec, s[0:1]
                                        ; implicit-def: $vgpr33
	s_and_saveexec_b64 s[0:1], s[18:19]
	s_cbranch_execz .LBB1456_61
.LBB1456_83:
	v_mov_b32_e32 v37, 0
	v_lshl_add_u64 v[34:35], v[2:3], 0, v[36:37]
	flat_load_dword v33, v[34:35]
	s_or_b64 exec, exec, s[0:1]
                                        ; implicit-def: $vgpr34
	s_and_saveexec_b64 s[0:1], s[20:21]
	s_cbranch_execnz .LBB1456_62
.LBB1456_84:
	s_or_b64 exec, exec, s[0:1]
                                        ; implicit-def: $vgpr35
	s_and_saveexec_b64 s[0:1], s[22:23]
	s_cbranch_execz .LBB1456_63
.LBB1456_85:
	v_mov_b32_e32 v41, 0
	v_lshl_add_u64 v[36:37], v[2:3], 0, v[40:41]
	flat_load_dword v35, v[36:37]
	s_or_b64 exec, exec, s[0:1]
                                        ; implicit-def: $vgpr36
	s_and_saveexec_b64 s[0:1], s[24:25]
	s_cbranch_execnz .LBB1456_64
.LBB1456_86:
	s_or_b64 exec, exec, s[0:1]
                                        ; implicit-def: $vgpr37
	s_and_saveexec_b64 s[0:1], s[26:27]
	s_cbranch_execz .LBB1456_65
.LBB1456_87:
	v_mov_b32_e32 v45, 0
	v_lshl_add_u64 v[38:39], v[2:3], 0, v[44:45]
	flat_load_dword v37, v[38:39]
	s_or_b64 exec, exec, s[0:1]
                                        ; implicit-def: $vgpr38
	s_and_saveexec_b64 s[0:1], s[28:29]
	s_cbranch_execnz .LBB1456_66
.LBB1456_88:
	s_or_b64 exec, exec, s[0:1]
                                        ; implicit-def: $vgpr39
	s_and_saveexec_b64 s[0:1], s[30:31]
	s_cbranch_execz .LBB1456_67
.LBB1456_89:
	v_mov_b32_e32 v49, 0
	v_lshl_add_u64 v[40:41], v[2:3], 0, v[48:49]
	flat_load_dword v39, v[40:41]
	s_or_b64 exec, exec, s[0:1]
                                        ; implicit-def: $vgpr40
	s_and_saveexec_b64 s[0:1], s[34:35]
	s_cbranch_execnz .LBB1456_68
.LBB1456_90:
	s_or_b64 exec, exec, s[0:1]
                                        ; implicit-def: $vgpr41
	s_and_saveexec_b64 s[0:1], s[36:37]
	s_cbranch_execz .LBB1456_69
.LBB1456_91:
	v_mov_b32_e32 v53, 0
	v_lshl_add_u64 v[42:43], v[2:3], 0, v[52:53]
	flat_load_dword v41, v[42:43]
	s_or_b64 exec, exec, s[0:1]
                                        ; implicit-def: $vgpr42
	s_and_saveexec_b64 s[0:1], s[38:39]
	s_cbranch_execnz .LBB1456_70
.LBB1456_92:
	s_or_b64 exec, exec, s[0:1]
                                        ; implicit-def: $vgpr43
	s_and_saveexec_b64 s[0:1], s[40:41]
	s_cbranch_execz .LBB1456_71
.LBB1456_93:
	v_mov_b32_e32 v57, 0
	v_lshl_add_u64 v[44:45], v[2:3], 0, v[56:57]
	flat_load_dword v43, v[44:45]
	s_or_b64 exec, exec, s[0:1]
                                        ; implicit-def: $vgpr44
	s_and_saveexec_b64 s[0:1], s[42:43]
	s_cbranch_execnz .LBB1456_72
.LBB1456_94:
	s_or_b64 exec, exec, s[0:1]
                                        ; implicit-def: $vgpr45
	s_and_saveexec_b64 s[0:1], s[44:45]
	s_cbranch_execz .LBB1456_73
.LBB1456_95:
	v_mov_b32_e32 v61, 0
	v_lshl_add_u64 v[46:47], v[2:3], 0, v[60:61]
	flat_load_dword v45, v[46:47]
	s_or_b64 exec, exec, s[0:1]
                                        ; implicit-def: $vgpr46
	s_and_saveexec_b64 s[0:1], s[46:47]
	s_cbranch_execnz .LBB1456_74
.LBB1456_96:
	s_or_b64 exec, exec, s[0:1]
                                        ; implicit-def: $vgpr47
	s_and_saveexec_b64 s[0:1], s[48:49]
	s_cbranch_execz .LBB1456_98
.LBB1456_97:
	v_mov_b32_e32 v65, 0
	v_lshl_add_u64 v[48:49], v[2:3], 0, v[64:65]
	flat_load_dword v47, v[48:49]
.LBB1456_98:
	s_or_b64 exec, exec, s[0:1]
	v_mul_u32_u24_e32 v77, 23, v0
                                        ; implicit-def: $vgpr48
	s_and_saveexec_b64 s[0:1], s[50:51]
	s_cbranch_execz .LBB1456_100
; %bb.99:
	v_mov_b32_e32 v67, 0
	v_lshl_add_u64 v[48:49], v[2:3], 0, v[66:67]
	flat_load_dword v48, v[48:49]
.LBB1456_100:
	s_or_b64 exec, exec, s[0:1]
	s_waitcnt vmcnt(0) lgkmcnt(0)
	ds_write2st64_b32 v68, v1, v70 offset1:4
	ds_write2st64_b32 v68, v71, v69 offset0:8 offset1:12
	ds_write2st64_b32 v68, v31, v30 offset0:16 offset1:20
	;; [unrolled: 1-line block ×10, first 2 shown]
	ds_write_b32 v68, v48 offset:22528
	v_cmp_gt_u32_e32 vcc, s60, v77
	s_mov_b64 s[0:1], 0
	s_mov_b32 s68, 0
	v_mov_b32_e32 v1, 0
	v_mov_b32_e32 v30, 0
	s_mov_b64 s[10:11], 0
	v_mov_b32_e32 v54, 0
	v_mov_b32_e32 v50, 0
	;; [unrolled: 1-line block ×42, first 2 shown]
	s_waitcnt lgkmcnt(0)
	s_barrier
	s_waitcnt lgkmcnt(0)
                                        ; implicit-def: $sgpr8_sgpr9
                                        ; implicit-def: $vgpr74
	s_and_saveexec_b64 s[6:7], vcc
	s_cbranch_execz .LBB1456_146
; %bb.101:
	ds_read_b32 v30, v76
	v_add_u32_e32 v31, 1, v77
	v_cmp_ne_u32_e32 vcc, v78, v28
	v_mov_b32_e32 v32, s74
	v_mov_b32_e32 v54, 0
	v_cndmask_b32_e64 v1, 0, 1, vcc
	s_waitcnt lgkmcnt(0)
	v_cndmask_b32_e32 v50, v30, v32, vcc
	v_cmp_gt_u32_e32 vcc, s60, v31
	v_mov_b32_e32 v30, 0
	v_mov_b32_e32 v62, 0
	;; [unrolled: 1-line block ×41, first 2 shown]
                                        ; implicit-def: $sgpr12_sgpr13
                                        ; implicit-def: $vgpr74
	s_and_saveexec_b64 s[8:9], vcc
	s_cbranch_execz .LBB1456_145
; %bb.102:
	ds_read2_b32 v[30:31], v76 offset0:1 offset1:2
	v_add_u32_e32 v32, 2, v77
	v_cmp_ne_u32_e32 vcc, v28, v29
	v_mov_b32_e32 v28, s74
	s_mov_b64 s[14:15], 0
	v_cndmask_b32_e64 v51, 0, 1, vcc
	s_waitcnt lgkmcnt(0)
	v_cndmask_b32_e32 v48, v30, v28, vcc
	v_cmp_gt_u32_e32 vcc, s60, v32
	v_mov_b32_e32 v30, 0
	v_mov_b32_e32 v54, 0
	;; [unrolled: 1-line block ×40, first 2 shown]
                                        ; implicit-def: $sgpr12_sgpr13
                                        ; implicit-def: $vgpr74
	s_and_saveexec_b64 s[10:11], vcc
	s_cbranch_execz .LBB1456_144
; %bb.103:
	v_add_u32_e32 v28, 3, v77
	v_cmp_ne_u32_e32 vcc, v29, v26
	v_mov_b32_e32 v29, s74
	v_mov_b32_e32 v30, 0
	v_cndmask_b32_e64 v52, 0, 1, vcc
	v_cndmask_b32_e32 v49, v31, v29, vcc
	v_cmp_gt_u32_e32 vcc, s60, v28
	v_mov_b32_e32 v54, 0
	v_mov_b32_e32 v62, 0
	;; [unrolled: 1-line block ×37, first 2 shown]
                                        ; implicit-def: $sgpr16_sgpr17
                                        ; implicit-def: $vgpr74
	s_and_saveexec_b64 s[12:13], vcc
	s_cbranch_execz .LBB1456_143
; %bb.104:
	ds_read2_b32 v[28:29], v76 offset0:3 offset1:4
	v_add_u32_e32 v30, 4, v77
	v_cmp_ne_u32_e32 vcc, v26, v27
	v_mov_b32_e32 v26, s74
	s_mov_b64 s[18:19], 0
	v_cndmask_b32_e64 v53, 0, 1, vcc
	s_waitcnt lgkmcnt(0)
	v_cndmask_b32_e32 v46, v28, v26, vcc
	v_cmp_gt_u32_e32 vcc, s60, v30
	v_mov_b32_e32 v30, 0
	v_mov_b32_e32 v54, 0
	;; [unrolled: 1-line block ×36, first 2 shown]
                                        ; implicit-def: $sgpr16_sgpr17
                                        ; implicit-def: $vgpr74
	s_and_saveexec_b64 s[14:15], vcc
	s_cbranch_execz .LBB1456_142
; %bb.105:
	v_add_u32_e32 v26, 5, v77
	v_cmp_ne_u32_e32 vcc, v27, v24
	v_mov_b32_e32 v27, s74
	v_mov_b32_e32 v30, 0
	v_cndmask_b32_e64 v55, 0, 1, vcc
	v_cndmask_b32_e32 v47, v29, v27, vcc
	v_cmp_gt_u32_e32 vcc, s60, v26
	v_mov_b32_e32 v54, 0
	v_mov_b32_e32 v62, 0
	;; [unrolled: 1-line block ×33, first 2 shown]
                                        ; implicit-def: $sgpr20_sgpr21
                                        ; implicit-def: $vgpr74
	s_and_saveexec_b64 s[16:17], vcc
	s_cbranch_execz .LBB1456_141
; %bb.106:
	ds_read2_b32 v[26:27], v76 offset0:5 offset1:6
	v_add_u32_e32 v28, 6, v77
	v_cmp_ne_u32_e32 vcc, v24, v25
	v_mov_b32_e32 v24, s74
	s_mov_b64 s[22:23], 0
	v_cndmask_b32_e64 v56, 0, 1, vcc
	s_waitcnt lgkmcnt(0)
	v_cndmask_b32_e32 v44, v26, v24, vcc
	v_cmp_gt_u32_e32 vcc, s60, v28
	v_mov_b32_e32 v30, 0
	v_mov_b32_e32 v54, 0
	;; [unrolled: 1-line block ×32, first 2 shown]
                                        ; implicit-def: $sgpr20_sgpr21
                                        ; implicit-def: $vgpr74
	s_and_saveexec_b64 s[18:19], vcc
	s_cbranch_execz .LBB1456_140
; %bb.107:
	v_add_u32_e32 v24, 7, v77
	v_cmp_ne_u32_e32 vcc, v25, v22
	v_mov_b32_e32 v25, s74
	v_mov_b32_e32 v30, 0
	v_cndmask_b32_e64 v57, 0, 1, vcc
	v_cndmask_b32_e32 v45, v27, v25, vcc
	v_cmp_gt_u32_e32 vcc, s60, v24
	v_mov_b32_e32 v54, 0
	v_mov_b32_e32 v62, 0
	;; [unrolled: 1-line block ×29, first 2 shown]
                                        ; implicit-def: $sgpr24_sgpr25
                                        ; implicit-def: $vgpr74
	s_and_saveexec_b64 s[20:21], vcc
	s_cbranch_execz .LBB1456_139
; %bb.108:
	ds_read2_b32 v[24:25], v76 offset0:7 offset1:8
	v_add_u32_e32 v26, 8, v77
	v_cmp_ne_u32_e32 vcc, v22, v23
	v_mov_b32_e32 v22, s74
	s_mov_b64 s[26:27], 0
	v_cndmask_b32_e64 v58, 0, 1, vcc
	s_waitcnt lgkmcnt(0)
	v_cndmask_b32_e32 v42, v24, v22, vcc
	v_cmp_gt_u32_e32 vcc, s60, v26
	v_mov_b32_e32 v30, 0
	v_mov_b32_e32 v54, 0
	;; [unrolled: 1-line block ×28, first 2 shown]
                                        ; implicit-def: $sgpr24_sgpr25
                                        ; implicit-def: $vgpr74
	s_and_saveexec_b64 s[22:23], vcc
	s_cbranch_execz .LBB1456_138
; %bb.109:
	v_add_u32_e32 v22, 9, v77
	v_cmp_ne_u32_e32 vcc, v23, v20
	v_mov_b32_e32 v23, s74
	v_mov_b32_e32 v30, 0
	v_cndmask_b32_e64 v59, 0, 1, vcc
	v_cndmask_b32_e32 v43, v25, v23, vcc
	v_cmp_gt_u32_e32 vcc, s60, v22
	v_mov_b32_e32 v54, 0
	v_mov_b32_e32 v62, 0
	;; [unrolled: 1-line block ×25, first 2 shown]
                                        ; implicit-def: $sgpr28_sgpr29
                                        ; implicit-def: $vgpr74
	s_and_saveexec_b64 s[24:25], vcc
	s_cbranch_execz .LBB1456_137
; %bb.110:
	ds_read2_b32 v[22:23], v76 offset0:9 offset1:10
	v_add_u32_e32 v24, 10, v77
	v_cmp_ne_u32_e32 vcc, v20, v21
	v_mov_b32_e32 v20, s74
	s_mov_b64 s[30:31], 0
	v_cndmask_b32_e64 v61, 0, 1, vcc
	s_waitcnt lgkmcnt(0)
	v_cndmask_b32_e32 v40, v22, v20, vcc
	v_cmp_gt_u32_e32 vcc, s60, v24
	v_mov_b32_e32 v30, 0
	v_mov_b32_e32 v54, 0
	;; [unrolled: 1-line block ×24, first 2 shown]
                                        ; implicit-def: $sgpr28_sgpr29
                                        ; implicit-def: $vgpr74
	s_and_saveexec_b64 s[26:27], vcc
	s_cbranch_execz .LBB1456_136
; %bb.111:
	v_add_u32_e32 v20, 11, v77
	v_cmp_ne_u32_e32 vcc, v21, v18
	v_mov_b32_e32 v21, s74
	v_mov_b32_e32 v30, 0
	v_cndmask_b32_e64 v63, 0, 1, vcc
	v_cndmask_b32_e32 v41, v23, v21, vcc
	v_cmp_gt_u32_e32 vcc, s60, v20
	v_mov_b32_e32 v54, 0
	v_mov_b32_e32 v62, 0
	;; [unrolled: 1-line block ×21, first 2 shown]
                                        ; implicit-def: $sgpr34_sgpr35
                                        ; implicit-def: $vgpr74
	s_and_saveexec_b64 s[28:29], vcc
	s_cbranch_execz .LBB1456_135
; %bb.112:
	ds_read2_b32 v[20:21], v76 offset0:11 offset1:12
	v_add_u32_e32 v22, 12, v77
	v_cmp_ne_u32_e32 vcc, v18, v19
	v_mov_b32_e32 v18, s74
	s_mov_b64 s[36:37], 0
	v_cndmask_b32_e64 v64, 0, 1, vcc
	s_waitcnt lgkmcnt(0)
	v_cndmask_b32_e32 v38, v20, v18, vcc
	v_cmp_gt_u32_e32 vcc, s60, v22
	v_mov_b32_e32 v30, 0
	v_mov_b32_e32 v54, 0
	;; [unrolled: 1-line block ×20, first 2 shown]
                                        ; implicit-def: $sgpr34_sgpr35
                                        ; implicit-def: $vgpr74
	s_and_saveexec_b64 s[30:31], vcc
	s_cbranch_execz .LBB1456_134
; %bb.113:
	v_add_u32_e32 v18, 13, v77
	v_cmp_ne_u32_e32 vcc, v19, v16
	v_mov_b32_e32 v19, s74
	v_mov_b32_e32 v30, 0
	v_cndmask_b32_e64 v65, 0, 1, vcc
	v_cndmask_b32_e32 v39, v21, v19, vcc
	v_cmp_gt_u32_e32 vcc, s60, v18
	v_mov_b32_e32 v54, 0
	v_mov_b32_e32 v62, 0
	;; [unrolled: 1-line block ×17, first 2 shown]
                                        ; implicit-def: $sgpr38_sgpr39
                                        ; implicit-def: $vgpr74
	s_and_saveexec_b64 s[34:35], vcc
	s_cbranch_execz .LBB1456_133
; %bb.114:
	ds_read2_b32 v[18:19], v76 offset0:13 offset1:14
	v_add_u32_e32 v20, 14, v77
	v_cmp_ne_u32_e32 vcc, v16, v17
	v_mov_b32_e32 v16, s74
	s_mov_b64 s[40:41], 0
	v_cndmask_b32_e64 v66, 0, 1, vcc
	s_waitcnt lgkmcnt(0)
	v_cndmask_b32_e32 v36, v18, v16, vcc
	v_cmp_gt_u32_e32 vcc, s60, v20
	v_mov_b32_e32 v30, 0
	v_mov_b32_e32 v54, 0
	;; [unrolled: 1-line block ×16, first 2 shown]
                                        ; implicit-def: $sgpr38_sgpr39
                                        ; implicit-def: $vgpr74
	s_and_saveexec_b64 s[36:37], vcc
	s_cbranch_execz .LBB1456_132
; %bb.115:
	v_add_u32_e32 v16, 15, v77
	v_cmp_ne_u32_e32 vcc, v17, v14
	v_mov_b32_e32 v17, s74
	v_mov_b32_e32 v30, 0
	v_cndmask_b32_e64 v67, 0, 1, vcc
	v_cndmask_b32_e32 v37, v19, v17, vcc
	v_cmp_gt_u32_e32 vcc, s60, v16
	v_mov_b32_e32 v54, 0
	v_mov_b32_e32 v62, 0
	;; [unrolled: 1-line block ×13, first 2 shown]
                                        ; implicit-def: $sgpr42_sgpr43
                                        ; implicit-def: $vgpr74
	s_and_saveexec_b64 s[38:39], vcc
	s_cbranch_execz .LBB1456_131
; %bb.116:
	ds_read2_b32 v[16:17], v76 offset0:15 offset1:16
	v_add_u32_e32 v18, 16, v77
	v_cmp_ne_u32_e32 vcc, v14, v15
	v_mov_b32_e32 v14, s74
	s_mov_b64 s[44:45], 0
	v_cndmask_b32_e64 v68, 0, 1, vcc
	s_waitcnt lgkmcnt(0)
	v_cndmask_b32_e32 v34, v16, v14, vcc
	v_cmp_gt_u32_e32 vcc, s60, v18
	v_mov_b32_e32 v30, 0
	v_mov_b32_e32 v54, 0
	;; [unrolled: 1-line block ×12, first 2 shown]
                                        ; implicit-def: $sgpr42_sgpr43
                                        ; implicit-def: $vgpr74
	s_and_saveexec_b64 s[40:41], vcc
	s_cbranch_execz .LBB1456_130
; %bb.117:
	v_add_u32_e32 v14, 17, v77
	v_cmp_ne_u32_e32 vcc, v15, v12
	v_mov_b32_e32 v15, s74
	v_mov_b32_e32 v30, 0
	v_cndmask_b32_e64 v69, 0, 1, vcc
	v_cndmask_b32_e32 v35, v17, v15, vcc
	v_cmp_gt_u32_e32 vcc, s60, v14
	v_mov_b32_e32 v54, 0
	v_mov_b32_e32 v62, 0
	;; [unrolled: 1-line block ×9, first 2 shown]
                                        ; implicit-def: $sgpr46_sgpr47
                                        ; implicit-def: $vgpr74
	s_and_saveexec_b64 s[42:43], vcc
	s_cbranch_execz .LBB1456_129
; %bb.118:
	ds_read2_b32 v[14:15], v76 offset0:17 offset1:18
	v_add_u32_e32 v16, 18, v77
	v_cmp_ne_u32_e32 vcc, v12, v13
	v_mov_b32_e32 v12, s74
	s_mov_b64 s[48:49], 0
	v_cndmask_b32_e64 v70, 0, 1, vcc
	s_waitcnt lgkmcnt(0)
	v_cndmask_b32_e32 v32, v14, v12, vcc
	v_cmp_gt_u32_e32 vcc, s60, v16
	v_mov_b32_e32 v30, 0
	v_mov_b32_e32 v54, 0
	v_mov_b32_e32 v62, 0
	v_mov_b32_e32 v73, 0
	v_mov_b32_e32 v60, 0
	v_mov_b32_e32 v72, 0
	v_mov_b32_e32 v33, 0
	v_mov_b32_e32 v71, 0
                                        ; implicit-def: $sgpr46_sgpr47
                                        ; implicit-def: $vgpr74
	s_and_saveexec_b64 s[44:45], vcc
	s_cbranch_execz .LBB1456_128
; %bb.119:
	v_add_u32_e32 v12, 19, v77
	v_cmp_ne_u32_e32 vcc, v13, v8
	v_mov_b32_e32 v13, s74
	v_mov_b32_e32 v30, 0
	v_cndmask_b32_e64 v71, 0, 1, vcc
	v_cndmask_b32_e32 v33, v15, v13, vcc
	v_cmp_gt_u32_e32 vcc, s60, v12
	v_mov_b32_e32 v54, 0
	v_mov_b32_e32 v62, 0
	;; [unrolled: 1-line block ×5, first 2 shown]
                                        ; implicit-def: $sgpr50_sgpr51
                                        ; implicit-def: $vgpr74
	s_and_saveexec_b64 s[46:47], vcc
	s_cbranch_execz .LBB1456_127
; %bb.120:
	ds_read2_b32 v[12:13], v76 offset0:19 offset1:20
	v_add_u32_e32 v14, 20, v77
	v_cmp_ne_u32_e32 vcc, v8, v9
	v_mov_b32_e32 v8, s74
	s_mov_b64 s[56:57], 0
	v_cndmask_b32_e64 v72, 0, 1, vcc
	s_waitcnt lgkmcnt(0)
	v_cndmask_b32_e32 v60, v12, v8, vcc
	v_cmp_gt_u32_e32 vcc, s60, v14
	v_mov_b32_e32 v30, 0
	v_mov_b32_e32 v54, 0
	;; [unrolled: 1-line block ×4, first 2 shown]
                                        ; implicit-def: $sgpr50_sgpr51
                                        ; implicit-def: $vgpr74
	s_and_saveexec_b64 s[48:49], vcc
	s_cbranch_execz .LBB1456_126
; %bb.121:
	v_add_u32_e32 v8, 21, v77
	v_cmp_ne_u32_e32 vcc, v9, v6
	v_mov_b32_e32 v9, s74
	v_mov_b32_e32 v30, 0
	v_cndmask_b32_e64 v73, 0, 1, vcc
	v_cndmask_b32_e32 v62, v13, v9, vcc
	v_cmp_gt_u32_e32 vcc, s60, v8
	v_mov_b32_e32 v54, 0
                                        ; implicit-def: $sgpr58_sgpr59
                                        ; implicit-def: $vgpr74
	s_and_saveexec_b64 s[50:51], vcc
	s_cbranch_execz .LBB1456_125
; %bb.122:
	ds_read2_b32 v[8:9], v76 offset0:21 offset1:22
	v_add_u32_e32 v12, 22, v77
	v_cmp_ne_u32_e32 vcc, v6, v7
	v_mov_b32_e32 v6, s74
                                        ; implicit-def: $sgpr58_sgpr59
                                        ; implicit-def: $vgpr74
	s_nop 0
	v_cndmask_b32_e64 v54, 0, 1, vcc
	s_waitcnt lgkmcnt(0)
	v_cndmask_b32_e32 v30, v8, v6, vcc
	v_cmp_gt_u32_e32 vcc, s60, v12
	s_and_saveexec_b64 s[60:61], vcc
	s_xor_b64 s[60:61], exec, s[60:61]
; %bb.123:
	v_mov_b32_e32 v6, s74
	v_cmp_ne_u32_e32 vcc, v7, v75
	s_mov_b64 s[56:57], exec
	s_and_b64 s[58:59], vcc, exec
	v_cndmask_b32_e32 v74, v9, v6, vcc
; %bb.124:
	s_or_b64 exec, exec, s[60:61]
	s_and_b64 s[58:59], s[58:59], exec
	s_and_b64 s[56:57], s[56:57], exec
.LBB1456_125:
	s_or_b64 exec, exec, s[50:51]
	s_and_b64 s[50:51], s[58:59], exec
	s_and_b64 s[56:57], s[56:57], exec
.LBB1456_126:
	s_or_b64 exec, exec, s[48:49]
	s_and_b64 s[50:51], s[50:51], exec
	s_and_b64 s[48:49], s[56:57], exec
.LBB1456_127:
	s_or_b64 exec, exec, s[46:47]
	s_and_b64 s[46:47], s[50:51], exec
	s_and_b64 s[48:49], s[48:49], exec
.LBB1456_128:
	s_or_b64 exec, exec, s[44:45]
	s_and_b64 s[46:47], s[46:47], exec
	s_and_b64 s[44:45], s[48:49], exec
.LBB1456_129:
	s_or_b64 exec, exec, s[42:43]
	s_and_b64 s[42:43], s[46:47], exec
	s_and_b64 s[44:45], s[44:45], exec
.LBB1456_130:
	s_or_b64 exec, exec, s[40:41]
	s_and_b64 s[42:43], s[42:43], exec
	s_and_b64 s[40:41], s[44:45], exec
.LBB1456_131:
	s_or_b64 exec, exec, s[38:39]
	s_and_b64 s[38:39], s[42:43], exec
	s_and_b64 s[40:41], s[40:41], exec
.LBB1456_132:
	s_or_b64 exec, exec, s[36:37]
	s_and_b64 s[38:39], s[38:39], exec
	s_and_b64 s[36:37], s[40:41], exec
.LBB1456_133:
	s_or_b64 exec, exec, s[34:35]
	s_and_b64 s[34:35], s[38:39], exec
	s_and_b64 s[36:37], s[36:37], exec
.LBB1456_134:
	s_or_b64 exec, exec, s[30:31]
	s_and_b64 s[34:35], s[34:35], exec
	s_and_b64 s[30:31], s[36:37], exec
.LBB1456_135:
	s_or_b64 exec, exec, s[28:29]
	s_and_b64 s[28:29], s[34:35], exec
	s_and_b64 s[30:31], s[30:31], exec
.LBB1456_136:
	s_or_b64 exec, exec, s[26:27]
	s_and_b64 s[28:29], s[28:29], exec
	s_and_b64 s[26:27], s[30:31], exec
.LBB1456_137:
	s_or_b64 exec, exec, s[24:25]
	s_and_b64 s[24:25], s[28:29], exec
	s_and_b64 s[26:27], s[26:27], exec
.LBB1456_138:
	s_or_b64 exec, exec, s[22:23]
	s_and_b64 s[24:25], s[24:25], exec
	s_and_b64 s[22:23], s[26:27], exec
.LBB1456_139:
	s_or_b64 exec, exec, s[20:21]
	s_and_b64 s[20:21], s[24:25], exec
	s_and_b64 s[22:23], s[22:23], exec
.LBB1456_140:
	s_or_b64 exec, exec, s[18:19]
	s_and_b64 s[20:21], s[20:21], exec
	s_and_b64 s[18:19], s[22:23], exec
.LBB1456_141:
	s_or_b64 exec, exec, s[16:17]
	s_and_b64 s[16:17], s[20:21], exec
	s_and_b64 s[18:19], s[18:19], exec
.LBB1456_142:
	s_or_b64 exec, exec, s[14:15]
	s_and_b64 s[16:17], s[16:17], exec
	s_and_b64 s[14:15], s[18:19], exec
.LBB1456_143:
	s_or_b64 exec, exec, s[12:13]
	s_and_b64 s[12:13], s[16:17], exec
	s_and_b64 s[14:15], s[14:15], exec
.LBB1456_144:
	s_or_b64 exec, exec, s[10:11]
	s_and_b64 s[12:13], s[12:13], exec
	s_and_b64 s[10:11], s[14:15], exec
.LBB1456_145:
	s_or_b64 exec, exec, s[8:9]
	s_and_b64 s[8:9], s[12:13], exec
	s_and_b64 s[10:11], s[10:11], exec
.LBB1456_146:
	s_or_b64 exec, exec, s[6:7]
	s_mov_b32 s6, 0
	s_and_b64 vcc, exec, s[0:1]
	v_lshlrev_b32_e32 v12, 2, v0
	s_cbranch_vccz .LBB1456_152
.LBB1456_147:
	v_mov_b32_e32 v13, 0
	v_lshl_add_u64 v[6:7], v[4:5], 0, v[12:13]
	v_add_co_u32_e32 v8, vcc, 0x1000, v6
	s_movk_i32 s0, 0x58
	s_nop 0
	v_addc_co_u32_e32 v9, vcc, 0, v7, vcc
	flat_load_dword v1, v[6:7]
	flat_load_dword v16, v[6:7] offset:1024
	flat_load_dword v17, v[6:7] offset:2048
	;; [unrolled: 1-line block ×3, first 2 shown]
	flat_load_dword v19, v[8:9]
	flat_load_dword v20, v[8:9] offset:1024
	flat_load_dword v21, v[8:9] offset:2048
	;; [unrolled: 1-line block ×3, first 2 shown]
	v_add_co_u32_e32 v8, vcc, 0x2000, v6
	s_movk_i32 s10, 0x1000
	s_nop 0
	v_addc_co_u32_e32 v9, vcc, 0, v7, vcc
	v_add_co_u32_e32 v14, vcc, 0x3000, v6
	s_movk_i32 s9, 0x2000
	s_nop 0
	v_addc_co_u32_e32 v15, vcc, 0, v7, vcc
	flat_load_dword v23, v[8:9]
	flat_load_dword v24, v[8:9] offset:1024
	flat_load_dword v25, v[8:9] offset:2048
	;; [unrolled: 1-line block ×3, first 2 shown]
	flat_load_dword v27, v[14:15]
	flat_load_dword v28, v[14:15] offset:1024
	flat_load_dword v29, v[14:15] offset:2048
	;; [unrolled: 1-line block ×3, first 2 shown]
	v_add_co_u32_e32 v8, vcc, 0x4000, v6
	s_movk_i32 s8, 0x3000
	s_nop 0
	v_addc_co_u32_e32 v9, vcc, 0, v7, vcc
	v_add_co_u32_e32 v6, vcc, 0x5000, v6
	s_movk_i32 s7, 0x4000
	s_nop 0
	v_addc_co_u32_e32 v7, vcc, 0, v7, vcc
	flat_load_dword v14, v[8:9]
	flat_load_dword v15, v[8:9] offset:1024
	flat_load_dword v31, v[8:9] offset:2048
	;; [unrolled: 1-line block ×3, first 2 shown]
	flat_load_dword v33, v[6:7]
	flat_load_dword v34, v[6:7] offset:1024
	flat_load_dword v35, v[6:7] offset:2048
	v_add_co_u32_e32 v4, vcc, 0x5000, v4
	s_movk_i32 s6, 0x5000
	s_nop 0
	v_addc_co_u32_e32 v5, vcc, 0, v5, vcc
	s_waitcnt vmcnt(0) lgkmcnt(0)
	ds_write2st64_b32 v12, v1, v16 offset1:4
	ds_write2st64_b32 v12, v17, v18 offset0:8 offset1:12
	ds_write2st64_b32 v12, v19, v20 offset0:16 offset1:20
	;; [unrolled: 1-line block ×10, first 2 shown]
	ds_write_b32 v12, v35 offset:22528
	s_waitcnt lgkmcnt(0)
	s_barrier
	flat_load_dword v74, v[4:5] offset:3072
	v_mad_u32_u24 v1, v0, s0, v12
	s_movk_i32 s0, 0xffa8
	v_mad_i32_i24 v30, v0, s0, v1
	s_movk_i32 s0, 0xff
	v_cmp_ne_u32_e32 vcc, s0, v0
	ds_read_b32 v50, v1
	ds_read2_b32 v[28:29], v1 offset0:1 offset1:2
	ds_read2_b32 v[26:27], v1 offset0:3 offset1:4
	;; [unrolled: 1-line block ×11, first 2 shown]
	s_waitcnt lgkmcnt(0)
	ds_write_b32 v30, v50 offset:24576
	s_waitcnt lgkmcnt(0)
	s_barrier
	s_and_saveexec_b64 s[0:1], vcc
	s_cbranch_execz .LBB1456_149
; %bb.148:
	s_waitcnt vmcnt(0)
	ds_read_b32 v74, v12 offset:24580
.LBB1456_149:
	s_or_b64 exec, exec, s[0:1]
	v_lshl_add_u64 v[2:3], v[2:3], 0, v[12:13]
	v_add_co_u32_e32 v30, vcc, s10, v2
	s_waitcnt lgkmcnt(0)
	s_nop 0
	v_addc_co_u32_e32 v31, vcc, 0, v3, vcc
	s_barrier
	flat_load_dword v13, v[2:3]
	flat_load_dword v34, v[2:3] offset:1024
	flat_load_dword v35, v[2:3] offset:2048
	;; [unrolled: 1-line block ×3, first 2 shown]
	flat_load_dword v37, v[30:31]
	flat_load_dword v38, v[30:31] offset:1024
	flat_load_dword v39, v[30:31] offset:2048
	;; [unrolled: 1-line block ×3, first 2 shown]
	v_add_co_u32_e32 v30, vcc, s9, v2
	v_cmp_eq_u32_e64 s[0:1], v50, v28
	s_nop 0
	v_addc_co_u32_e32 v31, vcc, 0, v3, vcc
	v_add_co_u32_e32 v32, vcc, s8, v2
	s_nop 1
	v_addc_co_u32_e32 v33, vcc, 0, v3, vcc
	flat_load_dword v41, v[30:31]
	flat_load_dword v42, v[30:31] offset:1024
	flat_load_dword v43, v[30:31] offset:2048
	;; [unrolled: 1-line block ×3, first 2 shown]
	flat_load_dword v45, v[32:33]
	flat_load_dword v46, v[32:33] offset:1024
	flat_load_dword v47, v[32:33] offset:2048
	;; [unrolled: 1-line block ×3, first 2 shown]
	v_add_co_u32_e32 v30, vcc, s7, v2
	s_nop 1
	v_addc_co_u32_e32 v31, vcc, 0, v3, vcc
	v_add_co_u32_e32 v2, vcc, s6, v2
	s_nop 1
	v_addc_co_u32_e32 v3, vcc, 0, v3, vcc
	flat_load_dword v32, v[30:31]
	flat_load_dword v33, v[30:31] offset:1024
	flat_load_dword v49, v[30:31] offset:2048
	;; [unrolled: 1-line block ×3, first 2 shown]
	flat_load_dword v52, v[2:3]
	flat_load_dword v53, v[2:3] offset:1024
	flat_load_dword v54, v[2:3] offset:2048
	v_cmp_ne_u32_e32 vcc, v50, v28
	v_mov_b32_e32 v50, s74
	s_waitcnt vmcnt(0) lgkmcnt(0)
	ds_write2st64_b32 v12, v13, v34 offset1:4
	ds_write2st64_b32 v12, v35, v36 offset0:8 offset1:12
	ds_write2st64_b32 v12, v37, v38 offset0:16 offset1:20
	;; [unrolled: 1-line block ×10, first 2 shown]
	ds_write_b32 v12, v54 offset:22528
	s_waitcnt lgkmcnt(0)
	s_barrier
	ds_read2_b32 v[48:49], v1 offset0:1 offset1:2
	ds_read2_b32 v[46:47], v1 offset0:3 offset1:4
	;; [unrolled: 1-line block ×11, first 2 shown]
	s_and_saveexec_b64 s[6:7], s[0:1]
	s_cbranch_execz .LBB1456_151
; %bb.150:
	ds_read_b32 v50, v1
.LBB1456_151:
	s_or_b64 exec, exec, s[6:7]
	v_cmp_ne_u32_e64 s[8:9], v27, v24
	v_cmp_ne_u32_e64 s[42:43], v7, v4
	v_cmp_ne_u32_e64 s[44:45], v4, v5
	v_mov_b32_e32 v4, s74
	v_cndmask_b32_e64 v1, 0, 1, vcc
	v_cmp_ne_u32_e32 vcc, v28, v29
	v_cmp_ne_u32_e64 s[0:1], v29, v26
	v_cmp_ne_u32_e64 s[6:7], v26, v27
	v_cndmask_b32_e64 v55, 0, 1, s[8:9]
	v_cmp_ne_u32_e64 s[10:11], v24, v25
	v_cmp_ne_u32_e64 s[12:13], v25, v22
	;; [unrolled: 1-line block ×15, first 2 shown]
	s_waitcnt lgkmcnt(9)
	v_cndmask_b32_e64 v47, v47, v4, s[8:9]
	v_cmp_ne_u32_e64 s[8:9], v5, v74
	v_cndmask_b32_e64 v51, 0, 1, vcc
	v_cndmask_b32_e64 v52, 0, 1, s[0:1]
	v_cndmask_b32_e64 v53, 0, 1, s[6:7]
	;; [unrolled: 1-line block ×19, first 2 shown]
	v_cndmask_b32_e32 v48, v48, v4, vcc
	v_cndmask_b32_e64 v49, v49, v4, s[0:1]
	v_cndmask_b32_e64 v46, v46, v4, s[6:7]
	s_waitcnt lgkmcnt(8)
	v_cndmask_b32_e64 v44, v44, v4, s[10:11]
	v_cndmask_b32_e64 v45, v45, v4, s[12:13]
	s_waitcnt lgkmcnt(7)
	;; [unrolled: 3-line block ×9, first 2 shown]
	v_cndmask_b32_e64 v30, v2, v4, s[44:45]
	v_cndmask_b32_e64 v74, v3, v4, s[8:9]
	s_mov_b64 s[10:11], -1
                                        ; implicit-def: $sgpr6
                                        ; implicit-def: $sgpr68
.LBB1456_152:
	v_mov_b32_e32 v13, s68
	v_mov_b32_e32 v18, s6
	s_and_saveexec_b64 s[0:1], s[10:11]
; %bb.153:
	v_cndmask_b32_e64 v13, 0, 1, s[8:9]
	v_mov_b32_e32 v18, v74
; %bb.154:
	s_or_b64 exec, exec, s[0:1]
	v_or_b32_e32 v2, v13, v54
	s_cmp_lg_u32 s67, 0
	v_add_f32_e32 v21, v48, v50
	v_or_b32_e32 v20, v2, v73
	v_lshrrev_b32_e32 v19, 5, v0
	v_cmp_gt_u32_e32 vcc, 64, v0
	s_barrier
	s_cbranch_scc0 .LBB1456_213
; %bb.155:
	v_mov_b32_e32 v6, 0
	v_cmp_eq_u16_sdwa s[6:7], v51, v6 src0_sel:BYTE_0 src1_sel:DWORD
	v_cmp_eq_u16_sdwa s[8:9], v52, v6 src0_sel:BYTE_0 src1_sel:DWORD
	v_cmp_eq_u16_sdwa s[10:11], v53, v6 src0_sel:BYTE_0 src1_sel:DWORD
	v_cndmask_b32_e64 v2, v48, v21, s[6:7]
	v_add_f32_e32 v2, v49, v2
	v_cndmask_b32_e64 v2, v49, v2, s[8:9]
	v_add_f32_e32 v2, v46, v2
	v_cndmask_b32_e64 v2, v46, v2, s[10:11]
	v_add_f32_e32 v2, v47, v2
	v_cmp_eq_u16_sdwa s[12:13], v55, v6 src0_sel:BYTE_0 src1_sel:DWORD
	v_cmp_eq_u16_sdwa s[14:15], v56, v6 src0_sel:BYTE_0 src1_sel:DWORD
	v_cmp_eq_u16_sdwa s[16:17], v57, v6 src0_sel:BYTE_0 src1_sel:DWORD
	v_cndmask_b32_e64 v2, v47, v2, s[12:13]
	v_add_f32_e32 v2, v44, v2
	v_cndmask_b32_e64 v2, v44, v2, s[14:15]
	v_add_f32_e32 v2, v45, v2
	v_cndmask_b32_e64 v2, v45, v2, s[16:17]
	v_add_f32_e32 v2, v42, v2
	;; [unrolled: 9-line block ×7, first 2 shown]
	v_cmp_eq_u16_sdwa s[0:1], v13, v6 src0_sel:BYTE_0 src1_sel:DWORD
	v_and_b32_e32 v3, 0xff, v1
	s_nop 0
	v_cndmask_b32_e64 v22, v18, v2, s[0:1]
	v_or_b32_e32 v2, v20, v72
	v_or_b32_e32 v2, v2, v71
	;; [unrolled: 1-line block ×19, first 2 shown]
	v_and_b32_e32 v2, 1, v2
	v_cmp_eq_u32_e64 s[0:1], 1, v2
	v_add_lshl_u32 v2, v19, v0, 3
	s_nop 0
	v_cndmask_b32_e64 v23, v3, 1, s[0:1]
	ds_write_b32 v2, v22
	ds_write_b8 v2, v23 offset:4
	s_waitcnt lgkmcnt(0)
	s_barrier
	s_and_saveexec_b64 s[50:51], vcc
	s_cbranch_execz .LBB1456_169
; %bb.156:
	v_lshrrev_b32_e32 v2, 3, v0
	v_add_lshl_u32 v4, v2, v12, 3
	ds_read2_b32 v[8:9], v4 offset0:2 offset1:4
	ds_read_b64 v[2:3], v4
	ds_read_u8 v7, v4 offset:12
	ds_read_u8 v14, v4 offset:20
	ds_read_b32 v16, v4 offset:24
	ds_read_u8 v17, v4 offset:28
	s_waitcnt lgkmcnt(4)
	v_add_f32_e32 v5, v2, v8
	s_waitcnt lgkmcnt(3)
	v_cmp_eq_u16_sdwa s[0:1], v7, v6 src0_sel:BYTE_0 src1_sel:DWORD
	v_and_b32_e32 v15, 0xffffff00, v3
	s_nop 0
	v_cndmask_b32_e64 v8, v8, v5, s[0:1]
	v_add_f32_e32 v8, v9, v8
	s_waitcnt lgkmcnt(2)
	v_cmp_eq_u16_sdwa s[0:1], v14, v6 src0_sel:BYTE_0 src1_sel:DWORD
	v_and_b32_e32 v5, 1, v3
	s_nop 0
	v_cndmask_b32_e64 v6, v9, v8, s[0:1]
	s_waitcnt lgkmcnt(0)
	v_or_b32_e32 v8, v17, v14
	v_or_b32_e32 v7, v8, v7
	v_add_f32_e32 v6, v16, v6
	v_cmp_eq_u16_e64 s[0:1], 0, v17
	v_and_b32_e32 v7, 1, v7
	s_nop 0
	v_cndmask_b32_e64 v6, v16, v6, s[0:1]
	v_cmp_eq_u32_e64 s[0:1], 1, v7
	v_mbcnt_lo_u32_b32 v7, -1, 0
	v_mbcnt_hi_u32_b32 v7, -1, v7
	v_cndmask_b32_e64 v9, v5, 1, s[0:1]
	v_or_b32_e32 v8, v9, v15
	v_and_b32_e32 v14, 15, v7
	v_mov_b32_dpp v17, v6 row_shr:1 row_mask:0xf bank_mask:0xf
	v_mov_b32_dpp v16, v8 row_shr:1 row_mask:0xf bank_mask:0xf
	v_cmp_ne_u32_e64 s[0:1], 0, v14
	s_and_saveexec_b64 s[56:57], s[0:1]
; %bb.157:
	v_add_f32_e32 v8, v6, v17
	v_cmp_eq_u32_e64 s[0:1], 0, v9
	s_nop 1
	v_cndmask_b32_e64 v6, v6, v8, s[0:1]
	v_and_b32_e32 v8, 1, v9
	v_and_b32_e32 v9, 1, v16
	v_cmp_eq_u32_e64 s[0:1], 1, v8
	s_nop 1
	v_cndmask_b32_e64 v9, v9, 1, s[0:1]
	v_or_b32_e32 v8, v9, v15
; %bb.158:
	s_or_b64 exec, exec, s[56:57]
	v_mov_b32_dpp v16, v6 row_shr:2 row_mask:0xf bank_mask:0xf
	v_mov_b32_dpp v15, v8 row_shr:2 row_mask:0xf bank_mask:0xf
	v_cmp_lt_u32_e64 s[0:1], 1, v14
	s_and_saveexec_b64 s[56:57], s[0:1]
; %bb.159:
	v_add_f32_e32 v16, v6, v16
	v_cmp_eq_u32_e64 s[0:1], 0, v9
	v_and_b32_e32 v9, 1, v9
	v_and_b32_e32 v15, 1, v15
	v_cndmask_b32_e64 v6, v6, v16, s[0:1]
	v_cmp_eq_u32_e64 s[0:1], 1, v9
	s_nop 1
	v_cndmask_b32_e64 v9, v15, 1, s[0:1]
	s_movk_i32 s0, 0xff00
	v_and_or_b32 v8, v8, s0, v9
; %bb.160:
	s_or_b64 exec, exec, s[56:57]
	v_mov_b32_dpp v16, v6 row_shr:4 row_mask:0xf bank_mask:0xf
	v_mov_b32_dpp v15, v8 row_shr:4 row_mask:0xf bank_mask:0xf
	v_cmp_lt_u32_e64 s[0:1], 3, v14
	s_and_saveexec_b64 s[56:57], s[0:1]
; %bb.161:
	v_add_f32_e32 v16, v6, v16
	v_cmp_eq_u32_e64 s[0:1], 0, v9
	v_and_b32_e32 v9, 1, v9
	v_and_b32_e32 v15, 1, v15
	v_cndmask_b32_e64 v6, v6, v16, s[0:1]
	v_cmp_eq_u32_e64 s[0:1], 1, v9
	s_nop 1
	v_cndmask_b32_e64 v9, v15, 1, s[0:1]
	s_movk_i32 s0, 0xff00
	v_and_or_b32 v8, v8, s0, v9
; %bb.162:
	s_or_b64 exec, exec, s[56:57]
	v_mov_b32_dpp v16, v6 row_shr:8 row_mask:0xf bank_mask:0xf
	v_mov_b32_dpp v15, v8 row_shr:8 row_mask:0xf bank_mask:0xf
	v_cmp_lt_u32_e64 s[0:1], 7, v14
	s_and_saveexec_b64 s[56:57], s[0:1]
; %bb.163:
	v_add_f32_e32 v14, v6, v16
	v_cmp_eq_u32_e64 s[0:1], 0, v9
	v_and_b32_e32 v9, 1, v9
	s_nop 0
	v_cndmask_b32_e64 v6, v6, v14, s[0:1]
	v_and_b32_e32 v14, 1, v15
	v_cmp_eq_u32_e64 s[0:1], 1, v9
	s_nop 1
	v_cndmask_b32_e64 v9, v14, 1, s[0:1]
	s_movk_i32 s0, 0xff00
	v_and_or_b32 v8, v8, s0, v9
; %bb.164:
	s_or_b64 exec, exec, s[56:57]
	v_and_b32_e32 v16, 16, v7
	v_mov_b32_dpp v15, v6 row_bcast:15 row_mask:0xf bank_mask:0xf
	v_mov_b32_dpp v14, v8 row_bcast:15 row_mask:0xf bank_mask:0xf
	v_cmp_ne_u32_e64 s[0:1], 0, v16
	s_and_saveexec_b64 s[56:57], s[0:1]
; %bb.165:
	v_add_f32_e32 v15, v6, v15
	v_cmp_eq_u32_e64 s[0:1], 0, v9
	v_and_b32_e32 v9, 1, v9
	v_and_b32_e32 v14, 1, v14
	v_cndmask_b32_e64 v6, v6, v15, s[0:1]
	v_cmp_eq_u32_e64 s[0:1], 1, v9
	s_nop 1
	v_cndmask_b32_e64 v9, v14, 1, s[0:1]
	s_movk_i32 s0, 0xff00
	v_and_or_b32 v8, v8, s0, v9
; %bb.166:
	s_or_b64 exec, exec, s[56:57]
	v_mov_b32_dpp v15, v6 row_bcast:31 row_mask:0xf bank_mask:0xf
	v_mov_b32_dpp v14, v8 row_bcast:31 row_mask:0xf bank_mask:0xf
	v_cmp_lt_u32_e64 s[0:1], 31, v7
	s_and_saveexec_b64 s[56:57], s[0:1]
; %bb.167:
	v_add_f32_e32 v15, v6, v15
	v_cmp_eq_u32_e64 s[0:1], 0, v9
	v_and_b32_e32 v9, 1, v9
	v_and_b32_e32 v14, 1, v14
	v_cndmask_b32_e64 v6, v6, v15, s[0:1]
	v_cmp_eq_u32_e64 s[0:1], 1, v9
	s_nop 1
	v_cndmask_b32_e64 v9, v14, 1, s[0:1]
	s_movk_i32 s0, 0xff00
	v_and_or_b32 v8, v8, s0, v9
; %bb.168:
	s_or_b64 exec, exec, s[56:57]
	v_add_u32_e32 v9, -1, v7
	v_and_b32_e32 v14, 64, v7
	v_cmp_lt_i32_e64 s[0:1], v9, v14
	; wave barrier
	s_nop 1
	v_cndmask_b32_e64 v7, v9, v7, s[0:1]
	v_lshlrev_b32_e32 v7, 2, v7
	ds_bpermute_b32 v6, v7, v6
	ds_bpermute_b32 v7, v7, v8
	v_mov_b32_e32 v8, 0
	v_cmp_eq_u32_sdwa s[0:1], v3, v8 src0_sel:BYTE_0 src1_sel:DWORD
	s_waitcnt lgkmcnt(1)
	v_add_f32_e32 v6, v2, v6
	v_cndmask_b32_e64 v2, v2, v6, s[0:1]
	s_waitcnt lgkmcnt(0)
	v_and_b32_e32 v3, 1, v7
	v_cmp_eq_u32_e64 s[0:1], 1, v5
	v_cndmask_b32_e64 v5, v2, v22, s[52:53]
	s_nop 0
	v_cndmask_b32_e64 v3, v3, 1, s[0:1]
	v_cndmask_b32_e64 v6, v3, v23, s[52:53]
	ds_write_b32 v4, v5
	ds_write_b8 v4, v6 offset:4
	; wave barrier
	ds_read2_b32 v[2:3], v4 offset0:2 offset1:4
	ds_read_u8 v7, v4 offset:12
	ds_read_u8 v8, v4 offset:20
	ds_read_b32 v9, v4 offset:24
	ds_read_u8 v14, v4 offset:28
	s_waitcnt lgkmcnt(4)
	v_add_f32_e32 v5, v5, v2
	s_waitcnt lgkmcnt(3)
	v_cmp_eq_u16_e64 s[0:1], 0, v7
	s_nop 1
	v_cndmask_b32_e64 v2, v2, v5, s[0:1]
	v_and_b32_e32 v5, 1, v7
	v_cmp_eq_u32_e64 s[0:1], 1, v5
	s_nop 1
	v_cndmask_b32_e64 v5, v6, 1, s[0:1]
	v_add_f32_e32 v6, v2, v3
	s_waitcnt lgkmcnt(2)
	v_cmp_eq_u16_e64 s[0:1], 0, v8
	ds_write_b8 v4, v5 offset:12
	s_nop 0
	v_cndmask_b32_e64 v3, v3, v6, s[0:1]
	v_and_b32_e32 v6, 1, v8
	v_cmp_eq_u32_e64 s[0:1], 1, v6
	s_nop 1
	v_cndmask_b32_e64 v5, v5, 1, s[0:1]
	ds_write2_b32 v4, v2, v3 offset0:2 offset1:4
	ds_write_b8 v4, v5 offset:20
	s_waitcnt lgkmcnt(4)
	v_add_f32_e32 v2, v3, v9
	s_waitcnt lgkmcnt(3)
	v_cmp_eq_u16_e64 s[0:1], 0, v14
	v_and_b32_e32 v3, 1, v14
	s_nop 0
	v_cndmask_b32_e64 v2, v9, v2, s[0:1]
	v_cmp_eq_u32_e64 s[0:1], 1, v3
	s_nop 1
	v_cndmask_b32_e64 v3, v5, 1, s[0:1]
	ds_write_b32 v4, v2 offset:24
	ds_write_b8 v4, v3 offset:28
.LBB1456_169:
	s_or_b64 exec, exec, s[50:51]
	s_waitcnt lgkmcnt(0)
	s_barrier
	s_and_saveexec_b64 s[0:1], s[4:5]
	s_cbranch_execz .LBB1456_171
; %bb.170:
	v_add_u32_e32 v2, -1, v0
	v_lshrrev_b32_e32 v3, 5, v2
	v_add_lshl_u32 v2, v3, v2, 3
	ds_read_b32 v22, v2
	ds_read_u8 v23, v2 offset:4
.LBB1456_171:
	s_or_b64 exec, exec, s[0:1]
	s_and_saveexec_b64 s[0:1], vcc
	s_cbranch_execz .LBB1456_212
; %bb.172:
	v_mov_b32_e32 v5, 0
	ds_read_b64 v[2:3], v5 offset:2096
	v_mbcnt_lo_u32_b32 v4, -1, 0
	v_mbcnt_hi_u32_b32 v15, -1, v4
	s_mov_b32 s59, 0
	v_cmp_eq_u32_e64 s[50:51], 0, v15
	s_waitcnt lgkmcnt(0)
	v_readfirstlane_b32 s60, v3
	s_and_saveexec_b64 s[56:57], s[50:51]
	s_cbranch_execz .LBB1456_174
; %bb.173:
	s_add_i32 s58, s67, 64
	s_lshl_b64 s[68:69], s[58:59], 4
	s_add_u32 s68, s64, s68
	s_addc_u32 s69, s65, s69
	s_and_b32 s77, s60, 0xff000000
	s_mov_b32 s76, s59
	s_and_b32 s79, s60, 0xff0000
	s_mov_b32 s78, s59
	s_or_b64 s[76:77], s[78:79], s[76:77]
	s_and_b32 s79, s60, 0xff00
	s_or_b64 s[76:77], s[76:77], s[78:79]
	s_and_b32 s79, s60, 0xff
	s_or_b64 s[58:59], s[76:77], s[78:79]
	v_mov_b32_e32 v3, s59
	v_mov_b32_e32 v4, 1
	v_mov_b64_e32 v[6:7], s[68:69]
	;;#ASMSTART
	global_store_dwordx4 v[6:7], v[2:5] off sc1	
s_waitcnt vmcnt(0)
	;;#ASMEND
.LBB1456_174:
	s_or_b64 exec, exec, s[56:57]
	v_xad_u32 v14, v15, -1, s67
	v_add_u32_e32 v4, 64, v14
	v_lshl_add_u64 v[16:17], v[4:5], 4, s[64:65]
	;;#ASMSTART
	global_load_dwordx4 v[6:9], v[16:17] off sc1	
s_waitcnt vmcnt(0)
	;;#ASMEND
	s_nop 0
	v_cmp_eq_u16_sdwa s[58:59], v8, v5 src0_sel:BYTE_0 src1_sel:DWORD
	s_and_saveexec_b64 s[56:57], s[58:59]
	s_cbranch_execz .LBB1456_178
; %bb.175:
	s_mov_b64 s[58:59], 0
	v_mov_b32_e32 v3, 0
.LBB1456_176:                           ; =>This Inner Loop Header: Depth=1
	;;#ASMSTART
	global_load_dwordx4 v[6:9], v[16:17] off sc1	
s_waitcnt vmcnt(0)
	;;#ASMEND
	s_nop 0
	v_cmp_ne_u16_sdwa s[68:69], v8, v3 src0_sel:BYTE_0 src1_sel:DWORD
	s_or_b64 s[58:59], s[68:69], s[58:59]
	s_andn2_b64 exec, exec, s[58:59]
	s_cbranch_execnz .LBB1456_176
; %bb.177:
	s_or_b64 exec, exec, s[58:59]
.LBB1456_178:
	s_or_b64 exec, exec, s[56:57]
	v_mov_b32_e32 v3, 2
	v_cmp_eq_u16_sdwa s[56:57], v8, v3 src0_sel:BYTE_0 src1_sel:DWORD
	v_lshlrev_b64 v[4:5], v15, -1
	v_and_b32_e32 v16, 0xff, v7
	v_and_b32_e32 v3, s57, v5
	v_or_b32_e32 v3, 0x80000000, v3
	v_ffbl_b32_e32 v26, v3
	v_and_b32_e32 v3, 63, v15
	v_cmp_ne_u32_e32 vcc, 63, v3
	v_and_b32_e32 v9, s56, v4
	v_add_u32_e32 v26, 32, v26
	v_addc_co_u32_e32 v17, vcc, 0, v15, vcc
	v_lshlrev_b32_e32 v24, 2, v17
	ds_bpermute_b32 v25, v24, v6
	ds_bpermute_b32 v17, v24, v16
	v_ffbl_b32_e32 v9, v9
	v_min_u32_e32 v9, v9, v26
	v_cmp_lt_u32_e32 vcc, v3, v9
	s_and_saveexec_b64 s[56:57], vcc
	s_cbranch_execz .LBB1456_180
; %bb.179:
	v_mov_b32_e32 v16, 0
	s_waitcnt lgkmcnt(1)
	v_add_f32_e32 v25, v6, v25
	v_cmp_eq_u16_sdwa vcc, v7, v16 src0_sel:BYTE_0 src1_sel:DWORD
	v_and_b32_e32 v7, 1, v7
	s_waitcnt lgkmcnt(0)
	v_and_b32_e32 v16, 1, v17
	v_cndmask_b32_e32 v6, v6, v25, vcc
	v_cmp_eq_u32_e32 vcc, 1, v7
	s_nop 1
	v_cndmask_b32_e64 v7, v16, 1, vcc
	v_and_b32_e32 v16, 0xffff, v7
.LBB1456_180:
	s_or_b64 exec, exec, s[56:57]
	v_cmp_gt_u32_e32 vcc, 62, v3
	v_add_u32_e32 v26, 2, v3
	s_waitcnt lgkmcnt(0)
	v_cndmask_b32_e64 v17, 0, 1, vcc
	v_lshlrev_b32_e32 v17, 1, v17
	v_add_lshl_u32 v25, v17, v15, 2
	ds_bpermute_b32 v27, v25, v6
	ds_bpermute_b32 v17, v25, v16
	v_cmp_le_u32_e32 vcc, v26, v9
	s_and_saveexec_b64 s[56:57], vcc
	s_cbranch_execz .LBB1456_182
; %bb.181:
	v_mov_b32_e32 v16, 0
	s_waitcnt lgkmcnt(1)
	v_add_f32_e32 v27, v6, v27
	v_cmp_eq_u16_sdwa vcc, v7, v16 src0_sel:BYTE_0 src1_sel:DWORD
	v_and_b32_e32 v7, 1, v7
	s_waitcnt lgkmcnt(0)
	v_and_b32_e32 v16, 1, v17
	v_cndmask_b32_e32 v6, v6, v27, vcc
	v_cmp_eq_u32_e32 vcc, 1, v7
	s_nop 1
	v_cndmask_b32_e64 v7, v16, 1, vcc
	v_and_b32_e32 v16, 0xffff, v7
.LBB1456_182:
	s_or_b64 exec, exec, s[56:57]
	v_cmp_gt_u32_e32 vcc, 60, v3
	v_add_u32_e32 v28, 4, v3
	s_waitcnt lgkmcnt(0)
	v_cndmask_b32_e64 v17, 0, 1, vcc
	v_lshlrev_b32_e32 v17, 2, v17
	v_add_lshl_u32 v27, v17, v15, 2
	ds_bpermute_b32 v29, v27, v6
	ds_bpermute_b32 v17, v27, v16
	v_cmp_le_u32_e32 vcc, v28, v9
	;; [unrolled: 26-line block ×5, first 2 shown]
	s_and_saveexec_b64 s[56:57], vcc
	s_cbranch_execz .LBB1456_190
; %bb.189:
	v_mov_b32_e32 v9, 0
	s_waitcnt lgkmcnt(1)
	v_add_f32_e32 v16, v6, v17
	v_cmp_eq_u16_sdwa vcc, v7, v9 src0_sel:BYTE_0 src1_sel:DWORD
	v_and_b32_e32 v7, 1, v7
	s_waitcnt lgkmcnt(0)
	v_and_b32_e32 v9, 1, v15
	v_cndmask_b32_e32 v6, v6, v16, vcc
	v_cmp_eq_u32_e32 vcc, 1, v7
	s_nop 1
	v_cndmask_b32_e64 v7, v9, 1, vcc
.LBB1456_190:
	s_or_b64 exec, exec, s[56:57]
	s_waitcnt lgkmcnt(0)
	v_mov_b32_e32 v15, 0
	v_mov_b32_e32 v80, 2
	s_branch .LBB1456_192
.LBB1456_191:                           ;   in Loop: Header=BB1456_192 Depth=1
	s_or_b64 exec, exec, s[56:57]
	s_waitcnt lgkmcnt(0)
	ds_bpermute_b32 v17, v77, v6
	ds_bpermute_b32 v16, v77, v16
	v_and_b32_e32 v81, 1, v7
	v_cmp_eq_u16_sdwa vcc, v7, v15 src0_sel:BYTE_0 src1_sel:DWORD
	v_subrev_u32_e32 v14, 64, v14
	s_waitcnt lgkmcnt(1)
	v_add_f32_e32 v17, v6, v17
	v_cndmask_b32_e32 v17, v6, v17, vcc
	v_cmp_eq_u32_e32 vcc, 1, v81
	s_waitcnt lgkmcnt(0)
	s_nop 0
	v_cndmask_b32_e64 v16, v16, 1, vcc
	v_cmp_gt_u32_e32 vcc, v79, v9
	v_and_b32_e32 v9, 1, v76
	s_nop 0
	v_cndmask_b32_e32 v6, v17, v6, vcc
	v_cndmask_b32_e32 v7, v16, v7, vcc
	v_add_f32_e32 v6, v78, v6
	v_cmp_eq_u16_sdwa vcc, v76, v15 src0_sel:BYTE_0 src1_sel:DWORD
	v_and_b32_e32 v7, 1, v7
	s_nop 0
	v_cndmask_b32_e32 v6, v78, v6, vcc
	v_cmp_eq_u32_e32 vcc, 1, v9
	s_nop 1
	v_cndmask_b32_e64 v7, v7, 1, vcc
.LBB1456_192:                           ; =>This Loop Header: Depth=1
                                        ;     Child Loop BB1456_195 Depth 2
	v_cmp_ne_u16_sdwa s[56:57], v8, v80 src0_sel:BYTE_0 src1_sel:DWORD
	v_mov_b32_e32 v76, v7
	v_mov_b32_e32 v78, v6
	v_cndmask_b32_e64 v7, 0, 1, s[56:57]
	;;#ASMSTART
	;;#ASMEND
	s_nop 0
	v_cmp_ne_u32_e32 vcc, 0, v7
	s_cmp_lg_u64 vcc, exec
	s_cbranch_scc1 .LBB1456_207
; %bb.193:                              ;   in Loop: Header=BB1456_192 Depth=1
	v_lshl_add_u64 v[16:17], v[14:15], 4, s[64:65]
	;;#ASMSTART
	global_load_dwordx4 v[6:9], v[16:17] off sc1	
s_waitcnt vmcnt(0)
	;;#ASMEND
	s_nop 0
	v_cmp_eq_u16_sdwa s[58:59], v8, v15 src0_sel:BYTE_0 src1_sel:DWORD
	s_and_saveexec_b64 s[56:57], s[58:59]
	s_cbranch_execz .LBB1456_197
; %bb.194:                              ;   in Loop: Header=BB1456_192 Depth=1
	s_mov_b64 s[58:59], 0
.LBB1456_195:                           ;   Parent Loop BB1456_192 Depth=1
                                        ; =>  This Inner Loop Header: Depth=2
	;;#ASMSTART
	global_load_dwordx4 v[6:9], v[16:17] off sc1	
s_waitcnt vmcnt(0)
	;;#ASMEND
	s_nop 0
	v_cmp_ne_u16_sdwa s[68:69], v8, v15 src0_sel:BYTE_0 src1_sel:DWORD
	s_or_b64 s[58:59], s[68:69], s[58:59]
	s_andn2_b64 exec, exec, s[58:59]
	s_cbranch_execnz .LBB1456_195
; %bb.196:                              ;   in Loop: Header=BB1456_192 Depth=1
	s_or_b64 exec, exec, s[58:59]
.LBB1456_197:                           ;   in Loop: Header=BB1456_192 Depth=1
	s_or_b64 exec, exec, s[56:57]
	v_cmp_eq_u16_sdwa s[56:57], v8, v80 src0_sel:BYTE_0 src1_sel:DWORD
	v_and_b32_e32 v16, 0xff, v7
	ds_bpermute_b32 v81, v24, v6
	v_and_b32_e32 v9, s57, v5
	v_or_b32_e32 v9, 0x80000000, v9
	ds_bpermute_b32 v17, v24, v16
	v_and_b32_e32 v82, s56, v4
	v_ffbl_b32_e32 v9, v9
	v_add_u32_e32 v9, 32, v9
	v_ffbl_b32_e32 v82, v82
	v_min_u32_e32 v9, v82, v9
	v_cmp_lt_u32_e32 vcc, v3, v9
	s_and_saveexec_b64 s[56:57], vcc
	s_cbranch_execz .LBB1456_199
; %bb.198:                              ;   in Loop: Header=BB1456_192 Depth=1
	s_waitcnt lgkmcnt(1)
	v_add_f32_e32 v16, v6, v81
	v_cmp_eq_u16_sdwa vcc, v7, v15 src0_sel:BYTE_0 src1_sel:DWORD
	v_and_b32_e32 v7, 1, v7
	s_nop 0
	v_cndmask_b32_e32 v6, v6, v16, vcc
	s_waitcnt lgkmcnt(0)
	v_and_b32_e32 v16, 1, v17
	v_cmp_eq_u32_e32 vcc, 1, v7
	s_nop 1
	v_cndmask_b32_e64 v7, v16, 1, vcc
	v_and_b32_e32 v16, 0xffff, v7
.LBB1456_199:                           ;   in Loop: Header=BB1456_192 Depth=1
	s_or_b64 exec, exec, s[56:57]
	s_waitcnt lgkmcnt(1)
	ds_bpermute_b32 v81, v25, v6
	s_waitcnt lgkmcnt(1)
	ds_bpermute_b32 v17, v25, v16
	v_cmp_le_u32_e32 vcc, v26, v9
	s_and_saveexec_b64 s[56:57], vcc
	s_cbranch_execz .LBB1456_201
; %bb.200:                              ;   in Loop: Header=BB1456_192 Depth=1
	s_waitcnt lgkmcnt(1)
	v_add_f32_e32 v16, v6, v81
	v_cmp_eq_u16_sdwa vcc, v7, v15 src0_sel:BYTE_0 src1_sel:DWORD
	v_and_b32_e32 v7, 1, v7
	s_nop 0
	v_cndmask_b32_e32 v6, v6, v16, vcc
	s_waitcnt lgkmcnt(0)
	v_and_b32_e32 v16, 1, v17
	v_cmp_eq_u32_e32 vcc, 1, v7
	s_nop 1
	v_cndmask_b32_e64 v7, v16, 1, vcc
	v_and_b32_e32 v16, 0xffff, v7
.LBB1456_201:                           ;   in Loop: Header=BB1456_192 Depth=1
	s_or_b64 exec, exec, s[56:57]
	s_waitcnt lgkmcnt(1)
	ds_bpermute_b32 v81, v27, v6
	s_waitcnt lgkmcnt(1)
	ds_bpermute_b32 v17, v27, v16
	v_cmp_le_u32_e32 vcc, v28, v9
	;; [unrolled: 22-line block ×4, first 2 shown]
	s_and_saveexec_b64 s[56:57], vcc
	s_cbranch_execz .LBB1456_191
; %bb.206:                              ;   in Loop: Header=BB1456_192 Depth=1
	s_waitcnt lgkmcnt(1)
	v_add_f32_e32 v16, v6, v81
	v_cmp_eq_u16_sdwa vcc, v7, v15 src0_sel:BYTE_0 src1_sel:DWORD
	v_and_b32_e32 v7, 1, v7
	s_nop 0
	v_cndmask_b32_e32 v6, v6, v16, vcc
	s_waitcnt lgkmcnt(0)
	v_and_b32_e32 v16, 1, v17
	v_cmp_eq_u32_e32 vcc, 1, v7
	s_nop 1
	v_cndmask_b32_e64 v7, v16, 1, vcc
	v_and_b32_e32 v16, 0xffff, v7
	s_branch .LBB1456_191
.LBB1456_207:                           ;   in Loop: Header=BB1456_192 Depth=1
                                        ; implicit-def: $vgpr7
	s_cbranch_execz .LBB1456_192
; %bb.208:
	s_and_saveexec_b64 s[56:57], s[50:51]
	s_cbranch_execz .LBB1456_210
; %bb.209:
	s_and_b32 s50, s60, 0xff
	s_cmp_eq_u32 s50, 0
	s_cselect_b64 vcc, -1, 0
	s_bitcmp1_b32 s60, 0
	s_mov_b32 s51, 0
	s_cselect_b64 s[58:59], -1, 0
	s_add_i32 s50, s67, 64
	s_lshl_b64 s[50:51], s[50:51], 4
	v_add_f32_e32 v3, v78, v2
	s_add_u32 s50, s64, s50
	v_cndmask_b32_e32 v2, v2, v3, vcc
	v_and_b32_e32 v3, 1, v76
	s_addc_u32 s51, s65, s51
	v_cndmask_b32_e64 v3, v3, 1, s[58:59]
	v_mov_b32_e32 v4, 2
	v_mov_b32_e32 v5, 0
	v_mov_b64_e32 v[6:7], s[50:51]
	;;#ASMSTART
	global_store_dwordx4 v[6:7], v[2:5] off sc1	
s_waitcnt vmcnt(0)
	;;#ASMEND
.LBB1456_210:
	s_or_b64 exec, exec, s[56:57]
	s_and_b64 exec, exec, s[52:53]
	s_cbranch_execz .LBB1456_212
; %bb.211:
	v_mov_b32_e32 v2, 0
	ds_write_b32 v2, v78
	ds_write_b8 v2, v76 offset:4
.LBB1456_212:
	s_or_b64 exec, exec, s[0:1]
	v_mov_b32_e32 v2, 0
	s_waitcnt lgkmcnt(0)
	s_barrier
	ds_read_b32 v3, v2
	v_cmp_eq_u32_e32 vcc, 0, v23
	s_waitcnt lgkmcnt(0)
	v_add_f32_e32 v4, v22, v3
	v_cndmask_b32_e32 v4, v22, v4, vcc
	v_cndmask_b32_e64 v31, v4, v3, s[52:53]
	v_add_f32_e32 v3, v50, v31
	v_cmp_eq_u16_sdwa vcc, v1, v2 src0_sel:BYTE_0 src1_sel:DWORD
	s_nop 1
	v_cndmask_b32_e32 v74, v50, v3, vcc
	v_add_f32_e32 v2, v48, v74
	v_cndmask_b32_e64 v75, v48, v2, s[6:7]
	v_add_f32_e32 v2, v49, v75
	v_cndmask_b32_e64 v76, v49, v2, s[8:9]
	;; [unrolled: 2-line block ×21, first 2 shown]
	s_branch .LBB1456_235
.LBB1456_213:
                                        ; implicit-def: $vgpr94
                                        ; implicit-def: $vgpr93
                                        ; implicit-def: $vgpr92
                                        ; implicit-def: $vgpr91
                                        ; implicit-def: $vgpr90
                                        ; implicit-def: $vgpr89
                                        ; implicit-def: $vgpr88
                                        ; implicit-def: $vgpr87
                                        ; implicit-def: $vgpr86
                                        ; implicit-def: $vgpr85
                                        ; implicit-def: $vgpr84
                                        ; implicit-def: $vgpr83
                                        ; implicit-def: $vgpr82
                                        ; implicit-def: $vgpr81
                                        ; implicit-def: $vgpr80
                                        ; implicit-def: $vgpr79
                                        ; implicit-def: $vgpr78
                                        ; implicit-def: $vgpr77
                                        ; implicit-def: $vgpr76
                                        ; implicit-def: $vgpr75
                                        ; implicit-def: $vgpr74
                                        ; implicit-def: $vgpr31
                                        ; implicit-def: $vgpr95
	s_cbranch_execz .LBB1456_235
; %bb.214:
	s_cmp_lg_u64 s[72:73], 0
	s_cselect_b32 s1, s71, 0
	s_cselect_b32 s0, s70, 0
	s_cmp_eq_u64 s[0:1], 0
	v_mov_b32_e32 v4, s74
	s_cbranch_scc1 .LBB1456_216
; %bb.215:
	v_mov_b32_e32 v2, 0
	global_load_dword v4, v2, s[0:1]
.LBB1456_216:
	v_mov_b32_e32 v9, 0
	v_cmp_eq_u16_sdwa vcc, v51, v9 src0_sel:BYTE_0 src1_sel:DWORD
	v_cmp_eq_u16_sdwa s[6:7], v52, v9 src0_sel:BYTE_0 src1_sel:DWORD
	v_cmp_eq_u16_sdwa s[8:9], v53, v9 src0_sel:BYTE_0 src1_sel:DWORD
	v_cndmask_b32_e32 v2, v48, v21, vcc
	v_add_f32_e32 v2, v49, v2
	v_cndmask_b32_e64 v2, v49, v2, s[6:7]
	v_add_f32_e32 v2, v46, v2
	v_cndmask_b32_e64 v2, v46, v2, s[8:9]
	v_add_f32_e32 v2, v47, v2
	v_cmp_eq_u16_sdwa s[10:11], v55, v9 src0_sel:BYTE_0 src1_sel:DWORD
	v_cmp_eq_u16_sdwa s[12:13], v56, v9 src0_sel:BYTE_0 src1_sel:DWORD
	v_cmp_eq_u16_sdwa s[14:15], v57, v9 src0_sel:BYTE_0 src1_sel:DWORD
	v_cndmask_b32_e64 v2, v47, v2, s[10:11]
	v_add_f32_e32 v2, v44, v2
	v_cndmask_b32_e64 v2, v44, v2, s[12:13]
	v_add_f32_e32 v2, v45, v2
	v_cndmask_b32_e64 v2, v45, v2, s[14:15]
	v_add_f32_e32 v2, v42, v2
	v_cmp_eq_u16_sdwa s[18:19], v58, v9 src0_sel:BYTE_0 src1_sel:DWORD
	v_cmp_eq_u16_sdwa s[20:21], v59, v9 src0_sel:BYTE_0 src1_sel:DWORD
	v_cmp_eq_u16_sdwa s[22:23], v61, v9 src0_sel:BYTE_0 src1_sel:DWORD
	v_cndmask_b32_e64 v2, v42, v2, s[18:19]
	;; [unrolled: 9-line block ×6, first 2 shown]
	v_add_f32_e32 v2, v62, v2
	v_cndmask_b32_e64 v2, v62, v2, s[46:47]
	v_add_f32_e32 v2, v30, v2
	v_cndmask_b32_e64 v2, v30, v2, s[16:17]
	v_add_f32_e32 v2, v18, v2
	v_cmp_eq_u16_sdwa s[0:1], v13, v9 src0_sel:BYTE_0 src1_sel:DWORD
	v_and_b32_e32 v3, 0xff, v1
	s_nop 0
	v_cndmask_b32_e64 v6, v18, v2, s[0:1]
	v_or_b32_e32 v2, v20, v72
	v_or_b32_e32 v2, v2, v71
	;; [unrolled: 1-line block ×19, first 2 shown]
	v_and_b32_e32 v2, 1, v2
	v_cmp_eq_u32_e64 s[0:1], 1, v2
	v_add_lshl_u32 v2, v19, v0, 3
	s_nop 0
	v_cndmask_b32_e64 v7, v3, 1, s[0:1]
	v_cmp_gt_u32_e64 s[0:1], 64, v0
	ds_write_b32 v2, v6
	ds_write_b8 v2, v7 offset:4
	s_waitcnt lgkmcnt(0)
	s_barrier
	s_and_saveexec_b64 s[48:49], s[0:1]
	s_cbranch_execz .LBB1456_230
; %bb.217:
	v_lshrrev_b32_e32 v2, 3, v0
	v_add_lshl_u32 v5, v2, v12, 3
	ds_read2_b32 v[14:15], v5 offset0:2 offset1:4
	ds_read_b64 v[2:3], v5
	ds_read_u8 v13, v5 offset:12
	ds_read_u8 v16, v5 offset:20
	ds_read_b32 v18, v5 offset:24
	ds_read_u8 v19, v5 offset:28
	s_waitcnt lgkmcnt(4)
	v_add_f32_e32 v8, v2, v14
	s_waitcnt lgkmcnt(3)
	v_cmp_eq_u16_sdwa s[0:1], v13, v9 src0_sel:BYTE_0 src1_sel:DWORD
	v_and_b32_e32 v17, 0xffffff00, v3
	s_nop 0
	v_cndmask_b32_e64 v14, v14, v8, s[0:1]
	v_add_f32_e32 v14, v15, v14
	s_waitcnt lgkmcnt(2)
	v_cmp_eq_u16_sdwa s[0:1], v16, v9 src0_sel:BYTE_0 src1_sel:DWORD
	v_and_b32_e32 v8, 1, v3
	s_nop 0
	v_cndmask_b32_e64 v9, v15, v14, s[0:1]
	s_waitcnt lgkmcnt(0)
	v_or_b32_e32 v14, v19, v16
	v_or_b32_e32 v13, v14, v13
	v_add_f32_e32 v9, v18, v9
	v_cmp_eq_u16_e64 s[0:1], 0, v19
	v_and_b32_e32 v13, 1, v13
	s_nop 0
	v_cndmask_b32_e64 v9, v18, v9, s[0:1]
	v_cmp_eq_u32_e64 s[0:1], 1, v13
	v_mbcnt_lo_u32_b32 v13, -1, 0
	v_mbcnt_hi_u32_b32 v13, -1, v13
	v_cndmask_b32_e64 v15, v8, 1, s[0:1]
	v_or_b32_e32 v14, v15, v17
	v_and_b32_e32 v16, 15, v13
	v_mov_b32_dpp v19, v9 row_shr:1 row_mask:0xf bank_mask:0xf
	v_mov_b32_dpp v18, v14 row_shr:1 row_mask:0xf bank_mask:0xf
	v_cmp_ne_u32_e64 s[0:1], 0, v16
	s_and_saveexec_b64 s[50:51], s[0:1]
; %bb.218:
	v_add_f32_e32 v14, v9, v19
	v_cmp_eq_u32_e64 s[0:1], 0, v15
	s_nop 1
	v_cndmask_b32_e64 v9, v9, v14, s[0:1]
	v_and_b32_e32 v14, 1, v15
	v_and_b32_e32 v15, 1, v18
	v_cmp_eq_u32_e64 s[0:1], 1, v14
	s_nop 1
	v_cndmask_b32_e64 v15, v15, 1, s[0:1]
	v_or_b32_e32 v14, v15, v17
; %bb.219:
	s_or_b64 exec, exec, s[50:51]
	v_mov_b32_dpp v18, v9 row_shr:2 row_mask:0xf bank_mask:0xf
	v_mov_b32_dpp v17, v14 row_shr:2 row_mask:0xf bank_mask:0xf
	v_cmp_lt_u32_e64 s[0:1], 1, v16
	s_and_saveexec_b64 s[50:51], s[0:1]
; %bb.220:
	v_add_f32_e32 v18, v9, v18
	v_cmp_eq_u32_e64 s[0:1], 0, v15
	v_and_b32_e32 v15, 1, v15
	v_and_b32_e32 v17, 1, v17
	v_cndmask_b32_e64 v9, v9, v18, s[0:1]
	v_cmp_eq_u32_e64 s[0:1], 1, v15
	s_nop 1
	v_cndmask_b32_e64 v15, v17, 1, s[0:1]
	s_movk_i32 s0, 0xff00
	v_and_or_b32 v14, v14, s0, v15
; %bb.221:
	s_or_b64 exec, exec, s[50:51]
	v_mov_b32_dpp v18, v9 row_shr:4 row_mask:0xf bank_mask:0xf
	v_mov_b32_dpp v17, v14 row_shr:4 row_mask:0xf bank_mask:0xf
	v_cmp_lt_u32_e64 s[0:1], 3, v16
	s_and_saveexec_b64 s[50:51], s[0:1]
; %bb.222:
	v_add_f32_e32 v18, v9, v18
	v_cmp_eq_u32_e64 s[0:1], 0, v15
	v_and_b32_e32 v15, 1, v15
	v_and_b32_e32 v17, 1, v17
	v_cndmask_b32_e64 v9, v9, v18, s[0:1]
	v_cmp_eq_u32_e64 s[0:1], 1, v15
	s_nop 1
	v_cndmask_b32_e64 v15, v17, 1, s[0:1]
	s_movk_i32 s0, 0xff00
	v_and_or_b32 v14, v14, s0, v15
; %bb.223:
	s_or_b64 exec, exec, s[50:51]
	v_mov_b32_dpp v18, v9 row_shr:8 row_mask:0xf bank_mask:0xf
	v_mov_b32_dpp v17, v14 row_shr:8 row_mask:0xf bank_mask:0xf
	v_cmp_lt_u32_e64 s[0:1], 7, v16
	s_and_saveexec_b64 s[50:51], s[0:1]
; %bb.224:
	v_add_f32_e32 v16, v9, v18
	v_cmp_eq_u32_e64 s[0:1], 0, v15
	v_and_b32_e32 v15, 1, v15
	s_nop 0
	v_cndmask_b32_e64 v9, v9, v16, s[0:1]
	v_and_b32_e32 v16, 1, v17
	v_cmp_eq_u32_e64 s[0:1], 1, v15
	s_nop 1
	v_cndmask_b32_e64 v15, v16, 1, s[0:1]
	s_movk_i32 s0, 0xff00
	v_and_or_b32 v14, v14, s0, v15
; %bb.225:
	s_or_b64 exec, exec, s[50:51]
	v_and_b32_e32 v18, 16, v13
	v_mov_b32_dpp v17, v9 row_bcast:15 row_mask:0xf bank_mask:0xf
	v_mov_b32_dpp v16, v14 row_bcast:15 row_mask:0xf bank_mask:0xf
	v_cmp_ne_u32_e64 s[0:1], 0, v18
	s_and_saveexec_b64 s[50:51], s[0:1]
; %bb.226:
	v_add_f32_e32 v17, v9, v17
	v_cmp_eq_u32_e64 s[0:1], 0, v15
	v_and_b32_e32 v15, 1, v15
	v_and_b32_e32 v16, 1, v16
	v_cndmask_b32_e64 v9, v9, v17, s[0:1]
	v_cmp_eq_u32_e64 s[0:1], 1, v15
	s_nop 1
	v_cndmask_b32_e64 v15, v16, 1, s[0:1]
	s_movk_i32 s0, 0xff00
	v_and_or_b32 v14, v14, s0, v15
; %bb.227:
	s_or_b64 exec, exec, s[50:51]
	v_mov_b32_dpp v17, v9 row_bcast:31 row_mask:0xf bank_mask:0xf
	v_mov_b32_dpp v16, v14 row_bcast:31 row_mask:0xf bank_mask:0xf
	v_cmp_lt_u32_e64 s[0:1], 31, v13
	s_and_saveexec_b64 s[50:51], s[0:1]
; %bb.228:
	v_add_f32_e32 v17, v9, v17
	v_cmp_eq_u32_e64 s[0:1], 0, v15
	v_and_b32_e32 v15, 1, v15
	v_and_b32_e32 v16, 1, v16
	v_cndmask_b32_e64 v9, v9, v17, s[0:1]
	v_cmp_eq_u32_e64 s[0:1], 1, v15
	s_nop 1
	v_cndmask_b32_e64 v15, v16, 1, s[0:1]
	s_movk_i32 s0, 0xff00
	v_and_or_b32 v14, v14, s0, v15
; %bb.229:
	s_or_b64 exec, exec, s[50:51]
	v_add_u32_e32 v15, -1, v13
	v_and_b32_e32 v16, 64, v13
	v_cmp_lt_i32_e64 s[0:1], v15, v16
	; wave barrier
	s_nop 1
	v_cndmask_b32_e64 v13, v15, v13, s[0:1]
	v_lshlrev_b32_e32 v13, 2, v13
	ds_bpermute_b32 v9, v13, v9
	ds_bpermute_b32 v13, v13, v14
	v_mov_b32_e32 v14, 0
	v_cmp_eq_u32_sdwa s[0:1], v3, v14 src0_sel:BYTE_0 src1_sel:DWORD
	s_waitcnt lgkmcnt(1)
	v_add_f32_e32 v9, v2, v9
	v_cndmask_b32_e64 v2, v2, v9, s[0:1]
	s_waitcnt lgkmcnt(0)
	v_and_b32_e32 v3, 1, v13
	v_cmp_eq_u32_e64 s[0:1], 1, v8
	v_cndmask_b32_e64 v6, v2, v6, s[52:53]
	s_nop 0
	v_cndmask_b32_e64 v3, v3, 1, s[0:1]
	v_cndmask_b32_e64 v7, v3, v7, s[52:53]
	ds_write_b32 v5, v6
	ds_write_b8 v5, v7 offset:4
	; wave barrier
	ds_read2_b32 v[2:3], v5 offset0:2 offset1:4
	ds_read_u8 v8, v5 offset:12
	ds_read_u8 v9, v5 offset:20
	ds_read_b32 v13, v5 offset:24
	ds_read_u8 v14, v5 offset:28
	s_waitcnt lgkmcnt(4)
	v_add_f32_e32 v6, v6, v2
	s_waitcnt lgkmcnt(3)
	v_cmp_eq_u16_e64 s[0:1], 0, v8
	s_nop 1
	v_cndmask_b32_e64 v2, v2, v6, s[0:1]
	v_and_b32_e32 v6, 1, v8
	v_cmp_eq_u32_e64 s[0:1], 1, v6
	s_nop 1
	v_cndmask_b32_e64 v6, v7, 1, s[0:1]
	v_add_f32_e32 v7, v2, v3
	s_waitcnt lgkmcnt(2)
	v_cmp_eq_u16_e64 s[0:1], 0, v9
	ds_write_b8 v5, v6 offset:12
	s_nop 0
	v_cndmask_b32_e64 v3, v3, v7, s[0:1]
	v_and_b32_e32 v7, 1, v9
	v_cmp_eq_u32_e64 s[0:1], 1, v7
	s_nop 1
	v_cndmask_b32_e64 v6, v6, 1, s[0:1]
	ds_write2_b32 v5, v2, v3 offset0:2 offset1:4
	ds_write_b8 v5, v6 offset:20
	s_waitcnt lgkmcnt(4)
	v_add_f32_e32 v2, v3, v13
	s_waitcnt lgkmcnt(3)
	v_cmp_eq_u16_e64 s[0:1], 0, v14
	v_and_b32_e32 v3, 1, v14
	s_nop 0
	v_cndmask_b32_e64 v2, v13, v2, s[0:1]
	v_cmp_eq_u32_e64 s[0:1], 1, v3
	s_nop 1
	v_cndmask_b32_e64 v3, v6, 1, s[0:1]
	ds_write_b32 v5, v2 offset:24
	ds_write_b8 v5, v3 offset:28
.LBB1456_230:
	s_or_b64 exec, exec, s[48:49]
	s_waitcnt vmcnt(0)
	v_mov_b32_e32 v31, v4
	s_waitcnt lgkmcnt(0)
	s_barrier
	s_and_saveexec_b64 s[48:49], s[4:5]
	s_cbranch_execz .LBB1456_232
; %bb.231:
	v_add_u32_e32 v2, -1, v0
	v_lshrrev_b32_e32 v3, 5, v2
	v_add_lshl_u32 v2, v3, v2, 3
	ds_read_b32 v3, v2
	ds_read_u8 v2, v2 offset:4
	s_waitcnt lgkmcnt(1)
	v_add_f32_e32 v5, v4, v3
	s_waitcnt lgkmcnt(0)
	v_cmp_eq_u16_e64 s[0:1], 0, v2
	s_nop 1
	v_cndmask_b32_e64 v31, v3, v5, s[0:1]
.LBB1456_232:
	s_or_b64 exec, exec, s[48:49]
	v_mov_b32_e32 v5, 0
	v_add_f32_e32 v2, v50, v31
	v_cmp_eq_u16_sdwa s[0:1], v1, v5 src0_sel:BYTE_0 src1_sel:DWORD
	s_nop 1
	v_cndmask_b32_e64 v74, v50, v2, s[0:1]
	v_add_f32_e32 v1, v48, v74
	v_cndmask_b32_e32 v75, v48, v1, vcc
	v_add_f32_e32 v1, v49, v75
	v_cndmask_b32_e64 v76, v49, v1, s[6:7]
	v_add_f32_e32 v1, v46, v76
	v_cndmask_b32_e64 v77, v46, v1, s[8:9]
	;; [unrolled: 2-line block ×19, first 2 shown]
	v_add_f32_e32 v1, v30, v94
	s_and_saveexec_b64 s[0:1], s[52:53]
	s_cbranch_execz .LBB1456_234
; %bb.233:
	ds_read_b32 v2, v5 offset:2096
	ds_read_u8 v3, v5 offset:2100
	s_add_u32 s4, s64, 0x400
	s_addc_u32 s5, s65, 0
	v_mov_b64_e32 v[6:7], s[4:5]
	s_waitcnt lgkmcnt(1)
	v_add_f32_e32 v4, v4, v2
	s_waitcnt lgkmcnt(0)
	v_cmp_eq_u16_e32 vcc, 0, v3
	v_and_b32_e32 v3, 0xffff, v3
	s_nop 0
	v_cndmask_b32_e32 v2, v2, v4, vcc
	v_mov_b32_e32 v4, 2
	;;#ASMSTART
	global_store_dwordx4 v[6:7], v[2:5] off sc1	
s_waitcnt vmcnt(0)
	;;#ASMEND
.LBB1456_234:
	s_or_b64 exec, exec, s[0:1]
	v_cndmask_b32_e64 v95, v30, v1, s[16:17]
.LBB1456_235:
	s_add_u32 s0, s62, s54
	s_addc_u32 s1, s63, s55
	v_lshl_add_u64 v[2:3], s[0:1], 0, v[10:11]
	s_and_b64 vcc, exec, s[2:3]
	s_cbranch_vccz .LBB1456_281
; %bb.236:
	s_movk_i32 s0, 0x5c
	v_mul_i32_i24_e32 v30, 0xffffffa8, v0
	v_mul_u32_u24_e32 v1, 0x5c, v0
	v_mad_u32_u24 v4, v0, s0, v30
	s_barrier
	ds_write2_b32 v1, v31, v74 offset1:1
	ds_write2_b32 v1, v75, v76 offset0:2 offset1:3
	ds_write2_b32 v1, v77, v78 offset0:4 offset1:5
	;; [unrolled: 1-line block ×10, first 2 shown]
	ds_write_b32 v1, v95 offset:88
	s_waitcnt lgkmcnt(0)
	s_barrier
	ds_read2st64_b32 v[28:29], v4 offset0:4 offset1:8
	ds_read2st64_b32 v[26:27], v4 offset0:12 offset1:16
	;; [unrolled: 1-line block ×11, first 2 shown]
	s_add_i32 s33, s33, s66
	v_mov_b32_e32 v13, 0
	v_lshl_add_u64 v[6:7], v[2:3], 0, v[12:13]
	v_cmp_gt_u32_e32 vcc, s33, v0
	s_and_saveexec_b64 s[0:1], vcc
	s_cbranch_execz .LBB1456_238
; %bb.237:
	v_add_u32_e32 v1, v1, v30
	ds_read_b32 v1, v1
	s_waitcnt lgkmcnt(0)
	flat_store_dword v[6:7], v1
.LBB1456_238:
	s_or_b64 exec, exec, s[0:1]
	v_or_b32_e32 v1, 0x100, v0
	v_cmp_gt_u32_e32 vcc, s33, v1
	s_and_saveexec_b64 s[0:1], vcc
	s_cbranch_execz .LBB1456_240
; %bb.239:
	s_waitcnt lgkmcnt(0)
	flat_store_dword v[6:7], v28 offset:1024
.LBB1456_240:
	s_or_b64 exec, exec, s[0:1]
	v_or_b32_e32 v1, 0x200, v0
	v_cmp_gt_u32_e32 vcc, s33, v1
	s_and_saveexec_b64 s[0:1], vcc
	s_cbranch_execz .LBB1456_242
; %bb.241:
	s_waitcnt lgkmcnt(0)
	flat_store_dword v[6:7], v29 offset:2048
.LBB1456_242:
	;; [unrolled: 9-line block ×3, first 2 shown]
	s_or_b64 exec, exec, s[0:1]
	v_or_b32_e32 v1, 0x400, v0
	v_cmp_gt_u32_e32 vcc, s33, v1
	s_and_saveexec_b64 s[0:1], vcc
	s_cbranch_execz .LBB1456_246
; %bb.245:
	s_waitcnt lgkmcnt(0)
	v_add_co_u32_e32 v28, vcc, 0x1000, v6
	s_nop 1
	v_addc_co_u32_e32 v29, vcc, 0, v7, vcc
	flat_store_dword v[28:29], v27
.LBB1456_246:
	s_or_b64 exec, exec, s[0:1]
	v_or_b32_e32 v1, 0x500, v0
	v_cmp_gt_u32_e32 vcc, s33, v1
	s_and_saveexec_b64 s[0:1], vcc
	s_cbranch_execz .LBB1456_248
; %bb.247:
	s_waitcnt lgkmcnt(0)
	v_add_co_u32_e32 v26, vcc, 0x1000, v6
	s_nop 1
	v_addc_co_u32_e32 v27, vcc, 0, v7, vcc
	flat_store_dword v[26:27], v24 offset:1024
.LBB1456_248:
	s_or_b64 exec, exec, s[0:1]
	v_or_b32_e32 v1, 0x600, v0
	v_cmp_gt_u32_e32 vcc, s33, v1
	s_and_saveexec_b64 s[0:1], vcc
	s_cbranch_execz .LBB1456_250
; %bb.249:
	s_waitcnt lgkmcnt(0)
	v_add_co_u32_e32 v26, vcc, 0x1000, v6
	s_nop 1
	v_addc_co_u32_e32 v27, vcc, 0, v7, vcc
	flat_store_dword v[26:27], v25 offset:2048
.LBB1456_250:
	s_or_b64 exec, exec, s[0:1]
	v_or_b32_e32 v1, 0x700, v0
	v_cmp_gt_u32_e32 vcc, s33, v1
	s_and_saveexec_b64 s[0:1], vcc
	s_cbranch_execz .LBB1456_252
; %bb.251:
	s_waitcnt lgkmcnt(0)
	v_add_co_u32_e32 v24, vcc, 0x1000, v6
	s_nop 1
	v_addc_co_u32_e32 v25, vcc, 0, v7, vcc
	flat_store_dword v[24:25], v22 offset:3072
.LBB1456_252:
	s_or_b64 exec, exec, s[0:1]
	v_or_b32_e32 v1, 0x800, v0
	v_cmp_gt_u32_e32 vcc, s33, v1
	s_and_saveexec_b64 s[0:1], vcc
	s_cbranch_execz .LBB1456_254
; %bb.253:
	s_waitcnt lgkmcnt(0)
	v_add_co_u32_e32 v24, vcc, 0x2000, v6
	s_nop 1
	v_addc_co_u32_e32 v25, vcc, 0, v7, vcc
	flat_store_dword v[24:25], v23
.LBB1456_254:
	s_or_b64 exec, exec, s[0:1]
	v_or_b32_e32 v1, 0x900, v0
	v_cmp_gt_u32_e32 vcc, s33, v1
	s_and_saveexec_b64 s[0:1], vcc
	s_cbranch_execz .LBB1456_256
; %bb.255:
	s_waitcnt lgkmcnt(0)
	v_add_co_u32_e32 v22, vcc, 0x2000, v6
	s_nop 1
	v_addc_co_u32_e32 v23, vcc, 0, v7, vcc
	flat_store_dword v[22:23], v20 offset:1024
.LBB1456_256:
	s_or_b64 exec, exec, s[0:1]
	v_or_b32_e32 v1, 0xa00, v0
	v_cmp_gt_u32_e32 vcc, s33, v1
	s_and_saveexec_b64 s[0:1], vcc
	s_cbranch_execz .LBB1456_258
; %bb.257:
	s_waitcnt lgkmcnt(0)
	v_add_co_u32_e32 v22, vcc, 0x2000, v6
	s_nop 1
	v_addc_co_u32_e32 v23, vcc, 0, v7, vcc
	flat_store_dword v[22:23], v21 offset:2048
.LBB1456_258:
	s_or_b64 exec, exec, s[0:1]
	v_or_b32_e32 v1, 0xb00, v0
	v_cmp_gt_u32_e32 vcc, s33, v1
	s_and_saveexec_b64 s[0:1], vcc
	s_cbranch_execz .LBB1456_260
; %bb.259:
	s_waitcnt lgkmcnt(0)
	v_add_co_u32_e32 v20, vcc, 0x2000, v6
	s_nop 1
	v_addc_co_u32_e32 v21, vcc, 0, v7, vcc
	flat_store_dword v[20:21], v18 offset:3072
.LBB1456_260:
	;; [unrolled: 48-line block ×4, first 2 shown]
	s_or_b64 exec, exec, s[0:1]
	v_or_b32_e32 v1, 0x1400, v0
	v_cmp_gt_u32_e32 vcc, s33, v1
	s_and_saveexec_b64 s[0:1], vcc
	s_cbranch_execz .LBB1456_278
; %bb.277:
	s_waitcnt lgkmcnt(0)
	v_add_co_u32_e32 v10, vcc, 0x5000, v6
	s_nop 1
	v_addc_co_u32_e32 v11, vcc, 0, v7, vcc
	flat_store_dword v[10:11], v9
.LBB1456_278:
	s_or_b64 exec, exec, s[0:1]
	v_or_b32_e32 v1, 0x1500, v0
	v_cmp_gt_u32_e32 vcc, s33, v1
	s_and_saveexec_b64 s[0:1], vcc
	s_cbranch_execz .LBB1456_280
; %bb.279:
	v_add_co_u32_e32 v6, vcc, 0x5000, v6
	s_nop 1
	v_addc_co_u32_e32 v7, vcc, 0, v7, vcc
	s_waitcnt lgkmcnt(0)
	flat_store_dword v[6:7], v4 offset:1024
.LBB1456_280:
	s_or_b64 exec, exec, s[0:1]
	s_waitcnt lgkmcnt(0)
	v_or_b32_e32 v4, 0x1600, v0
	v_mov_b32_e32 v1, v13
	v_cmp_gt_u32_e64 s[0:1], s33, v4
	s_branch .LBB1456_283
.LBB1456_281:
	s_mov_b64 s[0:1], 0
                                        ; implicit-def: $vgpr5
	s_cbranch_execz .LBB1456_283
; %bb.282:
	v_mul_u32_u24_e32 v1, 0x5c, v0
	s_barrier
	s_movk_i32 s2, 0x5c
	ds_write2_b32 v1, v31, v74 offset1:1
	ds_write2_b32 v1, v75, v76 offset0:2 offset1:3
	ds_write2_b32 v1, v77, v78 offset0:4 offset1:5
	;; [unrolled: 1-line block ×10, first 2 shown]
	ds_write_b32 v1, v95 offset:88
	v_mov_b32_e32 v1, 0
	v_mul_i32_i24_e32 v4, 0xffffffa8, v0
	v_mad_u32_u24 v4, v0, s2, v4
	v_mov_b32_e32 v13, v1
	s_waitcnt lgkmcnt(0)
	s_barrier
	ds_read2st64_b32 v[6:7], v4 offset1:4
	ds_read2st64_b32 v[8:9], v4 offset0:8 offset1:12
	ds_read2st64_b32 v[10:11], v4 offset0:16 offset1:20
	;; [unrolled: 1-line block ×10, first 2 shown]
	ds_read_b32 v5, v4 offset:22528
	v_lshl_add_u64 v[12:13], v[2:3], 0, v[12:13]
	s_movk_i32 s2, 0x1000
	s_waitcnt lgkmcnt(0)
	flat_store_dword v[12:13], v6
	flat_store_dword v[12:13], v7 offset:1024
	flat_store_dword v[12:13], v8 offset:2048
	flat_store_dword v[12:13], v9 offset:3072
	v_add_co_u32_e32 v6, vcc, s2, v12
	s_movk_i32 s2, 0x2000
	s_nop 0
	v_addc_co_u32_e32 v7, vcc, 0, v13, vcc
	flat_store_dword v[6:7], v10
	flat_store_dword v[6:7], v11 offset:1024
	flat_store_dword v[6:7], v14 offset:2048
	;; [unrolled: 1-line block ×3, first 2 shown]
	v_add_co_u32_e32 v6, vcc, s2, v12
	s_movk_i32 s2, 0x3000
	s_nop 0
	v_addc_co_u32_e32 v7, vcc, 0, v13, vcc
	flat_store_dword v[6:7], v16
	flat_store_dword v[6:7], v17 offset:1024
	flat_store_dword v[6:7], v18 offset:2048
	;; [unrolled: 1-line block ×3, first 2 shown]
	v_add_co_u32_e32 v6, vcc, s2, v12
	s_or_b64 s[0:1], s[0:1], exec
	s_nop 0
	v_addc_co_u32_e32 v7, vcc, 0, v13, vcc
	flat_store_dword v[6:7], v20
	flat_store_dword v[6:7], v21 offset:1024
	flat_store_dword v[6:7], v22 offset:2048
	flat_store_dword v[6:7], v23 offset:3072
	v_add_co_u32_e32 v6, vcc, 0x4000, v12
	s_nop 1
	v_addc_co_u32_e32 v7, vcc, 0, v13, vcc
	flat_store_dword v[6:7], v24
	flat_store_dword v[6:7], v25 offset:1024
	flat_store_dword v[6:7], v26 offset:2048
	;; [unrolled: 1-line block ×3, first 2 shown]
	v_add_co_u32_e32 v6, vcc, 0x5000, v12
	s_nop 1
	v_addc_co_u32_e32 v7, vcc, 0, v13, vcc
	flat_store_dword v[6:7], v28
	flat_store_dword v[6:7], v29 offset:1024
.LBB1456_283:
	s_and_saveexec_b64 s[2:3], s[0:1]
	s_cbranch_execz .LBB1456_285
; %bb.284:
	v_lshl_add_u64 v[0:1], v[0:1], 2, v[2:3]
	v_add_co_u32_e32 v0, vcc, 0x5000, v0
	s_nop 1
	v_addc_co_u32_e32 v1, vcc, 0, v1, vcc
	flat_store_dword v[0:1], v5 offset:2048
	s_endpgm
.LBB1456_285:
	s_endpgm
	.section	.rodata,"a",@progbits
	.p2align	6, 0x0
	.amdhsa_kernel _ZN7rocprim17ROCPRIM_400000_NS6detail17trampoline_kernelINS0_14default_configENS1_27scan_by_key_config_selectorIifEEZZNS1_16scan_by_key_implILNS1_25lookback_scan_determinismE0ELb1ES3_N6thrust23THRUST_200600_302600_NS6detail15normal_iteratorINS9_10device_ptrIiEEEENSB_INSC_IfEEEESG_fNS9_4plusIvEENS9_8equal_toIvEEfEE10hipError_tPvRmT2_T3_T4_T5_mT6_T7_P12ihipStream_tbENKUlT_T0_E_clISt17integral_constantIbLb0EES10_IbLb1EEEEDaSW_SX_EUlSW_E_NS1_11comp_targetILNS1_3genE5ELNS1_11target_archE942ELNS1_3gpuE9ELNS1_3repE0EEENS1_30default_config_static_selectorELNS0_4arch9wavefront6targetE1EEEvT1_
		.amdhsa_group_segment_fixed_size 25600
		.amdhsa_private_segment_fixed_size 0
		.amdhsa_kernarg_size 112
		.amdhsa_user_sgpr_count 2
		.amdhsa_user_sgpr_dispatch_ptr 0
		.amdhsa_user_sgpr_queue_ptr 0
		.amdhsa_user_sgpr_kernarg_segment_ptr 1
		.amdhsa_user_sgpr_dispatch_id 0
		.amdhsa_user_sgpr_kernarg_preload_length 0
		.amdhsa_user_sgpr_kernarg_preload_offset 0
		.amdhsa_user_sgpr_private_segment_size 0
		.amdhsa_uses_dynamic_stack 0
		.amdhsa_enable_private_segment 0
		.amdhsa_system_sgpr_workgroup_id_x 1
		.amdhsa_system_sgpr_workgroup_id_y 0
		.amdhsa_system_sgpr_workgroup_id_z 0
		.amdhsa_system_sgpr_workgroup_info 0
		.amdhsa_system_vgpr_workitem_id 0
		.amdhsa_next_free_vgpr 96
		.amdhsa_next_free_sgpr 80
		.amdhsa_accum_offset 96
		.amdhsa_reserve_vcc 1
		.amdhsa_float_round_mode_32 0
		.amdhsa_float_round_mode_16_64 0
		.amdhsa_float_denorm_mode_32 3
		.amdhsa_float_denorm_mode_16_64 3
		.amdhsa_dx10_clamp 1
		.amdhsa_ieee_mode 1
		.amdhsa_fp16_overflow 0
		.amdhsa_tg_split 0
		.amdhsa_exception_fp_ieee_invalid_op 0
		.amdhsa_exception_fp_denorm_src 0
		.amdhsa_exception_fp_ieee_div_zero 0
		.amdhsa_exception_fp_ieee_overflow 0
		.amdhsa_exception_fp_ieee_underflow 0
		.amdhsa_exception_fp_ieee_inexact 0
		.amdhsa_exception_int_div_zero 0
	.end_amdhsa_kernel
	.section	.text._ZN7rocprim17ROCPRIM_400000_NS6detail17trampoline_kernelINS0_14default_configENS1_27scan_by_key_config_selectorIifEEZZNS1_16scan_by_key_implILNS1_25lookback_scan_determinismE0ELb1ES3_N6thrust23THRUST_200600_302600_NS6detail15normal_iteratorINS9_10device_ptrIiEEEENSB_INSC_IfEEEESG_fNS9_4plusIvEENS9_8equal_toIvEEfEE10hipError_tPvRmT2_T3_T4_T5_mT6_T7_P12ihipStream_tbENKUlT_T0_E_clISt17integral_constantIbLb0EES10_IbLb1EEEEDaSW_SX_EUlSW_E_NS1_11comp_targetILNS1_3genE5ELNS1_11target_archE942ELNS1_3gpuE9ELNS1_3repE0EEENS1_30default_config_static_selectorELNS0_4arch9wavefront6targetE1EEEvT1_,"axG",@progbits,_ZN7rocprim17ROCPRIM_400000_NS6detail17trampoline_kernelINS0_14default_configENS1_27scan_by_key_config_selectorIifEEZZNS1_16scan_by_key_implILNS1_25lookback_scan_determinismE0ELb1ES3_N6thrust23THRUST_200600_302600_NS6detail15normal_iteratorINS9_10device_ptrIiEEEENSB_INSC_IfEEEESG_fNS9_4plusIvEENS9_8equal_toIvEEfEE10hipError_tPvRmT2_T3_T4_T5_mT6_T7_P12ihipStream_tbENKUlT_T0_E_clISt17integral_constantIbLb0EES10_IbLb1EEEEDaSW_SX_EUlSW_E_NS1_11comp_targetILNS1_3genE5ELNS1_11target_archE942ELNS1_3gpuE9ELNS1_3repE0EEENS1_30default_config_static_selectorELNS0_4arch9wavefront6targetE1EEEvT1_,comdat
.Lfunc_end1456:
	.size	_ZN7rocprim17ROCPRIM_400000_NS6detail17trampoline_kernelINS0_14default_configENS1_27scan_by_key_config_selectorIifEEZZNS1_16scan_by_key_implILNS1_25lookback_scan_determinismE0ELb1ES3_N6thrust23THRUST_200600_302600_NS6detail15normal_iteratorINS9_10device_ptrIiEEEENSB_INSC_IfEEEESG_fNS9_4plusIvEENS9_8equal_toIvEEfEE10hipError_tPvRmT2_T3_T4_T5_mT6_T7_P12ihipStream_tbENKUlT_T0_E_clISt17integral_constantIbLb0EES10_IbLb1EEEEDaSW_SX_EUlSW_E_NS1_11comp_targetILNS1_3genE5ELNS1_11target_archE942ELNS1_3gpuE9ELNS1_3repE0EEENS1_30default_config_static_selectorELNS0_4arch9wavefront6targetE1EEEvT1_, .Lfunc_end1456-_ZN7rocprim17ROCPRIM_400000_NS6detail17trampoline_kernelINS0_14default_configENS1_27scan_by_key_config_selectorIifEEZZNS1_16scan_by_key_implILNS1_25lookback_scan_determinismE0ELb1ES3_N6thrust23THRUST_200600_302600_NS6detail15normal_iteratorINS9_10device_ptrIiEEEENSB_INSC_IfEEEESG_fNS9_4plusIvEENS9_8equal_toIvEEfEE10hipError_tPvRmT2_T3_T4_T5_mT6_T7_P12ihipStream_tbENKUlT_T0_E_clISt17integral_constantIbLb0EES10_IbLb1EEEEDaSW_SX_EUlSW_E_NS1_11comp_targetILNS1_3genE5ELNS1_11target_archE942ELNS1_3gpuE9ELNS1_3repE0EEENS1_30default_config_static_selectorELNS0_4arch9wavefront6targetE1EEEvT1_
                                        ; -- End function
	.section	.AMDGPU.csdata,"",@progbits
; Kernel info:
; codeLenInByte = 16436
; NumSgprs: 86
; NumVgprs: 96
; NumAgprs: 0
; TotalNumVgprs: 96
; ScratchSize: 0
; MemoryBound: 0
; FloatMode: 240
; IeeeMode: 1
; LDSByteSize: 25600 bytes/workgroup (compile time only)
; SGPRBlocks: 10
; VGPRBlocks: 11
; NumSGPRsForWavesPerEU: 86
; NumVGPRsForWavesPerEU: 96
; AccumOffset: 96
; Occupancy: 2
; WaveLimiterHint : 1
; COMPUTE_PGM_RSRC2:SCRATCH_EN: 0
; COMPUTE_PGM_RSRC2:USER_SGPR: 2
; COMPUTE_PGM_RSRC2:TRAP_HANDLER: 0
; COMPUTE_PGM_RSRC2:TGID_X_EN: 1
; COMPUTE_PGM_RSRC2:TGID_Y_EN: 0
; COMPUTE_PGM_RSRC2:TGID_Z_EN: 0
; COMPUTE_PGM_RSRC2:TIDIG_COMP_CNT: 0
; COMPUTE_PGM_RSRC3_GFX90A:ACCUM_OFFSET: 23
; COMPUTE_PGM_RSRC3_GFX90A:TG_SPLIT: 0
	.section	.text._ZN7rocprim17ROCPRIM_400000_NS6detail17trampoline_kernelINS0_14default_configENS1_27scan_by_key_config_selectorIifEEZZNS1_16scan_by_key_implILNS1_25lookback_scan_determinismE0ELb1ES3_N6thrust23THRUST_200600_302600_NS6detail15normal_iteratorINS9_10device_ptrIiEEEENSB_INSC_IfEEEESG_fNS9_4plusIvEENS9_8equal_toIvEEfEE10hipError_tPvRmT2_T3_T4_T5_mT6_T7_P12ihipStream_tbENKUlT_T0_E_clISt17integral_constantIbLb0EES10_IbLb1EEEEDaSW_SX_EUlSW_E_NS1_11comp_targetILNS1_3genE4ELNS1_11target_archE910ELNS1_3gpuE8ELNS1_3repE0EEENS1_30default_config_static_selectorELNS0_4arch9wavefront6targetE1EEEvT1_,"axG",@progbits,_ZN7rocprim17ROCPRIM_400000_NS6detail17trampoline_kernelINS0_14default_configENS1_27scan_by_key_config_selectorIifEEZZNS1_16scan_by_key_implILNS1_25lookback_scan_determinismE0ELb1ES3_N6thrust23THRUST_200600_302600_NS6detail15normal_iteratorINS9_10device_ptrIiEEEENSB_INSC_IfEEEESG_fNS9_4plusIvEENS9_8equal_toIvEEfEE10hipError_tPvRmT2_T3_T4_T5_mT6_T7_P12ihipStream_tbENKUlT_T0_E_clISt17integral_constantIbLb0EES10_IbLb1EEEEDaSW_SX_EUlSW_E_NS1_11comp_targetILNS1_3genE4ELNS1_11target_archE910ELNS1_3gpuE8ELNS1_3repE0EEENS1_30default_config_static_selectorELNS0_4arch9wavefront6targetE1EEEvT1_,comdat
	.protected	_ZN7rocprim17ROCPRIM_400000_NS6detail17trampoline_kernelINS0_14default_configENS1_27scan_by_key_config_selectorIifEEZZNS1_16scan_by_key_implILNS1_25lookback_scan_determinismE0ELb1ES3_N6thrust23THRUST_200600_302600_NS6detail15normal_iteratorINS9_10device_ptrIiEEEENSB_INSC_IfEEEESG_fNS9_4plusIvEENS9_8equal_toIvEEfEE10hipError_tPvRmT2_T3_T4_T5_mT6_T7_P12ihipStream_tbENKUlT_T0_E_clISt17integral_constantIbLb0EES10_IbLb1EEEEDaSW_SX_EUlSW_E_NS1_11comp_targetILNS1_3genE4ELNS1_11target_archE910ELNS1_3gpuE8ELNS1_3repE0EEENS1_30default_config_static_selectorELNS0_4arch9wavefront6targetE1EEEvT1_ ; -- Begin function _ZN7rocprim17ROCPRIM_400000_NS6detail17trampoline_kernelINS0_14default_configENS1_27scan_by_key_config_selectorIifEEZZNS1_16scan_by_key_implILNS1_25lookback_scan_determinismE0ELb1ES3_N6thrust23THRUST_200600_302600_NS6detail15normal_iteratorINS9_10device_ptrIiEEEENSB_INSC_IfEEEESG_fNS9_4plusIvEENS9_8equal_toIvEEfEE10hipError_tPvRmT2_T3_T4_T5_mT6_T7_P12ihipStream_tbENKUlT_T0_E_clISt17integral_constantIbLb0EES10_IbLb1EEEEDaSW_SX_EUlSW_E_NS1_11comp_targetILNS1_3genE4ELNS1_11target_archE910ELNS1_3gpuE8ELNS1_3repE0EEENS1_30default_config_static_selectorELNS0_4arch9wavefront6targetE1EEEvT1_
	.globl	_ZN7rocprim17ROCPRIM_400000_NS6detail17trampoline_kernelINS0_14default_configENS1_27scan_by_key_config_selectorIifEEZZNS1_16scan_by_key_implILNS1_25lookback_scan_determinismE0ELb1ES3_N6thrust23THRUST_200600_302600_NS6detail15normal_iteratorINS9_10device_ptrIiEEEENSB_INSC_IfEEEESG_fNS9_4plusIvEENS9_8equal_toIvEEfEE10hipError_tPvRmT2_T3_T4_T5_mT6_T7_P12ihipStream_tbENKUlT_T0_E_clISt17integral_constantIbLb0EES10_IbLb1EEEEDaSW_SX_EUlSW_E_NS1_11comp_targetILNS1_3genE4ELNS1_11target_archE910ELNS1_3gpuE8ELNS1_3repE0EEENS1_30default_config_static_selectorELNS0_4arch9wavefront6targetE1EEEvT1_
	.p2align	8
	.type	_ZN7rocprim17ROCPRIM_400000_NS6detail17trampoline_kernelINS0_14default_configENS1_27scan_by_key_config_selectorIifEEZZNS1_16scan_by_key_implILNS1_25lookback_scan_determinismE0ELb1ES3_N6thrust23THRUST_200600_302600_NS6detail15normal_iteratorINS9_10device_ptrIiEEEENSB_INSC_IfEEEESG_fNS9_4plusIvEENS9_8equal_toIvEEfEE10hipError_tPvRmT2_T3_T4_T5_mT6_T7_P12ihipStream_tbENKUlT_T0_E_clISt17integral_constantIbLb0EES10_IbLb1EEEEDaSW_SX_EUlSW_E_NS1_11comp_targetILNS1_3genE4ELNS1_11target_archE910ELNS1_3gpuE8ELNS1_3repE0EEENS1_30default_config_static_selectorELNS0_4arch9wavefront6targetE1EEEvT1_,@function
_ZN7rocprim17ROCPRIM_400000_NS6detail17trampoline_kernelINS0_14default_configENS1_27scan_by_key_config_selectorIifEEZZNS1_16scan_by_key_implILNS1_25lookback_scan_determinismE0ELb1ES3_N6thrust23THRUST_200600_302600_NS6detail15normal_iteratorINS9_10device_ptrIiEEEENSB_INSC_IfEEEESG_fNS9_4plusIvEENS9_8equal_toIvEEfEE10hipError_tPvRmT2_T3_T4_T5_mT6_T7_P12ihipStream_tbENKUlT_T0_E_clISt17integral_constantIbLb0EES10_IbLb1EEEEDaSW_SX_EUlSW_E_NS1_11comp_targetILNS1_3genE4ELNS1_11target_archE910ELNS1_3gpuE8ELNS1_3repE0EEENS1_30default_config_static_selectorELNS0_4arch9wavefront6targetE1EEEvT1_: ; @_ZN7rocprim17ROCPRIM_400000_NS6detail17trampoline_kernelINS0_14default_configENS1_27scan_by_key_config_selectorIifEEZZNS1_16scan_by_key_implILNS1_25lookback_scan_determinismE0ELb1ES3_N6thrust23THRUST_200600_302600_NS6detail15normal_iteratorINS9_10device_ptrIiEEEENSB_INSC_IfEEEESG_fNS9_4plusIvEENS9_8equal_toIvEEfEE10hipError_tPvRmT2_T3_T4_T5_mT6_T7_P12ihipStream_tbENKUlT_T0_E_clISt17integral_constantIbLb0EES10_IbLb1EEEEDaSW_SX_EUlSW_E_NS1_11comp_targetILNS1_3genE4ELNS1_11target_archE910ELNS1_3gpuE8ELNS1_3repE0EEENS1_30default_config_static_selectorELNS0_4arch9wavefront6targetE1EEEvT1_
; %bb.0:
	.section	.rodata,"a",@progbits
	.p2align	6, 0x0
	.amdhsa_kernel _ZN7rocprim17ROCPRIM_400000_NS6detail17trampoline_kernelINS0_14default_configENS1_27scan_by_key_config_selectorIifEEZZNS1_16scan_by_key_implILNS1_25lookback_scan_determinismE0ELb1ES3_N6thrust23THRUST_200600_302600_NS6detail15normal_iteratorINS9_10device_ptrIiEEEENSB_INSC_IfEEEESG_fNS9_4plusIvEENS9_8equal_toIvEEfEE10hipError_tPvRmT2_T3_T4_T5_mT6_T7_P12ihipStream_tbENKUlT_T0_E_clISt17integral_constantIbLb0EES10_IbLb1EEEEDaSW_SX_EUlSW_E_NS1_11comp_targetILNS1_3genE4ELNS1_11target_archE910ELNS1_3gpuE8ELNS1_3repE0EEENS1_30default_config_static_selectorELNS0_4arch9wavefront6targetE1EEEvT1_
		.amdhsa_group_segment_fixed_size 0
		.amdhsa_private_segment_fixed_size 0
		.amdhsa_kernarg_size 112
		.amdhsa_user_sgpr_count 2
		.amdhsa_user_sgpr_dispatch_ptr 0
		.amdhsa_user_sgpr_queue_ptr 0
		.amdhsa_user_sgpr_kernarg_segment_ptr 1
		.amdhsa_user_sgpr_dispatch_id 0
		.amdhsa_user_sgpr_kernarg_preload_length 0
		.amdhsa_user_sgpr_kernarg_preload_offset 0
		.amdhsa_user_sgpr_private_segment_size 0
		.amdhsa_uses_dynamic_stack 0
		.amdhsa_enable_private_segment 0
		.amdhsa_system_sgpr_workgroup_id_x 1
		.amdhsa_system_sgpr_workgroup_id_y 0
		.amdhsa_system_sgpr_workgroup_id_z 0
		.amdhsa_system_sgpr_workgroup_info 0
		.amdhsa_system_vgpr_workitem_id 0
		.amdhsa_next_free_vgpr 1
		.amdhsa_next_free_sgpr 0
		.amdhsa_accum_offset 4
		.amdhsa_reserve_vcc 0
		.amdhsa_float_round_mode_32 0
		.amdhsa_float_round_mode_16_64 0
		.amdhsa_float_denorm_mode_32 3
		.amdhsa_float_denorm_mode_16_64 3
		.amdhsa_dx10_clamp 1
		.amdhsa_ieee_mode 1
		.amdhsa_fp16_overflow 0
		.amdhsa_tg_split 0
		.amdhsa_exception_fp_ieee_invalid_op 0
		.amdhsa_exception_fp_denorm_src 0
		.amdhsa_exception_fp_ieee_div_zero 0
		.amdhsa_exception_fp_ieee_overflow 0
		.amdhsa_exception_fp_ieee_underflow 0
		.amdhsa_exception_fp_ieee_inexact 0
		.amdhsa_exception_int_div_zero 0
	.end_amdhsa_kernel
	.section	.text._ZN7rocprim17ROCPRIM_400000_NS6detail17trampoline_kernelINS0_14default_configENS1_27scan_by_key_config_selectorIifEEZZNS1_16scan_by_key_implILNS1_25lookback_scan_determinismE0ELb1ES3_N6thrust23THRUST_200600_302600_NS6detail15normal_iteratorINS9_10device_ptrIiEEEENSB_INSC_IfEEEESG_fNS9_4plusIvEENS9_8equal_toIvEEfEE10hipError_tPvRmT2_T3_T4_T5_mT6_T7_P12ihipStream_tbENKUlT_T0_E_clISt17integral_constantIbLb0EES10_IbLb1EEEEDaSW_SX_EUlSW_E_NS1_11comp_targetILNS1_3genE4ELNS1_11target_archE910ELNS1_3gpuE8ELNS1_3repE0EEENS1_30default_config_static_selectorELNS0_4arch9wavefront6targetE1EEEvT1_,"axG",@progbits,_ZN7rocprim17ROCPRIM_400000_NS6detail17trampoline_kernelINS0_14default_configENS1_27scan_by_key_config_selectorIifEEZZNS1_16scan_by_key_implILNS1_25lookback_scan_determinismE0ELb1ES3_N6thrust23THRUST_200600_302600_NS6detail15normal_iteratorINS9_10device_ptrIiEEEENSB_INSC_IfEEEESG_fNS9_4plusIvEENS9_8equal_toIvEEfEE10hipError_tPvRmT2_T3_T4_T5_mT6_T7_P12ihipStream_tbENKUlT_T0_E_clISt17integral_constantIbLb0EES10_IbLb1EEEEDaSW_SX_EUlSW_E_NS1_11comp_targetILNS1_3genE4ELNS1_11target_archE910ELNS1_3gpuE8ELNS1_3repE0EEENS1_30default_config_static_selectorELNS0_4arch9wavefront6targetE1EEEvT1_,comdat
.Lfunc_end1457:
	.size	_ZN7rocprim17ROCPRIM_400000_NS6detail17trampoline_kernelINS0_14default_configENS1_27scan_by_key_config_selectorIifEEZZNS1_16scan_by_key_implILNS1_25lookback_scan_determinismE0ELb1ES3_N6thrust23THRUST_200600_302600_NS6detail15normal_iteratorINS9_10device_ptrIiEEEENSB_INSC_IfEEEESG_fNS9_4plusIvEENS9_8equal_toIvEEfEE10hipError_tPvRmT2_T3_T4_T5_mT6_T7_P12ihipStream_tbENKUlT_T0_E_clISt17integral_constantIbLb0EES10_IbLb1EEEEDaSW_SX_EUlSW_E_NS1_11comp_targetILNS1_3genE4ELNS1_11target_archE910ELNS1_3gpuE8ELNS1_3repE0EEENS1_30default_config_static_selectorELNS0_4arch9wavefront6targetE1EEEvT1_, .Lfunc_end1457-_ZN7rocprim17ROCPRIM_400000_NS6detail17trampoline_kernelINS0_14default_configENS1_27scan_by_key_config_selectorIifEEZZNS1_16scan_by_key_implILNS1_25lookback_scan_determinismE0ELb1ES3_N6thrust23THRUST_200600_302600_NS6detail15normal_iteratorINS9_10device_ptrIiEEEENSB_INSC_IfEEEESG_fNS9_4plusIvEENS9_8equal_toIvEEfEE10hipError_tPvRmT2_T3_T4_T5_mT6_T7_P12ihipStream_tbENKUlT_T0_E_clISt17integral_constantIbLb0EES10_IbLb1EEEEDaSW_SX_EUlSW_E_NS1_11comp_targetILNS1_3genE4ELNS1_11target_archE910ELNS1_3gpuE8ELNS1_3repE0EEENS1_30default_config_static_selectorELNS0_4arch9wavefront6targetE1EEEvT1_
                                        ; -- End function
	.section	.AMDGPU.csdata,"",@progbits
; Kernel info:
; codeLenInByte = 0
; NumSgprs: 6
; NumVgprs: 0
; NumAgprs: 0
; TotalNumVgprs: 0
; ScratchSize: 0
; MemoryBound: 0
; FloatMode: 240
; IeeeMode: 1
; LDSByteSize: 0 bytes/workgroup (compile time only)
; SGPRBlocks: 0
; VGPRBlocks: 0
; NumSGPRsForWavesPerEU: 6
; NumVGPRsForWavesPerEU: 1
; AccumOffset: 4
; Occupancy: 8
; WaveLimiterHint : 0
; COMPUTE_PGM_RSRC2:SCRATCH_EN: 0
; COMPUTE_PGM_RSRC2:USER_SGPR: 2
; COMPUTE_PGM_RSRC2:TRAP_HANDLER: 0
; COMPUTE_PGM_RSRC2:TGID_X_EN: 1
; COMPUTE_PGM_RSRC2:TGID_Y_EN: 0
; COMPUTE_PGM_RSRC2:TGID_Z_EN: 0
; COMPUTE_PGM_RSRC2:TIDIG_COMP_CNT: 0
; COMPUTE_PGM_RSRC3_GFX90A:ACCUM_OFFSET: 0
; COMPUTE_PGM_RSRC3_GFX90A:TG_SPLIT: 0
	.section	.text._ZN7rocprim17ROCPRIM_400000_NS6detail17trampoline_kernelINS0_14default_configENS1_27scan_by_key_config_selectorIifEEZZNS1_16scan_by_key_implILNS1_25lookback_scan_determinismE0ELb1ES3_N6thrust23THRUST_200600_302600_NS6detail15normal_iteratorINS9_10device_ptrIiEEEENSB_INSC_IfEEEESG_fNS9_4plusIvEENS9_8equal_toIvEEfEE10hipError_tPvRmT2_T3_T4_T5_mT6_T7_P12ihipStream_tbENKUlT_T0_E_clISt17integral_constantIbLb0EES10_IbLb1EEEEDaSW_SX_EUlSW_E_NS1_11comp_targetILNS1_3genE3ELNS1_11target_archE908ELNS1_3gpuE7ELNS1_3repE0EEENS1_30default_config_static_selectorELNS0_4arch9wavefront6targetE1EEEvT1_,"axG",@progbits,_ZN7rocprim17ROCPRIM_400000_NS6detail17trampoline_kernelINS0_14default_configENS1_27scan_by_key_config_selectorIifEEZZNS1_16scan_by_key_implILNS1_25lookback_scan_determinismE0ELb1ES3_N6thrust23THRUST_200600_302600_NS6detail15normal_iteratorINS9_10device_ptrIiEEEENSB_INSC_IfEEEESG_fNS9_4plusIvEENS9_8equal_toIvEEfEE10hipError_tPvRmT2_T3_T4_T5_mT6_T7_P12ihipStream_tbENKUlT_T0_E_clISt17integral_constantIbLb0EES10_IbLb1EEEEDaSW_SX_EUlSW_E_NS1_11comp_targetILNS1_3genE3ELNS1_11target_archE908ELNS1_3gpuE7ELNS1_3repE0EEENS1_30default_config_static_selectorELNS0_4arch9wavefront6targetE1EEEvT1_,comdat
	.protected	_ZN7rocprim17ROCPRIM_400000_NS6detail17trampoline_kernelINS0_14default_configENS1_27scan_by_key_config_selectorIifEEZZNS1_16scan_by_key_implILNS1_25lookback_scan_determinismE0ELb1ES3_N6thrust23THRUST_200600_302600_NS6detail15normal_iteratorINS9_10device_ptrIiEEEENSB_INSC_IfEEEESG_fNS9_4plusIvEENS9_8equal_toIvEEfEE10hipError_tPvRmT2_T3_T4_T5_mT6_T7_P12ihipStream_tbENKUlT_T0_E_clISt17integral_constantIbLb0EES10_IbLb1EEEEDaSW_SX_EUlSW_E_NS1_11comp_targetILNS1_3genE3ELNS1_11target_archE908ELNS1_3gpuE7ELNS1_3repE0EEENS1_30default_config_static_selectorELNS0_4arch9wavefront6targetE1EEEvT1_ ; -- Begin function _ZN7rocprim17ROCPRIM_400000_NS6detail17trampoline_kernelINS0_14default_configENS1_27scan_by_key_config_selectorIifEEZZNS1_16scan_by_key_implILNS1_25lookback_scan_determinismE0ELb1ES3_N6thrust23THRUST_200600_302600_NS6detail15normal_iteratorINS9_10device_ptrIiEEEENSB_INSC_IfEEEESG_fNS9_4plusIvEENS9_8equal_toIvEEfEE10hipError_tPvRmT2_T3_T4_T5_mT6_T7_P12ihipStream_tbENKUlT_T0_E_clISt17integral_constantIbLb0EES10_IbLb1EEEEDaSW_SX_EUlSW_E_NS1_11comp_targetILNS1_3genE3ELNS1_11target_archE908ELNS1_3gpuE7ELNS1_3repE0EEENS1_30default_config_static_selectorELNS0_4arch9wavefront6targetE1EEEvT1_
	.globl	_ZN7rocprim17ROCPRIM_400000_NS6detail17trampoline_kernelINS0_14default_configENS1_27scan_by_key_config_selectorIifEEZZNS1_16scan_by_key_implILNS1_25lookback_scan_determinismE0ELb1ES3_N6thrust23THRUST_200600_302600_NS6detail15normal_iteratorINS9_10device_ptrIiEEEENSB_INSC_IfEEEESG_fNS9_4plusIvEENS9_8equal_toIvEEfEE10hipError_tPvRmT2_T3_T4_T5_mT6_T7_P12ihipStream_tbENKUlT_T0_E_clISt17integral_constantIbLb0EES10_IbLb1EEEEDaSW_SX_EUlSW_E_NS1_11comp_targetILNS1_3genE3ELNS1_11target_archE908ELNS1_3gpuE7ELNS1_3repE0EEENS1_30default_config_static_selectorELNS0_4arch9wavefront6targetE1EEEvT1_
	.p2align	8
	.type	_ZN7rocprim17ROCPRIM_400000_NS6detail17trampoline_kernelINS0_14default_configENS1_27scan_by_key_config_selectorIifEEZZNS1_16scan_by_key_implILNS1_25lookback_scan_determinismE0ELb1ES3_N6thrust23THRUST_200600_302600_NS6detail15normal_iteratorINS9_10device_ptrIiEEEENSB_INSC_IfEEEESG_fNS9_4plusIvEENS9_8equal_toIvEEfEE10hipError_tPvRmT2_T3_T4_T5_mT6_T7_P12ihipStream_tbENKUlT_T0_E_clISt17integral_constantIbLb0EES10_IbLb1EEEEDaSW_SX_EUlSW_E_NS1_11comp_targetILNS1_3genE3ELNS1_11target_archE908ELNS1_3gpuE7ELNS1_3repE0EEENS1_30default_config_static_selectorELNS0_4arch9wavefront6targetE1EEEvT1_,@function
_ZN7rocprim17ROCPRIM_400000_NS6detail17trampoline_kernelINS0_14default_configENS1_27scan_by_key_config_selectorIifEEZZNS1_16scan_by_key_implILNS1_25lookback_scan_determinismE0ELb1ES3_N6thrust23THRUST_200600_302600_NS6detail15normal_iteratorINS9_10device_ptrIiEEEENSB_INSC_IfEEEESG_fNS9_4plusIvEENS9_8equal_toIvEEfEE10hipError_tPvRmT2_T3_T4_T5_mT6_T7_P12ihipStream_tbENKUlT_T0_E_clISt17integral_constantIbLb0EES10_IbLb1EEEEDaSW_SX_EUlSW_E_NS1_11comp_targetILNS1_3genE3ELNS1_11target_archE908ELNS1_3gpuE7ELNS1_3repE0EEENS1_30default_config_static_selectorELNS0_4arch9wavefront6targetE1EEEvT1_: ; @_ZN7rocprim17ROCPRIM_400000_NS6detail17trampoline_kernelINS0_14default_configENS1_27scan_by_key_config_selectorIifEEZZNS1_16scan_by_key_implILNS1_25lookback_scan_determinismE0ELb1ES3_N6thrust23THRUST_200600_302600_NS6detail15normal_iteratorINS9_10device_ptrIiEEEENSB_INSC_IfEEEESG_fNS9_4plusIvEENS9_8equal_toIvEEfEE10hipError_tPvRmT2_T3_T4_T5_mT6_T7_P12ihipStream_tbENKUlT_T0_E_clISt17integral_constantIbLb0EES10_IbLb1EEEEDaSW_SX_EUlSW_E_NS1_11comp_targetILNS1_3genE3ELNS1_11target_archE908ELNS1_3gpuE7ELNS1_3repE0EEENS1_30default_config_static_selectorELNS0_4arch9wavefront6targetE1EEEvT1_
; %bb.0:
	.section	.rodata,"a",@progbits
	.p2align	6, 0x0
	.amdhsa_kernel _ZN7rocprim17ROCPRIM_400000_NS6detail17trampoline_kernelINS0_14default_configENS1_27scan_by_key_config_selectorIifEEZZNS1_16scan_by_key_implILNS1_25lookback_scan_determinismE0ELb1ES3_N6thrust23THRUST_200600_302600_NS6detail15normal_iteratorINS9_10device_ptrIiEEEENSB_INSC_IfEEEESG_fNS9_4plusIvEENS9_8equal_toIvEEfEE10hipError_tPvRmT2_T3_T4_T5_mT6_T7_P12ihipStream_tbENKUlT_T0_E_clISt17integral_constantIbLb0EES10_IbLb1EEEEDaSW_SX_EUlSW_E_NS1_11comp_targetILNS1_3genE3ELNS1_11target_archE908ELNS1_3gpuE7ELNS1_3repE0EEENS1_30default_config_static_selectorELNS0_4arch9wavefront6targetE1EEEvT1_
		.amdhsa_group_segment_fixed_size 0
		.amdhsa_private_segment_fixed_size 0
		.amdhsa_kernarg_size 112
		.amdhsa_user_sgpr_count 2
		.amdhsa_user_sgpr_dispatch_ptr 0
		.amdhsa_user_sgpr_queue_ptr 0
		.amdhsa_user_sgpr_kernarg_segment_ptr 1
		.amdhsa_user_sgpr_dispatch_id 0
		.amdhsa_user_sgpr_kernarg_preload_length 0
		.amdhsa_user_sgpr_kernarg_preload_offset 0
		.amdhsa_user_sgpr_private_segment_size 0
		.amdhsa_uses_dynamic_stack 0
		.amdhsa_enable_private_segment 0
		.amdhsa_system_sgpr_workgroup_id_x 1
		.amdhsa_system_sgpr_workgroup_id_y 0
		.amdhsa_system_sgpr_workgroup_id_z 0
		.amdhsa_system_sgpr_workgroup_info 0
		.amdhsa_system_vgpr_workitem_id 0
		.amdhsa_next_free_vgpr 1
		.amdhsa_next_free_sgpr 0
		.amdhsa_accum_offset 4
		.amdhsa_reserve_vcc 0
		.amdhsa_float_round_mode_32 0
		.amdhsa_float_round_mode_16_64 0
		.amdhsa_float_denorm_mode_32 3
		.amdhsa_float_denorm_mode_16_64 3
		.amdhsa_dx10_clamp 1
		.amdhsa_ieee_mode 1
		.amdhsa_fp16_overflow 0
		.amdhsa_tg_split 0
		.amdhsa_exception_fp_ieee_invalid_op 0
		.amdhsa_exception_fp_denorm_src 0
		.amdhsa_exception_fp_ieee_div_zero 0
		.amdhsa_exception_fp_ieee_overflow 0
		.amdhsa_exception_fp_ieee_underflow 0
		.amdhsa_exception_fp_ieee_inexact 0
		.amdhsa_exception_int_div_zero 0
	.end_amdhsa_kernel
	.section	.text._ZN7rocprim17ROCPRIM_400000_NS6detail17trampoline_kernelINS0_14default_configENS1_27scan_by_key_config_selectorIifEEZZNS1_16scan_by_key_implILNS1_25lookback_scan_determinismE0ELb1ES3_N6thrust23THRUST_200600_302600_NS6detail15normal_iteratorINS9_10device_ptrIiEEEENSB_INSC_IfEEEESG_fNS9_4plusIvEENS9_8equal_toIvEEfEE10hipError_tPvRmT2_T3_T4_T5_mT6_T7_P12ihipStream_tbENKUlT_T0_E_clISt17integral_constantIbLb0EES10_IbLb1EEEEDaSW_SX_EUlSW_E_NS1_11comp_targetILNS1_3genE3ELNS1_11target_archE908ELNS1_3gpuE7ELNS1_3repE0EEENS1_30default_config_static_selectorELNS0_4arch9wavefront6targetE1EEEvT1_,"axG",@progbits,_ZN7rocprim17ROCPRIM_400000_NS6detail17trampoline_kernelINS0_14default_configENS1_27scan_by_key_config_selectorIifEEZZNS1_16scan_by_key_implILNS1_25lookback_scan_determinismE0ELb1ES3_N6thrust23THRUST_200600_302600_NS6detail15normal_iteratorINS9_10device_ptrIiEEEENSB_INSC_IfEEEESG_fNS9_4plusIvEENS9_8equal_toIvEEfEE10hipError_tPvRmT2_T3_T4_T5_mT6_T7_P12ihipStream_tbENKUlT_T0_E_clISt17integral_constantIbLb0EES10_IbLb1EEEEDaSW_SX_EUlSW_E_NS1_11comp_targetILNS1_3genE3ELNS1_11target_archE908ELNS1_3gpuE7ELNS1_3repE0EEENS1_30default_config_static_selectorELNS0_4arch9wavefront6targetE1EEEvT1_,comdat
.Lfunc_end1458:
	.size	_ZN7rocprim17ROCPRIM_400000_NS6detail17trampoline_kernelINS0_14default_configENS1_27scan_by_key_config_selectorIifEEZZNS1_16scan_by_key_implILNS1_25lookback_scan_determinismE0ELb1ES3_N6thrust23THRUST_200600_302600_NS6detail15normal_iteratorINS9_10device_ptrIiEEEENSB_INSC_IfEEEESG_fNS9_4plusIvEENS9_8equal_toIvEEfEE10hipError_tPvRmT2_T3_T4_T5_mT6_T7_P12ihipStream_tbENKUlT_T0_E_clISt17integral_constantIbLb0EES10_IbLb1EEEEDaSW_SX_EUlSW_E_NS1_11comp_targetILNS1_3genE3ELNS1_11target_archE908ELNS1_3gpuE7ELNS1_3repE0EEENS1_30default_config_static_selectorELNS0_4arch9wavefront6targetE1EEEvT1_, .Lfunc_end1458-_ZN7rocprim17ROCPRIM_400000_NS6detail17trampoline_kernelINS0_14default_configENS1_27scan_by_key_config_selectorIifEEZZNS1_16scan_by_key_implILNS1_25lookback_scan_determinismE0ELb1ES3_N6thrust23THRUST_200600_302600_NS6detail15normal_iteratorINS9_10device_ptrIiEEEENSB_INSC_IfEEEESG_fNS9_4plusIvEENS9_8equal_toIvEEfEE10hipError_tPvRmT2_T3_T4_T5_mT6_T7_P12ihipStream_tbENKUlT_T0_E_clISt17integral_constantIbLb0EES10_IbLb1EEEEDaSW_SX_EUlSW_E_NS1_11comp_targetILNS1_3genE3ELNS1_11target_archE908ELNS1_3gpuE7ELNS1_3repE0EEENS1_30default_config_static_selectorELNS0_4arch9wavefront6targetE1EEEvT1_
                                        ; -- End function
	.section	.AMDGPU.csdata,"",@progbits
; Kernel info:
; codeLenInByte = 0
; NumSgprs: 6
; NumVgprs: 0
; NumAgprs: 0
; TotalNumVgprs: 0
; ScratchSize: 0
; MemoryBound: 0
; FloatMode: 240
; IeeeMode: 1
; LDSByteSize: 0 bytes/workgroup (compile time only)
; SGPRBlocks: 0
; VGPRBlocks: 0
; NumSGPRsForWavesPerEU: 6
; NumVGPRsForWavesPerEU: 1
; AccumOffset: 4
; Occupancy: 8
; WaveLimiterHint : 0
; COMPUTE_PGM_RSRC2:SCRATCH_EN: 0
; COMPUTE_PGM_RSRC2:USER_SGPR: 2
; COMPUTE_PGM_RSRC2:TRAP_HANDLER: 0
; COMPUTE_PGM_RSRC2:TGID_X_EN: 1
; COMPUTE_PGM_RSRC2:TGID_Y_EN: 0
; COMPUTE_PGM_RSRC2:TGID_Z_EN: 0
; COMPUTE_PGM_RSRC2:TIDIG_COMP_CNT: 0
; COMPUTE_PGM_RSRC3_GFX90A:ACCUM_OFFSET: 0
; COMPUTE_PGM_RSRC3_GFX90A:TG_SPLIT: 0
	.section	.text._ZN7rocprim17ROCPRIM_400000_NS6detail17trampoline_kernelINS0_14default_configENS1_27scan_by_key_config_selectorIifEEZZNS1_16scan_by_key_implILNS1_25lookback_scan_determinismE0ELb1ES3_N6thrust23THRUST_200600_302600_NS6detail15normal_iteratorINS9_10device_ptrIiEEEENSB_INSC_IfEEEESG_fNS9_4plusIvEENS9_8equal_toIvEEfEE10hipError_tPvRmT2_T3_T4_T5_mT6_T7_P12ihipStream_tbENKUlT_T0_E_clISt17integral_constantIbLb0EES10_IbLb1EEEEDaSW_SX_EUlSW_E_NS1_11comp_targetILNS1_3genE2ELNS1_11target_archE906ELNS1_3gpuE6ELNS1_3repE0EEENS1_30default_config_static_selectorELNS0_4arch9wavefront6targetE1EEEvT1_,"axG",@progbits,_ZN7rocprim17ROCPRIM_400000_NS6detail17trampoline_kernelINS0_14default_configENS1_27scan_by_key_config_selectorIifEEZZNS1_16scan_by_key_implILNS1_25lookback_scan_determinismE0ELb1ES3_N6thrust23THRUST_200600_302600_NS6detail15normal_iteratorINS9_10device_ptrIiEEEENSB_INSC_IfEEEESG_fNS9_4plusIvEENS9_8equal_toIvEEfEE10hipError_tPvRmT2_T3_T4_T5_mT6_T7_P12ihipStream_tbENKUlT_T0_E_clISt17integral_constantIbLb0EES10_IbLb1EEEEDaSW_SX_EUlSW_E_NS1_11comp_targetILNS1_3genE2ELNS1_11target_archE906ELNS1_3gpuE6ELNS1_3repE0EEENS1_30default_config_static_selectorELNS0_4arch9wavefront6targetE1EEEvT1_,comdat
	.protected	_ZN7rocprim17ROCPRIM_400000_NS6detail17trampoline_kernelINS0_14default_configENS1_27scan_by_key_config_selectorIifEEZZNS1_16scan_by_key_implILNS1_25lookback_scan_determinismE0ELb1ES3_N6thrust23THRUST_200600_302600_NS6detail15normal_iteratorINS9_10device_ptrIiEEEENSB_INSC_IfEEEESG_fNS9_4plusIvEENS9_8equal_toIvEEfEE10hipError_tPvRmT2_T3_T4_T5_mT6_T7_P12ihipStream_tbENKUlT_T0_E_clISt17integral_constantIbLb0EES10_IbLb1EEEEDaSW_SX_EUlSW_E_NS1_11comp_targetILNS1_3genE2ELNS1_11target_archE906ELNS1_3gpuE6ELNS1_3repE0EEENS1_30default_config_static_selectorELNS0_4arch9wavefront6targetE1EEEvT1_ ; -- Begin function _ZN7rocprim17ROCPRIM_400000_NS6detail17trampoline_kernelINS0_14default_configENS1_27scan_by_key_config_selectorIifEEZZNS1_16scan_by_key_implILNS1_25lookback_scan_determinismE0ELb1ES3_N6thrust23THRUST_200600_302600_NS6detail15normal_iteratorINS9_10device_ptrIiEEEENSB_INSC_IfEEEESG_fNS9_4plusIvEENS9_8equal_toIvEEfEE10hipError_tPvRmT2_T3_T4_T5_mT6_T7_P12ihipStream_tbENKUlT_T0_E_clISt17integral_constantIbLb0EES10_IbLb1EEEEDaSW_SX_EUlSW_E_NS1_11comp_targetILNS1_3genE2ELNS1_11target_archE906ELNS1_3gpuE6ELNS1_3repE0EEENS1_30default_config_static_selectorELNS0_4arch9wavefront6targetE1EEEvT1_
	.globl	_ZN7rocprim17ROCPRIM_400000_NS6detail17trampoline_kernelINS0_14default_configENS1_27scan_by_key_config_selectorIifEEZZNS1_16scan_by_key_implILNS1_25lookback_scan_determinismE0ELb1ES3_N6thrust23THRUST_200600_302600_NS6detail15normal_iteratorINS9_10device_ptrIiEEEENSB_INSC_IfEEEESG_fNS9_4plusIvEENS9_8equal_toIvEEfEE10hipError_tPvRmT2_T3_T4_T5_mT6_T7_P12ihipStream_tbENKUlT_T0_E_clISt17integral_constantIbLb0EES10_IbLb1EEEEDaSW_SX_EUlSW_E_NS1_11comp_targetILNS1_3genE2ELNS1_11target_archE906ELNS1_3gpuE6ELNS1_3repE0EEENS1_30default_config_static_selectorELNS0_4arch9wavefront6targetE1EEEvT1_
	.p2align	8
	.type	_ZN7rocprim17ROCPRIM_400000_NS6detail17trampoline_kernelINS0_14default_configENS1_27scan_by_key_config_selectorIifEEZZNS1_16scan_by_key_implILNS1_25lookback_scan_determinismE0ELb1ES3_N6thrust23THRUST_200600_302600_NS6detail15normal_iteratorINS9_10device_ptrIiEEEENSB_INSC_IfEEEESG_fNS9_4plusIvEENS9_8equal_toIvEEfEE10hipError_tPvRmT2_T3_T4_T5_mT6_T7_P12ihipStream_tbENKUlT_T0_E_clISt17integral_constantIbLb0EES10_IbLb1EEEEDaSW_SX_EUlSW_E_NS1_11comp_targetILNS1_3genE2ELNS1_11target_archE906ELNS1_3gpuE6ELNS1_3repE0EEENS1_30default_config_static_selectorELNS0_4arch9wavefront6targetE1EEEvT1_,@function
_ZN7rocprim17ROCPRIM_400000_NS6detail17trampoline_kernelINS0_14default_configENS1_27scan_by_key_config_selectorIifEEZZNS1_16scan_by_key_implILNS1_25lookback_scan_determinismE0ELb1ES3_N6thrust23THRUST_200600_302600_NS6detail15normal_iteratorINS9_10device_ptrIiEEEENSB_INSC_IfEEEESG_fNS9_4plusIvEENS9_8equal_toIvEEfEE10hipError_tPvRmT2_T3_T4_T5_mT6_T7_P12ihipStream_tbENKUlT_T0_E_clISt17integral_constantIbLb0EES10_IbLb1EEEEDaSW_SX_EUlSW_E_NS1_11comp_targetILNS1_3genE2ELNS1_11target_archE906ELNS1_3gpuE6ELNS1_3repE0EEENS1_30default_config_static_selectorELNS0_4arch9wavefront6targetE1EEEvT1_: ; @_ZN7rocprim17ROCPRIM_400000_NS6detail17trampoline_kernelINS0_14default_configENS1_27scan_by_key_config_selectorIifEEZZNS1_16scan_by_key_implILNS1_25lookback_scan_determinismE0ELb1ES3_N6thrust23THRUST_200600_302600_NS6detail15normal_iteratorINS9_10device_ptrIiEEEENSB_INSC_IfEEEESG_fNS9_4plusIvEENS9_8equal_toIvEEfEE10hipError_tPvRmT2_T3_T4_T5_mT6_T7_P12ihipStream_tbENKUlT_T0_E_clISt17integral_constantIbLb0EES10_IbLb1EEEEDaSW_SX_EUlSW_E_NS1_11comp_targetILNS1_3genE2ELNS1_11target_archE906ELNS1_3gpuE6ELNS1_3repE0EEENS1_30default_config_static_selectorELNS0_4arch9wavefront6targetE1EEEvT1_
; %bb.0:
	.section	.rodata,"a",@progbits
	.p2align	6, 0x0
	.amdhsa_kernel _ZN7rocprim17ROCPRIM_400000_NS6detail17trampoline_kernelINS0_14default_configENS1_27scan_by_key_config_selectorIifEEZZNS1_16scan_by_key_implILNS1_25lookback_scan_determinismE0ELb1ES3_N6thrust23THRUST_200600_302600_NS6detail15normal_iteratorINS9_10device_ptrIiEEEENSB_INSC_IfEEEESG_fNS9_4plusIvEENS9_8equal_toIvEEfEE10hipError_tPvRmT2_T3_T4_T5_mT6_T7_P12ihipStream_tbENKUlT_T0_E_clISt17integral_constantIbLb0EES10_IbLb1EEEEDaSW_SX_EUlSW_E_NS1_11comp_targetILNS1_3genE2ELNS1_11target_archE906ELNS1_3gpuE6ELNS1_3repE0EEENS1_30default_config_static_selectorELNS0_4arch9wavefront6targetE1EEEvT1_
		.amdhsa_group_segment_fixed_size 0
		.amdhsa_private_segment_fixed_size 0
		.amdhsa_kernarg_size 112
		.amdhsa_user_sgpr_count 2
		.amdhsa_user_sgpr_dispatch_ptr 0
		.amdhsa_user_sgpr_queue_ptr 0
		.amdhsa_user_sgpr_kernarg_segment_ptr 1
		.amdhsa_user_sgpr_dispatch_id 0
		.amdhsa_user_sgpr_kernarg_preload_length 0
		.amdhsa_user_sgpr_kernarg_preload_offset 0
		.amdhsa_user_sgpr_private_segment_size 0
		.amdhsa_uses_dynamic_stack 0
		.amdhsa_enable_private_segment 0
		.amdhsa_system_sgpr_workgroup_id_x 1
		.amdhsa_system_sgpr_workgroup_id_y 0
		.amdhsa_system_sgpr_workgroup_id_z 0
		.amdhsa_system_sgpr_workgroup_info 0
		.amdhsa_system_vgpr_workitem_id 0
		.amdhsa_next_free_vgpr 1
		.amdhsa_next_free_sgpr 0
		.amdhsa_accum_offset 4
		.amdhsa_reserve_vcc 0
		.amdhsa_float_round_mode_32 0
		.amdhsa_float_round_mode_16_64 0
		.amdhsa_float_denorm_mode_32 3
		.amdhsa_float_denorm_mode_16_64 3
		.amdhsa_dx10_clamp 1
		.amdhsa_ieee_mode 1
		.amdhsa_fp16_overflow 0
		.amdhsa_tg_split 0
		.amdhsa_exception_fp_ieee_invalid_op 0
		.amdhsa_exception_fp_denorm_src 0
		.amdhsa_exception_fp_ieee_div_zero 0
		.amdhsa_exception_fp_ieee_overflow 0
		.amdhsa_exception_fp_ieee_underflow 0
		.amdhsa_exception_fp_ieee_inexact 0
		.amdhsa_exception_int_div_zero 0
	.end_amdhsa_kernel
	.section	.text._ZN7rocprim17ROCPRIM_400000_NS6detail17trampoline_kernelINS0_14default_configENS1_27scan_by_key_config_selectorIifEEZZNS1_16scan_by_key_implILNS1_25lookback_scan_determinismE0ELb1ES3_N6thrust23THRUST_200600_302600_NS6detail15normal_iteratorINS9_10device_ptrIiEEEENSB_INSC_IfEEEESG_fNS9_4plusIvEENS9_8equal_toIvEEfEE10hipError_tPvRmT2_T3_T4_T5_mT6_T7_P12ihipStream_tbENKUlT_T0_E_clISt17integral_constantIbLb0EES10_IbLb1EEEEDaSW_SX_EUlSW_E_NS1_11comp_targetILNS1_3genE2ELNS1_11target_archE906ELNS1_3gpuE6ELNS1_3repE0EEENS1_30default_config_static_selectorELNS0_4arch9wavefront6targetE1EEEvT1_,"axG",@progbits,_ZN7rocprim17ROCPRIM_400000_NS6detail17trampoline_kernelINS0_14default_configENS1_27scan_by_key_config_selectorIifEEZZNS1_16scan_by_key_implILNS1_25lookback_scan_determinismE0ELb1ES3_N6thrust23THRUST_200600_302600_NS6detail15normal_iteratorINS9_10device_ptrIiEEEENSB_INSC_IfEEEESG_fNS9_4plusIvEENS9_8equal_toIvEEfEE10hipError_tPvRmT2_T3_T4_T5_mT6_T7_P12ihipStream_tbENKUlT_T0_E_clISt17integral_constantIbLb0EES10_IbLb1EEEEDaSW_SX_EUlSW_E_NS1_11comp_targetILNS1_3genE2ELNS1_11target_archE906ELNS1_3gpuE6ELNS1_3repE0EEENS1_30default_config_static_selectorELNS0_4arch9wavefront6targetE1EEEvT1_,comdat
.Lfunc_end1459:
	.size	_ZN7rocprim17ROCPRIM_400000_NS6detail17trampoline_kernelINS0_14default_configENS1_27scan_by_key_config_selectorIifEEZZNS1_16scan_by_key_implILNS1_25lookback_scan_determinismE0ELb1ES3_N6thrust23THRUST_200600_302600_NS6detail15normal_iteratorINS9_10device_ptrIiEEEENSB_INSC_IfEEEESG_fNS9_4plusIvEENS9_8equal_toIvEEfEE10hipError_tPvRmT2_T3_T4_T5_mT6_T7_P12ihipStream_tbENKUlT_T0_E_clISt17integral_constantIbLb0EES10_IbLb1EEEEDaSW_SX_EUlSW_E_NS1_11comp_targetILNS1_3genE2ELNS1_11target_archE906ELNS1_3gpuE6ELNS1_3repE0EEENS1_30default_config_static_selectorELNS0_4arch9wavefront6targetE1EEEvT1_, .Lfunc_end1459-_ZN7rocprim17ROCPRIM_400000_NS6detail17trampoline_kernelINS0_14default_configENS1_27scan_by_key_config_selectorIifEEZZNS1_16scan_by_key_implILNS1_25lookback_scan_determinismE0ELb1ES3_N6thrust23THRUST_200600_302600_NS6detail15normal_iteratorINS9_10device_ptrIiEEEENSB_INSC_IfEEEESG_fNS9_4plusIvEENS9_8equal_toIvEEfEE10hipError_tPvRmT2_T3_T4_T5_mT6_T7_P12ihipStream_tbENKUlT_T0_E_clISt17integral_constantIbLb0EES10_IbLb1EEEEDaSW_SX_EUlSW_E_NS1_11comp_targetILNS1_3genE2ELNS1_11target_archE906ELNS1_3gpuE6ELNS1_3repE0EEENS1_30default_config_static_selectorELNS0_4arch9wavefront6targetE1EEEvT1_
                                        ; -- End function
	.section	.AMDGPU.csdata,"",@progbits
; Kernel info:
; codeLenInByte = 0
; NumSgprs: 6
; NumVgprs: 0
; NumAgprs: 0
; TotalNumVgprs: 0
; ScratchSize: 0
; MemoryBound: 0
; FloatMode: 240
; IeeeMode: 1
; LDSByteSize: 0 bytes/workgroup (compile time only)
; SGPRBlocks: 0
; VGPRBlocks: 0
; NumSGPRsForWavesPerEU: 6
; NumVGPRsForWavesPerEU: 1
; AccumOffset: 4
; Occupancy: 8
; WaveLimiterHint : 0
; COMPUTE_PGM_RSRC2:SCRATCH_EN: 0
; COMPUTE_PGM_RSRC2:USER_SGPR: 2
; COMPUTE_PGM_RSRC2:TRAP_HANDLER: 0
; COMPUTE_PGM_RSRC2:TGID_X_EN: 1
; COMPUTE_PGM_RSRC2:TGID_Y_EN: 0
; COMPUTE_PGM_RSRC2:TGID_Z_EN: 0
; COMPUTE_PGM_RSRC2:TIDIG_COMP_CNT: 0
; COMPUTE_PGM_RSRC3_GFX90A:ACCUM_OFFSET: 0
; COMPUTE_PGM_RSRC3_GFX90A:TG_SPLIT: 0
	.section	.text._ZN7rocprim17ROCPRIM_400000_NS6detail17trampoline_kernelINS0_14default_configENS1_27scan_by_key_config_selectorIifEEZZNS1_16scan_by_key_implILNS1_25lookback_scan_determinismE0ELb1ES3_N6thrust23THRUST_200600_302600_NS6detail15normal_iteratorINS9_10device_ptrIiEEEENSB_INSC_IfEEEESG_fNS9_4plusIvEENS9_8equal_toIvEEfEE10hipError_tPvRmT2_T3_T4_T5_mT6_T7_P12ihipStream_tbENKUlT_T0_E_clISt17integral_constantIbLb0EES10_IbLb1EEEEDaSW_SX_EUlSW_E_NS1_11comp_targetILNS1_3genE10ELNS1_11target_archE1200ELNS1_3gpuE4ELNS1_3repE0EEENS1_30default_config_static_selectorELNS0_4arch9wavefront6targetE1EEEvT1_,"axG",@progbits,_ZN7rocprim17ROCPRIM_400000_NS6detail17trampoline_kernelINS0_14default_configENS1_27scan_by_key_config_selectorIifEEZZNS1_16scan_by_key_implILNS1_25lookback_scan_determinismE0ELb1ES3_N6thrust23THRUST_200600_302600_NS6detail15normal_iteratorINS9_10device_ptrIiEEEENSB_INSC_IfEEEESG_fNS9_4plusIvEENS9_8equal_toIvEEfEE10hipError_tPvRmT2_T3_T4_T5_mT6_T7_P12ihipStream_tbENKUlT_T0_E_clISt17integral_constantIbLb0EES10_IbLb1EEEEDaSW_SX_EUlSW_E_NS1_11comp_targetILNS1_3genE10ELNS1_11target_archE1200ELNS1_3gpuE4ELNS1_3repE0EEENS1_30default_config_static_selectorELNS0_4arch9wavefront6targetE1EEEvT1_,comdat
	.protected	_ZN7rocprim17ROCPRIM_400000_NS6detail17trampoline_kernelINS0_14default_configENS1_27scan_by_key_config_selectorIifEEZZNS1_16scan_by_key_implILNS1_25lookback_scan_determinismE0ELb1ES3_N6thrust23THRUST_200600_302600_NS6detail15normal_iteratorINS9_10device_ptrIiEEEENSB_INSC_IfEEEESG_fNS9_4plusIvEENS9_8equal_toIvEEfEE10hipError_tPvRmT2_T3_T4_T5_mT6_T7_P12ihipStream_tbENKUlT_T0_E_clISt17integral_constantIbLb0EES10_IbLb1EEEEDaSW_SX_EUlSW_E_NS1_11comp_targetILNS1_3genE10ELNS1_11target_archE1200ELNS1_3gpuE4ELNS1_3repE0EEENS1_30default_config_static_selectorELNS0_4arch9wavefront6targetE1EEEvT1_ ; -- Begin function _ZN7rocprim17ROCPRIM_400000_NS6detail17trampoline_kernelINS0_14default_configENS1_27scan_by_key_config_selectorIifEEZZNS1_16scan_by_key_implILNS1_25lookback_scan_determinismE0ELb1ES3_N6thrust23THRUST_200600_302600_NS6detail15normal_iteratorINS9_10device_ptrIiEEEENSB_INSC_IfEEEESG_fNS9_4plusIvEENS9_8equal_toIvEEfEE10hipError_tPvRmT2_T3_T4_T5_mT6_T7_P12ihipStream_tbENKUlT_T0_E_clISt17integral_constantIbLb0EES10_IbLb1EEEEDaSW_SX_EUlSW_E_NS1_11comp_targetILNS1_3genE10ELNS1_11target_archE1200ELNS1_3gpuE4ELNS1_3repE0EEENS1_30default_config_static_selectorELNS0_4arch9wavefront6targetE1EEEvT1_
	.globl	_ZN7rocprim17ROCPRIM_400000_NS6detail17trampoline_kernelINS0_14default_configENS1_27scan_by_key_config_selectorIifEEZZNS1_16scan_by_key_implILNS1_25lookback_scan_determinismE0ELb1ES3_N6thrust23THRUST_200600_302600_NS6detail15normal_iteratorINS9_10device_ptrIiEEEENSB_INSC_IfEEEESG_fNS9_4plusIvEENS9_8equal_toIvEEfEE10hipError_tPvRmT2_T3_T4_T5_mT6_T7_P12ihipStream_tbENKUlT_T0_E_clISt17integral_constantIbLb0EES10_IbLb1EEEEDaSW_SX_EUlSW_E_NS1_11comp_targetILNS1_3genE10ELNS1_11target_archE1200ELNS1_3gpuE4ELNS1_3repE0EEENS1_30default_config_static_selectorELNS0_4arch9wavefront6targetE1EEEvT1_
	.p2align	8
	.type	_ZN7rocprim17ROCPRIM_400000_NS6detail17trampoline_kernelINS0_14default_configENS1_27scan_by_key_config_selectorIifEEZZNS1_16scan_by_key_implILNS1_25lookback_scan_determinismE0ELb1ES3_N6thrust23THRUST_200600_302600_NS6detail15normal_iteratorINS9_10device_ptrIiEEEENSB_INSC_IfEEEESG_fNS9_4plusIvEENS9_8equal_toIvEEfEE10hipError_tPvRmT2_T3_T4_T5_mT6_T7_P12ihipStream_tbENKUlT_T0_E_clISt17integral_constantIbLb0EES10_IbLb1EEEEDaSW_SX_EUlSW_E_NS1_11comp_targetILNS1_3genE10ELNS1_11target_archE1200ELNS1_3gpuE4ELNS1_3repE0EEENS1_30default_config_static_selectorELNS0_4arch9wavefront6targetE1EEEvT1_,@function
_ZN7rocprim17ROCPRIM_400000_NS6detail17trampoline_kernelINS0_14default_configENS1_27scan_by_key_config_selectorIifEEZZNS1_16scan_by_key_implILNS1_25lookback_scan_determinismE0ELb1ES3_N6thrust23THRUST_200600_302600_NS6detail15normal_iteratorINS9_10device_ptrIiEEEENSB_INSC_IfEEEESG_fNS9_4plusIvEENS9_8equal_toIvEEfEE10hipError_tPvRmT2_T3_T4_T5_mT6_T7_P12ihipStream_tbENKUlT_T0_E_clISt17integral_constantIbLb0EES10_IbLb1EEEEDaSW_SX_EUlSW_E_NS1_11comp_targetILNS1_3genE10ELNS1_11target_archE1200ELNS1_3gpuE4ELNS1_3repE0EEENS1_30default_config_static_selectorELNS0_4arch9wavefront6targetE1EEEvT1_: ; @_ZN7rocprim17ROCPRIM_400000_NS6detail17trampoline_kernelINS0_14default_configENS1_27scan_by_key_config_selectorIifEEZZNS1_16scan_by_key_implILNS1_25lookback_scan_determinismE0ELb1ES3_N6thrust23THRUST_200600_302600_NS6detail15normal_iteratorINS9_10device_ptrIiEEEENSB_INSC_IfEEEESG_fNS9_4plusIvEENS9_8equal_toIvEEfEE10hipError_tPvRmT2_T3_T4_T5_mT6_T7_P12ihipStream_tbENKUlT_T0_E_clISt17integral_constantIbLb0EES10_IbLb1EEEEDaSW_SX_EUlSW_E_NS1_11comp_targetILNS1_3genE10ELNS1_11target_archE1200ELNS1_3gpuE4ELNS1_3repE0EEENS1_30default_config_static_selectorELNS0_4arch9wavefront6targetE1EEEvT1_
; %bb.0:
	.section	.rodata,"a",@progbits
	.p2align	6, 0x0
	.amdhsa_kernel _ZN7rocprim17ROCPRIM_400000_NS6detail17trampoline_kernelINS0_14default_configENS1_27scan_by_key_config_selectorIifEEZZNS1_16scan_by_key_implILNS1_25lookback_scan_determinismE0ELb1ES3_N6thrust23THRUST_200600_302600_NS6detail15normal_iteratorINS9_10device_ptrIiEEEENSB_INSC_IfEEEESG_fNS9_4plusIvEENS9_8equal_toIvEEfEE10hipError_tPvRmT2_T3_T4_T5_mT6_T7_P12ihipStream_tbENKUlT_T0_E_clISt17integral_constantIbLb0EES10_IbLb1EEEEDaSW_SX_EUlSW_E_NS1_11comp_targetILNS1_3genE10ELNS1_11target_archE1200ELNS1_3gpuE4ELNS1_3repE0EEENS1_30default_config_static_selectorELNS0_4arch9wavefront6targetE1EEEvT1_
		.amdhsa_group_segment_fixed_size 0
		.amdhsa_private_segment_fixed_size 0
		.amdhsa_kernarg_size 112
		.amdhsa_user_sgpr_count 2
		.amdhsa_user_sgpr_dispatch_ptr 0
		.amdhsa_user_sgpr_queue_ptr 0
		.amdhsa_user_sgpr_kernarg_segment_ptr 1
		.amdhsa_user_sgpr_dispatch_id 0
		.amdhsa_user_sgpr_kernarg_preload_length 0
		.amdhsa_user_sgpr_kernarg_preload_offset 0
		.amdhsa_user_sgpr_private_segment_size 0
		.amdhsa_uses_dynamic_stack 0
		.amdhsa_enable_private_segment 0
		.amdhsa_system_sgpr_workgroup_id_x 1
		.amdhsa_system_sgpr_workgroup_id_y 0
		.amdhsa_system_sgpr_workgroup_id_z 0
		.amdhsa_system_sgpr_workgroup_info 0
		.amdhsa_system_vgpr_workitem_id 0
		.amdhsa_next_free_vgpr 1
		.amdhsa_next_free_sgpr 0
		.amdhsa_accum_offset 4
		.amdhsa_reserve_vcc 0
		.amdhsa_float_round_mode_32 0
		.amdhsa_float_round_mode_16_64 0
		.amdhsa_float_denorm_mode_32 3
		.amdhsa_float_denorm_mode_16_64 3
		.amdhsa_dx10_clamp 1
		.amdhsa_ieee_mode 1
		.amdhsa_fp16_overflow 0
		.amdhsa_tg_split 0
		.amdhsa_exception_fp_ieee_invalid_op 0
		.amdhsa_exception_fp_denorm_src 0
		.amdhsa_exception_fp_ieee_div_zero 0
		.amdhsa_exception_fp_ieee_overflow 0
		.amdhsa_exception_fp_ieee_underflow 0
		.amdhsa_exception_fp_ieee_inexact 0
		.amdhsa_exception_int_div_zero 0
	.end_amdhsa_kernel
	.section	.text._ZN7rocprim17ROCPRIM_400000_NS6detail17trampoline_kernelINS0_14default_configENS1_27scan_by_key_config_selectorIifEEZZNS1_16scan_by_key_implILNS1_25lookback_scan_determinismE0ELb1ES3_N6thrust23THRUST_200600_302600_NS6detail15normal_iteratorINS9_10device_ptrIiEEEENSB_INSC_IfEEEESG_fNS9_4plusIvEENS9_8equal_toIvEEfEE10hipError_tPvRmT2_T3_T4_T5_mT6_T7_P12ihipStream_tbENKUlT_T0_E_clISt17integral_constantIbLb0EES10_IbLb1EEEEDaSW_SX_EUlSW_E_NS1_11comp_targetILNS1_3genE10ELNS1_11target_archE1200ELNS1_3gpuE4ELNS1_3repE0EEENS1_30default_config_static_selectorELNS0_4arch9wavefront6targetE1EEEvT1_,"axG",@progbits,_ZN7rocprim17ROCPRIM_400000_NS6detail17trampoline_kernelINS0_14default_configENS1_27scan_by_key_config_selectorIifEEZZNS1_16scan_by_key_implILNS1_25lookback_scan_determinismE0ELb1ES3_N6thrust23THRUST_200600_302600_NS6detail15normal_iteratorINS9_10device_ptrIiEEEENSB_INSC_IfEEEESG_fNS9_4plusIvEENS9_8equal_toIvEEfEE10hipError_tPvRmT2_T3_T4_T5_mT6_T7_P12ihipStream_tbENKUlT_T0_E_clISt17integral_constantIbLb0EES10_IbLb1EEEEDaSW_SX_EUlSW_E_NS1_11comp_targetILNS1_3genE10ELNS1_11target_archE1200ELNS1_3gpuE4ELNS1_3repE0EEENS1_30default_config_static_selectorELNS0_4arch9wavefront6targetE1EEEvT1_,comdat
.Lfunc_end1460:
	.size	_ZN7rocprim17ROCPRIM_400000_NS6detail17trampoline_kernelINS0_14default_configENS1_27scan_by_key_config_selectorIifEEZZNS1_16scan_by_key_implILNS1_25lookback_scan_determinismE0ELb1ES3_N6thrust23THRUST_200600_302600_NS6detail15normal_iteratorINS9_10device_ptrIiEEEENSB_INSC_IfEEEESG_fNS9_4plusIvEENS9_8equal_toIvEEfEE10hipError_tPvRmT2_T3_T4_T5_mT6_T7_P12ihipStream_tbENKUlT_T0_E_clISt17integral_constantIbLb0EES10_IbLb1EEEEDaSW_SX_EUlSW_E_NS1_11comp_targetILNS1_3genE10ELNS1_11target_archE1200ELNS1_3gpuE4ELNS1_3repE0EEENS1_30default_config_static_selectorELNS0_4arch9wavefront6targetE1EEEvT1_, .Lfunc_end1460-_ZN7rocprim17ROCPRIM_400000_NS6detail17trampoline_kernelINS0_14default_configENS1_27scan_by_key_config_selectorIifEEZZNS1_16scan_by_key_implILNS1_25lookback_scan_determinismE0ELb1ES3_N6thrust23THRUST_200600_302600_NS6detail15normal_iteratorINS9_10device_ptrIiEEEENSB_INSC_IfEEEESG_fNS9_4plusIvEENS9_8equal_toIvEEfEE10hipError_tPvRmT2_T3_T4_T5_mT6_T7_P12ihipStream_tbENKUlT_T0_E_clISt17integral_constantIbLb0EES10_IbLb1EEEEDaSW_SX_EUlSW_E_NS1_11comp_targetILNS1_3genE10ELNS1_11target_archE1200ELNS1_3gpuE4ELNS1_3repE0EEENS1_30default_config_static_selectorELNS0_4arch9wavefront6targetE1EEEvT1_
                                        ; -- End function
	.section	.AMDGPU.csdata,"",@progbits
; Kernel info:
; codeLenInByte = 0
; NumSgprs: 6
; NumVgprs: 0
; NumAgprs: 0
; TotalNumVgprs: 0
; ScratchSize: 0
; MemoryBound: 0
; FloatMode: 240
; IeeeMode: 1
; LDSByteSize: 0 bytes/workgroup (compile time only)
; SGPRBlocks: 0
; VGPRBlocks: 0
; NumSGPRsForWavesPerEU: 6
; NumVGPRsForWavesPerEU: 1
; AccumOffset: 4
; Occupancy: 8
; WaveLimiterHint : 0
; COMPUTE_PGM_RSRC2:SCRATCH_EN: 0
; COMPUTE_PGM_RSRC2:USER_SGPR: 2
; COMPUTE_PGM_RSRC2:TRAP_HANDLER: 0
; COMPUTE_PGM_RSRC2:TGID_X_EN: 1
; COMPUTE_PGM_RSRC2:TGID_Y_EN: 0
; COMPUTE_PGM_RSRC2:TGID_Z_EN: 0
; COMPUTE_PGM_RSRC2:TIDIG_COMP_CNT: 0
; COMPUTE_PGM_RSRC3_GFX90A:ACCUM_OFFSET: 0
; COMPUTE_PGM_RSRC3_GFX90A:TG_SPLIT: 0
	.section	.text._ZN7rocprim17ROCPRIM_400000_NS6detail17trampoline_kernelINS0_14default_configENS1_27scan_by_key_config_selectorIifEEZZNS1_16scan_by_key_implILNS1_25lookback_scan_determinismE0ELb1ES3_N6thrust23THRUST_200600_302600_NS6detail15normal_iteratorINS9_10device_ptrIiEEEENSB_INSC_IfEEEESG_fNS9_4plusIvEENS9_8equal_toIvEEfEE10hipError_tPvRmT2_T3_T4_T5_mT6_T7_P12ihipStream_tbENKUlT_T0_E_clISt17integral_constantIbLb0EES10_IbLb1EEEEDaSW_SX_EUlSW_E_NS1_11comp_targetILNS1_3genE9ELNS1_11target_archE1100ELNS1_3gpuE3ELNS1_3repE0EEENS1_30default_config_static_selectorELNS0_4arch9wavefront6targetE1EEEvT1_,"axG",@progbits,_ZN7rocprim17ROCPRIM_400000_NS6detail17trampoline_kernelINS0_14default_configENS1_27scan_by_key_config_selectorIifEEZZNS1_16scan_by_key_implILNS1_25lookback_scan_determinismE0ELb1ES3_N6thrust23THRUST_200600_302600_NS6detail15normal_iteratorINS9_10device_ptrIiEEEENSB_INSC_IfEEEESG_fNS9_4plusIvEENS9_8equal_toIvEEfEE10hipError_tPvRmT2_T3_T4_T5_mT6_T7_P12ihipStream_tbENKUlT_T0_E_clISt17integral_constantIbLb0EES10_IbLb1EEEEDaSW_SX_EUlSW_E_NS1_11comp_targetILNS1_3genE9ELNS1_11target_archE1100ELNS1_3gpuE3ELNS1_3repE0EEENS1_30default_config_static_selectorELNS0_4arch9wavefront6targetE1EEEvT1_,comdat
	.protected	_ZN7rocprim17ROCPRIM_400000_NS6detail17trampoline_kernelINS0_14default_configENS1_27scan_by_key_config_selectorIifEEZZNS1_16scan_by_key_implILNS1_25lookback_scan_determinismE0ELb1ES3_N6thrust23THRUST_200600_302600_NS6detail15normal_iteratorINS9_10device_ptrIiEEEENSB_INSC_IfEEEESG_fNS9_4plusIvEENS9_8equal_toIvEEfEE10hipError_tPvRmT2_T3_T4_T5_mT6_T7_P12ihipStream_tbENKUlT_T0_E_clISt17integral_constantIbLb0EES10_IbLb1EEEEDaSW_SX_EUlSW_E_NS1_11comp_targetILNS1_3genE9ELNS1_11target_archE1100ELNS1_3gpuE3ELNS1_3repE0EEENS1_30default_config_static_selectorELNS0_4arch9wavefront6targetE1EEEvT1_ ; -- Begin function _ZN7rocprim17ROCPRIM_400000_NS6detail17trampoline_kernelINS0_14default_configENS1_27scan_by_key_config_selectorIifEEZZNS1_16scan_by_key_implILNS1_25lookback_scan_determinismE0ELb1ES3_N6thrust23THRUST_200600_302600_NS6detail15normal_iteratorINS9_10device_ptrIiEEEENSB_INSC_IfEEEESG_fNS9_4plusIvEENS9_8equal_toIvEEfEE10hipError_tPvRmT2_T3_T4_T5_mT6_T7_P12ihipStream_tbENKUlT_T0_E_clISt17integral_constantIbLb0EES10_IbLb1EEEEDaSW_SX_EUlSW_E_NS1_11comp_targetILNS1_3genE9ELNS1_11target_archE1100ELNS1_3gpuE3ELNS1_3repE0EEENS1_30default_config_static_selectorELNS0_4arch9wavefront6targetE1EEEvT1_
	.globl	_ZN7rocprim17ROCPRIM_400000_NS6detail17trampoline_kernelINS0_14default_configENS1_27scan_by_key_config_selectorIifEEZZNS1_16scan_by_key_implILNS1_25lookback_scan_determinismE0ELb1ES3_N6thrust23THRUST_200600_302600_NS6detail15normal_iteratorINS9_10device_ptrIiEEEENSB_INSC_IfEEEESG_fNS9_4plusIvEENS9_8equal_toIvEEfEE10hipError_tPvRmT2_T3_T4_T5_mT6_T7_P12ihipStream_tbENKUlT_T0_E_clISt17integral_constantIbLb0EES10_IbLb1EEEEDaSW_SX_EUlSW_E_NS1_11comp_targetILNS1_3genE9ELNS1_11target_archE1100ELNS1_3gpuE3ELNS1_3repE0EEENS1_30default_config_static_selectorELNS0_4arch9wavefront6targetE1EEEvT1_
	.p2align	8
	.type	_ZN7rocprim17ROCPRIM_400000_NS6detail17trampoline_kernelINS0_14default_configENS1_27scan_by_key_config_selectorIifEEZZNS1_16scan_by_key_implILNS1_25lookback_scan_determinismE0ELb1ES3_N6thrust23THRUST_200600_302600_NS6detail15normal_iteratorINS9_10device_ptrIiEEEENSB_INSC_IfEEEESG_fNS9_4plusIvEENS9_8equal_toIvEEfEE10hipError_tPvRmT2_T3_T4_T5_mT6_T7_P12ihipStream_tbENKUlT_T0_E_clISt17integral_constantIbLb0EES10_IbLb1EEEEDaSW_SX_EUlSW_E_NS1_11comp_targetILNS1_3genE9ELNS1_11target_archE1100ELNS1_3gpuE3ELNS1_3repE0EEENS1_30default_config_static_selectorELNS0_4arch9wavefront6targetE1EEEvT1_,@function
_ZN7rocprim17ROCPRIM_400000_NS6detail17trampoline_kernelINS0_14default_configENS1_27scan_by_key_config_selectorIifEEZZNS1_16scan_by_key_implILNS1_25lookback_scan_determinismE0ELb1ES3_N6thrust23THRUST_200600_302600_NS6detail15normal_iteratorINS9_10device_ptrIiEEEENSB_INSC_IfEEEESG_fNS9_4plusIvEENS9_8equal_toIvEEfEE10hipError_tPvRmT2_T3_T4_T5_mT6_T7_P12ihipStream_tbENKUlT_T0_E_clISt17integral_constantIbLb0EES10_IbLb1EEEEDaSW_SX_EUlSW_E_NS1_11comp_targetILNS1_3genE9ELNS1_11target_archE1100ELNS1_3gpuE3ELNS1_3repE0EEENS1_30default_config_static_selectorELNS0_4arch9wavefront6targetE1EEEvT1_: ; @_ZN7rocprim17ROCPRIM_400000_NS6detail17trampoline_kernelINS0_14default_configENS1_27scan_by_key_config_selectorIifEEZZNS1_16scan_by_key_implILNS1_25lookback_scan_determinismE0ELb1ES3_N6thrust23THRUST_200600_302600_NS6detail15normal_iteratorINS9_10device_ptrIiEEEENSB_INSC_IfEEEESG_fNS9_4plusIvEENS9_8equal_toIvEEfEE10hipError_tPvRmT2_T3_T4_T5_mT6_T7_P12ihipStream_tbENKUlT_T0_E_clISt17integral_constantIbLb0EES10_IbLb1EEEEDaSW_SX_EUlSW_E_NS1_11comp_targetILNS1_3genE9ELNS1_11target_archE1100ELNS1_3gpuE3ELNS1_3repE0EEENS1_30default_config_static_selectorELNS0_4arch9wavefront6targetE1EEEvT1_
; %bb.0:
	.section	.rodata,"a",@progbits
	.p2align	6, 0x0
	.amdhsa_kernel _ZN7rocprim17ROCPRIM_400000_NS6detail17trampoline_kernelINS0_14default_configENS1_27scan_by_key_config_selectorIifEEZZNS1_16scan_by_key_implILNS1_25lookback_scan_determinismE0ELb1ES3_N6thrust23THRUST_200600_302600_NS6detail15normal_iteratorINS9_10device_ptrIiEEEENSB_INSC_IfEEEESG_fNS9_4plusIvEENS9_8equal_toIvEEfEE10hipError_tPvRmT2_T3_T4_T5_mT6_T7_P12ihipStream_tbENKUlT_T0_E_clISt17integral_constantIbLb0EES10_IbLb1EEEEDaSW_SX_EUlSW_E_NS1_11comp_targetILNS1_3genE9ELNS1_11target_archE1100ELNS1_3gpuE3ELNS1_3repE0EEENS1_30default_config_static_selectorELNS0_4arch9wavefront6targetE1EEEvT1_
		.amdhsa_group_segment_fixed_size 0
		.amdhsa_private_segment_fixed_size 0
		.amdhsa_kernarg_size 112
		.amdhsa_user_sgpr_count 2
		.amdhsa_user_sgpr_dispatch_ptr 0
		.amdhsa_user_sgpr_queue_ptr 0
		.amdhsa_user_sgpr_kernarg_segment_ptr 1
		.amdhsa_user_sgpr_dispatch_id 0
		.amdhsa_user_sgpr_kernarg_preload_length 0
		.amdhsa_user_sgpr_kernarg_preload_offset 0
		.amdhsa_user_sgpr_private_segment_size 0
		.amdhsa_uses_dynamic_stack 0
		.amdhsa_enable_private_segment 0
		.amdhsa_system_sgpr_workgroup_id_x 1
		.amdhsa_system_sgpr_workgroup_id_y 0
		.amdhsa_system_sgpr_workgroup_id_z 0
		.amdhsa_system_sgpr_workgroup_info 0
		.amdhsa_system_vgpr_workitem_id 0
		.amdhsa_next_free_vgpr 1
		.amdhsa_next_free_sgpr 0
		.amdhsa_accum_offset 4
		.amdhsa_reserve_vcc 0
		.amdhsa_float_round_mode_32 0
		.amdhsa_float_round_mode_16_64 0
		.amdhsa_float_denorm_mode_32 3
		.amdhsa_float_denorm_mode_16_64 3
		.amdhsa_dx10_clamp 1
		.amdhsa_ieee_mode 1
		.amdhsa_fp16_overflow 0
		.amdhsa_tg_split 0
		.amdhsa_exception_fp_ieee_invalid_op 0
		.amdhsa_exception_fp_denorm_src 0
		.amdhsa_exception_fp_ieee_div_zero 0
		.amdhsa_exception_fp_ieee_overflow 0
		.amdhsa_exception_fp_ieee_underflow 0
		.amdhsa_exception_fp_ieee_inexact 0
		.amdhsa_exception_int_div_zero 0
	.end_amdhsa_kernel
	.section	.text._ZN7rocprim17ROCPRIM_400000_NS6detail17trampoline_kernelINS0_14default_configENS1_27scan_by_key_config_selectorIifEEZZNS1_16scan_by_key_implILNS1_25lookback_scan_determinismE0ELb1ES3_N6thrust23THRUST_200600_302600_NS6detail15normal_iteratorINS9_10device_ptrIiEEEENSB_INSC_IfEEEESG_fNS9_4plusIvEENS9_8equal_toIvEEfEE10hipError_tPvRmT2_T3_T4_T5_mT6_T7_P12ihipStream_tbENKUlT_T0_E_clISt17integral_constantIbLb0EES10_IbLb1EEEEDaSW_SX_EUlSW_E_NS1_11comp_targetILNS1_3genE9ELNS1_11target_archE1100ELNS1_3gpuE3ELNS1_3repE0EEENS1_30default_config_static_selectorELNS0_4arch9wavefront6targetE1EEEvT1_,"axG",@progbits,_ZN7rocprim17ROCPRIM_400000_NS6detail17trampoline_kernelINS0_14default_configENS1_27scan_by_key_config_selectorIifEEZZNS1_16scan_by_key_implILNS1_25lookback_scan_determinismE0ELb1ES3_N6thrust23THRUST_200600_302600_NS6detail15normal_iteratorINS9_10device_ptrIiEEEENSB_INSC_IfEEEESG_fNS9_4plusIvEENS9_8equal_toIvEEfEE10hipError_tPvRmT2_T3_T4_T5_mT6_T7_P12ihipStream_tbENKUlT_T0_E_clISt17integral_constantIbLb0EES10_IbLb1EEEEDaSW_SX_EUlSW_E_NS1_11comp_targetILNS1_3genE9ELNS1_11target_archE1100ELNS1_3gpuE3ELNS1_3repE0EEENS1_30default_config_static_selectorELNS0_4arch9wavefront6targetE1EEEvT1_,comdat
.Lfunc_end1461:
	.size	_ZN7rocprim17ROCPRIM_400000_NS6detail17trampoline_kernelINS0_14default_configENS1_27scan_by_key_config_selectorIifEEZZNS1_16scan_by_key_implILNS1_25lookback_scan_determinismE0ELb1ES3_N6thrust23THRUST_200600_302600_NS6detail15normal_iteratorINS9_10device_ptrIiEEEENSB_INSC_IfEEEESG_fNS9_4plusIvEENS9_8equal_toIvEEfEE10hipError_tPvRmT2_T3_T4_T5_mT6_T7_P12ihipStream_tbENKUlT_T0_E_clISt17integral_constantIbLb0EES10_IbLb1EEEEDaSW_SX_EUlSW_E_NS1_11comp_targetILNS1_3genE9ELNS1_11target_archE1100ELNS1_3gpuE3ELNS1_3repE0EEENS1_30default_config_static_selectorELNS0_4arch9wavefront6targetE1EEEvT1_, .Lfunc_end1461-_ZN7rocprim17ROCPRIM_400000_NS6detail17trampoline_kernelINS0_14default_configENS1_27scan_by_key_config_selectorIifEEZZNS1_16scan_by_key_implILNS1_25lookback_scan_determinismE0ELb1ES3_N6thrust23THRUST_200600_302600_NS6detail15normal_iteratorINS9_10device_ptrIiEEEENSB_INSC_IfEEEESG_fNS9_4plusIvEENS9_8equal_toIvEEfEE10hipError_tPvRmT2_T3_T4_T5_mT6_T7_P12ihipStream_tbENKUlT_T0_E_clISt17integral_constantIbLb0EES10_IbLb1EEEEDaSW_SX_EUlSW_E_NS1_11comp_targetILNS1_3genE9ELNS1_11target_archE1100ELNS1_3gpuE3ELNS1_3repE0EEENS1_30default_config_static_selectorELNS0_4arch9wavefront6targetE1EEEvT1_
                                        ; -- End function
	.section	.AMDGPU.csdata,"",@progbits
; Kernel info:
; codeLenInByte = 0
; NumSgprs: 6
; NumVgprs: 0
; NumAgprs: 0
; TotalNumVgprs: 0
; ScratchSize: 0
; MemoryBound: 0
; FloatMode: 240
; IeeeMode: 1
; LDSByteSize: 0 bytes/workgroup (compile time only)
; SGPRBlocks: 0
; VGPRBlocks: 0
; NumSGPRsForWavesPerEU: 6
; NumVGPRsForWavesPerEU: 1
; AccumOffset: 4
; Occupancy: 8
; WaveLimiterHint : 0
; COMPUTE_PGM_RSRC2:SCRATCH_EN: 0
; COMPUTE_PGM_RSRC2:USER_SGPR: 2
; COMPUTE_PGM_RSRC2:TRAP_HANDLER: 0
; COMPUTE_PGM_RSRC2:TGID_X_EN: 1
; COMPUTE_PGM_RSRC2:TGID_Y_EN: 0
; COMPUTE_PGM_RSRC2:TGID_Z_EN: 0
; COMPUTE_PGM_RSRC2:TIDIG_COMP_CNT: 0
; COMPUTE_PGM_RSRC3_GFX90A:ACCUM_OFFSET: 0
; COMPUTE_PGM_RSRC3_GFX90A:TG_SPLIT: 0
	.section	.text._ZN7rocprim17ROCPRIM_400000_NS6detail17trampoline_kernelINS0_14default_configENS1_27scan_by_key_config_selectorIifEEZZNS1_16scan_by_key_implILNS1_25lookback_scan_determinismE0ELb1ES3_N6thrust23THRUST_200600_302600_NS6detail15normal_iteratorINS9_10device_ptrIiEEEENSB_INSC_IfEEEESG_fNS9_4plusIvEENS9_8equal_toIvEEfEE10hipError_tPvRmT2_T3_T4_T5_mT6_T7_P12ihipStream_tbENKUlT_T0_E_clISt17integral_constantIbLb0EES10_IbLb1EEEEDaSW_SX_EUlSW_E_NS1_11comp_targetILNS1_3genE8ELNS1_11target_archE1030ELNS1_3gpuE2ELNS1_3repE0EEENS1_30default_config_static_selectorELNS0_4arch9wavefront6targetE1EEEvT1_,"axG",@progbits,_ZN7rocprim17ROCPRIM_400000_NS6detail17trampoline_kernelINS0_14default_configENS1_27scan_by_key_config_selectorIifEEZZNS1_16scan_by_key_implILNS1_25lookback_scan_determinismE0ELb1ES3_N6thrust23THRUST_200600_302600_NS6detail15normal_iteratorINS9_10device_ptrIiEEEENSB_INSC_IfEEEESG_fNS9_4plusIvEENS9_8equal_toIvEEfEE10hipError_tPvRmT2_T3_T4_T5_mT6_T7_P12ihipStream_tbENKUlT_T0_E_clISt17integral_constantIbLb0EES10_IbLb1EEEEDaSW_SX_EUlSW_E_NS1_11comp_targetILNS1_3genE8ELNS1_11target_archE1030ELNS1_3gpuE2ELNS1_3repE0EEENS1_30default_config_static_selectorELNS0_4arch9wavefront6targetE1EEEvT1_,comdat
	.protected	_ZN7rocprim17ROCPRIM_400000_NS6detail17trampoline_kernelINS0_14default_configENS1_27scan_by_key_config_selectorIifEEZZNS1_16scan_by_key_implILNS1_25lookback_scan_determinismE0ELb1ES3_N6thrust23THRUST_200600_302600_NS6detail15normal_iteratorINS9_10device_ptrIiEEEENSB_INSC_IfEEEESG_fNS9_4plusIvEENS9_8equal_toIvEEfEE10hipError_tPvRmT2_T3_T4_T5_mT6_T7_P12ihipStream_tbENKUlT_T0_E_clISt17integral_constantIbLb0EES10_IbLb1EEEEDaSW_SX_EUlSW_E_NS1_11comp_targetILNS1_3genE8ELNS1_11target_archE1030ELNS1_3gpuE2ELNS1_3repE0EEENS1_30default_config_static_selectorELNS0_4arch9wavefront6targetE1EEEvT1_ ; -- Begin function _ZN7rocprim17ROCPRIM_400000_NS6detail17trampoline_kernelINS0_14default_configENS1_27scan_by_key_config_selectorIifEEZZNS1_16scan_by_key_implILNS1_25lookback_scan_determinismE0ELb1ES3_N6thrust23THRUST_200600_302600_NS6detail15normal_iteratorINS9_10device_ptrIiEEEENSB_INSC_IfEEEESG_fNS9_4plusIvEENS9_8equal_toIvEEfEE10hipError_tPvRmT2_T3_T4_T5_mT6_T7_P12ihipStream_tbENKUlT_T0_E_clISt17integral_constantIbLb0EES10_IbLb1EEEEDaSW_SX_EUlSW_E_NS1_11comp_targetILNS1_3genE8ELNS1_11target_archE1030ELNS1_3gpuE2ELNS1_3repE0EEENS1_30default_config_static_selectorELNS0_4arch9wavefront6targetE1EEEvT1_
	.globl	_ZN7rocprim17ROCPRIM_400000_NS6detail17trampoline_kernelINS0_14default_configENS1_27scan_by_key_config_selectorIifEEZZNS1_16scan_by_key_implILNS1_25lookback_scan_determinismE0ELb1ES3_N6thrust23THRUST_200600_302600_NS6detail15normal_iteratorINS9_10device_ptrIiEEEENSB_INSC_IfEEEESG_fNS9_4plusIvEENS9_8equal_toIvEEfEE10hipError_tPvRmT2_T3_T4_T5_mT6_T7_P12ihipStream_tbENKUlT_T0_E_clISt17integral_constantIbLb0EES10_IbLb1EEEEDaSW_SX_EUlSW_E_NS1_11comp_targetILNS1_3genE8ELNS1_11target_archE1030ELNS1_3gpuE2ELNS1_3repE0EEENS1_30default_config_static_selectorELNS0_4arch9wavefront6targetE1EEEvT1_
	.p2align	8
	.type	_ZN7rocprim17ROCPRIM_400000_NS6detail17trampoline_kernelINS0_14default_configENS1_27scan_by_key_config_selectorIifEEZZNS1_16scan_by_key_implILNS1_25lookback_scan_determinismE0ELb1ES3_N6thrust23THRUST_200600_302600_NS6detail15normal_iteratorINS9_10device_ptrIiEEEENSB_INSC_IfEEEESG_fNS9_4plusIvEENS9_8equal_toIvEEfEE10hipError_tPvRmT2_T3_T4_T5_mT6_T7_P12ihipStream_tbENKUlT_T0_E_clISt17integral_constantIbLb0EES10_IbLb1EEEEDaSW_SX_EUlSW_E_NS1_11comp_targetILNS1_3genE8ELNS1_11target_archE1030ELNS1_3gpuE2ELNS1_3repE0EEENS1_30default_config_static_selectorELNS0_4arch9wavefront6targetE1EEEvT1_,@function
_ZN7rocprim17ROCPRIM_400000_NS6detail17trampoline_kernelINS0_14default_configENS1_27scan_by_key_config_selectorIifEEZZNS1_16scan_by_key_implILNS1_25lookback_scan_determinismE0ELb1ES3_N6thrust23THRUST_200600_302600_NS6detail15normal_iteratorINS9_10device_ptrIiEEEENSB_INSC_IfEEEESG_fNS9_4plusIvEENS9_8equal_toIvEEfEE10hipError_tPvRmT2_T3_T4_T5_mT6_T7_P12ihipStream_tbENKUlT_T0_E_clISt17integral_constantIbLb0EES10_IbLb1EEEEDaSW_SX_EUlSW_E_NS1_11comp_targetILNS1_3genE8ELNS1_11target_archE1030ELNS1_3gpuE2ELNS1_3repE0EEENS1_30default_config_static_selectorELNS0_4arch9wavefront6targetE1EEEvT1_: ; @_ZN7rocprim17ROCPRIM_400000_NS6detail17trampoline_kernelINS0_14default_configENS1_27scan_by_key_config_selectorIifEEZZNS1_16scan_by_key_implILNS1_25lookback_scan_determinismE0ELb1ES3_N6thrust23THRUST_200600_302600_NS6detail15normal_iteratorINS9_10device_ptrIiEEEENSB_INSC_IfEEEESG_fNS9_4plusIvEENS9_8equal_toIvEEfEE10hipError_tPvRmT2_T3_T4_T5_mT6_T7_P12ihipStream_tbENKUlT_T0_E_clISt17integral_constantIbLb0EES10_IbLb1EEEEDaSW_SX_EUlSW_E_NS1_11comp_targetILNS1_3genE8ELNS1_11target_archE1030ELNS1_3gpuE2ELNS1_3repE0EEENS1_30default_config_static_selectorELNS0_4arch9wavefront6targetE1EEEvT1_
; %bb.0:
	.section	.rodata,"a",@progbits
	.p2align	6, 0x0
	.amdhsa_kernel _ZN7rocprim17ROCPRIM_400000_NS6detail17trampoline_kernelINS0_14default_configENS1_27scan_by_key_config_selectorIifEEZZNS1_16scan_by_key_implILNS1_25lookback_scan_determinismE0ELb1ES3_N6thrust23THRUST_200600_302600_NS6detail15normal_iteratorINS9_10device_ptrIiEEEENSB_INSC_IfEEEESG_fNS9_4plusIvEENS9_8equal_toIvEEfEE10hipError_tPvRmT2_T3_T4_T5_mT6_T7_P12ihipStream_tbENKUlT_T0_E_clISt17integral_constantIbLb0EES10_IbLb1EEEEDaSW_SX_EUlSW_E_NS1_11comp_targetILNS1_3genE8ELNS1_11target_archE1030ELNS1_3gpuE2ELNS1_3repE0EEENS1_30default_config_static_selectorELNS0_4arch9wavefront6targetE1EEEvT1_
		.amdhsa_group_segment_fixed_size 0
		.amdhsa_private_segment_fixed_size 0
		.amdhsa_kernarg_size 112
		.amdhsa_user_sgpr_count 2
		.amdhsa_user_sgpr_dispatch_ptr 0
		.amdhsa_user_sgpr_queue_ptr 0
		.amdhsa_user_sgpr_kernarg_segment_ptr 1
		.amdhsa_user_sgpr_dispatch_id 0
		.amdhsa_user_sgpr_kernarg_preload_length 0
		.amdhsa_user_sgpr_kernarg_preload_offset 0
		.amdhsa_user_sgpr_private_segment_size 0
		.amdhsa_uses_dynamic_stack 0
		.amdhsa_enable_private_segment 0
		.amdhsa_system_sgpr_workgroup_id_x 1
		.amdhsa_system_sgpr_workgroup_id_y 0
		.amdhsa_system_sgpr_workgroup_id_z 0
		.amdhsa_system_sgpr_workgroup_info 0
		.amdhsa_system_vgpr_workitem_id 0
		.amdhsa_next_free_vgpr 1
		.amdhsa_next_free_sgpr 0
		.amdhsa_accum_offset 4
		.amdhsa_reserve_vcc 0
		.amdhsa_float_round_mode_32 0
		.amdhsa_float_round_mode_16_64 0
		.amdhsa_float_denorm_mode_32 3
		.amdhsa_float_denorm_mode_16_64 3
		.amdhsa_dx10_clamp 1
		.amdhsa_ieee_mode 1
		.amdhsa_fp16_overflow 0
		.amdhsa_tg_split 0
		.amdhsa_exception_fp_ieee_invalid_op 0
		.amdhsa_exception_fp_denorm_src 0
		.amdhsa_exception_fp_ieee_div_zero 0
		.amdhsa_exception_fp_ieee_overflow 0
		.amdhsa_exception_fp_ieee_underflow 0
		.amdhsa_exception_fp_ieee_inexact 0
		.amdhsa_exception_int_div_zero 0
	.end_amdhsa_kernel
	.section	.text._ZN7rocprim17ROCPRIM_400000_NS6detail17trampoline_kernelINS0_14default_configENS1_27scan_by_key_config_selectorIifEEZZNS1_16scan_by_key_implILNS1_25lookback_scan_determinismE0ELb1ES3_N6thrust23THRUST_200600_302600_NS6detail15normal_iteratorINS9_10device_ptrIiEEEENSB_INSC_IfEEEESG_fNS9_4plusIvEENS9_8equal_toIvEEfEE10hipError_tPvRmT2_T3_T4_T5_mT6_T7_P12ihipStream_tbENKUlT_T0_E_clISt17integral_constantIbLb0EES10_IbLb1EEEEDaSW_SX_EUlSW_E_NS1_11comp_targetILNS1_3genE8ELNS1_11target_archE1030ELNS1_3gpuE2ELNS1_3repE0EEENS1_30default_config_static_selectorELNS0_4arch9wavefront6targetE1EEEvT1_,"axG",@progbits,_ZN7rocprim17ROCPRIM_400000_NS6detail17trampoline_kernelINS0_14default_configENS1_27scan_by_key_config_selectorIifEEZZNS1_16scan_by_key_implILNS1_25lookback_scan_determinismE0ELb1ES3_N6thrust23THRUST_200600_302600_NS6detail15normal_iteratorINS9_10device_ptrIiEEEENSB_INSC_IfEEEESG_fNS9_4plusIvEENS9_8equal_toIvEEfEE10hipError_tPvRmT2_T3_T4_T5_mT6_T7_P12ihipStream_tbENKUlT_T0_E_clISt17integral_constantIbLb0EES10_IbLb1EEEEDaSW_SX_EUlSW_E_NS1_11comp_targetILNS1_3genE8ELNS1_11target_archE1030ELNS1_3gpuE2ELNS1_3repE0EEENS1_30default_config_static_selectorELNS0_4arch9wavefront6targetE1EEEvT1_,comdat
.Lfunc_end1462:
	.size	_ZN7rocprim17ROCPRIM_400000_NS6detail17trampoline_kernelINS0_14default_configENS1_27scan_by_key_config_selectorIifEEZZNS1_16scan_by_key_implILNS1_25lookback_scan_determinismE0ELb1ES3_N6thrust23THRUST_200600_302600_NS6detail15normal_iteratorINS9_10device_ptrIiEEEENSB_INSC_IfEEEESG_fNS9_4plusIvEENS9_8equal_toIvEEfEE10hipError_tPvRmT2_T3_T4_T5_mT6_T7_P12ihipStream_tbENKUlT_T0_E_clISt17integral_constantIbLb0EES10_IbLb1EEEEDaSW_SX_EUlSW_E_NS1_11comp_targetILNS1_3genE8ELNS1_11target_archE1030ELNS1_3gpuE2ELNS1_3repE0EEENS1_30default_config_static_selectorELNS0_4arch9wavefront6targetE1EEEvT1_, .Lfunc_end1462-_ZN7rocprim17ROCPRIM_400000_NS6detail17trampoline_kernelINS0_14default_configENS1_27scan_by_key_config_selectorIifEEZZNS1_16scan_by_key_implILNS1_25lookback_scan_determinismE0ELb1ES3_N6thrust23THRUST_200600_302600_NS6detail15normal_iteratorINS9_10device_ptrIiEEEENSB_INSC_IfEEEESG_fNS9_4plusIvEENS9_8equal_toIvEEfEE10hipError_tPvRmT2_T3_T4_T5_mT6_T7_P12ihipStream_tbENKUlT_T0_E_clISt17integral_constantIbLb0EES10_IbLb1EEEEDaSW_SX_EUlSW_E_NS1_11comp_targetILNS1_3genE8ELNS1_11target_archE1030ELNS1_3gpuE2ELNS1_3repE0EEENS1_30default_config_static_selectorELNS0_4arch9wavefront6targetE1EEEvT1_
                                        ; -- End function
	.section	.AMDGPU.csdata,"",@progbits
; Kernel info:
; codeLenInByte = 0
; NumSgprs: 6
; NumVgprs: 0
; NumAgprs: 0
; TotalNumVgprs: 0
; ScratchSize: 0
; MemoryBound: 0
; FloatMode: 240
; IeeeMode: 1
; LDSByteSize: 0 bytes/workgroup (compile time only)
; SGPRBlocks: 0
; VGPRBlocks: 0
; NumSGPRsForWavesPerEU: 6
; NumVGPRsForWavesPerEU: 1
; AccumOffset: 4
; Occupancy: 8
; WaveLimiterHint : 0
; COMPUTE_PGM_RSRC2:SCRATCH_EN: 0
; COMPUTE_PGM_RSRC2:USER_SGPR: 2
; COMPUTE_PGM_RSRC2:TRAP_HANDLER: 0
; COMPUTE_PGM_RSRC2:TGID_X_EN: 1
; COMPUTE_PGM_RSRC2:TGID_Y_EN: 0
; COMPUTE_PGM_RSRC2:TGID_Z_EN: 0
; COMPUTE_PGM_RSRC2:TIDIG_COMP_CNT: 0
; COMPUTE_PGM_RSRC3_GFX90A:ACCUM_OFFSET: 0
; COMPUTE_PGM_RSRC3_GFX90A:TG_SPLIT: 0
	.section	.text._ZN7rocprim17ROCPRIM_400000_NS6detail17trampoline_kernelINS0_14default_configENS1_27scan_by_key_config_selectorIiyEEZZNS1_16scan_by_key_implILNS1_25lookback_scan_determinismE0ELb1ES3_N6thrust23THRUST_200600_302600_NS6detail15normal_iteratorINS9_10device_ptrIiEEEENSB_INSC_IyEEEESG_yNS9_4plusIvEENS9_8equal_toIvEEyEE10hipError_tPvRmT2_T3_T4_T5_mT6_T7_P12ihipStream_tbENKUlT_T0_E_clISt17integral_constantIbLb0EES11_EEDaSW_SX_EUlSW_E_NS1_11comp_targetILNS1_3genE0ELNS1_11target_archE4294967295ELNS1_3gpuE0ELNS1_3repE0EEENS1_30default_config_static_selectorELNS0_4arch9wavefront6targetE1EEEvT1_,"axG",@progbits,_ZN7rocprim17ROCPRIM_400000_NS6detail17trampoline_kernelINS0_14default_configENS1_27scan_by_key_config_selectorIiyEEZZNS1_16scan_by_key_implILNS1_25lookback_scan_determinismE0ELb1ES3_N6thrust23THRUST_200600_302600_NS6detail15normal_iteratorINS9_10device_ptrIiEEEENSB_INSC_IyEEEESG_yNS9_4plusIvEENS9_8equal_toIvEEyEE10hipError_tPvRmT2_T3_T4_T5_mT6_T7_P12ihipStream_tbENKUlT_T0_E_clISt17integral_constantIbLb0EES11_EEDaSW_SX_EUlSW_E_NS1_11comp_targetILNS1_3genE0ELNS1_11target_archE4294967295ELNS1_3gpuE0ELNS1_3repE0EEENS1_30default_config_static_selectorELNS0_4arch9wavefront6targetE1EEEvT1_,comdat
	.protected	_ZN7rocprim17ROCPRIM_400000_NS6detail17trampoline_kernelINS0_14default_configENS1_27scan_by_key_config_selectorIiyEEZZNS1_16scan_by_key_implILNS1_25lookback_scan_determinismE0ELb1ES3_N6thrust23THRUST_200600_302600_NS6detail15normal_iteratorINS9_10device_ptrIiEEEENSB_INSC_IyEEEESG_yNS9_4plusIvEENS9_8equal_toIvEEyEE10hipError_tPvRmT2_T3_T4_T5_mT6_T7_P12ihipStream_tbENKUlT_T0_E_clISt17integral_constantIbLb0EES11_EEDaSW_SX_EUlSW_E_NS1_11comp_targetILNS1_3genE0ELNS1_11target_archE4294967295ELNS1_3gpuE0ELNS1_3repE0EEENS1_30default_config_static_selectorELNS0_4arch9wavefront6targetE1EEEvT1_ ; -- Begin function _ZN7rocprim17ROCPRIM_400000_NS6detail17trampoline_kernelINS0_14default_configENS1_27scan_by_key_config_selectorIiyEEZZNS1_16scan_by_key_implILNS1_25lookback_scan_determinismE0ELb1ES3_N6thrust23THRUST_200600_302600_NS6detail15normal_iteratorINS9_10device_ptrIiEEEENSB_INSC_IyEEEESG_yNS9_4plusIvEENS9_8equal_toIvEEyEE10hipError_tPvRmT2_T3_T4_T5_mT6_T7_P12ihipStream_tbENKUlT_T0_E_clISt17integral_constantIbLb0EES11_EEDaSW_SX_EUlSW_E_NS1_11comp_targetILNS1_3genE0ELNS1_11target_archE4294967295ELNS1_3gpuE0ELNS1_3repE0EEENS1_30default_config_static_selectorELNS0_4arch9wavefront6targetE1EEEvT1_
	.globl	_ZN7rocprim17ROCPRIM_400000_NS6detail17trampoline_kernelINS0_14default_configENS1_27scan_by_key_config_selectorIiyEEZZNS1_16scan_by_key_implILNS1_25lookback_scan_determinismE0ELb1ES3_N6thrust23THRUST_200600_302600_NS6detail15normal_iteratorINS9_10device_ptrIiEEEENSB_INSC_IyEEEESG_yNS9_4plusIvEENS9_8equal_toIvEEyEE10hipError_tPvRmT2_T3_T4_T5_mT6_T7_P12ihipStream_tbENKUlT_T0_E_clISt17integral_constantIbLb0EES11_EEDaSW_SX_EUlSW_E_NS1_11comp_targetILNS1_3genE0ELNS1_11target_archE4294967295ELNS1_3gpuE0ELNS1_3repE0EEENS1_30default_config_static_selectorELNS0_4arch9wavefront6targetE1EEEvT1_
	.p2align	8
	.type	_ZN7rocprim17ROCPRIM_400000_NS6detail17trampoline_kernelINS0_14default_configENS1_27scan_by_key_config_selectorIiyEEZZNS1_16scan_by_key_implILNS1_25lookback_scan_determinismE0ELb1ES3_N6thrust23THRUST_200600_302600_NS6detail15normal_iteratorINS9_10device_ptrIiEEEENSB_INSC_IyEEEESG_yNS9_4plusIvEENS9_8equal_toIvEEyEE10hipError_tPvRmT2_T3_T4_T5_mT6_T7_P12ihipStream_tbENKUlT_T0_E_clISt17integral_constantIbLb0EES11_EEDaSW_SX_EUlSW_E_NS1_11comp_targetILNS1_3genE0ELNS1_11target_archE4294967295ELNS1_3gpuE0ELNS1_3repE0EEENS1_30default_config_static_selectorELNS0_4arch9wavefront6targetE1EEEvT1_,@function
_ZN7rocprim17ROCPRIM_400000_NS6detail17trampoline_kernelINS0_14default_configENS1_27scan_by_key_config_selectorIiyEEZZNS1_16scan_by_key_implILNS1_25lookback_scan_determinismE0ELb1ES3_N6thrust23THRUST_200600_302600_NS6detail15normal_iteratorINS9_10device_ptrIiEEEENSB_INSC_IyEEEESG_yNS9_4plusIvEENS9_8equal_toIvEEyEE10hipError_tPvRmT2_T3_T4_T5_mT6_T7_P12ihipStream_tbENKUlT_T0_E_clISt17integral_constantIbLb0EES11_EEDaSW_SX_EUlSW_E_NS1_11comp_targetILNS1_3genE0ELNS1_11target_archE4294967295ELNS1_3gpuE0ELNS1_3repE0EEENS1_30default_config_static_selectorELNS0_4arch9wavefront6targetE1EEEvT1_: ; @_ZN7rocprim17ROCPRIM_400000_NS6detail17trampoline_kernelINS0_14default_configENS1_27scan_by_key_config_selectorIiyEEZZNS1_16scan_by_key_implILNS1_25lookback_scan_determinismE0ELb1ES3_N6thrust23THRUST_200600_302600_NS6detail15normal_iteratorINS9_10device_ptrIiEEEENSB_INSC_IyEEEESG_yNS9_4plusIvEENS9_8equal_toIvEEyEE10hipError_tPvRmT2_T3_T4_T5_mT6_T7_P12ihipStream_tbENKUlT_T0_E_clISt17integral_constantIbLb0EES11_EEDaSW_SX_EUlSW_E_NS1_11comp_targetILNS1_3genE0ELNS1_11target_archE4294967295ELNS1_3gpuE0ELNS1_3repE0EEENS1_30default_config_static_selectorELNS0_4arch9wavefront6targetE1EEEvT1_
; %bb.0:
	.section	.rodata,"a",@progbits
	.p2align	6, 0x0
	.amdhsa_kernel _ZN7rocprim17ROCPRIM_400000_NS6detail17trampoline_kernelINS0_14default_configENS1_27scan_by_key_config_selectorIiyEEZZNS1_16scan_by_key_implILNS1_25lookback_scan_determinismE0ELb1ES3_N6thrust23THRUST_200600_302600_NS6detail15normal_iteratorINS9_10device_ptrIiEEEENSB_INSC_IyEEEESG_yNS9_4plusIvEENS9_8equal_toIvEEyEE10hipError_tPvRmT2_T3_T4_T5_mT6_T7_P12ihipStream_tbENKUlT_T0_E_clISt17integral_constantIbLb0EES11_EEDaSW_SX_EUlSW_E_NS1_11comp_targetILNS1_3genE0ELNS1_11target_archE4294967295ELNS1_3gpuE0ELNS1_3repE0EEENS1_30default_config_static_selectorELNS0_4arch9wavefront6targetE1EEEvT1_
		.amdhsa_group_segment_fixed_size 0
		.amdhsa_private_segment_fixed_size 0
		.amdhsa_kernarg_size 136
		.amdhsa_user_sgpr_count 2
		.amdhsa_user_sgpr_dispatch_ptr 0
		.amdhsa_user_sgpr_queue_ptr 0
		.amdhsa_user_sgpr_kernarg_segment_ptr 1
		.amdhsa_user_sgpr_dispatch_id 0
		.amdhsa_user_sgpr_kernarg_preload_length 0
		.amdhsa_user_sgpr_kernarg_preload_offset 0
		.amdhsa_user_sgpr_private_segment_size 0
		.amdhsa_uses_dynamic_stack 0
		.amdhsa_enable_private_segment 0
		.amdhsa_system_sgpr_workgroup_id_x 1
		.amdhsa_system_sgpr_workgroup_id_y 0
		.amdhsa_system_sgpr_workgroup_id_z 0
		.amdhsa_system_sgpr_workgroup_info 0
		.amdhsa_system_vgpr_workitem_id 0
		.amdhsa_next_free_vgpr 1
		.amdhsa_next_free_sgpr 0
		.amdhsa_accum_offset 4
		.amdhsa_reserve_vcc 0
		.amdhsa_float_round_mode_32 0
		.amdhsa_float_round_mode_16_64 0
		.amdhsa_float_denorm_mode_32 3
		.amdhsa_float_denorm_mode_16_64 3
		.amdhsa_dx10_clamp 1
		.amdhsa_ieee_mode 1
		.amdhsa_fp16_overflow 0
		.amdhsa_tg_split 0
		.amdhsa_exception_fp_ieee_invalid_op 0
		.amdhsa_exception_fp_denorm_src 0
		.amdhsa_exception_fp_ieee_div_zero 0
		.amdhsa_exception_fp_ieee_overflow 0
		.amdhsa_exception_fp_ieee_underflow 0
		.amdhsa_exception_fp_ieee_inexact 0
		.amdhsa_exception_int_div_zero 0
	.end_amdhsa_kernel
	.section	.text._ZN7rocprim17ROCPRIM_400000_NS6detail17trampoline_kernelINS0_14default_configENS1_27scan_by_key_config_selectorIiyEEZZNS1_16scan_by_key_implILNS1_25lookback_scan_determinismE0ELb1ES3_N6thrust23THRUST_200600_302600_NS6detail15normal_iteratorINS9_10device_ptrIiEEEENSB_INSC_IyEEEESG_yNS9_4plusIvEENS9_8equal_toIvEEyEE10hipError_tPvRmT2_T3_T4_T5_mT6_T7_P12ihipStream_tbENKUlT_T0_E_clISt17integral_constantIbLb0EES11_EEDaSW_SX_EUlSW_E_NS1_11comp_targetILNS1_3genE0ELNS1_11target_archE4294967295ELNS1_3gpuE0ELNS1_3repE0EEENS1_30default_config_static_selectorELNS0_4arch9wavefront6targetE1EEEvT1_,"axG",@progbits,_ZN7rocprim17ROCPRIM_400000_NS6detail17trampoline_kernelINS0_14default_configENS1_27scan_by_key_config_selectorIiyEEZZNS1_16scan_by_key_implILNS1_25lookback_scan_determinismE0ELb1ES3_N6thrust23THRUST_200600_302600_NS6detail15normal_iteratorINS9_10device_ptrIiEEEENSB_INSC_IyEEEESG_yNS9_4plusIvEENS9_8equal_toIvEEyEE10hipError_tPvRmT2_T3_T4_T5_mT6_T7_P12ihipStream_tbENKUlT_T0_E_clISt17integral_constantIbLb0EES11_EEDaSW_SX_EUlSW_E_NS1_11comp_targetILNS1_3genE0ELNS1_11target_archE4294967295ELNS1_3gpuE0ELNS1_3repE0EEENS1_30default_config_static_selectorELNS0_4arch9wavefront6targetE1EEEvT1_,comdat
.Lfunc_end1463:
	.size	_ZN7rocprim17ROCPRIM_400000_NS6detail17trampoline_kernelINS0_14default_configENS1_27scan_by_key_config_selectorIiyEEZZNS1_16scan_by_key_implILNS1_25lookback_scan_determinismE0ELb1ES3_N6thrust23THRUST_200600_302600_NS6detail15normal_iteratorINS9_10device_ptrIiEEEENSB_INSC_IyEEEESG_yNS9_4plusIvEENS9_8equal_toIvEEyEE10hipError_tPvRmT2_T3_T4_T5_mT6_T7_P12ihipStream_tbENKUlT_T0_E_clISt17integral_constantIbLb0EES11_EEDaSW_SX_EUlSW_E_NS1_11comp_targetILNS1_3genE0ELNS1_11target_archE4294967295ELNS1_3gpuE0ELNS1_3repE0EEENS1_30default_config_static_selectorELNS0_4arch9wavefront6targetE1EEEvT1_, .Lfunc_end1463-_ZN7rocprim17ROCPRIM_400000_NS6detail17trampoline_kernelINS0_14default_configENS1_27scan_by_key_config_selectorIiyEEZZNS1_16scan_by_key_implILNS1_25lookback_scan_determinismE0ELb1ES3_N6thrust23THRUST_200600_302600_NS6detail15normal_iteratorINS9_10device_ptrIiEEEENSB_INSC_IyEEEESG_yNS9_4plusIvEENS9_8equal_toIvEEyEE10hipError_tPvRmT2_T3_T4_T5_mT6_T7_P12ihipStream_tbENKUlT_T0_E_clISt17integral_constantIbLb0EES11_EEDaSW_SX_EUlSW_E_NS1_11comp_targetILNS1_3genE0ELNS1_11target_archE4294967295ELNS1_3gpuE0ELNS1_3repE0EEENS1_30default_config_static_selectorELNS0_4arch9wavefront6targetE1EEEvT1_
                                        ; -- End function
	.section	.AMDGPU.csdata,"",@progbits
; Kernel info:
; codeLenInByte = 0
; NumSgprs: 6
; NumVgprs: 0
; NumAgprs: 0
; TotalNumVgprs: 0
; ScratchSize: 0
; MemoryBound: 0
; FloatMode: 240
; IeeeMode: 1
; LDSByteSize: 0 bytes/workgroup (compile time only)
; SGPRBlocks: 0
; VGPRBlocks: 0
; NumSGPRsForWavesPerEU: 6
; NumVGPRsForWavesPerEU: 1
; AccumOffset: 4
; Occupancy: 8
; WaveLimiterHint : 0
; COMPUTE_PGM_RSRC2:SCRATCH_EN: 0
; COMPUTE_PGM_RSRC2:USER_SGPR: 2
; COMPUTE_PGM_RSRC2:TRAP_HANDLER: 0
; COMPUTE_PGM_RSRC2:TGID_X_EN: 1
; COMPUTE_PGM_RSRC2:TGID_Y_EN: 0
; COMPUTE_PGM_RSRC2:TGID_Z_EN: 0
; COMPUTE_PGM_RSRC2:TIDIG_COMP_CNT: 0
; COMPUTE_PGM_RSRC3_GFX90A:ACCUM_OFFSET: 0
; COMPUTE_PGM_RSRC3_GFX90A:TG_SPLIT: 0
	.section	.text._ZN7rocprim17ROCPRIM_400000_NS6detail17trampoline_kernelINS0_14default_configENS1_27scan_by_key_config_selectorIiyEEZZNS1_16scan_by_key_implILNS1_25lookback_scan_determinismE0ELb1ES3_N6thrust23THRUST_200600_302600_NS6detail15normal_iteratorINS9_10device_ptrIiEEEENSB_INSC_IyEEEESG_yNS9_4plusIvEENS9_8equal_toIvEEyEE10hipError_tPvRmT2_T3_T4_T5_mT6_T7_P12ihipStream_tbENKUlT_T0_E_clISt17integral_constantIbLb0EES11_EEDaSW_SX_EUlSW_E_NS1_11comp_targetILNS1_3genE10ELNS1_11target_archE1201ELNS1_3gpuE5ELNS1_3repE0EEENS1_30default_config_static_selectorELNS0_4arch9wavefront6targetE1EEEvT1_,"axG",@progbits,_ZN7rocprim17ROCPRIM_400000_NS6detail17trampoline_kernelINS0_14default_configENS1_27scan_by_key_config_selectorIiyEEZZNS1_16scan_by_key_implILNS1_25lookback_scan_determinismE0ELb1ES3_N6thrust23THRUST_200600_302600_NS6detail15normal_iteratorINS9_10device_ptrIiEEEENSB_INSC_IyEEEESG_yNS9_4plusIvEENS9_8equal_toIvEEyEE10hipError_tPvRmT2_T3_T4_T5_mT6_T7_P12ihipStream_tbENKUlT_T0_E_clISt17integral_constantIbLb0EES11_EEDaSW_SX_EUlSW_E_NS1_11comp_targetILNS1_3genE10ELNS1_11target_archE1201ELNS1_3gpuE5ELNS1_3repE0EEENS1_30default_config_static_selectorELNS0_4arch9wavefront6targetE1EEEvT1_,comdat
	.protected	_ZN7rocprim17ROCPRIM_400000_NS6detail17trampoline_kernelINS0_14default_configENS1_27scan_by_key_config_selectorIiyEEZZNS1_16scan_by_key_implILNS1_25lookback_scan_determinismE0ELb1ES3_N6thrust23THRUST_200600_302600_NS6detail15normal_iteratorINS9_10device_ptrIiEEEENSB_INSC_IyEEEESG_yNS9_4plusIvEENS9_8equal_toIvEEyEE10hipError_tPvRmT2_T3_T4_T5_mT6_T7_P12ihipStream_tbENKUlT_T0_E_clISt17integral_constantIbLb0EES11_EEDaSW_SX_EUlSW_E_NS1_11comp_targetILNS1_3genE10ELNS1_11target_archE1201ELNS1_3gpuE5ELNS1_3repE0EEENS1_30default_config_static_selectorELNS0_4arch9wavefront6targetE1EEEvT1_ ; -- Begin function _ZN7rocprim17ROCPRIM_400000_NS6detail17trampoline_kernelINS0_14default_configENS1_27scan_by_key_config_selectorIiyEEZZNS1_16scan_by_key_implILNS1_25lookback_scan_determinismE0ELb1ES3_N6thrust23THRUST_200600_302600_NS6detail15normal_iteratorINS9_10device_ptrIiEEEENSB_INSC_IyEEEESG_yNS9_4plusIvEENS9_8equal_toIvEEyEE10hipError_tPvRmT2_T3_T4_T5_mT6_T7_P12ihipStream_tbENKUlT_T0_E_clISt17integral_constantIbLb0EES11_EEDaSW_SX_EUlSW_E_NS1_11comp_targetILNS1_3genE10ELNS1_11target_archE1201ELNS1_3gpuE5ELNS1_3repE0EEENS1_30default_config_static_selectorELNS0_4arch9wavefront6targetE1EEEvT1_
	.globl	_ZN7rocprim17ROCPRIM_400000_NS6detail17trampoline_kernelINS0_14default_configENS1_27scan_by_key_config_selectorIiyEEZZNS1_16scan_by_key_implILNS1_25lookback_scan_determinismE0ELb1ES3_N6thrust23THRUST_200600_302600_NS6detail15normal_iteratorINS9_10device_ptrIiEEEENSB_INSC_IyEEEESG_yNS9_4plusIvEENS9_8equal_toIvEEyEE10hipError_tPvRmT2_T3_T4_T5_mT6_T7_P12ihipStream_tbENKUlT_T0_E_clISt17integral_constantIbLb0EES11_EEDaSW_SX_EUlSW_E_NS1_11comp_targetILNS1_3genE10ELNS1_11target_archE1201ELNS1_3gpuE5ELNS1_3repE0EEENS1_30default_config_static_selectorELNS0_4arch9wavefront6targetE1EEEvT1_
	.p2align	8
	.type	_ZN7rocprim17ROCPRIM_400000_NS6detail17trampoline_kernelINS0_14default_configENS1_27scan_by_key_config_selectorIiyEEZZNS1_16scan_by_key_implILNS1_25lookback_scan_determinismE0ELb1ES3_N6thrust23THRUST_200600_302600_NS6detail15normal_iteratorINS9_10device_ptrIiEEEENSB_INSC_IyEEEESG_yNS9_4plusIvEENS9_8equal_toIvEEyEE10hipError_tPvRmT2_T3_T4_T5_mT6_T7_P12ihipStream_tbENKUlT_T0_E_clISt17integral_constantIbLb0EES11_EEDaSW_SX_EUlSW_E_NS1_11comp_targetILNS1_3genE10ELNS1_11target_archE1201ELNS1_3gpuE5ELNS1_3repE0EEENS1_30default_config_static_selectorELNS0_4arch9wavefront6targetE1EEEvT1_,@function
_ZN7rocprim17ROCPRIM_400000_NS6detail17trampoline_kernelINS0_14default_configENS1_27scan_by_key_config_selectorIiyEEZZNS1_16scan_by_key_implILNS1_25lookback_scan_determinismE0ELb1ES3_N6thrust23THRUST_200600_302600_NS6detail15normal_iteratorINS9_10device_ptrIiEEEENSB_INSC_IyEEEESG_yNS9_4plusIvEENS9_8equal_toIvEEyEE10hipError_tPvRmT2_T3_T4_T5_mT6_T7_P12ihipStream_tbENKUlT_T0_E_clISt17integral_constantIbLb0EES11_EEDaSW_SX_EUlSW_E_NS1_11comp_targetILNS1_3genE10ELNS1_11target_archE1201ELNS1_3gpuE5ELNS1_3repE0EEENS1_30default_config_static_selectorELNS0_4arch9wavefront6targetE1EEEvT1_: ; @_ZN7rocprim17ROCPRIM_400000_NS6detail17trampoline_kernelINS0_14default_configENS1_27scan_by_key_config_selectorIiyEEZZNS1_16scan_by_key_implILNS1_25lookback_scan_determinismE0ELb1ES3_N6thrust23THRUST_200600_302600_NS6detail15normal_iteratorINS9_10device_ptrIiEEEENSB_INSC_IyEEEESG_yNS9_4plusIvEENS9_8equal_toIvEEyEE10hipError_tPvRmT2_T3_T4_T5_mT6_T7_P12ihipStream_tbENKUlT_T0_E_clISt17integral_constantIbLb0EES11_EEDaSW_SX_EUlSW_E_NS1_11comp_targetILNS1_3genE10ELNS1_11target_archE1201ELNS1_3gpuE5ELNS1_3repE0EEENS1_30default_config_static_selectorELNS0_4arch9wavefront6targetE1EEEvT1_
; %bb.0:
	.section	.rodata,"a",@progbits
	.p2align	6, 0x0
	.amdhsa_kernel _ZN7rocprim17ROCPRIM_400000_NS6detail17trampoline_kernelINS0_14default_configENS1_27scan_by_key_config_selectorIiyEEZZNS1_16scan_by_key_implILNS1_25lookback_scan_determinismE0ELb1ES3_N6thrust23THRUST_200600_302600_NS6detail15normal_iteratorINS9_10device_ptrIiEEEENSB_INSC_IyEEEESG_yNS9_4plusIvEENS9_8equal_toIvEEyEE10hipError_tPvRmT2_T3_T4_T5_mT6_T7_P12ihipStream_tbENKUlT_T0_E_clISt17integral_constantIbLb0EES11_EEDaSW_SX_EUlSW_E_NS1_11comp_targetILNS1_3genE10ELNS1_11target_archE1201ELNS1_3gpuE5ELNS1_3repE0EEENS1_30default_config_static_selectorELNS0_4arch9wavefront6targetE1EEEvT1_
		.amdhsa_group_segment_fixed_size 0
		.amdhsa_private_segment_fixed_size 0
		.amdhsa_kernarg_size 136
		.amdhsa_user_sgpr_count 2
		.amdhsa_user_sgpr_dispatch_ptr 0
		.amdhsa_user_sgpr_queue_ptr 0
		.amdhsa_user_sgpr_kernarg_segment_ptr 1
		.amdhsa_user_sgpr_dispatch_id 0
		.amdhsa_user_sgpr_kernarg_preload_length 0
		.amdhsa_user_sgpr_kernarg_preload_offset 0
		.amdhsa_user_sgpr_private_segment_size 0
		.amdhsa_uses_dynamic_stack 0
		.amdhsa_enable_private_segment 0
		.amdhsa_system_sgpr_workgroup_id_x 1
		.amdhsa_system_sgpr_workgroup_id_y 0
		.amdhsa_system_sgpr_workgroup_id_z 0
		.amdhsa_system_sgpr_workgroup_info 0
		.amdhsa_system_vgpr_workitem_id 0
		.amdhsa_next_free_vgpr 1
		.amdhsa_next_free_sgpr 0
		.amdhsa_accum_offset 4
		.amdhsa_reserve_vcc 0
		.amdhsa_float_round_mode_32 0
		.amdhsa_float_round_mode_16_64 0
		.amdhsa_float_denorm_mode_32 3
		.amdhsa_float_denorm_mode_16_64 3
		.amdhsa_dx10_clamp 1
		.amdhsa_ieee_mode 1
		.amdhsa_fp16_overflow 0
		.amdhsa_tg_split 0
		.amdhsa_exception_fp_ieee_invalid_op 0
		.amdhsa_exception_fp_denorm_src 0
		.amdhsa_exception_fp_ieee_div_zero 0
		.amdhsa_exception_fp_ieee_overflow 0
		.amdhsa_exception_fp_ieee_underflow 0
		.amdhsa_exception_fp_ieee_inexact 0
		.amdhsa_exception_int_div_zero 0
	.end_amdhsa_kernel
	.section	.text._ZN7rocprim17ROCPRIM_400000_NS6detail17trampoline_kernelINS0_14default_configENS1_27scan_by_key_config_selectorIiyEEZZNS1_16scan_by_key_implILNS1_25lookback_scan_determinismE0ELb1ES3_N6thrust23THRUST_200600_302600_NS6detail15normal_iteratorINS9_10device_ptrIiEEEENSB_INSC_IyEEEESG_yNS9_4plusIvEENS9_8equal_toIvEEyEE10hipError_tPvRmT2_T3_T4_T5_mT6_T7_P12ihipStream_tbENKUlT_T0_E_clISt17integral_constantIbLb0EES11_EEDaSW_SX_EUlSW_E_NS1_11comp_targetILNS1_3genE10ELNS1_11target_archE1201ELNS1_3gpuE5ELNS1_3repE0EEENS1_30default_config_static_selectorELNS0_4arch9wavefront6targetE1EEEvT1_,"axG",@progbits,_ZN7rocprim17ROCPRIM_400000_NS6detail17trampoline_kernelINS0_14default_configENS1_27scan_by_key_config_selectorIiyEEZZNS1_16scan_by_key_implILNS1_25lookback_scan_determinismE0ELb1ES3_N6thrust23THRUST_200600_302600_NS6detail15normal_iteratorINS9_10device_ptrIiEEEENSB_INSC_IyEEEESG_yNS9_4plusIvEENS9_8equal_toIvEEyEE10hipError_tPvRmT2_T3_T4_T5_mT6_T7_P12ihipStream_tbENKUlT_T0_E_clISt17integral_constantIbLb0EES11_EEDaSW_SX_EUlSW_E_NS1_11comp_targetILNS1_3genE10ELNS1_11target_archE1201ELNS1_3gpuE5ELNS1_3repE0EEENS1_30default_config_static_selectorELNS0_4arch9wavefront6targetE1EEEvT1_,comdat
.Lfunc_end1464:
	.size	_ZN7rocprim17ROCPRIM_400000_NS6detail17trampoline_kernelINS0_14default_configENS1_27scan_by_key_config_selectorIiyEEZZNS1_16scan_by_key_implILNS1_25lookback_scan_determinismE0ELb1ES3_N6thrust23THRUST_200600_302600_NS6detail15normal_iteratorINS9_10device_ptrIiEEEENSB_INSC_IyEEEESG_yNS9_4plusIvEENS9_8equal_toIvEEyEE10hipError_tPvRmT2_T3_T4_T5_mT6_T7_P12ihipStream_tbENKUlT_T0_E_clISt17integral_constantIbLb0EES11_EEDaSW_SX_EUlSW_E_NS1_11comp_targetILNS1_3genE10ELNS1_11target_archE1201ELNS1_3gpuE5ELNS1_3repE0EEENS1_30default_config_static_selectorELNS0_4arch9wavefront6targetE1EEEvT1_, .Lfunc_end1464-_ZN7rocprim17ROCPRIM_400000_NS6detail17trampoline_kernelINS0_14default_configENS1_27scan_by_key_config_selectorIiyEEZZNS1_16scan_by_key_implILNS1_25lookback_scan_determinismE0ELb1ES3_N6thrust23THRUST_200600_302600_NS6detail15normal_iteratorINS9_10device_ptrIiEEEENSB_INSC_IyEEEESG_yNS9_4plusIvEENS9_8equal_toIvEEyEE10hipError_tPvRmT2_T3_T4_T5_mT6_T7_P12ihipStream_tbENKUlT_T0_E_clISt17integral_constantIbLb0EES11_EEDaSW_SX_EUlSW_E_NS1_11comp_targetILNS1_3genE10ELNS1_11target_archE1201ELNS1_3gpuE5ELNS1_3repE0EEENS1_30default_config_static_selectorELNS0_4arch9wavefront6targetE1EEEvT1_
                                        ; -- End function
	.section	.AMDGPU.csdata,"",@progbits
; Kernel info:
; codeLenInByte = 0
; NumSgprs: 6
; NumVgprs: 0
; NumAgprs: 0
; TotalNumVgprs: 0
; ScratchSize: 0
; MemoryBound: 0
; FloatMode: 240
; IeeeMode: 1
; LDSByteSize: 0 bytes/workgroup (compile time only)
; SGPRBlocks: 0
; VGPRBlocks: 0
; NumSGPRsForWavesPerEU: 6
; NumVGPRsForWavesPerEU: 1
; AccumOffset: 4
; Occupancy: 8
; WaveLimiterHint : 0
; COMPUTE_PGM_RSRC2:SCRATCH_EN: 0
; COMPUTE_PGM_RSRC2:USER_SGPR: 2
; COMPUTE_PGM_RSRC2:TRAP_HANDLER: 0
; COMPUTE_PGM_RSRC2:TGID_X_EN: 1
; COMPUTE_PGM_RSRC2:TGID_Y_EN: 0
; COMPUTE_PGM_RSRC2:TGID_Z_EN: 0
; COMPUTE_PGM_RSRC2:TIDIG_COMP_CNT: 0
; COMPUTE_PGM_RSRC3_GFX90A:ACCUM_OFFSET: 0
; COMPUTE_PGM_RSRC3_GFX90A:TG_SPLIT: 0
	.section	.text._ZN7rocprim17ROCPRIM_400000_NS6detail17trampoline_kernelINS0_14default_configENS1_27scan_by_key_config_selectorIiyEEZZNS1_16scan_by_key_implILNS1_25lookback_scan_determinismE0ELb1ES3_N6thrust23THRUST_200600_302600_NS6detail15normal_iteratorINS9_10device_ptrIiEEEENSB_INSC_IyEEEESG_yNS9_4plusIvEENS9_8equal_toIvEEyEE10hipError_tPvRmT2_T3_T4_T5_mT6_T7_P12ihipStream_tbENKUlT_T0_E_clISt17integral_constantIbLb0EES11_EEDaSW_SX_EUlSW_E_NS1_11comp_targetILNS1_3genE5ELNS1_11target_archE942ELNS1_3gpuE9ELNS1_3repE0EEENS1_30default_config_static_selectorELNS0_4arch9wavefront6targetE1EEEvT1_,"axG",@progbits,_ZN7rocprim17ROCPRIM_400000_NS6detail17trampoline_kernelINS0_14default_configENS1_27scan_by_key_config_selectorIiyEEZZNS1_16scan_by_key_implILNS1_25lookback_scan_determinismE0ELb1ES3_N6thrust23THRUST_200600_302600_NS6detail15normal_iteratorINS9_10device_ptrIiEEEENSB_INSC_IyEEEESG_yNS9_4plusIvEENS9_8equal_toIvEEyEE10hipError_tPvRmT2_T3_T4_T5_mT6_T7_P12ihipStream_tbENKUlT_T0_E_clISt17integral_constantIbLb0EES11_EEDaSW_SX_EUlSW_E_NS1_11comp_targetILNS1_3genE5ELNS1_11target_archE942ELNS1_3gpuE9ELNS1_3repE0EEENS1_30default_config_static_selectorELNS0_4arch9wavefront6targetE1EEEvT1_,comdat
	.protected	_ZN7rocprim17ROCPRIM_400000_NS6detail17trampoline_kernelINS0_14default_configENS1_27scan_by_key_config_selectorIiyEEZZNS1_16scan_by_key_implILNS1_25lookback_scan_determinismE0ELb1ES3_N6thrust23THRUST_200600_302600_NS6detail15normal_iteratorINS9_10device_ptrIiEEEENSB_INSC_IyEEEESG_yNS9_4plusIvEENS9_8equal_toIvEEyEE10hipError_tPvRmT2_T3_T4_T5_mT6_T7_P12ihipStream_tbENKUlT_T0_E_clISt17integral_constantIbLb0EES11_EEDaSW_SX_EUlSW_E_NS1_11comp_targetILNS1_3genE5ELNS1_11target_archE942ELNS1_3gpuE9ELNS1_3repE0EEENS1_30default_config_static_selectorELNS0_4arch9wavefront6targetE1EEEvT1_ ; -- Begin function _ZN7rocprim17ROCPRIM_400000_NS6detail17trampoline_kernelINS0_14default_configENS1_27scan_by_key_config_selectorIiyEEZZNS1_16scan_by_key_implILNS1_25lookback_scan_determinismE0ELb1ES3_N6thrust23THRUST_200600_302600_NS6detail15normal_iteratorINS9_10device_ptrIiEEEENSB_INSC_IyEEEESG_yNS9_4plusIvEENS9_8equal_toIvEEyEE10hipError_tPvRmT2_T3_T4_T5_mT6_T7_P12ihipStream_tbENKUlT_T0_E_clISt17integral_constantIbLb0EES11_EEDaSW_SX_EUlSW_E_NS1_11comp_targetILNS1_3genE5ELNS1_11target_archE942ELNS1_3gpuE9ELNS1_3repE0EEENS1_30default_config_static_selectorELNS0_4arch9wavefront6targetE1EEEvT1_
	.globl	_ZN7rocprim17ROCPRIM_400000_NS6detail17trampoline_kernelINS0_14default_configENS1_27scan_by_key_config_selectorIiyEEZZNS1_16scan_by_key_implILNS1_25lookback_scan_determinismE0ELb1ES3_N6thrust23THRUST_200600_302600_NS6detail15normal_iteratorINS9_10device_ptrIiEEEENSB_INSC_IyEEEESG_yNS9_4plusIvEENS9_8equal_toIvEEyEE10hipError_tPvRmT2_T3_T4_T5_mT6_T7_P12ihipStream_tbENKUlT_T0_E_clISt17integral_constantIbLb0EES11_EEDaSW_SX_EUlSW_E_NS1_11comp_targetILNS1_3genE5ELNS1_11target_archE942ELNS1_3gpuE9ELNS1_3repE0EEENS1_30default_config_static_selectorELNS0_4arch9wavefront6targetE1EEEvT1_
	.p2align	8
	.type	_ZN7rocprim17ROCPRIM_400000_NS6detail17trampoline_kernelINS0_14default_configENS1_27scan_by_key_config_selectorIiyEEZZNS1_16scan_by_key_implILNS1_25lookback_scan_determinismE0ELb1ES3_N6thrust23THRUST_200600_302600_NS6detail15normal_iteratorINS9_10device_ptrIiEEEENSB_INSC_IyEEEESG_yNS9_4plusIvEENS9_8equal_toIvEEyEE10hipError_tPvRmT2_T3_T4_T5_mT6_T7_P12ihipStream_tbENKUlT_T0_E_clISt17integral_constantIbLb0EES11_EEDaSW_SX_EUlSW_E_NS1_11comp_targetILNS1_3genE5ELNS1_11target_archE942ELNS1_3gpuE9ELNS1_3repE0EEENS1_30default_config_static_selectorELNS0_4arch9wavefront6targetE1EEEvT1_,@function
_ZN7rocprim17ROCPRIM_400000_NS6detail17trampoline_kernelINS0_14default_configENS1_27scan_by_key_config_selectorIiyEEZZNS1_16scan_by_key_implILNS1_25lookback_scan_determinismE0ELb1ES3_N6thrust23THRUST_200600_302600_NS6detail15normal_iteratorINS9_10device_ptrIiEEEENSB_INSC_IyEEEESG_yNS9_4plusIvEENS9_8equal_toIvEEyEE10hipError_tPvRmT2_T3_T4_T5_mT6_T7_P12ihipStream_tbENKUlT_T0_E_clISt17integral_constantIbLb0EES11_EEDaSW_SX_EUlSW_E_NS1_11comp_targetILNS1_3genE5ELNS1_11target_archE942ELNS1_3gpuE9ELNS1_3repE0EEENS1_30default_config_static_selectorELNS0_4arch9wavefront6targetE1EEEvT1_: ; @_ZN7rocprim17ROCPRIM_400000_NS6detail17trampoline_kernelINS0_14default_configENS1_27scan_by_key_config_selectorIiyEEZZNS1_16scan_by_key_implILNS1_25lookback_scan_determinismE0ELb1ES3_N6thrust23THRUST_200600_302600_NS6detail15normal_iteratorINS9_10device_ptrIiEEEENSB_INSC_IyEEEESG_yNS9_4plusIvEENS9_8equal_toIvEEyEE10hipError_tPvRmT2_T3_T4_T5_mT6_T7_P12ihipStream_tbENKUlT_T0_E_clISt17integral_constantIbLb0EES11_EEDaSW_SX_EUlSW_E_NS1_11comp_targetILNS1_3genE5ELNS1_11target_archE942ELNS1_3gpuE9ELNS1_3repE0EEENS1_30default_config_static_selectorELNS0_4arch9wavefront6targetE1EEEvT1_
; %bb.0:
	s_load_dwordx8 s[56:63], s[0:1], 0x0
	s_load_dwordx2 s[68:69], s[0:1], 0x20
	s_load_dwordx8 s[48:55], s[0:1], 0x30
	s_load_dwordx2 s[70:71], s[0:1], 0x50
	s_load_dword s3, s[0:1], 0x58
	s_load_dwordx4 s[64:67], s[0:1], 0x60
	s_waitcnt lgkmcnt(0)
	s_lshl_b64 s[0:1], s[58:59], 2
	s_add_u32 s6, s56, s0
	s_addc_u32 s7, s57, s1
	s_lshl_b64 s[56:57], s[58:59], 3
	s_add_u32 s8, s60, s56
	s_mul_i32 s0, s71, s3
	s_mul_hi_u32 s1, s70, s3
	s_addc_u32 s9, s61, s57
	s_add_i32 s10, s1, s0
	s_mul_i32 s0, s2, 0x1500
	s_mov_b32 s1, 0
	s_lshl_b64 s[4:5], s[0:1], 2
	s_add_u32 s72, s6, s4
	s_addc_u32 s73, s7, s5
	s_lshl_b64 s[58:59], s[0:1], 3
	s_add_u32 s60, s8, s58
	s_mul_i32 s3, s70, s3
	s_addc_u32 s61, s9, s59
	s_add_u32 s0, s3, s2
	s_addc_u32 s1, s10, 0
	s_add_u32 s6, s64, -1
	s_addc_u32 s7, s65, -1
	v_mov_b64_e32 v[2:3], s[6:7]
	v_cmp_ge_u64_e64 s[0:1], s[0:1], v[2:3]
	s_mov_b64 s[4:5], -1
	s_and_b64 vcc, exec, s[0:1]
	s_mul_i32 s33, s6, 0xffffeb00
	s_barrier
	s_cbranch_vccz .LBB1465_65
; %bb.1:
	v_mov_b64_e32 v[2:3], s[72:73]
	flat_load_dword v2, v[2:3]
	s_add_i32 s55, s33, s54
	v_cmp_gt_u32_e32 vcc, s55, v0
	s_waitcnt vmcnt(0) lgkmcnt(0)
	v_mov_b32_e32 v4, v2
	s_and_saveexec_b64 s[4:5], vcc
	s_cbranch_execz .LBB1465_3
; %bb.2:
	v_lshlrev_b32_e32 v4, 2, v0
	v_mov_b32_e32 v5, 0
	v_lshl_add_u64 v[4:5], s[72:73], 0, v[4:5]
	flat_load_dword v4, v[4:5]
.LBB1465_3:
	s_or_b64 exec, exec, s[4:5]
	v_or_b32_e32 v1, 0x100, v0
	v_cmp_gt_u32_e64 s[44:45], s55, v1
	v_mov_b32_e32 v5, v2
	s_and_saveexec_b64 s[4:5], s[44:45]
	s_cbranch_execz .LBB1465_5
; %bb.4:
	v_lshlrev_b32_e32 v6, 2, v0
	v_mov_b32_e32 v7, 0
	v_lshl_add_u64 v[6:7], s[72:73], 0, v[6:7]
	flat_load_dword v5, v[6:7] offset:1024
.LBB1465_5:
	s_or_b64 exec, exec, s[4:5]
	v_or_b32_e32 v1, 0x200, v0
	v_cmp_gt_u32_e64 s[4:5], s55, v1
	v_mov_b32_e32 v6, v2
	s_and_saveexec_b64 s[6:7], s[4:5]
	s_cbranch_execz .LBB1465_7
; %bb.6:
	v_lshlrev_b32_e32 v6, 2, v0
	v_mov_b32_e32 v7, 0
	v_lshl_add_u64 v[6:7], s[72:73], 0, v[6:7]
	flat_load_dword v6, v[6:7] offset:2048
.LBB1465_7:
	;; [unrolled: 12-line block ×3, first 2 shown]
	s_or_b64 exec, exec, s[8:9]
	v_or_b32_e32 v32, 0x400, v0
	v_cmp_gt_u32_e64 s[8:9], s55, v32
	v_mov_b32_e32 v8, v2
	s_and_saveexec_b64 s[10:11], s[8:9]
	s_cbranch_execz .LBB1465_11
; %bb.10:
	v_lshlrev_b32_e32 v8, 2, v32
	v_mov_b32_e32 v9, 0
	v_lshl_add_u64 v[8:9], s[72:73], 0, v[8:9]
	flat_load_dword v8, v[8:9]
.LBB1465_11:
	s_or_b64 exec, exec, s[10:11]
	v_or_b32_e32 v34, 0x500, v0
	v_cmp_gt_u32_e64 s[10:11], s55, v34
	v_mov_b32_e32 v9, v2
	s_and_saveexec_b64 s[12:13], s[10:11]
	s_cbranch_execz .LBB1465_13
; %bb.12:
	v_lshlrev_b32_e32 v10, 2, v34
	v_mov_b32_e32 v11, 0
	v_lshl_add_u64 v[10:11], s[72:73], 0, v[10:11]
	flat_load_dword v9, v[10:11]
.LBB1465_13:
	;; [unrolled: 12-line block ×16, first 2 shown]
	s_or_b64 exec, exec, s[42:43]
	v_or_b32_e32 v64, 0x1400, v0
	v_cmp_gt_u32_e64 s[42:43], s55, v64
	v_mov_b32_e32 v3, 0
	s_and_saveexec_b64 s[46:47], s[42:43]
	s_cbranch_execz .LBB1465_43
; %bb.42:
	v_lshlrev_b32_e32 v2, 2, v64
	v_lshl_add_u64 v[2:3], s[72:73], 0, v[2:3]
	flat_load_dword v2, v[2:3]
.LBB1465_43:
	s_or_b64 exec, exec, s[46:47]
	v_lshlrev_b32_e32 v3, 2, v0
	s_waitcnt vmcnt(0) lgkmcnt(0)
	ds_write2st64_b32 v3, v4, v5 offset1:4
	ds_write2st64_b32 v3, v6, v7 offset0:8 offset1:12
	ds_write2st64_b32 v3, v8, v9 offset0:16 offset1:20
	;; [unrolled: 1-line block ×9, first 2 shown]
	ds_write_b32 v3, v2 offset:20480
	v_mov_b64_e32 v[4:5], s[72:73]
	s_waitcnt lgkmcnt(0)
	s_barrier
	flat_load_dword v80, v[4:5]
	s_movk_i32 s3, 0x50
	v_mad_u32_u24 v2, v0, s3, v3
	s_movk_i32 s3, 0xffb0
	v_mad_i32_i24 v65, v0, s3, v2
	s_movk_i32 s3, 0xff
	v_cmp_ne_u32_e64 s[46:47], s3, v0
	ds_read_b32 v82, v2
	ds_read2_b32 v[24:25], v2 offset0:1 offset1:2
	ds_read2_b32 v[22:23], v2 offset0:3 offset1:4
	;; [unrolled: 1-line block ×10, first 2 shown]
	s_waitcnt lgkmcnt(0)
	ds_write_b32 v65, v82 offset:22528
	s_waitcnt lgkmcnt(0)
	s_barrier
	s_and_saveexec_b64 s[64:65], s[46:47]
	s_cbranch_execz .LBB1465_45
; %bb.44:
	s_waitcnt vmcnt(0)
	ds_read_b32 v80, v3 offset:22532
.LBB1465_45:
	s_or_b64 exec, exec, s[64:65]
	v_mov_b32_e32 v5, 0
	s_waitcnt lgkmcnt(0)
	s_barrier
	s_waitcnt lgkmcnt(0)
                                        ; implicit-def: $vgpr2_vgpr3
	s_and_saveexec_b64 s[46:47], vcc
	s_cbranch_execz .LBB1465_66
; %bb.46:
	v_lshlrev_b32_e32 v4, 3, v0
	v_lshl_add_u64 v[2:3], s[60:61], 0, v[4:5]
	flat_load_dwordx2 v[2:3], v[2:3]
	s_or_b64 exec, exec, s[46:47]
                                        ; implicit-def: $vgpr4_vgpr5
	s_and_saveexec_b64 s[46:47], s[44:45]
	s_cbranch_execnz .LBB1465_67
.LBB1465_47:
	s_or_b64 exec, exec, s[46:47]
                                        ; implicit-def: $vgpr26_vgpr27
	s_and_saveexec_b64 s[44:45], s[4:5]
	s_cbranch_execz .LBB1465_68
.LBB1465_48:
	v_lshlrev_b32_e32 v26, 3, v1
	v_mov_b32_e32 v27, 0
	v_lshl_add_u64 v[26:27], s[60:61], 0, v[26:27]
	flat_load_dwordx2 v[26:27], v[26:27]
	s_or_b64 exec, exec, s[44:45]
                                        ; implicit-def: $vgpr28_vgpr29
	s_and_saveexec_b64 s[4:5], s[6:7]
	s_cbranch_execnz .LBB1465_69
.LBB1465_49:
	s_or_b64 exec, exec, s[4:5]
                                        ; implicit-def: $vgpr30_vgpr31
	s_and_saveexec_b64 s[4:5], s[8:9]
	s_cbranch_execz .LBB1465_70
.LBB1465_50:
	v_lshlrev_b32_e32 v30, 3, v32
	v_mov_b32_e32 v31, 0
	v_lshl_add_u64 v[30:31], s[60:61], 0, v[30:31]
	flat_load_dwordx2 v[30:31], v[30:31]
	s_or_b64 exec, exec, s[4:5]
                                        ; implicit-def: $vgpr32_vgpr33
	s_and_saveexec_b64 s[4:5], s[10:11]
	s_cbranch_execnz .LBB1465_71
.LBB1465_51:
	s_or_b64 exec, exec, s[4:5]
                                        ; implicit-def: $vgpr34_vgpr35
	s_and_saveexec_b64 s[4:5], s[12:13]
	s_cbranch_execz .LBB1465_72
.LBB1465_52:
	v_lshlrev_b32_e32 v34, 3, v36
	v_mov_b32_e32 v35, 0
	v_lshl_add_u64 v[34:35], s[60:61], 0, v[34:35]
	flat_load_dwordx2 v[34:35], v[34:35]
	s_or_b64 exec, exec, s[4:5]
                                        ; implicit-def: $vgpr36_vgpr37
	s_and_saveexec_b64 s[4:5], s[14:15]
	s_cbranch_execnz .LBB1465_73
.LBB1465_53:
	s_or_b64 exec, exec, s[4:5]
                                        ; implicit-def: $vgpr38_vgpr39
	s_and_saveexec_b64 s[4:5], s[16:17]
	s_cbranch_execz .LBB1465_74
.LBB1465_54:
	v_lshlrev_b32_e32 v38, 3, v40
	v_mov_b32_e32 v39, 0
	v_lshl_add_u64 v[38:39], s[60:61], 0, v[38:39]
	flat_load_dwordx2 v[38:39], v[38:39]
	s_or_b64 exec, exec, s[4:5]
                                        ; implicit-def: $vgpr40_vgpr41
	s_and_saveexec_b64 s[4:5], s[18:19]
	s_cbranch_execnz .LBB1465_75
.LBB1465_55:
	s_or_b64 exec, exec, s[4:5]
                                        ; implicit-def: $vgpr42_vgpr43
	s_and_saveexec_b64 s[4:5], s[20:21]
	s_cbranch_execz .LBB1465_76
.LBB1465_56:
	v_lshlrev_b32_e32 v42, 3, v44
	v_mov_b32_e32 v43, 0
	v_lshl_add_u64 v[42:43], s[60:61], 0, v[42:43]
	flat_load_dwordx2 v[42:43], v[42:43]
	s_or_b64 exec, exec, s[4:5]
                                        ; implicit-def: $vgpr44_vgpr45
	s_and_saveexec_b64 s[4:5], s[22:23]
	s_cbranch_execnz .LBB1465_77
.LBB1465_57:
	s_or_b64 exec, exec, s[4:5]
                                        ; implicit-def: $vgpr46_vgpr47
	s_and_saveexec_b64 s[4:5], s[24:25]
	s_cbranch_execz .LBB1465_78
.LBB1465_58:
	v_lshlrev_b32_e32 v46, 3, v48
	v_mov_b32_e32 v47, 0
	v_lshl_add_u64 v[46:47], s[60:61], 0, v[46:47]
	flat_load_dwordx2 v[46:47], v[46:47]
	s_or_b64 exec, exec, s[4:5]
                                        ; implicit-def: $vgpr48_vgpr49
	s_and_saveexec_b64 s[4:5], s[26:27]
	s_cbranch_execnz .LBB1465_79
.LBB1465_59:
	s_or_b64 exec, exec, s[4:5]
                                        ; implicit-def: $vgpr50_vgpr51
	s_and_saveexec_b64 s[4:5], s[28:29]
	s_cbranch_execz .LBB1465_80
.LBB1465_60:
	v_lshlrev_b32_e32 v50, 3, v52
	v_mov_b32_e32 v51, 0
	v_lshl_add_u64 v[50:51], s[60:61], 0, v[50:51]
	flat_load_dwordx2 v[50:51], v[50:51]
	s_or_b64 exec, exec, s[4:5]
                                        ; implicit-def: $vgpr52_vgpr53
	s_and_saveexec_b64 s[4:5], s[30:31]
	s_cbranch_execnz .LBB1465_81
.LBB1465_61:
	s_or_b64 exec, exec, s[4:5]
                                        ; implicit-def: $vgpr54_vgpr55
	s_and_saveexec_b64 s[4:5], s[34:35]
	s_cbranch_execz .LBB1465_82
.LBB1465_62:
	v_lshlrev_b32_e32 v54, 3, v56
	v_mov_b32_e32 v55, 0
	v_lshl_add_u64 v[54:55], s[60:61], 0, v[54:55]
	flat_load_dwordx2 v[54:55], v[54:55]
	s_or_b64 exec, exec, s[4:5]
                                        ; implicit-def: $vgpr56_vgpr57
	s_and_saveexec_b64 s[4:5], s[36:37]
	s_cbranch_execnz .LBB1465_83
.LBB1465_63:
	s_or_b64 exec, exec, s[4:5]
                                        ; implicit-def: $vgpr58_vgpr59
	s_and_saveexec_b64 s[4:5], s[38:39]
	s_cbranch_execz .LBB1465_84
.LBB1465_64:
	v_lshlrev_b32_e32 v58, 3, v60
	v_mov_b32_e32 v59, 0
	v_lshl_add_u64 v[58:59], s[60:61], 0, v[58:59]
	flat_load_dwordx2 v[58:59], v[58:59]
	s_or_b64 exec, exec, s[4:5]
                                        ; implicit-def: $vgpr60_vgpr61
	s_and_saveexec_b64 s[4:5], s[40:41]
	s_cbranch_execz .LBB1465_86
	s_branch .LBB1465_85
.LBB1465_65:
	s_mov_b64 s[10:11], 0
                                        ; implicit-def: $sgpr8_sgpr9
                                        ; implicit-def: $vgpr2_vgpr3
                                        ; implicit-def: $vgpr42_vgpr43
                                        ; implicit-def: $vgpr106
                                        ; implicit-def: $vgpr40_vgpr41
                                        ; implicit-def: $vgpr122
                                        ; implicit-def: $vgpr78_vgpr79
                                        ; implicit-def: $vgpr121
                                        ; implicit-def: $vgpr76_vgpr77
                                        ; implicit-def: $vgpr120
                                        ; implicit-def: $vgpr74_vgpr75
                                        ; implicit-def: $vgpr119
                                        ; implicit-def: $vgpr72_vgpr73
                                        ; implicit-def: $vgpr118
                                        ; implicit-def: $vgpr70_vgpr71
                                        ; implicit-def: $vgpr117
                                        ; implicit-def: $vgpr68_vgpr69
                                        ; implicit-def: $vgpr116
                                        ; implicit-def: $vgpr66_vgpr67
                                        ; implicit-def: $vgpr115
                                        ; implicit-def: $vgpr64_vgpr65
                                        ; implicit-def: $vgpr114
                                        ; implicit-def: $vgpr62_vgpr63
                                        ; implicit-def: $vgpr113
                                        ; implicit-def: $vgpr60_vgpr61
                                        ; implicit-def: $vgpr112
                                        ; implicit-def: $vgpr58_vgpr59
                                        ; implicit-def: $vgpr111
                                        ; implicit-def: $vgpr56_vgpr57
                                        ; implicit-def: $vgpr110
                                        ; implicit-def: $vgpr54_vgpr55
                                        ; implicit-def: $vgpr109
                                        ; implicit-def: $vgpr52_vgpr53
                                        ; implicit-def: $vgpr108
                                        ; implicit-def: $vgpr50_vgpr51
                                        ; implicit-def: $vgpr107
                                        ; implicit-def: $vgpr48_vgpr49
                                        ; implicit-def: $vgpr105
                                        ; implicit-def: $vgpr46_vgpr47
                                        ; implicit-def: $vgpr104
                                        ; implicit-def: $vgpr44_vgpr45
                                        ; implicit-def: $vgpr1
                                        ; implicit-def: $sgpr3
                                        ; implicit-def: $sgpr6_sgpr7
	s_and_b64 vcc, exec, s[4:5]
	s_cbranch_vccz .LBB1465_136
	s_branch .LBB1465_131
.LBB1465_66:
	s_or_b64 exec, exec, s[46:47]
                                        ; implicit-def: $vgpr4_vgpr5
	s_and_saveexec_b64 s[46:47], s[44:45]
	s_cbranch_execz .LBB1465_47
.LBB1465_67:
	v_lshlrev_b32_e32 v4, 3, v0
	v_mov_b32_e32 v5, 0
	v_lshl_add_u64 v[4:5], s[60:61], 0, v[4:5]
	flat_load_dwordx2 v[4:5], v[4:5] offset:2048
	s_or_b64 exec, exec, s[46:47]
                                        ; implicit-def: $vgpr26_vgpr27
	s_and_saveexec_b64 s[44:45], s[4:5]
	s_cbranch_execnz .LBB1465_48
.LBB1465_68:
	s_or_b64 exec, exec, s[44:45]
                                        ; implicit-def: $vgpr28_vgpr29
	s_and_saveexec_b64 s[4:5], s[6:7]
	s_cbranch_execz .LBB1465_49
.LBB1465_69:
	v_lshlrev_b32_e32 v28, 3, v30
	v_mov_b32_e32 v29, 0
	v_lshl_add_u64 v[28:29], s[60:61], 0, v[28:29]
	flat_load_dwordx2 v[28:29], v[28:29]
	s_or_b64 exec, exec, s[4:5]
                                        ; implicit-def: $vgpr30_vgpr31
	s_and_saveexec_b64 s[4:5], s[8:9]
	s_cbranch_execnz .LBB1465_50
.LBB1465_70:
	s_or_b64 exec, exec, s[4:5]
                                        ; implicit-def: $vgpr32_vgpr33
	s_and_saveexec_b64 s[4:5], s[10:11]
	s_cbranch_execz .LBB1465_51
.LBB1465_71:
	v_lshlrev_b32_e32 v32, 3, v34
	v_mov_b32_e32 v33, 0
	v_lshl_add_u64 v[32:33], s[60:61], 0, v[32:33]
	flat_load_dwordx2 v[32:33], v[32:33]
	s_or_b64 exec, exec, s[4:5]
                                        ; implicit-def: $vgpr34_vgpr35
	s_and_saveexec_b64 s[4:5], s[12:13]
	s_cbranch_execnz .LBB1465_52
.LBB1465_72:
	s_or_b64 exec, exec, s[4:5]
                                        ; implicit-def: $vgpr36_vgpr37
	s_and_saveexec_b64 s[4:5], s[14:15]
	s_cbranch_execz .LBB1465_53
.LBB1465_73:
	v_lshlrev_b32_e32 v36, 3, v38
	v_mov_b32_e32 v37, 0
	v_lshl_add_u64 v[36:37], s[60:61], 0, v[36:37]
	flat_load_dwordx2 v[36:37], v[36:37]
	s_or_b64 exec, exec, s[4:5]
                                        ; implicit-def: $vgpr38_vgpr39
	s_and_saveexec_b64 s[4:5], s[16:17]
	s_cbranch_execnz .LBB1465_54
.LBB1465_74:
	s_or_b64 exec, exec, s[4:5]
                                        ; implicit-def: $vgpr40_vgpr41
	s_and_saveexec_b64 s[4:5], s[18:19]
	s_cbranch_execz .LBB1465_55
.LBB1465_75:
	v_lshlrev_b32_e32 v40, 3, v42
	v_mov_b32_e32 v41, 0
	v_lshl_add_u64 v[40:41], s[60:61], 0, v[40:41]
	flat_load_dwordx2 v[40:41], v[40:41]
	s_or_b64 exec, exec, s[4:5]
                                        ; implicit-def: $vgpr42_vgpr43
	s_and_saveexec_b64 s[4:5], s[20:21]
	s_cbranch_execnz .LBB1465_56
.LBB1465_76:
	s_or_b64 exec, exec, s[4:5]
                                        ; implicit-def: $vgpr44_vgpr45
	s_and_saveexec_b64 s[4:5], s[22:23]
	s_cbranch_execz .LBB1465_57
.LBB1465_77:
	v_lshlrev_b32_e32 v44, 3, v46
	v_mov_b32_e32 v45, 0
	v_lshl_add_u64 v[44:45], s[60:61], 0, v[44:45]
	flat_load_dwordx2 v[44:45], v[44:45]
	s_or_b64 exec, exec, s[4:5]
                                        ; implicit-def: $vgpr46_vgpr47
	s_and_saveexec_b64 s[4:5], s[24:25]
	s_cbranch_execnz .LBB1465_58
.LBB1465_78:
	s_or_b64 exec, exec, s[4:5]
                                        ; implicit-def: $vgpr48_vgpr49
	s_and_saveexec_b64 s[4:5], s[26:27]
	s_cbranch_execz .LBB1465_59
.LBB1465_79:
	v_lshlrev_b32_e32 v48, 3, v50
	v_mov_b32_e32 v49, 0
	v_lshl_add_u64 v[48:49], s[60:61], 0, v[48:49]
	flat_load_dwordx2 v[48:49], v[48:49]
	s_or_b64 exec, exec, s[4:5]
                                        ; implicit-def: $vgpr50_vgpr51
	s_and_saveexec_b64 s[4:5], s[28:29]
	s_cbranch_execnz .LBB1465_60
.LBB1465_80:
	s_or_b64 exec, exec, s[4:5]
                                        ; implicit-def: $vgpr52_vgpr53
	s_and_saveexec_b64 s[4:5], s[30:31]
	s_cbranch_execz .LBB1465_61
.LBB1465_81:
	v_lshlrev_b32_e32 v52, 3, v54
	v_mov_b32_e32 v53, 0
	v_lshl_add_u64 v[52:53], s[60:61], 0, v[52:53]
	flat_load_dwordx2 v[52:53], v[52:53]
	s_or_b64 exec, exec, s[4:5]
                                        ; implicit-def: $vgpr54_vgpr55
	s_and_saveexec_b64 s[4:5], s[34:35]
	s_cbranch_execnz .LBB1465_62
.LBB1465_82:
	s_or_b64 exec, exec, s[4:5]
                                        ; implicit-def: $vgpr56_vgpr57
	s_and_saveexec_b64 s[4:5], s[36:37]
	s_cbranch_execz .LBB1465_63
.LBB1465_83:
	v_lshlrev_b32_e32 v56, 3, v58
	v_mov_b32_e32 v57, 0
	v_lshl_add_u64 v[56:57], s[60:61], 0, v[56:57]
	flat_load_dwordx2 v[56:57], v[56:57]
	s_or_b64 exec, exec, s[4:5]
                                        ; implicit-def: $vgpr58_vgpr59
	s_and_saveexec_b64 s[4:5], s[38:39]
	s_cbranch_execnz .LBB1465_64
.LBB1465_84:
	s_or_b64 exec, exec, s[4:5]
                                        ; implicit-def: $vgpr60_vgpr61
	s_and_saveexec_b64 s[4:5], s[40:41]
	s_cbranch_execz .LBB1465_86
.LBB1465_85:
	v_lshlrev_b32_e32 v60, 3, v62
	v_mov_b32_e32 v61, 0
	v_lshl_add_u64 v[60:61], s[60:61], 0, v[60:61]
	flat_load_dwordx2 v[60:61], v[60:61]
.LBB1465_86:
	s_or_b64 exec, exec, s[4:5]
	v_mul_u32_u24_e32 v81, 21, v0
                                        ; implicit-def: $vgpr62_vgpr63
	s_and_saveexec_b64 s[4:5], s[42:43]
	s_cbranch_execz .LBB1465_88
; %bb.87:
	v_lshlrev_b32_e32 v62, 3, v64
	v_mov_b32_e32 v63, 0
	v_lshl_add_u64 v[62:63], s[60:61], 0, v[62:63]
	flat_load_dwordx2 v[62:63], v[62:63]
.LBB1465_88:
	s_or_b64 exec, exec, s[4:5]
	v_lshl_add_u32 v83, v0, 2, v65
	s_waitcnt vmcnt(0) lgkmcnt(0)
	ds_write2st64_b64 v83, v[2:3], v[4:5] offset1:4
	ds_write2st64_b64 v83, v[26:27], v[28:29] offset0:8 offset1:12
	ds_write2st64_b64 v83, v[30:31], v[32:33] offset0:16 offset1:20
	;; [unrolled: 1-line block ×9, first 2 shown]
	ds_write_b64 v83, v[62:63] offset:40960
	v_mov_b64_e32 v[42:43], 0
	v_cmp_gt_u32_e32 vcc, s55, v81
	s_mov_b64 s[10:11], 0
	s_mov_b32 s3, 0
	s_mov_b64 s[4:5], 0
	v_mov_b32_e32 v106, 0
	v_mov_b64_e32 v[40:41], v[42:43]
	v_mov_b32_e32 v122, 0
	v_mov_b64_e32 v[78:79], v[42:43]
	;; [unrolled: 2-line block ×19, first 2 shown]
	v_mov_b32_e32 v1, 0
	s_waitcnt lgkmcnt(0)
	s_barrier
	s_waitcnt lgkmcnt(0)
                                        ; implicit-def: $sgpr8_sgpr9
                                        ; implicit-def: $vgpr2_vgpr3
	s_and_saveexec_b64 s[6:7], vcc
	s_cbranch_execz .LBB1465_130
; %bb.89:
	s_movk_i32 s8, 0xa0
	v_mad_u32_u24 v1, v0, s8, v83
	ds_read_b64 v[2:3], v1
	v_cmp_ne_u32_e32 vcc, v82, v24
	v_mov_b32_e32 v5, s69
	v_add_u32_e32 v4, 1, v81
	v_mov_b64_e32 v[40:41], 0
	s_waitcnt lgkmcnt(0)
	v_cndmask_b32_e32 v43, v3, v5, vcc
	v_mov_b32_e32 v3, s68
	v_cndmask_b32_e64 v1, 0, 1, vcc
	v_cndmask_b32_e32 v42, v2, v3, vcc
	v_cmp_gt_u32_e32 vcc, s55, v4
	s_mov_b64 s[12:13], 0
	v_mov_b32_e32 v106, 0
	v_mov_b32_e32 v122, 0
	v_mov_b64_e32 v[78:79], v[40:41]
	v_mov_b32_e32 v121, 0
	v_mov_b64_e32 v[76:77], v[40:41]
	;; [unrolled: 2-line block ×18, first 2 shown]
                                        ; implicit-def: $sgpr14_sgpr15
                                        ; implicit-def: $vgpr2_vgpr3
	s_and_saveexec_b64 s[8:9], vcc
	s_cbranch_execz .LBB1465_129
; %bb.90:
	v_mul_u32_u24_e32 v2, 0xa0, v0
	v_add_u32_e32 v26, v83, v2
	ds_read2_b64 v[2:5], v26 offset0:1 offset1:2
	v_cmp_ne_u32_e32 vcc, v24, v25
	v_mov_b32_e32 v24, s69
	v_add_u32_e32 v27, 2, v81
	v_mov_b64_e32 v[40:41], 0
	s_waitcnt lgkmcnt(0)
	v_cndmask_b32_e32 v45, v3, v24, vcc
	v_mov_b32_e32 v3, s68
	v_cndmask_b32_e64 v104, 0, 1, vcc
	v_cndmask_b32_e32 v44, v2, v3, vcc
	v_cmp_gt_u32_e32 vcc, s55, v27
	s_mov_b64 s[14:15], 0
	v_mov_b32_e32 v106, 0
	v_mov_b32_e32 v122, 0
	v_mov_b64_e32 v[78:79], v[40:41]
	v_mov_b32_e32 v121, 0
	v_mov_b64_e32 v[76:77], v[40:41]
	;; [unrolled: 2-line block ×17, first 2 shown]
                                        ; implicit-def: $sgpr16_sgpr17
                                        ; implicit-def: $vgpr2_vgpr3
	s_and_saveexec_b64 s[10:11], vcc
	s_cbranch_execz .LBB1465_128
; %bb.91:
	v_cmp_ne_u32_e32 vcc, v25, v22
	v_mov_b32_e32 v3, s69
	v_add_u32_e32 v2, 3, v81
	v_cndmask_b32_e32 v47, v5, v3, vcc
	v_mov_b32_e32 v3, s68
	v_mov_b64_e32 v[40:41], 0
	v_cndmask_b32_e64 v105, 0, 1, vcc
	v_cndmask_b32_e32 v46, v4, v3, vcc
	v_cmp_gt_u32_e32 vcc, s55, v2
	s_mov_b64 s[16:17], 0
	v_mov_b32_e32 v106, 0
	v_mov_b32_e32 v122, 0
	v_mov_b64_e32 v[78:79], v[40:41]
	v_mov_b32_e32 v121, 0
	v_mov_b64_e32 v[76:77], v[40:41]
	;; [unrolled: 2-line block ×16, first 2 shown]
                                        ; implicit-def: $sgpr18_sgpr19
                                        ; implicit-def: $vgpr2_vgpr3
	s_and_saveexec_b64 s[12:13], vcc
	s_cbranch_execz .LBB1465_127
; %bb.92:
	ds_read2_b64 v[2:5], v26 offset0:3 offset1:4
	v_cmp_ne_u32_e32 vcc, v22, v23
	v_mov_b32_e32 v22, s69
	v_add_u32_e32 v24, 4, v81
	v_mov_b64_e32 v[40:41], 0
	s_waitcnt lgkmcnt(0)
	v_cndmask_b32_e32 v49, v3, v22, vcc
	v_mov_b32_e32 v3, s68
	v_cndmask_b32_e64 v107, 0, 1, vcc
	v_cndmask_b32_e32 v48, v2, v3, vcc
	v_cmp_gt_u32_e32 vcc, s55, v24
	s_mov_b64 s[18:19], 0
	v_mov_b32_e32 v106, 0
	v_mov_b32_e32 v122, 0
	v_mov_b64_e32 v[78:79], v[40:41]
	v_mov_b32_e32 v121, 0
	v_mov_b64_e32 v[76:77], v[40:41]
	;; [unrolled: 2-line block ×15, first 2 shown]
                                        ; implicit-def: $sgpr20_sgpr21
                                        ; implicit-def: $vgpr2_vgpr3
	s_and_saveexec_b64 s[14:15], vcc
	s_cbranch_execz .LBB1465_126
; %bb.93:
	v_cmp_ne_u32_e32 vcc, v23, v20
	v_mov_b32_e32 v3, s69
	v_add_u32_e32 v2, 5, v81
	v_cndmask_b32_e32 v51, v5, v3, vcc
	v_mov_b32_e32 v3, s68
	v_mov_b64_e32 v[40:41], 0
	v_cndmask_b32_e64 v108, 0, 1, vcc
	v_cndmask_b32_e32 v50, v4, v3, vcc
	v_cmp_gt_u32_e32 vcc, s55, v2
	s_mov_b64 s[20:21], 0
	v_mov_b32_e32 v106, 0
	v_mov_b32_e32 v122, 0
	v_mov_b64_e32 v[78:79], v[40:41]
	v_mov_b32_e32 v121, 0
	v_mov_b64_e32 v[76:77], v[40:41]
	;; [unrolled: 2-line block ×14, first 2 shown]
                                        ; implicit-def: $sgpr22_sgpr23
                                        ; implicit-def: $vgpr2_vgpr3
	s_and_saveexec_b64 s[16:17], vcc
	s_cbranch_execz .LBB1465_125
; %bb.94:
	ds_read2_b64 v[2:5], v26 offset0:5 offset1:6
	v_cmp_ne_u32_e32 vcc, v20, v21
	v_mov_b32_e32 v20, s69
	v_add_u32_e32 v22, 6, v81
	v_mov_b64_e32 v[40:41], 0
	s_waitcnt lgkmcnt(0)
	v_cndmask_b32_e32 v53, v3, v20, vcc
	v_mov_b32_e32 v3, s68
	v_cndmask_b32_e64 v109, 0, 1, vcc
	v_cndmask_b32_e32 v52, v2, v3, vcc
	v_cmp_gt_u32_e32 vcc, s55, v22
	s_mov_b64 s[22:23], 0
	v_mov_b32_e32 v106, 0
	v_mov_b32_e32 v122, 0
	v_mov_b64_e32 v[78:79], v[40:41]
	v_mov_b32_e32 v121, 0
	v_mov_b64_e32 v[76:77], v[40:41]
	;; [unrolled: 2-line block ×13, first 2 shown]
                                        ; implicit-def: $sgpr24_sgpr25
                                        ; implicit-def: $vgpr2_vgpr3
	s_and_saveexec_b64 s[18:19], vcc
	s_cbranch_execz .LBB1465_124
; %bb.95:
	v_cmp_ne_u32_e32 vcc, v21, v18
	v_mov_b32_e32 v3, s69
	v_add_u32_e32 v2, 7, v81
	v_cndmask_b32_e32 v55, v5, v3, vcc
	v_mov_b32_e32 v3, s68
	v_mov_b64_e32 v[40:41], 0
	v_cndmask_b32_e64 v110, 0, 1, vcc
	v_cndmask_b32_e32 v54, v4, v3, vcc
	v_cmp_gt_u32_e32 vcc, s55, v2
	s_mov_b64 s[24:25], 0
	v_mov_b32_e32 v106, 0
	v_mov_b32_e32 v122, 0
	v_mov_b64_e32 v[78:79], v[40:41]
	v_mov_b32_e32 v121, 0
	v_mov_b64_e32 v[76:77], v[40:41]
	;; [unrolled: 2-line block ×12, first 2 shown]
                                        ; implicit-def: $sgpr26_sgpr27
                                        ; implicit-def: $vgpr2_vgpr3
	s_and_saveexec_b64 s[20:21], vcc
	s_cbranch_execz .LBB1465_123
; %bb.96:
	ds_read2_b64 v[2:5], v26 offset0:7 offset1:8
	v_cmp_ne_u32_e32 vcc, v18, v19
	v_mov_b32_e32 v18, s69
	v_add_u32_e32 v20, 8, v81
	v_mov_b64_e32 v[40:41], 0
	s_waitcnt lgkmcnt(0)
	v_cndmask_b32_e32 v57, v3, v18, vcc
	v_mov_b32_e32 v3, s68
	v_cndmask_b32_e64 v111, 0, 1, vcc
	v_cndmask_b32_e32 v56, v2, v3, vcc
	v_cmp_gt_u32_e32 vcc, s55, v20
	s_mov_b64 s[26:27], 0
	v_mov_b32_e32 v106, 0
	v_mov_b32_e32 v122, 0
	v_mov_b64_e32 v[78:79], v[40:41]
	v_mov_b32_e32 v121, 0
	v_mov_b64_e32 v[76:77], v[40:41]
	;; [unrolled: 2-line block ×11, first 2 shown]
                                        ; implicit-def: $sgpr28_sgpr29
                                        ; implicit-def: $vgpr2_vgpr3
	s_and_saveexec_b64 s[22:23], vcc
	s_cbranch_execz .LBB1465_122
; %bb.97:
	v_cmp_ne_u32_e32 vcc, v19, v16
	v_mov_b32_e32 v3, s69
	v_add_u32_e32 v2, 9, v81
	v_cndmask_b32_e32 v59, v5, v3, vcc
	v_mov_b32_e32 v3, s68
	v_mov_b64_e32 v[40:41], 0
	v_cndmask_b32_e64 v112, 0, 1, vcc
	v_cndmask_b32_e32 v58, v4, v3, vcc
	v_cmp_gt_u32_e32 vcc, s55, v2
	s_mov_b64 s[28:29], 0
	v_mov_b32_e32 v106, 0
	v_mov_b32_e32 v122, 0
	v_mov_b64_e32 v[78:79], v[40:41]
	v_mov_b32_e32 v121, 0
	v_mov_b64_e32 v[76:77], v[40:41]
	;; [unrolled: 2-line block ×10, first 2 shown]
                                        ; implicit-def: $sgpr30_sgpr31
                                        ; implicit-def: $vgpr2_vgpr3
	s_and_saveexec_b64 s[24:25], vcc
	s_cbranch_execz .LBB1465_121
; %bb.98:
	ds_read2_b64 v[2:5], v26 offset0:9 offset1:10
	v_cmp_ne_u32_e32 vcc, v16, v17
	v_mov_b32_e32 v16, s69
	v_add_u32_e32 v18, 10, v81
	v_mov_b64_e32 v[40:41], 0
	s_waitcnt lgkmcnt(0)
	v_cndmask_b32_e32 v61, v3, v16, vcc
	v_mov_b32_e32 v3, s68
	v_cndmask_b32_e64 v113, 0, 1, vcc
	v_cndmask_b32_e32 v60, v2, v3, vcc
	v_cmp_gt_u32_e32 vcc, s55, v18
	s_mov_b64 s[30:31], 0
	v_mov_b32_e32 v106, 0
	v_mov_b32_e32 v122, 0
	v_mov_b64_e32 v[78:79], v[40:41]
	v_mov_b32_e32 v121, 0
	v_mov_b64_e32 v[76:77], v[40:41]
	;; [unrolled: 2-line block ×9, first 2 shown]
                                        ; implicit-def: $sgpr34_sgpr35
                                        ; implicit-def: $vgpr2_vgpr3
	s_and_saveexec_b64 s[26:27], vcc
	s_cbranch_execz .LBB1465_120
; %bb.99:
	v_cmp_ne_u32_e32 vcc, v17, v14
	v_mov_b32_e32 v3, s69
	v_add_u32_e32 v2, 11, v81
	v_cndmask_b32_e32 v63, v5, v3, vcc
	v_mov_b32_e32 v3, s68
	v_mov_b64_e32 v[40:41], 0
	v_cndmask_b32_e64 v114, 0, 1, vcc
	v_cndmask_b32_e32 v62, v4, v3, vcc
	v_cmp_gt_u32_e32 vcc, s55, v2
	s_mov_b64 s[34:35], 0
	v_mov_b32_e32 v106, 0
	v_mov_b32_e32 v122, 0
	v_mov_b64_e32 v[78:79], v[40:41]
	v_mov_b32_e32 v121, 0
	v_mov_b64_e32 v[76:77], v[40:41]
	;; [unrolled: 2-line block ×8, first 2 shown]
                                        ; implicit-def: $sgpr36_sgpr37
                                        ; implicit-def: $vgpr2_vgpr3
	s_and_saveexec_b64 s[28:29], vcc
	s_cbranch_execz .LBB1465_119
; %bb.100:
	ds_read2_b64 v[2:5], v26 offset0:11 offset1:12
	v_cmp_ne_u32_e32 vcc, v14, v15
	v_mov_b32_e32 v14, s69
	v_add_u32_e32 v16, 12, v81
	v_mov_b64_e32 v[40:41], 0
	s_waitcnt lgkmcnt(0)
	v_cndmask_b32_e32 v65, v3, v14, vcc
	v_mov_b32_e32 v3, s68
	v_cndmask_b32_e64 v115, 0, 1, vcc
	v_cndmask_b32_e32 v64, v2, v3, vcc
	v_cmp_gt_u32_e32 vcc, s55, v16
	s_mov_b64 s[36:37], 0
	v_mov_b32_e32 v106, 0
	v_mov_b32_e32 v122, 0
	v_mov_b64_e32 v[78:79], v[40:41]
	v_mov_b32_e32 v121, 0
	v_mov_b64_e32 v[76:77], v[40:41]
	;; [unrolled: 2-line block ×7, first 2 shown]
                                        ; implicit-def: $sgpr38_sgpr39
                                        ; implicit-def: $vgpr2_vgpr3
	s_and_saveexec_b64 s[30:31], vcc
	s_cbranch_execz .LBB1465_118
; %bb.101:
	v_cmp_ne_u32_e32 vcc, v15, v12
	v_mov_b32_e32 v3, s69
	v_add_u32_e32 v2, 13, v81
	v_cndmask_b32_e32 v67, v5, v3, vcc
	v_mov_b32_e32 v3, s68
	v_mov_b64_e32 v[40:41], 0
	v_cndmask_b32_e64 v116, 0, 1, vcc
	v_cndmask_b32_e32 v66, v4, v3, vcc
	v_cmp_gt_u32_e32 vcc, s55, v2
	s_mov_b64 s[38:39], 0
	v_mov_b32_e32 v106, 0
	v_mov_b32_e32 v122, 0
	v_mov_b64_e32 v[78:79], v[40:41]
	v_mov_b32_e32 v121, 0
	v_mov_b64_e32 v[76:77], v[40:41]
	;; [unrolled: 2-line block ×6, first 2 shown]
                                        ; implicit-def: $sgpr40_sgpr41
                                        ; implicit-def: $vgpr2_vgpr3
	s_and_saveexec_b64 s[34:35], vcc
	s_cbranch_execz .LBB1465_117
; %bb.102:
	ds_read2_b64 v[2:5], v26 offset0:13 offset1:14
	v_cmp_ne_u32_e32 vcc, v12, v13
	v_mov_b32_e32 v12, s69
	v_add_u32_e32 v14, 14, v81
	v_mov_b64_e32 v[40:41], 0
	s_waitcnt lgkmcnt(0)
	v_cndmask_b32_e32 v69, v3, v12, vcc
	v_mov_b32_e32 v3, s68
	v_cndmask_b32_e64 v117, 0, 1, vcc
	v_cndmask_b32_e32 v68, v2, v3, vcc
	v_cmp_gt_u32_e32 vcc, s55, v14
	s_mov_b64 s[40:41], 0
	v_mov_b32_e32 v106, 0
	v_mov_b32_e32 v122, 0
	v_mov_b64_e32 v[78:79], v[40:41]
	v_mov_b32_e32 v121, 0
	v_mov_b64_e32 v[76:77], v[40:41]
	;; [unrolled: 2-line block ×5, first 2 shown]
                                        ; implicit-def: $sgpr42_sgpr43
                                        ; implicit-def: $vgpr2_vgpr3
	s_and_saveexec_b64 s[36:37], vcc
	s_cbranch_execz .LBB1465_116
; %bb.103:
	v_cmp_ne_u32_e32 vcc, v13, v10
	v_mov_b32_e32 v3, s69
	v_add_u32_e32 v2, 15, v81
	v_cndmask_b32_e32 v71, v5, v3, vcc
	v_mov_b32_e32 v3, s68
	v_mov_b64_e32 v[40:41], 0
	v_cndmask_b32_e64 v118, 0, 1, vcc
	v_cndmask_b32_e32 v70, v4, v3, vcc
	v_cmp_gt_u32_e32 vcc, s55, v2
	s_mov_b64 s[42:43], 0
	v_mov_b32_e32 v106, 0
	v_mov_b32_e32 v122, 0
	v_mov_b64_e32 v[78:79], v[40:41]
	v_mov_b32_e32 v121, 0
	v_mov_b64_e32 v[76:77], v[40:41]
	;; [unrolled: 2-line block ×4, first 2 shown]
                                        ; implicit-def: $sgpr44_sgpr45
                                        ; implicit-def: $vgpr2_vgpr3
	s_and_saveexec_b64 s[38:39], vcc
	s_cbranch_execz .LBB1465_115
; %bb.104:
	ds_read2_b64 v[2:5], v26 offset0:15 offset1:16
	v_cmp_ne_u32_e32 vcc, v10, v11
	v_mov_b32_e32 v10, s69
	v_add_u32_e32 v12, 16, v81
	v_mov_b64_e32 v[40:41], 0
	s_waitcnt lgkmcnt(0)
	v_cndmask_b32_e32 v73, v3, v10, vcc
	v_mov_b32_e32 v3, s68
	v_cndmask_b32_e64 v119, 0, 1, vcc
	v_cndmask_b32_e32 v72, v2, v3, vcc
	v_cmp_gt_u32_e32 vcc, s55, v12
	s_mov_b64 s[44:45], 0
	v_mov_b32_e32 v106, 0
	v_mov_b32_e32 v122, 0
	v_mov_b64_e32 v[78:79], v[40:41]
	v_mov_b32_e32 v121, 0
	v_mov_b64_e32 v[76:77], v[40:41]
	;; [unrolled: 2-line block ×3, first 2 shown]
                                        ; implicit-def: $sgpr46_sgpr47
                                        ; implicit-def: $vgpr2_vgpr3
	s_and_saveexec_b64 s[40:41], vcc
	s_cbranch_execz .LBB1465_114
; %bb.105:
	v_cmp_ne_u32_e32 vcc, v11, v8
	v_mov_b32_e32 v3, s69
	v_add_u32_e32 v2, 17, v81
	v_cndmask_b32_e32 v75, v5, v3, vcc
	v_mov_b32_e32 v3, s68
	v_mov_b64_e32 v[40:41], 0
	v_cndmask_b32_e64 v120, 0, 1, vcc
	v_cndmask_b32_e32 v74, v4, v3, vcc
	v_cmp_gt_u32_e32 vcc, s55, v2
	s_mov_b64 s[46:47], 0
	v_mov_b32_e32 v106, 0
	v_mov_b32_e32 v122, 0
	v_mov_b64_e32 v[78:79], v[40:41]
	v_mov_b32_e32 v121, 0
	v_mov_b64_e32 v[76:77], v[40:41]
                                        ; implicit-def: $sgpr64_sgpr65
                                        ; implicit-def: $vgpr2_vgpr3
	s_and_saveexec_b64 s[42:43], vcc
	s_cbranch_execz .LBB1465_113
; %bb.106:
	ds_read2_b64 v[2:5], v26 offset0:17 offset1:18
	v_cmp_ne_u32_e32 vcc, v8, v9
	v_mov_b32_e32 v8, s69
	v_add_u32_e32 v10, 18, v81
	v_mov_b64_e32 v[40:41], 0
	s_waitcnt lgkmcnt(0)
	v_cndmask_b32_e32 v77, v3, v8, vcc
	v_mov_b32_e32 v3, s68
	v_cndmask_b32_e64 v121, 0, 1, vcc
	v_cndmask_b32_e32 v76, v2, v3, vcc
	v_cmp_gt_u32_e32 vcc, s55, v10
	s_mov_b64 s[64:65], 0
	v_mov_b32_e32 v106, 0
	v_mov_b32_e32 v122, 0
	v_mov_b64_e32 v[78:79], v[40:41]
                                        ; implicit-def: $sgpr74_sgpr75
                                        ; implicit-def: $vgpr2_vgpr3
	s_and_saveexec_b64 s[44:45], vcc
	s_cbranch_execz .LBB1465_112
; %bb.107:
	v_cmp_ne_u32_e32 vcc, v9, v6
	v_mov_b32_e32 v3, s69
	v_add_u32_e32 v2, 19, v81
	v_cndmask_b32_e32 v79, v5, v3, vcc
	v_mov_b32_e32 v3, s68
	v_cndmask_b32_e64 v122, 0, 1, vcc
	v_cndmask_b32_e32 v78, v4, v3, vcc
	v_cmp_gt_u32_e32 vcc, s55, v2
	v_mov_b32_e32 v106, 0
	v_mov_b64_e32 v[40:41], 0
                                        ; implicit-def: $sgpr74_sgpr75
                                        ; implicit-def: $vgpr2_vgpr3
	s_and_saveexec_b64 s[46:47], vcc
	s_cbranch_execz .LBB1465_111
; %bb.108:
	ds_read2_b64 v[2:5], v26 offset0:19 offset1:20
	v_cmp_ne_u32_e32 vcc, v6, v7
	v_mov_b32_e32 v6, s69
	v_add_u32_e32 v8, 20, v81
	v_cndmask_b32_e64 v106, 0, 1, vcc
	s_waitcnt lgkmcnt(0)
	v_cndmask_b32_e32 v41, v3, v6, vcc
	v_mov_b32_e32 v3, s68
	v_cndmask_b32_e32 v40, v2, v3, vcc
	v_cmp_gt_u32_e32 vcc, s55, v8
                                        ; implicit-def: $sgpr74_sgpr75
                                        ; implicit-def: $vgpr2_vgpr3
	s_and_saveexec_b64 s[76:77], vcc
	s_xor_b64 s[76:77], exec, s[76:77]
; %bb.109:
	v_mov_b32_e32 v2, s69
	v_cmp_ne_u32_e32 vcc, v7, v80
	s_mov_b64 s[64:65], exec
	s_and_b64 s[74:75], vcc, exec
	v_cndmask_b32_e32 v3, v5, v2, vcc
	v_mov_b32_e32 v2, s68
	v_cndmask_b32_e32 v2, v4, v2, vcc
; %bb.110:
	s_or_b64 exec, exec, s[76:77]
	s_and_b64 s[74:75], s[74:75], exec
	s_and_b64 s[64:65], s[64:65], exec
.LBB1465_111:
	s_or_b64 exec, exec, s[46:47]
	s_and_b64 s[74:75], s[74:75], exec
	s_and_b64 s[46:47], s[64:65], exec
.LBB1465_112:
	s_or_b64 exec, exec, s[44:45]
	s_and_b64 s[64:65], s[74:75], exec
	s_and_b64 s[44:45], s[46:47], exec
.LBB1465_113:
	s_or_b64 exec, exec, s[42:43]
	s_and_b64 s[46:47], s[64:65], exec
	s_and_b64 s[42:43], s[44:45], exec
.LBB1465_114:
	s_or_b64 exec, exec, s[40:41]
	s_and_b64 s[44:45], s[46:47], exec
	s_and_b64 s[40:41], s[42:43], exec
.LBB1465_115:
	s_or_b64 exec, exec, s[38:39]
	s_and_b64 s[42:43], s[44:45], exec
	s_and_b64 s[38:39], s[40:41], exec
.LBB1465_116:
	s_or_b64 exec, exec, s[36:37]
	s_and_b64 s[40:41], s[42:43], exec
	s_and_b64 s[36:37], s[38:39], exec
.LBB1465_117:
	s_or_b64 exec, exec, s[34:35]
	s_and_b64 s[38:39], s[40:41], exec
	s_and_b64 s[34:35], s[36:37], exec
.LBB1465_118:
	s_or_b64 exec, exec, s[30:31]
	s_and_b64 s[36:37], s[38:39], exec
	s_and_b64 s[30:31], s[34:35], exec
.LBB1465_119:
	s_or_b64 exec, exec, s[28:29]
	s_and_b64 s[34:35], s[36:37], exec
	s_and_b64 s[28:29], s[30:31], exec
.LBB1465_120:
	s_or_b64 exec, exec, s[26:27]
	s_and_b64 s[30:31], s[34:35], exec
	s_and_b64 s[26:27], s[28:29], exec
.LBB1465_121:
	s_or_b64 exec, exec, s[24:25]
	s_and_b64 s[28:29], s[30:31], exec
	s_and_b64 s[24:25], s[26:27], exec
.LBB1465_122:
	s_or_b64 exec, exec, s[22:23]
	s_and_b64 s[26:27], s[28:29], exec
	s_and_b64 s[22:23], s[24:25], exec
.LBB1465_123:
	s_or_b64 exec, exec, s[20:21]
	s_and_b64 s[24:25], s[26:27], exec
	s_and_b64 s[20:21], s[22:23], exec
.LBB1465_124:
	s_or_b64 exec, exec, s[18:19]
	s_and_b64 s[22:23], s[24:25], exec
	s_and_b64 s[18:19], s[20:21], exec
.LBB1465_125:
	s_or_b64 exec, exec, s[16:17]
	s_and_b64 s[20:21], s[22:23], exec
	s_and_b64 s[16:17], s[18:19], exec
.LBB1465_126:
	s_or_b64 exec, exec, s[14:15]
	s_and_b64 s[18:19], s[20:21], exec
	s_and_b64 s[14:15], s[16:17], exec
.LBB1465_127:
	s_or_b64 exec, exec, s[12:13]
	s_and_b64 s[16:17], s[18:19], exec
	s_and_b64 s[12:13], s[14:15], exec
.LBB1465_128:
	s_or_b64 exec, exec, s[10:11]
	s_and_b64 s[14:15], s[16:17], exec
	s_and_b64 s[10:11], s[12:13], exec
.LBB1465_129:
	s_or_b64 exec, exec, s[8:9]
	s_and_b64 s[8:9], s[14:15], exec
	s_and_b64 s[10:11], s[10:11], exec
.LBB1465_130:
	s_or_b64 exec, exec, s[6:7]
	s_mov_b64 s[6:7], 0
	s_and_b64 vcc, exec, s[4:5]
	s_cbranch_vccz .LBB1465_136
.LBB1465_131:
	v_mov_b32_e32 v3, 0
	v_lshlrev_b32_e32 v2, 2, v0
	v_lshl_add_u64 v[4:5], s[72:73], 0, v[2:3]
	v_add_co_u32_e32 v6, vcc, 0x1000, v4
	s_movk_i32 s4, 0x50
	s_nop 0
	v_addc_co_u32_e32 v7, vcc, 0, v5, vcc
	flat_load_dword v1, v[4:5]
	flat_load_dword v10, v[4:5] offset:1024
	flat_load_dword v11, v[4:5] offset:2048
	;; [unrolled: 1-line block ×3, first 2 shown]
	flat_load_dword v13, v[6:7]
	flat_load_dword v14, v[6:7] offset:1024
	flat_load_dword v15, v[6:7] offset:2048
	;; [unrolled: 1-line block ×3, first 2 shown]
	v_add_co_u32_e32 v6, vcc, 0x2000, v4
	s_movk_i32 s9, 0x1000
	s_nop 0
	v_addc_co_u32_e32 v7, vcc, 0, v5, vcc
	v_add_co_u32_e32 v8, vcc, 0x3000, v4
	s_movk_i32 s8, 0x2000
	s_nop 0
	v_addc_co_u32_e32 v9, vcc, 0, v5, vcc
	flat_load_dword v17, v[6:7]
	flat_load_dword v18, v[6:7] offset:1024
	flat_load_dword v19, v[6:7] offset:2048
	;; [unrolled: 1-line block ×3, first 2 shown]
	flat_load_dword v21, v[8:9]
	flat_load_dword v22, v[8:9] offset:1024
	flat_load_dword v23, v[8:9] offset:2048
	;; [unrolled: 1-line block ×3, first 2 shown]
	v_add_co_u32_e32 v6, vcc, 0x4000, v4
	s_movk_i32 s7, 0x3000
	s_nop 0
	v_addc_co_u32_e32 v7, vcc, 0, v5, vcc
	v_add_co_u32_e32 v4, vcc, 0x5000, v4
	s_movk_i32 s6, 0x4000
	s_nop 0
	v_addc_co_u32_e32 v5, vcc, 0, v5, vcc
	flat_load_dword v8, v[6:7]
	flat_load_dword v9, v[6:7] offset:1024
	flat_load_dword v25, v[6:7] offset:2048
	;; [unrolled: 1-line block ×3, first 2 shown]
	flat_load_dword v27, v[4:5]
	v_mov_b32_e32 v4, s72
	v_mov_b32_e32 v5, s73
	v_add_co_u32_e32 v4, vcc, 0x5000, v4
	s_movk_i32 s3, 0x5000
	s_nop 0
	v_addc_co_u32_e32 v5, vcc, 0, v5, vcc
	s_waitcnt vmcnt(0) lgkmcnt(0)
	ds_write2st64_b32 v2, v1, v10 offset1:4
	ds_write2st64_b32 v2, v11, v12 offset0:8 offset1:12
	ds_write2st64_b32 v2, v13, v14 offset0:16 offset1:20
	;; [unrolled: 1-line block ×9, first 2 shown]
	ds_write_b32 v2, v27 offset:20480
	s_waitcnt lgkmcnt(0)
	s_barrier
	flat_load_dword v82, v[4:5] offset:1024
	v_mad_u32_u24 v4, v0, s4, v2
	s_movk_i32 s4, 0xffb0
	ds_read_b32 v1, v4
	ds_read2_b32 v[60:61], v4 offset0:1 offset1:2
	ds_read2_b32 v[58:59], v4 offset0:3 offset1:4
	;; [unrolled: 1-line block ×10, first 2 shown]
	v_mad_i32_i24 v4, v0, s4, v4
	s_movk_i32 s4, 0xff
	v_cmp_ne_u32_e32 vcc, s4, v0
	s_waitcnt lgkmcnt(0)
	ds_write_b32 v4, v1 offset:22528
	s_waitcnt lgkmcnt(0)
	s_barrier
	s_and_saveexec_b64 s[4:5], vcc
	s_cbranch_execz .LBB1465_133
; %bb.132:
	s_waitcnt vmcnt(0)
	ds_read_b32 v82, v2 offset:22532
.LBB1465_133:
	s_or_b64 exec, exec, s[4:5]
	v_lshlrev_b32_e32 v2, 3, v0
	v_lshl_add_u64 v[2:3], s[60:61], 0, v[2:3]
	v_add_co_u32_e32 v6, vcc, s9, v2
	s_waitcnt lgkmcnt(0)
	s_nop 0
	v_addc_co_u32_e32 v7, vcc, 0, v3, vcc
	s_barrier
	flat_load_dwordx2 v[8:9], v[2:3]
	flat_load_dwordx2 v[10:11], v[2:3] offset:2048
	flat_load_dwordx2 v[12:13], v[6:7]
	flat_load_dwordx2 v[14:15], v[6:7] offset:2048
	v_add_co_u32_e32 v6, vcc, s8, v2
	v_lshl_add_u32 v62, v0, 2, v4
	s_nop 0
	v_addc_co_u32_e32 v7, vcc, 0, v3, vcc
	v_add_co_u32_e32 v16, vcc, s7, v2
	v_cmp_eq_u32_e64 s[4:5], v1, v60
	s_nop 0
	v_addc_co_u32_e32 v17, vcc, 0, v3, vcc
	flat_load_dwordx2 v[18:19], v[6:7]
	flat_load_dwordx2 v[20:21], v[6:7] offset:2048
	flat_load_dwordx2 v[22:23], v[16:17]
	flat_load_dwordx2 v[24:25], v[16:17] offset:2048
	v_add_co_u32_e32 v6, vcc, s6, v2
	s_nop 1
	v_addc_co_u32_e32 v7, vcc, 0, v3, vcc
	v_add_co_u32_e32 v16, vcc, s3, v2
	s_movk_i32 s3, 0x6000
	s_nop 0
	v_addc_co_u32_e32 v17, vcc, 0, v3, vcc
	flat_load_dwordx2 v[26:27], v[6:7]
	flat_load_dwordx2 v[28:29], v[6:7] offset:2048
	flat_load_dwordx2 v[30:31], v[16:17]
	flat_load_dwordx2 v[32:33], v[16:17] offset:2048
	v_add_co_u32_e32 v6, vcc, s3, v2
	s_movk_i32 s3, 0x7000
	s_nop 0
	v_addc_co_u32_e32 v7, vcc, 0, v3, vcc
	v_add_co_u32_e32 v16, vcc, s3, v2
	s_mov_b32 s3, 0x8000
	s_nop 0
	v_addc_co_u32_e32 v17, vcc, 0, v3, vcc
	flat_load_dwordx2 v[34:35], v[6:7]
	flat_load_dwordx2 v[36:37], v[6:7] offset:2048
	flat_load_dwordx2 v[38:39], v[16:17]
	flat_load_dwordx2 v[40:41], v[16:17] offset:2048
	v_add_co_u32_e32 v6, vcc, s3, v2
	s_mov_b32 s3, 0x9000
	s_nop 0
	v_addc_co_u32_e32 v7, vcc, 0, v3, vcc
	v_add_co_u32_e32 v16, vcc, s3, v2
	s_mov_b32 s3, 0xa000
	s_nop 0
	v_addc_co_u32_e32 v17, vcc, 0, v3, vcc
	flat_load_dwordx2 v[42:43], v[6:7]
	flat_load_dwordx2 v[64:65], v[6:7] offset:2048
	flat_load_dwordx2 v[66:67], v[16:17]
	flat_load_dwordx2 v[68:69], v[16:17] offset:2048
	v_add_co_u32_e32 v2, vcc, s3, v2
	s_movk_i32 s3, 0xa0
	s_nop 0
	v_addc_co_u32_e32 v3, vcc, 0, v3, vcc
	flat_load_dwordx2 v[2:3], v[2:3]
	v_cmp_ne_u32_e32 vcc, v1, v60
	s_waitcnt vmcnt(0) lgkmcnt(0)
	ds_write2st64_b64 v62, v[8:9], v[10:11] offset1:4
	ds_write2st64_b64 v62, v[12:13], v[14:15] offset0:8 offset1:12
	ds_write2st64_b64 v62, v[18:19], v[20:21] offset0:16 offset1:20
	;; [unrolled: 1-line block ×9, first 2 shown]
	ds_write_b64 v62, v[2:3] offset:40960
	v_mad_u32_u24 v2, v0, s3, v62
	s_waitcnt lgkmcnt(0)
	s_barrier
	ds_read2_b64 v[38:41], v2 offset0:1 offset1:2
	ds_read2_b64 v[34:37], v2 offset0:3 offset1:4
	;; [unrolled: 1-line block ×10, first 2 shown]
	v_mov_b64_e32 v[42:43], s[68:69]
	s_and_saveexec_b64 s[6:7], s[4:5]
	s_cbranch_execz .LBB1465_135
; %bb.134:
	v_mul_u32_u24_e32 v1, 0xa0, v0
	v_add_u32_e32 v1, v62, v1
	ds_read_b64 v[42:43], v1
.LBB1465_135:
	s_or_b64 exec, exec, s[6:7]
	v_cndmask_b32_e64 v1, 0, 1, vcc
	v_cmp_ne_u32_e32 vcc, v60, v61
	v_cmp_ne_u32_e64 s[38:39], v45, v80
	v_cmp_ne_u32_e64 s[40:41], v80, v81
	v_mov_b32_e32 v80, s69
	v_cmp_ne_u32_e64 s[8:9], v59, v56
	v_cmp_ne_u32_e64 s[36:37], v44, v45
	s_waitcnt lgkmcnt(9)
	v_cndmask_b32_e32 v45, v39, v80, vcc
	v_mov_b32_e32 v39, s68
	v_cmp_ne_u32_e64 s[4:5], v61, v58
	v_cmp_ne_u32_e64 s[6:7], v58, v59
	v_cndmask_b32_e64 v108, 0, 1, s[8:9]
	v_cmp_ne_u32_e64 s[10:11], v56, v57
	v_cmp_ne_u32_e64 s[12:13], v57, v54
	;; [unrolled: 1-line block ×12, first 2 shown]
	s_waitcnt lgkmcnt(8)
	v_cndmask_b32_e64 v51, v37, v80, s[8:9]
	v_cndmask_b32_e64 v50, v36, v39, s[8:9]
	v_cmp_ne_u32_e64 s[8:9], v81, v82
	v_cndmask_b32_e64 v104, 0, 1, vcc
	v_cndmask_b32_e64 v105, 0, 1, s[4:5]
	v_cndmask_b32_e64 v107, 0, 1, s[6:7]
	;; [unrolled: 1-line block ×17, first 2 shown]
	v_cndmask_b32_e32 v44, v38, v39, vcc
	v_cndmask_b32_e64 v47, v41, v80, s[4:5]
	v_cndmask_b32_e64 v46, v40, v39, s[4:5]
	v_cndmask_b32_e64 v49, v35, v80, s[6:7]
	v_cndmask_b32_e64 v48, v34, v39, s[6:7]
	s_waitcnt lgkmcnt(7)
	v_cndmask_b32_e64 v53, v31, v80, s[10:11]
	v_cndmask_b32_e64 v52, v30, v39, s[10:11]
	v_cndmask_b32_e64 v55, v33, v80, s[12:13]
	v_cndmask_b32_e64 v54, v32, v39, s[12:13]
	s_waitcnt lgkmcnt(6)
	;; [unrolled: 5-line block ×8, first 2 shown]
	v_cndmask_b32_e64 v41, v3, v80, s[40:41]
	v_cndmask_b32_e64 v40, v2, v39, s[40:41]
	;; [unrolled: 1-line block ×4, first 2 shown]
	s_mov_b64 s[10:11], -1
                                        ; implicit-def: $sgpr3
                                        ; implicit-def: $sgpr6_sgpr7
.LBB1465_136:
	v_mov_b64_e32 v[80:81], s[6:7]
	v_mov_b32_e32 v123, s3
	s_and_saveexec_b64 s[4:5], s[10:11]
; %bb.137:
	v_cndmask_b32_e64 v123, 0, 1, s[8:9]
	v_mov_b64_e32 v[80:81], v[2:3]
; %bb.138:
	s_or_b64 exec, exec, s[4:5]
	v_or_b32_e32 v2, v123, v106
	s_cmp_lg_u32 s2, 0
	v_or_b32_e32 v125, v2, v122
	v_mbcnt_lo_u32_b32 v124, -1, 0
	s_barrier
	s_cbranch_scc0 .LBB1465_205
; %bb.139:
	v_mov_b32_e32 v4, 0
	v_cmp_eq_u16_sdwa s[44:45], v104, v4 src0_sel:BYTE_0 src1_sel:DWORD
	v_cmp_eq_u16_sdwa s[4:5], v105, v4 src0_sel:BYTE_0 src1_sel:DWORD
	v_cmp_eq_u16_sdwa s[6:7], v107, v4 src0_sel:BYTE_0 src1_sel:DWORD
	v_cndmask_b32_e64 v3, 0, v43, s[44:45]
	v_cndmask_b32_e64 v2, 0, v42, s[44:45]
	v_lshl_add_u64 v[2:3], v[2:3], 0, v[44:45]
	v_cndmask_b32_e64 v3, 0, v3, s[4:5]
	v_cndmask_b32_e64 v2, 0, v2, s[4:5]
	v_lshl_add_u64 v[2:3], v[2:3], 0, v[46:47]
	v_cndmask_b32_e64 v3, 0, v3, s[6:7]
	v_cndmask_b32_e64 v2, 0, v2, s[6:7]
	v_lshl_add_u64 v[2:3], v[2:3], 0, v[48:49]
	v_cmp_eq_u16_sdwa s[8:9], v108, v4 src0_sel:BYTE_0 src1_sel:DWORD
	v_cmp_eq_u16_sdwa s[10:11], v109, v4 src0_sel:BYTE_0 src1_sel:DWORD
	v_cmp_eq_u16_sdwa s[12:13], v110, v4 src0_sel:BYTE_0 src1_sel:DWORD
	v_cndmask_b32_e64 v3, 0, v3, s[8:9]
	v_cndmask_b32_e64 v2, 0, v2, s[8:9]
	v_lshl_add_u64 v[2:3], v[2:3], 0, v[50:51]
	v_cndmask_b32_e64 v3, 0, v3, s[10:11]
	v_cndmask_b32_e64 v2, 0, v2, s[10:11]
	v_lshl_add_u64 v[2:3], v[2:3], 0, v[52:53]
	v_cndmask_b32_e64 v3, 0, v3, s[12:13]
	v_cndmask_b32_e64 v2, 0, v2, s[12:13]
	v_lshl_add_u64 v[2:3], v[2:3], 0, v[54:55]
	;; [unrolled: 12-line block ×3, first 2 shown]
	v_cmp_eq_u16_sdwa s[20:21], v114, v4 src0_sel:BYTE_0 src1_sel:DWORD
	v_cmp_eq_u16_sdwa s[22:23], v115, v4 src0_sel:BYTE_0 src1_sel:DWORD
	;; [unrolled: 1-line block ×3, first 2 shown]
	v_cndmask_b32_e64 v3, 0, v3, s[20:21]
	v_cndmask_b32_e64 v2, 0, v2, s[20:21]
	v_lshl_add_u64 v[2:3], v[2:3], 0, v[62:63]
	v_cndmask_b32_e64 v3, 0, v3, s[22:23]
	v_cndmask_b32_e64 v2, 0, v2, s[22:23]
	v_lshl_add_u64 v[2:3], v[2:3], 0, v[64:65]
	v_cmp_eq_u16_sdwa s[26:27], v117, v4 src0_sel:BYTE_0 src1_sel:DWORD
	v_cmp_eq_u16_sdwa s[28:29], v118, v4 src0_sel:BYTE_0 src1_sel:DWORD
	;; [unrolled: 1-line block ×7, first 2 shown]
	v_cmp_eq_u16_sdwa vcc, v123, v4 src0_sel:BYTE_0 src1_sel:DWORD
	v_or_b32_e32 v4, v125, v121
	v_cndmask_b32_e64 v3, 0, v3, s[24:25]
	v_cndmask_b32_e64 v2, 0, v2, s[24:25]
	v_or_b32_e32 v4, v4, v120
	v_lshl_add_u64 v[2:3], v[2:3], 0, v[66:67]
	v_or_b32_e32 v4, v4, v119
	v_cndmask_b32_e64 v3, 0, v3, s[26:27]
	v_cndmask_b32_e64 v2, 0, v2, s[26:27]
	v_or_b32_e32 v4, v4, v118
	v_lshl_add_u64 v[2:3], v[2:3], 0, v[68:69]
	;; [unrolled: 5-line block ×8, first 2 shown]
	v_or_b32_e32 v4, v4, v104
	v_cndmask_b32_e32 v3, 0, v3, vcc
	v_cndmask_b32_e32 v2, 0, v2, vcc
	v_or_b32_e32 v4, v4, v1
	v_mbcnt_hi_u32_b32 v9, -1, v124
	v_lshl_add_u64 v[2:3], v[2:3], 0, v[80:81]
	v_and_b32_e32 v8, 1, v4
	v_and_b32_e32 v5, 15, v9
	v_cmp_eq_u32_e32 vcc, 1, v8
	v_mov_b32_dpp v7, v2 row_shr:1 row_mask:0xf bank_mask:0xf
	v_mov_b32_dpp v10, v3 row_shr:1 row_mask:0xf bank_mask:0xf
	;; [unrolled: 1-line block ×3, first 2 shown]
	v_cmp_ne_u32_e64 s[42:43], 0, v5
	v_mov_b32_e32 v4, v8
	s_and_saveexec_b64 s[46:47], s[42:43]
; %bb.140:
	v_and_b32_e32 v4, 1, v6
	v_cndmask_b32_e64 v11, v10, 0, vcc
	v_cndmask_b32_e64 v10, v7, 0, vcc
	v_or_b32_e32 v8, v4, v8
	v_lshl_add_u64 v[2:3], v[10:11], 0, v[2:3]
	v_and_b32_e32 v4, 0xffff, v8
; %bb.141:
	s_or_b64 exec, exec, s[46:47]
	v_mov_b32_dpp v7, v2 row_shr:2 row_mask:0xf bank_mask:0xf
	v_mov_b32_dpp v10, v3 row_shr:2 row_mask:0xf bank_mask:0xf
	;; [unrolled: 1-line block ×3, first 2 shown]
	v_cmp_lt_u32_e32 vcc, 1, v5
	s_and_saveexec_b64 s[46:47], vcc
; %bb.142:
	v_cmp_eq_u16_e32 vcc, 0, v8
	v_and_b32_e32 v4, 1, v8
	s_nop 0
	v_cndmask_b32_e32 v11, 0, v10, vcc
	v_cndmask_b32_e32 v10, 0, v7, vcc
	v_cmp_eq_u32_e32 vcc, 1, v4
	v_and_b32_e32 v4, 1, v6
	v_cmp_eq_u32_e64 s[42:43], 1, v4
	s_or_b64 s[42:43], vcc, s[42:43]
	v_lshl_add_u64 v[2:3], v[10:11], 0, v[2:3]
	v_cndmask_b32_e64 v8, 0, 1, s[42:43]
	v_cndmask_b32_e64 v4, 0, 1, s[42:43]
; %bb.143:
	s_or_b64 exec, exec, s[46:47]
	v_mov_b32_dpp v7, v2 row_shr:4 row_mask:0xf bank_mask:0xf
	v_mov_b32_dpp v10, v3 row_shr:4 row_mask:0xf bank_mask:0xf
	;; [unrolled: 1-line block ×3, first 2 shown]
	v_cmp_lt_u32_e32 vcc, 3, v5
	s_and_saveexec_b64 s[46:47], vcc
; %bb.144:
	v_cmp_eq_u16_e32 vcc, 0, v8
	v_and_b32_e32 v4, 1, v8
	s_nop 0
	v_cndmask_b32_e32 v11, 0, v10, vcc
	v_cndmask_b32_e32 v10, 0, v7, vcc
	v_cmp_eq_u32_e32 vcc, 1, v4
	v_and_b32_e32 v4, 1, v6
	v_cmp_eq_u32_e64 s[42:43], 1, v4
	s_or_b64 s[42:43], vcc, s[42:43]
	v_lshl_add_u64 v[2:3], v[10:11], 0, v[2:3]
	v_cndmask_b32_e64 v8, 0, 1, s[42:43]
	v_cndmask_b32_e64 v4, 0, 1, s[42:43]
; %bb.145:
	s_or_b64 exec, exec, s[46:47]
	v_mov_b32_dpp v7, v2 row_shr:8 row_mask:0xf bank_mask:0xf
	v_mov_b32_dpp v10, v3 row_shr:8 row_mask:0xf bank_mask:0xf
	;; [unrolled: 1-line block ×3, first 2 shown]
	v_cmp_lt_u32_e32 vcc, 7, v5
	s_and_saveexec_b64 s[46:47], vcc
; %bb.146:
	v_cmp_eq_u16_e32 vcc, 0, v8
	s_nop 1
	v_cndmask_b32_e32 v5, 0, v10, vcc
	v_cndmask_b32_e32 v4, 0, v7, vcc
	v_lshl_add_u64 v[2:3], v[4:5], 0, v[2:3]
	v_and_b32_e32 v4, 1, v8
	v_cmp_eq_u32_e32 vcc, 1, v4
	v_and_b32_e32 v4, 1, v6
	v_cmp_eq_u32_e64 s[42:43], 1, v4
	s_or_b64 s[42:43], vcc, s[42:43]
	s_nop 0
	v_cndmask_b32_e64 v8, 0, 1, s[42:43]
	v_cndmask_b32_e64 v4, 0, 1, s[42:43]
; %bb.147:
	s_or_b64 exec, exec, s[46:47]
	v_and_b32_e32 v10, 16, v9
	v_mov_b32_dpp v6, v2 row_bcast:15 row_mask:0xf bank_mask:0xf
	v_mov_b32_dpp v7, v3 row_bcast:15 row_mask:0xf bank_mask:0xf
	;; [unrolled: 1-line block ×3, first 2 shown]
	v_cmp_ne_u32_e32 vcc, 0, v10
	s_and_saveexec_b64 s[46:47], vcc
; %bb.148:
	v_cmp_eq_u16_e32 vcc, 0, v8
	v_and_b32_e32 v4, 1, v8
	s_nop 0
	v_cndmask_b32_e32 v7, 0, v7, vcc
	v_cndmask_b32_e32 v6, 0, v6, vcc
	v_cmp_eq_u32_e32 vcc, 1, v4
	v_and_b32_e32 v4, 1, v5
	v_cmp_eq_u32_e64 s[42:43], 1, v4
	s_or_b64 s[42:43], vcc, s[42:43]
	v_lshl_add_u64 v[2:3], v[6:7], 0, v[2:3]
	v_cndmask_b32_e64 v8, 0, 1, s[42:43]
	v_cndmask_b32_e64 v4, 0, 1, s[42:43]
; %bb.149:
	s_or_b64 exec, exec, s[46:47]
	v_mov_b32_dpp v5, v2 row_bcast:31 row_mask:0xf bank_mask:0xf
	v_mov_b32_dpp v6, v3 row_bcast:31 row_mask:0xf bank_mask:0xf
	;; [unrolled: 1-line block ×3, first 2 shown]
	v_cmp_lt_u32_e32 vcc, 31, v9
	s_and_saveexec_b64 s[46:47], vcc
; %bb.150:
	v_cmp_eq_u16_e32 vcc, 0, v8
	v_and_b32_e32 v4, 1, v4
	v_cmp_eq_u32_e64 s[42:43], 1, v4
	v_cndmask_b32_e32 v7, 0, v6, vcc
	v_cndmask_b32_e32 v6, 0, v5, vcc
	v_and_b32_e32 v5, 1, v8
	v_cmp_eq_u32_e32 vcc, 1, v5
	s_or_b64 s[42:43], vcc, s[42:43]
	v_lshl_add_u64 v[2:3], v[6:7], 0, v[2:3]
	v_cndmask_b32_e64 v8, 0, 1, s[42:43]
; %bb.151:
	s_or_b64 exec, exec, s[46:47]
	v_or_b32_e32 v4, 63, v0
	v_lshrrev_b32_e32 v10, 6, v0
	v_cmp_eq_u32_e32 vcc, v4, v0
	s_and_saveexec_b64 s[42:43], vcc
	s_cbranch_execz .LBB1465_153
; %bb.152:
	v_lshlrev_b32_e32 v4, 4, v10
	ds_write_b64 v4, v[2:3]
	ds_write_b8 v4, v8 offset:8
.LBB1465_153:
	s_or_b64 exec, exec, s[42:43]
	v_cmp_gt_u32_e32 vcc, 4, v0
	s_waitcnt lgkmcnt(0)
	s_barrier
	s_and_saveexec_b64 s[46:47], vcc
	s_cbranch_execz .LBB1465_159
; %bb.154:
	v_lshlrev_b32_e32 v6, 4, v0
	ds_read_b64 v[4:5], v6
	ds_read_b32 v7, v6 offset:8
	v_and_b32_e32 v11, 3, v9
	v_cmp_ne_u32_e32 vcc, 0, v11
	s_waitcnt lgkmcnt(1)
	v_mov_b32_dpp v15, v4 row_shr:1 row_mask:0xf bank_mask:0xf
	v_mov_b32_dpp v16, v5 row_shr:1 row_mask:0xf bank_mask:0xf
	s_waitcnt lgkmcnt(0)
	v_mov_b32_dpp v14, v7 row_shr:1 row_mask:0xf bank_mask:0xf
	v_mov_b32_e32 v12, v7
	v_mov_b32_e32 v13, v7
	s_and_saveexec_b64 s[42:43], vcc
; %bb.155:
	v_mov_b32_e32 v12, 0
	v_cmp_eq_u16_sdwa vcc, v7, v12 src0_sel:BYTE_0 src1_sel:DWORD
	s_movk_i32 s3, 0xff00
	s_nop 0
	v_cndmask_b32_e32 v13, 0, v16, vcc
	v_cndmask_b32_e32 v12, 0, v15, vcc
	v_lshl_add_u64 v[4:5], v[12:13], 0, v[4:5]
	v_or_b32_e32 v13, v14, v7
	v_and_b32_e32 v12, 1, v13
	v_and_b32_e32 v13, 1, v13
	v_and_or_b32 v7, v7, s3, v13
; %bb.156:
	s_or_b64 exec, exec, s[42:43]
	v_mov_b32_dpp v14, v4 row_shr:2 row_mask:0xf bank_mask:0xf
	v_mov_b32_dpp v15, v5 row_shr:2 row_mask:0xf bank_mask:0xf
	;; [unrolled: 1-line block ×3, first 2 shown]
	v_cmp_lt_u32_e32 vcc, 1, v11
	s_and_saveexec_b64 s[60:61], vcc
; %bb.157:
	v_mov_b32_e32 v11, 0
	v_cmp_eq_u16_sdwa vcc, v13, v11 src0_sel:BYTE_0 src1_sel:DWORD
	v_and_b32_e32 v11, 1, v13
	v_and_b32_e32 v7, 1, v7
	v_cndmask_b32_e32 v15, 0, v15, vcc
	v_cndmask_b32_e32 v14, 0, v14, vcc
	v_cmp_eq_u32_e32 vcc, 1, v11
	v_cmp_eq_u32_e64 s[42:43], 1, v7
	s_or_b64 s[42:43], vcc, s[42:43]
	v_lshl_add_u64 v[4:5], v[14:15], 0, v[4:5]
	v_cndmask_b32_e64 v12, 0, 1, s[42:43]
; %bb.158:
	s_or_b64 exec, exec, s[60:61]
	ds_write_b64 v6, v[4:5]
	ds_write_b8 v6, v12 offset:8
.LBB1465_159:
	s_or_b64 exec, exec, s[46:47]
	v_cmp_gt_u32_e32 vcc, 64, v0
	v_cmp_lt_u32_e64 s[42:43], 63, v0
	v_mov_b32_e32 v16, 0
	v_mov_b64_e32 v[6:7], 0
	s_waitcnt lgkmcnt(0)
	s_barrier
	s_and_saveexec_b64 s[46:47], s[42:43]
	s_cbranch_execz .LBB1465_161
; %bb.160:
	v_lshl_add_u32 v4, v10, 4, -16
	ds_read_b64 v[6:7], v4
	ds_read_u8 v16, v4 offset:8
	v_cmp_eq_u16_e64 s[42:43], 0, v8
	s_waitcnt lgkmcnt(0)
	v_or_b32_e32 v8, v8, v16
	v_cndmask_b32_e64 v5, 0, v7, s[42:43]
	v_cndmask_b32_e64 v4, 0, v6, s[42:43]
	v_lshl_add_u64 v[2:3], v[2:3], 0, v[4:5]
	v_and_b32_e32 v8, 1, v8
.LBB1465_161:
	s_or_b64 exec, exec, s[46:47]
	v_add_u32_e32 v4, -1, v9
	v_and_b32_e32 v5, 64, v9
	v_cmp_lt_i32_e64 s[42:43], v4, v5
	s_nop 1
	v_cndmask_b32_e64 v4, v4, v9, s[42:43]
	v_lshlrev_b32_e32 v4, 2, v4
	ds_bpermute_b32 v17, v4, v2
	v_and_b32_e32 v2, 0xffff, v8
	ds_bpermute_b32 v18, v4, v3
	ds_bpermute_b32 v19, v4, v2
	v_cmp_eq_u32_e64 s[42:43], 0, v9
	s_and_saveexec_b64 s[60:61], vcc
	s_cbranch_execz .LBB1465_204
; %bb.162:
	v_mov_b32_e32 v11, 0
	ds_read2_b64 v[2:5], v11 offset0:6 offset1:7
	s_and_saveexec_b64 s[46:47], s[42:43]
	s_cbranch_execz .LBB1465_164
; %bb.163:
	s_add_i32 s64, s2, 64
	s_mov_b32 s65, 0
	s_lshl_b64 s[72:73], s[64:65], 4
	s_add_u32 s72, s48, s72
	s_addc_u32 s73, s49, s73
	s_waitcnt lgkmcnt(0)
	global_store_dword v11, v2, s[72:73] sc1
	global_store_dword v11, v3, s[72:73] offset:4 sc1
	global_store_dword v11, v4, s[72:73] offset:8 sc1
	;; [unrolled: 1-line block ×3, first 2 shown]
	v_mov_b32_e32 v5, s64
	v_mov_b32_e32 v8, 1
	s_waitcnt vmcnt(0)
	global_store_byte v5, v8, s[52:53] sc1
.LBB1465_164:
	s_or_b64 exec, exec, s[46:47]
	v_xad_u32 v8, v9, -1, s2
	v_add_u32_e32 v10, 64, v8
	s_waitcnt lgkmcnt(0)
	global_load_ubyte v5, v10, s[52:53] sc1
	s_waitcnt vmcnt(0)
	v_cmp_eq_u16_e32 vcc, 0, v5
	s_and_saveexec_b64 s[46:47], vcc
	s_cbranch_execz .LBB1465_168
; %bb.165:
	v_lshl_add_u64 v[12:13], s[52:53], 0, v[10:11]
	s_mov_b64 s[64:65], 0
.LBB1465_166:                           ; =>This Inner Loop Header: Depth=1
	global_load_ubyte v5, v[12:13], off sc1
	s_waitcnt vmcnt(0)
	v_cmp_ne_u16_e32 vcc, 0, v5
	s_or_b64 s[64:65], vcc, s[64:65]
	s_andn2_b64 exec, exec, s[64:65]
	s_cbranch_execnz .LBB1465_166
; %bb.167:
	s_or_b64 exec, exec, s[64:65]
.LBB1465_168:
	s_or_b64 exec, exec, s[46:47]
	v_mov_b32_e32 v12, s51
	v_mov_b32_e32 v13, s49
	v_cmp_eq_u16_e32 vcc, 1, v5
	v_mov_b32_e32 v14, s48
	s_waitcnt vmcnt(0)
	v_cndmask_b32_e32 v13, v12, v13, vcc
	v_mov_b32_e32 v12, s50
	v_cndmask_b32_e32 v12, v12, v14, vcc
	v_lshl_add_u64 v[10:11], v[10:11], 4, v[12:13]
	global_load_dword v14, v[10:11], off sc1
	global_load_dword v15, v[10:11], off offset:4 sc1
	global_load_dword v34, v[10:11], off offset:8 sc1
	s_nop 0
	global_load_dword v10, v[10:11], off offset:12 sc1
	v_cmp_eq_u16_e32 vcc, 2, v5
	s_waitcnt vmcnt(0)
	v_lshlrev_b64 v[10:11], v9, -1
	v_and_b32_e32 v20, 63, v9
	v_and_b32_e32 v12, vcc_hi, v11
	v_and_b32_e32 v25, vcc_lo, v10
	v_cmp_ne_u32_e32 vcc, 63, v20
	v_or_b32_e32 v12, 0x80000000, v12
	v_ffbl_b32_e32 v12, v12
	v_addc_co_u32_e32 v13, vcc, 0, v9, vcc
	v_lshlrev_b32_e32 v21, 2, v13
	v_add_u32_e32 v12, 32, v12
	v_ffbl_b32_e32 v25, v25
	v_min_u32_e32 v12, v25, v12
	v_cmp_lt_u32_e32 vcc, v20, v12
	ds_bpermute_b32 v23, v21, v14
	ds_bpermute_b32 v24, v21, v15
	v_and_b32_e32 v13, 0xff, v34
	ds_bpermute_b32 v22, v21, v13
	s_and_saveexec_b64 s[46:47], vcc
	s_cbranch_execz .LBB1465_170
; %bb.169:
	v_mov_b32_e32 v13, 0
	v_cmp_eq_u16_sdwa vcc, v34, v13 src0_sel:BYTE_0 src1_sel:DWORD
	s_waitcnt lgkmcnt(0)
	v_or_b32_e32 v13, v22, v34
	v_and_b32_e32 v34, 1, v13
	v_cndmask_b32_e32 v25, 0, v24, vcc
	v_cndmask_b32_e32 v24, 0, v23, vcc
	v_lshl_add_u64 v[14:15], v[24:25], 0, v[14:15]
	v_and_b32_e32 v13, 1, v13
.LBB1465_170:
	s_or_b64 exec, exec, s[46:47]
	v_cmp_gt_u32_e32 vcc, 62, v20
	s_waitcnt lgkmcnt(2)
	v_add_u32_e32 v23, 2, v20
	s_waitcnt lgkmcnt(0)
	v_cndmask_b32_e64 v22, 0, 1, vcc
	v_lshlrev_b32_e32 v22, 1, v22
	v_add_lshl_u32 v22, v22, v9, 2
	ds_bpermute_b32 v25, v22, v14
	ds_bpermute_b32 v26, v22, v15
	ds_bpermute_b32 v24, v22, v13
	v_cmp_le_u32_e32 vcc, v23, v12
	s_and_saveexec_b64 s[64:65], vcc
	s_cbranch_execz .LBB1465_172
; %bb.171:
	v_mov_b32_e32 v13, 0
	v_cmp_eq_u16_sdwa vcc, v34, v13 src0_sel:BYTE_0 src1_sel:DWORD
	v_and_b32_e32 v13, 1, v34
	s_waitcnt lgkmcnt(1)
	v_cndmask_b32_e32 v27, 0, v26, vcc
	v_cndmask_b32_e32 v26, 0, v25, vcc
	v_cmp_eq_u32_e32 vcc, 1, v13
	s_waitcnt lgkmcnt(0)
	v_and_b32_e32 v13, 1, v24
	v_cmp_eq_u32_e64 s[46:47], 1, v13
	s_or_b64 s[46:47], vcc, s[46:47]
	v_lshl_add_u64 v[14:15], v[26:27], 0, v[14:15]
	v_cndmask_b32_e64 v34, 0, 1, s[46:47]
	v_cndmask_b32_e64 v13, 0, 1, s[46:47]
.LBB1465_172:
	s_or_b64 exec, exec, s[64:65]
	v_cmp_gt_u32_e32 vcc, 60, v20
	s_waitcnt lgkmcnt(2)
	v_add_u32_e32 v25, 4, v20
	s_waitcnt lgkmcnt(0)
	v_cndmask_b32_e64 v24, 0, 1, vcc
	v_lshlrev_b32_e32 v24, 2, v24
	v_add_lshl_u32 v24, v24, v9, 2
	ds_bpermute_b32 v27, v24, v14
	ds_bpermute_b32 v28, v24, v15
	ds_bpermute_b32 v26, v24, v13
	v_cmp_le_u32_e32 vcc, v25, v12
	s_and_saveexec_b64 s[64:65], vcc
	s_cbranch_execz .LBB1465_174
; %bb.173:
	v_mov_b32_e32 v13, 0
	v_cmp_eq_u16_sdwa vcc, v34, v13 src0_sel:BYTE_0 src1_sel:DWORD
	v_and_b32_e32 v13, 1, v34
	s_waitcnt lgkmcnt(1)
	v_cndmask_b32_e32 v29, 0, v28, vcc
	v_cndmask_b32_e32 v28, 0, v27, vcc
	v_cmp_eq_u32_e32 vcc, 1, v13
	s_waitcnt lgkmcnt(0)
	v_and_b32_e32 v13, 1, v26
	v_cmp_eq_u32_e64 s[46:47], 1, v13
	s_or_b64 s[46:47], vcc, s[46:47]
	v_lshl_add_u64 v[14:15], v[28:29], 0, v[14:15]
	v_cndmask_b32_e64 v34, 0, 1, s[46:47]
	v_cndmask_b32_e64 v13, 0, 1, s[46:47]
.LBB1465_174:
	;; [unrolled: 30-line block ×4, first 2 shown]
	s_or_b64 exec, exec, s[64:65]
	v_cmp_gt_u32_e32 vcc, 32, v20
	s_waitcnt lgkmcnt(1)
	v_add_u32_e32 v32, 32, v20
	s_waitcnt lgkmcnt(0)
	v_cndmask_b32_e64 v30, 0, 1, vcc
	v_lshlrev_b32_e32 v30, 5, v30
	v_add_lshl_u32 v31, v30, v9, 2
	ds_bpermute_b32 v30, v31, v14
	ds_bpermute_b32 v33, v31, v15
	;; [unrolled: 1-line block ×3, first 2 shown]
	v_cmp_le_u32_e32 vcc, v32, v12
	s_and_saveexec_b64 s[64:65], vcc
	s_cbranch_execz .LBB1465_180
; %bb.179:
	v_mov_b32_e32 v12, 0
	v_cmp_eq_u16_sdwa vcc, v34, v12 src0_sel:BYTE_0 src1_sel:DWORD
	s_waitcnt lgkmcnt(0)
	v_and_b32_e32 v9, 1, v9
	v_cmp_eq_u32_e64 s[46:47], 1, v9
	v_cndmask_b32_e32 v13, 0, v33, vcc
	v_cndmask_b32_e32 v12, 0, v30, vcc
	v_lshl_add_u64 v[14:15], v[12:13], 0, v[14:15]
	v_and_b32_e32 v12, 1, v34
	v_cmp_eq_u32_e32 vcc, 1, v12
	s_or_b64 s[46:47], vcc, s[46:47]
	v_cndmask_b32_e64 v34, 0, 1, s[46:47]
.LBB1465_180:
	s_or_b64 exec, exec, s[64:65]
	s_waitcnt lgkmcnt(0)
	v_mov_b32_e32 v9, 0
	v_mov_b32_e32 v33, 2
	s_branch .LBB1465_182
.LBB1465_181:                           ;   in Loop: Header=BB1465_182 Depth=1
	s_or_b64 exec, exec, s[72:73]
	v_cmp_eq_u16_sdwa vcc, v30, v9 src0_sel:BYTE_0 src1_sel:DWORD
	v_and_b32_e32 v34, 1, v30
	v_subrev_u32_e32 v8, 64, v8
	v_cndmask_b32_e32 v15, 0, v15, vcc
	v_cndmask_b32_e32 v14, 0, v14, vcc
	v_cmp_eq_u32_e32 vcc, 1, v34
	s_or_b64 s[46:47], vcc, s[64:65]
	v_lshl_add_u64 v[14:15], v[14:15], 0, v[12:13]
	v_cndmask_b32_e64 v34, 0, 1, s[46:47]
.LBB1465_182:                           ; =>This Loop Header: Depth=1
                                        ;     Child Loop BB1465_185 Depth 2
	v_cmp_ne_u16_sdwa s[46:47], v5, v33 src0_sel:BYTE_0 src1_sel:DWORD
	v_mov_b32_e32 v30, v34
	v_mov_b64_e32 v[12:13], v[14:15]
	v_cndmask_b32_e64 v5, 0, 1, s[46:47]
	;;#ASMSTART
	;;#ASMEND
	s_nop 0
	v_cmp_ne_u32_e32 vcc, 0, v5
	s_cmp_lg_u64 vcc, exec
	s_cbranch_scc1 .LBB1465_199
; %bb.183:                              ;   in Loop: Header=BB1465_182 Depth=1
	global_load_ubyte v5, v8, s[52:53] sc1
	s_waitcnt vmcnt(0)
	v_cmp_eq_u16_e32 vcc, 0, v5
	s_and_saveexec_b64 s[46:47], vcc
	s_cbranch_execz .LBB1465_187
; %bb.184:                              ;   in Loop: Header=BB1465_182 Depth=1
	v_lshl_add_u64 v[14:15], s[52:53], 0, v[8:9]
	s_mov_b64 s[64:65], 0
.LBB1465_185:                           ;   Parent Loop BB1465_182 Depth=1
                                        ; =>  This Inner Loop Header: Depth=2
	global_load_ubyte v5, v[14:15], off sc1
	s_waitcnt vmcnt(0)
	v_cmp_ne_u16_e32 vcc, 0, v5
	s_or_b64 s[64:65], vcc, s[64:65]
	s_andn2_b64 exec, exec, s[64:65]
	s_cbranch_execnz .LBB1465_185
; %bb.186:                              ;   in Loop: Header=BB1465_182 Depth=1
	s_or_b64 exec, exec, s[64:65]
.LBB1465_187:                           ;   in Loop: Header=BB1465_182 Depth=1
	s_or_b64 exec, exec, s[46:47]
	v_mov_b32_e32 v14, s51
	v_mov_b32_e32 v15, s49
	v_cmp_eq_u16_e32 vcc, 1, v5
	v_mov_b32_e32 v34, s48
	s_waitcnt vmcnt(0)
	v_cndmask_b32_e32 v15, v14, v15, vcc
	v_mov_b32_e32 v14, s50
	v_cndmask_b32_e32 v14, v14, v34, vcc
	s_waitcnt lgkmcnt(0)
	v_lshl_add_u64 v[36:37], v[8:9], 4, v[14:15]
	global_load_dword v14, v[36:37], off sc1
	global_load_dword v15, v[36:37], off offset:4 sc1
	global_load_dword v34, v[36:37], off offset:8 sc1
	;; [unrolled: 1-line block ×3, first 2 shown]
	v_cmp_eq_u16_e32 vcc, 2, v5
	s_waitcnt vmcnt(3)
	ds_bpermute_b32 v38, v21, v14
	s_waitcnt vmcnt(0)
	v_and_b32_e32 v35, vcc_hi, v11
	v_and_b32_e32 v36, 0xff, v34
	v_or_b32_e32 v35, 0x80000000, v35
	ds_bpermute_b32 v39, v21, v15
	ds_bpermute_b32 v37, v21, v36
	v_and_b32_e32 v82, vcc_lo, v10
	v_ffbl_b32_e32 v35, v35
	v_add_u32_e32 v35, 32, v35
	v_ffbl_b32_e32 v82, v82
	v_min_u32_e32 v35, v82, v35
	v_cmp_lt_u32_e32 vcc, v20, v35
	s_and_saveexec_b64 s[46:47], vcc
	s_cbranch_execz .LBB1465_189
; %bb.188:                              ;   in Loop: Header=BB1465_182 Depth=1
	v_cmp_eq_u16_sdwa vcc, v34, v9 src0_sel:BYTE_0 src1_sel:DWORD
	s_waitcnt lgkmcnt(0)
	v_or_b32_e32 v36, v37, v34
	v_and_b32_e32 v34, 1, v36
	v_cndmask_b32_e32 v39, 0, v39, vcc
	v_cndmask_b32_e32 v38, 0, v38, vcc
	v_lshl_add_u64 v[14:15], v[38:39], 0, v[14:15]
	v_and_b32_e32 v36, 1, v36
.LBB1465_189:                           ;   in Loop: Header=BB1465_182 Depth=1
	s_or_b64 exec, exec, s[46:47]
	s_waitcnt lgkmcnt(2)
	ds_bpermute_b32 v38, v22, v14
	s_waitcnt lgkmcnt(2)
	ds_bpermute_b32 v39, v22, v15
	;; [unrolled: 2-line block ×3, first 2 shown]
	v_and_b32_e32 v82, 1, v34
	v_cmp_le_u32_e32 vcc, v23, v35
	v_cmp_eq_u32_e64 s[64:65], 1, v82
	s_and_saveexec_b64 s[46:47], vcc
	s_cbranch_execz .LBB1465_191
; %bb.190:                              ;   in Loop: Header=BB1465_182 Depth=1
	v_cmp_eq_u16_sdwa vcc, v34, v9 src0_sel:BYTE_0 src1_sel:DWORD
	s_waitcnt lgkmcnt(0)
	v_and_b32_e32 v34, 1, v37
	v_cndmask_b32_e32 v39, 0, v39, vcc
	v_cndmask_b32_e32 v38, 0, v38, vcc
	v_cmp_eq_u32_e32 vcc, 1, v34
	s_or_b64 s[72:73], s[64:65], vcc
	v_cndmask_b32_e64 v34, 0, 1, s[72:73]
	v_cndmask_b32_e64 v36, 0, 1, s[72:73]
	s_andn2_b64 s[64:65], s[64:65], exec
	s_and_b64 s[72:73], s[72:73], exec
	v_lshl_add_u64 v[14:15], v[38:39], 0, v[14:15]
	s_or_b64 s[64:65], s[64:65], s[72:73]
.LBB1465_191:                           ;   in Loop: Header=BB1465_182 Depth=1
	s_or_b64 exec, exec, s[46:47]
	s_waitcnt lgkmcnt(2)
	ds_bpermute_b32 v38, v24, v14
	s_waitcnt lgkmcnt(2)
	ds_bpermute_b32 v39, v24, v15
	s_waitcnt lgkmcnt(2)
	ds_bpermute_b32 v37, v24, v36
	v_cmp_le_u32_e32 vcc, v25, v35
	s_and_saveexec_b64 s[72:73], vcc
	s_cbranch_execz .LBB1465_193
; %bb.192:                              ;   in Loop: Header=BB1465_182 Depth=1
	v_cmp_eq_u16_sdwa vcc, v34, v9 src0_sel:BYTE_0 src1_sel:DWORD
	v_and_b32_e32 v34, 1, v34
	s_andn2_b64 s[64:65], s[64:65], exec
	s_waitcnt lgkmcnt(1)
	v_cndmask_b32_e32 v39, 0, v39, vcc
	v_cndmask_b32_e32 v38, 0, v38, vcc
	v_cmp_eq_u32_e32 vcc, 1, v34
	s_waitcnt lgkmcnt(0)
	v_and_b32_e32 v34, 1, v37
	v_cmp_eq_u32_e64 s[46:47], 1, v34
	s_or_b64 s[46:47], vcc, s[46:47]
	v_lshl_add_u64 v[14:15], v[38:39], 0, v[14:15]
	v_cndmask_b32_e64 v34, 0, 1, s[46:47]
	v_cndmask_b32_e64 v36, 0, 1, s[46:47]
	s_and_b64 s[46:47], s[46:47], exec
	s_or_b64 s[64:65], s[64:65], s[46:47]
.LBB1465_193:                           ;   in Loop: Header=BB1465_182 Depth=1
	s_or_b64 exec, exec, s[72:73]
	s_waitcnt lgkmcnt(2)
	ds_bpermute_b32 v38, v26, v14
	s_waitcnt lgkmcnt(2)
	ds_bpermute_b32 v39, v26, v15
	s_waitcnt lgkmcnt(2)
	ds_bpermute_b32 v37, v26, v36
	v_cmp_le_u32_e32 vcc, v27, v35
	s_and_saveexec_b64 s[72:73], vcc
	s_cbranch_execz .LBB1465_195
; %bb.194:                              ;   in Loop: Header=BB1465_182 Depth=1
	v_cmp_eq_u16_sdwa vcc, v34, v9 src0_sel:BYTE_0 src1_sel:DWORD
	v_and_b32_e32 v34, 1, v34
	s_andn2_b64 s[64:65], s[64:65], exec
	s_waitcnt lgkmcnt(1)
	v_cndmask_b32_e32 v39, 0, v39, vcc
	v_cndmask_b32_e32 v38, 0, v38, vcc
	v_cmp_eq_u32_e32 vcc, 1, v34
	s_waitcnt lgkmcnt(0)
	v_and_b32_e32 v34, 1, v37
	v_cmp_eq_u32_e64 s[46:47], 1, v34
	s_or_b64 s[46:47], vcc, s[46:47]
	v_lshl_add_u64 v[14:15], v[38:39], 0, v[14:15]
	v_cndmask_b32_e64 v34, 0, 1, s[46:47]
	v_cndmask_b32_e64 v36, 0, 1, s[46:47]
	s_and_b64 s[46:47], s[46:47], exec
	s_or_b64 s[64:65], s[64:65], s[46:47]
.LBB1465_195:                           ;   in Loop: Header=BB1465_182 Depth=1
	;; [unrolled: 28-line block ×3, first 2 shown]
	s_or_b64 exec, exec, s[72:73]
	s_waitcnt lgkmcnt(0)
	ds_bpermute_b32 v37, v31, v14
	ds_bpermute_b32 v38, v31, v15
	;; [unrolled: 1-line block ×3, first 2 shown]
	v_cmp_le_u32_e32 vcc, v32, v35
	s_and_saveexec_b64 s[72:73], vcc
	s_cbranch_execz .LBB1465_181
; %bb.198:                              ;   in Loop: Header=BB1465_182 Depth=1
	v_cmp_eq_u16_sdwa vcc, v34, v9 src0_sel:BYTE_0 src1_sel:DWORD
	v_and_b32_e32 v34, 1, v34
	s_andn2_b64 s[64:65], s[64:65], exec
	s_waitcnt lgkmcnt(1)
	v_cndmask_b32_e32 v39, 0, v38, vcc
	v_cndmask_b32_e32 v38, 0, v37, vcc
	v_cmp_eq_u32_e32 vcc, 1, v34
	s_waitcnt lgkmcnt(0)
	v_and_b32_e32 v34, 1, v36
	v_cmp_eq_u32_e64 s[46:47], 1, v34
	s_or_b64 s[46:47], vcc, s[46:47]
	s_and_b64 s[46:47], s[46:47], exec
	v_lshl_add_u64 v[14:15], v[38:39], 0, v[14:15]
	s_or_b64 s[64:65], s[64:65], s[46:47]
	s_branch .LBB1465_181
.LBB1465_199:                           ;   in Loop: Header=BB1465_182 Depth=1
                                        ; implicit-def: $vgpr34
                                        ; implicit-def: $vgpr14_vgpr15
                                        ; implicit-def: $vgpr5
	s_cbranch_execz .LBB1465_182
; %bb.200:
	s_and_saveexec_b64 s[46:47], s[42:43]
	s_cbranch_execz .LBB1465_202
; %bb.201:
	s_mov_b32 s3, 0
	v_mov_b32_e32 v5, 0
	s_add_i32 s2, s2, 64
	v_cmp_eq_u32_sdwa vcc, v4, v5 src0_sel:BYTE_0 src1_sel:DWORD
	s_lshl_b64 s[48:49], s[2:3], 4
	v_and_b32_e32 v4, 1, v4
	v_cndmask_b32_e32 v9, 0, v13, vcc
	v_cndmask_b32_e32 v8, 0, v12, vcc
	s_add_u32 s48, s50, s48
	v_lshl_add_u64 v[2:3], v[8:9], 0, v[2:3]
	v_and_b32_e32 v8, 1, v30
	v_cmp_eq_u32_e32 vcc, 1, v4
	s_addc_u32 s49, s51, s49
	s_nop 0
	v_cndmask_b32_e64 v4, v8, 1, vcc
	global_store_dword v5, v2, s[48:49] sc1
	global_store_dword v5, v3, s[48:49] offset:4 sc1
	global_store_dword v5, v4, s[48:49] offset:8 sc1
	;; [unrolled: 1-line block ×3, first 2 shown]
	v_mov_b32_e32 v2, s2
	v_mov_b32_e32 v3, 2
	s_waitcnt vmcnt(0) lgkmcnt(0)
	global_store_byte v2, v3, s[52:53] sc1
.LBB1465_202:
	s_or_b64 exec, exec, s[46:47]
	v_cmp_eq_u32_e32 vcc, 0, v0
	s_and_b64 exec, exec, vcc
	s_cbranch_execz .LBB1465_204
; %bb.203:
	v_mov_b32_e32 v2, 0
	ds_write_b64 v2, v[12:13] offset:48
	ds_write_b8 v2, v30 offset:56
.LBB1465_204:
	s_or_b64 exec, exec, s[60:61]
	v_mov_b32_e32 v8, 0
	s_waitcnt lgkmcnt(0)
	s_barrier
	ds_read_b64 v[2:3], v8 offset:48
	v_cndmask_b32_e64 v9, v19, v16, s[42:43]
	v_cmp_eq_u16_sdwa vcc, v9, v8 src0_sel:BYTE_0 src1_sel:DWORD
	v_cndmask_b32_e64 v4, v17, v6, s[42:43]
	v_cndmask_b32_e64 v5, v18, v7, s[42:43]
	s_waitcnt lgkmcnt(0)
	v_cndmask_b32_e32 v7, 0, v3, vcc
	v_cndmask_b32_e32 v6, 0, v2, vcc
	v_lshl_add_u64 v[4:5], v[4:5], 0, v[6:7]
	v_cmp_eq_u32_e32 vcc, 0, v0
	s_nop 1
	v_cndmask_b32_e32 v83, v5, v3, vcc
	v_cndmask_b32_e32 v82, v4, v2, vcc
	v_cmp_eq_u16_sdwa vcc, v1, v8 src0_sel:BYTE_0 src1_sel:DWORD
	s_nop 1
	v_cndmask_b32_e32 v3, 0, v83, vcc
	v_cndmask_b32_e32 v2, 0, v82, vcc
	v_lshl_add_u64 v[6:7], v[2:3], 0, v[42:43]
	v_cndmask_b32_e64 v3, 0, v7, s[44:45]
	v_cndmask_b32_e64 v2, 0, v6, s[44:45]
	v_lshl_add_u64 v[2:3], v[2:3], 0, v[44:45]
	v_cndmask_b32_e64 v5, 0, v3, s[4:5]
	v_cndmask_b32_e64 v4, 0, v2, s[4:5]
	;; [unrolled: 3-line block ×19, first 2 shown]
	s_branch .LBB1465_233
.LBB1465_205:
                                        ; implicit-def: $vgpr2_vgpr3_vgpr4_vgpr5
                                        ; implicit-def: $vgpr82_vgpr83
                                        ; implicit-def: $vgpr102_vgpr103
                                        ; implicit-def: $vgpr100_vgpr101
                                        ; implicit-def: $vgpr98_vgpr99
                                        ; implicit-def: $vgpr96_vgpr97
                                        ; implicit-def: $vgpr94_vgpr95
                                        ; implicit-def: $vgpr92_vgpr93
                                        ; implicit-def: $vgpr90_vgpr91
                                        ; implicit-def: $vgpr88_vgpr89
                                        ; implicit-def: $vgpr86_vgpr87
                                        ; implicit-def: $vgpr84_vgpr85
                                        ; implicit-def: $vgpr36_vgpr37_vgpr38_vgpr39
                                        ; implicit-def: $vgpr32_vgpr33_vgpr34_vgpr35
                                        ; implicit-def: $vgpr28_vgpr29_vgpr30_vgpr31
                                        ; implicit-def: $vgpr24_vgpr25_vgpr26_vgpr27
                                        ; implicit-def: $vgpr20_vgpr21_vgpr22_vgpr23
                                        ; implicit-def: $vgpr16_vgpr17_vgpr18_vgpr19
                                        ; implicit-def: $vgpr12_vgpr13_vgpr14_vgpr15
                                        ; implicit-def: $vgpr8_vgpr9_vgpr10_vgpr11
                                        ; implicit-def: $vgpr4_vgpr5_vgpr6_vgpr7
	s_cbranch_execz .LBB1465_233
; %bb.206:
	s_cmp_lg_u64 s[70:71], 0
	s_cselect_b32 s3, s67, 0
	s_cselect_b32 s2, s66, 0
	s_cmp_eq_u64 s[2:3], 0
	v_mov_b64_e32 v[4:5], s[68:69]
	s_cbranch_scc1 .LBB1465_208
; %bb.207:
	v_mov_b32_e32 v2, 0
	global_load_dwordx2 v[4:5], v2, s[2:3]
.LBB1465_208:
	v_mov_b32_e32 v6, 0
	v_cmp_eq_u16_sdwa vcc, v104, v6 src0_sel:BYTE_0 src1_sel:DWORD
	v_cmp_eq_u16_sdwa s[2:3], v105, v6 src0_sel:BYTE_0 src1_sel:DWORD
	v_cmp_eq_u16_sdwa s[4:5], v107, v6 src0_sel:BYTE_0 src1_sel:DWORD
	v_cndmask_b32_e32 v3, 0, v43, vcc
	v_cndmask_b32_e32 v2, 0, v42, vcc
	v_lshl_add_u64 v[2:3], v[2:3], 0, v[44:45]
	v_cndmask_b32_e64 v3, 0, v3, s[2:3]
	v_cndmask_b32_e64 v2, 0, v2, s[2:3]
	v_lshl_add_u64 v[2:3], v[2:3], 0, v[46:47]
	v_cndmask_b32_e64 v3, 0, v3, s[4:5]
	v_cndmask_b32_e64 v2, 0, v2, s[4:5]
	v_lshl_add_u64 v[2:3], v[2:3], 0, v[48:49]
	v_cmp_eq_u16_sdwa s[6:7], v108, v6 src0_sel:BYTE_0 src1_sel:DWORD
	v_cmp_eq_u16_sdwa s[8:9], v109, v6 src0_sel:BYTE_0 src1_sel:DWORD
	v_cmp_eq_u16_sdwa s[10:11], v110, v6 src0_sel:BYTE_0 src1_sel:DWORD
	v_cndmask_b32_e64 v3, 0, v3, s[6:7]
	v_cndmask_b32_e64 v2, 0, v2, s[6:7]
	v_lshl_add_u64 v[2:3], v[2:3], 0, v[50:51]
	v_cndmask_b32_e64 v3, 0, v3, s[8:9]
	v_cndmask_b32_e64 v2, 0, v2, s[8:9]
	v_lshl_add_u64 v[2:3], v[2:3], 0, v[52:53]
	v_cndmask_b32_e64 v3, 0, v3, s[10:11]
	v_cndmask_b32_e64 v2, 0, v2, s[10:11]
	v_lshl_add_u64 v[2:3], v[2:3], 0, v[54:55]
	v_cmp_eq_u16_sdwa s[12:13], v111, v6 src0_sel:BYTE_0 src1_sel:DWORD
	v_cmp_eq_u16_sdwa s[14:15], v112, v6 src0_sel:BYTE_0 src1_sel:DWORD
	v_cmp_eq_u16_sdwa s[16:17], v113, v6 src0_sel:BYTE_0 src1_sel:DWORD
	v_cndmask_b32_e64 v3, 0, v3, s[12:13]
	v_cndmask_b32_e64 v2, 0, v2, s[12:13]
	;; [unrolled: 12-line block ×3, first 2 shown]
	v_lshl_add_u64 v[2:3], v[2:3], 0, v[62:63]
	v_cndmask_b32_e64 v3, 0, v3, s[20:21]
	v_cndmask_b32_e64 v2, 0, v2, s[20:21]
	v_lshl_add_u64 v[2:3], v[2:3], 0, v[64:65]
	v_cmp_eq_u16_sdwa s[24:25], v117, v6 src0_sel:BYTE_0 src1_sel:DWORD
	v_cmp_eq_u16_sdwa s[26:27], v118, v6 src0_sel:BYTE_0 src1_sel:DWORD
	;; [unrolled: 1-line block ×8, first 2 shown]
	v_or_b32_e32 v6, v125, v121
	v_cndmask_b32_e64 v3, 0, v3, s[22:23]
	v_cndmask_b32_e64 v2, 0, v2, s[22:23]
	v_or_b32_e32 v6, v6, v120
	v_lshl_add_u64 v[2:3], v[2:3], 0, v[66:67]
	v_or_b32_e32 v6, v6, v119
	v_cndmask_b32_e64 v3, 0, v3, s[24:25]
	v_cndmask_b32_e64 v2, 0, v2, s[24:25]
	v_or_b32_e32 v6, v6, v118
	v_lshl_add_u64 v[2:3], v[2:3], 0, v[68:69]
	;; [unrolled: 5-line block ×8, first 2 shown]
	v_or_b32_e32 v6, v6, v104
	v_cndmask_b32_e64 v3, 0, v3, s[40:41]
	v_cndmask_b32_e64 v2, 0, v2, s[40:41]
	v_or_b32_e32 v6, v6, v1
	v_mbcnt_hi_u32_b32 v8, -1, v124
	v_lshl_add_u64 v[2:3], v[2:3], 0, v[80:81]
	v_and_b32_e32 v9, 1, v6
	v_and_b32_e32 v7, 15, v8
	v_cmp_eq_u32_e64 s[40:41], 1, v9
	v_mov_b32_dpp v11, v2 row_shr:1 row_mask:0xf bank_mask:0xf
	v_mov_b32_dpp v12, v3 row_shr:1 row_mask:0xf bank_mask:0xf
	;; [unrolled: 1-line block ×3, first 2 shown]
	v_cmp_ne_u32_e64 s[42:43], 0, v7
	v_mov_b32_e32 v6, v9
	s_and_saveexec_b64 s[44:45], s[42:43]
; %bb.209:
	v_and_b32_e32 v6, 1, v10
	v_cndmask_b32_e64 v13, v12, 0, s[40:41]
	v_cndmask_b32_e64 v12, v11, 0, s[40:41]
	v_or_b32_e32 v9, v6, v9
	v_lshl_add_u64 v[2:3], v[12:13], 0, v[2:3]
	v_and_b32_e32 v6, 0xffff, v9
; %bb.210:
	s_or_b64 exec, exec, s[44:45]
	v_mov_b32_dpp v11, v2 row_shr:2 row_mask:0xf bank_mask:0xf
	v_mov_b32_dpp v12, v3 row_shr:2 row_mask:0xf bank_mask:0xf
	;; [unrolled: 1-line block ×3, first 2 shown]
	v_cmp_lt_u32_e64 s[40:41], 1, v7
	s_and_saveexec_b64 s[44:45], s[40:41]
; %bb.211:
	v_cmp_eq_u16_e64 s[40:41], 0, v9
	v_and_b32_e32 v6, 1, v9
	s_nop 0
	v_cndmask_b32_e64 v13, 0, v12, s[40:41]
	v_cndmask_b32_e64 v12, 0, v11, s[40:41]
	v_cmp_eq_u32_e64 s[40:41], 1, v6
	v_and_b32_e32 v6, 1, v10
	v_cmp_eq_u32_e64 s[42:43], 1, v6
	s_or_b64 s[40:41], s[40:41], s[42:43]
	v_lshl_add_u64 v[2:3], v[12:13], 0, v[2:3]
	v_cndmask_b32_e64 v9, 0, 1, s[40:41]
	v_cndmask_b32_e64 v6, 0, 1, s[40:41]
; %bb.212:
	s_or_b64 exec, exec, s[44:45]
	v_mov_b32_dpp v11, v2 row_shr:4 row_mask:0xf bank_mask:0xf
	v_mov_b32_dpp v12, v3 row_shr:4 row_mask:0xf bank_mask:0xf
	;; [unrolled: 1-line block ×3, first 2 shown]
	v_cmp_lt_u32_e64 s[40:41], 3, v7
	s_and_saveexec_b64 s[44:45], s[40:41]
; %bb.213:
	v_cmp_eq_u16_e64 s[40:41], 0, v9
	v_and_b32_e32 v6, 1, v9
	s_nop 0
	v_cndmask_b32_e64 v13, 0, v12, s[40:41]
	v_cndmask_b32_e64 v12, 0, v11, s[40:41]
	v_cmp_eq_u32_e64 s[40:41], 1, v6
	v_and_b32_e32 v6, 1, v10
	v_cmp_eq_u32_e64 s[42:43], 1, v6
	s_or_b64 s[40:41], s[40:41], s[42:43]
	v_lshl_add_u64 v[2:3], v[12:13], 0, v[2:3]
	v_cndmask_b32_e64 v9, 0, 1, s[40:41]
	v_cndmask_b32_e64 v6, 0, 1, s[40:41]
; %bb.214:
	s_or_b64 exec, exec, s[44:45]
	v_mov_b32_dpp v11, v2 row_shr:8 row_mask:0xf bank_mask:0xf
	v_mov_b32_dpp v12, v3 row_shr:8 row_mask:0xf bank_mask:0xf
	v_mov_b32_dpp v10, v6 row_shr:8 row_mask:0xf bank_mask:0xf
	v_cmp_lt_u32_e64 s[40:41], 7, v7
	s_and_saveexec_b64 s[44:45], s[40:41]
; %bb.215:
	v_cmp_eq_u16_e64 s[40:41], 0, v9
	s_nop 1
	v_cndmask_b32_e64 v7, 0, v12, s[40:41]
	v_cndmask_b32_e64 v6, 0, v11, s[40:41]
	v_lshl_add_u64 v[2:3], v[6:7], 0, v[2:3]
	v_and_b32_e32 v6, 1, v9
	v_cmp_eq_u32_e64 s[40:41], 1, v6
	v_and_b32_e32 v6, 1, v10
	v_cmp_eq_u32_e64 s[42:43], 1, v6
	s_or_b64 s[40:41], s[40:41], s[42:43]
	v_cndmask_b32_e64 v9, 0, 1, s[40:41]
	v_cndmask_b32_e64 v6, 0, 1, s[40:41]
; %bb.216:
	s_or_b64 exec, exec, s[44:45]
	v_and_b32_e32 v12, 16, v8
	v_mov_b32_dpp v10, v2 row_bcast:15 row_mask:0xf bank_mask:0xf
	v_mov_b32_dpp v11, v3 row_bcast:15 row_mask:0xf bank_mask:0xf
	;; [unrolled: 1-line block ×3, first 2 shown]
	v_cmp_ne_u32_e64 s[40:41], 0, v12
	s_and_saveexec_b64 s[44:45], s[40:41]
; %bb.217:
	v_cmp_eq_u16_e64 s[40:41], 0, v9
	v_and_b32_e32 v6, 1, v9
	s_nop 0
	v_cndmask_b32_e64 v11, 0, v11, s[40:41]
	v_cndmask_b32_e64 v10, 0, v10, s[40:41]
	v_cmp_eq_u32_e64 s[40:41], 1, v6
	v_and_b32_e32 v6, 1, v7
	v_cmp_eq_u32_e64 s[42:43], 1, v6
	s_or_b64 s[40:41], s[40:41], s[42:43]
	v_lshl_add_u64 v[2:3], v[10:11], 0, v[2:3]
	v_cndmask_b32_e64 v9, 0, 1, s[40:41]
	v_cndmask_b32_e64 v6, 0, 1, s[40:41]
; %bb.218:
	s_or_b64 exec, exec, s[44:45]
	v_mov_b32_dpp v7, v2 row_bcast:31 row_mask:0xf bank_mask:0xf
	v_mov_b32_dpp v10, v3 row_bcast:31 row_mask:0xf bank_mask:0xf
	;; [unrolled: 1-line block ×3, first 2 shown]
	v_cmp_lt_u32_e64 s[40:41], 31, v8
	s_and_saveexec_b64 s[44:45], s[40:41]
; %bb.219:
	v_cmp_eq_u16_e64 s[40:41], 0, v9
	v_and_b32_e32 v6, 1, v6
	v_cmp_eq_u32_e64 s[42:43], 1, v6
	v_cndmask_b32_e64 v11, 0, v10, s[40:41]
	v_cndmask_b32_e64 v10, 0, v7, s[40:41]
	v_and_b32_e32 v7, 1, v9
	v_cmp_eq_u32_e64 s[40:41], 1, v7
	s_or_b64 s[40:41], s[40:41], s[42:43]
	v_lshl_add_u64 v[2:3], v[10:11], 0, v[2:3]
	v_cndmask_b32_e64 v9, 0, 1, s[40:41]
; %bb.220:
	s_or_b64 exec, exec, s[44:45]
	v_or_b32_e32 v6, 63, v0
	v_lshrrev_b32_e32 v10, 6, v0
	v_cmp_eq_u32_e64 s[40:41], v6, v0
	s_and_saveexec_b64 s[42:43], s[40:41]
	s_cbranch_execz .LBB1465_222
; %bb.221:
	v_lshlrev_b32_e32 v6, 4, v10
	ds_write_b64 v6, v[2:3]
	ds_write_b8 v6, v9 offset:8
.LBB1465_222:
	s_or_b64 exec, exec, s[42:43]
	v_cmp_gt_u32_e64 s[40:41], 4, v0
	s_waitcnt lgkmcnt(0)
	s_barrier
	s_and_saveexec_b64 s[44:45], s[40:41]
	s_cbranch_execz .LBB1465_228
; %bb.223:
	v_lshlrev_b32_e32 v11, 4, v0
	ds_read_b64 v[6:7], v11
	ds_read_b32 v12, v11 offset:8
	v_and_b32_e32 v13, 3, v8
	v_cmp_ne_u32_e64 s[40:41], 0, v13
	s_waitcnt lgkmcnt(1)
	v_mov_b32_dpp v17, v6 row_shr:1 row_mask:0xf bank_mask:0xf
	v_mov_b32_dpp v18, v7 row_shr:1 row_mask:0xf bank_mask:0xf
	s_waitcnt lgkmcnt(0)
	v_mov_b32_dpp v16, v12 row_shr:1 row_mask:0xf bank_mask:0xf
	v_mov_b32_e32 v14, v12
	v_mov_b32_e32 v15, v12
	s_and_saveexec_b64 s[42:43], s[40:41]
; %bb.224:
	v_mov_b32_e32 v14, 0
	v_cmp_eq_u16_sdwa s[40:41], v12, v14 src0_sel:BYTE_0 src1_sel:DWORD
	s_nop 1
	v_cndmask_b32_e64 v15, 0, v18, s[40:41]
	v_cndmask_b32_e64 v14, 0, v17, s[40:41]
	v_lshl_add_u64 v[6:7], v[14:15], 0, v[6:7]
	v_or_b32_e32 v15, v16, v12
	v_and_b32_e32 v14, 1, v15
	v_and_b32_e32 v15, 1, v15
	s_movk_i32 s40, 0xff00
	v_and_or_b32 v12, v12, s40, v15
; %bb.225:
	s_or_b64 exec, exec, s[42:43]
	v_mov_b32_dpp v16, v6 row_shr:2 row_mask:0xf bank_mask:0xf
	v_mov_b32_dpp v17, v7 row_shr:2 row_mask:0xf bank_mask:0xf
	;; [unrolled: 1-line block ×3, first 2 shown]
	v_cmp_lt_u32_e64 s[40:41], 1, v13
	s_and_saveexec_b64 s[46:47], s[40:41]
; %bb.226:
	v_mov_b32_e32 v13, 0
	v_cmp_eq_u16_sdwa s[40:41], v15, v13 src0_sel:BYTE_0 src1_sel:DWORD
	v_and_b32_e32 v13, 1, v15
	v_and_b32_e32 v12, 1, v12
	v_cndmask_b32_e64 v17, 0, v17, s[40:41]
	v_cndmask_b32_e64 v16, 0, v16, s[40:41]
	v_cmp_eq_u32_e64 s[40:41], 1, v13
	v_cmp_eq_u32_e64 s[42:43], 1, v12
	s_or_b64 s[40:41], s[40:41], s[42:43]
	v_lshl_add_u64 v[6:7], v[16:17], 0, v[6:7]
	v_cndmask_b32_e64 v14, 0, 1, s[40:41]
; %bb.227:
	s_or_b64 exec, exec, s[46:47]
	ds_write_b64 v11, v[6:7]
	ds_write_b8 v11, v14 offset:8
.LBB1465_228:
	s_or_b64 exec, exec, s[44:45]
	v_cmp_lt_u32_e64 s[40:41], 63, v0
	s_waitcnt vmcnt(0)
	v_mov_b64_e32 v[6:7], v[4:5]
	s_waitcnt lgkmcnt(0)
	s_barrier
	s_and_saveexec_b64 s[42:43], s[40:41]
	s_cbranch_execz .LBB1465_230
; %bb.229:
	v_lshl_add_u32 v6, v10, 4, -16
	ds_read_u8 v10, v6 offset:8
	ds_read_b64 v[6:7], v6
	s_waitcnt lgkmcnt(1)
	v_cmp_eq_u16_e64 s[40:41], 0, v10
	s_nop 1
	v_cndmask_b32_e64 v11, 0, v5, s[40:41]
	v_cndmask_b32_e64 v10, 0, v4, s[40:41]
	s_waitcnt lgkmcnt(0)
	v_lshl_add_u64 v[6:7], v[10:11], 0, v[6:7]
.LBB1465_230:
	s_or_b64 exec, exec, s[42:43]
	v_cmp_eq_u16_e64 s[40:41], 0, v9
	v_add_u32_e32 v9, -1, v8
	s_nop 0
	v_cndmask_b32_e64 v11, 0, v7, s[40:41]
	v_cndmask_b32_e64 v10, 0, v6, s[40:41]
	v_lshl_add_u64 v[2:3], v[10:11], 0, v[2:3]
	v_and_b32_e32 v10, 64, v8
	v_cmp_lt_i32_e64 s[40:41], v9, v10
	v_mov_b32_e32 v10, 0
	v_cmp_eq_u16_sdwa s[42:43], v1, v10 src0_sel:BYTE_0 src1_sel:DWORD
	v_cndmask_b32_e64 v9, v9, v8, s[40:41]
	v_lshlrev_b32_e32 v9, 2, v9
	ds_bpermute_b32 v3, v9, v3
	ds_bpermute_b32 v2, v9, v2
	v_cmp_eq_u32_e64 s[40:41], 0, v8
	s_waitcnt lgkmcnt(1)
	s_nop 0
	v_cndmask_b32_e64 v83, v3, v7, s[40:41]
	s_waitcnt lgkmcnt(0)
	v_cndmask_b32_e64 v82, v2, v6, s[40:41]
	v_cmp_eq_u32_e64 s[40:41], 0, v0
	s_nop 1
	v_cndmask_b32_e64 v2, v82, v4, s[40:41]
	v_cndmask_b32_e64 v3, v83, v5, s[40:41]
	;; [unrolled: 1-line block ×4, first 2 shown]
	v_lshl_add_u64 v[6:7], v[2:3], 0, v[42:43]
	v_cndmask_b32_e32 v3, 0, v7, vcc
	v_cndmask_b32_e32 v2, 0, v6, vcc
	v_lshl_add_u64 v[2:3], v[2:3], 0, v[44:45]
	v_cndmask_b32_e64 v9, 0, v3, s[2:3]
	v_cndmask_b32_e64 v8, 0, v2, s[2:3]
	v_lshl_add_u64 v[84:85], v[8:9], 0, v[46:47]
	v_cndmask_b32_e64 v9, 0, v85, s[4:5]
	v_cndmask_b32_e64 v8, 0, v84, s[4:5]
	v_lshl_add_u64 v[8:9], v[8:9], 0, v[48:49]
	v_cndmask_b32_e64 v13, 0, v9, s[6:7]
	v_cndmask_b32_e64 v12, 0, v8, s[6:7]
	v_lshl_add_u64 v[86:87], v[12:13], 0, v[50:51]
	v_cndmask_b32_e64 v13, 0, v87, s[8:9]
	v_cndmask_b32_e64 v12, 0, v86, s[8:9]
	v_lshl_add_u64 v[12:13], v[12:13], 0, v[52:53]
	v_cndmask_b32_e64 v15, 0, v13, s[10:11]
	v_cndmask_b32_e64 v14, 0, v12, s[10:11]
	v_lshl_add_u64 v[88:89], v[14:15], 0, v[54:55]
	v_cndmask_b32_e64 v15, 0, v89, s[12:13]
	v_cndmask_b32_e64 v14, 0, v88, s[12:13]
	v_lshl_add_u64 v[16:17], v[14:15], 0, v[56:57]
	v_cndmask_b32_e64 v15, 0, v17, s[14:15]
	v_cndmask_b32_e64 v14, 0, v16, s[14:15]
	v_lshl_add_u64 v[90:91], v[14:15], 0, v[58:59]
	v_cndmask_b32_e64 v15, 0, v91, s[16:17]
	v_cndmask_b32_e64 v14, 0, v90, s[16:17]
	v_lshl_add_u64 v[20:21], v[14:15], 0, v[60:61]
	v_cndmask_b32_e64 v15, 0, v21, s[18:19]
	v_cndmask_b32_e64 v14, 0, v20, s[18:19]
	v_lshl_add_u64 v[92:93], v[14:15], 0, v[62:63]
	v_cndmask_b32_e64 v15, 0, v93, s[20:21]
	v_cndmask_b32_e64 v14, 0, v92, s[20:21]
	v_lshl_add_u64 v[24:25], v[14:15], 0, v[64:65]
	v_cndmask_b32_e64 v15, 0, v25, s[22:23]
	v_cndmask_b32_e64 v14, 0, v24, s[22:23]
	v_lshl_add_u64 v[94:95], v[14:15], 0, v[66:67]
	v_cndmask_b32_e64 v15, 0, v95, s[24:25]
	v_cndmask_b32_e64 v14, 0, v94, s[24:25]
	v_lshl_add_u64 v[28:29], v[14:15], 0, v[68:69]
	v_cndmask_b32_e64 v15, 0, v29, s[26:27]
	v_cndmask_b32_e64 v14, 0, v28, s[26:27]
	v_lshl_add_u64 v[96:97], v[14:15], 0, v[70:71]
	v_cndmask_b32_e64 v15, 0, v97, s[28:29]
	v_cndmask_b32_e64 v14, 0, v96, s[28:29]
	v_lshl_add_u64 v[32:33], v[14:15], 0, v[72:73]
	v_cndmask_b32_e64 v15, 0, v33, s[30:31]
	v_cndmask_b32_e64 v14, 0, v32, s[30:31]
	v_lshl_add_u64 v[98:99], v[14:15], 0, v[74:75]
	v_cndmask_b32_e64 v15, 0, v99, s[34:35]
	v_cndmask_b32_e64 v14, 0, v98, s[34:35]
	v_lshl_add_u64 v[36:37], v[14:15], 0, v[76:77]
	v_cndmask_b32_e64 v15, 0, v37, s[36:37]
	v_cndmask_b32_e64 v14, 0, v36, s[36:37]
	v_lshl_add_u64 v[100:101], v[14:15], 0, v[78:79]
	v_cndmask_b32_e64 v103, 0, v101, s[38:39]
	v_cndmask_b32_e64 v102, 0, v100, s[38:39]
	s_and_saveexec_b64 s[2:3], s[40:41]
	s_cbranch_execz .LBB1465_232
; %bb.231:
	ds_read_u8 v1, v10 offset:56
	ds_read_b64 v[14:15], v10 offset:48
	v_mov_b64_e32 v[82:83], v[4:5]
	s_waitcnt lgkmcnt(1)
	v_cmp_eq_u32_e32 vcc, 0, v1
	s_nop 1
	v_cndmask_b32_e32 v19, 0, v5, vcc
	v_cndmask_b32_e32 v18, 0, v4, vcc
	s_waitcnt lgkmcnt(0)
	v_lshl_add_u64 v[14:15], v[18:19], 0, v[14:15]
	global_store_dword v10, v14, s[50:51] offset:1024 sc1
	global_store_dword v10, v15, s[50:51] offset:1028 sc1
	;; [unrolled: 1-line block ×4, first 2 shown]
	v_mov_b32_e32 v1, 2
	s_waitcnt vmcnt(0)
	global_store_byte v10, v1, s[52:53] offset:64 sc1
.LBB1465_232:
	s_or_b64 exec, exec, s[2:3]
.LBB1465_233:
	s_add_u32 s2, s62, s56
	s_addc_u32 s3, s63, s57
	s_add_u32 s2, s2, s58
	v_lshl_add_u64 v[10:11], v[102:103], 0, v[40:41]
	s_addc_u32 s3, s3, s59
	s_and_b64 vcc, exec, s[0:1]
	v_lshlrev_b32_e32 v4, 3, v0
	s_cbranch_vccz .LBB1465_275
; %bb.234:
	s_movk_i32 s0, 0xa8
	v_mul_i32_i24_e32 v18, 0xffffff60, v0
	v_mul_u32_u24_e32 v1, 0xa8, v0
	v_mad_u32_u24 v5, v0, s0, v18
	s_barrier
	ds_write2_b64 v1, v[82:83], v[6:7] offset1:1
	ds_write2_b64 v1, v[2:3], v[84:85] offset0:2 offset1:3
	ds_write2_b64 v1, v[8:9], v[86:87] offset0:4 offset1:5
	;; [unrolled: 1-line block ×9, first 2 shown]
	ds_write_b64 v1, v[10:11] offset:160
	s_waitcnt lgkmcnt(0)
	s_barrier
	ds_read2st64_b64 v[74:77], v5 offset0:4 offset1:8
	ds_read2st64_b64 v[70:73], v5 offset0:12 offset1:16
	;; [unrolled: 1-line block ×10, first 2 shown]
	s_add_i32 s33, s33, s54
	v_mov_b32_e32 v5, 0
	v_lshl_add_u64 v[14:15], s[2:3], 0, v[4:5]
	v_cmp_gt_u32_e32 vcc, s33, v0
	s_and_saveexec_b64 s[0:1], vcc
	s_cbranch_execz .LBB1465_236
; %bb.235:
	v_add_u32_e32 v1, v1, v18
	ds_read_b64 v[18:19], v1
	s_waitcnt lgkmcnt(0)
	flat_store_dwordx2 v[14:15], v[18:19]
.LBB1465_236:
	s_or_b64 exec, exec, s[0:1]
	v_or_b32_e32 v1, 0x100, v0
	v_cmp_gt_u32_e32 vcc, s33, v1
	s_and_saveexec_b64 s[0:1], vcc
	s_cbranch_execz .LBB1465_238
; %bb.237:
	s_waitcnt lgkmcnt(0)
	flat_store_dwordx2 v[14:15], v[74:75] offset:2048
.LBB1465_238:
	s_or_b64 exec, exec, s[0:1]
	v_or_b32_e32 v1, 0x200, v0
	v_cmp_gt_u32_e32 vcc, s33, v1
	s_and_saveexec_b64 s[0:1], vcc
	s_cbranch_execz .LBB1465_240
; %bb.239:
	v_add_co_u32_e32 v18, vcc, 0x1000, v14
	s_nop 1
	v_addc_co_u32_e32 v19, vcc, 0, v15, vcc
	s_waitcnt lgkmcnt(0)
	flat_store_dwordx2 v[18:19], v[76:77]
.LBB1465_240:
	s_or_b64 exec, exec, s[0:1]
	v_or_b32_e32 v1, 0x300, v0
	v_cmp_gt_u32_e32 vcc, s33, v1
	s_and_saveexec_b64 s[0:1], vcc
	s_cbranch_execz .LBB1465_242
; %bb.241:
	v_add_co_u32_e32 v18, vcc, 0x1000, v14
	s_nop 1
	v_addc_co_u32_e32 v19, vcc, 0, v15, vcc
	s_waitcnt lgkmcnt(0)
	flat_store_dwordx2 v[18:19], v[70:71] offset:2048
.LBB1465_242:
	s_or_b64 exec, exec, s[0:1]
	v_or_b32_e32 v1, 0x400, v0
	v_cmp_gt_u32_e32 vcc, s33, v1
	s_and_saveexec_b64 s[0:1], vcc
	s_cbranch_execz .LBB1465_244
; %bb.243:
	v_add_co_u32_e32 v18, vcc, 0x2000, v14
	s_nop 1
	v_addc_co_u32_e32 v19, vcc, 0, v15, vcc
	s_waitcnt lgkmcnt(0)
	flat_store_dwordx2 v[18:19], v[72:73]
.LBB1465_244:
	s_or_b64 exec, exec, s[0:1]
	v_or_b32_e32 v1, 0x500, v0
	v_cmp_gt_u32_e32 vcc, s33, v1
	s_and_saveexec_b64 s[0:1], vcc
	s_cbranch_execz .LBB1465_246
; %bb.245:
	v_add_co_u32_e32 v18, vcc, 0x2000, v14
	s_nop 1
	v_addc_co_u32_e32 v19, vcc, 0, v15, vcc
	s_waitcnt lgkmcnt(0)
	flat_store_dwordx2 v[18:19], v[66:67] offset:2048
.LBB1465_246:
	;; [unrolled: 24-line block ×9, first 2 shown]
	s_or_b64 exec, exec, s[0:1]
	v_mov_b32_e32 v1, v5
	v_or_b32_e32 v5, 0x1400, v0
	v_cmp_gt_u32_e64 s[0:1], s33, v5
	s_branch .LBB1465_277
.LBB1465_275:
	s_mov_b64 s[0:1], 0
                                        ; implicit-def: $vgpr40_vgpr41
	s_cbranch_execz .LBB1465_277
; %bb.276:
	v_mul_u32_u24_e32 v1, 0xa8, v0
	s_waitcnt lgkmcnt(0)
	s_barrier
	s_movk_i32 s4, 0xa8
	ds_write2_b64 v1, v[82:83], v[6:7] offset1:1
	ds_write2_b64 v1, v[2:3], v[84:85] offset0:2 offset1:3
	ds_write2_b64 v1, v[8:9], v[86:87] offset0:4 offset1:5
	;; [unrolled: 1-line block ×9, first 2 shown]
	ds_write_b64 v1, v[10:11] offset:160
	v_mov_b32_e32 v1, 0
	v_mul_i32_i24_e32 v2, 0xffffff60, v0
	v_mad_u32_u24 v2, v0, s4, v2
	v_mov_b32_e32 v5, v1
	s_waitcnt lgkmcnt(0)
	s_barrier
	ds_read2st64_b64 v[6:9], v2 offset1:4
	ds_read2st64_b64 v[10:13], v2 offset0:8 offset1:12
	ds_read2st64_b64 v[14:17], v2 offset0:16 offset1:20
	;; [unrolled: 1-line block ×9, first 2 shown]
	ds_read_b64 v[40:41], v2 offset:40960
	v_lshl_add_u64 v[2:3], s[2:3], 0, v[4:5]
	s_movk_i32 s4, 0x1000
	v_add_co_u32_e32 v4, vcc, s4, v2
	s_movk_i32 s4, 0x2000
	s_nop 0
	v_addc_co_u32_e32 v5, vcc, 0, v3, vcc
	s_waitcnt lgkmcnt(0)
	flat_store_dwordx2 v[2:3], v[6:7]
	flat_store_dwordx2 v[2:3], v[8:9] offset:2048
	flat_store_dwordx2 v[4:5], v[10:11]
	flat_store_dwordx2 v[4:5], v[12:13] offset:2048
	v_add_co_u32_e32 v4, vcc, s4, v2
	s_movk_i32 s4, 0x3000
	s_nop 0
	v_addc_co_u32_e32 v5, vcc, 0, v3, vcc
	flat_store_dwordx2 v[4:5], v[14:15]
	flat_store_dwordx2 v[4:5], v[16:17] offset:2048
	v_add_co_u32_e32 v4, vcc, s4, v2
	s_movk_i32 s4, 0x4000
	s_nop 0
	v_addc_co_u32_e32 v5, vcc, 0, v3, vcc
	;; [unrolled: 6-line block ×5, first 2 shown]
	flat_store_dwordx2 v[4:5], v[30:31]
	flat_store_dwordx2 v[4:5], v[32:33] offset:2048
	v_add_co_u32_e32 v4, vcc, s4, v2
	s_or_b64 s[0:1], s[0:1], exec
	s_nop 0
	v_addc_co_u32_e32 v5, vcc, 0, v3, vcc
	flat_store_dwordx2 v[4:5], v[34:35]
	flat_store_dwordx2 v[4:5], v[36:37] offset:2048
	v_add_co_u32_e32 v4, vcc, 0x8000, v2
	s_nop 1
	v_addc_co_u32_e32 v5, vcc, 0, v3, vcc
	v_add_co_u32_e32 v2, vcc, 0x9000, v2
	flat_store_dwordx2 v[4:5], v[42:43]
	flat_store_dwordx2 v[4:5], v[44:45] offset:2048
	v_addc_co_u32_e32 v3, vcc, 0, v3, vcc
	flat_store_dwordx2 v[2:3], v[46:47]
	flat_store_dwordx2 v[2:3], v[48:49] offset:2048
.LBB1465_277:
	s_and_saveexec_b64 s[4:5], s[0:1]
	s_cbranch_execz .LBB1465_279
; %bb.278:
	v_lshl_add_u64 v[0:1], v[0:1], 3, s[2:3]
	v_add_co_u32_e32 v0, vcc, 0xa000, v0
	s_nop 1
	v_addc_co_u32_e32 v1, vcc, 0, v1, vcc
	s_waitcnt lgkmcnt(0)
	flat_store_dwordx2 v[0:1], v[40:41]
	s_endpgm
.LBB1465_279:
	s_endpgm
	.section	.rodata,"a",@progbits
	.p2align	6, 0x0
	.amdhsa_kernel _ZN7rocprim17ROCPRIM_400000_NS6detail17trampoline_kernelINS0_14default_configENS1_27scan_by_key_config_selectorIiyEEZZNS1_16scan_by_key_implILNS1_25lookback_scan_determinismE0ELb1ES3_N6thrust23THRUST_200600_302600_NS6detail15normal_iteratorINS9_10device_ptrIiEEEENSB_INSC_IyEEEESG_yNS9_4plusIvEENS9_8equal_toIvEEyEE10hipError_tPvRmT2_T3_T4_T5_mT6_T7_P12ihipStream_tbENKUlT_T0_E_clISt17integral_constantIbLb0EES11_EEDaSW_SX_EUlSW_E_NS1_11comp_targetILNS1_3genE5ELNS1_11target_archE942ELNS1_3gpuE9ELNS1_3repE0EEENS1_30default_config_static_selectorELNS0_4arch9wavefront6targetE1EEEvT1_
		.amdhsa_group_segment_fixed_size 43008
		.amdhsa_private_segment_fixed_size 0
		.amdhsa_kernarg_size 136
		.amdhsa_user_sgpr_count 2
		.amdhsa_user_sgpr_dispatch_ptr 0
		.amdhsa_user_sgpr_queue_ptr 0
		.amdhsa_user_sgpr_kernarg_segment_ptr 1
		.amdhsa_user_sgpr_dispatch_id 0
		.amdhsa_user_sgpr_kernarg_preload_length 0
		.amdhsa_user_sgpr_kernarg_preload_offset 0
		.amdhsa_user_sgpr_private_segment_size 0
		.amdhsa_uses_dynamic_stack 0
		.amdhsa_enable_private_segment 0
		.amdhsa_system_sgpr_workgroup_id_x 1
		.amdhsa_system_sgpr_workgroup_id_y 0
		.amdhsa_system_sgpr_workgroup_id_z 0
		.amdhsa_system_sgpr_workgroup_info 0
		.amdhsa_system_vgpr_workitem_id 0
		.amdhsa_next_free_vgpr 126
		.amdhsa_next_free_sgpr 78
		.amdhsa_accum_offset 128
		.amdhsa_reserve_vcc 1
		.amdhsa_float_round_mode_32 0
		.amdhsa_float_round_mode_16_64 0
		.amdhsa_float_denorm_mode_32 3
		.amdhsa_float_denorm_mode_16_64 3
		.amdhsa_dx10_clamp 1
		.amdhsa_ieee_mode 1
		.amdhsa_fp16_overflow 0
		.amdhsa_tg_split 0
		.amdhsa_exception_fp_ieee_invalid_op 0
		.amdhsa_exception_fp_denorm_src 0
		.amdhsa_exception_fp_ieee_div_zero 0
		.amdhsa_exception_fp_ieee_overflow 0
		.amdhsa_exception_fp_ieee_underflow 0
		.amdhsa_exception_fp_ieee_inexact 0
		.amdhsa_exception_int_div_zero 0
	.end_amdhsa_kernel
	.section	.text._ZN7rocprim17ROCPRIM_400000_NS6detail17trampoline_kernelINS0_14default_configENS1_27scan_by_key_config_selectorIiyEEZZNS1_16scan_by_key_implILNS1_25lookback_scan_determinismE0ELb1ES3_N6thrust23THRUST_200600_302600_NS6detail15normal_iteratorINS9_10device_ptrIiEEEENSB_INSC_IyEEEESG_yNS9_4plusIvEENS9_8equal_toIvEEyEE10hipError_tPvRmT2_T3_T4_T5_mT6_T7_P12ihipStream_tbENKUlT_T0_E_clISt17integral_constantIbLb0EES11_EEDaSW_SX_EUlSW_E_NS1_11comp_targetILNS1_3genE5ELNS1_11target_archE942ELNS1_3gpuE9ELNS1_3repE0EEENS1_30default_config_static_selectorELNS0_4arch9wavefront6targetE1EEEvT1_,"axG",@progbits,_ZN7rocprim17ROCPRIM_400000_NS6detail17trampoline_kernelINS0_14default_configENS1_27scan_by_key_config_selectorIiyEEZZNS1_16scan_by_key_implILNS1_25lookback_scan_determinismE0ELb1ES3_N6thrust23THRUST_200600_302600_NS6detail15normal_iteratorINS9_10device_ptrIiEEEENSB_INSC_IyEEEESG_yNS9_4plusIvEENS9_8equal_toIvEEyEE10hipError_tPvRmT2_T3_T4_T5_mT6_T7_P12ihipStream_tbENKUlT_T0_E_clISt17integral_constantIbLb0EES11_EEDaSW_SX_EUlSW_E_NS1_11comp_targetILNS1_3genE5ELNS1_11target_archE942ELNS1_3gpuE9ELNS1_3repE0EEENS1_30default_config_static_selectorELNS0_4arch9wavefront6targetE1EEEvT1_,comdat
.Lfunc_end1465:
	.size	_ZN7rocprim17ROCPRIM_400000_NS6detail17trampoline_kernelINS0_14default_configENS1_27scan_by_key_config_selectorIiyEEZZNS1_16scan_by_key_implILNS1_25lookback_scan_determinismE0ELb1ES3_N6thrust23THRUST_200600_302600_NS6detail15normal_iteratorINS9_10device_ptrIiEEEENSB_INSC_IyEEEESG_yNS9_4plusIvEENS9_8equal_toIvEEyEE10hipError_tPvRmT2_T3_T4_T5_mT6_T7_P12ihipStream_tbENKUlT_T0_E_clISt17integral_constantIbLb0EES11_EEDaSW_SX_EUlSW_E_NS1_11comp_targetILNS1_3genE5ELNS1_11target_archE942ELNS1_3gpuE9ELNS1_3repE0EEENS1_30default_config_static_selectorELNS0_4arch9wavefront6targetE1EEEvT1_, .Lfunc_end1465-_ZN7rocprim17ROCPRIM_400000_NS6detail17trampoline_kernelINS0_14default_configENS1_27scan_by_key_config_selectorIiyEEZZNS1_16scan_by_key_implILNS1_25lookback_scan_determinismE0ELb1ES3_N6thrust23THRUST_200600_302600_NS6detail15normal_iteratorINS9_10device_ptrIiEEEENSB_INSC_IyEEEESG_yNS9_4plusIvEENS9_8equal_toIvEEyEE10hipError_tPvRmT2_T3_T4_T5_mT6_T7_P12ihipStream_tbENKUlT_T0_E_clISt17integral_constantIbLb0EES11_EEDaSW_SX_EUlSW_E_NS1_11comp_targetILNS1_3genE5ELNS1_11target_archE942ELNS1_3gpuE9ELNS1_3repE0EEENS1_30default_config_static_selectorELNS0_4arch9wavefront6targetE1EEEvT1_
                                        ; -- End function
	.section	.AMDGPU.csdata,"",@progbits
; Kernel info:
; codeLenInByte = 17068
; NumSgprs: 84
; NumVgprs: 126
; NumAgprs: 0
; TotalNumVgprs: 126
; ScratchSize: 0
; MemoryBound: 0
; FloatMode: 240
; IeeeMode: 1
; LDSByteSize: 43008 bytes/workgroup (compile time only)
; SGPRBlocks: 10
; VGPRBlocks: 15
; NumSGPRsForWavesPerEU: 84
; NumVGPRsForWavesPerEU: 126
; AccumOffset: 128
; Occupancy: 1
; WaveLimiterHint : 1
; COMPUTE_PGM_RSRC2:SCRATCH_EN: 0
; COMPUTE_PGM_RSRC2:USER_SGPR: 2
; COMPUTE_PGM_RSRC2:TRAP_HANDLER: 0
; COMPUTE_PGM_RSRC2:TGID_X_EN: 1
; COMPUTE_PGM_RSRC2:TGID_Y_EN: 0
; COMPUTE_PGM_RSRC2:TGID_Z_EN: 0
; COMPUTE_PGM_RSRC2:TIDIG_COMP_CNT: 0
; COMPUTE_PGM_RSRC3_GFX90A:ACCUM_OFFSET: 31
; COMPUTE_PGM_RSRC3_GFX90A:TG_SPLIT: 0
	.section	.text._ZN7rocprim17ROCPRIM_400000_NS6detail17trampoline_kernelINS0_14default_configENS1_27scan_by_key_config_selectorIiyEEZZNS1_16scan_by_key_implILNS1_25lookback_scan_determinismE0ELb1ES3_N6thrust23THRUST_200600_302600_NS6detail15normal_iteratorINS9_10device_ptrIiEEEENSB_INSC_IyEEEESG_yNS9_4plusIvEENS9_8equal_toIvEEyEE10hipError_tPvRmT2_T3_T4_T5_mT6_T7_P12ihipStream_tbENKUlT_T0_E_clISt17integral_constantIbLb0EES11_EEDaSW_SX_EUlSW_E_NS1_11comp_targetILNS1_3genE4ELNS1_11target_archE910ELNS1_3gpuE8ELNS1_3repE0EEENS1_30default_config_static_selectorELNS0_4arch9wavefront6targetE1EEEvT1_,"axG",@progbits,_ZN7rocprim17ROCPRIM_400000_NS6detail17trampoline_kernelINS0_14default_configENS1_27scan_by_key_config_selectorIiyEEZZNS1_16scan_by_key_implILNS1_25lookback_scan_determinismE0ELb1ES3_N6thrust23THRUST_200600_302600_NS6detail15normal_iteratorINS9_10device_ptrIiEEEENSB_INSC_IyEEEESG_yNS9_4plusIvEENS9_8equal_toIvEEyEE10hipError_tPvRmT2_T3_T4_T5_mT6_T7_P12ihipStream_tbENKUlT_T0_E_clISt17integral_constantIbLb0EES11_EEDaSW_SX_EUlSW_E_NS1_11comp_targetILNS1_3genE4ELNS1_11target_archE910ELNS1_3gpuE8ELNS1_3repE0EEENS1_30default_config_static_selectorELNS0_4arch9wavefront6targetE1EEEvT1_,comdat
	.protected	_ZN7rocprim17ROCPRIM_400000_NS6detail17trampoline_kernelINS0_14default_configENS1_27scan_by_key_config_selectorIiyEEZZNS1_16scan_by_key_implILNS1_25lookback_scan_determinismE0ELb1ES3_N6thrust23THRUST_200600_302600_NS6detail15normal_iteratorINS9_10device_ptrIiEEEENSB_INSC_IyEEEESG_yNS9_4plusIvEENS9_8equal_toIvEEyEE10hipError_tPvRmT2_T3_T4_T5_mT6_T7_P12ihipStream_tbENKUlT_T0_E_clISt17integral_constantIbLb0EES11_EEDaSW_SX_EUlSW_E_NS1_11comp_targetILNS1_3genE4ELNS1_11target_archE910ELNS1_3gpuE8ELNS1_3repE0EEENS1_30default_config_static_selectorELNS0_4arch9wavefront6targetE1EEEvT1_ ; -- Begin function _ZN7rocprim17ROCPRIM_400000_NS6detail17trampoline_kernelINS0_14default_configENS1_27scan_by_key_config_selectorIiyEEZZNS1_16scan_by_key_implILNS1_25lookback_scan_determinismE0ELb1ES3_N6thrust23THRUST_200600_302600_NS6detail15normal_iteratorINS9_10device_ptrIiEEEENSB_INSC_IyEEEESG_yNS9_4plusIvEENS9_8equal_toIvEEyEE10hipError_tPvRmT2_T3_T4_T5_mT6_T7_P12ihipStream_tbENKUlT_T0_E_clISt17integral_constantIbLb0EES11_EEDaSW_SX_EUlSW_E_NS1_11comp_targetILNS1_3genE4ELNS1_11target_archE910ELNS1_3gpuE8ELNS1_3repE0EEENS1_30default_config_static_selectorELNS0_4arch9wavefront6targetE1EEEvT1_
	.globl	_ZN7rocprim17ROCPRIM_400000_NS6detail17trampoline_kernelINS0_14default_configENS1_27scan_by_key_config_selectorIiyEEZZNS1_16scan_by_key_implILNS1_25lookback_scan_determinismE0ELb1ES3_N6thrust23THRUST_200600_302600_NS6detail15normal_iteratorINS9_10device_ptrIiEEEENSB_INSC_IyEEEESG_yNS9_4plusIvEENS9_8equal_toIvEEyEE10hipError_tPvRmT2_T3_T4_T5_mT6_T7_P12ihipStream_tbENKUlT_T0_E_clISt17integral_constantIbLb0EES11_EEDaSW_SX_EUlSW_E_NS1_11comp_targetILNS1_3genE4ELNS1_11target_archE910ELNS1_3gpuE8ELNS1_3repE0EEENS1_30default_config_static_selectorELNS0_4arch9wavefront6targetE1EEEvT1_
	.p2align	8
	.type	_ZN7rocprim17ROCPRIM_400000_NS6detail17trampoline_kernelINS0_14default_configENS1_27scan_by_key_config_selectorIiyEEZZNS1_16scan_by_key_implILNS1_25lookback_scan_determinismE0ELb1ES3_N6thrust23THRUST_200600_302600_NS6detail15normal_iteratorINS9_10device_ptrIiEEEENSB_INSC_IyEEEESG_yNS9_4plusIvEENS9_8equal_toIvEEyEE10hipError_tPvRmT2_T3_T4_T5_mT6_T7_P12ihipStream_tbENKUlT_T0_E_clISt17integral_constantIbLb0EES11_EEDaSW_SX_EUlSW_E_NS1_11comp_targetILNS1_3genE4ELNS1_11target_archE910ELNS1_3gpuE8ELNS1_3repE0EEENS1_30default_config_static_selectorELNS0_4arch9wavefront6targetE1EEEvT1_,@function
_ZN7rocprim17ROCPRIM_400000_NS6detail17trampoline_kernelINS0_14default_configENS1_27scan_by_key_config_selectorIiyEEZZNS1_16scan_by_key_implILNS1_25lookback_scan_determinismE0ELb1ES3_N6thrust23THRUST_200600_302600_NS6detail15normal_iteratorINS9_10device_ptrIiEEEENSB_INSC_IyEEEESG_yNS9_4plusIvEENS9_8equal_toIvEEyEE10hipError_tPvRmT2_T3_T4_T5_mT6_T7_P12ihipStream_tbENKUlT_T0_E_clISt17integral_constantIbLb0EES11_EEDaSW_SX_EUlSW_E_NS1_11comp_targetILNS1_3genE4ELNS1_11target_archE910ELNS1_3gpuE8ELNS1_3repE0EEENS1_30default_config_static_selectorELNS0_4arch9wavefront6targetE1EEEvT1_: ; @_ZN7rocprim17ROCPRIM_400000_NS6detail17trampoline_kernelINS0_14default_configENS1_27scan_by_key_config_selectorIiyEEZZNS1_16scan_by_key_implILNS1_25lookback_scan_determinismE0ELb1ES3_N6thrust23THRUST_200600_302600_NS6detail15normal_iteratorINS9_10device_ptrIiEEEENSB_INSC_IyEEEESG_yNS9_4plusIvEENS9_8equal_toIvEEyEE10hipError_tPvRmT2_T3_T4_T5_mT6_T7_P12ihipStream_tbENKUlT_T0_E_clISt17integral_constantIbLb0EES11_EEDaSW_SX_EUlSW_E_NS1_11comp_targetILNS1_3genE4ELNS1_11target_archE910ELNS1_3gpuE8ELNS1_3repE0EEENS1_30default_config_static_selectorELNS0_4arch9wavefront6targetE1EEEvT1_
; %bb.0:
	.section	.rodata,"a",@progbits
	.p2align	6, 0x0
	.amdhsa_kernel _ZN7rocprim17ROCPRIM_400000_NS6detail17trampoline_kernelINS0_14default_configENS1_27scan_by_key_config_selectorIiyEEZZNS1_16scan_by_key_implILNS1_25lookback_scan_determinismE0ELb1ES3_N6thrust23THRUST_200600_302600_NS6detail15normal_iteratorINS9_10device_ptrIiEEEENSB_INSC_IyEEEESG_yNS9_4plusIvEENS9_8equal_toIvEEyEE10hipError_tPvRmT2_T3_T4_T5_mT6_T7_P12ihipStream_tbENKUlT_T0_E_clISt17integral_constantIbLb0EES11_EEDaSW_SX_EUlSW_E_NS1_11comp_targetILNS1_3genE4ELNS1_11target_archE910ELNS1_3gpuE8ELNS1_3repE0EEENS1_30default_config_static_selectorELNS0_4arch9wavefront6targetE1EEEvT1_
		.amdhsa_group_segment_fixed_size 0
		.amdhsa_private_segment_fixed_size 0
		.amdhsa_kernarg_size 136
		.amdhsa_user_sgpr_count 2
		.amdhsa_user_sgpr_dispatch_ptr 0
		.amdhsa_user_sgpr_queue_ptr 0
		.amdhsa_user_sgpr_kernarg_segment_ptr 1
		.amdhsa_user_sgpr_dispatch_id 0
		.amdhsa_user_sgpr_kernarg_preload_length 0
		.amdhsa_user_sgpr_kernarg_preload_offset 0
		.amdhsa_user_sgpr_private_segment_size 0
		.amdhsa_uses_dynamic_stack 0
		.amdhsa_enable_private_segment 0
		.amdhsa_system_sgpr_workgroup_id_x 1
		.amdhsa_system_sgpr_workgroup_id_y 0
		.amdhsa_system_sgpr_workgroup_id_z 0
		.amdhsa_system_sgpr_workgroup_info 0
		.amdhsa_system_vgpr_workitem_id 0
		.amdhsa_next_free_vgpr 1
		.amdhsa_next_free_sgpr 0
		.amdhsa_accum_offset 4
		.amdhsa_reserve_vcc 0
		.amdhsa_float_round_mode_32 0
		.amdhsa_float_round_mode_16_64 0
		.amdhsa_float_denorm_mode_32 3
		.amdhsa_float_denorm_mode_16_64 3
		.amdhsa_dx10_clamp 1
		.amdhsa_ieee_mode 1
		.amdhsa_fp16_overflow 0
		.amdhsa_tg_split 0
		.amdhsa_exception_fp_ieee_invalid_op 0
		.amdhsa_exception_fp_denorm_src 0
		.amdhsa_exception_fp_ieee_div_zero 0
		.amdhsa_exception_fp_ieee_overflow 0
		.amdhsa_exception_fp_ieee_underflow 0
		.amdhsa_exception_fp_ieee_inexact 0
		.amdhsa_exception_int_div_zero 0
	.end_amdhsa_kernel
	.section	.text._ZN7rocprim17ROCPRIM_400000_NS6detail17trampoline_kernelINS0_14default_configENS1_27scan_by_key_config_selectorIiyEEZZNS1_16scan_by_key_implILNS1_25lookback_scan_determinismE0ELb1ES3_N6thrust23THRUST_200600_302600_NS6detail15normal_iteratorINS9_10device_ptrIiEEEENSB_INSC_IyEEEESG_yNS9_4plusIvEENS9_8equal_toIvEEyEE10hipError_tPvRmT2_T3_T4_T5_mT6_T7_P12ihipStream_tbENKUlT_T0_E_clISt17integral_constantIbLb0EES11_EEDaSW_SX_EUlSW_E_NS1_11comp_targetILNS1_3genE4ELNS1_11target_archE910ELNS1_3gpuE8ELNS1_3repE0EEENS1_30default_config_static_selectorELNS0_4arch9wavefront6targetE1EEEvT1_,"axG",@progbits,_ZN7rocprim17ROCPRIM_400000_NS6detail17trampoline_kernelINS0_14default_configENS1_27scan_by_key_config_selectorIiyEEZZNS1_16scan_by_key_implILNS1_25lookback_scan_determinismE0ELb1ES3_N6thrust23THRUST_200600_302600_NS6detail15normal_iteratorINS9_10device_ptrIiEEEENSB_INSC_IyEEEESG_yNS9_4plusIvEENS9_8equal_toIvEEyEE10hipError_tPvRmT2_T3_T4_T5_mT6_T7_P12ihipStream_tbENKUlT_T0_E_clISt17integral_constantIbLb0EES11_EEDaSW_SX_EUlSW_E_NS1_11comp_targetILNS1_3genE4ELNS1_11target_archE910ELNS1_3gpuE8ELNS1_3repE0EEENS1_30default_config_static_selectorELNS0_4arch9wavefront6targetE1EEEvT1_,comdat
.Lfunc_end1466:
	.size	_ZN7rocprim17ROCPRIM_400000_NS6detail17trampoline_kernelINS0_14default_configENS1_27scan_by_key_config_selectorIiyEEZZNS1_16scan_by_key_implILNS1_25lookback_scan_determinismE0ELb1ES3_N6thrust23THRUST_200600_302600_NS6detail15normal_iteratorINS9_10device_ptrIiEEEENSB_INSC_IyEEEESG_yNS9_4plusIvEENS9_8equal_toIvEEyEE10hipError_tPvRmT2_T3_T4_T5_mT6_T7_P12ihipStream_tbENKUlT_T0_E_clISt17integral_constantIbLb0EES11_EEDaSW_SX_EUlSW_E_NS1_11comp_targetILNS1_3genE4ELNS1_11target_archE910ELNS1_3gpuE8ELNS1_3repE0EEENS1_30default_config_static_selectorELNS0_4arch9wavefront6targetE1EEEvT1_, .Lfunc_end1466-_ZN7rocprim17ROCPRIM_400000_NS6detail17trampoline_kernelINS0_14default_configENS1_27scan_by_key_config_selectorIiyEEZZNS1_16scan_by_key_implILNS1_25lookback_scan_determinismE0ELb1ES3_N6thrust23THRUST_200600_302600_NS6detail15normal_iteratorINS9_10device_ptrIiEEEENSB_INSC_IyEEEESG_yNS9_4plusIvEENS9_8equal_toIvEEyEE10hipError_tPvRmT2_T3_T4_T5_mT6_T7_P12ihipStream_tbENKUlT_T0_E_clISt17integral_constantIbLb0EES11_EEDaSW_SX_EUlSW_E_NS1_11comp_targetILNS1_3genE4ELNS1_11target_archE910ELNS1_3gpuE8ELNS1_3repE0EEENS1_30default_config_static_selectorELNS0_4arch9wavefront6targetE1EEEvT1_
                                        ; -- End function
	.section	.AMDGPU.csdata,"",@progbits
; Kernel info:
; codeLenInByte = 0
; NumSgprs: 6
; NumVgprs: 0
; NumAgprs: 0
; TotalNumVgprs: 0
; ScratchSize: 0
; MemoryBound: 0
; FloatMode: 240
; IeeeMode: 1
; LDSByteSize: 0 bytes/workgroup (compile time only)
; SGPRBlocks: 0
; VGPRBlocks: 0
; NumSGPRsForWavesPerEU: 6
; NumVGPRsForWavesPerEU: 1
; AccumOffset: 4
; Occupancy: 8
; WaveLimiterHint : 0
; COMPUTE_PGM_RSRC2:SCRATCH_EN: 0
; COMPUTE_PGM_RSRC2:USER_SGPR: 2
; COMPUTE_PGM_RSRC2:TRAP_HANDLER: 0
; COMPUTE_PGM_RSRC2:TGID_X_EN: 1
; COMPUTE_PGM_RSRC2:TGID_Y_EN: 0
; COMPUTE_PGM_RSRC2:TGID_Z_EN: 0
; COMPUTE_PGM_RSRC2:TIDIG_COMP_CNT: 0
; COMPUTE_PGM_RSRC3_GFX90A:ACCUM_OFFSET: 0
; COMPUTE_PGM_RSRC3_GFX90A:TG_SPLIT: 0
	.section	.text._ZN7rocprim17ROCPRIM_400000_NS6detail17trampoline_kernelINS0_14default_configENS1_27scan_by_key_config_selectorIiyEEZZNS1_16scan_by_key_implILNS1_25lookback_scan_determinismE0ELb1ES3_N6thrust23THRUST_200600_302600_NS6detail15normal_iteratorINS9_10device_ptrIiEEEENSB_INSC_IyEEEESG_yNS9_4plusIvEENS9_8equal_toIvEEyEE10hipError_tPvRmT2_T3_T4_T5_mT6_T7_P12ihipStream_tbENKUlT_T0_E_clISt17integral_constantIbLb0EES11_EEDaSW_SX_EUlSW_E_NS1_11comp_targetILNS1_3genE3ELNS1_11target_archE908ELNS1_3gpuE7ELNS1_3repE0EEENS1_30default_config_static_selectorELNS0_4arch9wavefront6targetE1EEEvT1_,"axG",@progbits,_ZN7rocprim17ROCPRIM_400000_NS6detail17trampoline_kernelINS0_14default_configENS1_27scan_by_key_config_selectorIiyEEZZNS1_16scan_by_key_implILNS1_25lookback_scan_determinismE0ELb1ES3_N6thrust23THRUST_200600_302600_NS6detail15normal_iteratorINS9_10device_ptrIiEEEENSB_INSC_IyEEEESG_yNS9_4plusIvEENS9_8equal_toIvEEyEE10hipError_tPvRmT2_T3_T4_T5_mT6_T7_P12ihipStream_tbENKUlT_T0_E_clISt17integral_constantIbLb0EES11_EEDaSW_SX_EUlSW_E_NS1_11comp_targetILNS1_3genE3ELNS1_11target_archE908ELNS1_3gpuE7ELNS1_3repE0EEENS1_30default_config_static_selectorELNS0_4arch9wavefront6targetE1EEEvT1_,comdat
	.protected	_ZN7rocprim17ROCPRIM_400000_NS6detail17trampoline_kernelINS0_14default_configENS1_27scan_by_key_config_selectorIiyEEZZNS1_16scan_by_key_implILNS1_25lookback_scan_determinismE0ELb1ES3_N6thrust23THRUST_200600_302600_NS6detail15normal_iteratorINS9_10device_ptrIiEEEENSB_INSC_IyEEEESG_yNS9_4plusIvEENS9_8equal_toIvEEyEE10hipError_tPvRmT2_T3_T4_T5_mT6_T7_P12ihipStream_tbENKUlT_T0_E_clISt17integral_constantIbLb0EES11_EEDaSW_SX_EUlSW_E_NS1_11comp_targetILNS1_3genE3ELNS1_11target_archE908ELNS1_3gpuE7ELNS1_3repE0EEENS1_30default_config_static_selectorELNS0_4arch9wavefront6targetE1EEEvT1_ ; -- Begin function _ZN7rocprim17ROCPRIM_400000_NS6detail17trampoline_kernelINS0_14default_configENS1_27scan_by_key_config_selectorIiyEEZZNS1_16scan_by_key_implILNS1_25lookback_scan_determinismE0ELb1ES3_N6thrust23THRUST_200600_302600_NS6detail15normal_iteratorINS9_10device_ptrIiEEEENSB_INSC_IyEEEESG_yNS9_4plusIvEENS9_8equal_toIvEEyEE10hipError_tPvRmT2_T3_T4_T5_mT6_T7_P12ihipStream_tbENKUlT_T0_E_clISt17integral_constantIbLb0EES11_EEDaSW_SX_EUlSW_E_NS1_11comp_targetILNS1_3genE3ELNS1_11target_archE908ELNS1_3gpuE7ELNS1_3repE0EEENS1_30default_config_static_selectorELNS0_4arch9wavefront6targetE1EEEvT1_
	.globl	_ZN7rocprim17ROCPRIM_400000_NS6detail17trampoline_kernelINS0_14default_configENS1_27scan_by_key_config_selectorIiyEEZZNS1_16scan_by_key_implILNS1_25lookback_scan_determinismE0ELb1ES3_N6thrust23THRUST_200600_302600_NS6detail15normal_iteratorINS9_10device_ptrIiEEEENSB_INSC_IyEEEESG_yNS9_4plusIvEENS9_8equal_toIvEEyEE10hipError_tPvRmT2_T3_T4_T5_mT6_T7_P12ihipStream_tbENKUlT_T0_E_clISt17integral_constantIbLb0EES11_EEDaSW_SX_EUlSW_E_NS1_11comp_targetILNS1_3genE3ELNS1_11target_archE908ELNS1_3gpuE7ELNS1_3repE0EEENS1_30default_config_static_selectorELNS0_4arch9wavefront6targetE1EEEvT1_
	.p2align	8
	.type	_ZN7rocprim17ROCPRIM_400000_NS6detail17trampoline_kernelINS0_14default_configENS1_27scan_by_key_config_selectorIiyEEZZNS1_16scan_by_key_implILNS1_25lookback_scan_determinismE0ELb1ES3_N6thrust23THRUST_200600_302600_NS6detail15normal_iteratorINS9_10device_ptrIiEEEENSB_INSC_IyEEEESG_yNS9_4plusIvEENS9_8equal_toIvEEyEE10hipError_tPvRmT2_T3_T4_T5_mT6_T7_P12ihipStream_tbENKUlT_T0_E_clISt17integral_constantIbLb0EES11_EEDaSW_SX_EUlSW_E_NS1_11comp_targetILNS1_3genE3ELNS1_11target_archE908ELNS1_3gpuE7ELNS1_3repE0EEENS1_30default_config_static_selectorELNS0_4arch9wavefront6targetE1EEEvT1_,@function
_ZN7rocprim17ROCPRIM_400000_NS6detail17trampoline_kernelINS0_14default_configENS1_27scan_by_key_config_selectorIiyEEZZNS1_16scan_by_key_implILNS1_25lookback_scan_determinismE0ELb1ES3_N6thrust23THRUST_200600_302600_NS6detail15normal_iteratorINS9_10device_ptrIiEEEENSB_INSC_IyEEEESG_yNS9_4plusIvEENS9_8equal_toIvEEyEE10hipError_tPvRmT2_T3_T4_T5_mT6_T7_P12ihipStream_tbENKUlT_T0_E_clISt17integral_constantIbLb0EES11_EEDaSW_SX_EUlSW_E_NS1_11comp_targetILNS1_3genE3ELNS1_11target_archE908ELNS1_3gpuE7ELNS1_3repE0EEENS1_30default_config_static_selectorELNS0_4arch9wavefront6targetE1EEEvT1_: ; @_ZN7rocprim17ROCPRIM_400000_NS6detail17trampoline_kernelINS0_14default_configENS1_27scan_by_key_config_selectorIiyEEZZNS1_16scan_by_key_implILNS1_25lookback_scan_determinismE0ELb1ES3_N6thrust23THRUST_200600_302600_NS6detail15normal_iteratorINS9_10device_ptrIiEEEENSB_INSC_IyEEEESG_yNS9_4plusIvEENS9_8equal_toIvEEyEE10hipError_tPvRmT2_T3_T4_T5_mT6_T7_P12ihipStream_tbENKUlT_T0_E_clISt17integral_constantIbLb0EES11_EEDaSW_SX_EUlSW_E_NS1_11comp_targetILNS1_3genE3ELNS1_11target_archE908ELNS1_3gpuE7ELNS1_3repE0EEENS1_30default_config_static_selectorELNS0_4arch9wavefront6targetE1EEEvT1_
; %bb.0:
	.section	.rodata,"a",@progbits
	.p2align	6, 0x0
	.amdhsa_kernel _ZN7rocprim17ROCPRIM_400000_NS6detail17trampoline_kernelINS0_14default_configENS1_27scan_by_key_config_selectorIiyEEZZNS1_16scan_by_key_implILNS1_25lookback_scan_determinismE0ELb1ES3_N6thrust23THRUST_200600_302600_NS6detail15normal_iteratorINS9_10device_ptrIiEEEENSB_INSC_IyEEEESG_yNS9_4plusIvEENS9_8equal_toIvEEyEE10hipError_tPvRmT2_T3_T4_T5_mT6_T7_P12ihipStream_tbENKUlT_T0_E_clISt17integral_constantIbLb0EES11_EEDaSW_SX_EUlSW_E_NS1_11comp_targetILNS1_3genE3ELNS1_11target_archE908ELNS1_3gpuE7ELNS1_3repE0EEENS1_30default_config_static_selectorELNS0_4arch9wavefront6targetE1EEEvT1_
		.amdhsa_group_segment_fixed_size 0
		.amdhsa_private_segment_fixed_size 0
		.amdhsa_kernarg_size 136
		.amdhsa_user_sgpr_count 2
		.amdhsa_user_sgpr_dispatch_ptr 0
		.amdhsa_user_sgpr_queue_ptr 0
		.amdhsa_user_sgpr_kernarg_segment_ptr 1
		.amdhsa_user_sgpr_dispatch_id 0
		.amdhsa_user_sgpr_kernarg_preload_length 0
		.amdhsa_user_sgpr_kernarg_preload_offset 0
		.amdhsa_user_sgpr_private_segment_size 0
		.amdhsa_uses_dynamic_stack 0
		.amdhsa_enable_private_segment 0
		.amdhsa_system_sgpr_workgroup_id_x 1
		.amdhsa_system_sgpr_workgroup_id_y 0
		.amdhsa_system_sgpr_workgroup_id_z 0
		.amdhsa_system_sgpr_workgroup_info 0
		.amdhsa_system_vgpr_workitem_id 0
		.amdhsa_next_free_vgpr 1
		.amdhsa_next_free_sgpr 0
		.amdhsa_accum_offset 4
		.amdhsa_reserve_vcc 0
		.amdhsa_float_round_mode_32 0
		.amdhsa_float_round_mode_16_64 0
		.amdhsa_float_denorm_mode_32 3
		.amdhsa_float_denorm_mode_16_64 3
		.amdhsa_dx10_clamp 1
		.amdhsa_ieee_mode 1
		.amdhsa_fp16_overflow 0
		.amdhsa_tg_split 0
		.amdhsa_exception_fp_ieee_invalid_op 0
		.amdhsa_exception_fp_denorm_src 0
		.amdhsa_exception_fp_ieee_div_zero 0
		.amdhsa_exception_fp_ieee_overflow 0
		.amdhsa_exception_fp_ieee_underflow 0
		.amdhsa_exception_fp_ieee_inexact 0
		.amdhsa_exception_int_div_zero 0
	.end_amdhsa_kernel
	.section	.text._ZN7rocprim17ROCPRIM_400000_NS6detail17trampoline_kernelINS0_14default_configENS1_27scan_by_key_config_selectorIiyEEZZNS1_16scan_by_key_implILNS1_25lookback_scan_determinismE0ELb1ES3_N6thrust23THRUST_200600_302600_NS6detail15normal_iteratorINS9_10device_ptrIiEEEENSB_INSC_IyEEEESG_yNS9_4plusIvEENS9_8equal_toIvEEyEE10hipError_tPvRmT2_T3_T4_T5_mT6_T7_P12ihipStream_tbENKUlT_T0_E_clISt17integral_constantIbLb0EES11_EEDaSW_SX_EUlSW_E_NS1_11comp_targetILNS1_3genE3ELNS1_11target_archE908ELNS1_3gpuE7ELNS1_3repE0EEENS1_30default_config_static_selectorELNS0_4arch9wavefront6targetE1EEEvT1_,"axG",@progbits,_ZN7rocprim17ROCPRIM_400000_NS6detail17trampoline_kernelINS0_14default_configENS1_27scan_by_key_config_selectorIiyEEZZNS1_16scan_by_key_implILNS1_25lookback_scan_determinismE0ELb1ES3_N6thrust23THRUST_200600_302600_NS6detail15normal_iteratorINS9_10device_ptrIiEEEENSB_INSC_IyEEEESG_yNS9_4plusIvEENS9_8equal_toIvEEyEE10hipError_tPvRmT2_T3_T4_T5_mT6_T7_P12ihipStream_tbENKUlT_T0_E_clISt17integral_constantIbLb0EES11_EEDaSW_SX_EUlSW_E_NS1_11comp_targetILNS1_3genE3ELNS1_11target_archE908ELNS1_3gpuE7ELNS1_3repE0EEENS1_30default_config_static_selectorELNS0_4arch9wavefront6targetE1EEEvT1_,comdat
.Lfunc_end1467:
	.size	_ZN7rocprim17ROCPRIM_400000_NS6detail17trampoline_kernelINS0_14default_configENS1_27scan_by_key_config_selectorIiyEEZZNS1_16scan_by_key_implILNS1_25lookback_scan_determinismE0ELb1ES3_N6thrust23THRUST_200600_302600_NS6detail15normal_iteratorINS9_10device_ptrIiEEEENSB_INSC_IyEEEESG_yNS9_4plusIvEENS9_8equal_toIvEEyEE10hipError_tPvRmT2_T3_T4_T5_mT6_T7_P12ihipStream_tbENKUlT_T0_E_clISt17integral_constantIbLb0EES11_EEDaSW_SX_EUlSW_E_NS1_11comp_targetILNS1_3genE3ELNS1_11target_archE908ELNS1_3gpuE7ELNS1_3repE0EEENS1_30default_config_static_selectorELNS0_4arch9wavefront6targetE1EEEvT1_, .Lfunc_end1467-_ZN7rocprim17ROCPRIM_400000_NS6detail17trampoline_kernelINS0_14default_configENS1_27scan_by_key_config_selectorIiyEEZZNS1_16scan_by_key_implILNS1_25lookback_scan_determinismE0ELb1ES3_N6thrust23THRUST_200600_302600_NS6detail15normal_iteratorINS9_10device_ptrIiEEEENSB_INSC_IyEEEESG_yNS9_4plusIvEENS9_8equal_toIvEEyEE10hipError_tPvRmT2_T3_T4_T5_mT6_T7_P12ihipStream_tbENKUlT_T0_E_clISt17integral_constantIbLb0EES11_EEDaSW_SX_EUlSW_E_NS1_11comp_targetILNS1_3genE3ELNS1_11target_archE908ELNS1_3gpuE7ELNS1_3repE0EEENS1_30default_config_static_selectorELNS0_4arch9wavefront6targetE1EEEvT1_
                                        ; -- End function
	.section	.AMDGPU.csdata,"",@progbits
; Kernel info:
; codeLenInByte = 0
; NumSgprs: 6
; NumVgprs: 0
; NumAgprs: 0
; TotalNumVgprs: 0
; ScratchSize: 0
; MemoryBound: 0
; FloatMode: 240
; IeeeMode: 1
; LDSByteSize: 0 bytes/workgroup (compile time only)
; SGPRBlocks: 0
; VGPRBlocks: 0
; NumSGPRsForWavesPerEU: 6
; NumVGPRsForWavesPerEU: 1
; AccumOffset: 4
; Occupancy: 8
; WaveLimiterHint : 0
; COMPUTE_PGM_RSRC2:SCRATCH_EN: 0
; COMPUTE_PGM_RSRC2:USER_SGPR: 2
; COMPUTE_PGM_RSRC2:TRAP_HANDLER: 0
; COMPUTE_PGM_RSRC2:TGID_X_EN: 1
; COMPUTE_PGM_RSRC2:TGID_Y_EN: 0
; COMPUTE_PGM_RSRC2:TGID_Z_EN: 0
; COMPUTE_PGM_RSRC2:TIDIG_COMP_CNT: 0
; COMPUTE_PGM_RSRC3_GFX90A:ACCUM_OFFSET: 0
; COMPUTE_PGM_RSRC3_GFX90A:TG_SPLIT: 0
	.section	.text._ZN7rocprim17ROCPRIM_400000_NS6detail17trampoline_kernelINS0_14default_configENS1_27scan_by_key_config_selectorIiyEEZZNS1_16scan_by_key_implILNS1_25lookback_scan_determinismE0ELb1ES3_N6thrust23THRUST_200600_302600_NS6detail15normal_iteratorINS9_10device_ptrIiEEEENSB_INSC_IyEEEESG_yNS9_4plusIvEENS9_8equal_toIvEEyEE10hipError_tPvRmT2_T3_T4_T5_mT6_T7_P12ihipStream_tbENKUlT_T0_E_clISt17integral_constantIbLb0EES11_EEDaSW_SX_EUlSW_E_NS1_11comp_targetILNS1_3genE2ELNS1_11target_archE906ELNS1_3gpuE6ELNS1_3repE0EEENS1_30default_config_static_selectorELNS0_4arch9wavefront6targetE1EEEvT1_,"axG",@progbits,_ZN7rocprim17ROCPRIM_400000_NS6detail17trampoline_kernelINS0_14default_configENS1_27scan_by_key_config_selectorIiyEEZZNS1_16scan_by_key_implILNS1_25lookback_scan_determinismE0ELb1ES3_N6thrust23THRUST_200600_302600_NS6detail15normal_iteratorINS9_10device_ptrIiEEEENSB_INSC_IyEEEESG_yNS9_4plusIvEENS9_8equal_toIvEEyEE10hipError_tPvRmT2_T3_T4_T5_mT6_T7_P12ihipStream_tbENKUlT_T0_E_clISt17integral_constantIbLb0EES11_EEDaSW_SX_EUlSW_E_NS1_11comp_targetILNS1_3genE2ELNS1_11target_archE906ELNS1_3gpuE6ELNS1_3repE0EEENS1_30default_config_static_selectorELNS0_4arch9wavefront6targetE1EEEvT1_,comdat
	.protected	_ZN7rocprim17ROCPRIM_400000_NS6detail17trampoline_kernelINS0_14default_configENS1_27scan_by_key_config_selectorIiyEEZZNS1_16scan_by_key_implILNS1_25lookback_scan_determinismE0ELb1ES3_N6thrust23THRUST_200600_302600_NS6detail15normal_iteratorINS9_10device_ptrIiEEEENSB_INSC_IyEEEESG_yNS9_4plusIvEENS9_8equal_toIvEEyEE10hipError_tPvRmT2_T3_T4_T5_mT6_T7_P12ihipStream_tbENKUlT_T0_E_clISt17integral_constantIbLb0EES11_EEDaSW_SX_EUlSW_E_NS1_11comp_targetILNS1_3genE2ELNS1_11target_archE906ELNS1_3gpuE6ELNS1_3repE0EEENS1_30default_config_static_selectorELNS0_4arch9wavefront6targetE1EEEvT1_ ; -- Begin function _ZN7rocprim17ROCPRIM_400000_NS6detail17trampoline_kernelINS0_14default_configENS1_27scan_by_key_config_selectorIiyEEZZNS1_16scan_by_key_implILNS1_25lookback_scan_determinismE0ELb1ES3_N6thrust23THRUST_200600_302600_NS6detail15normal_iteratorINS9_10device_ptrIiEEEENSB_INSC_IyEEEESG_yNS9_4plusIvEENS9_8equal_toIvEEyEE10hipError_tPvRmT2_T3_T4_T5_mT6_T7_P12ihipStream_tbENKUlT_T0_E_clISt17integral_constantIbLb0EES11_EEDaSW_SX_EUlSW_E_NS1_11comp_targetILNS1_3genE2ELNS1_11target_archE906ELNS1_3gpuE6ELNS1_3repE0EEENS1_30default_config_static_selectorELNS0_4arch9wavefront6targetE1EEEvT1_
	.globl	_ZN7rocprim17ROCPRIM_400000_NS6detail17trampoline_kernelINS0_14default_configENS1_27scan_by_key_config_selectorIiyEEZZNS1_16scan_by_key_implILNS1_25lookback_scan_determinismE0ELb1ES3_N6thrust23THRUST_200600_302600_NS6detail15normal_iteratorINS9_10device_ptrIiEEEENSB_INSC_IyEEEESG_yNS9_4plusIvEENS9_8equal_toIvEEyEE10hipError_tPvRmT2_T3_T4_T5_mT6_T7_P12ihipStream_tbENKUlT_T0_E_clISt17integral_constantIbLb0EES11_EEDaSW_SX_EUlSW_E_NS1_11comp_targetILNS1_3genE2ELNS1_11target_archE906ELNS1_3gpuE6ELNS1_3repE0EEENS1_30default_config_static_selectorELNS0_4arch9wavefront6targetE1EEEvT1_
	.p2align	8
	.type	_ZN7rocprim17ROCPRIM_400000_NS6detail17trampoline_kernelINS0_14default_configENS1_27scan_by_key_config_selectorIiyEEZZNS1_16scan_by_key_implILNS1_25lookback_scan_determinismE0ELb1ES3_N6thrust23THRUST_200600_302600_NS6detail15normal_iteratorINS9_10device_ptrIiEEEENSB_INSC_IyEEEESG_yNS9_4plusIvEENS9_8equal_toIvEEyEE10hipError_tPvRmT2_T3_T4_T5_mT6_T7_P12ihipStream_tbENKUlT_T0_E_clISt17integral_constantIbLb0EES11_EEDaSW_SX_EUlSW_E_NS1_11comp_targetILNS1_3genE2ELNS1_11target_archE906ELNS1_3gpuE6ELNS1_3repE0EEENS1_30default_config_static_selectorELNS0_4arch9wavefront6targetE1EEEvT1_,@function
_ZN7rocprim17ROCPRIM_400000_NS6detail17trampoline_kernelINS0_14default_configENS1_27scan_by_key_config_selectorIiyEEZZNS1_16scan_by_key_implILNS1_25lookback_scan_determinismE0ELb1ES3_N6thrust23THRUST_200600_302600_NS6detail15normal_iteratorINS9_10device_ptrIiEEEENSB_INSC_IyEEEESG_yNS9_4plusIvEENS9_8equal_toIvEEyEE10hipError_tPvRmT2_T3_T4_T5_mT6_T7_P12ihipStream_tbENKUlT_T0_E_clISt17integral_constantIbLb0EES11_EEDaSW_SX_EUlSW_E_NS1_11comp_targetILNS1_3genE2ELNS1_11target_archE906ELNS1_3gpuE6ELNS1_3repE0EEENS1_30default_config_static_selectorELNS0_4arch9wavefront6targetE1EEEvT1_: ; @_ZN7rocprim17ROCPRIM_400000_NS6detail17trampoline_kernelINS0_14default_configENS1_27scan_by_key_config_selectorIiyEEZZNS1_16scan_by_key_implILNS1_25lookback_scan_determinismE0ELb1ES3_N6thrust23THRUST_200600_302600_NS6detail15normal_iteratorINS9_10device_ptrIiEEEENSB_INSC_IyEEEESG_yNS9_4plusIvEENS9_8equal_toIvEEyEE10hipError_tPvRmT2_T3_T4_T5_mT6_T7_P12ihipStream_tbENKUlT_T0_E_clISt17integral_constantIbLb0EES11_EEDaSW_SX_EUlSW_E_NS1_11comp_targetILNS1_3genE2ELNS1_11target_archE906ELNS1_3gpuE6ELNS1_3repE0EEENS1_30default_config_static_selectorELNS0_4arch9wavefront6targetE1EEEvT1_
; %bb.0:
	.section	.rodata,"a",@progbits
	.p2align	6, 0x0
	.amdhsa_kernel _ZN7rocprim17ROCPRIM_400000_NS6detail17trampoline_kernelINS0_14default_configENS1_27scan_by_key_config_selectorIiyEEZZNS1_16scan_by_key_implILNS1_25lookback_scan_determinismE0ELb1ES3_N6thrust23THRUST_200600_302600_NS6detail15normal_iteratorINS9_10device_ptrIiEEEENSB_INSC_IyEEEESG_yNS9_4plusIvEENS9_8equal_toIvEEyEE10hipError_tPvRmT2_T3_T4_T5_mT6_T7_P12ihipStream_tbENKUlT_T0_E_clISt17integral_constantIbLb0EES11_EEDaSW_SX_EUlSW_E_NS1_11comp_targetILNS1_3genE2ELNS1_11target_archE906ELNS1_3gpuE6ELNS1_3repE0EEENS1_30default_config_static_selectorELNS0_4arch9wavefront6targetE1EEEvT1_
		.amdhsa_group_segment_fixed_size 0
		.amdhsa_private_segment_fixed_size 0
		.amdhsa_kernarg_size 136
		.amdhsa_user_sgpr_count 2
		.amdhsa_user_sgpr_dispatch_ptr 0
		.amdhsa_user_sgpr_queue_ptr 0
		.amdhsa_user_sgpr_kernarg_segment_ptr 1
		.amdhsa_user_sgpr_dispatch_id 0
		.amdhsa_user_sgpr_kernarg_preload_length 0
		.amdhsa_user_sgpr_kernarg_preload_offset 0
		.amdhsa_user_sgpr_private_segment_size 0
		.amdhsa_uses_dynamic_stack 0
		.amdhsa_enable_private_segment 0
		.amdhsa_system_sgpr_workgroup_id_x 1
		.amdhsa_system_sgpr_workgroup_id_y 0
		.amdhsa_system_sgpr_workgroup_id_z 0
		.amdhsa_system_sgpr_workgroup_info 0
		.amdhsa_system_vgpr_workitem_id 0
		.amdhsa_next_free_vgpr 1
		.amdhsa_next_free_sgpr 0
		.amdhsa_accum_offset 4
		.amdhsa_reserve_vcc 0
		.amdhsa_float_round_mode_32 0
		.amdhsa_float_round_mode_16_64 0
		.amdhsa_float_denorm_mode_32 3
		.amdhsa_float_denorm_mode_16_64 3
		.amdhsa_dx10_clamp 1
		.amdhsa_ieee_mode 1
		.amdhsa_fp16_overflow 0
		.amdhsa_tg_split 0
		.amdhsa_exception_fp_ieee_invalid_op 0
		.amdhsa_exception_fp_denorm_src 0
		.amdhsa_exception_fp_ieee_div_zero 0
		.amdhsa_exception_fp_ieee_overflow 0
		.amdhsa_exception_fp_ieee_underflow 0
		.amdhsa_exception_fp_ieee_inexact 0
		.amdhsa_exception_int_div_zero 0
	.end_amdhsa_kernel
	.section	.text._ZN7rocprim17ROCPRIM_400000_NS6detail17trampoline_kernelINS0_14default_configENS1_27scan_by_key_config_selectorIiyEEZZNS1_16scan_by_key_implILNS1_25lookback_scan_determinismE0ELb1ES3_N6thrust23THRUST_200600_302600_NS6detail15normal_iteratorINS9_10device_ptrIiEEEENSB_INSC_IyEEEESG_yNS9_4plusIvEENS9_8equal_toIvEEyEE10hipError_tPvRmT2_T3_T4_T5_mT6_T7_P12ihipStream_tbENKUlT_T0_E_clISt17integral_constantIbLb0EES11_EEDaSW_SX_EUlSW_E_NS1_11comp_targetILNS1_3genE2ELNS1_11target_archE906ELNS1_3gpuE6ELNS1_3repE0EEENS1_30default_config_static_selectorELNS0_4arch9wavefront6targetE1EEEvT1_,"axG",@progbits,_ZN7rocprim17ROCPRIM_400000_NS6detail17trampoline_kernelINS0_14default_configENS1_27scan_by_key_config_selectorIiyEEZZNS1_16scan_by_key_implILNS1_25lookback_scan_determinismE0ELb1ES3_N6thrust23THRUST_200600_302600_NS6detail15normal_iteratorINS9_10device_ptrIiEEEENSB_INSC_IyEEEESG_yNS9_4plusIvEENS9_8equal_toIvEEyEE10hipError_tPvRmT2_T3_T4_T5_mT6_T7_P12ihipStream_tbENKUlT_T0_E_clISt17integral_constantIbLb0EES11_EEDaSW_SX_EUlSW_E_NS1_11comp_targetILNS1_3genE2ELNS1_11target_archE906ELNS1_3gpuE6ELNS1_3repE0EEENS1_30default_config_static_selectorELNS0_4arch9wavefront6targetE1EEEvT1_,comdat
.Lfunc_end1468:
	.size	_ZN7rocprim17ROCPRIM_400000_NS6detail17trampoline_kernelINS0_14default_configENS1_27scan_by_key_config_selectorIiyEEZZNS1_16scan_by_key_implILNS1_25lookback_scan_determinismE0ELb1ES3_N6thrust23THRUST_200600_302600_NS6detail15normal_iteratorINS9_10device_ptrIiEEEENSB_INSC_IyEEEESG_yNS9_4plusIvEENS9_8equal_toIvEEyEE10hipError_tPvRmT2_T3_T4_T5_mT6_T7_P12ihipStream_tbENKUlT_T0_E_clISt17integral_constantIbLb0EES11_EEDaSW_SX_EUlSW_E_NS1_11comp_targetILNS1_3genE2ELNS1_11target_archE906ELNS1_3gpuE6ELNS1_3repE0EEENS1_30default_config_static_selectorELNS0_4arch9wavefront6targetE1EEEvT1_, .Lfunc_end1468-_ZN7rocprim17ROCPRIM_400000_NS6detail17trampoline_kernelINS0_14default_configENS1_27scan_by_key_config_selectorIiyEEZZNS1_16scan_by_key_implILNS1_25lookback_scan_determinismE0ELb1ES3_N6thrust23THRUST_200600_302600_NS6detail15normal_iteratorINS9_10device_ptrIiEEEENSB_INSC_IyEEEESG_yNS9_4plusIvEENS9_8equal_toIvEEyEE10hipError_tPvRmT2_T3_T4_T5_mT6_T7_P12ihipStream_tbENKUlT_T0_E_clISt17integral_constantIbLb0EES11_EEDaSW_SX_EUlSW_E_NS1_11comp_targetILNS1_3genE2ELNS1_11target_archE906ELNS1_3gpuE6ELNS1_3repE0EEENS1_30default_config_static_selectorELNS0_4arch9wavefront6targetE1EEEvT1_
                                        ; -- End function
	.section	.AMDGPU.csdata,"",@progbits
; Kernel info:
; codeLenInByte = 0
; NumSgprs: 6
; NumVgprs: 0
; NumAgprs: 0
; TotalNumVgprs: 0
; ScratchSize: 0
; MemoryBound: 0
; FloatMode: 240
; IeeeMode: 1
; LDSByteSize: 0 bytes/workgroup (compile time only)
; SGPRBlocks: 0
; VGPRBlocks: 0
; NumSGPRsForWavesPerEU: 6
; NumVGPRsForWavesPerEU: 1
; AccumOffset: 4
; Occupancy: 8
; WaveLimiterHint : 0
; COMPUTE_PGM_RSRC2:SCRATCH_EN: 0
; COMPUTE_PGM_RSRC2:USER_SGPR: 2
; COMPUTE_PGM_RSRC2:TRAP_HANDLER: 0
; COMPUTE_PGM_RSRC2:TGID_X_EN: 1
; COMPUTE_PGM_RSRC2:TGID_Y_EN: 0
; COMPUTE_PGM_RSRC2:TGID_Z_EN: 0
; COMPUTE_PGM_RSRC2:TIDIG_COMP_CNT: 0
; COMPUTE_PGM_RSRC3_GFX90A:ACCUM_OFFSET: 0
; COMPUTE_PGM_RSRC3_GFX90A:TG_SPLIT: 0
	.section	.text._ZN7rocprim17ROCPRIM_400000_NS6detail17trampoline_kernelINS0_14default_configENS1_27scan_by_key_config_selectorIiyEEZZNS1_16scan_by_key_implILNS1_25lookback_scan_determinismE0ELb1ES3_N6thrust23THRUST_200600_302600_NS6detail15normal_iteratorINS9_10device_ptrIiEEEENSB_INSC_IyEEEESG_yNS9_4plusIvEENS9_8equal_toIvEEyEE10hipError_tPvRmT2_T3_T4_T5_mT6_T7_P12ihipStream_tbENKUlT_T0_E_clISt17integral_constantIbLb0EES11_EEDaSW_SX_EUlSW_E_NS1_11comp_targetILNS1_3genE10ELNS1_11target_archE1200ELNS1_3gpuE4ELNS1_3repE0EEENS1_30default_config_static_selectorELNS0_4arch9wavefront6targetE1EEEvT1_,"axG",@progbits,_ZN7rocprim17ROCPRIM_400000_NS6detail17trampoline_kernelINS0_14default_configENS1_27scan_by_key_config_selectorIiyEEZZNS1_16scan_by_key_implILNS1_25lookback_scan_determinismE0ELb1ES3_N6thrust23THRUST_200600_302600_NS6detail15normal_iteratorINS9_10device_ptrIiEEEENSB_INSC_IyEEEESG_yNS9_4plusIvEENS9_8equal_toIvEEyEE10hipError_tPvRmT2_T3_T4_T5_mT6_T7_P12ihipStream_tbENKUlT_T0_E_clISt17integral_constantIbLb0EES11_EEDaSW_SX_EUlSW_E_NS1_11comp_targetILNS1_3genE10ELNS1_11target_archE1200ELNS1_3gpuE4ELNS1_3repE0EEENS1_30default_config_static_selectorELNS0_4arch9wavefront6targetE1EEEvT1_,comdat
	.protected	_ZN7rocprim17ROCPRIM_400000_NS6detail17trampoline_kernelINS0_14default_configENS1_27scan_by_key_config_selectorIiyEEZZNS1_16scan_by_key_implILNS1_25lookback_scan_determinismE0ELb1ES3_N6thrust23THRUST_200600_302600_NS6detail15normal_iteratorINS9_10device_ptrIiEEEENSB_INSC_IyEEEESG_yNS9_4plusIvEENS9_8equal_toIvEEyEE10hipError_tPvRmT2_T3_T4_T5_mT6_T7_P12ihipStream_tbENKUlT_T0_E_clISt17integral_constantIbLb0EES11_EEDaSW_SX_EUlSW_E_NS1_11comp_targetILNS1_3genE10ELNS1_11target_archE1200ELNS1_3gpuE4ELNS1_3repE0EEENS1_30default_config_static_selectorELNS0_4arch9wavefront6targetE1EEEvT1_ ; -- Begin function _ZN7rocprim17ROCPRIM_400000_NS6detail17trampoline_kernelINS0_14default_configENS1_27scan_by_key_config_selectorIiyEEZZNS1_16scan_by_key_implILNS1_25lookback_scan_determinismE0ELb1ES3_N6thrust23THRUST_200600_302600_NS6detail15normal_iteratorINS9_10device_ptrIiEEEENSB_INSC_IyEEEESG_yNS9_4plusIvEENS9_8equal_toIvEEyEE10hipError_tPvRmT2_T3_T4_T5_mT6_T7_P12ihipStream_tbENKUlT_T0_E_clISt17integral_constantIbLb0EES11_EEDaSW_SX_EUlSW_E_NS1_11comp_targetILNS1_3genE10ELNS1_11target_archE1200ELNS1_3gpuE4ELNS1_3repE0EEENS1_30default_config_static_selectorELNS0_4arch9wavefront6targetE1EEEvT1_
	.globl	_ZN7rocprim17ROCPRIM_400000_NS6detail17trampoline_kernelINS0_14default_configENS1_27scan_by_key_config_selectorIiyEEZZNS1_16scan_by_key_implILNS1_25lookback_scan_determinismE0ELb1ES3_N6thrust23THRUST_200600_302600_NS6detail15normal_iteratorINS9_10device_ptrIiEEEENSB_INSC_IyEEEESG_yNS9_4plusIvEENS9_8equal_toIvEEyEE10hipError_tPvRmT2_T3_T4_T5_mT6_T7_P12ihipStream_tbENKUlT_T0_E_clISt17integral_constantIbLb0EES11_EEDaSW_SX_EUlSW_E_NS1_11comp_targetILNS1_3genE10ELNS1_11target_archE1200ELNS1_3gpuE4ELNS1_3repE0EEENS1_30default_config_static_selectorELNS0_4arch9wavefront6targetE1EEEvT1_
	.p2align	8
	.type	_ZN7rocprim17ROCPRIM_400000_NS6detail17trampoline_kernelINS0_14default_configENS1_27scan_by_key_config_selectorIiyEEZZNS1_16scan_by_key_implILNS1_25lookback_scan_determinismE0ELb1ES3_N6thrust23THRUST_200600_302600_NS6detail15normal_iteratorINS9_10device_ptrIiEEEENSB_INSC_IyEEEESG_yNS9_4plusIvEENS9_8equal_toIvEEyEE10hipError_tPvRmT2_T3_T4_T5_mT6_T7_P12ihipStream_tbENKUlT_T0_E_clISt17integral_constantIbLb0EES11_EEDaSW_SX_EUlSW_E_NS1_11comp_targetILNS1_3genE10ELNS1_11target_archE1200ELNS1_3gpuE4ELNS1_3repE0EEENS1_30default_config_static_selectorELNS0_4arch9wavefront6targetE1EEEvT1_,@function
_ZN7rocprim17ROCPRIM_400000_NS6detail17trampoline_kernelINS0_14default_configENS1_27scan_by_key_config_selectorIiyEEZZNS1_16scan_by_key_implILNS1_25lookback_scan_determinismE0ELb1ES3_N6thrust23THRUST_200600_302600_NS6detail15normal_iteratorINS9_10device_ptrIiEEEENSB_INSC_IyEEEESG_yNS9_4plusIvEENS9_8equal_toIvEEyEE10hipError_tPvRmT2_T3_T4_T5_mT6_T7_P12ihipStream_tbENKUlT_T0_E_clISt17integral_constantIbLb0EES11_EEDaSW_SX_EUlSW_E_NS1_11comp_targetILNS1_3genE10ELNS1_11target_archE1200ELNS1_3gpuE4ELNS1_3repE0EEENS1_30default_config_static_selectorELNS0_4arch9wavefront6targetE1EEEvT1_: ; @_ZN7rocprim17ROCPRIM_400000_NS6detail17trampoline_kernelINS0_14default_configENS1_27scan_by_key_config_selectorIiyEEZZNS1_16scan_by_key_implILNS1_25lookback_scan_determinismE0ELb1ES3_N6thrust23THRUST_200600_302600_NS6detail15normal_iteratorINS9_10device_ptrIiEEEENSB_INSC_IyEEEESG_yNS9_4plusIvEENS9_8equal_toIvEEyEE10hipError_tPvRmT2_T3_T4_T5_mT6_T7_P12ihipStream_tbENKUlT_T0_E_clISt17integral_constantIbLb0EES11_EEDaSW_SX_EUlSW_E_NS1_11comp_targetILNS1_3genE10ELNS1_11target_archE1200ELNS1_3gpuE4ELNS1_3repE0EEENS1_30default_config_static_selectorELNS0_4arch9wavefront6targetE1EEEvT1_
; %bb.0:
	.section	.rodata,"a",@progbits
	.p2align	6, 0x0
	.amdhsa_kernel _ZN7rocprim17ROCPRIM_400000_NS6detail17trampoline_kernelINS0_14default_configENS1_27scan_by_key_config_selectorIiyEEZZNS1_16scan_by_key_implILNS1_25lookback_scan_determinismE0ELb1ES3_N6thrust23THRUST_200600_302600_NS6detail15normal_iteratorINS9_10device_ptrIiEEEENSB_INSC_IyEEEESG_yNS9_4plusIvEENS9_8equal_toIvEEyEE10hipError_tPvRmT2_T3_T4_T5_mT6_T7_P12ihipStream_tbENKUlT_T0_E_clISt17integral_constantIbLb0EES11_EEDaSW_SX_EUlSW_E_NS1_11comp_targetILNS1_3genE10ELNS1_11target_archE1200ELNS1_3gpuE4ELNS1_3repE0EEENS1_30default_config_static_selectorELNS0_4arch9wavefront6targetE1EEEvT1_
		.amdhsa_group_segment_fixed_size 0
		.amdhsa_private_segment_fixed_size 0
		.amdhsa_kernarg_size 136
		.amdhsa_user_sgpr_count 2
		.amdhsa_user_sgpr_dispatch_ptr 0
		.amdhsa_user_sgpr_queue_ptr 0
		.amdhsa_user_sgpr_kernarg_segment_ptr 1
		.amdhsa_user_sgpr_dispatch_id 0
		.amdhsa_user_sgpr_kernarg_preload_length 0
		.amdhsa_user_sgpr_kernarg_preload_offset 0
		.amdhsa_user_sgpr_private_segment_size 0
		.amdhsa_uses_dynamic_stack 0
		.amdhsa_enable_private_segment 0
		.amdhsa_system_sgpr_workgroup_id_x 1
		.amdhsa_system_sgpr_workgroup_id_y 0
		.amdhsa_system_sgpr_workgroup_id_z 0
		.amdhsa_system_sgpr_workgroup_info 0
		.amdhsa_system_vgpr_workitem_id 0
		.amdhsa_next_free_vgpr 1
		.amdhsa_next_free_sgpr 0
		.amdhsa_accum_offset 4
		.amdhsa_reserve_vcc 0
		.amdhsa_float_round_mode_32 0
		.amdhsa_float_round_mode_16_64 0
		.amdhsa_float_denorm_mode_32 3
		.amdhsa_float_denorm_mode_16_64 3
		.amdhsa_dx10_clamp 1
		.amdhsa_ieee_mode 1
		.amdhsa_fp16_overflow 0
		.amdhsa_tg_split 0
		.amdhsa_exception_fp_ieee_invalid_op 0
		.amdhsa_exception_fp_denorm_src 0
		.amdhsa_exception_fp_ieee_div_zero 0
		.amdhsa_exception_fp_ieee_overflow 0
		.amdhsa_exception_fp_ieee_underflow 0
		.amdhsa_exception_fp_ieee_inexact 0
		.amdhsa_exception_int_div_zero 0
	.end_amdhsa_kernel
	.section	.text._ZN7rocprim17ROCPRIM_400000_NS6detail17trampoline_kernelINS0_14default_configENS1_27scan_by_key_config_selectorIiyEEZZNS1_16scan_by_key_implILNS1_25lookback_scan_determinismE0ELb1ES3_N6thrust23THRUST_200600_302600_NS6detail15normal_iteratorINS9_10device_ptrIiEEEENSB_INSC_IyEEEESG_yNS9_4plusIvEENS9_8equal_toIvEEyEE10hipError_tPvRmT2_T3_T4_T5_mT6_T7_P12ihipStream_tbENKUlT_T0_E_clISt17integral_constantIbLb0EES11_EEDaSW_SX_EUlSW_E_NS1_11comp_targetILNS1_3genE10ELNS1_11target_archE1200ELNS1_3gpuE4ELNS1_3repE0EEENS1_30default_config_static_selectorELNS0_4arch9wavefront6targetE1EEEvT1_,"axG",@progbits,_ZN7rocprim17ROCPRIM_400000_NS6detail17trampoline_kernelINS0_14default_configENS1_27scan_by_key_config_selectorIiyEEZZNS1_16scan_by_key_implILNS1_25lookback_scan_determinismE0ELb1ES3_N6thrust23THRUST_200600_302600_NS6detail15normal_iteratorINS9_10device_ptrIiEEEENSB_INSC_IyEEEESG_yNS9_4plusIvEENS9_8equal_toIvEEyEE10hipError_tPvRmT2_T3_T4_T5_mT6_T7_P12ihipStream_tbENKUlT_T0_E_clISt17integral_constantIbLb0EES11_EEDaSW_SX_EUlSW_E_NS1_11comp_targetILNS1_3genE10ELNS1_11target_archE1200ELNS1_3gpuE4ELNS1_3repE0EEENS1_30default_config_static_selectorELNS0_4arch9wavefront6targetE1EEEvT1_,comdat
.Lfunc_end1469:
	.size	_ZN7rocprim17ROCPRIM_400000_NS6detail17trampoline_kernelINS0_14default_configENS1_27scan_by_key_config_selectorIiyEEZZNS1_16scan_by_key_implILNS1_25lookback_scan_determinismE0ELb1ES3_N6thrust23THRUST_200600_302600_NS6detail15normal_iteratorINS9_10device_ptrIiEEEENSB_INSC_IyEEEESG_yNS9_4plusIvEENS9_8equal_toIvEEyEE10hipError_tPvRmT2_T3_T4_T5_mT6_T7_P12ihipStream_tbENKUlT_T0_E_clISt17integral_constantIbLb0EES11_EEDaSW_SX_EUlSW_E_NS1_11comp_targetILNS1_3genE10ELNS1_11target_archE1200ELNS1_3gpuE4ELNS1_3repE0EEENS1_30default_config_static_selectorELNS0_4arch9wavefront6targetE1EEEvT1_, .Lfunc_end1469-_ZN7rocprim17ROCPRIM_400000_NS6detail17trampoline_kernelINS0_14default_configENS1_27scan_by_key_config_selectorIiyEEZZNS1_16scan_by_key_implILNS1_25lookback_scan_determinismE0ELb1ES3_N6thrust23THRUST_200600_302600_NS6detail15normal_iteratorINS9_10device_ptrIiEEEENSB_INSC_IyEEEESG_yNS9_4plusIvEENS9_8equal_toIvEEyEE10hipError_tPvRmT2_T3_T4_T5_mT6_T7_P12ihipStream_tbENKUlT_T0_E_clISt17integral_constantIbLb0EES11_EEDaSW_SX_EUlSW_E_NS1_11comp_targetILNS1_3genE10ELNS1_11target_archE1200ELNS1_3gpuE4ELNS1_3repE0EEENS1_30default_config_static_selectorELNS0_4arch9wavefront6targetE1EEEvT1_
                                        ; -- End function
	.section	.AMDGPU.csdata,"",@progbits
; Kernel info:
; codeLenInByte = 0
; NumSgprs: 6
; NumVgprs: 0
; NumAgprs: 0
; TotalNumVgprs: 0
; ScratchSize: 0
; MemoryBound: 0
; FloatMode: 240
; IeeeMode: 1
; LDSByteSize: 0 bytes/workgroup (compile time only)
; SGPRBlocks: 0
; VGPRBlocks: 0
; NumSGPRsForWavesPerEU: 6
; NumVGPRsForWavesPerEU: 1
; AccumOffset: 4
; Occupancy: 8
; WaveLimiterHint : 0
; COMPUTE_PGM_RSRC2:SCRATCH_EN: 0
; COMPUTE_PGM_RSRC2:USER_SGPR: 2
; COMPUTE_PGM_RSRC2:TRAP_HANDLER: 0
; COMPUTE_PGM_RSRC2:TGID_X_EN: 1
; COMPUTE_PGM_RSRC2:TGID_Y_EN: 0
; COMPUTE_PGM_RSRC2:TGID_Z_EN: 0
; COMPUTE_PGM_RSRC2:TIDIG_COMP_CNT: 0
; COMPUTE_PGM_RSRC3_GFX90A:ACCUM_OFFSET: 0
; COMPUTE_PGM_RSRC3_GFX90A:TG_SPLIT: 0
	.section	.text._ZN7rocprim17ROCPRIM_400000_NS6detail17trampoline_kernelINS0_14default_configENS1_27scan_by_key_config_selectorIiyEEZZNS1_16scan_by_key_implILNS1_25lookback_scan_determinismE0ELb1ES3_N6thrust23THRUST_200600_302600_NS6detail15normal_iteratorINS9_10device_ptrIiEEEENSB_INSC_IyEEEESG_yNS9_4plusIvEENS9_8equal_toIvEEyEE10hipError_tPvRmT2_T3_T4_T5_mT6_T7_P12ihipStream_tbENKUlT_T0_E_clISt17integral_constantIbLb0EES11_EEDaSW_SX_EUlSW_E_NS1_11comp_targetILNS1_3genE9ELNS1_11target_archE1100ELNS1_3gpuE3ELNS1_3repE0EEENS1_30default_config_static_selectorELNS0_4arch9wavefront6targetE1EEEvT1_,"axG",@progbits,_ZN7rocprim17ROCPRIM_400000_NS6detail17trampoline_kernelINS0_14default_configENS1_27scan_by_key_config_selectorIiyEEZZNS1_16scan_by_key_implILNS1_25lookback_scan_determinismE0ELb1ES3_N6thrust23THRUST_200600_302600_NS6detail15normal_iteratorINS9_10device_ptrIiEEEENSB_INSC_IyEEEESG_yNS9_4plusIvEENS9_8equal_toIvEEyEE10hipError_tPvRmT2_T3_T4_T5_mT6_T7_P12ihipStream_tbENKUlT_T0_E_clISt17integral_constantIbLb0EES11_EEDaSW_SX_EUlSW_E_NS1_11comp_targetILNS1_3genE9ELNS1_11target_archE1100ELNS1_3gpuE3ELNS1_3repE0EEENS1_30default_config_static_selectorELNS0_4arch9wavefront6targetE1EEEvT1_,comdat
	.protected	_ZN7rocprim17ROCPRIM_400000_NS6detail17trampoline_kernelINS0_14default_configENS1_27scan_by_key_config_selectorIiyEEZZNS1_16scan_by_key_implILNS1_25lookback_scan_determinismE0ELb1ES3_N6thrust23THRUST_200600_302600_NS6detail15normal_iteratorINS9_10device_ptrIiEEEENSB_INSC_IyEEEESG_yNS9_4plusIvEENS9_8equal_toIvEEyEE10hipError_tPvRmT2_T3_T4_T5_mT6_T7_P12ihipStream_tbENKUlT_T0_E_clISt17integral_constantIbLb0EES11_EEDaSW_SX_EUlSW_E_NS1_11comp_targetILNS1_3genE9ELNS1_11target_archE1100ELNS1_3gpuE3ELNS1_3repE0EEENS1_30default_config_static_selectorELNS0_4arch9wavefront6targetE1EEEvT1_ ; -- Begin function _ZN7rocprim17ROCPRIM_400000_NS6detail17trampoline_kernelINS0_14default_configENS1_27scan_by_key_config_selectorIiyEEZZNS1_16scan_by_key_implILNS1_25lookback_scan_determinismE0ELb1ES3_N6thrust23THRUST_200600_302600_NS6detail15normal_iteratorINS9_10device_ptrIiEEEENSB_INSC_IyEEEESG_yNS9_4plusIvEENS9_8equal_toIvEEyEE10hipError_tPvRmT2_T3_T4_T5_mT6_T7_P12ihipStream_tbENKUlT_T0_E_clISt17integral_constantIbLb0EES11_EEDaSW_SX_EUlSW_E_NS1_11comp_targetILNS1_3genE9ELNS1_11target_archE1100ELNS1_3gpuE3ELNS1_3repE0EEENS1_30default_config_static_selectorELNS0_4arch9wavefront6targetE1EEEvT1_
	.globl	_ZN7rocprim17ROCPRIM_400000_NS6detail17trampoline_kernelINS0_14default_configENS1_27scan_by_key_config_selectorIiyEEZZNS1_16scan_by_key_implILNS1_25lookback_scan_determinismE0ELb1ES3_N6thrust23THRUST_200600_302600_NS6detail15normal_iteratorINS9_10device_ptrIiEEEENSB_INSC_IyEEEESG_yNS9_4plusIvEENS9_8equal_toIvEEyEE10hipError_tPvRmT2_T3_T4_T5_mT6_T7_P12ihipStream_tbENKUlT_T0_E_clISt17integral_constantIbLb0EES11_EEDaSW_SX_EUlSW_E_NS1_11comp_targetILNS1_3genE9ELNS1_11target_archE1100ELNS1_3gpuE3ELNS1_3repE0EEENS1_30default_config_static_selectorELNS0_4arch9wavefront6targetE1EEEvT1_
	.p2align	8
	.type	_ZN7rocprim17ROCPRIM_400000_NS6detail17trampoline_kernelINS0_14default_configENS1_27scan_by_key_config_selectorIiyEEZZNS1_16scan_by_key_implILNS1_25lookback_scan_determinismE0ELb1ES3_N6thrust23THRUST_200600_302600_NS6detail15normal_iteratorINS9_10device_ptrIiEEEENSB_INSC_IyEEEESG_yNS9_4plusIvEENS9_8equal_toIvEEyEE10hipError_tPvRmT2_T3_T4_T5_mT6_T7_P12ihipStream_tbENKUlT_T0_E_clISt17integral_constantIbLb0EES11_EEDaSW_SX_EUlSW_E_NS1_11comp_targetILNS1_3genE9ELNS1_11target_archE1100ELNS1_3gpuE3ELNS1_3repE0EEENS1_30default_config_static_selectorELNS0_4arch9wavefront6targetE1EEEvT1_,@function
_ZN7rocprim17ROCPRIM_400000_NS6detail17trampoline_kernelINS0_14default_configENS1_27scan_by_key_config_selectorIiyEEZZNS1_16scan_by_key_implILNS1_25lookback_scan_determinismE0ELb1ES3_N6thrust23THRUST_200600_302600_NS6detail15normal_iteratorINS9_10device_ptrIiEEEENSB_INSC_IyEEEESG_yNS9_4plusIvEENS9_8equal_toIvEEyEE10hipError_tPvRmT2_T3_T4_T5_mT6_T7_P12ihipStream_tbENKUlT_T0_E_clISt17integral_constantIbLb0EES11_EEDaSW_SX_EUlSW_E_NS1_11comp_targetILNS1_3genE9ELNS1_11target_archE1100ELNS1_3gpuE3ELNS1_3repE0EEENS1_30default_config_static_selectorELNS0_4arch9wavefront6targetE1EEEvT1_: ; @_ZN7rocprim17ROCPRIM_400000_NS6detail17trampoline_kernelINS0_14default_configENS1_27scan_by_key_config_selectorIiyEEZZNS1_16scan_by_key_implILNS1_25lookback_scan_determinismE0ELb1ES3_N6thrust23THRUST_200600_302600_NS6detail15normal_iteratorINS9_10device_ptrIiEEEENSB_INSC_IyEEEESG_yNS9_4plusIvEENS9_8equal_toIvEEyEE10hipError_tPvRmT2_T3_T4_T5_mT6_T7_P12ihipStream_tbENKUlT_T0_E_clISt17integral_constantIbLb0EES11_EEDaSW_SX_EUlSW_E_NS1_11comp_targetILNS1_3genE9ELNS1_11target_archE1100ELNS1_3gpuE3ELNS1_3repE0EEENS1_30default_config_static_selectorELNS0_4arch9wavefront6targetE1EEEvT1_
; %bb.0:
	.section	.rodata,"a",@progbits
	.p2align	6, 0x0
	.amdhsa_kernel _ZN7rocprim17ROCPRIM_400000_NS6detail17trampoline_kernelINS0_14default_configENS1_27scan_by_key_config_selectorIiyEEZZNS1_16scan_by_key_implILNS1_25lookback_scan_determinismE0ELb1ES3_N6thrust23THRUST_200600_302600_NS6detail15normal_iteratorINS9_10device_ptrIiEEEENSB_INSC_IyEEEESG_yNS9_4plusIvEENS9_8equal_toIvEEyEE10hipError_tPvRmT2_T3_T4_T5_mT6_T7_P12ihipStream_tbENKUlT_T0_E_clISt17integral_constantIbLb0EES11_EEDaSW_SX_EUlSW_E_NS1_11comp_targetILNS1_3genE9ELNS1_11target_archE1100ELNS1_3gpuE3ELNS1_3repE0EEENS1_30default_config_static_selectorELNS0_4arch9wavefront6targetE1EEEvT1_
		.amdhsa_group_segment_fixed_size 0
		.amdhsa_private_segment_fixed_size 0
		.amdhsa_kernarg_size 136
		.amdhsa_user_sgpr_count 2
		.amdhsa_user_sgpr_dispatch_ptr 0
		.amdhsa_user_sgpr_queue_ptr 0
		.amdhsa_user_sgpr_kernarg_segment_ptr 1
		.amdhsa_user_sgpr_dispatch_id 0
		.amdhsa_user_sgpr_kernarg_preload_length 0
		.amdhsa_user_sgpr_kernarg_preload_offset 0
		.amdhsa_user_sgpr_private_segment_size 0
		.amdhsa_uses_dynamic_stack 0
		.amdhsa_enable_private_segment 0
		.amdhsa_system_sgpr_workgroup_id_x 1
		.amdhsa_system_sgpr_workgroup_id_y 0
		.amdhsa_system_sgpr_workgroup_id_z 0
		.amdhsa_system_sgpr_workgroup_info 0
		.amdhsa_system_vgpr_workitem_id 0
		.amdhsa_next_free_vgpr 1
		.amdhsa_next_free_sgpr 0
		.amdhsa_accum_offset 4
		.amdhsa_reserve_vcc 0
		.amdhsa_float_round_mode_32 0
		.amdhsa_float_round_mode_16_64 0
		.amdhsa_float_denorm_mode_32 3
		.amdhsa_float_denorm_mode_16_64 3
		.amdhsa_dx10_clamp 1
		.amdhsa_ieee_mode 1
		.amdhsa_fp16_overflow 0
		.amdhsa_tg_split 0
		.amdhsa_exception_fp_ieee_invalid_op 0
		.amdhsa_exception_fp_denorm_src 0
		.amdhsa_exception_fp_ieee_div_zero 0
		.amdhsa_exception_fp_ieee_overflow 0
		.amdhsa_exception_fp_ieee_underflow 0
		.amdhsa_exception_fp_ieee_inexact 0
		.amdhsa_exception_int_div_zero 0
	.end_amdhsa_kernel
	.section	.text._ZN7rocprim17ROCPRIM_400000_NS6detail17trampoline_kernelINS0_14default_configENS1_27scan_by_key_config_selectorIiyEEZZNS1_16scan_by_key_implILNS1_25lookback_scan_determinismE0ELb1ES3_N6thrust23THRUST_200600_302600_NS6detail15normal_iteratorINS9_10device_ptrIiEEEENSB_INSC_IyEEEESG_yNS9_4plusIvEENS9_8equal_toIvEEyEE10hipError_tPvRmT2_T3_T4_T5_mT6_T7_P12ihipStream_tbENKUlT_T0_E_clISt17integral_constantIbLb0EES11_EEDaSW_SX_EUlSW_E_NS1_11comp_targetILNS1_3genE9ELNS1_11target_archE1100ELNS1_3gpuE3ELNS1_3repE0EEENS1_30default_config_static_selectorELNS0_4arch9wavefront6targetE1EEEvT1_,"axG",@progbits,_ZN7rocprim17ROCPRIM_400000_NS6detail17trampoline_kernelINS0_14default_configENS1_27scan_by_key_config_selectorIiyEEZZNS1_16scan_by_key_implILNS1_25lookback_scan_determinismE0ELb1ES3_N6thrust23THRUST_200600_302600_NS6detail15normal_iteratorINS9_10device_ptrIiEEEENSB_INSC_IyEEEESG_yNS9_4plusIvEENS9_8equal_toIvEEyEE10hipError_tPvRmT2_T3_T4_T5_mT6_T7_P12ihipStream_tbENKUlT_T0_E_clISt17integral_constantIbLb0EES11_EEDaSW_SX_EUlSW_E_NS1_11comp_targetILNS1_3genE9ELNS1_11target_archE1100ELNS1_3gpuE3ELNS1_3repE0EEENS1_30default_config_static_selectorELNS0_4arch9wavefront6targetE1EEEvT1_,comdat
.Lfunc_end1470:
	.size	_ZN7rocprim17ROCPRIM_400000_NS6detail17trampoline_kernelINS0_14default_configENS1_27scan_by_key_config_selectorIiyEEZZNS1_16scan_by_key_implILNS1_25lookback_scan_determinismE0ELb1ES3_N6thrust23THRUST_200600_302600_NS6detail15normal_iteratorINS9_10device_ptrIiEEEENSB_INSC_IyEEEESG_yNS9_4plusIvEENS9_8equal_toIvEEyEE10hipError_tPvRmT2_T3_T4_T5_mT6_T7_P12ihipStream_tbENKUlT_T0_E_clISt17integral_constantIbLb0EES11_EEDaSW_SX_EUlSW_E_NS1_11comp_targetILNS1_3genE9ELNS1_11target_archE1100ELNS1_3gpuE3ELNS1_3repE0EEENS1_30default_config_static_selectorELNS0_4arch9wavefront6targetE1EEEvT1_, .Lfunc_end1470-_ZN7rocprim17ROCPRIM_400000_NS6detail17trampoline_kernelINS0_14default_configENS1_27scan_by_key_config_selectorIiyEEZZNS1_16scan_by_key_implILNS1_25lookback_scan_determinismE0ELb1ES3_N6thrust23THRUST_200600_302600_NS6detail15normal_iteratorINS9_10device_ptrIiEEEENSB_INSC_IyEEEESG_yNS9_4plusIvEENS9_8equal_toIvEEyEE10hipError_tPvRmT2_T3_T4_T5_mT6_T7_P12ihipStream_tbENKUlT_T0_E_clISt17integral_constantIbLb0EES11_EEDaSW_SX_EUlSW_E_NS1_11comp_targetILNS1_3genE9ELNS1_11target_archE1100ELNS1_3gpuE3ELNS1_3repE0EEENS1_30default_config_static_selectorELNS0_4arch9wavefront6targetE1EEEvT1_
                                        ; -- End function
	.section	.AMDGPU.csdata,"",@progbits
; Kernel info:
; codeLenInByte = 0
; NumSgprs: 6
; NumVgprs: 0
; NumAgprs: 0
; TotalNumVgprs: 0
; ScratchSize: 0
; MemoryBound: 0
; FloatMode: 240
; IeeeMode: 1
; LDSByteSize: 0 bytes/workgroup (compile time only)
; SGPRBlocks: 0
; VGPRBlocks: 0
; NumSGPRsForWavesPerEU: 6
; NumVGPRsForWavesPerEU: 1
; AccumOffset: 4
; Occupancy: 8
; WaveLimiterHint : 0
; COMPUTE_PGM_RSRC2:SCRATCH_EN: 0
; COMPUTE_PGM_RSRC2:USER_SGPR: 2
; COMPUTE_PGM_RSRC2:TRAP_HANDLER: 0
; COMPUTE_PGM_RSRC2:TGID_X_EN: 1
; COMPUTE_PGM_RSRC2:TGID_Y_EN: 0
; COMPUTE_PGM_RSRC2:TGID_Z_EN: 0
; COMPUTE_PGM_RSRC2:TIDIG_COMP_CNT: 0
; COMPUTE_PGM_RSRC3_GFX90A:ACCUM_OFFSET: 0
; COMPUTE_PGM_RSRC3_GFX90A:TG_SPLIT: 0
	.section	.text._ZN7rocprim17ROCPRIM_400000_NS6detail17trampoline_kernelINS0_14default_configENS1_27scan_by_key_config_selectorIiyEEZZNS1_16scan_by_key_implILNS1_25lookback_scan_determinismE0ELb1ES3_N6thrust23THRUST_200600_302600_NS6detail15normal_iteratorINS9_10device_ptrIiEEEENSB_INSC_IyEEEESG_yNS9_4plusIvEENS9_8equal_toIvEEyEE10hipError_tPvRmT2_T3_T4_T5_mT6_T7_P12ihipStream_tbENKUlT_T0_E_clISt17integral_constantIbLb0EES11_EEDaSW_SX_EUlSW_E_NS1_11comp_targetILNS1_3genE8ELNS1_11target_archE1030ELNS1_3gpuE2ELNS1_3repE0EEENS1_30default_config_static_selectorELNS0_4arch9wavefront6targetE1EEEvT1_,"axG",@progbits,_ZN7rocprim17ROCPRIM_400000_NS6detail17trampoline_kernelINS0_14default_configENS1_27scan_by_key_config_selectorIiyEEZZNS1_16scan_by_key_implILNS1_25lookback_scan_determinismE0ELb1ES3_N6thrust23THRUST_200600_302600_NS6detail15normal_iteratorINS9_10device_ptrIiEEEENSB_INSC_IyEEEESG_yNS9_4plusIvEENS9_8equal_toIvEEyEE10hipError_tPvRmT2_T3_T4_T5_mT6_T7_P12ihipStream_tbENKUlT_T0_E_clISt17integral_constantIbLb0EES11_EEDaSW_SX_EUlSW_E_NS1_11comp_targetILNS1_3genE8ELNS1_11target_archE1030ELNS1_3gpuE2ELNS1_3repE0EEENS1_30default_config_static_selectorELNS0_4arch9wavefront6targetE1EEEvT1_,comdat
	.protected	_ZN7rocprim17ROCPRIM_400000_NS6detail17trampoline_kernelINS0_14default_configENS1_27scan_by_key_config_selectorIiyEEZZNS1_16scan_by_key_implILNS1_25lookback_scan_determinismE0ELb1ES3_N6thrust23THRUST_200600_302600_NS6detail15normal_iteratorINS9_10device_ptrIiEEEENSB_INSC_IyEEEESG_yNS9_4plusIvEENS9_8equal_toIvEEyEE10hipError_tPvRmT2_T3_T4_T5_mT6_T7_P12ihipStream_tbENKUlT_T0_E_clISt17integral_constantIbLb0EES11_EEDaSW_SX_EUlSW_E_NS1_11comp_targetILNS1_3genE8ELNS1_11target_archE1030ELNS1_3gpuE2ELNS1_3repE0EEENS1_30default_config_static_selectorELNS0_4arch9wavefront6targetE1EEEvT1_ ; -- Begin function _ZN7rocprim17ROCPRIM_400000_NS6detail17trampoline_kernelINS0_14default_configENS1_27scan_by_key_config_selectorIiyEEZZNS1_16scan_by_key_implILNS1_25lookback_scan_determinismE0ELb1ES3_N6thrust23THRUST_200600_302600_NS6detail15normal_iteratorINS9_10device_ptrIiEEEENSB_INSC_IyEEEESG_yNS9_4plusIvEENS9_8equal_toIvEEyEE10hipError_tPvRmT2_T3_T4_T5_mT6_T7_P12ihipStream_tbENKUlT_T0_E_clISt17integral_constantIbLb0EES11_EEDaSW_SX_EUlSW_E_NS1_11comp_targetILNS1_3genE8ELNS1_11target_archE1030ELNS1_3gpuE2ELNS1_3repE0EEENS1_30default_config_static_selectorELNS0_4arch9wavefront6targetE1EEEvT1_
	.globl	_ZN7rocprim17ROCPRIM_400000_NS6detail17trampoline_kernelINS0_14default_configENS1_27scan_by_key_config_selectorIiyEEZZNS1_16scan_by_key_implILNS1_25lookback_scan_determinismE0ELb1ES3_N6thrust23THRUST_200600_302600_NS6detail15normal_iteratorINS9_10device_ptrIiEEEENSB_INSC_IyEEEESG_yNS9_4plusIvEENS9_8equal_toIvEEyEE10hipError_tPvRmT2_T3_T4_T5_mT6_T7_P12ihipStream_tbENKUlT_T0_E_clISt17integral_constantIbLb0EES11_EEDaSW_SX_EUlSW_E_NS1_11comp_targetILNS1_3genE8ELNS1_11target_archE1030ELNS1_3gpuE2ELNS1_3repE0EEENS1_30default_config_static_selectorELNS0_4arch9wavefront6targetE1EEEvT1_
	.p2align	8
	.type	_ZN7rocprim17ROCPRIM_400000_NS6detail17trampoline_kernelINS0_14default_configENS1_27scan_by_key_config_selectorIiyEEZZNS1_16scan_by_key_implILNS1_25lookback_scan_determinismE0ELb1ES3_N6thrust23THRUST_200600_302600_NS6detail15normal_iteratorINS9_10device_ptrIiEEEENSB_INSC_IyEEEESG_yNS9_4plusIvEENS9_8equal_toIvEEyEE10hipError_tPvRmT2_T3_T4_T5_mT6_T7_P12ihipStream_tbENKUlT_T0_E_clISt17integral_constantIbLb0EES11_EEDaSW_SX_EUlSW_E_NS1_11comp_targetILNS1_3genE8ELNS1_11target_archE1030ELNS1_3gpuE2ELNS1_3repE0EEENS1_30default_config_static_selectorELNS0_4arch9wavefront6targetE1EEEvT1_,@function
_ZN7rocprim17ROCPRIM_400000_NS6detail17trampoline_kernelINS0_14default_configENS1_27scan_by_key_config_selectorIiyEEZZNS1_16scan_by_key_implILNS1_25lookback_scan_determinismE0ELb1ES3_N6thrust23THRUST_200600_302600_NS6detail15normal_iteratorINS9_10device_ptrIiEEEENSB_INSC_IyEEEESG_yNS9_4plusIvEENS9_8equal_toIvEEyEE10hipError_tPvRmT2_T3_T4_T5_mT6_T7_P12ihipStream_tbENKUlT_T0_E_clISt17integral_constantIbLb0EES11_EEDaSW_SX_EUlSW_E_NS1_11comp_targetILNS1_3genE8ELNS1_11target_archE1030ELNS1_3gpuE2ELNS1_3repE0EEENS1_30default_config_static_selectorELNS0_4arch9wavefront6targetE1EEEvT1_: ; @_ZN7rocprim17ROCPRIM_400000_NS6detail17trampoline_kernelINS0_14default_configENS1_27scan_by_key_config_selectorIiyEEZZNS1_16scan_by_key_implILNS1_25lookback_scan_determinismE0ELb1ES3_N6thrust23THRUST_200600_302600_NS6detail15normal_iteratorINS9_10device_ptrIiEEEENSB_INSC_IyEEEESG_yNS9_4plusIvEENS9_8equal_toIvEEyEE10hipError_tPvRmT2_T3_T4_T5_mT6_T7_P12ihipStream_tbENKUlT_T0_E_clISt17integral_constantIbLb0EES11_EEDaSW_SX_EUlSW_E_NS1_11comp_targetILNS1_3genE8ELNS1_11target_archE1030ELNS1_3gpuE2ELNS1_3repE0EEENS1_30default_config_static_selectorELNS0_4arch9wavefront6targetE1EEEvT1_
; %bb.0:
	.section	.rodata,"a",@progbits
	.p2align	6, 0x0
	.amdhsa_kernel _ZN7rocprim17ROCPRIM_400000_NS6detail17trampoline_kernelINS0_14default_configENS1_27scan_by_key_config_selectorIiyEEZZNS1_16scan_by_key_implILNS1_25lookback_scan_determinismE0ELb1ES3_N6thrust23THRUST_200600_302600_NS6detail15normal_iteratorINS9_10device_ptrIiEEEENSB_INSC_IyEEEESG_yNS9_4plusIvEENS9_8equal_toIvEEyEE10hipError_tPvRmT2_T3_T4_T5_mT6_T7_P12ihipStream_tbENKUlT_T0_E_clISt17integral_constantIbLb0EES11_EEDaSW_SX_EUlSW_E_NS1_11comp_targetILNS1_3genE8ELNS1_11target_archE1030ELNS1_3gpuE2ELNS1_3repE0EEENS1_30default_config_static_selectorELNS0_4arch9wavefront6targetE1EEEvT1_
		.amdhsa_group_segment_fixed_size 0
		.amdhsa_private_segment_fixed_size 0
		.amdhsa_kernarg_size 136
		.amdhsa_user_sgpr_count 2
		.amdhsa_user_sgpr_dispatch_ptr 0
		.amdhsa_user_sgpr_queue_ptr 0
		.amdhsa_user_sgpr_kernarg_segment_ptr 1
		.amdhsa_user_sgpr_dispatch_id 0
		.amdhsa_user_sgpr_kernarg_preload_length 0
		.amdhsa_user_sgpr_kernarg_preload_offset 0
		.amdhsa_user_sgpr_private_segment_size 0
		.amdhsa_uses_dynamic_stack 0
		.amdhsa_enable_private_segment 0
		.amdhsa_system_sgpr_workgroup_id_x 1
		.amdhsa_system_sgpr_workgroup_id_y 0
		.amdhsa_system_sgpr_workgroup_id_z 0
		.amdhsa_system_sgpr_workgroup_info 0
		.amdhsa_system_vgpr_workitem_id 0
		.amdhsa_next_free_vgpr 1
		.amdhsa_next_free_sgpr 0
		.amdhsa_accum_offset 4
		.amdhsa_reserve_vcc 0
		.amdhsa_float_round_mode_32 0
		.amdhsa_float_round_mode_16_64 0
		.amdhsa_float_denorm_mode_32 3
		.amdhsa_float_denorm_mode_16_64 3
		.amdhsa_dx10_clamp 1
		.amdhsa_ieee_mode 1
		.amdhsa_fp16_overflow 0
		.amdhsa_tg_split 0
		.amdhsa_exception_fp_ieee_invalid_op 0
		.amdhsa_exception_fp_denorm_src 0
		.amdhsa_exception_fp_ieee_div_zero 0
		.amdhsa_exception_fp_ieee_overflow 0
		.amdhsa_exception_fp_ieee_underflow 0
		.amdhsa_exception_fp_ieee_inexact 0
		.amdhsa_exception_int_div_zero 0
	.end_amdhsa_kernel
	.section	.text._ZN7rocprim17ROCPRIM_400000_NS6detail17trampoline_kernelINS0_14default_configENS1_27scan_by_key_config_selectorIiyEEZZNS1_16scan_by_key_implILNS1_25lookback_scan_determinismE0ELb1ES3_N6thrust23THRUST_200600_302600_NS6detail15normal_iteratorINS9_10device_ptrIiEEEENSB_INSC_IyEEEESG_yNS9_4plusIvEENS9_8equal_toIvEEyEE10hipError_tPvRmT2_T3_T4_T5_mT6_T7_P12ihipStream_tbENKUlT_T0_E_clISt17integral_constantIbLb0EES11_EEDaSW_SX_EUlSW_E_NS1_11comp_targetILNS1_3genE8ELNS1_11target_archE1030ELNS1_3gpuE2ELNS1_3repE0EEENS1_30default_config_static_selectorELNS0_4arch9wavefront6targetE1EEEvT1_,"axG",@progbits,_ZN7rocprim17ROCPRIM_400000_NS6detail17trampoline_kernelINS0_14default_configENS1_27scan_by_key_config_selectorIiyEEZZNS1_16scan_by_key_implILNS1_25lookback_scan_determinismE0ELb1ES3_N6thrust23THRUST_200600_302600_NS6detail15normal_iteratorINS9_10device_ptrIiEEEENSB_INSC_IyEEEESG_yNS9_4plusIvEENS9_8equal_toIvEEyEE10hipError_tPvRmT2_T3_T4_T5_mT6_T7_P12ihipStream_tbENKUlT_T0_E_clISt17integral_constantIbLb0EES11_EEDaSW_SX_EUlSW_E_NS1_11comp_targetILNS1_3genE8ELNS1_11target_archE1030ELNS1_3gpuE2ELNS1_3repE0EEENS1_30default_config_static_selectorELNS0_4arch9wavefront6targetE1EEEvT1_,comdat
.Lfunc_end1471:
	.size	_ZN7rocprim17ROCPRIM_400000_NS6detail17trampoline_kernelINS0_14default_configENS1_27scan_by_key_config_selectorIiyEEZZNS1_16scan_by_key_implILNS1_25lookback_scan_determinismE0ELb1ES3_N6thrust23THRUST_200600_302600_NS6detail15normal_iteratorINS9_10device_ptrIiEEEENSB_INSC_IyEEEESG_yNS9_4plusIvEENS9_8equal_toIvEEyEE10hipError_tPvRmT2_T3_T4_T5_mT6_T7_P12ihipStream_tbENKUlT_T0_E_clISt17integral_constantIbLb0EES11_EEDaSW_SX_EUlSW_E_NS1_11comp_targetILNS1_3genE8ELNS1_11target_archE1030ELNS1_3gpuE2ELNS1_3repE0EEENS1_30default_config_static_selectorELNS0_4arch9wavefront6targetE1EEEvT1_, .Lfunc_end1471-_ZN7rocprim17ROCPRIM_400000_NS6detail17trampoline_kernelINS0_14default_configENS1_27scan_by_key_config_selectorIiyEEZZNS1_16scan_by_key_implILNS1_25lookback_scan_determinismE0ELb1ES3_N6thrust23THRUST_200600_302600_NS6detail15normal_iteratorINS9_10device_ptrIiEEEENSB_INSC_IyEEEESG_yNS9_4plusIvEENS9_8equal_toIvEEyEE10hipError_tPvRmT2_T3_T4_T5_mT6_T7_P12ihipStream_tbENKUlT_T0_E_clISt17integral_constantIbLb0EES11_EEDaSW_SX_EUlSW_E_NS1_11comp_targetILNS1_3genE8ELNS1_11target_archE1030ELNS1_3gpuE2ELNS1_3repE0EEENS1_30default_config_static_selectorELNS0_4arch9wavefront6targetE1EEEvT1_
                                        ; -- End function
	.section	.AMDGPU.csdata,"",@progbits
; Kernel info:
; codeLenInByte = 0
; NumSgprs: 6
; NumVgprs: 0
; NumAgprs: 0
; TotalNumVgprs: 0
; ScratchSize: 0
; MemoryBound: 0
; FloatMode: 240
; IeeeMode: 1
; LDSByteSize: 0 bytes/workgroup (compile time only)
; SGPRBlocks: 0
; VGPRBlocks: 0
; NumSGPRsForWavesPerEU: 6
; NumVGPRsForWavesPerEU: 1
; AccumOffset: 4
; Occupancy: 8
; WaveLimiterHint : 0
; COMPUTE_PGM_RSRC2:SCRATCH_EN: 0
; COMPUTE_PGM_RSRC2:USER_SGPR: 2
; COMPUTE_PGM_RSRC2:TRAP_HANDLER: 0
; COMPUTE_PGM_RSRC2:TGID_X_EN: 1
; COMPUTE_PGM_RSRC2:TGID_Y_EN: 0
; COMPUTE_PGM_RSRC2:TGID_Z_EN: 0
; COMPUTE_PGM_RSRC2:TIDIG_COMP_CNT: 0
; COMPUTE_PGM_RSRC3_GFX90A:ACCUM_OFFSET: 0
; COMPUTE_PGM_RSRC3_GFX90A:TG_SPLIT: 0
	.section	.text._ZN7rocprim17ROCPRIM_400000_NS6detail17trampoline_kernelINS0_14default_configENS1_27scan_by_key_config_selectorIiyEEZZNS1_16scan_by_key_implILNS1_25lookback_scan_determinismE0ELb1ES3_N6thrust23THRUST_200600_302600_NS6detail15normal_iteratorINS9_10device_ptrIiEEEENSB_INSC_IyEEEESG_yNS9_4plusIvEENS9_8equal_toIvEEyEE10hipError_tPvRmT2_T3_T4_T5_mT6_T7_P12ihipStream_tbENKUlT_T0_E_clISt17integral_constantIbLb1EES11_EEDaSW_SX_EUlSW_E_NS1_11comp_targetILNS1_3genE0ELNS1_11target_archE4294967295ELNS1_3gpuE0ELNS1_3repE0EEENS1_30default_config_static_selectorELNS0_4arch9wavefront6targetE1EEEvT1_,"axG",@progbits,_ZN7rocprim17ROCPRIM_400000_NS6detail17trampoline_kernelINS0_14default_configENS1_27scan_by_key_config_selectorIiyEEZZNS1_16scan_by_key_implILNS1_25lookback_scan_determinismE0ELb1ES3_N6thrust23THRUST_200600_302600_NS6detail15normal_iteratorINS9_10device_ptrIiEEEENSB_INSC_IyEEEESG_yNS9_4plusIvEENS9_8equal_toIvEEyEE10hipError_tPvRmT2_T3_T4_T5_mT6_T7_P12ihipStream_tbENKUlT_T0_E_clISt17integral_constantIbLb1EES11_EEDaSW_SX_EUlSW_E_NS1_11comp_targetILNS1_3genE0ELNS1_11target_archE4294967295ELNS1_3gpuE0ELNS1_3repE0EEENS1_30default_config_static_selectorELNS0_4arch9wavefront6targetE1EEEvT1_,comdat
	.protected	_ZN7rocprim17ROCPRIM_400000_NS6detail17trampoline_kernelINS0_14default_configENS1_27scan_by_key_config_selectorIiyEEZZNS1_16scan_by_key_implILNS1_25lookback_scan_determinismE0ELb1ES3_N6thrust23THRUST_200600_302600_NS6detail15normal_iteratorINS9_10device_ptrIiEEEENSB_INSC_IyEEEESG_yNS9_4plusIvEENS9_8equal_toIvEEyEE10hipError_tPvRmT2_T3_T4_T5_mT6_T7_P12ihipStream_tbENKUlT_T0_E_clISt17integral_constantIbLb1EES11_EEDaSW_SX_EUlSW_E_NS1_11comp_targetILNS1_3genE0ELNS1_11target_archE4294967295ELNS1_3gpuE0ELNS1_3repE0EEENS1_30default_config_static_selectorELNS0_4arch9wavefront6targetE1EEEvT1_ ; -- Begin function _ZN7rocprim17ROCPRIM_400000_NS6detail17trampoline_kernelINS0_14default_configENS1_27scan_by_key_config_selectorIiyEEZZNS1_16scan_by_key_implILNS1_25lookback_scan_determinismE0ELb1ES3_N6thrust23THRUST_200600_302600_NS6detail15normal_iteratorINS9_10device_ptrIiEEEENSB_INSC_IyEEEESG_yNS9_4plusIvEENS9_8equal_toIvEEyEE10hipError_tPvRmT2_T3_T4_T5_mT6_T7_P12ihipStream_tbENKUlT_T0_E_clISt17integral_constantIbLb1EES11_EEDaSW_SX_EUlSW_E_NS1_11comp_targetILNS1_3genE0ELNS1_11target_archE4294967295ELNS1_3gpuE0ELNS1_3repE0EEENS1_30default_config_static_selectorELNS0_4arch9wavefront6targetE1EEEvT1_
	.globl	_ZN7rocprim17ROCPRIM_400000_NS6detail17trampoline_kernelINS0_14default_configENS1_27scan_by_key_config_selectorIiyEEZZNS1_16scan_by_key_implILNS1_25lookback_scan_determinismE0ELb1ES3_N6thrust23THRUST_200600_302600_NS6detail15normal_iteratorINS9_10device_ptrIiEEEENSB_INSC_IyEEEESG_yNS9_4plusIvEENS9_8equal_toIvEEyEE10hipError_tPvRmT2_T3_T4_T5_mT6_T7_P12ihipStream_tbENKUlT_T0_E_clISt17integral_constantIbLb1EES11_EEDaSW_SX_EUlSW_E_NS1_11comp_targetILNS1_3genE0ELNS1_11target_archE4294967295ELNS1_3gpuE0ELNS1_3repE0EEENS1_30default_config_static_selectorELNS0_4arch9wavefront6targetE1EEEvT1_
	.p2align	8
	.type	_ZN7rocprim17ROCPRIM_400000_NS6detail17trampoline_kernelINS0_14default_configENS1_27scan_by_key_config_selectorIiyEEZZNS1_16scan_by_key_implILNS1_25lookback_scan_determinismE0ELb1ES3_N6thrust23THRUST_200600_302600_NS6detail15normal_iteratorINS9_10device_ptrIiEEEENSB_INSC_IyEEEESG_yNS9_4plusIvEENS9_8equal_toIvEEyEE10hipError_tPvRmT2_T3_T4_T5_mT6_T7_P12ihipStream_tbENKUlT_T0_E_clISt17integral_constantIbLb1EES11_EEDaSW_SX_EUlSW_E_NS1_11comp_targetILNS1_3genE0ELNS1_11target_archE4294967295ELNS1_3gpuE0ELNS1_3repE0EEENS1_30default_config_static_selectorELNS0_4arch9wavefront6targetE1EEEvT1_,@function
_ZN7rocprim17ROCPRIM_400000_NS6detail17trampoline_kernelINS0_14default_configENS1_27scan_by_key_config_selectorIiyEEZZNS1_16scan_by_key_implILNS1_25lookback_scan_determinismE0ELb1ES3_N6thrust23THRUST_200600_302600_NS6detail15normal_iteratorINS9_10device_ptrIiEEEENSB_INSC_IyEEEESG_yNS9_4plusIvEENS9_8equal_toIvEEyEE10hipError_tPvRmT2_T3_T4_T5_mT6_T7_P12ihipStream_tbENKUlT_T0_E_clISt17integral_constantIbLb1EES11_EEDaSW_SX_EUlSW_E_NS1_11comp_targetILNS1_3genE0ELNS1_11target_archE4294967295ELNS1_3gpuE0ELNS1_3repE0EEENS1_30default_config_static_selectorELNS0_4arch9wavefront6targetE1EEEvT1_: ; @_ZN7rocprim17ROCPRIM_400000_NS6detail17trampoline_kernelINS0_14default_configENS1_27scan_by_key_config_selectorIiyEEZZNS1_16scan_by_key_implILNS1_25lookback_scan_determinismE0ELb1ES3_N6thrust23THRUST_200600_302600_NS6detail15normal_iteratorINS9_10device_ptrIiEEEENSB_INSC_IyEEEESG_yNS9_4plusIvEENS9_8equal_toIvEEyEE10hipError_tPvRmT2_T3_T4_T5_mT6_T7_P12ihipStream_tbENKUlT_T0_E_clISt17integral_constantIbLb1EES11_EEDaSW_SX_EUlSW_E_NS1_11comp_targetILNS1_3genE0ELNS1_11target_archE4294967295ELNS1_3gpuE0ELNS1_3repE0EEENS1_30default_config_static_selectorELNS0_4arch9wavefront6targetE1EEEvT1_
; %bb.0:
	.section	.rodata,"a",@progbits
	.p2align	6, 0x0
	.amdhsa_kernel _ZN7rocprim17ROCPRIM_400000_NS6detail17trampoline_kernelINS0_14default_configENS1_27scan_by_key_config_selectorIiyEEZZNS1_16scan_by_key_implILNS1_25lookback_scan_determinismE0ELb1ES3_N6thrust23THRUST_200600_302600_NS6detail15normal_iteratorINS9_10device_ptrIiEEEENSB_INSC_IyEEEESG_yNS9_4plusIvEENS9_8equal_toIvEEyEE10hipError_tPvRmT2_T3_T4_T5_mT6_T7_P12ihipStream_tbENKUlT_T0_E_clISt17integral_constantIbLb1EES11_EEDaSW_SX_EUlSW_E_NS1_11comp_targetILNS1_3genE0ELNS1_11target_archE4294967295ELNS1_3gpuE0ELNS1_3repE0EEENS1_30default_config_static_selectorELNS0_4arch9wavefront6targetE1EEEvT1_
		.amdhsa_group_segment_fixed_size 0
		.amdhsa_private_segment_fixed_size 0
		.amdhsa_kernarg_size 136
		.amdhsa_user_sgpr_count 2
		.amdhsa_user_sgpr_dispatch_ptr 0
		.amdhsa_user_sgpr_queue_ptr 0
		.amdhsa_user_sgpr_kernarg_segment_ptr 1
		.amdhsa_user_sgpr_dispatch_id 0
		.amdhsa_user_sgpr_kernarg_preload_length 0
		.amdhsa_user_sgpr_kernarg_preload_offset 0
		.amdhsa_user_sgpr_private_segment_size 0
		.amdhsa_uses_dynamic_stack 0
		.amdhsa_enable_private_segment 0
		.amdhsa_system_sgpr_workgroup_id_x 1
		.amdhsa_system_sgpr_workgroup_id_y 0
		.amdhsa_system_sgpr_workgroup_id_z 0
		.amdhsa_system_sgpr_workgroup_info 0
		.amdhsa_system_vgpr_workitem_id 0
		.amdhsa_next_free_vgpr 1
		.amdhsa_next_free_sgpr 0
		.amdhsa_accum_offset 4
		.amdhsa_reserve_vcc 0
		.amdhsa_float_round_mode_32 0
		.amdhsa_float_round_mode_16_64 0
		.amdhsa_float_denorm_mode_32 3
		.amdhsa_float_denorm_mode_16_64 3
		.amdhsa_dx10_clamp 1
		.amdhsa_ieee_mode 1
		.amdhsa_fp16_overflow 0
		.amdhsa_tg_split 0
		.amdhsa_exception_fp_ieee_invalid_op 0
		.amdhsa_exception_fp_denorm_src 0
		.amdhsa_exception_fp_ieee_div_zero 0
		.amdhsa_exception_fp_ieee_overflow 0
		.amdhsa_exception_fp_ieee_underflow 0
		.amdhsa_exception_fp_ieee_inexact 0
		.amdhsa_exception_int_div_zero 0
	.end_amdhsa_kernel
	.section	.text._ZN7rocprim17ROCPRIM_400000_NS6detail17trampoline_kernelINS0_14default_configENS1_27scan_by_key_config_selectorIiyEEZZNS1_16scan_by_key_implILNS1_25lookback_scan_determinismE0ELb1ES3_N6thrust23THRUST_200600_302600_NS6detail15normal_iteratorINS9_10device_ptrIiEEEENSB_INSC_IyEEEESG_yNS9_4plusIvEENS9_8equal_toIvEEyEE10hipError_tPvRmT2_T3_T4_T5_mT6_T7_P12ihipStream_tbENKUlT_T0_E_clISt17integral_constantIbLb1EES11_EEDaSW_SX_EUlSW_E_NS1_11comp_targetILNS1_3genE0ELNS1_11target_archE4294967295ELNS1_3gpuE0ELNS1_3repE0EEENS1_30default_config_static_selectorELNS0_4arch9wavefront6targetE1EEEvT1_,"axG",@progbits,_ZN7rocprim17ROCPRIM_400000_NS6detail17trampoline_kernelINS0_14default_configENS1_27scan_by_key_config_selectorIiyEEZZNS1_16scan_by_key_implILNS1_25lookback_scan_determinismE0ELb1ES3_N6thrust23THRUST_200600_302600_NS6detail15normal_iteratorINS9_10device_ptrIiEEEENSB_INSC_IyEEEESG_yNS9_4plusIvEENS9_8equal_toIvEEyEE10hipError_tPvRmT2_T3_T4_T5_mT6_T7_P12ihipStream_tbENKUlT_T0_E_clISt17integral_constantIbLb1EES11_EEDaSW_SX_EUlSW_E_NS1_11comp_targetILNS1_3genE0ELNS1_11target_archE4294967295ELNS1_3gpuE0ELNS1_3repE0EEENS1_30default_config_static_selectorELNS0_4arch9wavefront6targetE1EEEvT1_,comdat
.Lfunc_end1472:
	.size	_ZN7rocprim17ROCPRIM_400000_NS6detail17trampoline_kernelINS0_14default_configENS1_27scan_by_key_config_selectorIiyEEZZNS1_16scan_by_key_implILNS1_25lookback_scan_determinismE0ELb1ES3_N6thrust23THRUST_200600_302600_NS6detail15normal_iteratorINS9_10device_ptrIiEEEENSB_INSC_IyEEEESG_yNS9_4plusIvEENS9_8equal_toIvEEyEE10hipError_tPvRmT2_T3_T4_T5_mT6_T7_P12ihipStream_tbENKUlT_T0_E_clISt17integral_constantIbLb1EES11_EEDaSW_SX_EUlSW_E_NS1_11comp_targetILNS1_3genE0ELNS1_11target_archE4294967295ELNS1_3gpuE0ELNS1_3repE0EEENS1_30default_config_static_selectorELNS0_4arch9wavefront6targetE1EEEvT1_, .Lfunc_end1472-_ZN7rocprim17ROCPRIM_400000_NS6detail17trampoline_kernelINS0_14default_configENS1_27scan_by_key_config_selectorIiyEEZZNS1_16scan_by_key_implILNS1_25lookback_scan_determinismE0ELb1ES3_N6thrust23THRUST_200600_302600_NS6detail15normal_iteratorINS9_10device_ptrIiEEEENSB_INSC_IyEEEESG_yNS9_4plusIvEENS9_8equal_toIvEEyEE10hipError_tPvRmT2_T3_T4_T5_mT6_T7_P12ihipStream_tbENKUlT_T0_E_clISt17integral_constantIbLb1EES11_EEDaSW_SX_EUlSW_E_NS1_11comp_targetILNS1_3genE0ELNS1_11target_archE4294967295ELNS1_3gpuE0ELNS1_3repE0EEENS1_30default_config_static_selectorELNS0_4arch9wavefront6targetE1EEEvT1_
                                        ; -- End function
	.section	.AMDGPU.csdata,"",@progbits
; Kernel info:
; codeLenInByte = 0
; NumSgprs: 6
; NumVgprs: 0
; NumAgprs: 0
; TotalNumVgprs: 0
; ScratchSize: 0
; MemoryBound: 0
; FloatMode: 240
; IeeeMode: 1
; LDSByteSize: 0 bytes/workgroup (compile time only)
; SGPRBlocks: 0
; VGPRBlocks: 0
; NumSGPRsForWavesPerEU: 6
; NumVGPRsForWavesPerEU: 1
; AccumOffset: 4
; Occupancy: 8
; WaveLimiterHint : 0
; COMPUTE_PGM_RSRC2:SCRATCH_EN: 0
; COMPUTE_PGM_RSRC2:USER_SGPR: 2
; COMPUTE_PGM_RSRC2:TRAP_HANDLER: 0
; COMPUTE_PGM_RSRC2:TGID_X_EN: 1
; COMPUTE_PGM_RSRC2:TGID_Y_EN: 0
; COMPUTE_PGM_RSRC2:TGID_Z_EN: 0
; COMPUTE_PGM_RSRC2:TIDIG_COMP_CNT: 0
; COMPUTE_PGM_RSRC3_GFX90A:ACCUM_OFFSET: 0
; COMPUTE_PGM_RSRC3_GFX90A:TG_SPLIT: 0
	.section	.text._ZN7rocprim17ROCPRIM_400000_NS6detail17trampoline_kernelINS0_14default_configENS1_27scan_by_key_config_selectorIiyEEZZNS1_16scan_by_key_implILNS1_25lookback_scan_determinismE0ELb1ES3_N6thrust23THRUST_200600_302600_NS6detail15normal_iteratorINS9_10device_ptrIiEEEENSB_INSC_IyEEEESG_yNS9_4plusIvEENS9_8equal_toIvEEyEE10hipError_tPvRmT2_T3_T4_T5_mT6_T7_P12ihipStream_tbENKUlT_T0_E_clISt17integral_constantIbLb1EES11_EEDaSW_SX_EUlSW_E_NS1_11comp_targetILNS1_3genE10ELNS1_11target_archE1201ELNS1_3gpuE5ELNS1_3repE0EEENS1_30default_config_static_selectorELNS0_4arch9wavefront6targetE1EEEvT1_,"axG",@progbits,_ZN7rocprim17ROCPRIM_400000_NS6detail17trampoline_kernelINS0_14default_configENS1_27scan_by_key_config_selectorIiyEEZZNS1_16scan_by_key_implILNS1_25lookback_scan_determinismE0ELb1ES3_N6thrust23THRUST_200600_302600_NS6detail15normal_iteratorINS9_10device_ptrIiEEEENSB_INSC_IyEEEESG_yNS9_4plusIvEENS9_8equal_toIvEEyEE10hipError_tPvRmT2_T3_T4_T5_mT6_T7_P12ihipStream_tbENKUlT_T0_E_clISt17integral_constantIbLb1EES11_EEDaSW_SX_EUlSW_E_NS1_11comp_targetILNS1_3genE10ELNS1_11target_archE1201ELNS1_3gpuE5ELNS1_3repE0EEENS1_30default_config_static_selectorELNS0_4arch9wavefront6targetE1EEEvT1_,comdat
	.protected	_ZN7rocprim17ROCPRIM_400000_NS6detail17trampoline_kernelINS0_14default_configENS1_27scan_by_key_config_selectorIiyEEZZNS1_16scan_by_key_implILNS1_25lookback_scan_determinismE0ELb1ES3_N6thrust23THRUST_200600_302600_NS6detail15normal_iteratorINS9_10device_ptrIiEEEENSB_INSC_IyEEEESG_yNS9_4plusIvEENS9_8equal_toIvEEyEE10hipError_tPvRmT2_T3_T4_T5_mT6_T7_P12ihipStream_tbENKUlT_T0_E_clISt17integral_constantIbLb1EES11_EEDaSW_SX_EUlSW_E_NS1_11comp_targetILNS1_3genE10ELNS1_11target_archE1201ELNS1_3gpuE5ELNS1_3repE0EEENS1_30default_config_static_selectorELNS0_4arch9wavefront6targetE1EEEvT1_ ; -- Begin function _ZN7rocprim17ROCPRIM_400000_NS6detail17trampoline_kernelINS0_14default_configENS1_27scan_by_key_config_selectorIiyEEZZNS1_16scan_by_key_implILNS1_25lookback_scan_determinismE0ELb1ES3_N6thrust23THRUST_200600_302600_NS6detail15normal_iteratorINS9_10device_ptrIiEEEENSB_INSC_IyEEEESG_yNS9_4plusIvEENS9_8equal_toIvEEyEE10hipError_tPvRmT2_T3_T4_T5_mT6_T7_P12ihipStream_tbENKUlT_T0_E_clISt17integral_constantIbLb1EES11_EEDaSW_SX_EUlSW_E_NS1_11comp_targetILNS1_3genE10ELNS1_11target_archE1201ELNS1_3gpuE5ELNS1_3repE0EEENS1_30default_config_static_selectorELNS0_4arch9wavefront6targetE1EEEvT1_
	.globl	_ZN7rocprim17ROCPRIM_400000_NS6detail17trampoline_kernelINS0_14default_configENS1_27scan_by_key_config_selectorIiyEEZZNS1_16scan_by_key_implILNS1_25lookback_scan_determinismE0ELb1ES3_N6thrust23THRUST_200600_302600_NS6detail15normal_iteratorINS9_10device_ptrIiEEEENSB_INSC_IyEEEESG_yNS9_4plusIvEENS9_8equal_toIvEEyEE10hipError_tPvRmT2_T3_T4_T5_mT6_T7_P12ihipStream_tbENKUlT_T0_E_clISt17integral_constantIbLb1EES11_EEDaSW_SX_EUlSW_E_NS1_11comp_targetILNS1_3genE10ELNS1_11target_archE1201ELNS1_3gpuE5ELNS1_3repE0EEENS1_30default_config_static_selectorELNS0_4arch9wavefront6targetE1EEEvT1_
	.p2align	8
	.type	_ZN7rocprim17ROCPRIM_400000_NS6detail17trampoline_kernelINS0_14default_configENS1_27scan_by_key_config_selectorIiyEEZZNS1_16scan_by_key_implILNS1_25lookback_scan_determinismE0ELb1ES3_N6thrust23THRUST_200600_302600_NS6detail15normal_iteratorINS9_10device_ptrIiEEEENSB_INSC_IyEEEESG_yNS9_4plusIvEENS9_8equal_toIvEEyEE10hipError_tPvRmT2_T3_T4_T5_mT6_T7_P12ihipStream_tbENKUlT_T0_E_clISt17integral_constantIbLb1EES11_EEDaSW_SX_EUlSW_E_NS1_11comp_targetILNS1_3genE10ELNS1_11target_archE1201ELNS1_3gpuE5ELNS1_3repE0EEENS1_30default_config_static_selectorELNS0_4arch9wavefront6targetE1EEEvT1_,@function
_ZN7rocprim17ROCPRIM_400000_NS6detail17trampoline_kernelINS0_14default_configENS1_27scan_by_key_config_selectorIiyEEZZNS1_16scan_by_key_implILNS1_25lookback_scan_determinismE0ELb1ES3_N6thrust23THRUST_200600_302600_NS6detail15normal_iteratorINS9_10device_ptrIiEEEENSB_INSC_IyEEEESG_yNS9_4plusIvEENS9_8equal_toIvEEyEE10hipError_tPvRmT2_T3_T4_T5_mT6_T7_P12ihipStream_tbENKUlT_T0_E_clISt17integral_constantIbLb1EES11_EEDaSW_SX_EUlSW_E_NS1_11comp_targetILNS1_3genE10ELNS1_11target_archE1201ELNS1_3gpuE5ELNS1_3repE0EEENS1_30default_config_static_selectorELNS0_4arch9wavefront6targetE1EEEvT1_: ; @_ZN7rocprim17ROCPRIM_400000_NS6detail17trampoline_kernelINS0_14default_configENS1_27scan_by_key_config_selectorIiyEEZZNS1_16scan_by_key_implILNS1_25lookback_scan_determinismE0ELb1ES3_N6thrust23THRUST_200600_302600_NS6detail15normal_iteratorINS9_10device_ptrIiEEEENSB_INSC_IyEEEESG_yNS9_4plusIvEENS9_8equal_toIvEEyEE10hipError_tPvRmT2_T3_T4_T5_mT6_T7_P12ihipStream_tbENKUlT_T0_E_clISt17integral_constantIbLb1EES11_EEDaSW_SX_EUlSW_E_NS1_11comp_targetILNS1_3genE10ELNS1_11target_archE1201ELNS1_3gpuE5ELNS1_3repE0EEENS1_30default_config_static_selectorELNS0_4arch9wavefront6targetE1EEEvT1_
; %bb.0:
	.section	.rodata,"a",@progbits
	.p2align	6, 0x0
	.amdhsa_kernel _ZN7rocprim17ROCPRIM_400000_NS6detail17trampoline_kernelINS0_14default_configENS1_27scan_by_key_config_selectorIiyEEZZNS1_16scan_by_key_implILNS1_25lookback_scan_determinismE0ELb1ES3_N6thrust23THRUST_200600_302600_NS6detail15normal_iteratorINS9_10device_ptrIiEEEENSB_INSC_IyEEEESG_yNS9_4plusIvEENS9_8equal_toIvEEyEE10hipError_tPvRmT2_T3_T4_T5_mT6_T7_P12ihipStream_tbENKUlT_T0_E_clISt17integral_constantIbLb1EES11_EEDaSW_SX_EUlSW_E_NS1_11comp_targetILNS1_3genE10ELNS1_11target_archE1201ELNS1_3gpuE5ELNS1_3repE0EEENS1_30default_config_static_selectorELNS0_4arch9wavefront6targetE1EEEvT1_
		.amdhsa_group_segment_fixed_size 0
		.amdhsa_private_segment_fixed_size 0
		.amdhsa_kernarg_size 136
		.amdhsa_user_sgpr_count 2
		.amdhsa_user_sgpr_dispatch_ptr 0
		.amdhsa_user_sgpr_queue_ptr 0
		.amdhsa_user_sgpr_kernarg_segment_ptr 1
		.amdhsa_user_sgpr_dispatch_id 0
		.amdhsa_user_sgpr_kernarg_preload_length 0
		.amdhsa_user_sgpr_kernarg_preload_offset 0
		.amdhsa_user_sgpr_private_segment_size 0
		.amdhsa_uses_dynamic_stack 0
		.amdhsa_enable_private_segment 0
		.amdhsa_system_sgpr_workgroup_id_x 1
		.amdhsa_system_sgpr_workgroup_id_y 0
		.amdhsa_system_sgpr_workgroup_id_z 0
		.amdhsa_system_sgpr_workgroup_info 0
		.amdhsa_system_vgpr_workitem_id 0
		.amdhsa_next_free_vgpr 1
		.amdhsa_next_free_sgpr 0
		.amdhsa_accum_offset 4
		.amdhsa_reserve_vcc 0
		.amdhsa_float_round_mode_32 0
		.amdhsa_float_round_mode_16_64 0
		.amdhsa_float_denorm_mode_32 3
		.amdhsa_float_denorm_mode_16_64 3
		.amdhsa_dx10_clamp 1
		.amdhsa_ieee_mode 1
		.amdhsa_fp16_overflow 0
		.amdhsa_tg_split 0
		.amdhsa_exception_fp_ieee_invalid_op 0
		.amdhsa_exception_fp_denorm_src 0
		.amdhsa_exception_fp_ieee_div_zero 0
		.amdhsa_exception_fp_ieee_overflow 0
		.amdhsa_exception_fp_ieee_underflow 0
		.amdhsa_exception_fp_ieee_inexact 0
		.amdhsa_exception_int_div_zero 0
	.end_amdhsa_kernel
	.section	.text._ZN7rocprim17ROCPRIM_400000_NS6detail17trampoline_kernelINS0_14default_configENS1_27scan_by_key_config_selectorIiyEEZZNS1_16scan_by_key_implILNS1_25lookback_scan_determinismE0ELb1ES3_N6thrust23THRUST_200600_302600_NS6detail15normal_iteratorINS9_10device_ptrIiEEEENSB_INSC_IyEEEESG_yNS9_4plusIvEENS9_8equal_toIvEEyEE10hipError_tPvRmT2_T3_T4_T5_mT6_T7_P12ihipStream_tbENKUlT_T0_E_clISt17integral_constantIbLb1EES11_EEDaSW_SX_EUlSW_E_NS1_11comp_targetILNS1_3genE10ELNS1_11target_archE1201ELNS1_3gpuE5ELNS1_3repE0EEENS1_30default_config_static_selectorELNS0_4arch9wavefront6targetE1EEEvT1_,"axG",@progbits,_ZN7rocprim17ROCPRIM_400000_NS6detail17trampoline_kernelINS0_14default_configENS1_27scan_by_key_config_selectorIiyEEZZNS1_16scan_by_key_implILNS1_25lookback_scan_determinismE0ELb1ES3_N6thrust23THRUST_200600_302600_NS6detail15normal_iteratorINS9_10device_ptrIiEEEENSB_INSC_IyEEEESG_yNS9_4plusIvEENS9_8equal_toIvEEyEE10hipError_tPvRmT2_T3_T4_T5_mT6_T7_P12ihipStream_tbENKUlT_T0_E_clISt17integral_constantIbLb1EES11_EEDaSW_SX_EUlSW_E_NS1_11comp_targetILNS1_3genE10ELNS1_11target_archE1201ELNS1_3gpuE5ELNS1_3repE0EEENS1_30default_config_static_selectorELNS0_4arch9wavefront6targetE1EEEvT1_,comdat
.Lfunc_end1473:
	.size	_ZN7rocprim17ROCPRIM_400000_NS6detail17trampoline_kernelINS0_14default_configENS1_27scan_by_key_config_selectorIiyEEZZNS1_16scan_by_key_implILNS1_25lookback_scan_determinismE0ELb1ES3_N6thrust23THRUST_200600_302600_NS6detail15normal_iteratorINS9_10device_ptrIiEEEENSB_INSC_IyEEEESG_yNS9_4plusIvEENS9_8equal_toIvEEyEE10hipError_tPvRmT2_T3_T4_T5_mT6_T7_P12ihipStream_tbENKUlT_T0_E_clISt17integral_constantIbLb1EES11_EEDaSW_SX_EUlSW_E_NS1_11comp_targetILNS1_3genE10ELNS1_11target_archE1201ELNS1_3gpuE5ELNS1_3repE0EEENS1_30default_config_static_selectorELNS0_4arch9wavefront6targetE1EEEvT1_, .Lfunc_end1473-_ZN7rocprim17ROCPRIM_400000_NS6detail17trampoline_kernelINS0_14default_configENS1_27scan_by_key_config_selectorIiyEEZZNS1_16scan_by_key_implILNS1_25lookback_scan_determinismE0ELb1ES3_N6thrust23THRUST_200600_302600_NS6detail15normal_iteratorINS9_10device_ptrIiEEEENSB_INSC_IyEEEESG_yNS9_4plusIvEENS9_8equal_toIvEEyEE10hipError_tPvRmT2_T3_T4_T5_mT6_T7_P12ihipStream_tbENKUlT_T0_E_clISt17integral_constantIbLb1EES11_EEDaSW_SX_EUlSW_E_NS1_11comp_targetILNS1_3genE10ELNS1_11target_archE1201ELNS1_3gpuE5ELNS1_3repE0EEENS1_30default_config_static_selectorELNS0_4arch9wavefront6targetE1EEEvT1_
                                        ; -- End function
	.section	.AMDGPU.csdata,"",@progbits
; Kernel info:
; codeLenInByte = 0
; NumSgprs: 6
; NumVgprs: 0
; NumAgprs: 0
; TotalNumVgprs: 0
; ScratchSize: 0
; MemoryBound: 0
; FloatMode: 240
; IeeeMode: 1
; LDSByteSize: 0 bytes/workgroup (compile time only)
; SGPRBlocks: 0
; VGPRBlocks: 0
; NumSGPRsForWavesPerEU: 6
; NumVGPRsForWavesPerEU: 1
; AccumOffset: 4
; Occupancy: 8
; WaveLimiterHint : 0
; COMPUTE_PGM_RSRC2:SCRATCH_EN: 0
; COMPUTE_PGM_RSRC2:USER_SGPR: 2
; COMPUTE_PGM_RSRC2:TRAP_HANDLER: 0
; COMPUTE_PGM_RSRC2:TGID_X_EN: 1
; COMPUTE_PGM_RSRC2:TGID_Y_EN: 0
; COMPUTE_PGM_RSRC2:TGID_Z_EN: 0
; COMPUTE_PGM_RSRC2:TIDIG_COMP_CNT: 0
; COMPUTE_PGM_RSRC3_GFX90A:ACCUM_OFFSET: 0
; COMPUTE_PGM_RSRC3_GFX90A:TG_SPLIT: 0
	.section	.text._ZN7rocprim17ROCPRIM_400000_NS6detail17trampoline_kernelINS0_14default_configENS1_27scan_by_key_config_selectorIiyEEZZNS1_16scan_by_key_implILNS1_25lookback_scan_determinismE0ELb1ES3_N6thrust23THRUST_200600_302600_NS6detail15normal_iteratorINS9_10device_ptrIiEEEENSB_INSC_IyEEEESG_yNS9_4plusIvEENS9_8equal_toIvEEyEE10hipError_tPvRmT2_T3_T4_T5_mT6_T7_P12ihipStream_tbENKUlT_T0_E_clISt17integral_constantIbLb1EES11_EEDaSW_SX_EUlSW_E_NS1_11comp_targetILNS1_3genE5ELNS1_11target_archE942ELNS1_3gpuE9ELNS1_3repE0EEENS1_30default_config_static_selectorELNS0_4arch9wavefront6targetE1EEEvT1_,"axG",@progbits,_ZN7rocprim17ROCPRIM_400000_NS6detail17trampoline_kernelINS0_14default_configENS1_27scan_by_key_config_selectorIiyEEZZNS1_16scan_by_key_implILNS1_25lookback_scan_determinismE0ELb1ES3_N6thrust23THRUST_200600_302600_NS6detail15normal_iteratorINS9_10device_ptrIiEEEENSB_INSC_IyEEEESG_yNS9_4plusIvEENS9_8equal_toIvEEyEE10hipError_tPvRmT2_T3_T4_T5_mT6_T7_P12ihipStream_tbENKUlT_T0_E_clISt17integral_constantIbLb1EES11_EEDaSW_SX_EUlSW_E_NS1_11comp_targetILNS1_3genE5ELNS1_11target_archE942ELNS1_3gpuE9ELNS1_3repE0EEENS1_30default_config_static_selectorELNS0_4arch9wavefront6targetE1EEEvT1_,comdat
	.protected	_ZN7rocprim17ROCPRIM_400000_NS6detail17trampoline_kernelINS0_14default_configENS1_27scan_by_key_config_selectorIiyEEZZNS1_16scan_by_key_implILNS1_25lookback_scan_determinismE0ELb1ES3_N6thrust23THRUST_200600_302600_NS6detail15normal_iteratorINS9_10device_ptrIiEEEENSB_INSC_IyEEEESG_yNS9_4plusIvEENS9_8equal_toIvEEyEE10hipError_tPvRmT2_T3_T4_T5_mT6_T7_P12ihipStream_tbENKUlT_T0_E_clISt17integral_constantIbLb1EES11_EEDaSW_SX_EUlSW_E_NS1_11comp_targetILNS1_3genE5ELNS1_11target_archE942ELNS1_3gpuE9ELNS1_3repE0EEENS1_30default_config_static_selectorELNS0_4arch9wavefront6targetE1EEEvT1_ ; -- Begin function _ZN7rocprim17ROCPRIM_400000_NS6detail17trampoline_kernelINS0_14default_configENS1_27scan_by_key_config_selectorIiyEEZZNS1_16scan_by_key_implILNS1_25lookback_scan_determinismE0ELb1ES3_N6thrust23THRUST_200600_302600_NS6detail15normal_iteratorINS9_10device_ptrIiEEEENSB_INSC_IyEEEESG_yNS9_4plusIvEENS9_8equal_toIvEEyEE10hipError_tPvRmT2_T3_T4_T5_mT6_T7_P12ihipStream_tbENKUlT_T0_E_clISt17integral_constantIbLb1EES11_EEDaSW_SX_EUlSW_E_NS1_11comp_targetILNS1_3genE5ELNS1_11target_archE942ELNS1_3gpuE9ELNS1_3repE0EEENS1_30default_config_static_selectorELNS0_4arch9wavefront6targetE1EEEvT1_
	.globl	_ZN7rocprim17ROCPRIM_400000_NS6detail17trampoline_kernelINS0_14default_configENS1_27scan_by_key_config_selectorIiyEEZZNS1_16scan_by_key_implILNS1_25lookback_scan_determinismE0ELb1ES3_N6thrust23THRUST_200600_302600_NS6detail15normal_iteratorINS9_10device_ptrIiEEEENSB_INSC_IyEEEESG_yNS9_4plusIvEENS9_8equal_toIvEEyEE10hipError_tPvRmT2_T3_T4_T5_mT6_T7_P12ihipStream_tbENKUlT_T0_E_clISt17integral_constantIbLb1EES11_EEDaSW_SX_EUlSW_E_NS1_11comp_targetILNS1_3genE5ELNS1_11target_archE942ELNS1_3gpuE9ELNS1_3repE0EEENS1_30default_config_static_selectorELNS0_4arch9wavefront6targetE1EEEvT1_
	.p2align	8
	.type	_ZN7rocprim17ROCPRIM_400000_NS6detail17trampoline_kernelINS0_14default_configENS1_27scan_by_key_config_selectorIiyEEZZNS1_16scan_by_key_implILNS1_25lookback_scan_determinismE0ELb1ES3_N6thrust23THRUST_200600_302600_NS6detail15normal_iteratorINS9_10device_ptrIiEEEENSB_INSC_IyEEEESG_yNS9_4plusIvEENS9_8equal_toIvEEyEE10hipError_tPvRmT2_T3_T4_T5_mT6_T7_P12ihipStream_tbENKUlT_T0_E_clISt17integral_constantIbLb1EES11_EEDaSW_SX_EUlSW_E_NS1_11comp_targetILNS1_3genE5ELNS1_11target_archE942ELNS1_3gpuE9ELNS1_3repE0EEENS1_30default_config_static_selectorELNS0_4arch9wavefront6targetE1EEEvT1_,@function
_ZN7rocprim17ROCPRIM_400000_NS6detail17trampoline_kernelINS0_14default_configENS1_27scan_by_key_config_selectorIiyEEZZNS1_16scan_by_key_implILNS1_25lookback_scan_determinismE0ELb1ES3_N6thrust23THRUST_200600_302600_NS6detail15normal_iteratorINS9_10device_ptrIiEEEENSB_INSC_IyEEEESG_yNS9_4plusIvEENS9_8equal_toIvEEyEE10hipError_tPvRmT2_T3_T4_T5_mT6_T7_P12ihipStream_tbENKUlT_T0_E_clISt17integral_constantIbLb1EES11_EEDaSW_SX_EUlSW_E_NS1_11comp_targetILNS1_3genE5ELNS1_11target_archE942ELNS1_3gpuE9ELNS1_3repE0EEENS1_30default_config_static_selectorELNS0_4arch9wavefront6targetE1EEEvT1_: ; @_ZN7rocprim17ROCPRIM_400000_NS6detail17trampoline_kernelINS0_14default_configENS1_27scan_by_key_config_selectorIiyEEZZNS1_16scan_by_key_implILNS1_25lookback_scan_determinismE0ELb1ES3_N6thrust23THRUST_200600_302600_NS6detail15normal_iteratorINS9_10device_ptrIiEEEENSB_INSC_IyEEEESG_yNS9_4plusIvEENS9_8equal_toIvEEyEE10hipError_tPvRmT2_T3_T4_T5_mT6_T7_P12ihipStream_tbENKUlT_T0_E_clISt17integral_constantIbLb1EES11_EEDaSW_SX_EUlSW_E_NS1_11comp_targetILNS1_3genE5ELNS1_11target_archE942ELNS1_3gpuE9ELNS1_3repE0EEENS1_30default_config_static_selectorELNS0_4arch9wavefront6targetE1EEEvT1_
; %bb.0:
	s_load_dwordx8 s[56:63], s[0:1], 0x0
	s_load_dwordx2 s[68:69], s[0:1], 0x20
	s_load_dwordx8 s[48:55], s[0:1], 0x30
	s_load_dwordx2 s[70:71], s[0:1], 0x50
	v_cmp_eq_u32_e64 s[46:47], 0, v0
	s_and_saveexec_b64 s[2:3], s[46:47]
	s_cbranch_execz .LBB1474_4
; %bb.1:
	s_mov_b64 s[6:7], exec
	v_mbcnt_lo_u32_b32 v1, s6, 0
	v_mbcnt_hi_u32_b32 v1, s7, v1
	v_cmp_eq_u32_e32 vcc, 0, v1
                                        ; implicit-def: $vgpr2
	s_and_saveexec_b64 s[4:5], vcc
	s_cbranch_execz .LBB1474_3
; %bb.2:
	s_load_dwordx2 s[8:9], s[0:1], 0x80
	s_bcnt1_i32_b64 s6, s[6:7]
	v_mov_b32_e32 v2, 0
	v_mov_b32_e32 v3, s6
	s_waitcnt lgkmcnt(0)
	global_atomic_add v2, v2, v3, s[8:9] sc0
.LBB1474_3:
	s_or_b64 exec, exec, s[4:5]
	s_waitcnt vmcnt(0)
	v_readfirstlane_b32 s4, v2
	v_mov_b32_e32 v2, 0
	s_nop 0
	v_add_u32_e32 v1, s4, v1
	ds_write_b32 v2, v1
.LBB1474_4:
	s_or_b64 exec, exec, s[2:3]
	s_load_dword s2, s[0:1], 0x58
	s_load_dwordx4 s[64:67], s[0:1], 0x60
	v_mov_b32_e32 v3, 0
	s_waitcnt lgkmcnt(0)
	s_lshl_b64 s[0:1], s[58:59], 2
	s_barrier
	ds_read_b32 v2, v3
	s_add_u32 s0, s56, s0
	s_addc_u32 s1, s57, s1
	s_lshl_b64 s[56:57], s[58:59], 3
	s_add_u32 s4, s60, s56
	s_mul_i32 s3, s71, s2
	s_mul_hi_u32 s6, s70, s2
	s_addc_u32 s5, s61, s57
	s_add_i32 s3, s6, s3
	s_movk_i32 s6, 0x1500
	s_waitcnt lgkmcnt(0)
	v_mul_lo_u32 v4, v2, s6
	v_mov_b32_e32 v5, v3
	v_lshlrev_b64 v[6:7], 2, v[4:5]
	v_lshlrev_b64 v[42:43], 3, v[4:5]
	s_mul_i32 s2, s70, s2
	v_lshl_add_u64 v[8:9], s[0:1], 0, v[6:7]
	v_lshl_add_u64 v[6:7], s[4:5], 0, v[42:43]
	s_add_u32 s4, s64, -1
	v_readfirstlane_b32 s55, v2
	v_lshl_add_u64 v[2:3], s[2:3], 0, v[2:3]
	s_addc_u32 s5, s65, -1
	v_cmp_le_u64_e64 s[2:3], s[4:5], v[2:3]
	s_mov_b64 s[0:1], -1
	s_and_b64 vcc, exec, s[2:3]
	s_mul_i32 s33, s4, 0xffffeb00
	s_barrier
	s_barrier
	s_cbranch_vccz .LBB1474_69
; %bb.5:
	flat_load_dword v2, v[8:9]
	s_add_i32 s64, s33, s54
	v_cmp_gt_u32_e32 vcc, s64, v0
	s_waitcnt vmcnt(0) lgkmcnt(0)
	v_mov_b32_e32 v4, v2
	s_and_saveexec_b64 s[0:1], vcc
	s_cbranch_execz .LBB1474_7
; %bb.6:
	v_lshlrev_b32_e32 v4, 2, v0
	v_mov_b32_e32 v5, 0
	v_lshl_add_u64 v[4:5], v[8:9], 0, v[4:5]
	flat_load_dword v4, v[4:5]
.LBB1474_7:
	s_or_b64 exec, exec, s[0:1]
	v_or_b32_e32 v1, 0x100, v0
	v_cmp_gt_u32_e64 s[4:5], s64, v1
	v_mov_b32_e32 v5, v2
	s_and_saveexec_b64 s[0:1], s[4:5]
	s_cbranch_execz .LBB1474_9
; %bb.8:
	v_lshlrev_b32_e32 v10, 2, v0
	v_mov_b32_e32 v11, 0
	v_lshl_add_u64 v[10:11], v[8:9], 0, v[10:11]
	flat_load_dword v5, v[10:11] offset:1024
.LBB1474_9:
	s_or_b64 exec, exec, s[0:1]
	v_or_b32_e32 v1, 0x200, v0
	v_cmp_gt_u32_e64 s[6:7], s64, v1
	v_mov_b32_e32 v10, v2
	s_and_saveexec_b64 s[0:1], s[6:7]
	s_cbranch_execz .LBB1474_11
; %bb.10:
	v_lshlrev_b32_e32 v10, 2, v0
	v_mov_b32_e32 v11, 0
	v_lshl_add_u64 v[10:11], v[8:9], 0, v[10:11]
	flat_load_dword v10, v[10:11] offset:2048
.LBB1474_11:
	;; [unrolled: 12-line block ×3, first 2 shown]
	s_or_b64 exec, exec, s[0:1]
	v_or_b32_e32 v36, 0x400, v0
	v_cmp_gt_u32_e64 s[10:11], s64, v36
	v_mov_b32_e32 v12, v2
	s_and_saveexec_b64 s[0:1], s[10:11]
	s_cbranch_execz .LBB1474_15
; %bb.14:
	v_lshlrev_b32_e32 v12, 2, v36
	v_mov_b32_e32 v13, 0
	v_lshl_add_u64 v[12:13], v[8:9], 0, v[12:13]
	flat_load_dword v12, v[12:13]
.LBB1474_15:
	s_or_b64 exec, exec, s[0:1]
	v_or_b32_e32 v38, 0x500, v0
	v_cmp_gt_u32_e64 s[12:13], s64, v38
	v_mov_b32_e32 v13, v2
	s_and_saveexec_b64 s[0:1], s[12:13]
	s_cbranch_execz .LBB1474_17
; %bb.16:
	v_lshlrev_b32_e32 v14, 2, v38
	v_mov_b32_e32 v15, 0
	v_lshl_add_u64 v[14:15], v[8:9], 0, v[14:15]
	flat_load_dword v13, v[14:15]
.LBB1474_17:
	;; [unrolled: 12-line block ×16, first 2 shown]
	s_or_b64 exec, exec, s[0:1]
	v_or_b32_e32 v70, 0x1400, v0
	v_cmp_gt_u32_e64 s[44:45], s64, v70
	v_mov_b32_e32 v3, 0
	s_and_saveexec_b64 s[0:1], s[44:45]
	s_cbranch_execz .LBB1474_47
; %bb.46:
	v_lshlrev_b32_e32 v2, 2, v70
	v_lshl_add_u64 v[2:3], v[8:9], 0, v[2:3]
	flat_load_dword v2, v[2:3]
.LBB1474_47:
	s_or_b64 exec, exec, s[0:1]
	v_lshlrev_b32_e32 v3, 2, v0
	s_waitcnt vmcnt(0) lgkmcnt(0)
	ds_write2st64_b32 v3, v4, v5 offset1:4
	ds_write2st64_b32 v3, v10, v11 offset0:8 offset1:12
	ds_write2st64_b32 v3, v12, v13 offset0:16 offset1:20
	;; [unrolled: 1-line block ×9, first 2 shown]
	ds_write_b32 v3, v2 offset:20480
	s_waitcnt lgkmcnt(0)
	s_barrier
	flat_load_dword v82, v[8:9]
	s_movk_i32 s0, 0x50
	v_mad_u32_u24 v2, v0, s0, v3
	s_movk_i32 s0, 0xffb0
	v_mad_i32_i24 v71, v0, s0, v2
	s_movk_i32 s0, 0xff
	v_cmp_ne_u32_e64 s[0:1], s0, v0
	ds_read_b32 v84, v2
	ds_read2_b32 v[28:29], v2 offset0:1 offset1:2
	ds_read2_b32 v[26:27], v2 offset0:3 offset1:4
	;; [unrolled: 1-line block ×10, first 2 shown]
	s_waitcnt lgkmcnt(0)
	ds_write_b32 v71, v84 offset:22528
	s_waitcnt lgkmcnt(0)
	s_barrier
	s_and_saveexec_b64 s[58:59], s[0:1]
	s_cbranch_execz .LBB1474_49
; %bb.48:
	s_waitcnt vmcnt(0)
	ds_read_b32 v82, v3 offset:22532
.LBB1474_49:
	s_or_b64 exec, exec, s[58:59]
	v_mov_b32_e32 v5, 0
	s_waitcnt lgkmcnt(0)
	s_barrier
	s_waitcnt lgkmcnt(0)
                                        ; implicit-def: $vgpr2_vgpr3
	s_and_saveexec_b64 s[0:1], vcc
	s_cbranch_execz .LBB1474_70
; %bb.50:
	v_lshlrev_b32_e32 v4, 3, v0
	v_lshl_add_u64 v[2:3], v[6:7], 0, v[4:5]
	flat_load_dwordx2 v[2:3], v[2:3]
	s_or_b64 exec, exec, s[0:1]
                                        ; implicit-def: $vgpr4_vgpr5
	s_and_saveexec_b64 s[0:1], s[4:5]
	s_cbranch_execnz .LBB1474_71
.LBB1474_51:
	s_or_b64 exec, exec, s[0:1]
                                        ; implicit-def: $vgpr30_vgpr31
	s_and_saveexec_b64 s[0:1], s[6:7]
	s_cbranch_execz .LBB1474_72
.LBB1474_52:
	v_lshlrev_b32_e32 v30, 3, v1
	v_mov_b32_e32 v31, 0
	v_lshl_add_u64 v[30:31], v[6:7], 0, v[30:31]
	flat_load_dwordx2 v[30:31], v[30:31]
	s_or_b64 exec, exec, s[0:1]
                                        ; implicit-def: $vgpr32_vgpr33
	s_and_saveexec_b64 s[0:1], s[8:9]
	s_cbranch_execnz .LBB1474_73
.LBB1474_53:
	s_or_b64 exec, exec, s[0:1]
                                        ; implicit-def: $vgpr34_vgpr35
	s_and_saveexec_b64 s[0:1], s[10:11]
	s_cbranch_execz .LBB1474_74
.LBB1474_54:
	v_lshlrev_b32_e32 v34, 3, v36
	v_mov_b32_e32 v35, 0
	v_lshl_add_u64 v[34:35], v[6:7], 0, v[34:35]
	flat_load_dwordx2 v[34:35], v[34:35]
	s_or_b64 exec, exec, s[0:1]
                                        ; implicit-def: $vgpr36_vgpr37
	s_and_saveexec_b64 s[0:1], s[12:13]
	s_cbranch_execnz .LBB1474_75
.LBB1474_55:
	s_or_b64 exec, exec, s[0:1]
                                        ; implicit-def: $vgpr38_vgpr39
	s_and_saveexec_b64 s[0:1], s[14:15]
	s_cbranch_execz .LBB1474_76
.LBB1474_56:
	v_lshlrev_b32_e32 v38, 3, v40
	v_mov_b32_e32 v39, 0
	v_lshl_add_u64 v[38:39], v[6:7], 0, v[38:39]
	flat_load_dwordx2 v[38:39], v[38:39]
	s_or_b64 exec, exec, s[0:1]
                                        ; implicit-def: $vgpr40_vgpr41
	s_and_saveexec_b64 s[0:1], s[16:17]
	s_cbranch_execnz .LBB1474_77
.LBB1474_57:
	s_or_b64 exec, exec, s[0:1]
                                        ; implicit-def: $vgpr44_vgpr45
	s_and_saveexec_b64 s[0:1], s[18:19]
	s_cbranch_execz .LBB1474_78
.LBB1474_58:
	v_lshlrev_b32_e32 v44, 3, v46
	v_mov_b32_e32 v45, 0
	v_lshl_add_u64 v[44:45], v[6:7], 0, v[44:45]
	flat_load_dwordx2 v[44:45], v[44:45]
	s_or_b64 exec, exec, s[0:1]
                                        ; implicit-def: $vgpr46_vgpr47
	s_and_saveexec_b64 s[0:1], s[20:21]
	s_cbranch_execnz .LBB1474_79
.LBB1474_59:
	s_or_b64 exec, exec, s[0:1]
                                        ; implicit-def: $vgpr48_vgpr49
	s_and_saveexec_b64 s[0:1], s[22:23]
	s_cbranch_execz .LBB1474_80
.LBB1474_60:
	v_lshlrev_b32_e32 v48, 3, v50
	v_mov_b32_e32 v49, 0
	v_lshl_add_u64 v[48:49], v[6:7], 0, v[48:49]
	flat_load_dwordx2 v[48:49], v[48:49]
	s_or_b64 exec, exec, s[0:1]
                                        ; implicit-def: $vgpr50_vgpr51
	s_and_saveexec_b64 s[0:1], s[24:25]
	s_cbranch_execnz .LBB1474_81
.LBB1474_61:
	s_or_b64 exec, exec, s[0:1]
                                        ; implicit-def: $vgpr52_vgpr53
	s_and_saveexec_b64 s[0:1], s[26:27]
	s_cbranch_execz .LBB1474_82
.LBB1474_62:
	v_lshlrev_b32_e32 v52, 3, v54
	v_mov_b32_e32 v53, 0
	v_lshl_add_u64 v[52:53], v[6:7], 0, v[52:53]
	flat_load_dwordx2 v[52:53], v[52:53]
	s_or_b64 exec, exec, s[0:1]
                                        ; implicit-def: $vgpr54_vgpr55
	s_and_saveexec_b64 s[0:1], s[28:29]
	s_cbranch_execnz .LBB1474_83
.LBB1474_63:
	s_or_b64 exec, exec, s[0:1]
                                        ; implicit-def: $vgpr56_vgpr57
	s_and_saveexec_b64 s[0:1], s[30:31]
	s_cbranch_execz .LBB1474_84
.LBB1474_64:
	v_lshlrev_b32_e32 v56, 3, v58
	v_mov_b32_e32 v57, 0
	v_lshl_add_u64 v[56:57], v[6:7], 0, v[56:57]
	flat_load_dwordx2 v[56:57], v[56:57]
	s_or_b64 exec, exec, s[0:1]
                                        ; implicit-def: $vgpr58_vgpr59
	s_and_saveexec_b64 s[0:1], s[34:35]
	s_cbranch_execnz .LBB1474_85
.LBB1474_65:
	s_or_b64 exec, exec, s[0:1]
                                        ; implicit-def: $vgpr60_vgpr61
	s_and_saveexec_b64 s[0:1], s[36:37]
	s_cbranch_execz .LBB1474_86
.LBB1474_66:
	v_lshlrev_b32_e32 v60, 3, v62
	v_mov_b32_e32 v61, 0
	v_lshl_add_u64 v[60:61], v[6:7], 0, v[60:61]
	flat_load_dwordx2 v[60:61], v[60:61]
	s_or_b64 exec, exec, s[0:1]
                                        ; implicit-def: $vgpr62_vgpr63
	s_and_saveexec_b64 s[0:1], s[38:39]
	s_cbranch_execnz .LBB1474_87
.LBB1474_67:
	s_or_b64 exec, exec, s[0:1]
                                        ; implicit-def: $vgpr64_vgpr65
	s_and_saveexec_b64 s[0:1], s[40:41]
	s_cbranch_execz .LBB1474_88
.LBB1474_68:
	v_lshlrev_b32_e32 v64, 3, v66
	v_mov_b32_e32 v65, 0
	v_lshl_add_u64 v[64:65], v[6:7], 0, v[64:65]
	flat_load_dwordx2 v[64:65], v[64:65]
	s_or_b64 exec, exec, s[0:1]
                                        ; implicit-def: $vgpr66_vgpr67
	s_and_saveexec_b64 s[0:1], s[42:43]
	s_cbranch_execz .LBB1474_90
	s_branch .LBB1474_89
.LBB1474_69:
	s_mov_b64 s[8:9], 0
                                        ; implicit-def: $sgpr6_sgpr7
                                        ; implicit-def: $vgpr2_vgpr3
                                        ; implicit-def: $vgpr44_vgpr45
                                        ; implicit-def: $vgpr108
                                        ; implicit-def: $vgpr40_vgpr41
                                        ; implicit-def: $vgpr124
                                        ; implicit-def: $vgpr80_vgpr81
                                        ; implicit-def: $vgpr123
                                        ; implicit-def: $vgpr78_vgpr79
                                        ; implicit-def: $vgpr122
                                        ; implicit-def: $vgpr76_vgpr77
                                        ; implicit-def: $vgpr121
                                        ; implicit-def: $vgpr74_vgpr75
                                        ; implicit-def: $vgpr120
                                        ; implicit-def: $vgpr72_vgpr73
                                        ; implicit-def: $vgpr119
                                        ; implicit-def: $vgpr70_vgpr71
                                        ; implicit-def: $vgpr118
                                        ; implicit-def: $vgpr68_vgpr69
                                        ; implicit-def: $vgpr117
                                        ; implicit-def: $vgpr66_vgpr67
                                        ; implicit-def: $vgpr116
                                        ; implicit-def: $vgpr64_vgpr65
                                        ; implicit-def: $vgpr115
                                        ; implicit-def: $vgpr62_vgpr63
                                        ; implicit-def: $vgpr114
                                        ; implicit-def: $vgpr60_vgpr61
                                        ; implicit-def: $vgpr113
                                        ; implicit-def: $vgpr58_vgpr59
                                        ; implicit-def: $vgpr112
                                        ; implicit-def: $vgpr56_vgpr57
                                        ; implicit-def: $vgpr111
                                        ; implicit-def: $vgpr54_vgpr55
                                        ; implicit-def: $vgpr110
                                        ; implicit-def: $vgpr52_vgpr53
                                        ; implicit-def: $vgpr109
                                        ; implicit-def: $vgpr50_vgpr51
                                        ; implicit-def: $vgpr107
                                        ; implicit-def: $vgpr48_vgpr49
                                        ; implicit-def: $vgpr106
                                        ; implicit-def: $vgpr46_vgpr47
                                        ; implicit-def: $vgpr1
                                        ; implicit-def: $sgpr72
                                        ; implicit-def: $sgpr4_sgpr5
	s_and_b64 vcc, exec, s[0:1]
	s_cbranch_vccz .LBB1474_140
	s_branch .LBB1474_135
.LBB1474_70:
	s_or_b64 exec, exec, s[0:1]
                                        ; implicit-def: $vgpr4_vgpr5
	s_and_saveexec_b64 s[0:1], s[4:5]
	s_cbranch_execz .LBB1474_51
.LBB1474_71:
	v_lshlrev_b32_e32 v4, 3, v0
	v_mov_b32_e32 v5, 0
	v_lshl_add_u64 v[4:5], v[6:7], 0, v[4:5]
	flat_load_dwordx2 v[4:5], v[4:5] offset:2048
	s_or_b64 exec, exec, s[0:1]
                                        ; implicit-def: $vgpr30_vgpr31
	s_and_saveexec_b64 s[0:1], s[6:7]
	s_cbranch_execnz .LBB1474_52
.LBB1474_72:
	s_or_b64 exec, exec, s[0:1]
                                        ; implicit-def: $vgpr32_vgpr33
	s_and_saveexec_b64 s[0:1], s[8:9]
	s_cbranch_execz .LBB1474_53
.LBB1474_73:
	v_lshlrev_b32_e32 v32, 3, v34
	v_mov_b32_e32 v33, 0
	v_lshl_add_u64 v[32:33], v[6:7], 0, v[32:33]
	flat_load_dwordx2 v[32:33], v[32:33]
	s_or_b64 exec, exec, s[0:1]
                                        ; implicit-def: $vgpr34_vgpr35
	s_and_saveexec_b64 s[0:1], s[10:11]
	s_cbranch_execnz .LBB1474_54
.LBB1474_74:
	s_or_b64 exec, exec, s[0:1]
                                        ; implicit-def: $vgpr36_vgpr37
	s_and_saveexec_b64 s[0:1], s[12:13]
	s_cbranch_execz .LBB1474_55
.LBB1474_75:
	v_lshlrev_b32_e32 v36, 3, v38
	v_mov_b32_e32 v37, 0
	v_lshl_add_u64 v[36:37], v[6:7], 0, v[36:37]
	flat_load_dwordx2 v[36:37], v[36:37]
	s_or_b64 exec, exec, s[0:1]
                                        ; implicit-def: $vgpr38_vgpr39
	s_and_saveexec_b64 s[0:1], s[14:15]
	s_cbranch_execnz .LBB1474_56
.LBB1474_76:
	s_or_b64 exec, exec, s[0:1]
                                        ; implicit-def: $vgpr40_vgpr41
	s_and_saveexec_b64 s[0:1], s[16:17]
	s_cbranch_execz .LBB1474_57
.LBB1474_77:
	v_lshlrev_b32_e32 v40, 3, v44
	v_mov_b32_e32 v41, 0
	v_lshl_add_u64 v[40:41], v[6:7], 0, v[40:41]
	flat_load_dwordx2 v[40:41], v[40:41]
	s_or_b64 exec, exec, s[0:1]
                                        ; implicit-def: $vgpr44_vgpr45
	s_and_saveexec_b64 s[0:1], s[18:19]
	s_cbranch_execnz .LBB1474_58
.LBB1474_78:
	s_or_b64 exec, exec, s[0:1]
                                        ; implicit-def: $vgpr46_vgpr47
	s_and_saveexec_b64 s[0:1], s[20:21]
	s_cbranch_execz .LBB1474_59
.LBB1474_79:
	v_lshlrev_b32_e32 v46, 3, v48
	v_mov_b32_e32 v47, 0
	v_lshl_add_u64 v[46:47], v[6:7], 0, v[46:47]
	flat_load_dwordx2 v[46:47], v[46:47]
	s_or_b64 exec, exec, s[0:1]
                                        ; implicit-def: $vgpr48_vgpr49
	s_and_saveexec_b64 s[0:1], s[22:23]
	s_cbranch_execnz .LBB1474_60
.LBB1474_80:
	s_or_b64 exec, exec, s[0:1]
                                        ; implicit-def: $vgpr50_vgpr51
	s_and_saveexec_b64 s[0:1], s[24:25]
	s_cbranch_execz .LBB1474_61
.LBB1474_81:
	v_lshlrev_b32_e32 v50, 3, v52
	v_mov_b32_e32 v51, 0
	v_lshl_add_u64 v[50:51], v[6:7], 0, v[50:51]
	flat_load_dwordx2 v[50:51], v[50:51]
	s_or_b64 exec, exec, s[0:1]
                                        ; implicit-def: $vgpr52_vgpr53
	s_and_saveexec_b64 s[0:1], s[26:27]
	s_cbranch_execnz .LBB1474_62
.LBB1474_82:
	s_or_b64 exec, exec, s[0:1]
                                        ; implicit-def: $vgpr54_vgpr55
	s_and_saveexec_b64 s[0:1], s[28:29]
	s_cbranch_execz .LBB1474_63
.LBB1474_83:
	v_lshlrev_b32_e32 v54, 3, v56
	v_mov_b32_e32 v55, 0
	v_lshl_add_u64 v[54:55], v[6:7], 0, v[54:55]
	flat_load_dwordx2 v[54:55], v[54:55]
	s_or_b64 exec, exec, s[0:1]
                                        ; implicit-def: $vgpr56_vgpr57
	s_and_saveexec_b64 s[0:1], s[30:31]
	s_cbranch_execnz .LBB1474_64
.LBB1474_84:
	s_or_b64 exec, exec, s[0:1]
                                        ; implicit-def: $vgpr58_vgpr59
	s_and_saveexec_b64 s[0:1], s[34:35]
	s_cbranch_execz .LBB1474_65
.LBB1474_85:
	v_lshlrev_b32_e32 v58, 3, v60
	v_mov_b32_e32 v59, 0
	v_lshl_add_u64 v[58:59], v[6:7], 0, v[58:59]
	flat_load_dwordx2 v[58:59], v[58:59]
	s_or_b64 exec, exec, s[0:1]
                                        ; implicit-def: $vgpr60_vgpr61
	s_and_saveexec_b64 s[0:1], s[36:37]
	s_cbranch_execnz .LBB1474_66
.LBB1474_86:
	s_or_b64 exec, exec, s[0:1]
                                        ; implicit-def: $vgpr62_vgpr63
	s_and_saveexec_b64 s[0:1], s[38:39]
	s_cbranch_execz .LBB1474_67
.LBB1474_87:
	v_lshlrev_b32_e32 v62, 3, v64
	v_mov_b32_e32 v63, 0
	v_lshl_add_u64 v[62:63], v[6:7], 0, v[62:63]
	flat_load_dwordx2 v[62:63], v[62:63]
	s_or_b64 exec, exec, s[0:1]
                                        ; implicit-def: $vgpr64_vgpr65
	s_and_saveexec_b64 s[0:1], s[40:41]
	s_cbranch_execnz .LBB1474_68
.LBB1474_88:
	s_or_b64 exec, exec, s[0:1]
                                        ; implicit-def: $vgpr66_vgpr67
	s_and_saveexec_b64 s[0:1], s[42:43]
	s_cbranch_execz .LBB1474_90
.LBB1474_89:
	v_lshlrev_b32_e32 v66, 3, v68
	v_mov_b32_e32 v67, 0
	v_lshl_add_u64 v[66:67], v[6:7], 0, v[66:67]
	flat_load_dwordx2 v[66:67], v[66:67]
.LBB1474_90:
	s_or_b64 exec, exec, s[0:1]
	v_mul_u32_u24_e32 v83, 21, v0
                                        ; implicit-def: $vgpr68_vgpr69
	s_and_saveexec_b64 s[0:1], s[44:45]
	s_cbranch_execz .LBB1474_92
; %bb.91:
	v_lshlrev_b32_e32 v68, 3, v70
	v_mov_b32_e32 v69, 0
	v_lshl_add_u64 v[68:69], v[6:7], 0, v[68:69]
	flat_load_dwordx2 v[68:69], v[68:69]
.LBB1474_92:
	s_or_b64 exec, exec, s[0:1]
	v_lshl_add_u32 v85, v0, 2, v71
	s_waitcnt vmcnt(0) lgkmcnt(0)
	ds_write2st64_b64 v85, v[2:3], v[4:5] offset1:4
	ds_write2st64_b64 v85, v[30:31], v[32:33] offset0:8 offset1:12
	ds_write2st64_b64 v85, v[34:35], v[36:37] offset0:16 offset1:20
	;; [unrolled: 1-line block ×9, first 2 shown]
	ds_write_b64 v85, v[68:69] offset:40960
	v_mov_b64_e32 v[44:45], 0
	v_cmp_gt_u32_e32 vcc, s64, v83
	s_mov_b64 s[8:9], 0
	s_mov_b32 s72, 0
	s_mov_b64 s[0:1], 0
	v_mov_b32_e32 v108, 0
	v_mov_b64_e32 v[40:41], v[44:45]
	v_mov_b32_e32 v124, 0
	v_mov_b64_e32 v[80:81], v[44:45]
	v_mov_b32_e32 v123, 0
	v_mov_b64_e32 v[78:79], v[44:45]
	v_mov_b32_e32 v122, 0
	v_mov_b64_e32 v[76:77], v[44:45]
	v_mov_b32_e32 v121, 0
	v_mov_b64_e32 v[74:75], v[44:45]
	v_mov_b32_e32 v120, 0
	v_mov_b64_e32 v[72:73], v[44:45]
	v_mov_b32_e32 v119, 0
	v_mov_b64_e32 v[70:71], v[44:45]
	v_mov_b32_e32 v118, 0
	v_mov_b64_e32 v[68:69], v[44:45]
	v_mov_b32_e32 v117, 0
	v_mov_b64_e32 v[66:67], v[44:45]
	v_mov_b32_e32 v116, 0
	v_mov_b64_e32 v[64:65], v[44:45]
	v_mov_b32_e32 v115, 0
	v_mov_b64_e32 v[62:63], v[44:45]
	v_mov_b32_e32 v114, 0
	v_mov_b64_e32 v[60:61], v[44:45]
	v_mov_b32_e32 v113, 0
	v_mov_b64_e32 v[58:59], v[44:45]
	v_mov_b32_e32 v112, 0
	v_mov_b64_e32 v[56:57], v[44:45]
	v_mov_b32_e32 v111, 0
	v_mov_b64_e32 v[54:55], v[44:45]
	v_mov_b32_e32 v110, 0
	v_mov_b64_e32 v[52:53], v[44:45]
	v_mov_b32_e32 v109, 0
	v_mov_b64_e32 v[50:51], v[44:45]
	v_mov_b32_e32 v107, 0
	v_mov_b64_e32 v[48:49], v[44:45]
	v_mov_b32_e32 v106, 0
	v_mov_b64_e32 v[46:47], v[44:45]
	v_mov_b32_e32 v1, 0
	s_waitcnt lgkmcnt(0)
	s_barrier
	s_waitcnt lgkmcnt(0)
                                        ; implicit-def: $sgpr6_sgpr7
                                        ; implicit-def: $vgpr2_vgpr3
	s_and_saveexec_b64 s[4:5], vcc
	s_cbranch_execz .LBB1474_134
; %bb.93:
	s_movk_i32 s6, 0xa0
	v_mad_u32_u24 v1, v0, s6, v85
	ds_read_b64 v[2:3], v1
	v_cmp_ne_u32_e32 vcc, v84, v28
	v_mov_b32_e32 v5, s69
	v_add_u32_e32 v4, 1, v83
	v_mov_b64_e32 v[40:41], 0
	s_waitcnt lgkmcnt(0)
	v_cndmask_b32_e32 v45, v3, v5, vcc
	v_mov_b32_e32 v3, s68
	v_cndmask_b32_e64 v1, 0, 1, vcc
	v_cndmask_b32_e32 v44, v2, v3, vcc
	v_cmp_gt_u32_e32 vcc, s64, v4
	s_mov_b64 s[10:11], 0
	v_mov_b32_e32 v108, 0
	v_mov_b32_e32 v124, 0
	v_mov_b64_e32 v[80:81], v[40:41]
	v_mov_b32_e32 v123, 0
	v_mov_b64_e32 v[78:79], v[40:41]
	;; [unrolled: 2-line block ×18, first 2 shown]
                                        ; implicit-def: $sgpr12_sgpr13
                                        ; implicit-def: $vgpr2_vgpr3
	s_and_saveexec_b64 s[6:7], vcc
	s_cbranch_execz .LBB1474_133
; %bb.94:
	v_mul_u32_u24_e32 v2, 0xa0, v0
	v_add_u32_e32 v30, v85, v2
	ds_read2_b64 v[2:5], v30 offset0:1 offset1:2
	v_cmp_ne_u32_e32 vcc, v28, v29
	v_mov_b32_e32 v28, s69
	v_add_u32_e32 v31, 2, v83
	v_mov_b64_e32 v[40:41], 0
	s_waitcnt lgkmcnt(0)
	v_cndmask_b32_e32 v47, v3, v28, vcc
	v_mov_b32_e32 v3, s68
	v_cndmask_b32_e64 v106, 0, 1, vcc
	v_cndmask_b32_e32 v46, v2, v3, vcc
	v_cmp_gt_u32_e32 vcc, s64, v31
	s_mov_b64 s[12:13], 0
	v_mov_b32_e32 v108, 0
	v_mov_b32_e32 v124, 0
	v_mov_b64_e32 v[80:81], v[40:41]
	v_mov_b32_e32 v123, 0
	v_mov_b64_e32 v[78:79], v[40:41]
	;; [unrolled: 2-line block ×17, first 2 shown]
                                        ; implicit-def: $sgpr14_sgpr15
                                        ; implicit-def: $vgpr2_vgpr3
	s_and_saveexec_b64 s[8:9], vcc
	s_cbranch_execz .LBB1474_132
; %bb.95:
	v_cmp_ne_u32_e32 vcc, v29, v26
	v_mov_b32_e32 v3, s69
	v_add_u32_e32 v2, 3, v83
	v_cndmask_b32_e32 v49, v5, v3, vcc
	v_mov_b32_e32 v3, s68
	v_mov_b64_e32 v[40:41], 0
	v_cndmask_b32_e64 v107, 0, 1, vcc
	v_cndmask_b32_e32 v48, v4, v3, vcc
	v_cmp_gt_u32_e32 vcc, s64, v2
	s_mov_b64 s[14:15], 0
	v_mov_b32_e32 v108, 0
	v_mov_b32_e32 v124, 0
	v_mov_b64_e32 v[80:81], v[40:41]
	v_mov_b32_e32 v123, 0
	v_mov_b64_e32 v[78:79], v[40:41]
	;; [unrolled: 2-line block ×16, first 2 shown]
                                        ; implicit-def: $sgpr16_sgpr17
                                        ; implicit-def: $vgpr2_vgpr3
	s_and_saveexec_b64 s[10:11], vcc
	s_cbranch_execz .LBB1474_131
; %bb.96:
	ds_read2_b64 v[2:5], v30 offset0:3 offset1:4
	v_cmp_ne_u32_e32 vcc, v26, v27
	v_mov_b32_e32 v26, s69
	v_add_u32_e32 v28, 4, v83
	v_mov_b64_e32 v[40:41], 0
	s_waitcnt lgkmcnt(0)
	v_cndmask_b32_e32 v51, v3, v26, vcc
	v_mov_b32_e32 v3, s68
	v_cndmask_b32_e64 v109, 0, 1, vcc
	v_cndmask_b32_e32 v50, v2, v3, vcc
	v_cmp_gt_u32_e32 vcc, s64, v28
	s_mov_b64 s[16:17], 0
	v_mov_b32_e32 v108, 0
	v_mov_b32_e32 v124, 0
	v_mov_b64_e32 v[80:81], v[40:41]
	v_mov_b32_e32 v123, 0
	v_mov_b64_e32 v[78:79], v[40:41]
	;; [unrolled: 2-line block ×15, first 2 shown]
                                        ; implicit-def: $sgpr18_sgpr19
                                        ; implicit-def: $vgpr2_vgpr3
	s_and_saveexec_b64 s[12:13], vcc
	s_cbranch_execz .LBB1474_130
; %bb.97:
	v_cmp_ne_u32_e32 vcc, v27, v24
	v_mov_b32_e32 v3, s69
	v_add_u32_e32 v2, 5, v83
	v_cndmask_b32_e32 v53, v5, v3, vcc
	v_mov_b32_e32 v3, s68
	v_mov_b64_e32 v[40:41], 0
	v_cndmask_b32_e64 v110, 0, 1, vcc
	v_cndmask_b32_e32 v52, v4, v3, vcc
	v_cmp_gt_u32_e32 vcc, s64, v2
	s_mov_b64 s[18:19], 0
	v_mov_b32_e32 v108, 0
	v_mov_b32_e32 v124, 0
	v_mov_b64_e32 v[80:81], v[40:41]
	v_mov_b32_e32 v123, 0
	v_mov_b64_e32 v[78:79], v[40:41]
	;; [unrolled: 2-line block ×14, first 2 shown]
                                        ; implicit-def: $sgpr20_sgpr21
                                        ; implicit-def: $vgpr2_vgpr3
	s_and_saveexec_b64 s[14:15], vcc
	s_cbranch_execz .LBB1474_129
; %bb.98:
	ds_read2_b64 v[2:5], v30 offset0:5 offset1:6
	v_cmp_ne_u32_e32 vcc, v24, v25
	v_mov_b32_e32 v24, s69
	v_add_u32_e32 v26, 6, v83
	v_mov_b64_e32 v[40:41], 0
	s_waitcnt lgkmcnt(0)
	v_cndmask_b32_e32 v55, v3, v24, vcc
	v_mov_b32_e32 v3, s68
	v_cndmask_b32_e64 v111, 0, 1, vcc
	v_cndmask_b32_e32 v54, v2, v3, vcc
	v_cmp_gt_u32_e32 vcc, s64, v26
	s_mov_b64 s[20:21], 0
	v_mov_b32_e32 v108, 0
	v_mov_b32_e32 v124, 0
	v_mov_b64_e32 v[80:81], v[40:41]
	v_mov_b32_e32 v123, 0
	v_mov_b64_e32 v[78:79], v[40:41]
	;; [unrolled: 2-line block ×13, first 2 shown]
                                        ; implicit-def: $sgpr22_sgpr23
                                        ; implicit-def: $vgpr2_vgpr3
	s_and_saveexec_b64 s[16:17], vcc
	s_cbranch_execz .LBB1474_128
; %bb.99:
	v_cmp_ne_u32_e32 vcc, v25, v22
	v_mov_b32_e32 v3, s69
	v_add_u32_e32 v2, 7, v83
	v_cndmask_b32_e32 v57, v5, v3, vcc
	v_mov_b32_e32 v3, s68
	v_mov_b64_e32 v[40:41], 0
	v_cndmask_b32_e64 v112, 0, 1, vcc
	v_cndmask_b32_e32 v56, v4, v3, vcc
	v_cmp_gt_u32_e32 vcc, s64, v2
	s_mov_b64 s[22:23], 0
	v_mov_b32_e32 v108, 0
	v_mov_b32_e32 v124, 0
	v_mov_b64_e32 v[80:81], v[40:41]
	v_mov_b32_e32 v123, 0
	v_mov_b64_e32 v[78:79], v[40:41]
	;; [unrolled: 2-line block ×12, first 2 shown]
                                        ; implicit-def: $sgpr24_sgpr25
                                        ; implicit-def: $vgpr2_vgpr3
	s_and_saveexec_b64 s[18:19], vcc
	s_cbranch_execz .LBB1474_127
; %bb.100:
	ds_read2_b64 v[2:5], v30 offset0:7 offset1:8
	v_cmp_ne_u32_e32 vcc, v22, v23
	v_mov_b32_e32 v22, s69
	v_add_u32_e32 v24, 8, v83
	v_mov_b64_e32 v[40:41], 0
	s_waitcnt lgkmcnt(0)
	v_cndmask_b32_e32 v59, v3, v22, vcc
	v_mov_b32_e32 v3, s68
	v_cndmask_b32_e64 v113, 0, 1, vcc
	v_cndmask_b32_e32 v58, v2, v3, vcc
	v_cmp_gt_u32_e32 vcc, s64, v24
	s_mov_b64 s[24:25], 0
	v_mov_b32_e32 v108, 0
	v_mov_b32_e32 v124, 0
	v_mov_b64_e32 v[80:81], v[40:41]
	v_mov_b32_e32 v123, 0
	v_mov_b64_e32 v[78:79], v[40:41]
	;; [unrolled: 2-line block ×11, first 2 shown]
                                        ; implicit-def: $sgpr26_sgpr27
                                        ; implicit-def: $vgpr2_vgpr3
	s_and_saveexec_b64 s[20:21], vcc
	s_cbranch_execz .LBB1474_126
; %bb.101:
	v_cmp_ne_u32_e32 vcc, v23, v20
	v_mov_b32_e32 v3, s69
	v_add_u32_e32 v2, 9, v83
	v_cndmask_b32_e32 v61, v5, v3, vcc
	v_mov_b32_e32 v3, s68
	v_mov_b64_e32 v[40:41], 0
	v_cndmask_b32_e64 v114, 0, 1, vcc
	v_cndmask_b32_e32 v60, v4, v3, vcc
	v_cmp_gt_u32_e32 vcc, s64, v2
	s_mov_b64 s[26:27], 0
	v_mov_b32_e32 v108, 0
	v_mov_b32_e32 v124, 0
	v_mov_b64_e32 v[80:81], v[40:41]
	v_mov_b32_e32 v123, 0
	v_mov_b64_e32 v[78:79], v[40:41]
	;; [unrolled: 2-line block ×10, first 2 shown]
                                        ; implicit-def: $sgpr28_sgpr29
                                        ; implicit-def: $vgpr2_vgpr3
	s_and_saveexec_b64 s[22:23], vcc
	s_cbranch_execz .LBB1474_125
; %bb.102:
	ds_read2_b64 v[2:5], v30 offset0:9 offset1:10
	v_cmp_ne_u32_e32 vcc, v20, v21
	v_mov_b32_e32 v20, s69
	v_add_u32_e32 v22, 10, v83
	v_mov_b64_e32 v[40:41], 0
	s_waitcnt lgkmcnt(0)
	v_cndmask_b32_e32 v63, v3, v20, vcc
	v_mov_b32_e32 v3, s68
	v_cndmask_b32_e64 v115, 0, 1, vcc
	v_cndmask_b32_e32 v62, v2, v3, vcc
	v_cmp_gt_u32_e32 vcc, s64, v22
	s_mov_b64 s[28:29], 0
	v_mov_b32_e32 v108, 0
	v_mov_b32_e32 v124, 0
	v_mov_b64_e32 v[80:81], v[40:41]
	v_mov_b32_e32 v123, 0
	v_mov_b64_e32 v[78:79], v[40:41]
	;; [unrolled: 2-line block ×9, first 2 shown]
                                        ; implicit-def: $sgpr30_sgpr31
                                        ; implicit-def: $vgpr2_vgpr3
	s_and_saveexec_b64 s[24:25], vcc
	s_cbranch_execz .LBB1474_124
; %bb.103:
	v_cmp_ne_u32_e32 vcc, v21, v18
	v_mov_b32_e32 v3, s69
	v_add_u32_e32 v2, 11, v83
	v_cndmask_b32_e32 v65, v5, v3, vcc
	v_mov_b32_e32 v3, s68
	v_mov_b64_e32 v[40:41], 0
	v_cndmask_b32_e64 v116, 0, 1, vcc
	v_cndmask_b32_e32 v64, v4, v3, vcc
	v_cmp_gt_u32_e32 vcc, s64, v2
	s_mov_b64 s[30:31], 0
	v_mov_b32_e32 v108, 0
	v_mov_b32_e32 v124, 0
	v_mov_b64_e32 v[80:81], v[40:41]
	v_mov_b32_e32 v123, 0
	v_mov_b64_e32 v[78:79], v[40:41]
	;; [unrolled: 2-line block ×8, first 2 shown]
                                        ; implicit-def: $sgpr34_sgpr35
                                        ; implicit-def: $vgpr2_vgpr3
	s_and_saveexec_b64 s[26:27], vcc
	s_cbranch_execz .LBB1474_123
; %bb.104:
	ds_read2_b64 v[2:5], v30 offset0:11 offset1:12
	v_cmp_ne_u32_e32 vcc, v18, v19
	v_mov_b32_e32 v18, s69
	v_add_u32_e32 v20, 12, v83
	v_mov_b64_e32 v[40:41], 0
	s_waitcnt lgkmcnt(0)
	v_cndmask_b32_e32 v67, v3, v18, vcc
	v_mov_b32_e32 v3, s68
	v_cndmask_b32_e64 v117, 0, 1, vcc
	v_cndmask_b32_e32 v66, v2, v3, vcc
	v_cmp_gt_u32_e32 vcc, s64, v20
	s_mov_b64 s[34:35], 0
	v_mov_b32_e32 v108, 0
	v_mov_b32_e32 v124, 0
	v_mov_b64_e32 v[80:81], v[40:41]
	v_mov_b32_e32 v123, 0
	v_mov_b64_e32 v[78:79], v[40:41]
	;; [unrolled: 2-line block ×7, first 2 shown]
                                        ; implicit-def: $sgpr36_sgpr37
                                        ; implicit-def: $vgpr2_vgpr3
	s_and_saveexec_b64 s[28:29], vcc
	s_cbranch_execz .LBB1474_122
; %bb.105:
	v_cmp_ne_u32_e32 vcc, v19, v16
	v_mov_b32_e32 v3, s69
	v_add_u32_e32 v2, 13, v83
	v_cndmask_b32_e32 v69, v5, v3, vcc
	v_mov_b32_e32 v3, s68
	v_mov_b64_e32 v[40:41], 0
	v_cndmask_b32_e64 v118, 0, 1, vcc
	v_cndmask_b32_e32 v68, v4, v3, vcc
	v_cmp_gt_u32_e32 vcc, s64, v2
	s_mov_b64 s[36:37], 0
	v_mov_b32_e32 v108, 0
	v_mov_b32_e32 v124, 0
	v_mov_b64_e32 v[80:81], v[40:41]
	v_mov_b32_e32 v123, 0
	v_mov_b64_e32 v[78:79], v[40:41]
	;; [unrolled: 2-line block ×6, first 2 shown]
                                        ; implicit-def: $sgpr38_sgpr39
                                        ; implicit-def: $vgpr2_vgpr3
	s_and_saveexec_b64 s[30:31], vcc
	s_cbranch_execz .LBB1474_121
; %bb.106:
	ds_read2_b64 v[2:5], v30 offset0:13 offset1:14
	v_cmp_ne_u32_e32 vcc, v16, v17
	v_mov_b32_e32 v16, s69
	v_add_u32_e32 v18, 14, v83
	v_mov_b64_e32 v[40:41], 0
	s_waitcnt lgkmcnt(0)
	v_cndmask_b32_e32 v71, v3, v16, vcc
	v_mov_b32_e32 v3, s68
	v_cndmask_b32_e64 v119, 0, 1, vcc
	v_cndmask_b32_e32 v70, v2, v3, vcc
	v_cmp_gt_u32_e32 vcc, s64, v18
	s_mov_b64 s[38:39], 0
	v_mov_b32_e32 v108, 0
	v_mov_b32_e32 v124, 0
	v_mov_b64_e32 v[80:81], v[40:41]
	v_mov_b32_e32 v123, 0
	v_mov_b64_e32 v[78:79], v[40:41]
	;; [unrolled: 2-line block ×5, first 2 shown]
                                        ; implicit-def: $sgpr40_sgpr41
                                        ; implicit-def: $vgpr2_vgpr3
	s_and_saveexec_b64 s[34:35], vcc
	s_cbranch_execz .LBB1474_120
; %bb.107:
	v_cmp_ne_u32_e32 vcc, v17, v14
	v_mov_b32_e32 v3, s69
	v_add_u32_e32 v2, 15, v83
	v_cndmask_b32_e32 v73, v5, v3, vcc
	v_mov_b32_e32 v3, s68
	v_mov_b64_e32 v[40:41], 0
	v_cndmask_b32_e64 v120, 0, 1, vcc
	v_cndmask_b32_e32 v72, v4, v3, vcc
	v_cmp_gt_u32_e32 vcc, s64, v2
	s_mov_b64 s[40:41], 0
	v_mov_b32_e32 v108, 0
	v_mov_b32_e32 v124, 0
	v_mov_b64_e32 v[80:81], v[40:41]
	v_mov_b32_e32 v123, 0
	v_mov_b64_e32 v[78:79], v[40:41]
	;; [unrolled: 2-line block ×4, first 2 shown]
                                        ; implicit-def: $sgpr42_sgpr43
                                        ; implicit-def: $vgpr2_vgpr3
	s_and_saveexec_b64 s[36:37], vcc
	s_cbranch_execz .LBB1474_119
; %bb.108:
	ds_read2_b64 v[2:5], v30 offset0:15 offset1:16
	v_cmp_ne_u32_e32 vcc, v14, v15
	v_mov_b32_e32 v14, s69
	v_add_u32_e32 v16, 16, v83
	v_mov_b64_e32 v[40:41], 0
	s_waitcnt lgkmcnt(0)
	v_cndmask_b32_e32 v75, v3, v14, vcc
	v_mov_b32_e32 v3, s68
	v_cndmask_b32_e64 v121, 0, 1, vcc
	v_cndmask_b32_e32 v74, v2, v3, vcc
	v_cmp_gt_u32_e32 vcc, s64, v16
	s_mov_b64 s[42:43], 0
	v_mov_b32_e32 v108, 0
	v_mov_b32_e32 v124, 0
	v_mov_b64_e32 v[80:81], v[40:41]
	v_mov_b32_e32 v123, 0
	v_mov_b64_e32 v[78:79], v[40:41]
	;; [unrolled: 2-line block ×3, first 2 shown]
                                        ; implicit-def: $sgpr44_sgpr45
                                        ; implicit-def: $vgpr2_vgpr3
	s_and_saveexec_b64 s[38:39], vcc
	s_cbranch_execz .LBB1474_118
; %bb.109:
	v_cmp_ne_u32_e32 vcc, v15, v12
	v_mov_b32_e32 v3, s69
	v_add_u32_e32 v2, 17, v83
	v_cndmask_b32_e32 v77, v5, v3, vcc
	v_mov_b32_e32 v3, s68
	v_mov_b64_e32 v[40:41], 0
	v_cndmask_b32_e64 v122, 0, 1, vcc
	v_cndmask_b32_e32 v76, v4, v3, vcc
	v_cmp_gt_u32_e32 vcc, s64, v2
	s_mov_b64 s[44:45], 0
	v_mov_b32_e32 v108, 0
	v_mov_b32_e32 v124, 0
	v_mov_b64_e32 v[80:81], v[40:41]
	v_mov_b32_e32 v123, 0
	v_mov_b64_e32 v[78:79], v[40:41]
                                        ; implicit-def: $sgpr58_sgpr59
                                        ; implicit-def: $vgpr2_vgpr3
	s_and_saveexec_b64 s[40:41], vcc
	s_cbranch_execz .LBB1474_117
; %bb.110:
	ds_read2_b64 v[2:5], v30 offset0:17 offset1:18
	v_cmp_ne_u32_e32 vcc, v12, v13
	v_mov_b32_e32 v12, s69
	v_add_u32_e32 v14, 18, v83
	v_mov_b64_e32 v[40:41], 0
	s_waitcnt lgkmcnt(0)
	v_cndmask_b32_e32 v79, v3, v12, vcc
	v_mov_b32_e32 v3, s68
	v_cndmask_b32_e64 v123, 0, 1, vcc
	v_cndmask_b32_e32 v78, v2, v3, vcc
	v_cmp_gt_u32_e32 vcc, s64, v14
	s_mov_b64 s[58:59], 0
	v_mov_b32_e32 v108, 0
	v_mov_b32_e32 v124, 0
	v_mov_b64_e32 v[80:81], v[40:41]
                                        ; implicit-def: $sgpr60_sgpr61
                                        ; implicit-def: $vgpr2_vgpr3
	s_and_saveexec_b64 s[42:43], vcc
	s_cbranch_execz .LBB1474_116
; %bb.111:
	v_cmp_ne_u32_e32 vcc, v13, v10
	v_mov_b32_e32 v3, s69
	v_add_u32_e32 v2, 19, v83
	v_cndmask_b32_e32 v81, v5, v3, vcc
	v_mov_b32_e32 v3, s68
	v_cndmask_b32_e64 v124, 0, 1, vcc
	v_cndmask_b32_e32 v80, v4, v3, vcc
	v_cmp_gt_u32_e32 vcc, s64, v2
	v_mov_b32_e32 v108, 0
	v_mov_b64_e32 v[40:41], 0
                                        ; implicit-def: $sgpr60_sgpr61
                                        ; implicit-def: $vgpr2_vgpr3
	s_and_saveexec_b64 s[44:45], vcc
	s_cbranch_execz .LBB1474_115
; %bb.112:
	ds_read2_b64 v[2:5], v30 offset0:19 offset1:20
	v_cmp_ne_u32_e32 vcc, v10, v11
	v_mov_b32_e32 v10, s69
	v_add_u32_e32 v12, 20, v83
	v_cndmask_b32_e64 v108, 0, 1, vcc
	s_waitcnt lgkmcnt(0)
	v_cndmask_b32_e32 v41, v3, v10, vcc
	v_mov_b32_e32 v3, s68
	v_cndmask_b32_e32 v40, v2, v3, vcc
	v_cmp_gt_u32_e32 vcc, s64, v12
                                        ; implicit-def: $sgpr60_sgpr61
                                        ; implicit-def: $vgpr2_vgpr3
	s_and_saveexec_b64 s[64:65], vcc
	s_xor_b64 s[64:65], exec, s[64:65]
; %bb.113:
	v_mov_b32_e32 v2, s69
	v_cmp_ne_u32_e32 vcc, v11, v82
	s_mov_b64 s[58:59], exec
	s_and_b64 s[60:61], vcc, exec
	v_cndmask_b32_e32 v3, v5, v2, vcc
	v_mov_b32_e32 v2, s68
	v_cndmask_b32_e32 v2, v4, v2, vcc
; %bb.114:
	s_or_b64 exec, exec, s[64:65]
	s_and_b64 s[60:61], s[60:61], exec
	s_and_b64 s[58:59], s[58:59], exec
.LBB1474_115:
	s_or_b64 exec, exec, s[44:45]
	s_and_b64 s[60:61], s[60:61], exec
	s_and_b64 s[44:45], s[58:59], exec
.LBB1474_116:
	s_or_b64 exec, exec, s[42:43]
	s_and_b64 s[58:59], s[60:61], exec
	s_and_b64 s[42:43], s[44:45], exec
.LBB1474_117:
	s_or_b64 exec, exec, s[40:41]
	s_and_b64 s[44:45], s[58:59], exec
	s_and_b64 s[40:41], s[42:43], exec
.LBB1474_118:
	s_or_b64 exec, exec, s[38:39]
	s_and_b64 s[42:43], s[44:45], exec
	s_and_b64 s[38:39], s[40:41], exec
.LBB1474_119:
	s_or_b64 exec, exec, s[36:37]
	s_and_b64 s[40:41], s[42:43], exec
	s_and_b64 s[36:37], s[38:39], exec
.LBB1474_120:
	s_or_b64 exec, exec, s[34:35]
	s_and_b64 s[38:39], s[40:41], exec
	s_and_b64 s[34:35], s[36:37], exec
.LBB1474_121:
	s_or_b64 exec, exec, s[30:31]
	s_and_b64 s[36:37], s[38:39], exec
	s_and_b64 s[30:31], s[34:35], exec
.LBB1474_122:
	s_or_b64 exec, exec, s[28:29]
	s_and_b64 s[34:35], s[36:37], exec
	s_and_b64 s[28:29], s[30:31], exec
.LBB1474_123:
	s_or_b64 exec, exec, s[26:27]
	s_and_b64 s[30:31], s[34:35], exec
	s_and_b64 s[26:27], s[28:29], exec
.LBB1474_124:
	s_or_b64 exec, exec, s[24:25]
	s_and_b64 s[28:29], s[30:31], exec
	s_and_b64 s[24:25], s[26:27], exec
.LBB1474_125:
	s_or_b64 exec, exec, s[22:23]
	s_and_b64 s[26:27], s[28:29], exec
	s_and_b64 s[22:23], s[24:25], exec
.LBB1474_126:
	s_or_b64 exec, exec, s[20:21]
	s_and_b64 s[24:25], s[26:27], exec
	s_and_b64 s[20:21], s[22:23], exec
.LBB1474_127:
	s_or_b64 exec, exec, s[18:19]
	s_and_b64 s[22:23], s[24:25], exec
	s_and_b64 s[18:19], s[20:21], exec
.LBB1474_128:
	s_or_b64 exec, exec, s[16:17]
	s_and_b64 s[20:21], s[22:23], exec
	s_and_b64 s[16:17], s[18:19], exec
.LBB1474_129:
	s_or_b64 exec, exec, s[14:15]
	s_and_b64 s[18:19], s[20:21], exec
	s_and_b64 s[14:15], s[16:17], exec
.LBB1474_130:
	s_or_b64 exec, exec, s[12:13]
	s_and_b64 s[16:17], s[18:19], exec
	s_and_b64 s[12:13], s[14:15], exec
.LBB1474_131:
	s_or_b64 exec, exec, s[10:11]
	s_and_b64 s[14:15], s[16:17], exec
	s_and_b64 s[10:11], s[12:13], exec
.LBB1474_132:
	s_or_b64 exec, exec, s[8:9]
	s_and_b64 s[12:13], s[14:15], exec
	s_and_b64 s[8:9], s[10:11], exec
.LBB1474_133:
	s_or_b64 exec, exec, s[6:7]
	s_and_b64 s[6:7], s[12:13], exec
	s_and_b64 s[8:9], s[8:9], exec
.LBB1474_134:
	s_or_b64 exec, exec, s[4:5]
	s_mov_b64 s[4:5], 0
	s_and_b64 vcc, exec, s[0:1]
	s_cbranch_vccz .LBB1474_140
.LBB1474_135:
	v_mov_b32_e32 v3, 0
	v_lshlrev_b32_e32 v2, 2, v0
	v_lshl_add_u64 v[4:5], v[8:9], 0, v[2:3]
	v_add_co_u32_e32 v10, vcc, 0x1000, v4
	s_movk_i32 s0, 0x50
	s_nop 0
	v_addc_co_u32_e32 v11, vcc, 0, v5, vcc
	flat_load_dword v1, v[4:5]
	flat_load_dword v14, v[4:5] offset:1024
	flat_load_dword v15, v[4:5] offset:2048
	;; [unrolled: 1-line block ×3, first 2 shown]
	flat_load_dword v17, v[10:11]
	flat_load_dword v18, v[10:11] offset:1024
	flat_load_dword v19, v[10:11] offset:2048
	;; [unrolled: 1-line block ×3, first 2 shown]
	v_add_co_u32_e32 v10, vcc, 0x2000, v4
	s_movk_i32 s8, 0x1000
	s_nop 0
	v_addc_co_u32_e32 v11, vcc, 0, v5, vcc
	v_add_co_u32_e32 v12, vcc, 0x3000, v4
	s_movk_i32 s7, 0x2000
	s_nop 0
	v_addc_co_u32_e32 v13, vcc, 0, v5, vcc
	flat_load_dword v21, v[10:11]
	flat_load_dword v22, v[10:11] offset:1024
	flat_load_dword v23, v[10:11] offset:2048
	;; [unrolled: 1-line block ×3, first 2 shown]
	flat_load_dword v25, v[12:13]
	flat_load_dword v26, v[12:13] offset:1024
	flat_load_dword v27, v[12:13] offset:2048
	;; [unrolled: 1-line block ×3, first 2 shown]
	v_add_co_u32_e32 v10, vcc, 0x4000, v4
	s_movk_i32 s6, 0x3000
	s_nop 0
	v_addc_co_u32_e32 v11, vcc, 0, v5, vcc
	v_add_co_u32_e32 v4, vcc, 0x5000, v4
	s_movk_i32 s5, 0x4000
	s_nop 0
	v_addc_co_u32_e32 v5, vcc, 0, v5, vcc
	flat_load_dword v12, v[10:11]
	flat_load_dword v13, v[10:11] offset:1024
	flat_load_dword v29, v[10:11] offset:2048
	flat_load_dword v30, v[10:11] offset:3072
	flat_load_dword v31, v[4:5]
	v_add_co_u32_e32 v4, vcc, 0x5000, v8
	s_movk_i32 s4, 0x5000
	s_nop 0
	v_addc_co_u32_e32 v5, vcc, 0, v9, vcc
	s_waitcnt vmcnt(0) lgkmcnt(0)
	ds_write2st64_b32 v2, v1, v14 offset1:4
	ds_write2st64_b32 v2, v15, v16 offset0:8 offset1:12
	ds_write2st64_b32 v2, v17, v18 offset0:16 offset1:20
	;; [unrolled: 1-line block ×9, first 2 shown]
	ds_write_b32 v2, v31 offset:20480
	s_waitcnt lgkmcnt(0)
	s_barrier
	flat_load_dword v84, v[4:5] offset:1024
	v_mad_u32_u24 v4, v0, s0, v2
	s_movk_i32 s0, 0xffb0
	ds_read_b32 v1, v4
	ds_read2_b32 v[62:63], v4 offset0:1 offset1:2
	ds_read2_b32 v[60:61], v4 offset0:3 offset1:4
	;; [unrolled: 1-line block ×10, first 2 shown]
	v_mad_i32_i24 v4, v0, s0, v4
	s_movk_i32 s0, 0xff
	v_cmp_ne_u32_e32 vcc, s0, v0
	s_waitcnt lgkmcnt(0)
	ds_write_b32 v4, v1 offset:22528
	s_waitcnt lgkmcnt(0)
	s_barrier
	s_and_saveexec_b64 s[0:1], vcc
	s_cbranch_execz .LBB1474_137
; %bb.136:
	s_waitcnt vmcnt(0)
	ds_read_b32 v84, v2 offset:22532
.LBB1474_137:
	s_or_b64 exec, exec, s[0:1]
	v_lshlrev_b32_e32 v2, 3, v0
	v_lshl_add_u64 v[2:3], v[6:7], 0, v[2:3]
	v_add_co_u32_e32 v6, vcc, s8, v2
	s_waitcnt lgkmcnt(0)
	s_nop 0
	v_addc_co_u32_e32 v7, vcc, 0, v3, vcc
	s_barrier
	flat_load_dwordx2 v[8:9], v[2:3]
	flat_load_dwordx2 v[10:11], v[2:3] offset:2048
	flat_load_dwordx2 v[12:13], v[6:7]
	flat_load_dwordx2 v[14:15], v[6:7] offset:2048
	v_add_co_u32_e32 v6, vcc, s7, v2
	s_movk_i32 s0, 0x6000
	s_nop 0
	v_addc_co_u32_e32 v7, vcc, 0, v3, vcc
	v_add_co_u32_e32 v16, vcc, s6, v2
	v_lshl_add_u32 v64, v0, 2, v4
	s_nop 0
	v_addc_co_u32_e32 v17, vcc, 0, v3, vcc
	flat_load_dwordx2 v[18:19], v[6:7]
	flat_load_dwordx2 v[20:21], v[6:7] offset:2048
	flat_load_dwordx2 v[22:23], v[16:17]
	flat_load_dwordx2 v[24:25], v[16:17] offset:2048
	v_add_co_u32_e32 v6, vcc, s5, v2
	s_nop 1
	v_addc_co_u32_e32 v7, vcc, 0, v3, vcc
	v_add_co_u32_e32 v16, vcc, s4, v2
	s_nop 1
	v_addc_co_u32_e32 v17, vcc, 0, v3, vcc
	flat_load_dwordx2 v[26:27], v[6:7]
	flat_load_dwordx2 v[28:29], v[6:7] offset:2048
	flat_load_dwordx2 v[30:31], v[16:17]
	flat_load_dwordx2 v[32:33], v[16:17] offset:2048
	v_add_co_u32_e32 v6, vcc, s0, v2
	s_movk_i32 s0, 0x7000
	s_nop 0
	v_addc_co_u32_e32 v7, vcc, 0, v3, vcc
	v_add_co_u32_e32 v16, vcc, s0, v2
	s_mov_b32 s0, 0x8000
	s_nop 0
	v_addc_co_u32_e32 v17, vcc, 0, v3, vcc
	flat_load_dwordx2 v[34:35], v[6:7]
	flat_load_dwordx2 v[36:37], v[6:7] offset:2048
	flat_load_dwordx2 v[38:39], v[16:17]
	flat_load_dwordx2 v[40:41], v[16:17] offset:2048
	v_add_co_u32_e32 v6, vcc, s0, v2
	s_mov_b32 s0, 0x9000
	s_nop 0
	v_addc_co_u32_e32 v7, vcc, 0, v3, vcc
	v_add_co_u32_e32 v16, vcc, s0, v2
	s_mov_b32 s0, 0xa000
	s_nop 0
	v_addc_co_u32_e32 v17, vcc, 0, v3, vcc
	flat_load_dwordx2 v[44:45], v[6:7]
	flat_load_dwordx2 v[66:67], v[6:7] offset:2048
	flat_load_dwordx2 v[68:69], v[16:17]
	flat_load_dwordx2 v[70:71], v[16:17] offset:2048
	v_add_co_u32_e32 v2, vcc, s0, v2
	s_movk_i32 s0, 0xa0
	s_nop 0
	v_addc_co_u32_e32 v3, vcc, 0, v3, vcc
	flat_load_dwordx2 v[2:3], v[2:3]
	v_cmp_ne_u32_e32 vcc, v1, v62
	s_waitcnt vmcnt(0) lgkmcnt(0)
	ds_write2st64_b64 v64, v[8:9], v[10:11] offset1:4
	ds_write2st64_b64 v64, v[12:13], v[14:15] offset0:8 offset1:12
	ds_write2st64_b64 v64, v[18:19], v[20:21] offset0:16 offset1:20
	;; [unrolled: 1-line block ×9, first 2 shown]
	ds_write_b64 v64, v[2:3] offset:40960
	v_mad_u32_u24 v2, v0, s0, v64
	s_waitcnt lgkmcnt(0)
	s_barrier
	ds_read2_b64 v[38:41], v2 offset0:1 offset1:2
	ds_read2_b64 v[34:37], v2 offset0:3 offset1:4
	;; [unrolled: 1-line block ×10, first 2 shown]
	v_cmp_eq_u32_e64 s[0:1], v1, v62
	v_mov_b64_e32 v[44:45], s[68:69]
	s_and_saveexec_b64 s[4:5], s[0:1]
	s_cbranch_execz .LBB1474_139
; %bb.138:
	v_mul_u32_u24_e32 v1, 0xa0, v0
	v_add_u32_e32 v1, v64, v1
	ds_read_b64 v[44:45], v1
.LBB1474_139:
	s_or_b64 exec, exec, s[4:5]
	v_cndmask_b32_e64 v1, 0, 1, vcc
	v_cmp_ne_u32_e32 vcc, v62, v63
	v_cmp_ne_u32_e64 s[36:37], v47, v82
	v_cmp_ne_u32_e64 s[38:39], v82, v83
	v_mov_b32_e32 v82, s69
	v_cmp_ne_u32_e64 s[6:7], v61, v58
	v_cmp_ne_u32_e64 s[34:35], v46, v47
	s_waitcnt lgkmcnt(9)
	v_cndmask_b32_e32 v47, v39, v82, vcc
	v_mov_b32_e32 v39, s68
	v_cmp_ne_u32_e64 s[0:1], v63, v60
	v_cmp_ne_u32_e64 s[4:5], v60, v61
	v_cndmask_b32_e64 v110, 0, 1, s[6:7]
	v_cmp_ne_u32_e64 s[8:9], v58, v59
	v_cmp_ne_u32_e64 s[10:11], v59, v56
	;; [unrolled: 1-line block ×12, first 2 shown]
	s_waitcnt lgkmcnt(8)
	v_cndmask_b32_e64 v53, v37, v82, s[6:7]
	v_cndmask_b32_e64 v52, v36, v39, s[6:7]
	v_cmp_ne_u32_e64 s[6:7], v83, v84
	v_cndmask_b32_e64 v106, 0, 1, vcc
	v_cndmask_b32_e64 v107, 0, 1, s[0:1]
	v_cndmask_b32_e64 v109, 0, 1, s[4:5]
	;; [unrolled: 1-line block ×17, first 2 shown]
	v_cndmask_b32_e32 v46, v38, v39, vcc
	v_cndmask_b32_e64 v49, v41, v82, s[0:1]
	v_cndmask_b32_e64 v48, v40, v39, s[0:1]
	v_cndmask_b32_e64 v51, v35, v82, s[4:5]
	v_cndmask_b32_e64 v50, v34, v39, s[4:5]
	s_waitcnt lgkmcnt(7)
	v_cndmask_b32_e64 v55, v31, v82, s[8:9]
	v_cndmask_b32_e64 v54, v30, v39, s[8:9]
	v_cndmask_b32_e64 v57, v33, v82, s[10:11]
	v_cndmask_b32_e64 v56, v32, v39, s[10:11]
	s_waitcnt lgkmcnt(6)
	;; [unrolled: 5-line block ×8, first 2 shown]
	v_cndmask_b32_e64 v41, v3, v82, s[38:39]
	v_cndmask_b32_e64 v40, v2, v39, s[38:39]
	;; [unrolled: 1-line block ×4, first 2 shown]
	s_mov_b64 s[8:9], -1
                                        ; implicit-def: $sgpr72
                                        ; implicit-def: $sgpr4_sgpr5
.LBB1474_140:
	v_mov_b64_e32 v[82:83], s[4:5]
	v_mov_b32_e32 v125, s72
	s_and_saveexec_b64 s[0:1], s[8:9]
; %bb.141:
	v_cndmask_b32_e64 v125, 0, 1, s[6:7]
	v_mov_b64_e32 v[82:83], v[2:3]
; %bb.142:
	s_or_b64 exec, exec, s[0:1]
	v_or_b32_e32 v2, v125, v108
	s_cmp_lg_u32 s55, 0
	v_or_b32_e32 v127, v2, v124
	v_mbcnt_lo_u32_b32 v126, -1, 0
	s_barrier
	s_cbranch_scc0 .LBB1474_213
; %bb.143:
	v_mov_b32_e32 v4, 0
	v_cmp_eq_u16_sdwa s[4:5], v106, v4 src0_sel:BYTE_0 src1_sel:DWORD
	v_cmp_eq_u16_sdwa s[6:7], v107, v4 src0_sel:BYTE_0 src1_sel:DWORD
	v_cmp_eq_u16_sdwa s[8:9], v109, v4 src0_sel:BYTE_0 src1_sel:DWORD
	v_cndmask_b32_e64 v3, 0, v45, s[4:5]
	v_cndmask_b32_e64 v2, 0, v44, s[4:5]
	v_lshl_add_u64 v[2:3], v[2:3], 0, v[46:47]
	v_cndmask_b32_e64 v3, 0, v3, s[6:7]
	v_cndmask_b32_e64 v2, 0, v2, s[6:7]
	v_lshl_add_u64 v[2:3], v[2:3], 0, v[48:49]
	v_cndmask_b32_e64 v3, 0, v3, s[8:9]
	v_cndmask_b32_e64 v2, 0, v2, s[8:9]
	v_lshl_add_u64 v[2:3], v[2:3], 0, v[50:51]
	v_cmp_eq_u16_sdwa s[10:11], v110, v4 src0_sel:BYTE_0 src1_sel:DWORD
	v_cmp_eq_u16_sdwa s[12:13], v111, v4 src0_sel:BYTE_0 src1_sel:DWORD
	v_cmp_eq_u16_sdwa s[14:15], v112, v4 src0_sel:BYTE_0 src1_sel:DWORD
	v_cndmask_b32_e64 v3, 0, v3, s[10:11]
	v_cndmask_b32_e64 v2, 0, v2, s[10:11]
	v_lshl_add_u64 v[2:3], v[2:3], 0, v[52:53]
	v_cndmask_b32_e64 v3, 0, v3, s[12:13]
	v_cndmask_b32_e64 v2, 0, v2, s[12:13]
	v_lshl_add_u64 v[2:3], v[2:3], 0, v[54:55]
	v_cndmask_b32_e64 v3, 0, v3, s[14:15]
	v_cndmask_b32_e64 v2, 0, v2, s[14:15]
	v_lshl_add_u64 v[2:3], v[2:3], 0, v[56:57]
	;; [unrolled: 12-line block ×3, first 2 shown]
	v_cmp_eq_u16_sdwa s[22:23], v116, v4 src0_sel:BYTE_0 src1_sel:DWORD
	v_cmp_eq_u16_sdwa s[24:25], v117, v4 src0_sel:BYTE_0 src1_sel:DWORD
	v_cmp_eq_u16_sdwa s[26:27], v118, v4 src0_sel:BYTE_0 src1_sel:DWORD
	v_cndmask_b32_e64 v3, 0, v3, s[22:23]
	v_cndmask_b32_e64 v2, 0, v2, s[22:23]
	v_lshl_add_u64 v[2:3], v[2:3], 0, v[64:65]
	v_cndmask_b32_e64 v3, 0, v3, s[24:25]
	v_cndmask_b32_e64 v2, 0, v2, s[24:25]
	v_lshl_add_u64 v[2:3], v[2:3], 0, v[66:67]
	v_cmp_eq_u16_sdwa s[28:29], v119, v4 src0_sel:BYTE_0 src1_sel:DWORD
	v_cmp_eq_u16_sdwa s[30:31], v120, v4 src0_sel:BYTE_0 src1_sel:DWORD
	;; [unrolled: 1-line block ×7, first 2 shown]
	v_cmp_eq_u16_sdwa vcc, v125, v4 src0_sel:BYTE_0 src1_sel:DWORD
	v_or_b32_e32 v4, v127, v123
	v_cndmask_b32_e64 v3, 0, v3, s[26:27]
	v_cndmask_b32_e64 v2, 0, v2, s[26:27]
	v_or_b32_e32 v4, v4, v122
	v_lshl_add_u64 v[2:3], v[2:3], 0, v[68:69]
	v_or_b32_e32 v4, v4, v121
	v_cndmask_b32_e64 v3, 0, v3, s[28:29]
	v_cndmask_b32_e64 v2, 0, v2, s[28:29]
	v_or_b32_e32 v4, v4, v120
	v_lshl_add_u64 v[2:3], v[2:3], 0, v[70:71]
	;; [unrolled: 5-line block ×8, first 2 shown]
	v_or_b32_e32 v4, v4, v106
	v_cndmask_b32_e32 v3, 0, v3, vcc
	v_cndmask_b32_e32 v2, 0, v2, vcc
	v_or_b32_e32 v4, v4, v1
	v_mbcnt_hi_u32_b32 v9, -1, v126
	v_lshl_add_u64 v[2:3], v[2:3], 0, v[82:83]
	v_and_b32_e32 v8, 1, v4
	v_and_b32_e32 v5, 15, v9
	v_cmp_eq_u32_e32 vcc, 1, v8
	v_mov_b32_dpp v7, v2 row_shr:1 row_mask:0xf bank_mask:0xf
	v_mov_b32_dpp v10, v3 row_shr:1 row_mask:0xf bank_mask:0xf
	;; [unrolled: 1-line block ×3, first 2 shown]
	v_cmp_ne_u32_e64 s[0:1], 0, v5
	v_mov_b32_e32 v4, v8
	s_and_saveexec_b64 s[44:45], s[0:1]
; %bb.144:
	v_and_b32_e32 v4, 1, v6
	v_cndmask_b32_e64 v11, v10, 0, vcc
	v_cndmask_b32_e64 v10, v7, 0, vcc
	v_or_b32_e32 v8, v4, v8
	v_lshl_add_u64 v[2:3], v[10:11], 0, v[2:3]
	v_and_b32_e32 v4, 0xffff, v8
; %bb.145:
	s_or_b64 exec, exec, s[44:45]
	v_mov_b32_dpp v7, v2 row_shr:2 row_mask:0xf bank_mask:0xf
	v_mov_b32_dpp v10, v3 row_shr:2 row_mask:0xf bank_mask:0xf
	;; [unrolled: 1-line block ×3, first 2 shown]
	v_cmp_lt_u32_e32 vcc, 1, v5
	s_and_saveexec_b64 s[44:45], vcc
; %bb.146:
	v_cmp_eq_u16_e32 vcc, 0, v8
	v_and_b32_e32 v4, 1, v8
	s_nop 0
	v_cndmask_b32_e32 v11, 0, v10, vcc
	v_cndmask_b32_e32 v10, 0, v7, vcc
	v_cmp_eq_u32_e32 vcc, 1, v4
	v_and_b32_e32 v4, 1, v6
	v_cmp_eq_u32_e64 s[0:1], 1, v4
	s_or_b64 s[0:1], vcc, s[0:1]
	v_lshl_add_u64 v[2:3], v[10:11], 0, v[2:3]
	v_cndmask_b32_e64 v8, 0, 1, s[0:1]
	v_cndmask_b32_e64 v4, 0, 1, s[0:1]
; %bb.147:
	s_or_b64 exec, exec, s[44:45]
	v_mov_b32_dpp v7, v2 row_shr:4 row_mask:0xf bank_mask:0xf
	v_mov_b32_dpp v10, v3 row_shr:4 row_mask:0xf bank_mask:0xf
	;; [unrolled: 1-line block ×3, first 2 shown]
	v_cmp_lt_u32_e32 vcc, 3, v5
	s_and_saveexec_b64 s[44:45], vcc
; %bb.148:
	v_cmp_eq_u16_e32 vcc, 0, v8
	v_and_b32_e32 v4, 1, v8
	s_nop 0
	v_cndmask_b32_e32 v11, 0, v10, vcc
	v_cndmask_b32_e32 v10, 0, v7, vcc
	v_cmp_eq_u32_e32 vcc, 1, v4
	v_and_b32_e32 v4, 1, v6
	v_cmp_eq_u32_e64 s[0:1], 1, v4
	s_or_b64 s[0:1], vcc, s[0:1]
	v_lshl_add_u64 v[2:3], v[10:11], 0, v[2:3]
	v_cndmask_b32_e64 v8, 0, 1, s[0:1]
	v_cndmask_b32_e64 v4, 0, 1, s[0:1]
; %bb.149:
	s_or_b64 exec, exec, s[44:45]
	v_mov_b32_dpp v7, v2 row_shr:8 row_mask:0xf bank_mask:0xf
	v_mov_b32_dpp v10, v3 row_shr:8 row_mask:0xf bank_mask:0xf
	;; [unrolled: 1-line block ×3, first 2 shown]
	v_cmp_lt_u32_e32 vcc, 7, v5
	s_and_saveexec_b64 s[44:45], vcc
; %bb.150:
	v_cmp_eq_u16_e32 vcc, 0, v8
	s_nop 1
	v_cndmask_b32_e32 v5, 0, v10, vcc
	v_cndmask_b32_e32 v4, 0, v7, vcc
	v_lshl_add_u64 v[2:3], v[4:5], 0, v[2:3]
	v_and_b32_e32 v4, 1, v8
	v_cmp_eq_u32_e32 vcc, 1, v4
	v_and_b32_e32 v4, 1, v6
	v_cmp_eq_u32_e64 s[0:1], 1, v4
	s_or_b64 s[0:1], vcc, s[0:1]
	s_nop 0
	v_cndmask_b32_e64 v8, 0, 1, s[0:1]
	v_cndmask_b32_e64 v4, 0, 1, s[0:1]
; %bb.151:
	s_or_b64 exec, exec, s[44:45]
	v_and_b32_e32 v10, 16, v9
	v_mov_b32_dpp v6, v2 row_bcast:15 row_mask:0xf bank_mask:0xf
	v_mov_b32_dpp v7, v3 row_bcast:15 row_mask:0xf bank_mask:0xf
	;; [unrolled: 1-line block ×3, first 2 shown]
	v_cmp_ne_u32_e32 vcc, 0, v10
	s_and_saveexec_b64 s[44:45], vcc
; %bb.152:
	v_cmp_eq_u16_e32 vcc, 0, v8
	v_and_b32_e32 v4, 1, v8
	s_nop 0
	v_cndmask_b32_e32 v7, 0, v7, vcc
	v_cndmask_b32_e32 v6, 0, v6, vcc
	v_cmp_eq_u32_e32 vcc, 1, v4
	v_and_b32_e32 v4, 1, v5
	v_cmp_eq_u32_e64 s[0:1], 1, v4
	s_or_b64 s[0:1], vcc, s[0:1]
	v_lshl_add_u64 v[2:3], v[6:7], 0, v[2:3]
	v_cndmask_b32_e64 v8, 0, 1, s[0:1]
	v_cndmask_b32_e64 v4, 0, 1, s[0:1]
; %bb.153:
	s_or_b64 exec, exec, s[44:45]
	v_mov_b32_dpp v5, v2 row_bcast:31 row_mask:0xf bank_mask:0xf
	v_mov_b32_dpp v6, v3 row_bcast:31 row_mask:0xf bank_mask:0xf
	v_mov_b32_dpp v4, v4 row_bcast:31 row_mask:0xf bank_mask:0xf
	v_cmp_lt_u32_e32 vcc, 31, v9
	s_and_saveexec_b64 s[44:45], vcc
; %bb.154:
	v_cmp_eq_u16_e32 vcc, 0, v8
	v_and_b32_e32 v4, 1, v4
	v_cmp_eq_u32_e64 s[0:1], 1, v4
	v_cndmask_b32_e32 v7, 0, v6, vcc
	v_cndmask_b32_e32 v6, 0, v5, vcc
	v_and_b32_e32 v5, 1, v8
	v_cmp_eq_u32_e32 vcc, 1, v5
	s_or_b64 s[0:1], vcc, s[0:1]
	v_lshl_add_u64 v[2:3], v[6:7], 0, v[2:3]
	v_cndmask_b32_e64 v8, 0, 1, s[0:1]
; %bb.155:
	s_or_b64 exec, exec, s[44:45]
	v_or_b32_e32 v4, 63, v0
	v_lshrrev_b32_e32 v10, 6, v0
	v_cmp_eq_u32_e32 vcc, v4, v0
	s_and_saveexec_b64 s[0:1], vcc
	s_cbranch_execz .LBB1474_157
; %bb.156:
	v_lshlrev_b32_e32 v4, 4, v10
	ds_write_b64 v4, v[2:3]
	ds_write_b8 v4, v8 offset:8
.LBB1474_157:
	s_or_b64 exec, exec, s[0:1]
	v_cmp_gt_u32_e32 vcc, 4, v0
	s_waitcnt lgkmcnt(0)
	s_barrier
	s_and_saveexec_b64 s[44:45], vcc
	s_cbranch_execz .LBB1474_163
; %bb.158:
	v_lshlrev_b32_e32 v6, 4, v0
	ds_read_b64 v[4:5], v6
	ds_read_b32 v7, v6 offset:8
	v_and_b32_e32 v11, 3, v9
	v_cmp_ne_u32_e32 vcc, 0, v11
	s_waitcnt lgkmcnt(1)
	v_mov_b32_dpp v15, v4 row_shr:1 row_mask:0xf bank_mask:0xf
	v_mov_b32_dpp v16, v5 row_shr:1 row_mask:0xf bank_mask:0xf
	s_waitcnt lgkmcnt(0)
	v_mov_b32_dpp v14, v7 row_shr:1 row_mask:0xf bank_mask:0xf
	v_mov_b32_e32 v12, v7
	v_mov_b32_e32 v13, v7
	s_and_saveexec_b64 s[0:1], vcc
; %bb.159:
	v_mov_b32_e32 v12, 0
	v_cmp_eq_u16_sdwa vcc, v7, v12 src0_sel:BYTE_0 src1_sel:DWORD
	s_movk_i32 s58, 0xff00
	s_nop 0
	v_cndmask_b32_e32 v13, 0, v16, vcc
	v_cndmask_b32_e32 v12, 0, v15, vcc
	v_lshl_add_u64 v[4:5], v[12:13], 0, v[4:5]
	v_or_b32_e32 v13, v14, v7
	v_and_b32_e32 v12, 1, v13
	v_and_b32_e32 v13, 1, v13
	v_and_or_b32 v7, v7, s58, v13
; %bb.160:
	s_or_b64 exec, exec, s[0:1]
	v_mov_b32_dpp v14, v4 row_shr:2 row_mask:0xf bank_mask:0xf
	v_mov_b32_dpp v15, v5 row_shr:2 row_mask:0xf bank_mask:0xf
	;; [unrolled: 1-line block ×3, first 2 shown]
	v_cmp_lt_u32_e32 vcc, 1, v11
	s_and_saveexec_b64 s[58:59], vcc
; %bb.161:
	v_mov_b32_e32 v11, 0
	v_cmp_eq_u16_sdwa vcc, v13, v11 src0_sel:BYTE_0 src1_sel:DWORD
	v_and_b32_e32 v11, 1, v13
	v_and_b32_e32 v7, 1, v7
	v_cndmask_b32_e32 v15, 0, v15, vcc
	v_cndmask_b32_e32 v14, 0, v14, vcc
	v_cmp_eq_u32_e32 vcc, 1, v11
	v_cmp_eq_u32_e64 s[0:1], 1, v7
	s_or_b64 s[0:1], vcc, s[0:1]
	v_lshl_add_u64 v[4:5], v[14:15], 0, v[4:5]
	v_cndmask_b32_e64 v12, 0, 1, s[0:1]
; %bb.162:
	s_or_b64 exec, exec, s[58:59]
	ds_write_b64 v6, v[4:5]
	ds_write_b8 v6, v12 offset:8
.LBB1474_163:
	s_or_b64 exec, exec, s[44:45]
	v_cmp_gt_u32_e32 vcc, 64, v0
	v_cmp_lt_u32_e64 s[0:1], 63, v0
	v_mov_b32_e32 v16, 0
	v_mov_b64_e32 v[6:7], 0
	s_waitcnt lgkmcnt(0)
	s_barrier
	s_and_saveexec_b64 s[44:45], s[0:1]
	s_cbranch_execz .LBB1474_165
; %bb.164:
	v_lshl_add_u32 v4, v10, 4, -16
	ds_read_b64 v[6:7], v4
	ds_read_u8 v16, v4 offset:8
	v_cmp_eq_u16_e64 s[0:1], 0, v8
	s_waitcnt lgkmcnt(0)
	v_or_b32_e32 v8, v8, v16
	v_cndmask_b32_e64 v5, 0, v7, s[0:1]
	v_cndmask_b32_e64 v4, 0, v6, s[0:1]
	v_lshl_add_u64 v[2:3], v[2:3], 0, v[4:5]
	v_and_b32_e32 v8, 1, v8
.LBB1474_165:
	s_or_b64 exec, exec, s[44:45]
	v_add_u32_e32 v4, -1, v9
	v_and_b32_e32 v5, 64, v9
	v_cmp_lt_i32_e64 s[0:1], v4, v5
	v_cmp_eq_u32_e64 s[44:45], 0, v9
	s_nop 0
	v_cndmask_b32_e64 v4, v4, v9, s[0:1]
	v_lshlrev_b32_e32 v4, 2, v4
	ds_bpermute_b32 v17, v4, v2
	v_and_b32_e32 v2, 0xffff, v8
	ds_bpermute_b32 v18, v4, v3
	ds_bpermute_b32 v19, v4, v2
	s_and_saveexec_b64 s[58:59], vcc
	s_cbranch_execz .LBB1474_212
; %bb.166:
	v_mov_b32_e32 v11, 0
	ds_read2_b64 v[2:5], v11 offset0:6 offset1:7
	s_and_saveexec_b64 s[0:1], s[44:45]
	s_cbranch_execz .LBB1474_168
; %bb.167:
	s_add_i32 s60, s55, 64
	s_mov_b32 s61, 0
	s_lshl_b64 s[64:65], s[60:61], 4
	s_add_u32 s64, s48, s64
	s_addc_u32 s65, s49, s65
	s_waitcnt lgkmcnt(0)
	global_store_dword v11, v2, s[64:65] sc1
	global_store_dword v11, v3, s[64:65] offset:4 sc1
	global_store_dword v11, v4, s[64:65] offset:8 sc1
	;; [unrolled: 1-line block ×3, first 2 shown]
	v_mov_b32_e32 v5, s60
	v_mov_b32_e32 v8, 1
	s_waitcnt vmcnt(0)
	global_store_byte v5, v8, s[52:53] sc1
.LBB1474_168:
	s_or_b64 exec, exec, s[0:1]
	v_xad_u32 v8, v9, -1, s55
	v_add_u32_e32 v10, 64, v8
	s_waitcnt lgkmcnt(0)
	global_load_ubyte v5, v10, s[52:53] sc1
	s_waitcnt vmcnt(0)
	v_cmp_eq_u16_e32 vcc, 0, v5
	s_and_saveexec_b64 s[0:1], vcc
	s_cbranch_execz .LBB1474_174
; %bb.169:
	v_lshl_add_u64 v[12:13], s[52:53], 0, v[10:11]
	s_mov_b32 s64, 1
	s_mov_b64 s[60:61], 0
.LBB1474_170:                           ; =>This Loop Header: Depth=1
                                        ;     Child Loop BB1474_171 Depth 2
	s_max_u32 s65, s64, 1
.LBB1474_171:                           ;   Parent Loop BB1474_170 Depth=1
                                        ; =>  This Inner Loop Header: Depth=2
	s_add_i32 s65, s65, -1
	s_cmp_eq_u32 s65, 0
	s_sleep 1
	s_cbranch_scc0 .LBB1474_171
; %bb.172:                              ;   in Loop: Header=BB1474_170 Depth=1
	global_load_ubyte v5, v[12:13], off sc1
	s_cmp_lt_u32 s64, 32
	s_cselect_b64 s[72:73], -1, 0
	s_cmp_lg_u64 s[72:73], 0
	s_addc_u32 s64, s64, 0
	s_waitcnt vmcnt(0)
	v_cmp_ne_u16_e32 vcc, 0, v5
	s_or_b64 s[60:61], vcc, s[60:61]
	s_andn2_b64 exec, exec, s[60:61]
	s_cbranch_execnz .LBB1474_170
; %bb.173:
	s_or_b64 exec, exec, s[60:61]
.LBB1474_174:
	s_or_b64 exec, exec, s[0:1]
	v_mov_b32_e32 v12, s51
	v_mov_b32_e32 v13, s49
	v_cmp_eq_u16_e32 vcc, 1, v5
	v_mov_b32_e32 v14, s48
	s_waitcnt vmcnt(0)
	v_cndmask_b32_e32 v13, v12, v13, vcc
	v_mov_b32_e32 v12, s50
	v_cndmask_b32_e32 v12, v12, v14, vcc
	v_lshl_add_u64 v[10:11], v[10:11], 4, v[12:13]
	global_load_dword v14, v[10:11], off sc1
	global_load_dword v15, v[10:11], off offset:4 sc1
	global_load_dword v34, v[10:11], off offset:8 sc1
	s_nop 0
	global_load_dword v10, v[10:11], off offset:12 sc1
	v_cmp_eq_u16_e32 vcc, 2, v5
	s_waitcnt vmcnt(0)
	v_lshlrev_b64 v[10:11], v9, -1
	v_and_b32_e32 v20, 63, v9
	v_and_b32_e32 v12, vcc_hi, v11
	v_and_b32_e32 v25, vcc_lo, v10
	v_cmp_ne_u32_e32 vcc, 63, v20
	v_or_b32_e32 v12, 0x80000000, v12
	v_ffbl_b32_e32 v12, v12
	v_addc_co_u32_e32 v13, vcc, 0, v9, vcc
	v_lshlrev_b32_e32 v21, 2, v13
	v_add_u32_e32 v12, 32, v12
	v_ffbl_b32_e32 v25, v25
	v_min_u32_e32 v12, v25, v12
	v_cmp_lt_u32_e32 vcc, v20, v12
	ds_bpermute_b32 v23, v21, v14
	ds_bpermute_b32 v24, v21, v15
	v_and_b32_e32 v13, 0xff, v34
	ds_bpermute_b32 v22, v21, v13
	s_and_saveexec_b64 s[0:1], vcc
	s_cbranch_execz .LBB1474_176
; %bb.175:
	v_mov_b32_e32 v13, 0
	v_cmp_eq_u16_sdwa vcc, v34, v13 src0_sel:BYTE_0 src1_sel:DWORD
	s_waitcnt lgkmcnt(0)
	v_or_b32_e32 v13, v22, v34
	v_and_b32_e32 v34, 1, v13
	v_cndmask_b32_e32 v25, 0, v24, vcc
	v_cndmask_b32_e32 v24, 0, v23, vcc
	v_lshl_add_u64 v[14:15], v[24:25], 0, v[14:15]
	v_and_b32_e32 v13, 1, v13
.LBB1474_176:
	s_or_b64 exec, exec, s[0:1]
	v_cmp_gt_u32_e32 vcc, 62, v20
	s_waitcnt lgkmcnt(2)
	v_add_u32_e32 v23, 2, v20
	s_waitcnt lgkmcnt(0)
	v_cndmask_b32_e64 v22, 0, 1, vcc
	v_lshlrev_b32_e32 v22, 1, v22
	v_add_lshl_u32 v22, v22, v9, 2
	ds_bpermute_b32 v25, v22, v14
	ds_bpermute_b32 v26, v22, v15
	ds_bpermute_b32 v24, v22, v13
	v_cmp_le_u32_e32 vcc, v23, v12
	s_and_saveexec_b64 s[60:61], vcc
	s_cbranch_execz .LBB1474_178
; %bb.177:
	v_mov_b32_e32 v13, 0
	v_cmp_eq_u16_sdwa vcc, v34, v13 src0_sel:BYTE_0 src1_sel:DWORD
	v_and_b32_e32 v13, 1, v34
	s_waitcnt lgkmcnt(1)
	v_cndmask_b32_e32 v27, 0, v26, vcc
	v_cndmask_b32_e32 v26, 0, v25, vcc
	v_cmp_eq_u32_e32 vcc, 1, v13
	s_waitcnt lgkmcnt(0)
	v_and_b32_e32 v13, 1, v24
	v_cmp_eq_u32_e64 s[0:1], 1, v13
	s_or_b64 s[0:1], vcc, s[0:1]
	v_lshl_add_u64 v[14:15], v[26:27], 0, v[14:15]
	v_cndmask_b32_e64 v34, 0, 1, s[0:1]
	v_cndmask_b32_e64 v13, 0, 1, s[0:1]
.LBB1474_178:
	s_or_b64 exec, exec, s[60:61]
	v_cmp_gt_u32_e32 vcc, 60, v20
	s_waitcnt lgkmcnt(2)
	v_add_u32_e32 v25, 4, v20
	s_waitcnt lgkmcnt(0)
	v_cndmask_b32_e64 v24, 0, 1, vcc
	v_lshlrev_b32_e32 v24, 2, v24
	v_add_lshl_u32 v24, v24, v9, 2
	ds_bpermute_b32 v27, v24, v14
	ds_bpermute_b32 v28, v24, v15
	ds_bpermute_b32 v26, v24, v13
	v_cmp_le_u32_e32 vcc, v25, v12
	s_and_saveexec_b64 s[60:61], vcc
	s_cbranch_execz .LBB1474_180
; %bb.179:
	v_mov_b32_e32 v13, 0
	v_cmp_eq_u16_sdwa vcc, v34, v13 src0_sel:BYTE_0 src1_sel:DWORD
	v_and_b32_e32 v13, 1, v34
	s_waitcnt lgkmcnt(1)
	v_cndmask_b32_e32 v29, 0, v28, vcc
	v_cndmask_b32_e32 v28, 0, v27, vcc
	v_cmp_eq_u32_e32 vcc, 1, v13
	s_waitcnt lgkmcnt(0)
	v_and_b32_e32 v13, 1, v26
	v_cmp_eq_u32_e64 s[0:1], 1, v13
	s_or_b64 s[0:1], vcc, s[0:1]
	v_lshl_add_u64 v[14:15], v[28:29], 0, v[14:15]
	v_cndmask_b32_e64 v34, 0, 1, s[0:1]
	v_cndmask_b32_e64 v13, 0, 1, s[0:1]
.LBB1474_180:
	;; [unrolled: 30-line block ×4, first 2 shown]
	s_or_b64 exec, exec, s[60:61]
	v_cmp_gt_u32_e32 vcc, 32, v20
	s_waitcnt lgkmcnt(1)
	v_add_u32_e32 v32, 32, v20
	s_waitcnt lgkmcnt(0)
	v_cndmask_b32_e64 v30, 0, 1, vcc
	v_lshlrev_b32_e32 v30, 5, v30
	v_add_lshl_u32 v31, v30, v9, 2
	ds_bpermute_b32 v30, v31, v14
	ds_bpermute_b32 v33, v31, v15
	;; [unrolled: 1-line block ×3, first 2 shown]
	v_cmp_le_u32_e32 vcc, v32, v12
	s_and_saveexec_b64 s[60:61], vcc
	s_cbranch_execz .LBB1474_186
; %bb.185:
	v_mov_b32_e32 v12, 0
	v_cmp_eq_u16_sdwa vcc, v34, v12 src0_sel:BYTE_0 src1_sel:DWORD
	s_waitcnt lgkmcnt(0)
	v_and_b32_e32 v9, 1, v9
	v_cmp_eq_u32_e64 s[0:1], 1, v9
	v_cndmask_b32_e32 v13, 0, v33, vcc
	v_cndmask_b32_e32 v12, 0, v30, vcc
	v_lshl_add_u64 v[14:15], v[12:13], 0, v[14:15]
	v_and_b32_e32 v12, 1, v34
	v_cmp_eq_u32_e32 vcc, 1, v12
	s_or_b64 s[0:1], vcc, s[0:1]
	v_cndmask_b32_e64 v34, 0, 1, s[0:1]
.LBB1474_186:
	s_or_b64 exec, exec, s[60:61]
	s_waitcnt lgkmcnt(0)
	v_mov_b32_e32 v9, 0
	v_mov_b32_e32 v33, 2
	s_branch .LBB1474_188
.LBB1474_187:                           ;   in Loop: Header=BB1474_188 Depth=1
	s_or_b64 exec, exec, s[64:65]
	v_cmp_eq_u16_sdwa vcc, v30, v9 src0_sel:BYTE_0 src1_sel:DWORD
	v_and_b32_e32 v34, 1, v30
	v_subrev_u32_e32 v8, 64, v8
	v_cndmask_b32_e32 v15, 0, v15, vcc
	v_cndmask_b32_e32 v14, 0, v14, vcc
	v_cmp_eq_u32_e32 vcc, 1, v34
	s_or_b64 s[0:1], vcc, s[60:61]
	v_lshl_add_u64 v[14:15], v[14:15], 0, v[12:13]
	v_cndmask_b32_e64 v34, 0, 1, s[0:1]
.LBB1474_188:                           ; =>This Loop Header: Depth=1
                                        ;     Child Loop BB1474_191 Depth 2
                                        ;       Child Loop BB1474_192 Depth 3
	v_cmp_ne_u16_sdwa s[0:1], v5, v33 src0_sel:BYTE_0 src1_sel:DWORD
	v_mov_b32_e32 v30, v34
	v_mov_b64_e32 v[12:13], v[14:15]
	v_cndmask_b32_e64 v5, 0, 1, s[0:1]
	;;#ASMSTART
	;;#ASMEND
	s_nop 0
	v_cmp_ne_u32_e32 vcc, 0, v5
	s_cmp_lg_u64 vcc, exec
	s_cbranch_scc1 .LBB1474_207
; %bb.189:                              ;   in Loop: Header=BB1474_188 Depth=1
	global_load_ubyte v5, v8, s[52:53] sc1
	s_waitcnt vmcnt(0)
	v_cmp_eq_u16_e32 vcc, 0, v5
	s_and_saveexec_b64 s[0:1], vcc
	s_cbranch_execz .LBB1474_195
; %bb.190:                              ;   in Loop: Header=BB1474_188 Depth=1
	v_lshl_add_u64 v[14:15], s[52:53], 0, v[8:9]
	s_mov_b32 s64, 1
	s_mov_b64 s[60:61], 0
.LBB1474_191:                           ;   Parent Loop BB1474_188 Depth=1
                                        ; =>  This Loop Header: Depth=2
                                        ;       Child Loop BB1474_192 Depth 3
	s_max_u32 s65, s64, 1
.LBB1474_192:                           ;   Parent Loop BB1474_188 Depth=1
                                        ;     Parent Loop BB1474_191 Depth=2
                                        ; =>    This Inner Loop Header: Depth=3
	s_add_i32 s65, s65, -1
	s_cmp_eq_u32 s65, 0
	s_sleep 1
	s_cbranch_scc0 .LBB1474_192
; %bb.193:                              ;   in Loop: Header=BB1474_191 Depth=2
	global_load_ubyte v5, v[14:15], off sc1
	s_cmp_lt_u32 s64, 32
	s_cselect_b64 s[72:73], -1, 0
	s_cmp_lg_u64 s[72:73], 0
	s_addc_u32 s64, s64, 0
	s_waitcnt vmcnt(0)
	v_cmp_ne_u16_e32 vcc, 0, v5
	s_or_b64 s[60:61], vcc, s[60:61]
	s_andn2_b64 exec, exec, s[60:61]
	s_cbranch_execnz .LBB1474_191
; %bb.194:                              ;   in Loop: Header=BB1474_188 Depth=1
	s_or_b64 exec, exec, s[60:61]
.LBB1474_195:                           ;   in Loop: Header=BB1474_188 Depth=1
	s_or_b64 exec, exec, s[0:1]
	v_mov_b32_e32 v14, s51
	v_mov_b32_e32 v15, s49
	v_cmp_eq_u16_e32 vcc, 1, v5
	v_mov_b32_e32 v34, s48
	s_waitcnt vmcnt(0)
	v_cndmask_b32_e32 v15, v14, v15, vcc
	v_mov_b32_e32 v14, s50
	v_cndmask_b32_e32 v14, v14, v34, vcc
	s_waitcnt lgkmcnt(0)
	v_lshl_add_u64 v[36:37], v[8:9], 4, v[14:15]
	global_load_dword v14, v[36:37], off sc1
	global_load_dword v15, v[36:37], off offset:4 sc1
	global_load_dword v34, v[36:37], off offset:8 sc1
	;; [unrolled: 1-line block ×3, first 2 shown]
	v_cmp_eq_u16_e32 vcc, 2, v5
	s_waitcnt vmcnt(3)
	ds_bpermute_b32 v38, v21, v14
	s_waitcnt vmcnt(0)
	v_and_b32_e32 v35, vcc_hi, v11
	v_and_b32_e32 v36, 0xff, v34
	v_or_b32_e32 v35, 0x80000000, v35
	ds_bpermute_b32 v39, v21, v15
	ds_bpermute_b32 v37, v21, v36
	v_and_b32_e32 v84, vcc_lo, v10
	v_ffbl_b32_e32 v35, v35
	v_add_u32_e32 v35, 32, v35
	v_ffbl_b32_e32 v84, v84
	v_min_u32_e32 v35, v84, v35
	v_cmp_lt_u32_e32 vcc, v20, v35
	s_and_saveexec_b64 s[0:1], vcc
	s_cbranch_execz .LBB1474_197
; %bb.196:                              ;   in Loop: Header=BB1474_188 Depth=1
	v_cmp_eq_u16_sdwa vcc, v34, v9 src0_sel:BYTE_0 src1_sel:DWORD
	s_waitcnt lgkmcnt(0)
	v_or_b32_e32 v36, v37, v34
	v_and_b32_e32 v34, 1, v36
	v_cndmask_b32_e32 v39, 0, v39, vcc
	v_cndmask_b32_e32 v38, 0, v38, vcc
	v_lshl_add_u64 v[14:15], v[38:39], 0, v[14:15]
	v_and_b32_e32 v36, 1, v36
.LBB1474_197:                           ;   in Loop: Header=BB1474_188 Depth=1
	s_or_b64 exec, exec, s[0:1]
	s_waitcnt lgkmcnt(2)
	ds_bpermute_b32 v38, v22, v14
	s_waitcnt lgkmcnt(2)
	ds_bpermute_b32 v39, v22, v15
	;; [unrolled: 2-line block ×3, first 2 shown]
	v_and_b32_e32 v84, 1, v34
	v_cmp_le_u32_e32 vcc, v23, v35
	v_cmp_eq_u32_e64 s[60:61], 1, v84
	s_and_saveexec_b64 s[0:1], vcc
	s_cbranch_execz .LBB1474_199
; %bb.198:                              ;   in Loop: Header=BB1474_188 Depth=1
	v_cmp_eq_u16_sdwa vcc, v34, v9 src0_sel:BYTE_0 src1_sel:DWORD
	s_waitcnt lgkmcnt(0)
	v_and_b32_e32 v34, 1, v37
	v_cndmask_b32_e32 v39, 0, v39, vcc
	v_cndmask_b32_e32 v38, 0, v38, vcc
	v_cmp_eq_u32_e32 vcc, 1, v34
	s_or_b64 s[64:65], s[60:61], vcc
	v_cndmask_b32_e64 v34, 0, 1, s[64:65]
	v_cndmask_b32_e64 v36, 0, 1, s[64:65]
	s_andn2_b64 s[60:61], s[60:61], exec
	s_and_b64 s[64:65], s[64:65], exec
	v_lshl_add_u64 v[14:15], v[38:39], 0, v[14:15]
	s_or_b64 s[60:61], s[60:61], s[64:65]
.LBB1474_199:                           ;   in Loop: Header=BB1474_188 Depth=1
	s_or_b64 exec, exec, s[0:1]
	s_waitcnt lgkmcnt(2)
	ds_bpermute_b32 v38, v24, v14
	s_waitcnt lgkmcnt(2)
	ds_bpermute_b32 v39, v24, v15
	s_waitcnt lgkmcnt(2)
	ds_bpermute_b32 v37, v24, v36
	v_cmp_le_u32_e32 vcc, v25, v35
	s_and_saveexec_b64 s[64:65], vcc
	s_cbranch_execz .LBB1474_201
; %bb.200:                              ;   in Loop: Header=BB1474_188 Depth=1
	v_cmp_eq_u16_sdwa vcc, v34, v9 src0_sel:BYTE_0 src1_sel:DWORD
	v_and_b32_e32 v34, 1, v34
	s_andn2_b64 s[60:61], s[60:61], exec
	s_waitcnt lgkmcnt(1)
	v_cndmask_b32_e32 v39, 0, v39, vcc
	v_cndmask_b32_e32 v38, 0, v38, vcc
	v_cmp_eq_u32_e32 vcc, 1, v34
	s_waitcnt lgkmcnt(0)
	v_and_b32_e32 v34, 1, v37
	v_cmp_eq_u32_e64 s[0:1], 1, v34
	s_or_b64 s[0:1], vcc, s[0:1]
	v_lshl_add_u64 v[14:15], v[38:39], 0, v[14:15]
	v_cndmask_b32_e64 v34, 0, 1, s[0:1]
	v_cndmask_b32_e64 v36, 0, 1, s[0:1]
	s_and_b64 s[0:1], s[0:1], exec
	s_or_b64 s[60:61], s[60:61], s[0:1]
.LBB1474_201:                           ;   in Loop: Header=BB1474_188 Depth=1
	s_or_b64 exec, exec, s[64:65]
	s_waitcnt lgkmcnt(2)
	ds_bpermute_b32 v38, v26, v14
	s_waitcnt lgkmcnt(2)
	ds_bpermute_b32 v39, v26, v15
	s_waitcnt lgkmcnt(2)
	ds_bpermute_b32 v37, v26, v36
	v_cmp_le_u32_e32 vcc, v27, v35
	s_and_saveexec_b64 s[64:65], vcc
	s_cbranch_execz .LBB1474_203
; %bb.202:                              ;   in Loop: Header=BB1474_188 Depth=1
	v_cmp_eq_u16_sdwa vcc, v34, v9 src0_sel:BYTE_0 src1_sel:DWORD
	v_and_b32_e32 v34, 1, v34
	s_andn2_b64 s[60:61], s[60:61], exec
	s_waitcnt lgkmcnt(1)
	v_cndmask_b32_e32 v39, 0, v39, vcc
	v_cndmask_b32_e32 v38, 0, v38, vcc
	v_cmp_eq_u32_e32 vcc, 1, v34
	s_waitcnt lgkmcnt(0)
	v_and_b32_e32 v34, 1, v37
	v_cmp_eq_u32_e64 s[0:1], 1, v34
	s_or_b64 s[0:1], vcc, s[0:1]
	v_lshl_add_u64 v[14:15], v[38:39], 0, v[14:15]
	v_cndmask_b32_e64 v34, 0, 1, s[0:1]
	v_cndmask_b32_e64 v36, 0, 1, s[0:1]
	s_and_b64 s[0:1], s[0:1], exec
	s_or_b64 s[60:61], s[60:61], s[0:1]
.LBB1474_203:                           ;   in Loop: Header=BB1474_188 Depth=1
	;; [unrolled: 28-line block ×3, first 2 shown]
	s_or_b64 exec, exec, s[64:65]
	s_waitcnt lgkmcnt(0)
	ds_bpermute_b32 v37, v31, v14
	ds_bpermute_b32 v38, v31, v15
	ds_bpermute_b32 v36, v31, v36
	v_cmp_le_u32_e32 vcc, v32, v35
	s_and_saveexec_b64 s[64:65], vcc
	s_cbranch_execz .LBB1474_187
; %bb.206:                              ;   in Loop: Header=BB1474_188 Depth=1
	v_cmp_eq_u16_sdwa vcc, v34, v9 src0_sel:BYTE_0 src1_sel:DWORD
	v_and_b32_e32 v34, 1, v34
	s_andn2_b64 s[60:61], s[60:61], exec
	s_waitcnt lgkmcnt(1)
	v_cndmask_b32_e32 v39, 0, v38, vcc
	v_cndmask_b32_e32 v38, 0, v37, vcc
	v_cmp_eq_u32_e32 vcc, 1, v34
	s_waitcnt lgkmcnt(0)
	v_and_b32_e32 v34, 1, v36
	v_cmp_eq_u32_e64 s[0:1], 1, v34
	s_or_b64 s[0:1], vcc, s[0:1]
	s_and_b64 s[0:1], s[0:1], exec
	v_lshl_add_u64 v[14:15], v[38:39], 0, v[14:15]
	s_or_b64 s[60:61], s[60:61], s[0:1]
	s_branch .LBB1474_187
.LBB1474_207:                           ;   in Loop: Header=BB1474_188 Depth=1
                                        ; implicit-def: $vgpr34
                                        ; implicit-def: $vgpr14_vgpr15
                                        ; implicit-def: $vgpr5
	s_cbranch_execz .LBB1474_188
; %bb.208:
	s_and_saveexec_b64 s[0:1], s[44:45]
	s_cbranch_execz .LBB1474_210
; %bb.209:
	s_mov_b32 s49, 0
	v_mov_b32_e32 v5, 0
	s_add_i32 s48, s55, 64
	v_cmp_eq_u32_sdwa vcc, v4, v5 src0_sel:BYTE_0 src1_sel:DWORD
	s_lshl_b64 s[60:61], s[48:49], 4
	v_and_b32_e32 v4, 1, v4
	v_cndmask_b32_e32 v9, 0, v13, vcc
	v_cndmask_b32_e32 v8, 0, v12, vcc
	s_add_u32 s60, s50, s60
	v_lshl_add_u64 v[2:3], v[8:9], 0, v[2:3]
	v_and_b32_e32 v8, 1, v30
	v_cmp_eq_u32_e32 vcc, 1, v4
	s_addc_u32 s61, s51, s61
	s_nop 0
	v_cndmask_b32_e64 v4, v8, 1, vcc
	global_store_dword v5, v2, s[60:61] sc1
	global_store_dword v5, v3, s[60:61] offset:4 sc1
	global_store_dword v5, v4, s[60:61] offset:8 sc1
	;; [unrolled: 1-line block ×3, first 2 shown]
	v_mov_b32_e32 v2, s48
	v_mov_b32_e32 v3, 2
	s_waitcnt vmcnt(0) lgkmcnt(0)
	global_store_byte v2, v3, s[52:53] sc1
.LBB1474_210:
	s_or_b64 exec, exec, s[0:1]
	s_and_b64 exec, exec, s[46:47]
	s_cbranch_execz .LBB1474_212
; %bb.211:
	v_mov_b32_e32 v2, 0
	ds_write_b64 v2, v[12:13] offset:48
	ds_write_b8 v2, v30 offset:56
.LBB1474_212:
	s_or_b64 exec, exec, s[58:59]
	v_mov_b32_e32 v8, 0
	s_waitcnt lgkmcnt(0)
	s_barrier
	ds_read_b64 v[2:3], v8 offset:48
	v_cndmask_b32_e64 v9, v19, v16, s[44:45]
	v_cmp_eq_u16_sdwa vcc, v9, v8 src0_sel:BYTE_0 src1_sel:DWORD
	v_cndmask_b32_e64 v4, v17, v6, s[44:45]
	v_cndmask_b32_e64 v5, v18, v7, s[44:45]
	s_waitcnt lgkmcnt(0)
	v_cndmask_b32_e32 v7, 0, v3, vcc
	v_cndmask_b32_e32 v6, 0, v2, vcc
	v_lshl_add_u64 v[4:5], v[4:5], 0, v[6:7]
	v_cndmask_b32_e64 v85, v5, v3, s[46:47]
	v_cndmask_b32_e64 v84, v4, v2, s[46:47]
	v_cmp_eq_u16_sdwa vcc, v1, v8 src0_sel:BYTE_0 src1_sel:DWORD
	s_nop 1
	v_cndmask_b32_e32 v3, 0, v85, vcc
	v_cndmask_b32_e32 v2, 0, v84, vcc
	v_lshl_add_u64 v[6:7], v[2:3], 0, v[44:45]
	v_cndmask_b32_e64 v3, 0, v7, s[4:5]
	v_cndmask_b32_e64 v2, 0, v6, s[4:5]
	v_lshl_add_u64 v[2:3], v[2:3], 0, v[46:47]
	v_cndmask_b32_e64 v5, 0, v3, s[6:7]
	v_cndmask_b32_e64 v4, 0, v2, s[6:7]
	;; [unrolled: 3-line block ×19, first 2 shown]
	s_branch .LBB1474_241
.LBB1474_213:
                                        ; implicit-def: $vgpr2_vgpr3_vgpr4_vgpr5
                                        ; implicit-def: $vgpr84_vgpr85
                                        ; implicit-def: $vgpr104_vgpr105
                                        ; implicit-def: $vgpr102_vgpr103
                                        ; implicit-def: $vgpr100_vgpr101
                                        ; implicit-def: $vgpr98_vgpr99
                                        ; implicit-def: $vgpr96_vgpr97
                                        ; implicit-def: $vgpr94_vgpr95
                                        ; implicit-def: $vgpr92_vgpr93
                                        ; implicit-def: $vgpr90_vgpr91
                                        ; implicit-def: $vgpr88_vgpr89
                                        ; implicit-def: $vgpr86_vgpr87
                                        ; implicit-def: $vgpr36_vgpr37_vgpr38_vgpr39
                                        ; implicit-def: $vgpr32_vgpr33_vgpr34_vgpr35
                                        ; implicit-def: $vgpr28_vgpr29_vgpr30_vgpr31
                                        ; implicit-def: $vgpr24_vgpr25_vgpr26_vgpr27
                                        ; implicit-def: $vgpr20_vgpr21_vgpr22_vgpr23
                                        ; implicit-def: $vgpr16_vgpr17_vgpr18_vgpr19
                                        ; implicit-def: $vgpr12_vgpr13_vgpr14_vgpr15
                                        ; implicit-def: $vgpr8_vgpr9_vgpr10_vgpr11
                                        ; implicit-def: $vgpr4_vgpr5_vgpr6_vgpr7
	s_cbranch_execz .LBB1474_241
; %bb.214:
	s_cmp_lg_u64 s[70:71], 0
	s_cselect_b32 s1, s67, 0
	s_cselect_b32 s0, s66, 0
	s_cmp_eq_u64 s[0:1], 0
	v_mov_b64_e32 v[4:5], s[68:69]
	s_cbranch_scc1 .LBB1474_216
; %bb.215:
	v_mov_b32_e32 v2, 0
	global_load_dwordx2 v[4:5], v2, s[0:1]
.LBB1474_216:
	v_mov_b32_e32 v6, 0
	v_cmp_eq_u16_sdwa vcc, v106, v6 src0_sel:BYTE_0 src1_sel:DWORD
	v_cmp_eq_u16_sdwa s[4:5], v107, v6 src0_sel:BYTE_0 src1_sel:DWORD
	v_cmp_eq_u16_sdwa s[6:7], v109, v6 src0_sel:BYTE_0 src1_sel:DWORD
	v_cndmask_b32_e32 v3, 0, v45, vcc
	v_cndmask_b32_e32 v2, 0, v44, vcc
	v_lshl_add_u64 v[2:3], v[2:3], 0, v[46:47]
	v_cndmask_b32_e64 v3, 0, v3, s[4:5]
	v_cndmask_b32_e64 v2, 0, v2, s[4:5]
	v_lshl_add_u64 v[2:3], v[2:3], 0, v[48:49]
	v_cndmask_b32_e64 v3, 0, v3, s[6:7]
	v_cndmask_b32_e64 v2, 0, v2, s[6:7]
	v_lshl_add_u64 v[2:3], v[2:3], 0, v[50:51]
	v_cmp_eq_u16_sdwa s[8:9], v110, v6 src0_sel:BYTE_0 src1_sel:DWORD
	v_cmp_eq_u16_sdwa s[10:11], v111, v6 src0_sel:BYTE_0 src1_sel:DWORD
	v_cmp_eq_u16_sdwa s[12:13], v112, v6 src0_sel:BYTE_0 src1_sel:DWORD
	v_cndmask_b32_e64 v3, 0, v3, s[8:9]
	v_cndmask_b32_e64 v2, 0, v2, s[8:9]
	v_lshl_add_u64 v[2:3], v[2:3], 0, v[52:53]
	v_cndmask_b32_e64 v3, 0, v3, s[10:11]
	v_cndmask_b32_e64 v2, 0, v2, s[10:11]
	v_lshl_add_u64 v[2:3], v[2:3], 0, v[54:55]
	v_cndmask_b32_e64 v3, 0, v3, s[12:13]
	v_cndmask_b32_e64 v2, 0, v2, s[12:13]
	v_lshl_add_u64 v[2:3], v[2:3], 0, v[56:57]
	v_cmp_eq_u16_sdwa s[14:15], v113, v6 src0_sel:BYTE_0 src1_sel:DWORD
	v_cmp_eq_u16_sdwa s[16:17], v114, v6 src0_sel:BYTE_0 src1_sel:DWORD
	v_cmp_eq_u16_sdwa s[18:19], v115, v6 src0_sel:BYTE_0 src1_sel:DWORD
	v_cndmask_b32_e64 v3, 0, v3, s[14:15]
	v_cndmask_b32_e64 v2, 0, v2, s[14:15]
	;; [unrolled: 12-line block ×3, first 2 shown]
	v_lshl_add_u64 v[2:3], v[2:3], 0, v[64:65]
	v_cndmask_b32_e64 v3, 0, v3, s[22:23]
	v_cndmask_b32_e64 v2, 0, v2, s[22:23]
	v_lshl_add_u64 v[2:3], v[2:3], 0, v[66:67]
	v_cmp_eq_u16_sdwa s[26:27], v119, v6 src0_sel:BYTE_0 src1_sel:DWORD
	v_cmp_eq_u16_sdwa s[28:29], v120, v6 src0_sel:BYTE_0 src1_sel:DWORD
	;; [unrolled: 1-line block ×8, first 2 shown]
	v_or_b32_e32 v6, v127, v123
	v_cndmask_b32_e64 v3, 0, v3, s[24:25]
	v_cndmask_b32_e64 v2, 0, v2, s[24:25]
	v_or_b32_e32 v6, v6, v122
	v_lshl_add_u64 v[2:3], v[2:3], 0, v[68:69]
	v_or_b32_e32 v6, v6, v121
	v_cndmask_b32_e64 v3, 0, v3, s[26:27]
	v_cndmask_b32_e64 v2, 0, v2, s[26:27]
	v_or_b32_e32 v6, v6, v120
	v_lshl_add_u64 v[2:3], v[2:3], 0, v[70:71]
	;; [unrolled: 5-line block ×8, first 2 shown]
	v_or_b32_e32 v6, v6, v106
	v_cndmask_b32_e64 v3, 0, v3, s[0:1]
	v_cndmask_b32_e64 v2, 0, v2, s[0:1]
	v_or_b32_e32 v6, v6, v1
	v_mbcnt_hi_u32_b32 v8, -1, v126
	v_lshl_add_u64 v[2:3], v[2:3], 0, v[82:83]
	v_and_b32_e32 v9, 1, v6
	v_and_b32_e32 v7, 15, v8
	v_cmp_eq_u32_e64 s[0:1], 1, v9
	v_mov_b32_dpp v11, v2 row_shr:1 row_mask:0xf bank_mask:0xf
	v_mov_b32_dpp v12, v3 row_shr:1 row_mask:0xf bank_mask:0xf
	;; [unrolled: 1-line block ×3, first 2 shown]
	v_cmp_ne_u32_e64 s[42:43], 0, v7
	v_mov_b32_e32 v6, v9
	s_and_saveexec_b64 s[44:45], s[42:43]
; %bb.217:
	v_and_b32_e32 v6, 1, v10
	v_cndmask_b32_e64 v13, v12, 0, s[0:1]
	v_cndmask_b32_e64 v12, v11, 0, s[0:1]
	v_or_b32_e32 v9, v6, v9
	v_lshl_add_u64 v[2:3], v[12:13], 0, v[2:3]
	v_and_b32_e32 v6, 0xffff, v9
; %bb.218:
	s_or_b64 exec, exec, s[44:45]
	v_mov_b32_dpp v11, v2 row_shr:2 row_mask:0xf bank_mask:0xf
	v_mov_b32_dpp v12, v3 row_shr:2 row_mask:0xf bank_mask:0xf
	;; [unrolled: 1-line block ×3, first 2 shown]
	v_cmp_lt_u32_e64 s[0:1], 1, v7
	s_and_saveexec_b64 s[44:45], s[0:1]
; %bb.219:
	v_cmp_eq_u16_e64 s[0:1], 0, v9
	v_and_b32_e32 v6, 1, v9
	s_nop 0
	v_cndmask_b32_e64 v13, 0, v12, s[0:1]
	v_cndmask_b32_e64 v12, 0, v11, s[0:1]
	v_cmp_eq_u32_e64 s[0:1], 1, v6
	v_and_b32_e32 v6, 1, v10
	v_cmp_eq_u32_e64 s[42:43], 1, v6
	s_or_b64 s[0:1], s[0:1], s[42:43]
	v_lshl_add_u64 v[2:3], v[12:13], 0, v[2:3]
	v_cndmask_b32_e64 v9, 0, 1, s[0:1]
	v_cndmask_b32_e64 v6, 0, 1, s[0:1]
; %bb.220:
	s_or_b64 exec, exec, s[44:45]
	v_mov_b32_dpp v11, v2 row_shr:4 row_mask:0xf bank_mask:0xf
	v_mov_b32_dpp v12, v3 row_shr:4 row_mask:0xf bank_mask:0xf
	;; [unrolled: 1-line block ×3, first 2 shown]
	v_cmp_lt_u32_e64 s[0:1], 3, v7
	s_and_saveexec_b64 s[44:45], s[0:1]
; %bb.221:
	v_cmp_eq_u16_e64 s[0:1], 0, v9
	v_and_b32_e32 v6, 1, v9
	s_nop 0
	v_cndmask_b32_e64 v13, 0, v12, s[0:1]
	v_cndmask_b32_e64 v12, 0, v11, s[0:1]
	v_cmp_eq_u32_e64 s[0:1], 1, v6
	v_and_b32_e32 v6, 1, v10
	v_cmp_eq_u32_e64 s[42:43], 1, v6
	s_or_b64 s[0:1], s[0:1], s[42:43]
	v_lshl_add_u64 v[2:3], v[12:13], 0, v[2:3]
	v_cndmask_b32_e64 v9, 0, 1, s[0:1]
	v_cndmask_b32_e64 v6, 0, 1, s[0:1]
; %bb.222:
	s_or_b64 exec, exec, s[44:45]
	v_mov_b32_dpp v11, v2 row_shr:8 row_mask:0xf bank_mask:0xf
	v_mov_b32_dpp v12, v3 row_shr:8 row_mask:0xf bank_mask:0xf
	;; [unrolled: 1-line block ×3, first 2 shown]
	v_cmp_lt_u32_e64 s[0:1], 7, v7
	s_and_saveexec_b64 s[44:45], s[0:1]
; %bb.223:
	v_cmp_eq_u16_e64 s[0:1], 0, v9
	s_nop 1
	v_cndmask_b32_e64 v7, 0, v12, s[0:1]
	v_cndmask_b32_e64 v6, 0, v11, s[0:1]
	v_lshl_add_u64 v[2:3], v[6:7], 0, v[2:3]
	v_and_b32_e32 v6, 1, v9
	v_cmp_eq_u32_e64 s[0:1], 1, v6
	v_and_b32_e32 v6, 1, v10
	v_cmp_eq_u32_e64 s[42:43], 1, v6
	s_or_b64 s[0:1], s[0:1], s[42:43]
	v_cndmask_b32_e64 v9, 0, 1, s[0:1]
	v_cndmask_b32_e64 v6, 0, 1, s[0:1]
; %bb.224:
	s_or_b64 exec, exec, s[44:45]
	v_and_b32_e32 v12, 16, v8
	v_mov_b32_dpp v10, v2 row_bcast:15 row_mask:0xf bank_mask:0xf
	v_mov_b32_dpp v11, v3 row_bcast:15 row_mask:0xf bank_mask:0xf
	;; [unrolled: 1-line block ×3, first 2 shown]
	v_cmp_ne_u32_e64 s[0:1], 0, v12
	s_and_saveexec_b64 s[44:45], s[0:1]
; %bb.225:
	v_cmp_eq_u16_e64 s[0:1], 0, v9
	v_and_b32_e32 v6, 1, v9
	s_nop 0
	v_cndmask_b32_e64 v11, 0, v11, s[0:1]
	v_cndmask_b32_e64 v10, 0, v10, s[0:1]
	v_cmp_eq_u32_e64 s[0:1], 1, v6
	v_and_b32_e32 v6, 1, v7
	v_cmp_eq_u32_e64 s[42:43], 1, v6
	s_or_b64 s[0:1], s[0:1], s[42:43]
	v_lshl_add_u64 v[2:3], v[10:11], 0, v[2:3]
	v_cndmask_b32_e64 v9, 0, 1, s[0:1]
	v_cndmask_b32_e64 v6, 0, 1, s[0:1]
; %bb.226:
	s_or_b64 exec, exec, s[44:45]
	v_mov_b32_dpp v7, v2 row_bcast:31 row_mask:0xf bank_mask:0xf
	v_mov_b32_dpp v10, v3 row_bcast:31 row_mask:0xf bank_mask:0xf
	;; [unrolled: 1-line block ×3, first 2 shown]
	v_cmp_lt_u32_e64 s[0:1], 31, v8
	s_and_saveexec_b64 s[44:45], s[0:1]
; %bb.227:
	v_cmp_eq_u16_e64 s[0:1], 0, v9
	v_and_b32_e32 v6, 1, v6
	v_cmp_eq_u32_e64 s[42:43], 1, v6
	v_cndmask_b32_e64 v11, 0, v10, s[0:1]
	v_cndmask_b32_e64 v10, 0, v7, s[0:1]
	v_and_b32_e32 v7, 1, v9
	v_cmp_eq_u32_e64 s[0:1], 1, v7
	s_or_b64 s[0:1], s[0:1], s[42:43]
	v_lshl_add_u64 v[2:3], v[10:11], 0, v[2:3]
	v_cndmask_b32_e64 v9, 0, 1, s[0:1]
; %bb.228:
	s_or_b64 exec, exec, s[44:45]
	v_or_b32_e32 v6, 63, v0
	v_lshrrev_b32_e32 v10, 6, v0
	v_cmp_eq_u32_e64 s[0:1], v6, v0
	s_and_saveexec_b64 s[42:43], s[0:1]
	s_cbranch_execz .LBB1474_230
; %bb.229:
	v_lshlrev_b32_e32 v6, 4, v10
	ds_write_b64 v6, v[2:3]
	ds_write_b8 v6, v9 offset:8
.LBB1474_230:
	s_or_b64 exec, exec, s[42:43]
	v_cmp_gt_u32_e64 s[0:1], 4, v0
	s_waitcnt lgkmcnt(0)
	s_barrier
	s_and_saveexec_b64 s[44:45], s[0:1]
	s_cbranch_execz .LBB1474_236
; %bb.231:
	v_lshlrev_b32_e32 v11, 4, v0
	ds_read_b64 v[6:7], v11
	ds_read_b32 v12, v11 offset:8
	v_and_b32_e32 v13, 3, v8
	v_cmp_ne_u32_e64 s[0:1], 0, v13
	s_waitcnt lgkmcnt(1)
	v_mov_b32_dpp v17, v6 row_shr:1 row_mask:0xf bank_mask:0xf
	v_mov_b32_dpp v18, v7 row_shr:1 row_mask:0xf bank_mask:0xf
	s_waitcnt lgkmcnt(0)
	v_mov_b32_dpp v16, v12 row_shr:1 row_mask:0xf bank_mask:0xf
	v_mov_b32_e32 v14, v12
	v_mov_b32_e32 v15, v12
	s_and_saveexec_b64 s[42:43], s[0:1]
; %bb.232:
	v_mov_b32_e32 v14, 0
	v_cmp_eq_u16_sdwa s[0:1], v12, v14 src0_sel:BYTE_0 src1_sel:DWORD
	s_nop 1
	v_cndmask_b32_e64 v15, 0, v18, s[0:1]
	v_cndmask_b32_e64 v14, 0, v17, s[0:1]
	v_lshl_add_u64 v[6:7], v[14:15], 0, v[6:7]
	v_or_b32_e32 v15, v16, v12
	v_and_b32_e32 v14, 1, v15
	v_and_b32_e32 v15, 1, v15
	s_movk_i32 s0, 0xff00
	v_and_or_b32 v12, v12, s0, v15
; %bb.233:
	s_or_b64 exec, exec, s[42:43]
	v_mov_b32_dpp v16, v6 row_shr:2 row_mask:0xf bank_mask:0xf
	v_mov_b32_dpp v17, v7 row_shr:2 row_mask:0xf bank_mask:0xf
	;; [unrolled: 1-line block ×3, first 2 shown]
	v_cmp_lt_u32_e64 s[0:1], 1, v13
	s_and_saveexec_b64 s[48:49], s[0:1]
; %bb.234:
	v_mov_b32_e32 v13, 0
	v_cmp_eq_u16_sdwa s[0:1], v15, v13 src0_sel:BYTE_0 src1_sel:DWORD
	v_and_b32_e32 v13, 1, v15
	v_and_b32_e32 v12, 1, v12
	v_cndmask_b32_e64 v17, 0, v17, s[0:1]
	v_cndmask_b32_e64 v16, 0, v16, s[0:1]
	v_cmp_eq_u32_e64 s[0:1], 1, v13
	v_cmp_eq_u32_e64 s[42:43], 1, v12
	s_or_b64 s[0:1], s[0:1], s[42:43]
	v_lshl_add_u64 v[6:7], v[16:17], 0, v[6:7]
	v_cndmask_b32_e64 v14, 0, 1, s[0:1]
; %bb.235:
	s_or_b64 exec, exec, s[48:49]
	ds_write_b64 v11, v[6:7]
	ds_write_b8 v11, v14 offset:8
.LBB1474_236:
	s_or_b64 exec, exec, s[44:45]
	v_cmp_lt_u32_e64 s[0:1], 63, v0
	s_waitcnt vmcnt(0)
	v_mov_b64_e32 v[6:7], v[4:5]
	s_waitcnt lgkmcnt(0)
	s_barrier
	s_and_saveexec_b64 s[42:43], s[0:1]
	s_cbranch_execz .LBB1474_238
; %bb.237:
	v_lshl_add_u32 v6, v10, 4, -16
	ds_read_u8 v10, v6 offset:8
	ds_read_b64 v[6:7], v6
	s_waitcnt lgkmcnt(1)
	v_cmp_eq_u16_e64 s[0:1], 0, v10
	s_nop 1
	v_cndmask_b32_e64 v11, 0, v5, s[0:1]
	v_cndmask_b32_e64 v10, 0, v4, s[0:1]
	s_waitcnt lgkmcnt(0)
	v_lshl_add_u64 v[6:7], v[10:11], 0, v[6:7]
.LBB1474_238:
	s_or_b64 exec, exec, s[42:43]
	v_cmp_eq_u16_e64 s[0:1], 0, v9
	v_add_u32_e32 v9, -1, v8
	s_nop 0
	v_cndmask_b32_e64 v11, 0, v7, s[0:1]
	v_cndmask_b32_e64 v10, 0, v6, s[0:1]
	v_lshl_add_u64 v[2:3], v[10:11], 0, v[2:3]
	v_and_b32_e32 v10, 64, v8
	v_cmp_lt_i32_e64 s[0:1], v9, v10
	v_mov_b32_e32 v10, 0
	s_nop 0
	v_cndmask_b32_e64 v9, v9, v8, s[0:1]
	v_lshlrev_b32_e32 v9, 2, v9
	ds_bpermute_b32 v3, v9, v3
	ds_bpermute_b32 v2, v9, v2
	v_cmp_eq_u32_e64 s[0:1], 0, v8
	s_waitcnt lgkmcnt(1)
	s_nop 0
	v_cndmask_b32_e64 v85, v3, v7, s[0:1]
	s_waitcnt lgkmcnt(0)
	v_cndmask_b32_e64 v84, v2, v6, s[0:1]
	v_cndmask_b32_e64 v2, v84, v4, s[46:47]
	;; [unrolled: 1-line block ×3, first 2 shown]
	v_cmp_eq_u16_sdwa s[0:1], v1, v10 src0_sel:BYTE_0 src1_sel:DWORD
	s_nop 1
	v_cndmask_b32_e64 v3, 0, v3, s[0:1]
	v_cndmask_b32_e64 v2, 0, v2, s[0:1]
	v_lshl_add_u64 v[6:7], v[2:3], 0, v[44:45]
	v_cndmask_b32_e32 v3, 0, v7, vcc
	v_cndmask_b32_e32 v2, 0, v6, vcc
	v_lshl_add_u64 v[2:3], v[2:3], 0, v[46:47]
	v_cndmask_b32_e64 v9, 0, v3, s[4:5]
	v_cndmask_b32_e64 v8, 0, v2, s[4:5]
	v_lshl_add_u64 v[86:87], v[8:9], 0, v[48:49]
	v_cndmask_b32_e64 v9, 0, v87, s[6:7]
	v_cndmask_b32_e64 v8, 0, v86, s[6:7]
	;; [unrolled: 3-line block ×18, first 2 shown]
	s_and_saveexec_b64 s[0:1], s[46:47]
	s_cbranch_execz .LBB1474_240
; %bb.239:
	ds_read_u8 v1, v10 offset:56
	ds_read_b64 v[14:15], v10 offset:48
	v_mov_b64_e32 v[84:85], v[4:5]
	s_waitcnt lgkmcnt(1)
	v_cmp_eq_u32_e32 vcc, 0, v1
	s_nop 1
	v_cndmask_b32_e32 v19, 0, v5, vcc
	v_cndmask_b32_e32 v18, 0, v4, vcc
	s_waitcnt lgkmcnt(0)
	v_lshl_add_u64 v[14:15], v[18:19], 0, v[14:15]
	global_store_dword v10, v14, s[50:51] offset:1024 sc1
	global_store_dword v10, v15, s[50:51] offset:1028 sc1
	;; [unrolled: 1-line block ×4, first 2 shown]
	v_mov_b32_e32 v1, 2
	s_waitcnt vmcnt(0)
	global_store_byte v10, v1, s[52:53] offset:64 sc1
.LBB1474_240:
	s_or_b64 exec, exec, s[0:1]
.LBB1474_241:
	s_add_u32 s0, s62, s56
	s_addc_u32 s1, s63, s57
	v_lshl_add_u64 v[14:15], v[104:105], 0, v[40:41]
	v_lshl_add_u64 v[4:5], s[0:1], 0, v[42:43]
	s_and_b64 vcc, exec, s[2:3]
	v_lshlrev_b32_e32 v10, 3, v0
	s_cbranch_vccz .LBB1474_283
; %bb.242:
	s_movk_i32 s0, 0xa8
	v_mul_i32_i24_e32 v22, 0xffffff60, v0
	v_mul_u32_u24_e32 v1, 0xa8, v0
	v_mad_u32_u24 v11, v0, s0, v22
	s_barrier
	ds_write2_b64 v1, v[84:85], v[6:7] offset1:1
	ds_write2_b64 v1, v[2:3], v[86:87] offset0:2 offset1:3
	ds_write2_b64 v1, v[8:9], v[88:89] offset0:4 offset1:5
	;; [unrolled: 1-line block ×9, first 2 shown]
	ds_write_b64 v1, v[14:15] offset:160
	s_waitcnt lgkmcnt(0)
	s_barrier
	ds_read2st64_b64 v[74:77], v11 offset0:4 offset1:8
	ds_read2st64_b64 v[70:73], v11 offset0:12 offset1:16
	ds_read2st64_b64 v[66:69], v11 offset0:20 offset1:24
	ds_read2st64_b64 v[62:65], v11 offset0:28 offset1:32
	ds_read2st64_b64 v[58:61], v11 offset0:36 offset1:40
	ds_read2st64_b64 v[54:57], v11 offset0:44 offset1:48
	ds_read2st64_b64 v[50:53], v11 offset0:52 offset1:56
	ds_read2st64_b64 v[46:49], v11 offset0:60 offset1:64
	ds_read2st64_b64 v[42:45], v11 offset0:68 offset1:72
	ds_read2st64_b64 v[38:41], v11 offset0:76 offset1:80
	s_add_i32 s33, s33, s54
	v_mov_b32_e32 v11, 0
	v_lshl_add_u64 v[18:19], v[4:5], 0, v[10:11]
	v_cmp_gt_u32_e32 vcc, s33, v0
	s_and_saveexec_b64 s[0:1], vcc
	s_cbranch_execz .LBB1474_244
; %bb.243:
	v_add_u32_e32 v1, v1, v22
	ds_read_b64 v[22:23], v1
	s_waitcnt lgkmcnt(0)
	flat_store_dwordx2 v[18:19], v[22:23]
.LBB1474_244:
	s_or_b64 exec, exec, s[0:1]
	v_or_b32_e32 v1, 0x100, v0
	v_cmp_gt_u32_e32 vcc, s33, v1
	s_and_saveexec_b64 s[0:1], vcc
	s_cbranch_execz .LBB1474_246
; %bb.245:
	s_waitcnt lgkmcnt(0)
	flat_store_dwordx2 v[18:19], v[74:75] offset:2048
.LBB1474_246:
	s_or_b64 exec, exec, s[0:1]
	v_or_b32_e32 v1, 0x200, v0
	v_cmp_gt_u32_e32 vcc, s33, v1
	s_and_saveexec_b64 s[0:1], vcc
	s_cbranch_execz .LBB1474_248
; %bb.247:
	v_add_co_u32_e32 v22, vcc, 0x1000, v18
	s_nop 1
	v_addc_co_u32_e32 v23, vcc, 0, v19, vcc
	s_waitcnt lgkmcnt(0)
	flat_store_dwordx2 v[22:23], v[76:77]
.LBB1474_248:
	s_or_b64 exec, exec, s[0:1]
	v_or_b32_e32 v1, 0x300, v0
	v_cmp_gt_u32_e32 vcc, s33, v1
	s_and_saveexec_b64 s[0:1], vcc
	s_cbranch_execz .LBB1474_250
; %bb.249:
	v_add_co_u32_e32 v22, vcc, 0x1000, v18
	s_nop 1
	v_addc_co_u32_e32 v23, vcc, 0, v19, vcc
	s_waitcnt lgkmcnt(0)
	flat_store_dwordx2 v[22:23], v[70:71] offset:2048
.LBB1474_250:
	s_or_b64 exec, exec, s[0:1]
	v_or_b32_e32 v1, 0x400, v0
	v_cmp_gt_u32_e32 vcc, s33, v1
	s_and_saveexec_b64 s[0:1], vcc
	s_cbranch_execz .LBB1474_252
; %bb.251:
	v_add_co_u32_e32 v22, vcc, 0x2000, v18
	s_nop 1
	v_addc_co_u32_e32 v23, vcc, 0, v19, vcc
	s_waitcnt lgkmcnt(0)
	flat_store_dwordx2 v[22:23], v[72:73]
.LBB1474_252:
	s_or_b64 exec, exec, s[0:1]
	v_or_b32_e32 v1, 0x500, v0
	v_cmp_gt_u32_e32 vcc, s33, v1
	s_and_saveexec_b64 s[0:1], vcc
	s_cbranch_execz .LBB1474_254
; %bb.253:
	v_add_co_u32_e32 v22, vcc, 0x2000, v18
	s_nop 1
	v_addc_co_u32_e32 v23, vcc, 0, v19, vcc
	s_waitcnt lgkmcnt(0)
	flat_store_dwordx2 v[22:23], v[66:67] offset:2048
.LBB1474_254:
	;; [unrolled: 24-line block ×9, first 2 shown]
	s_or_b64 exec, exec, s[0:1]
	v_mov_b32_e32 v1, v11
	v_or_b32_e32 v11, 0x1400, v0
	v_cmp_gt_u32_e64 s[0:1], s33, v11
	s_branch .LBB1474_285
.LBB1474_283:
	s_mov_b64 s[0:1], 0
                                        ; implicit-def: $vgpr40_vgpr41
	s_cbranch_execz .LBB1474_285
; %bb.284:
	v_mul_u32_u24_e32 v1, 0xa8, v0
	s_waitcnt lgkmcnt(0)
	s_barrier
	s_movk_i32 s2, 0xa8
	ds_write2_b64 v1, v[84:85], v[6:7] offset1:1
	ds_write2_b64 v1, v[2:3], v[86:87] offset0:2 offset1:3
	ds_write2_b64 v1, v[8:9], v[88:89] offset0:4 offset1:5
	;; [unrolled: 1-line block ×9, first 2 shown]
	ds_write_b64 v1, v[14:15] offset:160
	v_mov_b32_e32 v1, 0
	v_mul_i32_i24_e32 v2, 0xffffff60, v0
	v_mad_u32_u24 v2, v0, s2, v2
	v_mov_b32_e32 v11, v1
	s_waitcnt lgkmcnt(0)
	s_barrier
	ds_read2st64_b64 v[6:9], v2 offset1:4
	ds_read2st64_b64 v[12:15], v2 offset0:8 offset1:12
	ds_read2st64_b64 v[16:19], v2 offset0:16 offset1:20
	;; [unrolled: 1-line block ×9, first 2 shown]
	ds_read_b64 v[40:41], v2 offset:40960
	v_lshl_add_u64 v[2:3], v[4:5], 0, v[10:11]
	s_movk_i32 s2, 0x1000
	s_waitcnt lgkmcnt(0)
	flat_store_dwordx2 v[2:3], v[6:7]
	flat_store_dwordx2 v[2:3], v[8:9] offset:2048
	v_add_co_u32_e32 v6, vcc, s2, v2
	s_movk_i32 s2, 0x2000
	s_nop 0
	v_addc_co_u32_e32 v7, vcc, 0, v3, vcc
	flat_store_dwordx2 v[6:7], v[12:13]
	flat_store_dwordx2 v[6:7], v[14:15] offset:2048
	v_add_co_u32_e32 v6, vcc, s2, v2
	s_movk_i32 s2, 0x3000
	s_nop 0
	v_addc_co_u32_e32 v7, vcc, 0, v3, vcc
	;; [unrolled: 6-line block ×6, first 2 shown]
	flat_store_dwordx2 v[6:7], v[32:33]
	flat_store_dwordx2 v[6:7], v[34:35] offset:2048
	v_add_co_u32_e32 v6, vcc, s2, v2
	s_or_b64 s[0:1], s[0:1], exec
	s_nop 0
	v_addc_co_u32_e32 v7, vcc, 0, v3, vcc
	flat_store_dwordx2 v[6:7], v[36:37]
	flat_store_dwordx2 v[6:7], v[38:39] offset:2048
	v_add_co_u32_e32 v6, vcc, 0x8000, v2
	s_nop 1
	v_addc_co_u32_e32 v7, vcc, 0, v3, vcc
	v_add_co_u32_e32 v2, vcc, 0x9000, v2
	flat_store_dwordx2 v[6:7], v[42:43]
	flat_store_dwordx2 v[6:7], v[44:45] offset:2048
	v_addc_co_u32_e32 v3, vcc, 0, v3, vcc
	flat_store_dwordx2 v[2:3], v[46:47]
	flat_store_dwordx2 v[2:3], v[48:49] offset:2048
.LBB1474_285:
	s_and_saveexec_b64 s[2:3], s[0:1]
	s_cbranch_execz .LBB1474_287
; %bb.286:
	v_lshl_add_u64 v[0:1], v[0:1], 3, v[4:5]
	v_add_co_u32_e32 v0, vcc, 0xa000, v0
	s_nop 1
	v_addc_co_u32_e32 v1, vcc, 0, v1, vcc
	s_waitcnt lgkmcnt(0)
	flat_store_dwordx2 v[0:1], v[40:41]
	s_endpgm
.LBB1474_287:
	s_endpgm
	.section	.rodata,"a",@progbits
	.p2align	6, 0x0
	.amdhsa_kernel _ZN7rocprim17ROCPRIM_400000_NS6detail17trampoline_kernelINS0_14default_configENS1_27scan_by_key_config_selectorIiyEEZZNS1_16scan_by_key_implILNS1_25lookback_scan_determinismE0ELb1ES3_N6thrust23THRUST_200600_302600_NS6detail15normal_iteratorINS9_10device_ptrIiEEEENSB_INSC_IyEEEESG_yNS9_4plusIvEENS9_8equal_toIvEEyEE10hipError_tPvRmT2_T3_T4_T5_mT6_T7_P12ihipStream_tbENKUlT_T0_E_clISt17integral_constantIbLb1EES11_EEDaSW_SX_EUlSW_E_NS1_11comp_targetILNS1_3genE5ELNS1_11target_archE942ELNS1_3gpuE9ELNS1_3repE0EEENS1_30default_config_static_selectorELNS0_4arch9wavefront6targetE1EEEvT1_
		.amdhsa_group_segment_fixed_size 43008
		.amdhsa_private_segment_fixed_size 0
		.amdhsa_kernarg_size 136
		.amdhsa_user_sgpr_count 2
		.amdhsa_user_sgpr_dispatch_ptr 0
		.amdhsa_user_sgpr_queue_ptr 0
		.amdhsa_user_sgpr_kernarg_segment_ptr 1
		.amdhsa_user_sgpr_dispatch_id 0
		.amdhsa_user_sgpr_kernarg_preload_length 0
		.amdhsa_user_sgpr_kernarg_preload_offset 0
		.amdhsa_user_sgpr_private_segment_size 0
		.amdhsa_uses_dynamic_stack 0
		.amdhsa_enable_private_segment 0
		.amdhsa_system_sgpr_workgroup_id_x 1
		.amdhsa_system_sgpr_workgroup_id_y 0
		.amdhsa_system_sgpr_workgroup_id_z 0
		.amdhsa_system_sgpr_workgroup_info 0
		.amdhsa_system_vgpr_workitem_id 0
		.amdhsa_next_free_vgpr 128
		.amdhsa_next_free_sgpr 74
		.amdhsa_accum_offset 128
		.amdhsa_reserve_vcc 1
		.amdhsa_float_round_mode_32 0
		.amdhsa_float_round_mode_16_64 0
		.amdhsa_float_denorm_mode_32 3
		.amdhsa_float_denorm_mode_16_64 3
		.amdhsa_dx10_clamp 1
		.amdhsa_ieee_mode 1
		.amdhsa_fp16_overflow 0
		.amdhsa_tg_split 0
		.amdhsa_exception_fp_ieee_invalid_op 0
		.amdhsa_exception_fp_denorm_src 0
		.amdhsa_exception_fp_ieee_div_zero 0
		.amdhsa_exception_fp_ieee_overflow 0
		.amdhsa_exception_fp_ieee_underflow 0
		.amdhsa_exception_fp_ieee_inexact 0
		.amdhsa_exception_int_div_zero 0
	.end_amdhsa_kernel
	.section	.text._ZN7rocprim17ROCPRIM_400000_NS6detail17trampoline_kernelINS0_14default_configENS1_27scan_by_key_config_selectorIiyEEZZNS1_16scan_by_key_implILNS1_25lookback_scan_determinismE0ELb1ES3_N6thrust23THRUST_200600_302600_NS6detail15normal_iteratorINS9_10device_ptrIiEEEENSB_INSC_IyEEEESG_yNS9_4plusIvEENS9_8equal_toIvEEyEE10hipError_tPvRmT2_T3_T4_T5_mT6_T7_P12ihipStream_tbENKUlT_T0_E_clISt17integral_constantIbLb1EES11_EEDaSW_SX_EUlSW_E_NS1_11comp_targetILNS1_3genE5ELNS1_11target_archE942ELNS1_3gpuE9ELNS1_3repE0EEENS1_30default_config_static_selectorELNS0_4arch9wavefront6targetE1EEEvT1_,"axG",@progbits,_ZN7rocprim17ROCPRIM_400000_NS6detail17trampoline_kernelINS0_14default_configENS1_27scan_by_key_config_selectorIiyEEZZNS1_16scan_by_key_implILNS1_25lookback_scan_determinismE0ELb1ES3_N6thrust23THRUST_200600_302600_NS6detail15normal_iteratorINS9_10device_ptrIiEEEENSB_INSC_IyEEEESG_yNS9_4plusIvEENS9_8equal_toIvEEyEE10hipError_tPvRmT2_T3_T4_T5_mT6_T7_P12ihipStream_tbENKUlT_T0_E_clISt17integral_constantIbLb1EES11_EEDaSW_SX_EUlSW_E_NS1_11comp_targetILNS1_3genE5ELNS1_11target_archE942ELNS1_3gpuE9ELNS1_3repE0EEENS1_30default_config_static_selectorELNS0_4arch9wavefront6targetE1EEEvT1_,comdat
.Lfunc_end1474:
	.size	_ZN7rocprim17ROCPRIM_400000_NS6detail17trampoline_kernelINS0_14default_configENS1_27scan_by_key_config_selectorIiyEEZZNS1_16scan_by_key_implILNS1_25lookback_scan_determinismE0ELb1ES3_N6thrust23THRUST_200600_302600_NS6detail15normal_iteratorINS9_10device_ptrIiEEEENSB_INSC_IyEEEESG_yNS9_4plusIvEENS9_8equal_toIvEEyEE10hipError_tPvRmT2_T3_T4_T5_mT6_T7_P12ihipStream_tbENKUlT_T0_E_clISt17integral_constantIbLb1EES11_EEDaSW_SX_EUlSW_E_NS1_11comp_targetILNS1_3genE5ELNS1_11target_archE942ELNS1_3gpuE9ELNS1_3repE0EEENS1_30default_config_static_selectorELNS0_4arch9wavefront6targetE1EEEvT1_, .Lfunc_end1474-_ZN7rocprim17ROCPRIM_400000_NS6detail17trampoline_kernelINS0_14default_configENS1_27scan_by_key_config_selectorIiyEEZZNS1_16scan_by_key_implILNS1_25lookback_scan_determinismE0ELb1ES3_N6thrust23THRUST_200600_302600_NS6detail15normal_iteratorINS9_10device_ptrIiEEEENSB_INSC_IyEEEESG_yNS9_4plusIvEENS9_8equal_toIvEEyEE10hipError_tPvRmT2_T3_T4_T5_mT6_T7_P12ihipStream_tbENKUlT_T0_E_clISt17integral_constantIbLb1EES11_EEDaSW_SX_EUlSW_E_NS1_11comp_targetILNS1_3genE5ELNS1_11target_archE942ELNS1_3gpuE9ELNS1_3repE0EEENS1_30default_config_static_selectorELNS0_4arch9wavefront6targetE1EEEvT1_
                                        ; -- End function
	.section	.AMDGPU.csdata,"",@progbits
; Kernel info:
; codeLenInByte = 17276
; NumSgprs: 80
; NumVgprs: 128
; NumAgprs: 0
; TotalNumVgprs: 128
; ScratchSize: 0
; MemoryBound: 0
; FloatMode: 240
; IeeeMode: 1
; LDSByteSize: 43008 bytes/workgroup (compile time only)
; SGPRBlocks: 9
; VGPRBlocks: 15
; NumSGPRsForWavesPerEU: 80
; NumVGPRsForWavesPerEU: 128
; AccumOffset: 128
; Occupancy: 1
; WaveLimiterHint : 1
; COMPUTE_PGM_RSRC2:SCRATCH_EN: 0
; COMPUTE_PGM_RSRC2:USER_SGPR: 2
; COMPUTE_PGM_RSRC2:TRAP_HANDLER: 0
; COMPUTE_PGM_RSRC2:TGID_X_EN: 1
; COMPUTE_PGM_RSRC2:TGID_Y_EN: 0
; COMPUTE_PGM_RSRC2:TGID_Z_EN: 0
; COMPUTE_PGM_RSRC2:TIDIG_COMP_CNT: 0
; COMPUTE_PGM_RSRC3_GFX90A:ACCUM_OFFSET: 31
; COMPUTE_PGM_RSRC3_GFX90A:TG_SPLIT: 0
	.section	.text._ZN7rocprim17ROCPRIM_400000_NS6detail17trampoline_kernelINS0_14default_configENS1_27scan_by_key_config_selectorIiyEEZZNS1_16scan_by_key_implILNS1_25lookback_scan_determinismE0ELb1ES3_N6thrust23THRUST_200600_302600_NS6detail15normal_iteratorINS9_10device_ptrIiEEEENSB_INSC_IyEEEESG_yNS9_4plusIvEENS9_8equal_toIvEEyEE10hipError_tPvRmT2_T3_T4_T5_mT6_T7_P12ihipStream_tbENKUlT_T0_E_clISt17integral_constantIbLb1EES11_EEDaSW_SX_EUlSW_E_NS1_11comp_targetILNS1_3genE4ELNS1_11target_archE910ELNS1_3gpuE8ELNS1_3repE0EEENS1_30default_config_static_selectorELNS0_4arch9wavefront6targetE1EEEvT1_,"axG",@progbits,_ZN7rocprim17ROCPRIM_400000_NS6detail17trampoline_kernelINS0_14default_configENS1_27scan_by_key_config_selectorIiyEEZZNS1_16scan_by_key_implILNS1_25lookback_scan_determinismE0ELb1ES3_N6thrust23THRUST_200600_302600_NS6detail15normal_iteratorINS9_10device_ptrIiEEEENSB_INSC_IyEEEESG_yNS9_4plusIvEENS9_8equal_toIvEEyEE10hipError_tPvRmT2_T3_T4_T5_mT6_T7_P12ihipStream_tbENKUlT_T0_E_clISt17integral_constantIbLb1EES11_EEDaSW_SX_EUlSW_E_NS1_11comp_targetILNS1_3genE4ELNS1_11target_archE910ELNS1_3gpuE8ELNS1_3repE0EEENS1_30default_config_static_selectorELNS0_4arch9wavefront6targetE1EEEvT1_,comdat
	.protected	_ZN7rocprim17ROCPRIM_400000_NS6detail17trampoline_kernelINS0_14default_configENS1_27scan_by_key_config_selectorIiyEEZZNS1_16scan_by_key_implILNS1_25lookback_scan_determinismE0ELb1ES3_N6thrust23THRUST_200600_302600_NS6detail15normal_iteratorINS9_10device_ptrIiEEEENSB_INSC_IyEEEESG_yNS9_4plusIvEENS9_8equal_toIvEEyEE10hipError_tPvRmT2_T3_T4_T5_mT6_T7_P12ihipStream_tbENKUlT_T0_E_clISt17integral_constantIbLb1EES11_EEDaSW_SX_EUlSW_E_NS1_11comp_targetILNS1_3genE4ELNS1_11target_archE910ELNS1_3gpuE8ELNS1_3repE0EEENS1_30default_config_static_selectorELNS0_4arch9wavefront6targetE1EEEvT1_ ; -- Begin function _ZN7rocprim17ROCPRIM_400000_NS6detail17trampoline_kernelINS0_14default_configENS1_27scan_by_key_config_selectorIiyEEZZNS1_16scan_by_key_implILNS1_25lookback_scan_determinismE0ELb1ES3_N6thrust23THRUST_200600_302600_NS6detail15normal_iteratorINS9_10device_ptrIiEEEENSB_INSC_IyEEEESG_yNS9_4plusIvEENS9_8equal_toIvEEyEE10hipError_tPvRmT2_T3_T4_T5_mT6_T7_P12ihipStream_tbENKUlT_T0_E_clISt17integral_constantIbLb1EES11_EEDaSW_SX_EUlSW_E_NS1_11comp_targetILNS1_3genE4ELNS1_11target_archE910ELNS1_3gpuE8ELNS1_3repE0EEENS1_30default_config_static_selectorELNS0_4arch9wavefront6targetE1EEEvT1_
	.globl	_ZN7rocprim17ROCPRIM_400000_NS6detail17trampoline_kernelINS0_14default_configENS1_27scan_by_key_config_selectorIiyEEZZNS1_16scan_by_key_implILNS1_25lookback_scan_determinismE0ELb1ES3_N6thrust23THRUST_200600_302600_NS6detail15normal_iteratorINS9_10device_ptrIiEEEENSB_INSC_IyEEEESG_yNS9_4plusIvEENS9_8equal_toIvEEyEE10hipError_tPvRmT2_T3_T4_T5_mT6_T7_P12ihipStream_tbENKUlT_T0_E_clISt17integral_constantIbLb1EES11_EEDaSW_SX_EUlSW_E_NS1_11comp_targetILNS1_3genE4ELNS1_11target_archE910ELNS1_3gpuE8ELNS1_3repE0EEENS1_30default_config_static_selectorELNS0_4arch9wavefront6targetE1EEEvT1_
	.p2align	8
	.type	_ZN7rocprim17ROCPRIM_400000_NS6detail17trampoline_kernelINS0_14default_configENS1_27scan_by_key_config_selectorIiyEEZZNS1_16scan_by_key_implILNS1_25lookback_scan_determinismE0ELb1ES3_N6thrust23THRUST_200600_302600_NS6detail15normal_iteratorINS9_10device_ptrIiEEEENSB_INSC_IyEEEESG_yNS9_4plusIvEENS9_8equal_toIvEEyEE10hipError_tPvRmT2_T3_T4_T5_mT6_T7_P12ihipStream_tbENKUlT_T0_E_clISt17integral_constantIbLb1EES11_EEDaSW_SX_EUlSW_E_NS1_11comp_targetILNS1_3genE4ELNS1_11target_archE910ELNS1_3gpuE8ELNS1_3repE0EEENS1_30default_config_static_selectorELNS0_4arch9wavefront6targetE1EEEvT1_,@function
_ZN7rocprim17ROCPRIM_400000_NS6detail17trampoline_kernelINS0_14default_configENS1_27scan_by_key_config_selectorIiyEEZZNS1_16scan_by_key_implILNS1_25lookback_scan_determinismE0ELb1ES3_N6thrust23THRUST_200600_302600_NS6detail15normal_iteratorINS9_10device_ptrIiEEEENSB_INSC_IyEEEESG_yNS9_4plusIvEENS9_8equal_toIvEEyEE10hipError_tPvRmT2_T3_T4_T5_mT6_T7_P12ihipStream_tbENKUlT_T0_E_clISt17integral_constantIbLb1EES11_EEDaSW_SX_EUlSW_E_NS1_11comp_targetILNS1_3genE4ELNS1_11target_archE910ELNS1_3gpuE8ELNS1_3repE0EEENS1_30default_config_static_selectorELNS0_4arch9wavefront6targetE1EEEvT1_: ; @_ZN7rocprim17ROCPRIM_400000_NS6detail17trampoline_kernelINS0_14default_configENS1_27scan_by_key_config_selectorIiyEEZZNS1_16scan_by_key_implILNS1_25lookback_scan_determinismE0ELb1ES3_N6thrust23THRUST_200600_302600_NS6detail15normal_iteratorINS9_10device_ptrIiEEEENSB_INSC_IyEEEESG_yNS9_4plusIvEENS9_8equal_toIvEEyEE10hipError_tPvRmT2_T3_T4_T5_mT6_T7_P12ihipStream_tbENKUlT_T0_E_clISt17integral_constantIbLb1EES11_EEDaSW_SX_EUlSW_E_NS1_11comp_targetILNS1_3genE4ELNS1_11target_archE910ELNS1_3gpuE8ELNS1_3repE0EEENS1_30default_config_static_selectorELNS0_4arch9wavefront6targetE1EEEvT1_
; %bb.0:
	.section	.rodata,"a",@progbits
	.p2align	6, 0x0
	.amdhsa_kernel _ZN7rocprim17ROCPRIM_400000_NS6detail17trampoline_kernelINS0_14default_configENS1_27scan_by_key_config_selectorIiyEEZZNS1_16scan_by_key_implILNS1_25lookback_scan_determinismE0ELb1ES3_N6thrust23THRUST_200600_302600_NS6detail15normal_iteratorINS9_10device_ptrIiEEEENSB_INSC_IyEEEESG_yNS9_4plusIvEENS9_8equal_toIvEEyEE10hipError_tPvRmT2_T3_T4_T5_mT6_T7_P12ihipStream_tbENKUlT_T0_E_clISt17integral_constantIbLb1EES11_EEDaSW_SX_EUlSW_E_NS1_11comp_targetILNS1_3genE4ELNS1_11target_archE910ELNS1_3gpuE8ELNS1_3repE0EEENS1_30default_config_static_selectorELNS0_4arch9wavefront6targetE1EEEvT1_
		.amdhsa_group_segment_fixed_size 0
		.amdhsa_private_segment_fixed_size 0
		.amdhsa_kernarg_size 136
		.amdhsa_user_sgpr_count 2
		.amdhsa_user_sgpr_dispatch_ptr 0
		.amdhsa_user_sgpr_queue_ptr 0
		.amdhsa_user_sgpr_kernarg_segment_ptr 1
		.amdhsa_user_sgpr_dispatch_id 0
		.amdhsa_user_sgpr_kernarg_preload_length 0
		.amdhsa_user_sgpr_kernarg_preload_offset 0
		.amdhsa_user_sgpr_private_segment_size 0
		.amdhsa_uses_dynamic_stack 0
		.amdhsa_enable_private_segment 0
		.amdhsa_system_sgpr_workgroup_id_x 1
		.amdhsa_system_sgpr_workgroup_id_y 0
		.amdhsa_system_sgpr_workgroup_id_z 0
		.amdhsa_system_sgpr_workgroup_info 0
		.amdhsa_system_vgpr_workitem_id 0
		.amdhsa_next_free_vgpr 1
		.amdhsa_next_free_sgpr 0
		.amdhsa_accum_offset 4
		.amdhsa_reserve_vcc 0
		.amdhsa_float_round_mode_32 0
		.amdhsa_float_round_mode_16_64 0
		.amdhsa_float_denorm_mode_32 3
		.amdhsa_float_denorm_mode_16_64 3
		.amdhsa_dx10_clamp 1
		.amdhsa_ieee_mode 1
		.amdhsa_fp16_overflow 0
		.amdhsa_tg_split 0
		.amdhsa_exception_fp_ieee_invalid_op 0
		.amdhsa_exception_fp_denorm_src 0
		.amdhsa_exception_fp_ieee_div_zero 0
		.amdhsa_exception_fp_ieee_overflow 0
		.amdhsa_exception_fp_ieee_underflow 0
		.amdhsa_exception_fp_ieee_inexact 0
		.amdhsa_exception_int_div_zero 0
	.end_amdhsa_kernel
	.section	.text._ZN7rocprim17ROCPRIM_400000_NS6detail17trampoline_kernelINS0_14default_configENS1_27scan_by_key_config_selectorIiyEEZZNS1_16scan_by_key_implILNS1_25lookback_scan_determinismE0ELb1ES3_N6thrust23THRUST_200600_302600_NS6detail15normal_iteratorINS9_10device_ptrIiEEEENSB_INSC_IyEEEESG_yNS9_4plusIvEENS9_8equal_toIvEEyEE10hipError_tPvRmT2_T3_T4_T5_mT6_T7_P12ihipStream_tbENKUlT_T0_E_clISt17integral_constantIbLb1EES11_EEDaSW_SX_EUlSW_E_NS1_11comp_targetILNS1_3genE4ELNS1_11target_archE910ELNS1_3gpuE8ELNS1_3repE0EEENS1_30default_config_static_selectorELNS0_4arch9wavefront6targetE1EEEvT1_,"axG",@progbits,_ZN7rocprim17ROCPRIM_400000_NS6detail17trampoline_kernelINS0_14default_configENS1_27scan_by_key_config_selectorIiyEEZZNS1_16scan_by_key_implILNS1_25lookback_scan_determinismE0ELb1ES3_N6thrust23THRUST_200600_302600_NS6detail15normal_iteratorINS9_10device_ptrIiEEEENSB_INSC_IyEEEESG_yNS9_4plusIvEENS9_8equal_toIvEEyEE10hipError_tPvRmT2_T3_T4_T5_mT6_T7_P12ihipStream_tbENKUlT_T0_E_clISt17integral_constantIbLb1EES11_EEDaSW_SX_EUlSW_E_NS1_11comp_targetILNS1_3genE4ELNS1_11target_archE910ELNS1_3gpuE8ELNS1_3repE0EEENS1_30default_config_static_selectorELNS0_4arch9wavefront6targetE1EEEvT1_,comdat
.Lfunc_end1475:
	.size	_ZN7rocprim17ROCPRIM_400000_NS6detail17trampoline_kernelINS0_14default_configENS1_27scan_by_key_config_selectorIiyEEZZNS1_16scan_by_key_implILNS1_25lookback_scan_determinismE0ELb1ES3_N6thrust23THRUST_200600_302600_NS6detail15normal_iteratorINS9_10device_ptrIiEEEENSB_INSC_IyEEEESG_yNS9_4plusIvEENS9_8equal_toIvEEyEE10hipError_tPvRmT2_T3_T4_T5_mT6_T7_P12ihipStream_tbENKUlT_T0_E_clISt17integral_constantIbLb1EES11_EEDaSW_SX_EUlSW_E_NS1_11comp_targetILNS1_3genE4ELNS1_11target_archE910ELNS1_3gpuE8ELNS1_3repE0EEENS1_30default_config_static_selectorELNS0_4arch9wavefront6targetE1EEEvT1_, .Lfunc_end1475-_ZN7rocprim17ROCPRIM_400000_NS6detail17trampoline_kernelINS0_14default_configENS1_27scan_by_key_config_selectorIiyEEZZNS1_16scan_by_key_implILNS1_25lookback_scan_determinismE0ELb1ES3_N6thrust23THRUST_200600_302600_NS6detail15normal_iteratorINS9_10device_ptrIiEEEENSB_INSC_IyEEEESG_yNS9_4plusIvEENS9_8equal_toIvEEyEE10hipError_tPvRmT2_T3_T4_T5_mT6_T7_P12ihipStream_tbENKUlT_T0_E_clISt17integral_constantIbLb1EES11_EEDaSW_SX_EUlSW_E_NS1_11comp_targetILNS1_3genE4ELNS1_11target_archE910ELNS1_3gpuE8ELNS1_3repE0EEENS1_30default_config_static_selectorELNS0_4arch9wavefront6targetE1EEEvT1_
                                        ; -- End function
	.section	.AMDGPU.csdata,"",@progbits
; Kernel info:
; codeLenInByte = 0
; NumSgprs: 6
; NumVgprs: 0
; NumAgprs: 0
; TotalNumVgprs: 0
; ScratchSize: 0
; MemoryBound: 0
; FloatMode: 240
; IeeeMode: 1
; LDSByteSize: 0 bytes/workgroup (compile time only)
; SGPRBlocks: 0
; VGPRBlocks: 0
; NumSGPRsForWavesPerEU: 6
; NumVGPRsForWavesPerEU: 1
; AccumOffset: 4
; Occupancy: 8
; WaveLimiterHint : 0
; COMPUTE_PGM_RSRC2:SCRATCH_EN: 0
; COMPUTE_PGM_RSRC2:USER_SGPR: 2
; COMPUTE_PGM_RSRC2:TRAP_HANDLER: 0
; COMPUTE_PGM_RSRC2:TGID_X_EN: 1
; COMPUTE_PGM_RSRC2:TGID_Y_EN: 0
; COMPUTE_PGM_RSRC2:TGID_Z_EN: 0
; COMPUTE_PGM_RSRC2:TIDIG_COMP_CNT: 0
; COMPUTE_PGM_RSRC3_GFX90A:ACCUM_OFFSET: 0
; COMPUTE_PGM_RSRC3_GFX90A:TG_SPLIT: 0
	.section	.text._ZN7rocprim17ROCPRIM_400000_NS6detail17trampoline_kernelINS0_14default_configENS1_27scan_by_key_config_selectorIiyEEZZNS1_16scan_by_key_implILNS1_25lookback_scan_determinismE0ELb1ES3_N6thrust23THRUST_200600_302600_NS6detail15normal_iteratorINS9_10device_ptrIiEEEENSB_INSC_IyEEEESG_yNS9_4plusIvEENS9_8equal_toIvEEyEE10hipError_tPvRmT2_T3_T4_T5_mT6_T7_P12ihipStream_tbENKUlT_T0_E_clISt17integral_constantIbLb1EES11_EEDaSW_SX_EUlSW_E_NS1_11comp_targetILNS1_3genE3ELNS1_11target_archE908ELNS1_3gpuE7ELNS1_3repE0EEENS1_30default_config_static_selectorELNS0_4arch9wavefront6targetE1EEEvT1_,"axG",@progbits,_ZN7rocprim17ROCPRIM_400000_NS6detail17trampoline_kernelINS0_14default_configENS1_27scan_by_key_config_selectorIiyEEZZNS1_16scan_by_key_implILNS1_25lookback_scan_determinismE0ELb1ES3_N6thrust23THRUST_200600_302600_NS6detail15normal_iteratorINS9_10device_ptrIiEEEENSB_INSC_IyEEEESG_yNS9_4plusIvEENS9_8equal_toIvEEyEE10hipError_tPvRmT2_T3_T4_T5_mT6_T7_P12ihipStream_tbENKUlT_T0_E_clISt17integral_constantIbLb1EES11_EEDaSW_SX_EUlSW_E_NS1_11comp_targetILNS1_3genE3ELNS1_11target_archE908ELNS1_3gpuE7ELNS1_3repE0EEENS1_30default_config_static_selectorELNS0_4arch9wavefront6targetE1EEEvT1_,comdat
	.protected	_ZN7rocprim17ROCPRIM_400000_NS6detail17trampoline_kernelINS0_14default_configENS1_27scan_by_key_config_selectorIiyEEZZNS1_16scan_by_key_implILNS1_25lookback_scan_determinismE0ELb1ES3_N6thrust23THRUST_200600_302600_NS6detail15normal_iteratorINS9_10device_ptrIiEEEENSB_INSC_IyEEEESG_yNS9_4plusIvEENS9_8equal_toIvEEyEE10hipError_tPvRmT2_T3_T4_T5_mT6_T7_P12ihipStream_tbENKUlT_T0_E_clISt17integral_constantIbLb1EES11_EEDaSW_SX_EUlSW_E_NS1_11comp_targetILNS1_3genE3ELNS1_11target_archE908ELNS1_3gpuE7ELNS1_3repE0EEENS1_30default_config_static_selectorELNS0_4arch9wavefront6targetE1EEEvT1_ ; -- Begin function _ZN7rocprim17ROCPRIM_400000_NS6detail17trampoline_kernelINS0_14default_configENS1_27scan_by_key_config_selectorIiyEEZZNS1_16scan_by_key_implILNS1_25lookback_scan_determinismE0ELb1ES3_N6thrust23THRUST_200600_302600_NS6detail15normal_iteratorINS9_10device_ptrIiEEEENSB_INSC_IyEEEESG_yNS9_4plusIvEENS9_8equal_toIvEEyEE10hipError_tPvRmT2_T3_T4_T5_mT6_T7_P12ihipStream_tbENKUlT_T0_E_clISt17integral_constantIbLb1EES11_EEDaSW_SX_EUlSW_E_NS1_11comp_targetILNS1_3genE3ELNS1_11target_archE908ELNS1_3gpuE7ELNS1_3repE0EEENS1_30default_config_static_selectorELNS0_4arch9wavefront6targetE1EEEvT1_
	.globl	_ZN7rocprim17ROCPRIM_400000_NS6detail17trampoline_kernelINS0_14default_configENS1_27scan_by_key_config_selectorIiyEEZZNS1_16scan_by_key_implILNS1_25lookback_scan_determinismE0ELb1ES3_N6thrust23THRUST_200600_302600_NS6detail15normal_iteratorINS9_10device_ptrIiEEEENSB_INSC_IyEEEESG_yNS9_4plusIvEENS9_8equal_toIvEEyEE10hipError_tPvRmT2_T3_T4_T5_mT6_T7_P12ihipStream_tbENKUlT_T0_E_clISt17integral_constantIbLb1EES11_EEDaSW_SX_EUlSW_E_NS1_11comp_targetILNS1_3genE3ELNS1_11target_archE908ELNS1_3gpuE7ELNS1_3repE0EEENS1_30default_config_static_selectorELNS0_4arch9wavefront6targetE1EEEvT1_
	.p2align	8
	.type	_ZN7rocprim17ROCPRIM_400000_NS6detail17trampoline_kernelINS0_14default_configENS1_27scan_by_key_config_selectorIiyEEZZNS1_16scan_by_key_implILNS1_25lookback_scan_determinismE0ELb1ES3_N6thrust23THRUST_200600_302600_NS6detail15normal_iteratorINS9_10device_ptrIiEEEENSB_INSC_IyEEEESG_yNS9_4plusIvEENS9_8equal_toIvEEyEE10hipError_tPvRmT2_T3_T4_T5_mT6_T7_P12ihipStream_tbENKUlT_T0_E_clISt17integral_constantIbLb1EES11_EEDaSW_SX_EUlSW_E_NS1_11comp_targetILNS1_3genE3ELNS1_11target_archE908ELNS1_3gpuE7ELNS1_3repE0EEENS1_30default_config_static_selectorELNS0_4arch9wavefront6targetE1EEEvT1_,@function
_ZN7rocprim17ROCPRIM_400000_NS6detail17trampoline_kernelINS0_14default_configENS1_27scan_by_key_config_selectorIiyEEZZNS1_16scan_by_key_implILNS1_25lookback_scan_determinismE0ELb1ES3_N6thrust23THRUST_200600_302600_NS6detail15normal_iteratorINS9_10device_ptrIiEEEENSB_INSC_IyEEEESG_yNS9_4plusIvEENS9_8equal_toIvEEyEE10hipError_tPvRmT2_T3_T4_T5_mT6_T7_P12ihipStream_tbENKUlT_T0_E_clISt17integral_constantIbLb1EES11_EEDaSW_SX_EUlSW_E_NS1_11comp_targetILNS1_3genE3ELNS1_11target_archE908ELNS1_3gpuE7ELNS1_3repE0EEENS1_30default_config_static_selectorELNS0_4arch9wavefront6targetE1EEEvT1_: ; @_ZN7rocprim17ROCPRIM_400000_NS6detail17trampoline_kernelINS0_14default_configENS1_27scan_by_key_config_selectorIiyEEZZNS1_16scan_by_key_implILNS1_25lookback_scan_determinismE0ELb1ES3_N6thrust23THRUST_200600_302600_NS6detail15normal_iteratorINS9_10device_ptrIiEEEENSB_INSC_IyEEEESG_yNS9_4plusIvEENS9_8equal_toIvEEyEE10hipError_tPvRmT2_T3_T4_T5_mT6_T7_P12ihipStream_tbENKUlT_T0_E_clISt17integral_constantIbLb1EES11_EEDaSW_SX_EUlSW_E_NS1_11comp_targetILNS1_3genE3ELNS1_11target_archE908ELNS1_3gpuE7ELNS1_3repE0EEENS1_30default_config_static_selectorELNS0_4arch9wavefront6targetE1EEEvT1_
; %bb.0:
	.section	.rodata,"a",@progbits
	.p2align	6, 0x0
	.amdhsa_kernel _ZN7rocprim17ROCPRIM_400000_NS6detail17trampoline_kernelINS0_14default_configENS1_27scan_by_key_config_selectorIiyEEZZNS1_16scan_by_key_implILNS1_25lookback_scan_determinismE0ELb1ES3_N6thrust23THRUST_200600_302600_NS6detail15normal_iteratorINS9_10device_ptrIiEEEENSB_INSC_IyEEEESG_yNS9_4plusIvEENS9_8equal_toIvEEyEE10hipError_tPvRmT2_T3_T4_T5_mT6_T7_P12ihipStream_tbENKUlT_T0_E_clISt17integral_constantIbLb1EES11_EEDaSW_SX_EUlSW_E_NS1_11comp_targetILNS1_3genE3ELNS1_11target_archE908ELNS1_3gpuE7ELNS1_3repE0EEENS1_30default_config_static_selectorELNS0_4arch9wavefront6targetE1EEEvT1_
		.amdhsa_group_segment_fixed_size 0
		.amdhsa_private_segment_fixed_size 0
		.amdhsa_kernarg_size 136
		.amdhsa_user_sgpr_count 2
		.amdhsa_user_sgpr_dispatch_ptr 0
		.amdhsa_user_sgpr_queue_ptr 0
		.amdhsa_user_sgpr_kernarg_segment_ptr 1
		.amdhsa_user_sgpr_dispatch_id 0
		.amdhsa_user_sgpr_kernarg_preload_length 0
		.amdhsa_user_sgpr_kernarg_preload_offset 0
		.amdhsa_user_sgpr_private_segment_size 0
		.amdhsa_uses_dynamic_stack 0
		.amdhsa_enable_private_segment 0
		.amdhsa_system_sgpr_workgroup_id_x 1
		.amdhsa_system_sgpr_workgroup_id_y 0
		.amdhsa_system_sgpr_workgroup_id_z 0
		.amdhsa_system_sgpr_workgroup_info 0
		.amdhsa_system_vgpr_workitem_id 0
		.amdhsa_next_free_vgpr 1
		.amdhsa_next_free_sgpr 0
		.amdhsa_accum_offset 4
		.amdhsa_reserve_vcc 0
		.amdhsa_float_round_mode_32 0
		.amdhsa_float_round_mode_16_64 0
		.amdhsa_float_denorm_mode_32 3
		.amdhsa_float_denorm_mode_16_64 3
		.amdhsa_dx10_clamp 1
		.amdhsa_ieee_mode 1
		.amdhsa_fp16_overflow 0
		.amdhsa_tg_split 0
		.amdhsa_exception_fp_ieee_invalid_op 0
		.amdhsa_exception_fp_denorm_src 0
		.amdhsa_exception_fp_ieee_div_zero 0
		.amdhsa_exception_fp_ieee_overflow 0
		.amdhsa_exception_fp_ieee_underflow 0
		.amdhsa_exception_fp_ieee_inexact 0
		.amdhsa_exception_int_div_zero 0
	.end_amdhsa_kernel
	.section	.text._ZN7rocprim17ROCPRIM_400000_NS6detail17trampoline_kernelINS0_14default_configENS1_27scan_by_key_config_selectorIiyEEZZNS1_16scan_by_key_implILNS1_25lookback_scan_determinismE0ELb1ES3_N6thrust23THRUST_200600_302600_NS6detail15normal_iteratorINS9_10device_ptrIiEEEENSB_INSC_IyEEEESG_yNS9_4plusIvEENS9_8equal_toIvEEyEE10hipError_tPvRmT2_T3_T4_T5_mT6_T7_P12ihipStream_tbENKUlT_T0_E_clISt17integral_constantIbLb1EES11_EEDaSW_SX_EUlSW_E_NS1_11comp_targetILNS1_3genE3ELNS1_11target_archE908ELNS1_3gpuE7ELNS1_3repE0EEENS1_30default_config_static_selectorELNS0_4arch9wavefront6targetE1EEEvT1_,"axG",@progbits,_ZN7rocprim17ROCPRIM_400000_NS6detail17trampoline_kernelINS0_14default_configENS1_27scan_by_key_config_selectorIiyEEZZNS1_16scan_by_key_implILNS1_25lookback_scan_determinismE0ELb1ES3_N6thrust23THRUST_200600_302600_NS6detail15normal_iteratorINS9_10device_ptrIiEEEENSB_INSC_IyEEEESG_yNS9_4plusIvEENS9_8equal_toIvEEyEE10hipError_tPvRmT2_T3_T4_T5_mT6_T7_P12ihipStream_tbENKUlT_T0_E_clISt17integral_constantIbLb1EES11_EEDaSW_SX_EUlSW_E_NS1_11comp_targetILNS1_3genE3ELNS1_11target_archE908ELNS1_3gpuE7ELNS1_3repE0EEENS1_30default_config_static_selectorELNS0_4arch9wavefront6targetE1EEEvT1_,comdat
.Lfunc_end1476:
	.size	_ZN7rocprim17ROCPRIM_400000_NS6detail17trampoline_kernelINS0_14default_configENS1_27scan_by_key_config_selectorIiyEEZZNS1_16scan_by_key_implILNS1_25lookback_scan_determinismE0ELb1ES3_N6thrust23THRUST_200600_302600_NS6detail15normal_iteratorINS9_10device_ptrIiEEEENSB_INSC_IyEEEESG_yNS9_4plusIvEENS9_8equal_toIvEEyEE10hipError_tPvRmT2_T3_T4_T5_mT6_T7_P12ihipStream_tbENKUlT_T0_E_clISt17integral_constantIbLb1EES11_EEDaSW_SX_EUlSW_E_NS1_11comp_targetILNS1_3genE3ELNS1_11target_archE908ELNS1_3gpuE7ELNS1_3repE0EEENS1_30default_config_static_selectorELNS0_4arch9wavefront6targetE1EEEvT1_, .Lfunc_end1476-_ZN7rocprim17ROCPRIM_400000_NS6detail17trampoline_kernelINS0_14default_configENS1_27scan_by_key_config_selectorIiyEEZZNS1_16scan_by_key_implILNS1_25lookback_scan_determinismE0ELb1ES3_N6thrust23THRUST_200600_302600_NS6detail15normal_iteratorINS9_10device_ptrIiEEEENSB_INSC_IyEEEESG_yNS9_4plusIvEENS9_8equal_toIvEEyEE10hipError_tPvRmT2_T3_T4_T5_mT6_T7_P12ihipStream_tbENKUlT_T0_E_clISt17integral_constantIbLb1EES11_EEDaSW_SX_EUlSW_E_NS1_11comp_targetILNS1_3genE3ELNS1_11target_archE908ELNS1_3gpuE7ELNS1_3repE0EEENS1_30default_config_static_selectorELNS0_4arch9wavefront6targetE1EEEvT1_
                                        ; -- End function
	.section	.AMDGPU.csdata,"",@progbits
; Kernel info:
; codeLenInByte = 0
; NumSgprs: 6
; NumVgprs: 0
; NumAgprs: 0
; TotalNumVgprs: 0
; ScratchSize: 0
; MemoryBound: 0
; FloatMode: 240
; IeeeMode: 1
; LDSByteSize: 0 bytes/workgroup (compile time only)
; SGPRBlocks: 0
; VGPRBlocks: 0
; NumSGPRsForWavesPerEU: 6
; NumVGPRsForWavesPerEU: 1
; AccumOffset: 4
; Occupancy: 8
; WaveLimiterHint : 0
; COMPUTE_PGM_RSRC2:SCRATCH_EN: 0
; COMPUTE_PGM_RSRC2:USER_SGPR: 2
; COMPUTE_PGM_RSRC2:TRAP_HANDLER: 0
; COMPUTE_PGM_RSRC2:TGID_X_EN: 1
; COMPUTE_PGM_RSRC2:TGID_Y_EN: 0
; COMPUTE_PGM_RSRC2:TGID_Z_EN: 0
; COMPUTE_PGM_RSRC2:TIDIG_COMP_CNT: 0
; COMPUTE_PGM_RSRC3_GFX90A:ACCUM_OFFSET: 0
; COMPUTE_PGM_RSRC3_GFX90A:TG_SPLIT: 0
	.section	.text._ZN7rocprim17ROCPRIM_400000_NS6detail17trampoline_kernelINS0_14default_configENS1_27scan_by_key_config_selectorIiyEEZZNS1_16scan_by_key_implILNS1_25lookback_scan_determinismE0ELb1ES3_N6thrust23THRUST_200600_302600_NS6detail15normal_iteratorINS9_10device_ptrIiEEEENSB_INSC_IyEEEESG_yNS9_4plusIvEENS9_8equal_toIvEEyEE10hipError_tPvRmT2_T3_T4_T5_mT6_T7_P12ihipStream_tbENKUlT_T0_E_clISt17integral_constantIbLb1EES11_EEDaSW_SX_EUlSW_E_NS1_11comp_targetILNS1_3genE2ELNS1_11target_archE906ELNS1_3gpuE6ELNS1_3repE0EEENS1_30default_config_static_selectorELNS0_4arch9wavefront6targetE1EEEvT1_,"axG",@progbits,_ZN7rocprim17ROCPRIM_400000_NS6detail17trampoline_kernelINS0_14default_configENS1_27scan_by_key_config_selectorIiyEEZZNS1_16scan_by_key_implILNS1_25lookback_scan_determinismE0ELb1ES3_N6thrust23THRUST_200600_302600_NS6detail15normal_iteratorINS9_10device_ptrIiEEEENSB_INSC_IyEEEESG_yNS9_4plusIvEENS9_8equal_toIvEEyEE10hipError_tPvRmT2_T3_T4_T5_mT6_T7_P12ihipStream_tbENKUlT_T0_E_clISt17integral_constantIbLb1EES11_EEDaSW_SX_EUlSW_E_NS1_11comp_targetILNS1_3genE2ELNS1_11target_archE906ELNS1_3gpuE6ELNS1_3repE0EEENS1_30default_config_static_selectorELNS0_4arch9wavefront6targetE1EEEvT1_,comdat
	.protected	_ZN7rocprim17ROCPRIM_400000_NS6detail17trampoline_kernelINS0_14default_configENS1_27scan_by_key_config_selectorIiyEEZZNS1_16scan_by_key_implILNS1_25lookback_scan_determinismE0ELb1ES3_N6thrust23THRUST_200600_302600_NS6detail15normal_iteratorINS9_10device_ptrIiEEEENSB_INSC_IyEEEESG_yNS9_4plusIvEENS9_8equal_toIvEEyEE10hipError_tPvRmT2_T3_T4_T5_mT6_T7_P12ihipStream_tbENKUlT_T0_E_clISt17integral_constantIbLb1EES11_EEDaSW_SX_EUlSW_E_NS1_11comp_targetILNS1_3genE2ELNS1_11target_archE906ELNS1_3gpuE6ELNS1_3repE0EEENS1_30default_config_static_selectorELNS0_4arch9wavefront6targetE1EEEvT1_ ; -- Begin function _ZN7rocprim17ROCPRIM_400000_NS6detail17trampoline_kernelINS0_14default_configENS1_27scan_by_key_config_selectorIiyEEZZNS1_16scan_by_key_implILNS1_25lookback_scan_determinismE0ELb1ES3_N6thrust23THRUST_200600_302600_NS6detail15normal_iteratorINS9_10device_ptrIiEEEENSB_INSC_IyEEEESG_yNS9_4plusIvEENS9_8equal_toIvEEyEE10hipError_tPvRmT2_T3_T4_T5_mT6_T7_P12ihipStream_tbENKUlT_T0_E_clISt17integral_constantIbLb1EES11_EEDaSW_SX_EUlSW_E_NS1_11comp_targetILNS1_3genE2ELNS1_11target_archE906ELNS1_3gpuE6ELNS1_3repE0EEENS1_30default_config_static_selectorELNS0_4arch9wavefront6targetE1EEEvT1_
	.globl	_ZN7rocprim17ROCPRIM_400000_NS6detail17trampoline_kernelINS0_14default_configENS1_27scan_by_key_config_selectorIiyEEZZNS1_16scan_by_key_implILNS1_25lookback_scan_determinismE0ELb1ES3_N6thrust23THRUST_200600_302600_NS6detail15normal_iteratorINS9_10device_ptrIiEEEENSB_INSC_IyEEEESG_yNS9_4plusIvEENS9_8equal_toIvEEyEE10hipError_tPvRmT2_T3_T4_T5_mT6_T7_P12ihipStream_tbENKUlT_T0_E_clISt17integral_constantIbLb1EES11_EEDaSW_SX_EUlSW_E_NS1_11comp_targetILNS1_3genE2ELNS1_11target_archE906ELNS1_3gpuE6ELNS1_3repE0EEENS1_30default_config_static_selectorELNS0_4arch9wavefront6targetE1EEEvT1_
	.p2align	8
	.type	_ZN7rocprim17ROCPRIM_400000_NS6detail17trampoline_kernelINS0_14default_configENS1_27scan_by_key_config_selectorIiyEEZZNS1_16scan_by_key_implILNS1_25lookback_scan_determinismE0ELb1ES3_N6thrust23THRUST_200600_302600_NS6detail15normal_iteratorINS9_10device_ptrIiEEEENSB_INSC_IyEEEESG_yNS9_4plusIvEENS9_8equal_toIvEEyEE10hipError_tPvRmT2_T3_T4_T5_mT6_T7_P12ihipStream_tbENKUlT_T0_E_clISt17integral_constantIbLb1EES11_EEDaSW_SX_EUlSW_E_NS1_11comp_targetILNS1_3genE2ELNS1_11target_archE906ELNS1_3gpuE6ELNS1_3repE0EEENS1_30default_config_static_selectorELNS0_4arch9wavefront6targetE1EEEvT1_,@function
_ZN7rocprim17ROCPRIM_400000_NS6detail17trampoline_kernelINS0_14default_configENS1_27scan_by_key_config_selectorIiyEEZZNS1_16scan_by_key_implILNS1_25lookback_scan_determinismE0ELb1ES3_N6thrust23THRUST_200600_302600_NS6detail15normal_iteratorINS9_10device_ptrIiEEEENSB_INSC_IyEEEESG_yNS9_4plusIvEENS9_8equal_toIvEEyEE10hipError_tPvRmT2_T3_T4_T5_mT6_T7_P12ihipStream_tbENKUlT_T0_E_clISt17integral_constantIbLb1EES11_EEDaSW_SX_EUlSW_E_NS1_11comp_targetILNS1_3genE2ELNS1_11target_archE906ELNS1_3gpuE6ELNS1_3repE0EEENS1_30default_config_static_selectorELNS0_4arch9wavefront6targetE1EEEvT1_: ; @_ZN7rocprim17ROCPRIM_400000_NS6detail17trampoline_kernelINS0_14default_configENS1_27scan_by_key_config_selectorIiyEEZZNS1_16scan_by_key_implILNS1_25lookback_scan_determinismE0ELb1ES3_N6thrust23THRUST_200600_302600_NS6detail15normal_iteratorINS9_10device_ptrIiEEEENSB_INSC_IyEEEESG_yNS9_4plusIvEENS9_8equal_toIvEEyEE10hipError_tPvRmT2_T3_T4_T5_mT6_T7_P12ihipStream_tbENKUlT_T0_E_clISt17integral_constantIbLb1EES11_EEDaSW_SX_EUlSW_E_NS1_11comp_targetILNS1_3genE2ELNS1_11target_archE906ELNS1_3gpuE6ELNS1_3repE0EEENS1_30default_config_static_selectorELNS0_4arch9wavefront6targetE1EEEvT1_
; %bb.0:
	.section	.rodata,"a",@progbits
	.p2align	6, 0x0
	.amdhsa_kernel _ZN7rocprim17ROCPRIM_400000_NS6detail17trampoline_kernelINS0_14default_configENS1_27scan_by_key_config_selectorIiyEEZZNS1_16scan_by_key_implILNS1_25lookback_scan_determinismE0ELb1ES3_N6thrust23THRUST_200600_302600_NS6detail15normal_iteratorINS9_10device_ptrIiEEEENSB_INSC_IyEEEESG_yNS9_4plusIvEENS9_8equal_toIvEEyEE10hipError_tPvRmT2_T3_T4_T5_mT6_T7_P12ihipStream_tbENKUlT_T0_E_clISt17integral_constantIbLb1EES11_EEDaSW_SX_EUlSW_E_NS1_11comp_targetILNS1_3genE2ELNS1_11target_archE906ELNS1_3gpuE6ELNS1_3repE0EEENS1_30default_config_static_selectorELNS0_4arch9wavefront6targetE1EEEvT1_
		.amdhsa_group_segment_fixed_size 0
		.amdhsa_private_segment_fixed_size 0
		.amdhsa_kernarg_size 136
		.amdhsa_user_sgpr_count 2
		.amdhsa_user_sgpr_dispatch_ptr 0
		.amdhsa_user_sgpr_queue_ptr 0
		.amdhsa_user_sgpr_kernarg_segment_ptr 1
		.amdhsa_user_sgpr_dispatch_id 0
		.amdhsa_user_sgpr_kernarg_preload_length 0
		.amdhsa_user_sgpr_kernarg_preload_offset 0
		.amdhsa_user_sgpr_private_segment_size 0
		.amdhsa_uses_dynamic_stack 0
		.amdhsa_enable_private_segment 0
		.amdhsa_system_sgpr_workgroup_id_x 1
		.amdhsa_system_sgpr_workgroup_id_y 0
		.amdhsa_system_sgpr_workgroup_id_z 0
		.amdhsa_system_sgpr_workgroup_info 0
		.amdhsa_system_vgpr_workitem_id 0
		.amdhsa_next_free_vgpr 1
		.amdhsa_next_free_sgpr 0
		.amdhsa_accum_offset 4
		.amdhsa_reserve_vcc 0
		.amdhsa_float_round_mode_32 0
		.amdhsa_float_round_mode_16_64 0
		.amdhsa_float_denorm_mode_32 3
		.amdhsa_float_denorm_mode_16_64 3
		.amdhsa_dx10_clamp 1
		.amdhsa_ieee_mode 1
		.amdhsa_fp16_overflow 0
		.amdhsa_tg_split 0
		.amdhsa_exception_fp_ieee_invalid_op 0
		.amdhsa_exception_fp_denorm_src 0
		.amdhsa_exception_fp_ieee_div_zero 0
		.amdhsa_exception_fp_ieee_overflow 0
		.amdhsa_exception_fp_ieee_underflow 0
		.amdhsa_exception_fp_ieee_inexact 0
		.amdhsa_exception_int_div_zero 0
	.end_amdhsa_kernel
	.section	.text._ZN7rocprim17ROCPRIM_400000_NS6detail17trampoline_kernelINS0_14default_configENS1_27scan_by_key_config_selectorIiyEEZZNS1_16scan_by_key_implILNS1_25lookback_scan_determinismE0ELb1ES3_N6thrust23THRUST_200600_302600_NS6detail15normal_iteratorINS9_10device_ptrIiEEEENSB_INSC_IyEEEESG_yNS9_4plusIvEENS9_8equal_toIvEEyEE10hipError_tPvRmT2_T3_T4_T5_mT6_T7_P12ihipStream_tbENKUlT_T0_E_clISt17integral_constantIbLb1EES11_EEDaSW_SX_EUlSW_E_NS1_11comp_targetILNS1_3genE2ELNS1_11target_archE906ELNS1_3gpuE6ELNS1_3repE0EEENS1_30default_config_static_selectorELNS0_4arch9wavefront6targetE1EEEvT1_,"axG",@progbits,_ZN7rocprim17ROCPRIM_400000_NS6detail17trampoline_kernelINS0_14default_configENS1_27scan_by_key_config_selectorIiyEEZZNS1_16scan_by_key_implILNS1_25lookback_scan_determinismE0ELb1ES3_N6thrust23THRUST_200600_302600_NS6detail15normal_iteratorINS9_10device_ptrIiEEEENSB_INSC_IyEEEESG_yNS9_4plusIvEENS9_8equal_toIvEEyEE10hipError_tPvRmT2_T3_T4_T5_mT6_T7_P12ihipStream_tbENKUlT_T0_E_clISt17integral_constantIbLb1EES11_EEDaSW_SX_EUlSW_E_NS1_11comp_targetILNS1_3genE2ELNS1_11target_archE906ELNS1_3gpuE6ELNS1_3repE0EEENS1_30default_config_static_selectorELNS0_4arch9wavefront6targetE1EEEvT1_,comdat
.Lfunc_end1477:
	.size	_ZN7rocprim17ROCPRIM_400000_NS6detail17trampoline_kernelINS0_14default_configENS1_27scan_by_key_config_selectorIiyEEZZNS1_16scan_by_key_implILNS1_25lookback_scan_determinismE0ELb1ES3_N6thrust23THRUST_200600_302600_NS6detail15normal_iteratorINS9_10device_ptrIiEEEENSB_INSC_IyEEEESG_yNS9_4plusIvEENS9_8equal_toIvEEyEE10hipError_tPvRmT2_T3_T4_T5_mT6_T7_P12ihipStream_tbENKUlT_T0_E_clISt17integral_constantIbLb1EES11_EEDaSW_SX_EUlSW_E_NS1_11comp_targetILNS1_3genE2ELNS1_11target_archE906ELNS1_3gpuE6ELNS1_3repE0EEENS1_30default_config_static_selectorELNS0_4arch9wavefront6targetE1EEEvT1_, .Lfunc_end1477-_ZN7rocprim17ROCPRIM_400000_NS6detail17trampoline_kernelINS0_14default_configENS1_27scan_by_key_config_selectorIiyEEZZNS1_16scan_by_key_implILNS1_25lookback_scan_determinismE0ELb1ES3_N6thrust23THRUST_200600_302600_NS6detail15normal_iteratorINS9_10device_ptrIiEEEENSB_INSC_IyEEEESG_yNS9_4plusIvEENS9_8equal_toIvEEyEE10hipError_tPvRmT2_T3_T4_T5_mT6_T7_P12ihipStream_tbENKUlT_T0_E_clISt17integral_constantIbLb1EES11_EEDaSW_SX_EUlSW_E_NS1_11comp_targetILNS1_3genE2ELNS1_11target_archE906ELNS1_3gpuE6ELNS1_3repE0EEENS1_30default_config_static_selectorELNS0_4arch9wavefront6targetE1EEEvT1_
                                        ; -- End function
	.section	.AMDGPU.csdata,"",@progbits
; Kernel info:
; codeLenInByte = 0
; NumSgprs: 6
; NumVgprs: 0
; NumAgprs: 0
; TotalNumVgprs: 0
; ScratchSize: 0
; MemoryBound: 0
; FloatMode: 240
; IeeeMode: 1
; LDSByteSize: 0 bytes/workgroup (compile time only)
; SGPRBlocks: 0
; VGPRBlocks: 0
; NumSGPRsForWavesPerEU: 6
; NumVGPRsForWavesPerEU: 1
; AccumOffset: 4
; Occupancy: 8
; WaveLimiterHint : 0
; COMPUTE_PGM_RSRC2:SCRATCH_EN: 0
; COMPUTE_PGM_RSRC2:USER_SGPR: 2
; COMPUTE_PGM_RSRC2:TRAP_HANDLER: 0
; COMPUTE_PGM_RSRC2:TGID_X_EN: 1
; COMPUTE_PGM_RSRC2:TGID_Y_EN: 0
; COMPUTE_PGM_RSRC2:TGID_Z_EN: 0
; COMPUTE_PGM_RSRC2:TIDIG_COMP_CNT: 0
; COMPUTE_PGM_RSRC3_GFX90A:ACCUM_OFFSET: 0
; COMPUTE_PGM_RSRC3_GFX90A:TG_SPLIT: 0
	.section	.text._ZN7rocprim17ROCPRIM_400000_NS6detail17trampoline_kernelINS0_14default_configENS1_27scan_by_key_config_selectorIiyEEZZNS1_16scan_by_key_implILNS1_25lookback_scan_determinismE0ELb1ES3_N6thrust23THRUST_200600_302600_NS6detail15normal_iteratorINS9_10device_ptrIiEEEENSB_INSC_IyEEEESG_yNS9_4plusIvEENS9_8equal_toIvEEyEE10hipError_tPvRmT2_T3_T4_T5_mT6_T7_P12ihipStream_tbENKUlT_T0_E_clISt17integral_constantIbLb1EES11_EEDaSW_SX_EUlSW_E_NS1_11comp_targetILNS1_3genE10ELNS1_11target_archE1200ELNS1_3gpuE4ELNS1_3repE0EEENS1_30default_config_static_selectorELNS0_4arch9wavefront6targetE1EEEvT1_,"axG",@progbits,_ZN7rocprim17ROCPRIM_400000_NS6detail17trampoline_kernelINS0_14default_configENS1_27scan_by_key_config_selectorIiyEEZZNS1_16scan_by_key_implILNS1_25lookback_scan_determinismE0ELb1ES3_N6thrust23THRUST_200600_302600_NS6detail15normal_iteratorINS9_10device_ptrIiEEEENSB_INSC_IyEEEESG_yNS9_4plusIvEENS9_8equal_toIvEEyEE10hipError_tPvRmT2_T3_T4_T5_mT6_T7_P12ihipStream_tbENKUlT_T0_E_clISt17integral_constantIbLb1EES11_EEDaSW_SX_EUlSW_E_NS1_11comp_targetILNS1_3genE10ELNS1_11target_archE1200ELNS1_3gpuE4ELNS1_3repE0EEENS1_30default_config_static_selectorELNS0_4arch9wavefront6targetE1EEEvT1_,comdat
	.protected	_ZN7rocprim17ROCPRIM_400000_NS6detail17trampoline_kernelINS0_14default_configENS1_27scan_by_key_config_selectorIiyEEZZNS1_16scan_by_key_implILNS1_25lookback_scan_determinismE0ELb1ES3_N6thrust23THRUST_200600_302600_NS6detail15normal_iteratorINS9_10device_ptrIiEEEENSB_INSC_IyEEEESG_yNS9_4plusIvEENS9_8equal_toIvEEyEE10hipError_tPvRmT2_T3_T4_T5_mT6_T7_P12ihipStream_tbENKUlT_T0_E_clISt17integral_constantIbLb1EES11_EEDaSW_SX_EUlSW_E_NS1_11comp_targetILNS1_3genE10ELNS1_11target_archE1200ELNS1_3gpuE4ELNS1_3repE0EEENS1_30default_config_static_selectorELNS0_4arch9wavefront6targetE1EEEvT1_ ; -- Begin function _ZN7rocprim17ROCPRIM_400000_NS6detail17trampoline_kernelINS0_14default_configENS1_27scan_by_key_config_selectorIiyEEZZNS1_16scan_by_key_implILNS1_25lookback_scan_determinismE0ELb1ES3_N6thrust23THRUST_200600_302600_NS6detail15normal_iteratorINS9_10device_ptrIiEEEENSB_INSC_IyEEEESG_yNS9_4plusIvEENS9_8equal_toIvEEyEE10hipError_tPvRmT2_T3_T4_T5_mT6_T7_P12ihipStream_tbENKUlT_T0_E_clISt17integral_constantIbLb1EES11_EEDaSW_SX_EUlSW_E_NS1_11comp_targetILNS1_3genE10ELNS1_11target_archE1200ELNS1_3gpuE4ELNS1_3repE0EEENS1_30default_config_static_selectorELNS0_4arch9wavefront6targetE1EEEvT1_
	.globl	_ZN7rocprim17ROCPRIM_400000_NS6detail17trampoline_kernelINS0_14default_configENS1_27scan_by_key_config_selectorIiyEEZZNS1_16scan_by_key_implILNS1_25lookback_scan_determinismE0ELb1ES3_N6thrust23THRUST_200600_302600_NS6detail15normal_iteratorINS9_10device_ptrIiEEEENSB_INSC_IyEEEESG_yNS9_4plusIvEENS9_8equal_toIvEEyEE10hipError_tPvRmT2_T3_T4_T5_mT6_T7_P12ihipStream_tbENKUlT_T0_E_clISt17integral_constantIbLb1EES11_EEDaSW_SX_EUlSW_E_NS1_11comp_targetILNS1_3genE10ELNS1_11target_archE1200ELNS1_3gpuE4ELNS1_3repE0EEENS1_30default_config_static_selectorELNS0_4arch9wavefront6targetE1EEEvT1_
	.p2align	8
	.type	_ZN7rocprim17ROCPRIM_400000_NS6detail17trampoline_kernelINS0_14default_configENS1_27scan_by_key_config_selectorIiyEEZZNS1_16scan_by_key_implILNS1_25lookback_scan_determinismE0ELb1ES3_N6thrust23THRUST_200600_302600_NS6detail15normal_iteratorINS9_10device_ptrIiEEEENSB_INSC_IyEEEESG_yNS9_4plusIvEENS9_8equal_toIvEEyEE10hipError_tPvRmT2_T3_T4_T5_mT6_T7_P12ihipStream_tbENKUlT_T0_E_clISt17integral_constantIbLb1EES11_EEDaSW_SX_EUlSW_E_NS1_11comp_targetILNS1_3genE10ELNS1_11target_archE1200ELNS1_3gpuE4ELNS1_3repE0EEENS1_30default_config_static_selectorELNS0_4arch9wavefront6targetE1EEEvT1_,@function
_ZN7rocprim17ROCPRIM_400000_NS6detail17trampoline_kernelINS0_14default_configENS1_27scan_by_key_config_selectorIiyEEZZNS1_16scan_by_key_implILNS1_25lookback_scan_determinismE0ELb1ES3_N6thrust23THRUST_200600_302600_NS6detail15normal_iteratorINS9_10device_ptrIiEEEENSB_INSC_IyEEEESG_yNS9_4plusIvEENS9_8equal_toIvEEyEE10hipError_tPvRmT2_T3_T4_T5_mT6_T7_P12ihipStream_tbENKUlT_T0_E_clISt17integral_constantIbLb1EES11_EEDaSW_SX_EUlSW_E_NS1_11comp_targetILNS1_3genE10ELNS1_11target_archE1200ELNS1_3gpuE4ELNS1_3repE0EEENS1_30default_config_static_selectorELNS0_4arch9wavefront6targetE1EEEvT1_: ; @_ZN7rocprim17ROCPRIM_400000_NS6detail17trampoline_kernelINS0_14default_configENS1_27scan_by_key_config_selectorIiyEEZZNS1_16scan_by_key_implILNS1_25lookback_scan_determinismE0ELb1ES3_N6thrust23THRUST_200600_302600_NS6detail15normal_iteratorINS9_10device_ptrIiEEEENSB_INSC_IyEEEESG_yNS9_4plusIvEENS9_8equal_toIvEEyEE10hipError_tPvRmT2_T3_T4_T5_mT6_T7_P12ihipStream_tbENKUlT_T0_E_clISt17integral_constantIbLb1EES11_EEDaSW_SX_EUlSW_E_NS1_11comp_targetILNS1_3genE10ELNS1_11target_archE1200ELNS1_3gpuE4ELNS1_3repE0EEENS1_30default_config_static_selectorELNS0_4arch9wavefront6targetE1EEEvT1_
; %bb.0:
	.section	.rodata,"a",@progbits
	.p2align	6, 0x0
	.amdhsa_kernel _ZN7rocprim17ROCPRIM_400000_NS6detail17trampoline_kernelINS0_14default_configENS1_27scan_by_key_config_selectorIiyEEZZNS1_16scan_by_key_implILNS1_25lookback_scan_determinismE0ELb1ES3_N6thrust23THRUST_200600_302600_NS6detail15normal_iteratorINS9_10device_ptrIiEEEENSB_INSC_IyEEEESG_yNS9_4plusIvEENS9_8equal_toIvEEyEE10hipError_tPvRmT2_T3_T4_T5_mT6_T7_P12ihipStream_tbENKUlT_T0_E_clISt17integral_constantIbLb1EES11_EEDaSW_SX_EUlSW_E_NS1_11comp_targetILNS1_3genE10ELNS1_11target_archE1200ELNS1_3gpuE4ELNS1_3repE0EEENS1_30default_config_static_selectorELNS0_4arch9wavefront6targetE1EEEvT1_
		.amdhsa_group_segment_fixed_size 0
		.amdhsa_private_segment_fixed_size 0
		.amdhsa_kernarg_size 136
		.amdhsa_user_sgpr_count 2
		.amdhsa_user_sgpr_dispatch_ptr 0
		.amdhsa_user_sgpr_queue_ptr 0
		.amdhsa_user_sgpr_kernarg_segment_ptr 1
		.amdhsa_user_sgpr_dispatch_id 0
		.amdhsa_user_sgpr_kernarg_preload_length 0
		.amdhsa_user_sgpr_kernarg_preload_offset 0
		.amdhsa_user_sgpr_private_segment_size 0
		.amdhsa_uses_dynamic_stack 0
		.amdhsa_enable_private_segment 0
		.amdhsa_system_sgpr_workgroup_id_x 1
		.amdhsa_system_sgpr_workgroup_id_y 0
		.amdhsa_system_sgpr_workgroup_id_z 0
		.amdhsa_system_sgpr_workgroup_info 0
		.amdhsa_system_vgpr_workitem_id 0
		.amdhsa_next_free_vgpr 1
		.amdhsa_next_free_sgpr 0
		.amdhsa_accum_offset 4
		.amdhsa_reserve_vcc 0
		.amdhsa_float_round_mode_32 0
		.amdhsa_float_round_mode_16_64 0
		.amdhsa_float_denorm_mode_32 3
		.amdhsa_float_denorm_mode_16_64 3
		.amdhsa_dx10_clamp 1
		.amdhsa_ieee_mode 1
		.amdhsa_fp16_overflow 0
		.amdhsa_tg_split 0
		.amdhsa_exception_fp_ieee_invalid_op 0
		.amdhsa_exception_fp_denorm_src 0
		.amdhsa_exception_fp_ieee_div_zero 0
		.amdhsa_exception_fp_ieee_overflow 0
		.amdhsa_exception_fp_ieee_underflow 0
		.amdhsa_exception_fp_ieee_inexact 0
		.amdhsa_exception_int_div_zero 0
	.end_amdhsa_kernel
	.section	.text._ZN7rocprim17ROCPRIM_400000_NS6detail17trampoline_kernelINS0_14default_configENS1_27scan_by_key_config_selectorIiyEEZZNS1_16scan_by_key_implILNS1_25lookback_scan_determinismE0ELb1ES3_N6thrust23THRUST_200600_302600_NS6detail15normal_iteratorINS9_10device_ptrIiEEEENSB_INSC_IyEEEESG_yNS9_4plusIvEENS9_8equal_toIvEEyEE10hipError_tPvRmT2_T3_T4_T5_mT6_T7_P12ihipStream_tbENKUlT_T0_E_clISt17integral_constantIbLb1EES11_EEDaSW_SX_EUlSW_E_NS1_11comp_targetILNS1_3genE10ELNS1_11target_archE1200ELNS1_3gpuE4ELNS1_3repE0EEENS1_30default_config_static_selectorELNS0_4arch9wavefront6targetE1EEEvT1_,"axG",@progbits,_ZN7rocprim17ROCPRIM_400000_NS6detail17trampoline_kernelINS0_14default_configENS1_27scan_by_key_config_selectorIiyEEZZNS1_16scan_by_key_implILNS1_25lookback_scan_determinismE0ELb1ES3_N6thrust23THRUST_200600_302600_NS6detail15normal_iteratorINS9_10device_ptrIiEEEENSB_INSC_IyEEEESG_yNS9_4plusIvEENS9_8equal_toIvEEyEE10hipError_tPvRmT2_T3_T4_T5_mT6_T7_P12ihipStream_tbENKUlT_T0_E_clISt17integral_constantIbLb1EES11_EEDaSW_SX_EUlSW_E_NS1_11comp_targetILNS1_3genE10ELNS1_11target_archE1200ELNS1_3gpuE4ELNS1_3repE0EEENS1_30default_config_static_selectorELNS0_4arch9wavefront6targetE1EEEvT1_,comdat
.Lfunc_end1478:
	.size	_ZN7rocprim17ROCPRIM_400000_NS6detail17trampoline_kernelINS0_14default_configENS1_27scan_by_key_config_selectorIiyEEZZNS1_16scan_by_key_implILNS1_25lookback_scan_determinismE0ELb1ES3_N6thrust23THRUST_200600_302600_NS6detail15normal_iteratorINS9_10device_ptrIiEEEENSB_INSC_IyEEEESG_yNS9_4plusIvEENS9_8equal_toIvEEyEE10hipError_tPvRmT2_T3_T4_T5_mT6_T7_P12ihipStream_tbENKUlT_T0_E_clISt17integral_constantIbLb1EES11_EEDaSW_SX_EUlSW_E_NS1_11comp_targetILNS1_3genE10ELNS1_11target_archE1200ELNS1_3gpuE4ELNS1_3repE0EEENS1_30default_config_static_selectorELNS0_4arch9wavefront6targetE1EEEvT1_, .Lfunc_end1478-_ZN7rocprim17ROCPRIM_400000_NS6detail17trampoline_kernelINS0_14default_configENS1_27scan_by_key_config_selectorIiyEEZZNS1_16scan_by_key_implILNS1_25lookback_scan_determinismE0ELb1ES3_N6thrust23THRUST_200600_302600_NS6detail15normal_iteratorINS9_10device_ptrIiEEEENSB_INSC_IyEEEESG_yNS9_4plusIvEENS9_8equal_toIvEEyEE10hipError_tPvRmT2_T3_T4_T5_mT6_T7_P12ihipStream_tbENKUlT_T0_E_clISt17integral_constantIbLb1EES11_EEDaSW_SX_EUlSW_E_NS1_11comp_targetILNS1_3genE10ELNS1_11target_archE1200ELNS1_3gpuE4ELNS1_3repE0EEENS1_30default_config_static_selectorELNS0_4arch9wavefront6targetE1EEEvT1_
                                        ; -- End function
	.section	.AMDGPU.csdata,"",@progbits
; Kernel info:
; codeLenInByte = 0
; NumSgprs: 6
; NumVgprs: 0
; NumAgprs: 0
; TotalNumVgprs: 0
; ScratchSize: 0
; MemoryBound: 0
; FloatMode: 240
; IeeeMode: 1
; LDSByteSize: 0 bytes/workgroup (compile time only)
; SGPRBlocks: 0
; VGPRBlocks: 0
; NumSGPRsForWavesPerEU: 6
; NumVGPRsForWavesPerEU: 1
; AccumOffset: 4
; Occupancy: 8
; WaveLimiterHint : 0
; COMPUTE_PGM_RSRC2:SCRATCH_EN: 0
; COMPUTE_PGM_RSRC2:USER_SGPR: 2
; COMPUTE_PGM_RSRC2:TRAP_HANDLER: 0
; COMPUTE_PGM_RSRC2:TGID_X_EN: 1
; COMPUTE_PGM_RSRC2:TGID_Y_EN: 0
; COMPUTE_PGM_RSRC2:TGID_Z_EN: 0
; COMPUTE_PGM_RSRC2:TIDIG_COMP_CNT: 0
; COMPUTE_PGM_RSRC3_GFX90A:ACCUM_OFFSET: 0
; COMPUTE_PGM_RSRC3_GFX90A:TG_SPLIT: 0
	.section	.text._ZN7rocprim17ROCPRIM_400000_NS6detail17trampoline_kernelINS0_14default_configENS1_27scan_by_key_config_selectorIiyEEZZNS1_16scan_by_key_implILNS1_25lookback_scan_determinismE0ELb1ES3_N6thrust23THRUST_200600_302600_NS6detail15normal_iteratorINS9_10device_ptrIiEEEENSB_INSC_IyEEEESG_yNS9_4plusIvEENS9_8equal_toIvEEyEE10hipError_tPvRmT2_T3_T4_T5_mT6_T7_P12ihipStream_tbENKUlT_T0_E_clISt17integral_constantIbLb1EES11_EEDaSW_SX_EUlSW_E_NS1_11comp_targetILNS1_3genE9ELNS1_11target_archE1100ELNS1_3gpuE3ELNS1_3repE0EEENS1_30default_config_static_selectorELNS0_4arch9wavefront6targetE1EEEvT1_,"axG",@progbits,_ZN7rocprim17ROCPRIM_400000_NS6detail17trampoline_kernelINS0_14default_configENS1_27scan_by_key_config_selectorIiyEEZZNS1_16scan_by_key_implILNS1_25lookback_scan_determinismE0ELb1ES3_N6thrust23THRUST_200600_302600_NS6detail15normal_iteratorINS9_10device_ptrIiEEEENSB_INSC_IyEEEESG_yNS9_4plusIvEENS9_8equal_toIvEEyEE10hipError_tPvRmT2_T3_T4_T5_mT6_T7_P12ihipStream_tbENKUlT_T0_E_clISt17integral_constantIbLb1EES11_EEDaSW_SX_EUlSW_E_NS1_11comp_targetILNS1_3genE9ELNS1_11target_archE1100ELNS1_3gpuE3ELNS1_3repE0EEENS1_30default_config_static_selectorELNS0_4arch9wavefront6targetE1EEEvT1_,comdat
	.protected	_ZN7rocprim17ROCPRIM_400000_NS6detail17trampoline_kernelINS0_14default_configENS1_27scan_by_key_config_selectorIiyEEZZNS1_16scan_by_key_implILNS1_25lookback_scan_determinismE0ELb1ES3_N6thrust23THRUST_200600_302600_NS6detail15normal_iteratorINS9_10device_ptrIiEEEENSB_INSC_IyEEEESG_yNS9_4plusIvEENS9_8equal_toIvEEyEE10hipError_tPvRmT2_T3_T4_T5_mT6_T7_P12ihipStream_tbENKUlT_T0_E_clISt17integral_constantIbLb1EES11_EEDaSW_SX_EUlSW_E_NS1_11comp_targetILNS1_3genE9ELNS1_11target_archE1100ELNS1_3gpuE3ELNS1_3repE0EEENS1_30default_config_static_selectorELNS0_4arch9wavefront6targetE1EEEvT1_ ; -- Begin function _ZN7rocprim17ROCPRIM_400000_NS6detail17trampoline_kernelINS0_14default_configENS1_27scan_by_key_config_selectorIiyEEZZNS1_16scan_by_key_implILNS1_25lookback_scan_determinismE0ELb1ES3_N6thrust23THRUST_200600_302600_NS6detail15normal_iteratorINS9_10device_ptrIiEEEENSB_INSC_IyEEEESG_yNS9_4plusIvEENS9_8equal_toIvEEyEE10hipError_tPvRmT2_T3_T4_T5_mT6_T7_P12ihipStream_tbENKUlT_T0_E_clISt17integral_constantIbLb1EES11_EEDaSW_SX_EUlSW_E_NS1_11comp_targetILNS1_3genE9ELNS1_11target_archE1100ELNS1_3gpuE3ELNS1_3repE0EEENS1_30default_config_static_selectorELNS0_4arch9wavefront6targetE1EEEvT1_
	.globl	_ZN7rocprim17ROCPRIM_400000_NS6detail17trampoline_kernelINS0_14default_configENS1_27scan_by_key_config_selectorIiyEEZZNS1_16scan_by_key_implILNS1_25lookback_scan_determinismE0ELb1ES3_N6thrust23THRUST_200600_302600_NS6detail15normal_iteratorINS9_10device_ptrIiEEEENSB_INSC_IyEEEESG_yNS9_4plusIvEENS9_8equal_toIvEEyEE10hipError_tPvRmT2_T3_T4_T5_mT6_T7_P12ihipStream_tbENKUlT_T0_E_clISt17integral_constantIbLb1EES11_EEDaSW_SX_EUlSW_E_NS1_11comp_targetILNS1_3genE9ELNS1_11target_archE1100ELNS1_3gpuE3ELNS1_3repE0EEENS1_30default_config_static_selectorELNS0_4arch9wavefront6targetE1EEEvT1_
	.p2align	8
	.type	_ZN7rocprim17ROCPRIM_400000_NS6detail17trampoline_kernelINS0_14default_configENS1_27scan_by_key_config_selectorIiyEEZZNS1_16scan_by_key_implILNS1_25lookback_scan_determinismE0ELb1ES3_N6thrust23THRUST_200600_302600_NS6detail15normal_iteratorINS9_10device_ptrIiEEEENSB_INSC_IyEEEESG_yNS9_4plusIvEENS9_8equal_toIvEEyEE10hipError_tPvRmT2_T3_T4_T5_mT6_T7_P12ihipStream_tbENKUlT_T0_E_clISt17integral_constantIbLb1EES11_EEDaSW_SX_EUlSW_E_NS1_11comp_targetILNS1_3genE9ELNS1_11target_archE1100ELNS1_3gpuE3ELNS1_3repE0EEENS1_30default_config_static_selectorELNS0_4arch9wavefront6targetE1EEEvT1_,@function
_ZN7rocprim17ROCPRIM_400000_NS6detail17trampoline_kernelINS0_14default_configENS1_27scan_by_key_config_selectorIiyEEZZNS1_16scan_by_key_implILNS1_25lookback_scan_determinismE0ELb1ES3_N6thrust23THRUST_200600_302600_NS6detail15normal_iteratorINS9_10device_ptrIiEEEENSB_INSC_IyEEEESG_yNS9_4plusIvEENS9_8equal_toIvEEyEE10hipError_tPvRmT2_T3_T4_T5_mT6_T7_P12ihipStream_tbENKUlT_T0_E_clISt17integral_constantIbLb1EES11_EEDaSW_SX_EUlSW_E_NS1_11comp_targetILNS1_3genE9ELNS1_11target_archE1100ELNS1_3gpuE3ELNS1_3repE0EEENS1_30default_config_static_selectorELNS0_4arch9wavefront6targetE1EEEvT1_: ; @_ZN7rocprim17ROCPRIM_400000_NS6detail17trampoline_kernelINS0_14default_configENS1_27scan_by_key_config_selectorIiyEEZZNS1_16scan_by_key_implILNS1_25lookback_scan_determinismE0ELb1ES3_N6thrust23THRUST_200600_302600_NS6detail15normal_iteratorINS9_10device_ptrIiEEEENSB_INSC_IyEEEESG_yNS9_4plusIvEENS9_8equal_toIvEEyEE10hipError_tPvRmT2_T3_T4_T5_mT6_T7_P12ihipStream_tbENKUlT_T0_E_clISt17integral_constantIbLb1EES11_EEDaSW_SX_EUlSW_E_NS1_11comp_targetILNS1_3genE9ELNS1_11target_archE1100ELNS1_3gpuE3ELNS1_3repE0EEENS1_30default_config_static_selectorELNS0_4arch9wavefront6targetE1EEEvT1_
; %bb.0:
	.section	.rodata,"a",@progbits
	.p2align	6, 0x0
	.amdhsa_kernel _ZN7rocprim17ROCPRIM_400000_NS6detail17trampoline_kernelINS0_14default_configENS1_27scan_by_key_config_selectorIiyEEZZNS1_16scan_by_key_implILNS1_25lookback_scan_determinismE0ELb1ES3_N6thrust23THRUST_200600_302600_NS6detail15normal_iteratorINS9_10device_ptrIiEEEENSB_INSC_IyEEEESG_yNS9_4plusIvEENS9_8equal_toIvEEyEE10hipError_tPvRmT2_T3_T4_T5_mT6_T7_P12ihipStream_tbENKUlT_T0_E_clISt17integral_constantIbLb1EES11_EEDaSW_SX_EUlSW_E_NS1_11comp_targetILNS1_3genE9ELNS1_11target_archE1100ELNS1_3gpuE3ELNS1_3repE0EEENS1_30default_config_static_selectorELNS0_4arch9wavefront6targetE1EEEvT1_
		.amdhsa_group_segment_fixed_size 0
		.amdhsa_private_segment_fixed_size 0
		.amdhsa_kernarg_size 136
		.amdhsa_user_sgpr_count 2
		.amdhsa_user_sgpr_dispatch_ptr 0
		.amdhsa_user_sgpr_queue_ptr 0
		.amdhsa_user_sgpr_kernarg_segment_ptr 1
		.amdhsa_user_sgpr_dispatch_id 0
		.amdhsa_user_sgpr_kernarg_preload_length 0
		.amdhsa_user_sgpr_kernarg_preload_offset 0
		.amdhsa_user_sgpr_private_segment_size 0
		.amdhsa_uses_dynamic_stack 0
		.amdhsa_enable_private_segment 0
		.amdhsa_system_sgpr_workgroup_id_x 1
		.amdhsa_system_sgpr_workgroup_id_y 0
		.amdhsa_system_sgpr_workgroup_id_z 0
		.amdhsa_system_sgpr_workgroup_info 0
		.amdhsa_system_vgpr_workitem_id 0
		.amdhsa_next_free_vgpr 1
		.amdhsa_next_free_sgpr 0
		.amdhsa_accum_offset 4
		.amdhsa_reserve_vcc 0
		.amdhsa_float_round_mode_32 0
		.amdhsa_float_round_mode_16_64 0
		.amdhsa_float_denorm_mode_32 3
		.amdhsa_float_denorm_mode_16_64 3
		.amdhsa_dx10_clamp 1
		.amdhsa_ieee_mode 1
		.amdhsa_fp16_overflow 0
		.amdhsa_tg_split 0
		.amdhsa_exception_fp_ieee_invalid_op 0
		.amdhsa_exception_fp_denorm_src 0
		.amdhsa_exception_fp_ieee_div_zero 0
		.amdhsa_exception_fp_ieee_overflow 0
		.amdhsa_exception_fp_ieee_underflow 0
		.amdhsa_exception_fp_ieee_inexact 0
		.amdhsa_exception_int_div_zero 0
	.end_amdhsa_kernel
	.section	.text._ZN7rocprim17ROCPRIM_400000_NS6detail17trampoline_kernelINS0_14default_configENS1_27scan_by_key_config_selectorIiyEEZZNS1_16scan_by_key_implILNS1_25lookback_scan_determinismE0ELb1ES3_N6thrust23THRUST_200600_302600_NS6detail15normal_iteratorINS9_10device_ptrIiEEEENSB_INSC_IyEEEESG_yNS9_4plusIvEENS9_8equal_toIvEEyEE10hipError_tPvRmT2_T3_T4_T5_mT6_T7_P12ihipStream_tbENKUlT_T0_E_clISt17integral_constantIbLb1EES11_EEDaSW_SX_EUlSW_E_NS1_11comp_targetILNS1_3genE9ELNS1_11target_archE1100ELNS1_3gpuE3ELNS1_3repE0EEENS1_30default_config_static_selectorELNS0_4arch9wavefront6targetE1EEEvT1_,"axG",@progbits,_ZN7rocprim17ROCPRIM_400000_NS6detail17trampoline_kernelINS0_14default_configENS1_27scan_by_key_config_selectorIiyEEZZNS1_16scan_by_key_implILNS1_25lookback_scan_determinismE0ELb1ES3_N6thrust23THRUST_200600_302600_NS6detail15normal_iteratorINS9_10device_ptrIiEEEENSB_INSC_IyEEEESG_yNS9_4plusIvEENS9_8equal_toIvEEyEE10hipError_tPvRmT2_T3_T4_T5_mT6_T7_P12ihipStream_tbENKUlT_T0_E_clISt17integral_constantIbLb1EES11_EEDaSW_SX_EUlSW_E_NS1_11comp_targetILNS1_3genE9ELNS1_11target_archE1100ELNS1_3gpuE3ELNS1_3repE0EEENS1_30default_config_static_selectorELNS0_4arch9wavefront6targetE1EEEvT1_,comdat
.Lfunc_end1479:
	.size	_ZN7rocprim17ROCPRIM_400000_NS6detail17trampoline_kernelINS0_14default_configENS1_27scan_by_key_config_selectorIiyEEZZNS1_16scan_by_key_implILNS1_25lookback_scan_determinismE0ELb1ES3_N6thrust23THRUST_200600_302600_NS6detail15normal_iteratorINS9_10device_ptrIiEEEENSB_INSC_IyEEEESG_yNS9_4plusIvEENS9_8equal_toIvEEyEE10hipError_tPvRmT2_T3_T4_T5_mT6_T7_P12ihipStream_tbENKUlT_T0_E_clISt17integral_constantIbLb1EES11_EEDaSW_SX_EUlSW_E_NS1_11comp_targetILNS1_3genE9ELNS1_11target_archE1100ELNS1_3gpuE3ELNS1_3repE0EEENS1_30default_config_static_selectorELNS0_4arch9wavefront6targetE1EEEvT1_, .Lfunc_end1479-_ZN7rocprim17ROCPRIM_400000_NS6detail17trampoline_kernelINS0_14default_configENS1_27scan_by_key_config_selectorIiyEEZZNS1_16scan_by_key_implILNS1_25lookback_scan_determinismE0ELb1ES3_N6thrust23THRUST_200600_302600_NS6detail15normal_iteratorINS9_10device_ptrIiEEEENSB_INSC_IyEEEESG_yNS9_4plusIvEENS9_8equal_toIvEEyEE10hipError_tPvRmT2_T3_T4_T5_mT6_T7_P12ihipStream_tbENKUlT_T0_E_clISt17integral_constantIbLb1EES11_EEDaSW_SX_EUlSW_E_NS1_11comp_targetILNS1_3genE9ELNS1_11target_archE1100ELNS1_3gpuE3ELNS1_3repE0EEENS1_30default_config_static_selectorELNS0_4arch9wavefront6targetE1EEEvT1_
                                        ; -- End function
	.section	.AMDGPU.csdata,"",@progbits
; Kernel info:
; codeLenInByte = 0
; NumSgprs: 6
; NumVgprs: 0
; NumAgprs: 0
; TotalNumVgprs: 0
; ScratchSize: 0
; MemoryBound: 0
; FloatMode: 240
; IeeeMode: 1
; LDSByteSize: 0 bytes/workgroup (compile time only)
; SGPRBlocks: 0
; VGPRBlocks: 0
; NumSGPRsForWavesPerEU: 6
; NumVGPRsForWavesPerEU: 1
; AccumOffset: 4
; Occupancy: 8
; WaveLimiterHint : 0
; COMPUTE_PGM_RSRC2:SCRATCH_EN: 0
; COMPUTE_PGM_RSRC2:USER_SGPR: 2
; COMPUTE_PGM_RSRC2:TRAP_HANDLER: 0
; COMPUTE_PGM_RSRC2:TGID_X_EN: 1
; COMPUTE_PGM_RSRC2:TGID_Y_EN: 0
; COMPUTE_PGM_RSRC2:TGID_Z_EN: 0
; COMPUTE_PGM_RSRC2:TIDIG_COMP_CNT: 0
; COMPUTE_PGM_RSRC3_GFX90A:ACCUM_OFFSET: 0
; COMPUTE_PGM_RSRC3_GFX90A:TG_SPLIT: 0
	.section	.text._ZN7rocprim17ROCPRIM_400000_NS6detail17trampoline_kernelINS0_14default_configENS1_27scan_by_key_config_selectorIiyEEZZNS1_16scan_by_key_implILNS1_25lookback_scan_determinismE0ELb1ES3_N6thrust23THRUST_200600_302600_NS6detail15normal_iteratorINS9_10device_ptrIiEEEENSB_INSC_IyEEEESG_yNS9_4plusIvEENS9_8equal_toIvEEyEE10hipError_tPvRmT2_T3_T4_T5_mT6_T7_P12ihipStream_tbENKUlT_T0_E_clISt17integral_constantIbLb1EES11_EEDaSW_SX_EUlSW_E_NS1_11comp_targetILNS1_3genE8ELNS1_11target_archE1030ELNS1_3gpuE2ELNS1_3repE0EEENS1_30default_config_static_selectorELNS0_4arch9wavefront6targetE1EEEvT1_,"axG",@progbits,_ZN7rocprim17ROCPRIM_400000_NS6detail17trampoline_kernelINS0_14default_configENS1_27scan_by_key_config_selectorIiyEEZZNS1_16scan_by_key_implILNS1_25lookback_scan_determinismE0ELb1ES3_N6thrust23THRUST_200600_302600_NS6detail15normal_iteratorINS9_10device_ptrIiEEEENSB_INSC_IyEEEESG_yNS9_4plusIvEENS9_8equal_toIvEEyEE10hipError_tPvRmT2_T3_T4_T5_mT6_T7_P12ihipStream_tbENKUlT_T0_E_clISt17integral_constantIbLb1EES11_EEDaSW_SX_EUlSW_E_NS1_11comp_targetILNS1_3genE8ELNS1_11target_archE1030ELNS1_3gpuE2ELNS1_3repE0EEENS1_30default_config_static_selectorELNS0_4arch9wavefront6targetE1EEEvT1_,comdat
	.protected	_ZN7rocprim17ROCPRIM_400000_NS6detail17trampoline_kernelINS0_14default_configENS1_27scan_by_key_config_selectorIiyEEZZNS1_16scan_by_key_implILNS1_25lookback_scan_determinismE0ELb1ES3_N6thrust23THRUST_200600_302600_NS6detail15normal_iteratorINS9_10device_ptrIiEEEENSB_INSC_IyEEEESG_yNS9_4plusIvEENS9_8equal_toIvEEyEE10hipError_tPvRmT2_T3_T4_T5_mT6_T7_P12ihipStream_tbENKUlT_T0_E_clISt17integral_constantIbLb1EES11_EEDaSW_SX_EUlSW_E_NS1_11comp_targetILNS1_3genE8ELNS1_11target_archE1030ELNS1_3gpuE2ELNS1_3repE0EEENS1_30default_config_static_selectorELNS0_4arch9wavefront6targetE1EEEvT1_ ; -- Begin function _ZN7rocprim17ROCPRIM_400000_NS6detail17trampoline_kernelINS0_14default_configENS1_27scan_by_key_config_selectorIiyEEZZNS1_16scan_by_key_implILNS1_25lookback_scan_determinismE0ELb1ES3_N6thrust23THRUST_200600_302600_NS6detail15normal_iteratorINS9_10device_ptrIiEEEENSB_INSC_IyEEEESG_yNS9_4plusIvEENS9_8equal_toIvEEyEE10hipError_tPvRmT2_T3_T4_T5_mT6_T7_P12ihipStream_tbENKUlT_T0_E_clISt17integral_constantIbLb1EES11_EEDaSW_SX_EUlSW_E_NS1_11comp_targetILNS1_3genE8ELNS1_11target_archE1030ELNS1_3gpuE2ELNS1_3repE0EEENS1_30default_config_static_selectorELNS0_4arch9wavefront6targetE1EEEvT1_
	.globl	_ZN7rocprim17ROCPRIM_400000_NS6detail17trampoline_kernelINS0_14default_configENS1_27scan_by_key_config_selectorIiyEEZZNS1_16scan_by_key_implILNS1_25lookback_scan_determinismE0ELb1ES3_N6thrust23THRUST_200600_302600_NS6detail15normal_iteratorINS9_10device_ptrIiEEEENSB_INSC_IyEEEESG_yNS9_4plusIvEENS9_8equal_toIvEEyEE10hipError_tPvRmT2_T3_T4_T5_mT6_T7_P12ihipStream_tbENKUlT_T0_E_clISt17integral_constantIbLb1EES11_EEDaSW_SX_EUlSW_E_NS1_11comp_targetILNS1_3genE8ELNS1_11target_archE1030ELNS1_3gpuE2ELNS1_3repE0EEENS1_30default_config_static_selectorELNS0_4arch9wavefront6targetE1EEEvT1_
	.p2align	8
	.type	_ZN7rocprim17ROCPRIM_400000_NS6detail17trampoline_kernelINS0_14default_configENS1_27scan_by_key_config_selectorIiyEEZZNS1_16scan_by_key_implILNS1_25lookback_scan_determinismE0ELb1ES3_N6thrust23THRUST_200600_302600_NS6detail15normal_iteratorINS9_10device_ptrIiEEEENSB_INSC_IyEEEESG_yNS9_4plusIvEENS9_8equal_toIvEEyEE10hipError_tPvRmT2_T3_T4_T5_mT6_T7_P12ihipStream_tbENKUlT_T0_E_clISt17integral_constantIbLb1EES11_EEDaSW_SX_EUlSW_E_NS1_11comp_targetILNS1_3genE8ELNS1_11target_archE1030ELNS1_3gpuE2ELNS1_3repE0EEENS1_30default_config_static_selectorELNS0_4arch9wavefront6targetE1EEEvT1_,@function
_ZN7rocprim17ROCPRIM_400000_NS6detail17trampoline_kernelINS0_14default_configENS1_27scan_by_key_config_selectorIiyEEZZNS1_16scan_by_key_implILNS1_25lookback_scan_determinismE0ELb1ES3_N6thrust23THRUST_200600_302600_NS6detail15normal_iteratorINS9_10device_ptrIiEEEENSB_INSC_IyEEEESG_yNS9_4plusIvEENS9_8equal_toIvEEyEE10hipError_tPvRmT2_T3_T4_T5_mT6_T7_P12ihipStream_tbENKUlT_T0_E_clISt17integral_constantIbLb1EES11_EEDaSW_SX_EUlSW_E_NS1_11comp_targetILNS1_3genE8ELNS1_11target_archE1030ELNS1_3gpuE2ELNS1_3repE0EEENS1_30default_config_static_selectorELNS0_4arch9wavefront6targetE1EEEvT1_: ; @_ZN7rocprim17ROCPRIM_400000_NS6detail17trampoline_kernelINS0_14default_configENS1_27scan_by_key_config_selectorIiyEEZZNS1_16scan_by_key_implILNS1_25lookback_scan_determinismE0ELb1ES3_N6thrust23THRUST_200600_302600_NS6detail15normal_iteratorINS9_10device_ptrIiEEEENSB_INSC_IyEEEESG_yNS9_4plusIvEENS9_8equal_toIvEEyEE10hipError_tPvRmT2_T3_T4_T5_mT6_T7_P12ihipStream_tbENKUlT_T0_E_clISt17integral_constantIbLb1EES11_EEDaSW_SX_EUlSW_E_NS1_11comp_targetILNS1_3genE8ELNS1_11target_archE1030ELNS1_3gpuE2ELNS1_3repE0EEENS1_30default_config_static_selectorELNS0_4arch9wavefront6targetE1EEEvT1_
; %bb.0:
	.section	.rodata,"a",@progbits
	.p2align	6, 0x0
	.amdhsa_kernel _ZN7rocprim17ROCPRIM_400000_NS6detail17trampoline_kernelINS0_14default_configENS1_27scan_by_key_config_selectorIiyEEZZNS1_16scan_by_key_implILNS1_25lookback_scan_determinismE0ELb1ES3_N6thrust23THRUST_200600_302600_NS6detail15normal_iteratorINS9_10device_ptrIiEEEENSB_INSC_IyEEEESG_yNS9_4plusIvEENS9_8equal_toIvEEyEE10hipError_tPvRmT2_T3_T4_T5_mT6_T7_P12ihipStream_tbENKUlT_T0_E_clISt17integral_constantIbLb1EES11_EEDaSW_SX_EUlSW_E_NS1_11comp_targetILNS1_3genE8ELNS1_11target_archE1030ELNS1_3gpuE2ELNS1_3repE0EEENS1_30default_config_static_selectorELNS0_4arch9wavefront6targetE1EEEvT1_
		.amdhsa_group_segment_fixed_size 0
		.amdhsa_private_segment_fixed_size 0
		.amdhsa_kernarg_size 136
		.amdhsa_user_sgpr_count 2
		.amdhsa_user_sgpr_dispatch_ptr 0
		.amdhsa_user_sgpr_queue_ptr 0
		.amdhsa_user_sgpr_kernarg_segment_ptr 1
		.amdhsa_user_sgpr_dispatch_id 0
		.amdhsa_user_sgpr_kernarg_preload_length 0
		.amdhsa_user_sgpr_kernarg_preload_offset 0
		.amdhsa_user_sgpr_private_segment_size 0
		.amdhsa_uses_dynamic_stack 0
		.amdhsa_enable_private_segment 0
		.amdhsa_system_sgpr_workgroup_id_x 1
		.amdhsa_system_sgpr_workgroup_id_y 0
		.amdhsa_system_sgpr_workgroup_id_z 0
		.amdhsa_system_sgpr_workgroup_info 0
		.amdhsa_system_vgpr_workitem_id 0
		.amdhsa_next_free_vgpr 1
		.amdhsa_next_free_sgpr 0
		.amdhsa_accum_offset 4
		.amdhsa_reserve_vcc 0
		.amdhsa_float_round_mode_32 0
		.amdhsa_float_round_mode_16_64 0
		.amdhsa_float_denorm_mode_32 3
		.amdhsa_float_denorm_mode_16_64 3
		.amdhsa_dx10_clamp 1
		.amdhsa_ieee_mode 1
		.amdhsa_fp16_overflow 0
		.amdhsa_tg_split 0
		.amdhsa_exception_fp_ieee_invalid_op 0
		.amdhsa_exception_fp_denorm_src 0
		.amdhsa_exception_fp_ieee_div_zero 0
		.amdhsa_exception_fp_ieee_overflow 0
		.amdhsa_exception_fp_ieee_underflow 0
		.amdhsa_exception_fp_ieee_inexact 0
		.amdhsa_exception_int_div_zero 0
	.end_amdhsa_kernel
	.section	.text._ZN7rocprim17ROCPRIM_400000_NS6detail17trampoline_kernelINS0_14default_configENS1_27scan_by_key_config_selectorIiyEEZZNS1_16scan_by_key_implILNS1_25lookback_scan_determinismE0ELb1ES3_N6thrust23THRUST_200600_302600_NS6detail15normal_iteratorINS9_10device_ptrIiEEEENSB_INSC_IyEEEESG_yNS9_4plusIvEENS9_8equal_toIvEEyEE10hipError_tPvRmT2_T3_T4_T5_mT6_T7_P12ihipStream_tbENKUlT_T0_E_clISt17integral_constantIbLb1EES11_EEDaSW_SX_EUlSW_E_NS1_11comp_targetILNS1_3genE8ELNS1_11target_archE1030ELNS1_3gpuE2ELNS1_3repE0EEENS1_30default_config_static_selectorELNS0_4arch9wavefront6targetE1EEEvT1_,"axG",@progbits,_ZN7rocprim17ROCPRIM_400000_NS6detail17trampoline_kernelINS0_14default_configENS1_27scan_by_key_config_selectorIiyEEZZNS1_16scan_by_key_implILNS1_25lookback_scan_determinismE0ELb1ES3_N6thrust23THRUST_200600_302600_NS6detail15normal_iteratorINS9_10device_ptrIiEEEENSB_INSC_IyEEEESG_yNS9_4plusIvEENS9_8equal_toIvEEyEE10hipError_tPvRmT2_T3_T4_T5_mT6_T7_P12ihipStream_tbENKUlT_T0_E_clISt17integral_constantIbLb1EES11_EEDaSW_SX_EUlSW_E_NS1_11comp_targetILNS1_3genE8ELNS1_11target_archE1030ELNS1_3gpuE2ELNS1_3repE0EEENS1_30default_config_static_selectorELNS0_4arch9wavefront6targetE1EEEvT1_,comdat
.Lfunc_end1480:
	.size	_ZN7rocprim17ROCPRIM_400000_NS6detail17trampoline_kernelINS0_14default_configENS1_27scan_by_key_config_selectorIiyEEZZNS1_16scan_by_key_implILNS1_25lookback_scan_determinismE0ELb1ES3_N6thrust23THRUST_200600_302600_NS6detail15normal_iteratorINS9_10device_ptrIiEEEENSB_INSC_IyEEEESG_yNS9_4plusIvEENS9_8equal_toIvEEyEE10hipError_tPvRmT2_T3_T4_T5_mT6_T7_P12ihipStream_tbENKUlT_T0_E_clISt17integral_constantIbLb1EES11_EEDaSW_SX_EUlSW_E_NS1_11comp_targetILNS1_3genE8ELNS1_11target_archE1030ELNS1_3gpuE2ELNS1_3repE0EEENS1_30default_config_static_selectorELNS0_4arch9wavefront6targetE1EEEvT1_, .Lfunc_end1480-_ZN7rocprim17ROCPRIM_400000_NS6detail17trampoline_kernelINS0_14default_configENS1_27scan_by_key_config_selectorIiyEEZZNS1_16scan_by_key_implILNS1_25lookback_scan_determinismE0ELb1ES3_N6thrust23THRUST_200600_302600_NS6detail15normal_iteratorINS9_10device_ptrIiEEEENSB_INSC_IyEEEESG_yNS9_4plusIvEENS9_8equal_toIvEEyEE10hipError_tPvRmT2_T3_T4_T5_mT6_T7_P12ihipStream_tbENKUlT_T0_E_clISt17integral_constantIbLb1EES11_EEDaSW_SX_EUlSW_E_NS1_11comp_targetILNS1_3genE8ELNS1_11target_archE1030ELNS1_3gpuE2ELNS1_3repE0EEENS1_30default_config_static_selectorELNS0_4arch9wavefront6targetE1EEEvT1_
                                        ; -- End function
	.section	.AMDGPU.csdata,"",@progbits
; Kernel info:
; codeLenInByte = 0
; NumSgprs: 6
; NumVgprs: 0
; NumAgprs: 0
; TotalNumVgprs: 0
; ScratchSize: 0
; MemoryBound: 0
; FloatMode: 240
; IeeeMode: 1
; LDSByteSize: 0 bytes/workgroup (compile time only)
; SGPRBlocks: 0
; VGPRBlocks: 0
; NumSGPRsForWavesPerEU: 6
; NumVGPRsForWavesPerEU: 1
; AccumOffset: 4
; Occupancy: 8
; WaveLimiterHint : 0
; COMPUTE_PGM_RSRC2:SCRATCH_EN: 0
; COMPUTE_PGM_RSRC2:USER_SGPR: 2
; COMPUTE_PGM_RSRC2:TRAP_HANDLER: 0
; COMPUTE_PGM_RSRC2:TGID_X_EN: 1
; COMPUTE_PGM_RSRC2:TGID_Y_EN: 0
; COMPUTE_PGM_RSRC2:TGID_Z_EN: 0
; COMPUTE_PGM_RSRC2:TIDIG_COMP_CNT: 0
; COMPUTE_PGM_RSRC3_GFX90A:ACCUM_OFFSET: 0
; COMPUTE_PGM_RSRC3_GFX90A:TG_SPLIT: 0
	.section	.text._ZN7rocprim17ROCPRIM_400000_NS6detail17trampoline_kernelINS0_14default_configENS1_27scan_by_key_config_selectorIiyEEZZNS1_16scan_by_key_implILNS1_25lookback_scan_determinismE0ELb1ES3_N6thrust23THRUST_200600_302600_NS6detail15normal_iteratorINS9_10device_ptrIiEEEENSB_INSC_IyEEEESG_yNS9_4plusIvEENS9_8equal_toIvEEyEE10hipError_tPvRmT2_T3_T4_T5_mT6_T7_P12ihipStream_tbENKUlT_T0_E_clISt17integral_constantIbLb1EES10_IbLb0EEEEDaSW_SX_EUlSW_E_NS1_11comp_targetILNS1_3genE0ELNS1_11target_archE4294967295ELNS1_3gpuE0ELNS1_3repE0EEENS1_30default_config_static_selectorELNS0_4arch9wavefront6targetE1EEEvT1_,"axG",@progbits,_ZN7rocprim17ROCPRIM_400000_NS6detail17trampoline_kernelINS0_14default_configENS1_27scan_by_key_config_selectorIiyEEZZNS1_16scan_by_key_implILNS1_25lookback_scan_determinismE0ELb1ES3_N6thrust23THRUST_200600_302600_NS6detail15normal_iteratorINS9_10device_ptrIiEEEENSB_INSC_IyEEEESG_yNS9_4plusIvEENS9_8equal_toIvEEyEE10hipError_tPvRmT2_T3_T4_T5_mT6_T7_P12ihipStream_tbENKUlT_T0_E_clISt17integral_constantIbLb1EES10_IbLb0EEEEDaSW_SX_EUlSW_E_NS1_11comp_targetILNS1_3genE0ELNS1_11target_archE4294967295ELNS1_3gpuE0ELNS1_3repE0EEENS1_30default_config_static_selectorELNS0_4arch9wavefront6targetE1EEEvT1_,comdat
	.protected	_ZN7rocprim17ROCPRIM_400000_NS6detail17trampoline_kernelINS0_14default_configENS1_27scan_by_key_config_selectorIiyEEZZNS1_16scan_by_key_implILNS1_25lookback_scan_determinismE0ELb1ES3_N6thrust23THRUST_200600_302600_NS6detail15normal_iteratorINS9_10device_ptrIiEEEENSB_INSC_IyEEEESG_yNS9_4plusIvEENS9_8equal_toIvEEyEE10hipError_tPvRmT2_T3_T4_T5_mT6_T7_P12ihipStream_tbENKUlT_T0_E_clISt17integral_constantIbLb1EES10_IbLb0EEEEDaSW_SX_EUlSW_E_NS1_11comp_targetILNS1_3genE0ELNS1_11target_archE4294967295ELNS1_3gpuE0ELNS1_3repE0EEENS1_30default_config_static_selectorELNS0_4arch9wavefront6targetE1EEEvT1_ ; -- Begin function _ZN7rocprim17ROCPRIM_400000_NS6detail17trampoline_kernelINS0_14default_configENS1_27scan_by_key_config_selectorIiyEEZZNS1_16scan_by_key_implILNS1_25lookback_scan_determinismE0ELb1ES3_N6thrust23THRUST_200600_302600_NS6detail15normal_iteratorINS9_10device_ptrIiEEEENSB_INSC_IyEEEESG_yNS9_4plusIvEENS9_8equal_toIvEEyEE10hipError_tPvRmT2_T3_T4_T5_mT6_T7_P12ihipStream_tbENKUlT_T0_E_clISt17integral_constantIbLb1EES10_IbLb0EEEEDaSW_SX_EUlSW_E_NS1_11comp_targetILNS1_3genE0ELNS1_11target_archE4294967295ELNS1_3gpuE0ELNS1_3repE0EEENS1_30default_config_static_selectorELNS0_4arch9wavefront6targetE1EEEvT1_
	.globl	_ZN7rocprim17ROCPRIM_400000_NS6detail17trampoline_kernelINS0_14default_configENS1_27scan_by_key_config_selectorIiyEEZZNS1_16scan_by_key_implILNS1_25lookback_scan_determinismE0ELb1ES3_N6thrust23THRUST_200600_302600_NS6detail15normal_iteratorINS9_10device_ptrIiEEEENSB_INSC_IyEEEESG_yNS9_4plusIvEENS9_8equal_toIvEEyEE10hipError_tPvRmT2_T3_T4_T5_mT6_T7_P12ihipStream_tbENKUlT_T0_E_clISt17integral_constantIbLb1EES10_IbLb0EEEEDaSW_SX_EUlSW_E_NS1_11comp_targetILNS1_3genE0ELNS1_11target_archE4294967295ELNS1_3gpuE0ELNS1_3repE0EEENS1_30default_config_static_selectorELNS0_4arch9wavefront6targetE1EEEvT1_
	.p2align	8
	.type	_ZN7rocprim17ROCPRIM_400000_NS6detail17trampoline_kernelINS0_14default_configENS1_27scan_by_key_config_selectorIiyEEZZNS1_16scan_by_key_implILNS1_25lookback_scan_determinismE0ELb1ES3_N6thrust23THRUST_200600_302600_NS6detail15normal_iteratorINS9_10device_ptrIiEEEENSB_INSC_IyEEEESG_yNS9_4plusIvEENS9_8equal_toIvEEyEE10hipError_tPvRmT2_T3_T4_T5_mT6_T7_P12ihipStream_tbENKUlT_T0_E_clISt17integral_constantIbLb1EES10_IbLb0EEEEDaSW_SX_EUlSW_E_NS1_11comp_targetILNS1_3genE0ELNS1_11target_archE4294967295ELNS1_3gpuE0ELNS1_3repE0EEENS1_30default_config_static_selectorELNS0_4arch9wavefront6targetE1EEEvT1_,@function
_ZN7rocprim17ROCPRIM_400000_NS6detail17trampoline_kernelINS0_14default_configENS1_27scan_by_key_config_selectorIiyEEZZNS1_16scan_by_key_implILNS1_25lookback_scan_determinismE0ELb1ES3_N6thrust23THRUST_200600_302600_NS6detail15normal_iteratorINS9_10device_ptrIiEEEENSB_INSC_IyEEEESG_yNS9_4plusIvEENS9_8equal_toIvEEyEE10hipError_tPvRmT2_T3_T4_T5_mT6_T7_P12ihipStream_tbENKUlT_T0_E_clISt17integral_constantIbLb1EES10_IbLb0EEEEDaSW_SX_EUlSW_E_NS1_11comp_targetILNS1_3genE0ELNS1_11target_archE4294967295ELNS1_3gpuE0ELNS1_3repE0EEENS1_30default_config_static_selectorELNS0_4arch9wavefront6targetE1EEEvT1_: ; @_ZN7rocprim17ROCPRIM_400000_NS6detail17trampoline_kernelINS0_14default_configENS1_27scan_by_key_config_selectorIiyEEZZNS1_16scan_by_key_implILNS1_25lookback_scan_determinismE0ELb1ES3_N6thrust23THRUST_200600_302600_NS6detail15normal_iteratorINS9_10device_ptrIiEEEENSB_INSC_IyEEEESG_yNS9_4plusIvEENS9_8equal_toIvEEyEE10hipError_tPvRmT2_T3_T4_T5_mT6_T7_P12ihipStream_tbENKUlT_T0_E_clISt17integral_constantIbLb1EES10_IbLb0EEEEDaSW_SX_EUlSW_E_NS1_11comp_targetILNS1_3genE0ELNS1_11target_archE4294967295ELNS1_3gpuE0ELNS1_3repE0EEENS1_30default_config_static_selectorELNS0_4arch9wavefront6targetE1EEEvT1_
; %bb.0:
	.section	.rodata,"a",@progbits
	.p2align	6, 0x0
	.amdhsa_kernel _ZN7rocprim17ROCPRIM_400000_NS6detail17trampoline_kernelINS0_14default_configENS1_27scan_by_key_config_selectorIiyEEZZNS1_16scan_by_key_implILNS1_25lookback_scan_determinismE0ELb1ES3_N6thrust23THRUST_200600_302600_NS6detail15normal_iteratorINS9_10device_ptrIiEEEENSB_INSC_IyEEEESG_yNS9_4plusIvEENS9_8equal_toIvEEyEE10hipError_tPvRmT2_T3_T4_T5_mT6_T7_P12ihipStream_tbENKUlT_T0_E_clISt17integral_constantIbLb1EES10_IbLb0EEEEDaSW_SX_EUlSW_E_NS1_11comp_targetILNS1_3genE0ELNS1_11target_archE4294967295ELNS1_3gpuE0ELNS1_3repE0EEENS1_30default_config_static_selectorELNS0_4arch9wavefront6targetE1EEEvT1_
		.amdhsa_group_segment_fixed_size 0
		.amdhsa_private_segment_fixed_size 0
		.amdhsa_kernarg_size 136
		.amdhsa_user_sgpr_count 2
		.amdhsa_user_sgpr_dispatch_ptr 0
		.amdhsa_user_sgpr_queue_ptr 0
		.amdhsa_user_sgpr_kernarg_segment_ptr 1
		.amdhsa_user_sgpr_dispatch_id 0
		.amdhsa_user_sgpr_kernarg_preload_length 0
		.amdhsa_user_sgpr_kernarg_preload_offset 0
		.amdhsa_user_sgpr_private_segment_size 0
		.amdhsa_uses_dynamic_stack 0
		.amdhsa_enable_private_segment 0
		.amdhsa_system_sgpr_workgroup_id_x 1
		.amdhsa_system_sgpr_workgroup_id_y 0
		.amdhsa_system_sgpr_workgroup_id_z 0
		.amdhsa_system_sgpr_workgroup_info 0
		.amdhsa_system_vgpr_workitem_id 0
		.amdhsa_next_free_vgpr 1
		.amdhsa_next_free_sgpr 0
		.amdhsa_accum_offset 4
		.amdhsa_reserve_vcc 0
		.amdhsa_float_round_mode_32 0
		.amdhsa_float_round_mode_16_64 0
		.amdhsa_float_denorm_mode_32 3
		.amdhsa_float_denorm_mode_16_64 3
		.amdhsa_dx10_clamp 1
		.amdhsa_ieee_mode 1
		.amdhsa_fp16_overflow 0
		.amdhsa_tg_split 0
		.amdhsa_exception_fp_ieee_invalid_op 0
		.amdhsa_exception_fp_denorm_src 0
		.amdhsa_exception_fp_ieee_div_zero 0
		.amdhsa_exception_fp_ieee_overflow 0
		.amdhsa_exception_fp_ieee_underflow 0
		.amdhsa_exception_fp_ieee_inexact 0
		.amdhsa_exception_int_div_zero 0
	.end_amdhsa_kernel
	.section	.text._ZN7rocprim17ROCPRIM_400000_NS6detail17trampoline_kernelINS0_14default_configENS1_27scan_by_key_config_selectorIiyEEZZNS1_16scan_by_key_implILNS1_25lookback_scan_determinismE0ELb1ES3_N6thrust23THRUST_200600_302600_NS6detail15normal_iteratorINS9_10device_ptrIiEEEENSB_INSC_IyEEEESG_yNS9_4plusIvEENS9_8equal_toIvEEyEE10hipError_tPvRmT2_T3_T4_T5_mT6_T7_P12ihipStream_tbENKUlT_T0_E_clISt17integral_constantIbLb1EES10_IbLb0EEEEDaSW_SX_EUlSW_E_NS1_11comp_targetILNS1_3genE0ELNS1_11target_archE4294967295ELNS1_3gpuE0ELNS1_3repE0EEENS1_30default_config_static_selectorELNS0_4arch9wavefront6targetE1EEEvT1_,"axG",@progbits,_ZN7rocprim17ROCPRIM_400000_NS6detail17trampoline_kernelINS0_14default_configENS1_27scan_by_key_config_selectorIiyEEZZNS1_16scan_by_key_implILNS1_25lookback_scan_determinismE0ELb1ES3_N6thrust23THRUST_200600_302600_NS6detail15normal_iteratorINS9_10device_ptrIiEEEENSB_INSC_IyEEEESG_yNS9_4plusIvEENS9_8equal_toIvEEyEE10hipError_tPvRmT2_T3_T4_T5_mT6_T7_P12ihipStream_tbENKUlT_T0_E_clISt17integral_constantIbLb1EES10_IbLb0EEEEDaSW_SX_EUlSW_E_NS1_11comp_targetILNS1_3genE0ELNS1_11target_archE4294967295ELNS1_3gpuE0ELNS1_3repE0EEENS1_30default_config_static_selectorELNS0_4arch9wavefront6targetE1EEEvT1_,comdat
.Lfunc_end1481:
	.size	_ZN7rocprim17ROCPRIM_400000_NS6detail17trampoline_kernelINS0_14default_configENS1_27scan_by_key_config_selectorIiyEEZZNS1_16scan_by_key_implILNS1_25lookback_scan_determinismE0ELb1ES3_N6thrust23THRUST_200600_302600_NS6detail15normal_iteratorINS9_10device_ptrIiEEEENSB_INSC_IyEEEESG_yNS9_4plusIvEENS9_8equal_toIvEEyEE10hipError_tPvRmT2_T3_T4_T5_mT6_T7_P12ihipStream_tbENKUlT_T0_E_clISt17integral_constantIbLb1EES10_IbLb0EEEEDaSW_SX_EUlSW_E_NS1_11comp_targetILNS1_3genE0ELNS1_11target_archE4294967295ELNS1_3gpuE0ELNS1_3repE0EEENS1_30default_config_static_selectorELNS0_4arch9wavefront6targetE1EEEvT1_, .Lfunc_end1481-_ZN7rocprim17ROCPRIM_400000_NS6detail17trampoline_kernelINS0_14default_configENS1_27scan_by_key_config_selectorIiyEEZZNS1_16scan_by_key_implILNS1_25lookback_scan_determinismE0ELb1ES3_N6thrust23THRUST_200600_302600_NS6detail15normal_iteratorINS9_10device_ptrIiEEEENSB_INSC_IyEEEESG_yNS9_4plusIvEENS9_8equal_toIvEEyEE10hipError_tPvRmT2_T3_T4_T5_mT6_T7_P12ihipStream_tbENKUlT_T0_E_clISt17integral_constantIbLb1EES10_IbLb0EEEEDaSW_SX_EUlSW_E_NS1_11comp_targetILNS1_3genE0ELNS1_11target_archE4294967295ELNS1_3gpuE0ELNS1_3repE0EEENS1_30default_config_static_selectorELNS0_4arch9wavefront6targetE1EEEvT1_
                                        ; -- End function
	.section	.AMDGPU.csdata,"",@progbits
; Kernel info:
; codeLenInByte = 0
; NumSgprs: 6
; NumVgprs: 0
; NumAgprs: 0
; TotalNumVgprs: 0
; ScratchSize: 0
; MemoryBound: 0
; FloatMode: 240
; IeeeMode: 1
; LDSByteSize: 0 bytes/workgroup (compile time only)
; SGPRBlocks: 0
; VGPRBlocks: 0
; NumSGPRsForWavesPerEU: 6
; NumVGPRsForWavesPerEU: 1
; AccumOffset: 4
; Occupancy: 8
; WaveLimiterHint : 0
; COMPUTE_PGM_RSRC2:SCRATCH_EN: 0
; COMPUTE_PGM_RSRC2:USER_SGPR: 2
; COMPUTE_PGM_RSRC2:TRAP_HANDLER: 0
; COMPUTE_PGM_RSRC2:TGID_X_EN: 1
; COMPUTE_PGM_RSRC2:TGID_Y_EN: 0
; COMPUTE_PGM_RSRC2:TGID_Z_EN: 0
; COMPUTE_PGM_RSRC2:TIDIG_COMP_CNT: 0
; COMPUTE_PGM_RSRC3_GFX90A:ACCUM_OFFSET: 0
; COMPUTE_PGM_RSRC3_GFX90A:TG_SPLIT: 0
	.section	.text._ZN7rocprim17ROCPRIM_400000_NS6detail17trampoline_kernelINS0_14default_configENS1_27scan_by_key_config_selectorIiyEEZZNS1_16scan_by_key_implILNS1_25lookback_scan_determinismE0ELb1ES3_N6thrust23THRUST_200600_302600_NS6detail15normal_iteratorINS9_10device_ptrIiEEEENSB_INSC_IyEEEESG_yNS9_4plusIvEENS9_8equal_toIvEEyEE10hipError_tPvRmT2_T3_T4_T5_mT6_T7_P12ihipStream_tbENKUlT_T0_E_clISt17integral_constantIbLb1EES10_IbLb0EEEEDaSW_SX_EUlSW_E_NS1_11comp_targetILNS1_3genE10ELNS1_11target_archE1201ELNS1_3gpuE5ELNS1_3repE0EEENS1_30default_config_static_selectorELNS0_4arch9wavefront6targetE1EEEvT1_,"axG",@progbits,_ZN7rocprim17ROCPRIM_400000_NS6detail17trampoline_kernelINS0_14default_configENS1_27scan_by_key_config_selectorIiyEEZZNS1_16scan_by_key_implILNS1_25lookback_scan_determinismE0ELb1ES3_N6thrust23THRUST_200600_302600_NS6detail15normal_iteratorINS9_10device_ptrIiEEEENSB_INSC_IyEEEESG_yNS9_4plusIvEENS9_8equal_toIvEEyEE10hipError_tPvRmT2_T3_T4_T5_mT6_T7_P12ihipStream_tbENKUlT_T0_E_clISt17integral_constantIbLb1EES10_IbLb0EEEEDaSW_SX_EUlSW_E_NS1_11comp_targetILNS1_3genE10ELNS1_11target_archE1201ELNS1_3gpuE5ELNS1_3repE0EEENS1_30default_config_static_selectorELNS0_4arch9wavefront6targetE1EEEvT1_,comdat
	.protected	_ZN7rocprim17ROCPRIM_400000_NS6detail17trampoline_kernelINS0_14default_configENS1_27scan_by_key_config_selectorIiyEEZZNS1_16scan_by_key_implILNS1_25lookback_scan_determinismE0ELb1ES3_N6thrust23THRUST_200600_302600_NS6detail15normal_iteratorINS9_10device_ptrIiEEEENSB_INSC_IyEEEESG_yNS9_4plusIvEENS9_8equal_toIvEEyEE10hipError_tPvRmT2_T3_T4_T5_mT6_T7_P12ihipStream_tbENKUlT_T0_E_clISt17integral_constantIbLb1EES10_IbLb0EEEEDaSW_SX_EUlSW_E_NS1_11comp_targetILNS1_3genE10ELNS1_11target_archE1201ELNS1_3gpuE5ELNS1_3repE0EEENS1_30default_config_static_selectorELNS0_4arch9wavefront6targetE1EEEvT1_ ; -- Begin function _ZN7rocprim17ROCPRIM_400000_NS6detail17trampoline_kernelINS0_14default_configENS1_27scan_by_key_config_selectorIiyEEZZNS1_16scan_by_key_implILNS1_25lookback_scan_determinismE0ELb1ES3_N6thrust23THRUST_200600_302600_NS6detail15normal_iteratorINS9_10device_ptrIiEEEENSB_INSC_IyEEEESG_yNS9_4plusIvEENS9_8equal_toIvEEyEE10hipError_tPvRmT2_T3_T4_T5_mT6_T7_P12ihipStream_tbENKUlT_T0_E_clISt17integral_constantIbLb1EES10_IbLb0EEEEDaSW_SX_EUlSW_E_NS1_11comp_targetILNS1_3genE10ELNS1_11target_archE1201ELNS1_3gpuE5ELNS1_3repE0EEENS1_30default_config_static_selectorELNS0_4arch9wavefront6targetE1EEEvT1_
	.globl	_ZN7rocprim17ROCPRIM_400000_NS6detail17trampoline_kernelINS0_14default_configENS1_27scan_by_key_config_selectorIiyEEZZNS1_16scan_by_key_implILNS1_25lookback_scan_determinismE0ELb1ES3_N6thrust23THRUST_200600_302600_NS6detail15normal_iteratorINS9_10device_ptrIiEEEENSB_INSC_IyEEEESG_yNS9_4plusIvEENS9_8equal_toIvEEyEE10hipError_tPvRmT2_T3_T4_T5_mT6_T7_P12ihipStream_tbENKUlT_T0_E_clISt17integral_constantIbLb1EES10_IbLb0EEEEDaSW_SX_EUlSW_E_NS1_11comp_targetILNS1_3genE10ELNS1_11target_archE1201ELNS1_3gpuE5ELNS1_3repE0EEENS1_30default_config_static_selectorELNS0_4arch9wavefront6targetE1EEEvT1_
	.p2align	8
	.type	_ZN7rocprim17ROCPRIM_400000_NS6detail17trampoline_kernelINS0_14default_configENS1_27scan_by_key_config_selectorIiyEEZZNS1_16scan_by_key_implILNS1_25lookback_scan_determinismE0ELb1ES3_N6thrust23THRUST_200600_302600_NS6detail15normal_iteratorINS9_10device_ptrIiEEEENSB_INSC_IyEEEESG_yNS9_4plusIvEENS9_8equal_toIvEEyEE10hipError_tPvRmT2_T3_T4_T5_mT6_T7_P12ihipStream_tbENKUlT_T0_E_clISt17integral_constantIbLb1EES10_IbLb0EEEEDaSW_SX_EUlSW_E_NS1_11comp_targetILNS1_3genE10ELNS1_11target_archE1201ELNS1_3gpuE5ELNS1_3repE0EEENS1_30default_config_static_selectorELNS0_4arch9wavefront6targetE1EEEvT1_,@function
_ZN7rocprim17ROCPRIM_400000_NS6detail17trampoline_kernelINS0_14default_configENS1_27scan_by_key_config_selectorIiyEEZZNS1_16scan_by_key_implILNS1_25lookback_scan_determinismE0ELb1ES3_N6thrust23THRUST_200600_302600_NS6detail15normal_iteratorINS9_10device_ptrIiEEEENSB_INSC_IyEEEESG_yNS9_4plusIvEENS9_8equal_toIvEEyEE10hipError_tPvRmT2_T3_T4_T5_mT6_T7_P12ihipStream_tbENKUlT_T0_E_clISt17integral_constantIbLb1EES10_IbLb0EEEEDaSW_SX_EUlSW_E_NS1_11comp_targetILNS1_3genE10ELNS1_11target_archE1201ELNS1_3gpuE5ELNS1_3repE0EEENS1_30default_config_static_selectorELNS0_4arch9wavefront6targetE1EEEvT1_: ; @_ZN7rocprim17ROCPRIM_400000_NS6detail17trampoline_kernelINS0_14default_configENS1_27scan_by_key_config_selectorIiyEEZZNS1_16scan_by_key_implILNS1_25lookback_scan_determinismE0ELb1ES3_N6thrust23THRUST_200600_302600_NS6detail15normal_iteratorINS9_10device_ptrIiEEEENSB_INSC_IyEEEESG_yNS9_4plusIvEENS9_8equal_toIvEEyEE10hipError_tPvRmT2_T3_T4_T5_mT6_T7_P12ihipStream_tbENKUlT_T0_E_clISt17integral_constantIbLb1EES10_IbLb0EEEEDaSW_SX_EUlSW_E_NS1_11comp_targetILNS1_3genE10ELNS1_11target_archE1201ELNS1_3gpuE5ELNS1_3repE0EEENS1_30default_config_static_selectorELNS0_4arch9wavefront6targetE1EEEvT1_
; %bb.0:
	.section	.rodata,"a",@progbits
	.p2align	6, 0x0
	.amdhsa_kernel _ZN7rocprim17ROCPRIM_400000_NS6detail17trampoline_kernelINS0_14default_configENS1_27scan_by_key_config_selectorIiyEEZZNS1_16scan_by_key_implILNS1_25lookback_scan_determinismE0ELb1ES3_N6thrust23THRUST_200600_302600_NS6detail15normal_iteratorINS9_10device_ptrIiEEEENSB_INSC_IyEEEESG_yNS9_4plusIvEENS9_8equal_toIvEEyEE10hipError_tPvRmT2_T3_T4_T5_mT6_T7_P12ihipStream_tbENKUlT_T0_E_clISt17integral_constantIbLb1EES10_IbLb0EEEEDaSW_SX_EUlSW_E_NS1_11comp_targetILNS1_3genE10ELNS1_11target_archE1201ELNS1_3gpuE5ELNS1_3repE0EEENS1_30default_config_static_selectorELNS0_4arch9wavefront6targetE1EEEvT1_
		.amdhsa_group_segment_fixed_size 0
		.amdhsa_private_segment_fixed_size 0
		.amdhsa_kernarg_size 136
		.amdhsa_user_sgpr_count 2
		.amdhsa_user_sgpr_dispatch_ptr 0
		.amdhsa_user_sgpr_queue_ptr 0
		.amdhsa_user_sgpr_kernarg_segment_ptr 1
		.amdhsa_user_sgpr_dispatch_id 0
		.amdhsa_user_sgpr_kernarg_preload_length 0
		.amdhsa_user_sgpr_kernarg_preload_offset 0
		.amdhsa_user_sgpr_private_segment_size 0
		.amdhsa_uses_dynamic_stack 0
		.amdhsa_enable_private_segment 0
		.amdhsa_system_sgpr_workgroup_id_x 1
		.amdhsa_system_sgpr_workgroup_id_y 0
		.amdhsa_system_sgpr_workgroup_id_z 0
		.amdhsa_system_sgpr_workgroup_info 0
		.amdhsa_system_vgpr_workitem_id 0
		.amdhsa_next_free_vgpr 1
		.amdhsa_next_free_sgpr 0
		.amdhsa_accum_offset 4
		.amdhsa_reserve_vcc 0
		.amdhsa_float_round_mode_32 0
		.amdhsa_float_round_mode_16_64 0
		.amdhsa_float_denorm_mode_32 3
		.amdhsa_float_denorm_mode_16_64 3
		.amdhsa_dx10_clamp 1
		.amdhsa_ieee_mode 1
		.amdhsa_fp16_overflow 0
		.amdhsa_tg_split 0
		.amdhsa_exception_fp_ieee_invalid_op 0
		.amdhsa_exception_fp_denorm_src 0
		.amdhsa_exception_fp_ieee_div_zero 0
		.amdhsa_exception_fp_ieee_overflow 0
		.amdhsa_exception_fp_ieee_underflow 0
		.amdhsa_exception_fp_ieee_inexact 0
		.amdhsa_exception_int_div_zero 0
	.end_amdhsa_kernel
	.section	.text._ZN7rocprim17ROCPRIM_400000_NS6detail17trampoline_kernelINS0_14default_configENS1_27scan_by_key_config_selectorIiyEEZZNS1_16scan_by_key_implILNS1_25lookback_scan_determinismE0ELb1ES3_N6thrust23THRUST_200600_302600_NS6detail15normal_iteratorINS9_10device_ptrIiEEEENSB_INSC_IyEEEESG_yNS9_4plusIvEENS9_8equal_toIvEEyEE10hipError_tPvRmT2_T3_T4_T5_mT6_T7_P12ihipStream_tbENKUlT_T0_E_clISt17integral_constantIbLb1EES10_IbLb0EEEEDaSW_SX_EUlSW_E_NS1_11comp_targetILNS1_3genE10ELNS1_11target_archE1201ELNS1_3gpuE5ELNS1_3repE0EEENS1_30default_config_static_selectorELNS0_4arch9wavefront6targetE1EEEvT1_,"axG",@progbits,_ZN7rocprim17ROCPRIM_400000_NS6detail17trampoline_kernelINS0_14default_configENS1_27scan_by_key_config_selectorIiyEEZZNS1_16scan_by_key_implILNS1_25lookback_scan_determinismE0ELb1ES3_N6thrust23THRUST_200600_302600_NS6detail15normal_iteratorINS9_10device_ptrIiEEEENSB_INSC_IyEEEESG_yNS9_4plusIvEENS9_8equal_toIvEEyEE10hipError_tPvRmT2_T3_T4_T5_mT6_T7_P12ihipStream_tbENKUlT_T0_E_clISt17integral_constantIbLb1EES10_IbLb0EEEEDaSW_SX_EUlSW_E_NS1_11comp_targetILNS1_3genE10ELNS1_11target_archE1201ELNS1_3gpuE5ELNS1_3repE0EEENS1_30default_config_static_selectorELNS0_4arch9wavefront6targetE1EEEvT1_,comdat
.Lfunc_end1482:
	.size	_ZN7rocprim17ROCPRIM_400000_NS6detail17trampoline_kernelINS0_14default_configENS1_27scan_by_key_config_selectorIiyEEZZNS1_16scan_by_key_implILNS1_25lookback_scan_determinismE0ELb1ES3_N6thrust23THRUST_200600_302600_NS6detail15normal_iteratorINS9_10device_ptrIiEEEENSB_INSC_IyEEEESG_yNS9_4plusIvEENS9_8equal_toIvEEyEE10hipError_tPvRmT2_T3_T4_T5_mT6_T7_P12ihipStream_tbENKUlT_T0_E_clISt17integral_constantIbLb1EES10_IbLb0EEEEDaSW_SX_EUlSW_E_NS1_11comp_targetILNS1_3genE10ELNS1_11target_archE1201ELNS1_3gpuE5ELNS1_3repE0EEENS1_30default_config_static_selectorELNS0_4arch9wavefront6targetE1EEEvT1_, .Lfunc_end1482-_ZN7rocprim17ROCPRIM_400000_NS6detail17trampoline_kernelINS0_14default_configENS1_27scan_by_key_config_selectorIiyEEZZNS1_16scan_by_key_implILNS1_25lookback_scan_determinismE0ELb1ES3_N6thrust23THRUST_200600_302600_NS6detail15normal_iteratorINS9_10device_ptrIiEEEENSB_INSC_IyEEEESG_yNS9_4plusIvEENS9_8equal_toIvEEyEE10hipError_tPvRmT2_T3_T4_T5_mT6_T7_P12ihipStream_tbENKUlT_T0_E_clISt17integral_constantIbLb1EES10_IbLb0EEEEDaSW_SX_EUlSW_E_NS1_11comp_targetILNS1_3genE10ELNS1_11target_archE1201ELNS1_3gpuE5ELNS1_3repE0EEENS1_30default_config_static_selectorELNS0_4arch9wavefront6targetE1EEEvT1_
                                        ; -- End function
	.section	.AMDGPU.csdata,"",@progbits
; Kernel info:
; codeLenInByte = 0
; NumSgprs: 6
; NumVgprs: 0
; NumAgprs: 0
; TotalNumVgprs: 0
; ScratchSize: 0
; MemoryBound: 0
; FloatMode: 240
; IeeeMode: 1
; LDSByteSize: 0 bytes/workgroup (compile time only)
; SGPRBlocks: 0
; VGPRBlocks: 0
; NumSGPRsForWavesPerEU: 6
; NumVGPRsForWavesPerEU: 1
; AccumOffset: 4
; Occupancy: 8
; WaveLimiterHint : 0
; COMPUTE_PGM_RSRC2:SCRATCH_EN: 0
; COMPUTE_PGM_RSRC2:USER_SGPR: 2
; COMPUTE_PGM_RSRC2:TRAP_HANDLER: 0
; COMPUTE_PGM_RSRC2:TGID_X_EN: 1
; COMPUTE_PGM_RSRC2:TGID_Y_EN: 0
; COMPUTE_PGM_RSRC2:TGID_Z_EN: 0
; COMPUTE_PGM_RSRC2:TIDIG_COMP_CNT: 0
; COMPUTE_PGM_RSRC3_GFX90A:ACCUM_OFFSET: 0
; COMPUTE_PGM_RSRC3_GFX90A:TG_SPLIT: 0
	.section	.text._ZN7rocprim17ROCPRIM_400000_NS6detail17trampoline_kernelINS0_14default_configENS1_27scan_by_key_config_selectorIiyEEZZNS1_16scan_by_key_implILNS1_25lookback_scan_determinismE0ELb1ES3_N6thrust23THRUST_200600_302600_NS6detail15normal_iteratorINS9_10device_ptrIiEEEENSB_INSC_IyEEEESG_yNS9_4plusIvEENS9_8equal_toIvEEyEE10hipError_tPvRmT2_T3_T4_T5_mT6_T7_P12ihipStream_tbENKUlT_T0_E_clISt17integral_constantIbLb1EES10_IbLb0EEEEDaSW_SX_EUlSW_E_NS1_11comp_targetILNS1_3genE5ELNS1_11target_archE942ELNS1_3gpuE9ELNS1_3repE0EEENS1_30default_config_static_selectorELNS0_4arch9wavefront6targetE1EEEvT1_,"axG",@progbits,_ZN7rocprim17ROCPRIM_400000_NS6detail17trampoline_kernelINS0_14default_configENS1_27scan_by_key_config_selectorIiyEEZZNS1_16scan_by_key_implILNS1_25lookback_scan_determinismE0ELb1ES3_N6thrust23THRUST_200600_302600_NS6detail15normal_iteratorINS9_10device_ptrIiEEEENSB_INSC_IyEEEESG_yNS9_4plusIvEENS9_8equal_toIvEEyEE10hipError_tPvRmT2_T3_T4_T5_mT6_T7_P12ihipStream_tbENKUlT_T0_E_clISt17integral_constantIbLb1EES10_IbLb0EEEEDaSW_SX_EUlSW_E_NS1_11comp_targetILNS1_3genE5ELNS1_11target_archE942ELNS1_3gpuE9ELNS1_3repE0EEENS1_30default_config_static_selectorELNS0_4arch9wavefront6targetE1EEEvT1_,comdat
	.protected	_ZN7rocprim17ROCPRIM_400000_NS6detail17trampoline_kernelINS0_14default_configENS1_27scan_by_key_config_selectorIiyEEZZNS1_16scan_by_key_implILNS1_25lookback_scan_determinismE0ELb1ES3_N6thrust23THRUST_200600_302600_NS6detail15normal_iteratorINS9_10device_ptrIiEEEENSB_INSC_IyEEEESG_yNS9_4plusIvEENS9_8equal_toIvEEyEE10hipError_tPvRmT2_T3_T4_T5_mT6_T7_P12ihipStream_tbENKUlT_T0_E_clISt17integral_constantIbLb1EES10_IbLb0EEEEDaSW_SX_EUlSW_E_NS1_11comp_targetILNS1_3genE5ELNS1_11target_archE942ELNS1_3gpuE9ELNS1_3repE0EEENS1_30default_config_static_selectorELNS0_4arch9wavefront6targetE1EEEvT1_ ; -- Begin function _ZN7rocprim17ROCPRIM_400000_NS6detail17trampoline_kernelINS0_14default_configENS1_27scan_by_key_config_selectorIiyEEZZNS1_16scan_by_key_implILNS1_25lookback_scan_determinismE0ELb1ES3_N6thrust23THRUST_200600_302600_NS6detail15normal_iteratorINS9_10device_ptrIiEEEENSB_INSC_IyEEEESG_yNS9_4plusIvEENS9_8equal_toIvEEyEE10hipError_tPvRmT2_T3_T4_T5_mT6_T7_P12ihipStream_tbENKUlT_T0_E_clISt17integral_constantIbLb1EES10_IbLb0EEEEDaSW_SX_EUlSW_E_NS1_11comp_targetILNS1_3genE5ELNS1_11target_archE942ELNS1_3gpuE9ELNS1_3repE0EEENS1_30default_config_static_selectorELNS0_4arch9wavefront6targetE1EEEvT1_
	.globl	_ZN7rocprim17ROCPRIM_400000_NS6detail17trampoline_kernelINS0_14default_configENS1_27scan_by_key_config_selectorIiyEEZZNS1_16scan_by_key_implILNS1_25lookback_scan_determinismE0ELb1ES3_N6thrust23THRUST_200600_302600_NS6detail15normal_iteratorINS9_10device_ptrIiEEEENSB_INSC_IyEEEESG_yNS9_4plusIvEENS9_8equal_toIvEEyEE10hipError_tPvRmT2_T3_T4_T5_mT6_T7_P12ihipStream_tbENKUlT_T0_E_clISt17integral_constantIbLb1EES10_IbLb0EEEEDaSW_SX_EUlSW_E_NS1_11comp_targetILNS1_3genE5ELNS1_11target_archE942ELNS1_3gpuE9ELNS1_3repE0EEENS1_30default_config_static_selectorELNS0_4arch9wavefront6targetE1EEEvT1_
	.p2align	8
	.type	_ZN7rocprim17ROCPRIM_400000_NS6detail17trampoline_kernelINS0_14default_configENS1_27scan_by_key_config_selectorIiyEEZZNS1_16scan_by_key_implILNS1_25lookback_scan_determinismE0ELb1ES3_N6thrust23THRUST_200600_302600_NS6detail15normal_iteratorINS9_10device_ptrIiEEEENSB_INSC_IyEEEESG_yNS9_4plusIvEENS9_8equal_toIvEEyEE10hipError_tPvRmT2_T3_T4_T5_mT6_T7_P12ihipStream_tbENKUlT_T0_E_clISt17integral_constantIbLb1EES10_IbLb0EEEEDaSW_SX_EUlSW_E_NS1_11comp_targetILNS1_3genE5ELNS1_11target_archE942ELNS1_3gpuE9ELNS1_3repE0EEENS1_30default_config_static_selectorELNS0_4arch9wavefront6targetE1EEEvT1_,@function
_ZN7rocprim17ROCPRIM_400000_NS6detail17trampoline_kernelINS0_14default_configENS1_27scan_by_key_config_selectorIiyEEZZNS1_16scan_by_key_implILNS1_25lookback_scan_determinismE0ELb1ES3_N6thrust23THRUST_200600_302600_NS6detail15normal_iteratorINS9_10device_ptrIiEEEENSB_INSC_IyEEEESG_yNS9_4plusIvEENS9_8equal_toIvEEyEE10hipError_tPvRmT2_T3_T4_T5_mT6_T7_P12ihipStream_tbENKUlT_T0_E_clISt17integral_constantIbLb1EES10_IbLb0EEEEDaSW_SX_EUlSW_E_NS1_11comp_targetILNS1_3genE5ELNS1_11target_archE942ELNS1_3gpuE9ELNS1_3repE0EEENS1_30default_config_static_selectorELNS0_4arch9wavefront6targetE1EEEvT1_: ; @_ZN7rocprim17ROCPRIM_400000_NS6detail17trampoline_kernelINS0_14default_configENS1_27scan_by_key_config_selectorIiyEEZZNS1_16scan_by_key_implILNS1_25lookback_scan_determinismE0ELb1ES3_N6thrust23THRUST_200600_302600_NS6detail15normal_iteratorINS9_10device_ptrIiEEEENSB_INSC_IyEEEESG_yNS9_4plusIvEENS9_8equal_toIvEEyEE10hipError_tPvRmT2_T3_T4_T5_mT6_T7_P12ihipStream_tbENKUlT_T0_E_clISt17integral_constantIbLb1EES10_IbLb0EEEEDaSW_SX_EUlSW_E_NS1_11comp_targetILNS1_3genE5ELNS1_11target_archE942ELNS1_3gpuE9ELNS1_3repE0EEENS1_30default_config_static_selectorELNS0_4arch9wavefront6targetE1EEEvT1_
; %bb.0:
	s_load_dwordx8 s[56:63], s[0:1], 0x0
	s_load_dwordx2 s[68:69], s[0:1], 0x20
	s_load_dwordx8 s[48:55], s[0:1], 0x30
	s_load_dwordx2 s[70:71], s[0:1], 0x50
	s_load_dword s3, s[0:1], 0x58
	s_load_dwordx4 s[64:67], s[0:1], 0x60
	s_waitcnt lgkmcnt(0)
	s_lshl_b64 s[0:1], s[58:59], 2
	s_add_u32 s6, s56, s0
	s_addc_u32 s7, s57, s1
	s_lshl_b64 s[56:57], s[58:59], 3
	s_add_u32 s8, s60, s56
	s_mul_i32 s0, s71, s3
	s_mul_hi_u32 s1, s70, s3
	s_addc_u32 s9, s61, s57
	s_add_i32 s10, s1, s0
	s_mul_i32 s0, s2, 0x1500
	s_mov_b32 s1, 0
	s_lshl_b64 s[4:5], s[0:1], 2
	s_add_u32 s72, s6, s4
	s_addc_u32 s73, s7, s5
	s_lshl_b64 s[58:59], s[0:1], 3
	s_add_u32 s60, s8, s58
	s_mul_i32 s3, s70, s3
	s_addc_u32 s61, s9, s59
	s_add_u32 s0, s3, s2
	s_addc_u32 s1, s10, 0
	s_add_u32 s6, s64, -1
	s_addc_u32 s7, s65, -1
	v_mov_b64_e32 v[2:3], s[6:7]
	v_cmp_ge_u64_e64 s[0:1], s[0:1], v[2:3]
	s_mov_b64 s[4:5], -1
	s_and_b64 vcc, exec, s[0:1]
	s_mul_i32 s33, s6, 0xffffeb00
	s_barrier
	s_cbranch_vccz .LBB1483_65
; %bb.1:
	v_mov_b64_e32 v[2:3], s[72:73]
	flat_load_dword v2, v[2:3]
	s_add_i32 s55, s33, s54
	v_cmp_gt_u32_e32 vcc, s55, v0
	s_waitcnt vmcnt(0) lgkmcnt(0)
	v_mov_b32_e32 v4, v2
	s_and_saveexec_b64 s[4:5], vcc
	s_cbranch_execz .LBB1483_3
; %bb.2:
	v_lshlrev_b32_e32 v4, 2, v0
	v_mov_b32_e32 v5, 0
	v_lshl_add_u64 v[4:5], s[72:73], 0, v[4:5]
	flat_load_dword v4, v[4:5]
.LBB1483_3:
	s_or_b64 exec, exec, s[4:5]
	v_or_b32_e32 v1, 0x100, v0
	v_cmp_gt_u32_e64 s[44:45], s55, v1
	v_mov_b32_e32 v5, v2
	s_and_saveexec_b64 s[4:5], s[44:45]
	s_cbranch_execz .LBB1483_5
; %bb.4:
	v_lshlrev_b32_e32 v6, 2, v0
	v_mov_b32_e32 v7, 0
	v_lshl_add_u64 v[6:7], s[72:73], 0, v[6:7]
	flat_load_dword v5, v[6:7] offset:1024
.LBB1483_5:
	s_or_b64 exec, exec, s[4:5]
	v_or_b32_e32 v1, 0x200, v0
	v_cmp_gt_u32_e64 s[4:5], s55, v1
	v_mov_b32_e32 v6, v2
	s_and_saveexec_b64 s[6:7], s[4:5]
	s_cbranch_execz .LBB1483_7
; %bb.6:
	v_lshlrev_b32_e32 v6, 2, v0
	v_mov_b32_e32 v7, 0
	v_lshl_add_u64 v[6:7], s[72:73], 0, v[6:7]
	flat_load_dword v6, v[6:7] offset:2048
.LBB1483_7:
	;; [unrolled: 12-line block ×3, first 2 shown]
	s_or_b64 exec, exec, s[8:9]
	v_or_b32_e32 v32, 0x400, v0
	v_cmp_gt_u32_e64 s[8:9], s55, v32
	v_mov_b32_e32 v8, v2
	s_and_saveexec_b64 s[10:11], s[8:9]
	s_cbranch_execz .LBB1483_11
; %bb.10:
	v_lshlrev_b32_e32 v8, 2, v32
	v_mov_b32_e32 v9, 0
	v_lshl_add_u64 v[8:9], s[72:73], 0, v[8:9]
	flat_load_dword v8, v[8:9]
.LBB1483_11:
	s_or_b64 exec, exec, s[10:11]
	v_or_b32_e32 v34, 0x500, v0
	v_cmp_gt_u32_e64 s[10:11], s55, v34
	v_mov_b32_e32 v9, v2
	s_and_saveexec_b64 s[12:13], s[10:11]
	s_cbranch_execz .LBB1483_13
; %bb.12:
	v_lshlrev_b32_e32 v10, 2, v34
	v_mov_b32_e32 v11, 0
	v_lshl_add_u64 v[10:11], s[72:73], 0, v[10:11]
	flat_load_dword v9, v[10:11]
.LBB1483_13:
	;; [unrolled: 12-line block ×16, first 2 shown]
	s_or_b64 exec, exec, s[42:43]
	v_or_b32_e32 v64, 0x1400, v0
	v_cmp_gt_u32_e64 s[42:43], s55, v64
	v_mov_b32_e32 v3, 0
	s_and_saveexec_b64 s[46:47], s[42:43]
	s_cbranch_execz .LBB1483_43
; %bb.42:
	v_lshlrev_b32_e32 v2, 2, v64
	v_lshl_add_u64 v[2:3], s[72:73], 0, v[2:3]
	flat_load_dword v2, v[2:3]
.LBB1483_43:
	s_or_b64 exec, exec, s[46:47]
	v_lshlrev_b32_e32 v3, 2, v0
	s_waitcnt vmcnt(0) lgkmcnt(0)
	ds_write2st64_b32 v3, v4, v5 offset1:4
	ds_write2st64_b32 v3, v6, v7 offset0:8 offset1:12
	ds_write2st64_b32 v3, v8, v9 offset0:16 offset1:20
	;; [unrolled: 1-line block ×9, first 2 shown]
	ds_write_b32 v3, v2 offset:20480
	v_mov_b64_e32 v[4:5], s[72:73]
	s_waitcnt lgkmcnt(0)
	s_barrier
	flat_load_dword v80, v[4:5]
	s_movk_i32 s3, 0x50
	v_mad_u32_u24 v2, v0, s3, v3
	s_movk_i32 s3, 0xffb0
	v_mad_i32_i24 v65, v0, s3, v2
	s_movk_i32 s3, 0xff
	v_cmp_ne_u32_e64 s[46:47], s3, v0
	ds_read_b32 v82, v2
	ds_read2_b32 v[24:25], v2 offset0:1 offset1:2
	ds_read2_b32 v[22:23], v2 offset0:3 offset1:4
	;; [unrolled: 1-line block ×10, first 2 shown]
	s_waitcnt lgkmcnt(0)
	ds_write_b32 v65, v82 offset:22528
	s_waitcnt lgkmcnt(0)
	s_barrier
	s_and_saveexec_b64 s[64:65], s[46:47]
	s_cbranch_execz .LBB1483_45
; %bb.44:
	s_waitcnt vmcnt(0)
	ds_read_b32 v80, v3 offset:22532
.LBB1483_45:
	s_or_b64 exec, exec, s[64:65]
	v_mov_b32_e32 v5, 0
	s_waitcnt lgkmcnt(0)
	s_barrier
	s_waitcnt lgkmcnt(0)
                                        ; implicit-def: $vgpr2_vgpr3
	s_and_saveexec_b64 s[46:47], vcc
	s_cbranch_execz .LBB1483_66
; %bb.46:
	v_lshlrev_b32_e32 v4, 3, v0
	v_lshl_add_u64 v[2:3], s[60:61], 0, v[4:5]
	flat_load_dwordx2 v[2:3], v[2:3]
	s_or_b64 exec, exec, s[46:47]
                                        ; implicit-def: $vgpr4_vgpr5
	s_and_saveexec_b64 s[46:47], s[44:45]
	s_cbranch_execnz .LBB1483_67
.LBB1483_47:
	s_or_b64 exec, exec, s[46:47]
                                        ; implicit-def: $vgpr26_vgpr27
	s_and_saveexec_b64 s[44:45], s[4:5]
	s_cbranch_execz .LBB1483_68
.LBB1483_48:
	v_lshlrev_b32_e32 v26, 3, v1
	v_mov_b32_e32 v27, 0
	v_lshl_add_u64 v[26:27], s[60:61], 0, v[26:27]
	flat_load_dwordx2 v[26:27], v[26:27]
	s_or_b64 exec, exec, s[44:45]
                                        ; implicit-def: $vgpr28_vgpr29
	s_and_saveexec_b64 s[4:5], s[6:7]
	s_cbranch_execnz .LBB1483_69
.LBB1483_49:
	s_or_b64 exec, exec, s[4:5]
                                        ; implicit-def: $vgpr30_vgpr31
	s_and_saveexec_b64 s[4:5], s[8:9]
	s_cbranch_execz .LBB1483_70
.LBB1483_50:
	v_lshlrev_b32_e32 v30, 3, v32
	v_mov_b32_e32 v31, 0
	v_lshl_add_u64 v[30:31], s[60:61], 0, v[30:31]
	flat_load_dwordx2 v[30:31], v[30:31]
	s_or_b64 exec, exec, s[4:5]
                                        ; implicit-def: $vgpr32_vgpr33
	s_and_saveexec_b64 s[4:5], s[10:11]
	s_cbranch_execnz .LBB1483_71
.LBB1483_51:
	s_or_b64 exec, exec, s[4:5]
                                        ; implicit-def: $vgpr34_vgpr35
	s_and_saveexec_b64 s[4:5], s[12:13]
	s_cbranch_execz .LBB1483_72
.LBB1483_52:
	v_lshlrev_b32_e32 v34, 3, v36
	v_mov_b32_e32 v35, 0
	v_lshl_add_u64 v[34:35], s[60:61], 0, v[34:35]
	flat_load_dwordx2 v[34:35], v[34:35]
	s_or_b64 exec, exec, s[4:5]
                                        ; implicit-def: $vgpr36_vgpr37
	s_and_saveexec_b64 s[4:5], s[14:15]
	s_cbranch_execnz .LBB1483_73
.LBB1483_53:
	s_or_b64 exec, exec, s[4:5]
                                        ; implicit-def: $vgpr38_vgpr39
	s_and_saveexec_b64 s[4:5], s[16:17]
	s_cbranch_execz .LBB1483_74
.LBB1483_54:
	v_lshlrev_b32_e32 v38, 3, v40
	v_mov_b32_e32 v39, 0
	v_lshl_add_u64 v[38:39], s[60:61], 0, v[38:39]
	flat_load_dwordx2 v[38:39], v[38:39]
	s_or_b64 exec, exec, s[4:5]
                                        ; implicit-def: $vgpr40_vgpr41
	s_and_saveexec_b64 s[4:5], s[18:19]
	s_cbranch_execnz .LBB1483_75
.LBB1483_55:
	s_or_b64 exec, exec, s[4:5]
                                        ; implicit-def: $vgpr42_vgpr43
	s_and_saveexec_b64 s[4:5], s[20:21]
	s_cbranch_execz .LBB1483_76
.LBB1483_56:
	v_lshlrev_b32_e32 v42, 3, v44
	v_mov_b32_e32 v43, 0
	v_lshl_add_u64 v[42:43], s[60:61], 0, v[42:43]
	flat_load_dwordx2 v[42:43], v[42:43]
	s_or_b64 exec, exec, s[4:5]
                                        ; implicit-def: $vgpr44_vgpr45
	s_and_saveexec_b64 s[4:5], s[22:23]
	s_cbranch_execnz .LBB1483_77
.LBB1483_57:
	s_or_b64 exec, exec, s[4:5]
                                        ; implicit-def: $vgpr46_vgpr47
	s_and_saveexec_b64 s[4:5], s[24:25]
	s_cbranch_execz .LBB1483_78
.LBB1483_58:
	v_lshlrev_b32_e32 v46, 3, v48
	v_mov_b32_e32 v47, 0
	v_lshl_add_u64 v[46:47], s[60:61], 0, v[46:47]
	flat_load_dwordx2 v[46:47], v[46:47]
	s_or_b64 exec, exec, s[4:5]
                                        ; implicit-def: $vgpr48_vgpr49
	s_and_saveexec_b64 s[4:5], s[26:27]
	s_cbranch_execnz .LBB1483_79
.LBB1483_59:
	s_or_b64 exec, exec, s[4:5]
                                        ; implicit-def: $vgpr50_vgpr51
	s_and_saveexec_b64 s[4:5], s[28:29]
	s_cbranch_execz .LBB1483_80
.LBB1483_60:
	v_lshlrev_b32_e32 v50, 3, v52
	v_mov_b32_e32 v51, 0
	v_lshl_add_u64 v[50:51], s[60:61], 0, v[50:51]
	flat_load_dwordx2 v[50:51], v[50:51]
	s_or_b64 exec, exec, s[4:5]
                                        ; implicit-def: $vgpr52_vgpr53
	s_and_saveexec_b64 s[4:5], s[30:31]
	s_cbranch_execnz .LBB1483_81
.LBB1483_61:
	s_or_b64 exec, exec, s[4:5]
                                        ; implicit-def: $vgpr54_vgpr55
	s_and_saveexec_b64 s[4:5], s[34:35]
	s_cbranch_execz .LBB1483_82
.LBB1483_62:
	v_lshlrev_b32_e32 v54, 3, v56
	v_mov_b32_e32 v55, 0
	v_lshl_add_u64 v[54:55], s[60:61], 0, v[54:55]
	flat_load_dwordx2 v[54:55], v[54:55]
	s_or_b64 exec, exec, s[4:5]
                                        ; implicit-def: $vgpr56_vgpr57
	s_and_saveexec_b64 s[4:5], s[36:37]
	s_cbranch_execnz .LBB1483_83
.LBB1483_63:
	s_or_b64 exec, exec, s[4:5]
                                        ; implicit-def: $vgpr58_vgpr59
	s_and_saveexec_b64 s[4:5], s[38:39]
	s_cbranch_execz .LBB1483_84
.LBB1483_64:
	v_lshlrev_b32_e32 v58, 3, v60
	v_mov_b32_e32 v59, 0
	v_lshl_add_u64 v[58:59], s[60:61], 0, v[58:59]
	flat_load_dwordx2 v[58:59], v[58:59]
	s_or_b64 exec, exec, s[4:5]
                                        ; implicit-def: $vgpr60_vgpr61
	s_and_saveexec_b64 s[4:5], s[40:41]
	s_cbranch_execz .LBB1483_86
	s_branch .LBB1483_85
.LBB1483_65:
	s_mov_b64 s[10:11], 0
                                        ; implicit-def: $sgpr8_sgpr9
                                        ; implicit-def: $vgpr2_vgpr3
                                        ; implicit-def: $vgpr42_vgpr43
                                        ; implicit-def: $vgpr106
                                        ; implicit-def: $vgpr40_vgpr41
                                        ; implicit-def: $vgpr122
                                        ; implicit-def: $vgpr78_vgpr79
                                        ; implicit-def: $vgpr121
                                        ; implicit-def: $vgpr76_vgpr77
                                        ; implicit-def: $vgpr120
                                        ; implicit-def: $vgpr74_vgpr75
                                        ; implicit-def: $vgpr119
                                        ; implicit-def: $vgpr72_vgpr73
                                        ; implicit-def: $vgpr118
                                        ; implicit-def: $vgpr70_vgpr71
                                        ; implicit-def: $vgpr117
                                        ; implicit-def: $vgpr68_vgpr69
                                        ; implicit-def: $vgpr116
                                        ; implicit-def: $vgpr66_vgpr67
                                        ; implicit-def: $vgpr115
                                        ; implicit-def: $vgpr64_vgpr65
                                        ; implicit-def: $vgpr114
                                        ; implicit-def: $vgpr62_vgpr63
                                        ; implicit-def: $vgpr113
                                        ; implicit-def: $vgpr60_vgpr61
                                        ; implicit-def: $vgpr112
                                        ; implicit-def: $vgpr58_vgpr59
                                        ; implicit-def: $vgpr111
                                        ; implicit-def: $vgpr56_vgpr57
                                        ; implicit-def: $vgpr110
                                        ; implicit-def: $vgpr54_vgpr55
                                        ; implicit-def: $vgpr109
                                        ; implicit-def: $vgpr52_vgpr53
                                        ; implicit-def: $vgpr108
                                        ; implicit-def: $vgpr50_vgpr51
                                        ; implicit-def: $vgpr107
                                        ; implicit-def: $vgpr48_vgpr49
                                        ; implicit-def: $vgpr105
                                        ; implicit-def: $vgpr46_vgpr47
                                        ; implicit-def: $vgpr104
                                        ; implicit-def: $vgpr44_vgpr45
                                        ; implicit-def: $vgpr1
                                        ; implicit-def: $sgpr3
                                        ; implicit-def: $sgpr6_sgpr7
	s_and_b64 vcc, exec, s[4:5]
	s_cbranch_vccz .LBB1483_136
	s_branch .LBB1483_131
.LBB1483_66:
	s_or_b64 exec, exec, s[46:47]
                                        ; implicit-def: $vgpr4_vgpr5
	s_and_saveexec_b64 s[46:47], s[44:45]
	s_cbranch_execz .LBB1483_47
.LBB1483_67:
	v_lshlrev_b32_e32 v4, 3, v0
	v_mov_b32_e32 v5, 0
	v_lshl_add_u64 v[4:5], s[60:61], 0, v[4:5]
	flat_load_dwordx2 v[4:5], v[4:5] offset:2048
	s_or_b64 exec, exec, s[46:47]
                                        ; implicit-def: $vgpr26_vgpr27
	s_and_saveexec_b64 s[44:45], s[4:5]
	s_cbranch_execnz .LBB1483_48
.LBB1483_68:
	s_or_b64 exec, exec, s[44:45]
                                        ; implicit-def: $vgpr28_vgpr29
	s_and_saveexec_b64 s[4:5], s[6:7]
	s_cbranch_execz .LBB1483_49
.LBB1483_69:
	v_lshlrev_b32_e32 v28, 3, v30
	v_mov_b32_e32 v29, 0
	v_lshl_add_u64 v[28:29], s[60:61], 0, v[28:29]
	flat_load_dwordx2 v[28:29], v[28:29]
	s_or_b64 exec, exec, s[4:5]
                                        ; implicit-def: $vgpr30_vgpr31
	s_and_saveexec_b64 s[4:5], s[8:9]
	s_cbranch_execnz .LBB1483_50
.LBB1483_70:
	s_or_b64 exec, exec, s[4:5]
                                        ; implicit-def: $vgpr32_vgpr33
	s_and_saveexec_b64 s[4:5], s[10:11]
	s_cbranch_execz .LBB1483_51
.LBB1483_71:
	v_lshlrev_b32_e32 v32, 3, v34
	v_mov_b32_e32 v33, 0
	v_lshl_add_u64 v[32:33], s[60:61], 0, v[32:33]
	flat_load_dwordx2 v[32:33], v[32:33]
	s_or_b64 exec, exec, s[4:5]
                                        ; implicit-def: $vgpr34_vgpr35
	s_and_saveexec_b64 s[4:5], s[12:13]
	s_cbranch_execnz .LBB1483_52
.LBB1483_72:
	s_or_b64 exec, exec, s[4:5]
                                        ; implicit-def: $vgpr36_vgpr37
	s_and_saveexec_b64 s[4:5], s[14:15]
	s_cbranch_execz .LBB1483_53
.LBB1483_73:
	v_lshlrev_b32_e32 v36, 3, v38
	v_mov_b32_e32 v37, 0
	v_lshl_add_u64 v[36:37], s[60:61], 0, v[36:37]
	flat_load_dwordx2 v[36:37], v[36:37]
	s_or_b64 exec, exec, s[4:5]
                                        ; implicit-def: $vgpr38_vgpr39
	s_and_saveexec_b64 s[4:5], s[16:17]
	s_cbranch_execnz .LBB1483_54
.LBB1483_74:
	s_or_b64 exec, exec, s[4:5]
                                        ; implicit-def: $vgpr40_vgpr41
	s_and_saveexec_b64 s[4:5], s[18:19]
	s_cbranch_execz .LBB1483_55
.LBB1483_75:
	v_lshlrev_b32_e32 v40, 3, v42
	v_mov_b32_e32 v41, 0
	v_lshl_add_u64 v[40:41], s[60:61], 0, v[40:41]
	flat_load_dwordx2 v[40:41], v[40:41]
	s_or_b64 exec, exec, s[4:5]
                                        ; implicit-def: $vgpr42_vgpr43
	s_and_saveexec_b64 s[4:5], s[20:21]
	s_cbranch_execnz .LBB1483_56
.LBB1483_76:
	s_or_b64 exec, exec, s[4:5]
                                        ; implicit-def: $vgpr44_vgpr45
	s_and_saveexec_b64 s[4:5], s[22:23]
	s_cbranch_execz .LBB1483_57
.LBB1483_77:
	v_lshlrev_b32_e32 v44, 3, v46
	v_mov_b32_e32 v45, 0
	v_lshl_add_u64 v[44:45], s[60:61], 0, v[44:45]
	flat_load_dwordx2 v[44:45], v[44:45]
	s_or_b64 exec, exec, s[4:5]
                                        ; implicit-def: $vgpr46_vgpr47
	s_and_saveexec_b64 s[4:5], s[24:25]
	s_cbranch_execnz .LBB1483_58
.LBB1483_78:
	s_or_b64 exec, exec, s[4:5]
                                        ; implicit-def: $vgpr48_vgpr49
	s_and_saveexec_b64 s[4:5], s[26:27]
	s_cbranch_execz .LBB1483_59
.LBB1483_79:
	v_lshlrev_b32_e32 v48, 3, v50
	v_mov_b32_e32 v49, 0
	v_lshl_add_u64 v[48:49], s[60:61], 0, v[48:49]
	flat_load_dwordx2 v[48:49], v[48:49]
	s_or_b64 exec, exec, s[4:5]
                                        ; implicit-def: $vgpr50_vgpr51
	s_and_saveexec_b64 s[4:5], s[28:29]
	s_cbranch_execnz .LBB1483_60
.LBB1483_80:
	s_or_b64 exec, exec, s[4:5]
                                        ; implicit-def: $vgpr52_vgpr53
	s_and_saveexec_b64 s[4:5], s[30:31]
	s_cbranch_execz .LBB1483_61
.LBB1483_81:
	v_lshlrev_b32_e32 v52, 3, v54
	v_mov_b32_e32 v53, 0
	v_lshl_add_u64 v[52:53], s[60:61], 0, v[52:53]
	flat_load_dwordx2 v[52:53], v[52:53]
	s_or_b64 exec, exec, s[4:5]
                                        ; implicit-def: $vgpr54_vgpr55
	s_and_saveexec_b64 s[4:5], s[34:35]
	s_cbranch_execnz .LBB1483_62
.LBB1483_82:
	s_or_b64 exec, exec, s[4:5]
                                        ; implicit-def: $vgpr56_vgpr57
	s_and_saveexec_b64 s[4:5], s[36:37]
	s_cbranch_execz .LBB1483_63
.LBB1483_83:
	v_lshlrev_b32_e32 v56, 3, v58
	v_mov_b32_e32 v57, 0
	v_lshl_add_u64 v[56:57], s[60:61], 0, v[56:57]
	flat_load_dwordx2 v[56:57], v[56:57]
	s_or_b64 exec, exec, s[4:5]
                                        ; implicit-def: $vgpr58_vgpr59
	s_and_saveexec_b64 s[4:5], s[38:39]
	s_cbranch_execnz .LBB1483_64
.LBB1483_84:
	s_or_b64 exec, exec, s[4:5]
                                        ; implicit-def: $vgpr60_vgpr61
	s_and_saveexec_b64 s[4:5], s[40:41]
	s_cbranch_execz .LBB1483_86
.LBB1483_85:
	v_lshlrev_b32_e32 v60, 3, v62
	v_mov_b32_e32 v61, 0
	v_lshl_add_u64 v[60:61], s[60:61], 0, v[60:61]
	flat_load_dwordx2 v[60:61], v[60:61]
.LBB1483_86:
	s_or_b64 exec, exec, s[4:5]
	v_mul_u32_u24_e32 v81, 21, v0
                                        ; implicit-def: $vgpr62_vgpr63
	s_and_saveexec_b64 s[4:5], s[42:43]
	s_cbranch_execz .LBB1483_88
; %bb.87:
	v_lshlrev_b32_e32 v62, 3, v64
	v_mov_b32_e32 v63, 0
	v_lshl_add_u64 v[62:63], s[60:61], 0, v[62:63]
	flat_load_dwordx2 v[62:63], v[62:63]
.LBB1483_88:
	s_or_b64 exec, exec, s[4:5]
	v_lshl_add_u32 v83, v0, 2, v65
	s_waitcnt vmcnt(0) lgkmcnt(0)
	ds_write2st64_b64 v83, v[2:3], v[4:5] offset1:4
	ds_write2st64_b64 v83, v[26:27], v[28:29] offset0:8 offset1:12
	ds_write2st64_b64 v83, v[30:31], v[32:33] offset0:16 offset1:20
	;; [unrolled: 1-line block ×9, first 2 shown]
	ds_write_b64 v83, v[62:63] offset:40960
	v_mov_b64_e32 v[42:43], 0
	v_cmp_gt_u32_e32 vcc, s55, v81
	s_mov_b64 s[10:11], 0
	s_mov_b32 s3, 0
	s_mov_b64 s[4:5], 0
	v_mov_b32_e32 v106, 0
	v_mov_b64_e32 v[40:41], v[42:43]
	v_mov_b32_e32 v122, 0
	v_mov_b64_e32 v[78:79], v[42:43]
	;; [unrolled: 2-line block ×19, first 2 shown]
	v_mov_b32_e32 v1, 0
	s_waitcnt lgkmcnt(0)
	s_barrier
	s_waitcnt lgkmcnt(0)
                                        ; implicit-def: $sgpr8_sgpr9
                                        ; implicit-def: $vgpr2_vgpr3
	s_and_saveexec_b64 s[6:7], vcc
	s_cbranch_execz .LBB1483_130
; %bb.89:
	s_movk_i32 s8, 0xa0
	v_mad_u32_u24 v1, v0, s8, v83
	ds_read_b64 v[2:3], v1
	v_cmp_ne_u32_e32 vcc, v82, v24
	v_mov_b32_e32 v5, s69
	v_add_u32_e32 v4, 1, v81
	v_mov_b64_e32 v[40:41], 0
	s_waitcnt lgkmcnt(0)
	v_cndmask_b32_e32 v43, v3, v5, vcc
	v_mov_b32_e32 v3, s68
	v_cndmask_b32_e64 v1, 0, 1, vcc
	v_cndmask_b32_e32 v42, v2, v3, vcc
	v_cmp_gt_u32_e32 vcc, s55, v4
	s_mov_b64 s[12:13], 0
	v_mov_b32_e32 v106, 0
	v_mov_b32_e32 v122, 0
	v_mov_b64_e32 v[78:79], v[40:41]
	v_mov_b32_e32 v121, 0
	v_mov_b64_e32 v[76:77], v[40:41]
	v_mov_b32_e32 v120, 0
	v_mov_b64_e32 v[74:75], v[40:41]
	v_mov_b32_e32 v119, 0
	v_mov_b64_e32 v[72:73], v[40:41]
	v_mov_b32_e32 v118, 0
	v_mov_b64_e32 v[70:71], v[40:41]
	v_mov_b32_e32 v117, 0
	v_mov_b64_e32 v[68:69], v[40:41]
	v_mov_b32_e32 v116, 0
	v_mov_b64_e32 v[66:67], v[40:41]
	v_mov_b32_e32 v115, 0
	v_mov_b64_e32 v[64:65], v[40:41]
	v_mov_b32_e32 v114, 0
	v_mov_b64_e32 v[62:63], v[40:41]
	v_mov_b32_e32 v113, 0
	v_mov_b64_e32 v[60:61], v[40:41]
	v_mov_b32_e32 v112, 0
	v_mov_b64_e32 v[58:59], v[40:41]
	v_mov_b32_e32 v111, 0
	v_mov_b64_e32 v[56:57], v[40:41]
	v_mov_b32_e32 v110, 0
	v_mov_b64_e32 v[54:55], v[40:41]
	v_mov_b32_e32 v109, 0
	v_mov_b64_e32 v[52:53], v[40:41]
	v_mov_b32_e32 v108, 0
	v_mov_b64_e32 v[50:51], v[40:41]
	v_mov_b32_e32 v107, 0
	v_mov_b64_e32 v[48:49], v[40:41]
	v_mov_b32_e32 v105, 0
	v_mov_b64_e32 v[46:47], v[40:41]
	v_mov_b32_e32 v104, 0
	v_mov_b64_e32 v[44:45], v[40:41]
                                        ; implicit-def: $sgpr14_sgpr15
                                        ; implicit-def: $vgpr2_vgpr3
	s_and_saveexec_b64 s[8:9], vcc
	s_cbranch_execz .LBB1483_129
; %bb.90:
	v_mul_u32_u24_e32 v2, 0xa0, v0
	v_add_u32_e32 v26, v83, v2
	ds_read2_b64 v[2:5], v26 offset0:1 offset1:2
	v_cmp_ne_u32_e32 vcc, v24, v25
	v_mov_b32_e32 v24, s69
	v_add_u32_e32 v27, 2, v81
	v_mov_b64_e32 v[40:41], 0
	s_waitcnt lgkmcnt(0)
	v_cndmask_b32_e32 v45, v3, v24, vcc
	v_mov_b32_e32 v3, s68
	v_cndmask_b32_e64 v104, 0, 1, vcc
	v_cndmask_b32_e32 v44, v2, v3, vcc
	v_cmp_gt_u32_e32 vcc, s55, v27
	s_mov_b64 s[14:15], 0
	v_mov_b32_e32 v106, 0
	v_mov_b32_e32 v122, 0
	v_mov_b64_e32 v[78:79], v[40:41]
	v_mov_b32_e32 v121, 0
	v_mov_b64_e32 v[76:77], v[40:41]
	;; [unrolled: 2-line block ×17, first 2 shown]
                                        ; implicit-def: $sgpr16_sgpr17
                                        ; implicit-def: $vgpr2_vgpr3
	s_and_saveexec_b64 s[10:11], vcc
	s_cbranch_execz .LBB1483_128
; %bb.91:
	v_cmp_ne_u32_e32 vcc, v25, v22
	v_mov_b32_e32 v3, s69
	v_add_u32_e32 v2, 3, v81
	v_cndmask_b32_e32 v47, v5, v3, vcc
	v_mov_b32_e32 v3, s68
	v_mov_b64_e32 v[40:41], 0
	v_cndmask_b32_e64 v105, 0, 1, vcc
	v_cndmask_b32_e32 v46, v4, v3, vcc
	v_cmp_gt_u32_e32 vcc, s55, v2
	s_mov_b64 s[16:17], 0
	v_mov_b32_e32 v106, 0
	v_mov_b32_e32 v122, 0
	v_mov_b64_e32 v[78:79], v[40:41]
	v_mov_b32_e32 v121, 0
	v_mov_b64_e32 v[76:77], v[40:41]
	;; [unrolled: 2-line block ×16, first 2 shown]
                                        ; implicit-def: $sgpr18_sgpr19
                                        ; implicit-def: $vgpr2_vgpr3
	s_and_saveexec_b64 s[12:13], vcc
	s_cbranch_execz .LBB1483_127
; %bb.92:
	ds_read2_b64 v[2:5], v26 offset0:3 offset1:4
	v_cmp_ne_u32_e32 vcc, v22, v23
	v_mov_b32_e32 v22, s69
	v_add_u32_e32 v24, 4, v81
	v_mov_b64_e32 v[40:41], 0
	s_waitcnt lgkmcnt(0)
	v_cndmask_b32_e32 v49, v3, v22, vcc
	v_mov_b32_e32 v3, s68
	v_cndmask_b32_e64 v107, 0, 1, vcc
	v_cndmask_b32_e32 v48, v2, v3, vcc
	v_cmp_gt_u32_e32 vcc, s55, v24
	s_mov_b64 s[18:19], 0
	v_mov_b32_e32 v106, 0
	v_mov_b32_e32 v122, 0
	v_mov_b64_e32 v[78:79], v[40:41]
	v_mov_b32_e32 v121, 0
	v_mov_b64_e32 v[76:77], v[40:41]
	;; [unrolled: 2-line block ×15, first 2 shown]
                                        ; implicit-def: $sgpr20_sgpr21
                                        ; implicit-def: $vgpr2_vgpr3
	s_and_saveexec_b64 s[14:15], vcc
	s_cbranch_execz .LBB1483_126
; %bb.93:
	v_cmp_ne_u32_e32 vcc, v23, v20
	v_mov_b32_e32 v3, s69
	v_add_u32_e32 v2, 5, v81
	v_cndmask_b32_e32 v51, v5, v3, vcc
	v_mov_b32_e32 v3, s68
	v_mov_b64_e32 v[40:41], 0
	v_cndmask_b32_e64 v108, 0, 1, vcc
	v_cndmask_b32_e32 v50, v4, v3, vcc
	v_cmp_gt_u32_e32 vcc, s55, v2
	s_mov_b64 s[20:21], 0
	v_mov_b32_e32 v106, 0
	v_mov_b32_e32 v122, 0
	v_mov_b64_e32 v[78:79], v[40:41]
	v_mov_b32_e32 v121, 0
	v_mov_b64_e32 v[76:77], v[40:41]
	;; [unrolled: 2-line block ×14, first 2 shown]
                                        ; implicit-def: $sgpr22_sgpr23
                                        ; implicit-def: $vgpr2_vgpr3
	s_and_saveexec_b64 s[16:17], vcc
	s_cbranch_execz .LBB1483_125
; %bb.94:
	ds_read2_b64 v[2:5], v26 offset0:5 offset1:6
	v_cmp_ne_u32_e32 vcc, v20, v21
	v_mov_b32_e32 v20, s69
	v_add_u32_e32 v22, 6, v81
	v_mov_b64_e32 v[40:41], 0
	s_waitcnt lgkmcnt(0)
	v_cndmask_b32_e32 v53, v3, v20, vcc
	v_mov_b32_e32 v3, s68
	v_cndmask_b32_e64 v109, 0, 1, vcc
	v_cndmask_b32_e32 v52, v2, v3, vcc
	v_cmp_gt_u32_e32 vcc, s55, v22
	s_mov_b64 s[22:23], 0
	v_mov_b32_e32 v106, 0
	v_mov_b32_e32 v122, 0
	v_mov_b64_e32 v[78:79], v[40:41]
	v_mov_b32_e32 v121, 0
	v_mov_b64_e32 v[76:77], v[40:41]
	;; [unrolled: 2-line block ×13, first 2 shown]
                                        ; implicit-def: $sgpr24_sgpr25
                                        ; implicit-def: $vgpr2_vgpr3
	s_and_saveexec_b64 s[18:19], vcc
	s_cbranch_execz .LBB1483_124
; %bb.95:
	v_cmp_ne_u32_e32 vcc, v21, v18
	v_mov_b32_e32 v3, s69
	v_add_u32_e32 v2, 7, v81
	v_cndmask_b32_e32 v55, v5, v3, vcc
	v_mov_b32_e32 v3, s68
	v_mov_b64_e32 v[40:41], 0
	v_cndmask_b32_e64 v110, 0, 1, vcc
	v_cndmask_b32_e32 v54, v4, v3, vcc
	v_cmp_gt_u32_e32 vcc, s55, v2
	s_mov_b64 s[24:25], 0
	v_mov_b32_e32 v106, 0
	v_mov_b32_e32 v122, 0
	v_mov_b64_e32 v[78:79], v[40:41]
	v_mov_b32_e32 v121, 0
	v_mov_b64_e32 v[76:77], v[40:41]
	;; [unrolled: 2-line block ×12, first 2 shown]
                                        ; implicit-def: $sgpr26_sgpr27
                                        ; implicit-def: $vgpr2_vgpr3
	s_and_saveexec_b64 s[20:21], vcc
	s_cbranch_execz .LBB1483_123
; %bb.96:
	ds_read2_b64 v[2:5], v26 offset0:7 offset1:8
	v_cmp_ne_u32_e32 vcc, v18, v19
	v_mov_b32_e32 v18, s69
	v_add_u32_e32 v20, 8, v81
	v_mov_b64_e32 v[40:41], 0
	s_waitcnt lgkmcnt(0)
	v_cndmask_b32_e32 v57, v3, v18, vcc
	v_mov_b32_e32 v3, s68
	v_cndmask_b32_e64 v111, 0, 1, vcc
	v_cndmask_b32_e32 v56, v2, v3, vcc
	v_cmp_gt_u32_e32 vcc, s55, v20
	s_mov_b64 s[26:27], 0
	v_mov_b32_e32 v106, 0
	v_mov_b32_e32 v122, 0
	v_mov_b64_e32 v[78:79], v[40:41]
	v_mov_b32_e32 v121, 0
	v_mov_b64_e32 v[76:77], v[40:41]
	;; [unrolled: 2-line block ×11, first 2 shown]
                                        ; implicit-def: $sgpr28_sgpr29
                                        ; implicit-def: $vgpr2_vgpr3
	s_and_saveexec_b64 s[22:23], vcc
	s_cbranch_execz .LBB1483_122
; %bb.97:
	v_cmp_ne_u32_e32 vcc, v19, v16
	v_mov_b32_e32 v3, s69
	v_add_u32_e32 v2, 9, v81
	v_cndmask_b32_e32 v59, v5, v3, vcc
	v_mov_b32_e32 v3, s68
	v_mov_b64_e32 v[40:41], 0
	v_cndmask_b32_e64 v112, 0, 1, vcc
	v_cndmask_b32_e32 v58, v4, v3, vcc
	v_cmp_gt_u32_e32 vcc, s55, v2
	s_mov_b64 s[28:29], 0
	v_mov_b32_e32 v106, 0
	v_mov_b32_e32 v122, 0
	v_mov_b64_e32 v[78:79], v[40:41]
	v_mov_b32_e32 v121, 0
	v_mov_b64_e32 v[76:77], v[40:41]
	;; [unrolled: 2-line block ×10, first 2 shown]
                                        ; implicit-def: $sgpr30_sgpr31
                                        ; implicit-def: $vgpr2_vgpr3
	s_and_saveexec_b64 s[24:25], vcc
	s_cbranch_execz .LBB1483_121
; %bb.98:
	ds_read2_b64 v[2:5], v26 offset0:9 offset1:10
	v_cmp_ne_u32_e32 vcc, v16, v17
	v_mov_b32_e32 v16, s69
	v_add_u32_e32 v18, 10, v81
	v_mov_b64_e32 v[40:41], 0
	s_waitcnt lgkmcnt(0)
	v_cndmask_b32_e32 v61, v3, v16, vcc
	v_mov_b32_e32 v3, s68
	v_cndmask_b32_e64 v113, 0, 1, vcc
	v_cndmask_b32_e32 v60, v2, v3, vcc
	v_cmp_gt_u32_e32 vcc, s55, v18
	s_mov_b64 s[30:31], 0
	v_mov_b32_e32 v106, 0
	v_mov_b32_e32 v122, 0
	v_mov_b64_e32 v[78:79], v[40:41]
	v_mov_b32_e32 v121, 0
	v_mov_b64_e32 v[76:77], v[40:41]
	;; [unrolled: 2-line block ×9, first 2 shown]
                                        ; implicit-def: $sgpr34_sgpr35
                                        ; implicit-def: $vgpr2_vgpr3
	s_and_saveexec_b64 s[26:27], vcc
	s_cbranch_execz .LBB1483_120
; %bb.99:
	v_cmp_ne_u32_e32 vcc, v17, v14
	v_mov_b32_e32 v3, s69
	v_add_u32_e32 v2, 11, v81
	v_cndmask_b32_e32 v63, v5, v3, vcc
	v_mov_b32_e32 v3, s68
	v_mov_b64_e32 v[40:41], 0
	v_cndmask_b32_e64 v114, 0, 1, vcc
	v_cndmask_b32_e32 v62, v4, v3, vcc
	v_cmp_gt_u32_e32 vcc, s55, v2
	s_mov_b64 s[34:35], 0
	v_mov_b32_e32 v106, 0
	v_mov_b32_e32 v122, 0
	v_mov_b64_e32 v[78:79], v[40:41]
	v_mov_b32_e32 v121, 0
	v_mov_b64_e32 v[76:77], v[40:41]
	;; [unrolled: 2-line block ×8, first 2 shown]
                                        ; implicit-def: $sgpr36_sgpr37
                                        ; implicit-def: $vgpr2_vgpr3
	s_and_saveexec_b64 s[28:29], vcc
	s_cbranch_execz .LBB1483_119
; %bb.100:
	ds_read2_b64 v[2:5], v26 offset0:11 offset1:12
	v_cmp_ne_u32_e32 vcc, v14, v15
	v_mov_b32_e32 v14, s69
	v_add_u32_e32 v16, 12, v81
	v_mov_b64_e32 v[40:41], 0
	s_waitcnt lgkmcnt(0)
	v_cndmask_b32_e32 v65, v3, v14, vcc
	v_mov_b32_e32 v3, s68
	v_cndmask_b32_e64 v115, 0, 1, vcc
	v_cndmask_b32_e32 v64, v2, v3, vcc
	v_cmp_gt_u32_e32 vcc, s55, v16
	s_mov_b64 s[36:37], 0
	v_mov_b32_e32 v106, 0
	v_mov_b32_e32 v122, 0
	v_mov_b64_e32 v[78:79], v[40:41]
	v_mov_b32_e32 v121, 0
	v_mov_b64_e32 v[76:77], v[40:41]
	;; [unrolled: 2-line block ×7, first 2 shown]
                                        ; implicit-def: $sgpr38_sgpr39
                                        ; implicit-def: $vgpr2_vgpr3
	s_and_saveexec_b64 s[30:31], vcc
	s_cbranch_execz .LBB1483_118
; %bb.101:
	v_cmp_ne_u32_e32 vcc, v15, v12
	v_mov_b32_e32 v3, s69
	v_add_u32_e32 v2, 13, v81
	v_cndmask_b32_e32 v67, v5, v3, vcc
	v_mov_b32_e32 v3, s68
	v_mov_b64_e32 v[40:41], 0
	v_cndmask_b32_e64 v116, 0, 1, vcc
	v_cndmask_b32_e32 v66, v4, v3, vcc
	v_cmp_gt_u32_e32 vcc, s55, v2
	s_mov_b64 s[38:39], 0
	v_mov_b32_e32 v106, 0
	v_mov_b32_e32 v122, 0
	v_mov_b64_e32 v[78:79], v[40:41]
	v_mov_b32_e32 v121, 0
	v_mov_b64_e32 v[76:77], v[40:41]
	;; [unrolled: 2-line block ×6, first 2 shown]
                                        ; implicit-def: $sgpr40_sgpr41
                                        ; implicit-def: $vgpr2_vgpr3
	s_and_saveexec_b64 s[34:35], vcc
	s_cbranch_execz .LBB1483_117
; %bb.102:
	ds_read2_b64 v[2:5], v26 offset0:13 offset1:14
	v_cmp_ne_u32_e32 vcc, v12, v13
	v_mov_b32_e32 v12, s69
	v_add_u32_e32 v14, 14, v81
	v_mov_b64_e32 v[40:41], 0
	s_waitcnt lgkmcnt(0)
	v_cndmask_b32_e32 v69, v3, v12, vcc
	v_mov_b32_e32 v3, s68
	v_cndmask_b32_e64 v117, 0, 1, vcc
	v_cndmask_b32_e32 v68, v2, v3, vcc
	v_cmp_gt_u32_e32 vcc, s55, v14
	s_mov_b64 s[40:41], 0
	v_mov_b32_e32 v106, 0
	v_mov_b32_e32 v122, 0
	v_mov_b64_e32 v[78:79], v[40:41]
	v_mov_b32_e32 v121, 0
	v_mov_b64_e32 v[76:77], v[40:41]
	;; [unrolled: 2-line block ×5, first 2 shown]
                                        ; implicit-def: $sgpr42_sgpr43
                                        ; implicit-def: $vgpr2_vgpr3
	s_and_saveexec_b64 s[36:37], vcc
	s_cbranch_execz .LBB1483_116
; %bb.103:
	v_cmp_ne_u32_e32 vcc, v13, v10
	v_mov_b32_e32 v3, s69
	v_add_u32_e32 v2, 15, v81
	v_cndmask_b32_e32 v71, v5, v3, vcc
	v_mov_b32_e32 v3, s68
	v_mov_b64_e32 v[40:41], 0
	v_cndmask_b32_e64 v118, 0, 1, vcc
	v_cndmask_b32_e32 v70, v4, v3, vcc
	v_cmp_gt_u32_e32 vcc, s55, v2
	s_mov_b64 s[42:43], 0
	v_mov_b32_e32 v106, 0
	v_mov_b32_e32 v122, 0
	v_mov_b64_e32 v[78:79], v[40:41]
	v_mov_b32_e32 v121, 0
	v_mov_b64_e32 v[76:77], v[40:41]
	v_mov_b32_e32 v120, 0
	v_mov_b64_e32 v[74:75], v[40:41]
	v_mov_b32_e32 v119, 0
	v_mov_b64_e32 v[72:73], v[40:41]
                                        ; implicit-def: $sgpr44_sgpr45
                                        ; implicit-def: $vgpr2_vgpr3
	s_and_saveexec_b64 s[38:39], vcc
	s_cbranch_execz .LBB1483_115
; %bb.104:
	ds_read2_b64 v[2:5], v26 offset0:15 offset1:16
	v_cmp_ne_u32_e32 vcc, v10, v11
	v_mov_b32_e32 v10, s69
	v_add_u32_e32 v12, 16, v81
	v_mov_b64_e32 v[40:41], 0
	s_waitcnt lgkmcnt(0)
	v_cndmask_b32_e32 v73, v3, v10, vcc
	v_mov_b32_e32 v3, s68
	v_cndmask_b32_e64 v119, 0, 1, vcc
	v_cndmask_b32_e32 v72, v2, v3, vcc
	v_cmp_gt_u32_e32 vcc, s55, v12
	s_mov_b64 s[44:45], 0
	v_mov_b32_e32 v106, 0
	v_mov_b32_e32 v122, 0
	v_mov_b64_e32 v[78:79], v[40:41]
	v_mov_b32_e32 v121, 0
	v_mov_b64_e32 v[76:77], v[40:41]
	;; [unrolled: 2-line block ×3, first 2 shown]
                                        ; implicit-def: $sgpr46_sgpr47
                                        ; implicit-def: $vgpr2_vgpr3
	s_and_saveexec_b64 s[40:41], vcc
	s_cbranch_execz .LBB1483_114
; %bb.105:
	v_cmp_ne_u32_e32 vcc, v11, v8
	v_mov_b32_e32 v3, s69
	v_add_u32_e32 v2, 17, v81
	v_cndmask_b32_e32 v75, v5, v3, vcc
	v_mov_b32_e32 v3, s68
	v_mov_b64_e32 v[40:41], 0
	v_cndmask_b32_e64 v120, 0, 1, vcc
	v_cndmask_b32_e32 v74, v4, v3, vcc
	v_cmp_gt_u32_e32 vcc, s55, v2
	s_mov_b64 s[46:47], 0
	v_mov_b32_e32 v106, 0
	v_mov_b32_e32 v122, 0
	v_mov_b64_e32 v[78:79], v[40:41]
	v_mov_b32_e32 v121, 0
	v_mov_b64_e32 v[76:77], v[40:41]
                                        ; implicit-def: $sgpr64_sgpr65
                                        ; implicit-def: $vgpr2_vgpr3
	s_and_saveexec_b64 s[42:43], vcc
	s_cbranch_execz .LBB1483_113
; %bb.106:
	ds_read2_b64 v[2:5], v26 offset0:17 offset1:18
	v_cmp_ne_u32_e32 vcc, v8, v9
	v_mov_b32_e32 v8, s69
	v_add_u32_e32 v10, 18, v81
	v_mov_b64_e32 v[40:41], 0
	s_waitcnt lgkmcnt(0)
	v_cndmask_b32_e32 v77, v3, v8, vcc
	v_mov_b32_e32 v3, s68
	v_cndmask_b32_e64 v121, 0, 1, vcc
	v_cndmask_b32_e32 v76, v2, v3, vcc
	v_cmp_gt_u32_e32 vcc, s55, v10
	s_mov_b64 s[64:65], 0
	v_mov_b32_e32 v106, 0
	v_mov_b32_e32 v122, 0
	v_mov_b64_e32 v[78:79], v[40:41]
                                        ; implicit-def: $sgpr74_sgpr75
                                        ; implicit-def: $vgpr2_vgpr3
	s_and_saveexec_b64 s[44:45], vcc
	s_cbranch_execz .LBB1483_112
; %bb.107:
	v_cmp_ne_u32_e32 vcc, v9, v6
	v_mov_b32_e32 v3, s69
	v_add_u32_e32 v2, 19, v81
	v_cndmask_b32_e32 v79, v5, v3, vcc
	v_mov_b32_e32 v3, s68
	v_cndmask_b32_e64 v122, 0, 1, vcc
	v_cndmask_b32_e32 v78, v4, v3, vcc
	v_cmp_gt_u32_e32 vcc, s55, v2
	v_mov_b32_e32 v106, 0
	v_mov_b64_e32 v[40:41], 0
                                        ; implicit-def: $sgpr74_sgpr75
                                        ; implicit-def: $vgpr2_vgpr3
	s_and_saveexec_b64 s[46:47], vcc
	s_cbranch_execz .LBB1483_111
; %bb.108:
	ds_read2_b64 v[2:5], v26 offset0:19 offset1:20
	v_cmp_ne_u32_e32 vcc, v6, v7
	v_mov_b32_e32 v6, s69
	v_add_u32_e32 v8, 20, v81
	v_cndmask_b32_e64 v106, 0, 1, vcc
	s_waitcnt lgkmcnt(0)
	v_cndmask_b32_e32 v41, v3, v6, vcc
	v_mov_b32_e32 v3, s68
	v_cndmask_b32_e32 v40, v2, v3, vcc
	v_cmp_gt_u32_e32 vcc, s55, v8
                                        ; implicit-def: $sgpr74_sgpr75
                                        ; implicit-def: $vgpr2_vgpr3
	s_and_saveexec_b64 s[76:77], vcc
	s_xor_b64 s[76:77], exec, s[76:77]
; %bb.109:
	v_mov_b32_e32 v2, s69
	v_cmp_ne_u32_e32 vcc, v7, v80
	s_mov_b64 s[64:65], exec
	s_and_b64 s[74:75], vcc, exec
	v_cndmask_b32_e32 v3, v5, v2, vcc
	v_mov_b32_e32 v2, s68
	v_cndmask_b32_e32 v2, v4, v2, vcc
; %bb.110:
	s_or_b64 exec, exec, s[76:77]
	s_and_b64 s[74:75], s[74:75], exec
	s_and_b64 s[64:65], s[64:65], exec
.LBB1483_111:
	s_or_b64 exec, exec, s[46:47]
	s_and_b64 s[74:75], s[74:75], exec
	s_and_b64 s[46:47], s[64:65], exec
.LBB1483_112:
	s_or_b64 exec, exec, s[44:45]
	s_and_b64 s[64:65], s[74:75], exec
	s_and_b64 s[44:45], s[46:47], exec
.LBB1483_113:
	s_or_b64 exec, exec, s[42:43]
	s_and_b64 s[46:47], s[64:65], exec
	s_and_b64 s[42:43], s[44:45], exec
.LBB1483_114:
	s_or_b64 exec, exec, s[40:41]
	s_and_b64 s[44:45], s[46:47], exec
	s_and_b64 s[40:41], s[42:43], exec
.LBB1483_115:
	s_or_b64 exec, exec, s[38:39]
	s_and_b64 s[42:43], s[44:45], exec
	s_and_b64 s[38:39], s[40:41], exec
.LBB1483_116:
	s_or_b64 exec, exec, s[36:37]
	s_and_b64 s[40:41], s[42:43], exec
	s_and_b64 s[36:37], s[38:39], exec
.LBB1483_117:
	s_or_b64 exec, exec, s[34:35]
	s_and_b64 s[38:39], s[40:41], exec
	s_and_b64 s[34:35], s[36:37], exec
.LBB1483_118:
	s_or_b64 exec, exec, s[30:31]
	s_and_b64 s[36:37], s[38:39], exec
	s_and_b64 s[30:31], s[34:35], exec
.LBB1483_119:
	s_or_b64 exec, exec, s[28:29]
	s_and_b64 s[34:35], s[36:37], exec
	s_and_b64 s[28:29], s[30:31], exec
.LBB1483_120:
	s_or_b64 exec, exec, s[26:27]
	s_and_b64 s[30:31], s[34:35], exec
	s_and_b64 s[26:27], s[28:29], exec
.LBB1483_121:
	s_or_b64 exec, exec, s[24:25]
	s_and_b64 s[28:29], s[30:31], exec
	s_and_b64 s[24:25], s[26:27], exec
.LBB1483_122:
	s_or_b64 exec, exec, s[22:23]
	s_and_b64 s[26:27], s[28:29], exec
	s_and_b64 s[22:23], s[24:25], exec
.LBB1483_123:
	s_or_b64 exec, exec, s[20:21]
	s_and_b64 s[24:25], s[26:27], exec
	s_and_b64 s[20:21], s[22:23], exec
.LBB1483_124:
	s_or_b64 exec, exec, s[18:19]
	s_and_b64 s[22:23], s[24:25], exec
	s_and_b64 s[18:19], s[20:21], exec
.LBB1483_125:
	s_or_b64 exec, exec, s[16:17]
	s_and_b64 s[20:21], s[22:23], exec
	s_and_b64 s[16:17], s[18:19], exec
.LBB1483_126:
	s_or_b64 exec, exec, s[14:15]
	s_and_b64 s[18:19], s[20:21], exec
	s_and_b64 s[14:15], s[16:17], exec
.LBB1483_127:
	s_or_b64 exec, exec, s[12:13]
	s_and_b64 s[16:17], s[18:19], exec
	s_and_b64 s[12:13], s[14:15], exec
.LBB1483_128:
	s_or_b64 exec, exec, s[10:11]
	s_and_b64 s[14:15], s[16:17], exec
	s_and_b64 s[10:11], s[12:13], exec
.LBB1483_129:
	s_or_b64 exec, exec, s[8:9]
	s_and_b64 s[8:9], s[14:15], exec
	s_and_b64 s[10:11], s[10:11], exec
.LBB1483_130:
	s_or_b64 exec, exec, s[6:7]
	s_mov_b64 s[6:7], 0
	s_and_b64 vcc, exec, s[4:5]
	s_cbranch_vccz .LBB1483_136
.LBB1483_131:
	v_mov_b32_e32 v3, 0
	v_lshlrev_b32_e32 v2, 2, v0
	v_lshl_add_u64 v[4:5], s[72:73], 0, v[2:3]
	v_add_co_u32_e32 v6, vcc, 0x1000, v4
	s_movk_i32 s4, 0x50
	s_nop 0
	v_addc_co_u32_e32 v7, vcc, 0, v5, vcc
	flat_load_dword v1, v[4:5]
	flat_load_dword v10, v[4:5] offset:1024
	flat_load_dword v11, v[4:5] offset:2048
	;; [unrolled: 1-line block ×3, first 2 shown]
	flat_load_dword v13, v[6:7]
	flat_load_dword v14, v[6:7] offset:1024
	flat_load_dword v15, v[6:7] offset:2048
	;; [unrolled: 1-line block ×3, first 2 shown]
	v_add_co_u32_e32 v6, vcc, 0x2000, v4
	s_movk_i32 s9, 0x1000
	s_nop 0
	v_addc_co_u32_e32 v7, vcc, 0, v5, vcc
	v_add_co_u32_e32 v8, vcc, 0x3000, v4
	s_movk_i32 s8, 0x2000
	s_nop 0
	v_addc_co_u32_e32 v9, vcc, 0, v5, vcc
	flat_load_dword v17, v[6:7]
	flat_load_dword v18, v[6:7] offset:1024
	flat_load_dword v19, v[6:7] offset:2048
	;; [unrolled: 1-line block ×3, first 2 shown]
	flat_load_dword v21, v[8:9]
	flat_load_dword v22, v[8:9] offset:1024
	flat_load_dword v23, v[8:9] offset:2048
	;; [unrolled: 1-line block ×3, first 2 shown]
	v_add_co_u32_e32 v6, vcc, 0x4000, v4
	s_movk_i32 s7, 0x3000
	s_nop 0
	v_addc_co_u32_e32 v7, vcc, 0, v5, vcc
	v_add_co_u32_e32 v4, vcc, 0x5000, v4
	s_movk_i32 s6, 0x4000
	s_nop 0
	v_addc_co_u32_e32 v5, vcc, 0, v5, vcc
	flat_load_dword v8, v[6:7]
	flat_load_dword v9, v[6:7] offset:1024
	flat_load_dword v25, v[6:7] offset:2048
	;; [unrolled: 1-line block ×3, first 2 shown]
	flat_load_dword v27, v[4:5]
	v_mov_b32_e32 v4, s72
	v_mov_b32_e32 v5, s73
	v_add_co_u32_e32 v4, vcc, 0x5000, v4
	s_movk_i32 s3, 0x5000
	s_nop 0
	v_addc_co_u32_e32 v5, vcc, 0, v5, vcc
	s_waitcnt vmcnt(0) lgkmcnt(0)
	ds_write2st64_b32 v2, v1, v10 offset1:4
	ds_write2st64_b32 v2, v11, v12 offset0:8 offset1:12
	ds_write2st64_b32 v2, v13, v14 offset0:16 offset1:20
	;; [unrolled: 1-line block ×9, first 2 shown]
	ds_write_b32 v2, v27 offset:20480
	s_waitcnt lgkmcnt(0)
	s_barrier
	flat_load_dword v82, v[4:5] offset:1024
	v_mad_u32_u24 v4, v0, s4, v2
	s_movk_i32 s4, 0xffb0
	ds_read_b32 v1, v4
	ds_read2_b32 v[60:61], v4 offset0:1 offset1:2
	ds_read2_b32 v[58:59], v4 offset0:3 offset1:4
	;; [unrolled: 1-line block ×10, first 2 shown]
	v_mad_i32_i24 v4, v0, s4, v4
	s_movk_i32 s4, 0xff
	v_cmp_ne_u32_e32 vcc, s4, v0
	s_waitcnt lgkmcnt(0)
	ds_write_b32 v4, v1 offset:22528
	s_waitcnt lgkmcnt(0)
	s_barrier
	s_and_saveexec_b64 s[4:5], vcc
	s_cbranch_execz .LBB1483_133
; %bb.132:
	s_waitcnt vmcnt(0)
	ds_read_b32 v82, v2 offset:22532
.LBB1483_133:
	s_or_b64 exec, exec, s[4:5]
	v_lshlrev_b32_e32 v2, 3, v0
	v_lshl_add_u64 v[2:3], s[60:61], 0, v[2:3]
	v_add_co_u32_e32 v6, vcc, s9, v2
	s_waitcnt lgkmcnt(0)
	s_nop 0
	v_addc_co_u32_e32 v7, vcc, 0, v3, vcc
	s_barrier
	flat_load_dwordx2 v[8:9], v[2:3]
	flat_load_dwordx2 v[10:11], v[2:3] offset:2048
	flat_load_dwordx2 v[12:13], v[6:7]
	flat_load_dwordx2 v[14:15], v[6:7] offset:2048
	v_add_co_u32_e32 v6, vcc, s8, v2
	v_lshl_add_u32 v62, v0, 2, v4
	s_nop 0
	v_addc_co_u32_e32 v7, vcc, 0, v3, vcc
	v_add_co_u32_e32 v16, vcc, s7, v2
	v_cmp_eq_u32_e64 s[4:5], v1, v60
	s_nop 0
	v_addc_co_u32_e32 v17, vcc, 0, v3, vcc
	flat_load_dwordx2 v[18:19], v[6:7]
	flat_load_dwordx2 v[20:21], v[6:7] offset:2048
	flat_load_dwordx2 v[22:23], v[16:17]
	flat_load_dwordx2 v[24:25], v[16:17] offset:2048
	v_add_co_u32_e32 v6, vcc, s6, v2
	s_nop 1
	v_addc_co_u32_e32 v7, vcc, 0, v3, vcc
	v_add_co_u32_e32 v16, vcc, s3, v2
	s_movk_i32 s3, 0x6000
	s_nop 0
	v_addc_co_u32_e32 v17, vcc, 0, v3, vcc
	flat_load_dwordx2 v[26:27], v[6:7]
	flat_load_dwordx2 v[28:29], v[6:7] offset:2048
	flat_load_dwordx2 v[30:31], v[16:17]
	flat_load_dwordx2 v[32:33], v[16:17] offset:2048
	v_add_co_u32_e32 v6, vcc, s3, v2
	s_movk_i32 s3, 0x7000
	s_nop 0
	v_addc_co_u32_e32 v7, vcc, 0, v3, vcc
	v_add_co_u32_e32 v16, vcc, s3, v2
	s_mov_b32 s3, 0x8000
	s_nop 0
	v_addc_co_u32_e32 v17, vcc, 0, v3, vcc
	flat_load_dwordx2 v[34:35], v[6:7]
	flat_load_dwordx2 v[36:37], v[6:7] offset:2048
	flat_load_dwordx2 v[38:39], v[16:17]
	flat_load_dwordx2 v[40:41], v[16:17] offset:2048
	v_add_co_u32_e32 v6, vcc, s3, v2
	s_mov_b32 s3, 0x9000
	s_nop 0
	v_addc_co_u32_e32 v7, vcc, 0, v3, vcc
	v_add_co_u32_e32 v16, vcc, s3, v2
	s_mov_b32 s3, 0xa000
	s_nop 0
	v_addc_co_u32_e32 v17, vcc, 0, v3, vcc
	flat_load_dwordx2 v[42:43], v[6:7]
	flat_load_dwordx2 v[64:65], v[6:7] offset:2048
	flat_load_dwordx2 v[66:67], v[16:17]
	flat_load_dwordx2 v[68:69], v[16:17] offset:2048
	v_add_co_u32_e32 v2, vcc, s3, v2
	s_movk_i32 s3, 0xa0
	s_nop 0
	v_addc_co_u32_e32 v3, vcc, 0, v3, vcc
	flat_load_dwordx2 v[2:3], v[2:3]
	v_cmp_ne_u32_e32 vcc, v1, v60
	s_waitcnt vmcnt(0) lgkmcnt(0)
	ds_write2st64_b64 v62, v[8:9], v[10:11] offset1:4
	ds_write2st64_b64 v62, v[12:13], v[14:15] offset0:8 offset1:12
	ds_write2st64_b64 v62, v[18:19], v[20:21] offset0:16 offset1:20
	;; [unrolled: 1-line block ×9, first 2 shown]
	ds_write_b64 v62, v[2:3] offset:40960
	v_mad_u32_u24 v2, v0, s3, v62
	s_waitcnt lgkmcnt(0)
	s_barrier
	ds_read2_b64 v[38:41], v2 offset0:1 offset1:2
	ds_read2_b64 v[34:37], v2 offset0:3 offset1:4
	;; [unrolled: 1-line block ×10, first 2 shown]
	v_mov_b64_e32 v[42:43], s[68:69]
	s_and_saveexec_b64 s[6:7], s[4:5]
	s_cbranch_execz .LBB1483_135
; %bb.134:
	v_mul_u32_u24_e32 v1, 0xa0, v0
	v_add_u32_e32 v1, v62, v1
	ds_read_b64 v[42:43], v1
.LBB1483_135:
	s_or_b64 exec, exec, s[6:7]
	v_cndmask_b32_e64 v1, 0, 1, vcc
	v_cmp_ne_u32_e32 vcc, v60, v61
	v_cmp_ne_u32_e64 s[38:39], v45, v80
	v_cmp_ne_u32_e64 s[40:41], v80, v81
	v_mov_b32_e32 v80, s69
	v_cmp_ne_u32_e64 s[8:9], v59, v56
	v_cmp_ne_u32_e64 s[36:37], v44, v45
	s_waitcnt lgkmcnt(9)
	v_cndmask_b32_e32 v45, v39, v80, vcc
	v_mov_b32_e32 v39, s68
	v_cmp_ne_u32_e64 s[4:5], v61, v58
	v_cmp_ne_u32_e64 s[6:7], v58, v59
	v_cndmask_b32_e64 v108, 0, 1, s[8:9]
	v_cmp_ne_u32_e64 s[10:11], v56, v57
	v_cmp_ne_u32_e64 s[12:13], v57, v54
	;; [unrolled: 1-line block ×12, first 2 shown]
	s_waitcnt lgkmcnt(8)
	v_cndmask_b32_e64 v51, v37, v80, s[8:9]
	v_cndmask_b32_e64 v50, v36, v39, s[8:9]
	v_cmp_ne_u32_e64 s[8:9], v81, v82
	v_cndmask_b32_e64 v104, 0, 1, vcc
	v_cndmask_b32_e64 v105, 0, 1, s[4:5]
	v_cndmask_b32_e64 v107, 0, 1, s[6:7]
	;; [unrolled: 1-line block ×17, first 2 shown]
	v_cndmask_b32_e32 v44, v38, v39, vcc
	v_cndmask_b32_e64 v47, v41, v80, s[4:5]
	v_cndmask_b32_e64 v46, v40, v39, s[4:5]
	v_cndmask_b32_e64 v49, v35, v80, s[6:7]
	v_cndmask_b32_e64 v48, v34, v39, s[6:7]
	s_waitcnt lgkmcnt(7)
	v_cndmask_b32_e64 v53, v31, v80, s[10:11]
	v_cndmask_b32_e64 v52, v30, v39, s[10:11]
	v_cndmask_b32_e64 v55, v33, v80, s[12:13]
	v_cndmask_b32_e64 v54, v32, v39, s[12:13]
	s_waitcnt lgkmcnt(6)
	v_cndmask_b32_e64 v57, v27, v80, s[14:15]
	v_cndmask_b32_e64 v56, v26, v39, s[14:15]
	v_cndmask_b32_e64 v59, v29, v80, s[16:17]
	v_cndmask_b32_e64 v58, v28, v39, s[16:17]
	s_waitcnt lgkmcnt(5)
	v_cndmask_b32_e64 v61, v23, v80, s[18:19]
	v_cndmask_b32_e64 v60, v22, v39, s[18:19]
	v_cndmask_b32_e64 v63, v25, v80, s[20:21]
	v_cndmask_b32_e64 v62, v24, v39, s[20:21]
	s_waitcnt lgkmcnt(4)
	v_cndmask_b32_e64 v65, v19, v80, s[22:23]
	v_cndmask_b32_e64 v64, v18, v39, s[22:23]
	v_cndmask_b32_e64 v67, v21, v80, s[24:25]
	v_cndmask_b32_e64 v66, v20, v39, s[24:25]
	s_waitcnt lgkmcnt(3)
	v_cndmask_b32_e64 v69, v15, v80, s[26:27]
	v_cndmask_b32_e64 v68, v14, v39, s[26:27]
	v_cndmask_b32_e64 v71, v17, v80, s[28:29]
	v_cndmask_b32_e64 v70, v16, v39, s[28:29]
	s_waitcnt lgkmcnt(2)
	v_cndmask_b32_e64 v73, v11, v80, s[30:31]
	v_cndmask_b32_e64 v72, v10, v39, s[30:31]
	v_cndmask_b32_e64 v75, v13, v80, s[34:35]
	v_cndmask_b32_e64 v74, v12, v39, s[34:35]
	s_waitcnt lgkmcnt(1)
	v_cndmask_b32_e64 v77, v7, v80, s[36:37]
	v_cndmask_b32_e64 v76, v6, v39, s[36:37]
	v_cndmask_b32_e64 v79, v9, v80, s[38:39]
	v_cndmask_b32_e64 v78, v8, v39, s[38:39]
	s_waitcnt lgkmcnt(0)
	v_cndmask_b32_e64 v41, v3, v80, s[40:41]
	v_cndmask_b32_e64 v40, v2, v39, s[40:41]
	;; [unrolled: 1-line block ×4, first 2 shown]
	s_mov_b64 s[10:11], -1
                                        ; implicit-def: $sgpr3
                                        ; implicit-def: $sgpr6_sgpr7
.LBB1483_136:
	v_mov_b64_e32 v[80:81], s[6:7]
	v_mov_b32_e32 v123, s3
	s_and_saveexec_b64 s[4:5], s[10:11]
; %bb.137:
	v_cndmask_b32_e64 v123, 0, 1, s[8:9]
	v_mov_b64_e32 v[80:81], v[2:3]
; %bb.138:
	s_or_b64 exec, exec, s[4:5]
	v_or_b32_e32 v2, v123, v106
	s_cmp_lg_u32 s2, 0
	v_or_b32_e32 v125, v2, v122
	v_mbcnt_lo_u32_b32 v124, -1, 0
	s_barrier
	s_cbranch_scc0 .LBB1483_209
; %bb.139:
	v_mov_b32_e32 v4, 0
	v_cmp_eq_u16_sdwa s[44:45], v104, v4 src0_sel:BYTE_0 src1_sel:DWORD
	v_cmp_eq_u16_sdwa s[4:5], v105, v4 src0_sel:BYTE_0 src1_sel:DWORD
	v_cmp_eq_u16_sdwa s[6:7], v107, v4 src0_sel:BYTE_0 src1_sel:DWORD
	v_cndmask_b32_e64 v3, 0, v43, s[44:45]
	v_cndmask_b32_e64 v2, 0, v42, s[44:45]
	v_lshl_add_u64 v[2:3], v[2:3], 0, v[44:45]
	v_cndmask_b32_e64 v3, 0, v3, s[4:5]
	v_cndmask_b32_e64 v2, 0, v2, s[4:5]
	v_lshl_add_u64 v[2:3], v[2:3], 0, v[46:47]
	v_cndmask_b32_e64 v3, 0, v3, s[6:7]
	v_cndmask_b32_e64 v2, 0, v2, s[6:7]
	v_lshl_add_u64 v[2:3], v[2:3], 0, v[48:49]
	v_cmp_eq_u16_sdwa s[8:9], v108, v4 src0_sel:BYTE_0 src1_sel:DWORD
	v_cmp_eq_u16_sdwa s[10:11], v109, v4 src0_sel:BYTE_0 src1_sel:DWORD
	v_cmp_eq_u16_sdwa s[12:13], v110, v4 src0_sel:BYTE_0 src1_sel:DWORD
	v_cndmask_b32_e64 v3, 0, v3, s[8:9]
	v_cndmask_b32_e64 v2, 0, v2, s[8:9]
	v_lshl_add_u64 v[2:3], v[2:3], 0, v[50:51]
	v_cndmask_b32_e64 v3, 0, v3, s[10:11]
	v_cndmask_b32_e64 v2, 0, v2, s[10:11]
	v_lshl_add_u64 v[2:3], v[2:3], 0, v[52:53]
	v_cndmask_b32_e64 v3, 0, v3, s[12:13]
	v_cndmask_b32_e64 v2, 0, v2, s[12:13]
	v_lshl_add_u64 v[2:3], v[2:3], 0, v[54:55]
	;; [unrolled: 12-line block ×3, first 2 shown]
	v_cmp_eq_u16_sdwa s[20:21], v114, v4 src0_sel:BYTE_0 src1_sel:DWORD
	v_cmp_eq_u16_sdwa s[22:23], v115, v4 src0_sel:BYTE_0 src1_sel:DWORD
	;; [unrolled: 1-line block ×3, first 2 shown]
	v_cndmask_b32_e64 v3, 0, v3, s[20:21]
	v_cndmask_b32_e64 v2, 0, v2, s[20:21]
	v_lshl_add_u64 v[2:3], v[2:3], 0, v[62:63]
	v_cndmask_b32_e64 v3, 0, v3, s[22:23]
	v_cndmask_b32_e64 v2, 0, v2, s[22:23]
	v_lshl_add_u64 v[2:3], v[2:3], 0, v[64:65]
	v_cmp_eq_u16_sdwa s[26:27], v117, v4 src0_sel:BYTE_0 src1_sel:DWORD
	v_cmp_eq_u16_sdwa s[28:29], v118, v4 src0_sel:BYTE_0 src1_sel:DWORD
	;; [unrolled: 1-line block ×7, first 2 shown]
	v_cmp_eq_u16_sdwa vcc, v123, v4 src0_sel:BYTE_0 src1_sel:DWORD
	v_or_b32_e32 v4, v125, v121
	v_cndmask_b32_e64 v3, 0, v3, s[24:25]
	v_cndmask_b32_e64 v2, 0, v2, s[24:25]
	v_or_b32_e32 v4, v4, v120
	v_lshl_add_u64 v[2:3], v[2:3], 0, v[66:67]
	v_or_b32_e32 v4, v4, v119
	v_cndmask_b32_e64 v3, 0, v3, s[26:27]
	v_cndmask_b32_e64 v2, 0, v2, s[26:27]
	v_or_b32_e32 v4, v4, v118
	v_lshl_add_u64 v[2:3], v[2:3], 0, v[68:69]
	;; [unrolled: 5-line block ×8, first 2 shown]
	v_or_b32_e32 v4, v4, v104
	v_cndmask_b32_e32 v3, 0, v3, vcc
	v_cndmask_b32_e32 v2, 0, v2, vcc
	v_or_b32_e32 v4, v4, v1
	v_mbcnt_hi_u32_b32 v9, -1, v124
	v_lshl_add_u64 v[2:3], v[2:3], 0, v[80:81]
	v_and_b32_e32 v8, 1, v4
	v_and_b32_e32 v5, 15, v9
	v_cmp_eq_u32_e32 vcc, 1, v8
	v_mov_b32_dpp v7, v2 row_shr:1 row_mask:0xf bank_mask:0xf
	v_mov_b32_dpp v10, v3 row_shr:1 row_mask:0xf bank_mask:0xf
	;; [unrolled: 1-line block ×3, first 2 shown]
	v_cmp_ne_u32_e64 s[42:43], 0, v5
	v_mov_b32_e32 v4, v8
	s_and_saveexec_b64 s[46:47], s[42:43]
; %bb.140:
	v_and_b32_e32 v4, 1, v6
	v_cndmask_b32_e64 v11, v10, 0, vcc
	v_cndmask_b32_e64 v10, v7, 0, vcc
	v_or_b32_e32 v8, v4, v8
	v_lshl_add_u64 v[2:3], v[10:11], 0, v[2:3]
	v_and_b32_e32 v4, 0xffff, v8
; %bb.141:
	s_or_b64 exec, exec, s[46:47]
	v_mov_b32_dpp v7, v2 row_shr:2 row_mask:0xf bank_mask:0xf
	v_mov_b32_dpp v10, v3 row_shr:2 row_mask:0xf bank_mask:0xf
	;; [unrolled: 1-line block ×3, first 2 shown]
	v_cmp_lt_u32_e32 vcc, 1, v5
	s_and_saveexec_b64 s[46:47], vcc
; %bb.142:
	v_cmp_eq_u16_e32 vcc, 0, v8
	v_and_b32_e32 v4, 1, v8
	s_nop 0
	v_cndmask_b32_e32 v11, 0, v10, vcc
	v_cndmask_b32_e32 v10, 0, v7, vcc
	v_cmp_eq_u32_e32 vcc, 1, v4
	v_and_b32_e32 v4, 1, v6
	v_cmp_eq_u32_e64 s[42:43], 1, v4
	s_or_b64 s[42:43], vcc, s[42:43]
	v_lshl_add_u64 v[2:3], v[10:11], 0, v[2:3]
	v_cndmask_b32_e64 v8, 0, 1, s[42:43]
	v_cndmask_b32_e64 v4, 0, 1, s[42:43]
; %bb.143:
	s_or_b64 exec, exec, s[46:47]
	v_mov_b32_dpp v7, v2 row_shr:4 row_mask:0xf bank_mask:0xf
	v_mov_b32_dpp v10, v3 row_shr:4 row_mask:0xf bank_mask:0xf
	;; [unrolled: 1-line block ×3, first 2 shown]
	v_cmp_lt_u32_e32 vcc, 3, v5
	s_and_saveexec_b64 s[46:47], vcc
; %bb.144:
	v_cmp_eq_u16_e32 vcc, 0, v8
	v_and_b32_e32 v4, 1, v8
	s_nop 0
	v_cndmask_b32_e32 v11, 0, v10, vcc
	v_cndmask_b32_e32 v10, 0, v7, vcc
	v_cmp_eq_u32_e32 vcc, 1, v4
	v_and_b32_e32 v4, 1, v6
	v_cmp_eq_u32_e64 s[42:43], 1, v4
	s_or_b64 s[42:43], vcc, s[42:43]
	v_lshl_add_u64 v[2:3], v[10:11], 0, v[2:3]
	v_cndmask_b32_e64 v8, 0, 1, s[42:43]
	v_cndmask_b32_e64 v4, 0, 1, s[42:43]
; %bb.145:
	s_or_b64 exec, exec, s[46:47]
	v_mov_b32_dpp v7, v2 row_shr:8 row_mask:0xf bank_mask:0xf
	v_mov_b32_dpp v10, v3 row_shr:8 row_mask:0xf bank_mask:0xf
	;; [unrolled: 1-line block ×3, first 2 shown]
	v_cmp_lt_u32_e32 vcc, 7, v5
	s_and_saveexec_b64 s[46:47], vcc
; %bb.146:
	v_cmp_eq_u16_e32 vcc, 0, v8
	s_nop 1
	v_cndmask_b32_e32 v5, 0, v10, vcc
	v_cndmask_b32_e32 v4, 0, v7, vcc
	v_lshl_add_u64 v[2:3], v[4:5], 0, v[2:3]
	v_and_b32_e32 v4, 1, v8
	v_cmp_eq_u32_e32 vcc, 1, v4
	v_and_b32_e32 v4, 1, v6
	v_cmp_eq_u32_e64 s[42:43], 1, v4
	s_or_b64 s[42:43], vcc, s[42:43]
	s_nop 0
	v_cndmask_b32_e64 v8, 0, 1, s[42:43]
	v_cndmask_b32_e64 v4, 0, 1, s[42:43]
; %bb.147:
	s_or_b64 exec, exec, s[46:47]
	v_and_b32_e32 v10, 16, v9
	v_mov_b32_dpp v6, v2 row_bcast:15 row_mask:0xf bank_mask:0xf
	v_mov_b32_dpp v7, v3 row_bcast:15 row_mask:0xf bank_mask:0xf
	;; [unrolled: 1-line block ×3, first 2 shown]
	v_cmp_ne_u32_e32 vcc, 0, v10
	s_and_saveexec_b64 s[46:47], vcc
; %bb.148:
	v_cmp_eq_u16_e32 vcc, 0, v8
	v_and_b32_e32 v4, 1, v8
	s_nop 0
	v_cndmask_b32_e32 v7, 0, v7, vcc
	v_cndmask_b32_e32 v6, 0, v6, vcc
	v_cmp_eq_u32_e32 vcc, 1, v4
	v_and_b32_e32 v4, 1, v5
	v_cmp_eq_u32_e64 s[42:43], 1, v4
	s_or_b64 s[42:43], vcc, s[42:43]
	v_lshl_add_u64 v[2:3], v[6:7], 0, v[2:3]
	v_cndmask_b32_e64 v8, 0, 1, s[42:43]
	v_cndmask_b32_e64 v4, 0, 1, s[42:43]
; %bb.149:
	s_or_b64 exec, exec, s[46:47]
	v_mov_b32_dpp v5, v2 row_bcast:31 row_mask:0xf bank_mask:0xf
	v_mov_b32_dpp v6, v3 row_bcast:31 row_mask:0xf bank_mask:0xf
	;; [unrolled: 1-line block ×3, first 2 shown]
	v_cmp_lt_u32_e32 vcc, 31, v9
	s_and_saveexec_b64 s[46:47], vcc
; %bb.150:
	v_cmp_eq_u16_e32 vcc, 0, v8
	v_and_b32_e32 v4, 1, v4
	v_cmp_eq_u32_e64 s[42:43], 1, v4
	v_cndmask_b32_e32 v7, 0, v6, vcc
	v_cndmask_b32_e32 v6, 0, v5, vcc
	v_and_b32_e32 v5, 1, v8
	v_cmp_eq_u32_e32 vcc, 1, v5
	s_or_b64 s[42:43], vcc, s[42:43]
	v_lshl_add_u64 v[2:3], v[6:7], 0, v[2:3]
	v_cndmask_b32_e64 v8, 0, 1, s[42:43]
; %bb.151:
	s_or_b64 exec, exec, s[46:47]
	v_or_b32_e32 v4, 63, v0
	v_lshrrev_b32_e32 v10, 6, v0
	v_cmp_eq_u32_e32 vcc, v4, v0
	s_and_saveexec_b64 s[42:43], vcc
	s_cbranch_execz .LBB1483_153
; %bb.152:
	v_lshlrev_b32_e32 v4, 4, v10
	ds_write_b64 v4, v[2:3]
	ds_write_b8 v4, v8 offset:8
.LBB1483_153:
	s_or_b64 exec, exec, s[42:43]
	v_cmp_gt_u32_e32 vcc, 4, v0
	s_waitcnt lgkmcnt(0)
	s_barrier
	s_and_saveexec_b64 s[46:47], vcc
	s_cbranch_execz .LBB1483_159
; %bb.154:
	v_lshlrev_b32_e32 v6, 4, v0
	ds_read_b64 v[4:5], v6
	ds_read_b32 v7, v6 offset:8
	v_and_b32_e32 v11, 3, v9
	v_cmp_ne_u32_e32 vcc, 0, v11
	s_waitcnt lgkmcnt(1)
	v_mov_b32_dpp v15, v4 row_shr:1 row_mask:0xf bank_mask:0xf
	v_mov_b32_dpp v16, v5 row_shr:1 row_mask:0xf bank_mask:0xf
	s_waitcnt lgkmcnt(0)
	v_mov_b32_dpp v14, v7 row_shr:1 row_mask:0xf bank_mask:0xf
	v_mov_b32_e32 v12, v7
	v_mov_b32_e32 v13, v7
	s_and_saveexec_b64 s[42:43], vcc
; %bb.155:
	v_mov_b32_e32 v12, 0
	v_cmp_eq_u16_sdwa vcc, v7, v12 src0_sel:BYTE_0 src1_sel:DWORD
	s_movk_i32 s3, 0xff00
	s_nop 0
	v_cndmask_b32_e32 v13, 0, v16, vcc
	v_cndmask_b32_e32 v12, 0, v15, vcc
	v_lshl_add_u64 v[4:5], v[12:13], 0, v[4:5]
	v_or_b32_e32 v13, v14, v7
	v_and_b32_e32 v12, 1, v13
	v_and_b32_e32 v13, 1, v13
	v_and_or_b32 v7, v7, s3, v13
; %bb.156:
	s_or_b64 exec, exec, s[42:43]
	v_mov_b32_dpp v14, v4 row_shr:2 row_mask:0xf bank_mask:0xf
	v_mov_b32_dpp v15, v5 row_shr:2 row_mask:0xf bank_mask:0xf
	;; [unrolled: 1-line block ×3, first 2 shown]
	v_cmp_lt_u32_e32 vcc, 1, v11
	s_and_saveexec_b64 s[60:61], vcc
; %bb.157:
	v_mov_b32_e32 v11, 0
	v_cmp_eq_u16_sdwa vcc, v13, v11 src0_sel:BYTE_0 src1_sel:DWORD
	v_and_b32_e32 v11, 1, v13
	v_and_b32_e32 v7, 1, v7
	v_cndmask_b32_e32 v15, 0, v15, vcc
	v_cndmask_b32_e32 v14, 0, v14, vcc
	v_cmp_eq_u32_e32 vcc, 1, v11
	v_cmp_eq_u32_e64 s[42:43], 1, v7
	s_or_b64 s[42:43], vcc, s[42:43]
	v_lshl_add_u64 v[4:5], v[14:15], 0, v[4:5]
	v_cndmask_b32_e64 v12, 0, 1, s[42:43]
; %bb.158:
	s_or_b64 exec, exec, s[60:61]
	ds_write_b64 v6, v[4:5]
	ds_write_b8 v6, v12 offset:8
.LBB1483_159:
	s_or_b64 exec, exec, s[46:47]
	v_cmp_gt_u32_e32 vcc, 64, v0
	v_cmp_lt_u32_e64 s[42:43], 63, v0
	v_mov_b32_e32 v16, 0
	v_mov_b64_e32 v[6:7], 0
	s_waitcnt lgkmcnt(0)
	s_barrier
	s_and_saveexec_b64 s[46:47], s[42:43]
	s_cbranch_execz .LBB1483_161
; %bb.160:
	v_lshl_add_u32 v4, v10, 4, -16
	ds_read_b64 v[6:7], v4
	ds_read_u8 v16, v4 offset:8
	v_cmp_eq_u16_e64 s[42:43], 0, v8
	s_waitcnt lgkmcnt(0)
	v_or_b32_e32 v8, v8, v16
	v_cndmask_b32_e64 v5, 0, v7, s[42:43]
	v_cndmask_b32_e64 v4, 0, v6, s[42:43]
	v_lshl_add_u64 v[2:3], v[2:3], 0, v[4:5]
	v_and_b32_e32 v8, 1, v8
.LBB1483_161:
	s_or_b64 exec, exec, s[46:47]
	v_add_u32_e32 v4, -1, v9
	v_and_b32_e32 v5, 64, v9
	v_cmp_lt_i32_e64 s[42:43], v4, v5
	s_nop 1
	v_cndmask_b32_e64 v4, v4, v9, s[42:43]
	v_lshlrev_b32_e32 v4, 2, v4
	ds_bpermute_b32 v17, v4, v2
	v_and_b32_e32 v2, 0xffff, v8
	ds_bpermute_b32 v18, v4, v3
	ds_bpermute_b32 v19, v4, v2
	v_cmp_eq_u32_e64 s[42:43], 0, v9
	s_and_saveexec_b64 s[60:61], vcc
	s_cbranch_execz .LBB1483_208
; %bb.162:
	v_mov_b32_e32 v11, 0
	ds_read2_b64 v[2:5], v11 offset0:6 offset1:7
	s_and_saveexec_b64 s[46:47], s[42:43]
	s_cbranch_execz .LBB1483_164
; %bb.163:
	s_add_i32 s64, s2, 64
	s_mov_b32 s65, 0
	s_lshl_b64 s[72:73], s[64:65], 4
	s_add_u32 s72, s48, s72
	s_addc_u32 s73, s49, s73
	s_waitcnt lgkmcnt(0)
	global_store_dword v11, v2, s[72:73] sc1
	global_store_dword v11, v3, s[72:73] offset:4 sc1
	global_store_dword v11, v4, s[72:73] offset:8 sc1
	;; [unrolled: 1-line block ×3, first 2 shown]
	v_mov_b32_e32 v5, s64
	v_mov_b32_e32 v8, 1
	s_waitcnt vmcnt(0)
	global_store_byte v5, v8, s[52:53] sc1
.LBB1483_164:
	s_or_b64 exec, exec, s[46:47]
	v_xad_u32 v8, v9, -1, s2
	v_add_u32_e32 v10, 64, v8
	s_waitcnt lgkmcnt(0)
	global_load_ubyte v5, v10, s[52:53] sc1
	s_waitcnt vmcnt(0)
	v_cmp_eq_u16_e32 vcc, 0, v5
	s_and_saveexec_b64 s[46:47], vcc
	s_cbranch_execz .LBB1483_170
; %bb.165:
	v_lshl_add_u64 v[12:13], s[52:53], 0, v[10:11]
	s_mov_b32 s3, 1
	s_mov_b64 s[64:65], 0
.LBB1483_166:                           ; =>This Loop Header: Depth=1
                                        ;     Child Loop BB1483_167 Depth 2
	s_max_u32 s55, s3, 1
.LBB1483_167:                           ;   Parent Loop BB1483_166 Depth=1
                                        ; =>  This Inner Loop Header: Depth=2
	s_add_i32 s55, s55, -1
	s_cmp_eq_u32 s55, 0
	s_sleep 1
	s_cbranch_scc0 .LBB1483_167
; %bb.168:                              ;   in Loop: Header=BB1483_166 Depth=1
	global_load_ubyte v5, v[12:13], off sc1
	s_cmp_lt_u32 s3, 32
	s_cselect_b64 s[72:73], -1, 0
	s_cmp_lg_u64 s[72:73], 0
	s_addc_u32 s3, s3, 0
	s_waitcnt vmcnt(0)
	v_cmp_ne_u16_e32 vcc, 0, v5
	s_or_b64 s[64:65], vcc, s[64:65]
	s_andn2_b64 exec, exec, s[64:65]
	s_cbranch_execnz .LBB1483_166
; %bb.169:
	s_or_b64 exec, exec, s[64:65]
.LBB1483_170:
	s_or_b64 exec, exec, s[46:47]
	v_mov_b32_e32 v12, s51
	v_mov_b32_e32 v13, s49
	v_cmp_eq_u16_e32 vcc, 1, v5
	v_mov_b32_e32 v14, s48
	s_waitcnt vmcnt(0)
	v_cndmask_b32_e32 v13, v12, v13, vcc
	v_mov_b32_e32 v12, s50
	v_cndmask_b32_e32 v12, v12, v14, vcc
	v_lshl_add_u64 v[10:11], v[10:11], 4, v[12:13]
	global_load_dword v14, v[10:11], off sc1
	global_load_dword v15, v[10:11], off offset:4 sc1
	global_load_dword v34, v[10:11], off offset:8 sc1
	s_nop 0
	global_load_dword v10, v[10:11], off offset:12 sc1
	v_cmp_eq_u16_e32 vcc, 2, v5
	s_waitcnt vmcnt(0)
	v_lshlrev_b64 v[10:11], v9, -1
	v_and_b32_e32 v20, 63, v9
	v_and_b32_e32 v12, vcc_hi, v11
	v_and_b32_e32 v25, vcc_lo, v10
	v_cmp_ne_u32_e32 vcc, 63, v20
	v_or_b32_e32 v12, 0x80000000, v12
	v_ffbl_b32_e32 v12, v12
	v_addc_co_u32_e32 v13, vcc, 0, v9, vcc
	v_lshlrev_b32_e32 v21, 2, v13
	v_add_u32_e32 v12, 32, v12
	v_ffbl_b32_e32 v25, v25
	v_min_u32_e32 v12, v25, v12
	v_cmp_lt_u32_e32 vcc, v20, v12
	ds_bpermute_b32 v23, v21, v14
	ds_bpermute_b32 v24, v21, v15
	v_and_b32_e32 v13, 0xff, v34
	ds_bpermute_b32 v22, v21, v13
	s_and_saveexec_b64 s[46:47], vcc
	s_cbranch_execz .LBB1483_172
; %bb.171:
	v_mov_b32_e32 v13, 0
	v_cmp_eq_u16_sdwa vcc, v34, v13 src0_sel:BYTE_0 src1_sel:DWORD
	s_waitcnt lgkmcnt(0)
	v_or_b32_e32 v13, v22, v34
	v_and_b32_e32 v34, 1, v13
	v_cndmask_b32_e32 v25, 0, v24, vcc
	v_cndmask_b32_e32 v24, 0, v23, vcc
	v_lshl_add_u64 v[14:15], v[24:25], 0, v[14:15]
	v_and_b32_e32 v13, 1, v13
.LBB1483_172:
	s_or_b64 exec, exec, s[46:47]
	v_cmp_gt_u32_e32 vcc, 62, v20
	s_waitcnt lgkmcnt(2)
	v_add_u32_e32 v23, 2, v20
	s_waitcnt lgkmcnt(0)
	v_cndmask_b32_e64 v22, 0, 1, vcc
	v_lshlrev_b32_e32 v22, 1, v22
	v_add_lshl_u32 v22, v22, v9, 2
	ds_bpermute_b32 v25, v22, v14
	ds_bpermute_b32 v26, v22, v15
	ds_bpermute_b32 v24, v22, v13
	v_cmp_le_u32_e32 vcc, v23, v12
	s_and_saveexec_b64 s[64:65], vcc
	s_cbranch_execz .LBB1483_174
; %bb.173:
	v_mov_b32_e32 v13, 0
	v_cmp_eq_u16_sdwa vcc, v34, v13 src0_sel:BYTE_0 src1_sel:DWORD
	v_and_b32_e32 v13, 1, v34
	s_waitcnt lgkmcnt(1)
	v_cndmask_b32_e32 v27, 0, v26, vcc
	v_cndmask_b32_e32 v26, 0, v25, vcc
	v_cmp_eq_u32_e32 vcc, 1, v13
	s_waitcnt lgkmcnt(0)
	v_and_b32_e32 v13, 1, v24
	v_cmp_eq_u32_e64 s[46:47], 1, v13
	s_or_b64 s[46:47], vcc, s[46:47]
	v_lshl_add_u64 v[14:15], v[26:27], 0, v[14:15]
	v_cndmask_b32_e64 v34, 0, 1, s[46:47]
	v_cndmask_b32_e64 v13, 0, 1, s[46:47]
.LBB1483_174:
	s_or_b64 exec, exec, s[64:65]
	v_cmp_gt_u32_e32 vcc, 60, v20
	s_waitcnt lgkmcnt(2)
	v_add_u32_e32 v25, 4, v20
	s_waitcnt lgkmcnt(0)
	v_cndmask_b32_e64 v24, 0, 1, vcc
	v_lshlrev_b32_e32 v24, 2, v24
	v_add_lshl_u32 v24, v24, v9, 2
	ds_bpermute_b32 v27, v24, v14
	ds_bpermute_b32 v28, v24, v15
	ds_bpermute_b32 v26, v24, v13
	v_cmp_le_u32_e32 vcc, v25, v12
	s_and_saveexec_b64 s[64:65], vcc
	s_cbranch_execz .LBB1483_176
; %bb.175:
	v_mov_b32_e32 v13, 0
	v_cmp_eq_u16_sdwa vcc, v34, v13 src0_sel:BYTE_0 src1_sel:DWORD
	v_and_b32_e32 v13, 1, v34
	s_waitcnt lgkmcnt(1)
	v_cndmask_b32_e32 v29, 0, v28, vcc
	v_cndmask_b32_e32 v28, 0, v27, vcc
	v_cmp_eq_u32_e32 vcc, 1, v13
	s_waitcnt lgkmcnt(0)
	v_and_b32_e32 v13, 1, v26
	v_cmp_eq_u32_e64 s[46:47], 1, v13
	s_or_b64 s[46:47], vcc, s[46:47]
	v_lshl_add_u64 v[14:15], v[28:29], 0, v[14:15]
	v_cndmask_b32_e64 v34, 0, 1, s[46:47]
	v_cndmask_b32_e64 v13, 0, 1, s[46:47]
.LBB1483_176:
	;; [unrolled: 30-line block ×4, first 2 shown]
	s_or_b64 exec, exec, s[64:65]
	v_cmp_gt_u32_e32 vcc, 32, v20
	s_waitcnt lgkmcnt(1)
	v_add_u32_e32 v32, 32, v20
	s_waitcnt lgkmcnt(0)
	v_cndmask_b32_e64 v30, 0, 1, vcc
	v_lshlrev_b32_e32 v30, 5, v30
	v_add_lshl_u32 v31, v30, v9, 2
	ds_bpermute_b32 v30, v31, v14
	ds_bpermute_b32 v33, v31, v15
	;; [unrolled: 1-line block ×3, first 2 shown]
	v_cmp_le_u32_e32 vcc, v32, v12
	s_and_saveexec_b64 s[64:65], vcc
	s_cbranch_execz .LBB1483_182
; %bb.181:
	v_mov_b32_e32 v12, 0
	v_cmp_eq_u16_sdwa vcc, v34, v12 src0_sel:BYTE_0 src1_sel:DWORD
	s_waitcnt lgkmcnt(0)
	v_and_b32_e32 v9, 1, v9
	v_cmp_eq_u32_e64 s[46:47], 1, v9
	v_cndmask_b32_e32 v13, 0, v33, vcc
	v_cndmask_b32_e32 v12, 0, v30, vcc
	v_lshl_add_u64 v[14:15], v[12:13], 0, v[14:15]
	v_and_b32_e32 v12, 1, v34
	v_cmp_eq_u32_e32 vcc, 1, v12
	s_or_b64 s[46:47], vcc, s[46:47]
	v_cndmask_b32_e64 v34, 0, 1, s[46:47]
.LBB1483_182:
	s_or_b64 exec, exec, s[64:65]
	s_waitcnt lgkmcnt(0)
	v_mov_b32_e32 v9, 0
	v_mov_b32_e32 v33, 2
	s_branch .LBB1483_184
.LBB1483_183:                           ;   in Loop: Header=BB1483_184 Depth=1
	s_or_b64 exec, exec, s[72:73]
	v_cmp_eq_u16_sdwa vcc, v30, v9 src0_sel:BYTE_0 src1_sel:DWORD
	v_and_b32_e32 v34, 1, v30
	v_subrev_u32_e32 v8, 64, v8
	v_cndmask_b32_e32 v15, 0, v15, vcc
	v_cndmask_b32_e32 v14, 0, v14, vcc
	v_cmp_eq_u32_e32 vcc, 1, v34
	s_or_b64 s[46:47], vcc, s[64:65]
	v_lshl_add_u64 v[14:15], v[14:15], 0, v[12:13]
	v_cndmask_b32_e64 v34, 0, 1, s[46:47]
.LBB1483_184:                           ; =>This Loop Header: Depth=1
                                        ;     Child Loop BB1483_187 Depth 2
                                        ;       Child Loop BB1483_188 Depth 3
	v_cmp_ne_u16_sdwa s[46:47], v5, v33 src0_sel:BYTE_0 src1_sel:DWORD
	v_mov_b32_e32 v30, v34
	v_mov_b64_e32 v[12:13], v[14:15]
	v_cndmask_b32_e64 v5, 0, 1, s[46:47]
	;;#ASMSTART
	;;#ASMEND
	s_nop 0
	v_cmp_ne_u32_e32 vcc, 0, v5
	s_cmp_lg_u64 vcc, exec
	s_cbranch_scc1 .LBB1483_203
; %bb.185:                              ;   in Loop: Header=BB1483_184 Depth=1
	global_load_ubyte v5, v8, s[52:53] sc1
	s_waitcnt vmcnt(0)
	v_cmp_eq_u16_e32 vcc, 0, v5
	s_and_saveexec_b64 s[46:47], vcc
	s_cbranch_execz .LBB1483_191
; %bb.186:                              ;   in Loop: Header=BB1483_184 Depth=1
	v_lshl_add_u64 v[14:15], s[52:53], 0, v[8:9]
	s_mov_b32 s3, 1
	s_mov_b64 s[64:65], 0
.LBB1483_187:                           ;   Parent Loop BB1483_184 Depth=1
                                        ; =>  This Loop Header: Depth=2
                                        ;       Child Loop BB1483_188 Depth 3
	s_max_u32 s55, s3, 1
.LBB1483_188:                           ;   Parent Loop BB1483_184 Depth=1
                                        ;     Parent Loop BB1483_187 Depth=2
                                        ; =>    This Inner Loop Header: Depth=3
	s_add_i32 s55, s55, -1
	s_cmp_eq_u32 s55, 0
	s_sleep 1
	s_cbranch_scc0 .LBB1483_188
; %bb.189:                              ;   in Loop: Header=BB1483_187 Depth=2
	global_load_ubyte v5, v[14:15], off sc1
	s_cmp_lt_u32 s3, 32
	s_cselect_b64 s[72:73], -1, 0
	s_cmp_lg_u64 s[72:73], 0
	s_addc_u32 s3, s3, 0
	s_waitcnt vmcnt(0)
	v_cmp_ne_u16_e32 vcc, 0, v5
	s_or_b64 s[64:65], vcc, s[64:65]
	s_andn2_b64 exec, exec, s[64:65]
	s_cbranch_execnz .LBB1483_187
; %bb.190:                              ;   in Loop: Header=BB1483_184 Depth=1
	s_or_b64 exec, exec, s[64:65]
.LBB1483_191:                           ;   in Loop: Header=BB1483_184 Depth=1
	s_or_b64 exec, exec, s[46:47]
	v_mov_b32_e32 v14, s51
	v_mov_b32_e32 v15, s49
	v_cmp_eq_u16_e32 vcc, 1, v5
	v_mov_b32_e32 v34, s48
	s_waitcnt vmcnt(0)
	v_cndmask_b32_e32 v15, v14, v15, vcc
	v_mov_b32_e32 v14, s50
	v_cndmask_b32_e32 v14, v14, v34, vcc
	s_waitcnt lgkmcnt(0)
	v_lshl_add_u64 v[36:37], v[8:9], 4, v[14:15]
	global_load_dword v14, v[36:37], off sc1
	global_load_dword v15, v[36:37], off offset:4 sc1
	global_load_dword v34, v[36:37], off offset:8 sc1
	;; [unrolled: 1-line block ×3, first 2 shown]
	v_cmp_eq_u16_e32 vcc, 2, v5
	s_waitcnt vmcnt(3)
	ds_bpermute_b32 v38, v21, v14
	s_waitcnt vmcnt(0)
	v_and_b32_e32 v35, vcc_hi, v11
	v_and_b32_e32 v36, 0xff, v34
	v_or_b32_e32 v35, 0x80000000, v35
	ds_bpermute_b32 v39, v21, v15
	ds_bpermute_b32 v37, v21, v36
	v_and_b32_e32 v82, vcc_lo, v10
	v_ffbl_b32_e32 v35, v35
	v_add_u32_e32 v35, 32, v35
	v_ffbl_b32_e32 v82, v82
	v_min_u32_e32 v35, v82, v35
	v_cmp_lt_u32_e32 vcc, v20, v35
	s_and_saveexec_b64 s[46:47], vcc
	s_cbranch_execz .LBB1483_193
; %bb.192:                              ;   in Loop: Header=BB1483_184 Depth=1
	v_cmp_eq_u16_sdwa vcc, v34, v9 src0_sel:BYTE_0 src1_sel:DWORD
	s_waitcnt lgkmcnt(0)
	v_or_b32_e32 v36, v37, v34
	v_and_b32_e32 v34, 1, v36
	v_cndmask_b32_e32 v39, 0, v39, vcc
	v_cndmask_b32_e32 v38, 0, v38, vcc
	v_lshl_add_u64 v[14:15], v[38:39], 0, v[14:15]
	v_and_b32_e32 v36, 1, v36
.LBB1483_193:                           ;   in Loop: Header=BB1483_184 Depth=1
	s_or_b64 exec, exec, s[46:47]
	s_waitcnt lgkmcnt(2)
	ds_bpermute_b32 v38, v22, v14
	s_waitcnt lgkmcnt(2)
	ds_bpermute_b32 v39, v22, v15
	;; [unrolled: 2-line block ×3, first 2 shown]
	v_and_b32_e32 v82, 1, v34
	v_cmp_le_u32_e32 vcc, v23, v35
	v_cmp_eq_u32_e64 s[64:65], 1, v82
	s_and_saveexec_b64 s[46:47], vcc
	s_cbranch_execz .LBB1483_195
; %bb.194:                              ;   in Loop: Header=BB1483_184 Depth=1
	v_cmp_eq_u16_sdwa vcc, v34, v9 src0_sel:BYTE_0 src1_sel:DWORD
	s_waitcnt lgkmcnt(0)
	v_and_b32_e32 v34, 1, v37
	v_cndmask_b32_e32 v39, 0, v39, vcc
	v_cndmask_b32_e32 v38, 0, v38, vcc
	v_cmp_eq_u32_e32 vcc, 1, v34
	s_or_b64 s[72:73], s[64:65], vcc
	v_cndmask_b32_e64 v34, 0, 1, s[72:73]
	v_cndmask_b32_e64 v36, 0, 1, s[72:73]
	s_andn2_b64 s[64:65], s[64:65], exec
	s_and_b64 s[72:73], s[72:73], exec
	v_lshl_add_u64 v[14:15], v[38:39], 0, v[14:15]
	s_or_b64 s[64:65], s[64:65], s[72:73]
.LBB1483_195:                           ;   in Loop: Header=BB1483_184 Depth=1
	s_or_b64 exec, exec, s[46:47]
	s_waitcnt lgkmcnt(2)
	ds_bpermute_b32 v38, v24, v14
	s_waitcnt lgkmcnt(2)
	ds_bpermute_b32 v39, v24, v15
	s_waitcnt lgkmcnt(2)
	ds_bpermute_b32 v37, v24, v36
	v_cmp_le_u32_e32 vcc, v25, v35
	s_and_saveexec_b64 s[72:73], vcc
	s_cbranch_execz .LBB1483_197
; %bb.196:                              ;   in Loop: Header=BB1483_184 Depth=1
	v_cmp_eq_u16_sdwa vcc, v34, v9 src0_sel:BYTE_0 src1_sel:DWORD
	v_and_b32_e32 v34, 1, v34
	s_andn2_b64 s[64:65], s[64:65], exec
	s_waitcnt lgkmcnt(1)
	v_cndmask_b32_e32 v39, 0, v39, vcc
	v_cndmask_b32_e32 v38, 0, v38, vcc
	v_cmp_eq_u32_e32 vcc, 1, v34
	s_waitcnt lgkmcnt(0)
	v_and_b32_e32 v34, 1, v37
	v_cmp_eq_u32_e64 s[46:47], 1, v34
	s_or_b64 s[46:47], vcc, s[46:47]
	v_lshl_add_u64 v[14:15], v[38:39], 0, v[14:15]
	v_cndmask_b32_e64 v34, 0, 1, s[46:47]
	v_cndmask_b32_e64 v36, 0, 1, s[46:47]
	s_and_b64 s[46:47], s[46:47], exec
	s_or_b64 s[64:65], s[64:65], s[46:47]
.LBB1483_197:                           ;   in Loop: Header=BB1483_184 Depth=1
	s_or_b64 exec, exec, s[72:73]
	s_waitcnt lgkmcnt(2)
	ds_bpermute_b32 v38, v26, v14
	s_waitcnt lgkmcnt(2)
	ds_bpermute_b32 v39, v26, v15
	s_waitcnt lgkmcnt(2)
	ds_bpermute_b32 v37, v26, v36
	v_cmp_le_u32_e32 vcc, v27, v35
	s_and_saveexec_b64 s[72:73], vcc
	s_cbranch_execz .LBB1483_199
; %bb.198:                              ;   in Loop: Header=BB1483_184 Depth=1
	v_cmp_eq_u16_sdwa vcc, v34, v9 src0_sel:BYTE_0 src1_sel:DWORD
	v_and_b32_e32 v34, 1, v34
	s_andn2_b64 s[64:65], s[64:65], exec
	s_waitcnt lgkmcnt(1)
	v_cndmask_b32_e32 v39, 0, v39, vcc
	v_cndmask_b32_e32 v38, 0, v38, vcc
	v_cmp_eq_u32_e32 vcc, 1, v34
	s_waitcnt lgkmcnt(0)
	v_and_b32_e32 v34, 1, v37
	v_cmp_eq_u32_e64 s[46:47], 1, v34
	s_or_b64 s[46:47], vcc, s[46:47]
	v_lshl_add_u64 v[14:15], v[38:39], 0, v[14:15]
	v_cndmask_b32_e64 v34, 0, 1, s[46:47]
	v_cndmask_b32_e64 v36, 0, 1, s[46:47]
	s_and_b64 s[46:47], s[46:47], exec
	s_or_b64 s[64:65], s[64:65], s[46:47]
.LBB1483_199:                           ;   in Loop: Header=BB1483_184 Depth=1
	;; [unrolled: 28-line block ×3, first 2 shown]
	s_or_b64 exec, exec, s[72:73]
	s_waitcnt lgkmcnt(0)
	ds_bpermute_b32 v37, v31, v14
	ds_bpermute_b32 v38, v31, v15
	;; [unrolled: 1-line block ×3, first 2 shown]
	v_cmp_le_u32_e32 vcc, v32, v35
	s_and_saveexec_b64 s[72:73], vcc
	s_cbranch_execz .LBB1483_183
; %bb.202:                              ;   in Loop: Header=BB1483_184 Depth=1
	v_cmp_eq_u16_sdwa vcc, v34, v9 src0_sel:BYTE_0 src1_sel:DWORD
	v_and_b32_e32 v34, 1, v34
	s_andn2_b64 s[64:65], s[64:65], exec
	s_waitcnt lgkmcnt(1)
	v_cndmask_b32_e32 v39, 0, v38, vcc
	v_cndmask_b32_e32 v38, 0, v37, vcc
	v_cmp_eq_u32_e32 vcc, 1, v34
	s_waitcnt lgkmcnt(0)
	v_and_b32_e32 v34, 1, v36
	v_cmp_eq_u32_e64 s[46:47], 1, v34
	s_or_b64 s[46:47], vcc, s[46:47]
	s_and_b64 s[46:47], s[46:47], exec
	v_lshl_add_u64 v[14:15], v[38:39], 0, v[14:15]
	s_or_b64 s[64:65], s[64:65], s[46:47]
	s_branch .LBB1483_183
.LBB1483_203:                           ;   in Loop: Header=BB1483_184 Depth=1
                                        ; implicit-def: $vgpr34
                                        ; implicit-def: $vgpr14_vgpr15
                                        ; implicit-def: $vgpr5
	s_cbranch_execz .LBB1483_184
; %bb.204:
	s_and_saveexec_b64 s[46:47], s[42:43]
	s_cbranch_execz .LBB1483_206
; %bb.205:
	s_mov_b32 s3, 0
	v_mov_b32_e32 v5, 0
	s_add_i32 s2, s2, 64
	v_cmp_eq_u32_sdwa vcc, v4, v5 src0_sel:BYTE_0 src1_sel:DWORD
	s_lshl_b64 s[48:49], s[2:3], 4
	v_and_b32_e32 v4, 1, v4
	v_cndmask_b32_e32 v9, 0, v13, vcc
	v_cndmask_b32_e32 v8, 0, v12, vcc
	s_add_u32 s48, s50, s48
	v_lshl_add_u64 v[2:3], v[8:9], 0, v[2:3]
	v_and_b32_e32 v8, 1, v30
	v_cmp_eq_u32_e32 vcc, 1, v4
	s_addc_u32 s49, s51, s49
	s_nop 0
	v_cndmask_b32_e64 v4, v8, 1, vcc
	global_store_dword v5, v2, s[48:49] sc1
	global_store_dword v5, v3, s[48:49] offset:4 sc1
	global_store_dword v5, v4, s[48:49] offset:8 sc1
	;; [unrolled: 1-line block ×3, first 2 shown]
	v_mov_b32_e32 v2, s2
	v_mov_b32_e32 v3, 2
	s_waitcnt vmcnt(0) lgkmcnt(0)
	global_store_byte v2, v3, s[52:53] sc1
.LBB1483_206:
	s_or_b64 exec, exec, s[46:47]
	v_cmp_eq_u32_e32 vcc, 0, v0
	s_and_b64 exec, exec, vcc
	s_cbranch_execz .LBB1483_208
; %bb.207:
	v_mov_b32_e32 v2, 0
	ds_write_b64 v2, v[12:13] offset:48
	ds_write_b8 v2, v30 offset:56
.LBB1483_208:
	s_or_b64 exec, exec, s[60:61]
	v_mov_b32_e32 v8, 0
	s_waitcnt lgkmcnt(0)
	s_barrier
	ds_read_b64 v[2:3], v8 offset:48
	v_cndmask_b32_e64 v9, v19, v16, s[42:43]
	v_cmp_eq_u16_sdwa vcc, v9, v8 src0_sel:BYTE_0 src1_sel:DWORD
	v_cndmask_b32_e64 v4, v17, v6, s[42:43]
	v_cndmask_b32_e64 v5, v18, v7, s[42:43]
	s_waitcnt lgkmcnt(0)
	v_cndmask_b32_e32 v7, 0, v3, vcc
	v_cndmask_b32_e32 v6, 0, v2, vcc
	v_lshl_add_u64 v[4:5], v[4:5], 0, v[6:7]
	v_cmp_eq_u32_e32 vcc, 0, v0
	s_nop 1
	v_cndmask_b32_e32 v83, v5, v3, vcc
	v_cndmask_b32_e32 v82, v4, v2, vcc
	v_cmp_eq_u16_sdwa vcc, v1, v8 src0_sel:BYTE_0 src1_sel:DWORD
	s_nop 1
	v_cndmask_b32_e32 v3, 0, v83, vcc
	v_cndmask_b32_e32 v2, 0, v82, vcc
	v_lshl_add_u64 v[6:7], v[2:3], 0, v[42:43]
	v_cndmask_b32_e64 v3, 0, v7, s[44:45]
	v_cndmask_b32_e64 v2, 0, v6, s[44:45]
	v_lshl_add_u64 v[2:3], v[2:3], 0, v[44:45]
	v_cndmask_b32_e64 v5, 0, v3, s[4:5]
	v_cndmask_b32_e64 v4, 0, v2, s[4:5]
	;; [unrolled: 3-line block ×19, first 2 shown]
	s_branch .LBB1483_237
.LBB1483_209:
                                        ; implicit-def: $vgpr2_vgpr3_vgpr4_vgpr5
                                        ; implicit-def: $vgpr82_vgpr83
                                        ; implicit-def: $vgpr102_vgpr103
                                        ; implicit-def: $vgpr100_vgpr101
                                        ; implicit-def: $vgpr98_vgpr99
                                        ; implicit-def: $vgpr96_vgpr97
                                        ; implicit-def: $vgpr94_vgpr95
                                        ; implicit-def: $vgpr92_vgpr93
                                        ; implicit-def: $vgpr90_vgpr91
                                        ; implicit-def: $vgpr88_vgpr89
                                        ; implicit-def: $vgpr86_vgpr87
                                        ; implicit-def: $vgpr84_vgpr85
                                        ; implicit-def: $vgpr36_vgpr37_vgpr38_vgpr39
                                        ; implicit-def: $vgpr32_vgpr33_vgpr34_vgpr35
                                        ; implicit-def: $vgpr28_vgpr29_vgpr30_vgpr31
                                        ; implicit-def: $vgpr24_vgpr25_vgpr26_vgpr27
                                        ; implicit-def: $vgpr20_vgpr21_vgpr22_vgpr23
                                        ; implicit-def: $vgpr16_vgpr17_vgpr18_vgpr19
                                        ; implicit-def: $vgpr12_vgpr13_vgpr14_vgpr15
                                        ; implicit-def: $vgpr8_vgpr9_vgpr10_vgpr11
                                        ; implicit-def: $vgpr4_vgpr5_vgpr6_vgpr7
	s_cbranch_execz .LBB1483_237
; %bb.210:
	s_cmp_lg_u64 s[70:71], 0
	s_cselect_b32 s3, s67, 0
	s_cselect_b32 s2, s66, 0
	s_cmp_eq_u64 s[2:3], 0
	v_mov_b64_e32 v[4:5], s[68:69]
	s_cbranch_scc1 .LBB1483_212
; %bb.211:
	v_mov_b32_e32 v2, 0
	global_load_dwordx2 v[4:5], v2, s[2:3]
.LBB1483_212:
	v_mov_b32_e32 v6, 0
	v_cmp_eq_u16_sdwa vcc, v104, v6 src0_sel:BYTE_0 src1_sel:DWORD
	v_cmp_eq_u16_sdwa s[2:3], v105, v6 src0_sel:BYTE_0 src1_sel:DWORD
	v_cmp_eq_u16_sdwa s[4:5], v107, v6 src0_sel:BYTE_0 src1_sel:DWORD
	v_cndmask_b32_e32 v3, 0, v43, vcc
	v_cndmask_b32_e32 v2, 0, v42, vcc
	v_lshl_add_u64 v[2:3], v[2:3], 0, v[44:45]
	v_cndmask_b32_e64 v3, 0, v3, s[2:3]
	v_cndmask_b32_e64 v2, 0, v2, s[2:3]
	v_lshl_add_u64 v[2:3], v[2:3], 0, v[46:47]
	v_cndmask_b32_e64 v3, 0, v3, s[4:5]
	v_cndmask_b32_e64 v2, 0, v2, s[4:5]
	v_lshl_add_u64 v[2:3], v[2:3], 0, v[48:49]
	v_cmp_eq_u16_sdwa s[6:7], v108, v6 src0_sel:BYTE_0 src1_sel:DWORD
	v_cmp_eq_u16_sdwa s[8:9], v109, v6 src0_sel:BYTE_0 src1_sel:DWORD
	v_cmp_eq_u16_sdwa s[10:11], v110, v6 src0_sel:BYTE_0 src1_sel:DWORD
	v_cndmask_b32_e64 v3, 0, v3, s[6:7]
	v_cndmask_b32_e64 v2, 0, v2, s[6:7]
	v_lshl_add_u64 v[2:3], v[2:3], 0, v[50:51]
	v_cndmask_b32_e64 v3, 0, v3, s[8:9]
	v_cndmask_b32_e64 v2, 0, v2, s[8:9]
	v_lshl_add_u64 v[2:3], v[2:3], 0, v[52:53]
	v_cndmask_b32_e64 v3, 0, v3, s[10:11]
	v_cndmask_b32_e64 v2, 0, v2, s[10:11]
	v_lshl_add_u64 v[2:3], v[2:3], 0, v[54:55]
	v_cmp_eq_u16_sdwa s[12:13], v111, v6 src0_sel:BYTE_0 src1_sel:DWORD
	v_cmp_eq_u16_sdwa s[14:15], v112, v6 src0_sel:BYTE_0 src1_sel:DWORD
	v_cmp_eq_u16_sdwa s[16:17], v113, v6 src0_sel:BYTE_0 src1_sel:DWORD
	v_cndmask_b32_e64 v3, 0, v3, s[12:13]
	v_cndmask_b32_e64 v2, 0, v2, s[12:13]
	;; [unrolled: 12-line block ×3, first 2 shown]
	v_lshl_add_u64 v[2:3], v[2:3], 0, v[62:63]
	v_cndmask_b32_e64 v3, 0, v3, s[20:21]
	v_cndmask_b32_e64 v2, 0, v2, s[20:21]
	v_lshl_add_u64 v[2:3], v[2:3], 0, v[64:65]
	v_cmp_eq_u16_sdwa s[24:25], v117, v6 src0_sel:BYTE_0 src1_sel:DWORD
	v_cmp_eq_u16_sdwa s[26:27], v118, v6 src0_sel:BYTE_0 src1_sel:DWORD
	;; [unrolled: 1-line block ×8, first 2 shown]
	v_or_b32_e32 v6, v125, v121
	v_cndmask_b32_e64 v3, 0, v3, s[22:23]
	v_cndmask_b32_e64 v2, 0, v2, s[22:23]
	v_or_b32_e32 v6, v6, v120
	v_lshl_add_u64 v[2:3], v[2:3], 0, v[66:67]
	v_or_b32_e32 v6, v6, v119
	v_cndmask_b32_e64 v3, 0, v3, s[24:25]
	v_cndmask_b32_e64 v2, 0, v2, s[24:25]
	v_or_b32_e32 v6, v6, v118
	v_lshl_add_u64 v[2:3], v[2:3], 0, v[68:69]
	;; [unrolled: 5-line block ×8, first 2 shown]
	v_or_b32_e32 v6, v6, v104
	v_cndmask_b32_e64 v3, 0, v3, s[40:41]
	v_cndmask_b32_e64 v2, 0, v2, s[40:41]
	v_or_b32_e32 v6, v6, v1
	v_mbcnt_hi_u32_b32 v8, -1, v124
	v_lshl_add_u64 v[2:3], v[2:3], 0, v[80:81]
	v_and_b32_e32 v9, 1, v6
	v_and_b32_e32 v7, 15, v8
	v_cmp_eq_u32_e64 s[40:41], 1, v9
	v_mov_b32_dpp v11, v2 row_shr:1 row_mask:0xf bank_mask:0xf
	v_mov_b32_dpp v12, v3 row_shr:1 row_mask:0xf bank_mask:0xf
	;; [unrolled: 1-line block ×3, first 2 shown]
	v_cmp_ne_u32_e64 s[42:43], 0, v7
	v_mov_b32_e32 v6, v9
	s_and_saveexec_b64 s[44:45], s[42:43]
; %bb.213:
	v_and_b32_e32 v6, 1, v10
	v_cndmask_b32_e64 v13, v12, 0, s[40:41]
	v_cndmask_b32_e64 v12, v11, 0, s[40:41]
	v_or_b32_e32 v9, v6, v9
	v_lshl_add_u64 v[2:3], v[12:13], 0, v[2:3]
	v_and_b32_e32 v6, 0xffff, v9
; %bb.214:
	s_or_b64 exec, exec, s[44:45]
	v_mov_b32_dpp v11, v2 row_shr:2 row_mask:0xf bank_mask:0xf
	v_mov_b32_dpp v12, v3 row_shr:2 row_mask:0xf bank_mask:0xf
	;; [unrolled: 1-line block ×3, first 2 shown]
	v_cmp_lt_u32_e64 s[40:41], 1, v7
	s_and_saveexec_b64 s[44:45], s[40:41]
; %bb.215:
	v_cmp_eq_u16_e64 s[40:41], 0, v9
	v_and_b32_e32 v6, 1, v9
	s_nop 0
	v_cndmask_b32_e64 v13, 0, v12, s[40:41]
	v_cndmask_b32_e64 v12, 0, v11, s[40:41]
	v_cmp_eq_u32_e64 s[40:41], 1, v6
	v_and_b32_e32 v6, 1, v10
	v_cmp_eq_u32_e64 s[42:43], 1, v6
	s_or_b64 s[40:41], s[40:41], s[42:43]
	v_lshl_add_u64 v[2:3], v[12:13], 0, v[2:3]
	v_cndmask_b32_e64 v9, 0, 1, s[40:41]
	v_cndmask_b32_e64 v6, 0, 1, s[40:41]
; %bb.216:
	s_or_b64 exec, exec, s[44:45]
	v_mov_b32_dpp v11, v2 row_shr:4 row_mask:0xf bank_mask:0xf
	v_mov_b32_dpp v12, v3 row_shr:4 row_mask:0xf bank_mask:0xf
	;; [unrolled: 1-line block ×3, first 2 shown]
	v_cmp_lt_u32_e64 s[40:41], 3, v7
	s_and_saveexec_b64 s[44:45], s[40:41]
; %bb.217:
	v_cmp_eq_u16_e64 s[40:41], 0, v9
	v_and_b32_e32 v6, 1, v9
	s_nop 0
	v_cndmask_b32_e64 v13, 0, v12, s[40:41]
	v_cndmask_b32_e64 v12, 0, v11, s[40:41]
	v_cmp_eq_u32_e64 s[40:41], 1, v6
	v_and_b32_e32 v6, 1, v10
	v_cmp_eq_u32_e64 s[42:43], 1, v6
	s_or_b64 s[40:41], s[40:41], s[42:43]
	v_lshl_add_u64 v[2:3], v[12:13], 0, v[2:3]
	v_cndmask_b32_e64 v9, 0, 1, s[40:41]
	v_cndmask_b32_e64 v6, 0, 1, s[40:41]
; %bb.218:
	s_or_b64 exec, exec, s[44:45]
	v_mov_b32_dpp v11, v2 row_shr:8 row_mask:0xf bank_mask:0xf
	v_mov_b32_dpp v12, v3 row_shr:8 row_mask:0xf bank_mask:0xf
	;; [unrolled: 1-line block ×3, first 2 shown]
	v_cmp_lt_u32_e64 s[40:41], 7, v7
	s_and_saveexec_b64 s[44:45], s[40:41]
; %bb.219:
	v_cmp_eq_u16_e64 s[40:41], 0, v9
	s_nop 1
	v_cndmask_b32_e64 v7, 0, v12, s[40:41]
	v_cndmask_b32_e64 v6, 0, v11, s[40:41]
	v_lshl_add_u64 v[2:3], v[6:7], 0, v[2:3]
	v_and_b32_e32 v6, 1, v9
	v_cmp_eq_u32_e64 s[40:41], 1, v6
	v_and_b32_e32 v6, 1, v10
	v_cmp_eq_u32_e64 s[42:43], 1, v6
	s_or_b64 s[40:41], s[40:41], s[42:43]
	v_cndmask_b32_e64 v9, 0, 1, s[40:41]
	v_cndmask_b32_e64 v6, 0, 1, s[40:41]
; %bb.220:
	s_or_b64 exec, exec, s[44:45]
	v_and_b32_e32 v12, 16, v8
	v_mov_b32_dpp v10, v2 row_bcast:15 row_mask:0xf bank_mask:0xf
	v_mov_b32_dpp v11, v3 row_bcast:15 row_mask:0xf bank_mask:0xf
	;; [unrolled: 1-line block ×3, first 2 shown]
	v_cmp_ne_u32_e64 s[40:41], 0, v12
	s_and_saveexec_b64 s[44:45], s[40:41]
; %bb.221:
	v_cmp_eq_u16_e64 s[40:41], 0, v9
	v_and_b32_e32 v6, 1, v9
	s_nop 0
	v_cndmask_b32_e64 v11, 0, v11, s[40:41]
	v_cndmask_b32_e64 v10, 0, v10, s[40:41]
	v_cmp_eq_u32_e64 s[40:41], 1, v6
	v_and_b32_e32 v6, 1, v7
	v_cmp_eq_u32_e64 s[42:43], 1, v6
	s_or_b64 s[40:41], s[40:41], s[42:43]
	v_lshl_add_u64 v[2:3], v[10:11], 0, v[2:3]
	v_cndmask_b32_e64 v9, 0, 1, s[40:41]
	v_cndmask_b32_e64 v6, 0, 1, s[40:41]
; %bb.222:
	s_or_b64 exec, exec, s[44:45]
	v_mov_b32_dpp v7, v2 row_bcast:31 row_mask:0xf bank_mask:0xf
	v_mov_b32_dpp v10, v3 row_bcast:31 row_mask:0xf bank_mask:0xf
	;; [unrolled: 1-line block ×3, first 2 shown]
	v_cmp_lt_u32_e64 s[40:41], 31, v8
	s_and_saveexec_b64 s[44:45], s[40:41]
; %bb.223:
	v_cmp_eq_u16_e64 s[40:41], 0, v9
	v_and_b32_e32 v6, 1, v6
	v_cmp_eq_u32_e64 s[42:43], 1, v6
	v_cndmask_b32_e64 v11, 0, v10, s[40:41]
	v_cndmask_b32_e64 v10, 0, v7, s[40:41]
	v_and_b32_e32 v7, 1, v9
	v_cmp_eq_u32_e64 s[40:41], 1, v7
	s_or_b64 s[40:41], s[40:41], s[42:43]
	v_lshl_add_u64 v[2:3], v[10:11], 0, v[2:3]
	v_cndmask_b32_e64 v9, 0, 1, s[40:41]
; %bb.224:
	s_or_b64 exec, exec, s[44:45]
	v_or_b32_e32 v6, 63, v0
	v_lshrrev_b32_e32 v10, 6, v0
	v_cmp_eq_u32_e64 s[40:41], v6, v0
	s_and_saveexec_b64 s[42:43], s[40:41]
	s_cbranch_execz .LBB1483_226
; %bb.225:
	v_lshlrev_b32_e32 v6, 4, v10
	ds_write_b64 v6, v[2:3]
	ds_write_b8 v6, v9 offset:8
.LBB1483_226:
	s_or_b64 exec, exec, s[42:43]
	v_cmp_gt_u32_e64 s[40:41], 4, v0
	s_waitcnt lgkmcnt(0)
	s_barrier
	s_and_saveexec_b64 s[44:45], s[40:41]
	s_cbranch_execz .LBB1483_232
; %bb.227:
	v_lshlrev_b32_e32 v11, 4, v0
	ds_read_b64 v[6:7], v11
	ds_read_b32 v12, v11 offset:8
	v_and_b32_e32 v13, 3, v8
	v_cmp_ne_u32_e64 s[40:41], 0, v13
	s_waitcnt lgkmcnt(1)
	v_mov_b32_dpp v17, v6 row_shr:1 row_mask:0xf bank_mask:0xf
	v_mov_b32_dpp v18, v7 row_shr:1 row_mask:0xf bank_mask:0xf
	s_waitcnt lgkmcnt(0)
	v_mov_b32_dpp v16, v12 row_shr:1 row_mask:0xf bank_mask:0xf
	v_mov_b32_e32 v14, v12
	v_mov_b32_e32 v15, v12
	s_and_saveexec_b64 s[42:43], s[40:41]
; %bb.228:
	v_mov_b32_e32 v14, 0
	v_cmp_eq_u16_sdwa s[40:41], v12, v14 src0_sel:BYTE_0 src1_sel:DWORD
	s_nop 1
	v_cndmask_b32_e64 v15, 0, v18, s[40:41]
	v_cndmask_b32_e64 v14, 0, v17, s[40:41]
	v_lshl_add_u64 v[6:7], v[14:15], 0, v[6:7]
	v_or_b32_e32 v15, v16, v12
	v_and_b32_e32 v14, 1, v15
	v_and_b32_e32 v15, 1, v15
	s_movk_i32 s40, 0xff00
	v_and_or_b32 v12, v12, s40, v15
; %bb.229:
	s_or_b64 exec, exec, s[42:43]
	v_mov_b32_dpp v16, v6 row_shr:2 row_mask:0xf bank_mask:0xf
	v_mov_b32_dpp v17, v7 row_shr:2 row_mask:0xf bank_mask:0xf
	v_mov_b32_dpp v12, v12 row_shr:2 row_mask:0xf bank_mask:0xf
	v_cmp_lt_u32_e64 s[40:41], 1, v13
	s_and_saveexec_b64 s[46:47], s[40:41]
; %bb.230:
	v_mov_b32_e32 v13, 0
	v_cmp_eq_u16_sdwa s[40:41], v15, v13 src0_sel:BYTE_0 src1_sel:DWORD
	v_and_b32_e32 v13, 1, v15
	v_and_b32_e32 v12, 1, v12
	v_cndmask_b32_e64 v17, 0, v17, s[40:41]
	v_cndmask_b32_e64 v16, 0, v16, s[40:41]
	v_cmp_eq_u32_e64 s[40:41], 1, v13
	v_cmp_eq_u32_e64 s[42:43], 1, v12
	s_or_b64 s[40:41], s[40:41], s[42:43]
	v_lshl_add_u64 v[6:7], v[16:17], 0, v[6:7]
	v_cndmask_b32_e64 v14, 0, 1, s[40:41]
; %bb.231:
	s_or_b64 exec, exec, s[46:47]
	ds_write_b64 v11, v[6:7]
	ds_write_b8 v11, v14 offset:8
.LBB1483_232:
	s_or_b64 exec, exec, s[44:45]
	v_cmp_lt_u32_e64 s[40:41], 63, v0
	s_waitcnt vmcnt(0)
	v_mov_b64_e32 v[6:7], v[4:5]
	s_waitcnt lgkmcnt(0)
	s_barrier
	s_and_saveexec_b64 s[42:43], s[40:41]
	s_cbranch_execz .LBB1483_234
; %bb.233:
	v_lshl_add_u32 v6, v10, 4, -16
	ds_read_u8 v10, v6 offset:8
	ds_read_b64 v[6:7], v6
	s_waitcnt lgkmcnt(1)
	v_cmp_eq_u16_e64 s[40:41], 0, v10
	s_nop 1
	v_cndmask_b32_e64 v11, 0, v5, s[40:41]
	v_cndmask_b32_e64 v10, 0, v4, s[40:41]
	s_waitcnt lgkmcnt(0)
	v_lshl_add_u64 v[6:7], v[10:11], 0, v[6:7]
.LBB1483_234:
	s_or_b64 exec, exec, s[42:43]
	v_cmp_eq_u16_e64 s[40:41], 0, v9
	v_add_u32_e32 v9, -1, v8
	s_nop 0
	v_cndmask_b32_e64 v11, 0, v7, s[40:41]
	v_cndmask_b32_e64 v10, 0, v6, s[40:41]
	v_lshl_add_u64 v[2:3], v[10:11], 0, v[2:3]
	v_and_b32_e32 v10, 64, v8
	v_cmp_lt_i32_e64 s[40:41], v9, v10
	v_mov_b32_e32 v10, 0
	v_cmp_eq_u16_sdwa s[42:43], v1, v10 src0_sel:BYTE_0 src1_sel:DWORD
	v_cndmask_b32_e64 v9, v9, v8, s[40:41]
	v_lshlrev_b32_e32 v9, 2, v9
	ds_bpermute_b32 v3, v9, v3
	ds_bpermute_b32 v2, v9, v2
	v_cmp_eq_u32_e64 s[40:41], 0, v8
	s_waitcnt lgkmcnt(1)
	s_nop 0
	v_cndmask_b32_e64 v83, v3, v7, s[40:41]
	s_waitcnt lgkmcnt(0)
	v_cndmask_b32_e64 v82, v2, v6, s[40:41]
	v_cmp_eq_u32_e64 s[40:41], 0, v0
	s_nop 1
	v_cndmask_b32_e64 v2, v82, v4, s[40:41]
	v_cndmask_b32_e64 v3, v83, v5, s[40:41]
	;; [unrolled: 1-line block ×4, first 2 shown]
	v_lshl_add_u64 v[6:7], v[2:3], 0, v[42:43]
	v_cndmask_b32_e32 v3, 0, v7, vcc
	v_cndmask_b32_e32 v2, 0, v6, vcc
	v_lshl_add_u64 v[2:3], v[2:3], 0, v[44:45]
	v_cndmask_b32_e64 v9, 0, v3, s[2:3]
	v_cndmask_b32_e64 v8, 0, v2, s[2:3]
	v_lshl_add_u64 v[84:85], v[8:9], 0, v[46:47]
	v_cndmask_b32_e64 v9, 0, v85, s[4:5]
	v_cndmask_b32_e64 v8, 0, v84, s[4:5]
	;; [unrolled: 3-line block ×18, first 2 shown]
	s_and_saveexec_b64 s[2:3], s[40:41]
	s_cbranch_execz .LBB1483_236
; %bb.235:
	ds_read_u8 v1, v10 offset:56
	ds_read_b64 v[14:15], v10 offset:48
	v_mov_b64_e32 v[82:83], v[4:5]
	s_waitcnt lgkmcnt(1)
	v_cmp_eq_u32_e32 vcc, 0, v1
	s_nop 1
	v_cndmask_b32_e32 v19, 0, v5, vcc
	v_cndmask_b32_e32 v18, 0, v4, vcc
	s_waitcnt lgkmcnt(0)
	v_lshl_add_u64 v[14:15], v[18:19], 0, v[14:15]
	global_store_dword v10, v14, s[50:51] offset:1024 sc1
	global_store_dword v10, v15, s[50:51] offset:1028 sc1
	;; [unrolled: 1-line block ×4, first 2 shown]
	v_mov_b32_e32 v1, 2
	s_waitcnt vmcnt(0)
	global_store_byte v10, v1, s[52:53] offset:64 sc1
.LBB1483_236:
	s_or_b64 exec, exec, s[2:3]
.LBB1483_237:
	s_add_u32 s2, s62, s56
	s_addc_u32 s3, s63, s57
	s_add_u32 s2, s2, s58
	v_lshl_add_u64 v[10:11], v[102:103], 0, v[40:41]
	s_addc_u32 s3, s3, s59
	s_and_b64 vcc, exec, s[0:1]
	v_lshlrev_b32_e32 v4, 3, v0
	s_cbranch_vccz .LBB1483_279
; %bb.238:
	s_movk_i32 s0, 0xa8
	v_mul_i32_i24_e32 v18, 0xffffff60, v0
	v_mul_u32_u24_e32 v1, 0xa8, v0
	v_mad_u32_u24 v5, v0, s0, v18
	s_barrier
	ds_write2_b64 v1, v[82:83], v[6:7] offset1:1
	ds_write2_b64 v1, v[2:3], v[84:85] offset0:2 offset1:3
	ds_write2_b64 v1, v[8:9], v[86:87] offset0:4 offset1:5
	;; [unrolled: 1-line block ×9, first 2 shown]
	ds_write_b64 v1, v[10:11] offset:160
	s_waitcnt lgkmcnt(0)
	s_barrier
	ds_read2st64_b64 v[74:77], v5 offset0:4 offset1:8
	ds_read2st64_b64 v[70:73], v5 offset0:12 offset1:16
	;; [unrolled: 1-line block ×10, first 2 shown]
	s_add_i32 s33, s33, s54
	v_mov_b32_e32 v5, 0
	v_lshl_add_u64 v[14:15], s[2:3], 0, v[4:5]
	v_cmp_gt_u32_e32 vcc, s33, v0
	s_and_saveexec_b64 s[0:1], vcc
	s_cbranch_execz .LBB1483_240
; %bb.239:
	v_add_u32_e32 v1, v1, v18
	ds_read_b64 v[18:19], v1
	s_waitcnt lgkmcnt(0)
	flat_store_dwordx2 v[14:15], v[18:19]
.LBB1483_240:
	s_or_b64 exec, exec, s[0:1]
	v_or_b32_e32 v1, 0x100, v0
	v_cmp_gt_u32_e32 vcc, s33, v1
	s_and_saveexec_b64 s[0:1], vcc
	s_cbranch_execz .LBB1483_242
; %bb.241:
	s_waitcnt lgkmcnt(0)
	flat_store_dwordx2 v[14:15], v[74:75] offset:2048
.LBB1483_242:
	s_or_b64 exec, exec, s[0:1]
	v_or_b32_e32 v1, 0x200, v0
	v_cmp_gt_u32_e32 vcc, s33, v1
	s_and_saveexec_b64 s[0:1], vcc
	s_cbranch_execz .LBB1483_244
; %bb.243:
	v_add_co_u32_e32 v18, vcc, 0x1000, v14
	s_nop 1
	v_addc_co_u32_e32 v19, vcc, 0, v15, vcc
	s_waitcnt lgkmcnt(0)
	flat_store_dwordx2 v[18:19], v[76:77]
.LBB1483_244:
	s_or_b64 exec, exec, s[0:1]
	v_or_b32_e32 v1, 0x300, v0
	v_cmp_gt_u32_e32 vcc, s33, v1
	s_and_saveexec_b64 s[0:1], vcc
	s_cbranch_execz .LBB1483_246
; %bb.245:
	v_add_co_u32_e32 v18, vcc, 0x1000, v14
	s_nop 1
	v_addc_co_u32_e32 v19, vcc, 0, v15, vcc
	s_waitcnt lgkmcnt(0)
	flat_store_dwordx2 v[18:19], v[70:71] offset:2048
.LBB1483_246:
	s_or_b64 exec, exec, s[0:1]
	v_or_b32_e32 v1, 0x400, v0
	v_cmp_gt_u32_e32 vcc, s33, v1
	s_and_saveexec_b64 s[0:1], vcc
	s_cbranch_execz .LBB1483_248
; %bb.247:
	v_add_co_u32_e32 v18, vcc, 0x2000, v14
	s_nop 1
	v_addc_co_u32_e32 v19, vcc, 0, v15, vcc
	s_waitcnt lgkmcnt(0)
	flat_store_dwordx2 v[18:19], v[72:73]
.LBB1483_248:
	s_or_b64 exec, exec, s[0:1]
	v_or_b32_e32 v1, 0x500, v0
	v_cmp_gt_u32_e32 vcc, s33, v1
	s_and_saveexec_b64 s[0:1], vcc
	s_cbranch_execz .LBB1483_250
; %bb.249:
	v_add_co_u32_e32 v18, vcc, 0x2000, v14
	s_nop 1
	v_addc_co_u32_e32 v19, vcc, 0, v15, vcc
	s_waitcnt lgkmcnt(0)
	flat_store_dwordx2 v[18:19], v[66:67] offset:2048
.LBB1483_250:
	;; [unrolled: 24-line block ×9, first 2 shown]
	s_or_b64 exec, exec, s[0:1]
	v_mov_b32_e32 v1, v5
	v_or_b32_e32 v5, 0x1400, v0
	v_cmp_gt_u32_e64 s[0:1], s33, v5
	s_branch .LBB1483_281
.LBB1483_279:
	s_mov_b64 s[0:1], 0
                                        ; implicit-def: $vgpr40_vgpr41
	s_cbranch_execz .LBB1483_281
; %bb.280:
	v_mul_u32_u24_e32 v1, 0xa8, v0
	s_waitcnt lgkmcnt(0)
	s_barrier
	s_movk_i32 s4, 0xa8
	ds_write2_b64 v1, v[82:83], v[6:7] offset1:1
	ds_write2_b64 v1, v[2:3], v[84:85] offset0:2 offset1:3
	ds_write2_b64 v1, v[8:9], v[86:87] offset0:4 offset1:5
	;; [unrolled: 1-line block ×9, first 2 shown]
	ds_write_b64 v1, v[10:11] offset:160
	v_mov_b32_e32 v1, 0
	v_mul_i32_i24_e32 v2, 0xffffff60, v0
	v_mad_u32_u24 v2, v0, s4, v2
	v_mov_b32_e32 v5, v1
	s_waitcnt lgkmcnt(0)
	s_barrier
	ds_read2st64_b64 v[6:9], v2 offset1:4
	ds_read2st64_b64 v[10:13], v2 offset0:8 offset1:12
	ds_read2st64_b64 v[14:17], v2 offset0:16 offset1:20
	;; [unrolled: 1-line block ×9, first 2 shown]
	ds_read_b64 v[40:41], v2 offset:40960
	v_lshl_add_u64 v[2:3], s[2:3], 0, v[4:5]
	s_movk_i32 s4, 0x1000
	v_add_co_u32_e32 v4, vcc, s4, v2
	s_movk_i32 s4, 0x2000
	s_nop 0
	v_addc_co_u32_e32 v5, vcc, 0, v3, vcc
	s_waitcnt lgkmcnt(0)
	flat_store_dwordx2 v[2:3], v[6:7]
	flat_store_dwordx2 v[2:3], v[8:9] offset:2048
	flat_store_dwordx2 v[4:5], v[10:11]
	flat_store_dwordx2 v[4:5], v[12:13] offset:2048
	v_add_co_u32_e32 v4, vcc, s4, v2
	s_movk_i32 s4, 0x3000
	s_nop 0
	v_addc_co_u32_e32 v5, vcc, 0, v3, vcc
	flat_store_dwordx2 v[4:5], v[14:15]
	flat_store_dwordx2 v[4:5], v[16:17] offset:2048
	v_add_co_u32_e32 v4, vcc, s4, v2
	s_movk_i32 s4, 0x4000
	s_nop 0
	v_addc_co_u32_e32 v5, vcc, 0, v3, vcc
	;; [unrolled: 6-line block ×5, first 2 shown]
	flat_store_dwordx2 v[4:5], v[30:31]
	flat_store_dwordx2 v[4:5], v[32:33] offset:2048
	v_add_co_u32_e32 v4, vcc, s4, v2
	s_or_b64 s[0:1], s[0:1], exec
	s_nop 0
	v_addc_co_u32_e32 v5, vcc, 0, v3, vcc
	flat_store_dwordx2 v[4:5], v[34:35]
	flat_store_dwordx2 v[4:5], v[36:37] offset:2048
	v_add_co_u32_e32 v4, vcc, 0x8000, v2
	s_nop 1
	v_addc_co_u32_e32 v5, vcc, 0, v3, vcc
	v_add_co_u32_e32 v2, vcc, 0x9000, v2
	flat_store_dwordx2 v[4:5], v[42:43]
	flat_store_dwordx2 v[4:5], v[44:45] offset:2048
	v_addc_co_u32_e32 v3, vcc, 0, v3, vcc
	flat_store_dwordx2 v[2:3], v[46:47]
	flat_store_dwordx2 v[2:3], v[48:49] offset:2048
.LBB1483_281:
	s_and_saveexec_b64 s[4:5], s[0:1]
	s_cbranch_execz .LBB1483_283
; %bb.282:
	v_lshl_add_u64 v[0:1], v[0:1], 3, s[2:3]
	v_add_co_u32_e32 v0, vcc, 0xa000, v0
	s_nop 1
	v_addc_co_u32_e32 v1, vcc, 0, v1, vcc
	s_waitcnt lgkmcnt(0)
	flat_store_dwordx2 v[0:1], v[40:41]
	s_endpgm
.LBB1483_283:
	s_endpgm
	.section	.rodata,"a",@progbits
	.p2align	6, 0x0
	.amdhsa_kernel _ZN7rocprim17ROCPRIM_400000_NS6detail17trampoline_kernelINS0_14default_configENS1_27scan_by_key_config_selectorIiyEEZZNS1_16scan_by_key_implILNS1_25lookback_scan_determinismE0ELb1ES3_N6thrust23THRUST_200600_302600_NS6detail15normal_iteratorINS9_10device_ptrIiEEEENSB_INSC_IyEEEESG_yNS9_4plusIvEENS9_8equal_toIvEEyEE10hipError_tPvRmT2_T3_T4_T5_mT6_T7_P12ihipStream_tbENKUlT_T0_E_clISt17integral_constantIbLb1EES10_IbLb0EEEEDaSW_SX_EUlSW_E_NS1_11comp_targetILNS1_3genE5ELNS1_11target_archE942ELNS1_3gpuE9ELNS1_3repE0EEENS1_30default_config_static_selectorELNS0_4arch9wavefront6targetE1EEEvT1_
		.amdhsa_group_segment_fixed_size 43008
		.amdhsa_private_segment_fixed_size 0
		.amdhsa_kernarg_size 136
		.amdhsa_user_sgpr_count 2
		.amdhsa_user_sgpr_dispatch_ptr 0
		.amdhsa_user_sgpr_queue_ptr 0
		.amdhsa_user_sgpr_kernarg_segment_ptr 1
		.amdhsa_user_sgpr_dispatch_id 0
		.amdhsa_user_sgpr_kernarg_preload_length 0
		.amdhsa_user_sgpr_kernarg_preload_offset 0
		.amdhsa_user_sgpr_private_segment_size 0
		.amdhsa_uses_dynamic_stack 0
		.amdhsa_enable_private_segment 0
		.amdhsa_system_sgpr_workgroup_id_x 1
		.amdhsa_system_sgpr_workgroup_id_y 0
		.amdhsa_system_sgpr_workgroup_id_z 0
		.amdhsa_system_sgpr_workgroup_info 0
		.amdhsa_system_vgpr_workitem_id 0
		.amdhsa_next_free_vgpr 126
		.amdhsa_next_free_sgpr 78
		.amdhsa_accum_offset 128
		.amdhsa_reserve_vcc 1
		.amdhsa_float_round_mode_32 0
		.amdhsa_float_round_mode_16_64 0
		.amdhsa_float_denorm_mode_32 3
		.amdhsa_float_denorm_mode_16_64 3
		.amdhsa_dx10_clamp 1
		.amdhsa_ieee_mode 1
		.amdhsa_fp16_overflow 0
		.amdhsa_tg_split 0
		.amdhsa_exception_fp_ieee_invalid_op 0
		.amdhsa_exception_fp_denorm_src 0
		.amdhsa_exception_fp_ieee_div_zero 0
		.amdhsa_exception_fp_ieee_overflow 0
		.amdhsa_exception_fp_ieee_underflow 0
		.amdhsa_exception_fp_ieee_inexact 0
		.amdhsa_exception_int_div_zero 0
	.end_amdhsa_kernel
	.section	.text._ZN7rocprim17ROCPRIM_400000_NS6detail17trampoline_kernelINS0_14default_configENS1_27scan_by_key_config_selectorIiyEEZZNS1_16scan_by_key_implILNS1_25lookback_scan_determinismE0ELb1ES3_N6thrust23THRUST_200600_302600_NS6detail15normal_iteratorINS9_10device_ptrIiEEEENSB_INSC_IyEEEESG_yNS9_4plusIvEENS9_8equal_toIvEEyEE10hipError_tPvRmT2_T3_T4_T5_mT6_T7_P12ihipStream_tbENKUlT_T0_E_clISt17integral_constantIbLb1EES10_IbLb0EEEEDaSW_SX_EUlSW_E_NS1_11comp_targetILNS1_3genE5ELNS1_11target_archE942ELNS1_3gpuE9ELNS1_3repE0EEENS1_30default_config_static_selectorELNS0_4arch9wavefront6targetE1EEEvT1_,"axG",@progbits,_ZN7rocprim17ROCPRIM_400000_NS6detail17trampoline_kernelINS0_14default_configENS1_27scan_by_key_config_selectorIiyEEZZNS1_16scan_by_key_implILNS1_25lookback_scan_determinismE0ELb1ES3_N6thrust23THRUST_200600_302600_NS6detail15normal_iteratorINS9_10device_ptrIiEEEENSB_INSC_IyEEEESG_yNS9_4plusIvEENS9_8equal_toIvEEyEE10hipError_tPvRmT2_T3_T4_T5_mT6_T7_P12ihipStream_tbENKUlT_T0_E_clISt17integral_constantIbLb1EES10_IbLb0EEEEDaSW_SX_EUlSW_E_NS1_11comp_targetILNS1_3genE5ELNS1_11target_archE942ELNS1_3gpuE9ELNS1_3repE0EEENS1_30default_config_static_selectorELNS0_4arch9wavefront6targetE1EEEvT1_,comdat
.Lfunc_end1483:
	.size	_ZN7rocprim17ROCPRIM_400000_NS6detail17trampoline_kernelINS0_14default_configENS1_27scan_by_key_config_selectorIiyEEZZNS1_16scan_by_key_implILNS1_25lookback_scan_determinismE0ELb1ES3_N6thrust23THRUST_200600_302600_NS6detail15normal_iteratorINS9_10device_ptrIiEEEENSB_INSC_IyEEEESG_yNS9_4plusIvEENS9_8equal_toIvEEyEE10hipError_tPvRmT2_T3_T4_T5_mT6_T7_P12ihipStream_tbENKUlT_T0_E_clISt17integral_constantIbLb1EES10_IbLb0EEEEDaSW_SX_EUlSW_E_NS1_11comp_targetILNS1_3genE5ELNS1_11target_archE942ELNS1_3gpuE9ELNS1_3repE0EEENS1_30default_config_static_selectorELNS0_4arch9wavefront6targetE1EEEvT1_, .Lfunc_end1483-_ZN7rocprim17ROCPRIM_400000_NS6detail17trampoline_kernelINS0_14default_configENS1_27scan_by_key_config_selectorIiyEEZZNS1_16scan_by_key_implILNS1_25lookback_scan_determinismE0ELb1ES3_N6thrust23THRUST_200600_302600_NS6detail15normal_iteratorINS9_10device_ptrIiEEEENSB_INSC_IyEEEESG_yNS9_4plusIvEENS9_8equal_toIvEEyEE10hipError_tPvRmT2_T3_T4_T5_mT6_T7_P12ihipStream_tbENKUlT_T0_E_clISt17integral_constantIbLb1EES10_IbLb0EEEEDaSW_SX_EUlSW_E_NS1_11comp_targetILNS1_3genE5ELNS1_11target_archE942ELNS1_3gpuE9ELNS1_3repE0EEENS1_30default_config_static_selectorELNS0_4arch9wavefront6targetE1EEEvT1_
                                        ; -- End function
	.section	.AMDGPU.csdata,"",@progbits
; Kernel info:
; codeLenInByte = 17148
; NumSgprs: 84
; NumVgprs: 126
; NumAgprs: 0
; TotalNumVgprs: 126
; ScratchSize: 0
; MemoryBound: 0
; FloatMode: 240
; IeeeMode: 1
; LDSByteSize: 43008 bytes/workgroup (compile time only)
; SGPRBlocks: 10
; VGPRBlocks: 15
; NumSGPRsForWavesPerEU: 84
; NumVGPRsForWavesPerEU: 126
; AccumOffset: 128
; Occupancy: 1
; WaveLimiterHint : 1
; COMPUTE_PGM_RSRC2:SCRATCH_EN: 0
; COMPUTE_PGM_RSRC2:USER_SGPR: 2
; COMPUTE_PGM_RSRC2:TRAP_HANDLER: 0
; COMPUTE_PGM_RSRC2:TGID_X_EN: 1
; COMPUTE_PGM_RSRC2:TGID_Y_EN: 0
; COMPUTE_PGM_RSRC2:TGID_Z_EN: 0
; COMPUTE_PGM_RSRC2:TIDIG_COMP_CNT: 0
; COMPUTE_PGM_RSRC3_GFX90A:ACCUM_OFFSET: 31
; COMPUTE_PGM_RSRC3_GFX90A:TG_SPLIT: 0
	.section	.text._ZN7rocprim17ROCPRIM_400000_NS6detail17trampoline_kernelINS0_14default_configENS1_27scan_by_key_config_selectorIiyEEZZNS1_16scan_by_key_implILNS1_25lookback_scan_determinismE0ELb1ES3_N6thrust23THRUST_200600_302600_NS6detail15normal_iteratorINS9_10device_ptrIiEEEENSB_INSC_IyEEEESG_yNS9_4plusIvEENS9_8equal_toIvEEyEE10hipError_tPvRmT2_T3_T4_T5_mT6_T7_P12ihipStream_tbENKUlT_T0_E_clISt17integral_constantIbLb1EES10_IbLb0EEEEDaSW_SX_EUlSW_E_NS1_11comp_targetILNS1_3genE4ELNS1_11target_archE910ELNS1_3gpuE8ELNS1_3repE0EEENS1_30default_config_static_selectorELNS0_4arch9wavefront6targetE1EEEvT1_,"axG",@progbits,_ZN7rocprim17ROCPRIM_400000_NS6detail17trampoline_kernelINS0_14default_configENS1_27scan_by_key_config_selectorIiyEEZZNS1_16scan_by_key_implILNS1_25lookback_scan_determinismE0ELb1ES3_N6thrust23THRUST_200600_302600_NS6detail15normal_iteratorINS9_10device_ptrIiEEEENSB_INSC_IyEEEESG_yNS9_4plusIvEENS9_8equal_toIvEEyEE10hipError_tPvRmT2_T3_T4_T5_mT6_T7_P12ihipStream_tbENKUlT_T0_E_clISt17integral_constantIbLb1EES10_IbLb0EEEEDaSW_SX_EUlSW_E_NS1_11comp_targetILNS1_3genE4ELNS1_11target_archE910ELNS1_3gpuE8ELNS1_3repE0EEENS1_30default_config_static_selectorELNS0_4arch9wavefront6targetE1EEEvT1_,comdat
	.protected	_ZN7rocprim17ROCPRIM_400000_NS6detail17trampoline_kernelINS0_14default_configENS1_27scan_by_key_config_selectorIiyEEZZNS1_16scan_by_key_implILNS1_25lookback_scan_determinismE0ELb1ES3_N6thrust23THRUST_200600_302600_NS6detail15normal_iteratorINS9_10device_ptrIiEEEENSB_INSC_IyEEEESG_yNS9_4plusIvEENS9_8equal_toIvEEyEE10hipError_tPvRmT2_T3_T4_T5_mT6_T7_P12ihipStream_tbENKUlT_T0_E_clISt17integral_constantIbLb1EES10_IbLb0EEEEDaSW_SX_EUlSW_E_NS1_11comp_targetILNS1_3genE4ELNS1_11target_archE910ELNS1_3gpuE8ELNS1_3repE0EEENS1_30default_config_static_selectorELNS0_4arch9wavefront6targetE1EEEvT1_ ; -- Begin function _ZN7rocprim17ROCPRIM_400000_NS6detail17trampoline_kernelINS0_14default_configENS1_27scan_by_key_config_selectorIiyEEZZNS1_16scan_by_key_implILNS1_25lookback_scan_determinismE0ELb1ES3_N6thrust23THRUST_200600_302600_NS6detail15normal_iteratorINS9_10device_ptrIiEEEENSB_INSC_IyEEEESG_yNS9_4plusIvEENS9_8equal_toIvEEyEE10hipError_tPvRmT2_T3_T4_T5_mT6_T7_P12ihipStream_tbENKUlT_T0_E_clISt17integral_constantIbLb1EES10_IbLb0EEEEDaSW_SX_EUlSW_E_NS1_11comp_targetILNS1_3genE4ELNS1_11target_archE910ELNS1_3gpuE8ELNS1_3repE0EEENS1_30default_config_static_selectorELNS0_4arch9wavefront6targetE1EEEvT1_
	.globl	_ZN7rocprim17ROCPRIM_400000_NS6detail17trampoline_kernelINS0_14default_configENS1_27scan_by_key_config_selectorIiyEEZZNS1_16scan_by_key_implILNS1_25lookback_scan_determinismE0ELb1ES3_N6thrust23THRUST_200600_302600_NS6detail15normal_iteratorINS9_10device_ptrIiEEEENSB_INSC_IyEEEESG_yNS9_4plusIvEENS9_8equal_toIvEEyEE10hipError_tPvRmT2_T3_T4_T5_mT6_T7_P12ihipStream_tbENKUlT_T0_E_clISt17integral_constantIbLb1EES10_IbLb0EEEEDaSW_SX_EUlSW_E_NS1_11comp_targetILNS1_3genE4ELNS1_11target_archE910ELNS1_3gpuE8ELNS1_3repE0EEENS1_30default_config_static_selectorELNS0_4arch9wavefront6targetE1EEEvT1_
	.p2align	8
	.type	_ZN7rocprim17ROCPRIM_400000_NS6detail17trampoline_kernelINS0_14default_configENS1_27scan_by_key_config_selectorIiyEEZZNS1_16scan_by_key_implILNS1_25lookback_scan_determinismE0ELb1ES3_N6thrust23THRUST_200600_302600_NS6detail15normal_iteratorINS9_10device_ptrIiEEEENSB_INSC_IyEEEESG_yNS9_4plusIvEENS9_8equal_toIvEEyEE10hipError_tPvRmT2_T3_T4_T5_mT6_T7_P12ihipStream_tbENKUlT_T0_E_clISt17integral_constantIbLb1EES10_IbLb0EEEEDaSW_SX_EUlSW_E_NS1_11comp_targetILNS1_3genE4ELNS1_11target_archE910ELNS1_3gpuE8ELNS1_3repE0EEENS1_30default_config_static_selectorELNS0_4arch9wavefront6targetE1EEEvT1_,@function
_ZN7rocprim17ROCPRIM_400000_NS6detail17trampoline_kernelINS0_14default_configENS1_27scan_by_key_config_selectorIiyEEZZNS1_16scan_by_key_implILNS1_25lookback_scan_determinismE0ELb1ES3_N6thrust23THRUST_200600_302600_NS6detail15normal_iteratorINS9_10device_ptrIiEEEENSB_INSC_IyEEEESG_yNS9_4plusIvEENS9_8equal_toIvEEyEE10hipError_tPvRmT2_T3_T4_T5_mT6_T7_P12ihipStream_tbENKUlT_T0_E_clISt17integral_constantIbLb1EES10_IbLb0EEEEDaSW_SX_EUlSW_E_NS1_11comp_targetILNS1_3genE4ELNS1_11target_archE910ELNS1_3gpuE8ELNS1_3repE0EEENS1_30default_config_static_selectorELNS0_4arch9wavefront6targetE1EEEvT1_: ; @_ZN7rocprim17ROCPRIM_400000_NS6detail17trampoline_kernelINS0_14default_configENS1_27scan_by_key_config_selectorIiyEEZZNS1_16scan_by_key_implILNS1_25lookback_scan_determinismE0ELb1ES3_N6thrust23THRUST_200600_302600_NS6detail15normal_iteratorINS9_10device_ptrIiEEEENSB_INSC_IyEEEESG_yNS9_4plusIvEENS9_8equal_toIvEEyEE10hipError_tPvRmT2_T3_T4_T5_mT6_T7_P12ihipStream_tbENKUlT_T0_E_clISt17integral_constantIbLb1EES10_IbLb0EEEEDaSW_SX_EUlSW_E_NS1_11comp_targetILNS1_3genE4ELNS1_11target_archE910ELNS1_3gpuE8ELNS1_3repE0EEENS1_30default_config_static_selectorELNS0_4arch9wavefront6targetE1EEEvT1_
; %bb.0:
	.section	.rodata,"a",@progbits
	.p2align	6, 0x0
	.amdhsa_kernel _ZN7rocprim17ROCPRIM_400000_NS6detail17trampoline_kernelINS0_14default_configENS1_27scan_by_key_config_selectorIiyEEZZNS1_16scan_by_key_implILNS1_25lookback_scan_determinismE0ELb1ES3_N6thrust23THRUST_200600_302600_NS6detail15normal_iteratorINS9_10device_ptrIiEEEENSB_INSC_IyEEEESG_yNS9_4plusIvEENS9_8equal_toIvEEyEE10hipError_tPvRmT2_T3_T4_T5_mT6_T7_P12ihipStream_tbENKUlT_T0_E_clISt17integral_constantIbLb1EES10_IbLb0EEEEDaSW_SX_EUlSW_E_NS1_11comp_targetILNS1_3genE4ELNS1_11target_archE910ELNS1_3gpuE8ELNS1_3repE0EEENS1_30default_config_static_selectorELNS0_4arch9wavefront6targetE1EEEvT1_
		.amdhsa_group_segment_fixed_size 0
		.amdhsa_private_segment_fixed_size 0
		.amdhsa_kernarg_size 136
		.amdhsa_user_sgpr_count 2
		.amdhsa_user_sgpr_dispatch_ptr 0
		.amdhsa_user_sgpr_queue_ptr 0
		.amdhsa_user_sgpr_kernarg_segment_ptr 1
		.amdhsa_user_sgpr_dispatch_id 0
		.amdhsa_user_sgpr_kernarg_preload_length 0
		.amdhsa_user_sgpr_kernarg_preload_offset 0
		.amdhsa_user_sgpr_private_segment_size 0
		.amdhsa_uses_dynamic_stack 0
		.amdhsa_enable_private_segment 0
		.amdhsa_system_sgpr_workgroup_id_x 1
		.amdhsa_system_sgpr_workgroup_id_y 0
		.amdhsa_system_sgpr_workgroup_id_z 0
		.amdhsa_system_sgpr_workgroup_info 0
		.amdhsa_system_vgpr_workitem_id 0
		.amdhsa_next_free_vgpr 1
		.amdhsa_next_free_sgpr 0
		.amdhsa_accum_offset 4
		.amdhsa_reserve_vcc 0
		.amdhsa_float_round_mode_32 0
		.amdhsa_float_round_mode_16_64 0
		.amdhsa_float_denorm_mode_32 3
		.amdhsa_float_denorm_mode_16_64 3
		.amdhsa_dx10_clamp 1
		.amdhsa_ieee_mode 1
		.amdhsa_fp16_overflow 0
		.amdhsa_tg_split 0
		.amdhsa_exception_fp_ieee_invalid_op 0
		.amdhsa_exception_fp_denorm_src 0
		.amdhsa_exception_fp_ieee_div_zero 0
		.amdhsa_exception_fp_ieee_overflow 0
		.amdhsa_exception_fp_ieee_underflow 0
		.amdhsa_exception_fp_ieee_inexact 0
		.amdhsa_exception_int_div_zero 0
	.end_amdhsa_kernel
	.section	.text._ZN7rocprim17ROCPRIM_400000_NS6detail17trampoline_kernelINS0_14default_configENS1_27scan_by_key_config_selectorIiyEEZZNS1_16scan_by_key_implILNS1_25lookback_scan_determinismE0ELb1ES3_N6thrust23THRUST_200600_302600_NS6detail15normal_iteratorINS9_10device_ptrIiEEEENSB_INSC_IyEEEESG_yNS9_4plusIvEENS9_8equal_toIvEEyEE10hipError_tPvRmT2_T3_T4_T5_mT6_T7_P12ihipStream_tbENKUlT_T0_E_clISt17integral_constantIbLb1EES10_IbLb0EEEEDaSW_SX_EUlSW_E_NS1_11comp_targetILNS1_3genE4ELNS1_11target_archE910ELNS1_3gpuE8ELNS1_3repE0EEENS1_30default_config_static_selectorELNS0_4arch9wavefront6targetE1EEEvT1_,"axG",@progbits,_ZN7rocprim17ROCPRIM_400000_NS6detail17trampoline_kernelINS0_14default_configENS1_27scan_by_key_config_selectorIiyEEZZNS1_16scan_by_key_implILNS1_25lookback_scan_determinismE0ELb1ES3_N6thrust23THRUST_200600_302600_NS6detail15normal_iteratorINS9_10device_ptrIiEEEENSB_INSC_IyEEEESG_yNS9_4plusIvEENS9_8equal_toIvEEyEE10hipError_tPvRmT2_T3_T4_T5_mT6_T7_P12ihipStream_tbENKUlT_T0_E_clISt17integral_constantIbLb1EES10_IbLb0EEEEDaSW_SX_EUlSW_E_NS1_11comp_targetILNS1_3genE4ELNS1_11target_archE910ELNS1_3gpuE8ELNS1_3repE0EEENS1_30default_config_static_selectorELNS0_4arch9wavefront6targetE1EEEvT1_,comdat
.Lfunc_end1484:
	.size	_ZN7rocprim17ROCPRIM_400000_NS6detail17trampoline_kernelINS0_14default_configENS1_27scan_by_key_config_selectorIiyEEZZNS1_16scan_by_key_implILNS1_25lookback_scan_determinismE0ELb1ES3_N6thrust23THRUST_200600_302600_NS6detail15normal_iteratorINS9_10device_ptrIiEEEENSB_INSC_IyEEEESG_yNS9_4plusIvEENS9_8equal_toIvEEyEE10hipError_tPvRmT2_T3_T4_T5_mT6_T7_P12ihipStream_tbENKUlT_T0_E_clISt17integral_constantIbLb1EES10_IbLb0EEEEDaSW_SX_EUlSW_E_NS1_11comp_targetILNS1_3genE4ELNS1_11target_archE910ELNS1_3gpuE8ELNS1_3repE0EEENS1_30default_config_static_selectorELNS0_4arch9wavefront6targetE1EEEvT1_, .Lfunc_end1484-_ZN7rocprim17ROCPRIM_400000_NS6detail17trampoline_kernelINS0_14default_configENS1_27scan_by_key_config_selectorIiyEEZZNS1_16scan_by_key_implILNS1_25lookback_scan_determinismE0ELb1ES3_N6thrust23THRUST_200600_302600_NS6detail15normal_iteratorINS9_10device_ptrIiEEEENSB_INSC_IyEEEESG_yNS9_4plusIvEENS9_8equal_toIvEEyEE10hipError_tPvRmT2_T3_T4_T5_mT6_T7_P12ihipStream_tbENKUlT_T0_E_clISt17integral_constantIbLb1EES10_IbLb0EEEEDaSW_SX_EUlSW_E_NS1_11comp_targetILNS1_3genE4ELNS1_11target_archE910ELNS1_3gpuE8ELNS1_3repE0EEENS1_30default_config_static_selectorELNS0_4arch9wavefront6targetE1EEEvT1_
                                        ; -- End function
	.section	.AMDGPU.csdata,"",@progbits
; Kernel info:
; codeLenInByte = 0
; NumSgprs: 6
; NumVgprs: 0
; NumAgprs: 0
; TotalNumVgprs: 0
; ScratchSize: 0
; MemoryBound: 0
; FloatMode: 240
; IeeeMode: 1
; LDSByteSize: 0 bytes/workgroup (compile time only)
; SGPRBlocks: 0
; VGPRBlocks: 0
; NumSGPRsForWavesPerEU: 6
; NumVGPRsForWavesPerEU: 1
; AccumOffset: 4
; Occupancy: 8
; WaveLimiterHint : 0
; COMPUTE_PGM_RSRC2:SCRATCH_EN: 0
; COMPUTE_PGM_RSRC2:USER_SGPR: 2
; COMPUTE_PGM_RSRC2:TRAP_HANDLER: 0
; COMPUTE_PGM_RSRC2:TGID_X_EN: 1
; COMPUTE_PGM_RSRC2:TGID_Y_EN: 0
; COMPUTE_PGM_RSRC2:TGID_Z_EN: 0
; COMPUTE_PGM_RSRC2:TIDIG_COMP_CNT: 0
; COMPUTE_PGM_RSRC3_GFX90A:ACCUM_OFFSET: 0
; COMPUTE_PGM_RSRC3_GFX90A:TG_SPLIT: 0
	.section	.text._ZN7rocprim17ROCPRIM_400000_NS6detail17trampoline_kernelINS0_14default_configENS1_27scan_by_key_config_selectorIiyEEZZNS1_16scan_by_key_implILNS1_25lookback_scan_determinismE0ELb1ES3_N6thrust23THRUST_200600_302600_NS6detail15normal_iteratorINS9_10device_ptrIiEEEENSB_INSC_IyEEEESG_yNS9_4plusIvEENS9_8equal_toIvEEyEE10hipError_tPvRmT2_T3_T4_T5_mT6_T7_P12ihipStream_tbENKUlT_T0_E_clISt17integral_constantIbLb1EES10_IbLb0EEEEDaSW_SX_EUlSW_E_NS1_11comp_targetILNS1_3genE3ELNS1_11target_archE908ELNS1_3gpuE7ELNS1_3repE0EEENS1_30default_config_static_selectorELNS0_4arch9wavefront6targetE1EEEvT1_,"axG",@progbits,_ZN7rocprim17ROCPRIM_400000_NS6detail17trampoline_kernelINS0_14default_configENS1_27scan_by_key_config_selectorIiyEEZZNS1_16scan_by_key_implILNS1_25lookback_scan_determinismE0ELb1ES3_N6thrust23THRUST_200600_302600_NS6detail15normal_iteratorINS9_10device_ptrIiEEEENSB_INSC_IyEEEESG_yNS9_4plusIvEENS9_8equal_toIvEEyEE10hipError_tPvRmT2_T3_T4_T5_mT6_T7_P12ihipStream_tbENKUlT_T0_E_clISt17integral_constantIbLb1EES10_IbLb0EEEEDaSW_SX_EUlSW_E_NS1_11comp_targetILNS1_3genE3ELNS1_11target_archE908ELNS1_3gpuE7ELNS1_3repE0EEENS1_30default_config_static_selectorELNS0_4arch9wavefront6targetE1EEEvT1_,comdat
	.protected	_ZN7rocprim17ROCPRIM_400000_NS6detail17trampoline_kernelINS0_14default_configENS1_27scan_by_key_config_selectorIiyEEZZNS1_16scan_by_key_implILNS1_25lookback_scan_determinismE0ELb1ES3_N6thrust23THRUST_200600_302600_NS6detail15normal_iteratorINS9_10device_ptrIiEEEENSB_INSC_IyEEEESG_yNS9_4plusIvEENS9_8equal_toIvEEyEE10hipError_tPvRmT2_T3_T4_T5_mT6_T7_P12ihipStream_tbENKUlT_T0_E_clISt17integral_constantIbLb1EES10_IbLb0EEEEDaSW_SX_EUlSW_E_NS1_11comp_targetILNS1_3genE3ELNS1_11target_archE908ELNS1_3gpuE7ELNS1_3repE0EEENS1_30default_config_static_selectorELNS0_4arch9wavefront6targetE1EEEvT1_ ; -- Begin function _ZN7rocprim17ROCPRIM_400000_NS6detail17trampoline_kernelINS0_14default_configENS1_27scan_by_key_config_selectorIiyEEZZNS1_16scan_by_key_implILNS1_25lookback_scan_determinismE0ELb1ES3_N6thrust23THRUST_200600_302600_NS6detail15normal_iteratorINS9_10device_ptrIiEEEENSB_INSC_IyEEEESG_yNS9_4plusIvEENS9_8equal_toIvEEyEE10hipError_tPvRmT2_T3_T4_T5_mT6_T7_P12ihipStream_tbENKUlT_T0_E_clISt17integral_constantIbLb1EES10_IbLb0EEEEDaSW_SX_EUlSW_E_NS1_11comp_targetILNS1_3genE3ELNS1_11target_archE908ELNS1_3gpuE7ELNS1_3repE0EEENS1_30default_config_static_selectorELNS0_4arch9wavefront6targetE1EEEvT1_
	.globl	_ZN7rocprim17ROCPRIM_400000_NS6detail17trampoline_kernelINS0_14default_configENS1_27scan_by_key_config_selectorIiyEEZZNS1_16scan_by_key_implILNS1_25lookback_scan_determinismE0ELb1ES3_N6thrust23THRUST_200600_302600_NS6detail15normal_iteratorINS9_10device_ptrIiEEEENSB_INSC_IyEEEESG_yNS9_4plusIvEENS9_8equal_toIvEEyEE10hipError_tPvRmT2_T3_T4_T5_mT6_T7_P12ihipStream_tbENKUlT_T0_E_clISt17integral_constantIbLb1EES10_IbLb0EEEEDaSW_SX_EUlSW_E_NS1_11comp_targetILNS1_3genE3ELNS1_11target_archE908ELNS1_3gpuE7ELNS1_3repE0EEENS1_30default_config_static_selectorELNS0_4arch9wavefront6targetE1EEEvT1_
	.p2align	8
	.type	_ZN7rocprim17ROCPRIM_400000_NS6detail17trampoline_kernelINS0_14default_configENS1_27scan_by_key_config_selectorIiyEEZZNS1_16scan_by_key_implILNS1_25lookback_scan_determinismE0ELb1ES3_N6thrust23THRUST_200600_302600_NS6detail15normal_iteratorINS9_10device_ptrIiEEEENSB_INSC_IyEEEESG_yNS9_4plusIvEENS9_8equal_toIvEEyEE10hipError_tPvRmT2_T3_T4_T5_mT6_T7_P12ihipStream_tbENKUlT_T0_E_clISt17integral_constantIbLb1EES10_IbLb0EEEEDaSW_SX_EUlSW_E_NS1_11comp_targetILNS1_3genE3ELNS1_11target_archE908ELNS1_3gpuE7ELNS1_3repE0EEENS1_30default_config_static_selectorELNS0_4arch9wavefront6targetE1EEEvT1_,@function
_ZN7rocprim17ROCPRIM_400000_NS6detail17trampoline_kernelINS0_14default_configENS1_27scan_by_key_config_selectorIiyEEZZNS1_16scan_by_key_implILNS1_25lookback_scan_determinismE0ELb1ES3_N6thrust23THRUST_200600_302600_NS6detail15normal_iteratorINS9_10device_ptrIiEEEENSB_INSC_IyEEEESG_yNS9_4plusIvEENS9_8equal_toIvEEyEE10hipError_tPvRmT2_T3_T4_T5_mT6_T7_P12ihipStream_tbENKUlT_T0_E_clISt17integral_constantIbLb1EES10_IbLb0EEEEDaSW_SX_EUlSW_E_NS1_11comp_targetILNS1_3genE3ELNS1_11target_archE908ELNS1_3gpuE7ELNS1_3repE0EEENS1_30default_config_static_selectorELNS0_4arch9wavefront6targetE1EEEvT1_: ; @_ZN7rocprim17ROCPRIM_400000_NS6detail17trampoline_kernelINS0_14default_configENS1_27scan_by_key_config_selectorIiyEEZZNS1_16scan_by_key_implILNS1_25lookback_scan_determinismE0ELb1ES3_N6thrust23THRUST_200600_302600_NS6detail15normal_iteratorINS9_10device_ptrIiEEEENSB_INSC_IyEEEESG_yNS9_4plusIvEENS9_8equal_toIvEEyEE10hipError_tPvRmT2_T3_T4_T5_mT6_T7_P12ihipStream_tbENKUlT_T0_E_clISt17integral_constantIbLb1EES10_IbLb0EEEEDaSW_SX_EUlSW_E_NS1_11comp_targetILNS1_3genE3ELNS1_11target_archE908ELNS1_3gpuE7ELNS1_3repE0EEENS1_30default_config_static_selectorELNS0_4arch9wavefront6targetE1EEEvT1_
; %bb.0:
	.section	.rodata,"a",@progbits
	.p2align	6, 0x0
	.amdhsa_kernel _ZN7rocprim17ROCPRIM_400000_NS6detail17trampoline_kernelINS0_14default_configENS1_27scan_by_key_config_selectorIiyEEZZNS1_16scan_by_key_implILNS1_25lookback_scan_determinismE0ELb1ES3_N6thrust23THRUST_200600_302600_NS6detail15normal_iteratorINS9_10device_ptrIiEEEENSB_INSC_IyEEEESG_yNS9_4plusIvEENS9_8equal_toIvEEyEE10hipError_tPvRmT2_T3_T4_T5_mT6_T7_P12ihipStream_tbENKUlT_T0_E_clISt17integral_constantIbLb1EES10_IbLb0EEEEDaSW_SX_EUlSW_E_NS1_11comp_targetILNS1_3genE3ELNS1_11target_archE908ELNS1_3gpuE7ELNS1_3repE0EEENS1_30default_config_static_selectorELNS0_4arch9wavefront6targetE1EEEvT1_
		.amdhsa_group_segment_fixed_size 0
		.amdhsa_private_segment_fixed_size 0
		.amdhsa_kernarg_size 136
		.amdhsa_user_sgpr_count 2
		.amdhsa_user_sgpr_dispatch_ptr 0
		.amdhsa_user_sgpr_queue_ptr 0
		.amdhsa_user_sgpr_kernarg_segment_ptr 1
		.amdhsa_user_sgpr_dispatch_id 0
		.amdhsa_user_sgpr_kernarg_preload_length 0
		.amdhsa_user_sgpr_kernarg_preload_offset 0
		.amdhsa_user_sgpr_private_segment_size 0
		.amdhsa_uses_dynamic_stack 0
		.amdhsa_enable_private_segment 0
		.amdhsa_system_sgpr_workgroup_id_x 1
		.amdhsa_system_sgpr_workgroup_id_y 0
		.amdhsa_system_sgpr_workgroup_id_z 0
		.amdhsa_system_sgpr_workgroup_info 0
		.amdhsa_system_vgpr_workitem_id 0
		.amdhsa_next_free_vgpr 1
		.amdhsa_next_free_sgpr 0
		.amdhsa_accum_offset 4
		.amdhsa_reserve_vcc 0
		.amdhsa_float_round_mode_32 0
		.amdhsa_float_round_mode_16_64 0
		.amdhsa_float_denorm_mode_32 3
		.amdhsa_float_denorm_mode_16_64 3
		.amdhsa_dx10_clamp 1
		.amdhsa_ieee_mode 1
		.amdhsa_fp16_overflow 0
		.amdhsa_tg_split 0
		.amdhsa_exception_fp_ieee_invalid_op 0
		.amdhsa_exception_fp_denorm_src 0
		.amdhsa_exception_fp_ieee_div_zero 0
		.amdhsa_exception_fp_ieee_overflow 0
		.amdhsa_exception_fp_ieee_underflow 0
		.amdhsa_exception_fp_ieee_inexact 0
		.amdhsa_exception_int_div_zero 0
	.end_amdhsa_kernel
	.section	.text._ZN7rocprim17ROCPRIM_400000_NS6detail17trampoline_kernelINS0_14default_configENS1_27scan_by_key_config_selectorIiyEEZZNS1_16scan_by_key_implILNS1_25lookback_scan_determinismE0ELb1ES3_N6thrust23THRUST_200600_302600_NS6detail15normal_iteratorINS9_10device_ptrIiEEEENSB_INSC_IyEEEESG_yNS9_4plusIvEENS9_8equal_toIvEEyEE10hipError_tPvRmT2_T3_T4_T5_mT6_T7_P12ihipStream_tbENKUlT_T0_E_clISt17integral_constantIbLb1EES10_IbLb0EEEEDaSW_SX_EUlSW_E_NS1_11comp_targetILNS1_3genE3ELNS1_11target_archE908ELNS1_3gpuE7ELNS1_3repE0EEENS1_30default_config_static_selectorELNS0_4arch9wavefront6targetE1EEEvT1_,"axG",@progbits,_ZN7rocprim17ROCPRIM_400000_NS6detail17trampoline_kernelINS0_14default_configENS1_27scan_by_key_config_selectorIiyEEZZNS1_16scan_by_key_implILNS1_25lookback_scan_determinismE0ELb1ES3_N6thrust23THRUST_200600_302600_NS6detail15normal_iteratorINS9_10device_ptrIiEEEENSB_INSC_IyEEEESG_yNS9_4plusIvEENS9_8equal_toIvEEyEE10hipError_tPvRmT2_T3_T4_T5_mT6_T7_P12ihipStream_tbENKUlT_T0_E_clISt17integral_constantIbLb1EES10_IbLb0EEEEDaSW_SX_EUlSW_E_NS1_11comp_targetILNS1_3genE3ELNS1_11target_archE908ELNS1_3gpuE7ELNS1_3repE0EEENS1_30default_config_static_selectorELNS0_4arch9wavefront6targetE1EEEvT1_,comdat
.Lfunc_end1485:
	.size	_ZN7rocprim17ROCPRIM_400000_NS6detail17trampoline_kernelINS0_14default_configENS1_27scan_by_key_config_selectorIiyEEZZNS1_16scan_by_key_implILNS1_25lookback_scan_determinismE0ELb1ES3_N6thrust23THRUST_200600_302600_NS6detail15normal_iteratorINS9_10device_ptrIiEEEENSB_INSC_IyEEEESG_yNS9_4plusIvEENS9_8equal_toIvEEyEE10hipError_tPvRmT2_T3_T4_T5_mT6_T7_P12ihipStream_tbENKUlT_T0_E_clISt17integral_constantIbLb1EES10_IbLb0EEEEDaSW_SX_EUlSW_E_NS1_11comp_targetILNS1_3genE3ELNS1_11target_archE908ELNS1_3gpuE7ELNS1_3repE0EEENS1_30default_config_static_selectorELNS0_4arch9wavefront6targetE1EEEvT1_, .Lfunc_end1485-_ZN7rocprim17ROCPRIM_400000_NS6detail17trampoline_kernelINS0_14default_configENS1_27scan_by_key_config_selectorIiyEEZZNS1_16scan_by_key_implILNS1_25lookback_scan_determinismE0ELb1ES3_N6thrust23THRUST_200600_302600_NS6detail15normal_iteratorINS9_10device_ptrIiEEEENSB_INSC_IyEEEESG_yNS9_4plusIvEENS9_8equal_toIvEEyEE10hipError_tPvRmT2_T3_T4_T5_mT6_T7_P12ihipStream_tbENKUlT_T0_E_clISt17integral_constantIbLb1EES10_IbLb0EEEEDaSW_SX_EUlSW_E_NS1_11comp_targetILNS1_3genE3ELNS1_11target_archE908ELNS1_3gpuE7ELNS1_3repE0EEENS1_30default_config_static_selectorELNS0_4arch9wavefront6targetE1EEEvT1_
                                        ; -- End function
	.section	.AMDGPU.csdata,"",@progbits
; Kernel info:
; codeLenInByte = 0
; NumSgprs: 6
; NumVgprs: 0
; NumAgprs: 0
; TotalNumVgprs: 0
; ScratchSize: 0
; MemoryBound: 0
; FloatMode: 240
; IeeeMode: 1
; LDSByteSize: 0 bytes/workgroup (compile time only)
; SGPRBlocks: 0
; VGPRBlocks: 0
; NumSGPRsForWavesPerEU: 6
; NumVGPRsForWavesPerEU: 1
; AccumOffset: 4
; Occupancy: 8
; WaveLimiterHint : 0
; COMPUTE_PGM_RSRC2:SCRATCH_EN: 0
; COMPUTE_PGM_RSRC2:USER_SGPR: 2
; COMPUTE_PGM_RSRC2:TRAP_HANDLER: 0
; COMPUTE_PGM_RSRC2:TGID_X_EN: 1
; COMPUTE_PGM_RSRC2:TGID_Y_EN: 0
; COMPUTE_PGM_RSRC2:TGID_Z_EN: 0
; COMPUTE_PGM_RSRC2:TIDIG_COMP_CNT: 0
; COMPUTE_PGM_RSRC3_GFX90A:ACCUM_OFFSET: 0
; COMPUTE_PGM_RSRC3_GFX90A:TG_SPLIT: 0
	.section	.text._ZN7rocprim17ROCPRIM_400000_NS6detail17trampoline_kernelINS0_14default_configENS1_27scan_by_key_config_selectorIiyEEZZNS1_16scan_by_key_implILNS1_25lookback_scan_determinismE0ELb1ES3_N6thrust23THRUST_200600_302600_NS6detail15normal_iteratorINS9_10device_ptrIiEEEENSB_INSC_IyEEEESG_yNS9_4plusIvEENS9_8equal_toIvEEyEE10hipError_tPvRmT2_T3_T4_T5_mT6_T7_P12ihipStream_tbENKUlT_T0_E_clISt17integral_constantIbLb1EES10_IbLb0EEEEDaSW_SX_EUlSW_E_NS1_11comp_targetILNS1_3genE2ELNS1_11target_archE906ELNS1_3gpuE6ELNS1_3repE0EEENS1_30default_config_static_selectorELNS0_4arch9wavefront6targetE1EEEvT1_,"axG",@progbits,_ZN7rocprim17ROCPRIM_400000_NS6detail17trampoline_kernelINS0_14default_configENS1_27scan_by_key_config_selectorIiyEEZZNS1_16scan_by_key_implILNS1_25lookback_scan_determinismE0ELb1ES3_N6thrust23THRUST_200600_302600_NS6detail15normal_iteratorINS9_10device_ptrIiEEEENSB_INSC_IyEEEESG_yNS9_4plusIvEENS9_8equal_toIvEEyEE10hipError_tPvRmT2_T3_T4_T5_mT6_T7_P12ihipStream_tbENKUlT_T0_E_clISt17integral_constantIbLb1EES10_IbLb0EEEEDaSW_SX_EUlSW_E_NS1_11comp_targetILNS1_3genE2ELNS1_11target_archE906ELNS1_3gpuE6ELNS1_3repE0EEENS1_30default_config_static_selectorELNS0_4arch9wavefront6targetE1EEEvT1_,comdat
	.protected	_ZN7rocprim17ROCPRIM_400000_NS6detail17trampoline_kernelINS0_14default_configENS1_27scan_by_key_config_selectorIiyEEZZNS1_16scan_by_key_implILNS1_25lookback_scan_determinismE0ELb1ES3_N6thrust23THRUST_200600_302600_NS6detail15normal_iteratorINS9_10device_ptrIiEEEENSB_INSC_IyEEEESG_yNS9_4plusIvEENS9_8equal_toIvEEyEE10hipError_tPvRmT2_T3_T4_T5_mT6_T7_P12ihipStream_tbENKUlT_T0_E_clISt17integral_constantIbLb1EES10_IbLb0EEEEDaSW_SX_EUlSW_E_NS1_11comp_targetILNS1_3genE2ELNS1_11target_archE906ELNS1_3gpuE6ELNS1_3repE0EEENS1_30default_config_static_selectorELNS0_4arch9wavefront6targetE1EEEvT1_ ; -- Begin function _ZN7rocprim17ROCPRIM_400000_NS6detail17trampoline_kernelINS0_14default_configENS1_27scan_by_key_config_selectorIiyEEZZNS1_16scan_by_key_implILNS1_25lookback_scan_determinismE0ELb1ES3_N6thrust23THRUST_200600_302600_NS6detail15normal_iteratorINS9_10device_ptrIiEEEENSB_INSC_IyEEEESG_yNS9_4plusIvEENS9_8equal_toIvEEyEE10hipError_tPvRmT2_T3_T4_T5_mT6_T7_P12ihipStream_tbENKUlT_T0_E_clISt17integral_constantIbLb1EES10_IbLb0EEEEDaSW_SX_EUlSW_E_NS1_11comp_targetILNS1_3genE2ELNS1_11target_archE906ELNS1_3gpuE6ELNS1_3repE0EEENS1_30default_config_static_selectorELNS0_4arch9wavefront6targetE1EEEvT1_
	.globl	_ZN7rocprim17ROCPRIM_400000_NS6detail17trampoline_kernelINS0_14default_configENS1_27scan_by_key_config_selectorIiyEEZZNS1_16scan_by_key_implILNS1_25lookback_scan_determinismE0ELb1ES3_N6thrust23THRUST_200600_302600_NS6detail15normal_iteratorINS9_10device_ptrIiEEEENSB_INSC_IyEEEESG_yNS9_4plusIvEENS9_8equal_toIvEEyEE10hipError_tPvRmT2_T3_T4_T5_mT6_T7_P12ihipStream_tbENKUlT_T0_E_clISt17integral_constantIbLb1EES10_IbLb0EEEEDaSW_SX_EUlSW_E_NS1_11comp_targetILNS1_3genE2ELNS1_11target_archE906ELNS1_3gpuE6ELNS1_3repE0EEENS1_30default_config_static_selectorELNS0_4arch9wavefront6targetE1EEEvT1_
	.p2align	8
	.type	_ZN7rocprim17ROCPRIM_400000_NS6detail17trampoline_kernelINS0_14default_configENS1_27scan_by_key_config_selectorIiyEEZZNS1_16scan_by_key_implILNS1_25lookback_scan_determinismE0ELb1ES3_N6thrust23THRUST_200600_302600_NS6detail15normal_iteratorINS9_10device_ptrIiEEEENSB_INSC_IyEEEESG_yNS9_4plusIvEENS9_8equal_toIvEEyEE10hipError_tPvRmT2_T3_T4_T5_mT6_T7_P12ihipStream_tbENKUlT_T0_E_clISt17integral_constantIbLb1EES10_IbLb0EEEEDaSW_SX_EUlSW_E_NS1_11comp_targetILNS1_3genE2ELNS1_11target_archE906ELNS1_3gpuE6ELNS1_3repE0EEENS1_30default_config_static_selectorELNS0_4arch9wavefront6targetE1EEEvT1_,@function
_ZN7rocprim17ROCPRIM_400000_NS6detail17trampoline_kernelINS0_14default_configENS1_27scan_by_key_config_selectorIiyEEZZNS1_16scan_by_key_implILNS1_25lookback_scan_determinismE0ELb1ES3_N6thrust23THRUST_200600_302600_NS6detail15normal_iteratorINS9_10device_ptrIiEEEENSB_INSC_IyEEEESG_yNS9_4plusIvEENS9_8equal_toIvEEyEE10hipError_tPvRmT2_T3_T4_T5_mT6_T7_P12ihipStream_tbENKUlT_T0_E_clISt17integral_constantIbLb1EES10_IbLb0EEEEDaSW_SX_EUlSW_E_NS1_11comp_targetILNS1_3genE2ELNS1_11target_archE906ELNS1_3gpuE6ELNS1_3repE0EEENS1_30default_config_static_selectorELNS0_4arch9wavefront6targetE1EEEvT1_: ; @_ZN7rocprim17ROCPRIM_400000_NS6detail17trampoline_kernelINS0_14default_configENS1_27scan_by_key_config_selectorIiyEEZZNS1_16scan_by_key_implILNS1_25lookback_scan_determinismE0ELb1ES3_N6thrust23THRUST_200600_302600_NS6detail15normal_iteratorINS9_10device_ptrIiEEEENSB_INSC_IyEEEESG_yNS9_4plusIvEENS9_8equal_toIvEEyEE10hipError_tPvRmT2_T3_T4_T5_mT6_T7_P12ihipStream_tbENKUlT_T0_E_clISt17integral_constantIbLb1EES10_IbLb0EEEEDaSW_SX_EUlSW_E_NS1_11comp_targetILNS1_3genE2ELNS1_11target_archE906ELNS1_3gpuE6ELNS1_3repE0EEENS1_30default_config_static_selectorELNS0_4arch9wavefront6targetE1EEEvT1_
; %bb.0:
	.section	.rodata,"a",@progbits
	.p2align	6, 0x0
	.amdhsa_kernel _ZN7rocprim17ROCPRIM_400000_NS6detail17trampoline_kernelINS0_14default_configENS1_27scan_by_key_config_selectorIiyEEZZNS1_16scan_by_key_implILNS1_25lookback_scan_determinismE0ELb1ES3_N6thrust23THRUST_200600_302600_NS6detail15normal_iteratorINS9_10device_ptrIiEEEENSB_INSC_IyEEEESG_yNS9_4plusIvEENS9_8equal_toIvEEyEE10hipError_tPvRmT2_T3_T4_T5_mT6_T7_P12ihipStream_tbENKUlT_T0_E_clISt17integral_constantIbLb1EES10_IbLb0EEEEDaSW_SX_EUlSW_E_NS1_11comp_targetILNS1_3genE2ELNS1_11target_archE906ELNS1_3gpuE6ELNS1_3repE0EEENS1_30default_config_static_selectorELNS0_4arch9wavefront6targetE1EEEvT1_
		.amdhsa_group_segment_fixed_size 0
		.amdhsa_private_segment_fixed_size 0
		.amdhsa_kernarg_size 136
		.amdhsa_user_sgpr_count 2
		.amdhsa_user_sgpr_dispatch_ptr 0
		.amdhsa_user_sgpr_queue_ptr 0
		.amdhsa_user_sgpr_kernarg_segment_ptr 1
		.amdhsa_user_sgpr_dispatch_id 0
		.amdhsa_user_sgpr_kernarg_preload_length 0
		.amdhsa_user_sgpr_kernarg_preload_offset 0
		.amdhsa_user_sgpr_private_segment_size 0
		.amdhsa_uses_dynamic_stack 0
		.amdhsa_enable_private_segment 0
		.amdhsa_system_sgpr_workgroup_id_x 1
		.amdhsa_system_sgpr_workgroup_id_y 0
		.amdhsa_system_sgpr_workgroup_id_z 0
		.amdhsa_system_sgpr_workgroup_info 0
		.amdhsa_system_vgpr_workitem_id 0
		.amdhsa_next_free_vgpr 1
		.amdhsa_next_free_sgpr 0
		.amdhsa_accum_offset 4
		.amdhsa_reserve_vcc 0
		.amdhsa_float_round_mode_32 0
		.amdhsa_float_round_mode_16_64 0
		.amdhsa_float_denorm_mode_32 3
		.amdhsa_float_denorm_mode_16_64 3
		.amdhsa_dx10_clamp 1
		.amdhsa_ieee_mode 1
		.amdhsa_fp16_overflow 0
		.amdhsa_tg_split 0
		.amdhsa_exception_fp_ieee_invalid_op 0
		.amdhsa_exception_fp_denorm_src 0
		.amdhsa_exception_fp_ieee_div_zero 0
		.amdhsa_exception_fp_ieee_overflow 0
		.amdhsa_exception_fp_ieee_underflow 0
		.amdhsa_exception_fp_ieee_inexact 0
		.amdhsa_exception_int_div_zero 0
	.end_amdhsa_kernel
	.section	.text._ZN7rocprim17ROCPRIM_400000_NS6detail17trampoline_kernelINS0_14default_configENS1_27scan_by_key_config_selectorIiyEEZZNS1_16scan_by_key_implILNS1_25lookback_scan_determinismE0ELb1ES3_N6thrust23THRUST_200600_302600_NS6detail15normal_iteratorINS9_10device_ptrIiEEEENSB_INSC_IyEEEESG_yNS9_4plusIvEENS9_8equal_toIvEEyEE10hipError_tPvRmT2_T3_T4_T5_mT6_T7_P12ihipStream_tbENKUlT_T0_E_clISt17integral_constantIbLb1EES10_IbLb0EEEEDaSW_SX_EUlSW_E_NS1_11comp_targetILNS1_3genE2ELNS1_11target_archE906ELNS1_3gpuE6ELNS1_3repE0EEENS1_30default_config_static_selectorELNS0_4arch9wavefront6targetE1EEEvT1_,"axG",@progbits,_ZN7rocprim17ROCPRIM_400000_NS6detail17trampoline_kernelINS0_14default_configENS1_27scan_by_key_config_selectorIiyEEZZNS1_16scan_by_key_implILNS1_25lookback_scan_determinismE0ELb1ES3_N6thrust23THRUST_200600_302600_NS6detail15normal_iteratorINS9_10device_ptrIiEEEENSB_INSC_IyEEEESG_yNS9_4plusIvEENS9_8equal_toIvEEyEE10hipError_tPvRmT2_T3_T4_T5_mT6_T7_P12ihipStream_tbENKUlT_T0_E_clISt17integral_constantIbLb1EES10_IbLb0EEEEDaSW_SX_EUlSW_E_NS1_11comp_targetILNS1_3genE2ELNS1_11target_archE906ELNS1_3gpuE6ELNS1_3repE0EEENS1_30default_config_static_selectorELNS0_4arch9wavefront6targetE1EEEvT1_,comdat
.Lfunc_end1486:
	.size	_ZN7rocprim17ROCPRIM_400000_NS6detail17trampoline_kernelINS0_14default_configENS1_27scan_by_key_config_selectorIiyEEZZNS1_16scan_by_key_implILNS1_25lookback_scan_determinismE0ELb1ES3_N6thrust23THRUST_200600_302600_NS6detail15normal_iteratorINS9_10device_ptrIiEEEENSB_INSC_IyEEEESG_yNS9_4plusIvEENS9_8equal_toIvEEyEE10hipError_tPvRmT2_T3_T4_T5_mT6_T7_P12ihipStream_tbENKUlT_T0_E_clISt17integral_constantIbLb1EES10_IbLb0EEEEDaSW_SX_EUlSW_E_NS1_11comp_targetILNS1_3genE2ELNS1_11target_archE906ELNS1_3gpuE6ELNS1_3repE0EEENS1_30default_config_static_selectorELNS0_4arch9wavefront6targetE1EEEvT1_, .Lfunc_end1486-_ZN7rocprim17ROCPRIM_400000_NS6detail17trampoline_kernelINS0_14default_configENS1_27scan_by_key_config_selectorIiyEEZZNS1_16scan_by_key_implILNS1_25lookback_scan_determinismE0ELb1ES3_N6thrust23THRUST_200600_302600_NS6detail15normal_iteratorINS9_10device_ptrIiEEEENSB_INSC_IyEEEESG_yNS9_4plusIvEENS9_8equal_toIvEEyEE10hipError_tPvRmT2_T3_T4_T5_mT6_T7_P12ihipStream_tbENKUlT_T0_E_clISt17integral_constantIbLb1EES10_IbLb0EEEEDaSW_SX_EUlSW_E_NS1_11comp_targetILNS1_3genE2ELNS1_11target_archE906ELNS1_3gpuE6ELNS1_3repE0EEENS1_30default_config_static_selectorELNS0_4arch9wavefront6targetE1EEEvT1_
                                        ; -- End function
	.section	.AMDGPU.csdata,"",@progbits
; Kernel info:
; codeLenInByte = 0
; NumSgprs: 6
; NumVgprs: 0
; NumAgprs: 0
; TotalNumVgprs: 0
; ScratchSize: 0
; MemoryBound: 0
; FloatMode: 240
; IeeeMode: 1
; LDSByteSize: 0 bytes/workgroup (compile time only)
; SGPRBlocks: 0
; VGPRBlocks: 0
; NumSGPRsForWavesPerEU: 6
; NumVGPRsForWavesPerEU: 1
; AccumOffset: 4
; Occupancy: 8
; WaveLimiterHint : 0
; COMPUTE_PGM_RSRC2:SCRATCH_EN: 0
; COMPUTE_PGM_RSRC2:USER_SGPR: 2
; COMPUTE_PGM_RSRC2:TRAP_HANDLER: 0
; COMPUTE_PGM_RSRC2:TGID_X_EN: 1
; COMPUTE_PGM_RSRC2:TGID_Y_EN: 0
; COMPUTE_PGM_RSRC2:TGID_Z_EN: 0
; COMPUTE_PGM_RSRC2:TIDIG_COMP_CNT: 0
; COMPUTE_PGM_RSRC3_GFX90A:ACCUM_OFFSET: 0
; COMPUTE_PGM_RSRC3_GFX90A:TG_SPLIT: 0
	.section	.text._ZN7rocprim17ROCPRIM_400000_NS6detail17trampoline_kernelINS0_14default_configENS1_27scan_by_key_config_selectorIiyEEZZNS1_16scan_by_key_implILNS1_25lookback_scan_determinismE0ELb1ES3_N6thrust23THRUST_200600_302600_NS6detail15normal_iteratorINS9_10device_ptrIiEEEENSB_INSC_IyEEEESG_yNS9_4plusIvEENS9_8equal_toIvEEyEE10hipError_tPvRmT2_T3_T4_T5_mT6_T7_P12ihipStream_tbENKUlT_T0_E_clISt17integral_constantIbLb1EES10_IbLb0EEEEDaSW_SX_EUlSW_E_NS1_11comp_targetILNS1_3genE10ELNS1_11target_archE1200ELNS1_3gpuE4ELNS1_3repE0EEENS1_30default_config_static_selectorELNS0_4arch9wavefront6targetE1EEEvT1_,"axG",@progbits,_ZN7rocprim17ROCPRIM_400000_NS6detail17trampoline_kernelINS0_14default_configENS1_27scan_by_key_config_selectorIiyEEZZNS1_16scan_by_key_implILNS1_25lookback_scan_determinismE0ELb1ES3_N6thrust23THRUST_200600_302600_NS6detail15normal_iteratorINS9_10device_ptrIiEEEENSB_INSC_IyEEEESG_yNS9_4plusIvEENS9_8equal_toIvEEyEE10hipError_tPvRmT2_T3_T4_T5_mT6_T7_P12ihipStream_tbENKUlT_T0_E_clISt17integral_constantIbLb1EES10_IbLb0EEEEDaSW_SX_EUlSW_E_NS1_11comp_targetILNS1_3genE10ELNS1_11target_archE1200ELNS1_3gpuE4ELNS1_3repE0EEENS1_30default_config_static_selectorELNS0_4arch9wavefront6targetE1EEEvT1_,comdat
	.protected	_ZN7rocprim17ROCPRIM_400000_NS6detail17trampoline_kernelINS0_14default_configENS1_27scan_by_key_config_selectorIiyEEZZNS1_16scan_by_key_implILNS1_25lookback_scan_determinismE0ELb1ES3_N6thrust23THRUST_200600_302600_NS6detail15normal_iteratorINS9_10device_ptrIiEEEENSB_INSC_IyEEEESG_yNS9_4plusIvEENS9_8equal_toIvEEyEE10hipError_tPvRmT2_T3_T4_T5_mT6_T7_P12ihipStream_tbENKUlT_T0_E_clISt17integral_constantIbLb1EES10_IbLb0EEEEDaSW_SX_EUlSW_E_NS1_11comp_targetILNS1_3genE10ELNS1_11target_archE1200ELNS1_3gpuE4ELNS1_3repE0EEENS1_30default_config_static_selectorELNS0_4arch9wavefront6targetE1EEEvT1_ ; -- Begin function _ZN7rocprim17ROCPRIM_400000_NS6detail17trampoline_kernelINS0_14default_configENS1_27scan_by_key_config_selectorIiyEEZZNS1_16scan_by_key_implILNS1_25lookback_scan_determinismE0ELb1ES3_N6thrust23THRUST_200600_302600_NS6detail15normal_iteratorINS9_10device_ptrIiEEEENSB_INSC_IyEEEESG_yNS9_4plusIvEENS9_8equal_toIvEEyEE10hipError_tPvRmT2_T3_T4_T5_mT6_T7_P12ihipStream_tbENKUlT_T0_E_clISt17integral_constantIbLb1EES10_IbLb0EEEEDaSW_SX_EUlSW_E_NS1_11comp_targetILNS1_3genE10ELNS1_11target_archE1200ELNS1_3gpuE4ELNS1_3repE0EEENS1_30default_config_static_selectorELNS0_4arch9wavefront6targetE1EEEvT1_
	.globl	_ZN7rocprim17ROCPRIM_400000_NS6detail17trampoline_kernelINS0_14default_configENS1_27scan_by_key_config_selectorIiyEEZZNS1_16scan_by_key_implILNS1_25lookback_scan_determinismE0ELb1ES3_N6thrust23THRUST_200600_302600_NS6detail15normal_iteratorINS9_10device_ptrIiEEEENSB_INSC_IyEEEESG_yNS9_4plusIvEENS9_8equal_toIvEEyEE10hipError_tPvRmT2_T3_T4_T5_mT6_T7_P12ihipStream_tbENKUlT_T0_E_clISt17integral_constantIbLb1EES10_IbLb0EEEEDaSW_SX_EUlSW_E_NS1_11comp_targetILNS1_3genE10ELNS1_11target_archE1200ELNS1_3gpuE4ELNS1_3repE0EEENS1_30default_config_static_selectorELNS0_4arch9wavefront6targetE1EEEvT1_
	.p2align	8
	.type	_ZN7rocprim17ROCPRIM_400000_NS6detail17trampoline_kernelINS0_14default_configENS1_27scan_by_key_config_selectorIiyEEZZNS1_16scan_by_key_implILNS1_25lookback_scan_determinismE0ELb1ES3_N6thrust23THRUST_200600_302600_NS6detail15normal_iteratorINS9_10device_ptrIiEEEENSB_INSC_IyEEEESG_yNS9_4plusIvEENS9_8equal_toIvEEyEE10hipError_tPvRmT2_T3_T4_T5_mT6_T7_P12ihipStream_tbENKUlT_T0_E_clISt17integral_constantIbLb1EES10_IbLb0EEEEDaSW_SX_EUlSW_E_NS1_11comp_targetILNS1_3genE10ELNS1_11target_archE1200ELNS1_3gpuE4ELNS1_3repE0EEENS1_30default_config_static_selectorELNS0_4arch9wavefront6targetE1EEEvT1_,@function
_ZN7rocprim17ROCPRIM_400000_NS6detail17trampoline_kernelINS0_14default_configENS1_27scan_by_key_config_selectorIiyEEZZNS1_16scan_by_key_implILNS1_25lookback_scan_determinismE0ELb1ES3_N6thrust23THRUST_200600_302600_NS6detail15normal_iteratorINS9_10device_ptrIiEEEENSB_INSC_IyEEEESG_yNS9_4plusIvEENS9_8equal_toIvEEyEE10hipError_tPvRmT2_T3_T4_T5_mT6_T7_P12ihipStream_tbENKUlT_T0_E_clISt17integral_constantIbLb1EES10_IbLb0EEEEDaSW_SX_EUlSW_E_NS1_11comp_targetILNS1_3genE10ELNS1_11target_archE1200ELNS1_3gpuE4ELNS1_3repE0EEENS1_30default_config_static_selectorELNS0_4arch9wavefront6targetE1EEEvT1_: ; @_ZN7rocprim17ROCPRIM_400000_NS6detail17trampoline_kernelINS0_14default_configENS1_27scan_by_key_config_selectorIiyEEZZNS1_16scan_by_key_implILNS1_25lookback_scan_determinismE0ELb1ES3_N6thrust23THRUST_200600_302600_NS6detail15normal_iteratorINS9_10device_ptrIiEEEENSB_INSC_IyEEEESG_yNS9_4plusIvEENS9_8equal_toIvEEyEE10hipError_tPvRmT2_T3_T4_T5_mT6_T7_P12ihipStream_tbENKUlT_T0_E_clISt17integral_constantIbLb1EES10_IbLb0EEEEDaSW_SX_EUlSW_E_NS1_11comp_targetILNS1_3genE10ELNS1_11target_archE1200ELNS1_3gpuE4ELNS1_3repE0EEENS1_30default_config_static_selectorELNS0_4arch9wavefront6targetE1EEEvT1_
; %bb.0:
	.section	.rodata,"a",@progbits
	.p2align	6, 0x0
	.amdhsa_kernel _ZN7rocprim17ROCPRIM_400000_NS6detail17trampoline_kernelINS0_14default_configENS1_27scan_by_key_config_selectorIiyEEZZNS1_16scan_by_key_implILNS1_25lookback_scan_determinismE0ELb1ES3_N6thrust23THRUST_200600_302600_NS6detail15normal_iteratorINS9_10device_ptrIiEEEENSB_INSC_IyEEEESG_yNS9_4plusIvEENS9_8equal_toIvEEyEE10hipError_tPvRmT2_T3_T4_T5_mT6_T7_P12ihipStream_tbENKUlT_T0_E_clISt17integral_constantIbLb1EES10_IbLb0EEEEDaSW_SX_EUlSW_E_NS1_11comp_targetILNS1_3genE10ELNS1_11target_archE1200ELNS1_3gpuE4ELNS1_3repE0EEENS1_30default_config_static_selectorELNS0_4arch9wavefront6targetE1EEEvT1_
		.amdhsa_group_segment_fixed_size 0
		.amdhsa_private_segment_fixed_size 0
		.amdhsa_kernarg_size 136
		.amdhsa_user_sgpr_count 2
		.amdhsa_user_sgpr_dispatch_ptr 0
		.amdhsa_user_sgpr_queue_ptr 0
		.amdhsa_user_sgpr_kernarg_segment_ptr 1
		.amdhsa_user_sgpr_dispatch_id 0
		.amdhsa_user_sgpr_kernarg_preload_length 0
		.amdhsa_user_sgpr_kernarg_preload_offset 0
		.amdhsa_user_sgpr_private_segment_size 0
		.amdhsa_uses_dynamic_stack 0
		.amdhsa_enable_private_segment 0
		.amdhsa_system_sgpr_workgroup_id_x 1
		.amdhsa_system_sgpr_workgroup_id_y 0
		.amdhsa_system_sgpr_workgroup_id_z 0
		.amdhsa_system_sgpr_workgroup_info 0
		.amdhsa_system_vgpr_workitem_id 0
		.amdhsa_next_free_vgpr 1
		.amdhsa_next_free_sgpr 0
		.amdhsa_accum_offset 4
		.amdhsa_reserve_vcc 0
		.amdhsa_float_round_mode_32 0
		.amdhsa_float_round_mode_16_64 0
		.amdhsa_float_denorm_mode_32 3
		.amdhsa_float_denorm_mode_16_64 3
		.amdhsa_dx10_clamp 1
		.amdhsa_ieee_mode 1
		.amdhsa_fp16_overflow 0
		.amdhsa_tg_split 0
		.amdhsa_exception_fp_ieee_invalid_op 0
		.amdhsa_exception_fp_denorm_src 0
		.amdhsa_exception_fp_ieee_div_zero 0
		.amdhsa_exception_fp_ieee_overflow 0
		.amdhsa_exception_fp_ieee_underflow 0
		.amdhsa_exception_fp_ieee_inexact 0
		.amdhsa_exception_int_div_zero 0
	.end_amdhsa_kernel
	.section	.text._ZN7rocprim17ROCPRIM_400000_NS6detail17trampoline_kernelINS0_14default_configENS1_27scan_by_key_config_selectorIiyEEZZNS1_16scan_by_key_implILNS1_25lookback_scan_determinismE0ELb1ES3_N6thrust23THRUST_200600_302600_NS6detail15normal_iteratorINS9_10device_ptrIiEEEENSB_INSC_IyEEEESG_yNS9_4plusIvEENS9_8equal_toIvEEyEE10hipError_tPvRmT2_T3_T4_T5_mT6_T7_P12ihipStream_tbENKUlT_T0_E_clISt17integral_constantIbLb1EES10_IbLb0EEEEDaSW_SX_EUlSW_E_NS1_11comp_targetILNS1_3genE10ELNS1_11target_archE1200ELNS1_3gpuE4ELNS1_3repE0EEENS1_30default_config_static_selectorELNS0_4arch9wavefront6targetE1EEEvT1_,"axG",@progbits,_ZN7rocprim17ROCPRIM_400000_NS6detail17trampoline_kernelINS0_14default_configENS1_27scan_by_key_config_selectorIiyEEZZNS1_16scan_by_key_implILNS1_25lookback_scan_determinismE0ELb1ES3_N6thrust23THRUST_200600_302600_NS6detail15normal_iteratorINS9_10device_ptrIiEEEENSB_INSC_IyEEEESG_yNS9_4plusIvEENS9_8equal_toIvEEyEE10hipError_tPvRmT2_T3_T4_T5_mT6_T7_P12ihipStream_tbENKUlT_T0_E_clISt17integral_constantIbLb1EES10_IbLb0EEEEDaSW_SX_EUlSW_E_NS1_11comp_targetILNS1_3genE10ELNS1_11target_archE1200ELNS1_3gpuE4ELNS1_3repE0EEENS1_30default_config_static_selectorELNS0_4arch9wavefront6targetE1EEEvT1_,comdat
.Lfunc_end1487:
	.size	_ZN7rocprim17ROCPRIM_400000_NS6detail17trampoline_kernelINS0_14default_configENS1_27scan_by_key_config_selectorIiyEEZZNS1_16scan_by_key_implILNS1_25lookback_scan_determinismE0ELb1ES3_N6thrust23THRUST_200600_302600_NS6detail15normal_iteratorINS9_10device_ptrIiEEEENSB_INSC_IyEEEESG_yNS9_4plusIvEENS9_8equal_toIvEEyEE10hipError_tPvRmT2_T3_T4_T5_mT6_T7_P12ihipStream_tbENKUlT_T0_E_clISt17integral_constantIbLb1EES10_IbLb0EEEEDaSW_SX_EUlSW_E_NS1_11comp_targetILNS1_3genE10ELNS1_11target_archE1200ELNS1_3gpuE4ELNS1_3repE0EEENS1_30default_config_static_selectorELNS0_4arch9wavefront6targetE1EEEvT1_, .Lfunc_end1487-_ZN7rocprim17ROCPRIM_400000_NS6detail17trampoline_kernelINS0_14default_configENS1_27scan_by_key_config_selectorIiyEEZZNS1_16scan_by_key_implILNS1_25lookback_scan_determinismE0ELb1ES3_N6thrust23THRUST_200600_302600_NS6detail15normal_iteratorINS9_10device_ptrIiEEEENSB_INSC_IyEEEESG_yNS9_4plusIvEENS9_8equal_toIvEEyEE10hipError_tPvRmT2_T3_T4_T5_mT6_T7_P12ihipStream_tbENKUlT_T0_E_clISt17integral_constantIbLb1EES10_IbLb0EEEEDaSW_SX_EUlSW_E_NS1_11comp_targetILNS1_3genE10ELNS1_11target_archE1200ELNS1_3gpuE4ELNS1_3repE0EEENS1_30default_config_static_selectorELNS0_4arch9wavefront6targetE1EEEvT1_
                                        ; -- End function
	.section	.AMDGPU.csdata,"",@progbits
; Kernel info:
; codeLenInByte = 0
; NumSgprs: 6
; NumVgprs: 0
; NumAgprs: 0
; TotalNumVgprs: 0
; ScratchSize: 0
; MemoryBound: 0
; FloatMode: 240
; IeeeMode: 1
; LDSByteSize: 0 bytes/workgroup (compile time only)
; SGPRBlocks: 0
; VGPRBlocks: 0
; NumSGPRsForWavesPerEU: 6
; NumVGPRsForWavesPerEU: 1
; AccumOffset: 4
; Occupancy: 8
; WaveLimiterHint : 0
; COMPUTE_PGM_RSRC2:SCRATCH_EN: 0
; COMPUTE_PGM_RSRC2:USER_SGPR: 2
; COMPUTE_PGM_RSRC2:TRAP_HANDLER: 0
; COMPUTE_PGM_RSRC2:TGID_X_EN: 1
; COMPUTE_PGM_RSRC2:TGID_Y_EN: 0
; COMPUTE_PGM_RSRC2:TGID_Z_EN: 0
; COMPUTE_PGM_RSRC2:TIDIG_COMP_CNT: 0
; COMPUTE_PGM_RSRC3_GFX90A:ACCUM_OFFSET: 0
; COMPUTE_PGM_RSRC3_GFX90A:TG_SPLIT: 0
	.section	.text._ZN7rocprim17ROCPRIM_400000_NS6detail17trampoline_kernelINS0_14default_configENS1_27scan_by_key_config_selectorIiyEEZZNS1_16scan_by_key_implILNS1_25lookback_scan_determinismE0ELb1ES3_N6thrust23THRUST_200600_302600_NS6detail15normal_iteratorINS9_10device_ptrIiEEEENSB_INSC_IyEEEESG_yNS9_4plusIvEENS9_8equal_toIvEEyEE10hipError_tPvRmT2_T3_T4_T5_mT6_T7_P12ihipStream_tbENKUlT_T0_E_clISt17integral_constantIbLb1EES10_IbLb0EEEEDaSW_SX_EUlSW_E_NS1_11comp_targetILNS1_3genE9ELNS1_11target_archE1100ELNS1_3gpuE3ELNS1_3repE0EEENS1_30default_config_static_selectorELNS0_4arch9wavefront6targetE1EEEvT1_,"axG",@progbits,_ZN7rocprim17ROCPRIM_400000_NS6detail17trampoline_kernelINS0_14default_configENS1_27scan_by_key_config_selectorIiyEEZZNS1_16scan_by_key_implILNS1_25lookback_scan_determinismE0ELb1ES3_N6thrust23THRUST_200600_302600_NS6detail15normal_iteratorINS9_10device_ptrIiEEEENSB_INSC_IyEEEESG_yNS9_4plusIvEENS9_8equal_toIvEEyEE10hipError_tPvRmT2_T3_T4_T5_mT6_T7_P12ihipStream_tbENKUlT_T0_E_clISt17integral_constantIbLb1EES10_IbLb0EEEEDaSW_SX_EUlSW_E_NS1_11comp_targetILNS1_3genE9ELNS1_11target_archE1100ELNS1_3gpuE3ELNS1_3repE0EEENS1_30default_config_static_selectorELNS0_4arch9wavefront6targetE1EEEvT1_,comdat
	.protected	_ZN7rocprim17ROCPRIM_400000_NS6detail17trampoline_kernelINS0_14default_configENS1_27scan_by_key_config_selectorIiyEEZZNS1_16scan_by_key_implILNS1_25lookback_scan_determinismE0ELb1ES3_N6thrust23THRUST_200600_302600_NS6detail15normal_iteratorINS9_10device_ptrIiEEEENSB_INSC_IyEEEESG_yNS9_4plusIvEENS9_8equal_toIvEEyEE10hipError_tPvRmT2_T3_T4_T5_mT6_T7_P12ihipStream_tbENKUlT_T0_E_clISt17integral_constantIbLb1EES10_IbLb0EEEEDaSW_SX_EUlSW_E_NS1_11comp_targetILNS1_3genE9ELNS1_11target_archE1100ELNS1_3gpuE3ELNS1_3repE0EEENS1_30default_config_static_selectorELNS0_4arch9wavefront6targetE1EEEvT1_ ; -- Begin function _ZN7rocprim17ROCPRIM_400000_NS6detail17trampoline_kernelINS0_14default_configENS1_27scan_by_key_config_selectorIiyEEZZNS1_16scan_by_key_implILNS1_25lookback_scan_determinismE0ELb1ES3_N6thrust23THRUST_200600_302600_NS6detail15normal_iteratorINS9_10device_ptrIiEEEENSB_INSC_IyEEEESG_yNS9_4plusIvEENS9_8equal_toIvEEyEE10hipError_tPvRmT2_T3_T4_T5_mT6_T7_P12ihipStream_tbENKUlT_T0_E_clISt17integral_constantIbLb1EES10_IbLb0EEEEDaSW_SX_EUlSW_E_NS1_11comp_targetILNS1_3genE9ELNS1_11target_archE1100ELNS1_3gpuE3ELNS1_3repE0EEENS1_30default_config_static_selectorELNS0_4arch9wavefront6targetE1EEEvT1_
	.globl	_ZN7rocprim17ROCPRIM_400000_NS6detail17trampoline_kernelINS0_14default_configENS1_27scan_by_key_config_selectorIiyEEZZNS1_16scan_by_key_implILNS1_25lookback_scan_determinismE0ELb1ES3_N6thrust23THRUST_200600_302600_NS6detail15normal_iteratorINS9_10device_ptrIiEEEENSB_INSC_IyEEEESG_yNS9_4plusIvEENS9_8equal_toIvEEyEE10hipError_tPvRmT2_T3_T4_T5_mT6_T7_P12ihipStream_tbENKUlT_T0_E_clISt17integral_constantIbLb1EES10_IbLb0EEEEDaSW_SX_EUlSW_E_NS1_11comp_targetILNS1_3genE9ELNS1_11target_archE1100ELNS1_3gpuE3ELNS1_3repE0EEENS1_30default_config_static_selectorELNS0_4arch9wavefront6targetE1EEEvT1_
	.p2align	8
	.type	_ZN7rocprim17ROCPRIM_400000_NS6detail17trampoline_kernelINS0_14default_configENS1_27scan_by_key_config_selectorIiyEEZZNS1_16scan_by_key_implILNS1_25lookback_scan_determinismE0ELb1ES3_N6thrust23THRUST_200600_302600_NS6detail15normal_iteratorINS9_10device_ptrIiEEEENSB_INSC_IyEEEESG_yNS9_4plusIvEENS9_8equal_toIvEEyEE10hipError_tPvRmT2_T3_T4_T5_mT6_T7_P12ihipStream_tbENKUlT_T0_E_clISt17integral_constantIbLb1EES10_IbLb0EEEEDaSW_SX_EUlSW_E_NS1_11comp_targetILNS1_3genE9ELNS1_11target_archE1100ELNS1_3gpuE3ELNS1_3repE0EEENS1_30default_config_static_selectorELNS0_4arch9wavefront6targetE1EEEvT1_,@function
_ZN7rocprim17ROCPRIM_400000_NS6detail17trampoline_kernelINS0_14default_configENS1_27scan_by_key_config_selectorIiyEEZZNS1_16scan_by_key_implILNS1_25lookback_scan_determinismE0ELb1ES3_N6thrust23THRUST_200600_302600_NS6detail15normal_iteratorINS9_10device_ptrIiEEEENSB_INSC_IyEEEESG_yNS9_4plusIvEENS9_8equal_toIvEEyEE10hipError_tPvRmT2_T3_T4_T5_mT6_T7_P12ihipStream_tbENKUlT_T0_E_clISt17integral_constantIbLb1EES10_IbLb0EEEEDaSW_SX_EUlSW_E_NS1_11comp_targetILNS1_3genE9ELNS1_11target_archE1100ELNS1_3gpuE3ELNS1_3repE0EEENS1_30default_config_static_selectorELNS0_4arch9wavefront6targetE1EEEvT1_: ; @_ZN7rocprim17ROCPRIM_400000_NS6detail17trampoline_kernelINS0_14default_configENS1_27scan_by_key_config_selectorIiyEEZZNS1_16scan_by_key_implILNS1_25lookback_scan_determinismE0ELb1ES3_N6thrust23THRUST_200600_302600_NS6detail15normal_iteratorINS9_10device_ptrIiEEEENSB_INSC_IyEEEESG_yNS9_4plusIvEENS9_8equal_toIvEEyEE10hipError_tPvRmT2_T3_T4_T5_mT6_T7_P12ihipStream_tbENKUlT_T0_E_clISt17integral_constantIbLb1EES10_IbLb0EEEEDaSW_SX_EUlSW_E_NS1_11comp_targetILNS1_3genE9ELNS1_11target_archE1100ELNS1_3gpuE3ELNS1_3repE0EEENS1_30default_config_static_selectorELNS0_4arch9wavefront6targetE1EEEvT1_
; %bb.0:
	.section	.rodata,"a",@progbits
	.p2align	6, 0x0
	.amdhsa_kernel _ZN7rocprim17ROCPRIM_400000_NS6detail17trampoline_kernelINS0_14default_configENS1_27scan_by_key_config_selectorIiyEEZZNS1_16scan_by_key_implILNS1_25lookback_scan_determinismE0ELb1ES3_N6thrust23THRUST_200600_302600_NS6detail15normal_iteratorINS9_10device_ptrIiEEEENSB_INSC_IyEEEESG_yNS9_4plusIvEENS9_8equal_toIvEEyEE10hipError_tPvRmT2_T3_T4_T5_mT6_T7_P12ihipStream_tbENKUlT_T0_E_clISt17integral_constantIbLb1EES10_IbLb0EEEEDaSW_SX_EUlSW_E_NS1_11comp_targetILNS1_3genE9ELNS1_11target_archE1100ELNS1_3gpuE3ELNS1_3repE0EEENS1_30default_config_static_selectorELNS0_4arch9wavefront6targetE1EEEvT1_
		.amdhsa_group_segment_fixed_size 0
		.amdhsa_private_segment_fixed_size 0
		.amdhsa_kernarg_size 136
		.amdhsa_user_sgpr_count 2
		.amdhsa_user_sgpr_dispatch_ptr 0
		.amdhsa_user_sgpr_queue_ptr 0
		.amdhsa_user_sgpr_kernarg_segment_ptr 1
		.amdhsa_user_sgpr_dispatch_id 0
		.amdhsa_user_sgpr_kernarg_preload_length 0
		.amdhsa_user_sgpr_kernarg_preload_offset 0
		.amdhsa_user_sgpr_private_segment_size 0
		.amdhsa_uses_dynamic_stack 0
		.amdhsa_enable_private_segment 0
		.amdhsa_system_sgpr_workgroup_id_x 1
		.amdhsa_system_sgpr_workgroup_id_y 0
		.amdhsa_system_sgpr_workgroup_id_z 0
		.amdhsa_system_sgpr_workgroup_info 0
		.amdhsa_system_vgpr_workitem_id 0
		.amdhsa_next_free_vgpr 1
		.amdhsa_next_free_sgpr 0
		.amdhsa_accum_offset 4
		.amdhsa_reserve_vcc 0
		.amdhsa_float_round_mode_32 0
		.amdhsa_float_round_mode_16_64 0
		.amdhsa_float_denorm_mode_32 3
		.amdhsa_float_denorm_mode_16_64 3
		.amdhsa_dx10_clamp 1
		.amdhsa_ieee_mode 1
		.amdhsa_fp16_overflow 0
		.amdhsa_tg_split 0
		.amdhsa_exception_fp_ieee_invalid_op 0
		.amdhsa_exception_fp_denorm_src 0
		.amdhsa_exception_fp_ieee_div_zero 0
		.amdhsa_exception_fp_ieee_overflow 0
		.amdhsa_exception_fp_ieee_underflow 0
		.amdhsa_exception_fp_ieee_inexact 0
		.amdhsa_exception_int_div_zero 0
	.end_amdhsa_kernel
	.section	.text._ZN7rocprim17ROCPRIM_400000_NS6detail17trampoline_kernelINS0_14default_configENS1_27scan_by_key_config_selectorIiyEEZZNS1_16scan_by_key_implILNS1_25lookback_scan_determinismE0ELb1ES3_N6thrust23THRUST_200600_302600_NS6detail15normal_iteratorINS9_10device_ptrIiEEEENSB_INSC_IyEEEESG_yNS9_4plusIvEENS9_8equal_toIvEEyEE10hipError_tPvRmT2_T3_T4_T5_mT6_T7_P12ihipStream_tbENKUlT_T0_E_clISt17integral_constantIbLb1EES10_IbLb0EEEEDaSW_SX_EUlSW_E_NS1_11comp_targetILNS1_3genE9ELNS1_11target_archE1100ELNS1_3gpuE3ELNS1_3repE0EEENS1_30default_config_static_selectorELNS0_4arch9wavefront6targetE1EEEvT1_,"axG",@progbits,_ZN7rocprim17ROCPRIM_400000_NS6detail17trampoline_kernelINS0_14default_configENS1_27scan_by_key_config_selectorIiyEEZZNS1_16scan_by_key_implILNS1_25lookback_scan_determinismE0ELb1ES3_N6thrust23THRUST_200600_302600_NS6detail15normal_iteratorINS9_10device_ptrIiEEEENSB_INSC_IyEEEESG_yNS9_4plusIvEENS9_8equal_toIvEEyEE10hipError_tPvRmT2_T3_T4_T5_mT6_T7_P12ihipStream_tbENKUlT_T0_E_clISt17integral_constantIbLb1EES10_IbLb0EEEEDaSW_SX_EUlSW_E_NS1_11comp_targetILNS1_3genE9ELNS1_11target_archE1100ELNS1_3gpuE3ELNS1_3repE0EEENS1_30default_config_static_selectorELNS0_4arch9wavefront6targetE1EEEvT1_,comdat
.Lfunc_end1488:
	.size	_ZN7rocprim17ROCPRIM_400000_NS6detail17trampoline_kernelINS0_14default_configENS1_27scan_by_key_config_selectorIiyEEZZNS1_16scan_by_key_implILNS1_25lookback_scan_determinismE0ELb1ES3_N6thrust23THRUST_200600_302600_NS6detail15normal_iteratorINS9_10device_ptrIiEEEENSB_INSC_IyEEEESG_yNS9_4plusIvEENS9_8equal_toIvEEyEE10hipError_tPvRmT2_T3_T4_T5_mT6_T7_P12ihipStream_tbENKUlT_T0_E_clISt17integral_constantIbLb1EES10_IbLb0EEEEDaSW_SX_EUlSW_E_NS1_11comp_targetILNS1_3genE9ELNS1_11target_archE1100ELNS1_3gpuE3ELNS1_3repE0EEENS1_30default_config_static_selectorELNS0_4arch9wavefront6targetE1EEEvT1_, .Lfunc_end1488-_ZN7rocprim17ROCPRIM_400000_NS6detail17trampoline_kernelINS0_14default_configENS1_27scan_by_key_config_selectorIiyEEZZNS1_16scan_by_key_implILNS1_25lookback_scan_determinismE0ELb1ES3_N6thrust23THRUST_200600_302600_NS6detail15normal_iteratorINS9_10device_ptrIiEEEENSB_INSC_IyEEEESG_yNS9_4plusIvEENS9_8equal_toIvEEyEE10hipError_tPvRmT2_T3_T4_T5_mT6_T7_P12ihipStream_tbENKUlT_T0_E_clISt17integral_constantIbLb1EES10_IbLb0EEEEDaSW_SX_EUlSW_E_NS1_11comp_targetILNS1_3genE9ELNS1_11target_archE1100ELNS1_3gpuE3ELNS1_3repE0EEENS1_30default_config_static_selectorELNS0_4arch9wavefront6targetE1EEEvT1_
                                        ; -- End function
	.section	.AMDGPU.csdata,"",@progbits
; Kernel info:
; codeLenInByte = 0
; NumSgprs: 6
; NumVgprs: 0
; NumAgprs: 0
; TotalNumVgprs: 0
; ScratchSize: 0
; MemoryBound: 0
; FloatMode: 240
; IeeeMode: 1
; LDSByteSize: 0 bytes/workgroup (compile time only)
; SGPRBlocks: 0
; VGPRBlocks: 0
; NumSGPRsForWavesPerEU: 6
; NumVGPRsForWavesPerEU: 1
; AccumOffset: 4
; Occupancy: 8
; WaveLimiterHint : 0
; COMPUTE_PGM_RSRC2:SCRATCH_EN: 0
; COMPUTE_PGM_RSRC2:USER_SGPR: 2
; COMPUTE_PGM_RSRC2:TRAP_HANDLER: 0
; COMPUTE_PGM_RSRC2:TGID_X_EN: 1
; COMPUTE_PGM_RSRC2:TGID_Y_EN: 0
; COMPUTE_PGM_RSRC2:TGID_Z_EN: 0
; COMPUTE_PGM_RSRC2:TIDIG_COMP_CNT: 0
; COMPUTE_PGM_RSRC3_GFX90A:ACCUM_OFFSET: 0
; COMPUTE_PGM_RSRC3_GFX90A:TG_SPLIT: 0
	.section	.text._ZN7rocprim17ROCPRIM_400000_NS6detail17trampoline_kernelINS0_14default_configENS1_27scan_by_key_config_selectorIiyEEZZNS1_16scan_by_key_implILNS1_25lookback_scan_determinismE0ELb1ES3_N6thrust23THRUST_200600_302600_NS6detail15normal_iteratorINS9_10device_ptrIiEEEENSB_INSC_IyEEEESG_yNS9_4plusIvEENS9_8equal_toIvEEyEE10hipError_tPvRmT2_T3_T4_T5_mT6_T7_P12ihipStream_tbENKUlT_T0_E_clISt17integral_constantIbLb1EES10_IbLb0EEEEDaSW_SX_EUlSW_E_NS1_11comp_targetILNS1_3genE8ELNS1_11target_archE1030ELNS1_3gpuE2ELNS1_3repE0EEENS1_30default_config_static_selectorELNS0_4arch9wavefront6targetE1EEEvT1_,"axG",@progbits,_ZN7rocprim17ROCPRIM_400000_NS6detail17trampoline_kernelINS0_14default_configENS1_27scan_by_key_config_selectorIiyEEZZNS1_16scan_by_key_implILNS1_25lookback_scan_determinismE0ELb1ES3_N6thrust23THRUST_200600_302600_NS6detail15normal_iteratorINS9_10device_ptrIiEEEENSB_INSC_IyEEEESG_yNS9_4plusIvEENS9_8equal_toIvEEyEE10hipError_tPvRmT2_T3_T4_T5_mT6_T7_P12ihipStream_tbENKUlT_T0_E_clISt17integral_constantIbLb1EES10_IbLb0EEEEDaSW_SX_EUlSW_E_NS1_11comp_targetILNS1_3genE8ELNS1_11target_archE1030ELNS1_3gpuE2ELNS1_3repE0EEENS1_30default_config_static_selectorELNS0_4arch9wavefront6targetE1EEEvT1_,comdat
	.protected	_ZN7rocprim17ROCPRIM_400000_NS6detail17trampoline_kernelINS0_14default_configENS1_27scan_by_key_config_selectorIiyEEZZNS1_16scan_by_key_implILNS1_25lookback_scan_determinismE0ELb1ES3_N6thrust23THRUST_200600_302600_NS6detail15normal_iteratorINS9_10device_ptrIiEEEENSB_INSC_IyEEEESG_yNS9_4plusIvEENS9_8equal_toIvEEyEE10hipError_tPvRmT2_T3_T4_T5_mT6_T7_P12ihipStream_tbENKUlT_T0_E_clISt17integral_constantIbLb1EES10_IbLb0EEEEDaSW_SX_EUlSW_E_NS1_11comp_targetILNS1_3genE8ELNS1_11target_archE1030ELNS1_3gpuE2ELNS1_3repE0EEENS1_30default_config_static_selectorELNS0_4arch9wavefront6targetE1EEEvT1_ ; -- Begin function _ZN7rocprim17ROCPRIM_400000_NS6detail17trampoline_kernelINS0_14default_configENS1_27scan_by_key_config_selectorIiyEEZZNS1_16scan_by_key_implILNS1_25lookback_scan_determinismE0ELb1ES3_N6thrust23THRUST_200600_302600_NS6detail15normal_iteratorINS9_10device_ptrIiEEEENSB_INSC_IyEEEESG_yNS9_4plusIvEENS9_8equal_toIvEEyEE10hipError_tPvRmT2_T3_T4_T5_mT6_T7_P12ihipStream_tbENKUlT_T0_E_clISt17integral_constantIbLb1EES10_IbLb0EEEEDaSW_SX_EUlSW_E_NS1_11comp_targetILNS1_3genE8ELNS1_11target_archE1030ELNS1_3gpuE2ELNS1_3repE0EEENS1_30default_config_static_selectorELNS0_4arch9wavefront6targetE1EEEvT1_
	.globl	_ZN7rocprim17ROCPRIM_400000_NS6detail17trampoline_kernelINS0_14default_configENS1_27scan_by_key_config_selectorIiyEEZZNS1_16scan_by_key_implILNS1_25lookback_scan_determinismE0ELb1ES3_N6thrust23THRUST_200600_302600_NS6detail15normal_iteratorINS9_10device_ptrIiEEEENSB_INSC_IyEEEESG_yNS9_4plusIvEENS9_8equal_toIvEEyEE10hipError_tPvRmT2_T3_T4_T5_mT6_T7_P12ihipStream_tbENKUlT_T0_E_clISt17integral_constantIbLb1EES10_IbLb0EEEEDaSW_SX_EUlSW_E_NS1_11comp_targetILNS1_3genE8ELNS1_11target_archE1030ELNS1_3gpuE2ELNS1_3repE0EEENS1_30default_config_static_selectorELNS0_4arch9wavefront6targetE1EEEvT1_
	.p2align	8
	.type	_ZN7rocprim17ROCPRIM_400000_NS6detail17trampoline_kernelINS0_14default_configENS1_27scan_by_key_config_selectorIiyEEZZNS1_16scan_by_key_implILNS1_25lookback_scan_determinismE0ELb1ES3_N6thrust23THRUST_200600_302600_NS6detail15normal_iteratorINS9_10device_ptrIiEEEENSB_INSC_IyEEEESG_yNS9_4plusIvEENS9_8equal_toIvEEyEE10hipError_tPvRmT2_T3_T4_T5_mT6_T7_P12ihipStream_tbENKUlT_T0_E_clISt17integral_constantIbLb1EES10_IbLb0EEEEDaSW_SX_EUlSW_E_NS1_11comp_targetILNS1_3genE8ELNS1_11target_archE1030ELNS1_3gpuE2ELNS1_3repE0EEENS1_30default_config_static_selectorELNS0_4arch9wavefront6targetE1EEEvT1_,@function
_ZN7rocprim17ROCPRIM_400000_NS6detail17trampoline_kernelINS0_14default_configENS1_27scan_by_key_config_selectorIiyEEZZNS1_16scan_by_key_implILNS1_25lookback_scan_determinismE0ELb1ES3_N6thrust23THRUST_200600_302600_NS6detail15normal_iteratorINS9_10device_ptrIiEEEENSB_INSC_IyEEEESG_yNS9_4plusIvEENS9_8equal_toIvEEyEE10hipError_tPvRmT2_T3_T4_T5_mT6_T7_P12ihipStream_tbENKUlT_T0_E_clISt17integral_constantIbLb1EES10_IbLb0EEEEDaSW_SX_EUlSW_E_NS1_11comp_targetILNS1_3genE8ELNS1_11target_archE1030ELNS1_3gpuE2ELNS1_3repE0EEENS1_30default_config_static_selectorELNS0_4arch9wavefront6targetE1EEEvT1_: ; @_ZN7rocprim17ROCPRIM_400000_NS6detail17trampoline_kernelINS0_14default_configENS1_27scan_by_key_config_selectorIiyEEZZNS1_16scan_by_key_implILNS1_25lookback_scan_determinismE0ELb1ES3_N6thrust23THRUST_200600_302600_NS6detail15normal_iteratorINS9_10device_ptrIiEEEENSB_INSC_IyEEEESG_yNS9_4plusIvEENS9_8equal_toIvEEyEE10hipError_tPvRmT2_T3_T4_T5_mT6_T7_P12ihipStream_tbENKUlT_T0_E_clISt17integral_constantIbLb1EES10_IbLb0EEEEDaSW_SX_EUlSW_E_NS1_11comp_targetILNS1_3genE8ELNS1_11target_archE1030ELNS1_3gpuE2ELNS1_3repE0EEENS1_30default_config_static_selectorELNS0_4arch9wavefront6targetE1EEEvT1_
; %bb.0:
	.section	.rodata,"a",@progbits
	.p2align	6, 0x0
	.amdhsa_kernel _ZN7rocprim17ROCPRIM_400000_NS6detail17trampoline_kernelINS0_14default_configENS1_27scan_by_key_config_selectorIiyEEZZNS1_16scan_by_key_implILNS1_25lookback_scan_determinismE0ELb1ES3_N6thrust23THRUST_200600_302600_NS6detail15normal_iteratorINS9_10device_ptrIiEEEENSB_INSC_IyEEEESG_yNS9_4plusIvEENS9_8equal_toIvEEyEE10hipError_tPvRmT2_T3_T4_T5_mT6_T7_P12ihipStream_tbENKUlT_T0_E_clISt17integral_constantIbLb1EES10_IbLb0EEEEDaSW_SX_EUlSW_E_NS1_11comp_targetILNS1_3genE8ELNS1_11target_archE1030ELNS1_3gpuE2ELNS1_3repE0EEENS1_30default_config_static_selectorELNS0_4arch9wavefront6targetE1EEEvT1_
		.amdhsa_group_segment_fixed_size 0
		.amdhsa_private_segment_fixed_size 0
		.amdhsa_kernarg_size 136
		.amdhsa_user_sgpr_count 2
		.amdhsa_user_sgpr_dispatch_ptr 0
		.amdhsa_user_sgpr_queue_ptr 0
		.amdhsa_user_sgpr_kernarg_segment_ptr 1
		.amdhsa_user_sgpr_dispatch_id 0
		.amdhsa_user_sgpr_kernarg_preload_length 0
		.amdhsa_user_sgpr_kernarg_preload_offset 0
		.amdhsa_user_sgpr_private_segment_size 0
		.amdhsa_uses_dynamic_stack 0
		.amdhsa_enable_private_segment 0
		.amdhsa_system_sgpr_workgroup_id_x 1
		.amdhsa_system_sgpr_workgroup_id_y 0
		.amdhsa_system_sgpr_workgroup_id_z 0
		.amdhsa_system_sgpr_workgroup_info 0
		.amdhsa_system_vgpr_workitem_id 0
		.amdhsa_next_free_vgpr 1
		.amdhsa_next_free_sgpr 0
		.amdhsa_accum_offset 4
		.amdhsa_reserve_vcc 0
		.amdhsa_float_round_mode_32 0
		.amdhsa_float_round_mode_16_64 0
		.amdhsa_float_denorm_mode_32 3
		.amdhsa_float_denorm_mode_16_64 3
		.amdhsa_dx10_clamp 1
		.amdhsa_ieee_mode 1
		.amdhsa_fp16_overflow 0
		.amdhsa_tg_split 0
		.amdhsa_exception_fp_ieee_invalid_op 0
		.amdhsa_exception_fp_denorm_src 0
		.amdhsa_exception_fp_ieee_div_zero 0
		.amdhsa_exception_fp_ieee_overflow 0
		.amdhsa_exception_fp_ieee_underflow 0
		.amdhsa_exception_fp_ieee_inexact 0
		.amdhsa_exception_int_div_zero 0
	.end_amdhsa_kernel
	.section	.text._ZN7rocprim17ROCPRIM_400000_NS6detail17trampoline_kernelINS0_14default_configENS1_27scan_by_key_config_selectorIiyEEZZNS1_16scan_by_key_implILNS1_25lookback_scan_determinismE0ELb1ES3_N6thrust23THRUST_200600_302600_NS6detail15normal_iteratorINS9_10device_ptrIiEEEENSB_INSC_IyEEEESG_yNS9_4plusIvEENS9_8equal_toIvEEyEE10hipError_tPvRmT2_T3_T4_T5_mT6_T7_P12ihipStream_tbENKUlT_T0_E_clISt17integral_constantIbLb1EES10_IbLb0EEEEDaSW_SX_EUlSW_E_NS1_11comp_targetILNS1_3genE8ELNS1_11target_archE1030ELNS1_3gpuE2ELNS1_3repE0EEENS1_30default_config_static_selectorELNS0_4arch9wavefront6targetE1EEEvT1_,"axG",@progbits,_ZN7rocprim17ROCPRIM_400000_NS6detail17trampoline_kernelINS0_14default_configENS1_27scan_by_key_config_selectorIiyEEZZNS1_16scan_by_key_implILNS1_25lookback_scan_determinismE0ELb1ES3_N6thrust23THRUST_200600_302600_NS6detail15normal_iteratorINS9_10device_ptrIiEEEENSB_INSC_IyEEEESG_yNS9_4plusIvEENS9_8equal_toIvEEyEE10hipError_tPvRmT2_T3_T4_T5_mT6_T7_P12ihipStream_tbENKUlT_T0_E_clISt17integral_constantIbLb1EES10_IbLb0EEEEDaSW_SX_EUlSW_E_NS1_11comp_targetILNS1_3genE8ELNS1_11target_archE1030ELNS1_3gpuE2ELNS1_3repE0EEENS1_30default_config_static_selectorELNS0_4arch9wavefront6targetE1EEEvT1_,comdat
.Lfunc_end1489:
	.size	_ZN7rocprim17ROCPRIM_400000_NS6detail17trampoline_kernelINS0_14default_configENS1_27scan_by_key_config_selectorIiyEEZZNS1_16scan_by_key_implILNS1_25lookback_scan_determinismE0ELb1ES3_N6thrust23THRUST_200600_302600_NS6detail15normal_iteratorINS9_10device_ptrIiEEEENSB_INSC_IyEEEESG_yNS9_4plusIvEENS9_8equal_toIvEEyEE10hipError_tPvRmT2_T3_T4_T5_mT6_T7_P12ihipStream_tbENKUlT_T0_E_clISt17integral_constantIbLb1EES10_IbLb0EEEEDaSW_SX_EUlSW_E_NS1_11comp_targetILNS1_3genE8ELNS1_11target_archE1030ELNS1_3gpuE2ELNS1_3repE0EEENS1_30default_config_static_selectorELNS0_4arch9wavefront6targetE1EEEvT1_, .Lfunc_end1489-_ZN7rocprim17ROCPRIM_400000_NS6detail17trampoline_kernelINS0_14default_configENS1_27scan_by_key_config_selectorIiyEEZZNS1_16scan_by_key_implILNS1_25lookback_scan_determinismE0ELb1ES3_N6thrust23THRUST_200600_302600_NS6detail15normal_iteratorINS9_10device_ptrIiEEEENSB_INSC_IyEEEESG_yNS9_4plusIvEENS9_8equal_toIvEEyEE10hipError_tPvRmT2_T3_T4_T5_mT6_T7_P12ihipStream_tbENKUlT_T0_E_clISt17integral_constantIbLb1EES10_IbLb0EEEEDaSW_SX_EUlSW_E_NS1_11comp_targetILNS1_3genE8ELNS1_11target_archE1030ELNS1_3gpuE2ELNS1_3repE0EEENS1_30default_config_static_selectorELNS0_4arch9wavefront6targetE1EEEvT1_
                                        ; -- End function
	.section	.AMDGPU.csdata,"",@progbits
; Kernel info:
; codeLenInByte = 0
; NumSgprs: 6
; NumVgprs: 0
; NumAgprs: 0
; TotalNumVgprs: 0
; ScratchSize: 0
; MemoryBound: 0
; FloatMode: 240
; IeeeMode: 1
; LDSByteSize: 0 bytes/workgroup (compile time only)
; SGPRBlocks: 0
; VGPRBlocks: 0
; NumSGPRsForWavesPerEU: 6
; NumVGPRsForWavesPerEU: 1
; AccumOffset: 4
; Occupancy: 8
; WaveLimiterHint : 0
; COMPUTE_PGM_RSRC2:SCRATCH_EN: 0
; COMPUTE_PGM_RSRC2:USER_SGPR: 2
; COMPUTE_PGM_RSRC2:TRAP_HANDLER: 0
; COMPUTE_PGM_RSRC2:TGID_X_EN: 1
; COMPUTE_PGM_RSRC2:TGID_Y_EN: 0
; COMPUTE_PGM_RSRC2:TGID_Z_EN: 0
; COMPUTE_PGM_RSRC2:TIDIG_COMP_CNT: 0
; COMPUTE_PGM_RSRC3_GFX90A:ACCUM_OFFSET: 0
; COMPUTE_PGM_RSRC3_GFX90A:TG_SPLIT: 0
	.section	.text._ZN7rocprim17ROCPRIM_400000_NS6detail17trampoline_kernelINS0_14default_configENS1_27scan_by_key_config_selectorIiyEEZZNS1_16scan_by_key_implILNS1_25lookback_scan_determinismE0ELb1ES3_N6thrust23THRUST_200600_302600_NS6detail15normal_iteratorINS9_10device_ptrIiEEEENSB_INSC_IyEEEESG_yNS9_4plusIvEENS9_8equal_toIvEEyEE10hipError_tPvRmT2_T3_T4_T5_mT6_T7_P12ihipStream_tbENKUlT_T0_E_clISt17integral_constantIbLb0EES10_IbLb1EEEEDaSW_SX_EUlSW_E_NS1_11comp_targetILNS1_3genE0ELNS1_11target_archE4294967295ELNS1_3gpuE0ELNS1_3repE0EEENS1_30default_config_static_selectorELNS0_4arch9wavefront6targetE1EEEvT1_,"axG",@progbits,_ZN7rocprim17ROCPRIM_400000_NS6detail17trampoline_kernelINS0_14default_configENS1_27scan_by_key_config_selectorIiyEEZZNS1_16scan_by_key_implILNS1_25lookback_scan_determinismE0ELb1ES3_N6thrust23THRUST_200600_302600_NS6detail15normal_iteratorINS9_10device_ptrIiEEEENSB_INSC_IyEEEESG_yNS9_4plusIvEENS9_8equal_toIvEEyEE10hipError_tPvRmT2_T3_T4_T5_mT6_T7_P12ihipStream_tbENKUlT_T0_E_clISt17integral_constantIbLb0EES10_IbLb1EEEEDaSW_SX_EUlSW_E_NS1_11comp_targetILNS1_3genE0ELNS1_11target_archE4294967295ELNS1_3gpuE0ELNS1_3repE0EEENS1_30default_config_static_selectorELNS0_4arch9wavefront6targetE1EEEvT1_,comdat
	.protected	_ZN7rocprim17ROCPRIM_400000_NS6detail17trampoline_kernelINS0_14default_configENS1_27scan_by_key_config_selectorIiyEEZZNS1_16scan_by_key_implILNS1_25lookback_scan_determinismE0ELb1ES3_N6thrust23THRUST_200600_302600_NS6detail15normal_iteratorINS9_10device_ptrIiEEEENSB_INSC_IyEEEESG_yNS9_4plusIvEENS9_8equal_toIvEEyEE10hipError_tPvRmT2_T3_T4_T5_mT6_T7_P12ihipStream_tbENKUlT_T0_E_clISt17integral_constantIbLb0EES10_IbLb1EEEEDaSW_SX_EUlSW_E_NS1_11comp_targetILNS1_3genE0ELNS1_11target_archE4294967295ELNS1_3gpuE0ELNS1_3repE0EEENS1_30default_config_static_selectorELNS0_4arch9wavefront6targetE1EEEvT1_ ; -- Begin function _ZN7rocprim17ROCPRIM_400000_NS6detail17trampoline_kernelINS0_14default_configENS1_27scan_by_key_config_selectorIiyEEZZNS1_16scan_by_key_implILNS1_25lookback_scan_determinismE0ELb1ES3_N6thrust23THRUST_200600_302600_NS6detail15normal_iteratorINS9_10device_ptrIiEEEENSB_INSC_IyEEEESG_yNS9_4plusIvEENS9_8equal_toIvEEyEE10hipError_tPvRmT2_T3_T4_T5_mT6_T7_P12ihipStream_tbENKUlT_T0_E_clISt17integral_constantIbLb0EES10_IbLb1EEEEDaSW_SX_EUlSW_E_NS1_11comp_targetILNS1_3genE0ELNS1_11target_archE4294967295ELNS1_3gpuE0ELNS1_3repE0EEENS1_30default_config_static_selectorELNS0_4arch9wavefront6targetE1EEEvT1_
	.globl	_ZN7rocprim17ROCPRIM_400000_NS6detail17trampoline_kernelINS0_14default_configENS1_27scan_by_key_config_selectorIiyEEZZNS1_16scan_by_key_implILNS1_25lookback_scan_determinismE0ELb1ES3_N6thrust23THRUST_200600_302600_NS6detail15normal_iteratorINS9_10device_ptrIiEEEENSB_INSC_IyEEEESG_yNS9_4plusIvEENS9_8equal_toIvEEyEE10hipError_tPvRmT2_T3_T4_T5_mT6_T7_P12ihipStream_tbENKUlT_T0_E_clISt17integral_constantIbLb0EES10_IbLb1EEEEDaSW_SX_EUlSW_E_NS1_11comp_targetILNS1_3genE0ELNS1_11target_archE4294967295ELNS1_3gpuE0ELNS1_3repE0EEENS1_30default_config_static_selectorELNS0_4arch9wavefront6targetE1EEEvT1_
	.p2align	8
	.type	_ZN7rocprim17ROCPRIM_400000_NS6detail17trampoline_kernelINS0_14default_configENS1_27scan_by_key_config_selectorIiyEEZZNS1_16scan_by_key_implILNS1_25lookback_scan_determinismE0ELb1ES3_N6thrust23THRUST_200600_302600_NS6detail15normal_iteratorINS9_10device_ptrIiEEEENSB_INSC_IyEEEESG_yNS9_4plusIvEENS9_8equal_toIvEEyEE10hipError_tPvRmT2_T3_T4_T5_mT6_T7_P12ihipStream_tbENKUlT_T0_E_clISt17integral_constantIbLb0EES10_IbLb1EEEEDaSW_SX_EUlSW_E_NS1_11comp_targetILNS1_3genE0ELNS1_11target_archE4294967295ELNS1_3gpuE0ELNS1_3repE0EEENS1_30default_config_static_selectorELNS0_4arch9wavefront6targetE1EEEvT1_,@function
_ZN7rocprim17ROCPRIM_400000_NS6detail17trampoline_kernelINS0_14default_configENS1_27scan_by_key_config_selectorIiyEEZZNS1_16scan_by_key_implILNS1_25lookback_scan_determinismE0ELb1ES3_N6thrust23THRUST_200600_302600_NS6detail15normal_iteratorINS9_10device_ptrIiEEEENSB_INSC_IyEEEESG_yNS9_4plusIvEENS9_8equal_toIvEEyEE10hipError_tPvRmT2_T3_T4_T5_mT6_T7_P12ihipStream_tbENKUlT_T0_E_clISt17integral_constantIbLb0EES10_IbLb1EEEEDaSW_SX_EUlSW_E_NS1_11comp_targetILNS1_3genE0ELNS1_11target_archE4294967295ELNS1_3gpuE0ELNS1_3repE0EEENS1_30default_config_static_selectorELNS0_4arch9wavefront6targetE1EEEvT1_: ; @_ZN7rocprim17ROCPRIM_400000_NS6detail17trampoline_kernelINS0_14default_configENS1_27scan_by_key_config_selectorIiyEEZZNS1_16scan_by_key_implILNS1_25lookback_scan_determinismE0ELb1ES3_N6thrust23THRUST_200600_302600_NS6detail15normal_iteratorINS9_10device_ptrIiEEEENSB_INSC_IyEEEESG_yNS9_4plusIvEENS9_8equal_toIvEEyEE10hipError_tPvRmT2_T3_T4_T5_mT6_T7_P12ihipStream_tbENKUlT_T0_E_clISt17integral_constantIbLb0EES10_IbLb1EEEEDaSW_SX_EUlSW_E_NS1_11comp_targetILNS1_3genE0ELNS1_11target_archE4294967295ELNS1_3gpuE0ELNS1_3repE0EEENS1_30default_config_static_selectorELNS0_4arch9wavefront6targetE1EEEvT1_
; %bb.0:
	.section	.rodata,"a",@progbits
	.p2align	6, 0x0
	.amdhsa_kernel _ZN7rocprim17ROCPRIM_400000_NS6detail17trampoline_kernelINS0_14default_configENS1_27scan_by_key_config_selectorIiyEEZZNS1_16scan_by_key_implILNS1_25lookback_scan_determinismE0ELb1ES3_N6thrust23THRUST_200600_302600_NS6detail15normal_iteratorINS9_10device_ptrIiEEEENSB_INSC_IyEEEESG_yNS9_4plusIvEENS9_8equal_toIvEEyEE10hipError_tPvRmT2_T3_T4_T5_mT6_T7_P12ihipStream_tbENKUlT_T0_E_clISt17integral_constantIbLb0EES10_IbLb1EEEEDaSW_SX_EUlSW_E_NS1_11comp_targetILNS1_3genE0ELNS1_11target_archE4294967295ELNS1_3gpuE0ELNS1_3repE0EEENS1_30default_config_static_selectorELNS0_4arch9wavefront6targetE1EEEvT1_
		.amdhsa_group_segment_fixed_size 0
		.amdhsa_private_segment_fixed_size 0
		.amdhsa_kernarg_size 136
		.amdhsa_user_sgpr_count 2
		.amdhsa_user_sgpr_dispatch_ptr 0
		.amdhsa_user_sgpr_queue_ptr 0
		.amdhsa_user_sgpr_kernarg_segment_ptr 1
		.amdhsa_user_sgpr_dispatch_id 0
		.amdhsa_user_sgpr_kernarg_preload_length 0
		.amdhsa_user_sgpr_kernarg_preload_offset 0
		.amdhsa_user_sgpr_private_segment_size 0
		.amdhsa_uses_dynamic_stack 0
		.amdhsa_enable_private_segment 0
		.amdhsa_system_sgpr_workgroup_id_x 1
		.amdhsa_system_sgpr_workgroup_id_y 0
		.amdhsa_system_sgpr_workgroup_id_z 0
		.amdhsa_system_sgpr_workgroup_info 0
		.amdhsa_system_vgpr_workitem_id 0
		.amdhsa_next_free_vgpr 1
		.amdhsa_next_free_sgpr 0
		.amdhsa_accum_offset 4
		.amdhsa_reserve_vcc 0
		.amdhsa_float_round_mode_32 0
		.amdhsa_float_round_mode_16_64 0
		.amdhsa_float_denorm_mode_32 3
		.amdhsa_float_denorm_mode_16_64 3
		.amdhsa_dx10_clamp 1
		.amdhsa_ieee_mode 1
		.amdhsa_fp16_overflow 0
		.amdhsa_tg_split 0
		.amdhsa_exception_fp_ieee_invalid_op 0
		.amdhsa_exception_fp_denorm_src 0
		.amdhsa_exception_fp_ieee_div_zero 0
		.amdhsa_exception_fp_ieee_overflow 0
		.amdhsa_exception_fp_ieee_underflow 0
		.amdhsa_exception_fp_ieee_inexact 0
		.amdhsa_exception_int_div_zero 0
	.end_amdhsa_kernel
	.section	.text._ZN7rocprim17ROCPRIM_400000_NS6detail17trampoline_kernelINS0_14default_configENS1_27scan_by_key_config_selectorIiyEEZZNS1_16scan_by_key_implILNS1_25lookback_scan_determinismE0ELb1ES3_N6thrust23THRUST_200600_302600_NS6detail15normal_iteratorINS9_10device_ptrIiEEEENSB_INSC_IyEEEESG_yNS9_4plusIvEENS9_8equal_toIvEEyEE10hipError_tPvRmT2_T3_T4_T5_mT6_T7_P12ihipStream_tbENKUlT_T0_E_clISt17integral_constantIbLb0EES10_IbLb1EEEEDaSW_SX_EUlSW_E_NS1_11comp_targetILNS1_3genE0ELNS1_11target_archE4294967295ELNS1_3gpuE0ELNS1_3repE0EEENS1_30default_config_static_selectorELNS0_4arch9wavefront6targetE1EEEvT1_,"axG",@progbits,_ZN7rocprim17ROCPRIM_400000_NS6detail17trampoline_kernelINS0_14default_configENS1_27scan_by_key_config_selectorIiyEEZZNS1_16scan_by_key_implILNS1_25lookback_scan_determinismE0ELb1ES3_N6thrust23THRUST_200600_302600_NS6detail15normal_iteratorINS9_10device_ptrIiEEEENSB_INSC_IyEEEESG_yNS9_4plusIvEENS9_8equal_toIvEEyEE10hipError_tPvRmT2_T3_T4_T5_mT6_T7_P12ihipStream_tbENKUlT_T0_E_clISt17integral_constantIbLb0EES10_IbLb1EEEEDaSW_SX_EUlSW_E_NS1_11comp_targetILNS1_3genE0ELNS1_11target_archE4294967295ELNS1_3gpuE0ELNS1_3repE0EEENS1_30default_config_static_selectorELNS0_4arch9wavefront6targetE1EEEvT1_,comdat
.Lfunc_end1490:
	.size	_ZN7rocprim17ROCPRIM_400000_NS6detail17trampoline_kernelINS0_14default_configENS1_27scan_by_key_config_selectorIiyEEZZNS1_16scan_by_key_implILNS1_25lookback_scan_determinismE0ELb1ES3_N6thrust23THRUST_200600_302600_NS6detail15normal_iteratorINS9_10device_ptrIiEEEENSB_INSC_IyEEEESG_yNS9_4plusIvEENS9_8equal_toIvEEyEE10hipError_tPvRmT2_T3_T4_T5_mT6_T7_P12ihipStream_tbENKUlT_T0_E_clISt17integral_constantIbLb0EES10_IbLb1EEEEDaSW_SX_EUlSW_E_NS1_11comp_targetILNS1_3genE0ELNS1_11target_archE4294967295ELNS1_3gpuE0ELNS1_3repE0EEENS1_30default_config_static_selectorELNS0_4arch9wavefront6targetE1EEEvT1_, .Lfunc_end1490-_ZN7rocprim17ROCPRIM_400000_NS6detail17trampoline_kernelINS0_14default_configENS1_27scan_by_key_config_selectorIiyEEZZNS1_16scan_by_key_implILNS1_25lookback_scan_determinismE0ELb1ES3_N6thrust23THRUST_200600_302600_NS6detail15normal_iteratorINS9_10device_ptrIiEEEENSB_INSC_IyEEEESG_yNS9_4plusIvEENS9_8equal_toIvEEyEE10hipError_tPvRmT2_T3_T4_T5_mT6_T7_P12ihipStream_tbENKUlT_T0_E_clISt17integral_constantIbLb0EES10_IbLb1EEEEDaSW_SX_EUlSW_E_NS1_11comp_targetILNS1_3genE0ELNS1_11target_archE4294967295ELNS1_3gpuE0ELNS1_3repE0EEENS1_30default_config_static_selectorELNS0_4arch9wavefront6targetE1EEEvT1_
                                        ; -- End function
	.section	.AMDGPU.csdata,"",@progbits
; Kernel info:
; codeLenInByte = 0
; NumSgprs: 6
; NumVgprs: 0
; NumAgprs: 0
; TotalNumVgprs: 0
; ScratchSize: 0
; MemoryBound: 0
; FloatMode: 240
; IeeeMode: 1
; LDSByteSize: 0 bytes/workgroup (compile time only)
; SGPRBlocks: 0
; VGPRBlocks: 0
; NumSGPRsForWavesPerEU: 6
; NumVGPRsForWavesPerEU: 1
; AccumOffset: 4
; Occupancy: 8
; WaveLimiterHint : 0
; COMPUTE_PGM_RSRC2:SCRATCH_EN: 0
; COMPUTE_PGM_RSRC2:USER_SGPR: 2
; COMPUTE_PGM_RSRC2:TRAP_HANDLER: 0
; COMPUTE_PGM_RSRC2:TGID_X_EN: 1
; COMPUTE_PGM_RSRC2:TGID_Y_EN: 0
; COMPUTE_PGM_RSRC2:TGID_Z_EN: 0
; COMPUTE_PGM_RSRC2:TIDIG_COMP_CNT: 0
; COMPUTE_PGM_RSRC3_GFX90A:ACCUM_OFFSET: 0
; COMPUTE_PGM_RSRC3_GFX90A:TG_SPLIT: 0
	.section	.text._ZN7rocprim17ROCPRIM_400000_NS6detail17trampoline_kernelINS0_14default_configENS1_27scan_by_key_config_selectorIiyEEZZNS1_16scan_by_key_implILNS1_25lookback_scan_determinismE0ELb1ES3_N6thrust23THRUST_200600_302600_NS6detail15normal_iteratorINS9_10device_ptrIiEEEENSB_INSC_IyEEEESG_yNS9_4plusIvEENS9_8equal_toIvEEyEE10hipError_tPvRmT2_T3_T4_T5_mT6_T7_P12ihipStream_tbENKUlT_T0_E_clISt17integral_constantIbLb0EES10_IbLb1EEEEDaSW_SX_EUlSW_E_NS1_11comp_targetILNS1_3genE10ELNS1_11target_archE1201ELNS1_3gpuE5ELNS1_3repE0EEENS1_30default_config_static_selectorELNS0_4arch9wavefront6targetE1EEEvT1_,"axG",@progbits,_ZN7rocprim17ROCPRIM_400000_NS6detail17trampoline_kernelINS0_14default_configENS1_27scan_by_key_config_selectorIiyEEZZNS1_16scan_by_key_implILNS1_25lookback_scan_determinismE0ELb1ES3_N6thrust23THRUST_200600_302600_NS6detail15normal_iteratorINS9_10device_ptrIiEEEENSB_INSC_IyEEEESG_yNS9_4plusIvEENS9_8equal_toIvEEyEE10hipError_tPvRmT2_T3_T4_T5_mT6_T7_P12ihipStream_tbENKUlT_T0_E_clISt17integral_constantIbLb0EES10_IbLb1EEEEDaSW_SX_EUlSW_E_NS1_11comp_targetILNS1_3genE10ELNS1_11target_archE1201ELNS1_3gpuE5ELNS1_3repE0EEENS1_30default_config_static_selectorELNS0_4arch9wavefront6targetE1EEEvT1_,comdat
	.protected	_ZN7rocprim17ROCPRIM_400000_NS6detail17trampoline_kernelINS0_14default_configENS1_27scan_by_key_config_selectorIiyEEZZNS1_16scan_by_key_implILNS1_25lookback_scan_determinismE0ELb1ES3_N6thrust23THRUST_200600_302600_NS6detail15normal_iteratorINS9_10device_ptrIiEEEENSB_INSC_IyEEEESG_yNS9_4plusIvEENS9_8equal_toIvEEyEE10hipError_tPvRmT2_T3_T4_T5_mT6_T7_P12ihipStream_tbENKUlT_T0_E_clISt17integral_constantIbLb0EES10_IbLb1EEEEDaSW_SX_EUlSW_E_NS1_11comp_targetILNS1_3genE10ELNS1_11target_archE1201ELNS1_3gpuE5ELNS1_3repE0EEENS1_30default_config_static_selectorELNS0_4arch9wavefront6targetE1EEEvT1_ ; -- Begin function _ZN7rocprim17ROCPRIM_400000_NS6detail17trampoline_kernelINS0_14default_configENS1_27scan_by_key_config_selectorIiyEEZZNS1_16scan_by_key_implILNS1_25lookback_scan_determinismE0ELb1ES3_N6thrust23THRUST_200600_302600_NS6detail15normal_iteratorINS9_10device_ptrIiEEEENSB_INSC_IyEEEESG_yNS9_4plusIvEENS9_8equal_toIvEEyEE10hipError_tPvRmT2_T3_T4_T5_mT6_T7_P12ihipStream_tbENKUlT_T0_E_clISt17integral_constantIbLb0EES10_IbLb1EEEEDaSW_SX_EUlSW_E_NS1_11comp_targetILNS1_3genE10ELNS1_11target_archE1201ELNS1_3gpuE5ELNS1_3repE0EEENS1_30default_config_static_selectorELNS0_4arch9wavefront6targetE1EEEvT1_
	.globl	_ZN7rocprim17ROCPRIM_400000_NS6detail17trampoline_kernelINS0_14default_configENS1_27scan_by_key_config_selectorIiyEEZZNS1_16scan_by_key_implILNS1_25lookback_scan_determinismE0ELb1ES3_N6thrust23THRUST_200600_302600_NS6detail15normal_iteratorINS9_10device_ptrIiEEEENSB_INSC_IyEEEESG_yNS9_4plusIvEENS9_8equal_toIvEEyEE10hipError_tPvRmT2_T3_T4_T5_mT6_T7_P12ihipStream_tbENKUlT_T0_E_clISt17integral_constantIbLb0EES10_IbLb1EEEEDaSW_SX_EUlSW_E_NS1_11comp_targetILNS1_3genE10ELNS1_11target_archE1201ELNS1_3gpuE5ELNS1_3repE0EEENS1_30default_config_static_selectorELNS0_4arch9wavefront6targetE1EEEvT1_
	.p2align	8
	.type	_ZN7rocprim17ROCPRIM_400000_NS6detail17trampoline_kernelINS0_14default_configENS1_27scan_by_key_config_selectorIiyEEZZNS1_16scan_by_key_implILNS1_25lookback_scan_determinismE0ELb1ES3_N6thrust23THRUST_200600_302600_NS6detail15normal_iteratorINS9_10device_ptrIiEEEENSB_INSC_IyEEEESG_yNS9_4plusIvEENS9_8equal_toIvEEyEE10hipError_tPvRmT2_T3_T4_T5_mT6_T7_P12ihipStream_tbENKUlT_T0_E_clISt17integral_constantIbLb0EES10_IbLb1EEEEDaSW_SX_EUlSW_E_NS1_11comp_targetILNS1_3genE10ELNS1_11target_archE1201ELNS1_3gpuE5ELNS1_3repE0EEENS1_30default_config_static_selectorELNS0_4arch9wavefront6targetE1EEEvT1_,@function
_ZN7rocprim17ROCPRIM_400000_NS6detail17trampoline_kernelINS0_14default_configENS1_27scan_by_key_config_selectorIiyEEZZNS1_16scan_by_key_implILNS1_25lookback_scan_determinismE0ELb1ES3_N6thrust23THRUST_200600_302600_NS6detail15normal_iteratorINS9_10device_ptrIiEEEENSB_INSC_IyEEEESG_yNS9_4plusIvEENS9_8equal_toIvEEyEE10hipError_tPvRmT2_T3_T4_T5_mT6_T7_P12ihipStream_tbENKUlT_T0_E_clISt17integral_constantIbLb0EES10_IbLb1EEEEDaSW_SX_EUlSW_E_NS1_11comp_targetILNS1_3genE10ELNS1_11target_archE1201ELNS1_3gpuE5ELNS1_3repE0EEENS1_30default_config_static_selectorELNS0_4arch9wavefront6targetE1EEEvT1_: ; @_ZN7rocprim17ROCPRIM_400000_NS6detail17trampoline_kernelINS0_14default_configENS1_27scan_by_key_config_selectorIiyEEZZNS1_16scan_by_key_implILNS1_25lookback_scan_determinismE0ELb1ES3_N6thrust23THRUST_200600_302600_NS6detail15normal_iteratorINS9_10device_ptrIiEEEENSB_INSC_IyEEEESG_yNS9_4plusIvEENS9_8equal_toIvEEyEE10hipError_tPvRmT2_T3_T4_T5_mT6_T7_P12ihipStream_tbENKUlT_T0_E_clISt17integral_constantIbLb0EES10_IbLb1EEEEDaSW_SX_EUlSW_E_NS1_11comp_targetILNS1_3genE10ELNS1_11target_archE1201ELNS1_3gpuE5ELNS1_3repE0EEENS1_30default_config_static_selectorELNS0_4arch9wavefront6targetE1EEEvT1_
; %bb.0:
	.section	.rodata,"a",@progbits
	.p2align	6, 0x0
	.amdhsa_kernel _ZN7rocprim17ROCPRIM_400000_NS6detail17trampoline_kernelINS0_14default_configENS1_27scan_by_key_config_selectorIiyEEZZNS1_16scan_by_key_implILNS1_25lookback_scan_determinismE0ELb1ES3_N6thrust23THRUST_200600_302600_NS6detail15normal_iteratorINS9_10device_ptrIiEEEENSB_INSC_IyEEEESG_yNS9_4plusIvEENS9_8equal_toIvEEyEE10hipError_tPvRmT2_T3_T4_T5_mT6_T7_P12ihipStream_tbENKUlT_T0_E_clISt17integral_constantIbLb0EES10_IbLb1EEEEDaSW_SX_EUlSW_E_NS1_11comp_targetILNS1_3genE10ELNS1_11target_archE1201ELNS1_3gpuE5ELNS1_3repE0EEENS1_30default_config_static_selectorELNS0_4arch9wavefront6targetE1EEEvT1_
		.amdhsa_group_segment_fixed_size 0
		.amdhsa_private_segment_fixed_size 0
		.amdhsa_kernarg_size 136
		.amdhsa_user_sgpr_count 2
		.amdhsa_user_sgpr_dispatch_ptr 0
		.amdhsa_user_sgpr_queue_ptr 0
		.amdhsa_user_sgpr_kernarg_segment_ptr 1
		.amdhsa_user_sgpr_dispatch_id 0
		.amdhsa_user_sgpr_kernarg_preload_length 0
		.amdhsa_user_sgpr_kernarg_preload_offset 0
		.amdhsa_user_sgpr_private_segment_size 0
		.amdhsa_uses_dynamic_stack 0
		.amdhsa_enable_private_segment 0
		.amdhsa_system_sgpr_workgroup_id_x 1
		.amdhsa_system_sgpr_workgroup_id_y 0
		.amdhsa_system_sgpr_workgroup_id_z 0
		.amdhsa_system_sgpr_workgroup_info 0
		.amdhsa_system_vgpr_workitem_id 0
		.amdhsa_next_free_vgpr 1
		.amdhsa_next_free_sgpr 0
		.amdhsa_accum_offset 4
		.amdhsa_reserve_vcc 0
		.amdhsa_float_round_mode_32 0
		.amdhsa_float_round_mode_16_64 0
		.amdhsa_float_denorm_mode_32 3
		.amdhsa_float_denorm_mode_16_64 3
		.amdhsa_dx10_clamp 1
		.amdhsa_ieee_mode 1
		.amdhsa_fp16_overflow 0
		.amdhsa_tg_split 0
		.amdhsa_exception_fp_ieee_invalid_op 0
		.amdhsa_exception_fp_denorm_src 0
		.amdhsa_exception_fp_ieee_div_zero 0
		.amdhsa_exception_fp_ieee_overflow 0
		.amdhsa_exception_fp_ieee_underflow 0
		.amdhsa_exception_fp_ieee_inexact 0
		.amdhsa_exception_int_div_zero 0
	.end_amdhsa_kernel
	.section	.text._ZN7rocprim17ROCPRIM_400000_NS6detail17trampoline_kernelINS0_14default_configENS1_27scan_by_key_config_selectorIiyEEZZNS1_16scan_by_key_implILNS1_25lookback_scan_determinismE0ELb1ES3_N6thrust23THRUST_200600_302600_NS6detail15normal_iteratorINS9_10device_ptrIiEEEENSB_INSC_IyEEEESG_yNS9_4plusIvEENS9_8equal_toIvEEyEE10hipError_tPvRmT2_T3_T4_T5_mT6_T7_P12ihipStream_tbENKUlT_T0_E_clISt17integral_constantIbLb0EES10_IbLb1EEEEDaSW_SX_EUlSW_E_NS1_11comp_targetILNS1_3genE10ELNS1_11target_archE1201ELNS1_3gpuE5ELNS1_3repE0EEENS1_30default_config_static_selectorELNS0_4arch9wavefront6targetE1EEEvT1_,"axG",@progbits,_ZN7rocprim17ROCPRIM_400000_NS6detail17trampoline_kernelINS0_14default_configENS1_27scan_by_key_config_selectorIiyEEZZNS1_16scan_by_key_implILNS1_25lookback_scan_determinismE0ELb1ES3_N6thrust23THRUST_200600_302600_NS6detail15normal_iteratorINS9_10device_ptrIiEEEENSB_INSC_IyEEEESG_yNS9_4plusIvEENS9_8equal_toIvEEyEE10hipError_tPvRmT2_T3_T4_T5_mT6_T7_P12ihipStream_tbENKUlT_T0_E_clISt17integral_constantIbLb0EES10_IbLb1EEEEDaSW_SX_EUlSW_E_NS1_11comp_targetILNS1_3genE10ELNS1_11target_archE1201ELNS1_3gpuE5ELNS1_3repE0EEENS1_30default_config_static_selectorELNS0_4arch9wavefront6targetE1EEEvT1_,comdat
.Lfunc_end1491:
	.size	_ZN7rocprim17ROCPRIM_400000_NS6detail17trampoline_kernelINS0_14default_configENS1_27scan_by_key_config_selectorIiyEEZZNS1_16scan_by_key_implILNS1_25lookback_scan_determinismE0ELb1ES3_N6thrust23THRUST_200600_302600_NS6detail15normal_iteratorINS9_10device_ptrIiEEEENSB_INSC_IyEEEESG_yNS9_4plusIvEENS9_8equal_toIvEEyEE10hipError_tPvRmT2_T3_T4_T5_mT6_T7_P12ihipStream_tbENKUlT_T0_E_clISt17integral_constantIbLb0EES10_IbLb1EEEEDaSW_SX_EUlSW_E_NS1_11comp_targetILNS1_3genE10ELNS1_11target_archE1201ELNS1_3gpuE5ELNS1_3repE0EEENS1_30default_config_static_selectorELNS0_4arch9wavefront6targetE1EEEvT1_, .Lfunc_end1491-_ZN7rocprim17ROCPRIM_400000_NS6detail17trampoline_kernelINS0_14default_configENS1_27scan_by_key_config_selectorIiyEEZZNS1_16scan_by_key_implILNS1_25lookback_scan_determinismE0ELb1ES3_N6thrust23THRUST_200600_302600_NS6detail15normal_iteratorINS9_10device_ptrIiEEEENSB_INSC_IyEEEESG_yNS9_4plusIvEENS9_8equal_toIvEEyEE10hipError_tPvRmT2_T3_T4_T5_mT6_T7_P12ihipStream_tbENKUlT_T0_E_clISt17integral_constantIbLb0EES10_IbLb1EEEEDaSW_SX_EUlSW_E_NS1_11comp_targetILNS1_3genE10ELNS1_11target_archE1201ELNS1_3gpuE5ELNS1_3repE0EEENS1_30default_config_static_selectorELNS0_4arch9wavefront6targetE1EEEvT1_
                                        ; -- End function
	.section	.AMDGPU.csdata,"",@progbits
; Kernel info:
; codeLenInByte = 0
; NumSgprs: 6
; NumVgprs: 0
; NumAgprs: 0
; TotalNumVgprs: 0
; ScratchSize: 0
; MemoryBound: 0
; FloatMode: 240
; IeeeMode: 1
; LDSByteSize: 0 bytes/workgroup (compile time only)
; SGPRBlocks: 0
; VGPRBlocks: 0
; NumSGPRsForWavesPerEU: 6
; NumVGPRsForWavesPerEU: 1
; AccumOffset: 4
; Occupancy: 8
; WaveLimiterHint : 0
; COMPUTE_PGM_RSRC2:SCRATCH_EN: 0
; COMPUTE_PGM_RSRC2:USER_SGPR: 2
; COMPUTE_PGM_RSRC2:TRAP_HANDLER: 0
; COMPUTE_PGM_RSRC2:TGID_X_EN: 1
; COMPUTE_PGM_RSRC2:TGID_Y_EN: 0
; COMPUTE_PGM_RSRC2:TGID_Z_EN: 0
; COMPUTE_PGM_RSRC2:TIDIG_COMP_CNT: 0
; COMPUTE_PGM_RSRC3_GFX90A:ACCUM_OFFSET: 0
; COMPUTE_PGM_RSRC3_GFX90A:TG_SPLIT: 0
	.section	.text._ZN7rocprim17ROCPRIM_400000_NS6detail17trampoline_kernelINS0_14default_configENS1_27scan_by_key_config_selectorIiyEEZZNS1_16scan_by_key_implILNS1_25lookback_scan_determinismE0ELb1ES3_N6thrust23THRUST_200600_302600_NS6detail15normal_iteratorINS9_10device_ptrIiEEEENSB_INSC_IyEEEESG_yNS9_4plusIvEENS9_8equal_toIvEEyEE10hipError_tPvRmT2_T3_T4_T5_mT6_T7_P12ihipStream_tbENKUlT_T0_E_clISt17integral_constantIbLb0EES10_IbLb1EEEEDaSW_SX_EUlSW_E_NS1_11comp_targetILNS1_3genE5ELNS1_11target_archE942ELNS1_3gpuE9ELNS1_3repE0EEENS1_30default_config_static_selectorELNS0_4arch9wavefront6targetE1EEEvT1_,"axG",@progbits,_ZN7rocprim17ROCPRIM_400000_NS6detail17trampoline_kernelINS0_14default_configENS1_27scan_by_key_config_selectorIiyEEZZNS1_16scan_by_key_implILNS1_25lookback_scan_determinismE0ELb1ES3_N6thrust23THRUST_200600_302600_NS6detail15normal_iteratorINS9_10device_ptrIiEEEENSB_INSC_IyEEEESG_yNS9_4plusIvEENS9_8equal_toIvEEyEE10hipError_tPvRmT2_T3_T4_T5_mT6_T7_P12ihipStream_tbENKUlT_T0_E_clISt17integral_constantIbLb0EES10_IbLb1EEEEDaSW_SX_EUlSW_E_NS1_11comp_targetILNS1_3genE5ELNS1_11target_archE942ELNS1_3gpuE9ELNS1_3repE0EEENS1_30default_config_static_selectorELNS0_4arch9wavefront6targetE1EEEvT1_,comdat
	.protected	_ZN7rocprim17ROCPRIM_400000_NS6detail17trampoline_kernelINS0_14default_configENS1_27scan_by_key_config_selectorIiyEEZZNS1_16scan_by_key_implILNS1_25lookback_scan_determinismE0ELb1ES3_N6thrust23THRUST_200600_302600_NS6detail15normal_iteratorINS9_10device_ptrIiEEEENSB_INSC_IyEEEESG_yNS9_4plusIvEENS9_8equal_toIvEEyEE10hipError_tPvRmT2_T3_T4_T5_mT6_T7_P12ihipStream_tbENKUlT_T0_E_clISt17integral_constantIbLb0EES10_IbLb1EEEEDaSW_SX_EUlSW_E_NS1_11comp_targetILNS1_3genE5ELNS1_11target_archE942ELNS1_3gpuE9ELNS1_3repE0EEENS1_30default_config_static_selectorELNS0_4arch9wavefront6targetE1EEEvT1_ ; -- Begin function _ZN7rocprim17ROCPRIM_400000_NS6detail17trampoline_kernelINS0_14default_configENS1_27scan_by_key_config_selectorIiyEEZZNS1_16scan_by_key_implILNS1_25lookback_scan_determinismE0ELb1ES3_N6thrust23THRUST_200600_302600_NS6detail15normal_iteratorINS9_10device_ptrIiEEEENSB_INSC_IyEEEESG_yNS9_4plusIvEENS9_8equal_toIvEEyEE10hipError_tPvRmT2_T3_T4_T5_mT6_T7_P12ihipStream_tbENKUlT_T0_E_clISt17integral_constantIbLb0EES10_IbLb1EEEEDaSW_SX_EUlSW_E_NS1_11comp_targetILNS1_3genE5ELNS1_11target_archE942ELNS1_3gpuE9ELNS1_3repE0EEENS1_30default_config_static_selectorELNS0_4arch9wavefront6targetE1EEEvT1_
	.globl	_ZN7rocprim17ROCPRIM_400000_NS6detail17trampoline_kernelINS0_14default_configENS1_27scan_by_key_config_selectorIiyEEZZNS1_16scan_by_key_implILNS1_25lookback_scan_determinismE0ELb1ES3_N6thrust23THRUST_200600_302600_NS6detail15normal_iteratorINS9_10device_ptrIiEEEENSB_INSC_IyEEEESG_yNS9_4plusIvEENS9_8equal_toIvEEyEE10hipError_tPvRmT2_T3_T4_T5_mT6_T7_P12ihipStream_tbENKUlT_T0_E_clISt17integral_constantIbLb0EES10_IbLb1EEEEDaSW_SX_EUlSW_E_NS1_11comp_targetILNS1_3genE5ELNS1_11target_archE942ELNS1_3gpuE9ELNS1_3repE0EEENS1_30default_config_static_selectorELNS0_4arch9wavefront6targetE1EEEvT1_
	.p2align	8
	.type	_ZN7rocprim17ROCPRIM_400000_NS6detail17trampoline_kernelINS0_14default_configENS1_27scan_by_key_config_selectorIiyEEZZNS1_16scan_by_key_implILNS1_25lookback_scan_determinismE0ELb1ES3_N6thrust23THRUST_200600_302600_NS6detail15normal_iteratorINS9_10device_ptrIiEEEENSB_INSC_IyEEEESG_yNS9_4plusIvEENS9_8equal_toIvEEyEE10hipError_tPvRmT2_T3_T4_T5_mT6_T7_P12ihipStream_tbENKUlT_T0_E_clISt17integral_constantIbLb0EES10_IbLb1EEEEDaSW_SX_EUlSW_E_NS1_11comp_targetILNS1_3genE5ELNS1_11target_archE942ELNS1_3gpuE9ELNS1_3repE0EEENS1_30default_config_static_selectorELNS0_4arch9wavefront6targetE1EEEvT1_,@function
_ZN7rocprim17ROCPRIM_400000_NS6detail17trampoline_kernelINS0_14default_configENS1_27scan_by_key_config_selectorIiyEEZZNS1_16scan_by_key_implILNS1_25lookback_scan_determinismE0ELb1ES3_N6thrust23THRUST_200600_302600_NS6detail15normal_iteratorINS9_10device_ptrIiEEEENSB_INSC_IyEEEESG_yNS9_4plusIvEENS9_8equal_toIvEEyEE10hipError_tPvRmT2_T3_T4_T5_mT6_T7_P12ihipStream_tbENKUlT_T0_E_clISt17integral_constantIbLb0EES10_IbLb1EEEEDaSW_SX_EUlSW_E_NS1_11comp_targetILNS1_3genE5ELNS1_11target_archE942ELNS1_3gpuE9ELNS1_3repE0EEENS1_30default_config_static_selectorELNS0_4arch9wavefront6targetE1EEEvT1_: ; @_ZN7rocprim17ROCPRIM_400000_NS6detail17trampoline_kernelINS0_14default_configENS1_27scan_by_key_config_selectorIiyEEZZNS1_16scan_by_key_implILNS1_25lookback_scan_determinismE0ELb1ES3_N6thrust23THRUST_200600_302600_NS6detail15normal_iteratorINS9_10device_ptrIiEEEENSB_INSC_IyEEEESG_yNS9_4plusIvEENS9_8equal_toIvEEyEE10hipError_tPvRmT2_T3_T4_T5_mT6_T7_P12ihipStream_tbENKUlT_T0_E_clISt17integral_constantIbLb0EES10_IbLb1EEEEDaSW_SX_EUlSW_E_NS1_11comp_targetILNS1_3genE5ELNS1_11target_archE942ELNS1_3gpuE9ELNS1_3repE0EEENS1_30default_config_static_selectorELNS0_4arch9wavefront6targetE1EEEvT1_
; %bb.0:
	s_load_dwordx8 s[56:63], s[0:1], 0x0
	s_load_dwordx2 s[68:69], s[0:1], 0x20
	s_load_dwordx8 s[48:55], s[0:1], 0x30
	s_load_dwordx2 s[70:71], s[0:1], 0x50
	v_cmp_eq_u32_e64 s[46:47], 0, v0
	s_and_saveexec_b64 s[2:3], s[46:47]
	s_cbranch_execz .LBB1492_4
; %bb.1:
	s_mov_b64 s[6:7], exec
	v_mbcnt_lo_u32_b32 v1, s6, 0
	v_mbcnt_hi_u32_b32 v1, s7, v1
	v_cmp_eq_u32_e32 vcc, 0, v1
                                        ; implicit-def: $vgpr2
	s_and_saveexec_b64 s[4:5], vcc
	s_cbranch_execz .LBB1492_3
; %bb.2:
	s_load_dwordx2 s[8:9], s[0:1], 0x80
	s_bcnt1_i32_b64 s6, s[6:7]
	v_mov_b32_e32 v2, 0
	v_mov_b32_e32 v3, s6
	s_waitcnt lgkmcnt(0)
	global_atomic_add v2, v2, v3, s[8:9] sc0
.LBB1492_3:
	s_or_b64 exec, exec, s[4:5]
	s_waitcnt vmcnt(0)
	v_readfirstlane_b32 s4, v2
	v_mov_b32_e32 v2, 0
	s_nop 0
	v_add_u32_e32 v1, s4, v1
	ds_write_b32 v2, v1
.LBB1492_4:
	s_or_b64 exec, exec, s[2:3]
	s_load_dword s2, s[0:1], 0x58
	s_load_dwordx4 s[64:67], s[0:1], 0x60
	v_mov_b32_e32 v3, 0
	s_waitcnt lgkmcnt(0)
	s_lshl_b64 s[0:1], s[58:59], 2
	s_barrier
	ds_read_b32 v2, v3
	s_add_u32 s0, s56, s0
	s_addc_u32 s1, s57, s1
	s_lshl_b64 s[56:57], s[58:59], 3
	s_add_u32 s4, s60, s56
	s_mul_i32 s3, s71, s2
	s_mul_hi_u32 s6, s70, s2
	s_addc_u32 s5, s61, s57
	s_add_i32 s3, s6, s3
	s_movk_i32 s6, 0x1500
	s_waitcnt lgkmcnt(0)
	v_mul_lo_u32 v4, v2, s6
	v_mov_b32_e32 v5, v3
	v_lshlrev_b64 v[6:7], 2, v[4:5]
	v_lshlrev_b64 v[42:43], 3, v[4:5]
	s_mul_i32 s2, s70, s2
	v_lshl_add_u64 v[8:9], s[0:1], 0, v[6:7]
	v_lshl_add_u64 v[6:7], s[4:5], 0, v[42:43]
	s_add_u32 s4, s64, -1
	v_readfirstlane_b32 s55, v2
	v_lshl_add_u64 v[2:3], s[2:3], 0, v[2:3]
	s_addc_u32 s5, s65, -1
	v_cmp_le_u64_e64 s[2:3], s[4:5], v[2:3]
	s_mov_b64 s[0:1], -1
	s_and_b64 vcc, exec, s[2:3]
	s_mul_i32 s33, s4, 0xffffeb00
	s_barrier
	s_barrier
	s_cbranch_vccz .LBB1492_69
; %bb.5:
	flat_load_dword v2, v[8:9]
	s_add_i32 s64, s33, s54
	v_cmp_gt_u32_e32 vcc, s64, v0
	s_waitcnt vmcnt(0) lgkmcnt(0)
	v_mov_b32_e32 v4, v2
	s_and_saveexec_b64 s[0:1], vcc
	s_cbranch_execz .LBB1492_7
; %bb.6:
	v_lshlrev_b32_e32 v4, 2, v0
	v_mov_b32_e32 v5, 0
	v_lshl_add_u64 v[4:5], v[8:9], 0, v[4:5]
	flat_load_dword v4, v[4:5]
.LBB1492_7:
	s_or_b64 exec, exec, s[0:1]
	v_or_b32_e32 v1, 0x100, v0
	v_cmp_gt_u32_e64 s[4:5], s64, v1
	v_mov_b32_e32 v5, v2
	s_and_saveexec_b64 s[0:1], s[4:5]
	s_cbranch_execz .LBB1492_9
; %bb.8:
	v_lshlrev_b32_e32 v10, 2, v0
	v_mov_b32_e32 v11, 0
	v_lshl_add_u64 v[10:11], v[8:9], 0, v[10:11]
	flat_load_dword v5, v[10:11] offset:1024
.LBB1492_9:
	s_or_b64 exec, exec, s[0:1]
	v_or_b32_e32 v1, 0x200, v0
	v_cmp_gt_u32_e64 s[6:7], s64, v1
	v_mov_b32_e32 v10, v2
	s_and_saveexec_b64 s[0:1], s[6:7]
	s_cbranch_execz .LBB1492_11
; %bb.10:
	v_lshlrev_b32_e32 v10, 2, v0
	v_mov_b32_e32 v11, 0
	v_lshl_add_u64 v[10:11], v[8:9], 0, v[10:11]
	flat_load_dword v10, v[10:11] offset:2048
.LBB1492_11:
	;; [unrolled: 12-line block ×3, first 2 shown]
	s_or_b64 exec, exec, s[0:1]
	v_or_b32_e32 v36, 0x400, v0
	v_cmp_gt_u32_e64 s[10:11], s64, v36
	v_mov_b32_e32 v12, v2
	s_and_saveexec_b64 s[0:1], s[10:11]
	s_cbranch_execz .LBB1492_15
; %bb.14:
	v_lshlrev_b32_e32 v12, 2, v36
	v_mov_b32_e32 v13, 0
	v_lshl_add_u64 v[12:13], v[8:9], 0, v[12:13]
	flat_load_dword v12, v[12:13]
.LBB1492_15:
	s_or_b64 exec, exec, s[0:1]
	v_or_b32_e32 v38, 0x500, v0
	v_cmp_gt_u32_e64 s[12:13], s64, v38
	v_mov_b32_e32 v13, v2
	s_and_saveexec_b64 s[0:1], s[12:13]
	s_cbranch_execz .LBB1492_17
; %bb.16:
	v_lshlrev_b32_e32 v14, 2, v38
	v_mov_b32_e32 v15, 0
	v_lshl_add_u64 v[14:15], v[8:9], 0, v[14:15]
	flat_load_dword v13, v[14:15]
.LBB1492_17:
	;; [unrolled: 12-line block ×16, first 2 shown]
	s_or_b64 exec, exec, s[0:1]
	v_or_b32_e32 v70, 0x1400, v0
	v_cmp_gt_u32_e64 s[44:45], s64, v70
	v_mov_b32_e32 v3, 0
	s_and_saveexec_b64 s[0:1], s[44:45]
	s_cbranch_execz .LBB1492_47
; %bb.46:
	v_lshlrev_b32_e32 v2, 2, v70
	v_lshl_add_u64 v[2:3], v[8:9], 0, v[2:3]
	flat_load_dword v2, v[2:3]
.LBB1492_47:
	s_or_b64 exec, exec, s[0:1]
	v_lshlrev_b32_e32 v3, 2, v0
	s_waitcnt vmcnt(0) lgkmcnt(0)
	ds_write2st64_b32 v3, v4, v5 offset1:4
	ds_write2st64_b32 v3, v10, v11 offset0:8 offset1:12
	ds_write2st64_b32 v3, v12, v13 offset0:16 offset1:20
	;; [unrolled: 1-line block ×9, first 2 shown]
	ds_write_b32 v3, v2 offset:20480
	s_waitcnt lgkmcnt(0)
	s_barrier
	flat_load_dword v82, v[8:9]
	s_movk_i32 s0, 0x50
	v_mad_u32_u24 v2, v0, s0, v3
	s_movk_i32 s0, 0xffb0
	v_mad_i32_i24 v71, v0, s0, v2
	s_movk_i32 s0, 0xff
	v_cmp_ne_u32_e64 s[0:1], s0, v0
	ds_read_b32 v84, v2
	ds_read2_b32 v[28:29], v2 offset0:1 offset1:2
	ds_read2_b32 v[26:27], v2 offset0:3 offset1:4
	;; [unrolled: 1-line block ×10, first 2 shown]
	s_waitcnt lgkmcnt(0)
	ds_write_b32 v71, v84 offset:22528
	s_waitcnt lgkmcnt(0)
	s_barrier
	s_and_saveexec_b64 s[58:59], s[0:1]
	s_cbranch_execz .LBB1492_49
; %bb.48:
	s_waitcnt vmcnt(0)
	ds_read_b32 v82, v3 offset:22532
.LBB1492_49:
	s_or_b64 exec, exec, s[58:59]
	v_mov_b32_e32 v5, 0
	s_waitcnt lgkmcnt(0)
	s_barrier
	s_waitcnt lgkmcnt(0)
                                        ; implicit-def: $vgpr2_vgpr3
	s_and_saveexec_b64 s[0:1], vcc
	s_cbranch_execz .LBB1492_70
; %bb.50:
	v_lshlrev_b32_e32 v4, 3, v0
	v_lshl_add_u64 v[2:3], v[6:7], 0, v[4:5]
	flat_load_dwordx2 v[2:3], v[2:3]
	s_or_b64 exec, exec, s[0:1]
                                        ; implicit-def: $vgpr4_vgpr5
	s_and_saveexec_b64 s[0:1], s[4:5]
	s_cbranch_execnz .LBB1492_71
.LBB1492_51:
	s_or_b64 exec, exec, s[0:1]
                                        ; implicit-def: $vgpr30_vgpr31
	s_and_saveexec_b64 s[0:1], s[6:7]
	s_cbranch_execz .LBB1492_72
.LBB1492_52:
	v_lshlrev_b32_e32 v30, 3, v1
	v_mov_b32_e32 v31, 0
	v_lshl_add_u64 v[30:31], v[6:7], 0, v[30:31]
	flat_load_dwordx2 v[30:31], v[30:31]
	s_or_b64 exec, exec, s[0:1]
                                        ; implicit-def: $vgpr32_vgpr33
	s_and_saveexec_b64 s[0:1], s[8:9]
	s_cbranch_execnz .LBB1492_73
.LBB1492_53:
	s_or_b64 exec, exec, s[0:1]
                                        ; implicit-def: $vgpr34_vgpr35
	s_and_saveexec_b64 s[0:1], s[10:11]
	s_cbranch_execz .LBB1492_74
.LBB1492_54:
	v_lshlrev_b32_e32 v34, 3, v36
	v_mov_b32_e32 v35, 0
	v_lshl_add_u64 v[34:35], v[6:7], 0, v[34:35]
	flat_load_dwordx2 v[34:35], v[34:35]
	s_or_b64 exec, exec, s[0:1]
                                        ; implicit-def: $vgpr36_vgpr37
	s_and_saveexec_b64 s[0:1], s[12:13]
	s_cbranch_execnz .LBB1492_75
.LBB1492_55:
	s_or_b64 exec, exec, s[0:1]
                                        ; implicit-def: $vgpr38_vgpr39
	s_and_saveexec_b64 s[0:1], s[14:15]
	s_cbranch_execz .LBB1492_76
.LBB1492_56:
	v_lshlrev_b32_e32 v38, 3, v40
	v_mov_b32_e32 v39, 0
	v_lshl_add_u64 v[38:39], v[6:7], 0, v[38:39]
	flat_load_dwordx2 v[38:39], v[38:39]
	s_or_b64 exec, exec, s[0:1]
                                        ; implicit-def: $vgpr40_vgpr41
	s_and_saveexec_b64 s[0:1], s[16:17]
	s_cbranch_execnz .LBB1492_77
.LBB1492_57:
	s_or_b64 exec, exec, s[0:1]
                                        ; implicit-def: $vgpr44_vgpr45
	s_and_saveexec_b64 s[0:1], s[18:19]
	s_cbranch_execz .LBB1492_78
.LBB1492_58:
	v_lshlrev_b32_e32 v44, 3, v46
	v_mov_b32_e32 v45, 0
	v_lshl_add_u64 v[44:45], v[6:7], 0, v[44:45]
	flat_load_dwordx2 v[44:45], v[44:45]
	s_or_b64 exec, exec, s[0:1]
                                        ; implicit-def: $vgpr46_vgpr47
	s_and_saveexec_b64 s[0:1], s[20:21]
	s_cbranch_execnz .LBB1492_79
.LBB1492_59:
	s_or_b64 exec, exec, s[0:1]
                                        ; implicit-def: $vgpr48_vgpr49
	s_and_saveexec_b64 s[0:1], s[22:23]
	s_cbranch_execz .LBB1492_80
.LBB1492_60:
	v_lshlrev_b32_e32 v48, 3, v50
	v_mov_b32_e32 v49, 0
	v_lshl_add_u64 v[48:49], v[6:7], 0, v[48:49]
	flat_load_dwordx2 v[48:49], v[48:49]
	s_or_b64 exec, exec, s[0:1]
                                        ; implicit-def: $vgpr50_vgpr51
	s_and_saveexec_b64 s[0:1], s[24:25]
	s_cbranch_execnz .LBB1492_81
.LBB1492_61:
	s_or_b64 exec, exec, s[0:1]
                                        ; implicit-def: $vgpr52_vgpr53
	s_and_saveexec_b64 s[0:1], s[26:27]
	s_cbranch_execz .LBB1492_82
.LBB1492_62:
	v_lshlrev_b32_e32 v52, 3, v54
	v_mov_b32_e32 v53, 0
	v_lshl_add_u64 v[52:53], v[6:7], 0, v[52:53]
	flat_load_dwordx2 v[52:53], v[52:53]
	s_or_b64 exec, exec, s[0:1]
                                        ; implicit-def: $vgpr54_vgpr55
	s_and_saveexec_b64 s[0:1], s[28:29]
	s_cbranch_execnz .LBB1492_83
.LBB1492_63:
	s_or_b64 exec, exec, s[0:1]
                                        ; implicit-def: $vgpr56_vgpr57
	s_and_saveexec_b64 s[0:1], s[30:31]
	s_cbranch_execz .LBB1492_84
.LBB1492_64:
	v_lshlrev_b32_e32 v56, 3, v58
	v_mov_b32_e32 v57, 0
	v_lshl_add_u64 v[56:57], v[6:7], 0, v[56:57]
	flat_load_dwordx2 v[56:57], v[56:57]
	s_or_b64 exec, exec, s[0:1]
                                        ; implicit-def: $vgpr58_vgpr59
	s_and_saveexec_b64 s[0:1], s[34:35]
	s_cbranch_execnz .LBB1492_85
.LBB1492_65:
	s_or_b64 exec, exec, s[0:1]
                                        ; implicit-def: $vgpr60_vgpr61
	s_and_saveexec_b64 s[0:1], s[36:37]
	s_cbranch_execz .LBB1492_86
.LBB1492_66:
	v_lshlrev_b32_e32 v60, 3, v62
	v_mov_b32_e32 v61, 0
	v_lshl_add_u64 v[60:61], v[6:7], 0, v[60:61]
	flat_load_dwordx2 v[60:61], v[60:61]
	s_or_b64 exec, exec, s[0:1]
                                        ; implicit-def: $vgpr62_vgpr63
	s_and_saveexec_b64 s[0:1], s[38:39]
	s_cbranch_execnz .LBB1492_87
.LBB1492_67:
	s_or_b64 exec, exec, s[0:1]
                                        ; implicit-def: $vgpr64_vgpr65
	s_and_saveexec_b64 s[0:1], s[40:41]
	s_cbranch_execz .LBB1492_88
.LBB1492_68:
	v_lshlrev_b32_e32 v64, 3, v66
	v_mov_b32_e32 v65, 0
	v_lshl_add_u64 v[64:65], v[6:7], 0, v[64:65]
	flat_load_dwordx2 v[64:65], v[64:65]
	s_or_b64 exec, exec, s[0:1]
                                        ; implicit-def: $vgpr66_vgpr67
	s_and_saveexec_b64 s[0:1], s[42:43]
	s_cbranch_execz .LBB1492_90
	s_branch .LBB1492_89
.LBB1492_69:
	s_mov_b64 s[8:9], 0
                                        ; implicit-def: $sgpr6_sgpr7
                                        ; implicit-def: $vgpr2_vgpr3
                                        ; implicit-def: $vgpr44_vgpr45
                                        ; implicit-def: $vgpr108
                                        ; implicit-def: $vgpr40_vgpr41
                                        ; implicit-def: $vgpr124
                                        ; implicit-def: $vgpr80_vgpr81
                                        ; implicit-def: $vgpr123
                                        ; implicit-def: $vgpr78_vgpr79
                                        ; implicit-def: $vgpr122
                                        ; implicit-def: $vgpr76_vgpr77
                                        ; implicit-def: $vgpr121
                                        ; implicit-def: $vgpr74_vgpr75
                                        ; implicit-def: $vgpr120
                                        ; implicit-def: $vgpr72_vgpr73
                                        ; implicit-def: $vgpr119
                                        ; implicit-def: $vgpr70_vgpr71
                                        ; implicit-def: $vgpr118
                                        ; implicit-def: $vgpr68_vgpr69
                                        ; implicit-def: $vgpr117
                                        ; implicit-def: $vgpr66_vgpr67
                                        ; implicit-def: $vgpr116
                                        ; implicit-def: $vgpr64_vgpr65
                                        ; implicit-def: $vgpr115
                                        ; implicit-def: $vgpr62_vgpr63
                                        ; implicit-def: $vgpr114
                                        ; implicit-def: $vgpr60_vgpr61
                                        ; implicit-def: $vgpr113
                                        ; implicit-def: $vgpr58_vgpr59
                                        ; implicit-def: $vgpr112
                                        ; implicit-def: $vgpr56_vgpr57
                                        ; implicit-def: $vgpr111
                                        ; implicit-def: $vgpr54_vgpr55
                                        ; implicit-def: $vgpr110
                                        ; implicit-def: $vgpr52_vgpr53
                                        ; implicit-def: $vgpr109
                                        ; implicit-def: $vgpr50_vgpr51
                                        ; implicit-def: $vgpr107
                                        ; implicit-def: $vgpr48_vgpr49
                                        ; implicit-def: $vgpr106
                                        ; implicit-def: $vgpr46_vgpr47
                                        ; implicit-def: $vgpr1
                                        ; implicit-def: $sgpr72
                                        ; implicit-def: $sgpr4_sgpr5
	s_and_b64 vcc, exec, s[0:1]
	s_cbranch_vccz .LBB1492_140
	s_branch .LBB1492_135
.LBB1492_70:
	s_or_b64 exec, exec, s[0:1]
                                        ; implicit-def: $vgpr4_vgpr5
	s_and_saveexec_b64 s[0:1], s[4:5]
	s_cbranch_execz .LBB1492_51
.LBB1492_71:
	v_lshlrev_b32_e32 v4, 3, v0
	v_mov_b32_e32 v5, 0
	v_lshl_add_u64 v[4:5], v[6:7], 0, v[4:5]
	flat_load_dwordx2 v[4:5], v[4:5] offset:2048
	s_or_b64 exec, exec, s[0:1]
                                        ; implicit-def: $vgpr30_vgpr31
	s_and_saveexec_b64 s[0:1], s[6:7]
	s_cbranch_execnz .LBB1492_52
.LBB1492_72:
	s_or_b64 exec, exec, s[0:1]
                                        ; implicit-def: $vgpr32_vgpr33
	s_and_saveexec_b64 s[0:1], s[8:9]
	s_cbranch_execz .LBB1492_53
.LBB1492_73:
	v_lshlrev_b32_e32 v32, 3, v34
	v_mov_b32_e32 v33, 0
	v_lshl_add_u64 v[32:33], v[6:7], 0, v[32:33]
	flat_load_dwordx2 v[32:33], v[32:33]
	s_or_b64 exec, exec, s[0:1]
                                        ; implicit-def: $vgpr34_vgpr35
	s_and_saveexec_b64 s[0:1], s[10:11]
	s_cbranch_execnz .LBB1492_54
.LBB1492_74:
	s_or_b64 exec, exec, s[0:1]
                                        ; implicit-def: $vgpr36_vgpr37
	s_and_saveexec_b64 s[0:1], s[12:13]
	s_cbranch_execz .LBB1492_55
.LBB1492_75:
	v_lshlrev_b32_e32 v36, 3, v38
	v_mov_b32_e32 v37, 0
	v_lshl_add_u64 v[36:37], v[6:7], 0, v[36:37]
	flat_load_dwordx2 v[36:37], v[36:37]
	s_or_b64 exec, exec, s[0:1]
                                        ; implicit-def: $vgpr38_vgpr39
	s_and_saveexec_b64 s[0:1], s[14:15]
	s_cbranch_execnz .LBB1492_56
.LBB1492_76:
	s_or_b64 exec, exec, s[0:1]
                                        ; implicit-def: $vgpr40_vgpr41
	s_and_saveexec_b64 s[0:1], s[16:17]
	s_cbranch_execz .LBB1492_57
.LBB1492_77:
	v_lshlrev_b32_e32 v40, 3, v44
	v_mov_b32_e32 v41, 0
	v_lshl_add_u64 v[40:41], v[6:7], 0, v[40:41]
	flat_load_dwordx2 v[40:41], v[40:41]
	s_or_b64 exec, exec, s[0:1]
                                        ; implicit-def: $vgpr44_vgpr45
	s_and_saveexec_b64 s[0:1], s[18:19]
	s_cbranch_execnz .LBB1492_58
.LBB1492_78:
	s_or_b64 exec, exec, s[0:1]
                                        ; implicit-def: $vgpr46_vgpr47
	s_and_saveexec_b64 s[0:1], s[20:21]
	s_cbranch_execz .LBB1492_59
.LBB1492_79:
	v_lshlrev_b32_e32 v46, 3, v48
	v_mov_b32_e32 v47, 0
	v_lshl_add_u64 v[46:47], v[6:7], 0, v[46:47]
	flat_load_dwordx2 v[46:47], v[46:47]
	s_or_b64 exec, exec, s[0:1]
                                        ; implicit-def: $vgpr48_vgpr49
	s_and_saveexec_b64 s[0:1], s[22:23]
	s_cbranch_execnz .LBB1492_60
.LBB1492_80:
	s_or_b64 exec, exec, s[0:1]
                                        ; implicit-def: $vgpr50_vgpr51
	s_and_saveexec_b64 s[0:1], s[24:25]
	s_cbranch_execz .LBB1492_61
.LBB1492_81:
	v_lshlrev_b32_e32 v50, 3, v52
	v_mov_b32_e32 v51, 0
	v_lshl_add_u64 v[50:51], v[6:7], 0, v[50:51]
	flat_load_dwordx2 v[50:51], v[50:51]
	s_or_b64 exec, exec, s[0:1]
                                        ; implicit-def: $vgpr52_vgpr53
	s_and_saveexec_b64 s[0:1], s[26:27]
	s_cbranch_execnz .LBB1492_62
.LBB1492_82:
	s_or_b64 exec, exec, s[0:1]
                                        ; implicit-def: $vgpr54_vgpr55
	s_and_saveexec_b64 s[0:1], s[28:29]
	s_cbranch_execz .LBB1492_63
.LBB1492_83:
	v_lshlrev_b32_e32 v54, 3, v56
	v_mov_b32_e32 v55, 0
	v_lshl_add_u64 v[54:55], v[6:7], 0, v[54:55]
	flat_load_dwordx2 v[54:55], v[54:55]
	s_or_b64 exec, exec, s[0:1]
                                        ; implicit-def: $vgpr56_vgpr57
	s_and_saveexec_b64 s[0:1], s[30:31]
	s_cbranch_execnz .LBB1492_64
.LBB1492_84:
	s_or_b64 exec, exec, s[0:1]
                                        ; implicit-def: $vgpr58_vgpr59
	s_and_saveexec_b64 s[0:1], s[34:35]
	s_cbranch_execz .LBB1492_65
.LBB1492_85:
	v_lshlrev_b32_e32 v58, 3, v60
	v_mov_b32_e32 v59, 0
	v_lshl_add_u64 v[58:59], v[6:7], 0, v[58:59]
	flat_load_dwordx2 v[58:59], v[58:59]
	s_or_b64 exec, exec, s[0:1]
                                        ; implicit-def: $vgpr60_vgpr61
	s_and_saveexec_b64 s[0:1], s[36:37]
	s_cbranch_execnz .LBB1492_66
.LBB1492_86:
	s_or_b64 exec, exec, s[0:1]
                                        ; implicit-def: $vgpr62_vgpr63
	s_and_saveexec_b64 s[0:1], s[38:39]
	s_cbranch_execz .LBB1492_67
.LBB1492_87:
	v_lshlrev_b32_e32 v62, 3, v64
	v_mov_b32_e32 v63, 0
	v_lshl_add_u64 v[62:63], v[6:7], 0, v[62:63]
	flat_load_dwordx2 v[62:63], v[62:63]
	s_or_b64 exec, exec, s[0:1]
                                        ; implicit-def: $vgpr64_vgpr65
	s_and_saveexec_b64 s[0:1], s[40:41]
	s_cbranch_execnz .LBB1492_68
.LBB1492_88:
	s_or_b64 exec, exec, s[0:1]
                                        ; implicit-def: $vgpr66_vgpr67
	s_and_saveexec_b64 s[0:1], s[42:43]
	s_cbranch_execz .LBB1492_90
.LBB1492_89:
	v_lshlrev_b32_e32 v66, 3, v68
	v_mov_b32_e32 v67, 0
	v_lshl_add_u64 v[66:67], v[6:7], 0, v[66:67]
	flat_load_dwordx2 v[66:67], v[66:67]
.LBB1492_90:
	s_or_b64 exec, exec, s[0:1]
	v_mul_u32_u24_e32 v83, 21, v0
                                        ; implicit-def: $vgpr68_vgpr69
	s_and_saveexec_b64 s[0:1], s[44:45]
	s_cbranch_execz .LBB1492_92
; %bb.91:
	v_lshlrev_b32_e32 v68, 3, v70
	v_mov_b32_e32 v69, 0
	v_lshl_add_u64 v[68:69], v[6:7], 0, v[68:69]
	flat_load_dwordx2 v[68:69], v[68:69]
.LBB1492_92:
	s_or_b64 exec, exec, s[0:1]
	v_lshl_add_u32 v85, v0, 2, v71
	s_waitcnt vmcnt(0) lgkmcnt(0)
	ds_write2st64_b64 v85, v[2:3], v[4:5] offset1:4
	ds_write2st64_b64 v85, v[30:31], v[32:33] offset0:8 offset1:12
	ds_write2st64_b64 v85, v[34:35], v[36:37] offset0:16 offset1:20
	;; [unrolled: 1-line block ×9, first 2 shown]
	ds_write_b64 v85, v[68:69] offset:40960
	v_mov_b64_e32 v[44:45], 0
	v_cmp_gt_u32_e32 vcc, s64, v83
	s_mov_b64 s[8:9], 0
	s_mov_b32 s72, 0
	s_mov_b64 s[0:1], 0
	v_mov_b32_e32 v108, 0
	v_mov_b64_e32 v[40:41], v[44:45]
	v_mov_b32_e32 v124, 0
	v_mov_b64_e32 v[80:81], v[44:45]
	;; [unrolled: 2-line block ×19, first 2 shown]
	v_mov_b32_e32 v1, 0
	s_waitcnt lgkmcnt(0)
	s_barrier
	s_waitcnt lgkmcnt(0)
                                        ; implicit-def: $sgpr6_sgpr7
                                        ; implicit-def: $vgpr2_vgpr3
	s_and_saveexec_b64 s[4:5], vcc
	s_cbranch_execz .LBB1492_134
; %bb.93:
	s_movk_i32 s6, 0xa0
	v_mad_u32_u24 v1, v0, s6, v85
	ds_read_b64 v[2:3], v1
	v_cmp_ne_u32_e32 vcc, v84, v28
	v_mov_b32_e32 v5, s69
	v_add_u32_e32 v4, 1, v83
	v_mov_b64_e32 v[40:41], 0
	s_waitcnt lgkmcnt(0)
	v_cndmask_b32_e32 v45, v3, v5, vcc
	v_mov_b32_e32 v3, s68
	v_cndmask_b32_e64 v1, 0, 1, vcc
	v_cndmask_b32_e32 v44, v2, v3, vcc
	v_cmp_gt_u32_e32 vcc, s64, v4
	s_mov_b64 s[10:11], 0
	v_mov_b32_e32 v108, 0
	v_mov_b32_e32 v124, 0
	v_mov_b64_e32 v[80:81], v[40:41]
	v_mov_b32_e32 v123, 0
	v_mov_b64_e32 v[78:79], v[40:41]
	;; [unrolled: 2-line block ×18, first 2 shown]
                                        ; implicit-def: $sgpr12_sgpr13
                                        ; implicit-def: $vgpr2_vgpr3
	s_and_saveexec_b64 s[6:7], vcc
	s_cbranch_execz .LBB1492_133
; %bb.94:
	v_mul_u32_u24_e32 v2, 0xa0, v0
	v_add_u32_e32 v30, v85, v2
	ds_read2_b64 v[2:5], v30 offset0:1 offset1:2
	v_cmp_ne_u32_e32 vcc, v28, v29
	v_mov_b32_e32 v28, s69
	v_add_u32_e32 v31, 2, v83
	v_mov_b64_e32 v[40:41], 0
	s_waitcnt lgkmcnt(0)
	v_cndmask_b32_e32 v47, v3, v28, vcc
	v_mov_b32_e32 v3, s68
	v_cndmask_b32_e64 v106, 0, 1, vcc
	v_cndmask_b32_e32 v46, v2, v3, vcc
	v_cmp_gt_u32_e32 vcc, s64, v31
	s_mov_b64 s[12:13], 0
	v_mov_b32_e32 v108, 0
	v_mov_b32_e32 v124, 0
	v_mov_b64_e32 v[80:81], v[40:41]
	v_mov_b32_e32 v123, 0
	v_mov_b64_e32 v[78:79], v[40:41]
	;; [unrolled: 2-line block ×17, first 2 shown]
                                        ; implicit-def: $sgpr14_sgpr15
                                        ; implicit-def: $vgpr2_vgpr3
	s_and_saveexec_b64 s[8:9], vcc
	s_cbranch_execz .LBB1492_132
; %bb.95:
	v_cmp_ne_u32_e32 vcc, v29, v26
	v_mov_b32_e32 v3, s69
	v_add_u32_e32 v2, 3, v83
	v_cndmask_b32_e32 v49, v5, v3, vcc
	v_mov_b32_e32 v3, s68
	v_mov_b64_e32 v[40:41], 0
	v_cndmask_b32_e64 v107, 0, 1, vcc
	v_cndmask_b32_e32 v48, v4, v3, vcc
	v_cmp_gt_u32_e32 vcc, s64, v2
	s_mov_b64 s[14:15], 0
	v_mov_b32_e32 v108, 0
	v_mov_b32_e32 v124, 0
	v_mov_b64_e32 v[80:81], v[40:41]
	v_mov_b32_e32 v123, 0
	v_mov_b64_e32 v[78:79], v[40:41]
	;; [unrolled: 2-line block ×16, first 2 shown]
                                        ; implicit-def: $sgpr16_sgpr17
                                        ; implicit-def: $vgpr2_vgpr3
	s_and_saveexec_b64 s[10:11], vcc
	s_cbranch_execz .LBB1492_131
; %bb.96:
	ds_read2_b64 v[2:5], v30 offset0:3 offset1:4
	v_cmp_ne_u32_e32 vcc, v26, v27
	v_mov_b32_e32 v26, s69
	v_add_u32_e32 v28, 4, v83
	v_mov_b64_e32 v[40:41], 0
	s_waitcnt lgkmcnt(0)
	v_cndmask_b32_e32 v51, v3, v26, vcc
	v_mov_b32_e32 v3, s68
	v_cndmask_b32_e64 v109, 0, 1, vcc
	v_cndmask_b32_e32 v50, v2, v3, vcc
	v_cmp_gt_u32_e32 vcc, s64, v28
	s_mov_b64 s[16:17], 0
	v_mov_b32_e32 v108, 0
	v_mov_b32_e32 v124, 0
	v_mov_b64_e32 v[80:81], v[40:41]
	v_mov_b32_e32 v123, 0
	v_mov_b64_e32 v[78:79], v[40:41]
	v_mov_b32_e32 v122, 0
	v_mov_b64_e32 v[76:77], v[40:41]
	v_mov_b32_e32 v121, 0
	v_mov_b64_e32 v[74:75], v[40:41]
	v_mov_b32_e32 v120, 0
	v_mov_b64_e32 v[72:73], v[40:41]
	v_mov_b32_e32 v119, 0
	v_mov_b64_e32 v[70:71], v[40:41]
	v_mov_b32_e32 v118, 0
	v_mov_b64_e32 v[68:69], v[40:41]
	v_mov_b32_e32 v117, 0
	v_mov_b64_e32 v[66:67], v[40:41]
	v_mov_b32_e32 v116, 0
	v_mov_b64_e32 v[64:65], v[40:41]
	v_mov_b32_e32 v115, 0
	v_mov_b64_e32 v[62:63], v[40:41]
	v_mov_b32_e32 v114, 0
	v_mov_b64_e32 v[60:61], v[40:41]
	v_mov_b32_e32 v113, 0
	v_mov_b64_e32 v[58:59], v[40:41]
	v_mov_b32_e32 v112, 0
	v_mov_b64_e32 v[56:57], v[40:41]
	v_mov_b32_e32 v111, 0
	v_mov_b64_e32 v[54:55], v[40:41]
	v_mov_b32_e32 v110, 0
	v_mov_b64_e32 v[52:53], v[40:41]
                                        ; implicit-def: $sgpr18_sgpr19
                                        ; implicit-def: $vgpr2_vgpr3
	s_and_saveexec_b64 s[12:13], vcc
	s_cbranch_execz .LBB1492_130
; %bb.97:
	v_cmp_ne_u32_e32 vcc, v27, v24
	v_mov_b32_e32 v3, s69
	v_add_u32_e32 v2, 5, v83
	v_cndmask_b32_e32 v53, v5, v3, vcc
	v_mov_b32_e32 v3, s68
	v_mov_b64_e32 v[40:41], 0
	v_cndmask_b32_e64 v110, 0, 1, vcc
	v_cndmask_b32_e32 v52, v4, v3, vcc
	v_cmp_gt_u32_e32 vcc, s64, v2
	s_mov_b64 s[18:19], 0
	v_mov_b32_e32 v108, 0
	v_mov_b32_e32 v124, 0
	v_mov_b64_e32 v[80:81], v[40:41]
	v_mov_b32_e32 v123, 0
	v_mov_b64_e32 v[78:79], v[40:41]
	;; [unrolled: 2-line block ×14, first 2 shown]
                                        ; implicit-def: $sgpr20_sgpr21
                                        ; implicit-def: $vgpr2_vgpr3
	s_and_saveexec_b64 s[14:15], vcc
	s_cbranch_execz .LBB1492_129
; %bb.98:
	ds_read2_b64 v[2:5], v30 offset0:5 offset1:6
	v_cmp_ne_u32_e32 vcc, v24, v25
	v_mov_b32_e32 v24, s69
	v_add_u32_e32 v26, 6, v83
	v_mov_b64_e32 v[40:41], 0
	s_waitcnt lgkmcnt(0)
	v_cndmask_b32_e32 v55, v3, v24, vcc
	v_mov_b32_e32 v3, s68
	v_cndmask_b32_e64 v111, 0, 1, vcc
	v_cndmask_b32_e32 v54, v2, v3, vcc
	v_cmp_gt_u32_e32 vcc, s64, v26
	s_mov_b64 s[20:21], 0
	v_mov_b32_e32 v108, 0
	v_mov_b32_e32 v124, 0
	v_mov_b64_e32 v[80:81], v[40:41]
	v_mov_b32_e32 v123, 0
	v_mov_b64_e32 v[78:79], v[40:41]
	;; [unrolled: 2-line block ×13, first 2 shown]
                                        ; implicit-def: $sgpr22_sgpr23
                                        ; implicit-def: $vgpr2_vgpr3
	s_and_saveexec_b64 s[16:17], vcc
	s_cbranch_execz .LBB1492_128
; %bb.99:
	v_cmp_ne_u32_e32 vcc, v25, v22
	v_mov_b32_e32 v3, s69
	v_add_u32_e32 v2, 7, v83
	v_cndmask_b32_e32 v57, v5, v3, vcc
	v_mov_b32_e32 v3, s68
	v_mov_b64_e32 v[40:41], 0
	v_cndmask_b32_e64 v112, 0, 1, vcc
	v_cndmask_b32_e32 v56, v4, v3, vcc
	v_cmp_gt_u32_e32 vcc, s64, v2
	s_mov_b64 s[22:23], 0
	v_mov_b32_e32 v108, 0
	v_mov_b32_e32 v124, 0
	v_mov_b64_e32 v[80:81], v[40:41]
	v_mov_b32_e32 v123, 0
	v_mov_b64_e32 v[78:79], v[40:41]
	;; [unrolled: 2-line block ×12, first 2 shown]
                                        ; implicit-def: $sgpr24_sgpr25
                                        ; implicit-def: $vgpr2_vgpr3
	s_and_saveexec_b64 s[18:19], vcc
	s_cbranch_execz .LBB1492_127
; %bb.100:
	ds_read2_b64 v[2:5], v30 offset0:7 offset1:8
	v_cmp_ne_u32_e32 vcc, v22, v23
	v_mov_b32_e32 v22, s69
	v_add_u32_e32 v24, 8, v83
	v_mov_b64_e32 v[40:41], 0
	s_waitcnt lgkmcnt(0)
	v_cndmask_b32_e32 v59, v3, v22, vcc
	v_mov_b32_e32 v3, s68
	v_cndmask_b32_e64 v113, 0, 1, vcc
	v_cndmask_b32_e32 v58, v2, v3, vcc
	v_cmp_gt_u32_e32 vcc, s64, v24
	s_mov_b64 s[24:25], 0
	v_mov_b32_e32 v108, 0
	v_mov_b32_e32 v124, 0
	v_mov_b64_e32 v[80:81], v[40:41]
	v_mov_b32_e32 v123, 0
	v_mov_b64_e32 v[78:79], v[40:41]
	;; [unrolled: 2-line block ×11, first 2 shown]
                                        ; implicit-def: $sgpr26_sgpr27
                                        ; implicit-def: $vgpr2_vgpr3
	s_and_saveexec_b64 s[20:21], vcc
	s_cbranch_execz .LBB1492_126
; %bb.101:
	v_cmp_ne_u32_e32 vcc, v23, v20
	v_mov_b32_e32 v3, s69
	v_add_u32_e32 v2, 9, v83
	v_cndmask_b32_e32 v61, v5, v3, vcc
	v_mov_b32_e32 v3, s68
	v_mov_b64_e32 v[40:41], 0
	v_cndmask_b32_e64 v114, 0, 1, vcc
	v_cndmask_b32_e32 v60, v4, v3, vcc
	v_cmp_gt_u32_e32 vcc, s64, v2
	s_mov_b64 s[26:27], 0
	v_mov_b32_e32 v108, 0
	v_mov_b32_e32 v124, 0
	v_mov_b64_e32 v[80:81], v[40:41]
	v_mov_b32_e32 v123, 0
	v_mov_b64_e32 v[78:79], v[40:41]
	;; [unrolled: 2-line block ×10, first 2 shown]
                                        ; implicit-def: $sgpr28_sgpr29
                                        ; implicit-def: $vgpr2_vgpr3
	s_and_saveexec_b64 s[22:23], vcc
	s_cbranch_execz .LBB1492_125
; %bb.102:
	ds_read2_b64 v[2:5], v30 offset0:9 offset1:10
	v_cmp_ne_u32_e32 vcc, v20, v21
	v_mov_b32_e32 v20, s69
	v_add_u32_e32 v22, 10, v83
	v_mov_b64_e32 v[40:41], 0
	s_waitcnt lgkmcnt(0)
	v_cndmask_b32_e32 v63, v3, v20, vcc
	v_mov_b32_e32 v3, s68
	v_cndmask_b32_e64 v115, 0, 1, vcc
	v_cndmask_b32_e32 v62, v2, v3, vcc
	v_cmp_gt_u32_e32 vcc, s64, v22
	s_mov_b64 s[28:29], 0
	v_mov_b32_e32 v108, 0
	v_mov_b32_e32 v124, 0
	v_mov_b64_e32 v[80:81], v[40:41]
	v_mov_b32_e32 v123, 0
	v_mov_b64_e32 v[78:79], v[40:41]
	;; [unrolled: 2-line block ×9, first 2 shown]
                                        ; implicit-def: $sgpr30_sgpr31
                                        ; implicit-def: $vgpr2_vgpr3
	s_and_saveexec_b64 s[24:25], vcc
	s_cbranch_execz .LBB1492_124
; %bb.103:
	v_cmp_ne_u32_e32 vcc, v21, v18
	v_mov_b32_e32 v3, s69
	v_add_u32_e32 v2, 11, v83
	v_cndmask_b32_e32 v65, v5, v3, vcc
	v_mov_b32_e32 v3, s68
	v_mov_b64_e32 v[40:41], 0
	v_cndmask_b32_e64 v116, 0, 1, vcc
	v_cndmask_b32_e32 v64, v4, v3, vcc
	v_cmp_gt_u32_e32 vcc, s64, v2
	s_mov_b64 s[30:31], 0
	v_mov_b32_e32 v108, 0
	v_mov_b32_e32 v124, 0
	v_mov_b64_e32 v[80:81], v[40:41]
	v_mov_b32_e32 v123, 0
	v_mov_b64_e32 v[78:79], v[40:41]
	;; [unrolled: 2-line block ×8, first 2 shown]
                                        ; implicit-def: $sgpr34_sgpr35
                                        ; implicit-def: $vgpr2_vgpr3
	s_and_saveexec_b64 s[26:27], vcc
	s_cbranch_execz .LBB1492_123
; %bb.104:
	ds_read2_b64 v[2:5], v30 offset0:11 offset1:12
	v_cmp_ne_u32_e32 vcc, v18, v19
	v_mov_b32_e32 v18, s69
	v_add_u32_e32 v20, 12, v83
	v_mov_b64_e32 v[40:41], 0
	s_waitcnt lgkmcnt(0)
	v_cndmask_b32_e32 v67, v3, v18, vcc
	v_mov_b32_e32 v3, s68
	v_cndmask_b32_e64 v117, 0, 1, vcc
	v_cndmask_b32_e32 v66, v2, v3, vcc
	v_cmp_gt_u32_e32 vcc, s64, v20
	s_mov_b64 s[34:35], 0
	v_mov_b32_e32 v108, 0
	v_mov_b32_e32 v124, 0
	v_mov_b64_e32 v[80:81], v[40:41]
	v_mov_b32_e32 v123, 0
	v_mov_b64_e32 v[78:79], v[40:41]
	;; [unrolled: 2-line block ×7, first 2 shown]
                                        ; implicit-def: $sgpr36_sgpr37
                                        ; implicit-def: $vgpr2_vgpr3
	s_and_saveexec_b64 s[28:29], vcc
	s_cbranch_execz .LBB1492_122
; %bb.105:
	v_cmp_ne_u32_e32 vcc, v19, v16
	v_mov_b32_e32 v3, s69
	v_add_u32_e32 v2, 13, v83
	v_cndmask_b32_e32 v69, v5, v3, vcc
	v_mov_b32_e32 v3, s68
	v_mov_b64_e32 v[40:41], 0
	v_cndmask_b32_e64 v118, 0, 1, vcc
	v_cndmask_b32_e32 v68, v4, v3, vcc
	v_cmp_gt_u32_e32 vcc, s64, v2
	s_mov_b64 s[36:37], 0
	v_mov_b32_e32 v108, 0
	v_mov_b32_e32 v124, 0
	v_mov_b64_e32 v[80:81], v[40:41]
	v_mov_b32_e32 v123, 0
	v_mov_b64_e32 v[78:79], v[40:41]
	;; [unrolled: 2-line block ×6, first 2 shown]
                                        ; implicit-def: $sgpr38_sgpr39
                                        ; implicit-def: $vgpr2_vgpr3
	s_and_saveexec_b64 s[30:31], vcc
	s_cbranch_execz .LBB1492_121
; %bb.106:
	ds_read2_b64 v[2:5], v30 offset0:13 offset1:14
	v_cmp_ne_u32_e32 vcc, v16, v17
	v_mov_b32_e32 v16, s69
	v_add_u32_e32 v18, 14, v83
	v_mov_b64_e32 v[40:41], 0
	s_waitcnt lgkmcnt(0)
	v_cndmask_b32_e32 v71, v3, v16, vcc
	v_mov_b32_e32 v3, s68
	v_cndmask_b32_e64 v119, 0, 1, vcc
	v_cndmask_b32_e32 v70, v2, v3, vcc
	v_cmp_gt_u32_e32 vcc, s64, v18
	s_mov_b64 s[38:39], 0
	v_mov_b32_e32 v108, 0
	v_mov_b32_e32 v124, 0
	v_mov_b64_e32 v[80:81], v[40:41]
	v_mov_b32_e32 v123, 0
	v_mov_b64_e32 v[78:79], v[40:41]
	;; [unrolled: 2-line block ×5, first 2 shown]
                                        ; implicit-def: $sgpr40_sgpr41
                                        ; implicit-def: $vgpr2_vgpr3
	s_and_saveexec_b64 s[34:35], vcc
	s_cbranch_execz .LBB1492_120
; %bb.107:
	v_cmp_ne_u32_e32 vcc, v17, v14
	v_mov_b32_e32 v3, s69
	v_add_u32_e32 v2, 15, v83
	v_cndmask_b32_e32 v73, v5, v3, vcc
	v_mov_b32_e32 v3, s68
	v_mov_b64_e32 v[40:41], 0
	v_cndmask_b32_e64 v120, 0, 1, vcc
	v_cndmask_b32_e32 v72, v4, v3, vcc
	v_cmp_gt_u32_e32 vcc, s64, v2
	s_mov_b64 s[40:41], 0
	v_mov_b32_e32 v108, 0
	v_mov_b32_e32 v124, 0
	v_mov_b64_e32 v[80:81], v[40:41]
	v_mov_b32_e32 v123, 0
	v_mov_b64_e32 v[78:79], v[40:41]
	;; [unrolled: 2-line block ×4, first 2 shown]
                                        ; implicit-def: $sgpr42_sgpr43
                                        ; implicit-def: $vgpr2_vgpr3
	s_and_saveexec_b64 s[36:37], vcc
	s_cbranch_execz .LBB1492_119
; %bb.108:
	ds_read2_b64 v[2:5], v30 offset0:15 offset1:16
	v_cmp_ne_u32_e32 vcc, v14, v15
	v_mov_b32_e32 v14, s69
	v_add_u32_e32 v16, 16, v83
	v_mov_b64_e32 v[40:41], 0
	s_waitcnt lgkmcnt(0)
	v_cndmask_b32_e32 v75, v3, v14, vcc
	v_mov_b32_e32 v3, s68
	v_cndmask_b32_e64 v121, 0, 1, vcc
	v_cndmask_b32_e32 v74, v2, v3, vcc
	v_cmp_gt_u32_e32 vcc, s64, v16
	s_mov_b64 s[42:43], 0
	v_mov_b32_e32 v108, 0
	v_mov_b32_e32 v124, 0
	v_mov_b64_e32 v[80:81], v[40:41]
	v_mov_b32_e32 v123, 0
	v_mov_b64_e32 v[78:79], v[40:41]
	;; [unrolled: 2-line block ×3, first 2 shown]
                                        ; implicit-def: $sgpr44_sgpr45
                                        ; implicit-def: $vgpr2_vgpr3
	s_and_saveexec_b64 s[38:39], vcc
	s_cbranch_execz .LBB1492_118
; %bb.109:
	v_cmp_ne_u32_e32 vcc, v15, v12
	v_mov_b32_e32 v3, s69
	v_add_u32_e32 v2, 17, v83
	v_cndmask_b32_e32 v77, v5, v3, vcc
	v_mov_b32_e32 v3, s68
	v_mov_b64_e32 v[40:41], 0
	v_cndmask_b32_e64 v122, 0, 1, vcc
	v_cndmask_b32_e32 v76, v4, v3, vcc
	v_cmp_gt_u32_e32 vcc, s64, v2
	s_mov_b64 s[44:45], 0
	v_mov_b32_e32 v108, 0
	v_mov_b32_e32 v124, 0
	v_mov_b64_e32 v[80:81], v[40:41]
	v_mov_b32_e32 v123, 0
	v_mov_b64_e32 v[78:79], v[40:41]
                                        ; implicit-def: $sgpr58_sgpr59
                                        ; implicit-def: $vgpr2_vgpr3
	s_and_saveexec_b64 s[40:41], vcc
	s_cbranch_execz .LBB1492_117
; %bb.110:
	ds_read2_b64 v[2:5], v30 offset0:17 offset1:18
	v_cmp_ne_u32_e32 vcc, v12, v13
	v_mov_b32_e32 v12, s69
	v_add_u32_e32 v14, 18, v83
	v_mov_b64_e32 v[40:41], 0
	s_waitcnt lgkmcnt(0)
	v_cndmask_b32_e32 v79, v3, v12, vcc
	v_mov_b32_e32 v3, s68
	v_cndmask_b32_e64 v123, 0, 1, vcc
	v_cndmask_b32_e32 v78, v2, v3, vcc
	v_cmp_gt_u32_e32 vcc, s64, v14
	s_mov_b64 s[58:59], 0
	v_mov_b32_e32 v108, 0
	v_mov_b32_e32 v124, 0
	v_mov_b64_e32 v[80:81], v[40:41]
                                        ; implicit-def: $sgpr60_sgpr61
                                        ; implicit-def: $vgpr2_vgpr3
	s_and_saveexec_b64 s[42:43], vcc
	s_cbranch_execz .LBB1492_116
; %bb.111:
	v_cmp_ne_u32_e32 vcc, v13, v10
	v_mov_b32_e32 v3, s69
	v_add_u32_e32 v2, 19, v83
	v_cndmask_b32_e32 v81, v5, v3, vcc
	v_mov_b32_e32 v3, s68
	v_cndmask_b32_e64 v124, 0, 1, vcc
	v_cndmask_b32_e32 v80, v4, v3, vcc
	v_cmp_gt_u32_e32 vcc, s64, v2
	v_mov_b32_e32 v108, 0
	v_mov_b64_e32 v[40:41], 0
                                        ; implicit-def: $sgpr60_sgpr61
                                        ; implicit-def: $vgpr2_vgpr3
	s_and_saveexec_b64 s[44:45], vcc
	s_cbranch_execz .LBB1492_115
; %bb.112:
	ds_read2_b64 v[2:5], v30 offset0:19 offset1:20
	v_cmp_ne_u32_e32 vcc, v10, v11
	v_mov_b32_e32 v10, s69
	v_add_u32_e32 v12, 20, v83
	v_cndmask_b32_e64 v108, 0, 1, vcc
	s_waitcnt lgkmcnt(0)
	v_cndmask_b32_e32 v41, v3, v10, vcc
	v_mov_b32_e32 v3, s68
	v_cndmask_b32_e32 v40, v2, v3, vcc
	v_cmp_gt_u32_e32 vcc, s64, v12
                                        ; implicit-def: $sgpr60_sgpr61
                                        ; implicit-def: $vgpr2_vgpr3
	s_and_saveexec_b64 s[64:65], vcc
	s_xor_b64 s[64:65], exec, s[64:65]
; %bb.113:
	v_mov_b32_e32 v2, s69
	v_cmp_ne_u32_e32 vcc, v11, v82
	s_mov_b64 s[58:59], exec
	s_and_b64 s[60:61], vcc, exec
	v_cndmask_b32_e32 v3, v5, v2, vcc
	v_mov_b32_e32 v2, s68
	v_cndmask_b32_e32 v2, v4, v2, vcc
; %bb.114:
	s_or_b64 exec, exec, s[64:65]
	s_and_b64 s[60:61], s[60:61], exec
	s_and_b64 s[58:59], s[58:59], exec
.LBB1492_115:
	s_or_b64 exec, exec, s[44:45]
	s_and_b64 s[60:61], s[60:61], exec
	s_and_b64 s[44:45], s[58:59], exec
.LBB1492_116:
	s_or_b64 exec, exec, s[42:43]
	s_and_b64 s[58:59], s[60:61], exec
	s_and_b64 s[42:43], s[44:45], exec
.LBB1492_117:
	s_or_b64 exec, exec, s[40:41]
	s_and_b64 s[44:45], s[58:59], exec
	s_and_b64 s[40:41], s[42:43], exec
.LBB1492_118:
	s_or_b64 exec, exec, s[38:39]
	s_and_b64 s[42:43], s[44:45], exec
	s_and_b64 s[38:39], s[40:41], exec
.LBB1492_119:
	s_or_b64 exec, exec, s[36:37]
	s_and_b64 s[40:41], s[42:43], exec
	s_and_b64 s[36:37], s[38:39], exec
.LBB1492_120:
	s_or_b64 exec, exec, s[34:35]
	s_and_b64 s[38:39], s[40:41], exec
	s_and_b64 s[34:35], s[36:37], exec
.LBB1492_121:
	s_or_b64 exec, exec, s[30:31]
	s_and_b64 s[36:37], s[38:39], exec
	s_and_b64 s[30:31], s[34:35], exec
.LBB1492_122:
	s_or_b64 exec, exec, s[28:29]
	s_and_b64 s[34:35], s[36:37], exec
	s_and_b64 s[28:29], s[30:31], exec
.LBB1492_123:
	s_or_b64 exec, exec, s[26:27]
	s_and_b64 s[30:31], s[34:35], exec
	s_and_b64 s[26:27], s[28:29], exec
.LBB1492_124:
	s_or_b64 exec, exec, s[24:25]
	s_and_b64 s[28:29], s[30:31], exec
	s_and_b64 s[24:25], s[26:27], exec
.LBB1492_125:
	s_or_b64 exec, exec, s[22:23]
	s_and_b64 s[26:27], s[28:29], exec
	s_and_b64 s[22:23], s[24:25], exec
.LBB1492_126:
	s_or_b64 exec, exec, s[20:21]
	s_and_b64 s[24:25], s[26:27], exec
	s_and_b64 s[20:21], s[22:23], exec
.LBB1492_127:
	s_or_b64 exec, exec, s[18:19]
	s_and_b64 s[22:23], s[24:25], exec
	s_and_b64 s[18:19], s[20:21], exec
.LBB1492_128:
	s_or_b64 exec, exec, s[16:17]
	s_and_b64 s[20:21], s[22:23], exec
	s_and_b64 s[16:17], s[18:19], exec
.LBB1492_129:
	s_or_b64 exec, exec, s[14:15]
	s_and_b64 s[18:19], s[20:21], exec
	s_and_b64 s[14:15], s[16:17], exec
.LBB1492_130:
	s_or_b64 exec, exec, s[12:13]
	s_and_b64 s[16:17], s[18:19], exec
	s_and_b64 s[12:13], s[14:15], exec
.LBB1492_131:
	s_or_b64 exec, exec, s[10:11]
	s_and_b64 s[14:15], s[16:17], exec
	s_and_b64 s[10:11], s[12:13], exec
.LBB1492_132:
	s_or_b64 exec, exec, s[8:9]
	s_and_b64 s[12:13], s[14:15], exec
	s_and_b64 s[8:9], s[10:11], exec
.LBB1492_133:
	s_or_b64 exec, exec, s[6:7]
	s_and_b64 s[6:7], s[12:13], exec
	s_and_b64 s[8:9], s[8:9], exec
.LBB1492_134:
	s_or_b64 exec, exec, s[4:5]
	s_mov_b64 s[4:5], 0
	s_and_b64 vcc, exec, s[0:1]
	s_cbranch_vccz .LBB1492_140
.LBB1492_135:
	v_mov_b32_e32 v3, 0
	v_lshlrev_b32_e32 v2, 2, v0
	v_lshl_add_u64 v[4:5], v[8:9], 0, v[2:3]
	v_add_co_u32_e32 v10, vcc, 0x1000, v4
	s_movk_i32 s0, 0x50
	s_nop 0
	v_addc_co_u32_e32 v11, vcc, 0, v5, vcc
	flat_load_dword v1, v[4:5]
	flat_load_dword v14, v[4:5] offset:1024
	flat_load_dword v15, v[4:5] offset:2048
	;; [unrolled: 1-line block ×3, first 2 shown]
	flat_load_dword v17, v[10:11]
	flat_load_dword v18, v[10:11] offset:1024
	flat_load_dword v19, v[10:11] offset:2048
	;; [unrolled: 1-line block ×3, first 2 shown]
	v_add_co_u32_e32 v10, vcc, 0x2000, v4
	s_movk_i32 s8, 0x1000
	s_nop 0
	v_addc_co_u32_e32 v11, vcc, 0, v5, vcc
	v_add_co_u32_e32 v12, vcc, 0x3000, v4
	s_movk_i32 s7, 0x2000
	s_nop 0
	v_addc_co_u32_e32 v13, vcc, 0, v5, vcc
	flat_load_dword v21, v[10:11]
	flat_load_dword v22, v[10:11] offset:1024
	flat_load_dword v23, v[10:11] offset:2048
	;; [unrolled: 1-line block ×3, first 2 shown]
	flat_load_dword v25, v[12:13]
	flat_load_dword v26, v[12:13] offset:1024
	flat_load_dword v27, v[12:13] offset:2048
	;; [unrolled: 1-line block ×3, first 2 shown]
	v_add_co_u32_e32 v10, vcc, 0x4000, v4
	s_movk_i32 s6, 0x3000
	s_nop 0
	v_addc_co_u32_e32 v11, vcc, 0, v5, vcc
	v_add_co_u32_e32 v4, vcc, 0x5000, v4
	s_movk_i32 s5, 0x4000
	s_nop 0
	v_addc_co_u32_e32 v5, vcc, 0, v5, vcc
	flat_load_dword v12, v[10:11]
	flat_load_dword v13, v[10:11] offset:1024
	flat_load_dword v29, v[10:11] offset:2048
	;; [unrolled: 1-line block ×3, first 2 shown]
	flat_load_dword v31, v[4:5]
	v_add_co_u32_e32 v4, vcc, 0x5000, v8
	s_movk_i32 s4, 0x5000
	s_nop 0
	v_addc_co_u32_e32 v5, vcc, 0, v9, vcc
	s_waitcnt vmcnt(0) lgkmcnt(0)
	ds_write2st64_b32 v2, v1, v14 offset1:4
	ds_write2st64_b32 v2, v15, v16 offset0:8 offset1:12
	ds_write2st64_b32 v2, v17, v18 offset0:16 offset1:20
	;; [unrolled: 1-line block ×9, first 2 shown]
	ds_write_b32 v2, v31 offset:20480
	s_waitcnt lgkmcnt(0)
	s_barrier
	flat_load_dword v84, v[4:5] offset:1024
	v_mad_u32_u24 v4, v0, s0, v2
	s_movk_i32 s0, 0xffb0
	ds_read_b32 v1, v4
	ds_read2_b32 v[62:63], v4 offset0:1 offset1:2
	ds_read2_b32 v[60:61], v4 offset0:3 offset1:4
	;; [unrolled: 1-line block ×10, first 2 shown]
	v_mad_i32_i24 v4, v0, s0, v4
	s_movk_i32 s0, 0xff
	v_cmp_ne_u32_e32 vcc, s0, v0
	s_waitcnt lgkmcnt(0)
	ds_write_b32 v4, v1 offset:22528
	s_waitcnt lgkmcnt(0)
	s_barrier
	s_and_saveexec_b64 s[0:1], vcc
	s_cbranch_execz .LBB1492_137
; %bb.136:
	s_waitcnt vmcnt(0)
	ds_read_b32 v84, v2 offset:22532
.LBB1492_137:
	s_or_b64 exec, exec, s[0:1]
	v_lshlrev_b32_e32 v2, 3, v0
	v_lshl_add_u64 v[2:3], v[6:7], 0, v[2:3]
	v_add_co_u32_e32 v6, vcc, s8, v2
	s_waitcnt lgkmcnt(0)
	s_nop 0
	v_addc_co_u32_e32 v7, vcc, 0, v3, vcc
	s_barrier
	flat_load_dwordx2 v[8:9], v[2:3]
	flat_load_dwordx2 v[10:11], v[2:3] offset:2048
	flat_load_dwordx2 v[12:13], v[6:7]
	flat_load_dwordx2 v[14:15], v[6:7] offset:2048
	v_add_co_u32_e32 v6, vcc, s7, v2
	s_movk_i32 s0, 0x6000
	s_nop 0
	v_addc_co_u32_e32 v7, vcc, 0, v3, vcc
	v_add_co_u32_e32 v16, vcc, s6, v2
	v_lshl_add_u32 v64, v0, 2, v4
	s_nop 0
	v_addc_co_u32_e32 v17, vcc, 0, v3, vcc
	flat_load_dwordx2 v[18:19], v[6:7]
	flat_load_dwordx2 v[20:21], v[6:7] offset:2048
	flat_load_dwordx2 v[22:23], v[16:17]
	flat_load_dwordx2 v[24:25], v[16:17] offset:2048
	v_add_co_u32_e32 v6, vcc, s5, v2
	s_nop 1
	v_addc_co_u32_e32 v7, vcc, 0, v3, vcc
	v_add_co_u32_e32 v16, vcc, s4, v2
	s_nop 1
	v_addc_co_u32_e32 v17, vcc, 0, v3, vcc
	flat_load_dwordx2 v[26:27], v[6:7]
	flat_load_dwordx2 v[28:29], v[6:7] offset:2048
	flat_load_dwordx2 v[30:31], v[16:17]
	flat_load_dwordx2 v[32:33], v[16:17] offset:2048
	v_add_co_u32_e32 v6, vcc, s0, v2
	s_movk_i32 s0, 0x7000
	s_nop 0
	v_addc_co_u32_e32 v7, vcc, 0, v3, vcc
	v_add_co_u32_e32 v16, vcc, s0, v2
	s_mov_b32 s0, 0x8000
	s_nop 0
	v_addc_co_u32_e32 v17, vcc, 0, v3, vcc
	flat_load_dwordx2 v[34:35], v[6:7]
	flat_load_dwordx2 v[36:37], v[6:7] offset:2048
	flat_load_dwordx2 v[38:39], v[16:17]
	flat_load_dwordx2 v[40:41], v[16:17] offset:2048
	v_add_co_u32_e32 v6, vcc, s0, v2
	s_mov_b32 s0, 0x9000
	s_nop 0
	v_addc_co_u32_e32 v7, vcc, 0, v3, vcc
	v_add_co_u32_e32 v16, vcc, s0, v2
	s_mov_b32 s0, 0xa000
	s_nop 0
	v_addc_co_u32_e32 v17, vcc, 0, v3, vcc
	flat_load_dwordx2 v[44:45], v[6:7]
	flat_load_dwordx2 v[66:67], v[6:7] offset:2048
	flat_load_dwordx2 v[68:69], v[16:17]
	flat_load_dwordx2 v[70:71], v[16:17] offset:2048
	v_add_co_u32_e32 v2, vcc, s0, v2
	s_movk_i32 s0, 0xa0
	s_nop 0
	v_addc_co_u32_e32 v3, vcc, 0, v3, vcc
	flat_load_dwordx2 v[2:3], v[2:3]
	v_cmp_ne_u32_e32 vcc, v1, v62
	s_waitcnt vmcnt(0) lgkmcnt(0)
	ds_write2st64_b64 v64, v[8:9], v[10:11] offset1:4
	ds_write2st64_b64 v64, v[12:13], v[14:15] offset0:8 offset1:12
	ds_write2st64_b64 v64, v[18:19], v[20:21] offset0:16 offset1:20
	;; [unrolled: 1-line block ×9, first 2 shown]
	ds_write_b64 v64, v[2:3] offset:40960
	v_mad_u32_u24 v2, v0, s0, v64
	s_waitcnt lgkmcnt(0)
	s_barrier
	ds_read2_b64 v[38:41], v2 offset0:1 offset1:2
	ds_read2_b64 v[34:37], v2 offset0:3 offset1:4
	;; [unrolled: 1-line block ×10, first 2 shown]
	v_cmp_eq_u32_e64 s[0:1], v1, v62
	v_mov_b64_e32 v[44:45], s[68:69]
	s_and_saveexec_b64 s[4:5], s[0:1]
	s_cbranch_execz .LBB1492_139
; %bb.138:
	v_mul_u32_u24_e32 v1, 0xa0, v0
	v_add_u32_e32 v1, v64, v1
	ds_read_b64 v[44:45], v1
.LBB1492_139:
	s_or_b64 exec, exec, s[4:5]
	v_cndmask_b32_e64 v1, 0, 1, vcc
	v_cmp_ne_u32_e32 vcc, v62, v63
	v_cmp_ne_u32_e64 s[36:37], v47, v82
	v_cmp_ne_u32_e64 s[38:39], v82, v83
	v_mov_b32_e32 v82, s69
	v_cmp_ne_u32_e64 s[6:7], v61, v58
	v_cmp_ne_u32_e64 s[34:35], v46, v47
	s_waitcnt lgkmcnt(9)
	v_cndmask_b32_e32 v47, v39, v82, vcc
	v_mov_b32_e32 v39, s68
	v_cmp_ne_u32_e64 s[0:1], v63, v60
	v_cmp_ne_u32_e64 s[4:5], v60, v61
	v_cndmask_b32_e64 v110, 0, 1, s[6:7]
	v_cmp_ne_u32_e64 s[8:9], v58, v59
	v_cmp_ne_u32_e64 s[10:11], v59, v56
	;; [unrolled: 1-line block ×12, first 2 shown]
	s_waitcnt lgkmcnt(8)
	v_cndmask_b32_e64 v53, v37, v82, s[6:7]
	v_cndmask_b32_e64 v52, v36, v39, s[6:7]
	v_cmp_ne_u32_e64 s[6:7], v83, v84
	v_cndmask_b32_e64 v106, 0, 1, vcc
	v_cndmask_b32_e64 v107, 0, 1, s[0:1]
	v_cndmask_b32_e64 v109, 0, 1, s[4:5]
	;; [unrolled: 1-line block ×17, first 2 shown]
	v_cndmask_b32_e32 v46, v38, v39, vcc
	v_cndmask_b32_e64 v49, v41, v82, s[0:1]
	v_cndmask_b32_e64 v48, v40, v39, s[0:1]
	v_cndmask_b32_e64 v51, v35, v82, s[4:5]
	v_cndmask_b32_e64 v50, v34, v39, s[4:5]
	s_waitcnt lgkmcnt(7)
	v_cndmask_b32_e64 v55, v31, v82, s[8:9]
	v_cndmask_b32_e64 v54, v30, v39, s[8:9]
	v_cndmask_b32_e64 v57, v33, v82, s[10:11]
	v_cndmask_b32_e64 v56, v32, v39, s[10:11]
	s_waitcnt lgkmcnt(6)
	v_cndmask_b32_e64 v59, v27, v82, s[12:13]
	v_cndmask_b32_e64 v58, v26, v39, s[12:13]
	v_cndmask_b32_e64 v61, v29, v82, s[14:15]
	v_cndmask_b32_e64 v60, v28, v39, s[14:15]
	s_waitcnt lgkmcnt(5)
	v_cndmask_b32_e64 v63, v23, v82, s[16:17]
	v_cndmask_b32_e64 v62, v22, v39, s[16:17]
	v_cndmask_b32_e64 v65, v25, v82, s[18:19]
	v_cndmask_b32_e64 v64, v24, v39, s[18:19]
	s_waitcnt lgkmcnt(4)
	v_cndmask_b32_e64 v67, v19, v82, s[20:21]
	v_cndmask_b32_e64 v66, v18, v39, s[20:21]
	v_cndmask_b32_e64 v69, v21, v82, s[22:23]
	v_cndmask_b32_e64 v68, v20, v39, s[22:23]
	s_waitcnt lgkmcnt(3)
	v_cndmask_b32_e64 v71, v15, v82, s[24:25]
	v_cndmask_b32_e64 v70, v14, v39, s[24:25]
	v_cndmask_b32_e64 v73, v17, v82, s[26:27]
	v_cndmask_b32_e64 v72, v16, v39, s[26:27]
	s_waitcnt lgkmcnt(2)
	v_cndmask_b32_e64 v75, v11, v82, s[28:29]
	v_cndmask_b32_e64 v74, v10, v39, s[28:29]
	v_cndmask_b32_e64 v77, v13, v82, s[30:31]
	v_cndmask_b32_e64 v76, v12, v39, s[30:31]
	s_waitcnt lgkmcnt(1)
	v_cndmask_b32_e64 v79, v7, v82, s[34:35]
	v_cndmask_b32_e64 v78, v6, v39, s[34:35]
	v_cndmask_b32_e64 v81, v9, v82, s[36:37]
	v_cndmask_b32_e64 v80, v8, v39, s[36:37]
	s_waitcnt lgkmcnt(0)
	v_cndmask_b32_e64 v41, v3, v82, s[38:39]
	v_cndmask_b32_e64 v40, v2, v39, s[38:39]
	v_cndmask_b32_e64 v3, v5, v82, s[6:7]
	v_cndmask_b32_e64 v2, v4, v39, s[6:7]
	s_mov_b64 s[8:9], -1
                                        ; implicit-def: $sgpr72
                                        ; implicit-def: $sgpr4_sgpr5
.LBB1492_140:
	v_mov_b64_e32 v[82:83], s[4:5]
	v_mov_b32_e32 v125, s72
	s_and_saveexec_b64 s[0:1], s[8:9]
; %bb.141:
	v_cndmask_b32_e64 v125, 0, 1, s[6:7]
	v_mov_b64_e32 v[82:83], v[2:3]
; %bb.142:
	s_or_b64 exec, exec, s[0:1]
	v_or_b32_e32 v2, v125, v108
	s_cmp_lg_u32 s55, 0
	v_or_b32_e32 v127, v2, v124
	v_mbcnt_lo_u32_b32 v126, -1, 0
	s_barrier
	s_cbranch_scc0 .LBB1492_209
; %bb.143:
	v_mov_b32_e32 v4, 0
	v_cmp_eq_u16_sdwa s[4:5], v106, v4 src0_sel:BYTE_0 src1_sel:DWORD
	v_cmp_eq_u16_sdwa s[6:7], v107, v4 src0_sel:BYTE_0 src1_sel:DWORD
	v_cmp_eq_u16_sdwa s[8:9], v109, v4 src0_sel:BYTE_0 src1_sel:DWORD
	v_cndmask_b32_e64 v3, 0, v45, s[4:5]
	v_cndmask_b32_e64 v2, 0, v44, s[4:5]
	v_lshl_add_u64 v[2:3], v[2:3], 0, v[46:47]
	v_cndmask_b32_e64 v3, 0, v3, s[6:7]
	v_cndmask_b32_e64 v2, 0, v2, s[6:7]
	v_lshl_add_u64 v[2:3], v[2:3], 0, v[48:49]
	v_cndmask_b32_e64 v3, 0, v3, s[8:9]
	v_cndmask_b32_e64 v2, 0, v2, s[8:9]
	v_lshl_add_u64 v[2:3], v[2:3], 0, v[50:51]
	v_cmp_eq_u16_sdwa s[10:11], v110, v4 src0_sel:BYTE_0 src1_sel:DWORD
	v_cmp_eq_u16_sdwa s[12:13], v111, v4 src0_sel:BYTE_0 src1_sel:DWORD
	v_cmp_eq_u16_sdwa s[14:15], v112, v4 src0_sel:BYTE_0 src1_sel:DWORD
	v_cndmask_b32_e64 v3, 0, v3, s[10:11]
	v_cndmask_b32_e64 v2, 0, v2, s[10:11]
	v_lshl_add_u64 v[2:3], v[2:3], 0, v[52:53]
	v_cndmask_b32_e64 v3, 0, v3, s[12:13]
	v_cndmask_b32_e64 v2, 0, v2, s[12:13]
	v_lshl_add_u64 v[2:3], v[2:3], 0, v[54:55]
	v_cndmask_b32_e64 v3, 0, v3, s[14:15]
	v_cndmask_b32_e64 v2, 0, v2, s[14:15]
	v_lshl_add_u64 v[2:3], v[2:3], 0, v[56:57]
	;; [unrolled: 12-line block ×3, first 2 shown]
	v_cmp_eq_u16_sdwa s[22:23], v116, v4 src0_sel:BYTE_0 src1_sel:DWORD
	v_cmp_eq_u16_sdwa s[24:25], v117, v4 src0_sel:BYTE_0 src1_sel:DWORD
	;; [unrolled: 1-line block ×3, first 2 shown]
	v_cndmask_b32_e64 v3, 0, v3, s[22:23]
	v_cndmask_b32_e64 v2, 0, v2, s[22:23]
	v_lshl_add_u64 v[2:3], v[2:3], 0, v[64:65]
	v_cndmask_b32_e64 v3, 0, v3, s[24:25]
	v_cndmask_b32_e64 v2, 0, v2, s[24:25]
	v_lshl_add_u64 v[2:3], v[2:3], 0, v[66:67]
	v_cmp_eq_u16_sdwa s[28:29], v119, v4 src0_sel:BYTE_0 src1_sel:DWORD
	v_cmp_eq_u16_sdwa s[30:31], v120, v4 src0_sel:BYTE_0 src1_sel:DWORD
	;; [unrolled: 1-line block ×7, first 2 shown]
	v_cmp_eq_u16_sdwa vcc, v125, v4 src0_sel:BYTE_0 src1_sel:DWORD
	v_or_b32_e32 v4, v127, v123
	v_cndmask_b32_e64 v3, 0, v3, s[26:27]
	v_cndmask_b32_e64 v2, 0, v2, s[26:27]
	v_or_b32_e32 v4, v4, v122
	v_lshl_add_u64 v[2:3], v[2:3], 0, v[68:69]
	v_or_b32_e32 v4, v4, v121
	v_cndmask_b32_e64 v3, 0, v3, s[28:29]
	v_cndmask_b32_e64 v2, 0, v2, s[28:29]
	v_or_b32_e32 v4, v4, v120
	v_lshl_add_u64 v[2:3], v[2:3], 0, v[70:71]
	;; [unrolled: 5-line block ×8, first 2 shown]
	v_or_b32_e32 v4, v4, v106
	v_cndmask_b32_e32 v3, 0, v3, vcc
	v_cndmask_b32_e32 v2, 0, v2, vcc
	v_or_b32_e32 v4, v4, v1
	v_mbcnt_hi_u32_b32 v9, -1, v126
	v_lshl_add_u64 v[2:3], v[2:3], 0, v[82:83]
	v_and_b32_e32 v8, 1, v4
	v_and_b32_e32 v5, 15, v9
	v_cmp_eq_u32_e32 vcc, 1, v8
	v_mov_b32_dpp v7, v2 row_shr:1 row_mask:0xf bank_mask:0xf
	v_mov_b32_dpp v10, v3 row_shr:1 row_mask:0xf bank_mask:0xf
	;; [unrolled: 1-line block ×3, first 2 shown]
	v_cmp_ne_u32_e64 s[0:1], 0, v5
	v_mov_b32_e32 v4, v8
	s_and_saveexec_b64 s[44:45], s[0:1]
; %bb.144:
	v_and_b32_e32 v4, 1, v6
	v_cndmask_b32_e64 v11, v10, 0, vcc
	v_cndmask_b32_e64 v10, v7, 0, vcc
	v_or_b32_e32 v8, v4, v8
	v_lshl_add_u64 v[2:3], v[10:11], 0, v[2:3]
	v_and_b32_e32 v4, 0xffff, v8
; %bb.145:
	s_or_b64 exec, exec, s[44:45]
	v_mov_b32_dpp v7, v2 row_shr:2 row_mask:0xf bank_mask:0xf
	v_mov_b32_dpp v10, v3 row_shr:2 row_mask:0xf bank_mask:0xf
	;; [unrolled: 1-line block ×3, first 2 shown]
	v_cmp_lt_u32_e32 vcc, 1, v5
	s_and_saveexec_b64 s[44:45], vcc
; %bb.146:
	v_cmp_eq_u16_e32 vcc, 0, v8
	v_and_b32_e32 v4, 1, v8
	s_nop 0
	v_cndmask_b32_e32 v11, 0, v10, vcc
	v_cndmask_b32_e32 v10, 0, v7, vcc
	v_cmp_eq_u32_e32 vcc, 1, v4
	v_and_b32_e32 v4, 1, v6
	v_cmp_eq_u32_e64 s[0:1], 1, v4
	s_or_b64 s[0:1], vcc, s[0:1]
	v_lshl_add_u64 v[2:3], v[10:11], 0, v[2:3]
	v_cndmask_b32_e64 v8, 0, 1, s[0:1]
	v_cndmask_b32_e64 v4, 0, 1, s[0:1]
; %bb.147:
	s_or_b64 exec, exec, s[44:45]
	v_mov_b32_dpp v7, v2 row_shr:4 row_mask:0xf bank_mask:0xf
	v_mov_b32_dpp v10, v3 row_shr:4 row_mask:0xf bank_mask:0xf
	;; [unrolled: 1-line block ×3, first 2 shown]
	v_cmp_lt_u32_e32 vcc, 3, v5
	s_and_saveexec_b64 s[44:45], vcc
; %bb.148:
	v_cmp_eq_u16_e32 vcc, 0, v8
	v_and_b32_e32 v4, 1, v8
	s_nop 0
	v_cndmask_b32_e32 v11, 0, v10, vcc
	v_cndmask_b32_e32 v10, 0, v7, vcc
	v_cmp_eq_u32_e32 vcc, 1, v4
	v_and_b32_e32 v4, 1, v6
	v_cmp_eq_u32_e64 s[0:1], 1, v4
	s_or_b64 s[0:1], vcc, s[0:1]
	v_lshl_add_u64 v[2:3], v[10:11], 0, v[2:3]
	v_cndmask_b32_e64 v8, 0, 1, s[0:1]
	v_cndmask_b32_e64 v4, 0, 1, s[0:1]
; %bb.149:
	s_or_b64 exec, exec, s[44:45]
	v_mov_b32_dpp v7, v2 row_shr:8 row_mask:0xf bank_mask:0xf
	v_mov_b32_dpp v10, v3 row_shr:8 row_mask:0xf bank_mask:0xf
	;; [unrolled: 1-line block ×3, first 2 shown]
	v_cmp_lt_u32_e32 vcc, 7, v5
	s_and_saveexec_b64 s[44:45], vcc
; %bb.150:
	v_cmp_eq_u16_e32 vcc, 0, v8
	s_nop 1
	v_cndmask_b32_e32 v5, 0, v10, vcc
	v_cndmask_b32_e32 v4, 0, v7, vcc
	v_lshl_add_u64 v[2:3], v[4:5], 0, v[2:3]
	v_and_b32_e32 v4, 1, v8
	v_cmp_eq_u32_e32 vcc, 1, v4
	v_and_b32_e32 v4, 1, v6
	v_cmp_eq_u32_e64 s[0:1], 1, v4
	s_or_b64 s[0:1], vcc, s[0:1]
	s_nop 0
	v_cndmask_b32_e64 v8, 0, 1, s[0:1]
	v_cndmask_b32_e64 v4, 0, 1, s[0:1]
; %bb.151:
	s_or_b64 exec, exec, s[44:45]
	v_and_b32_e32 v10, 16, v9
	v_mov_b32_dpp v6, v2 row_bcast:15 row_mask:0xf bank_mask:0xf
	v_mov_b32_dpp v7, v3 row_bcast:15 row_mask:0xf bank_mask:0xf
	;; [unrolled: 1-line block ×3, first 2 shown]
	v_cmp_ne_u32_e32 vcc, 0, v10
	s_and_saveexec_b64 s[44:45], vcc
; %bb.152:
	v_cmp_eq_u16_e32 vcc, 0, v8
	v_and_b32_e32 v4, 1, v8
	s_nop 0
	v_cndmask_b32_e32 v7, 0, v7, vcc
	v_cndmask_b32_e32 v6, 0, v6, vcc
	v_cmp_eq_u32_e32 vcc, 1, v4
	v_and_b32_e32 v4, 1, v5
	v_cmp_eq_u32_e64 s[0:1], 1, v4
	s_or_b64 s[0:1], vcc, s[0:1]
	v_lshl_add_u64 v[2:3], v[6:7], 0, v[2:3]
	v_cndmask_b32_e64 v8, 0, 1, s[0:1]
	v_cndmask_b32_e64 v4, 0, 1, s[0:1]
; %bb.153:
	s_or_b64 exec, exec, s[44:45]
	v_mov_b32_dpp v5, v2 row_bcast:31 row_mask:0xf bank_mask:0xf
	v_mov_b32_dpp v6, v3 row_bcast:31 row_mask:0xf bank_mask:0xf
	;; [unrolled: 1-line block ×3, first 2 shown]
	v_cmp_lt_u32_e32 vcc, 31, v9
	s_and_saveexec_b64 s[44:45], vcc
; %bb.154:
	v_cmp_eq_u16_e32 vcc, 0, v8
	v_and_b32_e32 v4, 1, v4
	v_cmp_eq_u32_e64 s[0:1], 1, v4
	v_cndmask_b32_e32 v7, 0, v6, vcc
	v_cndmask_b32_e32 v6, 0, v5, vcc
	v_and_b32_e32 v5, 1, v8
	v_cmp_eq_u32_e32 vcc, 1, v5
	s_or_b64 s[0:1], vcc, s[0:1]
	v_lshl_add_u64 v[2:3], v[6:7], 0, v[2:3]
	v_cndmask_b32_e64 v8, 0, 1, s[0:1]
; %bb.155:
	s_or_b64 exec, exec, s[44:45]
	v_or_b32_e32 v4, 63, v0
	v_lshrrev_b32_e32 v10, 6, v0
	v_cmp_eq_u32_e32 vcc, v4, v0
	s_and_saveexec_b64 s[0:1], vcc
	s_cbranch_execz .LBB1492_157
; %bb.156:
	v_lshlrev_b32_e32 v4, 4, v10
	ds_write_b64 v4, v[2:3]
	ds_write_b8 v4, v8 offset:8
.LBB1492_157:
	s_or_b64 exec, exec, s[0:1]
	v_cmp_gt_u32_e32 vcc, 4, v0
	s_waitcnt lgkmcnt(0)
	s_barrier
	s_and_saveexec_b64 s[44:45], vcc
	s_cbranch_execz .LBB1492_163
; %bb.158:
	v_lshlrev_b32_e32 v6, 4, v0
	ds_read_b64 v[4:5], v6
	ds_read_b32 v7, v6 offset:8
	v_and_b32_e32 v11, 3, v9
	v_cmp_ne_u32_e32 vcc, 0, v11
	s_waitcnt lgkmcnt(1)
	v_mov_b32_dpp v15, v4 row_shr:1 row_mask:0xf bank_mask:0xf
	v_mov_b32_dpp v16, v5 row_shr:1 row_mask:0xf bank_mask:0xf
	s_waitcnt lgkmcnt(0)
	v_mov_b32_dpp v14, v7 row_shr:1 row_mask:0xf bank_mask:0xf
	v_mov_b32_e32 v12, v7
	v_mov_b32_e32 v13, v7
	s_and_saveexec_b64 s[0:1], vcc
; %bb.159:
	v_mov_b32_e32 v12, 0
	v_cmp_eq_u16_sdwa vcc, v7, v12 src0_sel:BYTE_0 src1_sel:DWORD
	s_movk_i32 s58, 0xff00
	s_nop 0
	v_cndmask_b32_e32 v13, 0, v16, vcc
	v_cndmask_b32_e32 v12, 0, v15, vcc
	v_lshl_add_u64 v[4:5], v[12:13], 0, v[4:5]
	v_or_b32_e32 v13, v14, v7
	v_and_b32_e32 v12, 1, v13
	v_and_b32_e32 v13, 1, v13
	v_and_or_b32 v7, v7, s58, v13
; %bb.160:
	s_or_b64 exec, exec, s[0:1]
	v_mov_b32_dpp v14, v4 row_shr:2 row_mask:0xf bank_mask:0xf
	v_mov_b32_dpp v15, v5 row_shr:2 row_mask:0xf bank_mask:0xf
	v_mov_b32_dpp v7, v7 row_shr:2 row_mask:0xf bank_mask:0xf
	v_cmp_lt_u32_e32 vcc, 1, v11
	s_and_saveexec_b64 s[58:59], vcc
; %bb.161:
	v_mov_b32_e32 v11, 0
	v_cmp_eq_u16_sdwa vcc, v13, v11 src0_sel:BYTE_0 src1_sel:DWORD
	v_and_b32_e32 v11, 1, v13
	v_and_b32_e32 v7, 1, v7
	v_cndmask_b32_e32 v15, 0, v15, vcc
	v_cndmask_b32_e32 v14, 0, v14, vcc
	v_cmp_eq_u32_e32 vcc, 1, v11
	v_cmp_eq_u32_e64 s[0:1], 1, v7
	s_or_b64 s[0:1], vcc, s[0:1]
	v_lshl_add_u64 v[4:5], v[14:15], 0, v[4:5]
	v_cndmask_b32_e64 v12, 0, 1, s[0:1]
; %bb.162:
	s_or_b64 exec, exec, s[58:59]
	ds_write_b64 v6, v[4:5]
	ds_write_b8 v6, v12 offset:8
.LBB1492_163:
	s_or_b64 exec, exec, s[44:45]
	v_cmp_gt_u32_e32 vcc, 64, v0
	v_cmp_lt_u32_e64 s[0:1], 63, v0
	v_mov_b32_e32 v16, 0
	v_mov_b64_e32 v[6:7], 0
	s_waitcnt lgkmcnt(0)
	s_barrier
	s_and_saveexec_b64 s[44:45], s[0:1]
	s_cbranch_execz .LBB1492_165
; %bb.164:
	v_lshl_add_u32 v4, v10, 4, -16
	ds_read_b64 v[6:7], v4
	ds_read_u8 v16, v4 offset:8
	v_cmp_eq_u16_e64 s[0:1], 0, v8
	s_waitcnt lgkmcnt(0)
	v_or_b32_e32 v8, v8, v16
	v_cndmask_b32_e64 v5, 0, v7, s[0:1]
	v_cndmask_b32_e64 v4, 0, v6, s[0:1]
	v_lshl_add_u64 v[2:3], v[2:3], 0, v[4:5]
	v_and_b32_e32 v8, 1, v8
.LBB1492_165:
	s_or_b64 exec, exec, s[44:45]
	v_add_u32_e32 v4, -1, v9
	v_and_b32_e32 v5, 64, v9
	v_cmp_lt_i32_e64 s[0:1], v4, v5
	v_cmp_eq_u32_e64 s[44:45], 0, v9
	s_nop 0
	v_cndmask_b32_e64 v4, v4, v9, s[0:1]
	v_lshlrev_b32_e32 v4, 2, v4
	ds_bpermute_b32 v17, v4, v2
	v_and_b32_e32 v2, 0xffff, v8
	ds_bpermute_b32 v18, v4, v3
	ds_bpermute_b32 v19, v4, v2
	s_and_saveexec_b64 s[58:59], vcc
	s_cbranch_execz .LBB1492_208
; %bb.166:
	v_mov_b32_e32 v11, 0
	ds_read2_b64 v[2:5], v11 offset0:6 offset1:7
	s_and_saveexec_b64 s[0:1], s[44:45]
	s_cbranch_execz .LBB1492_168
; %bb.167:
	s_add_i32 s60, s55, 64
	s_mov_b32 s61, 0
	s_lshl_b64 s[64:65], s[60:61], 4
	s_add_u32 s64, s48, s64
	s_addc_u32 s65, s49, s65
	s_waitcnt lgkmcnt(0)
	global_store_dword v11, v2, s[64:65] sc1
	global_store_dword v11, v3, s[64:65] offset:4 sc1
	global_store_dword v11, v4, s[64:65] offset:8 sc1
	;; [unrolled: 1-line block ×3, first 2 shown]
	v_mov_b32_e32 v5, s60
	v_mov_b32_e32 v8, 1
	s_waitcnt vmcnt(0)
	global_store_byte v5, v8, s[52:53] sc1
.LBB1492_168:
	s_or_b64 exec, exec, s[0:1]
	v_xad_u32 v8, v9, -1, s55
	v_add_u32_e32 v10, 64, v8
	s_waitcnt lgkmcnt(0)
	global_load_ubyte v5, v10, s[52:53] sc1
	s_waitcnt vmcnt(0)
	v_cmp_eq_u16_e32 vcc, 0, v5
	s_and_saveexec_b64 s[0:1], vcc
	s_cbranch_execz .LBB1492_172
; %bb.169:
	v_lshl_add_u64 v[12:13], s[52:53], 0, v[10:11]
	s_mov_b64 s[60:61], 0
.LBB1492_170:                           ; =>This Inner Loop Header: Depth=1
	global_load_ubyte v5, v[12:13], off sc1
	s_waitcnt vmcnt(0)
	v_cmp_ne_u16_e32 vcc, 0, v5
	s_or_b64 s[60:61], vcc, s[60:61]
	s_andn2_b64 exec, exec, s[60:61]
	s_cbranch_execnz .LBB1492_170
; %bb.171:
	s_or_b64 exec, exec, s[60:61]
.LBB1492_172:
	s_or_b64 exec, exec, s[0:1]
	v_mov_b32_e32 v12, s51
	v_mov_b32_e32 v13, s49
	v_cmp_eq_u16_e32 vcc, 1, v5
	v_mov_b32_e32 v14, s48
	s_waitcnt vmcnt(0)
	v_cndmask_b32_e32 v13, v12, v13, vcc
	v_mov_b32_e32 v12, s50
	v_cndmask_b32_e32 v12, v12, v14, vcc
	v_lshl_add_u64 v[10:11], v[10:11], 4, v[12:13]
	global_load_dword v14, v[10:11], off sc1
	global_load_dword v15, v[10:11], off offset:4 sc1
	global_load_dword v34, v[10:11], off offset:8 sc1
	s_nop 0
	global_load_dword v10, v[10:11], off offset:12 sc1
	v_cmp_eq_u16_e32 vcc, 2, v5
	s_waitcnt vmcnt(0)
	v_lshlrev_b64 v[10:11], v9, -1
	v_and_b32_e32 v20, 63, v9
	v_and_b32_e32 v12, vcc_hi, v11
	v_and_b32_e32 v25, vcc_lo, v10
	v_cmp_ne_u32_e32 vcc, 63, v20
	v_or_b32_e32 v12, 0x80000000, v12
	v_ffbl_b32_e32 v12, v12
	v_addc_co_u32_e32 v13, vcc, 0, v9, vcc
	v_lshlrev_b32_e32 v21, 2, v13
	v_add_u32_e32 v12, 32, v12
	v_ffbl_b32_e32 v25, v25
	v_min_u32_e32 v12, v25, v12
	v_cmp_lt_u32_e32 vcc, v20, v12
	ds_bpermute_b32 v23, v21, v14
	ds_bpermute_b32 v24, v21, v15
	v_and_b32_e32 v13, 0xff, v34
	ds_bpermute_b32 v22, v21, v13
	s_and_saveexec_b64 s[0:1], vcc
	s_cbranch_execz .LBB1492_174
; %bb.173:
	v_mov_b32_e32 v13, 0
	v_cmp_eq_u16_sdwa vcc, v34, v13 src0_sel:BYTE_0 src1_sel:DWORD
	s_waitcnt lgkmcnt(0)
	v_or_b32_e32 v13, v22, v34
	v_and_b32_e32 v34, 1, v13
	v_cndmask_b32_e32 v25, 0, v24, vcc
	v_cndmask_b32_e32 v24, 0, v23, vcc
	v_lshl_add_u64 v[14:15], v[24:25], 0, v[14:15]
	v_and_b32_e32 v13, 1, v13
.LBB1492_174:
	s_or_b64 exec, exec, s[0:1]
	v_cmp_gt_u32_e32 vcc, 62, v20
	s_waitcnt lgkmcnt(2)
	v_add_u32_e32 v23, 2, v20
	s_waitcnt lgkmcnt(0)
	v_cndmask_b32_e64 v22, 0, 1, vcc
	v_lshlrev_b32_e32 v22, 1, v22
	v_add_lshl_u32 v22, v22, v9, 2
	ds_bpermute_b32 v25, v22, v14
	ds_bpermute_b32 v26, v22, v15
	ds_bpermute_b32 v24, v22, v13
	v_cmp_le_u32_e32 vcc, v23, v12
	s_and_saveexec_b64 s[60:61], vcc
	s_cbranch_execz .LBB1492_176
; %bb.175:
	v_mov_b32_e32 v13, 0
	v_cmp_eq_u16_sdwa vcc, v34, v13 src0_sel:BYTE_0 src1_sel:DWORD
	v_and_b32_e32 v13, 1, v34
	s_waitcnt lgkmcnt(1)
	v_cndmask_b32_e32 v27, 0, v26, vcc
	v_cndmask_b32_e32 v26, 0, v25, vcc
	v_cmp_eq_u32_e32 vcc, 1, v13
	s_waitcnt lgkmcnt(0)
	v_and_b32_e32 v13, 1, v24
	v_cmp_eq_u32_e64 s[0:1], 1, v13
	s_or_b64 s[0:1], vcc, s[0:1]
	v_lshl_add_u64 v[14:15], v[26:27], 0, v[14:15]
	v_cndmask_b32_e64 v34, 0, 1, s[0:1]
	v_cndmask_b32_e64 v13, 0, 1, s[0:1]
.LBB1492_176:
	s_or_b64 exec, exec, s[60:61]
	v_cmp_gt_u32_e32 vcc, 60, v20
	s_waitcnt lgkmcnt(2)
	v_add_u32_e32 v25, 4, v20
	s_waitcnt lgkmcnt(0)
	v_cndmask_b32_e64 v24, 0, 1, vcc
	v_lshlrev_b32_e32 v24, 2, v24
	v_add_lshl_u32 v24, v24, v9, 2
	ds_bpermute_b32 v27, v24, v14
	ds_bpermute_b32 v28, v24, v15
	ds_bpermute_b32 v26, v24, v13
	v_cmp_le_u32_e32 vcc, v25, v12
	s_and_saveexec_b64 s[60:61], vcc
	s_cbranch_execz .LBB1492_178
; %bb.177:
	v_mov_b32_e32 v13, 0
	v_cmp_eq_u16_sdwa vcc, v34, v13 src0_sel:BYTE_0 src1_sel:DWORD
	v_and_b32_e32 v13, 1, v34
	s_waitcnt lgkmcnt(1)
	v_cndmask_b32_e32 v29, 0, v28, vcc
	v_cndmask_b32_e32 v28, 0, v27, vcc
	v_cmp_eq_u32_e32 vcc, 1, v13
	s_waitcnt lgkmcnt(0)
	v_and_b32_e32 v13, 1, v26
	v_cmp_eq_u32_e64 s[0:1], 1, v13
	s_or_b64 s[0:1], vcc, s[0:1]
	v_lshl_add_u64 v[14:15], v[28:29], 0, v[14:15]
	v_cndmask_b32_e64 v34, 0, 1, s[0:1]
	v_cndmask_b32_e64 v13, 0, 1, s[0:1]
.LBB1492_178:
	;; [unrolled: 30-line block ×4, first 2 shown]
	s_or_b64 exec, exec, s[60:61]
	v_cmp_gt_u32_e32 vcc, 32, v20
	s_waitcnt lgkmcnt(1)
	v_add_u32_e32 v32, 32, v20
	s_waitcnt lgkmcnt(0)
	v_cndmask_b32_e64 v30, 0, 1, vcc
	v_lshlrev_b32_e32 v30, 5, v30
	v_add_lshl_u32 v31, v30, v9, 2
	ds_bpermute_b32 v30, v31, v14
	ds_bpermute_b32 v33, v31, v15
	;; [unrolled: 1-line block ×3, first 2 shown]
	v_cmp_le_u32_e32 vcc, v32, v12
	s_and_saveexec_b64 s[60:61], vcc
	s_cbranch_execz .LBB1492_184
; %bb.183:
	v_mov_b32_e32 v12, 0
	v_cmp_eq_u16_sdwa vcc, v34, v12 src0_sel:BYTE_0 src1_sel:DWORD
	s_waitcnt lgkmcnt(0)
	v_and_b32_e32 v9, 1, v9
	v_cmp_eq_u32_e64 s[0:1], 1, v9
	v_cndmask_b32_e32 v13, 0, v33, vcc
	v_cndmask_b32_e32 v12, 0, v30, vcc
	v_lshl_add_u64 v[14:15], v[12:13], 0, v[14:15]
	v_and_b32_e32 v12, 1, v34
	v_cmp_eq_u32_e32 vcc, 1, v12
	s_or_b64 s[0:1], vcc, s[0:1]
	v_cndmask_b32_e64 v34, 0, 1, s[0:1]
.LBB1492_184:
	s_or_b64 exec, exec, s[60:61]
	s_waitcnt lgkmcnt(0)
	v_mov_b32_e32 v9, 0
	v_mov_b32_e32 v33, 2
	s_branch .LBB1492_186
.LBB1492_185:                           ;   in Loop: Header=BB1492_186 Depth=1
	s_or_b64 exec, exec, s[64:65]
	v_cmp_eq_u16_sdwa vcc, v30, v9 src0_sel:BYTE_0 src1_sel:DWORD
	v_and_b32_e32 v34, 1, v30
	v_subrev_u32_e32 v8, 64, v8
	v_cndmask_b32_e32 v15, 0, v15, vcc
	v_cndmask_b32_e32 v14, 0, v14, vcc
	v_cmp_eq_u32_e32 vcc, 1, v34
	s_or_b64 s[0:1], vcc, s[60:61]
	v_lshl_add_u64 v[14:15], v[14:15], 0, v[12:13]
	v_cndmask_b32_e64 v34, 0, 1, s[0:1]
.LBB1492_186:                           ; =>This Loop Header: Depth=1
                                        ;     Child Loop BB1492_189 Depth 2
	v_cmp_ne_u16_sdwa s[0:1], v5, v33 src0_sel:BYTE_0 src1_sel:DWORD
	v_mov_b32_e32 v30, v34
	v_mov_b64_e32 v[12:13], v[14:15]
	v_cndmask_b32_e64 v5, 0, 1, s[0:1]
	;;#ASMSTART
	;;#ASMEND
	s_nop 0
	v_cmp_ne_u32_e32 vcc, 0, v5
	s_cmp_lg_u64 vcc, exec
	s_cbranch_scc1 .LBB1492_203
; %bb.187:                              ;   in Loop: Header=BB1492_186 Depth=1
	global_load_ubyte v5, v8, s[52:53] sc1
	s_waitcnt vmcnt(0)
	v_cmp_eq_u16_e32 vcc, 0, v5
	s_and_saveexec_b64 s[0:1], vcc
	s_cbranch_execz .LBB1492_191
; %bb.188:                              ;   in Loop: Header=BB1492_186 Depth=1
	v_lshl_add_u64 v[14:15], s[52:53], 0, v[8:9]
	s_mov_b64 s[60:61], 0
.LBB1492_189:                           ;   Parent Loop BB1492_186 Depth=1
                                        ; =>  This Inner Loop Header: Depth=2
	global_load_ubyte v5, v[14:15], off sc1
	s_waitcnt vmcnt(0)
	v_cmp_ne_u16_e32 vcc, 0, v5
	s_or_b64 s[60:61], vcc, s[60:61]
	s_andn2_b64 exec, exec, s[60:61]
	s_cbranch_execnz .LBB1492_189
; %bb.190:                              ;   in Loop: Header=BB1492_186 Depth=1
	s_or_b64 exec, exec, s[60:61]
.LBB1492_191:                           ;   in Loop: Header=BB1492_186 Depth=1
	s_or_b64 exec, exec, s[0:1]
	v_mov_b32_e32 v14, s51
	v_mov_b32_e32 v15, s49
	v_cmp_eq_u16_e32 vcc, 1, v5
	v_mov_b32_e32 v34, s48
	s_waitcnt vmcnt(0)
	v_cndmask_b32_e32 v15, v14, v15, vcc
	v_mov_b32_e32 v14, s50
	v_cndmask_b32_e32 v14, v14, v34, vcc
	s_waitcnt lgkmcnt(0)
	v_lshl_add_u64 v[36:37], v[8:9], 4, v[14:15]
	global_load_dword v14, v[36:37], off sc1
	global_load_dword v15, v[36:37], off offset:4 sc1
	global_load_dword v34, v[36:37], off offset:8 sc1
	global_load_dword v35, v[36:37], off offset:12 sc1
	v_cmp_eq_u16_e32 vcc, 2, v5
	s_waitcnt vmcnt(3)
	ds_bpermute_b32 v38, v21, v14
	s_waitcnt vmcnt(0)
	v_and_b32_e32 v35, vcc_hi, v11
	v_and_b32_e32 v36, 0xff, v34
	v_or_b32_e32 v35, 0x80000000, v35
	ds_bpermute_b32 v39, v21, v15
	ds_bpermute_b32 v37, v21, v36
	v_and_b32_e32 v84, vcc_lo, v10
	v_ffbl_b32_e32 v35, v35
	v_add_u32_e32 v35, 32, v35
	v_ffbl_b32_e32 v84, v84
	v_min_u32_e32 v35, v84, v35
	v_cmp_lt_u32_e32 vcc, v20, v35
	s_and_saveexec_b64 s[0:1], vcc
	s_cbranch_execz .LBB1492_193
; %bb.192:                              ;   in Loop: Header=BB1492_186 Depth=1
	v_cmp_eq_u16_sdwa vcc, v34, v9 src0_sel:BYTE_0 src1_sel:DWORD
	s_waitcnt lgkmcnt(0)
	v_or_b32_e32 v36, v37, v34
	v_and_b32_e32 v34, 1, v36
	v_cndmask_b32_e32 v39, 0, v39, vcc
	v_cndmask_b32_e32 v38, 0, v38, vcc
	v_lshl_add_u64 v[14:15], v[38:39], 0, v[14:15]
	v_and_b32_e32 v36, 1, v36
.LBB1492_193:                           ;   in Loop: Header=BB1492_186 Depth=1
	s_or_b64 exec, exec, s[0:1]
	s_waitcnt lgkmcnt(2)
	ds_bpermute_b32 v38, v22, v14
	s_waitcnt lgkmcnt(2)
	ds_bpermute_b32 v39, v22, v15
	;; [unrolled: 2-line block ×3, first 2 shown]
	v_and_b32_e32 v84, 1, v34
	v_cmp_le_u32_e32 vcc, v23, v35
	v_cmp_eq_u32_e64 s[60:61], 1, v84
	s_and_saveexec_b64 s[0:1], vcc
	s_cbranch_execz .LBB1492_195
; %bb.194:                              ;   in Loop: Header=BB1492_186 Depth=1
	v_cmp_eq_u16_sdwa vcc, v34, v9 src0_sel:BYTE_0 src1_sel:DWORD
	s_waitcnt lgkmcnt(0)
	v_and_b32_e32 v34, 1, v37
	v_cndmask_b32_e32 v39, 0, v39, vcc
	v_cndmask_b32_e32 v38, 0, v38, vcc
	v_cmp_eq_u32_e32 vcc, 1, v34
	s_or_b64 s[64:65], s[60:61], vcc
	v_cndmask_b32_e64 v34, 0, 1, s[64:65]
	v_cndmask_b32_e64 v36, 0, 1, s[64:65]
	s_andn2_b64 s[60:61], s[60:61], exec
	s_and_b64 s[64:65], s[64:65], exec
	v_lshl_add_u64 v[14:15], v[38:39], 0, v[14:15]
	s_or_b64 s[60:61], s[60:61], s[64:65]
.LBB1492_195:                           ;   in Loop: Header=BB1492_186 Depth=1
	s_or_b64 exec, exec, s[0:1]
	s_waitcnt lgkmcnt(2)
	ds_bpermute_b32 v38, v24, v14
	s_waitcnt lgkmcnt(2)
	ds_bpermute_b32 v39, v24, v15
	s_waitcnt lgkmcnt(2)
	ds_bpermute_b32 v37, v24, v36
	v_cmp_le_u32_e32 vcc, v25, v35
	s_and_saveexec_b64 s[64:65], vcc
	s_cbranch_execz .LBB1492_197
; %bb.196:                              ;   in Loop: Header=BB1492_186 Depth=1
	v_cmp_eq_u16_sdwa vcc, v34, v9 src0_sel:BYTE_0 src1_sel:DWORD
	v_and_b32_e32 v34, 1, v34
	s_andn2_b64 s[60:61], s[60:61], exec
	s_waitcnt lgkmcnt(1)
	v_cndmask_b32_e32 v39, 0, v39, vcc
	v_cndmask_b32_e32 v38, 0, v38, vcc
	v_cmp_eq_u32_e32 vcc, 1, v34
	s_waitcnt lgkmcnt(0)
	v_and_b32_e32 v34, 1, v37
	v_cmp_eq_u32_e64 s[0:1], 1, v34
	s_or_b64 s[0:1], vcc, s[0:1]
	v_lshl_add_u64 v[14:15], v[38:39], 0, v[14:15]
	v_cndmask_b32_e64 v34, 0, 1, s[0:1]
	v_cndmask_b32_e64 v36, 0, 1, s[0:1]
	s_and_b64 s[0:1], s[0:1], exec
	s_or_b64 s[60:61], s[60:61], s[0:1]
.LBB1492_197:                           ;   in Loop: Header=BB1492_186 Depth=1
	s_or_b64 exec, exec, s[64:65]
	s_waitcnt lgkmcnt(2)
	ds_bpermute_b32 v38, v26, v14
	s_waitcnt lgkmcnt(2)
	ds_bpermute_b32 v39, v26, v15
	s_waitcnt lgkmcnt(2)
	ds_bpermute_b32 v37, v26, v36
	v_cmp_le_u32_e32 vcc, v27, v35
	s_and_saveexec_b64 s[64:65], vcc
	s_cbranch_execz .LBB1492_199
; %bb.198:                              ;   in Loop: Header=BB1492_186 Depth=1
	v_cmp_eq_u16_sdwa vcc, v34, v9 src0_sel:BYTE_0 src1_sel:DWORD
	v_and_b32_e32 v34, 1, v34
	s_andn2_b64 s[60:61], s[60:61], exec
	s_waitcnt lgkmcnt(1)
	v_cndmask_b32_e32 v39, 0, v39, vcc
	v_cndmask_b32_e32 v38, 0, v38, vcc
	v_cmp_eq_u32_e32 vcc, 1, v34
	s_waitcnt lgkmcnt(0)
	v_and_b32_e32 v34, 1, v37
	v_cmp_eq_u32_e64 s[0:1], 1, v34
	s_or_b64 s[0:1], vcc, s[0:1]
	v_lshl_add_u64 v[14:15], v[38:39], 0, v[14:15]
	v_cndmask_b32_e64 v34, 0, 1, s[0:1]
	v_cndmask_b32_e64 v36, 0, 1, s[0:1]
	s_and_b64 s[0:1], s[0:1], exec
	s_or_b64 s[60:61], s[60:61], s[0:1]
.LBB1492_199:                           ;   in Loop: Header=BB1492_186 Depth=1
	s_or_b64 exec, exec, s[64:65]
	s_waitcnt lgkmcnt(2)
	ds_bpermute_b32 v38, v28, v14
	s_waitcnt lgkmcnt(2)
	ds_bpermute_b32 v39, v28, v15
	s_waitcnt lgkmcnt(2)
	ds_bpermute_b32 v37, v28, v36
	v_cmp_le_u32_e32 vcc, v29, v35
	s_and_saveexec_b64 s[64:65], vcc
	s_cbranch_execz .LBB1492_201
; %bb.200:                              ;   in Loop: Header=BB1492_186 Depth=1
	v_cmp_eq_u16_sdwa vcc, v34, v9 src0_sel:BYTE_0 src1_sel:DWORD
	v_and_b32_e32 v34, 1, v34
	s_andn2_b64 s[60:61], s[60:61], exec
	s_waitcnt lgkmcnt(1)
	v_cndmask_b32_e32 v39, 0, v39, vcc
	v_cndmask_b32_e32 v38, 0, v38, vcc
	v_cmp_eq_u32_e32 vcc, 1, v34
	s_waitcnt lgkmcnt(0)
	v_and_b32_e32 v34, 1, v37
	v_cmp_eq_u32_e64 s[0:1], 1, v34
	s_or_b64 s[0:1], vcc, s[0:1]
	v_lshl_add_u64 v[14:15], v[38:39], 0, v[14:15]
	v_cndmask_b32_e64 v34, 0, 1, s[0:1]
	v_cndmask_b32_e64 v36, 0, 1, s[0:1]
	s_and_b64 s[0:1], s[0:1], exec
	s_or_b64 s[60:61], s[60:61], s[0:1]
.LBB1492_201:                           ;   in Loop: Header=BB1492_186 Depth=1
	s_or_b64 exec, exec, s[64:65]
	s_waitcnt lgkmcnt(0)
	ds_bpermute_b32 v37, v31, v14
	ds_bpermute_b32 v38, v31, v15
	;; [unrolled: 1-line block ×3, first 2 shown]
	v_cmp_le_u32_e32 vcc, v32, v35
	s_and_saveexec_b64 s[64:65], vcc
	s_cbranch_execz .LBB1492_185
; %bb.202:                              ;   in Loop: Header=BB1492_186 Depth=1
	v_cmp_eq_u16_sdwa vcc, v34, v9 src0_sel:BYTE_0 src1_sel:DWORD
	v_and_b32_e32 v34, 1, v34
	s_andn2_b64 s[60:61], s[60:61], exec
	s_waitcnt lgkmcnt(1)
	v_cndmask_b32_e32 v39, 0, v38, vcc
	v_cndmask_b32_e32 v38, 0, v37, vcc
	v_cmp_eq_u32_e32 vcc, 1, v34
	s_waitcnt lgkmcnt(0)
	v_and_b32_e32 v34, 1, v36
	v_cmp_eq_u32_e64 s[0:1], 1, v34
	s_or_b64 s[0:1], vcc, s[0:1]
	s_and_b64 s[0:1], s[0:1], exec
	v_lshl_add_u64 v[14:15], v[38:39], 0, v[14:15]
	s_or_b64 s[60:61], s[60:61], s[0:1]
	s_branch .LBB1492_185
.LBB1492_203:                           ;   in Loop: Header=BB1492_186 Depth=1
                                        ; implicit-def: $vgpr34
                                        ; implicit-def: $vgpr14_vgpr15
                                        ; implicit-def: $vgpr5
	s_cbranch_execz .LBB1492_186
; %bb.204:
	s_and_saveexec_b64 s[0:1], s[44:45]
	s_cbranch_execz .LBB1492_206
; %bb.205:
	s_mov_b32 s49, 0
	v_mov_b32_e32 v5, 0
	s_add_i32 s48, s55, 64
	v_cmp_eq_u32_sdwa vcc, v4, v5 src0_sel:BYTE_0 src1_sel:DWORD
	s_lshl_b64 s[60:61], s[48:49], 4
	v_and_b32_e32 v4, 1, v4
	v_cndmask_b32_e32 v9, 0, v13, vcc
	v_cndmask_b32_e32 v8, 0, v12, vcc
	s_add_u32 s60, s50, s60
	v_lshl_add_u64 v[2:3], v[8:9], 0, v[2:3]
	v_and_b32_e32 v8, 1, v30
	v_cmp_eq_u32_e32 vcc, 1, v4
	s_addc_u32 s61, s51, s61
	s_nop 0
	v_cndmask_b32_e64 v4, v8, 1, vcc
	global_store_dword v5, v2, s[60:61] sc1
	global_store_dword v5, v3, s[60:61] offset:4 sc1
	global_store_dword v5, v4, s[60:61] offset:8 sc1
	;; [unrolled: 1-line block ×3, first 2 shown]
	v_mov_b32_e32 v2, s48
	v_mov_b32_e32 v3, 2
	s_waitcnt vmcnt(0) lgkmcnt(0)
	global_store_byte v2, v3, s[52:53] sc1
.LBB1492_206:
	s_or_b64 exec, exec, s[0:1]
	s_and_b64 exec, exec, s[46:47]
	s_cbranch_execz .LBB1492_208
; %bb.207:
	v_mov_b32_e32 v2, 0
	ds_write_b64 v2, v[12:13] offset:48
	ds_write_b8 v2, v30 offset:56
.LBB1492_208:
	s_or_b64 exec, exec, s[58:59]
	v_mov_b32_e32 v8, 0
	s_waitcnt lgkmcnt(0)
	s_barrier
	ds_read_b64 v[2:3], v8 offset:48
	v_cndmask_b32_e64 v9, v19, v16, s[44:45]
	v_cmp_eq_u16_sdwa vcc, v9, v8 src0_sel:BYTE_0 src1_sel:DWORD
	v_cndmask_b32_e64 v4, v17, v6, s[44:45]
	v_cndmask_b32_e64 v5, v18, v7, s[44:45]
	s_waitcnt lgkmcnt(0)
	v_cndmask_b32_e32 v7, 0, v3, vcc
	v_cndmask_b32_e32 v6, 0, v2, vcc
	v_lshl_add_u64 v[4:5], v[4:5], 0, v[6:7]
	v_cndmask_b32_e64 v85, v5, v3, s[46:47]
	v_cndmask_b32_e64 v84, v4, v2, s[46:47]
	v_cmp_eq_u16_sdwa vcc, v1, v8 src0_sel:BYTE_0 src1_sel:DWORD
	s_nop 1
	v_cndmask_b32_e32 v3, 0, v85, vcc
	v_cndmask_b32_e32 v2, 0, v84, vcc
	v_lshl_add_u64 v[6:7], v[2:3], 0, v[44:45]
	v_cndmask_b32_e64 v3, 0, v7, s[4:5]
	v_cndmask_b32_e64 v2, 0, v6, s[4:5]
	v_lshl_add_u64 v[2:3], v[2:3], 0, v[46:47]
	v_cndmask_b32_e64 v5, 0, v3, s[6:7]
	v_cndmask_b32_e64 v4, 0, v2, s[6:7]
	;; [unrolled: 3-line block ×19, first 2 shown]
	s_branch .LBB1492_237
.LBB1492_209:
                                        ; implicit-def: $vgpr2_vgpr3_vgpr4_vgpr5
                                        ; implicit-def: $vgpr84_vgpr85
                                        ; implicit-def: $vgpr104_vgpr105
                                        ; implicit-def: $vgpr102_vgpr103
                                        ; implicit-def: $vgpr100_vgpr101
                                        ; implicit-def: $vgpr98_vgpr99
                                        ; implicit-def: $vgpr96_vgpr97
                                        ; implicit-def: $vgpr94_vgpr95
                                        ; implicit-def: $vgpr92_vgpr93
                                        ; implicit-def: $vgpr90_vgpr91
                                        ; implicit-def: $vgpr88_vgpr89
                                        ; implicit-def: $vgpr86_vgpr87
                                        ; implicit-def: $vgpr36_vgpr37_vgpr38_vgpr39
                                        ; implicit-def: $vgpr32_vgpr33_vgpr34_vgpr35
                                        ; implicit-def: $vgpr28_vgpr29_vgpr30_vgpr31
                                        ; implicit-def: $vgpr24_vgpr25_vgpr26_vgpr27
                                        ; implicit-def: $vgpr20_vgpr21_vgpr22_vgpr23
                                        ; implicit-def: $vgpr16_vgpr17_vgpr18_vgpr19
                                        ; implicit-def: $vgpr12_vgpr13_vgpr14_vgpr15
                                        ; implicit-def: $vgpr8_vgpr9_vgpr10_vgpr11
                                        ; implicit-def: $vgpr4_vgpr5_vgpr6_vgpr7
	s_cbranch_execz .LBB1492_237
; %bb.210:
	s_cmp_lg_u64 s[70:71], 0
	s_cselect_b32 s1, s67, 0
	s_cselect_b32 s0, s66, 0
	s_cmp_eq_u64 s[0:1], 0
	v_mov_b64_e32 v[4:5], s[68:69]
	s_cbranch_scc1 .LBB1492_212
; %bb.211:
	v_mov_b32_e32 v2, 0
	global_load_dwordx2 v[4:5], v2, s[0:1]
.LBB1492_212:
	v_mov_b32_e32 v6, 0
	v_cmp_eq_u16_sdwa vcc, v106, v6 src0_sel:BYTE_0 src1_sel:DWORD
	v_cmp_eq_u16_sdwa s[4:5], v107, v6 src0_sel:BYTE_0 src1_sel:DWORD
	v_cmp_eq_u16_sdwa s[6:7], v109, v6 src0_sel:BYTE_0 src1_sel:DWORD
	v_cndmask_b32_e32 v3, 0, v45, vcc
	v_cndmask_b32_e32 v2, 0, v44, vcc
	v_lshl_add_u64 v[2:3], v[2:3], 0, v[46:47]
	v_cndmask_b32_e64 v3, 0, v3, s[4:5]
	v_cndmask_b32_e64 v2, 0, v2, s[4:5]
	v_lshl_add_u64 v[2:3], v[2:3], 0, v[48:49]
	v_cndmask_b32_e64 v3, 0, v3, s[6:7]
	v_cndmask_b32_e64 v2, 0, v2, s[6:7]
	v_lshl_add_u64 v[2:3], v[2:3], 0, v[50:51]
	v_cmp_eq_u16_sdwa s[8:9], v110, v6 src0_sel:BYTE_0 src1_sel:DWORD
	v_cmp_eq_u16_sdwa s[10:11], v111, v6 src0_sel:BYTE_0 src1_sel:DWORD
	v_cmp_eq_u16_sdwa s[12:13], v112, v6 src0_sel:BYTE_0 src1_sel:DWORD
	v_cndmask_b32_e64 v3, 0, v3, s[8:9]
	v_cndmask_b32_e64 v2, 0, v2, s[8:9]
	v_lshl_add_u64 v[2:3], v[2:3], 0, v[52:53]
	v_cndmask_b32_e64 v3, 0, v3, s[10:11]
	v_cndmask_b32_e64 v2, 0, v2, s[10:11]
	v_lshl_add_u64 v[2:3], v[2:3], 0, v[54:55]
	v_cndmask_b32_e64 v3, 0, v3, s[12:13]
	v_cndmask_b32_e64 v2, 0, v2, s[12:13]
	v_lshl_add_u64 v[2:3], v[2:3], 0, v[56:57]
	v_cmp_eq_u16_sdwa s[14:15], v113, v6 src0_sel:BYTE_0 src1_sel:DWORD
	v_cmp_eq_u16_sdwa s[16:17], v114, v6 src0_sel:BYTE_0 src1_sel:DWORD
	v_cmp_eq_u16_sdwa s[18:19], v115, v6 src0_sel:BYTE_0 src1_sel:DWORD
	v_cndmask_b32_e64 v3, 0, v3, s[14:15]
	v_cndmask_b32_e64 v2, 0, v2, s[14:15]
	;; [unrolled: 12-line block ×3, first 2 shown]
	v_lshl_add_u64 v[2:3], v[2:3], 0, v[64:65]
	v_cndmask_b32_e64 v3, 0, v3, s[22:23]
	v_cndmask_b32_e64 v2, 0, v2, s[22:23]
	v_lshl_add_u64 v[2:3], v[2:3], 0, v[66:67]
	v_cmp_eq_u16_sdwa s[26:27], v119, v6 src0_sel:BYTE_0 src1_sel:DWORD
	v_cmp_eq_u16_sdwa s[28:29], v120, v6 src0_sel:BYTE_0 src1_sel:DWORD
	;; [unrolled: 1-line block ×8, first 2 shown]
	v_or_b32_e32 v6, v127, v123
	v_cndmask_b32_e64 v3, 0, v3, s[24:25]
	v_cndmask_b32_e64 v2, 0, v2, s[24:25]
	v_or_b32_e32 v6, v6, v122
	v_lshl_add_u64 v[2:3], v[2:3], 0, v[68:69]
	v_or_b32_e32 v6, v6, v121
	v_cndmask_b32_e64 v3, 0, v3, s[26:27]
	v_cndmask_b32_e64 v2, 0, v2, s[26:27]
	v_or_b32_e32 v6, v6, v120
	v_lshl_add_u64 v[2:3], v[2:3], 0, v[70:71]
	;; [unrolled: 5-line block ×8, first 2 shown]
	v_or_b32_e32 v6, v6, v106
	v_cndmask_b32_e64 v3, 0, v3, s[0:1]
	v_cndmask_b32_e64 v2, 0, v2, s[0:1]
	v_or_b32_e32 v6, v6, v1
	v_mbcnt_hi_u32_b32 v8, -1, v126
	v_lshl_add_u64 v[2:3], v[2:3], 0, v[82:83]
	v_and_b32_e32 v9, 1, v6
	v_and_b32_e32 v7, 15, v8
	v_cmp_eq_u32_e64 s[0:1], 1, v9
	v_mov_b32_dpp v11, v2 row_shr:1 row_mask:0xf bank_mask:0xf
	v_mov_b32_dpp v12, v3 row_shr:1 row_mask:0xf bank_mask:0xf
	;; [unrolled: 1-line block ×3, first 2 shown]
	v_cmp_ne_u32_e64 s[42:43], 0, v7
	v_mov_b32_e32 v6, v9
	s_and_saveexec_b64 s[44:45], s[42:43]
; %bb.213:
	v_and_b32_e32 v6, 1, v10
	v_cndmask_b32_e64 v13, v12, 0, s[0:1]
	v_cndmask_b32_e64 v12, v11, 0, s[0:1]
	v_or_b32_e32 v9, v6, v9
	v_lshl_add_u64 v[2:3], v[12:13], 0, v[2:3]
	v_and_b32_e32 v6, 0xffff, v9
; %bb.214:
	s_or_b64 exec, exec, s[44:45]
	v_mov_b32_dpp v11, v2 row_shr:2 row_mask:0xf bank_mask:0xf
	v_mov_b32_dpp v12, v3 row_shr:2 row_mask:0xf bank_mask:0xf
	;; [unrolled: 1-line block ×3, first 2 shown]
	v_cmp_lt_u32_e64 s[0:1], 1, v7
	s_and_saveexec_b64 s[44:45], s[0:1]
; %bb.215:
	v_cmp_eq_u16_e64 s[0:1], 0, v9
	v_and_b32_e32 v6, 1, v9
	s_nop 0
	v_cndmask_b32_e64 v13, 0, v12, s[0:1]
	v_cndmask_b32_e64 v12, 0, v11, s[0:1]
	v_cmp_eq_u32_e64 s[0:1], 1, v6
	v_and_b32_e32 v6, 1, v10
	v_cmp_eq_u32_e64 s[42:43], 1, v6
	s_or_b64 s[0:1], s[0:1], s[42:43]
	v_lshl_add_u64 v[2:3], v[12:13], 0, v[2:3]
	v_cndmask_b32_e64 v9, 0, 1, s[0:1]
	v_cndmask_b32_e64 v6, 0, 1, s[0:1]
; %bb.216:
	s_or_b64 exec, exec, s[44:45]
	v_mov_b32_dpp v11, v2 row_shr:4 row_mask:0xf bank_mask:0xf
	v_mov_b32_dpp v12, v3 row_shr:4 row_mask:0xf bank_mask:0xf
	;; [unrolled: 1-line block ×3, first 2 shown]
	v_cmp_lt_u32_e64 s[0:1], 3, v7
	s_and_saveexec_b64 s[44:45], s[0:1]
; %bb.217:
	v_cmp_eq_u16_e64 s[0:1], 0, v9
	v_and_b32_e32 v6, 1, v9
	s_nop 0
	v_cndmask_b32_e64 v13, 0, v12, s[0:1]
	v_cndmask_b32_e64 v12, 0, v11, s[0:1]
	v_cmp_eq_u32_e64 s[0:1], 1, v6
	v_and_b32_e32 v6, 1, v10
	v_cmp_eq_u32_e64 s[42:43], 1, v6
	s_or_b64 s[0:1], s[0:1], s[42:43]
	v_lshl_add_u64 v[2:3], v[12:13], 0, v[2:3]
	v_cndmask_b32_e64 v9, 0, 1, s[0:1]
	v_cndmask_b32_e64 v6, 0, 1, s[0:1]
; %bb.218:
	s_or_b64 exec, exec, s[44:45]
	v_mov_b32_dpp v11, v2 row_shr:8 row_mask:0xf bank_mask:0xf
	v_mov_b32_dpp v12, v3 row_shr:8 row_mask:0xf bank_mask:0xf
	;; [unrolled: 1-line block ×3, first 2 shown]
	v_cmp_lt_u32_e64 s[0:1], 7, v7
	s_and_saveexec_b64 s[44:45], s[0:1]
; %bb.219:
	v_cmp_eq_u16_e64 s[0:1], 0, v9
	s_nop 1
	v_cndmask_b32_e64 v7, 0, v12, s[0:1]
	v_cndmask_b32_e64 v6, 0, v11, s[0:1]
	v_lshl_add_u64 v[2:3], v[6:7], 0, v[2:3]
	v_and_b32_e32 v6, 1, v9
	v_cmp_eq_u32_e64 s[0:1], 1, v6
	v_and_b32_e32 v6, 1, v10
	v_cmp_eq_u32_e64 s[42:43], 1, v6
	s_or_b64 s[0:1], s[0:1], s[42:43]
	v_cndmask_b32_e64 v9, 0, 1, s[0:1]
	v_cndmask_b32_e64 v6, 0, 1, s[0:1]
; %bb.220:
	s_or_b64 exec, exec, s[44:45]
	v_and_b32_e32 v12, 16, v8
	v_mov_b32_dpp v10, v2 row_bcast:15 row_mask:0xf bank_mask:0xf
	v_mov_b32_dpp v11, v3 row_bcast:15 row_mask:0xf bank_mask:0xf
	;; [unrolled: 1-line block ×3, first 2 shown]
	v_cmp_ne_u32_e64 s[0:1], 0, v12
	s_and_saveexec_b64 s[44:45], s[0:1]
; %bb.221:
	v_cmp_eq_u16_e64 s[0:1], 0, v9
	v_and_b32_e32 v6, 1, v9
	s_nop 0
	v_cndmask_b32_e64 v11, 0, v11, s[0:1]
	v_cndmask_b32_e64 v10, 0, v10, s[0:1]
	v_cmp_eq_u32_e64 s[0:1], 1, v6
	v_and_b32_e32 v6, 1, v7
	v_cmp_eq_u32_e64 s[42:43], 1, v6
	s_or_b64 s[0:1], s[0:1], s[42:43]
	v_lshl_add_u64 v[2:3], v[10:11], 0, v[2:3]
	v_cndmask_b32_e64 v9, 0, 1, s[0:1]
	v_cndmask_b32_e64 v6, 0, 1, s[0:1]
; %bb.222:
	s_or_b64 exec, exec, s[44:45]
	v_mov_b32_dpp v7, v2 row_bcast:31 row_mask:0xf bank_mask:0xf
	v_mov_b32_dpp v10, v3 row_bcast:31 row_mask:0xf bank_mask:0xf
	;; [unrolled: 1-line block ×3, first 2 shown]
	v_cmp_lt_u32_e64 s[0:1], 31, v8
	s_and_saveexec_b64 s[44:45], s[0:1]
; %bb.223:
	v_cmp_eq_u16_e64 s[0:1], 0, v9
	v_and_b32_e32 v6, 1, v6
	v_cmp_eq_u32_e64 s[42:43], 1, v6
	v_cndmask_b32_e64 v11, 0, v10, s[0:1]
	v_cndmask_b32_e64 v10, 0, v7, s[0:1]
	v_and_b32_e32 v7, 1, v9
	v_cmp_eq_u32_e64 s[0:1], 1, v7
	s_or_b64 s[0:1], s[0:1], s[42:43]
	v_lshl_add_u64 v[2:3], v[10:11], 0, v[2:3]
	v_cndmask_b32_e64 v9, 0, 1, s[0:1]
; %bb.224:
	s_or_b64 exec, exec, s[44:45]
	v_or_b32_e32 v6, 63, v0
	v_lshrrev_b32_e32 v10, 6, v0
	v_cmp_eq_u32_e64 s[0:1], v6, v0
	s_and_saveexec_b64 s[42:43], s[0:1]
	s_cbranch_execz .LBB1492_226
; %bb.225:
	v_lshlrev_b32_e32 v6, 4, v10
	ds_write_b64 v6, v[2:3]
	ds_write_b8 v6, v9 offset:8
.LBB1492_226:
	s_or_b64 exec, exec, s[42:43]
	v_cmp_gt_u32_e64 s[0:1], 4, v0
	s_waitcnt lgkmcnt(0)
	s_barrier
	s_and_saveexec_b64 s[44:45], s[0:1]
	s_cbranch_execz .LBB1492_232
; %bb.227:
	v_lshlrev_b32_e32 v11, 4, v0
	ds_read_b64 v[6:7], v11
	ds_read_b32 v12, v11 offset:8
	v_and_b32_e32 v13, 3, v8
	v_cmp_ne_u32_e64 s[0:1], 0, v13
	s_waitcnt lgkmcnt(1)
	v_mov_b32_dpp v17, v6 row_shr:1 row_mask:0xf bank_mask:0xf
	v_mov_b32_dpp v18, v7 row_shr:1 row_mask:0xf bank_mask:0xf
	s_waitcnt lgkmcnt(0)
	v_mov_b32_dpp v16, v12 row_shr:1 row_mask:0xf bank_mask:0xf
	v_mov_b32_e32 v14, v12
	v_mov_b32_e32 v15, v12
	s_and_saveexec_b64 s[42:43], s[0:1]
; %bb.228:
	v_mov_b32_e32 v14, 0
	v_cmp_eq_u16_sdwa s[0:1], v12, v14 src0_sel:BYTE_0 src1_sel:DWORD
	s_nop 1
	v_cndmask_b32_e64 v15, 0, v18, s[0:1]
	v_cndmask_b32_e64 v14, 0, v17, s[0:1]
	v_lshl_add_u64 v[6:7], v[14:15], 0, v[6:7]
	v_or_b32_e32 v15, v16, v12
	v_and_b32_e32 v14, 1, v15
	v_and_b32_e32 v15, 1, v15
	s_movk_i32 s0, 0xff00
	v_and_or_b32 v12, v12, s0, v15
; %bb.229:
	s_or_b64 exec, exec, s[42:43]
	v_mov_b32_dpp v16, v6 row_shr:2 row_mask:0xf bank_mask:0xf
	v_mov_b32_dpp v17, v7 row_shr:2 row_mask:0xf bank_mask:0xf
	;; [unrolled: 1-line block ×3, first 2 shown]
	v_cmp_lt_u32_e64 s[0:1], 1, v13
	s_and_saveexec_b64 s[48:49], s[0:1]
; %bb.230:
	v_mov_b32_e32 v13, 0
	v_cmp_eq_u16_sdwa s[0:1], v15, v13 src0_sel:BYTE_0 src1_sel:DWORD
	v_and_b32_e32 v13, 1, v15
	v_and_b32_e32 v12, 1, v12
	v_cndmask_b32_e64 v17, 0, v17, s[0:1]
	v_cndmask_b32_e64 v16, 0, v16, s[0:1]
	v_cmp_eq_u32_e64 s[0:1], 1, v13
	v_cmp_eq_u32_e64 s[42:43], 1, v12
	s_or_b64 s[0:1], s[0:1], s[42:43]
	v_lshl_add_u64 v[6:7], v[16:17], 0, v[6:7]
	v_cndmask_b32_e64 v14, 0, 1, s[0:1]
; %bb.231:
	s_or_b64 exec, exec, s[48:49]
	ds_write_b64 v11, v[6:7]
	ds_write_b8 v11, v14 offset:8
.LBB1492_232:
	s_or_b64 exec, exec, s[44:45]
	v_cmp_lt_u32_e64 s[0:1], 63, v0
	s_waitcnt vmcnt(0)
	v_mov_b64_e32 v[6:7], v[4:5]
	s_waitcnt lgkmcnt(0)
	s_barrier
	s_and_saveexec_b64 s[42:43], s[0:1]
	s_cbranch_execz .LBB1492_234
; %bb.233:
	v_lshl_add_u32 v6, v10, 4, -16
	ds_read_u8 v10, v6 offset:8
	ds_read_b64 v[6:7], v6
	s_waitcnt lgkmcnt(1)
	v_cmp_eq_u16_e64 s[0:1], 0, v10
	s_nop 1
	v_cndmask_b32_e64 v11, 0, v5, s[0:1]
	v_cndmask_b32_e64 v10, 0, v4, s[0:1]
	s_waitcnt lgkmcnt(0)
	v_lshl_add_u64 v[6:7], v[10:11], 0, v[6:7]
.LBB1492_234:
	s_or_b64 exec, exec, s[42:43]
	v_cmp_eq_u16_e64 s[0:1], 0, v9
	v_add_u32_e32 v9, -1, v8
	s_nop 0
	v_cndmask_b32_e64 v11, 0, v7, s[0:1]
	v_cndmask_b32_e64 v10, 0, v6, s[0:1]
	v_lshl_add_u64 v[2:3], v[10:11], 0, v[2:3]
	v_and_b32_e32 v10, 64, v8
	v_cmp_lt_i32_e64 s[0:1], v9, v10
	v_mov_b32_e32 v10, 0
	s_nop 0
	v_cndmask_b32_e64 v9, v9, v8, s[0:1]
	v_lshlrev_b32_e32 v9, 2, v9
	ds_bpermute_b32 v3, v9, v3
	ds_bpermute_b32 v2, v9, v2
	v_cmp_eq_u32_e64 s[0:1], 0, v8
	s_waitcnt lgkmcnt(1)
	s_nop 0
	v_cndmask_b32_e64 v85, v3, v7, s[0:1]
	s_waitcnt lgkmcnt(0)
	v_cndmask_b32_e64 v84, v2, v6, s[0:1]
	v_cndmask_b32_e64 v2, v84, v4, s[46:47]
	;; [unrolled: 1-line block ×3, first 2 shown]
	v_cmp_eq_u16_sdwa s[0:1], v1, v10 src0_sel:BYTE_0 src1_sel:DWORD
	s_nop 1
	v_cndmask_b32_e64 v3, 0, v3, s[0:1]
	v_cndmask_b32_e64 v2, 0, v2, s[0:1]
	v_lshl_add_u64 v[6:7], v[2:3], 0, v[44:45]
	v_cndmask_b32_e32 v3, 0, v7, vcc
	v_cndmask_b32_e32 v2, 0, v6, vcc
	v_lshl_add_u64 v[2:3], v[2:3], 0, v[46:47]
	v_cndmask_b32_e64 v9, 0, v3, s[4:5]
	v_cndmask_b32_e64 v8, 0, v2, s[4:5]
	v_lshl_add_u64 v[86:87], v[8:9], 0, v[48:49]
	v_cndmask_b32_e64 v9, 0, v87, s[6:7]
	v_cndmask_b32_e64 v8, 0, v86, s[6:7]
	;; [unrolled: 3-line block ×18, first 2 shown]
	s_and_saveexec_b64 s[0:1], s[46:47]
	s_cbranch_execz .LBB1492_236
; %bb.235:
	ds_read_u8 v1, v10 offset:56
	ds_read_b64 v[14:15], v10 offset:48
	v_mov_b64_e32 v[84:85], v[4:5]
	s_waitcnt lgkmcnt(1)
	v_cmp_eq_u32_e32 vcc, 0, v1
	s_nop 1
	v_cndmask_b32_e32 v19, 0, v5, vcc
	v_cndmask_b32_e32 v18, 0, v4, vcc
	s_waitcnt lgkmcnt(0)
	v_lshl_add_u64 v[14:15], v[18:19], 0, v[14:15]
	global_store_dword v10, v14, s[50:51] offset:1024 sc1
	global_store_dword v10, v15, s[50:51] offset:1028 sc1
	;; [unrolled: 1-line block ×4, first 2 shown]
	v_mov_b32_e32 v1, 2
	s_waitcnt vmcnt(0)
	global_store_byte v10, v1, s[52:53] offset:64 sc1
.LBB1492_236:
	s_or_b64 exec, exec, s[0:1]
.LBB1492_237:
	s_add_u32 s0, s62, s56
	s_addc_u32 s1, s63, s57
	v_lshl_add_u64 v[14:15], v[104:105], 0, v[40:41]
	v_lshl_add_u64 v[4:5], s[0:1], 0, v[42:43]
	s_and_b64 vcc, exec, s[2:3]
	v_lshlrev_b32_e32 v10, 3, v0
	s_cbranch_vccz .LBB1492_279
; %bb.238:
	s_movk_i32 s0, 0xa8
	v_mul_i32_i24_e32 v22, 0xffffff60, v0
	v_mul_u32_u24_e32 v1, 0xa8, v0
	v_mad_u32_u24 v11, v0, s0, v22
	s_barrier
	ds_write2_b64 v1, v[84:85], v[6:7] offset1:1
	ds_write2_b64 v1, v[2:3], v[86:87] offset0:2 offset1:3
	ds_write2_b64 v1, v[8:9], v[88:89] offset0:4 offset1:5
	;; [unrolled: 1-line block ×9, first 2 shown]
	ds_write_b64 v1, v[14:15] offset:160
	s_waitcnt lgkmcnt(0)
	s_barrier
	ds_read2st64_b64 v[74:77], v11 offset0:4 offset1:8
	ds_read2st64_b64 v[70:73], v11 offset0:12 offset1:16
	;; [unrolled: 1-line block ×10, first 2 shown]
	s_add_i32 s33, s33, s54
	v_mov_b32_e32 v11, 0
	v_lshl_add_u64 v[18:19], v[4:5], 0, v[10:11]
	v_cmp_gt_u32_e32 vcc, s33, v0
	s_and_saveexec_b64 s[0:1], vcc
	s_cbranch_execz .LBB1492_240
; %bb.239:
	v_add_u32_e32 v1, v1, v22
	ds_read_b64 v[22:23], v1
	s_waitcnt lgkmcnt(0)
	flat_store_dwordx2 v[18:19], v[22:23]
.LBB1492_240:
	s_or_b64 exec, exec, s[0:1]
	v_or_b32_e32 v1, 0x100, v0
	v_cmp_gt_u32_e32 vcc, s33, v1
	s_and_saveexec_b64 s[0:1], vcc
	s_cbranch_execz .LBB1492_242
; %bb.241:
	s_waitcnt lgkmcnt(0)
	flat_store_dwordx2 v[18:19], v[74:75] offset:2048
.LBB1492_242:
	s_or_b64 exec, exec, s[0:1]
	v_or_b32_e32 v1, 0x200, v0
	v_cmp_gt_u32_e32 vcc, s33, v1
	s_and_saveexec_b64 s[0:1], vcc
	s_cbranch_execz .LBB1492_244
; %bb.243:
	v_add_co_u32_e32 v22, vcc, 0x1000, v18
	s_nop 1
	v_addc_co_u32_e32 v23, vcc, 0, v19, vcc
	s_waitcnt lgkmcnt(0)
	flat_store_dwordx2 v[22:23], v[76:77]
.LBB1492_244:
	s_or_b64 exec, exec, s[0:1]
	v_or_b32_e32 v1, 0x300, v0
	v_cmp_gt_u32_e32 vcc, s33, v1
	s_and_saveexec_b64 s[0:1], vcc
	s_cbranch_execz .LBB1492_246
; %bb.245:
	v_add_co_u32_e32 v22, vcc, 0x1000, v18
	s_nop 1
	v_addc_co_u32_e32 v23, vcc, 0, v19, vcc
	s_waitcnt lgkmcnt(0)
	flat_store_dwordx2 v[22:23], v[70:71] offset:2048
.LBB1492_246:
	s_or_b64 exec, exec, s[0:1]
	v_or_b32_e32 v1, 0x400, v0
	v_cmp_gt_u32_e32 vcc, s33, v1
	s_and_saveexec_b64 s[0:1], vcc
	s_cbranch_execz .LBB1492_248
; %bb.247:
	v_add_co_u32_e32 v22, vcc, 0x2000, v18
	s_nop 1
	v_addc_co_u32_e32 v23, vcc, 0, v19, vcc
	s_waitcnt lgkmcnt(0)
	flat_store_dwordx2 v[22:23], v[72:73]
.LBB1492_248:
	s_or_b64 exec, exec, s[0:1]
	v_or_b32_e32 v1, 0x500, v0
	v_cmp_gt_u32_e32 vcc, s33, v1
	s_and_saveexec_b64 s[0:1], vcc
	s_cbranch_execz .LBB1492_250
; %bb.249:
	v_add_co_u32_e32 v22, vcc, 0x2000, v18
	s_nop 1
	v_addc_co_u32_e32 v23, vcc, 0, v19, vcc
	s_waitcnt lgkmcnt(0)
	flat_store_dwordx2 v[22:23], v[66:67] offset:2048
.LBB1492_250:
	;; [unrolled: 24-line block ×9, first 2 shown]
	s_or_b64 exec, exec, s[0:1]
	v_mov_b32_e32 v1, v11
	v_or_b32_e32 v11, 0x1400, v0
	v_cmp_gt_u32_e64 s[0:1], s33, v11
	s_branch .LBB1492_281
.LBB1492_279:
	s_mov_b64 s[0:1], 0
                                        ; implicit-def: $vgpr40_vgpr41
	s_cbranch_execz .LBB1492_281
; %bb.280:
	v_mul_u32_u24_e32 v1, 0xa8, v0
	s_waitcnt lgkmcnt(0)
	s_barrier
	s_movk_i32 s2, 0xa8
	ds_write2_b64 v1, v[84:85], v[6:7] offset1:1
	ds_write2_b64 v1, v[2:3], v[86:87] offset0:2 offset1:3
	ds_write2_b64 v1, v[8:9], v[88:89] offset0:4 offset1:5
	ds_write2_b64 v1, v[12:13], v[90:91] offset0:6 offset1:7
	ds_write2_b64 v1, v[16:17], v[92:93] offset0:8 offset1:9
	ds_write2_b64 v1, v[20:21], v[94:95] offset0:10 offset1:11
	ds_write2_b64 v1, v[24:25], v[96:97] offset0:12 offset1:13
	ds_write2_b64 v1, v[28:29], v[98:99] offset0:14 offset1:15
	ds_write2_b64 v1, v[32:33], v[100:101] offset0:16 offset1:17
	ds_write2_b64 v1, v[36:37], v[102:103] offset0:18 offset1:19
	ds_write_b64 v1, v[14:15] offset:160
	v_mov_b32_e32 v1, 0
	v_mul_i32_i24_e32 v2, 0xffffff60, v0
	v_mad_u32_u24 v2, v0, s2, v2
	v_mov_b32_e32 v11, v1
	s_waitcnt lgkmcnt(0)
	s_barrier
	ds_read2st64_b64 v[6:9], v2 offset1:4
	ds_read2st64_b64 v[12:15], v2 offset0:8 offset1:12
	ds_read2st64_b64 v[16:19], v2 offset0:16 offset1:20
	;; [unrolled: 1-line block ×9, first 2 shown]
	ds_read_b64 v[40:41], v2 offset:40960
	v_lshl_add_u64 v[2:3], v[4:5], 0, v[10:11]
	s_movk_i32 s2, 0x1000
	s_waitcnt lgkmcnt(0)
	flat_store_dwordx2 v[2:3], v[6:7]
	flat_store_dwordx2 v[2:3], v[8:9] offset:2048
	v_add_co_u32_e32 v6, vcc, s2, v2
	s_movk_i32 s2, 0x2000
	s_nop 0
	v_addc_co_u32_e32 v7, vcc, 0, v3, vcc
	flat_store_dwordx2 v[6:7], v[12:13]
	flat_store_dwordx2 v[6:7], v[14:15] offset:2048
	v_add_co_u32_e32 v6, vcc, s2, v2
	s_movk_i32 s2, 0x3000
	s_nop 0
	v_addc_co_u32_e32 v7, vcc, 0, v3, vcc
	;; [unrolled: 6-line block ×6, first 2 shown]
	flat_store_dwordx2 v[6:7], v[32:33]
	flat_store_dwordx2 v[6:7], v[34:35] offset:2048
	v_add_co_u32_e32 v6, vcc, s2, v2
	s_or_b64 s[0:1], s[0:1], exec
	s_nop 0
	v_addc_co_u32_e32 v7, vcc, 0, v3, vcc
	flat_store_dwordx2 v[6:7], v[36:37]
	flat_store_dwordx2 v[6:7], v[38:39] offset:2048
	v_add_co_u32_e32 v6, vcc, 0x8000, v2
	s_nop 1
	v_addc_co_u32_e32 v7, vcc, 0, v3, vcc
	v_add_co_u32_e32 v2, vcc, 0x9000, v2
	flat_store_dwordx2 v[6:7], v[42:43]
	flat_store_dwordx2 v[6:7], v[44:45] offset:2048
	v_addc_co_u32_e32 v3, vcc, 0, v3, vcc
	flat_store_dwordx2 v[2:3], v[46:47]
	flat_store_dwordx2 v[2:3], v[48:49] offset:2048
.LBB1492_281:
	s_and_saveexec_b64 s[2:3], s[0:1]
	s_cbranch_execz .LBB1492_283
; %bb.282:
	v_lshl_add_u64 v[0:1], v[0:1], 3, v[4:5]
	v_add_co_u32_e32 v0, vcc, 0xa000, v0
	s_nop 1
	v_addc_co_u32_e32 v1, vcc, 0, v1, vcc
	s_waitcnt lgkmcnt(0)
	flat_store_dwordx2 v[0:1], v[40:41]
	s_endpgm
.LBB1492_283:
	s_endpgm
	.section	.rodata,"a",@progbits
	.p2align	6, 0x0
	.amdhsa_kernel _ZN7rocprim17ROCPRIM_400000_NS6detail17trampoline_kernelINS0_14default_configENS1_27scan_by_key_config_selectorIiyEEZZNS1_16scan_by_key_implILNS1_25lookback_scan_determinismE0ELb1ES3_N6thrust23THRUST_200600_302600_NS6detail15normal_iteratorINS9_10device_ptrIiEEEENSB_INSC_IyEEEESG_yNS9_4plusIvEENS9_8equal_toIvEEyEE10hipError_tPvRmT2_T3_T4_T5_mT6_T7_P12ihipStream_tbENKUlT_T0_E_clISt17integral_constantIbLb0EES10_IbLb1EEEEDaSW_SX_EUlSW_E_NS1_11comp_targetILNS1_3genE5ELNS1_11target_archE942ELNS1_3gpuE9ELNS1_3repE0EEENS1_30default_config_static_selectorELNS0_4arch9wavefront6targetE1EEEvT1_
		.amdhsa_group_segment_fixed_size 43008
		.amdhsa_private_segment_fixed_size 0
		.amdhsa_kernarg_size 136
		.amdhsa_user_sgpr_count 2
		.amdhsa_user_sgpr_dispatch_ptr 0
		.amdhsa_user_sgpr_queue_ptr 0
		.amdhsa_user_sgpr_kernarg_segment_ptr 1
		.amdhsa_user_sgpr_dispatch_id 0
		.amdhsa_user_sgpr_kernarg_preload_length 0
		.amdhsa_user_sgpr_kernarg_preload_offset 0
		.amdhsa_user_sgpr_private_segment_size 0
		.amdhsa_uses_dynamic_stack 0
		.amdhsa_enable_private_segment 0
		.amdhsa_system_sgpr_workgroup_id_x 1
		.amdhsa_system_sgpr_workgroup_id_y 0
		.amdhsa_system_sgpr_workgroup_id_z 0
		.amdhsa_system_sgpr_workgroup_info 0
		.amdhsa_system_vgpr_workitem_id 0
		.amdhsa_next_free_vgpr 128
		.amdhsa_next_free_sgpr 73
		.amdhsa_accum_offset 128
		.amdhsa_reserve_vcc 1
		.amdhsa_float_round_mode_32 0
		.amdhsa_float_round_mode_16_64 0
		.amdhsa_float_denorm_mode_32 3
		.amdhsa_float_denorm_mode_16_64 3
		.amdhsa_dx10_clamp 1
		.amdhsa_ieee_mode 1
		.amdhsa_fp16_overflow 0
		.amdhsa_tg_split 0
		.amdhsa_exception_fp_ieee_invalid_op 0
		.amdhsa_exception_fp_denorm_src 0
		.amdhsa_exception_fp_ieee_div_zero 0
		.amdhsa_exception_fp_ieee_overflow 0
		.amdhsa_exception_fp_ieee_underflow 0
		.amdhsa_exception_fp_ieee_inexact 0
		.amdhsa_exception_int_div_zero 0
	.end_amdhsa_kernel
	.section	.text._ZN7rocprim17ROCPRIM_400000_NS6detail17trampoline_kernelINS0_14default_configENS1_27scan_by_key_config_selectorIiyEEZZNS1_16scan_by_key_implILNS1_25lookback_scan_determinismE0ELb1ES3_N6thrust23THRUST_200600_302600_NS6detail15normal_iteratorINS9_10device_ptrIiEEEENSB_INSC_IyEEEESG_yNS9_4plusIvEENS9_8equal_toIvEEyEE10hipError_tPvRmT2_T3_T4_T5_mT6_T7_P12ihipStream_tbENKUlT_T0_E_clISt17integral_constantIbLb0EES10_IbLb1EEEEDaSW_SX_EUlSW_E_NS1_11comp_targetILNS1_3genE5ELNS1_11target_archE942ELNS1_3gpuE9ELNS1_3repE0EEENS1_30default_config_static_selectorELNS0_4arch9wavefront6targetE1EEEvT1_,"axG",@progbits,_ZN7rocprim17ROCPRIM_400000_NS6detail17trampoline_kernelINS0_14default_configENS1_27scan_by_key_config_selectorIiyEEZZNS1_16scan_by_key_implILNS1_25lookback_scan_determinismE0ELb1ES3_N6thrust23THRUST_200600_302600_NS6detail15normal_iteratorINS9_10device_ptrIiEEEENSB_INSC_IyEEEESG_yNS9_4plusIvEENS9_8equal_toIvEEyEE10hipError_tPvRmT2_T3_T4_T5_mT6_T7_P12ihipStream_tbENKUlT_T0_E_clISt17integral_constantIbLb0EES10_IbLb1EEEEDaSW_SX_EUlSW_E_NS1_11comp_targetILNS1_3genE5ELNS1_11target_archE942ELNS1_3gpuE9ELNS1_3repE0EEENS1_30default_config_static_selectorELNS0_4arch9wavefront6targetE1EEEvT1_,comdat
.Lfunc_end1492:
	.size	_ZN7rocprim17ROCPRIM_400000_NS6detail17trampoline_kernelINS0_14default_configENS1_27scan_by_key_config_selectorIiyEEZZNS1_16scan_by_key_implILNS1_25lookback_scan_determinismE0ELb1ES3_N6thrust23THRUST_200600_302600_NS6detail15normal_iteratorINS9_10device_ptrIiEEEENSB_INSC_IyEEEESG_yNS9_4plusIvEENS9_8equal_toIvEEyEE10hipError_tPvRmT2_T3_T4_T5_mT6_T7_P12ihipStream_tbENKUlT_T0_E_clISt17integral_constantIbLb0EES10_IbLb1EEEEDaSW_SX_EUlSW_E_NS1_11comp_targetILNS1_3genE5ELNS1_11target_archE942ELNS1_3gpuE9ELNS1_3repE0EEENS1_30default_config_static_selectorELNS0_4arch9wavefront6targetE1EEEvT1_, .Lfunc_end1492-_ZN7rocprim17ROCPRIM_400000_NS6detail17trampoline_kernelINS0_14default_configENS1_27scan_by_key_config_selectorIiyEEZZNS1_16scan_by_key_implILNS1_25lookback_scan_determinismE0ELb1ES3_N6thrust23THRUST_200600_302600_NS6detail15normal_iteratorINS9_10device_ptrIiEEEENSB_INSC_IyEEEESG_yNS9_4plusIvEENS9_8equal_toIvEEyEE10hipError_tPvRmT2_T3_T4_T5_mT6_T7_P12ihipStream_tbENKUlT_T0_E_clISt17integral_constantIbLb0EES10_IbLb1EEEEDaSW_SX_EUlSW_E_NS1_11comp_targetILNS1_3genE5ELNS1_11target_archE942ELNS1_3gpuE9ELNS1_3repE0EEENS1_30default_config_static_selectorELNS0_4arch9wavefront6targetE1EEEvT1_
                                        ; -- End function
	.section	.AMDGPU.csdata,"",@progbits
; Kernel info:
; codeLenInByte = 17196
; NumSgprs: 79
; NumVgprs: 128
; NumAgprs: 0
; TotalNumVgprs: 128
; ScratchSize: 0
; MemoryBound: 0
; FloatMode: 240
; IeeeMode: 1
; LDSByteSize: 43008 bytes/workgroup (compile time only)
; SGPRBlocks: 9
; VGPRBlocks: 15
; NumSGPRsForWavesPerEU: 79
; NumVGPRsForWavesPerEU: 128
; AccumOffset: 128
; Occupancy: 1
; WaveLimiterHint : 1
; COMPUTE_PGM_RSRC2:SCRATCH_EN: 0
; COMPUTE_PGM_RSRC2:USER_SGPR: 2
; COMPUTE_PGM_RSRC2:TRAP_HANDLER: 0
; COMPUTE_PGM_RSRC2:TGID_X_EN: 1
; COMPUTE_PGM_RSRC2:TGID_Y_EN: 0
; COMPUTE_PGM_RSRC2:TGID_Z_EN: 0
; COMPUTE_PGM_RSRC2:TIDIG_COMP_CNT: 0
; COMPUTE_PGM_RSRC3_GFX90A:ACCUM_OFFSET: 31
; COMPUTE_PGM_RSRC3_GFX90A:TG_SPLIT: 0
	.section	.text._ZN7rocprim17ROCPRIM_400000_NS6detail17trampoline_kernelINS0_14default_configENS1_27scan_by_key_config_selectorIiyEEZZNS1_16scan_by_key_implILNS1_25lookback_scan_determinismE0ELb1ES3_N6thrust23THRUST_200600_302600_NS6detail15normal_iteratorINS9_10device_ptrIiEEEENSB_INSC_IyEEEESG_yNS9_4plusIvEENS9_8equal_toIvEEyEE10hipError_tPvRmT2_T3_T4_T5_mT6_T7_P12ihipStream_tbENKUlT_T0_E_clISt17integral_constantIbLb0EES10_IbLb1EEEEDaSW_SX_EUlSW_E_NS1_11comp_targetILNS1_3genE4ELNS1_11target_archE910ELNS1_3gpuE8ELNS1_3repE0EEENS1_30default_config_static_selectorELNS0_4arch9wavefront6targetE1EEEvT1_,"axG",@progbits,_ZN7rocprim17ROCPRIM_400000_NS6detail17trampoline_kernelINS0_14default_configENS1_27scan_by_key_config_selectorIiyEEZZNS1_16scan_by_key_implILNS1_25lookback_scan_determinismE0ELb1ES3_N6thrust23THRUST_200600_302600_NS6detail15normal_iteratorINS9_10device_ptrIiEEEENSB_INSC_IyEEEESG_yNS9_4plusIvEENS9_8equal_toIvEEyEE10hipError_tPvRmT2_T3_T4_T5_mT6_T7_P12ihipStream_tbENKUlT_T0_E_clISt17integral_constantIbLb0EES10_IbLb1EEEEDaSW_SX_EUlSW_E_NS1_11comp_targetILNS1_3genE4ELNS1_11target_archE910ELNS1_3gpuE8ELNS1_3repE0EEENS1_30default_config_static_selectorELNS0_4arch9wavefront6targetE1EEEvT1_,comdat
	.protected	_ZN7rocprim17ROCPRIM_400000_NS6detail17trampoline_kernelINS0_14default_configENS1_27scan_by_key_config_selectorIiyEEZZNS1_16scan_by_key_implILNS1_25lookback_scan_determinismE0ELb1ES3_N6thrust23THRUST_200600_302600_NS6detail15normal_iteratorINS9_10device_ptrIiEEEENSB_INSC_IyEEEESG_yNS9_4plusIvEENS9_8equal_toIvEEyEE10hipError_tPvRmT2_T3_T4_T5_mT6_T7_P12ihipStream_tbENKUlT_T0_E_clISt17integral_constantIbLb0EES10_IbLb1EEEEDaSW_SX_EUlSW_E_NS1_11comp_targetILNS1_3genE4ELNS1_11target_archE910ELNS1_3gpuE8ELNS1_3repE0EEENS1_30default_config_static_selectorELNS0_4arch9wavefront6targetE1EEEvT1_ ; -- Begin function _ZN7rocprim17ROCPRIM_400000_NS6detail17trampoline_kernelINS0_14default_configENS1_27scan_by_key_config_selectorIiyEEZZNS1_16scan_by_key_implILNS1_25lookback_scan_determinismE0ELb1ES3_N6thrust23THRUST_200600_302600_NS6detail15normal_iteratorINS9_10device_ptrIiEEEENSB_INSC_IyEEEESG_yNS9_4plusIvEENS9_8equal_toIvEEyEE10hipError_tPvRmT2_T3_T4_T5_mT6_T7_P12ihipStream_tbENKUlT_T0_E_clISt17integral_constantIbLb0EES10_IbLb1EEEEDaSW_SX_EUlSW_E_NS1_11comp_targetILNS1_3genE4ELNS1_11target_archE910ELNS1_3gpuE8ELNS1_3repE0EEENS1_30default_config_static_selectorELNS0_4arch9wavefront6targetE1EEEvT1_
	.globl	_ZN7rocprim17ROCPRIM_400000_NS6detail17trampoline_kernelINS0_14default_configENS1_27scan_by_key_config_selectorIiyEEZZNS1_16scan_by_key_implILNS1_25lookback_scan_determinismE0ELb1ES3_N6thrust23THRUST_200600_302600_NS6detail15normal_iteratorINS9_10device_ptrIiEEEENSB_INSC_IyEEEESG_yNS9_4plusIvEENS9_8equal_toIvEEyEE10hipError_tPvRmT2_T3_T4_T5_mT6_T7_P12ihipStream_tbENKUlT_T0_E_clISt17integral_constantIbLb0EES10_IbLb1EEEEDaSW_SX_EUlSW_E_NS1_11comp_targetILNS1_3genE4ELNS1_11target_archE910ELNS1_3gpuE8ELNS1_3repE0EEENS1_30default_config_static_selectorELNS0_4arch9wavefront6targetE1EEEvT1_
	.p2align	8
	.type	_ZN7rocprim17ROCPRIM_400000_NS6detail17trampoline_kernelINS0_14default_configENS1_27scan_by_key_config_selectorIiyEEZZNS1_16scan_by_key_implILNS1_25lookback_scan_determinismE0ELb1ES3_N6thrust23THRUST_200600_302600_NS6detail15normal_iteratorINS9_10device_ptrIiEEEENSB_INSC_IyEEEESG_yNS9_4plusIvEENS9_8equal_toIvEEyEE10hipError_tPvRmT2_T3_T4_T5_mT6_T7_P12ihipStream_tbENKUlT_T0_E_clISt17integral_constantIbLb0EES10_IbLb1EEEEDaSW_SX_EUlSW_E_NS1_11comp_targetILNS1_3genE4ELNS1_11target_archE910ELNS1_3gpuE8ELNS1_3repE0EEENS1_30default_config_static_selectorELNS0_4arch9wavefront6targetE1EEEvT1_,@function
_ZN7rocprim17ROCPRIM_400000_NS6detail17trampoline_kernelINS0_14default_configENS1_27scan_by_key_config_selectorIiyEEZZNS1_16scan_by_key_implILNS1_25lookback_scan_determinismE0ELb1ES3_N6thrust23THRUST_200600_302600_NS6detail15normal_iteratorINS9_10device_ptrIiEEEENSB_INSC_IyEEEESG_yNS9_4plusIvEENS9_8equal_toIvEEyEE10hipError_tPvRmT2_T3_T4_T5_mT6_T7_P12ihipStream_tbENKUlT_T0_E_clISt17integral_constantIbLb0EES10_IbLb1EEEEDaSW_SX_EUlSW_E_NS1_11comp_targetILNS1_3genE4ELNS1_11target_archE910ELNS1_3gpuE8ELNS1_3repE0EEENS1_30default_config_static_selectorELNS0_4arch9wavefront6targetE1EEEvT1_: ; @_ZN7rocprim17ROCPRIM_400000_NS6detail17trampoline_kernelINS0_14default_configENS1_27scan_by_key_config_selectorIiyEEZZNS1_16scan_by_key_implILNS1_25lookback_scan_determinismE0ELb1ES3_N6thrust23THRUST_200600_302600_NS6detail15normal_iteratorINS9_10device_ptrIiEEEENSB_INSC_IyEEEESG_yNS9_4plusIvEENS9_8equal_toIvEEyEE10hipError_tPvRmT2_T3_T4_T5_mT6_T7_P12ihipStream_tbENKUlT_T0_E_clISt17integral_constantIbLb0EES10_IbLb1EEEEDaSW_SX_EUlSW_E_NS1_11comp_targetILNS1_3genE4ELNS1_11target_archE910ELNS1_3gpuE8ELNS1_3repE0EEENS1_30default_config_static_selectorELNS0_4arch9wavefront6targetE1EEEvT1_
; %bb.0:
	.section	.rodata,"a",@progbits
	.p2align	6, 0x0
	.amdhsa_kernel _ZN7rocprim17ROCPRIM_400000_NS6detail17trampoline_kernelINS0_14default_configENS1_27scan_by_key_config_selectorIiyEEZZNS1_16scan_by_key_implILNS1_25lookback_scan_determinismE0ELb1ES3_N6thrust23THRUST_200600_302600_NS6detail15normal_iteratorINS9_10device_ptrIiEEEENSB_INSC_IyEEEESG_yNS9_4plusIvEENS9_8equal_toIvEEyEE10hipError_tPvRmT2_T3_T4_T5_mT6_T7_P12ihipStream_tbENKUlT_T0_E_clISt17integral_constantIbLb0EES10_IbLb1EEEEDaSW_SX_EUlSW_E_NS1_11comp_targetILNS1_3genE4ELNS1_11target_archE910ELNS1_3gpuE8ELNS1_3repE0EEENS1_30default_config_static_selectorELNS0_4arch9wavefront6targetE1EEEvT1_
		.amdhsa_group_segment_fixed_size 0
		.amdhsa_private_segment_fixed_size 0
		.amdhsa_kernarg_size 136
		.amdhsa_user_sgpr_count 2
		.amdhsa_user_sgpr_dispatch_ptr 0
		.amdhsa_user_sgpr_queue_ptr 0
		.amdhsa_user_sgpr_kernarg_segment_ptr 1
		.amdhsa_user_sgpr_dispatch_id 0
		.amdhsa_user_sgpr_kernarg_preload_length 0
		.amdhsa_user_sgpr_kernarg_preload_offset 0
		.amdhsa_user_sgpr_private_segment_size 0
		.amdhsa_uses_dynamic_stack 0
		.amdhsa_enable_private_segment 0
		.amdhsa_system_sgpr_workgroup_id_x 1
		.amdhsa_system_sgpr_workgroup_id_y 0
		.amdhsa_system_sgpr_workgroup_id_z 0
		.amdhsa_system_sgpr_workgroup_info 0
		.amdhsa_system_vgpr_workitem_id 0
		.amdhsa_next_free_vgpr 1
		.amdhsa_next_free_sgpr 0
		.amdhsa_accum_offset 4
		.amdhsa_reserve_vcc 0
		.amdhsa_float_round_mode_32 0
		.amdhsa_float_round_mode_16_64 0
		.amdhsa_float_denorm_mode_32 3
		.amdhsa_float_denorm_mode_16_64 3
		.amdhsa_dx10_clamp 1
		.amdhsa_ieee_mode 1
		.amdhsa_fp16_overflow 0
		.amdhsa_tg_split 0
		.amdhsa_exception_fp_ieee_invalid_op 0
		.amdhsa_exception_fp_denorm_src 0
		.amdhsa_exception_fp_ieee_div_zero 0
		.amdhsa_exception_fp_ieee_overflow 0
		.amdhsa_exception_fp_ieee_underflow 0
		.amdhsa_exception_fp_ieee_inexact 0
		.amdhsa_exception_int_div_zero 0
	.end_amdhsa_kernel
	.section	.text._ZN7rocprim17ROCPRIM_400000_NS6detail17trampoline_kernelINS0_14default_configENS1_27scan_by_key_config_selectorIiyEEZZNS1_16scan_by_key_implILNS1_25lookback_scan_determinismE0ELb1ES3_N6thrust23THRUST_200600_302600_NS6detail15normal_iteratorINS9_10device_ptrIiEEEENSB_INSC_IyEEEESG_yNS9_4plusIvEENS9_8equal_toIvEEyEE10hipError_tPvRmT2_T3_T4_T5_mT6_T7_P12ihipStream_tbENKUlT_T0_E_clISt17integral_constantIbLb0EES10_IbLb1EEEEDaSW_SX_EUlSW_E_NS1_11comp_targetILNS1_3genE4ELNS1_11target_archE910ELNS1_3gpuE8ELNS1_3repE0EEENS1_30default_config_static_selectorELNS0_4arch9wavefront6targetE1EEEvT1_,"axG",@progbits,_ZN7rocprim17ROCPRIM_400000_NS6detail17trampoline_kernelINS0_14default_configENS1_27scan_by_key_config_selectorIiyEEZZNS1_16scan_by_key_implILNS1_25lookback_scan_determinismE0ELb1ES3_N6thrust23THRUST_200600_302600_NS6detail15normal_iteratorINS9_10device_ptrIiEEEENSB_INSC_IyEEEESG_yNS9_4plusIvEENS9_8equal_toIvEEyEE10hipError_tPvRmT2_T3_T4_T5_mT6_T7_P12ihipStream_tbENKUlT_T0_E_clISt17integral_constantIbLb0EES10_IbLb1EEEEDaSW_SX_EUlSW_E_NS1_11comp_targetILNS1_3genE4ELNS1_11target_archE910ELNS1_3gpuE8ELNS1_3repE0EEENS1_30default_config_static_selectorELNS0_4arch9wavefront6targetE1EEEvT1_,comdat
.Lfunc_end1493:
	.size	_ZN7rocprim17ROCPRIM_400000_NS6detail17trampoline_kernelINS0_14default_configENS1_27scan_by_key_config_selectorIiyEEZZNS1_16scan_by_key_implILNS1_25lookback_scan_determinismE0ELb1ES3_N6thrust23THRUST_200600_302600_NS6detail15normal_iteratorINS9_10device_ptrIiEEEENSB_INSC_IyEEEESG_yNS9_4plusIvEENS9_8equal_toIvEEyEE10hipError_tPvRmT2_T3_T4_T5_mT6_T7_P12ihipStream_tbENKUlT_T0_E_clISt17integral_constantIbLb0EES10_IbLb1EEEEDaSW_SX_EUlSW_E_NS1_11comp_targetILNS1_3genE4ELNS1_11target_archE910ELNS1_3gpuE8ELNS1_3repE0EEENS1_30default_config_static_selectorELNS0_4arch9wavefront6targetE1EEEvT1_, .Lfunc_end1493-_ZN7rocprim17ROCPRIM_400000_NS6detail17trampoline_kernelINS0_14default_configENS1_27scan_by_key_config_selectorIiyEEZZNS1_16scan_by_key_implILNS1_25lookback_scan_determinismE0ELb1ES3_N6thrust23THRUST_200600_302600_NS6detail15normal_iteratorINS9_10device_ptrIiEEEENSB_INSC_IyEEEESG_yNS9_4plusIvEENS9_8equal_toIvEEyEE10hipError_tPvRmT2_T3_T4_T5_mT6_T7_P12ihipStream_tbENKUlT_T0_E_clISt17integral_constantIbLb0EES10_IbLb1EEEEDaSW_SX_EUlSW_E_NS1_11comp_targetILNS1_3genE4ELNS1_11target_archE910ELNS1_3gpuE8ELNS1_3repE0EEENS1_30default_config_static_selectorELNS0_4arch9wavefront6targetE1EEEvT1_
                                        ; -- End function
	.section	.AMDGPU.csdata,"",@progbits
; Kernel info:
; codeLenInByte = 0
; NumSgprs: 6
; NumVgprs: 0
; NumAgprs: 0
; TotalNumVgprs: 0
; ScratchSize: 0
; MemoryBound: 0
; FloatMode: 240
; IeeeMode: 1
; LDSByteSize: 0 bytes/workgroup (compile time only)
; SGPRBlocks: 0
; VGPRBlocks: 0
; NumSGPRsForWavesPerEU: 6
; NumVGPRsForWavesPerEU: 1
; AccumOffset: 4
; Occupancy: 8
; WaveLimiterHint : 0
; COMPUTE_PGM_RSRC2:SCRATCH_EN: 0
; COMPUTE_PGM_RSRC2:USER_SGPR: 2
; COMPUTE_PGM_RSRC2:TRAP_HANDLER: 0
; COMPUTE_PGM_RSRC2:TGID_X_EN: 1
; COMPUTE_PGM_RSRC2:TGID_Y_EN: 0
; COMPUTE_PGM_RSRC2:TGID_Z_EN: 0
; COMPUTE_PGM_RSRC2:TIDIG_COMP_CNT: 0
; COMPUTE_PGM_RSRC3_GFX90A:ACCUM_OFFSET: 0
; COMPUTE_PGM_RSRC3_GFX90A:TG_SPLIT: 0
	.section	.text._ZN7rocprim17ROCPRIM_400000_NS6detail17trampoline_kernelINS0_14default_configENS1_27scan_by_key_config_selectorIiyEEZZNS1_16scan_by_key_implILNS1_25lookback_scan_determinismE0ELb1ES3_N6thrust23THRUST_200600_302600_NS6detail15normal_iteratorINS9_10device_ptrIiEEEENSB_INSC_IyEEEESG_yNS9_4plusIvEENS9_8equal_toIvEEyEE10hipError_tPvRmT2_T3_T4_T5_mT6_T7_P12ihipStream_tbENKUlT_T0_E_clISt17integral_constantIbLb0EES10_IbLb1EEEEDaSW_SX_EUlSW_E_NS1_11comp_targetILNS1_3genE3ELNS1_11target_archE908ELNS1_3gpuE7ELNS1_3repE0EEENS1_30default_config_static_selectorELNS0_4arch9wavefront6targetE1EEEvT1_,"axG",@progbits,_ZN7rocprim17ROCPRIM_400000_NS6detail17trampoline_kernelINS0_14default_configENS1_27scan_by_key_config_selectorIiyEEZZNS1_16scan_by_key_implILNS1_25lookback_scan_determinismE0ELb1ES3_N6thrust23THRUST_200600_302600_NS6detail15normal_iteratorINS9_10device_ptrIiEEEENSB_INSC_IyEEEESG_yNS9_4plusIvEENS9_8equal_toIvEEyEE10hipError_tPvRmT2_T3_T4_T5_mT6_T7_P12ihipStream_tbENKUlT_T0_E_clISt17integral_constantIbLb0EES10_IbLb1EEEEDaSW_SX_EUlSW_E_NS1_11comp_targetILNS1_3genE3ELNS1_11target_archE908ELNS1_3gpuE7ELNS1_3repE0EEENS1_30default_config_static_selectorELNS0_4arch9wavefront6targetE1EEEvT1_,comdat
	.protected	_ZN7rocprim17ROCPRIM_400000_NS6detail17trampoline_kernelINS0_14default_configENS1_27scan_by_key_config_selectorIiyEEZZNS1_16scan_by_key_implILNS1_25lookback_scan_determinismE0ELb1ES3_N6thrust23THRUST_200600_302600_NS6detail15normal_iteratorINS9_10device_ptrIiEEEENSB_INSC_IyEEEESG_yNS9_4plusIvEENS9_8equal_toIvEEyEE10hipError_tPvRmT2_T3_T4_T5_mT6_T7_P12ihipStream_tbENKUlT_T0_E_clISt17integral_constantIbLb0EES10_IbLb1EEEEDaSW_SX_EUlSW_E_NS1_11comp_targetILNS1_3genE3ELNS1_11target_archE908ELNS1_3gpuE7ELNS1_3repE0EEENS1_30default_config_static_selectorELNS0_4arch9wavefront6targetE1EEEvT1_ ; -- Begin function _ZN7rocprim17ROCPRIM_400000_NS6detail17trampoline_kernelINS0_14default_configENS1_27scan_by_key_config_selectorIiyEEZZNS1_16scan_by_key_implILNS1_25lookback_scan_determinismE0ELb1ES3_N6thrust23THRUST_200600_302600_NS6detail15normal_iteratorINS9_10device_ptrIiEEEENSB_INSC_IyEEEESG_yNS9_4plusIvEENS9_8equal_toIvEEyEE10hipError_tPvRmT2_T3_T4_T5_mT6_T7_P12ihipStream_tbENKUlT_T0_E_clISt17integral_constantIbLb0EES10_IbLb1EEEEDaSW_SX_EUlSW_E_NS1_11comp_targetILNS1_3genE3ELNS1_11target_archE908ELNS1_3gpuE7ELNS1_3repE0EEENS1_30default_config_static_selectorELNS0_4arch9wavefront6targetE1EEEvT1_
	.globl	_ZN7rocprim17ROCPRIM_400000_NS6detail17trampoline_kernelINS0_14default_configENS1_27scan_by_key_config_selectorIiyEEZZNS1_16scan_by_key_implILNS1_25lookback_scan_determinismE0ELb1ES3_N6thrust23THRUST_200600_302600_NS6detail15normal_iteratorINS9_10device_ptrIiEEEENSB_INSC_IyEEEESG_yNS9_4plusIvEENS9_8equal_toIvEEyEE10hipError_tPvRmT2_T3_T4_T5_mT6_T7_P12ihipStream_tbENKUlT_T0_E_clISt17integral_constantIbLb0EES10_IbLb1EEEEDaSW_SX_EUlSW_E_NS1_11comp_targetILNS1_3genE3ELNS1_11target_archE908ELNS1_3gpuE7ELNS1_3repE0EEENS1_30default_config_static_selectorELNS0_4arch9wavefront6targetE1EEEvT1_
	.p2align	8
	.type	_ZN7rocprim17ROCPRIM_400000_NS6detail17trampoline_kernelINS0_14default_configENS1_27scan_by_key_config_selectorIiyEEZZNS1_16scan_by_key_implILNS1_25lookback_scan_determinismE0ELb1ES3_N6thrust23THRUST_200600_302600_NS6detail15normal_iteratorINS9_10device_ptrIiEEEENSB_INSC_IyEEEESG_yNS9_4plusIvEENS9_8equal_toIvEEyEE10hipError_tPvRmT2_T3_T4_T5_mT6_T7_P12ihipStream_tbENKUlT_T0_E_clISt17integral_constantIbLb0EES10_IbLb1EEEEDaSW_SX_EUlSW_E_NS1_11comp_targetILNS1_3genE3ELNS1_11target_archE908ELNS1_3gpuE7ELNS1_3repE0EEENS1_30default_config_static_selectorELNS0_4arch9wavefront6targetE1EEEvT1_,@function
_ZN7rocprim17ROCPRIM_400000_NS6detail17trampoline_kernelINS0_14default_configENS1_27scan_by_key_config_selectorIiyEEZZNS1_16scan_by_key_implILNS1_25lookback_scan_determinismE0ELb1ES3_N6thrust23THRUST_200600_302600_NS6detail15normal_iteratorINS9_10device_ptrIiEEEENSB_INSC_IyEEEESG_yNS9_4plusIvEENS9_8equal_toIvEEyEE10hipError_tPvRmT2_T3_T4_T5_mT6_T7_P12ihipStream_tbENKUlT_T0_E_clISt17integral_constantIbLb0EES10_IbLb1EEEEDaSW_SX_EUlSW_E_NS1_11comp_targetILNS1_3genE3ELNS1_11target_archE908ELNS1_3gpuE7ELNS1_3repE0EEENS1_30default_config_static_selectorELNS0_4arch9wavefront6targetE1EEEvT1_: ; @_ZN7rocprim17ROCPRIM_400000_NS6detail17trampoline_kernelINS0_14default_configENS1_27scan_by_key_config_selectorIiyEEZZNS1_16scan_by_key_implILNS1_25lookback_scan_determinismE0ELb1ES3_N6thrust23THRUST_200600_302600_NS6detail15normal_iteratorINS9_10device_ptrIiEEEENSB_INSC_IyEEEESG_yNS9_4plusIvEENS9_8equal_toIvEEyEE10hipError_tPvRmT2_T3_T4_T5_mT6_T7_P12ihipStream_tbENKUlT_T0_E_clISt17integral_constantIbLb0EES10_IbLb1EEEEDaSW_SX_EUlSW_E_NS1_11comp_targetILNS1_3genE3ELNS1_11target_archE908ELNS1_3gpuE7ELNS1_3repE0EEENS1_30default_config_static_selectorELNS0_4arch9wavefront6targetE1EEEvT1_
; %bb.0:
	.section	.rodata,"a",@progbits
	.p2align	6, 0x0
	.amdhsa_kernel _ZN7rocprim17ROCPRIM_400000_NS6detail17trampoline_kernelINS0_14default_configENS1_27scan_by_key_config_selectorIiyEEZZNS1_16scan_by_key_implILNS1_25lookback_scan_determinismE0ELb1ES3_N6thrust23THRUST_200600_302600_NS6detail15normal_iteratorINS9_10device_ptrIiEEEENSB_INSC_IyEEEESG_yNS9_4plusIvEENS9_8equal_toIvEEyEE10hipError_tPvRmT2_T3_T4_T5_mT6_T7_P12ihipStream_tbENKUlT_T0_E_clISt17integral_constantIbLb0EES10_IbLb1EEEEDaSW_SX_EUlSW_E_NS1_11comp_targetILNS1_3genE3ELNS1_11target_archE908ELNS1_3gpuE7ELNS1_3repE0EEENS1_30default_config_static_selectorELNS0_4arch9wavefront6targetE1EEEvT1_
		.amdhsa_group_segment_fixed_size 0
		.amdhsa_private_segment_fixed_size 0
		.amdhsa_kernarg_size 136
		.amdhsa_user_sgpr_count 2
		.amdhsa_user_sgpr_dispatch_ptr 0
		.amdhsa_user_sgpr_queue_ptr 0
		.amdhsa_user_sgpr_kernarg_segment_ptr 1
		.amdhsa_user_sgpr_dispatch_id 0
		.amdhsa_user_sgpr_kernarg_preload_length 0
		.amdhsa_user_sgpr_kernarg_preload_offset 0
		.amdhsa_user_sgpr_private_segment_size 0
		.amdhsa_uses_dynamic_stack 0
		.amdhsa_enable_private_segment 0
		.amdhsa_system_sgpr_workgroup_id_x 1
		.amdhsa_system_sgpr_workgroup_id_y 0
		.amdhsa_system_sgpr_workgroup_id_z 0
		.amdhsa_system_sgpr_workgroup_info 0
		.amdhsa_system_vgpr_workitem_id 0
		.amdhsa_next_free_vgpr 1
		.amdhsa_next_free_sgpr 0
		.amdhsa_accum_offset 4
		.amdhsa_reserve_vcc 0
		.amdhsa_float_round_mode_32 0
		.amdhsa_float_round_mode_16_64 0
		.amdhsa_float_denorm_mode_32 3
		.amdhsa_float_denorm_mode_16_64 3
		.amdhsa_dx10_clamp 1
		.amdhsa_ieee_mode 1
		.amdhsa_fp16_overflow 0
		.amdhsa_tg_split 0
		.amdhsa_exception_fp_ieee_invalid_op 0
		.amdhsa_exception_fp_denorm_src 0
		.amdhsa_exception_fp_ieee_div_zero 0
		.amdhsa_exception_fp_ieee_overflow 0
		.amdhsa_exception_fp_ieee_underflow 0
		.amdhsa_exception_fp_ieee_inexact 0
		.amdhsa_exception_int_div_zero 0
	.end_amdhsa_kernel
	.section	.text._ZN7rocprim17ROCPRIM_400000_NS6detail17trampoline_kernelINS0_14default_configENS1_27scan_by_key_config_selectorIiyEEZZNS1_16scan_by_key_implILNS1_25lookback_scan_determinismE0ELb1ES3_N6thrust23THRUST_200600_302600_NS6detail15normal_iteratorINS9_10device_ptrIiEEEENSB_INSC_IyEEEESG_yNS9_4plusIvEENS9_8equal_toIvEEyEE10hipError_tPvRmT2_T3_T4_T5_mT6_T7_P12ihipStream_tbENKUlT_T0_E_clISt17integral_constantIbLb0EES10_IbLb1EEEEDaSW_SX_EUlSW_E_NS1_11comp_targetILNS1_3genE3ELNS1_11target_archE908ELNS1_3gpuE7ELNS1_3repE0EEENS1_30default_config_static_selectorELNS0_4arch9wavefront6targetE1EEEvT1_,"axG",@progbits,_ZN7rocprim17ROCPRIM_400000_NS6detail17trampoline_kernelINS0_14default_configENS1_27scan_by_key_config_selectorIiyEEZZNS1_16scan_by_key_implILNS1_25lookback_scan_determinismE0ELb1ES3_N6thrust23THRUST_200600_302600_NS6detail15normal_iteratorINS9_10device_ptrIiEEEENSB_INSC_IyEEEESG_yNS9_4plusIvEENS9_8equal_toIvEEyEE10hipError_tPvRmT2_T3_T4_T5_mT6_T7_P12ihipStream_tbENKUlT_T0_E_clISt17integral_constantIbLb0EES10_IbLb1EEEEDaSW_SX_EUlSW_E_NS1_11comp_targetILNS1_3genE3ELNS1_11target_archE908ELNS1_3gpuE7ELNS1_3repE0EEENS1_30default_config_static_selectorELNS0_4arch9wavefront6targetE1EEEvT1_,comdat
.Lfunc_end1494:
	.size	_ZN7rocprim17ROCPRIM_400000_NS6detail17trampoline_kernelINS0_14default_configENS1_27scan_by_key_config_selectorIiyEEZZNS1_16scan_by_key_implILNS1_25lookback_scan_determinismE0ELb1ES3_N6thrust23THRUST_200600_302600_NS6detail15normal_iteratorINS9_10device_ptrIiEEEENSB_INSC_IyEEEESG_yNS9_4plusIvEENS9_8equal_toIvEEyEE10hipError_tPvRmT2_T3_T4_T5_mT6_T7_P12ihipStream_tbENKUlT_T0_E_clISt17integral_constantIbLb0EES10_IbLb1EEEEDaSW_SX_EUlSW_E_NS1_11comp_targetILNS1_3genE3ELNS1_11target_archE908ELNS1_3gpuE7ELNS1_3repE0EEENS1_30default_config_static_selectorELNS0_4arch9wavefront6targetE1EEEvT1_, .Lfunc_end1494-_ZN7rocprim17ROCPRIM_400000_NS6detail17trampoline_kernelINS0_14default_configENS1_27scan_by_key_config_selectorIiyEEZZNS1_16scan_by_key_implILNS1_25lookback_scan_determinismE0ELb1ES3_N6thrust23THRUST_200600_302600_NS6detail15normal_iteratorINS9_10device_ptrIiEEEENSB_INSC_IyEEEESG_yNS9_4plusIvEENS9_8equal_toIvEEyEE10hipError_tPvRmT2_T3_T4_T5_mT6_T7_P12ihipStream_tbENKUlT_T0_E_clISt17integral_constantIbLb0EES10_IbLb1EEEEDaSW_SX_EUlSW_E_NS1_11comp_targetILNS1_3genE3ELNS1_11target_archE908ELNS1_3gpuE7ELNS1_3repE0EEENS1_30default_config_static_selectorELNS0_4arch9wavefront6targetE1EEEvT1_
                                        ; -- End function
	.section	.AMDGPU.csdata,"",@progbits
; Kernel info:
; codeLenInByte = 0
; NumSgprs: 6
; NumVgprs: 0
; NumAgprs: 0
; TotalNumVgprs: 0
; ScratchSize: 0
; MemoryBound: 0
; FloatMode: 240
; IeeeMode: 1
; LDSByteSize: 0 bytes/workgroup (compile time only)
; SGPRBlocks: 0
; VGPRBlocks: 0
; NumSGPRsForWavesPerEU: 6
; NumVGPRsForWavesPerEU: 1
; AccumOffset: 4
; Occupancy: 8
; WaveLimiterHint : 0
; COMPUTE_PGM_RSRC2:SCRATCH_EN: 0
; COMPUTE_PGM_RSRC2:USER_SGPR: 2
; COMPUTE_PGM_RSRC2:TRAP_HANDLER: 0
; COMPUTE_PGM_RSRC2:TGID_X_EN: 1
; COMPUTE_PGM_RSRC2:TGID_Y_EN: 0
; COMPUTE_PGM_RSRC2:TGID_Z_EN: 0
; COMPUTE_PGM_RSRC2:TIDIG_COMP_CNT: 0
; COMPUTE_PGM_RSRC3_GFX90A:ACCUM_OFFSET: 0
; COMPUTE_PGM_RSRC3_GFX90A:TG_SPLIT: 0
	.section	.text._ZN7rocprim17ROCPRIM_400000_NS6detail17trampoline_kernelINS0_14default_configENS1_27scan_by_key_config_selectorIiyEEZZNS1_16scan_by_key_implILNS1_25lookback_scan_determinismE0ELb1ES3_N6thrust23THRUST_200600_302600_NS6detail15normal_iteratorINS9_10device_ptrIiEEEENSB_INSC_IyEEEESG_yNS9_4plusIvEENS9_8equal_toIvEEyEE10hipError_tPvRmT2_T3_T4_T5_mT6_T7_P12ihipStream_tbENKUlT_T0_E_clISt17integral_constantIbLb0EES10_IbLb1EEEEDaSW_SX_EUlSW_E_NS1_11comp_targetILNS1_3genE2ELNS1_11target_archE906ELNS1_3gpuE6ELNS1_3repE0EEENS1_30default_config_static_selectorELNS0_4arch9wavefront6targetE1EEEvT1_,"axG",@progbits,_ZN7rocprim17ROCPRIM_400000_NS6detail17trampoline_kernelINS0_14default_configENS1_27scan_by_key_config_selectorIiyEEZZNS1_16scan_by_key_implILNS1_25lookback_scan_determinismE0ELb1ES3_N6thrust23THRUST_200600_302600_NS6detail15normal_iteratorINS9_10device_ptrIiEEEENSB_INSC_IyEEEESG_yNS9_4plusIvEENS9_8equal_toIvEEyEE10hipError_tPvRmT2_T3_T4_T5_mT6_T7_P12ihipStream_tbENKUlT_T0_E_clISt17integral_constantIbLb0EES10_IbLb1EEEEDaSW_SX_EUlSW_E_NS1_11comp_targetILNS1_3genE2ELNS1_11target_archE906ELNS1_3gpuE6ELNS1_3repE0EEENS1_30default_config_static_selectorELNS0_4arch9wavefront6targetE1EEEvT1_,comdat
	.protected	_ZN7rocprim17ROCPRIM_400000_NS6detail17trampoline_kernelINS0_14default_configENS1_27scan_by_key_config_selectorIiyEEZZNS1_16scan_by_key_implILNS1_25lookback_scan_determinismE0ELb1ES3_N6thrust23THRUST_200600_302600_NS6detail15normal_iteratorINS9_10device_ptrIiEEEENSB_INSC_IyEEEESG_yNS9_4plusIvEENS9_8equal_toIvEEyEE10hipError_tPvRmT2_T3_T4_T5_mT6_T7_P12ihipStream_tbENKUlT_T0_E_clISt17integral_constantIbLb0EES10_IbLb1EEEEDaSW_SX_EUlSW_E_NS1_11comp_targetILNS1_3genE2ELNS1_11target_archE906ELNS1_3gpuE6ELNS1_3repE0EEENS1_30default_config_static_selectorELNS0_4arch9wavefront6targetE1EEEvT1_ ; -- Begin function _ZN7rocprim17ROCPRIM_400000_NS6detail17trampoline_kernelINS0_14default_configENS1_27scan_by_key_config_selectorIiyEEZZNS1_16scan_by_key_implILNS1_25lookback_scan_determinismE0ELb1ES3_N6thrust23THRUST_200600_302600_NS6detail15normal_iteratorINS9_10device_ptrIiEEEENSB_INSC_IyEEEESG_yNS9_4plusIvEENS9_8equal_toIvEEyEE10hipError_tPvRmT2_T3_T4_T5_mT6_T7_P12ihipStream_tbENKUlT_T0_E_clISt17integral_constantIbLb0EES10_IbLb1EEEEDaSW_SX_EUlSW_E_NS1_11comp_targetILNS1_3genE2ELNS1_11target_archE906ELNS1_3gpuE6ELNS1_3repE0EEENS1_30default_config_static_selectorELNS0_4arch9wavefront6targetE1EEEvT1_
	.globl	_ZN7rocprim17ROCPRIM_400000_NS6detail17trampoline_kernelINS0_14default_configENS1_27scan_by_key_config_selectorIiyEEZZNS1_16scan_by_key_implILNS1_25lookback_scan_determinismE0ELb1ES3_N6thrust23THRUST_200600_302600_NS6detail15normal_iteratorINS9_10device_ptrIiEEEENSB_INSC_IyEEEESG_yNS9_4plusIvEENS9_8equal_toIvEEyEE10hipError_tPvRmT2_T3_T4_T5_mT6_T7_P12ihipStream_tbENKUlT_T0_E_clISt17integral_constantIbLb0EES10_IbLb1EEEEDaSW_SX_EUlSW_E_NS1_11comp_targetILNS1_3genE2ELNS1_11target_archE906ELNS1_3gpuE6ELNS1_3repE0EEENS1_30default_config_static_selectorELNS0_4arch9wavefront6targetE1EEEvT1_
	.p2align	8
	.type	_ZN7rocprim17ROCPRIM_400000_NS6detail17trampoline_kernelINS0_14default_configENS1_27scan_by_key_config_selectorIiyEEZZNS1_16scan_by_key_implILNS1_25lookback_scan_determinismE0ELb1ES3_N6thrust23THRUST_200600_302600_NS6detail15normal_iteratorINS9_10device_ptrIiEEEENSB_INSC_IyEEEESG_yNS9_4plusIvEENS9_8equal_toIvEEyEE10hipError_tPvRmT2_T3_T4_T5_mT6_T7_P12ihipStream_tbENKUlT_T0_E_clISt17integral_constantIbLb0EES10_IbLb1EEEEDaSW_SX_EUlSW_E_NS1_11comp_targetILNS1_3genE2ELNS1_11target_archE906ELNS1_3gpuE6ELNS1_3repE0EEENS1_30default_config_static_selectorELNS0_4arch9wavefront6targetE1EEEvT1_,@function
_ZN7rocprim17ROCPRIM_400000_NS6detail17trampoline_kernelINS0_14default_configENS1_27scan_by_key_config_selectorIiyEEZZNS1_16scan_by_key_implILNS1_25lookback_scan_determinismE0ELb1ES3_N6thrust23THRUST_200600_302600_NS6detail15normal_iteratorINS9_10device_ptrIiEEEENSB_INSC_IyEEEESG_yNS9_4plusIvEENS9_8equal_toIvEEyEE10hipError_tPvRmT2_T3_T4_T5_mT6_T7_P12ihipStream_tbENKUlT_T0_E_clISt17integral_constantIbLb0EES10_IbLb1EEEEDaSW_SX_EUlSW_E_NS1_11comp_targetILNS1_3genE2ELNS1_11target_archE906ELNS1_3gpuE6ELNS1_3repE0EEENS1_30default_config_static_selectorELNS0_4arch9wavefront6targetE1EEEvT1_: ; @_ZN7rocprim17ROCPRIM_400000_NS6detail17trampoline_kernelINS0_14default_configENS1_27scan_by_key_config_selectorIiyEEZZNS1_16scan_by_key_implILNS1_25lookback_scan_determinismE0ELb1ES3_N6thrust23THRUST_200600_302600_NS6detail15normal_iteratorINS9_10device_ptrIiEEEENSB_INSC_IyEEEESG_yNS9_4plusIvEENS9_8equal_toIvEEyEE10hipError_tPvRmT2_T3_T4_T5_mT6_T7_P12ihipStream_tbENKUlT_T0_E_clISt17integral_constantIbLb0EES10_IbLb1EEEEDaSW_SX_EUlSW_E_NS1_11comp_targetILNS1_3genE2ELNS1_11target_archE906ELNS1_3gpuE6ELNS1_3repE0EEENS1_30default_config_static_selectorELNS0_4arch9wavefront6targetE1EEEvT1_
; %bb.0:
	.section	.rodata,"a",@progbits
	.p2align	6, 0x0
	.amdhsa_kernel _ZN7rocprim17ROCPRIM_400000_NS6detail17trampoline_kernelINS0_14default_configENS1_27scan_by_key_config_selectorIiyEEZZNS1_16scan_by_key_implILNS1_25lookback_scan_determinismE0ELb1ES3_N6thrust23THRUST_200600_302600_NS6detail15normal_iteratorINS9_10device_ptrIiEEEENSB_INSC_IyEEEESG_yNS9_4plusIvEENS9_8equal_toIvEEyEE10hipError_tPvRmT2_T3_T4_T5_mT6_T7_P12ihipStream_tbENKUlT_T0_E_clISt17integral_constantIbLb0EES10_IbLb1EEEEDaSW_SX_EUlSW_E_NS1_11comp_targetILNS1_3genE2ELNS1_11target_archE906ELNS1_3gpuE6ELNS1_3repE0EEENS1_30default_config_static_selectorELNS0_4arch9wavefront6targetE1EEEvT1_
		.amdhsa_group_segment_fixed_size 0
		.amdhsa_private_segment_fixed_size 0
		.amdhsa_kernarg_size 136
		.amdhsa_user_sgpr_count 2
		.amdhsa_user_sgpr_dispatch_ptr 0
		.amdhsa_user_sgpr_queue_ptr 0
		.amdhsa_user_sgpr_kernarg_segment_ptr 1
		.amdhsa_user_sgpr_dispatch_id 0
		.amdhsa_user_sgpr_kernarg_preload_length 0
		.amdhsa_user_sgpr_kernarg_preload_offset 0
		.amdhsa_user_sgpr_private_segment_size 0
		.amdhsa_uses_dynamic_stack 0
		.amdhsa_enable_private_segment 0
		.amdhsa_system_sgpr_workgroup_id_x 1
		.amdhsa_system_sgpr_workgroup_id_y 0
		.amdhsa_system_sgpr_workgroup_id_z 0
		.amdhsa_system_sgpr_workgroup_info 0
		.amdhsa_system_vgpr_workitem_id 0
		.amdhsa_next_free_vgpr 1
		.amdhsa_next_free_sgpr 0
		.amdhsa_accum_offset 4
		.amdhsa_reserve_vcc 0
		.amdhsa_float_round_mode_32 0
		.amdhsa_float_round_mode_16_64 0
		.amdhsa_float_denorm_mode_32 3
		.amdhsa_float_denorm_mode_16_64 3
		.amdhsa_dx10_clamp 1
		.amdhsa_ieee_mode 1
		.amdhsa_fp16_overflow 0
		.amdhsa_tg_split 0
		.amdhsa_exception_fp_ieee_invalid_op 0
		.amdhsa_exception_fp_denorm_src 0
		.amdhsa_exception_fp_ieee_div_zero 0
		.amdhsa_exception_fp_ieee_overflow 0
		.amdhsa_exception_fp_ieee_underflow 0
		.amdhsa_exception_fp_ieee_inexact 0
		.amdhsa_exception_int_div_zero 0
	.end_amdhsa_kernel
	.section	.text._ZN7rocprim17ROCPRIM_400000_NS6detail17trampoline_kernelINS0_14default_configENS1_27scan_by_key_config_selectorIiyEEZZNS1_16scan_by_key_implILNS1_25lookback_scan_determinismE0ELb1ES3_N6thrust23THRUST_200600_302600_NS6detail15normal_iteratorINS9_10device_ptrIiEEEENSB_INSC_IyEEEESG_yNS9_4plusIvEENS9_8equal_toIvEEyEE10hipError_tPvRmT2_T3_T4_T5_mT6_T7_P12ihipStream_tbENKUlT_T0_E_clISt17integral_constantIbLb0EES10_IbLb1EEEEDaSW_SX_EUlSW_E_NS1_11comp_targetILNS1_3genE2ELNS1_11target_archE906ELNS1_3gpuE6ELNS1_3repE0EEENS1_30default_config_static_selectorELNS0_4arch9wavefront6targetE1EEEvT1_,"axG",@progbits,_ZN7rocprim17ROCPRIM_400000_NS6detail17trampoline_kernelINS0_14default_configENS1_27scan_by_key_config_selectorIiyEEZZNS1_16scan_by_key_implILNS1_25lookback_scan_determinismE0ELb1ES3_N6thrust23THRUST_200600_302600_NS6detail15normal_iteratorINS9_10device_ptrIiEEEENSB_INSC_IyEEEESG_yNS9_4plusIvEENS9_8equal_toIvEEyEE10hipError_tPvRmT2_T3_T4_T5_mT6_T7_P12ihipStream_tbENKUlT_T0_E_clISt17integral_constantIbLb0EES10_IbLb1EEEEDaSW_SX_EUlSW_E_NS1_11comp_targetILNS1_3genE2ELNS1_11target_archE906ELNS1_3gpuE6ELNS1_3repE0EEENS1_30default_config_static_selectorELNS0_4arch9wavefront6targetE1EEEvT1_,comdat
.Lfunc_end1495:
	.size	_ZN7rocprim17ROCPRIM_400000_NS6detail17trampoline_kernelINS0_14default_configENS1_27scan_by_key_config_selectorIiyEEZZNS1_16scan_by_key_implILNS1_25lookback_scan_determinismE0ELb1ES3_N6thrust23THRUST_200600_302600_NS6detail15normal_iteratorINS9_10device_ptrIiEEEENSB_INSC_IyEEEESG_yNS9_4plusIvEENS9_8equal_toIvEEyEE10hipError_tPvRmT2_T3_T4_T5_mT6_T7_P12ihipStream_tbENKUlT_T0_E_clISt17integral_constantIbLb0EES10_IbLb1EEEEDaSW_SX_EUlSW_E_NS1_11comp_targetILNS1_3genE2ELNS1_11target_archE906ELNS1_3gpuE6ELNS1_3repE0EEENS1_30default_config_static_selectorELNS0_4arch9wavefront6targetE1EEEvT1_, .Lfunc_end1495-_ZN7rocprim17ROCPRIM_400000_NS6detail17trampoline_kernelINS0_14default_configENS1_27scan_by_key_config_selectorIiyEEZZNS1_16scan_by_key_implILNS1_25lookback_scan_determinismE0ELb1ES3_N6thrust23THRUST_200600_302600_NS6detail15normal_iteratorINS9_10device_ptrIiEEEENSB_INSC_IyEEEESG_yNS9_4plusIvEENS9_8equal_toIvEEyEE10hipError_tPvRmT2_T3_T4_T5_mT6_T7_P12ihipStream_tbENKUlT_T0_E_clISt17integral_constantIbLb0EES10_IbLb1EEEEDaSW_SX_EUlSW_E_NS1_11comp_targetILNS1_3genE2ELNS1_11target_archE906ELNS1_3gpuE6ELNS1_3repE0EEENS1_30default_config_static_selectorELNS0_4arch9wavefront6targetE1EEEvT1_
                                        ; -- End function
	.section	.AMDGPU.csdata,"",@progbits
; Kernel info:
; codeLenInByte = 0
; NumSgprs: 6
; NumVgprs: 0
; NumAgprs: 0
; TotalNumVgprs: 0
; ScratchSize: 0
; MemoryBound: 0
; FloatMode: 240
; IeeeMode: 1
; LDSByteSize: 0 bytes/workgroup (compile time only)
; SGPRBlocks: 0
; VGPRBlocks: 0
; NumSGPRsForWavesPerEU: 6
; NumVGPRsForWavesPerEU: 1
; AccumOffset: 4
; Occupancy: 8
; WaveLimiterHint : 0
; COMPUTE_PGM_RSRC2:SCRATCH_EN: 0
; COMPUTE_PGM_RSRC2:USER_SGPR: 2
; COMPUTE_PGM_RSRC2:TRAP_HANDLER: 0
; COMPUTE_PGM_RSRC2:TGID_X_EN: 1
; COMPUTE_PGM_RSRC2:TGID_Y_EN: 0
; COMPUTE_PGM_RSRC2:TGID_Z_EN: 0
; COMPUTE_PGM_RSRC2:TIDIG_COMP_CNT: 0
; COMPUTE_PGM_RSRC3_GFX90A:ACCUM_OFFSET: 0
; COMPUTE_PGM_RSRC3_GFX90A:TG_SPLIT: 0
	.section	.text._ZN7rocprim17ROCPRIM_400000_NS6detail17trampoline_kernelINS0_14default_configENS1_27scan_by_key_config_selectorIiyEEZZNS1_16scan_by_key_implILNS1_25lookback_scan_determinismE0ELb1ES3_N6thrust23THRUST_200600_302600_NS6detail15normal_iteratorINS9_10device_ptrIiEEEENSB_INSC_IyEEEESG_yNS9_4plusIvEENS9_8equal_toIvEEyEE10hipError_tPvRmT2_T3_T4_T5_mT6_T7_P12ihipStream_tbENKUlT_T0_E_clISt17integral_constantIbLb0EES10_IbLb1EEEEDaSW_SX_EUlSW_E_NS1_11comp_targetILNS1_3genE10ELNS1_11target_archE1200ELNS1_3gpuE4ELNS1_3repE0EEENS1_30default_config_static_selectorELNS0_4arch9wavefront6targetE1EEEvT1_,"axG",@progbits,_ZN7rocprim17ROCPRIM_400000_NS6detail17trampoline_kernelINS0_14default_configENS1_27scan_by_key_config_selectorIiyEEZZNS1_16scan_by_key_implILNS1_25lookback_scan_determinismE0ELb1ES3_N6thrust23THRUST_200600_302600_NS6detail15normal_iteratorINS9_10device_ptrIiEEEENSB_INSC_IyEEEESG_yNS9_4plusIvEENS9_8equal_toIvEEyEE10hipError_tPvRmT2_T3_T4_T5_mT6_T7_P12ihipStream_tbENKUlT_T0_E_clISt17integral_constantIbLb0EES10_IbLb1EEEEDaSW_SX_EUlSW_E_NS1_11comp_targetILNS1_3genE10ELNS1_11target_archE1200ELNS1_3gpuE4ELNS1_3repE0EEENS1_30default_config_static_selectorELNS0_4arch9wavefront6targetE1EEEvT1_,comdat
	.protected	_ZN7rocprim17ROCPRIM_400000_NS6detail17trampoline_kernelINS0_14default_configENS1_27scan_by_key_config_selectorIiyEEZZNS1_16scan_by_key_implILNS1_25lookback_scan_determinismE0ELb1ES3_N6thrust23THRUST_200600_302600_NS6detail15normal_iteratorINS9_10device_ptrIiEEEENSB_INSC_IyEEEESG_yNS9_4plusIvEENS9_8equal_toIvEEyEE10hipError_tPvRmT2_T3_T4_T5_mT6_T7_P12ihipStream_tbENKUlT_T0_E_clISt17integral_constantIbLb0EES10_IbLb1EEEEDaSW_SX_EUlSW_E_NS1_11comp_targetILNS1_3genE10ELNS1_11target_archE1200ELNS1_3gpuE4ELNS1_3repE0EEENS1_30default_config_static_selectorELNS0_4arch9wavefront6targetE1EEEvT1_ ; -- Begin function _ZN7rocprim17ROCPRIM_400000_NS6detail17trampoline_kernelINS0_14default_configENS1_27scan_by_key_config_selectorIiyEEZZNS1_16scan_by_key_implILNS1_25lookback_scan_determinismE0ELb1ES3_N6thrust23THRUST_200600_302600_NS6detail15normal_iteratorINS9_10device_ptrIiEEEENSB_INSC_IyEEEESG_yNS9_4plusIvEENS9_8equal_toIvEEyEE10hipError_tPvRmT2_T3_T4_T5_mT6_T7_P12ihipStream_tbENKUlT_T0_E_clISt17integral_constantIbLb0EES10_IbLb1EEEEDaSW_SX_EUlSW_E_NS1_11comp_targetILNS1_3genE10ELNS1_11target_archE1200ELNS1_3gpuE4ELNS1_3repE0EEENS1_30default_config_static_selectorELNS0_4arch9wavefront6targetE1EEEvT1_
	.globl	_ZN7rocprim17ROCPRIM_400000_NS6detail17trampoline_kernelINS0_14default_configENS1_27scan_by_key_config_selectorIiyEEZZNS1_16scan_by_key_implILNS1_25lookback_scan_determinismE0ELb1ES3_N6thrust23THRUST_200600_302600_NS6detail15normal_iteratorINS9_10device_ptrIiEEEENSB_INSC_IyEEEESG_yNS9_4plusIvEENS9_8equal_toIvEEyEE10hipError_tPvRmT2_T3_T4_T5_mT6_T7_P12ihipStream_tbENKUlT_T0_E_clISt17integral_constantIbLb0EES10_IbLb1EEEEDaSW_SX_EUlSW_E_NS1_11comp_targetILNS1_3genE10ELNS1_11target_archE1200ELNS1_3gpuE4ELNS1_3repE0EEENS1_30default_config_static_selectorELNS0_4arch9wavefront6targetE1EEEvT1_
	.p2align	8
	.type	_ZN7rocprim17ROCPRIM_400000_NS6detail17trampoline_kernelINS0_14default_configENS1_27scan_by_key_config_selectorIiyEEZZNS1_16scan_by_key_implILNS1_25lookback_scan_determinismE0ELb1ES3_N6thrust23THRUST_200600_302600_NS6detail15normal_iteratorINS9_10device_ptrIiEEEENSB_INSC_IyEEEESG_yNS9_4plusIvEENS9_8equal_toIvEEyEE10hipError_tPvRmT2_T3_T4_T5_mT6_T7_P12ihipStream_tbENKUlT_T0_E_clISt17integral_constantIbLb0EES10_IbLb1EEEEDaSW_SX_EUlSW_E_NS1_11comp_targetILNS1_3genE10ELNS1_11target_archE1200ELNS1_3gpuE4ELNS1_3repE0EEENS1_30default_config_static_selectorELNS0_4arch9wavefront6targetE1EEEvT1_,@function
_ZN7rocprim17ROCPRIM_400000_NS6detail17trampoline_kernelINS0_14default_configENS1_27scan_by_key_config_selectorIiyEEZZNS1_16scan_by_key_implILNS1_25lookback_scan_determinismE0ELb1ES3_N6thrust23THRUST_200600_302600_NS6detail15normal_iteratorINS9_10device_ptrIiEEEENSB_INSC_IyEEEESG_yNS9_4plusIvEENS9_8equal_toIvEEyEE10hipError_tPvRmT2_T3_T4_T5_mT6_T7_P12ihipStream_tbENKUlT_T0_E_clISt17integral_constantIbLb0EES10_IbLb1EEEEDaSW_SX_EUlSW_E_NS1_11comp_targetILNS1_3genE10ELNS1_11target_archE1200ELNS1_3gpuE4ELNS1_3repE0EEENS1_30default_config_static_selectorELNS0_4arch9wavefront6targetE1EEEvT1_: ; @_ZN7rocprim17ROCPRIM_400000_NS6detail17trampoline_kernelINS0_14default_configENS1_27scan_by_key_config_selectorIiyEEZZNS1_16scan_by_key_implILNS1_25lookback_scan_determinismE0ELb1ES3_N6thrust23THRUST_200600_302600_NS6detail15normal_iteratorINS9_10device_ptrIiEEEENSB_INSC_IyEEEESG_yNS9_4plusIvEENS9_8equal_toIvEEyEE10hipError_tPvRmT2_T3_T4_T5_mT6_T7_P12ihipStream_tbENKUlT_T0_E_clISt17integral_constantIbLb0EES10_IbLb1EEEEDaSW_SX_EUlSW_E_NS1_11comp_targetILNS1_3genE10ELNS1_11target_archE1200ELNS1_3gpuE4ELNS1_3repE0EEENS1_30default_config_static_selectorELNS0_4arch9wavefront6targetE1EEEvT1_
; %bb.0:
	.section	.rodata,"a",@progbits
	.p2align	6, 0x0
	.amdhsa_kernel _ZN7rocprim17ROCPRIM_400000_NS6detail17trampoline_kernelINS0_14default_configENS1_27scan_by_key_config_selectorIiyEEZZNS1_16scan_by_key_implILNS1_25lookback_scan_determinismE0ELb1ES3_N6thrust23THRUST_200600_302600_NS6detail15normal_iteratorINS9_10device_ptrIiEEEENSB_INSC_IyEEEESG_yNS9_4plusIvEENS9_8equal_toIvEEyEE10hipError_tPvRmT2_T3_T4_T5_mT6_T7_P12ihipStream_tbENKUlT_T0_E_clISt17integral_constantIbLb0EES10_IbLb1EEEEDaSW_SX_EUlSW_E_NS1_11comp_targetILNS1_3genE10ELNS1_11target_archE1200ELNS1_3gpuE4ELNS1_3repE0EEENS1_30default_config_static_selectorELNS0_4arch9wavefront6targetE1EEEvT1_
		.amdhsa_group_segment_fixed_size 0
		.amdhsa_private_segment_fixed_size 0
		.amdhsa_kernarg_size 136
		.amdhsa_user_sgpr_count 2
		.amdhsa_user_sgpr_dispatch_ptr 0
		.amdhsa_user_sgpr_queue_ptr 0
		.amdhsa_user_sgpr_kernarg_segment_ptr 1
		.amdhsa_user_sgpr_dispatch_id 0
		.amdhsa_user_sgpr_kernarg_preload_length 0
		.amdhsa_user_sgpr_kernarg_preload_offset 0
		.amdhsa_user_sgpr_private_segment_size 0
		.amdhsa_uses_dynamic_stack 0
		.amdhsa_enable_private_segment 0
		.amdhsa_system_sgpr_workgroup_id_x 1
		.amdhsa_system_sgpr_workgroup_id_y 0
		.amdhsa_system_sgpr_workgroup_id_z 0
		.amdhsa_system_sgpr_workgroup_info 0
		.amdhsa_system_vgpr_workitem_id 0
		.amdhsa_next_free_vgpr 1
		.amdhsa_next_free_sgpr 0
		.amdhsa_accum_offset 4
		.amdhsa_reserve_vcc 0
		.amdhsa_float_round_mode_32 0
		.amdhsa_float_round_mode_16_64 0
		.amdhsa_float_denorm_mode_32 3
		.amdhsa_float_denorm_mode_16_64 3
		.amdhsa_dx10_clamp 1
		.amdhsa_ieee_mode 1
		.amdhsa_fp16_overflow 0
		.amdhsa_tg_split 0
		.amdhsa_exception_fp_ieee_invalid_op 0
		.amdhsa_exception_fp_denorm_src 0
		.amdhsa_exception_fp_ieee_div_zero 0
		.amdhsa_exception_fp_ieee_overflow 0
		.amdhsa_exception_fp_ieee_underflow 0
		.amdhsa_exception_fp_ieee_inexact 0
		.amdhsa_exception_int_div_zero 0
	.end_amdhsa_kernel
	.section	.text._ZN7rocprim17ROCPRIM_400000_NS6detail17trampoline_kernelINS0_14default_configENS1_27scan_by_key_config_selectorIiyEEZZNS1_16scan_by_key_implILNS1_25lookback_scan_determinismE0ELb1ES3_N6thrust23THRUST_200600_302600_NS6detail15normal_iteratorINS9_10device_ptrIiEEEENSB_INSC_IyEEEESG_yNS9_4plusIvEENS9_8equal_toIvEEyEE10hipError_tPvRmT2_T3_T4_T5_mT6_T7_P12ihipStream_tbENKUlT_T0_E_clISt17integral_constantIbLb0EES10_IbLb1EEEEDaSW_SX_EUlSW_E_NS1_11comp_targetILNS1_3genE10ELNS1_11target_archE1200ELNS1_3gpuE4ELNS1_3repE0EEENS1_30default_config_static_selectorELNS0_4arch9wavefront6targetE1EEEvT1_,"axG",@progbits,_ZN7rocprim17ROCPRIM_400000_NS6detail17trampoline_kernelINS0_14default_configENS1_27scan_by_key_config_selectorIiyEEZZNS1_16scan_by_key_implILNS1_25lookback_scan_determinismE0ELb1ES3_N6thrust23THRUST_200600_302600_NS6detail15normal_iteratorINS9_10device_ptrIiEEEENSB_INSC_IyEEEESG_yNS9_4plusIvEENS9_8equal_toIvEEyEE10hipError_tPvRmT2_T3_T4_T5_mT6_T7_P12ihipStream_tbENKUlT_T0_E_clISt17integral_constantIbLb0EES10_IbLb1EEEEDaSW_SX_EUlSW_E_NS1_11comp_targetILNS1_3genE10ELNS1_11target_archE1200ELNS1_3gpuE4ELNS1_3repE0EEENS1_30default_config_static_selectorELNS0_4arch9wavefront6targetE1EEEvT1_,comdat
.Lfunc_end1496:
	.size	_ZN7rocprim17ROCPRIM_400000_NS6detail17trampoline_kernelINS0_14default_configENS1_27scan_by_key_config_selectorIiyEEZZNS1_16scan_by_key_implILNS1_25lookback_scan_determinismE0ELb1ES3_N6thrust23THRUST_200600_302600_NS6detail15normal_iteratorINS9_10device_ptrIiEEEENSB_INSC_IyEEEESG_yNS9_4plusIvEENS9_8equal_toIvEEyEE10hipError_tPvRmT2_T3_T4_T5_mT6_T7_P12ihipStream_tbENKUlT_T0_E_clISt17integral_constantIbLb0EES10_IbLb1EEEEDaSW_SX_EUlSW_E_NS1_11comp_targetILNS1_3genE10ELNS1_11target_archE1200ELNS1_3gpuE4ELNS1_3repE0EEENS1_30default_config_static_selectorELNS0_4arch9wavefront6targetE1EEEvT1_, .Lfunc_end1496-_ZN7rocprim17ROCPRIM_400000_NS6detail17trampoline_kernelINS0_14default_configENS1_27scan_by_key_config_selectorIiyEEZZNS1_16scan_by_key_implILNS1_25lookback_scan_determinismE0ELb1ES3_N6thrust23THRUST_200600_302600_NS6detail15normal_iteratorINS9_10device_ptrIiEEEENSB_INSC_IyEEEESG_yNS9_4plusIvEENS9_8equal_toIvEEyEE10hipError_tPvRmT2_T3_T4_T5_mT6_T7_P12ihipStream_tbENKUlT_T0_E_clISt17integral_constantIbLb0EES10_IbLb1EEEEDaSW_SX_EUlSW_E_NS1_11comp_targetILNS1_3genE10ELNS1_11target_archE1200ELNS1_3gpuE4ELNS1_3repE0EEENS1_30default_config_static_selectorELNS0_4arch9wavefront6targetE1EEEvT1_
                                        ; -- End function
	.section	.AMDGPU.csdata,"",@progbits
; Kernel info:
; codeLenInByte = 0
; NumSgprs: 6
; NumVgprs: 0
; NumAgprs: 0
; TotalNumVgprs: 0
; ScratchSize: 0
; MemoryBound: 0
; FloatMode: 240
; IeeeMode: 1
; LDSByteSize: 0 bytes/workgroup (compile time only)
; SGPRBlocks: 0
; VGPRBlocks: 0
; NumSGPRsForWavesPerEU: 6
; NumVGPRsForWavesPerEU: 1
; AccumOffset: 4
; Occupancy: 8
; WaveLimiterHint : 0
; COMPUTE_PGM_RSRC2:SCRATCH_EN: 0
; COMPUTE_PGM_RSRC2:USER_SGPR: 2
; COMPUTE_PGM_RSRC2:TRAP_HANDLER: 0
; COMPUTE_PGM_RSRC2:TGID_X_EN: 1
; COMPUTE_PGM_RSRC2:TGID_Y_EN: 0
; COMPUTE_PGM_RSRC2:TGID_Z_EN: 0
; COMPUTE_PGM_RSRC2:TIDIG_COMP_CNT: 0
; COMPUTE_PGM_RSRC3_GFX90A:ACCUM_OFFSET: 0
; COMPUTE_PGM_RSRC3_GFX90A:TG_SPLIT: 0
	.section	.text._ZN7rocprim17ROCPRIM_400000_NS6detail17trampoline_kernelINS0_14default_configENS1_27scan_by_key_config_selectorIiyEEZZNS1_16scan_by_key_implILNS1_25lookback_scan_determinismE0ELb1ES3_N6thrust23THRUST_200600_302600_NS6detail15normal_iteratorINS9_10device_ptrIiEEEENSB_INSC_IyEEEESG_yNS9_4plusIvEENS9_8equal_toIvEEyEE10hipError_tPvRmT2_T3_T4_T5_mT6_T7_P12ihipStream_tbENKUlT_T0_E_clISt17integral_constantIbLb0EES10_IbLb1EEEEDaSW_SX_EUlSW_E_NS1_11comp_targetILNS1_3genE9ELNS1_11target_archE1100ELNS1_3gpuE3ELNS1_3repE0EEENS1_30default_config_static_selectorELNS0_4arch9wavefront6targetE1EEEvT1_,"axG",@progbits,_ZN7rocprim17ROCPRIM_400000_NS6detail17trampoline_kernelINS0_14default_configENS1_27scan_by_key_config_selectorIiyEEZZNS1_16scan_by_key_implILNS1_25lookback_scan_determinismE0ELb1ES3_N6thrust23THRUST_200600_302600_NS6detail15normal_iteratorINS9_10device_ptrIiEEEENSB_INSC_IyEEEESG_yNS9_4plusIvEENS9_8equal_toIvEEyEE10hipError_tPvRmT2_T3_T4_T5_mT6_T7_P12ihipStream_tbENKUlT_T0_E_clISt17integral_constantIbLb0EES10_IbLb1EEEEDaSW_SX_EUlSW_E_NS1_11comp_targetILNS1_3genE9ELNS1_11target_archE1100ELNS1_3gpuE3ELNS1_3repE0EEENS1_30default_config_static_selectorELNS0_4arch9wavefront6targetE1EEEvT1_,comdat
	.protected	_ZN7rocprim17ROCPRIM_400000_NS6detail17trampoline_kernelINS0_14default_configENS1_27scan_by_key_config_selectorIiyEEZZNS1_16scan_by_key_implILNS1_25lookback_scan_determinismE0ELb1ES3_N6thrust23THRUST_200600_302600_NS6detail15normal_iteratorINS9_10device_ptrIiEEEENSB_INSC_IyEEEESG_yNS9_4plusIvEENS9_8equal_toIvEEyEE10hipError_tPvRmT2_T3_T4_T5_mT6_T7_P12ihipStream_tbENKUlT_T0_E_clISt17integral_constantIbLb0EES10_IbLb1EEEEDaSW_SX_EUlSW_E_NS1_11comp_targetILNS1_3genE9ELNS1_11target_archE1100ELNS1_3gpuE3ELNS1_3repE0EEENS1_30default_config_static_selectorELNS0_4arch9wavefront6targetE1EEEvT1_ ; -- Begin function _ZN7rocprim17ROCPRIM_400000_NS6detail17trampoline_kernelINS0_14default_configENS1_27scan_by_key_config_selectorIiyEEZZNS1_16scan_by_key_implILNS1_25lookback_scan_determinismE0ELb1ES3_N6thrust23THRUST_200600_302600_NS6detail15normal_iteratorINS9_10device_ptrIiEEEENSB_INSC_IyEEEESG_yNS9_4plusIvEENS9_8equal_toIvEEyEE10hipError_tPvRmT2_T3_T4_T5_mT6_T7_P12ihipStream_tbENKUlT_T0_E_clISt17integral_constantIbLb0EES10_IbLb1EEEEDaSW_SX_EUlSW_E_NS1_11comp_targetILNS1_3genE9ELNS1_11target_archE1100ELNS1_3gpuE3ELNS1_3repE0EEENS1_30default_config_static_selectorELNS0_4arch9wavefront6targetE1EEEvT1_
	.globl	_ZN7rocprim17ROCPRIM_400000_NS6detail17trampoline_kernelINS0_14default_configENS1_27scan_by_key_config_selectorIiyEEZZNS1_16scan_by_key_implILNS1_25lookback_scan_determinismE0ELb1ES3_N6thrust23THRUST_200600_302600_NS6detail15normal_iteratorINS9_10device_ptrIiEEEENSB_INSC_IyEEEESG_yNS9_4plusIvEENS9_8equal_toIvEEyEE10hipError_tPvRmT2_T3_T4_T5_mT6_T7_P12ihipStream_tbENKUlT_T0_E_clISt17integral_constantIbLb0EES10_IbLb1EEEEDaSW_SX_EUlSW_E_NS1_11comp_targetILNS1_3genE9ELNS1_11target_archE1100ELNS1_3gpuE3ELNS1_3repE0EEENS1_30default_config_static_selectorELNS0_4arch9wavefront6targetE1EEEvT1_
	.p2align	8
	.type	_ZN7rocprim17ROCPRIM_400000_NS6detail17trampoline_kernelINS0_14default_configENS1_27scan_by_key_config_selectorIiyEEZZNS1_16scan_by_key_implILNS1_25lookback_scan_determinismE0ELb1ES3_N6thrust23THRUST_200600_302600_NS6detail15normal_iteratorINS9_10device_ptrIiEEEENSB_INSC_IyEEEESG_yNS9_4plusIvEENS9_8equal_toIvEEyEE10hipError_tPvRmT2_T3_T4_T5_mT6_T7_P12ihipStream_tbENKUlT_T0_E_clISt17integral_constantIbLb0EES10_IbLb1EEEEDaSW_SX_EUlSW_E_NS1_11comp_targetILNS1_3genE9ELNS1_11target_archE1100ELNS1_3gpuE3ELNS1_3repE0EEENS1_30default_config_static_selectorELNS0_4arch9wavefront6targetE1EEEvT1_,@function
_ZN7rocprim17ROCPRIM_400000_NS6detail17trampoline_kernelINS0_14default_configENS1_27scan_by_key_config_selectorIiyEEZZNS1_16scan_by_key_implILNS1_25lookback_scan_determinismE0ELb1ES3_N6thrust23THRUST_200600_302600_NS6detail15normal_iteratorINS9_10device_ptrIiEEEENSB_INSC_IyEEEESG_yNS9_4plusIvEENS9_8equal_toIvEEyEE10hipError_tPvRmT2_T3_T4_T5_mT6_T7_P12ihipStream_tbENKUlT_T0_E_clISt17integral_constantIbLb0EES10_IbLb1EEEEDaSW_SX_EUlSW_E_NS1_11comp_targetILNS1_3genE9ELNS1_11target_archE1100ELNS1_3gpuE3ELNS1_3repE0EEENS1_30default_config_static_selectorELNS0_4arch9wavefront6targetE1EEEvT1_: ; @_ZN7rocprim17ROCPRIM_400000_NS6detail17trampoline_kernelINS0_14default_configENS1_27scan_by_key_config_selectorIiyEEZZNS1_16scan_by_key_implILNS1_25lookback_scan_determinismE0ELb1ES3_N6thrust23THRUST_200600_302600_NS6detail15normal_iteratorINS9_10device_ptrIiEEEENSB_INSC_IyEEEESG_yNS9_4plusIvEENS9_8equal_toIvEEyEE10hipError_tPvRmT2_T3_T4_T5_mT6_T7_P12ihipStream_tbENKUlT_T0_E_clISt17integral_constantIbLb0EES10_IbLb1EEEEDaSW_SX_EUlSW_E_NS1_11comp_targetILNS1_3genE9ELNS1_11target_archE1100ELNS1_3gpuE3ELNS1_3repE0EEENS1_30default_config_static_selectorELNS0_4arch9wavefront6targetE1EEEvT1_
; %bb.0:
	.section	.rodata,"a",@progbits
	.p2align	6, 0x0
	.amdhsa_kernel _ZN7rocprim17ROCPRIM_400000_NS6detail17trampoline_kernelINS0_14default_configENS1_27scan_by_key_config_selectorIiyEEZZNS1_16scan_by_key_implILNS1_25lookback_scan_determinismE0ELb1ES3_N6thrust23THRUST_200600_302600_NS6detail15normal_iteratorINS9_10device_ptrIiEEEENSB_INSC_IyEEEESG_yNS9_4plusIvEENS9_8equal_toIvEEyEE10hipError_tPvRmT2_T3_T4_T5_mT6_T7_P12ihipStream_tbENKUlT_T0_E_clISt17integral_constantIbLb0EES10_IbLb1EEEEDaSW_SX_EUlSW_E_NS1_11comp_targetILNS1_3genE9ELNS1_11target_archE1100ELNS1_3gpuE3ELNS1_3repE0EEENS1_30default_config_static_selectorELNS0_4arch9wavefront6targetE1EEEvT1_
		.amdhsa_group_segment_fixed_size 0
		.amdhsa_private_segment_fixed_size 0
		.amdhsa_kernarg_size 136
		.amdhsa_user_sgpr_count 2
		.amdhsa_user_sgpr_dispatch_ptr 0
		.amdhsa_user_sgpr_queue_ptr 0
		.amdhsa_user_sgpr_kernarg_segment_ptr 1
		.amdhsa_user_sgpr_dispatch_id 0
		.amdhsa_user_sgpr_kernarg_preload_length 0
		.amdhsa_user_sgpr_kernarg_preload_offset 0
		.amdhsa_user_sgpr_private_segment_size 0
		.amdhsa_uses_dynamic_stack 0
		.amdhsa_enable_private_segment 0
		.amdhsa_system_sgpr_workgroup_id_x 1
		.amdhsa_system_sgpr_workgroup_id_y 0
		.amdhsa_system_sgpr_workgroup_id_z 0
		.amdhsa_system_sgpr_workgroup_info 0
		.amdhsa_system_vgpr_workitem_id 0
		.amdhsa_next_free_vgpr 1
		.amdhsa_next_free_sgpr 0
		.amdhsa_accum_offset 4
		.amdhsa_reserve_vcc 0
		.amdhsa_float_round_mode_32 0
		.amdhsa_float_round_mode_16_64 0
		.amdhsa_float_denorm_mode_32 3
		.amdhsa_float_denorm_mode_16_64 3
		.amdhsa_dx10_clamp 1
		.amdhsa_ieee_mode 1
		.amdhsa_fp16_overflow 0
		.amdhsa_tg_split 0
		.amdhsa_exception_fp_ieee_invalid_op 0
		.amdhsa_exception_fp_denorm_src 0
		.amdhsa_exception_fp_ieee_div_zero 0
		.amdhsa_exception_fp_ieee_overflow 0
		.amdhsa_exception_fp_ieee_underflow 0
		.amdhsa_exception_fp_ieee_inexact 0
		.amdhsa_exception_int_div_zero 0
	.end_amdhsa_kernel
	.section	.text._ZN7rocprim17ROCPRIM_400000_NS6detail17trampoline_kernelINS0_14default_configENS1_27scan_by_key_config_selectorIiyEEZZNS1_16scan_by_key_implILNS1_25lookback_scan_determinismE0ELb1ES3_N6thrust23THRUST_200600_302600_NS6detail15normal_iteratorINS9_10device_ptrIiEEEENSB_INSC_IyEEEESG_yNS9_4plusIvEENS9_8equal_toIvEEyEE10hipError_tPvRmT2_T3_T4_T5_mT6_T7_P12ihipStream_tbENKUlT_T0_E_clISt17integral_constantIbLb0EES10_IbLb1EEEEDaSW_SX_EUlSW_E_NS1_11comp_targetILNS1_3genE9ELNS1_11target_archE1100ELNS1_3gpuE3ELNS1_3repE0EEENS1_30default_config_static_selectorELNS0_4arch9wavefront6targetE1EEEvT1_,"axG",@progbits,_ZN7rocprim17ROCPRIM_400000_NS6detail17trampoline_kernelINS0_14default_configENS1_27scan_by_key_config_selectorIiyEEZZNS1_16scan_by_key_implILNS1_25lookback_scan_determinismE0ELb1ES3_N6thrust23THRUST_200600_302600_NS6detail15normal_iteratorINS9_10device_ptrIiEEEENSB_INSC_IyEEEESG_yNS9_4plusIvEENS9_8equal_toIvEEyEE10hipError_tPvRmT2_T3_T4_T5_mT6_T7_P12ihipStream_tbENKUlT_T0_E_clISt17integral_constantIbLb0EES10_IbLb1EEEEDaSW_SX_EUlSW_E_NS1_11comp_targetILNS1_3genE9ELNS1_11target_archE1100ELNS1_3gpuE3ELNS1_3repE0EEENS1_30default_config_static_selectorELNS0_4arch9wavefront6targetE1EEEvT1_,comdat
.Lfunc_end1497:
	.size	_ZN7rocprim17ROCPRIM_400000_NS6detail17trampoline_kernelINS0_14default_configENS1_27scan_by_key_config_selectorIiyEEZZNS1_16scan_by_key_implILNS1_25lookback_scan_determinismE0ELb1ES3_N6thrust23THRUST_200600_302600_NS6detail15normal_iteratorINS9_10device_ptrIiEEEENSB_INSC_IyEEEESG_yNS9_4plusIvEENS9_8equal_toIvEEyEE10hipError_tPvRmT2_T3_T4_T5_mT6_T7_P12ihipStream_tbENKUlT_T0_E_clISt17integral_constantIbLb0EES10_IbLb1EEEEDaSW_SX_EUlSW_E_NS1_11comp_targetILNS1_3genE9ELNS1_11target_archE1100ELNS1_3gpuE3ELNS1_3repE0EEENS1_30default_config_static_selectorELNS0_4arch9wavefront6targetE1EEEvT1_, .Lfunc_end1497-_ZN7rocprim17ROCPRIM_400000_NS6detail17trampoline_kernelINS0_14default_configENS1_27scan_by_key_config_selectorIiyEEZZNS1_16scan_by_key_implILNS1_25lookback_scan_determinismE0ELb1ES3_N6thrust23THRUST_200600_302600_NS6detail15normal_iteratorINS9_10device_ptrIiEEEENSB_INSC_IyEEEESG_yNS9_4plusIvEENS9_8equal_toIvEEyEE10hipError_tPvRmT2_T3_T4_T5_mT6_T7_P12ihipStream_tbENKUlT_T0_E_clISt17integral_constantIbLb0EES10_IbLb1EEEEDaSW_SX_EUlSW_E_NS1_11comp_targetILNS1_3genE9ELNS1_11target_archE1100ELNS1_3gpuE3ELNS1_3repE0EEENS1_30default_config_static_selectorELNS0_4arch9wavefront6targetE1EEEvT1_
                                        ; -- End function
	.section	.AMDGPU.csdata,"",@progbits
; Kernel info:
; codeLenInByte = 0
; NumSgprs: 6
; NumVgprs: 0
; NumAgprs: 0
; TotalNumVgprs: 0
; ScratchSize: 0
; MemoryBound: 0
; FloatMode: 240
; IeeeMode: 1
; LDSByteSize: 0 bytes/workgroup (compile time only)
; SGPRBlocks: 0
; VGPRBlocks: 0
; NumSGPRsForWavesPerEU: 6
; NumVGPRsForWavesPerEU: 1
; AccumOffset: 4
; Occupancy: 8
; WaveLimiterHint : 0
; COMPUTE_PGM_RSRC2:SCRATCH_EN: 0
; COMPUTE_PGM_RSRC2:USER_SGPR: 2
; COMPUTE_PGM_RSRC2:TRAP_HANDLER: 0
; COMPUTE_PGM_RSRC2:TGID_X_EN: 1
; COMPUTE_PGM_RSRC2:TGID_Y_EN: 0
; COMPUTE_PGM_RSRC2:TGID_Z_EN: 0
; COMPUTE_PGM_RSRC2:TIDIG_COMP_CNT: 0
; COMPUTE_PGM_RSRC3_GFX90A:ACCUM_OFFSET: 0
; COMPUTE_PGM_RSRC3_GFX90A:TG_SPLIT: 0
	.section	.text._ZN7rocprim17ROCPRIM_400000_NS6detail17trampoline_kernelINS0_14default_configENS1_27scan_by_key_config_selectorIiyEEZZNS1_16scan_by_key_implILNS1_25lookback_scan_determinismE0ELb1ES3_N6thrust23THRUST_200600_302600_NS6detail15normal_iteratorINS9_10device_ptrIiEEEENSB_INSC_IyEEEESG_yNS9_4plusIvEENS9_8equal_toIvEEyEE10hipError_tPvRmT2_T3_T4_T5_mT6_T7_P12ihipStream_tbENKUlT_T0_E_clISt17integral_constantIbLb0EES10_IbLb1EEEEDaSW_SX_EUlSW_E_NS1_11comp_targetILNS1_3genE8ELNS1_11target_archE1030ELNS1_3gpuE2ELNS1_3repE0EEENS1_30default_config_static_selectorELNS0_4arch9wavefront6targetE1EEEvT1_,"axG",@progbits,_ZN7rocprim17ROCPRIM_400000_NS6detail17trampoline_kernelINS0_14default_configENS1_27scan_by_key_config_selectorIiyEEZZNS1_16scan_by_key_implILNS1_25lookback_scan_determinismE0ELb1ES3_N6thrust23THRUST_200600_302600_NS6detail15normal_iteratorINS9_10device_ptrIiEEEENSB_INSC_IyEEEESG_yNS9_4plusIvEENS9_8equal_toIvEEyEE10hipError_tPvRmT2_T3_T4_T5_mT6_T7_P12ihipStream_tbENKUlT_T0_E_clISt17integral_constantIbLb0EES10_IbLb1EEEEDaSW_SX_EUlSW_E_NS1_11comp_targetILNS1_3genE8ELNS1_11target_archE1030ELNS1_3gpuE2ELNS1_3repE0EEENS1_30default_config_static_selectorELNS0_4arch9wavefront6targetE1EEEvT1_,comdat
	.protected	_ZN7rocprim17ROCPRIM_400000_NS6detail17trampoline_kernelINS0_14default_configENS1_27scan_by_key_config_selectorIiyEEZZNS1_16scan_by_key_implILNS1_25lookback_scan_determinismE0ELb1ES3_N6thrust23THRUST_200600_302600_NS6detail15normal_iteratorINS9_10device_ptrIiEEEENSB_INSC_IyEEEESG_yNS9_4plusIvEENS9_8equal_toIvEEyEE10hipError_tPvRmT2_T3_T4_T5_mT6_T7_P12ihipStream_tbENKUlT_T0_E_clISt17integral_constantIbLb0EES10_IbLb1EEEEDaSW_SX_EUlSW_E_NS1_11comp_targetILNS1_3genE8ELNS1_11target_archE1030ELNS1_3gpuE2ELNS1_3repE0EEENS1_30default_config_static_selectorELNS0_4arch9wavefront6targetE1EEEvT1_ ; -- Begin function _ZN7rocprim17ROCPRIM_400000_NS6detail17trampoline_kernelINS0_14default_configENS1_27scan_by_key_config_selectorIiyEEZZNS1_16scan_by_key_implILNS1_25lookback_scan_determinismE0ELb1ES3_N6thrust23THRUST_200600_302600_NS6detail15normal_iteratorINS9_10device_ptrIiEEEENSB_INSC_IyEEEESG_yNS9_4plusIvEENS9_8equal_toIvEEyEE10hipError_tPvRmT2_T3_T4_T5_mT6_T7_P12ihipStream_tbENKUlT_T0_E_clISt17integral_constantIbLb0EES10_IbLb1EEEEDaSW_SX_EUlSW_E_NS1_11comp_targetILNS1_3genE8ELNS1_11target_archE1030ELNS1_3gpuE2ELNS1_3repE0EEENS1_30default_config_static_selectorELNS0_4arch9wavefront6targetE1EEEvT1_
	.globl	_ZN7rocprim17ROCPRIM_400000_NS6detail17trampoline_kernelINS0_14default_configENS1_27scan_by_key_config_selectorIiyEEZZNS1_16scan_by_key_implILNS1_25lookback_scan_determinismE0ELb1ES3_N6thrust23THRUST_200600_302600_NS6detail15normal_iteratorINS9_10device_ptrIiEEEENSB_INSC_IyEEEESG_yNS9_4plusIvEENS9_8equal_toIvEEyEE10hipError_tPvRmT2_T3_T4_T5_mT6_T7_P12ihipStream_tbENKUlT_T0_E_clISt17integral_constantIbLb0EES10_IbLb1EEEEDaSW_SX_EUlSW_E_NS1_11comp_targetILNS1_3genE8ELNS1_11target_archE1030ELNS1_3gpuE2ELNS1_3repE0EEENS1_30default_config_static_selectorELNS0_4arch9wavefront6targetE1EEEvT1_
	.p2align	8
	.type	_ZN7rocprim17ROCPRIM_400000_NS6detail17trampoline_kernelINS0_14default_configENS1_27scan_by_key_config_selectorIiyEEZZNS1_16scan_by_key_implILNS1_25lookback_scan_determinismE0ELb1ES3_N6thrust23THRUST_200600_302600_NS6detail15normal_iteratorINS9_10device_ptrIiEEEENSB_INSC_IyEEEESG_yNS9_4plusIvEENS9_8equal_toIvEEyEE10hipError_tPvRmT2_T3_T4_T5_mT6_T7_P12ihipStream_tbENKUlT_T0_E_clISt17integral_constantIbLb0EES10_IbLb1EEEEDaSW_SX_EUlSW_E_NS1_11comp_targetILNS1_3genE8ELNS1_11target_archE1030ELNS1_3gpuE2ELNS1_3repE0EEENS1_30default_config_static_selectorELNS0_4arch9wavefront6targetE1EEEvT1_,@function
_ZN7rocprim17ROCPRIM_400000_NS6detail17trampoline_kernelINS0_14default_configENS1_27scan_by_key_config_selectorIiyEEZZNS1_16scan_by_key_implILNS1_25lookback_scan_determinismE0ELb1ES3_N6thrust23THRUST_200600_302600_NS6detail15normal_iteratorINS9_10device_ptrIiEEEENSB_INSC_IyEEEESG_yNS9_4plusIvEENS9_8equal_toIvEEyEE10hipError_tPvRmT2_T3_T4_T5_mT6_T7_P12ihipStream_tbENKUlT_T0_E_clISt17integral_constantIbLb0EES10_IbLb1EEEEDaSW_SX_EUlSW_E_NS1_11comp_targetILNS1_3genE8ELNS1_11target_archE1030ELNS1_3gpuE2ELNS1_3repE0EEENS1_30default_config_static_selectorELNS0_4arch9wavefront6targetE1EEEvT1_: ; @_ZN7rocprim17ROCPRIM_400000_NS6detail17trampoline_kernelINS0_14default_configENS1_27scan_by_key_config_selectorIiyEEZZNS1_16scan_by_key_implILNS1_25lookback_scan_determinismE0ELb1ES3_N6thrust23THRUST_200600_302600_NS6detail15normal_iteratorINS9_10device_ptrIiEEEENSB_INSC_IyEEEESG_yNS9_4plusIvEENS9_8equal_toIvEEyEE10hipError_tPvRmT2_T3_T4_T5_mT6_T7_P12ihipStream_tbENKUlT_T0_E_clISt17integral_constantIbLb0EES10_IbLb1EEEEDaSW_SX_EUlSW_E_NS1_11comp_targetILNS1_3genE8ELNS1_11target_archE1030ELNS1_3gpuE2ELNS1_3repE0EEENS1_30default_config_static_selectorELNS0_4arch9wavefront6targetE1EEEvT1_
; %bb.0:
	.section	.rodata,"a",@progbits
	.p2align	6, 0x0
	.amdhsa_kernel _ZN7rocprim17ROCPRIM_400000_NS6detail17trampoline_kernelINS0_14default_configENS1_27scan_by_key_config_selectorIiyEEZZNS1_16scan_by_key_implILNS1_25lookback_scan_determinismE0ELb1ES3_N6thrust23THRUST_200600_302600_NS6detail15normal_iteratorINS9_10device_ptrIiEEEENSB_INSC_IyEEEESG_yNS9_4plusIvEENS9_8equal_toIvEEyEE10hipError_tPvRmT2_T3_T4_T5_mT6_T7_P12ihipStream_tbENKUlT_T0_E_clISt17integral_constantIbLb0EES10_IbLb1EEEEDaSW_SX_EUlSW_E_NS1_11comp_targetILNS1_3genE8ELNS1_11target_archE1030ELNS1_3gpuE2ELNS1_3repE0EEENS1_30default_config_static_selectorELNS0_4arch9wavefront6targetE1EEEvT1_
		.amdhsa_group_segment_fixed_size 0
		.amdhsa_private_segment_fixed_size 0
		.amdhsa_kernarg_size 136
		.amdhsa_user_sgpr_count 2
		.amdhsa_user_sgpr_dispatch_ptr 0
		.amdhsa_user_sgpr_queue_ptr 0
		.amdhsa_user_sgpr_kernarg_segment_ptr 1
		.amdhsa_user_sgpr_dispatch_id 0
		.amdhsa_user_sgpr_kernarg_preload_length 0
		.amdhsa_user_sgpr_kernarg_preload_offset 0
		.amdhsa_user_sgpr_private_segment_size 0
		.amdhsa_uses_dynamic_stack 0
		.amdhsa_enable_private_segment 0
		.amdhsa_system_sgpr_workgroup_id_x 1
		.amdhsa_system_sgpr_workgroup_id_y 0
		.amdhsa_system_sgpr_workgroup_id_z 0
		.amdhsa_system_sgpr_workgroup_info 0
		.amdhsa_system_vgpr_workitem_id 0
		.amdhsa_next_free_vgpr 1
		.amdhsa_next_free_sgpr 0
		.amdhsa_accum_offset 4
		.amdhsa_reserve_vcc 0
		.amdhsa_float_round_mode_32 0
		.amdhsa_float_round_mode_16_64 0
		.amdhsa_float_denorm_mode_32 3
		.amdhsa_float_denorm_mode_16_64 3
		.amdhsa_dx10_clamp 1
		.amdhsa_ieee_mode 1
		.amdhsa_fp16_overflow 0
		.amdhsa_tg_split 0
		.amdhsa_exception_fp_ieee_invalid_op 0
		.amdhsa_exception_fp_denorm_src 0
		.amdhsa_exception_fp_ieee_div_zero 0
		.amdhsa_exception_fp_ieee_overflow 0
		.amdhsa_exception_fp_ieee_underflow 0
		.amdhsa_exception_fp_ieee_inexact 0
		.amdhsa_exception_int_div_zero 0
	.end_amdhsa_kernel
	.section	.text._ZN7rocprim17ROCPRIM_400000_NS6detail17trampoline_kernelINS0_14default_configENS1_27scan_by_key_config_selectorIiyEEZZNS1_16scan_by_key_implILNS1_25lookback_scan_determinismE0ELb1ES3_N6thrust23THRUST_200600_302600_NS6detail15normal_iteratorINS9_10device_ptrIiEEEENSB_INSC_IyEEEESG_yNS9_4plusIvEENS9_8equal_toIvEEyEE10hipError_tPvRmT2_T3_T4_T5_mT6_T7_P12ihipStream_tbENKUlT_T0_E_clISt17integral_constantIbLb0EES10_IbLb1EEEEDaSW_SX_EUlSW_E_NS1_11comp_targetILNS1_3genE8ELNS1_11target_archE1030ELNS1_3gpuE2ELNS1_3repE0EEENS1_30default_config_static_selectorELNS0_4arch9wavefront6targetE1EEEvT1_,"axG",@progbits,_ZN7rocprim17ROCPRIM_400000_NS6detail17trampoline_kernelINS0_14default_configENS1_27scan_by_key_config_selectorIiyEEZZNS1_16scan_by_key_implILNS1_25lookback_scan_determinismE0ELb1ES3_N6thrust23THRUST_200600_302600_NS6detail15normal_iteratorINS9_10device_ptrIiEEEENSB_INSC_IyEEEESG_yNS9_4plusIvEENS9_8equal_toIvEEyEE10hipError_tPvRmT2_T3_T4_T5_mT6_T7_P12ihipStream_tbENKUlT_T0_E_clISt17integral_constantIbLb0EES10_IbLb1EEEEDaSW_SX_EUlSW_E_NS1_11comp_targetILNS1_3genE8ELNS1_11target_archE1030ELNS1_3gpuE2ELNS1_3repE0EEENS1_30default_config_static_selectorELNS0_4arch9wavefront6targetE1EEEvT1_,comdat
.Lfunc_end1498:
	.size	_ZN7rocprim17ROCPRIM_400000_NS6detail17trampoline_kernelINS0_14default_configENS1_27scan_by_key_config_selectorIiyEEZZNS1_16scan_by_key_implILNS1_25lookback_scan_determinismE0ELb1ES3_N6thrust23THRUST_200600_302600_NS6detail15normal_iteratorINS9_10device_ptrIiEEEENSB_INSC_IyEEEESG_yNS9_4plusIvEENS9_8equal_toIvEEyEE10hipError_tPvRmT2_T3_T4_T5_mT6_T7_P12ihipStream_tbENKUlT_T0_E_clISt17integral_constantIbLb0EES10_IbLb1EEEEDaSW_SX_EUlSW_E_NS1_11comp_targetILNS1_3genE8ELNS1_11target_archE1030ELNS1_3gpuE2ELNS1_3repE0EEENS1_30default_config_static_selectorELNS0_4arch9wavefront6targetE1EEEvT1_, .Lfunc_end1498-_ZN7rocprim17ROCPRIM_400000_NS6detail17trampoline_kernelINS0_14default_configENS1_27scan_by_key_config_selectorIiyEEZZNS1_16scan_by_key_implILNS1_25lookback_scan_determinismE0ELb1ES3_N6thrust23THRUST_200600_302600_NS6detail15normal_iteratorINS9_10device_ptrIiEEEENSB_INSC_IyEEEESG_yNS9_4plusIvEENS9_8equal_toIvEEyEE10hipError_tPvRmT2_T3_T4_T5_mT6_T7_P12ihipStream_tbENKUlT_T0_E_clISt17integral_constantIbLb0EES10_IbLb1EEEEDaSW_SX_EUlSW_E_NS1_11comp_targetILNS1_3genE8ELNS1_11target_archE1030ELNS1_3gpuE2ELNS1_3repE0EEENS1_30default_config_static_selectorELNS0_4arch9wavefront6targetE1EEEvT1_
                                        ; -- End function
	.section	.AMDGPU.csdata,"",@progbits
; Kernel info:
; codeLenInByte = 0
; NumSgprs: 6
; NumVgprs: 0
; NumAgprs: 0
; TotalNumVgprs: 0
; ScratchSize: 0
; MemoryBound: 0
; FloatMode: 240
; IeeeMode: 1
; LDSByteSize: 0 bytes/workgroup (compile time only)
; SGPRBlocks: 0
; VGPRBlocks: 0
; NumSGPRsForWavesPerEU: 6
; NumVGPRsForWavesPerEU: 1
; AccumOffset: 4
; Occupancy: 8
; WaveLimiterHint : 0
; COMPUTE_PGM_RSRC2:SCRATCH_EN: 0
; COMPUTE_PGM_RSRC2:USER_SGPR: 2
; COMPUTE_PGM_RSRC2:TRAP_HANDLER: 0
; COMPUTE_PGM_RSRC2:TGID_X_EN: 1
; COMPUTE_PGM_RSRC2:TGID_Y_EN: 0
; COMPUTE_PGM_RSRC2:TGID_Z_EN: 0
; COMPUTE_PGM_RSRC2:TIDIG_COMP_CNT: 0
; COMPUTE_PGM_RSRC3_GFX90A:ACCUM_OFFSET: 0
; COMPUTE_PGM_RSRC3_GFX90A:TG_SPLIT: 0
	.section	.text._ZN7rocprim17ROCPRIM_400000_NS6detail17trampoline_kernelINS0_14default_configENS1_27scan_by_key_config_selectorIijEEZZNS1_16scan_by_key_implILNS1_25lookback_scan_determinismE0ELb1ES3_N6thrust23THRUST_200600_302600_NS6detail15normal_iteratorINS9_10device_ptrIiEEEENSB_INSC_IjEEEESG_jNS9_4plusIvEENS9_8equal_toIvEEjEE10hipError_tPvRmT2_T3_T4_T5_mT6_T7_P12ihipStream_tbENKUlT_T0_E_clISt17integral_constantIbLb0EES11_EEDaSW_SX_EUlSW_E_NS1_11comp_targetILNS1_3genE0ELNS1_11target_archE4294967295ELNS1_3gpuE0ELNS1_3repE0EEENS1_30default_config_static_selectorELNS0_4arch9wavefront6targetE1EEEvT1_,"axG",@progbits,_ZN7rocprim17ROCPRIM_400000_NS6detail17trampoline_kernelINS0_14default_configENS1_27scan_by_key_config_selectorIijEEZZNS1_16scan_by_key_implILNS1_25lookback_scan_determinismE0ELb1ES3_N6thrust23THRUST_200600_302600_NS6detail15normal_iteratorINS9_10device_ptrIiEEEENSB_INSC_IjEEEESG_jNS9_4plusIvEENS9_8equal_toIvEEjEE10hipError_tPvRmT2_T3_T4_T5_mT6_T7_P12ihipStream_tbENKUlT_T0_E_clISt17integral_constantIbLb0EES11_EEDaSW_SX_EUlSW_E_NS1_11comp_targetILNS1_3genE0ELNS1_11target_archE4294967295ELNS1_3gpuE0ELNS1_3repE0EEENS1_30default_config_static_selectorELNS0_4arch9wavefront6targetE1EEEvT1_,comdat
	.protected	_ZN7rocprim17ROCPRIM_400000_NS6detail17trampoline_kernelINS0_14default_configENS1_27scan_by_key_config_selectorIijEEZZNS1_16scan_by_key_implILNS1_25lookback_scan_determinismE0ELb1ES3_N6thrust23THRUST_200600_302600_NS6detail15normal_iteratorINS9_10device_ptrIiEEEENSB_INSC_IjEEEESG_jNS9_4plusIvEENS9_8equal_toIvEEjEE10hipError_tPvRmT2_T3_T4_T5_mT6_T7_P12ihipStream_tbENKUlT_T0_E_clISt17integral_constantIbLb0EES11_EEDaSW_SX_EUlSW_E_NS1_11comp_targetILNS1_3genE0ELNS1_11target_archE4294967295ELNS1_3gpuE0ELNS1_3repE0EEENS1_30default_config_static_selectorELNS0_4arch9wavefront6targetE1EEEvT1_ ; -- Begin function _ZN7rocprim17ROCPRIM_400000_NS6detail17trampoline_kernelINS0_14default_configENS1_27scan_by_key_config_selectorIijEEZZNS1_16scan_by_key_implILNS1_25lookback_scan_determinismE0ELb1ES3_N6thrust23THRUST_200600_302600_NS6detail15normal_iteratorINS9_10device_ptrIiEEEENSB_INSC_IjEEEESG_jNS9_4plusIvEENS9_8equal_toIvEEjEE10hipError_tPvRmT2_T3_T4_T5_mT6_T7_P12ihipStream_tbENKUlT_T0_E_clISt17integral_constantIbLb0EES11_EEDaSW_SX_EUlSW_E_NS1_11comp_targetILNS1_3genE0ELNS1_11target_archE4294967295ELNS1_3gpuE0ELNS1_3repE0EEENS1_30default_config_static_selectorELNS0_4arch9wavefront6targetE1EEEvT1_
	.globl	_ZN7rocprim17ROCPRIM_400000_NS6detail17trampoline_kernelINS0_14default_configENS1_27scan_by_key_config_selectorIijEEZZNS1_16scan_by_key_implILNS1_25lookback_scan_determinismE0ELb1ES3_N6thrust23THRUST_200600_302600_NS6detail15normal_iteratorINS9_10device_ptrIiEEEENSB_INSC_IjEEEESG_jNS9_4plusIvEENS9_8equal_toIvEEjEE10hipError_tPvRmT2_T3_T4_T5_mT6_T7_P12ihipStream_tbENKUlT_T0_E_clISt17integral_constantIbLb0EES11_EEDaSW_SX_EUlSW_E_NS1_11comp_targetILNS1_3genE0ELNS1_11target_archE4294967295ELNS1_3gpuE0ELNS1_3repE0EEENS1_30default_config_static_selectorELNS0_4arch9wavefront6targetE1EEEvT1_
	.p2align	8
	.type	_ZN7rocprim17ROCPRIM_400000_NS6detail17trampoline_kernelINS0_14default_configENS1_27scan_by_key_config_selectorIijEEZZNS1_16scan_by_key_implILNS1_25lookback_scan_determinismE0ELb1ES3_N6thrust23THRUST_200600_302600_NS6detail15normal_iteratorINS9_10device_ptrIiEEEENSB_INSC_IjEEEESG_jNS9_4plusIvEENS9_8equal_toIvEEjEE10hipError_tPvRmT2_T3_T4_T5_mT6_T7_P12ihipStream_tbENKUlT_T0_E_clISt17integral_constantIbLb0EES11_EEDaSW_SX_EUlSW_E_NS1_11comp_targetILNS1_3genE0ELNS1_11target_archE4294967295ELNS1_3gpuE0ELNS1_3repE0EEENS1_30default_config_static_selectorELNS0_4arch9wavefront6targetE1EEEvT1_,@function
_ZN7rocprim17ROCPRIM_400000_NS6detail17trampoline_kernelINS0_14default_configENS1_27scan_by_key_config_selectorIijEEZZNS1_16scan_by_key_implILNS1_25lookback_scan_determinismE0ELb1ES3_N6thrust23THRUST_200600_302600_NS6detail15normal_iteratorINS9_10device_ptrIiEEEENSB_INSC_IjEEEESG_jNS9_4plusIvEENS9_8equal_toIvEEjEE10hipError_tPvRmT2_T3_T4_T5_mT6_T7_P12ihipStream_tbENKUlT_T0_E_clISt17integral_constantIbLb0EES11_EEDaSW_SX_EUlSW_E_NS1_11comp_targetILNS1_3genE0ELNS1_11target_archE4294967295ELNS1_3gpuE0ELNS1_3repE0EEENS1_30default_config_static_selectorELNS0_4arch9wavefront6targetE1EEEvT1_: ; @_ZN7rocprim17ROCPRIM_400000_NS6detail17trampoline_kernelINS0_14default_configENS1_27scan_by_key_config_selectorIijEEZZNS1_16scan_by_key_implILNS1_25lookback_scan_determinismE0ELb1ES3_N6thrust23THRUST_200600_302600_NS6detail15normal_iteratorINS9_10device_ptrIiEEEENSB_INSC_IjEEEESG_jNS9_4plusIvEENS9_8equal_toIvEEjEE10hipError_tPvRmT2_T3_T4_T5_mT6_T7_P12ihipStream_tbENKUlT_T0_E_clISt17integral_constantIbLb0EES11_EEDaSW_SX_EUlSW_E_NS1_11comp_targetILNS1_3genE0ELNS1_11target_archE4294967295ELNS1_3gpuE0ELNS1_3repE0EEENS1_30default_config_static_selectorELNS0_4arch9wavefront6targetE1EEEvT1_
; %bb.0:
	.section	.rodata,"a",@progbits
	.p2align	6, 0x0
	.amdhsa_kernel _ZN7rocprim17ROCPRIM_400000_NS6detail17trampoline_kernelINS0_14default_configENS1_27scan_by_key_config_selectorIijEEZZNS1_16scan_by_key_implILNS1_25lookback_scan_determinismE0ELb1ES3_N6thrust23THRUST_200600_302600_NS6detail15normal_iteratorINS9_10device_ptrIiEEEENSB_INSC_IjEEEESG_jNS9_4plusIvEENS9_8equal_toIvEEjEE10hipError_tPvRmT2_T3_T4_T5_mT6_T7_P12ihipStream_tbENKUlT_T0_E_clISt17integral_constantIbLb0EES11_EEDaSW_SX_EUlSW_E_NS1_11comp_targetILNS1_3genE0ELNS1_11target_archE4294967295ELNS1_3gpuE0ELNS1_3repE0EEENS1_30default_config_static_selectorELNS0_4arch9wavefront6targetE1EEEvT1_
		.amdhsa_group_segment_fixed_size 0
		.amdhsa_private_segment_fixed_size 0
		.amdhsa_kernarg_size 112
		.amdhsa_user_sgpr_count 2
		.amdhsa_user_sgpr_dispatch_ptr 0
		.amdhsa_user_sgpr_queue_ptr 0
		.amdhsa_user_sgpr_kernarg_segment_ptr 1
		.amdhsa_user_sgpr_dispatch_id 0
		.amdhsa_user_sgpr_kernarg_preload_length 0
		.amdhsa_user_sgpr_kernarg_preload_offset 0
		.amdhsa_user_sgpr_private_segment_size 0
		.amdhsa_uses_dynamic_stack 0
		.amdhsa_enable_private_segment 0
		.amdhsa_system_sgpr_workgroup_id_x 1
		.amdhsa_system_sgpr_workgroup_id_y 0
		.amdhsa_system_sgpr_workgroup_id_z 0
		.amdhsa_system_sgpr_workgroup_info 0
		.amdhsa_system_vgpr_workitem_id 0
		.amdhsa_next_free_vgpr 1
		.amdhsa_next_free_sgpr 0
		.amdhsa_accum_offset 4
		.amdhsa_reserve_vcc 0
		.amdhsa_float_round_mode_32 0
		.amdhsa_float_round_mode_16_64 0
		.amdhsa_float_denorm_mode_32 3
		.amdhsa_float_denorm_mode_16_64 3
		.amdhsa_dx10_clamp 1
		.amdhsa_ieee_mode 1
		.amdhsa_fp16_overflow 0
		.amdhsa_tg_split 0
		.amdhsa_exception_fp_ieee_invalid_op 0
		.amdhsa_exception_fp_denorm_src 0
		.amdhsa_exception_fp_ieee_div_zero 0
		.amdhsa_exception_fp_ieee_overflow 0
		.amdhsa_exception_fp_ieee_underflow 0
		.amdhsa_exception_fp_ieee_inexact 0
		.amdhsa_exception_int_div_zero 0
	.end_amdhsa_kernel
	.section	.text._ZN7rocprim17ROCPRIM_400000_NS6detail17trampoline_kernelINS0_14default_configENS1_27scan_by_key_config_selectorIijEEZZNS1_16scan_by_key_implILNS1_25lookback_scan_determinismE0ELb1ES3_N6thrust23THRUST_200600_302600_NS6detail15normal_iteratorINS9_10device_ptrIiEEEENSB_INSC_IjEEEESG_jNS9_4plusIvEENS9_8equal_toIvEEjEE10hipError_tPvRmT2_T3_T4_T5_mT6_T7_P12ihipStream_tbENKUlT_T0_E_clISt17integral_constantIbLb0EES11_EEDaSW_SX_EUlSW_E_NS1_11comp_targetILNS1_3genE0ELNS1_11target_archE4294967295ELNS1_3gpuE0ELNS1_3repE0EEENS1_30default_config_static_selectorELNS0_4arch9wavefront6targetE1EEEvT1_,"axG",@progbits,_ZN7rocprim17ROCPRIM_400000_NS6detail17trampoline_kernelINS0_14default_configENS1_27scan_by_key_config_selectorIijEEZZNS1_16scan_by_key_implILNS1_25lookback_scan_determinismE0ELb1ES3_N6thrust23THRUST_200600_302600_NS6detail15normal_iteratorINS9_10device_ptrIiEEEENSB_INSC_IjEEEESG_jNS9_4plusIvEENS9_8equal_toIvEEjEE10hipError_tPvRmT2_T3_T4_T5_mT6_T7_P12ihipStream_tbENKUlT_T0_E_clISt17integral_constantIbLb0EES11_EEDaSW_SX_EUlSW_E_NS1_11comp_targetILNS1_3genE0ELNS1_11target_archE4294967295ELNS1_3gpuE0ELNS1_3repE0EEENS1_30default_config_static_selectorELNS0_4arch9wavefront6targetE1EEEvT1_,comdat
.Lfunc_end1499:
	.size	_ZN7rocprim17ROCPRIM_400000_NS6detail17trampoline_kernelINS0_14default_configENS1_27scan_by_key_config_selectorIijEEZZNS1_16scan_by_key_implILNS1_25lookback_scan_determinismE0ELb1ES3_N6thrust23THRUST_200600_302600_NS6detail15normal_iteratorINS9_10device_ptrIiEEEENSB_INSC_IjEEEESG_jNS9_4plusIvEENS9_8equal_toIvEEjEE10hipError_tPvRmT2_T3_T4_T5_mT6_T7_P12ihipStream_tbENKUlT_T0_E_clISt17integral_constantIbLb0EES11_EEDaSW_SX_EUlSW_E_NS1_11comp_targetILNS1_3genE0ELNS1_11target_archE4294967295ELNS1_3gpuE0ELNS1_3repE0EEENS1_30default_config_static_selectorELNS0_4arch9wavefront6targetE1EEEvT1_, .Lfunc_end1499-_ZN7rocprim17ROCPRIM_400000_NS6detail17trampoline_kernelINS0_14default_configENS1_27scan_by_key_config_selectorIijEEZZNS1_16scan_by_key_implILNS1_25lookback_scan_determinismE0ELb1ES3_N6thrust23THRUST_200600_302600_NS6detail15normal_iteratorINS9_10device_ptrIiEEEENSB_INSC_IjEEEESG_jNS9_4plusIvEENS9_8equal_toIvEEjEE10hipError_tPvRmT2_T3_T4_T5_mT6_T7_P12ihipStream_tbENKUlT_T0_E_clISt17integral_constantIbLb0EES11_EEDaSW_SX_EUlSW_E_NS1_11comp_targetILNS1_3genE0ELNS1_11target_archE4294967295ELNS1_3gpuE0ELNS1_3repE0EEENS1_30default_config_static_selectorELNS0_4arch9wavefront6targetE1EEEvT1_
                                        ; -- End function
	.section	.AMDGPU.csdata,"",@progbits
; Kernel info:
; codeLenInByte = 0
; NumSgprs: 6
; NumVgprs: 0
; NumAgprs: 0
; TotalNumVgprs: 0
; ScratchSize: 0
; MemoryBound: 0
; FloatMode: 240
; IeeeMode: 1
; LDSByteSize: 0 bytes/workgroup (compile time only)
; SGPRBlocks: 0
; VGPRBlocks: 0
; NumSGPRsForWavesPerEU: 6
; NumVGPRsForWavesPerEU: 1
; AccumOffset: 4
; Occupancy: 8
; WaveLimiterHint : 0
; COMPUTE_PGM_RSRC2:SCRATCH_EN: 0
; COMPUTE_PGM_RSRC2:USER_SGPR: 2
; COMPUTE_PGM_RSRC2:TRAP_HANDLER: 0
; COMPUTE_PGM_RSRC2:TGID_X_EN: 1
; COMPUTE_PGM_RSRC2:TGID_Y_EN: 0
; COMPUTE_PGM_RSRC2:TGID_Z_EN: 0
; COMPUTE_PGM_RSRC2:TIDIG_COMP_CNT: 0
; COMPUTE_PGM_RSRC3_GFX90A:ACCUM_OFFSET: 0
; COMPUTE_PGM_RSRC3_GFX90A:TG_SPLIT: 0
	.section	.text._ZN7rocprim17ROCPRIM_400000_NS6detail17trampoline_kernelINS0_14default_configENS1_27scan_by_key_config_selectorIijEEZZNS1_16scan_by_key_implILNS1_25lookback_scan_determinismE0ELb1ES3_N6thrust23THRUST_200600_302600_NS6detail15normal_iteratorINS9_10device_ptrIiEEEENSB_INSC_IjEEEESG_jNS9_4plusIvEENS9_8equal_toIvEEjEE10hipError_tPvRmT2_T3_T4_T5_mT6_T7_P12ihipStream_tbENKUlT_T0_E_clISt17integral_constantIbLb0EES11_EEDaSW_SX_EUlSW_E_NS1_11comp_targetILNS1_3genE10ELNS1_11target_archE1201ELNS1_3gpuE5ELNS1_3repE0EEENS1_30default_config_static_selectorELNS0_4arch9wavefront6targetE1EEEvT1_,"axG",@progbits,_ZN7rocprim17ROCPRIM_400000_NS6detail17trampoline_kernelINS0_14default_configENS1_27scan_by_key_config_selectorIijEEZZNS1_16scan_by_key_implILNS1_25lookback_scan_determinismE0ELb1ES3_N6thrust23THRUST_200600_302600_NS6detail15normal_iteratorINS9_10device_ptrIiEEEENSB_INSC_IjEEEESG_jNS9_4plusIvEENS9_8equal_toIvEEjEE10hipError_tPvRmT2_T3_T4_T5_mT6_T7_P12ihipStream_tbENKUlT_T0_E_clISt17integral_constantIbLb0EES11_EEDaSW_SX_EUlSW_E_NS1_11comp_targetILNS1_3genE10ELNS1_11target_archE1201ELNS1_3gpuE5ELNS1_3repE0EEENS1_30default_config_static_selectorELNS0_4arch9wavefront6targetE1EEEvT1_,comdat
	.protected	_ZN7rocprim17ROCPRIM_400000_NS6detail17trampoline_kernelINS0_14default_configENS1_27scan_by_key_config_selectorIijEEZZNS1_16scan_by_key_implILNS1_25lookback_scan_determinismE0ELb1ES3_N6thrust23THRUST_200600_302600_NS6detail15normal_iteratorINS9_10device_ptrIiEEEENSB_INSC_IjEEEESG_jNS9_4plusIvEENS9_8equal_toIvEEjEE10hipError_tPvRmT2_T3_T4_T5_mT6_T7_P12ihipStream_tbENKUlT_T0_E_clISt17integral_constantIbLb0EES11_EEDaSW_SX_EUlSW_E_NS1_11comp_targetILNS1_3genE10ELNS1_11target_archE1201ELNS1_3gpuE5ELNS1_3repE0EEENS1_30default_config_static_selectorELNS0_4arch9wavefront6targetE1EEEvT1_ ; -- Begin function _ZN7rocprim17ROCPRIM_400000_NS6detail17trampoline_kernelINS0_14default_configENS1_27scan_by_key_config_selectorIijEEZZNS1_16scan_by_key_implILNS1_25lookback_scan_determinismE0ELb1ES3_N6thrust23THRUST_200600_302600_NS6detail15normal_iteratorINS9_10device_ptrIiEEEENSB_INSC_IjEEEESG_jNS9_4plusIvEENS9_8equal_toIvEEjEE10hipError_tPvRmT2_T3_T4_T5_mT6_T7_P12ihipStream_tbENKUlT_T0_E_clISt17integral_constantIbLb0EES11_EEDaSW_SX_EUlSW_E_NS1_11comp_targetILNS1_3genE10ELNS1_11target_archE1201ELNS1_3gpuE5ELNS1_3repE0EEENS1_30default_config_static_selectorELNS0_4arch9wavefront6targetE1EEEvT1_
	.globl	_ZN7rocprim17ROCPRIM_400000_NS6detail17trampoline_kernelINS0_14default_configENS1_27scan_by_key_config_selectorIijEEZZNS1_16scan_by_key_implILNS1_25lookback_scan_determinismE0ELb1ES3_N6thrust23THRUST_200600_302600_NS6detail15normal_iteratorINS9_10device_ptrIiEEEENSB_INSC_IjEEEESG_jNS9_4plusIvEENS9_8equal_toIvEEjEE10hipError_tPvRmT2_T3_T4_T5_mT6_T7_P12ihipStream_tbENKUlT_T0_E_clISt17integral_constantIbLb0EES11_EEDaSW_SX_EUlSW_E_NS1_11comp_targetILNS1_3genE10ELNS1_11target_archE1201ELNS1_3gpuE5ELNS1_3repE0EEENS1_30default_config_static_selectorELNS0_4arch9wavefront6targetE1EEEvT1_
	.p2align	8
	.type	_ZN7rocprim17ROCPRIM_400000_NS6detail17trampoline_kernelINS0_14default_configENS1_27scan_by_key_config_selectorIijEEZZNS1_16scan_by_key_implILNS1_25lookback_scan_determinismE0ELb1ES3_N6thrust23THRUST_200600_302600_NS6detail15normal_iteratorINS9_10device_ptrIiEEEENSB_INSC_IjEEEESG_jNS9_4plusIvEENS9_8equal_toIvEEjEE10hipError_tPvRmT2_T3_T4_T5_mT6_T7_P12ihipStream_tbENKUlT_T0_E_clISt17integral_constantIbLb0EES11_EEDaSW_SX_EUlSW_E_NS1_11comp_targetILNS1_3genE10ELNS1_11target_archE1201ELNS1_3gpuE5ELNS1_3repE0EEENS1_30default_config_static_selectorELNS0_4arch9wavefront6targetE1EEEvT1_,@function
_ZN7rocprim17ROCPRIM_400000_NS6detail17trampoline_kernelINS0_14default_configENS1_27scan_by_key_config_selectorIijEEZZNS1_16scan_by_key_implILNS1_25lookback_scan_determinismE0ELb1ES3_N6thrust23THRUST_200600_302600_NS6detail15normal_iteratorINS9_10device_ptrIiEEEENSB_INSC_IjEEEESG_jNS9_4plusIvEENS9_8equal_toIvEEjEE10hipError_tPvRmT2_T3_T4_T5_mT6_T7_P12ihipStream_tbENKUlT_T0_E_clISt17integral_constantIbLb0EES11_EEDaSW_SX_EUlSW_E_NS1_11comp_targetILNS1_3genE10ELNS1_11target_archE1201ELNS1_3gpuE5ELNS1_3repE0EEENS1_30default_config_static_selectorELNS0_4arch9wavefront6targetE1EEEvT1_: ; @_ZN7rocprim17ROCPRIM_400000_NS6detail17trampoline_kernelINS0_14default_configENS1_27scan_by_key_config_selectorIijEEZZNS1_16scan_by_key_implILNS1_25lookback_scan_determinismE0ELb1ES3_N6thrust23THRUST_200600_302600_NS6detail15normal_iteratorINS9_10device_ptrIiEEEENSB_INSC_IjEEEESG_jNS9_4plusIvEENS9_8equal_toIvEEjEE10hipError_tPvRmT2_T3_T4_T5_mT6_T7_P12ihipStream_tbENKUlT_T0_E_clISt17integral_constantIbLb0EES11_EEDaSW_SX_EUlSW_E_NS1_11comp_targetILNS1_3genE10ELNS1_11target_archE1201ELNS1_3gpuE5ELNS1_3repE0EEENS1_30default_config_static_selectorELNS0_4arch9wavefront6targetE1EEEvT1_
; %bb.0:
	.section	.rodata,"a",@progbits
	.p2align	6, 0x0
	.amdhsa_kernel _ZN7rocprim17ROCPRIM_400000_NS6detail17trampoline_kernelINS0_14default_configENS1_27scan_by_key_config_selectorIijEEZZNS1_16scan_by_key_implILNS1_25lookback_scan_determinismE0ELb1ES3_N6thrust23THRUST_200600_302600_NS6detail15normal_iteratorINS9_10device_ptrIiEEEENSB_INSC_IjEEEESG_jNS9_4plusIvEENS9_8equal_toIvEEjEE10hipError_tPvRmT2_T3_T4_T5_mT6_T7_P12ihipStream_tbENKUlT_T0_E_clISt17integral_constantIbLb0EES11_EEDaSW_SX_EUlSW_E_NS1_11comp_targetILNS1_3genE10ELNS1_11target_archE1201ELNS1_3gpuE5ELNS1_3repE0EEENS1_30default_config_static_selectorELNS0_4arch9wavefront6targetE1EEEvT1_
		.amdhsa_group_segment_fixed_size 0
		.amdhsa_private_segment_fixed_size 0
		.amdhsa_kernarg_size 112
		.amdhsa_user_sgpr_count 2
		.amdhsa_user_sgpr_dispatch_ptr 0
		.amdhsa_user_sgpr_queue_ptr 0
		.amdhsa_user_sgpr_kernarg_segment_ptr 1
		.amdhsa_user_sgpr_dispatch_id 0
		.amdhsa_user_sgpr_kernarg_preload_length 0
		.amdhsa_user_sgpr_kernarg_preload_offset 0
		.amdhsa_user_sgpr_private_segment_size 0
		.amdhsa_uses_dynamic_stack 0
		.amdhsa_enable_private_segment 0
		.amdhsa_system_sgpr_workgroup_id_x 1
		.amdhsa_system_sgpr_workgroup_id_y 0
		.amdhsa_system_sgpr_workgroup_id_z 0
		.amdhsa_system_sgpr_workgroup_info 0
		.amdhsa_system_vgpr_workitem_id 0
		.amdhsa_next_free_vgpr 1
		.amdhsa_next_free_sgpr 0
		.amdhsa_accum_offset 4
		.amdhsa_reserve_vcc 0
		.amdhsa_float_round_mode_32 0
		.amdhsa_float_round_mode_16_64 0
		.amdhsa_float_denorm_mode_32 3
		.amdhsa_float_denorm_mode_16_64 3
		.amdhsa_dx10_clamp 1
		.amdhsa_ieee_mode 1
		.amdhsa_fp16_overflow 0
		.amdhsa_tg_split 0
		.amdhsa_exception_fp_ieee_invalid_op 0
		.amdhsa_exception_fp_denorm_src 0
		.amdhsa_exception_fp_ieee_div_zero 0
		.amdhsa_exception_fp_ieee_overflow 0
		.amdhsa_exception_fp_ieee_underflow 0
		.amdhsa_exception_fp_ieee_inexact 0
		.amdhsa_exception_int_div_zero 0
	.end_amdhsa_kernel
	.section	.text._ZN7rocprim17ROCPRIM_400000_NS6detail17trampoline_kernelINS0_14default_configENS1_27scan_by_key_config_selectorIijEEZZNS1_16scan_by_key_implILNS1_25lookback_scan_determinismE0ELb1ES3_N6thrust23THRUST_200600_302600_NS6detail15normal_iteratorINS9_10device_ptrIiEEEENSB_INSC_IjEEEESG_jNS9_4plusIvEENS9_8equal_toIvEEjEE10hipError_tPvRmT2_T3_T4_T5_mT6_T7_P12ihipStream_tbENKUlT_T0_E_clISt17integral_constantIbLb0EES11_EEDaSW_SX_EUlSW_E_NS1_11comp_targetILNS1_3genE10ELNS1_11target_archE1201ELNS1_3gpuE5ELNS1_3repE0EEENS1_30default_config_static_selectorELNS0_4arch9wavefront6targetE1EEEvT1_,"axG",@progbits,_ZN7rocprim17ROCPRIM_400000_NS6detail17trampoline_kernelINS0_14default_configENS1_27scan_by_key_config_selectorIijEEZZNS1_16scan_by_key_implILNS1_25lookback_scan_determinismE0ELb1ES3_N6thrust23THRUST_200600_302600_NS6detail15normal_iteratorINS9_10device_ptrIiEEEENSB_INSC_IjEEEESG_jNS9_4plusIvEENS9_8equal_toIvEEjEE10hipError_tPvRmT2_T3_T4_T5_mT6_T7_P12ihipStream_tbENKUlT_T0_E_clISt17integral_constantIbLb0EES11_EEDaSW_SX_EUlSW_E_NS1_11comp_targetILNS1_3genE10ELNS1_11target_archE1201ELNS1_3gpuE5ELNS1_3repE0EEENS1_30default_config_static_selectorELNS0_4arch9wavefront6targetE1EEEvT1_,comdat
.Lfunc_end1500:
	.size	_ZN7rocprim17ROCPRIM_400000_NS6detail17trampoline_kernelINS0_14default_configENS1_27scan_by_key_config_selectorIijEEZZNS1_16scan_by_key_implILNS1_25lookback_scan_determinismE0ELb1ES3_N6thrust23THRUST_200600_302600_NS6detail15normal_iteratorINS9_10device_ptrIiEEEENSB_INSC_IjEEEESG_jNS9_4plusIvEENS9_8equal_toIvEEjEE10hipError_tPvRmT2_T3_T4_T5_mT6_T7_P12ihipStream_tbENKUlT_T0_E_clISt17integral_constantIbLb0EES11_EEDaSW_SX_EUlSW_E_NS1_11comp_targetILNS1_3genE10ELNS1_11target_archE1201ELNS1_3gpuE5ELNS1_3repE0EEENS1_30default_config_static_selectorELNS0_4arch9wavefront6targetE1EEEvT1_, .Lfunc_end1500-_ZN7rocprim17ROCPRIM_400000_NS6detail17trampoline_kernelINS0_14default_configENS1_27scan_by_key_config_selectorIijEEZZNS1_16scan_by_key_implILNS1_25lookback_scan_determinismE0ELb1ES3_N6thrust23THRUST_200600_302600_NS6detail15normal_iteratorINS9_10device_ptrIiEEEENSB_INSC_IjEEEESG_jNS9_4plusIvEENS9_8equal_toIvEEjEE10hipError_tPvRmT2_T3_T4_T5_mT6_T7_P12ihipStream_tbENKUlT_T0_E_clISt17integral_constantIbLb0EES11_EEDaSW_SX_EUlSW_E_NS1_11comp_targetILNS1_3genE10ELNS1_11target_archE1201ELNS1_3gpuE5ELNS1_3repE0EEENS1_30default_config_static_selectorELNS0_4arch9wavefront6targetE1EEEvT1_
                                        ; -- End function
	.section	.AMDGPU.csdata,"",@progbits
; Kernel info:
; codeLenInByte = 0
; NumSgprs: 6
; NumVgprs: 0
; NumAgprs: 0
; TotalNumVgprs: 0
; ScratchSize: 0
; MemoryBound: 0
; FloatMode: 240
; IeeeMode: 1
; LDSByteSize: 0 bytes/workgroup (compile time only)
; SGPRBlocks: 0
; VGPRBlocks: 0
; NumSGPRsForWavesPerEU: 6
; NumVGPRsForWavesPerEU: 1
; AccumOffset: 4
; Occupancy: 8
; WaveLimiterHint : 0
; COMPUTE_PGM_RSRC2:SCRATCH_EN: 0
; COMPUTE_PGM_RSRC2:USER_SGPR: 2
; COMPUTE_PGM_RSRC2:TRAP_HANDLER: 0
; COMPUTE_PGM_RSRC2:TGID_X_EN: 1
; COMPUTE_PGM_RSRC2:TGID_Y_EN: 0
; COMPUTE_PGM_RSRC2:TGID_Z_EN: 0
; COMPUTE_PGM_RSRC2:TIDIG_COMP_CNT: 0
; COMPUTE_PGM_RSRC3_GFX90A:ACCUM_OFFSET: 0
; COMPUTE_PGM_RSRC3_GFX90A:TG_SPLIT: 0
	.section	.text._ZN7rocprim17ROCPRIM_400000_NS6detail17trampoline_kernelINS0_14default_configENS1_27scan_by_key_config_selectorIijEEZZNS1_16scan_by_key_implILNS1_25lookback_scan_determinismE0ELb1ES3_N6thrust23THRUST_200600_302600_NS6detail15normal_iteratorINS9_10device_ptrIiEEEENSB_INSC_IjEEEESG_jNS9_4plusIvEENS9_8equal_toIvEEjEE10hipError_tPvRmT2_T3_T4_T5_mT6_T7_P12ihipStream_tbENKUlT_T0_E_clISt17integral_constantIbLb0EES11_EEDaSW_SX_EUlSW_E_NS1_11comp_targetILNS1_3genE5ELNS1_11target_archE942ELNS1_3gpuE9ELNS1_3repE0EEENS1_30default_config_static_selectorELNS0_4arch9wavefront6targetE1EEEvT1_,"axG",@progbits,_ZN7rocprim17ROCPRIM_400000_NS6detail17trampoline_kernelINS0_14default_configENS1_27scan_by_key_config_selectorIijEEZZNS1_16scan_by_key_implILNS1_25lookback_scan_determinismE0ELb1ES3_N6thrust23THRUST_200600_302600_NS6detail15normal_iteratorINS9_10device_ptrIiEEEENSB_INSC_IjEEEESG_jNS9_4plusIvEENS9_8equal_toIvEEjEE10hipError_tPvRmT2_T3_T4_T5_mT6_T7_P12ihipStream_tbENKUlT_T0_E_clISt17integral_constantIbLb0EES11_EEDaSW_SX_EUlSW_E_NS1_11comp_targetILNS1_3genE5ELNS1_11target_archE942ELNS1_3gpuE9ELNS1_3repE0EEENS1_30default_config_static_selectorELNS0_4arch9wavefront6targetE1EEEvT1_,comdat
	.protected	_ZN7rocprim17ROCPRIM_400000_NS6detail17trampoline_kernelINS0_14default_configENS1_27scan_by_key_config_selectorIijEEZZNS1_16scan_by_key_implILNS1_25lookback_scan_determinismE0ELb1ES3_N6thrust23THRUST_200600_302600_NS6detail15normal_iteratorINS9_10device_ptrIiEEEENSB_INSC_IjEEEESG_jNS9_4plusIvEENS9_8equal_toIvEEjEE10hipError_tPvRmT2_T3_T4_T5_mT6_T7_P12ihipStream_tbENKUlT_T0_E_clISt17integral_constantIbLb0EES11_EEDaSW_SX_EUlSW_E_NS1_11comp_targetILNS1_3genE5ELNS1_11target_archE942ELNS1_3gpuE9ELNS1_3repE0EEENS1_30default_config_static_selectorELNS0_4arch9wavefront6targetE1EEEvT1_ ; -- Begin function _ZN7rocprim17ROCPRIM_400000_NS6detail17trampoline_kernelINS0_14default_configENS1_27scan_by_key_config_selectorIijEEZZNS1_16scan_by_key_implILNS1_25lookback_scan_determinismE0ELb1ES3_N6thrust23THRUST_200600_302600_NS6detail15normal_iteratorINS9_10device_ptrIiEEEENSB_INSC_IjEEEESG_jNS9_4plusIvEENS9_8equal_toIvEEjEE10hipError_tPvRmT2_T3_T4_T5_mT6_T7_P12ihipStream_tbENKUlT_T0_E_clISt17integral_constantIbLb0EES11_EEDaSW_SX_EUlSW_E_NS1_11comp_targetILNS1_3genE5ELNS1_11target_archE942ELNS1_3gpuE9ELNS1_3repE0EEENS1_30default_config_static_selectorELNS0_4arch9wavefront6targetE1EEEvT1_
	.globl	_ZN7rocprim17ROCPRIM_400000_NS6detail17trampoline_kernelINS0_14default_configENS1_27scan_by_key_config_selectorIijEEZZNS1_16scan_by_key_implILNS1_25lookback_scan_determinismE0ELb1ES3_N6thrust23THRUST_200600_302600_NS6detail15normal_iteratorINS9_10device_ptrIiEEEENSB_INSC_IjEEEESG_jNS9_4plusIvEENS9_8equal_toIvEEjEE10hipError_tPvRmT2_T3_T4_T5_mT6_T7_P12ihipStream_tbENKUlT_T0_E_clISt17integral_constantIbLb0EES11_EEDaSW_SX_EUlSW_E_NS1_11comp_targetILNS1_3genE5ELNS1_11target_archE942ELNS1_3gpuE9ELNS1_3repE0EEENS1_30default_config_static_selectorELNS0_4arch9wavefront6targetE1EEEvT1_
	.p2align	8
	.type	_ZN7rocprim17ROCPRIM_400000_NS6detail17trampoline_kernelINS0_14default_configENS1_27scan_by_key_config_selectorIijEEZZNS1_16scan_by_key_implILNS1_25lookback_scan_determinismE0ELb1ES3_N6thrust23THRUST_200600_302600_NS6detail15normal_iteratorINS9_10device_ptrIiEEEENSB_INSC_IjEEEESG_jNS9_4plusIvEENS9_8equal_toIvEEjEE10hipError_tPvRmT2_T3_T4_T5_mT6_T7_P12ihipStream_tbENKUlT_T0_E_clISt17integral_constantIbLb0EES11_EEDaSW_SX_EUlSW_E_NS1_11comp_targetILNS1_3genE5ELNS1_11target_archE942ELNS1_3gpuE9ELNS1_3repE0EEENS1_30default_config_static_selectorELNS0_4arch9wavefront6targetE1EEEvT1_,@function
_ZN7rocprim17ROCPRIM_400000_NS6detail17trampoline_kernelINS0_14default_configENS1_27scan_by_key_config_selectorIijEEZZNS1_16scan_by_key_implILNS1_25lookback_scan_determinismE0ELb1ES3_N6thrust23THRUST_200600_302600_NS6detail15normal_iteratorINS9_10device_ptrIiEEEENSB_INSC_IjEEEESG_jNS9_4plusIvEENS9_8equal_toIvEEjEE10hipError_tPvRmT2_T3_T4_T5_mT6_T7_P12ihipStream_tbENKUlT_T0_E_clISt17integral_constantIbLb0EES11_EEDaSW_SX_EUlSW_E_NS1_11comp_targetILNS1_3genE5ELNS1_11target_archE942ELNS1_3gpuE9ELNS1_3repE0EEENS1_30default_config_static_selectorELNS0_4arch9wavefront6targetE1EEEvT1_: ; @_ZN7rocprim17ROCPRIM_400000_NS6detail17trampoline_kernelINS0_14default_configENS1_27scan_by_key_config_selectorIijEEZZNS1_16scan_by_key_implILNS1_25lookback_scan_determinismE0ELb1ES3_N6thrust23THRUST_200600_302600_NS6detail15normal_iteratorINS9_10device_ptrIiEEEENSB_INSC_IjEEEESG_jNS9_4plusIvEENS9_8equal_toIvEEjEE10hipError_tPvRmT2_T3_T4_T5_mT6_T7_P12ihipStream_tbENKUlT_T0_E_clISt17integral_constantIbLb0EES11_EEDaSW_SX_EUlSW_E_NS1_11comp_targetILNS1_3genE5ELNS1_11target_archE942ELNS1_3gpuE9ELNS1_3repE0EEENS1_30default_config_static_selectorELNS0_4arch9wavefront6targetE1EEEvT1_
; %bb.0:
	s_load_dwordx8 s[48:55], s[0:1], 0x0
	s_load_dword s76, s[0:1], 0x20
	s_load_dwordx4 s[56:59], s[0:1], 0x28
	s_load_dwordx2 s[68:69], s[0:1], 0x38
	s_load_dword s3, s[0:1], 0x40
	s_load_dwordx4 s[60:63], s[0:1], 0x48
	s_waitcnt lgkmcnt(0)
	s_lshl_b64 s[64:65], s[50:51], 2
	s_add_u32 s4, s48, s64
	s_addc_u32 s5, s49, s65
	s_add_u32 s6, s52, s64
	s_mul_i32 s0, s69, s3
	s_mul_hi_u32 s1, s68, s3
	s_addc_u32 s7, s53, s65
	s_add_i32 s8, s1, s0
	s_mul_i32 s0, s2, 0x1700
	s_mov_b32 s1, 0
	s_lshl_b64 s[66:67], s[0:1], 2
	s_add_u32 s70, s4, s66
	s_addc_u32 s71, s5, s67
	s_add_u32 s52, s6, s66
	s_mul_i32 s3, s68, s3
	s_addc_u32 s53, s7, s67
	s_add_u32 s0, s3, s2
	s_addc_u32 s1, s8, 0
	s_add_u32 s6, s60, -1
	s_addc_u32 s7, s61, -1
	v_mov_b64_e32 v[2:3], s[6:7]
	v_cmp_ge_u64_e64 s[0:1], s[0:1], v[2:3]
	s_mov_b64 s[4:5], -1
	s_and_b64 vcc, exec, s[0:1]
	s_mul_i32 s33, s6, 0xffffe900
	s_barrier
	s_cbranch_vccz .LBB1501_71
; %bb.1:
	v_mov_b64_e32 v[2:3], s[70:71]
	flat_load_dword v1, v[2:3]
	s_add_i32 s3, s33, s58
	v_cmp_gt_u32_e32 vcc, s3, v0
	s_waitcnt vmcnt(0) lgkmcnt(0)
	v_mov_b32_e32 v4, v1
	s_and_saveexec_b64 s[4:5], vcc
	s_cbranch_execz .LBB1501_3
; %bb.2:
	v_lshlrev_b32_e32 v2, 2, v0
	v_mov_b32_e32 v3, 0
	v_lshl_add_u64 v[2:3], s[70:71], 0, v[2:3]
	flat_load_dword v4, v[2:3]
.LBB1501_3:
	s_or_b64 exec, exec, s[4:5]
	v_or_b32_e32 v2, 0x100, v0
	v_cmp_gt_u32_e64 s[48:49], s3, v2
	v_mov_b32_e32 v5, v1
	s_and_saveexec_b64 s[4:5], s[48:49]
	s_cbranch_execz .LBB1501_5
; %bb.4:
	v_lshlrev_b32_e32 v2, 2, v0
	v_mov_b32_e32 v3, 0
	v_lshl_add_u64 v[2:3], s[70:71], 0, v[2:3]
	flat_load_dword v5, v[2:3] offset:1024
.LBB1501_5:
	s_or_b64 exec, exec, s[4:5]
	v_or_b32_e32 v2, 0x200, v0
	v_cmp_gt_u32_e64 s[4:5], s3, v2
	v_mov_b32_e32 v6, v1
	s_and_saveexec_b64 s[6:7], s[4:5]
	s_cbranch_execz .LBB1501_7
; %bb.6:
	v_lshlrev_b32_e32 v2, 2, v0
	v_mov_b32_e32 v3, 0
	v_lshl_add_u64 v[2:3], s[70:71], 0, v[2:3]
	flat_load_dword v6, v[2:3] offset:2048
.LBB1501_7:
	;; [unrolled: 12-line block ×3, first 2 shown]
	s_or_b64 exec, exec, s[8:9]
	v_or_b32_e32 v2, 0x400, v0
	v_cmp_gt_u32_e64 s[8:9], s3, v2
	v_lshlrev_b32_e32 v2, 2, v2
	v_mov_b32_e32 v3, v1
	s_and_saveexec_b64 s[10:11], s[8:9]
	s_cbranch_execz .LBB1501_11
; %bb.10:
	v_mov_b32_e32 v3, 0
	v_lshl_add_u64 v[8:9], s[70:71], 0, v[2:3]
	flat_load_dword v3, v[8:9]
.LBB1501_11:
	s_or_b64 exec, exec, s[10:11]
	v_or_b32_e32 v8, 0x500, v0
	v_cmp_gt_u32_e64 s[10:11], s3, v8
	v_lshlrev_b32_e32 v10, 2, v8
	v_mov_b32_e32 v8, v1
	s_and_saveexec_b64 s[12:13], s[10:11]
	s_cbranch_execz .LBB1501_13
; %bb.12:
	v_mov_b32_e32 v11, 0
	v_lshl_add_u64 v[8:9], s[70:71], 0, v[10:11]
	flat_load_dword v8, v[8:9]
.LBB1501_13:
	;; [unrolled: 12-line block ×18, first 2 shown]
	s_or_b64 exec, exec, s[46:47]
	v_or_b32_e32 v41, 0x1600, v0
	v_cmp_gt_u32_e64 s[46:47], s3, v41
	v_lshlrev_b32_e32 v44, 2, v41
	s_and_saveexec_b64 s[50:51], s[46:47]
	s_cbranch_execz .LBB1501_47
; %bb.46:
	v_mov_b32_e32 v45, 0
	v_lshl_add_u64 v[46:47], s[70:71], 0, v[44:45]
	flat_load_dword v1, v[46:47]
.LBB1501_47:
	s_or_b64 exec, exec, s[50:51]
	v_lshlrev_b32_e32 v46, 2, v0
	s_waitcnt vmcnt(0) lgkmcnt(0)
	ds_write2st64_b32 v46, v4, v5 offset1:4
	ds_write2st64_b32 v46, v6, v7 offset0:8 offset1:12
	ds_write2st64_b32 v46, v3, v8 offset0:16 offset1:20
	;; [unrolled: 1-line block ×10, first 2 shown]
	ds_write_b32 v46, v1 offset:22528
	v_mov_b64_e32 v[4:5], s[70:71]
	s_waitcnt lgkmcnt(0)
	s_barrier
	flat_load_dword v1, v[4:5]
	s_movk_i32 s50, 0x58
	v_mad_u32_u24 v70, v0, s50, v46
	s_movk_i32 s50, 0xffa8
	v_mad_i32_i24 v3, v0, s50, v70
	s_movk_i32 s50, 0xff
	v_cmp_ne_u32_e64 s[50:51], s50, v0
	ds_read_b32 v72, v70
	ds_read2_b32 v[68:69], v70 offset0:1 offset1:2
	ds_read2_b32 v[66:67], v70 offset0:3 offset1:4
	;; [unrolled: 1-line block ×11, first 2 shown]
	s_waitcnt lgkmcnt(0)
	ds_write_b32 v3, v72 offset:24576
	s_waitcnt lgkmcnt(0)
	s_barrier
	s_and_saveexec_b64 s[60:61], s[50:51]
	s_cbranch_execz .LBB1501_49
; %bb.48:
	s_waitcnt vmcnt(0)
	ds_read_b32 v1, v46 offset:24580
.LBB1501_49:
	s_or_b64 exec, exec, s[60:61]
	v_mov_b32_e32 v47, 0
	s_waitcnt lgkmcnt(0)
	s_barrier
	s_waitcnt lgkmcnt(0)
                                        ; implicit-def: $vgpr48
	s_and_saveexec_b64 s[50:51], vcc
	s_cbranch_execz .LBB1501_72
; %bb.50:
	v_lshl_add_u64 v[48:49], s[52:53], 0, v[46:47]
	flat_load_dword v48, v[48:49]
	s_or_b64 exec, exec, s[50:51]
                                        ; implicit-def: $vgpr49
	s_and_saveexec_b64 s[50:51], s[48:49]
	s_cbranch_execnz .LBB1501_73
.LBB1501_51:
	s_or_b64 exec, exec, s[50:51]
                                        ; implicit-def: $vgpr50
	s_and_saveexec_b64 s[48:49], s[4:5]
	s_cbranch_execz .LBB1501_74
.LBB1501_52:
	v_mov_b32_e32 v47, 0
	v_lshl_add_u64 v[50:51], s[52:53], 0, v[46:47]
	flat_load_dword v50, v[50:51] offset:2048
	s_or_b64 exec, exec, s[48:49]
                                        ; implicit-def: $vgpr47
	s_and_saveexec_b64 s[4:5], s[6:7]
	s_cbranch_execnz .LBB1501_75
.LBB1501_53:
	s_or_b64 exec, exec, s[4:5]
                                        ; implicit-def: $vgpr3
	s_and_saveexec_b64 s[4:5], s[8:9]
	s_cbranch_execz .LBB1501_76
.LBB1501_54:
	v_mov_b32_e32 v3, 0
	v_lshl_add_u64 v[2:3], s[52:53], 0, v[2:3]
	flat_load_dword v3, v[2:3]
	s_or_b64 exec, exec, s[4:5]
                                        ; implicit-def: $vgpr2
	s_and_saveexec_b64 s[4:5], s[10:11]
	s_cbranch_execnz .LBB1501_77
.LBB1501_55:
	s_or_b64 exec, exec, s[4:5]
                                        ; implicit-def: $vgpr10
	s_and_saveexec_b64 s[4:5], s[12:13]
	s_cbranch_execz .LBB1501_78
.LBB1501_56:
	v_mov_b32_e32 v13, 0
	v_lshl_add_u64 v[10:11], s[52:53], 0, v[12:13]
	flat_load_dword v10, v[10:11]
	s_or_b64 exec, exec, s[4:5]
                                        ; implicit-def: $vgpr11
	s_and_saveexec_b64 s[4:5], s[14:15]
	s_cbranch_execnz .LBB1501_79
.LBB1501_57:
	s_or_b64 exec, exec, s[4:5]
                                        ; implicit-def: $vgpr12
	s_and_saveexec_b64 s[4:5], s[16:17]
	s_cbranch_execz .LBB1501_80
.LBB1501_58:
	v_mov_b32_e32 v17, 0
	v_lshl_add_u64 v[12:13], s[52:53], 0, v[16:17]
	flat_load_dword v12, v[12:13]
	s_or_b64 exec, exec, s[4:5]
                                        ; implicit-def: $vgpr13
	s_and_saveexec_b64 s[4:5], s[18:19]
	s_cbranch_execnz .LBB1501_81
.LBB1501_59:
	s_or_b64 exec, exec, s[4:5]
                                        ; implicit-def: $vgpr14
	s_and_saveexec_b64 s[4:5], s[20:21]
	s_cbranch_execz .LBB1501_82
.LBB1501_60:
	v_mov_b32_e32 v21, 0
	v_lshl_add_u64 v[14:15], s[52:53], 0, v[20:21]
	flat_load_dword v14, v[14:15]
	s_or_b64 exec, exec, s[4:5]
                                        ; implicit-def: $vgpr15
	s_and_saveexec_b64 s[4:5], s[22:23]
	s_cbranch_execnz .LBB1501_83
.LBB1501_61:
	s_or_b64 exec, exec, s[4:5]
                                        ; implicit-def: $vgpr16
	s_and_saveexec_b64 s[4:5], s[24:25]
	s_cbranch_execz .LBB1501_84
.LBB1501_62:
	v_mov_b32_e32 v25, 0
	v_lshl_add_u64 v[16:17], s[52:53], 0, v[24:25]
	flat_load_dword v16, v[16:17]
	s_or_b64 exec, exec, s[4:5]
                                        ; implicit-def: $vgpr17
	s_and_saveexec_b64 s[4:5], s[26:27]
	s_cbranch_execnz .LBB1501_85
.LBB1501_63:
	s_or_b64 exec, exec, s[4:5]
                                        ; implicit-def: $vgpr18
	s_and_saveexec_b64 s[4:5], s[28:29]
	s_cbranch_execz .LBB1501_86
.LBB1501_64:
	v_mov_b32_e32 v29, 0
	v_lshl_add_u64 v[18:19], s[52:53], 0, v[28:29]
	flat_load_dword v18, v[18:19]
	s_or_b64 exec, exec, s[4:5]
                                        ; implicit-def: $vgpr19
	s_and_saveexec_b64 s[4:5], s[30:31]
	s_cbranch_execnz .LBB1501_87
.LBB1501_65:
	s_or_b64 exec, exec, s[4:5]
                                        ; implicit-def: $vgpr20
	s_and_saveexec_b64 s[4:5], s[34:35]
	s_cbranch_execz .LBB1501_88
.LBB1501_66:
	v_mov_b32_e32 v33, 0
	v_lshl_add_u64 v[20:21], s[52:53], 0, v[32:33]
	flat_load_dword v20, v[20:21]
	s_or_b64 exec, exec, s[4:5]
                                        ; implicit-def: $vgpr21
	s_and_saveexec_b64 s[4:5], s[36:37]
	s_cbranch_execnz .LBB1501_89
.LBB1501_67:
	s_or_b64 exec, exec, s[4:5]
                                        ; implicit-def: $vgpr22
	s_and_saveexec_b64 s[4:5], s[38:39]
	s_cbranch_execz .LBB1501_90
.LBB1501_68:
	v_mov_b32_e32 v37, 0
	v_lshl_add_u64 v[22:23], s[52:53], 0, v[36:37]
	flat_load_dword v22, v[22:23]
	s_or_b64 exec, exec, s[4:5]
                                        ; implicit-def: $vgpr23
	s_and_saveexec_b64 s[4:5], s[40:41]
	s_cbranch_execnz .LBB1501_91
.LBB1501_69:
	s_or_b64 exec, exec, s[4:5]
                                        ; implicit-def: $vgpr24
	s_and_saveexec_b64 s[4:5], s[42:43]
	s_cbranch_execz .LBB1501_92
.LBB1501_70:
	v_mov_b32_e32 v41, 0
	v_lshl_add_u64 v[24:25], s[52:53], 0, v[40:41]
	flat_load_dword v24, v[24:25]
	s_or_b64 exec, exec, s[4:5]
                                        ; implicit-def: $vgpr25
	s_and_saveexec_b64 s[4:5], s[44:45]
	s_cbranch_execz .LBB1501_94
	s_branch .LBB1501_93
.LBB1501_71:
	s_mov_b64 s[10:11], 0
                                        ; implicit-def: $sgpr8_sgpr9
                                        ; implicit-def: $vgpr2
                                        ; implicit-def: $vgpr10_vgpr11
                                        ; implicit-def: $vgpr12_vgpr13
                                        ; implicit-def: $vgpr14_vgpr15
                                        ; implicit-def: $vgpr16_vgpr17
                                        ; implicit-def: $vgpr18_vgpr19
                                        ; implicit-def: $vgpr20_vgpr21
                                        ; implicit-def: $vgpr22_vgpr23
                                        ; implicit-def: $vgpr24_vgpr25
                                        ; implicit-def: $vgpr26_vgpr27
                                        ; implicit-def: $vgpr28_vgpr29
                                        ; implicit-def: $vgpr30_vgpr31
                                        ; implicit-def: $vgpr32_vgpr33
                                        ; implicit-def: $vgpr34_vgpr35
                                        ; implicit-def: $vgpr36_vgpr37
                                        ; implicit-def: $vgpr38_vgpr39
                                        ; implicit-def: $vgpr40_vgpr41
                                        ; implicit-def: $vgpr42_vgpr43
                                        ; implicit-def: $vgpr44_vgpr45
                                        ; implicit-def: $vgpr46_vgpr47
                                        ; implicit-def: $vgpr48_vgpr49
                                        ; implicit-def: $vgpr50_vgpr51
                                        ; implicit-def: $vgpr52_vgpr53
                                        ; implicit-def: $sgpr6_sgpr7
	s_and_b64 vcc, exec, s[4:5]
	v_lshlrev_b32_e32 v54, 2, v0
	s_cbranch_vccz .LBB1501_148
	s_branch .LBB1501_143
.LBB1501_72:
	s_or_b64 exec, exec, s[50:51]
                                        ; implicit-def: $vgpr49
	s_and_saveexec_b64 s[50:51], s[48:49]
	s_cbranch_execz .LBB1501_51
.LBB1501_73:
	v_mov_b32_e32 v47, 0
	v_lshl_add_u64 v[50:51], s[52:53], 0, v[46:47]
	flat_load_dword v49, v[50:51] offset:1024
	s_or_b64 exec, exec, s[50:51]
                                        ; implicit-def: $vgpr50
	s_and_saveexec_b64 s[48:49], s[4:5]
	s_cbranch_execnz .LBB1501_52
.LBB1501_74:
	s_or_b64 exec, exec, s[48:49]
                                        ; implicit-def: $vgpr47
	s_and_saveexec_b64 s[4:5], s[6:7]
	s_cbranch_execz .LBB1501_53
.LBB1501_75:
	v_mov_b32_e32 v47, 0
	v_lshl_add_u64 v[52:53], s[52:53], 0, v[46:47]
	flat_load_dword v47, v[52:53] offset:3072
	s_or_b64 exec, exec, s[4:5]
                                        ; implicit-def: $vgpr3
	s_and_saveexec_b64 s[4:5], s[8:9]
	s_cbranch_execnz .LBB1501_54
.LBB1501_76:
	s_or_b64 exec, exec, s[4:5]
                                        ; implicit-def: $vgpr2
	s_and_saveexec_b64 s[4:5], s[10:11]
	s_cbranch_execz .LBB1501_55
.LBB1501_77:
	v_mov_b32_e32 v11, 0
	v_lshl_add_u64 v[10:11], s[52:53], 0, v[10:11]
	flat_load_dword v2, v[10:11]
	s_or_b64 exec, exec, s[4:5]
                                        ; implicit-def: $vgpr10
	s_and_saveexec_b64 s[4:5], s[12:13]
	s_cbranch_execnz .LBB1501_56
.LBB1501_78:
	s_or_b64 exec, exec, s[4:5]
                                        ; implicit-def: $vgpr11
	s_and_saveexec_b64 s[4:5], s[14:15]
	s_cbranch_execz .LBB1501_57
.LBB1501_79:
	v_mov_b32_e32 v15, 0
	v_lshl_add_u64 v[12:13], s[52:53], 0, v[14:15]
	flat_load_dword v11, v[12:13]
	s_or_b64 exec, exec, s[4:5]
                                        ; implicit-def: $vgpr12
	s_and_saveexec_b64 s[4:5], s[16:17]
	s_cbranch_execnz .LBB1501_58
.LBB1501_80:
	s_or_b64 exec, exec, s[4:5]
                                        ; implicit-def: $vgpr13
	s_and_saveexec_b64 s[4:5], s[18:19]
	s_cbranch_execz .LBB1501_59
.LBB1501_81:
	v_mov_b32_e32 v19, 0
	v_lshl_add_u64 v[14:15], s[52:53], 0, v[18:19]
	flat_load_dword v13, v[14:15]
	s_or_b64 exec, exec, s[4:5]
                                        ; implicit-def: $vgpr14
	s_and_saveexec_b64 s[4:5], s[20:21]
	s_cbranch_execnz .LBB1501_60
.LBB1501_82:
	s_or_b64 exec, exec, s[4:5]
                                        ; implicit-def: $vgpr15
	s_and_saveexec_b64 s[4:5], s[22:23]
	s_cbranch_execz .LBB1501_61
.LBB1501_83:
	v_mov_b32_e32 v23, 0
	v_lshl_add_u64 v[16:17], s[52:53], 0, v[22:23]
	flat_load_dword v15, v[16:17]
	s_or_b64 exec, exec, s[4:5]
                                        ; implicit-def: $vgpr16
	s_and_saveexec_b64 s[4:5], s[24:25]
	s_cbranch_execnz .LBB1501_62
.LBB1501_84:
	s_or_b64 exec, exec, s[4:5]
                                        ; implicit-def: $vgpr17
	s_and_saveexec_b64 s[4:5], s[26:27]
	s_cbranch_execz .LBB1501_63
.LBB1501_85:
	v_mov_b32_e32 v27, 0
	v_lshl_add_u64 v[18:19], s[52:53], 0, v[26:27]
	flat_load_dword v17, v[18:19]
	s_or_b64 exec, exec, s[4:5]
                                        ; implicit-def: $vgpr18
	s_and_saveexec_b64 s[4:5], s[28:29]
	s_cbranch_execnz .LBB1501_64
.LBB1501_86:
	s_or_b64 exec, exec, s[4:5]
                                        ; implicit-def: $vgpr19
	s_and_saveexec_b64 s[4:5], s[30:31]
	s_cbranch_execz .LBB1501_65
.LBB1501_87:
	v_mov_b32_e32 v31, 0
	v_lshl_add_u64 v[20:21], s[52:53], 0, v[30:31]
	flat_load_dword v19, v[20:21]
	s_or_b64 exec, exec, s[4:5]
                                        ; implicit-def: $vgpr20
	s_and_saveexec_b64 s[4:5], s[34:35]
	s_cbranch_execnz .LBB1501_66
.LBB1501_88:
	s_or_b64 exec, exec, s[4:5]
                                        ; implicit-def: $vgpr21
	s_and_saveexec_b64 s[4:5], s[36:37]
	s_cbranch_execz .LBB1501_67
.LBB1501_89:
	v_mov_b32_e32 v35, 0
	v_lshl_add_u64 v[22:23], s[52:53], 0, v[34:35]
	flat_load_dword v21, v[22:23]
	s_or_b64 exec, exec, s[4:5]
                                        ; implicit-def: $vgpr22
	s_and_saveexec_b64 s[4:5], s[38:39]
	s_cbranch_execnz .LBB1501_68
.LBB1501_90:
	s_or_b64 exec, exec, s[4:5]
                                        ; implicit-def: $vgpr23
	s_and_saveexec_b64 s[4:5], s[40:41]
	s_cbranch_execz .LBB1501_69
.LBB1501_91:
	v_mov_b32_e32 v39, 0
	v_lshl_add_u64 v[24:25], s[52:53], 0, v[38:39]
	flat_load_dword v23, v[24:25]
	s_or_b64 exec, exec, s[4:5]
                                        ; implicit-def: $vgpr24
	s_and_saveexec_b64 s[4:5], s[42:43]
	s_cbranch_execnz .LBB1501_70
.LBB1501_92:
	s_or_b64 exec, exec, s[4:5]
                                        ; implicit-def: $vgpr25
	s_and_saveexec_b64 s[4:5], s[44:45]
	s_cbranch_execz .LBB1501_94
.LBB1501_93:
	v_mov_b32_e32 v43, 0
	v_lshl_add_u64 v[26:27], s[52:53], 0, v[42:43]
	flat_load_dword v25, v[26:27]
.LBB1501_94:
	s_or_b64 exec, exec, s[4:5]
	v_mul_u32_u24_e32 v71, 23, v0
                                        ; implicit-def: $vgpr26
	s_and_saveexec_b64 s[4:5], s[46:47]
	s_cbranch_execz .LBB1501_96
; %bb.95:
	v_mov_b32_e32 v45, 0
	v_lshl_add_u64 v[26:27], s[52:53], 0, v[44:45]
	flat_load_dword v26, v[26:27]
.LBB1501_96:
	s_or_b64 exec, exec, s[4:5]
	s_waitcnt vmcnt(0) lgkmcnt(0)
	ds_write2st64_b32 v46, v48, v49 offset1:4
	ds_write2st64_b32 v46, v50, v47 offset0:8 offset1:12
	ds_write2st64_b32 v46, v3, v2 offset0:16 offset1:20
	ds_write2st64_b32 v46, v10, v11 offset0:24 offset1:28
	ds_write2st64_b32 v46, v12, v13 offset0:32 offset1:36
	ds_write2st64_b32 v46, v14, v15 offset0:40 offset1:44
	ds_write2st64_b32 v46, v16, v17 offset0:48 offset1:52
	ds_write2st64_b32 v46, v18, v19 offset0:56 offset1:60
	ds_write2st64_b32 v46, v20, v21 offset0:64 offset1:68
	ds_write2st64_b32 v46, v22, v23 offset0:72 offset1:76
	ds_write2st64_b32 v46, v24, v25 offset0:80 offset1:84
	ds_write_b32 v46, v26 offset:22528
	v_mov_b64_e32 v[10:11], 0
	v_cmp_gt_u32_e32 vcc, s3, v71
	s_mov_b64 s[10:11], 0
	s_mov_b64 s[4:5], 0
	v_mov_b64_e32 v[12:13], v[10:11]
	v_mov_b64_e32 v[14:15], v[10:11]
	;; [unrolled: 1-line block ×21, first 2 shown]
	s_waitcnt lgkmcnt(0)
	s_barrier
	s_waitcnt lgkmcnt(0)
                                        ; implicit-def: $sgpr8_sgpr9
                                        ; implicit-def: $vgpr2
	s_and_saveexec_b64 s[6:7], vcc
	s_cbranch_execz .LBB1501_142
; %bb.97:
	ds_read_b32 v2, v70
	v_mov_b32_e32 v10, s76
	v_cmp_eq_u32_e32 vcc, v72, v68
	v_add_u32_e32 v3, 1, v71
	v_mov_b64_e32 v[12:13], 0
	s_waitcnt lgkmcnt(0)
	v_cndmask_b32_e32 v10, v10, v2, vcc
	v_cmp_ne_u32_e32 vcc, v72, v68
	s_mov_b64 s[12:13], 0
	v_mov_b64_e32 v[14:15], v[12:13]
	v_cndmask_b32_e64 v11, 0, 1, vcc
	v_cmp_gt_u32_e32 vcc, s3, v3
	v_mov_b64_e32 v[16:17], v[12:13]
	v_mov_b64_e32 v[18:19], v[12:13]
	;; [unrolled: 1-line block ×19, first 2 shown]
                                        ; implicit-def: $sgpr14_sgpr15
                                        ; implicit-def: $vgpr2
	s_and_saveexec_b64 s[8:9], vcc
	s_cbranch_execz .LBB1501_141
; %bb.98:
	ds_read2_b32 v[2:3], v70 offset0:1 offset1:2
	v_mov_b32_e32 v12, s76
	v_cmp_eq_u32_e32 vcc, v68, v69
	v_add_u32_e32 v14, 2, v71
	s_mov_b64 s[14:15], 0
	s_waitcnt lgkmcnt(0)
	v_cndmask_b32_e32 v12, v12, v2, vcc
	v_cmp_ne_u32_e32 vcc, v68, v69
                                        ; implicit-def: $sgpr16_sgpr17
                                        ; implicit-def: $vgpr2
	s_nop 1
	v_cndmask_b32_e64 v13, 0, 1, vcc
	v_cmp_gt_u32_e32 vcc, s3, v14
	v_mov_b64_e32 v[14:15], 0
	v_mov_b64_e32 v[16:17], v[14:15]
	;; [unrolled: 1-line block ×20, first 2 shown]
	s_and_saveexec_b64 s[10:11], vcc
	s_cbranch_execz .LBB1501_140
; %bb.99:
	v_mov_b32_e32 v14, s76
	v_cmp_eq_u32_e32 vcc, v69, v66
	v_add_u32_e32 v2, 3, v71
	v_mov_b64_e32 v[16:17], 0
	v_cndmask_b32_e32 v14, v14, v3, vcc
	v_cmp_ne_u32_e32 vcc, v69, v66
	s_mov_b64 s[16:17], 0
	v_mov_b64_e32 v[18:19], v[16:17]
	v_cndmask_b32_e64 v15, 0, 1, vcc
	v_cmp_gt_u32_e32 vcc, s3, v2
	v_mov_b64_e32 v[20:21], v[16:17]
	v_mov_b64_e32 v[22:23], v[16:17]
	;; [unrolled: 1-line block ×17, first 2 shown]
                                        ; implicit-def: $sgpr18_sgpr19
                                        ; implicit-def: $vgpr2
	s_and_saveexec_b64 s[12:13], vcc
	s_cbranch_execz .LBB1501_139
; %bb.100:
	ds_read2_b32 v[2:3], v70 offset0:3 offset1:4
	v_mov_b32_e32 v16, s76
	v_cmp_eq_u32_e32 vcc, v66, v67
	v_add_u32_e32 v18, 4, v71
	s_mov_b64 s[18:19], 0
	s_waitcnt lgkmcnt(0)
	v_cndmask_b32_e32 v16, v16, v2, vcc
	v_cmp_ne_u32_e32 vcc, v66, v67
                                        ; implicit-def: $sgpr20_sgpr21
                                        ; implicit-def: $vgpr2
	s_nop 1
	v_cndmask_b32_e64 v17, 0, 1, vcc
	v_cmp_gt_u32_e32 vcc, s3, v18
	v_mov_b64_e32 v[18:19], 0
	v_mov_b64_e32 v[20:21], v[18:19]
	;; [unrolled: 1-line block ×18, first 2 shown]
	s_and_saveexec_b64 s[14:15], vcc
	s_cbranch_execz .LBB1501_138
; %bb.101:
	v_mov_b32_e32 v18, s76
	v_cmp_eq_u32_e32 vcc, v67, v64
	v_add_u32_e32 v2, 5, v71
	v_mov_b64_e32 v[20:21], 0
	v_cndmask_b32_e32 v18, v18, v3, vcc
	v_cmp_ne_u32_e32 vcc, v67, v64
	s_mov_b64 s[20:21], 0
	v_mov_b64_e32 v[22:23], v[20:21]
	v_cndmask_b32_e64 v19, 0, 1, vcc
	v_cmp_gt_u32_e32 vcc, s3, v2
	v_mov_b64_e32 v[24:25], v[20:21]
	v_mov_b64_e32 v[26:27], v[20:21]
	;; [unrolled: 1-line block ×15, first 2 shown]
                                        ; implicit-def: $sgpr22_sgpr23
                                        ; implicit-def: $vgpr2
	s_and_saveexec_b64 s[16:17], vcc
	s_cbranch_execz .LBB1501_137
; %bb.102:
	ds_read2_b32 v[2:3], v70 offset0:5 offset1:6
	v_mov_b32_e32 v20, s76
	v_cmp_eq_u32_e32 vcc, v64, v65
	v_add_u32_e32 v22, 6, v71
	s_mov_b64 s[22:23], 0
	s_waitcnt lgkmcnt(0)
	v_cndmask_b32_e32 v20, v20, v2, vcc
	v_cmp_ne_u32_e32 vcc, v64, v65
                                        ; implicit-def: $sgpr24_sgpr25
                                        ; implicit-def: $vgpr2
	s_nop 1
	v_cndmask_b32_e64 v21, 0, 1, vcc
	v_cmp_gt_u32_e32 vcc, s3, v22
	v_mov_b64_e32 v[22:23], 0
	v_mov_b64_e32 v[24:25], v[22:23]
	;; [unrolled: 1-line block ×16, first 2 shown]
	s_and_saveexec_b64 s[18:19], vcc
	s_cbranch_execz .LBB1501_136
; %bb.103:
	v_mov_b32_e32 v22, s76
	v_cmp_eq_u32_e32 vcc, v65, v62
	v_add_u32_e32 v2, 7, v71
	v_mov_b64_e32 v[24:25], 0
	v_cndmask_b32_e32 v22, v22, v3, vcc
	v_cmp_ne_u32_e32 vcc, v65, v62
	s_mov_b64 s[24:25], 0
	v_mov_b64_e32 v[26:27], v[24:25]
	v_cndmask_b32_e64 v23, 0, 1, vcc
	v_cmp_gt_u32_e32 vcc, s3, v2
	v_mov_b64_e32 v[28:29], v[24:25]
	v_mov_b64_e32 v[30:31], v[24:25]
	;; [unrolled: 1-line block ×13, first 2 shown]
                                        ; implicit-def: $sgpr26_sgpr27
                                        ; implicit-def: $vgpr2
	s_and_saveexec_b64 s[20:21], vcc
	s_cbranch_execz .LBB1501_135
; %bb.104:
	ds_read2_b32 v[2:3], v70 offset0:7 offset1:8
	v_mov_b32_e32 v24, s76
	v_cmp_eq_u32_e32 vcc, v62, v63
	v_add_u32_e32 v26, 8, v71
	s_mov_b64 s[26:27], 0
	s_waitcnt lgkmcnt(0)
	v_cndmask_b32_e32 v24, v24, v2, vcc
	v_cmp_ne_u32_e32 vcc, v62, v63
                                        ; implicit-def: $sgpr28_sgpr29
                                        ; implicit-def: $vgpr2
	s_nop 1
	v_cndmask_b32_e64 v25, 0, 1, vcc
	v_cmp_gt_u32_e32 vcc, s3, v26
	v_mov_b64_e32 v[26:27], 0
	v_mov_b64_e32 v[28:29], v[26:27]
	;; [unrolled: 1-line block ×14, first 2 shown]
	s_and_saveexec_b64 s[22:23], vcc
	s_cbranch_execz .LBB1501_134
; %bb.105:
	v_mov_b32_e32 v26, s76
	v_cmp_eq_u32_e32 vcc, v63, v60
	v_add_u32_e32 v2, 9, v71
	v_mov_b64_e32 v[28:29], 0
	v_cndmask_b32_e32 v26, v26, v3, vcc
	v_cmp_ne_u32_e32 vcc, v63, v60
	s_mov_b64 s[28:29], 0
	v_mov_b64_e32 v[30:31], v[28:29]
	v_cndmask_b32_e64 v27, 0, 1, vcc
	v_cmp_gt_u32_e32 vcc, s3, v2
	v_mov_b64_e32 v[32:33], v[28:29]
	v_mov_b64_e32 v[34:35], v[28:29]
	;; [unrolled: 1-line block ×11, first 2 shown]
                                        ; implicit-def: $sgpr30_sgpr31
                                        ; implicit-def: $vgpr2
	s_and_saveexec_b64 s[24:25], vcc
	s_cbranch_execz .LBB1501_133
; %bb.106:
	ds_read2_b32 v[2:3], v70 offset0:9 offset1:10
	v_mov_b32_e32 v28, s76
	v_cmp_eq_u32_e32 vcc, v60, v61
	v_add_u32_e32 v30, 10, v71
	s_mov_b64 s[30:31], 0
	s_waitcnt lgkmcnt(0)
	v_cndmask_b32_e32 v28, v28, v2, vcc
	v_cmp_ne_u32_e32 vcc, v60, v61
                                        ; implicit-def: $sgpr34_sgpr35
                                        ; implicit-def: $vgpr2
	s_nop 1
	v_cndmask_b32_e64 v29, 0, 1, vcc
	v_cmp_gt_u32_e32 vcc, s3, v30
	v_mov_b64_e32 v[30:31], 0
	v_mov_b64_e32 v[32:33], v[30:31]
	;; [unrolled: 1-line block ×12, first 2 shown]
	s_and_saveexec_b64 s[26:27], vcc
	s_cbranch_execz .LBB1501_132
; %bb.107:
	v_mov_b32_e32 v30, s76
	v_cmp_eq_u32_e32 vcc, v61, v58
	v_add_u32_e32 v2, 11, v71
	v_mov_b64_e32 v[32:33], 0
	v_cndmask_b32_e32 v30, v30, v3, vcc
	v_cmp_ne_u32_e32 vcc, v61, v58
	s_mov_b64 s[34:35], 0
	v_mov_b64_e32 v[34:35], v[32:33]
	v_cndmask_b32_e64 v31, 0, 1, vcc
	v_cmp_gt_u32_e32 vcc, s3, v2
	v_mov_b64_e32 v[36:37], v[32:33]
	v_mov_b64_e32 v[38:39], v[32:33]
	;; [unrolled: 1-line block ×9, first 2 shown]
                                        ; implicit-def: $sgpr36_sgpr37
                                        ; implicit-def: $vgpr2
	s_and_saveexec_b64 s[28:29], vcc
	s_cbranch_execz .LBB1501_131
; %bb.108:
	ds_read2_b32 v[2:3], v70 offset0:11 offset1:12
	v_mov_b32_e32 v32, s76
	v_cmp_eq_u32_e32 vcc, v58, v59
	v_add_u32_e32 v34, 12, v71
	s_mov_b64 s[36:37], 0
	s_waitcnt lgkmcnt(0)
	v_cndmask_b32_e32 v32, v32, v2, vcc
	v_cmp_ne_u32_e32 vcc, v58, v59
                                        ; implicit-def: $sgpr38_sgpr39
                                        ; implicit-def: $vgpr2
	s_nop 1
	v_cndmask_b32_e64 v33, 0, 1, vcc
	v_cmp_gt_u32_e32 vcc, s3, v34
	v_mov_b64_e32 v[34:35], 0
	v_mov_b64_e32 v[36:37], v[34:35]
	;; [unrolled: 1-line block ×10, first 2 shown]
	s_and_saveexec_b64 s[30:31], vcc
	s_cbranch_execz .LBB1501_130
; %bb.109:
	v_mov_b32_e32 v34, s76
	v_cmp_eq_u32_e32 vcc, v59, v56
	v_add_u32_e32 v2, 13, v71
	v_mov_b64_e32 v[36:37], 0
	v_cndmask_b32_e32 v34, v34, v3, vcc
	v_cmp_ne_u32_e32 vcc, v59, v56
	s_mov_b64 s[38:39], 0
	v_mov_b64_e32 v[38:39], v[36:37]
	v_cndmask_b32_e64 v35, 0, 1, vcc
	v_cmp_gt_u32_e32 vcc, s3, v2
	v_mov_b64_e32 v[40:41], v[36:37]
	v_mov_b64_e32 v[42:43], v[36:37]
	;; [unrolled: 1-line block ×7, first 2 shown]
                                        ; implicit-def: $sgpr40_sgpr41
                                        ; implicit-def: $vgpr2
	s_and_saveexec_b64 s[34:35], vcc
	s_cbranch_execz .LBB1501_129
; %bb.110:
	ds_read2_b32 v[2:3], v70 offset0:13 offset1:14
	v_mov_b32_e32 v36, s76
	v_cmp_eq_u32_e32 vcc, v56, v57
	v_add_u32_e32 v38, 14, v71
	s_mov_b64 s[40:41], 0
	s_waitcnt lgkmcnt(0)
	v_cndmask_b32_e32 v36, v36, v2, vcc
	v_cmp_ne_u32_e32 vcc, v56, v57
                                        ; implicit-def: $sgpr42_sgpr43
                                        ; implicit-def: $vgpr2
	s_nop 1
	v_cndmask_b32_e64 v37, 0, 1, vcc
	v_cmp_gt_u32_e32 vcc, s3, v38
	v_mov_b64_e32 v[38:39], 0
	v_mov_b64_e32 v[40:41], v[38:39]
	;; [unrolled: 1-line block ×8, first 2 shown]
	s_and_saveexec_b64 s[36:37], vcc
	s_cbranch_execz .LBB1501_128
; %bb.111:
	v_mov_b32_e32 v38, s76
	v_cmp_eq_u32_e32 vcc, v57, v54
	v_add_u32_e32 v2, 15, v71
	v_mov_b64_e32 v[40:41], 0
	v_cndmask_b32_e32 v38, v38, v3, vcc
	v_cmp_ne_u32_e32 vcc, v57, v54
	s_mov_b64 s[42:43], 0
	v_mov_b64_e32 v[42:43], v[40:41]
	v_cndmask_b32_e64 v39, 0, 1, vcc
	v_cmp_gt_u32_e32 vcc, s3, v2
	v_mov_b64_e32 v[44:45], v[40:41]
	v_mov_b64_e32 v[46:47], v[40:41]
	;; [unrolled: 1-line block ×5, first 2 shown]
                                        ; implicit-def: $sgpr44_sgpr45
                                        ; implicit-def: $vgpr2
	s_and_saveexec_b64 s[38:39], vcc
	s_cbranch_execz .LBB1501_127
; %bb.112:
	ds_read2_b32 v[2:3], v70 offset0:15 offset1:16
	v_mov_b32_e32 v40, s76
	v_cmp_eq_u32_e32 vcc, v54, v55
	v_add_u32_e32 v42, 16, v71
	s_mov_b64 s[44:45], 0
	s_waitcnt lgkmcnt(0)
	v_cndmask_b32_e32 v40, v40, v2, vcc
	v_cmp_ne_u32_e32 vcc, v54, v55
                                        ; implicit-def: $sgpr46_sgpr47
                                        ; implicit-def: $vgpr2
	s_nop 1
	v_cndmask_b32_e64 v41, 0, 1, vcc
	v_cmp_gt_u32_e32 vcc, s3, v42
	v_mov_b64_e32 v[42:43], 0
	v_mov_b64_e32 v[44:45], v[42:43]
	;; [unrolled: 1-line block ×6, first 2 shown]
	s_and_saveexec_b64 s[40:41], vcc
	s_cbranch_execz .LBB1501_126
; %bb.113:
	v_mov_b32_e32 v42, s76
	v_cmp_eq_u32_e32 vcc, v55, v8
	v_add_u32_e32 v2, 17, v71
	v_mov_b64_e32 v[44:45], 0
	v_cndmask_b32_e32 v42, v42, v3, vcc
	v_cmp_ne_u32_e32 vcc, v55, v8
	s_mov_b64 s[46:47], 0
	v_mov_b64_e32 v[46:47], v[44:45]
	v_cndmask_b32_e64 v43, 0, 1, vcc
	v_cmp_gt_u32_e32 vcc, s3, v2
	v_mov_b64_e32 v[48:49], v[44:45]
	v_mov_b64_e32 v[50:51], v[44:45]
	;; [unrolled: 1-line block ×3, first 2 shown]
                                        ; implicit-def: $sgpr48_sgpr49
                                        ; implicit-def: $vgpr2
	s_and_saveexec_b64 s[42:43], vcc
	s_cbranch_execz .LBB1501_125
; %bb.114:
	ds_read2_b32 v[2:3], v70 offset0:17 offset1:18
	v_mov_b32_e32 v44, s76
	v_cmp_eq_u32_e32 vcc, v8, v9
	v_add_u32_e32 v46, 18, v71
	s_mov_b64 s[48:49], 0
	s_waitcnt lgkmcnt(0)
	v_cndmask_b32_e32 v44, v44, v2, vcc
	v_cmp_ne_u32_e32 vcc, v8, v9
                                        ; implicit-def: $sgpr50_sgpr51
                                        ; implicit-def: $vgpr2
	s_nop 1
	v_cndmask_b32_e64 v45, 0, 1, vcc
	v_cmp_gt_u32_e32 vcc, s3, v46
	v_mov_b64_e32 v[46:47], 0
	v_mov_b64_e32 v[48:49], v[46:47]
	;; [unrolled: 1-line block ×4, first 2 shown]
	s_and_saveexec_b64 s[44:45], vcc
	s_cbranch_execz .LBB1501_124
; %bb.115:
	v_mov_b32_e32 v8, s76
	v_cmp_eq_u32_e32 vcc, v9, v6
	v_add_u32_e32 v2, 19, v71
	v_mov_b64_e32 v[48:49], 0
	v_cndmask_b32_e32 v46, v8, v3, vcc
	v_cmp_ne_u32_e32 vcc, v9, v6
	s_mov_b64 s[50:51], 0
	v_mov_b64_e32 v[50:51], v[48:49]
	v_cndmask_b32_e64 v47, 0, 1, vcc
	v_cmp_gt_u32_e32 vcc, s3, v2
	v_mov_b64_e32 v[52:53], v[48:49]
                                        ; implicit-def: $sgpr60_sgpr61
                                        ; implicit-def: $vgpr2
	s_and_saveexec_b64 s[46:47], vcc
	s_cbranch_execz .LBB1501_123
; %bb.116:
	ds_read2_b32 v[2:3], v70 offset0:19 offset1:20
	v_mov_b32_e32 v9, s76
	v_cmp_eq_u32_e32 vcc, v6, v7
	v_add_u32_e32 v8, 20, v71
	v_mov_b64_e32 v[50:51], 0
	s_waitcnt lgkmcnt(0)
	v_cndmask_b32_e32 v48, v9, v2, vcc
	v_cmp_ne_u32_e32 vcc, v6, v7
	s_mov_b64 s[60:61], 0
	v_mov_b64_e32 v[52:53], v[50:51]
	v_cndmask_b32_e64 v49, 0, 1, vcc
	v_cmp_gt_u32_e32 vcc, s3, v8
                                        ; implicit-def: $sgpr72_sgpr73
                                        ; implicit-def: $vgpr2
	s_and_saveexec_b64 s[48:49], vcc
	s_cbranch_execz .LBB1501_122
; %bb.117:
	v_mov_b32_e32 v6, s76
	v_cmp_eq_u32_e32 vcc, v7, v4
	v_add_u32_e32 v2, 21, v71
	v_mov_b64_e32 v[52:53], 0
	v_cndmask_b32_e32 v50, v6, v3, vcc
	v_cmp_ne_u32_e32 vcc, v7, v4
                                        ; implicit-def: $sgpr72_sgpr73
	s_nop 1
	v_cndmask_b32_e64 v51, 0, 1, vcc
	v_cmp_gt_u32_e32 vcc, s3, v2
                                        ; implicit-def: $vgpr2
	s_and_saveexec_b64 s[50:51], vcc
	s_cbranch_execz .LBB1501_121
; %bb.118:
	ds_read2_b32 v[2:3], v70 offset0:21 offset1:22
	v_mov_b32_e32 v7, s76
	v_cmp_eq_u32_e32 vcc, v4, v5
	v_add_u32_e32 v6, 22, v71
                                        ; implicit-def: $sgpr72_sgpr73
	s_waitcnt lgkmcnt(0)
	v_cndmask_b32_e32 v52, v7, v2, vcc
	v_cmp_ne_u32_e32 vcc, v4, v5
                                        ; implicit-def: $vgpr2
	s_nop 1
	v_cndmask_b32_e64 v53, 0, 1, vcc
	v_cmp_gt_u32_e32 vcc, s3, v6
	s_and_saveexec_b64 s[74:75], vcc
	s_xor_b64 s[74:75], exec, s[74:75]
; %bb.119:
	v_mov_b32_e32 v2, s76
	v_cmp_ne_u32_e32 vcc, v5, v1
	s_mov_b64 s[60:61], exec
	s_and_b64 s[72:73], vcc, exec
	v_cndmask_b32_e32 v2, v3, v2, vcc
; %bb.120:
	s_or_b64 exec, exec, s[74:75]
	s_and_b64 s[72:73], s[72:73], exec
	s_and_b64 s[60:61], s[60:61], exec
.LBB1501_121:
	s_or_b64 exec, exec, s[50:51]
	s_and_b64 s[72:73], s[72:73], exec
	s_and_b64 s[50:51], s[60:61], exec
.LBB1501_122:
	s_or_b64 exec, exec, s[48:49]
	s_and_b64 s[60:61], s[72:73], exec
	s_and_b64 s[48:49], s[50:51], exec
.LBB1501_123:
	s_or_b64 exec, exec, s[46:47]
	s_and_b64 s[50:51], s[60:61], exec
	s_and_b64 s[46:47], s[48:49], exec
.LBB1501_124:
	s_or_b64 exec, exec, s[44:45]
	s_and_b64 s[48:49], s[50:51], exec
	s_and_b64 s[44:45], s[46:47], exec
.LBB1501_125:
	s_or_b64 exec, exec, s[42:43]
	s_and_b64 s[46:47], s[48:49], exec
	s_and_b64 s[42:43], s[44:45], exec
.LBB1501_126:
	s_or_b64 exec, exec, s[40:41]
	s_and_b64 s[44:45], s[46:47], exec
	s_and_b64 s[40:41], s[42:43], exec
.LBB1501_127:
	s_or_b64 exec, exec, s[38:39]
	s_and_b64 s[42:43], s[44:45], exec
	s_and_b64 s[38:39], s[40:41], exec
.LBB1501_128:
	s_or_b64 exec, exec, s[36:37]
	s_and_b64 s[40:41], s[42:43], exec
	s_and_b64 s[36:37], s[38:39], exec
.LBB1501_129:
	s_or_b64 exec, exec, s[34:35]
	s_and_b64 s[38:39], s[40:41], exec
	s_and_b64 s[34:35], s[36:37], exec
.LBB1501_130:
	s_or_b64 exec, exec, s[30:31]
	s_and_b64 s[36:37], s[38:39], exec
	s_and_b64 s[30:31], s[34:35], exec
.LBB1501_131:
	s_or_b64 exec, exec, s[28:29]
	s_and_b64 s[34:35], s[36:37], exec
	s_and_b64 s[28:29], s[30:31], exec
.LBB1501_132:
	s_or_b64 exec, exec, s[26:27]
	s_and_b64 s[30:31], s[34:35], exec
	s_and_b64 s[26:27], s[28:29], exec
.LBB1501_133:
	s_or_b64 exec, exec, s[24:25]
	s_and_b64 s[28:29], s[30:31], exec
	s_and_b64 s[24:25], s[26:27], exec
.LBB1501_134:
	s_or_b64 exec, exec, s[22:23]
	s_and_b64 s[26:27], s[28:29], exec
	s_and_b64 s[22:23], s[24:25], exec
.LBB1501_135:
	s_or_b64 exec, exec, s[20:21]
	s_and_b64 s[24:25], s[26:27], exec
	s_and_b64 s[20:21], s[22:23], exec
.LBB1501_136:
	s_or_b64 exec, exec, s[18:19]
	s_and_b64 s[22:23], s[24:25], exec
	s_and_b64 s[18:19], s[20:21], exec
.LBB1501_137:
	s_or_b64 exec, exec, s[16:17]
	s_and_b64 s[20:21], s[22:23], exec
	s_and_b64 s[16:17], s[18:19], exec
.LBB1501_138:
	s_or_b64 exec, exec, s[14:15]
	s_and_b64 s[18:19], s[20:21], exec
	s_and_b64 s[14:15], s[16:17], exec
.LBB1501_139:
	s_or_b64 exec, exec, s[12:13]
	s_and_b64 s[16:17], s[18:19], exec
	s_and_b64 s[12:13], s[14:15], exec
.LBB1501_140:
	s_or_b64 exec, exec, s[10:11]
	s_and_b64 s[14:15], s[16:17], exec
	s_and_b64 s[10:11], s[12:13], exec
.LBB1501_141:
	s_or_b64 exec, exec, s[8:9]
	s_and_b64 s[8:9], s[14:15], exec
	s_and_b64 s[10:11], s[10:11], exec
.LBB1501_142:
	s_or_b64 exec, exec, s[6:7]
	s_mov_b64 s[6:7], 0
	s_and_b64 vcc, exec, s[4:5]
	v_lshlrev_b32_e32 v54, 2, v0
	s_cbranch_vccz .LBB1501_148
.LBB1501_143:
	v_mov_b32_e32 v55, 0
	v_lshl_add_u64 v[2:3], s[70:71], 0, v[54:55]
	v_add_co_u32_e32 v4, vcc, 0x1000, v2
	s_movk_i32 s6, 0x58
	s_nop 0
	v_addc_co_u32_e32 v5, vcc, 0, v3, vcc
	flat_load_dword v1, v[2:3]
	flat_load_dword v8, v[2:3] offset:1024
	flat_load_dword v9, v[2:3] offset:2048
	;; [unrolled: 1-line block ×3, first 2 shown]
	flat_load_dword v11, v[4:5]
	flat_load_dword v12, v[4:5] offset:1024
	flat_load_dword v13, v[4:5] offset:2048
	;; [unrolled: 1-line block ×3, first 2 shown]
	v_add_co_u32_e32 v4, vcc, 0x2000, v2
	s_movk_i32 s10, 0x1000
	s_nop 0
	v_addc_co_u32_e32 v5, vcc, 0, v3, vcc
	v_add_co_u32_e32 v6, vcc, 0x3000, v2
	s_mov_b32 s4, 0
	s_nop 0
	v_addc_co_u32_e32 v7, vcc, 0, v3, vcc
	flat_load_dword v15, v[4:5]
	flat_load_dword v16, v[4:5] offset:1024
	flat_load_dword v17, v[4:5] offset:2048
	;; [unrolled: 1-line block ×3, first 2 shown]
	flat_load_dword v19, v[6:7]
	flat_load_dword v20, v[6:7] offset:1024
	flat_load_dword v21, v[6:7] offset:2048
	flat_load_dword v22, v[6:7] offset:3072
	v_add_co_u32_e32 v4, vcc, 0x4000, v2
	s_movk_i32 s9, 0x2000
	s_nop 0
	v_addc_co_u32_e32 v5, vcc, 0, v3, vcc
	v_add_co_u32_e32 v2, vcc, 0x5000, v2
	s_movk_i32 s8, 0x3000
	s_nop 0
	v_addc_co_u32_e32 v3, vcc, 0, v3, vcc
	flat_load_dword v6, v[4:5]
	flat_load_dword v7, v[4:5] offset:1024
	flat_load_dword v23, v[4:5] offset:2048
	;; [unrolled: 1-line block ×3, first 2 shown]
	flat_load_dword v25, v[2:3]
	flat_load_dword v26, v[2:3] offset:1024
	flat_load_dword v27, v[2:3] offset:2048
	v_mov_b32_e32 v2, s70
	v_mov_b32_e32 v3, s71
	v_add_co_u32_e32 v2, vcc, 0x5000, v2
	s_movk_i32 s5, 0x4000
	s_nop 0
	v_addc_co_u32_e32 v3, vcc, 0, v3, vcc
	s_movk_i32 s3, 0x5000
	s_waitcnt vmcnt(0) lgkmcnt(0)
	ds_write2st64_b32 v54, v1, v8 offset1:4
	ds_write2st64_b32 v54, v9, v10 offset0:8 offset1:12
	ds_write2st64_b32 v54, v11, v12 offset0:16 offset1:20
	;; [unrolled: 1-line block ×10, first 2 shown]
	ds_write_b32 v54, v27 offset:22528
	s_waitcnt lgkmcnt(0)
	s_barrier
	flat_load_dword v1, v[2:3] offset:3072
	v_mad_u32_u24 v12, v0, s6, v54
	s_movk_i32 s6, 0xffa8
	v_mad_i32_i24 v11, v0, s6, v12
	s_movk_i32 s6, 0xff
	v_cmp_ne_u32_e32 vcc, s6, v0
	ds_read_b32 v10, v12
	ds_read2_b32 v[14:15], v12 offset0:1 offset1:2
	ds_read2_b32 v[18:19], v12 offset0:3 offset1:4
	ds_read2_b32 v[22:23], v12 offset0:5 offset1:6
	ds_read2_b32 v[26:27], v12 offset0:7 offset1:8
	ds_read2_b32 v[30:31], v12 offset0:9 offset1:10
	ds_read2_b32 v[34:35], v12 offset0:11 offset1:12
	ds_read2_b32 v[38:39], v12 offset0:13 offset1:14
	ds_read2_b32 v[8:9], v12 offset0:15 offset1:16
	ds_read2_b32 v[6:7], v12 offset0:17 offset1:18
	ds_read2_b32 v[4:5], v12 offset0:19 offset1:20
	ds_read2_b32 v[2:3], v12 offset0:21 offset1:22
	s_waitcnt lgkmcnt(0)
	ds_write_b32 v11, v10 offset:24576
	s_waitcnt lgkmcnt(0)
	s_barrier
	s_and_saveexec_b64 s[6:7], vcc
	s_cbranch_execz .LBB1501_145
; %bb.144:
	s_waitcnt vmcnt(0)
	ds_read_b32 v1, v54 offset:24580
.LBB1501_145:
	s_or_b64 exec, exec, s[6:7]
	v_lshl_add_u64 v[16:17], s[52:53], 0, v[54:55]
	v_add_co_u32_e32 v20, vcc, s10, v16
	s_waitcnt lgkmcnt(0)
	s_nop 0
	v_addc_co_u32_e32 v21, vcc, 0, v17, vcc
	s_barrier
	flat_load_dword v11, v[16:17]
	flat_load_dword v13, v[16:17] offset:1024
	flat_load_dword v28, v[16:17] offset:2048
	;; [unrolled: 1-line block ×3, first 2 shown]
	flat_load_dword v32, v[20:21]
	flat_load_dword v33, v[20:21] offset:1024
	flat_load_dword v36, v[20:21] offset:2048
	;; [unrolled: 1-line block ×3, first 2 shown]
	v_add_co_u32_e32 v20, vcc, s9, v16
	s_nop 1
	v_addc_co_u32_e32 v21, vcc, 0, v17, vcc
	v_add_co_u32_e32 v24, vcc, s8, v16
	s_nop 1
	v_addc_co_u32_e32 v25, vcc, 0, v17, vcc
	flat_load_dword v40, v[20:21]
	flat_load_dword v41, v[20:21] offset:1024
	flat_load_dword v42, v[20:21] offset:2048
	;; [unrolled: 1-line block ×3, first 2 shown]
	flat_load_dword v44, v[24:25]
	flat_load_dword v45, v[24:25] offset:1024
	flat_load_dword v46, v[24:25] offset:2048
	;; [unrolled: 1-line block ×3, first 2 shown]
	v_add_co_u32_e32 v20, vcc, s5, v16
	s_mov_b32 s5, 1
	s_nop 0
	v_addc_co_u32_e32 v21, vcc, 0, v17, vcc
	v_add_co_u32_e32 v16, vcc, s3, v16
	s_nop 1
	v_addc_co_u32_e32 v17, vcc, 0, v17, vcc
	flat_load_dword v24, v[20:21]
	flat_load_dword v25, v[20:21] offset:1024
	flat_load_dword v48, v[20:21] offset:2048
	;; [unrolled: 1-line block ×3, first 2 shown]
	flat_load_dword v50, v[16:17]
	flat_load_dword v51, v[16:17] offset:1024
	flat_load_dword v52, v[16:17] offset:2048
	v_cmp_eq_u32_e32 vcc, v10, v14
	s_waitcnt vmcnt(0) lgkmcnt(0)
	ds_write2st64_b32 v54, v11, v13 offset1:4
	ds_write2st64_b32 v54, v28, v29 offset0:8 offset1:12
	ds_write2st64_b32 v54, v32, v33 offset0:16 offset1:20
	;; [unrolled: 1-line block ×10, first 2 shown]
	ds_write_b32 v54, v52 offset:22528
	s_waitcnt lgkmcnt(0)
	s_barrier
	ds_read2_b32 v[16:17], v12 offset0:1 offset1:2
	ds_read2_b32 v[20:21], v12 offset0:3 offset1:4
	;; [unrolled: 1-line block ×11, first 2 shown]
	v_mov_b64_e32 v[10:11], s[4:5]
	v_mov_b32_e32 v13, s76
	s_and_saveexec_b64 s[4:5], vcc
	s_cbranch_execz .LBB1501_147
; %bb.146:
	ds_read_b32 v13, v12
	v_mov_b64_e32 v[10:11], 0
.LBB1501_147:
	s_or_b64 exec, exec, s[4:5]
	v_mov_b32_e32 v55, s76
	v_cmp_eq_u32_e32 vcc, v14, v15
	s_waitcnt lgkmcnt(0)
	v_or_b32_e32 v10, v10, v13
	v_cmp_ne_u32_e64 s[8:9], v3, v1
	v_cndmask_b32_e32 v12, v55, v16, vcc
	v_cmp_ne_u32_e32 vcc, v14, v15
	s_mov_b64 s[10:11], -1
                                        ; implicit-def: $sgpr6_sgpr7
	s_nop 0
	v_cndmask_b32_e64 v13, 0, 1, vcc
	v_cmp_eq_u32_e32 vcc, v15, v18
	s_nop 1
	v_cndmask_b32_e32 v14, v55, v17, vcc
	v_cmp_ne_u32_e32 vcc, v15, v18
	s_nop 1
	v_cndmask_b32_e64 v15, 0, 1, vcc
	v_cmp_eq_u32_e32 vcc, v18, v19
	s_nop 1
	v_cndmask_b32_e32 v16, v55, v20, vcc
	v_cmp_ne_u32_e32 vcc, v18, v19
	;; [unrolled: 6-line block ×20, first 2 shown]
	v_cndmask_b32_e64 v2, v57, v55, s[8:9]
	s_nop 0
	v_cndmask_b32_e64 v53, 0, 1, vcc
.LBB1501_148:
	v_mov_b64_e32 v[56:57], s[6:7]
	s_and_saveexec_b64 s[4:5], s[10:11]
; %bb.149:
	v_cndmask_b32_e64 v3, 0, 1, s[8:9]
	v_mov_b64_e32 v[56:57], v[2:3]
; %bb.150:
	s_or_b64 exec, exec, s[4:5]
	s_mov_b32 s46, 0
	s_cmp_lg_u32 s2, 0
	v_or_b32_e32 v55, v57, v53
	v_lshrrev_b32_e32 v1, 5, v0
	v_cmp_gt_u32_e32 vcc, 64, v0
	s_barrier
	s_cbranch_scc0 .LBB1501_185
; %bb.151:
	s_mov_b32 s47, 1
	v_cmp_gt_u64_e64 s[50:51], s[46:47], v[12:13]
	v_cmp_gt_u64_e64 s[4:5], s[46:47], v[14:15]
	v_cmp_gt_u64_e64 s[6:7], s[46:47], v[16:17]
	v_cndmask_b32_e64 v2, 0, v10, s[50:51]
	v_add_u32_e32 v2, v2, v12
	v_cndmask_b32_e64 v2, 0, v2, s[4:5]
	v_add_u32_e32 v2, v2, v14
	v_cndmask_b32_e64 v2, 0, v2, s[6:7]
	v_add_u32_e32 v2, v2, v16
	v_cmp_gt_u64_e64 s[8:9], s[46:47], v[18:19]
	v_cmp_gt_u64_e64 s[10:11], s[46:47], v[20:21]
	v_cmp_gt_u64_e64 s[12:13], s[46:47], v[22:23]
	v_cndmask_b32_e64 v2, 0, v2, s[8:9]
	v_add_u32_e32 v2, v2, v18
	v_cndmask_b32_e64 v2, 0, v2, s[10:11]
	v_add_u32_e32 v2, v2, v20
	v_cndmask_b32_e64 v2, 0, v2, s[12:13]
	v_add_u32_e32 v2, v2, v22
	;; [unrolled: 9-line block ×7, first 2 shown]
	v_cmp_gt_u64_e64 s[46:47], s[46:47], v[56:57]
	s_nop 1
	v_cndmask_b32_e64 v2, 0, v2, s[46:47]
	v_add_u32_e32 v62, v2, v56
	v_or3_b32 v2, v55, v51, v49
	v_or3_b32 v2, v2, v47, v45
	;; [unrolled: 1-line block ×10, first 2 shown]
	v_and_b32_e32 v2, 1, v2
	v_cmp_eq_u32_e64 s[46:47], 1, v2
	v_add_lshl_u32 v2, v1, v0, 3
	s_nop 0
	v_cndmask_b32_e64 v63, v11, 1, s[46:47]
	ds_write_b32 v2, v62
	ds_write_b8 v2, v63 offset:4
	s_waitcnt lgkmcnt(0)
	s_barrier
	s_and_saveexec_b64 s[48:49], vcc
	s_cbranch_execz .LBB1501_163
; %bb.152:
	v_lshrrev_b32_e32 v2, 3, v0
	v_add_lshl_u32 v4, v2, v54, 3
	ds_read2_b32 v[6:7], v4 offset0:2 offset1:4
	ds_read_b64 v[2:3], v4
	ds_read_u8 v8, v4 offset:12
	ds_read_u8 v9, v4 offset:20
	ds_read_b32 v58, v4 offset:24
	ds_read_u8 v59, v4 offset:28
	v_mov_b32_e32 v60, 0
	s_waitcnt lgkmcnt(3)
	v_cmp_eq_u16_sdwa s[46:47], v8, v60 src0_sel:BYTE_0 src1_sel:DWORD
	v_and_b32_e32 v5, 1, v3
	s_nop 0
	v_cndmask_b32_e64 v61, 0, v2, s[46:47]
	v_add_u32_e32 v6, v61, v6
	s_waitcnt lgkmcnt(2)
	v_cmp_eq_u16_sdwa s[46:47], v9, v60 src0_sel:BYTE_0 src1_sel:DWORD
	s_nop 1
	v_cndmask_b32_e64 v6, 0, v6, s[46:47]
	v_add_u32_e32 v6, v6, v7
	s_waitcnt lgkmcnt(0)
	v_cmp_eq_u16_e64 s[46:47], 0, v59
	s_nop 1
	v_cndmask_b32_e64 v6, 0, v6, s[46:47]
	v_add_u32_e32 v7, v6, v58
	v_or_b32_e32 v6, v59, v9
	v_or_b32_e32 v6, v6, v8
	v_and_b32_e32 v6, 1, v6
	v_cmp_eq_u32_e64 s[46:47], 1, v6
	v_mbcnt_lo_u32_b32 v8, -1, 0
	v_and_b32_e32 v6, 0xffffff00, v3
	v_cndmask_b32_e64 v9, v5, 1, s[46:47]
	v_mbcnt_hi_u32_b32 v8, -1, v8
	v_and_b32_e32 v59, 15, v8
	v_or_b32_sdwa v58, v6, v9 dst_sel:DWORD dst_unused:UNUSED_PAD src0_sel:DWORD src1_sel:WORD_0
	v_mov_b32_dpp v60, v7 row_shr:1 row_mask:0xf bank_mask:0xf
	v_cmp_ne_u32_e64 s[46:47], 0, v59
	v_mov_b32_dpp v61, v58 row_shr:1 row_mask:0xf bank_mask:0xf
	s_and_saveexec_b64 s[52:53], s[46:47]
; %bb.153:
	v_and_b32_e32 v58, 1, v9
	v_and_b32_e32 v61, 1, v61
	v_cmp_eq_u32_e64 s[46:47], 1, v58
	s_nop 1
	v_cndmask_b32_e64 v61, v61, 1, s[46:47]
	v_cmp_eq_u16_e64 s[46:47], 0, v9
	v_or_b32_sdwa v58, v6, v61 dst_sel:DWORD dst_unused:UNUSED_PAD src0_sel:DWORD src1_sel:WORD_0
	s_nop 0
	v_cndmask_b32_e64 v9, 0, v60, s[46:47]
	v_add_u32_e32 v7, v9, v7
	v_mov_b32_e32 v9, v61
; %bb.154:
	s_or_b64 exec, exec, s[52:53]
	v_mov_b32_dpp v60, v7 row_shr:2 row_mask:0xf bank_mask:0xf
	v_mov_b32_dpp v61, v58 row_shr:2 row_mask:0xf bank_mask:0xf
	v_cmp_lt_u32_e64 s[46:47], 1, v59
	s_and_saveexec_b64 s[52:53], s[46:47]
; %bb.155:
	v_and_b32_e32 v58, 1, v9
	v_and_b32_e32 v61, 1, v61
	v_cmp_eq_u32_e64 s[46:47], 1, v58
	s_nop 1
	v_cndmask_b32_e64 v61, v61, 1, s[46:47]
	v_cmp_eq_u16_e64 s[46:47], 0, v9
	v_or_b32_sdwa v58, v6, v61 dst_sel:DWORD dst_unused:UNUSED_PAD src0_sel:DWORD src1_sel:WORD_0
	s_nop 0
	v_cndmask_b32_e64 v9, 0, v60, s[46:47]
	v_add_u32_e32 v7, v9, v7
	v_mov_b32_e32 v9, v61
; %bb.156:
	s_or_b64 exec, exec, s[52:53]
	v_mov_b32_dpp v60, v7 row_shr:4 row_mask:0xf bank_mask:0xf
	v_mov_b32_dpp v61, v58 row_shr:4 row_mask:0xf bank_mask:0xf
	v_cmp_lt_u32_e64 s[46:47], 3, v59
	;; [unrolled: 18-line block ×3, first 2 shown]
	s_and_saveexec_b64 s[52:53], s[46:47]
; %bb.159:
	v_and_b32_e32 v58, 1, v9
	v_and_b32_e32 v59, 1, v61
	v_cmp_eq_u32_e64 s[46:47], 1, v58
	s_nop 1
	v_cndmask_b32_e64 v59, v59, 1, s[46:47]
	v_cmp_eq_u16_e64 s[46:47], 0, v9
	v_or_b32_sdwa v58, v6, v59 dst_sel:DWORD dst_unused:UNUSED_PAD src0_sel:DWORD src1_sel:WORD_0
	s_nop 0
	v_cndmask_b32_e64 v9, 0, v60, s[46:47]
	v_add_u32_e32 v7, v9, v7
	v_mov_b32_e32 v9, v59
; %bb.160:
	s_or_b64 exec, exec, s[52:53]
	v_and_b32_e32 v61, 16, v8
	v_mov_b32_dpp v59, v7 row_bcast:15 row_mask:0xf bank_mask:0xf
	v_mov_b32_dpp v60, v58 row_bcast:15 row_mask:0xf bank_mask:0xf
	v_cmp_ne_u32_e64 s[46:47], 0, v61
	s_and_saveexec_b64 s[52:53], s[46:47]
; %bb.161:
	v_and_b32_e32 v58, 1, v9
	v_and_b32_e32 v60, 1, v60
	v_cmp_eq_u32_e64 s[46:47], 1, v58
	s_nop 1
	v_cndmask_b32_e64 v60, v60, 1, s[46:47]
	v_cmp_eq_u16_e64 s[46:47], 0, v9
	v_or_b32_sdwa v58, v6, v60 dst_sel:DWORD dst_unused:UNUSED_PAD src0_sel:DWORD src1_sel:WORD_0
	s_nop 0
	v_cndmask_b32_e64 v9, 0, v59, s[46:47]
	v_add_u32_e32 v7, v9, v7
	v_mov_b32_e32 v9, v60
; %bb.162:
	s_or_b64 exec, exec, s[52:53]
	v_mov_b32_dpp v58, v58 row_bcast:31 row_mask:0xf bank_mask:0xf
	v_and_b32_e32 v60, 1, v9
	v_and_b32_e32 v58, 1, v58
	v_cmp_eq_u32_e64 s[46:47], 1, v60
	v_mov_b32_e32 v60, 0
	v_cmp_eq_u16_sdwa s[52:53], v9, v60 src0_sel:BYTE_0 src1_sel:DWORD
	v_cndmask_b32_e64 v58, v58, 1, s[46:47]
	v_cmp_lt_u32_e64 s[46:47], 31, v8
	v_mov_b32_dpp v59, v7 row_bcast:31 row_mask:0xf bank_mask:0xf
	s_movk_i32 s3, 0xff
	v_cndmask_b32_e64 v9, v9, v58, s[46:47]
	s_and_b64 s[46:47], s[46:47], s[52:53]
	v_cndmask_b32_e64 v58, 0, v59, s[46:47]
	v_add_u32_e32 v7, v58, v7
	v_add_u32_e32 v58, -1, v8
	v_and_b32_e32 v59, 64, v8
	v_cmp_lt_i32_e64 s[46:47], v58, v59
	v_and_or_b32 v6, v9, s3, v6
	s_nop 0
	v_cndmask_b32_e64 v8, v58, v8, s[46:47]
	v_lshlrev_b32_e32 v8, 2, v8
	ds_bpermute_b32 v7, v8, v7
	ds_bpermute_b32 v6, v8, v6
	v_cmp_eq_u16_sdwa s[46:47], v3, v60 src0_sel:BYTE_0 src1_sel:DWORD
	; wave barrier
	s_waitcnt lgkmcnt(1)
	s_nop 0
	v_cndmask_b32_e64 v3, 0, v7, s[46:47]
	v_add_u32_e32 v2, v3, v2
	s_waitcnt lgkmcnt(0)
	v_and_b32_e32 v3, 1, v6
	v_cmp_eq_u32_e64 s[46:47], 1, v5
	s_nop 1
	v_cndmask_b32_e64 v3, v3, 1, s[46:47]
	v_cmp_eq_u32_e64 s[46:47], 0, v0
	s_nop 1
	v_cndmask_b32_e64 v5, v2, v62, s[46:47]
	v_cndmask_b32_e64 v6, v3, v63, s[46:47]
	ds_write_b32 v4, v5
	ds_write_b8 v4, v6 offset:4
	; wave barrier
	ds_read_u8 v7, v4 offset:12
	ds_read2_b32 v[2:3], v4 offset0:2 offset1:4
	ds_read_u8 v8, v4 offset:20
	ds_read_b32 v9, v4 offset:24
	ds_read_u8 v58, v4 offset:28
	s_waitcnt lgkmcnt(4)
	v_cmp_eq_u16_e64 s[46:47], 0, v7
	s_nop 1
	v_cndmask_b32_e64 v5, 0, v5, s[46:47]
	s_waitcnt lgkmcnt(3)
	v_add_u32_e32 v2, v5, v2
	v_and_b32_e32 v5, 1, v7
	v_cmp_eq_u32_e64 s[46:47], 1, v5
	s_nop 1
	v_cndmask_b32_e64 v5, v6, 1, s[46:47]
	s_waitcnt lgkmcnt(2)
	v_cmp_eq_u16_e64 s[46:47], 0, v8
	ds_write_b8 v4, v5 offset:12
	s_nop 0
	v_cndmask_b32_e64 v6, 0, v2, s[46:47]
	v_add_u32_e32 v3, v6, v3
	v_and_b32_e32 v6, 1, v8
	v_cmp_eq_u32_e64 s[46:47], 1, v6
	s_nop 1
	v_cndmask_b32_e64 v5, v5, 1, s[46:47]
	s_waitcnt lgkmcnt(1)
	v_cmp_eq_u16_e64 s[46:47], 0, v58
	ds_write2_b32 v4, v2, v3 offset0:2 offset1:4
	ds_write_b8 v4, v5 offset:20
	v_cndmask_b32_e64 v2, 0, v3, s[46:47]
	v_and_b32_e32 v3, 1, v58
	v_add_u32_e32 v2, v2, v9
	v_cmp_eq_u32_e64 s[46:47], 1, v3
	s_nop 1
	v_cndmask_b32_e64 v3, v5, 1, s[46:47]
	ds_write_b32 v4, v2 offset:24
	ds_write_b8 v4, v3 offset:28
.LBB1501_163:
	s_or_b64 exec, exec, s[48:49]
	v_cmp_eq_u32_e64 s[46:47], 0, v0
	v_cmp_ne_u32_e64 s[48:49], 0, v0
	s_waitcnt lgkmcnt(0)
	s_barrier
	s_and_saveexec_b64 s[52:53], s[48:49]
	s_cbranch_execz .LBB1501_165
; %bb.164:
	v_add_u32_e32 v2, -1, v0
	v_lshrrev_b32_e32 v3, 5, v2
	v_add_lshl_u32 v2, v3, v2, 3
	ds_read_b32 v62, v2
	ds_read_u8 v63, v2 offset:4
.LBB1501_165:
	s_or_b64 exec, exec, s[52:53]
	s_and_saveexec_b64 s[60:61], vcc
	s_cbranch_execz .LBB1501_184
; %bb.166:
	v_mov_b32_e32 v5, 0
	ds_read_b64 v[2:3], v5 offset:2096
	v_mbcnt_lo_u32_b32 v4, -1, 0
	v_mbcnt_hi_u32_b32 v73, -1, v4
	s_mov_b32 s71, 0
	v_cmp_eq_u32_e64 s[48:49], 0, v73
	s_waitcnt lgkmcnt(0)
	v_readfirstlane_b32 s3, v3
	s_and_saveexec_b64 s[52:53], s[48:49]
	s_cbranch_execz .LBB1501_168
; %bb.167:
	s_add_i32 s70, s2, 64
	s_lshl_b64 s[72:73], s[70:71], 4
	s_add_u32 s72, s56, s72
	s_addc_u32 s73, s57, s73
	s_and_b32 s75, s3, 0xff000000
	s_mov_b32 s74, s71
	s_and_b32 s79, s3, 0xff0000
	s_mov_b32 s78, s71
	s_or_b64 s[74:75], s[78:79], s[74:75]
	s_and_b32 s79, s3, 0xff00
	s_or_b64 s[74:75], s[74:75], s[78:79]
	s_and_b32 s79, s3, 0xff
	s_or_b64 s[70:71], s[74:75], s[78:79]
	v_mov_b32_e32 v3, s71
	v_mov_b32_e32 v4, 1
	v_mov_b64_e32 v[6:7], s[72:73]
	;;#ASMSTART
	global_store_dwordx4 v[6:7], v[2:5] off sc1	
s_waitcnt vmcnt(0)
	;;#ASMEND
.LBB1501_168:
	s_or_b64 exec, exec, s[52:53]
	v_xad_u32 v58, v73, -1, s2
	v_add_u32_e32 v4, 64, v58
	v_lshl_add_u64 v[60:61], v[4:5], 4, s[56:57]
	;;#ASMSTART
	global_load_dwordx4 v[6:9], v[60:61] off sc1	
s_waitcnt vmcnt(0)
	;;#ASMEND
	s_nop 0
	v_and_b32_e32 v3, 0xff0000, v6
	v_and_b32_e32 v4, 0xff000000, v6
	;; [unrolled: 1-line block ×3, first 2 shown]
	v_or_b32_sdwa v3, v6, v3 dst_sel:DWORD dst_unused:UNUSED_PAD src0_sel:WORD_0 src1_sel:DWORD
	v_or3_b32 v7, 0, 0, v7
	v_or3_b32 v6, v3, v4, 0
	v_cmp_eq_u16_sdwa s[70:71], v8, v5 src0_sel:BYTE_0 src1_sel:DWORD
	s_and_saveexec_b64 s[52:53], s[70:71]
	s_cbranch_execz .LBB1501_172
; %bb.169:
	s_mov_b64 s[70:71], 0
	v_mov_b32_e32 v3, 0
.LBB1501_170:                           ; =>This Inner Loop Header: Depth=1
	;;#ASMSTART
	global_load_dwordx4 v[6:9], v[60:61] off sc1	
s_waitcnt vmcnt(0)
	;;#ASMEND
	s_nop 0
	v_cmp_ne_u16_sdwa s[72:73], v8, v3 src0_sel:BYTE_0 src1_sel:DWORD
	s_or_b64 s[70:71], s[72:73], s[70:71]
	s_andn2_b64 exec, exec, s[70:71]
	s_cbranch_execnz .LBB1501_170
; %bb.171:
	s_or_b64 exec, exec, s[70:71]
	v_and_b32_e32 v7, 0xff, v7
.LBB1501_172:
	s_or_b64 exec, exec, s[52:53]
	v_mov_b32_e32 v3, 2
	v_cmp_eq_u16_sdwa s[52:53], v8, v3 src0_sel:BYTE_0 src1_sel:DWORD
	v_lshlrev_b64 v[4:5], v73, -1
	v_and_b32_e32 v64, 63, v73
	v_and_b32_e32 v9, s53, v5
	v_or_b32_e32 v9, 0x80000000, v9
	v_and_b32_e32 v59, s52, v4
	v_ffbl_b32_e32 v9, v9
	v_add_u32_e32 v9, 32, v9
	v_ffbl_b32_e32 v59, v59
	v_cmp_ne_u32_e32 vcc, 63, v64
	v_min_u32_e32 v9, v59, v9
	s_mov_b32 s70, 0
	v_addc_co_u32_e32 v59, vcc, 0, v73, vcc
	v_lshlrev_b32_e32 v65, 2, v59
	ds_bpermute_b32 v59, v65, v7
	ds_bpermute_b32 v60, v65, v6
	v_and_b32_e32 v61, 1, v7
	s_mov_b32 s71, 1
	v_cmp_eq_u32_e32 vcc, 1, v61
	s_waitcnt lgkmcnt(1)
	v_and_b32_e32 v59, 1, v59
	v_cmp_lt_u32_e64 s[52:53], v64, v9
	v_cndmask_b32_e64 v59, v59, 1, vcc
	v_cmp_gt_u64_e32 vcc, s[70:71], v[6:7]
	s_and_b64 vcc, s[52:53], vcc
	v_and_b32_e32 v61, 0xffff, v59
	v_cndmask_b32_e64 v68, v7, v59, s[52:53]
	s_waitcnt lgkmcnt(0)
	v_cndmask_b32_e32 v59, 0, v60, vcc
	v_cmp_gt_u32_e32 vcc, 62, v64
	v_cndmask_b32_e64 v7, v7, v61, s[52:53]
	v_add_u32_e32 v6, v59, v6
	v_cndmask_b32_e64 v60, 0, 1, vcc
	v_lshlrev_b32_e32 v60, 1, v60
	v_add_lshl_u32 v66, v60, v73, 2
	ds_bpermute_b32 v60, v66, v7
	ds_bpermute_b32 v61, v66, v6
	v_and_b32_e32 v59, 1, v68
	v_cmp_eq_u32_e32 vcc, 1, v59
	v_mov_b32_e32 v59, 0
	s_waitcnt lgkmcnt(1)
	v_and_b32_e32 v60, 1, v60
	v_add_u32_e32 v67, 2, v64
	v_cndmask_b32_e64 v60, v60, 1, vcc
	v_cmp_eq_u16_sdwa vcc, v68, v59 src0_sel:BYTE_0 src1_sel:DWORD
	v_and_b32_e32 v69, 0xffff, v60
	v_add_u32_e32 v77, 32, v64
	s_waitcnt lgkmcnt(0)
	v_cndmask_b32_e32 v61, 0, v61, vcc
	v_cmp_gt_u32_e32 vcc, v67, v9
	s_nop 1
	v_cndmask_b32_e32 v60, v60, v68, vcc
	v_cndmask_b32_e64 v61, v61, 0, vcc
	v_cndmask_b32_e32 v7, v69, v7, vcc
	v_cmp_gt_u32_e32 vcc, 60, v64
	v_add_u32_e32 v6, v61, v6
	v_and_b32_e32 v71, 1, v60
	v_cndmask_b32_e64 v68, 0, 1, vcc
	v_lshlrev_b32_e32 v68, 2, v68
	v_add_lshl_u32 v68, v68, v73, 2
	ds_bpermute_b32 v70, v68, v7
	ds_bpermute_b32 v61, v68, v6
	v_cmp_eq_u32_e32 vcc, 1, v71
	v_add_u32_e32 v69, 4, v64
	s_waitcnt lgkmcnt(1)
	v_and_b32_e32 v70, 1, v70
	v_cndmask_b32_e64 v70, v70, 1, vcc
	v_cmp_eq_u16_sdwa vcc, v60, v59 src0_sel:BYTE_0 src1_sel:DWORD
	v_and_b32_e32 v71, 0xffff, v70
	s_waitcnt lgkmcnt(0)
	v_cndmask_b32_e32 v61, 0, v61, vcc
	v_cmp_gt_u32_e32 vcc, v69, v9
	s_nop 1
	v_cndmask_b32_e32 v60, v70, v60, vcc
	v_cndmask_b32_e64 v61, v61, 0, vcc
	v_cndmask_b32_e32 v7, v71, v7, vcc
	v_cmp_gt_u32_e32 vcc, 56, v64
	v_add_u32_e32 v6, v61, v6
	v_and_b32_e32 v74, 1, v60
	v_cndmask_b32_e64 v70, 0, 1, vcc
	v_lshlrev_b32_e32 v70, 3, v70
	v_add_lshl_u32 v70, v70, v73, 2
	ds_bpermute_b32 v72, v70, v7
	ds_bpermute_b32 v61, v70, v6
	v_cmp_eq_u32_e32 vcc, 1, v74
	v_add_u32_e32 v71, 8, v64
	s_waitcnt lgkmcnt(1)
	v_and_b32_e32 v72, 1, v72
	v_cndmask_b32_e64 v72, v72, 1, vcc
	v_cmp_eq_u16_sdwa vcc, v60, v59 src0_sel:BYTE_0 src1_sel:DWORD
	v_and_b32_e32 v74, 0xffff, v72
	;; [unrolled: 22-line block ×3, first 2 shown]
	s_waitcnt lgkmcnt(0)
	v_cndmask_b32_e32 v61, 0, v61, vcc
	v_cmp_gt_u32_e32 vcc, v74, v9
	s_nop 1
	v_cndmask_b32_e32 v60, v75, v60, vcc
	v_cndmask_b32_e64 v61, v61, 0, vcc
	v_cndmask_b32_e32 v7, v76, v7, vcc
	v_cmp_gt_u32_e32 vcc, 32, v64
	v_add_u32_e32 v6, v61, v6
	s_nop 0
	v_cndmask_b32_e64 v75, 0, 1, vcc
	v_lshlrev_b32_e32 v75, 5, v75
	v_add_lshl_u32 v76, v75, v73, 2
	ds_bpermute_b32 v7, v76, v7
	ds_bpermute_b32 v61, v76, v6
	v_and_b32_e32 v73, 1, v60
	v_cmp_eq_u32_e32 vcc, 1, v73
	s_waitcnt lgkmcnt(1)
	v_and_b32_e32 v7, 1, v7
	v_cndmask_b32_e64 v7, v7, 1, vcc
	v_cmp_eq_u16_sdwa vcc, v60, v59 src0_sel:BYTE_0 src1_sel:DWORD
	s_waitcnt lgkmcnt(0)
	s_nop 0
	v_cndmask_b32_e32 v61, 0, v61, vcc
	v_cmp_gt_u32_e32 vcc, v77, v9
	s_nop 1
	v_cndmask_b32_e64 v9, v61, 0, vcc
	v_cndmask_b32_e32 v7, v7, v60, vcc
	v_add_u32_e32 v6, v9, v6
	s_branch .LBB1501_174
.LBB1501_173:                           ;   in Loop: Header=BB1501_174 Depth=1
	s_or_b64 exec, exec, s[52:53]
	v_cmp_eq_u16_sdwa s[52:53], v8, v3 src0_sel:BYTE_0 src1_sel:DWORD
	ds_bpermute_b32 v61, v65, v7
	v_and_b32_e32 v78, 1, v7
	v_and_b32_e32 v9, s53, v5
	v_or_b32_e32 v9, 0x80000000, v9
	v_and_b32_e32 v60, s52, v4
	v_ffbl_b32_e32 v9, v9
	v_add_u32_e32 v9, 32, v9
	v_ffbl_b32_e32 v60, v60
	v_min_u32_e32 v9, v60, v9
	ds_bpermute_b32 v60, v65, v6
	s_waitcnt lgkmcnt(1)
	v_and_b32_e32 v61, 1, v61
	v_cmp_eq_u32_e32 vcc, 1, v78
	v_cmp_lt_u32_e64 s[52:53], v64, v9
	v_subrev_u32_e32 v58, 64, v58
	v_cndmask_b32_e64 v61, v61, 1, vcc
	v_cmp_gt_u64_e32 vcc, s[70:71], v[6:7]
	v_and_b32_e32 v78, 0xffff, v61
	v_cndmask_b32_e64 v61, v7, v61, s[52:53]
	v_cndmask_b32_e64 v7, v7, v78, s[52:53]
	s_and_b64 vcc, s[52:53], vcc
	ds_bpermute_b32 v78, v66, v7
	s_waitcnt lgkmcnt(1)
	v_cndmask_b32_e32 v60, 0, v60, vcc
	v_add_u32_e32 v6, v60, v6
	ds_bpermute_b32 v60, v66, v6
	v_and_b32_e32 v79, 1, v61
	s_waitcnt lgkmcnt(1)
	v_and_b32_e32 v78, 1, v78
	v_cmp_eq_u32_e32 vcc, 1, v79
	s_nop 1
	v_cndmask_b32_e64 v78, v78, 1, vcc
	v_cmp_eq_u16_sdwa vcc, v61, v59 src0_sel:BYTE_0 src1_sel:DWORD
	v_and_b32_e32 v79, 0xffff, v78
	s_waitcnt lgkmcnt(0)
	v_cndmask_b32_e32 v60, 0, v60, vcc
	v_cmp_gt_u32_e32 vcc, v67, v9
	s_nop 1
	v_cndmask_b32_e32 v7, v79, v7, vcc
	v_cndmask_b32_e32 v61, v78, v61, vcc
	ds_bpermute_b32 v78, v68, v7
	v_cndmask_b32_e64 v60, v60, 0, vcc
	v_add_u32_e32 v6, v60, v6
	ds_bpermute_b32 v60, v68, v6
	v_and_b32_e32 v79, 1, v61
	s_waitcnt lgkmcnt(1)
	v_and_b32_e32 v78, 1, v78
	v_cmp_eq_u32_e32 vcc, 1, v79
	s_nop 1
	v_cndmask_b32_e64 v78, v78, 1, vcc
	v_cmp_eq_u16_sdwa vcc, v61, v59 src0_sel:BYTE_0 src1_sel:DWORD
	v_and_b32_e32 v79, 0xffff, v78
	s_waitcnt lgkmcnt(0)
	v_cndmask_b32_e32 v60, 0, v60, vcc
	v_cmp_gt_u32_e32 vcc, v69, v9
	s_nop 1
	v_cndmask_b32_e32 v7, v79, v7, vcc
	v_cndmask_b32_e32 v61, v78, v61, vcc
	ds_bpermute_b32 v78, v70, v7
	v_cndmask_b32_e64 v60, v60, 0, vcc
	v_add_u32_e32 v6, v60, v6
	ds_bpermute_b32 v60, v70, v6
	v_and_b32_e32 v79, 1, v61
	s_waitcnt lgkmcnt(1)
	v_and_b32_e32 v78, 1, v78
	v_cmp_eq_u32_e32 vcc, 1, v79
	s_nop 1
	v_cndmask_b32_e64 v78, v78, 1, vcc
	v_cmp_eq_u16_sdwa vcc, v61, v59 src0_sel:BYTE_0 src1_sel:DWORD
	v_and_b32_e32 v79, 0xffff, v78
	s_waitcnt lgkmcnt(0)
	v_cndmask_b32_e32 v60, 0, v60, vcc
	v_cmp_gt_u32_e32 vcc, v71, v9
	s_nop 1
	v_cndmask_b32_e32 v7, v79, v7, vcc
	v_cndmask_b32_e32 v61, v78, v61, vcc
	ds_bpermute_b32 v78, v72, v7
	v_cndmask_b32_e64 v60, v60, 0, vcc
	v_add_u32_e32 v6, v60, v6
	ds_bpermute_b32 v60, v72, v6
	v_and_b32_e32 v79, 1, v61
	s_waitcnt lgkmcnt(1)
	v_and_b32_e32 v78, 1, v78
	v_cmp_eq_u32_e32 vcc, 1, v79
	s_nop 1
	v_cndmask_b32_e64 v78, v78, 1, vcc
	v_cmp_eq_u16_sdwa vcc, v61, v59 src0_sel:BYTE_0 src1_sel:DWORD
	v_and_b32_e32 v79, 0xffff, v78
	s_waitcnt lgkmcnt(0)
	v_cndmask_b32_e32 v60, 0, v60, vcc
	v_cmp_gt_u32_e32 vcc, v74, v9
	s_nop 1
	v_cndmask_b32_e64 v60, v60, 0, vcc
	v_cndmask_b32_e32 v7, v79, v7, vcc
	ds_bpermute_b32 v7, v76, v7
	v_add_u32_e32 v6, v60, v6
	ds_bpermute_b32 v60, v76, v6
	v_cndmask_b32_e32 v61, v78, v61, vcc
	v_and_b32_e32 v78, 1, v61
	v_cmp_eq_u32_e32 vcc, 1, v78
	s_waitcnt lgkmcnt(1)
	s_nop 0
	v_cndmask_b32_e64 v7, v7, 1, vcc
	v_cmp_eq_u16_sdwa vcc, v61, v59 src0_sel:BYTE_0 src1_sel:DWORD
	s_waitcnt lgkmcnt(0)
	s_nop 0
	v_cndmask_b32_e32 v60, 0, v60, vcc
	v_cmp_gt_u32_e32 vcc, v77, v9
	s_nop 1
	v_cndmask_b32_e64 v9, v60, 0, vcc
	v_cndmask_b32_e32 v7, v7, v61, vcc
	v_add_u32_e32 v6, v9, v6
	v_cmp_eq_u16_sdwa vcc, v73, v59 src0_sel:BYTE_0 src1_sel:DWORD
	v_and_b32_e32 v9, 1, v73
	v_and_b32_e32 v7, 1, v7
	v_cndmask_b32_e32 v6, 0, v6, vcc
	v_cmp_eq_u32_e32 vcc, 1, v9
	v_add_u32_e32 v6, v6, v75
	s_nop 0
	v_cndmask_b32_e64 v7, v7, 1, vcc
.LBB1501_174:                           ; =>This Loop Header: Depth=1
                                        ;     Child Loop BB1501_177 Depth 2
	v_cmp_ne_u16_sdwa s[52:53], v8, v3 src0_sel:BYTE_0 src1_sel:DWORD
	v_mov_b32_e32 v73, v7
	v_mov_b32_e32 v75, v6
	v_cndmask_b32_e64 v7, 0, 1, s[52:53]
	;;#ASMSTART
	;;#ASMEND
	s_nop 0
	v_cmp_ne_u32_e32 vcc, 0, v7
	s_cmp_lg_u64 vcc, exec
	s_cbranch_scc1 .LBB1501_179
; %bb.175:                              ;   in Loop: Header=BB1501_174 Depth=1
	v_lshl_add_u64 v[60:61], v[58:59], 4, s[56:57]
	;;#ASMSTART
	global_load_dwordx4 v[6:9], v[60:61] off sc1	
s_waitcnt vmcnt(0)
	;;#ASMEND
	s_nop 0
	v_and_b32_e32 v9, 0xff0000, v6
	v_and_b32_e32 v78, 0xff000000, v6
	;; [unrolled: 1-line block ×3, first 2 shown]
	v_or_b32_sdwa v6, v6, v9 dst_sel:DWORD dst_unused:UNUSED_PAD src0_sel:WORD_0 src1_sel:DWORD
	v_or3_b32 v7, 0, 0, v7
	v_or3_b32 v6, v6, v78, 0
	v_cmp_eq_u16_sdwa s[72:73], v8, v59 src0_sel:BYTE_0 src1_sel:DWORD
	s_and_saveexec_b64 s[52:53], s[72:73]
	s_cbranch_execz .LBB1501_173
; %bb.176:                              ;   in Loop: Header=BB1501_174 Depth=1
	s_mov_b64 s[72:73], 0
.LBB1501_177:                           ;   Parent Loop BB1501_174 Depth=1
                                        ; =>  This Inner Loop Header: Depth=2
	;;#ASMSTART
	global_load_dwordx4 v[6:9], v[60:61] off sc1	
s_waitcnt vmcnt(0)
	;;#ASMEND
	s_nop 0
	v_cmp_ne_u16_sdwa s[74:75], v8, v59 src0_sel:BYTE_0 src1_sel:DWORD
	s_or_b64 s[72:73], s[74:75], s[72:73]
	s_andn2_b64 exec, exec, s[72:73]
	s_cbranch_execnz .LBB1501_177
; %bb.178:                              ;   in Loop: Header=BB1501_174 Depth=1
	s_or_b64 exec, exec, s[72:73]
	v_and_b32_e32 v7, 0xff, v7
	s_branch .LBB1501_173
.LBB1501_179:                           ;   in Loop: Header=BB1501_174 Depth=1
                                        ; implicit-def: $vgpr7
                                        ; implicit-def: $vgpr6
                                        ; implicit-def: $vgpr8
	s_cbranch_execz .LBB1501_174
; %bb.180:
	s_and_saveexec_b64 s[52:53], s[48:49]
	s_cbranch_execz .LBB1501_182
; %bb.181:
	s_and_b32 s48, s3, 0xff
	s_cmp_eq_u32 s48, 0
	s_cselect_b64 vcc, -1, 0
	s_bitcmp1_b32 s3, 0
	s_mov_b32 s49, 0
	s_cselect_b64 s[70:71], -1, 0
	s_add_i32 s48, s2, 64
	s_lshl_b64 s[2:3], s[48:49], 4
	v_cndmask_b32_e32 v3, 0, v75, vcc
	s_add_u32 s2, s56, s2
	v_add_u32_e32 v2, v3, v2
	v_and_b32_e32 v3, 1, v73
	s_addc_u32 s3, s57, s3
	v_mov_b32_e32 v5, 0
	v_cndmask_b32_e64 v3, v3, 1, s[70:71]
	v_mov_b32_e32 v4, 2
	v_mov_b64_e32 v[6:7], s[2:3]
	;;#ASMSTART
	global_store_dwordx4 v[6:7], v[2:5] off sc1	
s_waitcnt vmcnt(0)
	;;#ASMEND
.LBB1501_182:
	s_or_b64 exec, exec, s[52:53]
	s_and_b64 exec, exec, s[46:47]
	s_cbranch_execz .LBB1501_184
; %bb.183:
	v_mov_b32_e32 v2, 0
	ds_write_b32 v2, v75
	ds_write_b8 v2, v73 offset:4
.LBB1501_184:
	s_or_b64 exec, exec, s[60:61]
	v_mov_b32_e32 v2, 0
	s_waitcnt lgkmcnt(0)
	s_barrier
	ds_read_b32 v3, v2
	v_cmp_eq_u16_sdwa vcc, v63, v2 src0_sel:BYTE_0 src1_sel:DWORD
	s_waitcnt lgkmcnt(0)
	s_nop 0
	v_cndmask_b32_e32 v4, 0, v3, vcc
	v_add_u32_e32 v4, v4, v62
	v_cndmask_b32_e64 v58, v4, v3, s[46:47]
	v_and_b32_e32 v3, 0xff, v11
	v_cmp_eq_u64_e32 vcc, 0, v[2:3]
	s_nop 1
	v_cndmask_b32_e32 v2, 0, v58, vcc
	v_add_u32_e32 v59, v2, v10
	v_cndmask_b32_e64 v2, 0, v59, s[50:51]
	v_add_u32_e32 v60, v2, v12
	v_cndmask_b32_e64 v2, 0, v60, s[4:5]
	;; [unrolled: 2-line block ×21, first 2 shown]
	v_add_u32_e32 v80, v2, v52
	s_branch .LBB1501_205
.LBB1501_185:
                                        ; implicit-def: $vgpr79
                                        ; implicit-def: $vgpr78
                                        ; implicit-def: $vgpr77
                                        ; implicit-def: $vgpr76
                                        ; implicit-def: $vgpr75
                                        ; implicit-def: $vgpr74
                                        ; implicit-def: $vgpr73
                                        ; implicit-def: $vgpr72
                                        ; implicit-def: $vgpr71
                                        ; implicit-def: $vgpr70
                                        ; implicit-def: $vgpr69
                                        ; implicit-def: $vgpr68
                                        ; implicit-def: $vgpr67
                                        ; implicit-def: $vgpr66
                                        ; implicit-def: $vgpr65
                                        ; implicit-def: $vgpr64
                                        ; implicit-def: $vgpr63
                                        ; implicit-def: $vgpr62
                                        ; implicit-def: $vgpr61
                                        ; implicit-def: $vgpr60
                                        ; implicit-def: $vgpr59
                                        ; implicit-def: $vgpr58
                                        ; implicit-def: $vgpr80
	s_cbranch_execz .LBB1501_205
; %bb.186:
	s_cmp_lg_u64 s[68:69], 0
	s_cselect_b32 s3, s63, 0
	s_cselect_b32 s2, s62, 0
	s_mov_b32 s44, 0
	s_cmp_eq_u64 s[2:3], 0
	v_mov_b32_e32 v4, s76
	s_cbranch_scc1 .LBB1501_188
; %bb.187:
	v_mov_b32_e32 v2, 0
	global_load_dword v4, v2, s[2:3]
.LBB1501_188:
	s_mov_b32 s45, 1
	v_cmp_gt_u64_e32 vcc, s[44:45], v[12:13]
	v_cmp_gt_u64_e64 s[2:3], s[44:45], v[14:15]
	v_cmp_gt_u64_e64 s[4:5], s[44:45], v[16:17]
	v_cndmask_b32_e32 v2, 0, v10, vcc
	v_add_u32_e32 v2, v2, v12
	v_cndmask_b32_e64 v2, 0, v2, s[2:3]
	v_add_u32_e32 v2, v2, v14
	v_cndmask_b32_e64 v2, 0, v2, s[4:5]
	v_add_u32_e32 v2, v2, v16
	v_cmp_gt_u64_e64 s[6:7], s[44:45], v[18:19]
	v_cmp_gt_u64_e64 s[8:9], s[44:45], v[20:21]
	v_cmp_gt_u64_e64 s[10:11], s[44:45], v[22:23]
	v_cndmask_b32_e64 v2, 0, v2, s[6:7]
	v_add_u32_e32 v2, v2, v18
	v_cndmask_b32_e64 v2, 0, v2, s[8:9]
	v_add_u32_e32 v2, v2, v20
	v_cndmask_b32_e64 v2, 0, v2, s[10:11]
	v_add_u32_e32 v2, v2, v22
	v_cmp_gt_u64_e64 s[12:13], s[44:45], v[24:25]
	v_cmp_gt_u64_e64 s[14:15], s[44:45], v[26:27]
	v_cmp_gt_u64_e64 s[16:17], s[44:45], v[28:29]
	v_cndmask_b32_e64 v2, 0, v2, s[12:13]
	v_add_u32_e32 v2, v2, v24
	v_cndmask_b32_e64 v2, 0, v2, s[14:15]
	v_add_u32_e32 v2, v2, v26
	v_cndmask_b32_e64 v2, 0, v2, s[16:17]
	v_add_u32_e32 v2, v2, v28
	v_cmp_gt_u64_e64 s[18:19], s[44:45], v[30:31]
	v_cmp_gt_u64_e64 s[20:21], s[44:45], v[32:33]
	v_cmp_gt_u64_e64 s[22:23], s[44:45], v[34:35]
	v_cndmask_b32_e64 v2, 0, v2, s[18:19]
	v_add_u32_e32 v2, v2, v30
	v_cndmask_b32_e64 v2, 0, v2, s[20:21]
	v_add_u32_e32 v2, v2, v32
	v_cndmask_b32_e64 v2, 0, v2, s[22:23]
	v_add_u32_e32 v2, v2, v34
	v_cmp_gt_u64_e64 s[24:25], s[44:45], v[36:37]
	v_cmp_gt_u64_e64 s[26:27], s[44:45], v[38:39]
	v_cmp_gt_u64_e64 s[28:29], s[44:45], v[40:41]
	v_cndmask_b32_e64 v2, 0, v2, s[24:25]
	v_add_u32_e32 v2, v2, v36
	v_cndmask_b32_e64 v2, 0, v2, s[26:27]
	v_add_u32_e32 v2, v2, v38
	v_cndmask_b32_e64 v2, 0, v2, s[28:29]
	v_add_u32_e32 v2, v2, v40
	v_cmp_gt_u64_e64 s[30:31], s[44:45], v[42:43]
	v_cmp_gt_u64_e64 s[34:35], s[44:45], v[44:45]
	v_cmp_gt_u64_e64 s[36:37], s[44:45], v[46:47]
	v_cndmask_b32_e64 v2, 0, v2, s[30:31]
	v_add_u32_e32 v2, v2, v42
	v_cndmask_b32_e64 v2, 0, v2, s[34:35]
	v_add_u32_e32 v2, v2, v44
	v_cndmask_b32_e64 v2, 0, v2, s[36:37]
	v_add_u32_e32 v2, v2, v46
	v_cmp_gt_u64_e64 s[38:39], s[44:45], v[48:49]
	v_cmp_gt_u64_e64 s[40:41], s[44:45], v[50:51]
	v_cmp_gt_u64_e64 s[42:43], s[44:45], v[52:53]
	v_cndmask_b32_e64 v2, 0, v2, s[38:39]
	v_add_u32_e32 v2, v2, v48
	v_cndmask_b32_e64 v2, 0, v2, s[40:41]
	v_add_u32_e32 v2, v2, v50
	v_cndmask_b32_e64 v2, 0, v2, s[42:43]
	v_add_u32_e32 v2, v2, v52
	v_cmp_gt_u64_e64 s[44:45], s[44:45], v[56:57]
	v_add_lshl_u32 v1, v1, v0, 3
	s_nop 0
	v_cndmask_b32_e64 v2, 0, v2, s[44:45]
	v_add_u32_e32 v5, v2, v56
	v_or3_b32 v2, v55, v51, v49
	v_or3_b32 v2, v2, v47, v45
	;; [unrolled: 1-line block ×10, first 2 shown]
	v_and_b32_e32 v2, 1, v2
	v_cmp_eq_u32_e64 s[44:45], 1, v2
	s_nop 1
	v_cndmask_b32_e64 v6, v11, 1, s[44:45]
	v_cmp_gt_u32_e64 s[44:45], 64, v0
	ds_write_b32 v1, v5
	ds_write_b8 v1, v6 offset:4
	s_waitcnt lgkmcnt(0)
	s_barrier
	s_and_saveexec_b64 s[46:47], s[44:45]
	s_cbranch_execz .LBB1501_200
; %bb.189:
	v_lshrrev_b32_e32 v1, 3, v0
	v_add_lshl_u32 v1, v1, v54, 3
	ds_read2_b32 v[8:9], v1 offset0:2 offset1:4
	ds_read_b64 v[2:3], v1
	ds_read_u8 v13, v1 offset:12
	ds_read_u8 v15, v1 offset:20
	ds_read_b32 v17, v1 offset:24
	ds_read_u8 v19, v1 offset:28
	v_mov_b32_e32 v21, 0
	s_waitcnt lgkmcnt(3)
	v_cmp_eq_u16_sdwa s[44:45], v13, v21 src0_sel:BYTE_0 src1_sel:DWORD
	v_and_b32_e32 v7, 1, v3
	s_nop 0
	v_cndmask_b32_e64 v23, 0, v2, s[44:45]
	v_add_u32_e32 v8, v23, v8
	s_waitcnt lgkmcnt(2)
	v_cmp_eq_u16_sdwa s[44:45], v15, v21 src0_sel:BYTE_0 src1_sel:DWORD
	s_nop 1
	v_cndmask_b32_e64 v8, 0, v8, s[44:45]
	v_add_u32_e32 v8, v8, v9
	s_waitcnt lgkmcnt(0)
	v_cmp_eq_u16_e64 s[44:45], 0, v19
	s_nop 1
	v_cndmask_b32_e64 v8, 0, v8, s[44:45]
	v_add_u32_e32 v9, v8, v17
	v_or_b32_e32 v8, v19, v15
	v_or_b32_e32 v8, v8, v13
	v_and_b32_e32 v8, 1, v8
	v_cmp_eq_u32_e64 s[44:45], 1, v8
	v_mbcnt_lo_u32_b32 v13, -1, 0
	v_and_b32_e32 v8, 0xffffff00, v3
	v_cndmask_b32_e64 v15, v7, 1, s[44:45]
	v_mbcnt_hi_u32_b32 v13, -1, v13
	v_and_b32_e32 v19, 15, v13
	v_or_b32_sdwa v17, v8, v15 dst_sel:DWORD dst_unused:UNUSED_PAD src0_sel:DWORD src1_sel:WORD_0
	v_mov_b32_dpp v21, v9 row_shr:1 row_mask:0xf bank_mask:0xf
	v_cmp_ne_u32_e64 s[44:45], 0, v19
	v_mov_b32_dpp v23, v17 row_shr:1 row_mask:0xf bank_mask:0xf
	s_and_saveexec_b64 s[48:49], s[44:45]
; %bb.190:
	v_and_b32_e32 v17, 1, v15
	v_and_b32_e32 v23, 1, v23
	v_cmp_eq_u32_e64 s[44:45], 1, v17
	s_nop 1
	v_cndmask_b32_e64 v23, v23, 1, s[44:45]
	v_cmp_eq_u16_e64 s[44:45], 0, v15
	v_or_b32_sdwa v17, v8, v23 dst_sel:DWORD dst_unused:UNUSED_PAD src0_sel:DWORD src1_sel:WORD_0
	s_nop 0
	v_cndmask_b32_e64 v15, 0, v21, s[44:45]
	v_add_u32_e32 v9, v15, v9
	v_mov_b32_e32 v15, v23
; %bb.191:
	s_or_b64 exec, exec, s[48:49]
	v_mov_b32_dpp v21, v9 row_shr:2 row_mask:0xf bank_mask:0xf
	v_mov_b32_dpp v23, v17 row_shr:2 row_mask:0xf bank_mask:0xf
	v_cmp_lt_u32_e64 s[44:45], 1, v19
	s_and_saveexec_b64 s[48:49], s[44:45]
; %bb.192:
	v_and_b32_e32 v17, 1, v15
	v_and_b32_e32 v23, 1, v23
	v_cmp_eq_u32_e64 s[44:45], 1, v17
	s_nop 1
	v_cndmask_b32_e64 v23, v23, 1, s[44:45]
	v_cmp_eq_u16_e64 s[44:45], 0, v15
	v_or_b32_sdwa v17, v8, v23 dst_sel:DWORD dst_unused:UNUSED_PAD src0_sel:DWORD src1_sel:WORD_0
	s_nop 0
	v_cndmask_b32_e64 v15, 0, v21, s[44:45]
	v_add_u32_e32 v9, v15, v9
	v_mov_b32_e32 v15, v23
; %bb.193:
	s_or_b64 exec, exec, s[48:49]
	v_mov_b32_dpp v21, v9 row_shr:4 row_mask:0xf bank_mask:0xf
	v_mov_b32_dpp v23, v17 row_shr:4 row_mask:0xf bank_mask:0xf
	v_cmp_lt_u32_e64 s[44:45], 3, v19
	;; [unrolled: 18-line block ×3, first 2 shown]
	s_and_saveexec_b64 s[48:49], s[44:45]
; %bb.196:
	v_and_b32_e32 v17, 1, v15
	v_and_b32_e32 v19, 1, v23
	v_cmp_eq_u32_e64 s[44:45], 1, v17
	s_nop 1
	v_cndmask_b32_e64 v19, v19, 1, s[44:45]
	v_cmp_eq_u16_e64 s[44:45], 0, v15
	v_or_b32_sdwa v17, v8, v19 dst_sel:DWORD dst_unused:UNUSED_PAD src0_sel:DWORD src1_sel:WORD_0
	s_nop 0
	v_cndmask_b32_e64 v15, 0, v21, s[44:45]
	v_add_u32_e32 v9, v15, v9
	v_mov_b32_e32 v15, v19
; %bb.197:
	s_or_b64 exec, exec, s[48:49]
	v_and_b32_e32 v23, 16, v13
	v_mov_b32_dpp v19, v9 row_bcast:15 row_mask:0xf bank_mask:0xf
	v_mov_b32_dpp v21, v17 row_bcast:15 row_mask:0xf bank_mask:0xf
	v_cmp_ne_u32_e64 s[44:45], 0, v23
	s_and_saveexec_b64 s[48:49], s[44:45]
; %bb.198:
	v_and_b32_e32 v17, 1, v15
	v_and_b32_e32 v21, 1, v21
	v_cmp_eq_u32_e64 s[44:45], 1, v17
	s_nop 1
	v_cndmask_b32_e64 v21, v21, 1, s[44:45]
	v_cmp_eq_u16_e64 s[44:45], 0, v15
	v_or_b32_sdwa v17, v8, v21 dst_sel:DWORD dst_unused:UNUSED_PAD src0_sel:DWORD src1_sel:WORD_0
	s_nop 0
	v_cndmask_b32_e64 v15, 0, v19, s[44:45]
	v_add_u32_e32 v9, v15, v9
	v_mov_b32_e32 v15, v21
; %bb.199:
	s_or_b64 exec, exec, s[48:49]
	v_mov_b32_dpp v17, v17 row_bcast:31 row_mask:0xf bank_mask:0xf
	v_and_b32_e32 v21, 1, v15
	v_and_b32_e32 v17, 1, v17
	v_cmp_eq_u32_e64 s[44:45], 1, v21
	v_mov_b32_e32 v21, 0
	v_cmp_eq_u16_sdwa s[48:49], v15, v21 src0_sel:BYTE_0 src1_sel:DWORD
	v_cndmask_b32_e64 v17, v17, 1, s[44:45]
	v_cmp_lt_u32_e64 s[44:45], 31, v13
	v_mov_b32_dpp v19, v9 row_bcast:31 row_mask:0xf bank_mask:0xf
	s_movk_i32 s50, 0xff
	v_cndmask_b32_e64 v15, v15, v17, s[44:45]
	s_and_b64 s[44:45], s[44:45], s[48:49]
	v_cndmask_b32_e64 v17, 0, v19, s[44:45]
	v_add_u32_e32 v9, v17, v9
	v_add_u32_e32 v17, -1, v13
	v_and_b32_e32 v19, 64, v13
	v_cmp_lt_i32_e64 s[44:45], v17, v19
	v_and_or_b32 v8, v15, s50, v8
	s_nop 0
	v_cndmask_b32_e64 v13, v17, v13, s[44:45]
	v_lshlrev_b32_e32 v13, 2, v13
	ds_bpermute_b32 v9, v13, v9
	ds_bpermute_b32 v8, v13, v8
	v_cmp_eq_u16_sdwa s[44:45], v3, v21 src0_sel:BYTE_0 src1_sel:DWORD
	; wave barrier
	s_waitcnt lgkmcnt(1)
	s_nop 0
	v_cndmask_b32_e64 v3, 0, v9, s[44:45]
	v_add_u32_e32 v2, v3, v2
	s_waitcnt lgkmcnt(0)
	v_and_b32_e32 v3, 1, v8
	v_cmp_eq_u32_e64 s[44:45], 1, v7
	s_nop 1
	v_cndmask_b32_e64 v3, v3, 1, s[44:45]
	v_cmp_eq_u32_e64 s[44:45], 0, v0
	s_nop 1
	v_cndmask_b32_e64 v5, v2, v5, s[44:45]
	v_cndmask_b32_e64 v6, v3, v6, s[44:45]
	ds_write_b32 v1, v5
	ds_write_b8 v1, v6 offset:4
	; wave barrier
	ds_read_u8 v7, v1 offset:12
	ds_read2_b32 v[2:3], v1 offset0:2 offset1:4
	ds_read_u8 v8, v1 offset:20
	ds_read_b32 v9, v1 offset:24
	ds_read_u8 v13, v1 offset:28
	s_waitcnt lgkmcnt(4)
	v_cmp_eq_u16_e64 s[44:45], 0, v7
	s_nop 1
	v_cndmask_b32_e64 v5, 0, v5, s[44:45]
	s_waitcnt lgkmcnt(3)
	v_add_u32_e32 v2, v5, v2
	v_and_b32_e32 v5, 1, v7
	v_cmp_eq_u32_e64 s[44:45], 1, v5
	s_nop 1
	v_cndmask_b32_e64 v5, v6, 1, s[44:45]
	s_waitcnt lgkmcnt(2)
	v_cmp_eq_u16_e64 s[44:45], 0, v8
	ds_write_b8 v1, v5 offset:12
	s_nop 0
	v_cndmask_b32_e64 v6, 0, v2, s[44:45]
	v_add_u32_e32 v3, v6, v3
	v_and_b32_e32 v6, 1, v8
	v_cmp_eq_u32_e64 s[44:45], 1, v6
	s_nop 1
	v_cndmask_b32_e64 v5, v5, 1, s[44:45]
	s_waitcnt lgkmcnt(1)
	v_cmp_eq_u16_e64 s[44:45], 0, v13
	ds_write2_b32 v1, v2, v3 offset0:2 offset1:4
	ds_write_b8 v1, v5 offset:20
	v_cndmask_b32_e64 v2, 0, v3, s[44:45]
	v_and_b32_e32 v3, 1, v13
	v_add_u32_e32 v2, v2, v9
	v_cmp_eq_u32_e64 s[44:45], 1, v3
	s_nop 1
	v_cndmask_b32_e64 v3, v5, 1, s[44:45]
	ds_write_b32 v1, v2 offset:24
	ds_write_b8 v1, v3 offset:28
.LBB1501_200:
	s_or_b64 exec, exec, s[46:47]
	v_cmp_eq_u32_e64 s[44:45], 0, v0
	v_cmp_ne_u32_e64 s[46:47], 0, v0
	s_waitcnt vmcnt(0)
	v_mov_b32_e32 v58, v4
	s_waitcnt lgkmcnt(0)
	s_barrier
	s_and_saveexec_b64 s[48:49], s[46:47]
	s_cbranch_execz .LBB1501_202
; %bb.201:
	v_add_u32_e32 v1, -1, v0
	v_lshrrev_b32_e32 v2, 5, v1
	v_add_lshl_u32 v1, v2, v1, 3
	ds_read_u8 v2, v1 offset:4
	ds_read_b32 v1, v1
	s_waitcnt lgkmcnt(1)
	v_cmp_eq_u16_e64 s[46:47], 0, v2
	s_nop 1
	v_cndmask_b32_e64 v2, 0, v4, s[46:47]
	s_waitcnt lgkmcnt(0)
	v_add_u32_e32 v58, v2, v1
.LBB1501_202:
	s_or_b64 exec, exec, s[48:49]
	v_and_b32_e32 v3, 0xff, v11
	v_mov_b32_e32 v2, 0
	v_cmp_eq_u64_e64 s[46:47], 0, v[2:3]
	s_nop 1
	v_cndmask_b32_e64 v1, 0, v58, s[46:47]
	v_add_u32_e32 v59, v1, v10
	v_cndmask_b32_e32 v1, 0, v59, vcc
	v_add_u32_e32 v60, v1, v12
	v_cndmask_b32_e64 v1, 0, v60, s[2:3]
	v_add_u32_e32 v61, v1, v14
	v_cndmask_b32_e64 v1, 0, v61, s[4:5]
	;; [unrolled: 2-line block ×20, first 2 shown]
	s_and_saveexec_b64 s[2:3], s[44:45]
	s_cbranch_execz .LBB1501_204
; %bb.203:
	ds_read_u8 v3, v2 offset:2100
	ds_read_b32 v5, v2 offset:2096
	s_add_u32 s4, s56, 0x400
	s_addc_u32 s5, s57, 0
	v_mov_b32_e32 v6, 2
	s_waitcnt lgkmcnt(1)
	v_cmp_eq_u16_e32 vcc, 0, v3
	v_mov_b32_e32 v7, v2
	s_nop 0
	v_cndmask_b32_e32 v4, 0, v4, vcc
	s_waitcnt lgkmcnt(0)
	v_add_u32_e32 v4, v4, v5
	v_and_b32_e32 v5, 0xffff, v3
	v_mov_b64_e32 v[2:3], s[4:5]
	;;#ASMSTART
	global_store_dwordx4 v[2:3], v[4:7] off sc1	
s_waitcnt vmcnt(0)
	;;#ASMEND
.LBB1501_204:
	s_or_b64 exec, exec, s[2:3]
	v_add_u32_e32 v80, v1, v52
.LBB1501_205:
	s_add_u32 s2, s54, s64
	s_addc_u32 s3, s55, s65
	s_add_u32 s2, s2, s66
	s_addc_u32 s3, s3, s67
	s_and_b64 vcc, exec, s[0:1]
	s_cbranch_vccz .LBB1501_251
; %bb.206:
	s_movk_i32 s0, 0x5c
	v_mul_i32_i24_e32 v26, 0xffffffa8, v0
	v_mul_u32_u24_e32 v1, 0x5c, v0
	v_mad_u32_u24 v2, v0, s0, v26
	s_barrier
	ds_write2_b32 v1, v58, v59 offset1:1
	ds_write2_b32 v1, v60, v61 offset0:2 offset1:3
	ds_write2_b32 v1, v62, v63 offset0:4 offset1:5
	;; [unrolled: 1-line block ×10, first 2 shown]
	ds_write_b32 v1, v80 offset:88
	s_waitcnt lgkmcnt(0)
	s_barrier
	ds_read2st64_b32 v[24:25], v2 offset0:4 offset1:8
	ds_read2st64_b32 v[22:23], v2 offset0:12 offset1:16
	;; [unrolled: 1-line block ×11, first 2 shown]
	s_add_i32 s33, s33, s58
	v_mov_b32_e32 v55, 0
	v_lshl_add_u64 v[4:5], s[2:3], 0, v[54:55]
	v_cmp_gt_u32_e32 vcc, s33, v0
	s_and_saveexec_b64 s[0:1], vcc
	s_cbranch_execz .LBB1501_208
; %bb.207:
	v_add_u32_e32 v1, v1, v26
	ds_read_b32 v1, v1
	s_waitcnt lgkmcnt(0)
	flat_store_dword v[4:5], v1
.LBB1501_208:
	s_or_b64 exec, exec, s[0:1]
	v_or_b32_e32 v1, 0x100, v0
	v_cmp_gt_u32_e32 vcc, s33, v1
	s_and_saveexec_b64 s[0:1], vcc
	s_cbranch_execz .LBB1501_210
; %bb.209:
	s_waitcnt lgkmcnt(0)
	flat_store_dword v[4:5], v24 offset:1024
.LBB1501_210:
	s_or_b64 exec, exec, s[0:1]
	v_or_b32_e32 v1, 0x200, v0
	v_cmp_gt_u32_e32 vcc, s33, v1
	s_and_saveexec_b64 s[0:1], vcc
	s_cbranch_execz .LBB1501_212
; %bb.211:
	s_waitcnt lgkmcnt(0)
	flat_store_dword v[4:5], v25 offset:2048
.LBB1501_212:
	;; [unrolled: 9-line block ×3, first 2 shown]
	s_or_b64 exec, exec, s[0:1]
	v_or_b32_e32 v1, 0x400, v0
	v_cmp_gt_u32_e32 vcc, s33, v1
	s_and_saveexec_b64 s[0:1], vcc
	s_cbranch_execz .LBB1501_216
; %bb.215:
	s_waitcnt lgkmcnt(0)
	v_add_co_u32_e32 v24, vcc, 0x1000, v4
	s_nop 1
	v_addc_co_u32_e32 v25, vcc, 0, v5, vcc
	flat_store_dword v[24:25], v23
.LBB1501_216:
	s_or_b64 exec, exec, s[0:1]
	v_or_b32_e32 v1, 0x500, v0
	v_cmp_gt_u32_e32 vcc, s33, v1
	s_and_saveexec_b64 s[0:1], vcc
	s_cbranch_execz .LBB1501_218
; %bb.217:
	s_waitcnt lgkmcnt(0)
	v_add_co_u32_e32 v22, vcc, 0x1000, v4
	s_nop 1
	v_addc_co_u32_e32 v23, vcc, 0, v5, vcc
	flat_store_dword v[22:23], v20 offset:1024
.LBB1501_218:
	s_or_b64 exec, exec, s[0:1]
	v_or_b32_e32 v1, 0x600, v0
	v_cmp_gt_u32_e32 vcc, s33, v1
	s_and_saveexec_b64 s[0:1], vcc
	s_cbranch_execz .LBB1501_220
; %bb.219:
	s_waitcnt lgkmcnt(0)
	v_add_co_u32_e32 v22, vcc, 0x1000, v4
	s_nop 1
	v_addc_co_u32_e32 v23, vcc, 0, v5, vcc
	flat_store_dword v[22:23], v21 offset:2048
.LBB1501_220:
	s_or_b64 exec, exec, s[0:1]
	v_or_b32_e32 v1, 0x700, v0
	v_cmp_gt_u32_e32 vcc, s33, v1
	s_and_saveexec_b64 s[0:1], vcc
	s_cbranch_execz .LBB1501_222
; %bb.221:
	s_waitcnt lgkmcnt(0)
	v_add_co_u32_e32 v20, vcc, 0x1000, v4
	s_nop 1
	v_addc_co_u32_e32 v21, vcc, 0, v5, vcc
	flat_store_dword v[20:21], v18 offset:3072
.LBB1501_222:
	s_or_b64 exec, exec, s[0:1]
	v_or_b32_e32 v1, 0x800, v0
	v_cmp_gt_u32_e32 vcc, s33, v1
	s_and_saveexec_b64 s[0:1], vcc
	s_cbranch_execz .LBB1501_224
; %bb.223:
	s_waitcnt lgkmcnt(0)
	v_add_co_u32_e32 v20, vcc, 0x2000, v4
	s_nop 1
	v_addc_co_u32_e32 v21, vcc, 0, v5, vcc
	flat_store_dword v[20:21], v19
.LBB1501_224:
	s_or_b64 exec, exec, s[0:1]
	v_or_b32_e32 v1, 0x900, v0
	v_cmp_gt_u32_e32 vcc, s33, v1
	s_and_saveexec_b64 s[0:1], vcc
	s_cbranch_execz .LBB1501_226
; %bb.225:
	s_waitcnt lgkmcnt(0)
	v_add_co_u32_e32 v18, vcc, 0x2000, v4
	s_nop 1
	v_addc_co_u32_e32 v19, vcc, 0, v5, vcc
	flat_store_dword v[18:19], v16 offset:1024
.LBB1501_226:
	s_or_b64 exec, exec, s[0:1]
	v_or_b32_e32 v1, 0xa00, v0
	v_cmp_gt_u32_e32 vcc, s33, v1
	s_and_saveexec_b64 s[0:1], vcc
	s_cbranch_execz .LBB1501_228
; %bb.227:
	s_waitcnt lgkmcnt(0)
	v_add_co_u32_e32 v18, vcc, 0x2000, v4
	s_nop 1
	v_addc_co_u32_e32 v19, vcc, 0, v5, vcc
	flat_store_dword v[18:19], v17 offset:2048
.LBB1501_228:
	s_or_b64 exec, exec, s[0:1]
	v_or_b32_e32 v1, 0xb00, v0
	v_cmp_gt_u32_e32 vcc, s33, v1
	s_and_saveexec_b64 s[0:1], vcc
	s_cbranch_execz .LBB1501_230
; %bb.229:
	s_waitcnt lgkmcnt(0)
	v_add_co_u32_e32 v16, vcc, 0x2000, v4
	s_nop 1
	v_addc_co_u32_e32 v17, vcc, 0, v5, vcc
	flat_store_dword v[16:17], v14 offset:3072
.LBB1501_230:
	;; [unrolled: 48-line block ×4, first 2 shown]
	s_or_b64 exec, exec, s[0:1]
	v_or_b32_e32 v1, 0x1400, v0
	v_cmp_gt_u32_e32 vcc, s33, v1
	s_and_saveexec_b64 s[0:1], vcc
	s_cbranch_execz .LBB1501_248
; %bb.247:
	s_waitcnt lgkmcnt(0)
	v_add_co_u32_e32 v8, vcc, 0x5000, v4
	s_nop 1
	v_addc_co_u32_e32 v9, vcc, 0, v5, vcc
	flat_store_dword v[8:9], v7
.LBB1501_248:
	s_or_b64 exec, exec, s[0:1]
	v_or_b32_e32 v1, 0x1500, v0
	v_cmp_gt_u32_e32 vcc, s33, v1
	s_and_saveexec_b64 s[0:1], vcc
	s_cbranch_execz .LBB1501_250
; %bb.249:
	v_add_co_u32_e32 v4, vcc, 0x5000, v4
	s_nop 1
	v_addc_co_u32_e32 v5, vcc, 0, v5, vcc
	s_waitcnt lgkmcnt(0)
	flat_store_dword v[4:5], v2 offset:1024
.LBB1501_250:
	s_or_b64 exec, exec, s[0:1]
	s_waitcnt lgkmcnt(0)
	v_or_b32_e32 v2, 0x1600, v0
	v_mov_b32_e32 v1, v55
	v_cmp_gt_u32_e64 s[0:1], s33, v2
	s_branch .LBB1501_253
.LBB1501_251:
	s_mov_b64 s[0:1], 0
                                        ; implicit-def: $vgpr3
	s_cbranch_execz .LBB1501_253
; %bb.252:
	v_mul_u32_u24_e32 v1, 0x5c, v0
	s_barrier
	s_movk_i32 s4, 0x5c
	ds_write2_b32 v1, v58, v59 offset1:1
	ds_write2_b32 v1, v60, v61 offset0:2 offset1:3
	ds_write2_b32 v1, v62, v63 offset0:4 offset1:5
	;; [unrolled: 1-line block ×10, first 2 shown]
	ds_write_b32 v1, v80 offset:88
	v_mov_b32_e32 v1, 0
	v_mul_i32_i24_e32 v2, 0xffffffa8, v0
	v_mad_u32_u24 v2, v0, s4, v2
	v_mov_b32_e32 v55, v1
	s_waitcnt lgkmcnt(0)
	s_barrier
	ds_read2st64_b32 v[4:5], v2 offset1:4
	ds_read2st64_b32 v[6:7], v2 offset0:8 offset1:12
	ds_read2st64_b32 v[8:9], v2 offset0:16 offset1:20
	;; [unrolled: 1-line block ×10, first 2 shown]
	ds_read_b32 v3, v2 offset:22528
	v_lshl_add_u64 v[26:27], s[2:3], 0, v[54:55]
	s_movk_i32 s4, 0x1000
	s_waitcnt lgkmcnt(0)
	flat_store_dword v[26:27], v4
	flat_store_dword v[26:27], v5 offset:1024
	flat_store_dword v[26:27], v6 offset:2048
	;; [unrolled: 1-line block ×3, first 2 shown]
	v_add_co_u32_e32 v4, vcc, s4, v26
	s_movk_i32 s4, 0x2000
	s_nop 0
	v_addc_co_u32_e32 v5, vcc, 0, v27, vcc
	flat_store_dword v[4:5], v8
	flat_store_dword v[4:5], v9 offset:1024
	flat_store_dword v[4:5], v10 offset:2048
	;; [unrolled: 1-line block ×3, first 2 shown]
	v_add_co_u32_e32 v4, vcc, s4, v26
	s_movk_i32 s4, 0x3000
	s_nop 0
	v_addc_co_u32_e32 v5, vcc, 0, v27, vcc
	flat_store_dword v[4:5], v12
	flat_store_dword v[4:5], v13 offset:1024
	flat_store_dword v[4:5], v14 offset:2048
	;; [unrolled: 1-line block ×3, first 2 shown]
	v_add_co_u32_e32 v4, vcc, s4, v26
	s_or_b64 s[0:1], s[0:1], exec
	s_nop 0
	v_addc_co_u32_e32 v5, vcc, 0, v27, vcc
	flat_store_dword v[4:5], v16
	flat_store_dword v[4:5], v17 offset:1024
	flat_store_dword v[4:5], v18 offset:2048
	flat_store_dword v[4:5], v19 offset:3072
	v_add_co_u32_e32 v4, vcc, 0x4000, v26
	s_nop 1
	v_addc_co_u32_e32 v5, vcc, 0, v27, vcc
	flat_store_dword v[4:5], v20
	flat_store_dword v[4:5], v21 offset:1024
	flat_store_dword v[4:5], v22 offset:2048
	;; [unrolled: 1-line block ×3, first 2 shown]
	v_add_co_u32_e32 v4, vcc, 0x5000, v26
	s_nop 1
	v_addc_co_u32_e32 v5, vcc, 0, v27, vcc
	flat_store_dword v[4:5], v24
	flat_store_dword v[4:5], v25 offset:1024
.LBB1501_253:
	s_and_saveexec_b64 s[4:5], s[0:1]
	s_cbranch_execz .LBB1501_255
; %bb.254:
	v_lshl_add_u64 v[0:1], v[0:1], 2, s[2:3]
	v_add_co_u32_e32 v0, vcc, 0x5000, v0
	s_nop 1
	v_addc_co_u32_e32 v1, vcc, 0, v1, vcc
	flat_store_dword v[0:1], v3 offset:2048
	s_endpgm
.LBB1501_255:
	s_endpgm
	.section	.rodata,"a",@progbits
	.p2align	6, 0x0
	.amdhsa_kernel _ZN7rocprim17ROCPRIM_400000_NS6detail17trampoline_kernelINS0_14default_configENS1_27scan_by_key_config_selectorIijEEZZNS1_16scan_by_key_implILNS1_25lookback_scan_determinismE0ELb1ES3_N6thrust23THRUST_200600_302600_NS6detail15normal_iteratorINS9_10device_ptrIiEEEENSB_INSC_IjEEEESG_jNS9_4plusIvEENS9_8equal_toIvEEjEE10hipError_tPvRmT2_T3_T4_T5_mT6_T7_P12ihipStream_tbENKUlT_T0_E_clISt17integral_constantIbLb0EES11_EEDaSW_SX_EUlSW_E_NS1_11comp_targetILNS1_3genE5ELNS1_11target_archE942ELNS1_3gpuE9ELNS1_3repE0EEENS1_30default_config_static_selectorELNS0_4arch9wavefront6targetE1EEEvT1_
		.amdhsa_group_segment_fixed_size 25600
		.amdhsa_private_segment_fixed_size 0
		.amdhsa_kernarg_size 112
		.amdhsa_user_sgpr_count 2
		.amdhsa_user_sgpr_dispatch_ptr 0
		.amdhsa_user_sgpr_queue_ptr 0
		.amdhsa_user_sgpr_kernarg_segment_ptr 1
		.amdhsa_user_sgpr_dispatch_id 0
		.amdhsa_user_sgpr_kernarg_preload_length 0
		.amdhsa_user_sgpr_kernarg_preload_offset 0
		.amdhsa_user_sgpr_private_segment_size 0
		.amdhsa_uses_dynamic_stack 0
		.amdhsa_enable_private_segment 0
		.amdhsa_system_sgpr_workgroup_id_x 1
		.amdhsa_system_sgpr_workgroup_id_y 0
		.amdhsa_system_sgpr_workgroup_id_z 0
		.amdhsa_system_sgpr_workgroup_info 0
		.amdhsa_system_vgpr_workitem_id 0
		.amdhsa_next_free_vgpr 81
		.amdhsa_next_free_sgpr 80
		.amdhsa_accum_offset 84
		.amdhsa_reserve_vcc 1
		.amdhsa_float_round_mode_32 0
		.amdhsa_float_round_mode_16_64 0
		.amdhsa_float_denorm_mode_32 3
		.amdhsa_float_denorm_mode_16_64 3
		.amdhsa_dx10_clamp 1
		.amdhsa_ieee_mode 1
		.amdhsa_fp16_overflow 0
		.amdhsa_tg_split 0
		.amdhsa_exception_fp_ieee_invalid_op 0
		.amdhsa_exception_fp_denorm_src 0
		.amdhsa_exception_fp_ieee_div_zero 0
		.amdhsa_exception_fp_ieee_overflow 0
		.amdhsa_exception_fp_ieee_underflow 0
		.amdhsa_exception_fp_ieee_inexact 0
		.amdhsa_exception_int_div_zero 0
	.end_amdhsa_kernel
	.section	.text._ZN7rocprim17ROCPRIM_400000_NS6detail17trampoline_kernelINS0_14default_configENS1_27scan_by_key_config_selectorIijEEZZNS1_16scan_by_key_implILNS1_25lookback_scan_determinismE0ELb1ES3_N6thrust23THRUST_200600_302600_NS6detail15normal_iteratorINS9_10device_ptrIiEEEENSB_INSC_IjEEEESG_jNS9_4plusIvEENS9_8equal_toIvEEjEE10hipError_tPvRmT2_T3_T4_T5_mT6_T7_P12ihipStream_tbENKUlT_T0_E_clISt17integral_constantIbLb0EES11_EEDaSW_SX_EUlSW_E_NS1_11comp_targetILNS1_3genE5ELNS1_11target_archE942ELNS1_3gpuE9ELNS1_3repE0EEENS1_30default_config_static_selectorELNS0_4arch9wavefront6targetE1EEEvT1_,"axG",@progbits,_ZN7rocprim17ROCPRIM_400000_NS6detail17trampoline_kernelINS0_14default_configENS1_27scan_by_key_config_selectorIijEEZZNS1_16scan_by_key_implILNS1_25lookback_scan_determinismE0ELb1ES3_N6thrust23THRUST_200600_302600_NS6detail15normal_iteratorINS9_10device_ptrIiEEEENSB_INSC_IjEEEESG_jNS9_4plusIvEENS9_8equal_toIvEEjEE10hipError_tPvRmT2_T3_T4_T5_mT6_T7_P12ihipStream_tbENKUlT_T0_E_clISt17integral_constantIbLb0EES11_EEDaSW_SX_EUlSW_E_NS1_11comp_targetILNS1_3genE5ELNS1_11target_archE942ELNS1_3gpuE9ELNS1_3repE0EEENS1_30default_config_static_selectorELNS0_4arch9wavefront6targetE1EEEvT1_,comdat
.Lfunc_end1501:
	.size	_ZN7rocprim17ROCPRIM_400000_NS6detail17trampoline_kernelINS0_14default_configENS1_27scan_by_key_config_selectorIijEEZZNS1_16scan_by_key_implILNS1_25lookback_scan_determinismE0ELb1ES3_N6thrust23THRUST_200600_302600_NS6detail15normal_iteratorINS9_10device_ptrIiEEEENSB_INSC_IjEEEESG_jNS9_4plusIvEENS9_8equal_toIvEEjEE10hipError_tPvRmT2_T3_T4_T5_mT6_T7_P12ihipStream_tbENKUlT_T0_E_clISt17integral_constantIbLb0EES11_EEDaSW_SX_EUlSW_E_NS1_11comp_targetILNS1_3genE5ELNS1_11target_archE942ELNS1_3gpuE9ELNS1_3repE0EEENS1_30default_config_static_selectorELNS0_4arch9wavefront6targetE1EEEvT1_, .Lfunc_end1501-_ZN7rocprim17ROCPRIM_400000_NS6detail17trampoline_kernelINS0_14default_configENS1_27scan_by_key_config_selectorIijEEZZNS1_16scan_by_key_implILNS1_25lookback_scan_determinismE0ELb1ES3_N6thrust23THRUST_200600_302600_NS6detail15normal_iteratorINS9_10device_ptrIiEEEENSB_INSC_IjEEEESG_jNS9_4plusIvEENS9_8equal_toIvEEjEE10hipError_tPvRmT2_T3_T4_T5_mT6_T7_P12ihipStream_tbENKUlT_T0_E_clISt17integral_constantIbLb0EES11_EEDaSW_SX_EUlSW_E_NS1_11comp_targetILNS1_3genE5ELNS1_11target_archE942ELNS1_3gpuE9ELNS1_3repE0EEENS1_30default_config_static_selectorELNS0_4arch9wavefront6targetE1EEEvT1_
                                        ; -- End function
	.section	.AMDGPU.csdata,"",@progbits
; Kernel info:
; codeLenInByte = 15680
; NumSgprs: 86
; NumVgprs: 81
; NumAgprs: 0
; TotalNumVgprs: 81
; ScratchSize: 0
; MemoryBound: 0
; FloatMode: 240
; IeeeMode: 1
; LDSByteSize: 25600 bytes/workgroup (compile time only)
; SGPRBlocks: 10
; VGPRBlocks: 10
; NumSGPRsForWavesPerEU: 86
; NumVGPRsForWavesPerEU: 81
; AccumOffset: 84
; Occupancy: 2
; WaveLimiterHint : 1
; COMPUTE_PGM_RSRC2:SCRATCH_EN: 0
; COMPUTE_PGM_RSRC2:USER_SGPR: 2
; COMPUTE_PGM_RSRC2:TRAP_HANDLER: 0
; COMPUTE_PGM_RSRC2:TGID_X_EN: 1
; COMPUTE_PGM_RSRC2:TGID_Y_EN: 0
; COMPUTE_PGM_RSRC2:TGID_Z_EN: 0
; COMPUTE_PGM_RSRC2:TIDIG_COMP_CNT: 0
; COMPUTE_PGM_RSRC3_GFX90A:ACCUM_OFFSET: 20
; COMPUTE_PGM_RSRC3_GFX90A:TG_SPLIT: 0
	.section	.text._ZN7rocprim17ROCPRIM_400000_NS6detail17trampoline_kernelINS0_14default_configENS1_27scan_by_key_config_selectorIijEEZZNS1_16scan_by_key_implILNS1_25lookback_scan_determinismE0ELb1ES3_N6thrust23THRUST_200600_302600_NS6detail15normal_iteratorINS9_10device_ptrIiEEEENSB_INSC_IjEEEESG_jNS9_4plusIvEENS9_8equal_toIvEEjEE10hipError_tPvRmT2_T3_T4_T5_mT6_T7_P12ihipStream_tbENKUlT_T0_E_clISt17integral_constantIbLb0EES11_EEDaSW_SX_EUlSW_E_NS1_11comp_targetILNS1_3genE4ELNS1_11target_archE910ELNS1_3gpuE8ELNS1_3repE0EEENS1_30default_config_static_selectorELNS0_4arch9wavefront6targetE1EEEvT1_,"axG",@progbits,_ZN7rocprim17ROCPRIM_400000_NS6detail17trampoline_kernelINS0_14default_configENS1_27scan_by_key_config_selectorIijEEZZNS1_16scan_by_key_implILNS1_25lookback_scan_determinismE0ELb1ES3_N6thrust23THRUST_200600_302600_NS6detail15normal_iteratorINS9_10device_ptrIiEEEENSB_INSC_IjEEEESG_jNS9_4plusIvEENS9_8equal_toIvEEjEE10hipError_tPvRmT2_T3_T4_T5_mT6_T7_P12ihipStream_tbENKUlT_T0_E_clISt17integral_constantIbLb0EES11_EEDaSW_SX_EUlSW_E_NS1_11comp_targetILNS1_3genE4ELNS1_11target_archE910ELNS1_3gpuE8ELNS1_3repE0EEENS1_30default_config_static_selectorELNS0_4arch9wavefront6targetE1EEEvT1_,comdat
	.protected	_ZN7rocprim17ROCPRIM_400000_NS6detail17trampoline_kernelINS0_14default_configENS1_27scan_by_key_config_selectorIijEEZZNS1_16scan_by_key_implILNS1_25lookback_scan_determinismE0ELb1ES3_N6thrust23THRUST_200600_302600_NS6detail15normal_iteratorINS9_10device_ptrIiEEEENSB_INSC_IjEEEESG_jNS9_4plusIvEENS9_8equal_toIvEEjEE10hipError_tPvRmT2_T3_T4_T5_mT6_T7_P12ihipStream_tbENKUlT_T0_E_clISt17integral_constantIbLb0EES11_EEDaSW_SX_EUlSW_E_NS1_11comp_targetILNS1_3genE4ELNS1_11target_archE910ELNS1_3gpuE8ELNS1_3repE0EEENS1_30default_config_static_selectorELNS0_4arch9wavefront6targetE1EEEvT1_ ; -- Begin function _ZN7rocprim17ROCPRIM_400000_NS6detail17trampoline_kernelINS0_14default_configENS1_27scan_by_key_config_selectorIijEEZZNS1_16scan_by_key_implILNS1_25lookback_scan_determinismE0ELb1ES3_N6thrust23THRUST_200600_302600_NS6detail15normal_iteratorINS9_10device_ptrIiEEEENSB_INSC_IjEEEESG_jNS9_4plusIvEENS9_8equal_toIvEEjEE10hipError_tPvRmT2_T3_T4_T5_mT6_T7_P12ihipStream_tbENKUlT_T0_E_clISt17integral_constantIbLb0EES11_EEDaSW_SX_EUlSW_E_NS1_11comp_targetILNS1_3genE4ELNS1_11target_archE910ELNS1_3gpuE8ELNS1_3repE0EEENS1_30default_config_static_selectorELNS0_4arch9wavefront6targetE1EEEvT1_
	.globl	_ZN7rocprim17ROCPRIM_400000_NS6detail17trampoline_kernelINS0_14default_configENS1_27scan_by_key_config_selectorIijEEZZNS1_16scan_by_key_implILNS1_25lookback_scan_determinismE0ELb1ES3_N6thrust23THRUST_200600_302600_NS6detail15normal_iteratorINS9_10device_ptrIiEEEENSB_INSC_IjEEEESG_jNS9_4plusIvEENS9_8equal_toIvEEjEE10hipError_tPvRmT2_T3_T4_T5_mT6_T7_P12ihipStream_tbENKUlT_T0_E_clISt17integral_constantIbLb0EES11_EEDaSW_SX_EUlSW_E_NS1_11comp_targetILNS1_3genE4ELNS1_11target_archE910ELNS1_3gpuE8ELNS1_3repE0EEENS1_30default_config_static_selectorELNS0_4arch9wavefront6targetE1EEEvT1_
	.p2align	8
	.type	_ZN7rocprim17ROCPRIM_400000_NS6detail17trampoline_kernelINS0_14default_configENS1_27scan_by_key_config_selectorIijEEZZNS1_16scan_by_key_implILNS1_25lookback_scan_determinismE0ELb1ES3_N6thrust23THRUST_200600_302600_NS6detail15normal_iteratorINS9_10device_ptrIiEEEENSB_INSC_IjEEEESG_jNS9_4plusIvEENS9_8equal_toIvEEjEE10hipError_tPvRmT2_T3_T4_T5_mT6_T7_P12ihipStream_tbENKUlT_T0_E_clISt17integral_constantIbLb0EES11_EEDaSW_SX_EUlSW_E_NS1_11comp_targetILNS1_3genE4ELNS1_11target_archE910ELNS1_3gpuE8ELNS1_3repE0EEENS1_30default_config_static_selectorELNS0_4arch9wavefront6targetE1EEEvT1_,@function
_ZN7rocprim17ROCPRIM_400000_NS6detail17trampoline_kernelINS0_14default_configENS1_27scan_by_key_config_selectorIijEEZZNS1_16scan_by_key_implILNS1_25lookback_scan_determinismE0ELb1ES3_N6thrust23THRUST_200600_302600_NS6detail15normal_iteratorINS9_10device_ptrIiEEEENSB_INSC_IjEEEESG_jNS9_4plusIvEENS9_8equal_toIvEEjEE10hipError_tPvRmT2_T3_T4_T5_mT6_T7_P12ihipStream_tbENKUlT_T0_E_clISt17integral_constantIbLb0EES11_EEDaSW_SX_EUlSW_E_NS1_11comp_targetILNS1_3genE4ELNS1_11target_archE910ELNS1_3gpuE8ELNS1_3repE0EEENS1_30default_config_static_selectorELNS0_4arch9wavefront6targetE1EEEvT1_: ; @_ZN7rocprim17ROCPRIM_400000_NS6detail17trampoline_kernelINS0_14default_configENS1_27scan_by_key_config_selectorIijEEZZNS1_16scan_by_key_implILNS1_25lookback_scan_determinismE0ELb1ES3_N6thrust23THRUST_200600_302600_NS6detail15normal_iteratorINS9_10device_ptrIiEEEENSB_INSC_IjEEEESG_jNS9_4plusIvEENS9_8equal_toIvEEjEE10hipError_tPvRmT2_T3_T4_T5_mT6_T7_P12ihipStream_tbENKUlT_T0_E_clISt17integral_constantIbLb0EES11_EEDaSW_SX_EUlSW_E_NS1_11comp_targetILNS1_3genE4ELNS1_11target_archE910ELNS1_3gpuE8ELNS1_3repE0EEENS1_30default_config_static_selectorELNS0_4arch9wavefront6targetE1EEEvT1_
; %bb.0:
	.section	.rodata,"a",@progbits
	.p2align	6, 0x0
	.amdhsa_kernel _ZN7rocprim17ROCPRIM_400000_NS6detail17trampoline_kernelINS0_14default_configENS1_27scan_by_key_config_selectorIijEEZZNS1_16scan_by_key_implILNS1_25lookback_scan_determinismE0ELb1ES3_N6thrust23THRUST_200600_302600_NS6detail15normal_iteratorINS9_10device_ptrIiEEEENSB_INSC_IjEEEESG_jNS9_4plusIvEENS9_8equal_toIvEEjEE10hipError_tPvRmT2_T3_T4_T5_mT6_T7_P12ihipStream_tbENKUlT_T0_E_clISt17integral_constantIbLb0EES11_EEDaSW_SX_EUlSW_E_NS1_11comp_targetILNS1_3genE4ELNS1_11target_archE910ELNS1_3gpuE8ELNS1_3repE0EEENS1_30default_config_static_selectorELNS0_4arch9wavefront6targetE1EEEvT1_
		.amdhsa_group_segment_fixed_size 0
		.amdhsa_private_segment_fixed_size 0
		.amdhsa_kernarg_size 112
		.amdhsa_user_sgpr_count 2
		.amdhsa_user_sgpr_dispatch_ptr 0
		.amdhsa_user_sgpr_queue_ptr 0
		.amdhsa_user_sgpr_kernarg_segment_ptr 1
		.amdhsa_user_sgpr_dispatch_id 0
		.amdhsa_user_sgpr_kernarg_preload_length 0
		.amdhsa_user_sgpr_kernarg_preload_offset 0
		.amdhsa_user_sgpr_private_segment_size 0
		.amdhsa_uses_dynamic_stack 0
		.amdhsa_enable_private_segment 0
		.amdhsa_system_sgpr_workgroup_id_x 1
		.amdhsa_system_sgpr_workgroup_id_y 0
		.amdhsa_system_sgpr_workgroup_id_z 0
		.amdhsa_system_sgpr_workgroup_info 0
		.amdhsa_system_vgpr_workitem_id 0
		.amdhsa_next_free_vgpr 1
		.amdhsa_next_free_sgpr 0
		.amdhsa_accum_offset 4
		.amdhsa_reserve_vcc 0
		.amdhsa_float_round_mode_32 0
		.amdhsa_float_round_mode_16_64 0
		.amdhsa_float_denorm_mode_32 3
		.amdhsa_float_denorm_mode_16_64 3
		.amdhsa_dx10_clamp 1
		.amdhsa_ieee_mode 1
		.amdhsa_fp16_overflow 0
		.amdhsa_tg_split 0
		.amdhsa_exception_fp_ieee_invalid_op 0
		.amdhsa_exception_fp_denorm_src 0
		.amdhsa_exception_fp_ieee_div_zero 0
		.amdhsa_exception_fp_ieee_overflow 0
		.amdhsa_exception_fp_ieee_underflow 0
		.amdhsa_exception_fp_ieee_inexact 0
		.amdhsa_exception_int_div_zero 0
	.end_amdhsa_kernel
	.section	.text._ZN7rocprim17ROCPRIM_400000_NS6detail17trampoline_kernelINS0_14default_configENS1_27scan_by_key_config_selectorIijEEZZNS1_16scan_by_key_implILNS1_25lookback_scan_determinismE0ELb1ES3_N6thrust23THRUST_200600_302600_NS6detail15normal_iteratorINS9_10device_ptrIiEEEENSB_INSC_IjEEEESG_jNS9_4plusIvEENS9_8equal_toIvEEjEE10hipError_tPvRmT2_T3_T4_T5_mT6_T7_P12ihipStream_tbENKUlT_T0_E_clISt17integral_constantIbLb0EES11_EEDaSW_SX_EUlSW_E_NS1_11comp_targetILNS1_3genE4ELNS1_11target_archE910ELNS1_3gpuE8ELNS1_3repE0EEENS1_30default_config_static_selectorELNS0_4arch9wavefront6targetE1EEEvT1_,"axG",@progbits,_ZN7rocprim17ROCPRIM_400000_NS6detail17trampoline_kernelINS0_14default_configENS1_27scan_by_key_config_selectorIijEEZZNS1_16scan_by_key_implILNS1_25lookback_scan_determinismE0ELb1ES3_N6thrust23THRUST_200600_302600_NS6detail15normal_iteratorINS9_10device_ptrIiEEEENSB_INSC_IjEEEESG_jNS9_4plusIvEENS9_8equal_toIvEEjEE10hipError_tPvRmT2_T3_T4_T5_mT6_T7_P12ihipStream_tbENKUlT_T0_E_clISt17integral_constantIbLb0EES11_EEDaSW_SX_EUlSW_E_NS1_11comp_targetILNS1_3genE4ELNS1_11target_archE910ELNS1_3gpuE8ELNS1_3repE0EEENS1_30default_config_static_selectorELNS0_4arch9wavefront6targetE1EEEvT1_,comdat
.Lfunc_end1502:
	.size	_ZN7rocprim17ROCPRIM_400000_NS6detail17trampoline_kernelINS0_14default_configENS1_27scan_by_key_config_selectorIijEEZZNS1_16scan_by_key_implILNS1_25lookback_scan_determinismE0ELb1ES3_N6thrust23THRUST_200600_302600_NS6detail15normal_iteratorINS9_10device_ptrIiEEEENSB_INSC_IjEEEESG_jNS9_4plusIvEENS9_8equal_toIvEEjEE10hipError_tPvRmT2_T3_T4_T5_mT6_T7_P12ihipStream_tbENKUlT_T0_E_clISt17integral_constantIbLb0EES11_EEDaSW_SX_EUlSW_E_NS1_11comp_targetILNS1_3genE4ELNS1_11target_archE910ELNS1_3gpuE8ELNS1_3repE0EEENS1_30default_config_static_selectorELNS0_4arch9wavefront6targetE1EEEvT1_, .Lfunc_end1502-_ZN7rocprim17ROCPRIM_400000_NS6detail17trampoline_kernelINS0_14default_configENS1_27scan_by_key_config_selectorIijEEZZNS1_16scan_by_key_implILNS1_25lookback_scan_determinismE0ELb1ES3_N6thrust23THRUST_200600_302600_NS6detail15normal_iteratorINS9_10device_ptrIiEEEENSB_INSC_IjEEEESG_jNS9_4plusIvEENS9_8equal_toIvEEjEE10hipError_tPvRmT2_T3_T4_T5_mT6_T7_P12ihipStream_tbENKUlT_T0_E_clISt17integral_constantIbLb0EES11_EEDaSW_SX_EUlSW_E_NS1_11comp_targetILNS1_3genE4ELNS1_11target_archE910ELNS1_3gpuE8ELNS1_3repE0EEENS1_30default_config_static_selectorELNS0_4arch9wavefront6targetE1EEEvT1_
                                        ; -- End function
	.section	.AMDGPU.csdata,"",@progbits
; Kernel info:
; codeLenInByte = 0
; NumSgprs: 6
; NumVgprs: 0
; NumAgprs: 0
; TotalNumVgprs: 0
; ScratchSize: 0
; MemoryBound: 0
; FloatMode: 240
; IeeeMode: 1
; LDSByteSize: 0 bytes/workgroup (compile time only)
; SGPRBlocks: 0
; VGPRBlocks: 0
; NumSGPRsForWavesPerEU: 6
; NumVGPRsForWavesPerEU: 1
; AccumOffset: 4
; Occupancy: 8
; WaveLimiterHint : 0
; COMPUTE_PGM_RSRC2:SCRATCH_EN: 0
; COMPUTE_PGM_RSRC2:USER_SGPR: 2
; COMPUTE_PGM_RSRC2:TRAP_HANDLER: 0
; COMPUTE_PGM_RSRC2:TGID_X_EN: 1
; COMPUTE_PGM_RSRC2:TGID_Y_EN: 0
; COMPUTE_PGM_RSRC2:TGID_Z_EN: 0
; COMPUTE_PGM_RSRC2:TIDIG_COMP_CNT: 0
; COMPUTE_PGM_RSRC3_GFX90A:ACCUM_OFFSET: 0
; COMPUTE_PGM_RSRC3_GFX90A:TG_SPLIT: 0
	.section	.text._ZN7rocprim17ROCPRIM_400000_NS6detail17trampoline_kernelINS0_14default_configENS1_27scan_by_key_config_selectorIijEEZZNS1_16scan_by_key_implILNS1_25lookback_scan_determinismE0ELb1ES3_N6thrust23THRUST_200600_302600_NS6detail15normal_iteratorINS9_10device_ptrIiEEEENSB_INSC_IjEEEESG_jNS9_4plusIvEENS9_8equal_toIvEEjEE10hipError_tPvRmT2_T3_T4_T5_mT6_T7_P12ihipStream_tbENKUlT_T0_E_clISt17integral_constantIbLb0EES11_EEDaSW_SX_EUlSW_E_NS1_11comp_targetILNS1_3genE3ELNS1_11target_archE908ELNS1_3gpuE7ELNS1_3repE0EEENS1_30default_config_static_selectorELNS0_4arch9wavefront6targetE1EEEvT1_,"axG",@progbits,_ZN7rocprim17ROCPRIM_400000_NS6detail17trampoline_kernelINS0_14default_configENS1_27scan_by_key_config_selectorIijEEZZNS1_16scan_by_key_implILNS1_25lookback_scan_determinismE0ELb1ES3_N6thrust23THRUST_200600_302600_NS6detail15normal_iteratorINS9_10device_ptrIiEEEENSB_INSC_IjEEEESG_jNS9_4plusIvEENS9_8equal_toIvEEjEE10hipError_tPvRmT2_T3_T4_T5_mT6_T7_P12ihipStream_tbENKUlT_T0_E_clISt17integral_constantIbLb0EES11_EEDaSW_SX_EUlSW_E_NS1_11comp_targetILNS1_3genE3ELNS1_11target_archE908ELNS1_3gpuE7ELNS1_3repE0EEENS1_30default_config_static_selectorELNS0_4arch9wavefront6targetE1EEEvT1_,comdat
	.protected	_ZN7rocprim17ROCPRIM_400000_NS6detail17trampoline_kernelINS0_14default_configENS1_27scan_by_key_config_selectorIijEEZZNS1_16scan_by_key_implILNS1_25lookback_scan_determinismE0ELb1ES3_N6thrust23THRUST_200600_302600_NS6detail15normal_iteratorINS9_10device_ptrIiEEEENSB_INSC_IjEEEESG_jNS9_4plusIvEENS9_8equal_toIvEEjEE10hipError_tPvRmT2_T3_T4_T5_mT6_T7_P12ihipStream_tbENKUlT_T0_E_clISt17integral_constantIbLb0EES11_EEDaSW_SX_EUlSW_E_NS1_11comp_targetILNS1_3genE3ELNS1_11target_archE908ELNS1_3gpuE7ELNS1_3repE0EEENS1_30default_config_static_selectorELNS0_4arch9wavefront6targetE1EEEvT1_ ; -- Begin function _ZN7rocprim17ROCPRIM_400000_NS6detail17trampoline_kernelINS0_14default_configENS1_27scan_by_key_config_selectorIijEEZZNS1_16scan_by_key_implILNS1_25lookback_scan_determinismE0ELb1ES3_N6thrust23THRUST_200600_302600_NS6detail15normal_iteratorINS9_10device_ptrIiEEEENSB_INSC_IjEEEESG_jNS9_4plusIvEENS9_8equal_toIvEEjEE10hipError_tPvRmT2_T3_T4_T5_mT6_T7_P12ihipStream_tbENKUlT_T0_E_clISt17integral_constantIbLb0EES11_EEDaSW_SX_EUlSW_E_NS1_11comp_targetILNS1_3genE3ELNS1_11target_archE908ELNS1_3gpuE7ELNS1_3repE0EEENS1_30default_config_static_selectorELNS0_4arch9wavefront6targetE1EEEvT1_
	.globl	_ZN7rocprim17ROCPRIM_400000_NS6detail17trampoline_kernelINS0_14default_configENS1_27scan_by_key_config_selectorIijEEZZNS1_16scan_by_key_implILNS1_25lookback_scan_determinismE0ELb1ES3_N6thrust23THRUST_200600_302600_NS6detail15normal_iteratorINS9_10device_ptrIiEEEENSB_INSC_IjEEEESG_jNS9_4plusIvEENS9_8equal_toIvEEjEE10hipError_tPvRmT2_T3_T4_T5_mT6_T7_P12ihipStream_tbENKUlT_T0_E_clISt17integral_constantIbLb0EES11_EEDaSW_SX_EUlSW_E_NS1_11comp_targetILNS1_3genE3ELNS1_11target_archE908ELNS1_3gpuE7ELNS1_3repE0EEENS1_30default_config_static_selectorELNS0_4arch9wavefront6targetE1EEEvT1_
	.p2align	8
	.type	_ZN7rocprim17ROCPRIM_400000_NS6detail17trampoline_kernelINS0_14default_configENS1_27scan_by_key_config_selectorIijEEZZNS1_16scan_by_key_implILNS1_25lookback_scan_determinismE0ELb1ES3_N6thrust23THRUST_200600_302600_NS6detail15normal_iteratorINS9_10device_ptrIiEEEENSB_INSC_IjEEEESG_jNS9_4plusIvEENS9_8equal_toIvEEjEE10hipError_tPvRmT2_T3_T4_T5_mT6_T7_P12ihipStream_tbENKUlT_T0_E_clISt17integral_constantIbLb0EES11_EEDaSW_SX_EUlSW_E_NS1_11comp_targetILNS1_3genE3ELNS1_11target_archE908ELNS1_3gpuE7ELNS1_3repE0EEENS1_30default_config_static_selectorELNS0_4arch9wavefront6targetE1EEEvT1_,@function
_ZN7rocprim17ROCPRIM_400000_NS6detail17trampoline_kernelINS0_14default_configENS1_27scan_by_key_config_selectorIijEEZZNS1_16scan_by_key_implILNS1_25lookback_scan_determinismE0ELb1ES3_N6thrust23THRUST_200600_302600_NS6detail15normal_iteratorINS9_10device_ptrIiEEEENSB_INSC_IjEEEESG_jNS9_4plusIvEENS9_8equal_toIvEEjEE10hipError_tPvRmT2_T3_T4_T5_mT6_T7_P12ihipStream_tbENKUlT_T0_E_clISt17integral_constantIbLb0EES11_EEDaSW_SX_EUlSW_E_NS1_11comp_targetILNS1_3genE3ELNS1_11target_archE908ELNS1_3gpuE7ELNS1_3repE0EEENS1_30default_config_static_selectorELNS0_4arch9wavefront6targetE1EEEvT1_: ; @_ZN7rocprim17ROCPRIM_400000_NS6detail17trampoline_kernelINS0_14default_configENS1_27scan_by_key_config_selectorIijEEZZNS1_16scan_by_key_implILNS1_25lookback_scan_determinismE0ELb1ES3_N6thrust23THRUST_200600_302600_NS6detail15normal_iteratorINS9_10device_ptrIiEEEENSB_INSC_IjEEEESG_jNS9_4plusIvEENS9_8equal_toIvEEjEE10hipError_tPvRmT2_T3_T4_T5_mT6_T7_P12ihipStream_tbENKUlT_T0_E_clISt17integral_constantIbLb0EES11_EEDaSW_SX_EUlSW_E_NS1_11comp_targetILNS1_3genE3ELNS1_11target_archE908ELNS1_3gpuE7ELNS1_3repE0EEENS1_30default_config_static_selectorELNS0_4arch9wavefront6targetE1EEEvT1_
; %bb.0:
	.section	.rodata,"a",@progbits
	.p2align	6, 0x0
	.amdhsa_kernel _ZN7rocprim17ROCPRIM_400000_NS6detail17trampoline_kernelINS0_14default_configENS1_27scan_by_key_config_selectorIijEEZZNS1_16scan_by_key_implILNS1_25lookback_scan_determinismE0ELb1ES3_N6thrust23THRUST_200600_302600_NS6detail15normal_iteratorINS9_10device_ptrIiEEEENSB_INSC_IjEEEESG_jNS9_4plusIvEENS9_8equal_toIvEEjEE10hipError_tPvRmT2_T3_T4_T5_mT6_T7_P12ihipStream_tbENKUlT_T0_E_clISt17integral_constantIbLb0EES11_EEDaSW_SX_EUlSW_E_NS1_11comp_targetILNS1_3genE3ELNS1_11target_archE908ELNS1_3gpuE7ELNS1_3repE0EEENS1_30default_config_static_selectorELNS0_4arch9wavefront6targetE1EEEvT1_
		.amdhsa_group_segment_fixed_size 0
		.amdhsa_private_segment_fixed_size 0
		.amdhsa_kernarg_size 112
		.amdhsa_user_sgpr_count 2
		.amdhsa_user_sgpr_dispatch_ptr 0
		.amdhsa_user_sgpr_queue_ptr 0
		.amdhsa_user_sgpr_kernarg_segment_ptr 1
		.amdhsa_user_sgpr_dispatch_id 0
		.amdhsa_user_sgpr_kernarg_preload_length 0
		.amdhsa_user_sgpr_kernarg_preload_offset 0
		.amdhsa_user_sgpr_private_segment_size 0
		.amdhsa_uses_dynamic_stack 0
		.amdhsa_enable_private_segment 0
		.amdhsa_system_sgpr_workgroup_id_x 1
		.amdhsa_system_sgpr_workgroup_id_y 0
		.amdhsa_system_sgpr_workgroup_id_z 0
		.amdhsa_system_sgpr_workgroup_info 0
		.amdhsa_system_vgpr_workitem_id 0
		.amdhsa_next_free_vgpr 1
		.amdhsa_next_free_sgpr 0
		.amdhsa_accum_offset 4
		.amdhsa_reserve_vcc 0
		.amdhsa_float_round_mode_32 0
		.amdhsa_float_round_mode_16_64 0
		.amdhsa_float_denorm_mode_32 3
		.amdhsa_float_denorm_mode_16_64 3
		.amdhsa_dx10_clamp 1
		.amdhsa_ieee_mode 1
		.amdhsa_fp16_overflow 0
		.amdhsa_tg_split 0
		.amdhsa_exception_fp_ieee_invalid_op 0
		.amdhsa_exception_fp_denorm_src 0
		.amdhsa_exception_fp_ieee_div_zero 0
		.amdhsa_exception_fp_ieee_overflow 0
		.amdhsa_exception_fp_ieee_underflow 0
		.amdhsa_exception_fp_ieee_inexact 0
		.amdhsa_exception_int_div_zero 0
	.end_amdhsa_kernel
	.section	.text._ZN7rocprim17ROCPRIM_400000_NS6detail17trampoline_kernelINS0_14default_configENS1_27scan_by_key_config_selectorIijEEZZNS1_16scan_by_key_implILNS1_25lookback_scan_determinismE0ELb1ES3_N6thrust23THRUST_200600_302600_NS6detail15normal_iteratorINS9_10device_ptrIiEEEENSB_INSC_IjEEEESG_jNS9_4plusIvEENS9_8equal_toIvEEjEE10hipError_tPvRmT2_T3_T4_T5_mT6_T7_P12ihipStream_tbENKUlT_T0_E_clISt17integral_constantIbLb0EES11_EEDaSW_SX_EUlSW_E_NS1_11comp_targetILNS1_3genE3ELNS1_11target_archE908ELNS1_3gpuE7ELNS1_3repE0EEENS1_30default_config_static_selectorELNS0_4arch9wavefront6targetE1EEEvT1_,"axG",@progbits,_ZN7rocprim17ROCPRIM_400000_NS6detail17trampoline_kernelINS0_14default_configENS1_27scan_by_key_config_selectorIijEEZZNS1_16scan_by_key_implILNS1_25lookback_scan_determinismE0ELb1ES3_N6thrust23THRUST_200600_302600_NS6detail15normal_iteratorINS9_10device_ptrIiEEEENSB_INSC_IjEEEESG_jNS9_4plusIvEENS9_8equal_toIvEEjEE10hipError_tPvRmT2_T3_T4_T5_mT6_T7_P12ihipStream_tbENKUlT_T0_E_clISt17integral_constantIbLb0EES11_EEDaSW_SX_EUlSW_E_NS1_11comp_targetILNS1_3genE3ELNS1_11target_archE908ELNS1_3gpuE7ELNS1_3repE0EEENS1_30default_config_static_selectorELNS0_4arch9wavefront6targetE1EEEvT1_,comdat
.Lfunc_end1503:
	.size	_ZN7rocprim17ROCPRIM_400000_NS6detail17trampoline_kernelINS0_14default_configENS1_27scan_by_key_config_selectorIijEEZZNS1_16scan_by_key_implILNS1_25lookback_scan_determinismE0ELb1ES3_N6thrust23THRUST_200600_302600_NS6detail15normal_iteratorINS9_10device_ptrIiEEEENSB_INSC_IjEEEESG_jNS9_4plusIvEENS9_8equal_toIvEEjEE10hipError_tPvRmT2_T3_T4_T5_mT6_T7_P12ihipStream_tbENKUlT_T0_E_clISt17integral_constantIbLb0EES11_EEDaSW_SX_EUlSW_E_NS1_11comp_targetILNS1_3genE3ELNS1_11target_archE908ELNS1_3gpuE7ELNS1_3repE0EEENS1_30default_config_static_selectorELNS0_4arch9wavefront6targetE1EEEvT1_, .Lfunc_end1503-_ZN7rocprim17ROCPRIM_400000_NS6detail17trampoline_kernelINS0_14default_configENS1_27scan_by_key_config_selectorIijEEZZNS1_16scan_by_key_implILNS1_25lookback_scan_determinismE0ELb1ES3_N6thrust23THRUST_200600_302600_NS6detail15normal_iteratorINS9_10device_ptrIiEEEENSB_INSC_IjEEEESG_jNS9_4plusIvEENS9_8equal_toIvEEjEE10hipError_tPvRmT2_T3_T4_T5_mT6_T7_P12ihipStream_tbENKUlT_T0_E_clISt17integral_constantIbLb0EES11_EEDaSW_SX_EUlSW_E_NS1_11comp_targetILNS1_3genE3ELNS1_11target_archE908ELNS1_3gpuE7ELNS1_3repE0EEENS1_30default_config_static_selectorELNS0_4arch9wavefront6targetE1EEEvT1_
                                        ; -- End function
	.section	.AMDGPU.csdata,"",@progbits
; Kernel info:
; codeLenInByte = 0
; NumSgprs: 6
; NumVgprs: 0
; NumAgprs: 0
; TotalNumVgprs: 0
; ScratchSize: 0
; MemoryBound: 0
; FloatMode: 240
; IeeeMode: 1
; LDSByteSize: 0 bytes/workgroup (compile time only)
; SGPRBlocks: 0
; VGPRBlocks: 0
; NumSGPRsForWavesPerEU: 6
; NumVGPRsForWavesPerEU: 1
; AccumOffset: 4
; Occupancy: 8
; WaveLimiterHint : 0
; COMPUTE_PGM_RSRC2:SCRATCH_EN: 0
; COMPUTE_PGM_RSRC2:USER_SGPR: 2
; COMPUTE_PGM_RSRC2:TRAP_HANDLER: 0
; COMPUTE_PGM_RSRC2:TGID_X_EN: 1
; COMPUTE_PGM_RSRC2:TGID_Y_EN: 0
; COMPUTE_PGM_RSRC2:TGID_Z_EN: 0
; COMPUTE_PGM_RSRC2:TIDIG_COMP_CNT: 0
; COMPUTE_PGM_RSRC3_GFX90A:ACCUM_OFFSET: 0
; COMPUTE_PGM_RSRC3_GFX90A:TG_SPLIT: 0
	.section	.text._ZN7rocprim17ROCPRIM_400000_NS6detail17trampoline_kernelINS0_14default_configENS1_27scan_by_key_config_selectorIijEEZZNS1_16scan_by_key_implILNS1_25lookback_scan_determinismE0ELb1ES3_N6thrust23THRUST_200600_302600_NS6detail15normal_iteratorINS9_10device_ptrIiEEEENSB_INSC_IjEEEESG_jNS9_4plusIvEENS9_8equal_toIvEEjEE10hipError_tPvRmT2_T3_T4_T5_mT6_T7_P12ihipStream_tbENKUlT_T0_E_clISt17integral_constantIbLb0EES11_EEDaSW_SX_EUlSW_E_NS1_11comp_targetILNS1_3genE2ELNS1_11target_archE906ELNS1_3gpuE6ELNS1_3repE0EEENS1_30default_config_static_selectorELNS0_4arch9wavefront6targetE1EEEvT1_,"axG",@progbits,_ZN7rocprim17ROCPRIM_400000_NS6detail17trampoline_kernelINS0_14default_configENS1_27scan_by_key_config_selectorIijEEZZNS1_16scan_by_key_implILNS1_25lookback_scan_determinismE0ELb1ES3_N6thrust23THRUST_200600_302600_NS6detail15normal_iteratorINS9_10device_ptrIiEEEENSB_INSC_IjEEEESG_jNS9_4plusIvEENS9_8equal_toIvEEjEE10hipError_tPvRmT2_T3_T4_T5_mT6_T7_P12ihipStream_tbENKUlT_T0_E_clISt17integral_constantIbLb0EES11_EEDaSW_SX_EUlSW_E_NS1_11comp_targetILNS1_3genE2ELNS1_11target_archE906ELNS1_3gpuE6ELNS1_3repE0EEENS1_30default_config_static_selectorELNS0_4arch9wavefront6targetE1EEEvT1_,comdat
	.protected	_ZN7rocprim17ROCPRIM_400000_NS6detail17trampoline_kernelINS0_14default_configENS1_27scan_by_key_config_selectorIijEEZZNS1_16scan_by_key_implILNS1_25lookback_scan_determinismE0ELb1ES3_N6thrust23THRUST_200600_302600_NS6detail15normal_iteratorINS9_10device_ptrIiEEEENSB_INSC_IjEEEESG_jNS9_4plusIvEENS9_8equal_toIvEEjEE10hipError_tPvRmT2_T3_T4_T5_mT6_T7_P12ihipStream_tbENKUlT_T0_E_clISt17integral_constantIbLb0EES11_EEDaSW_SX_EUlSW_E_NS1_11comp_targetILNS1_3genE2ELNS1_11target_archE906ELNS1_3gpuE6ELNS1_3repE0EEENS1_30default_config_static_selectorELNS0_4arch9wavefront6targetE1EEEvT1_ ; -- Begin function _ZN7rocprim17ROCPRIM_400000_NS6detail17trampoline_kernelINS0_14default_configENS1_27scan_by_key_config_selectorIijEEZZNS1_16scan_by_key_implILNS1_25lookback_scan_determinismE0ELb1ES3_N6thrust23THRUST_200600_302600_NS6detail15normal_iteratorINS9_10device_ptrIiEEEENSB_INSC_IjEEEESG_jNS9_4plusIvEENS9_8equal_toIvEEjEE10hipError_tPvRmT2_T3_T4_T5_mT6_T7_P12ihipStream_tbENKUlT_T0_E_clISt17integral_constantIbLb0EES11_EEDaSW_SX_EUlSW_E_NS1_11comp_targetILNS1_3genE2ELNS1_11target_archE906ELNS1_3gpuE6ELNS1_3repE0EEENS1_30default_config_static_selectorELNS0_4arch9wavefront6targetE1EEEvT1_
	.globl	_ZN7rocprim17ROCPRIM_400000_NS6detail17trampoline_kernelINS0_14default_configENS1_27scan_by_key_config_selectorIijEEZZNS1_16scan_by_key_implILNS1_25lookback_scan_determinismE0ELb1ES3_N6thrust23THRUST_200600_302600_NS6detail15normal_iteratorINS9_10device_ptrIiEEEENSB_INSC_IjEEEESG_jNS9_4plusIvEENS9_8equal_toIvEEjEE10hipError_tPvRmT2_T3_T4_T5_mT6_T7_P12ihipStream_tbENKUlT_T0_E_clISt17integral_constantIbLb0EES11_EEDaSW_SX_EUlSW_E_NS1_11comp_targetILNS1_3genE2ELNS1_11target_archE906ELNS1_3gpuE6ELNS1_3repE0EEENS1_30default_config_static_selectorELNS0_4arch9wavefront6targetE1EEEvT1_
	.p2align	8
	.type	_ZN7rocprim17ROCPRIM_400000_NS6detail17trampoline_kernelINS0_14default_configENS1_27scan_by_key_config_selectorIijEEZZNS1_16scan_by_key_implILNS1_25lookback_scan_determinismE0ELb1ES3_N6thrust23THRUST_200600_302600_NS6detail15normal_iteratorINS9_10device_ptrIiEEEENSB_INSC_IjEEEESG_jNS9_4plusIvEENS9_8equal_toIvEEjEE10hipError_tPvRmT2_T3_T4_T5_mT6_T7_P12ihipStream_tbENKUlT_T0_E_clISt17integral_constantIbLb0EES11_EEDaSW_SX_EUlSW_E_NS1_11comp_targetILNS1_3genE2ELNS1_11target_archE906ELNS1_3gpuE6ELNS1_3repE0EEENS1_30default_config_static_selectorELNS0_4arch9wavefront6targetE1EEEvT1_,@function
_ZN7rocprim17ROCPRIM_400000_NS6detail17trampoline_kernelINS0_14default_configENS1_27scan_by_key_config_selectorIijEEZZNS1_16scan_by_key_implILNS1_25lookback_scan_determinismE0ELb1ES3_N6thrust23THRUST_200600_302600_NS6detail15normal_iteratorINS9_10device_ptrIiEEEENSB_INSC_IjEEEESG_jNS9_4plusIvEENS9_8equal_toIvEEjEE10hipError_tPvRmT2_T3_T4_T5_mT6_T7_P12ihipStream_tbENKUlT_T0_E_clISt17integral_constantIbLb0EES11_EEDaSW_SX_EUlSW_E_NS1_11comp_targetILNS1_3genE2ELNS1_11target_archE906ELNS1_3gpuE6ELNS1_3repE0EEENS1_30default_config_static_selectorELNS0_4arch9wavefront6targetE1EEEvT1_: ; @_ZN7rocprim17ROCPRIM_400000_NS6detail17trampoline_kernelINS0_14default_configENS1_27scan_by_key_config_selectorIijEEZZNS1_16scan_by_key_implILNS1_25lookback_scan_determinismE0ELb1ES3_N6thrust23THRUST_200600_302600_NS6detail15normal_iteratorINS9_10device_ptrIiEEEENSB_INSC_IjEEEESG_jNS9_4plusIvEENS9_8equal_toIvEEjEE10hipError_tPvRmT2_T3_T4_T5_mT6_T7_P12ihipStream_tbENKUlT_T0_E_clISt17integral_constantIbLb0EES11_EEDaSW_SX_EUlSW_E_NS1_11comp_targetILNS1_3genE2ELNS1_11target_archE906ELNS1_3gpuE6ELNS1_3repE0EEENS1_30default_config_static_selectorELNS0_4arch9wavefront6targetE1EEEvT1_
; %bb.0:
	.section	.rodata,"a",@progbits
	.p2align	6, 0x0
	.amdhsa_kernel _ZN7rocprim17ROCPRIM_400000_NS6detail17trampoline_kernelINS0_14default_configENS1_27scan_by_key_config_selectorIijEEZZNS1_16scan_by_key_implILNS1_25lookback_scan_determinismE0ELb1ES3_N6thrust23THRUST_200600_302600_NS6detail15normal_iteratorINS9_10device_ptrIiEEEENSB_INSC_IjEEEESG_jNS9_4plusIvEENS9_8equal_toIvEEjEE10hipError_tPvRmT2_T3_T4_T5_mT6_T7_P12ihipStream_tbENKUlT_T0_E_clISt17integral_constantIbLb0EES11_EEDaSW_SX_EUlSW_E_NS1_11comp_targetILNS1_3genE2ELNS1_11target_archE906ELNS1_3gpuE6ELNS1_3repE0EEENS1_30default_config_static_selectorELNS0_4arch9wavefront6targetE1EEEvT1_
		.amdhsa_group_segment_fixed_size 0
		.amdhsa_private_segment_fixed_size 0
		.amdhsa_kernarg_size 112
		.amdhsa_user_sgpr_count 2
		.amdhsa_user_sgpr_dispatch_ptr 0
		.amdhsa_user_sgpr_queue_ptr 0
		.amdhsa_user_sgpr_kernarg_segment_ptr 1
		.amdhsa_user_sgpr_dispatch_id 0
		.amdhsa_user_sgpr_kernarg_preload_length 0
		.amdhsa_user_sgpr_kernarg_preload_offset 0
		.amdhsa_user_sgpr_private_segment_size 0
		.amdhsa_uses_dynamic_stack 0
		.amdhsa_enable_private_segment 0
		.amdhsa_system_sgpr_workgroup_id_x 1
		.amdhsa_system_sgpr_workgroup_id_y 0
		.amdhsa_system_sgpr_workgroup_id_z 0
		.amdhsa_system_sgpr_workgroup_info 0
		.amdhsa_system_vgpr_workitem_id 0
		.amdhsa_next_free_vgpr 1
		.amdhsa_next_free_sgpr 0
		.amdhsa_accum_offset 4
		.amdhsa_reserve_vcc 0
		.amdhsa_float_round_mode_32 0
		.amdhsa_float_round_mode_16_64 0
		.amdhsa_float_denorm_mode_32 3
		.amdhsa_float_denorm_mode_16_64 3
		.amdhsa_dx10_clamp 1
		.amdhsa_ieee_mode 1
		.amdhsa_fp16_overflow 0
		.amdhsa_tg_split 0
		.amdhsa_exception_fp_ieee_invalid_op 0
		.amdhsa_exception_fp_denorm_src 0
		.amdhsa_exception_fp_ieee_div_zero 0
		.amdhsa_exception_fp_ieee_overflow 0
		.amdhsa_exception_fp_ieee_underflow 0
		.amdhsa_exception_fp_ieee_inexact 0
		.amdhsa_exception_int_div_zero 0
	.end_amdhsa_kernel
	.section	.text._ZN7rocprim17ROCPRIM_400000_NS6detail17trampoline_kernelINS0_14default_configENS1_27scan_by_key_config_selectorIijEEZZNS1_16scan_by_key_implILNS1_25lookback_scan_determinismE0ELb1ES3_N6thrust23THRUST_200600_302600_NS6detail15normal_iteratorINS9_10device_ptrIiEEEENSB_INSC_IjEEEESG_jNS9_4plusIvEENS9_8equal_toIvEEjEE10hipError_tPvRmT2_T3_T4_T5_mT6_T7_P12ihipStream_tbENKUlT_T0_E_clISt17integral_constantIbLb0EES11_EEDaSW_SX_EUlSW_E_NS1_11comp_targetILNS1_3genE2ELNS1_11target_archE906ELNS1_3gpuE6ELNS1_3repE0EEENS1_30default_config_static_selectorELNS0_4arch9wavefront6targetE1EEEvT1_,"axG",@progbits,_ZN7rocprim17ROCPRIM_400000_NS6detail17trampoline_kernelINS0_14default_configENS1_27scan_by_key_config_selectorIijEEZZNS1_16scan_by_key_implILNS1_25lookback_scan_determinismE0ELb1ES3_N6thrust23THRUST_200600_302600_NS6detail15normal_iteratorINS9_10device_ptrIiEEEENSB_INSC_IjEEEESG_jNS9_4plusIvEENS9_8equal_toIvEEjEE10hipError_tPvRmT2_T3_T4_T5_mT6_T7_P12ihipStream_tbENKUlT_T0_E_clISt17integral_constantIbLb0EES11_EEDaSW_SX_EUlSW_E_NS1_11comp_targetILNS1_3genE2ELNS1_11target_archE906ELNS1_3gpuE6ELNS1_3repE0EEENS1_30default_config_static_selectorELNS0_4arch9wavefront6targetE1EEEvT1_,comdat
.Lfunc_end1504:
	.size	_ZN7rocprim17ROCPRIM_400000_NS6detail17trampoline_kernelINS0_14default_configENS1_27scan_by_key_config_selectorIijEEZZNS1_16scan_by_key_implILNS1_25lookback_scan_determinismE0ELb1ES3_N6thrust23THRUST_200600_302600_NS6detail15normal_iteratorINS9_10device_ptrIiEEEENSB_INSC_IjEEEESG_jNS9_4plusIvEENS9_8equal_toIvEEjEE10hipError_tPvRmT2_T3_T4_T5_mT6_T7_P12ihipStream_tbENKUlT_T0_E_clISt17integral_constantIbLb0EES11_EEDaSW_SX_EUlSW_E_NS1_11comp_targetILNS1_3genE2ELNS1_11target_archE906ELNS1_3gpuE6ELNS1_3repE0EEENS1_30default_config_static_selectorELNS0_4arch9wavefront6targetE1EEEvT1_, .Lfunc_end1504-_ZN7rocprim17ROCPRIM_400000_NS6detail17trampoline_kernelINS0_14default_configENS1_27scan_by_key_config_selectorIijEEZZNS1_16scan_by_key_implILNS1_25lookback_scan_determinismE0ELb1ES3_N6thrust23THRUST_200600_302600_NS6detail15normal_iteratorINS9_10device_ptrIiEEEENSB_INSC_IjEEEESG_jNS9_4plusIvEENS9_8equal_toIvEEjEE10hipError_tPvRmT2_T3_T4_T5_mT6_T7_P12ihipStream_tbENKUlT_T0_E_clISt17integral_constantIbLb0EES11_EEDaSW_SX_EUlSW_E_NS1_11comp_targetILNS1_3genE2ELNS1_11target_archE906ELNS1_3gpuE6ELNS1_3repE0EEENS1_30default_config_static_selectorELNS0_4arch9wavefront6targetE1EEEvT1_
                                        ; -- End function
	.section	.AMDGPU.csdata,"",@progbits
; Kernel info:
; codeLenInByte = 0
; NumSgprs: 6
; NumVgprs: 0
; NumAgprs: 0
; TotalNumVgprs: 0
; ScratchSize: 0
; MemoryBound: 0
; FloatMode: 240
; IeeeMode: 1
; LDSByteSize: 0 bytes/workgroup (compile time only)
; SGPRBlocks: 0
; VGPRBlocks: 0
; NumSGPRsForWavesPerEU: 6
; NumVGPRsForWavesPerEU: 1
; AccumOffset: 4
; Occupancy: 8
; WaveLimiterHint : 0
; COMPUTE_PGM_RSRC2:SCRATCH_EN: 0
; COMPUTE_PGM_RSRC2:USER_SGPR: 2
; COMPUTE_PGM_RSRC2:TRAP_HANDLER: 0
; COMPUTE_PGM_RSRC2:TGID_X_EN: 1
; COMPUTE_PGM_RSRC2:TGID_Y_EN: 0
; COMPUTE_PGM_RSRC2:TGID_Z_EN: 0
; COMPUTE_PGM_RSRC2:TIDIG_COMP_CNT: 0
; COMPUTE_PGM_RSRC3_GFX90A:ACCUM_OFFSET: 0
; COMPUTE_PGM_RSRC3_GFX90A:TG_SPLIT: 0
	.section	.text._ZN7rocprim17ROCPRIM_400000_NS6detail17trampoline_kernelINS0_14default_configENS1_27scan_by_key_config_selectorIijEEZZNS1_16scan_by_key_implILNS1_25lookback_scan_determinismE0ELb1ES3_N6thrust23THRUST_200600_302600_NS6detail15normal_iteratorINS9_10device_ptrIiEEEENSB_INSC_IjEEEESG_jNS9_4plusIvEENS9_8equal_toIvEEjEE10hipError_tPvRmT2_T3_T4_T5_mT6_T7_P12ihipStream_tbENKUlT_T0_E_clISt17integral_constantIbLb0EES11_EEDaSW_SX_EUlSW_E_NS1_11comp_targetILNS1_3genE10ELNS1_11target_archE1200ELNS1_3gpuE4ELNS1_3repE0EEENS1_30default_config_static_selectorELNS0_4arch9wavefront6targetE1EEEvT1_,"axG",@progbits,_ZN7rocprim17ROCPRIM_400000_NS6detail17trampoline_kernelINS0_14default_configENS1_27scan_by_key_config_selectorIijEEZZNS1_16scan_by_key_implILNS1_25lookback_scan_determinismE0ELb1ES3_N6thrust23THRUST_200600_302600_NS6detail15normal_iteratorINS9_10device_ptrIiEEEENSB_INSC_IjEEEESG_jNS9_4plusIvEENS9_8equal_toIvEEjEE10hipError_tPvRmT2_T3_T4_T5_mT6_T7_P12ihipStream_tbENKUlT_T0_E_clISt17integral_constantIbLb0EES11_EEDaSW_SX_EUlSW_E_NS1_11comp_targetILNS1_3genE10ELNS1_11target_archE1200ELNS1_3gpuE4ELNS1_3repE0EEENS1_30default_config_static_selectorELNS0_4arch9wavefront6targetE1EEEvT1_,comdat
	.protected	_ZN7rocprim17ROCPRIM_400000_NS6detail17trampoline_kernelINS0_14default_configENS1_27scan_by_key_config_selectorIijEEZZNS1_16scan_by_key_implILNS1_25lookback_scan_determinismE0ELb1ES3_N6thrust23THRUST_200600_302600_NS6detail15normal_iteratorINS9_10device_ptrIiEEEENSB_INSC_IjEEEESG_jNS9_4plusIvEENS9_8equal_toIvEEjEE10hipError_tPvRmT2_T3_T4_T5_mT6_T7_P12ihipStream_tbENKUlT_T0_E_clISt17integral_constantIbLb0EES11_EEDaSW_SX_EUlSW_E_NS1_11comp_targetILNS1_3genE10ELNS1_11target_archE1200ELNS1_3gpuE4ELNS1_3repE0EEENS1_30default_config_static_selectorELNS0_4arch9wavefront6targetE1EEEvT1_ ; -- Begin function _ZN7rocprim17ROCPRIM_400000_NS6detail17trampoline_kernelINS0_14default_configENS1_27scan_by_key_config_selectorIijEEZZNS1_16scan_by_key_implILNS1_25lookback_scan_determinismE0ELb1ES3_N6thrust23THRUST_200600_302600_NS6detail15normal_iteratorINS9_10device_ptrIiEEEENSB_INSC_IjEEEESG_jNS9_4plusIvEENS9_8equal_toIvEEjEE10hipError_tPvRmT2_T3_T4_T5_mT6_T7_P12ihipStream_tbENKUlT_T0_E_clISt17integral_constantIbLb0EES11_EEDaSW_SX_EUlSW_E_NS1_11comp_targetILNS1_3genE10ELNS1_11target_archE1200ELNS1_3gpuE4ELNS1_3repE0EEENS1_30default_config_static_selectorELNS0_4arch9wavefront6targetE1EEEvT1_
	.globl	_ZN7rocprim17ROCPRIM_400000_NS6detail17trampoline_kernelINS0_14default_configENS1_27scan_by_key_config_selectorIijEEZZNS1_16scan_by_key_implILNS1_25lookback_scan_determinismE0ELb1ES3_N6thrust23THRUST_200600_302600_NS6detail15normal_iteratorINS9_10device_ptrIiEEEENSB_INSC_IjEEEESG_jNS9_4plusIvEENS9_8equal_toIvEEjEE10hipError_tPvRmT2_T3_T4_T5_mT6_T7_P12ihipStream_tbENKUlT_T0_E_clISt17integral_constantIbLb0EES11_EEDaSW_SX_EUlSW_E_NS1_11comp_targetILNS1_3genE10ELNS1_11target_archE1200ELNS1_3gpuE4ELNS1_3repE0EEENS1_30default_config_static_selectorELNS0_4arch9wavefront6targetE1EEEvT1_
	.p2align	8
	.type	_ZN7rocprim17ROCPRIM_400000_NS6detail17trampoline_kernelINS0_14default_configENS1_27scan_by_key_config_selectorIijEEZZNS1_16scan_by_key_implILNS1_25lookback_scan_determinismE0ELb1ES3_N6thrust23THRUST_200600_302600_NS6detail15normal_iteratorINS9_10device_ptrIiEEEENSB_INSC_IjEEEESG_jNS9_4plusIvEENS9_8equal_toIvEEjEE10hipError_tPvRmT2_T3_T4_T5_mT6_T7_P12ihipStream_tbENKUlT_T0_E_clISt17integral_constantIbLb0EES11_EEDaSW_SX_EUlSW_E_NS1_11comp_targetILNS1_3genE10ELNS1_11target_archE1200ELNS1_3gpuE4ELNS1_3repE0EEENS1_30default_config_static_selectorELNS0_4arch9wavefront6targetE1EEEvT1_,@function
_ZN7rocprim17ROCPRIM_400000_NS6detail17trampoline_kernelINS0_14default_configENS1_27scan_by_key_config_selectorIijEEZZNS1_16scan_by_key_implILNS1_25lookback_scan_determinismE0ELb1ES3_N6thrust23THRUST_200600_302600_NS6detail15normal_iteratorINS9_10device_ptrIiEEEENSB_INSC_IjEEEESG_jNS9_4plusIvEENS9_8equal_toIvEEjEE10hipError_tPvRmT2_T3_T4_T5_mT6_T7_P12ihipStream_tbENKUlT_T0_E_clISt17integral_constantIbLb0EES11_EEDaSW_SX_EUlSW_E_NS1_11comp_targetILNS1_3genE10ELNS1_11target_archE1200ELNS1_3gpuE4ELNS1_3repE0EEENS1_30default_config_static_selectorELNS0_4arch9wavefront6targetE1EEEvT1_: ; @_ZN7rocprim17ROCPRIM_400000_NS6detail17trampoline_kernelINS0_14default_configENS1_27scan_by_key_config_selectorIijEEZZNS1_16scan_by_key_implILNS1_25lookback_scan_determinismE0ELb1ES3_N6thrust23THRUST_200600_302600_NS6detail15normal_iteratorINS9_10device_ptrIiEEEENSB_INSC_IjEEEESG_jNS9_4plusIvEENS9_8equal_toIvEEjEE10hipError_tPvRmT2_T3_T4_T5_mT6_T7_P12ihipStream_tbENKUlT_T0_E_clISt17integral_constantIbLb0EES11_EEDaSW_SX_EUlSW_E_NS1_11comp_targetILNS1_3genE10ELNS1_11target_archE1200ELNS1_3gpuE4ELNS1_3repE0EEENS1_30default_config_static_selectorELNS0_4arch9wavefront6targetE1EEEvT1_
; %bb.0:
	.section	.rodata,"a",@progbits
	.p2align	6, 0x0
	.amdhsa_kernel _ZN7rocprim17ROCPRIM_400000_NS6detail17trampoline_kernelINS0_14default_configENS1_27scan_by_key_config_selectorIijEEZZNS1_16scan_by_key_implILNS1_25lookback_scan_determinismE0ELb1ES3_N6thrust23THRUST_200600_302600_NS6detail15normal_iteratorINS9_10device_ptrIiEEEENSB_INSC_IjEEEESG_jNS9_4plusIvEENS9_8equal_toIvEEjEE10hipError_tPvRmT2_T3_T4_T5_mT6_T7_P12ihipStream_tbENKUlT_T0_E_clISt17integral_constantIbLb0EES11_EEDaSW_SX_EUlSW_E_NS1_11comp_targetILNS1_3genE10ELNS1_11target_archE1200ELNS1_3gpuE4ELNS1_3repE0EEENS1_30default_config_static_selectorELNS0_4arch9wavefront6targetE1EEEvT1_
		.amdhsa_group_segment_fixed_size 0
		.amdhsa_private_segment_fixed_size 0
		.amdhsa_kernarg_size 112
		.amdhsa_user_sgpr_count 2
		.amdhsa_user_sgpr_dispatch_ptr 0
		.amdhsa_user_sgpr_queue_ptr 0
		.amdhsa_user_sgpr_kernarg_segment_ptr 1
		.amdhsa_user_sgpr_dispatch_id 0
		.amdhsa_user_sgpr_kernarg_preload_length 0
		.amdhsa_user_sgpr_kernarg_preload_offset 0
		.amdhsa_user_sgpr_private_segment_size 0
		.amdhsa_uses_dynamic_stack 0
		.amdhsa_enable_private_segment 0
		.amdhsa_system_sgpr_workgroup_id_x 1
		.amdhsa_system_sgpr_workgroup_id_y 0
		.amdhsa_system_sgpr_workgroup_id_z 0
		.amdhsa_system_sgpr_workgroup_info 0
		.amdhsa_system_vgpr_workitem_id 0
		.amdhsa_next_free_vgpr 1
		.amdhsa_next_free_sgpr 0
		.amdhsa_accum_offset 4
		.amdhsa_reserve_vcc 0
		.amdhsa_float_round_mode_32 0
		.amdhsa_float_round_mode_16_64 0
		.amdhsa_float_denorm_mode_32 3
		.amdhsa_float_denorm_mode_16_64 3
		.amdhsa_dx10_clamp 1
		.amdhsa_ieee_mode 1
		.amdhsa_fp16_overflow 0
		.amdhsa_tg_split 0
		.amdhsa_exception_fp_ieee_invalid_op 0
		.amdhsa_exception_fp_denorm_src 0
		.amdhsa_exception_fp_ieee_div_zero 0
		.amdhsa_exception_fp_ieee_overflow 0
		.amdhsa_exception_fp_ieee_underflow 0
		.amdhsa_exception_fp_ieee_inexact 0
		.amdhsa_exception_int_div_zero 0
	.end_amdhsa_kernel
	.section	.text._ZN7rocprim17ROCPRIM_400000_NS6detail17trampoline_kernelINS0_14default_configENS1_27scan_by_key_config_selectorIijEEZZNS1_16scan_by_key_implILNS1_25lookback_scan_determinismE0ELb1ES3_N6thrust23THRUST_200600_302600_NS6detail15normal_iteratorINS9_10device_ptrIiEEEENSB_INSC_IjEEEESG_jNS9_4plusIvEENS9_8equal_toIvEEjEE10hipError_tPvRmT2_T3_T4_T5_mT6_T7_P12ihipStream_tbENKUlT_T0_E_clISt17integral_constantIbLb0EES11_EEDaSW_SX_EUlSW_E_NS1_11comp_targetILNS1_3genE10ELNS1_11target_archE1200ELNS1_3gpuE4ELNS1_3repE0EEENS1_30default_config_static_selectorELNS0_4arch9wavefront6targetE1EEEvT1_,"axG",@progbits,_ZN7rocprim17ROCPRIM_400000_NS6detail17trampoline_kernelINS0_14default_configENS1_27scan_by_key_config_selectorIijEEZZNS1_16scan_by_key_implILNS1_25lookback_scan_determinismE0ELb1ES3_N6thrust23THRUST_200600_302600_NS6detail15normal_iteratorINS9_10device_ptrIiEEEENSB_INSC_IjEEEESG_jNS9_4plusIvEENS9_8equal_toIvEEjEE10hipError_tPvRmT2_T3_T4_T5_mT6_T7_P12ihipStream_tbENKUlT_T0_E_clISt17integral_constantIbLb0EES11_EEDaSW_SX_EUlSW_E_NS1_11comp_targetILNS1_3genE10ELNS1_11target_archE1200ELNS1_3gpuE4ELNS1_3repE0EEENS1_30default_config_static_selectorELNS0_4arch9wavefront6targetE1EEEvT1_,comdat
.Lfunc_end1505:
	.size	_ZN7rocprim17ROCPRIM_400000_NS6detail17trampoline_kernelINS0_14default_configENS1_27scan_by_key_config_selectorIijEEZZNS1_16scan_by_key_implILNS1_25lookback_scan_determinismE0ELb1ES3_N6thrust23THRUST_200600_302600_NS6detail15normal_iteratorINS9_10device_ptrIiEEEENSB_INSC_IjEEEESG_jNS9_4plusIvEENS9_8equal_toIvEEjEE10hipError_tPvRmT2_T3_T4_T5_mT6_T7_P12ihipStream_tbENKUlT_T0_E_clISt17integral_constantIbLb0EES11_EEDaSW_SX_EUlSW_E_NS1_11comp_targetILNS1_3genE10ELNS1_11target_archE1200ELNS1_3gpuE4ELNS1_3repE0EEENS1_30default_config_static_selectorELNS0_4arch9wavefront6targetE1EEEvT1_, .Lfunc_end1505-_ZN7rocprim17ROCPRIM_400000_NS6detail17trampoline_kernelINS0_14default_configENS1_27scan_by_key_config_selectorIijEEZZNS1_16scan_by_key_implILNS1_25lookback_scan_determinismE0ELb1ES3_N6thrust23THRUST_200600_302600_NS6detail15normal_iteratorINS9_10device_ptrIiEEEENSB_INSC_IjEEEESG_jNS9_4plusIvEENS9_8equal_toIvEEjEE10hipError_tPvRmT2_T3_T4_T5_mT6_T7_P12ihipStream_tbENKUlT_T0_E_clISt17integral_constantIbLb0EES11_EEDaSW_SX_EUlSW_E_NS1_11comp_targetILNS1_3genE10ELNS1_11target_archE1200ELNS1_3gpuE4ELNS1_3repE0EEENS1_30default_config_static_selectorELNS0_4arch9wavefront6targetE1EEEvT1_
                                        ; -- End function
	.section	.AMDGPU.csdata,"",@progbits
; Kernel info:
; codeLenInByte = 0
; NumSgprs: 6
; NumVgprs: 0
; NumAgprs: 0
; TotalNumVgprs: 0
; ScratchSize: 0
; MemoryBound: 0
; FloatMode: 240
; IeeeMode: 1
; LDSByteSize: 0 bytes/workgroup (compile time only)
; SGPRBlocks: 0
; VGPRBlocks: 0
; NumSGPRsForWavesPerEU: 6
; NumVGPRsForWavesPerEU: 1
; AccumOffset: 4
; Occupancy: 8
; WaveLimiterHint : 0
; COMPUTE_PGM_RSRC2:SCRATCH_EN: 0
; COMPUTE_PGM_RSRC2:USER_SGPR: 2
; COMPUTE_PGM_RSRC2:TRAP_HANDLER: 0
; COMPUTE_PGM_RSRC2:TGID_X_EN: 1
; COMPUTE_PGM_RSRC2:TGID_Y_EN: 0
; COMPUTE_PGM_RSRC2:TGID_Z_EN: 0
; COMPUTE_PGM_RSRC2:TIDIG_COMP_CNT: 0
; COMPUTE_PGM_RSRC3_GFX90A:ACCUM_OFFSET: 0
; COMPUTE_PGM_RSRC3_GFX90A:TG_SPLIT: 0
	.section	.text._ZN7rocprim17ROCPRIM_400000_NS6detail17trampoline_kernelINS0_14default_configENS1_27scan_by_key_config_selectorIijEEZZNS1_16scan_by_key_implILNS1_25lookback_scan_determinismE0ELb1ES3_N6thrust23THRUST_200600_302600_NS6detail15normal_iteratorINS9_10device_ptrIiEEEENSB_INSC_IjEEEESG_jNS9_4plusIvEENS9_8equal_toIvEEjEE10hipError_tPvRmT2_T3_T4_T5_mT6_T7_P12ihipStream_tbENKUlT_T0_E_clISt17integral_constantIbLb0EES11_EEDaSW_SX_EUlSW_E_NS1_11comp_targetILNS1_3genE9ELNS1_11target_archE1100ELNS1_3gpuE3ELNS1_3repE0EEENS1_30default_config_static_selectorELNS0_4arch9wavefront6targetE1EEEvT1_,"axG",@progbits,_ZN7rocprim17ROCPRIM_400000_NS6detail17trampoline_kernelINS0_14default_configENS1_27scan_by_key_config_selectorIijEEZZNS1_16scan_by_key_implILNS1_25lookback_scan_determinismE0ELb1ES3_N6thrust23THRUST_200600_302600_NS6detail15normal_iteratorINS9_10device_ptrIiEEEENSB_INSC_IjEEEESG_jNS9_4plusIvEENS9_8equal_toIvEEjEE10hipError_tPvRmT2_T3_T4_T5_mT6_T7_P12ihipStream_tbENKUlT_T0_E_clISt17integral_constantIbLb0EES11_EEDaSW_SX_EUlSW_E_NS1_11comp_targetILNS1_3genE9ELNS1_11target_archE1100ELNS1_3gpuE3ELNS1_3repE0EEENS1_30default_config_static_selectorELNS0_4arch9wavefront6targetE1EEEvT1_,comdat
	.protected	_ZN7rocprim17ROCPRIM_400000_NS6detail17trampoline_kernelINS0_14default_configENS1_27scan_by_key_config_selectorIijEEZZNS1_16scan_by_key_implILNS1_25lookback_scan_determinismE0ELb1ES3_N6thrust23THRUST_200600_302600_NS6detail15normal_iteratorINS9_10device_ptrIiEEEENSB_INSC_IjEEEESG_jNS9_4plusIvEENS9_8equal_toIvEEjEE10hipError_tPvRmT2_T3_T4_T5_mT6_T7_P12ihipStream_tbENKUlT_T0_E_clISt17integral_constantIbLb0EES11_EEDaSW_SX_EUlSW_E_NS1_11comp_targetILNS1_3genE9ELNS1_11target_archE1100ELNS1_3gpuE3ELNS1_3repE0EEENS1_30default_config_static_selectorELNS0_4arch9wavefront6targetE1EEEvT1_ ; -- Begin function _ZN7rocprim17ROCPRIM_400000_NS6detail17trampoline_kernelINS0_14default_configENS1_27scan_by_key_config_selectorIijEEZZNS1_16scan_by_key_implILNS1_25lookback_scan_determinismE0ELb1ES3_N6thrust23THRUST_200600_302600_NS6detail15normal_iteratorINS9_10device_ptrIiEEEENSB_INSC_IjEEEESG_jNS9_4plusIvEENS9_8equal_toIvEEjEE10hipError_tPvRmT2_T3_T4_T5_mT6_T7_P12ihipStream_tbENKUlT_T0_E_clISt17integral_constantIbLb0EES11_EEDaSW_SX_EUlSW_E_NS1_11comp_targetILNS1_3genE9ELNS1_11target_archE1100ELNS1_3gpuE3ELNS1_3repE0EEENS1_30default_config_static_selectorELNS0_4arch9wavefront6targetE1EEEvT1_
	.globl	_ZN7rocprim17ROCPRIM_400000_NS6detail17trampoline_kernelINS0_14default_configENS1_27scan_by_key_config_selectorIijEEZZNS1_16scan_by_key_implILNS1_25lookback_scan_determinismE0ELb1ES3_N6thrust23THRUST_200600_302600_NS6detail15normal_iteratorINS9_10device_ptrIiEEEENSB_INSC_IjEEEESG_jNS9_4plusIvEENS9_8equal_toIvEEjEE10hipError_tPvRmT2_T3_T4_T5_mT6_T7_P12ihipStream_tbENKUlT_T0_E_clISt17integral_constantIbLb0EES11_EEDaSW_SX_EUlSW_E_NS1_11comp_targetILNS1_3genE9ELNS1_11target_archE1100ELNS1_3gpuE3ELNS1_3repE0EEENS1_30default_config_static_selectorELNS0_4arch9wavefront6targetE1EEEvT1_
	.p2align	8
	.type	_ZN7rocprim17ROCPRIM_400000_NS6detail17trampoline_kernelINS0_14default_configENS1_27scan_by_key_config_selectorIijEEZZNS1_16scan_by_key_implILNS1_25lookback_scan_determinismE0ELb1ES3_N6thrust23THRUST_200600_302600_NS6detail15normal_iteratorINS9_10device_ptrIiEEEENSB_INSC_IjEEEESG_jNS9_4plusIvEENS9_8equal_toIvEEjEE10hipError_tPvRmT2_T3_T4_T5_mT6_T7_P12ihipStream_tbENKUlT_T0_E_clISt17integral_constantIbLb0EES11_EEDaSW_SX_EUlSW_E_NS1_11comp_targetILNS1_3genE9ELNS1_11target_archE1100ELNS1_3gpuE3ELNS1_3repE0EEENS1_30default_config_static_selectorELNS0_4arch9wavefront6targetE1EEEvT1_,@function
_ZN7rocprim17ROCPRIM_400000_NS6detail17trampoline_kernelINS0_14default_configENS1_27scan_by_key_config_selectorIijEEZZNS1_16scan_by_key_implILNS1_25lookback_scan_determinismE0ELb1ES3_N6thrust23THRUST_200600_302600_NS6detail15normal_iteratorINS9_10device_ptrIiEEEENSB_INSC_IjEEEESG_jNS9_4plusIvEENS9_8equal_toIvEEjEE10hipError_tPvRmT2_T3_T4_T5_mT6_T7_P12ihipStream_tbENKUlT_T0_E_clISt17integral_constantIbLb0EES11_EEDaSW_SX_EUlSW_E_NS1_11comp_targetILNS1_3genE9ELNS1_11target_archE1100ELNS1_3gpuE3ELNS1_3repE0EEENS1_30default_config_static_selectorELNS0_4arch9wavefront6targetE1EEEvT1_: ; @_ZN7rocprim17ROCPRIM_400000_NS6detail17trampoline_kernelINS0_14default_configENS1_27scan_by_key_config_selectorIijEEZZNS1_16scan_by_key_implILNS1_25lookback_scan_determinismE0ELb1ES3_N6thrust23THRUST_200600_302600_NS6detail15normal_iteratorINS9_10device_ptrIiEEEENSB_INSC_IjEEEESG_jNS9_4plusIvEENS9_8equal_toIvEEjEE10hipError_tPvRmT2_T3_T4_T5_mT6_T7_P12ihipStream_tbENKUlT_T0_E_clISt17integral_constantIbLb0EES11_EEDaSW_SX_EUlSW_E_NS1_11comp_targetILNS1_3genE9ELNS1_11target_archE1100ELNS1_3gpuE3ELNS1_3repE0EEENS1_30default_config_static_selectorELNS0_4arch9wavefront6targetE1EEEvT1_
; %bb.0:
	.section	.rodata,"a",@progbits
	.p2align	6, 0x0
	.amdhsa_kernel _ZN7rocprim17ROCPRIM_400000_NS6detail17trampoline_kernelINS0_14default_configENS1_27scan_by_key_config_selectorIijEEZZNS1_16scan_by_key_implILNS1_25lookback_scan_determinismE0ELb1ES3_N6thrust23THRUST_200600_302600_NS6detail15normal_iteratorINS9_10device_ptrIiEEEENSB_INSC_IjEEEESG_jNS9_4plusIvEENS9_8equal_toIvEEjEE10hipError_tPvRmT2_T3_T4_T5_mT6_T7_P12ihipStream_tbENKUlT_T0_E_clISt17integral_constantIbLb0EES11_EEDaSW_SX_EUlSW_E_NS1_11comp_targetILNS1_3genE9ELNS1_11target_archE1100ELNS1_3gpuE3ELNS1_3repE0EEENS1_30default_config_static_selectorELNS0_4arch9wavefront6targetE1EEEvT1_
		.amdhsa_group_segment_fixed_size 0
		.amdhsa_private_segment_fixed_size 0
		.amdhsa_kernarg_size 112
		.amdhsa_user_sgpr_count 2
		.amdhsa_user_sgpr_dispatch_ptr 0
		.amdhsa_user_sgpr_queue_ptr 0
		.amdhsa_user_sgpr_kernarg_segment_ptr 1
		.amdhsa_user_sgpr_dispatch_id 0
		.amdhsa_user_sgpr_kernarg_preload_length 0
		.amdhsa_user_sgpr_kernarg_preload_offset 0
		.amdhsa_user_sgpr_private_segment_size 0
		.amdhsa_uses_dynamic_stack 0
		.amdhsa_enable_private_segment 0
		.amdhsa_system_sgpr_workgroup_id_x 1
		.amdhsa_system_sgpr_workgroup_id_y 0
		.amdhsa_system_sgpr_workgroup_id_z 0
		.amdhsa_system_sgpr_workgroup_info 0
		.amdhsa_system_vgpr_workitem_id 0
		.amdhsa_next_free_vgpr 1
		.amdhsa_next_free_sgpr 0
		.amdhsa_accum_offset 4
		.amdhsa_reserve_vcc 0
		.amdhsa_float_round_mode_32 0
		.amdhsa_float_round_mode_16_64 0
		.amdhsa_float_denorm_mode_32 3
		.amdhsa_float_denorm_mode_16_64 3
		.amdhsa_dx10_clamp 1
		.amdhsa_ieee_mode 1
		.amdhsa_fp16_overflow 0
		.amdhsa_tg_split 0
		.amdhsa_exception_fp_ieee_invalid_op 0
		.amdhsa_exception_fp_denorm_src 0
		.amdhsa_exception_fp_ieee_div_zero 0
		.amdhsa_exception_fp_ieee_overflow 0
		.amdhsa_exception_fp_ieee_underflow 0
		.amdhsa_exception_fp_ieee_inexact 0
		.amdhsa_exception_int_div_zero 0
	.end_amdhsa_kernel
	.section	.text._ZN7rocprim17ROCPRIM_400000_NS6detail17trampoline_kernelINS0_14default_configENS1_27scan_by_key_config_selectorIijEEZZNS1_16scan_by_key_implILNS1_25lookback_scan_determinismE0ELb1ES3_N6thrust23THRUST_200600_302600_NS6detail15normal_iteratorINS9_10device_ptrIiEEEENSB_INSC_IjEEEESG_jNS9_4plusIvEENS9_8equal_toIvEEjEE10hipError_tPvRmT2_T3_T4_T5_mT6_T7_P12ihipStream_tbENKUlT_T0_E_clISt17integral_constantIbLb0EES11_EEDaSW_SX_EUlSW_E_NS1_11comp_targetILNS1_3genE9ELNS1_11target_archE1100ELNS1_3gpuE3ELNS1_3repE0EEENS1_30default_config_static_selectorELNS0_4arch9wavefront6targetE1EEEvT1_,"axG",@progbits,_ZN7rocprim17ROCPRIM_400000_NS6detail17trampoline_kernelINS0_14default_configENS1_27scan_by_key_config_selectorIijEEZZNS1_16scan_by_key_implILNS1_25lookback_scan_determinismE0ELb1ES3_N6thrust23THRUST_200600_302600_NS6detail15normal_iteratorINS9_10device_ptrIiEEEENSB_INSC_IjEEEESG_jNS9_4plusIvEENS9_8equal_toIvEEjEE10hipError_tPvRmT2_T3_T4_T5_mT6_T7_P12ihipStream_tbENKUlT_T0_E_clISt17integral_constantIbLb0EES11_EEDaSW_SX_EUlSW_E_NS1_11comp_targetILNS1_3genE9ELNS1_11target_archE1100ELNS1_3gpuE3ELNS1_3repE0EEENS1_30default_config_static_selectorELNS0_4arch9wavefront6targetE1EEEvT1_,comdat
.Lfunc_end1506:
	.size	_ZN7rocprim17ROCPRIM_400000_NS6detail17trampoline_kernelINS0_14default_configENS1_27scan_by_key_config_selectorIijEEZZNS1_16scan_by_key_implILNS1_25lookback_scan_determinismE0ELb1ES3_N6thrust23THRUST_200600_302600_NS6detail15normal_iteratorINS9_10device_ptrIiEEEENSB_INSC_IjEEEESG_jNS9_4plusIvEENS9_8equal_toIvEEjEE10hipError_tPvRmT2_T3_T4_T5_mT6_T7_P12ihipStream_tbENKUlT_T0_E_clISt17integral_constantIbLb0EES11_EEDaSW_SX_EUlSW_E_NS1_11comp_targetILNS1_3genE9ELNS1_11target_archE1100ELNS1_3gpuE3ELNS1_3repE0EEENS1_30default_config_static_selectorELNS0_4arch9wavefront6targetE1EEEvT1_, .Lfunc_end1506-_ZN7rocprim17ROCPRIM_400000_NS6detail17trampoline_kernelINS0_14default_configENS1_27scan_by_key_config_selectorIijEEZZNS1_16scan_by_key_implILNS1_25lookback_scan_determinismE0ELb1ES3_N6thrust23THRUST_200600_302600_NS6detail15normal_iteratorINS9_10device_ptrIiEEEENSB_INSC_IjEEEESG_jNS9_4plusIvEENS9_8equal_toIvEEjEE10hipError_tPvRmT2_T3_T4_T5_mT6_T7_P12ihipStream_tbENKUlT_T0_E_clISt17integral_constantIbLb0EES11_EEDaSW_SX_EUlSW_E_NS1_11comp_targetILNS1_3genE9ELNS1_11target_archE1100ELNS1_3gpuE3ELNS1_3repE0EEENS1_30default_config_static_selectorELNS0_4arch9wavefront6targetE1EEEvT1_
                                        ; -- End function
	.section	.AMDGPU.csdata,"",@progbits
; Kernel info:
; codeLenInByte = 0
; NumSgprs: 6
; NumVgprs: 0
; NumAgprs: 0
; TotalNumVgprs: 0
; ScratchSize: 0
; MemoryBound: 0
; FloatMode: 240
; IeeeMode: 1
; LDSByteSize: 0 bytes/workgroup (compile time only)
; SGPRBlocks: 0
; VGPRBlocks: 0
; NumSGPRsForWavesPerEU: 6
; NumVGPRsForWavesPerEU: 1
; AccumOffset: 4
; Occupancy: 8
; WaveLimiterHint : 0
; COMPUTE_PGM_RSRC2:SCRATCH_EN: 0
; COMPUTE_PGM_RSRC2:USER_SGPR: 2
; COMPUTE_PGM_RSRC2:TRAP_HANDLER: 0
; COMPUTE_PGM_RSRC2:TGID_X_EN: 1
; COMPUTE_PGM_RSRC2:TGID_Y_EN: 0
; COMPUTE_PGM_RSRC2:TGID_Z_EN: 0
; COMPUTE_PGM_RSRC2:TIDIG_COMP_CNT: 0
; COMPUTE_PGM_RSRC3_GFX90A:ACCUM_OFFSET: 0
; COMPUTE_PGM_RSRC3_GFX90A:TG_SPLIT: 0
	.section	.text._ZN7rocprim17ROCPRIM_400000_NS6detail17trampoline_kernelINS0_14default_configENS1_27scan_by_key_config_selectorIijEEZZNS1_16scan_by_key_implILNS1_25lookback_scan_determinismE0ELb1ES3_N6thrust23THRUST_200600_302600_NS6detail15normal_iteratorINS9_10device_ptrIiEEEENSB_INSC_IjEEEESG_jNS9_4plusIvEENS9_8equal_toIvEEjEE10hipError_tPvRmT2_T3_T4_T5_mT6_T7_P12ihipStream_tbENKUlT_T0_E_clISt17integral_constantIbLb0EES11_EEDaSW_SX_EUlSW_E_NS1_11comp_targetILNS1_3genE8ELNS1_11target_archE1030ELNS1_3gpuE2ELNS1_3repE0EEENS1_30default_config_static_selectorELNS0_4arch9wavefront6targetE1EEEvT1_,"axG",@progbits,_ZN7rocprim17ROCPRIM_400000_NS6detail17trampoline_kernelINS0_14default_configENS1_27scan_by_key_config_selectorIijEEZZNS1_16scan_by_key_implILNS1_25lookback_scan_determinismE0ELb1ES3_N6thrust23THRUST_200600_302600_NS6detail15normal_iteratorINS9_10device_ptrIiEEEENSB_INSC_IjEEEESG_jNS9_4plusIvEENS9_8equal_toIvEEjEE10hipError_tPvRmT2_T3_T4_T5_mT6_T7_P12ihipStream_tbENKUlT_T0_E_clISt17integral_constantIbLb0EES11_EEDaSW_SX_EUlSW_E_NS1_11comp_targetILNS1_3genE8ELNS1_11target_archE1030ELNS1_3gpuE2ELNS1_3repE0EEENS1_30default_config_static_selectorELNS0_4arch9wavefront6targetE1EEEvT1_,comdat
	.protected	_ZN7rocprim17ROCPRIM_400000_NS6detail17trampoline_kernelINS0_14default_configENS1_27scan_by_key_config_selectorIijEEZZNS1_16scan_by_key_implILNS1_25lookback_scan_determinismE0ELb1ES3_N6thrust23THRUST_200600_302600_NS6detail15normal_iteratorINS9_10device_ptrIiEEEENSB_INSC_IjEEEESG_jNS9_4plusIvEENS9_8equal_toIvEEjEE10hipError_tPvRmT2_T3_T4_T5_mT6_T7_P12ihipStream_tbENKUlT_T0_E_clISt17integral_constantIbLb0EES11_EEDaSW_SX_EUlSW_E_NS1_11comp_targetILNS1_3genE8ELNS1_11target_archE1030ELNS1_3gpuE2ELNS1_3repE0EEENS1_30default_config_static_selectorELNS0_4arch9wavefront6targetE1EEEvT1_ ; -- Begin function _ZN7rocprim17ROCPRIM_400000_NS6detail17trampoline_kernelINS0_14default_configENS1_27scan_by_key_config_selectorIijEEZZNS1_16scan_by_key_implILNS1_25lookback_scan_determinismE0ELb1ES3_N6thrust23THRUST_200600_302600_NS6detail15normal_iteratorINS9_10device_ptrIiEEEENSB_INSC_IjEEEESG_jNS9_4plusIvEENS9_8equal_toIvEEjEE10hipError_tPvRmT2_T3_T4_T5_mT6_T7_P12ihipStream_tbENKUlT_T0_E_clISt17integral_constantIbLb0EES11_EEDaSW_SX_EUlSW_E_NS1_11comp_targetILNS1_3genE8ELNS1_11target_archE1030ELNS1_3gpuE2ELNS1_3repE0EEENS1_30default_config_static_selectorELNS0_4arch9wavefront6targetE1EEEvT1_
	.globl	_ZN7rocprim17ROCPRIM_400000_NS6detail17trampoline_kernelINS0_14default_configENS1_27scan_by_key_config_selectorIijEEZZNS1_16scan_by_key_implILNS1_25lookback_scan_determinismE0ELb1ES3_N6thrust23THRUST_200600_302600_NS6detail15normal_iteratorINS9_10device_ptrIiEEEENSB_INSC_IjEEEESG_jNS9_4plusIvEENS9_8equal_toIvEEjEE10hipError_tPvRmT2_T3_T4_T5_mT6_T7_P12ihipStream_tbENKUlT_T0_E_clISt17integral_constantIbLb0EES11_EEDaSW_SX_EUlSW_E_NS1_11comp_targetILNS1_3genE8ELNS1_11target_archE1030ELNS1_3gpuE2ELNS1_3repE0EEENS1_30default_config_static_selectorELNS0_4arch9wavefront6targetE1EEEvT1_
	.p2align	8
	.type	_ZN7rocprim17ROCPRIM_400000_NS6detail17trampoline_kernelINS0_14default_configENS1_27scan_by_key_config_selectorIijEEZZNS1_16scan_by_key_implILNS1_25lookback_scan_determinismE0ELb1ES3_N6thrust23THRUST_200600_302600_NS6detail15normal_iteratorINS9_10device_ptrIiEEEENSB_INSC_IjEEEESG_jNS9_4plusIvEENS9_8equal_toIvEEjEE10hipError_tPvRmT2_T3_T4_T5_mT6_T7_P12ihipStream_tbENKUlT_T0_E_clISt17integral_constantIbLb0EES11_EEDaSW_SX_EUlSW_E_NS1_11comp_targetILNS1_3genE8ELNS1_11target_archE1030ELNS1_3gpuE2ELNS1_3repE0EEENS1_30default_config_static_selectorELNS0_4arch9wavefront6targetE1EEEvT1_,@function
_ZN7rocprim17ROCPRIM_400000_NS6detail17trampoline_kernelINS0_14default_configENS1_27scan_by_key_config_selectorIijEEZZNS1_16scan_by_key_implILNS1_25lookback_scan_determinismE0ELb1ES3_N6thrust23THRUST_200600_302600_NS6detail15normal_iteratorINS9_10device_ptrIiEEEENSB_INSC_IjEEEESG_jNS9_4plusIvEENS9_8equal_toIvEEjEE10hipError_tPvRmT2_T3_T4_T5_mT6_T7_P12ihipStream_tbENKUlT_T0_E_clISt17integral_constantIbLb0EES11_EEDaSW_SX_EUlSW_E_NS1_11comp_targetILNS1_3genE8ELNS1_11target_archE1030ELNS1_3gpuE2ELNS1_3repE0EEENS1_30default_config_static_selectorELNS0_4arch9wavefront6targetE1EEEvT1_: ; @_ZN7rocprim17ROCPRIM_400000_NS6detail17trampoline_kernelINS0_14default_configENS1_27scan_by_key_config_selectorIijEEZZNS1_16scan_by_key_implILNS1_25lookback_scan_determinismE0ELb1ES3_N6thrust23THRUST_200600_302600_NS6detail15normal_iteratorINS9_10device_ptrIiEEEENSB_INSC_IjEEEESG_jNS9_4plusIvEENS9_8equal_toIvEEjEE10hipError_tPvRmT2_T3_T4_T5_mT6_T7_P12ihipStream_tbENKUlT_T0_E_clISt17integral_constantIbLb0EES11_EEDaSW_SX_EUlSW_E_NS1_11comp_targetILNS1_3genE8ELNS1_11target_archE1030ELNS1_3gpuE2ELNS1_3repE0EEENS1_30default_config_static_selectorELNS0_4arch9wavefront6targetE1EEEvT1_
; %bb.0:
	.section	.rodata,"a",@progbits
	.p2align	6, 0x0
	.amdhsa_kernel _ZN7rocprim17ROCPRIM_400000_NS6detail17trampoline_kernelINS0_14default_configENS1_27scan_by_key_config_selectorIijEEZZNS1_16scan_by_key_implILNS1_25lookback_scan_determinismE0ELb1ES3_N6thrust23THRUST_200600_302600_NS6detail15normal_iteratorINS9_10device_ptrIiEEEENSB_INSC_IjEEEESG_jNS9_4plusIvEENS9_8equal_toIvEEjEE10hipError_tPvRmT2_T3_T4_T5_mT6_T7_P12ihipStream_tbENKUlT_T0_E_clISt17integral_constantIbLb0EES11_EEDaSW_SX_EUlSW_E_NS1_11comp_targetILNS1_3genE8ELNS1_11target_archE1030ELNS1_3gpuE2ELNS1_3repE0EEENS1_30default_config_static_selectorELNS0_4arch9wavefront6targetE1EEEvT1_
		.amdhsa_group_segment_fixed_size 0
		.amdhsa_private_segment_fixed_size 0
		.amdhsa_kernarg_size 112
		.amdhsa_user_sgpr_count 2
		.amdhsa_user_sgpr_dispatch_ptr 0
		.amdhsa_user_sgpr_queue_ptr 0
		.amdhsa_user_sgpr_kernarg_segment_ptr 1
		.amdhsa_user_sgpr_dispatch_id 0
		.amdhsa_user_sgpr_kernarg_preload_length 0
		.amdhsa_user_sgpr_kernarg_preload_offset 0
		.amdhsa_user_sgpr_private_segment_size 0
		.amdhsa_uses_dynamic_stack 0
		.amdhsa_enable_private_segment 0
		.amdhsa_system_sgpr_workgroup_id_x 1
		.amdhsa_system_sgpr_workgroup_id_y 0
		.amdhsa_system_sgpr_workgroup_id_z 0
		.amdhsa_system_sgpr_workgroup_info 0
		.amdhsa_system_vgpr_workitem_id 0
		.amdhsa_next_free_vgpr 1
		.amdhsa_next_free_sgpr 0
		.amdhsa_accum_offset 4
		.amdhsa_reserve_vcc 0
		.amdhsa_float_round_mode_32 0
		.amdhsa_float_round_mode_16_64 0
		.amdhsa_float_denorm_mode_32 3
		.amdhsa_float_denorm_mode_16_64 3
		.amdhsa_dx10_clamp 1
		.amdhsa_ieee_mode 1
		.amdhsa_fp16_overflow 0
		.amdhsa_tg_split 0
		.amdhsa_exception_fp_ieee_invalid_op 0
		.amdhsa_exception_fp_denorm_src 0
		.amdhsa_exception_fp_ieee_div_zero 0
		.amdhsa_exception_fp_ieee_overflow 0
		.amdhsa_exception_fp_ieee_underflow 0
		.amdhsa_exception_fp_ieee_inexact 0
		.amdhsa_exception_int_div_zero 0
	.end_amdhsa_kernel
	.section	.text._ZN7rocprim17ROCPRIM_400000_NS6detail17trampoline_kernelINS0_14default_configENS1_27scan_by_key_config_selectorIijEEZZNS1_16scan_by_key_implILNS1_25lookback_scan_determinismE0ELb1ES3_N6thrust23THRUST_200600_302600_NS6detail15normal_iteratorINS9_10device_ptrIiEEEENSB_INSC_IjEEEESG_jNS9_4plusIvEENS9_8equal_toIvEEjEE10hipError_tPvRmT2_T3_T4_T5_mT6_T7_P12ihipStream_tbENKUlT_T0_E_clISt17integral_constantIbLb0EES11_EEDaSW_SX_EUlSW_E_NS1_11comp_targetILNS1_3genE8ELNS1_11target_archE1030ELNS1_3gpuE2ELNS1_3repE0EEENS1_30default_config_static_selectorELNS0_4arch9wavefront6targetE1EEEvT1_,"axG",@progbits,_ZN7rocprim17ROCPRIM_400000_NS6detail17trampoline_kernelINS0_14default_configENS1_27scan_by_key_config_selectorIijEEZZNS1_16scan_by_key_implILNS1_25lookback_scan_determinismE0ELb1ES3_N6thrust23THRUST_200600_302600_NS6detail15normal_iteratorINS9_10device_ptrIiEEEENSB_INSC_IjEEEESG_jNS9_4plusIvEENS9_8equal_toIvEEjEE10hipError_tPvRmT2_T3_T4_T5_mT6_T7_P12ihipStream_tbENKUlT_T0_E_clISt17integral_constantIbLb0EES11_EEDaSW_SX_EUlSW_E_NS1_11comp_targetILNS1_3genE8ELNS1_11target_archE1030ELNS1_3gpuE2ELNS1_3repE0EEENS1_30default_config_static_selectorELNS0_4arch9wavefront6targetE1EEEvT1_,comdat
.Lfunc_end1507:
	.size	_ZN7rocprim17ROCPRIM_400000_NS6detail17trampoline_kernelINS0_14default_configENS1_27scan_by_key_config_selectorIijEEZZNS1_16scan_by_key_implILNS1_25lookback_scan_determinismE0ELb1ES3_N6thrust23THRUST_200600_302600_NS6detail15normal_iteratorINS9_10device_ptrIiEEEENSB_INSC_IjEEEESG_jNS9_4plusIvEENS9_8equal_toIvEEjEE10hipError_tPvRmT2_T3_T4_T5_mT6_T7_P12ihipStream_tbENKUlT_T0_E_clISt17integral_constantIbLb0EES11_EEDaSW_SX_EUlSW_E_NS1_11comp_targetILNS1_3genE8ELNS1_11target_archE1030ELNS1_3gpuE2ELNS1_3repE0EEENS1_30default_config_static_selectorELNS0_4arch9wavefront6targetE1EEEvT1_, .Lfunc_end1507-_ZN7rocprim17ROCPRIM_400000_NS6detail17trampoline_kernelINS0_14default_configENS1_27scan_by_key_config_selectorIijEEZZNS1_16scan_by_key_implILNS1_25lookback_scan_determinismE0ELb1ES3_N6thrust23THRUST_200600_302600_NS6detail15normal_iteratorINS9_10device_ptrIiEEEENSB_INSC_IjEEEESG_jNS9_4plusIvEENS9_8equal_toIvEEjEE10hipError_tPvRmT2_T3_T4_T5_mT6_T7_P12ihipStream_tbENKUlT_T0_E_clISt17integral_constantIbLb0EES11_EEDaSW_SX_EUlSW_E_NS1_11comp_targetILNS1_3genE8ELNS1_11target_archE1030ELNS1_3gpuE2ELNS1_3repE0EEENS1_30default_config_static_selectorELNS0_4arch9wavefront6targetE1EEEvT1_
                                        ; -- End function
	.section	.AMDGPU.csdata,"",@progbits
; Kernel info:
; codeLenInByte = 0
; NumSgprs: 6
; NumVgprs: 0
; NumAgprs: 0
; TotalNumVgprs: 0
; ScratchSize: 0
; MemoryBound: 0
; FloatMode: 240
; IeeeMode: 1
; LDSByteSize: 0 bytes/workgroup (compile time only)
; SGPRBlocks: 0
; VGPRBlocks: 0
; NumSGPRsForWavesPerEU: 6
; NumVGPRsForWavesPerEU: 1
; AccumOffset: 4
; Occupancy: 8
; WaveLimiterHint : 0
; COMPUTE_PGM_RSRC2:SCRATCH_EN: 0
; COMPUTE_PGM_RSRC2:USER_SGPR: 2
; COMPUTE_PGM_RSRC2:TRAP_HANDLER: 0
; COMPUTE_PGM_RSRC2:TGID_X_EN: 1
; COMPUTE_PGM_RSRC2:TGID_Y_EN: 0
; COMPUTE_PGM_RSRC2:TGID_Z_EN: 0
; COMPUTE_PGM_RSRC2:TIDIG_COMP_CNT: 0
; COMPUTE_PGM_RSRC3_GFX90A:ACCUM_OFFSET: 0
; COMPUTE_PGM_RSRC3_GFX90A:TG_SPLIT: 0
	.section	.text._ZN7rocprim17ROCPRIM_400000_NS6detail17trampoline_kernelINS0_14default_configENS1_27scan_by_key_config_selectorIijEEZZNS1_16scan_by_key_implILNS1_25lookback_scan_determinismE0ELb1ES3_N6thrust23THRUST_200600_302600_NS6detail15normal_iteratorINS9_10device_ptrIiEEEENSB_INSC_IjEEEESG_jNS9_4plusIvEENS9_8equal_toIvEEjEE10hipError_tPvRmT2_T3_T4_T5_mT6_T7_P12ihipStream_tbENKUlT_T0_E_clISt17integral_constantIbLb1EES11_EEDaSW_SX_EUlSW_E_NS1_11comp_targetILNS1_3genE0ELNS1_11target_archE4294967295ELNS1_3gpuE0ELNS1_3repE0EEENS1_30default_config_static_selectorELNS0_4arch9wavefront6targetE1EEEvT1_,"axG",@progbits,_ZN7rocprim17ROCPRIM_400000_NS6detail17trampoline_kernelINS0_14default_configENS1_27scan_by_key_config_selectorIijEEZZNS1_16scan_by_key_implILNS1_25lookback_scan_determinismE0ELb1ES3_N6thrust23THRUST_200600_302600_NS6detail15normal_iteratorINS9_10device_ptrIiEEEENSB_INSC_IjEEEESG_jNS9_4plusIvEENS9_8equal_toIvEEjEE10hipError_tPvRmT2_T3_T4_T5_mT6_T7_P12ihipStream_tbENKUlT_T0_E_clISt17integral_constantIbLb1EES11_EEDaSW_SX_EUlSW_E_NS1_11comp_targetILNS1_3genE0ELNS1_11target_archE4294967295ELNS1_3gpuE0ELNS1_3repE0EEENS1_30default_config_static_selectorELNS0_4arch9wavefront6targetE1EEEvT1_,comdat
	.protected	_ZN7rocprim17ROCPRIM_400000_NS6detail17trampoline_kernelINS0_14default_configENS1_27scan_by_key_config_selectorIijEEZZNS1_16scan_by_key_implILNS1_25lookback_scan_determinismE0ELb1ES3_N6thrust23THRUST_200600_302600_NS6detail15normal_iteratorINS9_10device_ptrIiEEEENSB_INSC_IjEEEESG_jNS9_4plusIvEENS9_8equal_toIvEEjEE10hipError_tPvRmT2_T3_T4_T5_mT6_T7_P12ihipStream_tbENKUlT_T0_E_clISt17integral_constantIbLb1EES11_EEDaSW_SX_EUlSW_E_NS1_11comp_targetILNS1_3genE0ELNS1_11target_archE4294967295ELNS1_3gpuE0ELNS1_3repE0EEENS1_30default_config_static_selectorELNS0_4arch9wavefront6targetE1EEEvT1_ ; -- Begin function _ZN7rocprim17ROCPRIM_400000_NS6detail17trampoline_kernelINS0_14default_configENS1_27scan_by_key_config_selectorIijEEZZNS1_16scan_by_key_implILNS1_25lookback_scan_determinismE0ELb1ES3_N6thrust23THRUST_200600_302600_NS6detail15normal_iteratorINS9_10device_ptrIiEEEENSB_INSC_IjEEEESG_jNS9_4plusIvEENS9_8equal_toIvEEjEE10hipError_tPvRmT2_T3_T4_T5_mT6_T7_P12ihipStream_tbENKUlT_T0_E_clISt17integral_constantIbLb1EES11_EEDaSW_SX_EUlSW_E_NS1_11comp_targetILNS1_3genE0ELNS1_11target_archE4294967295ELNS1_3gpuE0ELNS1_3repE0EEENS1_30default_config_static_selectorELNS0_4arch9wavefront6targetE1EEEvT1_
	.globl	_ZN7rocprim17ROCPRIM_400000_NS6detail17trampoline_kernelINS0_14default_configENS1_27scan_by_key_config_selectorIijEEZZNS1_16scan_by_key_implILNS1_25lookback_scan_determinismE0ELb1ES3_N6thrust23THRUST_200600_302600_NS6detail15normal_iteratorINS9_10device_ptrIiEEEENSB_INSC_IjEEEESG_jNS9_4plusIvEENS9_8equal_toIvEEjEE10hipError_tPvRmT2_T3_T4_T5_mT6_T7_P12ihipStream_tbENKUlT_T0_E_clISt17integral_constantIbLb1EES11_EEDaSW_SX_EUlSW_E_NS1_11comp_targetILNS1_3genE0ELNS1_11target_archE4294967295ELNS1_3gpuE0ELNS1_3repE0EEENS1_30default_config_static_selectorELNS0_4arch9wavefront6targetE1EEEvT1_
	.p2align	8
	.type	_ZN7rocprim17ROCPRIM_400000_NS6detail17trampoline_kernelINS0_14default_configENS1_27scan_by_key_config_selectorIijEEZZNS1_16scan_by_key_implILNS1_25lookback_scan_determinismE0ELb1ES3_N6thrust23THRUST_200600_302600_NS6detail15normal_iteratorINS9_10device_ptrIiEEEENSB_INSC_IjEEEESG_jNS9_4plusIvEENS9_8equal_toIvEEjEE10hipError_tPvRmT2_T3_T4_T5_mT6_T7_P12ihipStream_tbENKUlT_T0_E_clISt17integral_constantIbLb1EES11_EEDaSW_SX_EUlSW_E_NS1_11comp_targetILNS1_3genE0ELNS1_11target_archE4294967295ELNS1_3gpuE0ELNS1_3repE0EEENS1_30default_config_static_selectorELNS0_4arch9wavefront6targetE1EEEvT1_,@function
_ZN7rocprim17ROCPRIM_400000_NS6detail17trampoline_kernelINS0_14default_configENS1_27scan_by_key_config_selectorIijEEZZNS1_16scan_by_key_implILNS1_25lookback_scan_determinismE0ELb1ES3_N6thrust23THRUST_200600_302600_NS6detail15normal_iteratorINS9_10device_ptrIiEEEENSB_INSC_IjEEEESG_jNS9_4plusIvEENS9_8equal_toIvEEjEE10hipError_tPvRmT2_T3_T4_T5_mT6_T7_P12ihipStream_tbENKUlT_T0_E_clISt17integral_constantIbLb1EES11_EEDaSW_SX_EUlSW_E_NS1_11comp_targetILNS1_3genE0ELNS1_11target_archE4294967295ELNS1_3gpuE0ELNS1_3repE0EEENS1_30default_config_static_selectorELNS0_4arch9wavefront6targetE1EEEvT1_: ; @_ZN7rocprim17ROCPRIM_400000_NS6detail17trampoline_kernelINS0_14default_configENS1_27scan_by_key_config_selectorIijEEZZNS1_16scan_by_key_implILNS1_25lookback_scan_determinismE0ELb1ES3_N6thrust23THRUST_200600_302600_NS6detail15normal_iteratorINS9_10device_ptrIiEEEENSB_INSC_IjEEEESG_jNS9_4plusIvEENS9_8equal_toIvEEjEE10hipError_tPvRmT2_T3_T4_T5_mT6_T7_P12ihipStream_tbENKUlT_T0_E_clISt17integral_constantIbLb1EES11_EEDaSW_SX_EUlSW_E_NS1_11comp_targetILNS1_3genE0ELNS1_11target_archE4294967295ELNS1_3gpuE0ELNS1_3repE0EEENS1_30default_config_static_selectorELNS0_4arch9wavefront6targetE1EEEvT1_
; %bb.0:
	.section	.rodata,"a",@progbits
	.p2align	6, 0x0
	.amdhsa_kernel _ZN7rocprim17ROCPRIM_400000_NS6detail17trampoline_kernelINS0_14default_configENS1_27scan_by_key_config_selectorIijEEZZNS1_16scan_by_key_implILNS1_25lookback_scan_determinismE0ELb1ES3_N6thrust23THRUST_200600_302600_NS6detail15normal_iteratorINS9_10device_ptrIiEEEENSB_INSC_IjEEEESG_jNS9_4plusIvEENS9_8equal_toIvEEjEE10hipError_tPvRmT2_T3_T4_T5_mT6_T7_P12ihipStream_tbENKUlT_T0_E_clISt17integral_constantIbLb1EES11_EEDaSW_SX_EUlSW_E_NS1_11comp_targetILNS1_3genE0ELNS1_11target_archE4294967295ELNS1_3gpuE0ELNS1_3repE0EEENS1_30default_config_static_selectorELNS0_4arch9wavefront6targetE1EEEvT1_
		.amdhsa_group_segment_fixed_size 0
		.amdhsa_private_segment_fixed_size 0
		.amdhsa_kernarg_size 112
		.amdhsa_user_sgpr_count 2
		.amdhsa_user_sgpr_dispatch_ptr 0
		.amdhsa_user_sgpr_queue_ptr 0
		.amdhsa_user_sgpr_kernarg_segment_ptr 1
		.amdhsa_user_sgpr_dispatch_id 0
		.amdhsa_user_sgpr_kernarg_preload_length 0
		.amdhsa_user_sgpr_kernarg_preload_offset 0
		.amdhsa_user_sgpr_private_segment_size 0
		.amdhsa_uses_dynamic_stack 0
		.amdhsa_enable_private_segment 0
		.amdhsa_system_sgpr_workgroup_id_x 1
		.amdhsa_system_sgpr_workgroup_id_y 0
		.amdhsa_system_sgpr_workgroup_id_z 0
		.amdhsa_system_sgpr_workgroup_info 0
		.amdhsa_system_vgpr_workitem_id 0
		.amdhsa_next_free_vgpr 1
		.amdhsa_next_free_sgpr 0
		.amdhsa_accum_offset 4
		.amdhsa_reserve_vcc 0
		.amdhsa_float_round_mode_32 0
		.amdhsa_float_round_mode_16_64 0
		.amdhsa_float_denorm_mode_32 3
		.amdhsa_float_denorm_mode_16_64 3
		.amdhsa_dx10_clamp 1
		.amdhsa_ieee_mode 1
		.amdhsa_fp16_overflow 0
		.amdhsa_tg_split 0
		.amdhsa_exception_fp_ieee_invalid_op 0
		.amdhsa_exception_fp_denorm_src 0
		.amdhsa_exception_fp_ieee_div_zero 0
		.amdhsa_exception_fp_ieee_overflow 0
		.amdhsa_exception_fp_ieee_underflow 0
		.amdhsa_exception_fp_ieee_inexact 0
		.amdhsa_exception_int_div_zero 0
	.end_amdhsa_kernel
	.section	.text._ZN7rocprim17ROCPRIM_400000_NS6detail17trampoline_kernelINS0_14default_configENS1_27scan_by_key_config_selectorIijEEZZNS1_16scan_by_key_implILNS1_25lookback_scan_determinismE0ELb1ES3_N6thrust23THRUST_200600_302600_NS6detail15normal_iteratorINS9_10device_ptrIiEEEENSB_INSC_IjEEEESG_jNS9_4plusIvEENS9_8equal_toIvEEjEE10hipError_tPvRmT2_T3_T4_T5_mT6_T7_P12ihipStream_tbENKUlT_T0_E_clISt17integral_constantIbLb1EES11_EEDaSW_SX_EUlSW_E_NS1_11comp_targetILNS1_3genE0ELNS1_11target_archE4294967295ELNS1_3gpuE0ELNS1_3repE0EEENS1_30default_config_static_selectorELNS0_4arch9wavefront6targetE1EEEvT1_,"axG",@progbits,_ZN7rocprim17ROCPRIM_400000_NS6detail17trampoline_kernelINS0_14default_configENS1_27scan_by_key_config_selectorIijEEZZNS1_16scan_by_key_implILNS1_25lookback_scan_determinismE0ELb1ES3_N6thrust23THRUST_200600_302600_NS6detail15normal_iteratorINS9_10device_ptrIiEEEENSB_INSC_IjEEEESG_jNS9_4plusIvEENS9_8equal_toIvEEjEE10hipError_tPvRmT2_T3_T4_T5_mT6_T7_P12ihipStream_tbENKUlT_T0_E_clISt17integral_constantIbLb1EES11_EEDaSW_SX_EUlSW_E_NS1_11comp_targetILNS1_3genE0ELNS1_11target_archE4294967295ELNS1_3gpuE0ELNS1_3repE0EEENS1_30default_config_static_selectorELNS0_4arch9wavefront6targetE1EEEvT1_,comdat
.Lfunc_end1508:
	.size	_ZN7rocprim17ROCPRIM_400000_NS6detail17trampoline_kernelINS0_14default_configENS1_27scan_by_key_config_selectorIijEEZZNS1_16scan_by_key_implILNS1_25lookback_scan_determinismE0ELb1ES3_N6thrust23THRUST_200600_302600_NS6detail15normal_iteratorINS9_10device_ptrIiEEEENSB_INSC_IjEEEESG_jNS9_4plusIvEENS9_8equal_toIvEEjEE10hipError_tPvRmT2_T3_T4_T5_mT6_T7_P12ihipStream_tbENKUlT_T0_E_clISt17integral_constantIbLb1EES11_EEDaSW_SX_EUlSW_E_NS1_11comp_targetILNS1_3genE0ELNS1_11target_archE4294967295ELNS1_3gpuE0ELNS1_3repE0EEENS1_30default_config_static_selectorELNS0_4arch9wavefront6targetE1EEEvT1_, .Lfunc_end1508-_ZN7rocprim17ROCPRIM_400000_NS6detail17trampoline_kernelINS0_14default_configENS1_27scan_by_key_config_selectorIijEEZZNS1_16scan_by_key_implILNS1_25lookback_scan_determinismE0ELb1ES3_N6thrust23THRUST_200600_302600_NS6detail15normal_iteratorINS9_10device_ptrIiEEEENSB_INSC_IjEEEESG_jNS9_4plusIvEENS9_8equal_toIvEEjEE10hipError_tPvRmT2_T3_T4_T5_mT6_T7_P12ihipStream_tbENKUlT_T0_E_clISt17integral_constantIbLb1EES11_EEDaSW_SX_EUlSW_E_NS1_11comp_targetILNS1_3genE0ELNS1_11target_archE4294967295ELNS1_3gpuE0ELNS1_3repE0EEENS1_30default_config_static_selectorELNS0_4arch9wavefront6targetE1EEEvT1_
                                        ; -- End function
	.section	.AMDGPU.csdata,"",@progbits
; Kernel info:
; codeLenInByte = 0
; NumSgprs: 6
; NumVgprs: 0
; NumAgprs: 0
; TotalNumVgprs: 0
; ScratchSize: 0
; MemoryBound: 0
; FloatMode: 240
; IeeeMode: 1
; LDSByteSize: 0 bytes/workgroup (compile time only)
; SGPRBlocks: 0
; VGPRBlocks: 0
; NumSGPRsForWavesPerEU: 6
; NumVGPRsForWavesPerEU: 1
; AccumOffset: 4
; Occupancy: 8
; WaveLimiterHint : 0
; COMPUTE_PGM_RSRC2:SCRATCH_EN: 0
; COMPUTE_PGM_RSRC2:USER_SGPR: 2
; COMPUTE_PGM_RSRC2:TRAP_HANDLER: 0
; COMPUTE_PGM_RSRC2:TGID_X_EN: 1
; COMPUTE_PGM_RSRC2:TGID_Y_EN: 0
; COMPUTE_PGM_RSRC2:TGID_Z_EN: 0
; COMPUTE_PGM_RSRC2:TIDIG_COMP_CNT: 0
; COMPUTE_PGM_RSRC3_GFX90A:ACCUM_OFFSET: 0
; COMPUTE_PGM_RSRC3_GFX90A:TG_SPLIT: 0
	.section	.text._ZN7rocprim17ROCPRIM_400000_NS6detail17trampoline_kernelINS0_14default_configENS1_27scan_by_key_config_selectorIijEEZZNS1_16scan_by_key_implILNS1_25lookback_scan_determinismE0ELb1ES3_N6thrust23THRUST_200600_302600_NS6detail15normal_iteratorINS9_10device_ptrIiEEEENSB_INSC_IjEEEESG_jNS9_4plusIvEENS9_8equal_toIvEEjEE10hipError_tPvRmT2_T3_T4_T5_mT6_T7_P12ihipStream_tbENKUlT_T0_E_clISt17integral_constantIbLb1EES11_EEDaSW_SX_EUlSW_E_NS1_11comp_targetILNS1_3genE10ELNS1_11target_archE1201ELNS1_3gpuE5ELNS1_3repE0EEENS1_30default_config_static_selectorELNS0_4arch9wavefront6targetE1EEEvT1_,"axG",@progbits,_ZN7rocprim17ROCPRIM_400000_NS6detail17trampoline_kernelINS0_14default_configENS1_27scan_by_key_config_selectorIijEEZZNS1_16scan_by_key_implILNS1_25lookback_scan_determinismE0ELb1ES3_N6thrust23THRUST_200600_302600_NS6detail15normal_iteratorINS9_10device_ptrIiEEEENSB_INSC_IjEEEESG_jNS9_4plusIvEENS9_8equal_toIvEEjEE10hipError_tPvRmT2_T3_T4_T5_mT6_T7_P12ihipStream_tbENKUlT_T0_E_clISt17integral_constantIbLb1EES11_EEDaSW_SX_EUlSW_E_NS1_11comp_targetILNS1_3genE10ELNS1_11target_archE1201ELNS1_3gpuE5ELNS1_3repE0EEENS1_30default_config_static_selectorELNS0_4arch9wavefront6targetE1EEEvT1_,comdat
	.protected	_ZN7rocprim17ROCPRIM_400000_NS6detail17trampoline_kernelINS0_14default_configENS1_27scan_by_key_config_selectorIijEEZZNS1_16scan_by_key_implILNS1_25lookback_scan_determinismE0ELb1ES3_N6thrust23THRUST_200600_302600_NS6detail15normal_iteratorINS9_10device_ptrIiEEEENSB_INSC_IjEEEESG_jNS9_4plusIvEENS9_8equal_toIvEEjEE10hipError_tPvRmT2_T3_T4_T5_mT6_T7_P12ihipStream_tbENKUlT_T0_E_clISt17integral_constantIbLb1EES11_EEDaSW_SX_EUlSW_E_NS1_11comp_targetILNS1_3genE10ELNS1_11target_archE1201ELNS1_3gpuE5ELNS1_3repE0EEENS1_30default_config_static_selectorELNS0_4arch9wavefront6targetE1EEEvT1_ ; -- Begin function _ZN7rocprim17ROCPRIM_400000_NS6detail17trampoline_kernelINS0_14default_configENS1_27scan_by_key_config_selectorIijEEZZNS1_16scan_by_key_implILNS1_25lookback_scan_determinismE0ELb1ES3_N6thrust23THRUST_200600_302600_NS6detail15normal_iteratorINS9_10device_ptrIiEEEENSB_INSC_IjEEEESG_jNS9_4plusIvEENS9_8equal_toIvEEjEE10hipError_tPvRmT2_T3_T4_T5_mT6_T7_P12ihipStream_tbENKUlT_T0_E_clISt17integral_constantIbLb1EES11_EEDaSW_SX_EUlSW_E_NS1_11comp_targetILNS1_3genE10ELNS1_11target_archE1201ELNS1_3gpuE5ELNS1_3repE0EEENS1_30default_config_static_selectorELNS0_4arch9wavefront6targetE1EEEvT1_
	.globl	_ZN7rocprim17ROCPRIM_400000_NS6detail17trampoline_kernelINS0_14default_configENS1_27scan_by_key_config_selectorIijEEZZNS1_16scan_by_key_implILNS1_25lookback_scan_determinismE0ELb1ES3_N6thrust23THRUST_200600_302600_NS6detail15normal_iteratorINS9_10device_ptrIiEEEENSB_INSC_IjEEEESG_jNS9_4plusIvEENS9_8equal_toIvEEjEE10hipError_tPvRmT2_T3_T4_T5_mT6_T7_P12ihipStream_tbENKUlT_T0_E_clISt17integral_constantIbLb1EES11_EEDaSW_SX_EUlSW_E_NS1_11comp_targetILNS1_3genE10ELNS1_11target_archE1201ELNS1_3gpuE5ELNS1_3repE0EEENS1_30default_config_static_selectorELNS0_4arch9wavefront6targetE1EEEvT1_
	.p2align	8
	.type	_ZN7rocprim17ROCPRIM_400000_NS6detail17trampoline_kernelINS0_14default_configENS1_27scan_by_key_config_selectorIijEEZZNS1_16scan_by_key_implILNS1_25lookback_scan_determinismE0ELb1ES3_N6thrust23THRUST_200600_302600_NS6detail15normal_iteratorINS9_10device_ptrIiEEEENSB_INSC_IjEEEESG_jNS9_4plusIvEENS9_8equal_toIvEEjEE10hipError_tPvRmT2_T3_T4_T5_mT6_T7_P12ihipStream_tbENKUlT_T0_E_clISt17integral_constantIbLb1EES11_EEDaSW_SX_EUlSW_E_NS1_11comp_targetILNS1_3genE10ELNS1_11target_archE1201ELNS1_3gpuE5ELNS1_3repE0EEENS1_30default_config_static_selectorELNS0_4arch9wavefront6targetE1EEEvT1_,@function
_ZN7rocprim17ROCPRIM_400000_NS6detail17trampoline_kernelINS0_14default_configENS1_27scan_by_key_config_selectorIijEEZZNS1_16scan_by_key_implILNS1_25lookback_scan_determinismE0ELb1ES3_N6thrust23THRUST_200600_302600_NS6detail15normal_iteratorINS9_10device_ptrIiEEEENSB_INSC_IjEEEESG_jNS9_4plusIvEENS9_8equal_toIvEEjEE10hipError_tPvRmT2_T3_T4_T5_mT6_T7_P12ihipStream_tbENKUlT_T0_E_clISt17integral_constantIbLb1EES11_EEDaSW_SX_EUlSW_E_NS1_11comp_targetILNS1_3genE10ELNS1_11target_archE1201ELNS1_3gpuE5ELNS1_3repE0EEENS1_30default_config_static_selectorELNS0_4arch9wavefront6targetE1EEEvT1_: ; @_ZN7rocprim17ROCPRIM_400000_NS6detail17trampoline_kernelINS0_14default_configENS1_27scan_by_key_config_selectorIijEEZZNS1_16scan_by_key_implILNS1_25lookback_scan_determinismE0ELb1ES3_N6thrust23THRUST_200600_302600_NS6detail15normal_iteratorINS9_10device_ptrIiEEEENSB_INSC_IjEEEESG_jNS9_4plusIvEENS9_8equal_toIvEEjEE10hipError_tPvRmT2_T3_T4_T5_mT6_T7_P12ihipStream_tbENKUlT_T0_E_clISt17integral_constantIbLb1EES11_EEDaSW_SX_EUlSW_E_NS1_11comp_targetILNS1_3genE10ELNS1_11target_archE1201ELNS1_3gpuE5ELNS1_3repE0EEENS1_30default_config_static_selectorELNS0_4arch9wavefront6targetE1EEEvT1_
; %bb.0:
	.section	.rodata,"a",@progbits
	.p2align	6, 0x0
	.amdhsa_kernel _ZN7rocprim17ROCPRIM_400000_NS6detail17trampoline_kernelINS0_14default_configENS1_27scan_by_key_config_selectorIijEEZZNS1_16scan_by_key_implILNS1_25lookback_scan_determinismE0ELb1ES3_N6thrust23THRUST_200600_302600_NS6detail15normal_iteratorINS9_10device_ptrIiEEEENSB_INSC_IjEEEESG_jNS9_4plusIvEENS9_8equal_toIvEEjEE10hipError_tPvRmT2_T3_T4_T5_mT6_T7_P12ihipStream_tbENKUlT_T0_E_clISt17integral_constantIbLb1EES11_EEDaSW_SX_EUlSW_E_NS1_11comp_targetILNS1_3genE10ELNS1_11target_archE1201ELNS1_3gpuE5ELNS1_3repE0EEENS1_30default_config_static_selectorELNS0_4arch9wavefront6targetE1EEEvT1_
		.amdhsa_group_segment_fixed_size 0
		.amdhsa_private_segment_fixed_size 0
		.amdhsa_kernarg_size 112
		.amdhsa_user_sgpr_count 2
		.amdhsa_user_sgpr_dispatch_ptr 0
		.amdhsa_user_sgpr_queue_ptr 0
		.amdhsa_user_sgpr_kernarg_segment_ptr 1
		.amdhsa_user_sgpr_dispatch_id 0
		.amdhsa_user_sgpr_kernarg_preload_length 0
		.amdhsa_user_sgpr_kernarg_preload_offset 0
		.amdhsa_user_sgpr_private_segment_size 0
		.amdhsa_uses_dynamic_stack 0
		.amdhsa_enable_private_segment 0
		.amdhsa_system_sgpr_workgroup_id_x 1
		.amdhsa_system_sgpr_workgroup_id_y 0
		.amdhsa_system_sgpr_workgroup_id_z 0
		.amdhsa_system_sgpr_workgroup_info 0
		.amdhsa_system_vgpr_workitem_id 0
		.amdhsa_next_free_vgpr 1
		.amdhsa_next_free_sgpr 0
		.amdhsa_accum_offset 4
		.amdhsa_reserve_vcc 0
		.amdhsa_float_round_mode_32 0
		.amdhsa_float_round_mode_16_64 0
		.amdhsa_float_denorm_mode_32 3
		.amdhsa_float_denorm_mode_16_64 3
		.amdhsa_dx10_clamp 1
		.amdhsa_ieee_mode 1
		.amdhsa_fp16_overflow 0
		.amdhsa_tg_split 0
		.amdhsa_exception_fp_ieee_invalid_op 0
		.amdhsa_exception_fp_denorm_src 0
		.amdhsa_exception_fp_ieee_div_zero 0
		.amdhsa_exception_fp_ieee_overflow 0
		.amdhsa_exception_fp_ieee_underflow 0
		.amdhsa_exception_fp_ieee_inexact 0
		.amdhsa_exception_int_div_zero 0
	.end_amdhsa_kernel
	.section	.text._ZN7rocprim17ROCPRIM_400000_NS6detail17trampoline_kernelINS0_14default_configENS1_27scan_by_key_config_selectorIijEEZZNS1_16scan_by_key_implILNS1_25lookback_scan_determinismE0ELb1ES3_N6thrust23THRUST_200600_302600_NS6detail15normal_iteratorINS9_10device_ptrIiEEEENSB_INSC_IjEEEESG_jNS9_4plusIvEENS9_8equal_toIvEEjEE10hipError_tPvRmT2_T3_T4_T5_mT6_T7_P12ihipStream_tbENKUlT_T0_E_clISt17integral_constantIbLb1EES11_EEDaSW_SX_EUlSW_E_NS1_11comp_targetILNS1_3genE10ELNS1_11target_archE1201ELNS1_3gpuE5ELNS1_3repE0EEENS1_30default_config_static_selectorELNS0_4arch9wavefront6targetE1EEEvT1_,"axG",@progbits,_ZN7rocprim17ROCPRIM_400000_NS6detail17trampoline_kernelINS0_14default_configENS1_27scan_by_key_config_selectorIijEEZZNS1_16scan_by_key_implILNS1_25lookback_scan_determinismE0ELb1ES3_N6thrust23THRUST_200600_302600_NS6detail15normal_iteratorINS9_10device_ptrIiEEEENSB_INSC_IjEEEESG_jNS9_4plusIvEENS9_8equal_toIvEEjEE10hipError_tPvRmT2_T3_T4_T5_mT6_T7_P12ihipStream_tbENKUlT_T0_E_clISt17integral_constantIbLb1EES11_EEDaSW_SX_EUlSW_E_NS1_11comp_targetILNS1_3genE10ELNS1_11target_archE1201ELNS1_3gpuE5ELNS1_3repE0EEENS1_30default_config_static_selectorELNS0_4arch9wavefront6targetE1EEEvT1_,comdat
.Lfunc_end1509:
	.size	_ZN7rocprim17ROCPRIM_400000_NS6detail17trampoline_kernelINS0_14default_configENS1_27scan_by_key_config_selectorIijEEZZNS1_16scan_by_key_implILNS1_25lookback_scan_determinismE0ELb1ES3_N6thrust23THRUST_200600_302600_NS6detail15normal_iteratorINS9_10device_ptrIiEEEENSB_INSC_IjEEEESG_jNS9_4plusIvEENS9_8equal_toIvEEjEE10hipError_tPvRmT2_T3_T4_T5_mT6_T7_P12ihipStream_tbENKUlT_T0_E_clISt17integral_constantIbLb1EES11_EEDaSW_SX_EUlSW_E_NS1_11comp_targetILNS1_3genE10ELNS1_11target_archE1201ELNS1_3gpuE5ELNS1_3repE0EEENS1_30default_config_static_selectorELNS0_4arch9wavefront6targetE1EEEvT1_, .Lfunc_end1509-_ZN7rocprim17ROCPRIM_400000_NS6detail17trampoline_kernelINS0_14default_configENS1_27scan_by_key_config_selectorIijEEZZNS1_16scan_by_key_implILNS1_25lookback_scan_determinismE0ELb1ES3_N6thrust23THRUST_200600_302600_NS6detail15normal_iteratorINS9_10device_ptrIiEEEENSB_INSC_IjEEEESG_jNS9_4plusIvEENS9_8equal_toIvEEjEE10hipError_tPvRmT2_T3_T4_T5_mT6_T7_P12ihipStream_tbENKUlT_T0_E_clISt17integral_constantIbLb1EES11_EEDaSW_SX_EUlSW_E_NS1_11comp_targetILNS1_3genE10ELNS1_11target_archE1201ELNS1_3gpuE5ELNS1_3repE0EEENS1_30default_config_static_selectorELNS0_4arch9wavefront6targetE1EEEvT1_
                                        ; -- End function
	.section	.AMDGPU.csdata,"",@progbits
; Kernel info:
; codeLenInByte = 0
; NumSgprs: 6
; NumVgprs: 0
; NumAgprs: 0
; TotalNumVgprs: 0
; ScratchSize: 0
; MemoryBound: 0
; FloatMode: 240
; IeeeMode: 1
; LDSByteSize: 0 bytes/workgroup (compile time only)
; SGPRBlocks: 0
; VGPRBlocks: 0
; NumSGPRsForWavesPerEU: 6
; NumVGPRsForWavesPerEU: 1
; AccumOffset: 4
; Occupancy: 8
; WaveLimiterHint : 0
; COMPUTE_PGM_RSRC2:SCRATCH_EN: 0
; COMPUTE_PGM_RSRC2:USER_SGPR: 2
; COMPUTE_PGM_RSRC2:TRAP_HANDLER: 0
; COMPUTE_PGM_RSRC2:TGID_X_EN: 1
; COMPUTE_PGM_RSRC2:TGID_Y_EN: 0
; COMPUTE_PGM_RSRC2:TGID_Z_EN: 0
; COMPUTE_PGM_RSRC2:TIDIG_COMP_CNT: 0
; COMPUTE_PGM_RSRC3_GFX90A:ACCUM_OFFSET: 0
; COMPUTE_PGM_RSRC3_GFX90A:TG_SPLIT: 0
	.section	.text._ZN7rocprim17ROCPRIM_400000_NS6detail17trampoline_kernelINS0_14default_configENS1_27scan_by_key_config_selectorIijEEZZNS1_16scan_by_key_implILNS1_25lookback_scan_determinismE0ELb1ES3_N6thrust23THRUST_200600_302600_NS6detail15normal_iteratorINS9_10device_ptrIiEEEENSB_INSC_IjEEEESG_jNS9_4plusIvEENS9_8equal_toIvEEjEE10hipError_tPvRmT2_T3_T4_T5_mT6_T7_P12ihipStream_tbENKUlT_T0_E_clISt17integral_constantIbLb1EES11_EEDaSW_SX_EUlSW_E_NS1_11comp_targetILNS1_3genE5ELNS1_11target_archE942ELNS1_3gpuE9ELNS1_3repE0EEENS1_30default_config_static_selectorELNS0_4arch9wavefront6targetE1EEEvT1_,"axG",@progbits,_ZN7rocprim17ROCPRIM_400000_NS6detail17trampoline_kernelINS0_14default_configENS1_27scan_by_key_config_selectorIijEEZZNS1_16scan_by_key_implILNS1_25lookback_scan_determinismE0ELb1ES3_N6thrust23THRUST_200600_302600_NS6detail15normal_iteratorINS9_10device_ptrIiEEEENSB_INSC_IjEEEESG_jNS9_4plusIvEENS9_8equal_toIvEEjEE10hipError_tPvRmT2_T3_T4_T5_mT6_T7_P12ihipStream_tbENKUlT_T0_E_clISt17integral_constantIbLb1EES11_EEDaSW_SX_EUlSW_E_NS1_11comp_targetILNS1_3genE5ELNS1_11target_archE942ELNS1_3gpuE9ELNS1_3repE0EEENS1_30default_config_static_selectorELNS0_4arch9wavefront6targetE1EEEvT1_,comdat
	.protected	_ZN7rocprim17ROCPRIM_400000_NS6detail17trampoline_kernelINS0_14default_configENS1_27scan_by_key_config_selectorIijEEZZNS1_16scan_by_key_implILNS1_25lookback_scan_determinismE0ELb1ES3_N6thrust23THRUST_200600_302600_NS6detail15normal_iteratorINS9_10device_ptrIiEEEENSB_INSC_IjEEEESG_jNS9_4plusIvEENS9_8equal_toIvEEjEE10hipError_tPvRmT2_T3_T4_T5_mT6_T7_P12ihipStream_tbENKUlT_T0_E_clISt17integral_constantIbLb1EES11_EEDaSW_SX_EUlSW_E_NS1_11comp_targetILNS1_3genE5ELNS1_11target_archE942ELNS1_3gpuE9ELNS1_3repE0EEENS1_30default_config_static_selectorELNS0_4arch9wavefront6targetE1EEEvT1_ ; -- Begin function _ZN7rocprim17ROCPRIM_400000_NS6detail17trampoline_kernelINS0_14default_configENS1_27scan_by_key_config_selectorIijEEZZNS1_16scan_by_key_implILNS1_25lookback_scan_determinismE0ELb1ES3_N6thrust23THRUST_200600_302600_NS6detail15normal_iteratorINS9_10device_ptrIiEEEENSB_INSC_IjEEEESG_jNS9_4plusIvEENS9_8equal_toIvEEjEE10hipError_tPvRmT2_T3_T4_T5_mT6_T7_P12ihipStream_tbENKUlT_T0_E_clISt17integral_constantIbLb1EES11_EEDaSW_SX_EUlSW_E_NS1_11comp_targetILNS1_3genE5ELNS1_11target_archE942ELNS1_3gpuE9ELNS1_3repE0EEENS1_30default_config_static_selectorELNS0_4arch9wavefront6targetE1EEEvT1_
	.globl	_ZN7rocprim17ROCPRIM_400000_NS6detail17trampoline_kernelINS0_14default_configENS1_27scan_by_key_config_selectorIijEEZZNS1_16scan_by_key_implILNS1_25lookback_scan_determinismE0ELb1ES3_N6thrust23THRUST_200600_302600_NS6detail15normal_iteratorINS9_10device_ptrIiEEEENSB_INSC_IjEEEESG_jNS9_4plusIvEENS9_8equal_toIvEEjEE10hipError_tPvRmT2_T3_T4_T5_mT6_T7_P12ihipStream_tbENKUlT_T0_E_clISt17integral_constantIbLb1EES11_EEDaSW_SX_EUlSW_E_NS1_11comp_targetILNS1_3genE5ELNS1_11target_archE942ELNS1_3gpuE9ELNS1_3repE0EEENS1_30default_config_static_selectorELNS0_4arch9wavefront6targetE1EEEvT1_
	.p2align	8
	.type	_ZN7rocprim17ROCPRIM_400000_NS6detail17trampoline_kernelINS0_14default_configENS1_27scan_by_key_config_selectorIijEEZZNS1_16scan_by_key_implILNS1_25lookback_scan_determinismE0ELb1ES3_N6thrust23THRUST_200600_302600_NS6detail15normal_iteratorINS9_10device_ptrIiEEEENSB_INSC_IjEEEESG_jNS9_4plusIvEENS9_8equal_toIvEEjEE10hipError_tPvRmT2_T3_T4_T5_mT6_T7_P12ihipStream_tbENKUlT_T0_E_clISt17integral_constantIbLb1EES11_EEDaSW_SX_EUlSW_E_NS1_11comp_targetILNS1_3genE5ELNS1_11target_archE942ELNS1_3gpuE9ELNS1_3repE0EEENS1_30default_config_static_selectorELNS0_4arch9wavefront6targetE1EEEvT1_,@function
_ZN7rocprim17ROCPRIM_400000_NS6detail17trampoline_kernelINS0_14default_configENS1_27scan_by_key_config_selectorIijEEZZNS1_16scan_by_key_implILNS1_25lookback_scan_determinismE0ELb1ES3_N6thrust23THRUST_200600_302600_NS6detail15normal_iteratorINS9_10device_ptrIiEEEENSB_INSC_IjEEEESG_jNS9_4plusIvEENS9_8equal_toIvEEjEE10hipError_tPvRmT2_T3_T4_T5_mT6_T7_P12ihipStream_tbENKUlT_T0_E_clISt17integral_constantIbLb1EES11_EEDaSW_SX_EUlSW_E_NS1_11comp_targetILNS1_3genE5ELNS1_11target_archE942ELNS1_3gpuE9ELNS1_3repE0EEENS1_30default_config_static_selectorELNS0_4arch9wavefront6targetE1EEEvT1_: ; @_ZN7rocprim17ROCPRIM_400000_NS6detail17trampoline_kernelINS0_14default_configENS1_27scan_by_key_config_selectorIijEEZZNS1_16scan_by_key_implILNS1_25lookback_scan_determinismE0ELb1ES3_N6thrust23THRUST_200600_302600_NS6detail15normal_iteratorINS9_10device_ptrIiEEEENSB_INSC_IjEEEESG_jNS9_4plusIvEENS9_8equal_toIvEEjEE10hipError_tPvRmT2_T3_T4_T5_mT6_T7_P12ihipStream_tbENKUlT_T0_E_clISt17integral_constantIbLb1EES11_EEDaSW_SX_EUlSW_E_NS1_11comp_targetILNS1_3genE5ELNS1_11target_archE942ELNS1_3gpuE9ELNS1_3repE0EEENS1_30default_config_static_selectorELNS0_4arch9wavefront6targetE1EEEvT1_
; %bb.0:
	s_load_dword s74, s[0:1], 0x20
	s_load_dwordx4 s[64:67], s[0:1], 0x28
	s_load_dwordx2 s[72:73], s[0:1], 0x38
	v_cmp_ne_u32_e64 s[4:5], 0, v0
	v_cmp_eq_u32_e64 s[52:53], 0, v0
	s_and_saveexec_b64 s[2:3], s[52:53]
	s_cbranch_execz .LBB1510_4
; %bb.1:
	s_mov_b64 s[8:9], exec
	v_mbcnt_lo_u32_b32 v1, s8, 0
	v_mbcnt_hi_u32_b32 v1, s9, v1
	v_cmp_eq_u32_e32 vcc, 0, v1
                                        ; implicit-def: $vgpr2
	s_and_saveexec_b64 s[6:7], vcc
	s_cbranch_execz .LBB1510_3
; %bb.2:
	s_load_dwordx2 s[10:11], s[0:1], 0x68
	s_bcnt1_i32_b64 s8, s[8:9]
	v_mov_b32_e32 v2, 0
	v_mov_b32_e32 v3, s8
	s_waitcnt lgkmcnt(0)
	global_atomic_add v2, v2, v3, s[10:11] sc0
.LBB1510_3:
	s_or_b64 exec, exec, s[6:7]
	s_waitcnt vmcnt(0)
	v_readfirstlane_b32 s6, v2
	v_mov_b32_e32 v2, 0
	s_nop 0
	v_add_u32_e32 v1, s6, v1
	ds_write_b32 v2, v1
.LBB1510_4:
	s_or_b64 exec, exec, s[2:3]
	s_load_dwordx8 s[56:63], s[0:1], 0x0
	s_load_dword s2, s[0:1], 0x40
	s_load_dwordx4 s[68:71], s[0:1], 0x48
	v_mov_b32_e32 v7, 0
	s_waitcnt lgkmcnt(0)
	s_lshl_b64 s[54:55], s[58:59], 2
	s_barrier
	ds_read_b32 v6, v7
	s_add_u32 s0, s56, s54
	s_addc_u32 s1, s57, s55
	s_add_u32 s6, s60, s54
	s_mul_i32 s3, s73, s2
	s_mul_hi_u32 s8, s72, s2
	s_addc_u32 s7, s61, s55
	s_add_i32 s3, s8, s3
	s_movk_i32 s8, 0x1700
	s_waitcnt lgkmcnt(0)
	v_mul_lo_u32 v2, v6, s8
	v_mov_b32_e32 v3, v7
	v_lshlrev_b64 v[10:11], 2, v[2:3]
	s_mul_i32 s2, s72, s2
	v_lshl_add_u64 v[2:3], s[6:7], 0, v[10:11]
	s_add_u32 s6, s68, -1
	v_readfirstlane_b32 s67, v6
	v_lshl_add_u64 v[6:7], s[2:3], 0, v[6:7]
	s_addc_u32 s7, s69, -1
	v_cmp_le_u64_e64 s[2:3], s[6:7], v[6:7]
	v_lshl_add_u64 v[4:5], s[0:1], 0, v[10:11]
	s_mov_b64 s[0:1], -1
	s_and_b64 vcc, exec, s[2:3]
	s_mul_i32 s33, s6, 0xffffe900
	s_barrier
	s_barrier
	s_cbranch_vccz .LBB1510_75
; %bb.5:
	flat_load_dword v1, v[4:5]
	s_add_i32 s60, s33, s66
	v_cmp_gt_u32_e32 vcc, s60, v0
	s_waitcnt vmcnt(0) lgkmcnt(0)
	v_mov_b32_e32 v7, v1
	s_and_saveexec_b64 s[0:1], vcc
	s_cbranch_execz .LBB1510_7
; %bb.6:
	v_lshlrev_b32_e32 v6, 2, v0
	v_mov_b32_e32 v7, 0
	v_lshl_add_u64 v[6:7], v[4:5], 0, v[6:7]
	flat_load_dword v7, v[6:7]
.LBB1510_7:
	s_or_b64 exec, exec, s[0:1]
	v_or_b32_e32 v6, 0x100, v0
	v_cmp_gt_u32_e64 s[6:7], s60, v6
	v_mov_b32_e32 v8, v1
	s_and_saveexec_b64 s[0:1], s[6:7]
	s_cbranch_execz .LBB1510_9
; %bb.8:
	v_lshlrev_b32_e32 v8, 2, v0
	v_mov_b32_e32 v9, 0
	v_lshl_add_u64 v[8:9], v[4:5], 0, v[8:9]
	flat_load_dword v8, v[8:9] offset:1024
.LBB1510_9:
	s_or_b64 exec, exec, s[0:1]
	v_or_b32_e32 v6, 0x200, v0
	v_cmp_gt_u32_e64 s[8:9], s60, v6
	v_mov_b32_e32 v9, v1
	s_and_saveexec_b64 s[0:1], s[8:9]
	s_cbranch_execz .LBB1510_11
; %bb.10:
	v_lshlrev_b32_e32 v12, 2, v0
	v_mov_b32_e32 v13, 0
	v_lshl_add_u64 v[12:13], v[4:5], 0, v[12:13]
	flat_load_dword v9, v[12:13] offset:2048
.LBB1510_11:
	;; [unrolled: 12-line block ×3, first 2 shown]
	s_or_b64 exec, exec, s[0:1]
	v_or_b32_e32 v12, 0x400, v0
	v_cmp_gt_u32_e64 s[12:13], s60, v12
	v_mov_b32_e32 v32, v1
	s_and_saveexec_b64 s[0:1], s[12:13]
	s_cbranch_execz .LBB1510_15
; %bb.14:
	v_lshlrev_b32_e32 v14, 2, v12
	v_mov_b32_e32 v15, 0
	v_lshl_add_u64 v[14:15], v[4:5], 0, v[14:15]
	flat_load_dword v32, v[14:15]
.LBB1510_15:
	s_or_b64 exec, exec, s[0:1]
	v_or_b32_e32 v13, 0x500, v0
	v_cmp_gt_u32_e64 s[14:15], s60, v13
	v_mov_b32_e32 v33, v1
	s_and_saveexec_b64 s[0:1], s[14:15]
	s_cbranch_execz .LBB1510_17
; %bb.16:
	v_lshlrev_b32_e32 v14, 2, v13
	v_mov_b32_e32 v15, 0
	v_lshl_add_u64 v[14:15], v[4:5], 0, v[14:15]
	flat_load_dword v33, v[14:15]
.LBB1510_17:
	;; [unrolled: 12-line block ×18, first 2 shown]
	s_or_b64 exec, exec, s[0:1]
	v_or_b32_e32 v30, 0x1600, v0
	v_cmp_gt_u32_e64 s[50:51], s60, v30
	s_and_saveexec_b64 s[0:1], s[50:51]
	s_cbranch_execz .LBB1510_51
; %bb.50:
	v_lshlrev_b32_e32 v50, 2, v30
	v_mov_b32_e32 v51, 0
	v_lshl_add_u64 v[50:51], v[4:5], 0, v[50:51]
	flat_load_dword v1, v[50:51]
.LBB1510_51:
	s_or_b64 exec, exec, s[0:1]
	v_lshlrev_b32_e32 v6, 2, v0
	s_waitcnt vmcnt(0) lgkmcnt(0)
	ds_write2st64_b32 v6, v7, v8 offset1:4
	ds_write2st64_b32 v6, v9, v31 offset0:8 offset1:12
	ds_write2st64_b32 v6, v32, v33 offset0:16 offset1:20
	;; [unrolled: 1-line block ×10, first 2 shown]
	ds_write_b32 v6, v1 offset:22528
	s_waitcnt lgkmcnt(0)
	s_barrier
	flat_load_dword v1, v[4:5]
	s_movk_i32 s0, 0x58
	v_mad_u32_u24 v76, v0, s0, v6
	s_movk_i32 s0, 0xffa8
	v_mad_i32_i24 v7, v0, s0, v76
	s_movk_i32 s0, 0xff
	v_cmp_ne_u32_e64 s[0:1], s0, v0
	ds_read_b32 v78, v76
	ds_read2_b32 v[74:75], v76 offset0:1 offset1:2
	ds_read2_b32 v[72:73], v76 offset0:3 offset1:4
	;; [unrolled: 1-line block ×11, first 2 shown]
	s_waitcnt lgkmcnt(0)
	ds_write_b32 v7, v78 offset:24576
	s_waitcnt lgkmcnt(0)
	s_barrier
	s_and_saveexec_b64 s[56:57], s[0:1]
	s_cbranch_execz .LBB1510_53
; %bb.52:
	s_waitcnt vmcnt(0)
	ds_read_b32 v1, v6 offset:24580
.LBB1510_53:
	s_or_b64 exec, exec, s[56:57]
	v_mov_b32_e32 v7, 0
	s_waitcnt lgkmcnt(0)
	s_barrier
	s_waitcnt lgkmcnt(0)
                                        ; implicit-def: $vgpr31
	s_and_saveexec_b64 s[0:1], vcc
	s_cbranch_execz .LBB1510_76
; %bb.54:
	v_lshl_add_u64 v[32:33], v[2:3], 0, v[6:7]
	flat_load_dword v31, v[32:33]
	s_or_b64 exec, exec, s[0:1]
                                        ; implicit-def: $vgpr32
	s_and_saveexec_b64 s[0:1], s[6:7]
	s_cbranch_execnz .LBB1510_77
.LBB1510_55:
	s_or_b64 exec, exec, s[0:1]
                                        ; implicit-def: $vgpr33
	s_and_saveexec_b64 s[0:1], s[8:9]
	s_cbranch_execz .LBB1510_78
.LBB1510_56:
	v_mov_b32_e32 v7, 0
	v_lshl_add_u64 v[34:35], v[2:3], 0, v[6:7]
	flat_load_dword v33, v[34:35] offset:2048
	s_or_b64 exec, exec, s[0:1]
                                        ; implicit-def: $vgpr7
	s_and_saveexec_b64 s[0:1], s[10:11]
	s_cbranch_execnz .LBB1510_79
.LBB1510_57:
	s_or_b64 exec, exec, s[0:1]
                                        ; implicit-def: $vgpr34
	s_and_saveexec_b64 s[0:1], s[12:13]
	s_cbranch_execz .LBB1510_80
.LBB1510_58:
	v_lshlrev_b32_e32 v34, 2, v12
	v_mov_b32_e32 v35, 0
	v_lshl_add_u64 v[34:35], v[2:3], 0, v[34:35]
	flat_load_dword v34, v[34:35]
	s_or_b64 exec, exec, s[0:1]
                                        ; implicit-def: $vgpr12
	s_and_saveexec_b64 s[0:1], s[14:15]
	s_cbranch_execnz .LBB1510_81
.LBB1510_59:
	s_or_b64 exec, exec, s[0:1]
                                        ; implicit-def: $vgpr13
	s_and_saveexec_b64 s[0:1], s[16:17]
	s_cbranch_execz .LBB1510_82
.LBB1510_60:
	v_lshlrev_b32_e32 v36, 2, v14
	v_mov_b32_e32 v37, 0
	v_lshl_add_u64 v[36:37], v[2:3], 0, v[36:37]
	flat_load_dword v13, v[36:37]
	s_or_b64 exec, exec, s[0:1]
                                        ; implicit-def: $vgpr14
	s_and_saveexec_b64 s[0:1], s[18:19]
	s_cbranch_execnz .LBB1510_83
.LBB1510_61:
	s_or_b64 exec, exec, s[0:1]
                                        ; implicit-def: $vgpr15
	s_and_saveexec_b64 s[0:1], s[20:21]
	s_cbranch_execz .LBB1510_84
.LBB1510_62:
	v_lshlrev_b32_e32 v36, 2, v16
	v_mov_b32_e32 v37, 0
	v_lshl_add_u64 v[36:37], v[2:3], 0, v[36:37]
	flat_load_dword v15, v[36:37]
	s_or_b64 exec, exec, s[0:1]
                                        ; implicit-def: $vgpr16
	s_and_saveexec_b64 s[0:1], s[22:23]
	s_cbranch_execnz .LBB1510_85
.LBB1510_63:
	s_or_b64 exec, exec, s[0:1]
                                        ; implicit-def: $vgpr17
	s_and_saveexec_b64 s[0:1], s[24:25]
	s_cbranch_execz .LBB1510_86
.LBB1510_64:
	v_lshlrev_b32_e32 v36, 2, v18
	v_mov_b32_e32 v37, 0
	v_lshl_add_u64 v[36:37], v[2:3], 0, v[36:37]
	flat_load_dword v17, v[36:37]
	s_or_b64 exec, exec, s[0:1]
                                        ; implicit-def: $vgpr18
	s_and_saveexec_b64 s[0:1], s[26:27]
	s_cbranch_execnz .LBB1510_87
.LBB1510_65:
	s_or_b64 exec, exec, s[0:1]
                                        ; implicit-def: $vgpr19
	s_and_saveexec_b64 s[0:1], s[28:29]
	s_cbranch_execz .LBB1510_88
.LBB1510_66:
	v_lshlrev_b32_e32 v36, 2, v20
	v_mov_b32_e32 v37, 0
	v_lshl_add_u64 v[36:37], v[2:3], 0, v[36:37]
	flat_load_dword v19, v[36:37]
	s_or_b64 exec, exec, s[0:1]
                                        ; implicit-def: $vgpr20
	s_and_saveexec_b64 s[0:1], s[30:31]
	s_cbranch_execnz .LBB1510_89
.LBB1510_67:
	s_or_b64 exec, exec, s[0:1]
                                        ; implicit-def: $vgpr21
	s_and_saveexec_b64 s[0:1], s[34:35]
	s_cbranch_execz .LBB1510_90
.LBB1510_68:
	v_lshlrev_b32_e32 v36, 2, v22
	v_mov_b32_e32 v37, 0
	v_lshl_add_u64 v[36:37], v[2:3], 0, v[36:37]
	flat_load_dword v21, v[36:37]
	s_or_b64 exec, exec, s[0:1]
                                        ; implicit-def: $vgpr22
	s_and_saveexec_b64 s[0:1], s[36:37]
	s_cbranch_execnz .LBB1510_91
.LBB1510_69:
	s_or_b64 exec, exec, s[0:1]
                                        ; implicit-def: $vgpr23
	s_and_saveexec_b64 s[0:1], s[38:39]
	s_cbranch_execz .LBB1510_92
.LBB1510_70:
	v_lshlrev_b32_e32 v36, 2, v24
	v_mov_b32_e32 v37, 0
	v_lshl_add_u64 v[36:37], v[2:3], 0, v[36:37]
	flat_load_dword v23, v[36:37]
	s_or_b64 exec, exec, s[0:1]
                                        ; implicit-def: $vgpr24
	s_and_saveexec_b64 s[0:1], s[40:41]
	s_cbranch_execnz .LBB1510_93
.LBB1510_71:
	s_or_b64 exec, exec, s[0:1]
                                        ; implicit-def: $vgpr25
	s_and_saveexec_b64 s[0:1], s[42:43]
	s_cbranch_execz .LBB1510_94
.LBB1510_72:
	v_lshlrev_b32_e32 v36, 2, v26
	v_mov_b32_e32 v37, 0
	v_lshl_add_u64 v[36:37], v[2:3], 0, v[36:37]
	flat_load_dword v25, v[36:37]
	s_or_b64 exec, exec, s[0:1]
                                        ; implicit-def: $vgpr26
	s_and_saveexec_b64 s[0:1], s[44:45]
	s_cbranch_execnz .LBB1510_95
.LBB1510_73:
	s_or_b64 exec, exec, s[0:1]
                                        ; implicit-def: $vgpr27
	s_and_saveexec_b64 s[0:1], s[46:47]
	s_cbranch_execz .LBB1510_96
.LBB1510_74:
	v_lshlrev_b32_e32 v36, 2, v28
	v_mov_b32_e32 v37, 0
	v_lshl_add_u64 v[36:37], v[2:3], 0, v[36:37]
	flat_load_dword v27, v[36:37]
	s_or_b64 exec, exec, s[0:1]
                                        ; implicit-def: $vgpr28
	s_and_saveexec_b64 s[0:1], s[48:49]
	s_cbranch_execz .LBB1510_98
	s_branch .LBB1510_97
.LBB1510_75:
	s_mov_b64 s[10:11], 0
                                        ; implicit-def: $sgpr8_sgpr9
                                        ; implicit-def: $vgpr6
                                        ; implicit-def: $vgpr12_vgpr13
                                        ; implicit-def: $vgpr14_vgpr15
                                        ; implicit-def: $vgpr16_vgpr17
                                        ; implicit-def: $vgpr18_vgpr19
                                        ; implicit-def: $vgpr20_vgpr21
                                        ; implicit-def: $vgpr22_vgpr23
                                        ; implicit-def: $vgpr24_vgpr25
                                        ; implicit-def: $vgpr26_vgpr27
                                        ; implicit-def: $vgpr28_vgpr29
                                        ; implicit-def: $vgpr30_vgpr31
                                        ; implicit-def: $vgpr32_vgpr33
                                        ; implicit-def: $vgpr34_vgpr35
                                        ; implicit-def: $vgpr36_vgpr37
                                        ; implicit-def: $vgpr38_vgpr39
                                        ; implicit-def: $vgpr40_vgpr41
                                        ; implicit-def: $vgpr42_vgpr43
                                        ; implicit-def: $vgpr44_vgpr45
                                        ; implicit-def: $vgpr46_vgpr47
                                        ; implicit-def: $vgpr48_vgpr49
                                        ; implicit-def: $vgpr50_vgpr51
                                        ; implicit-def: $vgpr52_vgpr53
                                        ; implicit-def: $vgpr54_vgpr55
                                        ; implicit-def: $sgpr6_sgpr7
	s_and_b64 vcc, exec, s[0:1]
	v_lshlrev_b32_e32 v56, 2, v0
	s_cbranch_vccz .LBB1510_152
	s_branch .LBB1510_147
.LBB1510_76:
	s_or_b64 exec, exec, s[0:1]
                                        ; implicit-def: $vgpr32
	s_and_saveexec_b64 s[0:1], s[6:7]
	s_cbranch_execz .LBB1510_55
.LBB1510_77:
	v_mov_b32_e32 v7, 0
	v_lshl_add_u64 v[32:33], v[2:3], 0, v[6:7]
	flat_load_dword v32, v[32:33] offset:1024
	s_or_b64 exec, exec, s[0:1]
                                        ; implicit-def: $vgpr33
	s_and_saveexec_b64 s[0:1], s[8:9]
	s_cbranch_execnz .LBB1510_56
.LBB1510_78:
	s_or_b64 exec, exec, s[0:1]
                                        ; implicit-def: $vgpr7
	s_and_saveexec_b64 s[0:1], s[10:11]
	s_cbranch_execz .LBB1510_57
.LBB1510_79:
	v_mov_b32_e32 v7, 0
	v_lshl_add_u64 v[34:35], v[2:3], 0, v[6:7]
	flat_load_dword v7, v[34:35] offset:3072
	s_or_b64 exec, exec, s[0:1]
                                        ; implicit-def: $vgpr34
	s_and_saveexec_b64 s[0:1], s[12:13]
	s_cbranch_execnz .LBB1510_58
.LBB1510_80:
	s_or_b64 exec, exec, s[0:1]
                                        ; implicit-def: $vgpr12
	s_and_saveexec_b64 s[0:1], s[14:15]
	s_cbranch_execz .LBB1510_59
.LBB1510_81:
	v_lshlrev_b32_e32 v12, 2, v13
	v_mov_b32_e32 v13, 0
	v_lshl_add_u64 v[12:13], v[2:3], 0, v[12:13]
	flat_load_dword v12, v[12:13]
	s_or_b64 exec, exec, s[0:1]
                                        ; implicit-def: $vgpr13
	s_and_saveexec_b64 s[0:1], s[16:17]
	s_cbranch_execnz .LBB1510_60
.LBB1510_82:
	s_or_b64 exec, exec, s[0:1]
                                        ; implicit-def: $vgpr14
	s_and_saveexec_b64 s[0:1], s[18:19]
	s_cbranch_execz .LBB1510_61
.LBB1510_83:
	v_lshlrev_b32_e32 v14, 2, v15
	v_mov_b32_e32 v15, 0
	v_lshl_add_u64 v[14:15], v[2:3], 0, v[14:15]
	flat_load_dword v14, v[14:15]
	s_or_b64 exec, exec, s[0:1]
                                        ; implicit-def: $vgpr15
	s_and_saveexec_b64 s[0:1], s[20:21]
	s_cbranch_execnz .LBB1510_62
.LBB1510_84:
	s_or_b64 exec, exec, s[0:1]
                                        ; implicit-def: $vgpr16
	s_and_saveexec_b64 s[0:1], s[22:23]
	s_cbranch_execz .LBB1510_63
.LBB1510_85:
	v_lshlrev_b32_e32 v16, 2, v17
	v_mov_b32_e32 v17, 0
	v_lshl_add_u64 v[16:17], v[2:3], 0, v[16:17]
	flat_load_dword v16, v[16:17]
	s_or_b64 exec, exec, s[0:1]
                                        ; implicit-def: $vgpr17
	s_and_saveexec_b64 s[0:1], s[24:25]
	s_cbranch_execnz .LBB1510_64
.LBB1510_86:
	s_or_b64 exec, exec, s[0:1]
                                        ; implicit-def: $vgpr18
	s_and_saveexec_b64 s[0:1], s[26:27]
	s_cbranch_execz .LBB1510_65
.LBB1510_87:
	v_lshlrev_b32_e32 v18, 2, v19
	v_mov_b32_e32 v19, 0
	v_lshl_add_u64 v[18:19], v[2:3], 0, v[18:19]
	flat_load_dword v18, v[18:19]
	s_or_b64 exec, exec, s[0:1]
                                        ; implicit-def: $vgpr19
	s_and_saveexec_b64 s[0:1], s[28:29]
	s_cbranch_execnz .LBB1510_66
.LBB1510_88:
	s_or_b64 exec, exec, s[0:1]
                                        ; implicit-def: $vgpr20
	s_and_saveexec_b64 s[0:1], s[30:31]
	s_cbranch_execz .LBB1510_67
.LBB1510_89:
	v_lshlrev_b32_e32 v20, 2, v21
	v_mov_b32_e32 v21, 0
	v_lshl_add_u64 v[20:21], v[2:3], 0, v[20:21]
	flat_load_dword v20, v[20:21]
	s_or_b64 exec, exec, s[0:1]
                                        ; implicit-def: $vgpr21
	s_and_saveexec_b64 s[0:1], s[34:35]
	s_cbranch_execnz .LBB1510_68
.LBB1510_90:
	s_or_b64 exec, exec, s[0:1]
                                        ; implicit-def: $vgpr22
	s_and_saveexec_b64 s[0:1], s[36:37]
	s_cbranch_execz .LBB1510_69
.LBB1510_91:
	v_lshlrev_b32_e32 v22, 2, v23
	v_mov_b32_e32 v23, 0
	v_lshl_add_u64 v[22:23], v[2:3], 0, v[22:23]
	flat_load_dword v22, v[22:23]
	s_or_b64 exec, exec, s[0:1]
                                        ; implicit-def: $vgpr23
	s_and_saveexec_b64 s[0:1], s[38:39]
	s_cbranch_execnz .LBB1510_70
.LBB1510_92:
	s_or_b64 exec, exec, s[0:1]
                                        ; implicit-def: $vgpr24
	s_and_saveexec_b64 s[0:1], s[40:41]
	s_cbranch_execz .LBB1510_71
.LBB1510_93:
	v_lshlrev_b32_e32 v24, 2, v25
	v_mov_b32_e32 v25, 0
	v_lshl_add_u64 v[24:25], v[2:3], 0, v[24:25]
	flat_load_dword v24, v[24:25]
	s_or_b64 exec, exec, s[0:1]
                                        ; implicit-def: $vgpr25
	s_and_saveexec_b64 s[0:1], s[42:43]
	s_cbranch_execnz .LBB1510_72
.LBB1510_94:
	s_or_b64 exec, exec, s[0:1]
                                        ; implicit-def: $vgpr26
	s_and_saveexec_b64 s[0:1], s[44:45]
	s_cbranch_execz .LBB1510_73
.LBB1510_95:
	v_lshlrev_b32_e32 v26, 2, v27
	v_mov_b32_e32 v27, 0
	v_lshl_add_u64 v[26:27], v[2:3], 0, v[26:27]
	flat_load_dword v26, v[26:27]
	s_or_b64 exec, exec, s[0:1]
                                        ; implicit-def: $vgpr27
	s_and_saveexec_b64 s[0:1], s[46:47]
	s_cbranch_execnz .LBB1510_74
.LBB1510_96:
	s_or_b64 exec, exec, s[0:1]
                                        ; implicit-def: $vgpr28
	s_and_saveexec_b64 s[0:1], s[48:49]
	s_cbranch_execz .LBB1510_98
.LBB1510_97:
	v_lshlrev_b32_e32 v28, 2, v29
	v_mov_b32_e32 v29, 0
	v_lshl_add_u64 v[28:29], v[2:3], 0, v[28:29]
	flat_load_dword v28, v[28:29]
.LBB1510_98:
	s_or_b64 exec, exec, s[0:1]
	v_mul_u32_u24_e32 v77, 23, v0
                                        ; implicit-def: $vgpr29
	s_and_saveexec_b64 s[0:1], s[50:51]
	s_cbranch_execz .LBB1510_100
; %bb.99:
	v_lshlrev_b32_e32 v36, 2, v30
	v_mov_b32_e32 v37, 0
	v_lshl_add_u64 v[36:37], v[2:3], 0, v[36:37]
	flat_load_dword v29, v[36:37]
.LBB1510_100:
	s_or_b64 exec, exec, s[0:1]
	s_waitcnt vmcnt(0) lgkmcnt(0)
	ds_write2st64_b32 v6, v31, v32 offset1:4
	ds_write2st64_b32 v6, v33, v7 offset0:8 offset1:12
	ds_write2st64_b32 v6, v34, v12 offset0:16 offset1:20
	;; [unrolled: 1-line block ×10, first 2 shown]
	ds_write_b32 v6, v29 offset:22528
	v_mov_b64_e32 v[12:13], 0
	v_cmp_gt_u32_e32 vcc, s60, v77
	s_mov_b64 s[10:11], 0
	s_mov_b64 s[0:1], 0
	v_mov_b64_e32 v[14:15], v[12:13]
	v_mov_b64_e32 v[16:17], v[12:13]
	;; [unrolled: 1-line block ×21, first 2 shown]
	s_waitcnt lgkmcnt(0)
	s_barrier
	s_waitcnt lgkmcnt(0)
                                        ; implicit-def: $sgpr8_sgpr9
                                        ; implicit-def: $vgpr6
	s_and_saveexec_b64 s[6:7], vcc
	s_cbranch_execz .LBB1510_146
; %bb.101:
	ds_read_b32 v6, v76
	v_mov_b32_e32 v12, s74
	v_cmp_eq_u32_e32 vcc, v78, v74
	v_add_u32_e32 v7, 1, v77
	v_mov_b64_e32 v[14:15], 0
	s_waitcnt lgkmcnt(0)
	v_cndmask_b32_e32 v12, v12, v6, vcc
	v_cmp_ne_u32_e32 vcc, v78, v74
	s_mov_b64 s[12:13], 0
	v_mov_b64_e32 v[16:17], v[14:15]
	v_cndmask_b32_e64 v13, 0, 1, vcc
	v_cmp_gt_u32_e32 vcc, s60, v7
	v_mov_b64_e32 v[18:19], v[14:15]
	v_mov_b64_e32 v[20:21], v[14:15]
	v_mov_b64_e32 v[22:23], v[14:15]
	v_mov_b64_e32 v[24:25], v[14:15]
	v_mov_b64_e32 v[26:27], v[14:15]
	v_mov_b64_e32 v[28:29], v[14:15]
	v_mov_b64_e32 v[30:31], v[14:15]
	v_mov_b64_e32 v[32:33], v[14:15]
	v_mov_b64_e32 v[34:35], v[14:15]
	v_mov_b64_e32 v[36:37], v[14:15]
	v_mov_b64_e32 v[38:39], v[14:15]
	v_mov_b64_e32 v[40:41], v[14:15]
	v_mov_b64_e32 v[42:43], v[14:15]
	v_mov_b64_e32 v[44:45], v[14:15]
	v_mov_b64_e32 v[46:47], v[14:15]
	v_mov_b64_e32 v[48:49], v[14:15]
	v_mov_b64_e32 v[50:51], v[14:15]
	v_mov_b64_e32 v[52:53], v[14:15]
	v_mov_b64_e32 v[54:55], v[14:15]
                                        ; implicit-def: $sgpr14_sgpr15
                                        ; implicit-def: $vgpr6
	s_and_saveexec_b64 s[8:9], vcc
	s_cbranch_execz .LBB1510_145
; %bb.102:
	ds_read2_b32 v[6:7], v76 offset0:1 offset1:2
	v_mov_b32_e32 v14, s74
	v_cmp_eq_u32_e32 vcc, v74, v75
	v_add_u32_e32 v16, 2, v77
	s_mov_b64 s[14:15], 0
	s_waitcnt lgkmcnt(0)
	v_cndmask_b32_e32 v14, v14, v6, vcc
	v_cmp_ne_u32_e32 vcc, v74, v75
                                        ; implicit-def: $sgpr16_sgpr17
                                        ; implicit-def: $vgpr6
	s_nop 1
	v_cndmask_b32_e64 v15, 0, 1, vcc
	v_cmp_gt_u32_e32 vcc, s60, v16
	v_mov_b64_e32 v[16:17], 0
	v_mov_b64_e32 v[18:19], v[16:17]
	;; [unrolled: 1-line block ×20, first 2 shown]
	s_and_saveexec_b64 s[10:11], vcc
	s_cbranch_execz .LBB1510_144
; %bb.103:
	v_mov_b32_e32 v16, s74
	v_cmp_eq_u32_e32 vcc, v75, v72
	v_add_u32_e32 v6, 3, v77
	v_mov_b64_e32 v[18:19], 0
	v_cndmask_b32_e32 v16, v16, v7, vcc
	v_cmp_ne_u32_e32 vcc, v75, v72
	s_mov_b64 s[16:17], 0
	v_mov_b64_e32 v[20:21], v[18:19]
	v_cndmask_b32_e64 v17, 0, 1, vcc
	v_cmp_gt_u32_e32 vcc, s60, v6
	v_mov_b64_e32 v[22:23], v[18:19]
	v_mov_b64_e32 v[24:25], v[18:19]
	;; [unrolled: 1-line block ×17, first 2 shown]
                                        ; implicit-def: $sgpr18_sgpr19
                                        ; implicit-def: $vgpr6
	s_and_saveexec_b64 s[12:13], vcc
	s_cbranch_execz .LBB1510_143
; %bb.104:
	ds_read2_b32 v[6:7], v76 offset0:3 offset1:4
	v_mov_b32_e32 v18, s74
	v_cmp_eq_u32_e32 vcc, v72, v73
	v_add_u32_e32 v20, 4, v77
	s_mov_b64 s[18:19], 0
	s_waitcnt lgkmcnt(0)
	v_cndmask_b32_e32 v18, v18, v6, vcc
	v_cmp_ne_u32_e32 vcc, v72, v73
                                        ; implicit-def: $sgpr20_sgpr21
                                        ; implicit-def: $vgpr6
	s_nop 1
	v_cndmask_b32_e64 v19, 0, 1, vcc
	v_cmp_gt_u32_e32 vcc, s60, v20
	v_mov_b64_e32 v[20:21], 0
	v_mov_b64_e32 v[22:23], v[20:21]
	v_mov_b64_e32 v[24:25], v[20:21]
	v_mov_b64_e32 v[26:27], v[20:21]
	v_mov_b64_e32 v[28:29], v[20:21]
	v_mov_b64_e32 v[30:31], v[20:21]
	v_mov_b64_e32 v[32:33], v[20:21]
	v_mov_b64_e32 v[34:35], v[20:21]
	v_mov_b64_e32 v[36:37], v[20:21]
	v_mov_b64_e32 v[38:39], v[20:21]
	v_mov_b64_e32 v[40:41], v[20:21]
	v_mov_b64_e32 v[42:43], v[20:21]
	v_mov_b64_e32 v[44:45], v[20:21]
	v_mov_b64_e32 v[46:47], v[20:21]
	v_mov_b64_e32 v[48:49], v[20:21]
	v_mov_b64_e32 v[50:51], v[20:21]
	v_mov_b64_e32 v[52:53], v[20:21]
	v_mov_b64_e32 v[54:55], v[20:21]
	s_and_saveexec_b64 s[14:15], vcc
	s_cbranch_execz .LBB1510_142
; %bb.105:
	v_mov_b32_e32 v20, s74
	v_cmp_eq_u32_e32 vcc, v73, v70
	v_add_u32_e32 v6, 5, v77
	v_mov_b64_e32 v[22:23], 0
	v_cndmask_b32_e32 v20, v20, v7, vcc
	v_cmp_ne_u32_e32 vcc, v73, v70
	s_mov_b64 s[20:21], 0
	v_mov_b64_e32 v[24:25], v[22:23]
	v_cndmask_b32_e64 v21, 0, 1, vcc
	v_cmp_gt_u32_e32 vcc, s60, v6
	v_mov_b64_e32 v[26:27], v[22:23]
	v_mov_b64_e32 v[28:29], v[22:23]
	;; [unrolled: 1-line block ×15, first 2 shown]
                                        ; implicit-def: $sgpr22_sgpr23
                                        ; implicit-def: $vgpr6
	s_and_saveexec_b64 s[16:17], vcc
	s_cbranch_execz .LBB1510_141
; %bb.106:
	ds_read2_b32 v[6:7], v76 offset0:5 offset1:6
	v_mov_b32_e32 v22, s74
	v_cmp_eq_u32_e32 vcc, v70, v71
	v_add_u32_e32 v24, 6, v77
	s_mov_b64 s[22:23], 0
	s_waitcnt lgkmcnt(0)
	v_cndmask_b32_e32 v22, v22, v6, vcc
	v_cmp_ne_u32_e32 vcc, v70, v71
                                        ; implicit-def: $sgpr24_sgpr25
                                        ; implicit-def: $vgpr6
	s_nop 1
	v_cndmask_b32_e64 v23, 0, 1, vcc
	v_cmp_gt_u32_e32 vcc, s60, v24
	v_mov_b64_e32 v[24:25], 0
	v_mov_b64_e32 v[26:27], v[24:25]
	;; [unrolled: 1-line block ×16, first 2 shown]
	s_and_saveexec_b64 s[18:19], vcc
	s_cbranch_execz .LBB1510_140
; %bb.107:
	v_mov_b32_e32 v24, s74
	v_cmp_eq_u32_e32 vcc, v71, v68
	v_add_u32_e32 v6, 7, v77
	v_mov_b64_e32 v[26:27], 0
	v_cndmask_b32_e32 v24, v24, v7, vcc
	v_cmp_ne_u32_e32 vcc, v71, v68
	s_mov_b64 s[24:25], 0
	v_mov_b64_e32 v[28:29], v[26:27]
	v_cndmask_b32_e64 v25, 0, 1, vcc
	v_cmp_gt_u32_e32 vcc, s60, v6
	v_mov_b64_e32 v[30:31], v[26:27]
	v_mov_b64_e32 v[32:33], v[26:27]
	;; [unrolled: 1-line block ×13, first 2 shown]
                                        ; implicit-def: $sgpr26_sgpr27
                                        ; implicit-def: $vgpr6
	s_and_saveexec_b64 s[20:21], vcc
	s_cbranch_execz .LBB1510_139
; %bb.108:
	ds_read2_b32 v[6:7], v76 offset0:7 offset1:8
	v_mov_b32_e32 v26, s74
	v_cmp_eq_u32_e32 vcc, v68, v69
	v_add_u32_e32 v28, 8, v77
	s_mov_b64 s[26:27], 0
	s_waitcnt lgkmcnt(0)
	v_cndmask_b32_e32 v26, v26, v6, vcc
	v_cmp_ne_u32_e32 vcc, v68, v69
                                        ; implicit-def: $sgpr28_sgpr29
                                        ; implicit-def: $vgpr6
	s_nop 1
	v_cndmask_b32_e64 v27, 0, 1, vcc
	v_cmp_gt_u32_e32 vcc, s60, v28
	v_mov_b64_e32 v[28:29], 0
	v_mov_b64_e32 v[30:31], v[28:29]
	v_mov_b64_e32 v[32:33], v[28:29]
	v_mov_b64_e32 v[34:35], v[28:29]
	v_mov_b64_e32 v[36:37], v[28:29]
	v_mov_b64_e32 v[38:39], v[28:29]
	v_mov_b64_e32 v[40:41], v[28:29]
	v_mov_b64_e32 v[42:43], v[28:29]
	v_mov_b64_e32 v[44:45], v[28:29]
	v_mov_b64_e32 v[46:47], v[28:29]
	v_mov_b64_e32 v[48:49], v[28:29]
	v_mov_b64_e32 v[50:51], v[28:29]
	v_mov_b64_e32 v[52:53], v[28:29]
	v_mov_b64_e32 v[54:55], v[28:29]
	s_and_saveexec_b64 s[22:23], vcc
	s_cbranch_execz .LBB1510_138
; %bb.109:
	v_mov_b32_e32 v28, s74
	v_cmp_eq_u32_e32 vcc, v69, v66
	v_add_u32_e32 v6, 9, v77
	v_mov_b64_e32 v[30:31], 0
	v_cndmask_b32_e32 v28, v28, v7, vcc
	v_cmp_ne_u32_e32 vcc, v69, v66
	s_mov_b64 s[28:29], 0
	v_mov_b64_e32 v[32:33], v[30:31]
	v_cndmask_b32_e64 v29, 0, 1, vcc
	v_cmp_gt_u32_e32 vcc, s60, v6
	v_mov_b64_e32 v[34:35], v[30:31]
	v_mov_b64_e32 v[36:37], v[30:31]
	;; [unrolled: 1-line block ×11, first 2 shown]
                                        ; implicit-def: $sgpr30_sgpr31
                                        ; implicit-def: $vgpr6
	s_and_saveexec_b64 s[24:25], vcc
	s_cbranch_execz .LBB1510_137
; %bb.110:
	ds_read2_b32 v[6:7], v76 offset0:9 offset1:10
	v_mov_b32_e32 v30, s74
	v_cmp_eq_u32_e32 vcc, v66, v67
	v_add_u32_e32 v32, 10, v77
	s_mov_b64 s[30:31], 0
	s_waitcnt lgkmcnt(0)
	v_cndmask_b32_e32 v30, v30, v6, vcc
	v_cmp_ne_u32_e32 vcc, v66, v67
                                        ; implicit-def: $sgpr34_sgpr35
                                        ; implicit-def: $vgpr6
	s_nop 1
	v_cndmask_b32_e64 v31, 0, 1, vcc
	v_cmp_gt_u32_e32 vcc, s60, v32
	v_mov_b64_e32 v[32:33], 0
	v_mov_b64_e32 v[34:35], v[32:33]
	;; [unrolled: 1-line block ×12, first 2 shown]
	s_and_saveexec_b64 s[26:27], vcc
	s_cbranch_execz .LBB1510_136
; %bb.111:
	v_mov_b32_e32 v32, s74
	v_cmp_eq_u32_e32 vcc, v67, v64
	v_add_u32_e32 v6, 11, v77
	v_mov_b64_e32 v[34:35], 0
	v_cndmask_b32_e32 v32, v32, v7, vcc
	v_cmp_ne_u32_e32 vcc, v67, v64
	s_mov_b64 s[34:35], 0
	v_mov_b64_e32 v[36:37], v[34:35]
	v_cndmask_b32_e64 v33, 0, 1, vcc
	v_cmp_gt_u32_e32 vcc, s60, v6
	v_mov_b64_e32 v[38:39], v[34:35]
	v_mov_b64_e32 v[40:41], v[34:35]
	;; [unrolled: 1-line block ×9, first 2 shown]
                                        ; implicit-def: $sgpr36_sgpr37
                                        ; implicit-def: $vgpr6
	s_and_saveexec_b64 s[28:29], vcc
	s_cbranch_execz .LBB1510_135
; %bb.112:
	ds_read2_b32 v[6:7], v76 offset0:11 offset1:12
	v_mov_b32_e32 v34, s74
	v_cmp_eq_u32_e32 vcc, v64, v65
	v_add_u32_e32 v36, 12, v77
	s_mov_b64 s[36:37], 0
	s_waitcnt lgkmcnt(0)
	v_cndmask_b32_e32 v34, v34, v6, vcc
	v_cmp_ne_u32_e32 vcc, v64, v65
                                        ; implicit-def: $sgpr38_sgpr39
                                        ; implicit-def: $vgpr6
	s_nop 1
	v_cndmask_b32_e64 v35, 0, 1, vcc
	v_cmp_gt_u32_e32 vcc, s60, v36
	v_mov_b64_e32 v[36:37], 0
	v_mov_b64_e32 v[38:39], v[36:37]
	;; [unrolled: 1-line block ×10, first 2 shown]
	s_and_saveexec_b64 s[30:31], vcc
	s_cbranch_execz .LBB1510_134
; %bb.113:
	v_mov_b32_e32 v36, s74
	v_cmp_eq_u32_e32 vcc, v65, v62
	v_add_u32_e32 v6, 13, v77
	v_mov_b64_e32 v[38:39], 0
	v_cndmask_b32_e32 v36, v36, v7, vcc
	v_cmp_ne_u32_e32 vcc, v65, v62
	s_mov_b64 s[38:39], 0
	v_mov_b64_e32 v[40:41], v[38:39]
	v_cndmask_b32_e64 v37, 0, 1, vcc
	v_cmp_gt_u32_e32 vcc, s60, v6
	v_mov_b64_e32 v[42:43], v[38:39]
	v_mov_b64_e32 v[44:45], v[38:39]
	;; [unrolled: 1-line block ×7, first 2 shown]
                                        ; implicit-def: $sgpr40_sgpr41
                                        ; implicit-def: $vgpr6
	s_and_saveexec_b64 s[34:35], vcc
	s_cbranch_execz .LBB1510_133
; %bb.114:
	ds_read2_b32 v[6:7], v76 offset0:13 offset1:14
	v_mov_b32_e32 v38, s74
	v_cmp_eq_u32_e32 vcc, v62, v63
	v_add_u32_e32 v40, 14, v77
	s_mov_b64 s[40:41], 0
	s_waitcnt lgkmcnt(0)
	v_cndmask_b32_e32 v38, v38, v6, vcc
	v_cmp_ne_u32_e32 vcc, v62, v63
                                        ; implicit-def: $sgpr42_sgpr43
                                        ; implicit-def: $vgpr6
	s_nop 1
	v_cndmask_b32_e64 v39, 0, 1, vcc
	v_cmp_gt_u32_e32 vcc, s60, v40
	v_mov_b64_e32 v[40:41], 0
	v_mov_b64_e32 v[42:43], v[40:41]
	;; [unrolled: 1-line block ×8, first 2 shown]
	s_and_saveexec_b64 s[36:37], vcc
	s_cbranch_execz .LBB1510_132
; %bb.115:
	v_mov_b32_e32 v40, s74
	v_cmp_eq_u32_e32 vcc, v63, v60
	v_add_u32_e32 v6, 15, v77
	v_mov_b64_e32 v[42:43], 0
	v_cndmask_b32_e32 v40, v40, v7, vcc
	v_cmp_ne_u32_e32 vcc, v63, v60
	s_mov_b64 s[42:43], 0
	v_mov_b64_e32 v[44:45], v[42:43]
	v_cndmask_b32_e64 v41, 0, 1, vcc
	v_cmp_gt_u32_e32 vcc, s60, v6
	v_mov_b64_e32 v[46:47], v[42:43]
	v_mov_b64_e32 v[48:49], v[42:43]
	;; [unrolled: 1-line block ×5, first 2 shown]
                                        ; implicit-def: $sgpr44_sgpr45
                                        ; implicit-def: $vgpr6
	s_and_saveexec_b64 s[38:39], vcc
	s_cbranch_execz .LBB1510_131
; %bb.116:
	ds_read2_b32 v[6:7], v76 offset0:15 offset1:16
	v_mov_b32_e32 v42, s74
	v_cmp_eq_u32_e32 vcc, v60, v61
	v_add_u32_e32 v44, 16, v77
	s_mov_b64 s[44:45], 0
	s_waitcnt lgkmcnt(0)
	v_cndmask_b32_e32 v42, v42, v6, vcc
	v_cmp_ne_u32_e32 vcc, v60, v61
                                        ; implicit-def: $sgpr46_sgpr47
                                        ; implicit-def: $vgpr6
	s_nop 1
	v_cndmask_b32_e64 v43, 0, 1, vcc
	v_cmp_gt_u32_e32 vcc, s60, v44
	v_mov_b64_e32 v[44:45], 0
	v_mov_b64_e32 v[46:47], v[44:45]
	;; [unrolled: 1-line block ×6, first 2 shown]
	s_and_saveexec_b64 s[40:41], vcc
	s_cbranch_execz .LBB1510_130
; %bb.117:
	v_mov_b32_e32 v44, s74
	v_cmp_eq_u32_e32 vcc, v61, v58
	v_add_u32_e32 v6, 17, v77
	v_mov_b64_e32 v[46:47], 0
	v_cndmask_b32_e32 v44, v44, v7, vcc
	v_cmp_ne_u32_e32 vcc, v61, v58
	s_mov_b64 s[46:47], 0
	v_mov_b64_e32 v[48:49], v[46:47]
	v_cndmask_b32_e64 v45, 0, 1, vcc
	v_cmp_gt_u32_e32 vcc, s60, v6
	v_mov_b64_e32 v[50:51], v[46:47]
	v_mov_b64_e32 v[52:53], v[46:47]
	;; [unrolled: 1-line block ×3, first 2 shown]
                                        ; implicit-def: $sgpr48_sgpr49
                                        ; implicit-def: $vgpr6
	s_and_saveexec_b64 s[42:43], vcc
	s_cbranch_execz .LBB1510_129
; %bb.118:
	ds_read2_b32 v[6:7], v76 offset0:17 offset1:18
	v_mov_b32_e32 v46, s74
	v_cmp_eq_u32_e32 vcc, v58, v59
	v_add_u32_e32 v48, 18, v77
	s_mov_b64 s[48:49], 0
	s_waitcnt lgkmcnt(0)
	v_cndmask_b32_e32 v46, v46, v6, vcc
	v_cmp_ne_u32_e32 vcc, v58, v59
                                        ; implicit-def: $sgpr50_sgpr51
                                        ; implicit-def: $vgpr6
	s_nop 1
	v_cndmask_b32_e64 v47, 0, 1, vcc
	v_cmp_gt_u32_e32 vcc, s60, v48
	v_mov_b64_e32 v[48:49], 0
	v_mov_b64_e32 v[50:51], v[48:49]
	;; [unrolled: 1-line block ×4, first 2 shown]
	s_and_saveexec_b64 s[44:45], vcc
	s_cbranch_execz .LBB1510_128
; %bb.119:
	v_mov_b32_e32 v48, s74
	v_cmp_eq_u32_e32 vcc, v59, v56
	v_add_u32_e32 v6, 19, v77
	v_mov_b64_e32 v[50:51], 0
	v_cndmask_b32_e32 v48, v48, v7, vcc
	v_cmp_ne_u32_e32 vcc, v59, v56
	s_mov_b64 s[50:51], 0
	v_mov_b64_e32 v[52:53], v[50:51]
	v_cndmask_b32_e64 v49, 0, 1, vcc
	v_cmp_gt_u32_e32 vcc, s60, v6
	v_mov_b64_e32 v[54:55], v[50:51]
                                        ; implicit-def: $sgpr56_sgpr57
                                        ; implicit-def: $vgpr6
	s_and_saveexec_b64 s[46:47], vcc
	s_cbranch_execz .LBB1510_127
; %bb.120:
	ds_read2_b32 v[6:7], v76 offset0:19 offset1:20
	v_mov_b32_e32 v50, s74
	v_cmp_eq_u32_e32 vcc, v56, v57
	v_add_u32_e32 v52, 20, v77
	s_mov_b64 s[56:57], 0
	s_waitcnt lgkmcnt(0)
	v_cndmask_b32_e32 v50, v50, v6, vcc
	v_cmp_ne_u32_e32 vcc, v56, v57
                                        ; implicit-def: $sgpr58_sgpr59
                                        ; implicit-def: $vgpr6
	s_nop 1
	v_cndmask_b32_e64 v51, 0, 1, vcc
	v_cmp_gt_u32_e32 vcc, s60, v52
	v_mov_b64_e32 v[52:53], 0
	v_mov_b64_e32 v[54:55], v[52:53]
	s_and_saveexec_b64 s[48:49], vcc
	s_cbranch_execz .LBB1510_126
; %bb.121:
	v_mov_b32_e32 v52, s74
	v_cmp_eq_u32_e32 vcc, v57, v8
	v_add_u32_e32 v6, 21, v77
	v_mov_b64_e32 v[54:55], 0
	v_cndmask_b32_e32 v52, v52, v7, vcc
	v_cmp_ne_u32_e32 vcc, v57, v8
                                        ; implicit-def: $sgpr58_sgpr59
	s_nop 1
	v_cndmask_b32_e64 v53, 0, 1, vcc
	v_cmp_gt_u32_e32 vcc, s60, v6
                                        ; implicit-def: $vgpr6
	s_and_saveexec_b64 s[50:51], vcc
	s_cbranch_execz .LBB1510_125
; %bb.122:
	ds_read2_b32 v[6:7], v76 offset0:21 offset1:22
	v_mov_b32_e32 v54, s74
	v_cmp_eq_u32_e32 vcc, v8, v9
	v_add_u32_e32 v56, 22, v77
                                        ; implicit-def: $sgpr58_sgpr59
	s_waitcnt lgkmcnt(0)
	v_cndmask_b32_e32 v54, v54, v6, vcc
	v_cmp_ne_u32_e32 vcc, v8, v9
                                        ; implicit-def: $vgpr6
	s_nop 1
	v_cndmask_b32_e64 v55, 0, 1, vcc
	v_cmp_gt_u32_e32 vcc, s60, v56
	s_and_saveexec_b64 s[60:61], vcc
	s_xor_b64 s[60:61], exec, s[60:61]
; %bb.123:
	v_mov_b32_e32 v6, s74
	v_cmp_ne_u32_e32 vcc, v9, v1
	s_mov_b64 s[56:57], exec
	s_and_b64 s[58:59], vcc, exec
	v_cndmask_b32_e32 v6, v7, v6, vcc
; %bb.124:
	s_or_b64 exec, exec, s[60:61]
	s_and_b64 s[58:59], s[58:59], exec
	s_and_b64 s[56:57], s[56:57], exec
.LBB1510_125:
	s_or_b64 exec, exec, s[50:51]
	s_and_b64 s[58:59], s[58:59], exec
	s_and_b64 s[50:51], s[56:57], exec
.LBB1510_126:
	s_or_b64 exec, exec, s[48:49]
	s_and_b64 s[56:57], s[58:59], exec
	s_and_b64 s[48:49], s[50:51], exec
.LBB1510_127:
	s_or_b64 exec, exec, s[46:47]
	s_and_b64 s[50:51], s[56:57], exec
	s_and_b64 s[46:47], s[48:49], exec
.LBB1510_128:
	s_or_b64 exec, exec, s[44:45]
	s_and_b64 s[48:49], s[50:51], exec
	s_and_b64 s[44:45], s[46:47], exec
.LBB1510_129:
	s_or_b64 exec, exec, s[42:43]
	s_and_b64 s[46:47], s[48:49], exec
	s_and_b64 s[42:43], s[44:45], exec
.LBB1510_130:
	s_or_b64 exec, exec, s[40:41]
	s_and_b64 s[44:45], s[46:47], exec
	s_and_b64 s[40:41], s[42:43], exec
.LBB1510_131:
	s_or_b64 exec, exec, s[38:39]
	s_and_b64 s[42:43], s[44:45], exec
	s_and_b64 s[38:39], s[40:41], exec
.LBB1510_132:
	s_or_b64 exec, exec, s[36:37]
	s_and_b64 s[40:41], s[42:43], exec
	s_and_b64 s[36:37], s[38:39], exec
.LBB1510_133:
	s_or_b64 exec, exec, s[34:35]
	s_and_b64 s[38:39], s[40:41], exec
	s_and_b64 s[34:35], s[36:37], exec
.LBB1510_134:
	s_or_b64 exec, exec, s[30:31]
	s_and_b64 s[36:37], s[38:39], exec
	s_and_b64 s[30:31], s[34:35], exec
.LBB1510_135:
	s_or_b64 exec, exec, s[28:29]
	s_and_b64 s[34:35], s[36:37], exec
	s_and_b64 s[28:29], s[30:31], exec
.LBB1510_136:
	s_or_b64 exec, exec, s[26:27]
	s_and_b64 s[30:31], s[34:35], exec
	s_and_b64 s[26:27], s[28:29], exec
.LBB1510_137:
	s_or_b64 exec, exec, s[24:25]
	s_and_b64 s[28:29], s[30:31], exec
	s_and_b64 s[24:25], s[26:27], exec
.LBB1510_138:
	s_or_b64 exec, exec, s[22:23]
	s_and_b64 s[26:27], s[28:29], exec
	s_and_b64 s[22:23], s[24:25], exec
.LBB1510_139:
	s_or_b64 exec, exec, s[20:21]
	s_and_b64 s[24:25], s[26:27], exec
	s_and_b64 s[20:21], s[22:23], exec
.LBB1510_140:
	s_or_b64 exec, exec, s[18:19]
	s_and_b64 s[22:23], s[24:25], exec
	s_and_b64 s[18:19], s[20:21], exec
.LBB1510_141:
	s_or_b64 exec, exec, s[16:17]
	s_and_b64 s[20:21], s[22:23], exec
	s_and_b64 s[16:17], s[18:19], exec
.LBB1510_142:
	s_or_b64 exec, exec, s[14:15]
	s_and_b64 s[18:19], s[20:21], exec
	s_and_b64 s[14:15], s[16:17], exec
.LBB1510_143:
	s_or_b64 exec, exec, s[12:13]
	s_and_b64 s[16:17], s[18:19], exec
	s_and_b64 s[12:13], s[14:15], exec
.LBB1510_144:
	s_or_b64 exec, exec, s[10:11]
	s_and_b64 s[14:15], s[16:17], exec
	s_and_b64 s[10:11], s[12:13], exec
.LBB1510_145:
	s_or_b64 exec, exec, s[8:9]
	s_and_b64 s[8:9], s[14:15], exec
	s_and_b64 s[10:11], s[10:11], exec
.LBB1510_146:
	s_or_b64 exec, exec, s[6:7]
	s_mov_b64 s[6:7], 0
	s_and_b64 vcc, exec, s[0:1]
	v_lshlrev_b32_e32 v56, 2, v0
	s_cbranch_vccz .LBB1510_152
.LBB1510_147:
	v_mov_b32_e32 v57, 0
	v_lshl_add_u64 v[6:7], v[4:5], 0, v[56:57]
	v_add_co_u32_e32 v8, vcc, 0x1000, v6
	s_movk_i32 s6, 0x58
	s_nop 0
	v_addc_co_u32_e32 v9, vcc, 0, v7, vcc
	flat_load_dword v1, v[6:7]
	flat_load_dword v14, v[6:7] offset:1024
	flat_load_dword v15, v[6:7] offset:2048
	;; [unrolled: 1-line block ×3, first 2 shown]
	flat_load_dword v17, v[8:9]
	flat_load_dword v18, v[8:9] offset:1024
	flat_load_dword v19, v[8:9] offset:2048
	;; [unrolled: 1-line block ×3, first 2 shown]
	v_add_co_u32_e32 v8, vcc, 0x2000, v6
	s_movk_i32 s11, 0x1000
	s_nop 0
	v_addc_co_u32_e32 v9, vcc, 0, v7, vcc
	v_add_co_u32_e32 v12, vcc, 0x3000, v6
	s_mov_b32 s0, 0
	s_nop 0
	v_addc_co_u32_e32 v13, vcc, 0, v7, vcc
	flat_load_dword v21, v[8:9]
	flat_load_dword v22, v[8:9] offset:1024
	flat_load_dword v23, v[8:9] offset:2048
	;; [unrolled: 1-line block ×3, first 2 shown]
	flat_load_dword v25, v[12:13]
	flat_load_dword v26, v[12:13] offset:1024
	flat_load_dword v27, v[12:13] offset:2048
	;; [unrolled: 1-line block ×3, first 2 shown]
	v_add_co_u32_e32 v8, vcc, 0x4000, v6
	s_movk_i32 s10, 0x2000
	s_nop 0
	v_addc_co_u32_e32 v9, vcc, 0, v7, vcc
	v_add_co_u32_e32 v6, vcc, 0x5000, v6
	s_movk_i32 s9, 0x3000
	s_nop 0
	v_addc_co_u32_e32 v7, vcc, 0, v7, vcc
	flat_load_dword v12, v[8:9]
	flat_load_dword v13, v[8:9] offset:1024
	flat_load_dword v29, v[8:9] offset:2048
	;; [unrolled: 1-line block ×3, first 2 shown]
	flat_load_dword v31, v[6:7]
	flat_load_dword v32, v[6:7] offset:1024
	flat_load_dword v33, v[6:7] offset:2048
	v_add_co_u32_e32 v4, vcc, 0x5000, v4
	s_movk_i32 s8, 0x4000
	s_nop 0
	v_addc_co_u32_e32 v5, vcc, 0, v5, vcc
	s_movk_i32 s1, 0x5000
	s_waitcnt vmcnt(0) lgkmcnt(0)
	ds_write2st64_b32 v56, v1, v14 offset1:4
	ds_write2st64_b32 v56, v15, v16 offset0:8 offset1:12
	ds_write2st64_b32 v56, v17, v18 offset0:16 offset1:20
	;; [unrolled: 1-line block ×10, first 2 shown]
	ds_write_b32 v56, v33 offset:22528
	s_waitcnt lgkmcnt(0)
	s_barrier
	flat_load_dword v1, v[4:5] offset:3072
	v_mad_u32_u24 v14, v0, s6, v56
	s_movk_i32 s6, 0xffa8
	v_mad_i32_i24 v13, v0, s6, v14
	s_movk_i32 s6, 0xff
	v_cmp_ne_u32_e32 vcc, s6, v0
	ds_read_b32 v12, v14
	ds_read2_b32 v[16:17], v14 offset0:1 offset1:2
	ds_read2_b32 v[20:21], v14 offset0:3 offset1:4
	;; [unrolled: 1-line block ×11, first 2 shown]
	s_waitcnt lgkmcnt(0)
	ds_write_b32 v13, v12 offset:24576
	s_waitcnt lgkmcnt(0)
	s_barrier
	s_and_saveexec_b64 s[6:7], vcc
	s_cbranch_execz .LBB1510_149
; %bb.148:
	s_waitcnt vmcnt(0)
	ds_read_b32 v1, v56 offset:24580
.LBB1510_149:
	s_or_b64 exec, exec, s[6:7]
	v_lshl_add_u64 v[2:3], v[2:3], 0, v[56:57]
	v_add_co_u32_e32 v18, vcc, s11, v2
	s_waitcnt lgkmcnt(0)
	s_nop 0
	v_addc_co_u32_e32 v19, vcc, 0, v3, vcc
	s_barrier
	flat_load_dword v13, v[2:3]
	flat_load_dword v15, v[2:3] offset:1024
	flat_load_dword v26, v[2:3] offset:2048
	;; [unrolled: 1-line block ×3, first 2 shown]
	flat_load_dword v30, v[18:19]
	flat_load_dword v31, v[18:19] offset:1024
	flat_load_dword v34, v[18:19] offset:2048
	;; [unrolled: 1-line block ×3, first 2 shown]
	v_add_co_u32_e32 v18, vcc, s10, v2
	s_nop 1
	v_addc_co_u32_e32 v19, vcc, 0, v3, vcc
	v_add_co_u32_e32 v22, vcc, s9, v2
	s_nop 1
	v_addc_co_u32_e32 v23, vcc, 0, v3, vcc
	flat_load_dword v38, v[18:19]
	flat_load_dword v39, v[18:19] offset:1024
	flat_load_dword v42, v[18:19] offset:2048
	;; [unrolled: 1-line block ×3, first 2 shown]
	flat_load_dword v46, v[22:23]
	flat_load_dword v47, v[22:23] offset:1024
	flat_load_dword v48, v[22:23] offset:2048
	;; [unrolled: 1-line block ×3, first 2 shown]
	v_add_co_u32_e32 v18, vcc, s8, v2
	s_nop 1
	v_addc_co_u32_e32 v19, vcc, 0, v3, vcc
	v_add_co_u32_e32 v2, vcc, s1, v2
	s_mov_b32 s1, 1
	s_nop 0
	v_addc_co_u32_e32 v3, vcc, 0, v3, vcc
	flat_load_dword v22, v[18:19]
	flat_load_dword v23, v[18:19] offset:1024
	flat_load_dword v50, v[18:19] offset:2048
	;; [unrolled: 1-line block ×3, first 2 shown]
	flat_load_dword v52, v[2:3]
	flat_load_dword v53, v[2:3] offset:1024
	flat_load_dword v54, v[2:3] offset:2048
	v_cmp_eq_u32_e32 vcc, v12, v16
	s_waitcnt vmcnt(0) lgkmcnt(0)
	ds_write2st64_b32 v56, v13, v15 offset1:4
	ds_write2st64_b32 v56, v26, v27 offset0:8 offset1:12
	ds_write2st64_b32 v56, v30, v31 offset0:16 offset1:20
	;; [unrolled: 1-line block ×10, first 2 shown]
	ds_write_b32 v56, v54 offset:22528
	s_waitcnt lgkmcnt(0)
	s_barrier
	ds_read2_b32 v[18:19], v14 offset0:1 offset1:2
	ds_read2_b32 v[22:23], v14 offset0:3 offset1:4
	ds_read2_b32 v[26:27], v14 offset0:5 offset1:6
	ds_read2_b32 v[30:31], v14 offset0:7 offset1:8
	ds_read2_b32 v[34:35], v14 offset0:9 offset1:10
	ds_read2_b32 v[38:39], v14 offset0:11 offset1:12
	ds_read2_b32 v[42:43], v14 offset0:13 offset1:14
	ds_read2_b32 v[46:47], v14 offset0:15 offset1:16
	ds_read2_b32 v[48:49], v14 offset0:17 offset1:18
	ds_read2_b32 v[52:53], v14 offset0:19 offset1:20
	ds_read2_b32 v[2:3], v14 offset0:21 offset1:22
	v_mov_b64_e32 v[12:13], s[0:1]
	v_mov_b32_e32 v15, s74
	s_and_saveexec_b64 s[0:1], vcc
	s_cbranch_execz .LBB1510_151
; %bb.150:
	ds_read_b32 v15, v14
	v_mov_b64_e32 v[12:13], 0
.LBB1510_151:
	s_or_b64 exec, exec, s[0:1]
	v_mov_b32_e32 v57, s74
	v_cmp_eq_u32_e32 vcc, v16, v17
	s_waitcnt lgkmcnt(0)
	v_or_b32_e32 v12, v12, v15
	v_cmp_ne_u32_e64 s[8:9], v5, v1
	v_cndmask_b32_e32 v14, v57, v18, vcc
	v_cmp_ne_u32_e32 vcc, v16, v17
	s_mov_b64 s[10:11], -1
                                        ; implicit-def: $sgpr6_sgpr7
	s_nop 0
	v_cndmask_b32_e64 v15, 0, 1, vcc
	v_cmp_eq_u32_e32 vcc, v17, v20
	s_nop 1
	v_cndmask_b32_e32 v16, v57, v19, vcc
	v_cmp_ne_u32_e32 vcc, v17, v20
	s_nop 1
	v_cndmask_b32_e64 v17, 0, 1, vcc
	v_cmp_eq_u32_e32 vcc, v20, v21
	s_nop 1
	v_cndmask_b32_e32 v18, v57, v22, vcc
	v_cmp_ne_u32_e32 vcc, v20, v21
	;; [unrolled: 6-line block ×18, first 2 shown]
	v_cndmask_b32_e64 v6, v3, v57, s[8:9]
	s_nop 0
	v_cndmask_b32_e64 v51, 0, 1, vcc
	v_cmp_eq_u32_e32 vcc, v7, v4
	s_nop 1
	v_cndmask_b32_e32 v52, v57, v53, vcc
	v_cmp_ne_u32_e32 vcc, v7, v4
	s_nop 1
	v_cndmask_b32_e64 v53, 0, 1, vcc
	v_cmp_eq_u32_e32 vcc, v4, v5
	s_nop 1
	v_cndmask_b32_e32 v54, v57, v2, vcc
	v_cmp_ne_u32_e32 vcc, v4, v5
	s_nop 1
	v_cndmask_b32_e64 v55, 0, 1, vcc
.LBB1510_152:
	v_mov_b64_e32 v[58:59], s[6:7]
	s_and_saveexec_b64 s[0:1], s[10:11]
; %bb.153:
	v_cndmask_b32_e64 v7, 0, 1, s[8:9]
	v_mov_b64_e32 v[58:59], v[6:7]
; %bb.154:
	s_or_b64 exec, exec, s[0:1]
	s_mov_b32 s0, 0
	s_cmp_lg_u32 s67, 0
	v_or_b32_e32 v57, v59, v55
	v_lshrrev_b32_e32 v1, 5, v0
	v_cmp_gt_u32_e32 vcc, 64, v0
	s_barrier
	s_cbranch_scc0 .LBB1510_193
; %bb.155:
	s_mov_b32 s1, 1
	v_cmp_gt_u64_e64 s[6:7], s[0:1], v[14:15]
	v_cmp_gt_u64_e64 s[8:9], s[0:1], v[16:17]
	v_cmp_gt_u64_e64 s[10:11], s[0:1], v[18:19]
	v_cndmask_b32_e64 v2, 0, v12, s[6:7]
	v_add_u32_e32 v2, v2, v14
	v_cndmask_b32_e64 v2, 0, v2, s[8:9]
	v_add_u32_e32 v2, v2, v16
	v_cndmask_b32_e64 v2, 0, v2, s[10:11]
	v_add_u32_e32 v2, v2, v18
	v_cmp_gt_u64_e64 s[12:13], s[0:1], v[20:21]
	v_cmp_gt_u64_e64 s[14:15], s[0:1], v[22:23]
	v_cmp_gt_u64_e64 s[16:17], s[0:1], v[24:25]
	v_cndmask_b32_e64 v2, 0, v2, s[12:13]
	v_add_u32_e32 v2, v2, v20
	v_cndmask_b32_e64 v2, 0, v2, s[14:15]
	v_add_u32_e32 v2, v2, v22
	v_cndmask_b32_e64 v2, 0, v2, s[16:17]
	v_add_u32_e32 v2, v2, v24
	;; [unrolled: 9-line block ×7, first 2 shown]
	v_cmp_gt_u64_e64 s[0:1], s[0:1], v[58:59]
	s_nop 1
	v_cndmask_b32_e64 v2, 0, v2, s[0:1]
	v_add_u32_e32 v64, v2, v58
	v_or3_b32 v2, v57, v53, v51
	v_or3_b32 v2, v2, v49, v47
	;; [unrolled: 1-line block ×10, first 2 shown]
	v_and_b32_e32 v2, 1, v2
	v_cmp_eq_u32_e64 s[0:1], 1, v2
	v_add_lshl_u32 v2, v1, v0, 3
	s_nop 0
	v_cndmask_b32_e64 v65, v13, 1, s[0:1]
	ds_write_b32 v2, v64
	ds_write_b8 v2, v65 offset:4
	s_waitcnt lgkmcnt(0)
	s_barrier
	s_and_saveexec_b64 s[50:51], vcc
	s_cbranch_execz .LBB1510_167
; %bb.156:
	v_lshrrev_b32_e32 v2, 3, v0
	v_add_lshl_u32 v4, v2, v56, 3
	ds_read2_b32 v[6:7], v4 offset0:2 offset1:4
	ds_read_b64 v[2:3], v4
	ds_read_u8 v8, v4 offset:12
	ds_read_u8 v9, v4 offset:20
	ds_read_b32 v60, v4 offset:24
	ds_read_u8 v61, v4 offset:28
	v_mov_b32_e32 v62, 0
	s_waitcnt lgkmcnt(3)
	v_cmp_eq_u16_sdwa s[0:1], v8, v62 src0_sel:BYTE_0 src1_sel:DWORD
	v_and_b32_e32 v5, 1, v3
	s_nop 0
	v_cndmask_b32_e64 v63, 0, v2, s[0:1]
	v_add_u32_e32 v6, v63, v6
	s_waitcnt lgkmcnt(2)
	v_cmp_eq_u16_sdwa s[0:1], v9, v62 src0_sel:BYTE_0 src1_sel:DWORD
	s_nop 1
	v_cndmask_b32_e64 v6, 0, v6, s[0:1]
	v_add_u32_e32 v6, v6, v7
	s_waitcnt lgkmcnt(0)
	v_cmp_eq_u16_e64 s[0:1], 0, v61
	s_nop 1
	v_cndmask_b32_e64 v6, 0, v6, s[0:1]
	v_add_u32_e32 v7, v6, v60
	v_or_b32_e32 v6, v61, v9
	v_or_b32_e32 v6, v6, v8
	v_and_b32_e32 v6, 1, v6
	v_cmp_eq_u32_e64 s[0:1], 1, v6
	v_mbcnt_lo_u32_b32 v8, -1, 0
	v_and_b32_e32 v6, 0xffffff00, v3
	v_cndmask_b32_e64 v9, v5, 1, s[0:1]
	v_mbcnt_hi_u32_b32 v8, -1, v8
	v_and_b32_e32 v61, 15, v8
	v_or_b32_sdwa v60, v6, v9 dst_sel:DWORD dst_unused:UNUSED_PAD src0_sel:DWORD src1_sel:WORD_0
	v_mov_b32_dpp v62, v7 row_shr:1 row_mask:0xf bank_mask:0xf
	v_cmp_ne_u32_e64 s[0:1], 0, v61
	v_mov_b32_dpp v63, v60 row_shr:1 row_mask:0xf bank_mask:0xf
	s_and_saveexec_b64 s[56:57], s[0:1]
; %bb.157:
	v_and_b32_e32 v60, 1, v9
	v_and_b32_e32 v63, 1, v63
	v_cmp_eq_u32_e64 s[0:1], 1, v60
	s_nop 1
	v_cndmask_b32_e64 v63, v63, 1, s[0:1]
	v_cmp_eq_u16_e64 s[0:1], 0, v9
	v_or_b32_sdwa v60, v6, v63 dst_sel:DWORD dst_unused:UNUSED_PAD src0_sel:DWORD src1_sel:WORD_0
	s_nop 0
	v_cndmask_b32_e64 v9, 0, v62, s[0:1]
	v_add_u32_e32 v7, v9, v7
	v_mov_b32_e32 v9, v63
; %bb.158:
	s_or_b64 exec, exec, s[56:57]
	v_mov_b32_dpp v62, v7 row_shr:2 row_mask:0xf bank_mask:0xf
	v_mov_b32_dpp v63, v60 row_shr:2 row_mask:0xf bank_mask:0xf
	v_cmp_lt_u32_e64 s[0:1], 1, v61
	s_and_saveexec_b64 s[56:57], s[0:1]
; %bb.159:
	v_and_b32_e32 v60, 1, v9
	v_and_b32_e32 v63, 1, v63
	v_cmp_eq_u32_e64 s[0:1], 1, v60
	s_nop 1
	v_cndmask_b32_e64 v63, v63, 1, s[0:1]
	v_cmp_eq_u16_e64 s[0:1], 0, v9
	v_or_b32_sdwa v60, v6, v63 dst_sel:DWORD dst_unused:UNUSED_PAD src0_sel:DWORD src1_sel:WORD_0
	s_nop 0
	v_cndmask_b32_e64 v9, 0, v62, s[0:1]
	v_add_u32_e32 v7, v9, v7
	v_mov_b32_e32 v9, v63
; %bb.160:
	s_or_b64 exec, exec, s[56:57]
	v_mov_b32_dpp v62, v7 row_shr:4 row_mask:0xf bank_mask:0xf
	v_mov_b32_dpp v63, v60 row_shr:4 row_mask:0xf bank_mask:0xf
	v_cmp_lt_u32_e64 s[0:1], 3, v61
	;; [unrolled: 18-line block ×3, first 2 shown]
	s_and_saveexec_b64 s[56:57], s[0:1]
; %bb.163:
	v_and_b32_e32 v60, 1, v9
	v_and_b32_e32 v61, 1, v63
	v_cmp_eq_u32_e64 s[0:1], 1, v60
	s_nop 1
	v_cndmask_b32_e64 v61, v61, 1, s[0:1]
	v_cmp_eq_u16_e64 s[0:1], 0, v9
	v_or_b32_sdwa v60, v6, v61 dst_sel:DWORD dst_unused:UNUSED_PAD src0_sel:DWORD src1_sel:WORD_0
	s_nop 0
	v_cndmask_b32_e64 v9, 0, v62, s[0:1]
	v_add_u32_e32 v7, v9, v7
	v_mov_b32_e32 v9, v61
; %bb.164:
	s_or_b64 exec, exec, s[56:57]
	v_and_b32_e32 v63, 16, v8
	v_mov_b32_dpp v61, v7 row_bcast:15 row_mask:0xf bank_mask:0xf
	v_mov_b32_dpp v62, v60 row_bcast:15 row_mask:0xf bank_mask:0xf
	v_cmp_ne_u32_e64 s[0:1], 0, v63
	s_and_saveexec_b64 s[56:57], s[0:1]
; %bb.165:
	v_and_b32_e32 v60, 1, v9
	v_and_b32_e32 v62, 1, v62
	v_cmp_eq_u32_e64 s[0:1], 1, v60
	s_nop 1
	v_cndmask_b32_e64 v62, v62, 1, s[0:1]
	v_cmp_eq_u16_e64 s[0:1], 0, v9
	v_or_b32_sdwa v60, v6, v62 dst_sel:DWORD dst_unused:UNUSED_PAD src0_sel:DWORD src1_sel:WORD_0
	s_nop 0
	v_cndmask_b32_e64 v9, 0, v61, s[0:1]
	v_add_u32_e32 v7, v9, v7
	v_mov_b32_e32 v9, v62
; %bb.166:
	s_or_b64 exec, exec, s[56:57]
	v_mov_b32_dpp v60, v60 row_bcast:31 row_mask:0xf bank_mask:0xf
	v_and_b32_e32 v62, 1, v9
	v_and_b32_e32 v60, 1, v60
	v_cmp_eq_u32_e64 s[0:1], 1, v62
	v_mov_b32_e32 v62, 0
	v_cmp_eq_u16_sdwa s[56:57], v9, v62 src0_sel:BYTE_0 src1_sel:DWORD
	v_cndmask_b32_e64 v60, v60, 1, s[0:1]
	v_cmp_lt_u32_e64 s[0:1], 31, v8
	v_mov_b32_dpp v61, v7 row_bcast:31 row_mask:0xf bank_mask:0xf
	s_movk_i32 s58, 0xff
	v_cndmask_b32_e64 v9, v9, v60, s[0:1]
	s_and_b64 s[0:1], s[0:1], s[56:57]
	v_cndmask_b32_e64 v60, 0, v61, s[0:1]
	v_add_u32_e32 v7, v60, v7
	v_add_u32_e32 v60, -1, v8
	v_and_b32_e32 v61, 64, v8
	v_cmp_lt_i32_e64 s[0:1], v60, v61
	v_and_or_b32 v6, v9, s58, v6
	s_nop 0
	v_cndmask_b32_e64 v8, v60, v8, s[0:1]
	v_lshlrev_b32_e32 v8, 2, v8
	ds_bpermute_b32 v7, v8, v7
	ds_bpermute_b32 v6, v8, v6
	v_cmp_eq_u16_sdwa s[0:1], v3, v62 src0_sel:BYTE_0 src1_sel:DWORD
	; wave barrier
	s_waitcnt lgkmcnt(1)
	s_nop 0
	v_cndmask_b32_e64 v3, 0, v7, s[0:1]
	v_add_u32_e32 v2, v3, v2
	s_waitcnt lgkmcnt(0)
	v_and_b32_e32 v3, 1, v6
	v_cmp_eq_u32_e64 s[0:1], 1, v5
	v_cndmask_b32_e64 v5, v2, v64, s[52:53]
	s_nop 0
	v_cndmask_b32_e64 v3, v3, 1, s[0:1]
	v_cndmask_b32_e64 v6, v3, v65, s[52:53]
	ds_write_b32 v4, v5
	ds_write_b8 v4, v6 offset:4
	; wave barrier
	ds_read_u8 v7, v4 offset:12
	ds_read2_b32 v[2:3], v4 offset0:2 offset1:4
	ds_read_u8 v8, v4 offset:20
	ds_read_b32 v9, v4 offset:24
	ds_read_u8 v60, v4 offset:28
	s_waitcnt lgkmcnt(4)
	v_cmp_eq_u16_e64 s[0:1], 0, v7
	s_nop 1
	v_cndmask_b32_e64 v5, 0, v5, s[0:1]
	s_waitcnt lgkmcnt(3)
	v_add_u32_e32 v2, v5, v2
	v_and_b32_e32 v5, 1, v7
	v_cmp_eq_u32_e64 s[0:1], 1, v5
	s_nop 1
	v_cndmask_b32_e64 v5, v6, 1, s[0:1]
	s_waitcnt lgkmcnt(2)
	v_cmp_eq_u16_e64 s[0:1], 0, v8
	ds_write_b8 v4, v5 offset:12
	s_nop 0
	v_cndmask_b32_e64 v6, 0, v2, s[0:1]
	v_add_u32_e32 v3, v6, v3
	v_and_b32_e32 v6, 1, v8
	v_cmp_eq_u32_e64 s[0:1], 1, v6
	s_nop 1
	v_cndmask_b32_e64 v5, v5, 1, s[0:1]
	s_waitcnt lgkmcnt(1)
	v_cmp_eq_u16_e64 s[0:1], 0, v60
	ds_write2_b32 v4, v2, v3 offset0:2 offset1:4
	ds_write_b8 v4, v5 offset:20
	v_cndmask_b32_e64 v2, 0, v3, s[0:1]
	v_and_b32_e32 v3, 1, v60
	v_add_u32_e32 v2, v2, v9
	v_cmp_eq_u32_e64 s[0:1], 1, v3
	s_nop 1
	v_cndmask_b32_e64 v3, v5, 1, s[0:1]
	ds_write_b32 v4, v2 offset:24
	ds_write_b8 v4, v3 offset:28
.LBB1510_167:
	s_or_b64 exec, exec, s[50:51]
	s_waitcnt lgkmcnt(0)
	s_barrier
	s_and_saveexec_b64 s[0:1], s[4:5]
	s_cbranch_execz .LBB1510_169
; %bb.168:
	v_add_u32_e32 v2, -1, v0
	v_lshrrev_b32_e32 v3, 5, v2
	v_add_lshl_u32 v2, v3, v2, 3
	ds_read_b32 v64, v2
	ds_read_u8 v65, v2 offset:4
.LBB1510_169:
	s_or_b64 exec, exec, s[0:1]
	s_and_saveexec_b64 s[56:57], vcc
	s_cbranch_execz .LBB1510_192
; %bb.170:
	v_mov_b32_e32 v5, 0
	ds_read_b64 v[2:3], v5 offset:2096
	v_mbcnt_lo_u32_b32 v4, -1, 0
	v_mbcnt_hi_u32_b32 v75, -1, v4
	s_mov_b32 s59, 0
	v_cmp_eq_u32_e64 s[50:51], 0, v75
	s_waitcnt lgkmcnt(0)
	v_readfirstlane_b32 s68, v3
	s_and_saveexec_b64 s[0:1], s[50:51]
	s_cbranch_execz .LBB1510_172
; %bb.171:
	s_add_i32 s58, s67, 64
	s_lshl_b64 s[60:61], s[58:59], 4
	s_add_u32 s60, s64, s60
	s_addc_u32 s61, s65, s61
	s_and_b32 s77, s68, 0xff000000
	s_mov_b32 s76, s59
	s_and_b32 s79, s68, 0xff0000
	s_mov_b32 s78, s59
	s_or_b64 s[76:77], s[78:79], s[76:77]
	s_and_b32 s79, s68, 0xff00
	s_or_b64 s[76:77], s[76:77], s[78:79]
	s_and_b32 s79, s68, 0xff
	s_or_b64 s[58:59], s[76:77], s[78:79]
	v_mov_b32_e32 v3, s59
	v_mov_b32_e32 v4, 1
	v_mov_b64_e32 v[6:7], s[60:61]
	;;#ASMSTART
	global_store_dwordx4 v[6:7], v[2:5] off sc1	
s_waitcnt vmcnt(0)
	;;#ASMEND
.LBB1510_172:
	s_or_b64 exec, exec, s[0:1]
	v_xad_u32 v60, v75, -1, s67
	v_add_u32_e32 v4, 64, v60
	v_lshl_add_u64 v[62:63], v[4:5], 4, s[64:65]
	;;#ASMSTART
	global_load_dwordx4 v[6:9], v[62:63] off sc1	
s_waitcnt vmcnt(0)
	;;#ASMEND
	s_nop 0
	v_and_b32_e32 v3, 0xff0000, v6
	v_and_b32_e32 v4, 0xff000000, v6
	;; [unrolled: 1-line block ×3, first 2 shown]
	v_or_b32_sdwa v3, v6, v3 dst_sel:DWORD dst_unused:UNUSED_PAD src0_sel:WORD_0 src1_sel:DWORD
	v_or3_b32 v7, 0, 0, v7
	v_or3_b32 v6, v3, v4, 0
	v_cmp_eq_u16_sdwa s[58:59], v8, v5 src0_sel:BYTE_0 src1_sel:DWORD
	s_and_saveexec_b64 s[0:1], s[58:59]
	s_cbranch_execz .LBB1510_178
; %bb.173:
	s_mov_b32 s60, 1
	s_mov_b64 s[58:59], 0
	v_mov_b32_e32 v3, 0
.LBB1510_174:                           ; =>This Loop Header: Depth=1
                                        ;     Child Loop BB1510_175 Depth 2
	s_max_u32 s61, s60, 1
.LBB1510_175:                           ;   Parent Loop BB1510_174 Depth=1
                                        ; =>  This Inner Loop Header: Depth=2
	s_add_i32 s61, s61, -1
	s_cmp_eq_u32 s61, 0
	s_sleep 1
	s_cbranch_scc0 .LBB1510_175
; %bb.176:                              ;   in Loop: Header=BB1510_174 Depth=1
	s_cmp_lt_u32 s60, 32
	s_cselect_b64 s[76:77], -1, 0
	s_cmp_lg_u64 s[76:77], 0
	s_addc_u32 s60, s60, 0
	;;#ASMSTART
	global_load_dwordx4 v[6:9], v[62:63] off sc1	
s_waitcnt vmcnt(0)
	;;#ASMEND
	s_nop 0
	v_cmp_ne_u16_sdwa s[76:77], v8, v3 src0_sel:BYTE_0 src1_sel:DWORD
	s_or_b64 s[58:59], s[76:77], s[58:59]
	s_andn2_b64 exec, exec, s[58:59]
	s_cbranch_execnz .LBB1510_174
; %bb.177:
	s_or_b64 exec, exec, s[58:59]
	v_and_b32_e32 v7, 0xff, v7
.LBB1510_178:
	s_or_b64 exec, exec, s[0:1]
	v_mov_b32_e32 v3, 2
	v_cmp_eq_u16_sdwa s[0:1], v8, v3 src0_sel:BYTE_0 src1_sel:DWORD
	v_lshlrev_b64 v[4:5], v75, -1
	v_and_b32_e32 v66, 63, v75
	v_and_b32_e32 v9, s1, v5
	v_or_b32_e32 v9, 0x80000000, v9
	v_and_b32_e32 v61, s0, v4
	v_ffbl_b32_e32 v9, v9
	v_add_u32_e32 v9, 32, v9
	v_ffbl_b32_e32 v61, v61
	v_cmp_ne_u32_e32 vcc, 63, v66
	v_min_u32_e32 v9, v61, v9
	s_mov_b32 s58, 0
	v_addc_co_u32_e32 v61, vcc, 0, v75, vcc
	v_lshlrev_b32_e32 v67, 2, v61
	ds_bpermute_b32 v61, v67, v7
	ds_bpermute_b32 v62, v67, v6
	v_and_b32_e32 v63, 1, v7
	s_mov_b32 s59, 1
	v_cmp_eq_u32_e32 vcc, 1, v63
	s_waitcnt lgkmcnt(1)
	v_and_b32_e32 v61, 1, v61
	v_cmp_lt_u32_e64 s[0:1], v66, v9
	v_cndmask_b32_e64 v61, v61, 1, vcc
	v_cmp_gt_u64_e32 vcc, s[58:59], v[6:7]
	s_and_b64 vcc, s[0:1], vcc
	v_and_b32_e32 v63, 0xffff, v61
	v_cndmask_b32_e64 v70, v7, v61, s[0:1]
	s_waitcnt lgkmcnt(0)
	v_cndmask_b32_e32 v61, 0, v62, vcc
	v_cmp_gt_u32_e32 vcc, 62, v66
	v_cndmask_b32_e64 v7, v7, v63, s[0:1]
	v_add_u32_e32 v6, v61, v6
	v_cndmask_b32_e64 v62, 0, 1, vcc
	v_lshlrev_b32_e32 v62, 1, v62
	v_add_lshl_u32 v68, v62, v75, 2
	ds_bpermute_b32 v62, v68, v7
	ds_bpermute_b32 v63, v68, v6
	v_and_b32_e32 v61, 1, v70
	v_cmp_eq_u32_e32 vcc, 1, v61
	v_mov_b32_e32 v61, 0
	s_waitcnt lgkmcnt(1)
	v_and_b32_e32 v62, 1, v62
	v_add_u32_e32 v69, 2, v66
	v_cndmask_b32_e64 v62, v62, 1, vcc
	v_cmp_eq_u16_sdwa vcc, v70, v61 src0_sel:BYTE_0 src1_sel:DWORD
	v_and_b32_e32 v71, 0xffff, v62
	v_add_u32_e32 v79, 32, v66
	s_waitcnt lgkmcnt(0)
	v_cndmask_b32_e32 v63, 0, v63, vcc
	v_cmp_gt_u32_e32 vcc, v69, v9
	s_nop 1
	v_cndmask_b32_e32 v62, v62, v70, vcc
	v_cndmask_b32_e64 v63, v63, 0, vcc
	v_cndmask_b32_e32 v7, v71, v7, vcc
	v_cmp_gt_u32_e32 vcc, 60, v66
	v_add_u32_e32 v6, v63, v6
	v_and_b32_e32 v73, 1, v62
	v_cndmask_b32_e64 v70, 0, 1, vcc
	v_lshlrev_b32_e32 v70, 2, v70
	v_add_lshl_u32 v70, v70, v75, 2
	ds_bpermute_b32 v72, v70, v7
	ds_bpermute_b32 v63, v70, v6
	v_cmp_eq_u32_e32 vcc, 1, v73
	v_add_u32_e32 v71, 4, v66
	s_waitcnt lgkmcnt(1)
	v_and_b32_e32 v72, 1, v72
	v_cndmask_b32_e64 v72, v72, 1, vcc
	v_cmp_eq_u16_sdwa vcc, v62, v61 src0_sel:BYTE_0 src1_sel:DWORD
	v_and_b32_e32 v73, 0xffff, v72
	s_waitcnt lgkmcnt(0)
	v_cndmask_b32_e32 v63, 0, v63, vcc
	v_cmp_gt_u32_e32 vcc, v71, v9
	s_nop 1
	v_cndmask_b32_e32 v62, v72, v62, vcc
	v_cndmask_b32_e64 v63, v63, 0, vcc
	v_cndmask_b32_e32 v7, v73, v7, vcc
	v_cmp_gt_u32_e32 vcc, 56, v66
	v_add_u32_e32 v6, v63, v6
	v_and_b32_e32 v76, 1, v62
	v_cndmask_b32_e64 v72, 0, 1, vcc
	v_lshlrev_b32_e32 v72, 3, v72
	v_add_lshl_u32 v72, v72, v75, 2
	ds_bpermute_b32 v74, v72, v7
	ds_bpermute_b32 v63, v72, v6
	v_cmp_eq_u32_e32 vcc, 1, v76
	v_add_u32_e32 v73, 8, v66
	s_waitcnt lgkmcnt(1)
	v_and_b32_e32 v74, 1, v74
	v_cndmask_b32_e64 v74, v74, 1, vcc
	v_cmp_eq_u16_sdwa vcc, v62, v61 src0_sel:BYTE_0 src1_sel:DWORD
	v_and_b32_e32 v76, 0xffff, v74
	;; [unrolled: 22-line block ×3, first 2 shown]
	s_waitcnt lgkmcnt(0)
	v_cndmask_b32_e32 v63, 0, v63, vcc
	v_cmp_gt_u32_e32 vcc, v76, v9
	s_nop 1
	v_cndmask_b32_e32 v62, v77, v62, vcc
	v_cndmask_b32_e64 v63, v63, 0, vcc
	v_cndmask_b32_e32 v7, v78, v7, vcc
	v_cmp_gt_u32_e32 vcc, 32, v66
	v_add_u32_e32 v6, v63, v6
	s_nop 0
	v_cndmask_b32_e64 v77, 0, 1, vcc
	v_lshlrev_b32_e32 v77, 5, v77
	v_add_lshl_u32 v78, v77, v75, 2
	ds_bpermute_b32 v7, v78, v7
	ds_bpermute_b32 v63, v78, v6
	v_and_b32_e32 v75, 1, v62
	v_cmp_eq_u32_e32 vcc, 1, v75
	s_waitcnt lgkmcnt(1)
	v_and_b32_e32 v7, 1, v7
	v_cndmask_b32_e64 v7, v7, 1, vcc
	v_cmp_eq_u16_sdwa vcc, v62, v61 src0_sel:BYTE_0 src1_sel:DWORD
	s_waitcnt lgkmcnt(0)
	s_nop 0
	v_cndmask_b32_e32 v63, 0, v63, vcc
	v_cmp_gt_u32_e32 vcc, v79, v9
	s_nop 1
	v_cndmask_b32_e64 v9, v63, 0, vcc
	v_cndmask_b32_e32 v7, v7, v62, vcc
	v_add_u32_e32 v6, v9, v6
	s_branch .LBB1510_180
.LBB1510_179:                           ;   in Loop: Header=BB1510_180 Depth=1
	s_or_b64 exec, exec, s[0:1]
	v_cmp_eq_u16_sdwa s[0:1], v8, v3 src0_sel:BYTE_0 src1_sel:DWORD
	ds_bpermute_b32 v63, v67, v7
	v_and_b32_e32 v80, 1, v7
	v_and_b32_e32 v9, s1, v5
	v_or_b32_e32 v9, 0x80000000, v9
	v_and_b32_e32 v62, s0, v4
	v_ffbl_b32_e32 v9, v9
	v_add_u32_e32 v9, 32, v9
	v_ffbl_b32_e32 v62, v62
	v_min_u32_e32 v9, v62, v9
	ds_bpermute_b32 v62, v67, v6
	s_waitcnt lgkmcnt(1)
	v_and_b32_e32 v63, 1, v63
	v_cmp_eq_u32_e32 vcc, 1, v80
	v_cmp_lt_u32_e64 s[0:1], v66, v9
	v_subrev_u32_e32 v60, 64, v60
	v_cndmask_b32_e64 v63, v63, 1, vcc
	v_cmp_gt_u64_e32 vcc, s[58:59], v[6:7]
	v_and_b32_e32 v80, 0xffff, v63
	v_cndmask_b32_e64 v63, v7, v63, s[0:1]
	v_cndmask_b32_e64 v7, v7, v80, s[0:1]
	s_and_b64 vcc, s[0:1], vcc
	ds_bpermute_b32 v80, v68, v7
	s_waitcnt lgkmcnt(1)
	v_cndmask_b32_e32 v62, 0, v62, vcc
	v_add_u32_e32 v6, v62, v6
	ds_bpermute_b32 v62, v68, v6
	v_and_b32_e32 v81, 1, v63
	s_waitcnt lgkmcnt(1)
	v_and_b32_e32 v80, 1, v80
	v_cmp_eq_u32_e32 vcc, 1, v81
	s_nop 1
	v_cndmask_b32_e64 v80, v80, 1, vcc
	v_cmp_eq_u16_sdwa vcc, v63, v61 src0_sel:BYTE_0 src1_sel:DWORD
	v_and_b32_e32 v81, 0xffff, v80
	s_waitcnt lgkmcnt(0)
	v_cndmask_b32_e32 v62, 0, v62, vcc
	v_cmp_gt_u32_e32 vcc, v69, v9
	s_nop 1
	v_cndmask_b32_e32 v7, v81, v7, vcc
	v_cndmask_b32_e32 v63, v80, v63, vcc
	ds_bpermute_b32 v80, v70, v7
	v_cndmask_b32_e64 v62, v62, 0, vcc
	v_add_u32_e32 v6, v62, v6
	ds_bpermute_b32 v62, v70, v6
	v_and_b32_e32 v81, 1, v63
	s_waitcnt lgkmcnt(1)
	v_and_b32_e32 v80, 1, v80
	v_cmp_eq_u32_e32 vcc, 1, v81
	s_nop 1
	v_cndmask_b32_e64 v80, v80, 1, vcc
	v_cmp_eq_u16_sdwa vcc, v63, v61 src0_sel:BYTE_0 src1_sel:DWORD
	v_and_b32_e32 v81, 0xffff, v80
	s_waitcnt lgkmcnt(0)
	v_cndmask_b32_e32 v62, 0, v62, vcc
	v_cmp_gt_u32_e32 vcc, v71, v9
	s_nop 1
	v_cndmask_b32_e32 v7, v81, v7, vcc
	v_cndmask_b32_e32 v63, v80, v63, vcc
	ds_bpermute_b32 v80, v72, v7
	v_cndmask_b32_e64 v62, v62, 0, vcc
	;; [unrolled: 18-line block ×3, first 2 shown]
	v_add_u32_e32 v6, v62, v6
	ds_bpermute_b32 v62, v74, v6
	v_and_b32_e32 v81, 1, v63
	s_waitcnt lgkmcnt(1)
	v_and_b32_e32 v80, 1, v80
	v_cmp_eq_u32_e32 vcc, 1, v81
	s_nop 1
	v_cndmask_b32_e64 v80, v80, 1, vcc
	v_cmp_eq_u16_sdwa vcc, v63, v61 src0_sel:BYTE_0 src1_sel:DWORD
	v_and_b32_e32 v81, 0xffff, v80
	s_waitcnt lgkmcnt(0)
	v_cndmask_b32_e32 v62, 0, v62, vcc
	v_cmp_gt_u32_e32 vcc, v76, v9
	s_nop 1
	v_cndmask_b32_e64 v62, v62, 0, vcc
	v_cndmask_b32_e32 v7, v81, v7, vcc
	ds_bpermute_b32 v7, v78, v7
	v_add_u32_e32 v6, v62, v6
	ds_bpermute_b32 v62, v78, v6
	v_cndmask_b32_e32 v63, v80, v63, vcc
	v_and_b32_e32 v80, 1, v63
	v_cmp_eq_u32_e32 vcc, 1, v80
	s_waitcnt lgkmcnt(1)
	s_nop 0
	v_cndmask_b32_e64 v7, v7, 1, vcc
	v_cmp_eq_u16_sdwa vcc, v63, v61 src0_sel:BYTE_0 src1_sel:DWORD
	s_waitcnt lgkmcnt(0)
	s_nop 0
	v_cndmask_b32_e32 v62, 0, v62, vcc
	v_cmp_gt_u32_e32 vcc, v79, v9
	s_nop 1
	v_cndmask_b32_e64 v9, v62, 0, vcc
	v_cndmask_b32_e32 v7, v7, v63, vcc
	v_add_u32_e32 v6, v9, v6
	v_cmp_eq_u16_sdwa vcc, v75, v61 src0_sel:BYTE_0 src1_sel:DWORD
	v_and_b32_e32 v9, 1, v75
	v_and_b32_e32 v7, 1, v7
	v_cndmask_b32_e32 v6, 0, v6, vcc
	v_cmp_eq_u32_e32 vcc, 1, v9
	v_add_u32_e32 v6, v6, v77
	s_nop 0
	v_cndmask_b32_e64 v7, v7, 1, vcc
.LBB1510_180:                           ; =>This Loop Header: Depth=1
                                        ;     Child Loop BB1510_183 Depth 2
                                        ;       Child Loop BB1510_184 Depth 3
	v_cmp_ne_u16_sdwa s[0:1], v8, v3 src0_sel:BYTE_0 src1_sel:DWORD
	v_mov_b32_e32 v75, v7
	v_mov_b32_e32 v77, v6
	v_cndmask_b32_e64 v7, 0, 1, s[0:1]
	;;#ASMSTART
	;;#ASMEND
	s_nop 0
	v_cmp_ne_u32_e32 vcc, 0, v7
	s_cmp_lg_u64 vcc, exec
	s_cbranch_scc1 .LBB1510_187
; %bb.181:                              ;   in Loop: Header=BB1510_180 Depth=1
	v_lshl_add_u64 v[62:63], v[60:61], 4, s[64:65]
	;;#ASMSTART
	global_load_dwordx4 v[6:9], v[62:63] off sc1	
s_waitcnt vmcnt(0)
	;;#ASMEND
	s_nop 0
	v_and_b32_e32 v9, 0xff0000, v6
	v_and_b32_e32 v80, 0xff000000, v6
	;; [unrolled: 1-line block ×3, first 2 shown]
	v_or_b32_sdwa v6, v6, v9 dst_sel:DWORD dst_unused:UNUSED_PAD src0_sel:WORD_0 src1_sel:DWORD
	v_or3_b32 v7, 0, 0, v7
	v_or3_b32 v6, v6, v80, 0
	v_cmp_eq_u16_sdwa s[60:61], v8, v61 src0_sel:BYTE_0 src1_sel:DWORD
	s_and_saveexec_b64 s[0:1], s[60:61]
	s_cbranch_execz .LBB1510_179
; %bb.182:                              ;   in Loop: Header=BB1510_180 Depth=1
	s_mov_b32 s69, 1
	s_mov_b64 s[60:61], 0
.LBB1510_183:                           ;   Parent Loop BB1510_180 Depth=1
                                        ; =>  This Loop Header: Depth=2
                                        ;       Child Loop BB1510_184 Depth 3
	s_max_u32 s75, s69, 1
.LBB1510_184:                           ;   Parent Loop BB1510_180 Depth=1
                                        ;     Parent Loop BB1510_183 Depth=2
                                        ; =>    This Inner Loop Header: Depth=3
	s_add_i32 s75, s75, -1
	s_cmp_eq_u32 s75, 0
	s_sleep 1
	s_cbranch_scc0 .LBB1510_184
; %bb.185:                              ;   in Loop: Header=BB1510_183 Depth=2
	s_cmp_lt_u32 s69, 32
	s_cselect_b64 s[76:77], -1, 0
	s_cmp_lg_u64 s[76:77], 0
	s_addc_u32 s69, s69, 0
	;;#ASMSTART
	global_load_dwordx4 v[6:9], v[62:63] off sc1	
s_waitcnt vmcnt(0)
	;;#ASMEND
	s_nop 0
	v_cmp_ne_u16_sdwa s[76:77], v8, v61 src0_sel:BYTE_0 src1_sel:DWORD
	s_or_b64 s[60:61], s[76:77], s[60:61]
	s_andn2_b64 exec, exec, s[60:61]
	s_cbranch_execnz .LBB1510_183
; %bb.186:                              ;   in Loop: Header=BB1510_180 Depth=1
	s_or_b64 exec, exec, s[60:61]
	v_and_b32_e32 v7, 0xff, v7
	s_branch .LBB1510_179
.LBB1510_187:                           ;   in Loop: Header=BB1510_180 Depth=1
                                        ; implicit-def: $vgpr7
                                        ; implicit-def: $vgpr6
                                        ; implicit-def: $vgpr8
	s_cbranch_execz .LBB1510_180
; %bb.188:
	s_and_saveexec_b64 s[0:1], s[50:51]
	s_cbranch_execz .LBB1510_190
; %bb.189:
	s_and_b32 s50, s68, 0xff
	s_cmp_eq_u32 s50, 0
	s_cselect_b64 vcc, -1, 0
	s_bitcmp1_b32 s68, 0
	s_mov_b32 s51, 0
	s_cselect_b64 s[58:59], -1, 0
	s_add_i32 s50, s67, 64
	s_lshl_b64 s[50:51], s[50:51], 4
	v_cndmask_b32_e32 v3, 0, v77, vcc
	s_add_u32 s50, s64, s50
	v_add_u32_e32 v2, v3, v2
	v_and_b32_e32 v3, 1, v75
	s_addc_u32 s51, s65, s51
	v_mov_b32_e32 v5, 0
	v_cndmask_b32_e64 v3, v3, 1, s[58:59]
	v_mov_b32_e32 v4, 2
	v_mov_b64_e32 v[6:7], s[50:51]
	;;#ASMSTART
	global_store_dwordx4 v[6:7], v[2:5] off sc1	
s_waitcnt vmcnt(0)
	;;#ASMEND
.LBB1510_190:
	s_or_b64 exec, exec, s[0:1]
	s_and_b64 exec, exec, s[52:53]
	s_cbranch_execz .LBB1510_192
; %bb.191:
	v_mov_b32_e32 v2, 0
	ds_write_b32 v2, v77
	ds_write_b8 v2, v75 offset:4
.LBB1510_192:
	s_or_b64 exec, exec, s[56:57]
	v_mov_b32_e32 v2, 0
	s_waitcnt lgkmcnt(0)
	s_barrier
	ds_read_b32 v3, v2
	v_cmp_eq_u16_sdwa vcc, v65, v2 src0_sel:BYTE_0 src1_sel:DWORD
	s_waitcnt lgkmcnt(0)
	s_nop 0
	v_cndmask_b32_e32 v4, 0, v3, vcc
	v_add_u32_e32 v4, v4, v64
	v_cndmask_b32_e64 v60, v4, v3, s[52:53]
	v_and_b32_e32 v3, 0xff, v13
	v_cmp_eq_u64_e32 vcc, 0, v[2:3]
	s_nop 1
	v_cndmask_b32_e32 v2, 0, v60, vcc
	v_add_u32_e32 v61, v2, v12
	v_cndmask_b32_e64 v2, 0, v61, s[6:7]
	v_add_u32_e32 v62, v2, v14
	v_cndmask_b32_e64 v2, 0, v62, s[8:9]
	v_add_u32_e32 v63, v2, v16
	v_cndmask_b32_e64 v2, 0, v63, s[10:11]
	v_add_u32_e32 v64, v2, v18
	v_cndmask_b32_e64 v2, 0, v64, s[12:13]
	v_add_u32_e32 v65, v2, v20
	v_cndmask_b32_e64 v2, 0, v65, s[14:15]
	v_add_u32_e32 v66, v2, v22
	v_cndmask_b32_e64 v2, 0, v66, s[16:17]
	v_add_u32_e32 v67, v2, v24
	v_cndmask_b32_e64 v2, 0, v67, s[18:19]
	v_add_u32_e32 v68, v2, v26
	v_cndmask_b32_e64 v2, 0, v68, s[20:21]
	v_add_u32_e32 v69, v2, v28
	v_cndmask_b32_e64 v2, 0, v69, s[22:23]
	v_add_u32_e32 v70, v2, v30
	v_cndmask_b32_e64 v2, 0, v70, s[24:25]
	v_add_u32_e32 v71, v2, v32
	v_cndmask_b32_e64 v2, 0, v71, s[26:27]
	v_add_u32_e32 v72, v2, v34
	v_cndmask_b32_e64 v2, 0, v72, s[28:29]
	v_add_u32_e32 v73, v2, v36
	v_cndmask_b32_e64 v2, 0, v73, s[30:31]
	v_add_u32_e32 v74, v2, v38
	v_cndmask_b32_e64 v2, 0, v74, s[34:35]
	v_add_u32_e32 v75, v2, v40
	v_cndmask_b32_e64 v2, 0, v75, s[36:37]
	v_add_u32_e32 v76, v2, v42
	v_cndmask_b32_e64 v2, 0, v76, s[38:39]
	v_add_u32_e32 v77, v2, v44
	v_cndmask_b32_e64 v2, 0, v77, s[40:41]
	v_add_u32_e32 v78, v2, v46
	v_cndmask_b32_e64 v2, 0, v78, s[42:43]
	v_add_u32_e32 v79, v2, v48
	v_cndmask_b32_e64 v2, 0, v79, s[44:45]
	v_add_u32_e32 v80, v2, v50
	v_cndmask_b32_e64 v2, 0, v80, s[46:47]
	v_add_u32_e32 v81, v2, v52
	v_cndmask_b32_e64 v2, 0, v81, s[48:49]
	v_add_u32_e32 v82, v2, v54
	s_branch .LBB1510_213
.LBB1510_193:
                                        ; implicit-def: $vgpr81
                                        ; implicit-def: $vgpr80
                                        ; implicit-def: $vgpr79
                                        ; implicit-def: $vgpr78
                                        ; implicit-def: $vgpr77
                                        ; implicit-def: $vgpr76
                                        ; implicit-def: $vgpr75
                                        ; implicit-def: $vgpr74
                                        ; implicit-def: $vgpr73
                                        ; implicit-def: $vgpr72
                                        ; implicit-def: $vgpr71
                                        ; implicit-def: $vgpr70
                                        ; implicit-def: $vgpr69
                                        ; implicit-def: $vgpr68
                                        ; implicit-def: $vgpr67
                                        ; implicit-def: $vgpr66
                                        ; implicit-def: $vgpr65
                                        ; implicit-def: $vgpr64
                                        ; implicit-def: $vgpr63
                                        ; implicit-def: $vgpr62
                                        ; implicit-def: $vgpr61
                                        ; implicit-def: $vgpr60
                                        ; implicit-def: $vgpr82
	s_cbranch_execz .LBB1510_213
; %bb.194:
	s_cmp_lg_u64 s[72:73], 0
	s_cselect_b32 s7, s71, 0
	s_cselect_b32 s6, s70, 0
	s_mov_b32 s0, 0
	s_cmp_eq_u64 s[6:7], 0
	v_mov_b32_e32 v4, s74
	s_cbranch_scc1 .LBB1510_196
; %bb.195:
	v_mov_b32_e32 v2, 0
	global_load_dword v4, v2, s[6:7]
.LBB1510_196:
	s_mov_b32 s1, 1
	v_cmp_gt_u64_e32 vcc, s[0:1], v[14:15]
	v_cmp_gt_u64_e64 s[6:7], s[0:1], v[16:17]
	v_cmp_gt_u64_e64 s[8:9], s[0:1], v[18:19]
	v_cndmask_b32_e32 v2, 0, v12, vcc
	v_add_u32_e32 v2, v2, v14
	v_cndmask_b32_e64 v2, 0, v2, s[6:7]
	v_add_u32_e32 v2, v2, v16
	v_cndmask_b32_e64 v2, 0, v2, s[8:9]
	v_add_u32_e32 v2, v2, v18
	v_cmp_gt_u64_e64 s[10:11], s[0:1], v[20:21]
	v_cmp_gt_u64_e64 s[12:13], s[0:1], v[22:23]
	v_cmp_gt_u64_e64 s[14:15], s[0:1], v[24:25]
	v_cndmask_b32_e64 v2, 0, v2, s[10:11]
	v_add_u32_e32 v2, v2, v20
	v_cndmask_b32_e64 v2, 0, v2, s[12:13]
	v_add_u32_e32 v2, v2, v22
	v_cndmask_b32_e64 v2, 0, v2, s[14:15]
	v_add_u32_e32 v2, v2, v24
	v_cmp_gt_u64_e64 s[16:17], s[0:1], v[26:27]
	v_cmp_gt_u64_e64 s[18:19], s[0:1], v[28:29]
	v_cmp_gt_u64_e64 s[20:21], s[0:1], v[30:31]
	v_cndmask_b32_e64 v2, 0, v2, s[16:17]
	;; [unrolled: 9-line block ×6, first 2 shown]
	v_add_u32_e32 v2, v2, v50
	v_cndmask_b32_e64 v2, 0, v2, s[44:45]
	v_add_u32_e32 v2, v2, v52
	v_cndmask_b32_e64 v2, 0, v2, s[46:47]
	v_add_u32_e32 v2, v2, v54
	v_cmp_gt_u64_e64 s[0:1], s[0:1], v[58:59]
	v_add_lshl_u32 v1, v1, v0, 3
	s_nop 0
	v_cndmask_b32_e64 v2, 0, v2, s[0:1]
	v_add_u32_e32 v5, v2, v58
	v_or3_b32 v2, v57, v53, v51
	v_or3_b32 v2, v2, v49, v47
	;; [unrolled: 1-line block ×10, first 2 shown]
	v_and_b32_e32 v2, 1, v2
	v_cmp_eq_u32_e64 s[0:1], 1, v2
	s_nop 1
	v_cndmask_b32_e64 v6, v13, 1, s[0:1]
	v_cmp_gt_u32_e64 s[0:1], 64, v0
	ds_write_b32 v1, v5
	ds_write_b8 v1, v6 offset:4
	s_waitcnt lgkmcnt(0)
	s_barrier
	s_and_saveexec_b64 s[48:49], s[0:1]
	s_cbranch_execz .LBB1510_208
; %bb.197:
	v_lshrrev_b32_e32 v1, 3, v0
	v_add_lshl_u32 v1, v1, v56, 3
	ds_read2_b32 v[8:9], v1 offset0:2 offset1:4
	ds_read_b64 v[2:3], v1
	ds_read_u8 v15, v1 offset:12
	ds_read_u8 v17, v1 offset:20
	ds_read_b32 v19, v1 offset:24
	ds_read_u8 v21, v1 offset:28
	v_mov_b32_e32 v23, 0
	s_waitcnt lgkmcnt(3)
	v_cmp_eq_u16_sdwa s[0:1], v15, v23 src0_sel:BYTE_0 src1_sel:DWORD
	v_and_b32_e32 v7, 1, v3
	s_nop 0
	v_cndmask_b32_e64 v25, 0, v2, s[0:1]
	v_add_u32_e32 v8, v25, v8
	s_waitcnt lgkmcnt(2)
	v_cmp_eq_u16_sdwa s[0:1], v17, v23 src0_sel:BYTE_0 src1_sel:DWORD
	s_nop 1
	v_cndmask_b32_e64 v8, 0, v8, s[0:1]
	v_add_u32_e32 v8, v8, v9
	s_waitcnt lgkmcnt(0)
	v_cmp_eq_u16_e64 s[0:1], 0, v21
	s_nop 1
	v_cndmask_b32_e64 v8, 0, v8, s[0:1]
	v_add_u32_e32 v9, v8, v19
	v_or_b32_e32 v8, v21, v17
	v_or_b32_e32 v8, v8, v15
	v_and_b32_e32 v8, 1, v8
	v_cmp_eq_u32_e64 s[0:1], 1, v8
	v_mbcnt_lo_u32_b32 v15, -1, 0
	v_and_b32_e32 v8, 0xffffff00, v3
	v_cndmask_b32_e64 v17, v7, 1, s[0:1]
	v_mbcnt_hi_u32_b32 v15, -1, v15
	v_and_b32_e32 v21, 15, v15
	v_or_b32_sdwa v19, v8, v17 dst_sel:DWORD dst_unused:UNUSED_PAD src0_sel:DWORD src1_sel:WORD_0
	v_mov_b32_dpp v23, v9 row_shr:1 row_mask:0xf bank_mask:0xf
	v_cmp_ne_u32_e64 s[0:1], 0, v21
	v_mov_b32_dpp v25, v19 row_shr:1 row_mask:0xf bank_mask:0xf
	s_and_saveexec_b64 s[50:51], s[0:1]
; %bb.198:
	v_and_b32_e32 v19, 1, v17
	v_and_b32_e32 v25, 1, v25
	v_cmp_eq_u32_e64 s[0:1], 1, v19
	s_nop 1
	v_cndmask_b32_e64 v25, v25, 1, s[0:1]
	v_cmp_eq_u16_e64 s[0:1], 0, v17
	v_or_b32_sdwa v19, v8, v25 dst_sel:DWORD dst_unused:UNUSED_PAD src0_sel:DWORD src1_sel:WORD_0
	s_nop 0
	v_cndmask_b32_e64 v17, 0, v23, s[0:1]
	v_add_u32_e32 v9, v17, v9
	v_mov_b32_e32 v17, v25
; %bb.199:
	s_or_b64 exec, exec, s[50:51]
	v_mov_b32_dpp v23, v9 row_shr:2 row_mask:0xf bank_mask:0xf
	v_mov_b32_dpp v25, v19 row_shr:2 row_mask:0xf bank_mask:0xf
	v_cmp_lt_u32_e64 s[0:1], 1, v21
	s_and_saveexec_b64 s[50:51], s[0:1]
; %bb.200:
	v_and_b32_e32 v19, 1, v17
	v_and_b32_e32 v25, 1, v25
	v_cmp_eq_u32_e64 s[0:1], 1, v19
	s_nop 1
	v_cndmask_b32_e64 v25, v25, 1, s[0:1]
	v_cmp_eq_u16_e64 s[0:1], 0, v17
	v_or_b32_sdwa v19, v8, v25 dst_sel:DWORD dst_unused:UNUSED_PAD src0_sel:DWORD src1_sel:WORD_0
	s_nop 0
	v_cndmask_b32_e64 v17, 0, v23, s[0:1]
	v_add_u32_e32 v9, v17, v9
	v_mov_b32_e32 v17, v25
; %bb.201:
	s_or_b64 exec, exec, s[50:51]
	v_mov_b32_dpp v23, v9 row_shr:4 row_mask:0xf bank_mask:0xf
	v_mov_b32_dpp v25, v19 row_shr:4 row_mask:0xf bank_mask:0xf
	v_cmp_lt_u32_e64 s[0:1], 3, v21
	s_and_saveexec_b64 s[50:51], s[0:1]
; %bb.202:
	v_and_b32_e32 v19, 1, v17
	v_and_b32_e32 v25, 1, v25
	v_cmp_eq_u32_e64 s[0:1], 1, v19
	s_nop 1
	v_cndmask_b32_e64 v25, v25, 1, s[0:1]
	v_cmp_eq_u16_e64 s[0:1], 0, v17
	v_or_b32_sdwa v19, v8, v25 dst_sel:DWORD dst_unused:UNUSED_PAD src0_sel:DWORD src1_sel:WORD_0
	s_nop 0
	v_cndmask_b32_e64 v17, 0, v23, s[0:1]
	v_add_u32_e32 v9, v17, v9
	v_mov_b32_e32 v17, v25
; %bb.203:
	s_or_b64 exec, exec, s[50:51]
	v_mov_b32_dpp v23, v9 row_shr:8 row_mask:0xf bank_mask:0xf
	v_mov_b32_dpp v25, v19 row_shr:8 row_mask:0xf bank_mask:0xf
	v_cmp_lt_u32_e64 s[0:1], 7, v21
	s_and_saveexec_b64 s[50:51], s[0:1]
; %bb.204:
	v_and_b32_e32 v19, 1, v17
	v_and_b32_e32 v21, 1, v25
	v_cmp_eq_u32_e64 s[0:1], 1, v19
	s_nop 1
	v_cndmask_b32_e64 v21, v21, 1, s[0:1]
	v_cmp_eq_u16_e64 s[0:1], 0, v17
	v_or_b32_sdwa v19, v8, v21 dst_sel:DWORD dst_unused:UNUSED_PAD src0_sel:DWORD src1_sel:WORD_0
	s_nop 0
	v_cndmask_b32_e64 v17, 0, v23, s[0:1]
	v_add_u32_e32 v9, v17, v9
	v_mov_b32_e32 v17, v21
; %bb.205:
	s_or_b64 exec, exec, s[50:51]
	v_and_b32_e32 v25, 16, v15
	v_mov_b32_dpp v21, v9 row_bcast:15 row_mask:0xf bank_mask:0xf
	v_mov_b32_dpp v23, v19 row_bcast:15 row_mask:0xf bank_mask:0xf
	v_cmp_ne_u32_e64 s[0:1], 0, v25
	s_and_saveexec_b64 s[50:51], s[0:1]
; %bb.206:
	v_and_b32_e32 v19, 1, v17
	v_and_b32_e32 v23, 1, v23
	v_cmp_eq_u32_e64 s[0:1], 1, v19
	s_nop 1
	v_cndmask_b32_e64 v23, v23, 1, s[0:1]
	v_cmp_eq_u16_e64 s[0:1], 0, v17
	v_or_b32_sdwa v19, v8, v23 dst_sel:DWORD dst_unused:UNUSED_PAD src0_sel:DWORD src1_sel:WORD_0
	s_nop 0
	v_cndmask_b32_e64 v17, 0, v21, s[0:1]
	v_add_u32_e32 v9, v17, v9
	v_mov_b32_e32 v17, v23
; %bb.207:
	s_or_b64 exec, exec, s[50:51]
	v_mov_b32_dpp v19, v19 row_bcast:31 row_mask:0xf bank_mask:0xf
	v_and_b32_e32 v23, 1, v17
	v_and_b32_e32 v19, 1, v19
	v_cmp_eq_u32_e64 s[0:1], 1, v23
	v_mov_b32_e32 v23, 0
	v_cmp_eq_u16_sdwa s[50:51], v17, v23 src0_sel:BYTE_0 src1_sel:DWORD
	v_cndmask_b32_e64 v19, v19, 1, s[0:1]
	v_cmp_lt_u32_e64 s[0:1], 31, v15
	v_mov_b32_dpp v21, v9 row_bcast:31 row_mask:0xf bank_mask:0xf
	s_movk_i32 s56, 0xff
	v_cndmask_b32_e64 v17, v17, v19, s[0:1]
	s_and_b64 s[0:1], s[0:1], s[50:51]
	v_cndmask_b32_e64 v19, 0, v21, s[0:1]
	v_add_u32_e32 v9, v19, v9
	v_add_u32_e32 v19, -1, v15
	v_and_b32_e32 v21, 64, v15
	v_cmp_lt_i32_e64 s[0:1], v19, v21
	v_and_or_b32 v8, v17, s56, v8
	s_nop 0
	v_cndmask_b32_e64 v15, v19, v15, s[0:1]
	v_lshlrev_b32_e32 v15, 2, v15
	ds_bpermute_b32 v9, v15, v9
	ds_bpermute_b32 v8, v15, v8
	v_cmp_eq_u16_sdwa s[0:1], v3, v23 src0_sel:BYTE_0 src1_sel:DWORD
	; wave barrier
	s_waitcnt lgkmcnt(1)
	s_nop 0
	v_cndmask_b32_e64 v3, 0, v9, s[0:1]
	v_add_u32_e32 v2, v3, v2
	s_waitcnt lgkmcnt(0)
	v_and_b32_e32 v3, 1, v8
	v_cmp_eq_u32_e64 s[0:1], 1, v7
	v_cndmask_b32_e64 v5, v2, v5, s[52:53]
	s_nop 0
	v_cndmask_b32_e64 v3, v3, 1, s[0:1]
	v_cndmask_b32_e64 v6, v3, v6, s[52:53]
	ds_write_b32 v1, v5
	ds_write_b8 v1, v6 offset:4
	; wave barrier
	ds_read_u8 v7, v1 offset:12
	ds_read2_b32 v[2:3], v1 offset0:2 offset1:4
	ds_read_u8 v8, v1 offset:20
	ds_read_b32 v9, v1 offset:24
	ds_read_u8 v15, v1 offset:28
	s_waitcnt lgkmcnt(4)
	v_cmp_eq_u16_e64 s[0:1], 0, v7
	s_nop 1
	v_cndmask_b32_e64 v5, 0, v5, s[0:1]
	s_waitcnt lgkmcnt(3)
	v_add_u32_e32 v2, v5, v2
	v_and_b32_e32 v5, 1, v7
	v_cmp_eq_u32_e64 s[0:1], 1, v5
	s_nop 1
	v_cndmask_b32_e64 v5, v6, 1, s[0:1]
	s_waitcnt lgkmcnt(2)
	v_cmp_eq_u16_e64 s[0:1], 0, v8
	ds_write_b8 v1, v5 offset:12
	s_nop 0
	v_cndmask_b32_e64 v6, 0, v2, s[0:1]
	v_add_u32_e32 v3, v6, v3
	v_and_b32_e32 v6, 1, v8
	v_cmp_eq_u32_e64 s[0:1], 1, v6
	s_nop 1
	v_cndmask_b32_e64 v5, v5, 1, s[0:1]
	s_waitcnt lgkmcnt(1)
	v_cmp_eq_u16_e64 s[0:1], 0, v15
	ds_write2_b32 v1, v2, v3 offset0:2 offset1:4
	ds_write_b8 v1, v5 offset:20
	v_cndmask_b32_e64 v2, 0, v3, s[0:1]
	v_and_b32_e32 v3, 1, v15
	v_add_u32_e32 v2, v2, v9
	v_cmp_eq_u32_e64 s[0:1], 1, v3
	s_nop 1
	v_cndmask_b32_e64 v3, v5, 1, s[0:1]
	ds_write_b32 v1, v2 offset:24
	ds_write_b8 v1, v3 offset:28
.LBB1510_208:
	s_or_b64 exec, exec, s[48:49]
	s_waitcnt vmcnt(0)
	v_mov_b32_e32 v60, v4
	s_waitcnt lgkmcnt(0)
	s_barrier
	s_and_saveexec_b64 s[48:49], s[4:5]
	s_cbranch_execz .LBB1510_210
; %bb.209:
	v_add_u32_e32 v1, -1, v0
	v_lshrrev_b32_e32 v2, 5, v1
	v_add_lshl_u32 v1, v2, v1, 3
	ds_read_u8 v2, v1 offset:4
	ds_read_b32 v1, v1
	s_waitcnt lgkmcnt(1)
	v_cmp_eq_u16_e64 s[0:1], 0, v2
	s_nop 1
	v_cndmask_b32_e64 v2, 0, v4, s[0:1]
	s_waitcnt lgkmcnt(0)
	v_add_u32_e32 v60, v2, v1
.LBB1510_210:
	s_or_b64 exec, exec, s[48:49]
	v_and_b32_e32 v3, 0xff, v13
	v_mov_b32_e32 v2, 0
	v_cmp_eq_u64_e64 s[0:1], 0, v[2:3]
	s_nop 1
	v_cndmask_b32_e64 v1, 0, v60, s[0:1]
	v_add_u32_e32 v61, v1, v12
	v_cndmask_b32_e32 v1, 0, v61, vcc
	v_add_u32_e32 v62, v1, v14
	v_cndmask_b32_e64 v1, 0, v62, s[6:7]
	v_add_u32_e32 v63, v1, v16
	v_cndmask_b32_e64 v1, 0, v63, s[8:9]
	;; [unrolled: 2-line block ×20, first 2 shown]
	s_and_saveexec_b64 s[0:1], s[52:53]
	s_cbranch_execz .LBB1510_212
; %bb.211:
	ds_read_u8 v3, v2 offset:2100
	ds_read_b32 v5, v2 offset:2096
	s_add_u32 s4, s64, 0x400
	s_addc_u32 s5, s65, 0
	v_mov_b32_e32 v6, 2
	s_waitcnt lgkmcnt(1)
	v_cmp_eq_u16_e32 vcc, 0, v3
	v_mov_b32_e32 v7, v2
	s_nop 0
	v_cndmask_b32_e32 v4, 0, v4, vcc
	s_waitcnt lgkmcnt(0)
	v_add_u32_e32 v4, v4, v5
	v_and_b32_e32 v5, 0xffff, v3
	v_mov_b64_e32 v[2:3], s[4:5]
	;;#ASMSTART
	global_store_dwordx4 v[2:3], v[4:7] off sc1	
s_waitcnt vmcnt(0)
	;;#ASMEND
.LBB1510_212:
	s_or_b64 exec, exec, s[0:1]
	v_add_u32_e32 v82, v1, v54
.LBB1510_213:
	s_add_u32 s0, s62, s54
	s_addc_u32 s1, s63, s55
	v_lshl_add_u64 v[2:3], s[0:1], 0, v[10:11]
	s_and_b64 vcc, exec, s[2:3]
	s_cbranch_vccz .LBB1510_259
; %bb.214:
	s_movk_i32 s0, 0x5c
	v_mul_i32_i24_e32 v28, 0xffffffa8, v0
	v_mul_u32_u24_e32 v1, 0x5c, v0
	v_mad_u32_u24 v4, v0, s0, v28
	s_barrier
	ds_write2_b32 v1, v60, v61 offset1:1
	ds_write2_b32 v1, v62, v63 offset0:2 offset1:3
	ds_write2_b32 v1, v64, v65 offset0:4 offset1:5
	ds_write2_b32 v1, v66, v67 offset0:6 offset1:7
	ds_write2_b32 v1, v68, v69 offset0:8 offset1:9
	ds_write2_b32 v1, v70, v71 offset0:10 offset1:11
	ds_write2_b32 v1, v72, v73 offset0:12 offset1:13
	ds_write2_b32 v1, v74, v75 offset0:14 offset1:15
	ds_write2_b32 v1, v76, v77 offset0:16 offset1:17
	ds_write2_b32 v1, v78, v79 offset0:18 offset1:19
	ds_write2_b32 v1, v80, v81 offset0:20 offset1:21
	ds_write_b32 v1, v82 offset:88
	s_waitcnt lgkmcnt(0)
	s_barrier
	ds_read2st64_b32 v[26:27], v4 offset0:4 offset1:8
	ds_read2st64_b32 v[24:25], v4 offset0:12 offset1:16
	;; [unrolled: 1-line block ×11, first 2 shown]
	s_add_i32 s33, s33, s66
	v_mov_b32_e32 v57, 0
	v_lshl_add_u64 v[6:7], v[2:3], 0, v[56:57]
	v_cmp_gt_u32_e32 vcc, s33, v0
	s_and_saveexec_b64 s[0:1], vcc
	s_cbranch_execz .LBB1510_216
; %bb.215:
	v_add_u32_e32 v1, v1, v28
	ds_read_b32 v1, v1
	s_waitcnt lgkmcnt(0)
	flat_store_dword v[6:7], v1
.LBB1510_216:
	s_or_b64 exec, exec, s[0:1]
	v_or_b32_e32 v1, 0x100, v0
	v_cmp_gt_u32_e32 vcc, s33, v1
	s_and_saveexec_b64 s[0:1], vcc
	s_cbranch_execz .LBB1510_218
; %bb.217:
	s_waitcnt lgkmcnt(0)
	flat_store_dword v[6:7], v26 offset:1024
.LBB1510_218:
	s_or_b64 exec, exec, s[0:1]
	v_or_b32_e32 v1, 0x200, v0
	v_cmp_gt_u32_e32 vcc, s33, v1
	s_and_saveexec_b64 s[0:1], vcc
	s_cbranch_execz .LBB1510_220
; %bb.219:
	s_waitcnt lgkmcnt(0)
	flat_store_dword v[6:7], v27 offset:2048
.LBB1510_220:
	;; [unrolled: 9-line block ×3, first 2 shown]
	s_or_b64 exec, exec, s[0:1]
	v_or_b32_e32 v1, 0x400, v0
	v_cmp_gt_u32_e32 vcc, s33, v1
	s_and_saveexec_b64 s[0:1], vcc
	s_cbranch_execz .LBB1510_224
; %bb.223:
	s_waitcnt lgkmcnt(0)
	v_add_co_u32_e32 v26, vcc, 0x1000, v6
	s_nop 1
	v_addc_co_u32_e32 v27, vcc, 0, v7, vcc
	flat_store_dword v[26:27], v25
.LBB1510_224:
	s_or_b64 exec, exec, s[0:1]
	v_or_b32_e32 v1, 0x500, v0
	v_cmp_gt_u32_e32 vcc, s33, v1
	s_and_saveexec_b64 s[0:1], vcc
	s_cbranch_execz .LBB1510_226
; %bb.225:
	s_waitcnt lgkmcnt(0)
	v_add_co_u32_e32 v24, vcc, 0x1000, v6
	s_nop 1
	v_addc_co_u32_e32 v25, vcc, 0, v7, vcc
	flat_store_dword v[24:25], v22 offset:1024
.LBB1510_226:
	s_or_b64 exec, exec, s[0:1]
	v_or_b32_e32 v1, 0x600, v0
	v_cmp_gt_u32_e32 vcc, s33, v1
	s_and_saveexec_b64 s[0:1], vcc
	s_cbranch_execz .LBB1510_228
; %bb.227:
	s_waitcnt lgkmcnt(0)
	v_add_co_u32_e32 v24, vcc, 0x1000, v6
	s_nop 1
	v_addc_co_u32_e32 v25, vcc, 0, v7, vcc
	flat_store_dword v[24:25], v23 offset:2048
.LBB1510_228:
	s_or_b64 exec, exec, s[0:1]
	v_or_b32_e32 v1, 0x700, v0
	v_cmp_gt_u32_e32 vcc, s33, v1
	s_and_saveexec_b64 s[0:1], vcc
	s_cbranch_execz .LBB1510_230
; %bb.229:
	s_waitcnt lgkmcnt(0)
	v_add_co_u32_e32 v22, vcc, 0x1000, v6
	s_nop 1
	v_addc_co_u32_e32 v23, vcc, 0, v7, vcc
	flat_store_dword v[22:23], v20 offset:3072
.LBB1510_230:
	s_or_b64 exec, exec, s[0:1]
	v_or_b32_e32 v1, 0x800, v0
	v_cmp_gt_u32_e32 vcc, s33, v1
	s_and_saveexec_b64 s[0:1], vcc
	s_cbranch_execz .LBB1510_232
; %bb.231:
	s_waitcnt lgkmcnt(0)
	v_add_co_u32_e32 v22, vcc, 0x2000, v6
	s_nop 1
	v_addc_co_u32_e32 v23, vcc, 0, v7, vcc
	flat_store_dword v[22:23], v21
.LBB1510_232:
	s_or_b64 exec, exec, s[0:1]
	v_or_b32_e32 v1, 0x900, v0
	v_cmp_gt_u32_e32 vcc, s33, v1
	s_and_saveexec_b64 s[0:1], vcc
	s_cbranch_execz .LBB1510_234
; %bb.233:
	s_waitcnt lgkmcnt(0)
	v_add_co_u32_e32 v20, vcc, 0x2000, v6
	s_nop 1
	v_addc_co_u32_e32 v21, vcc, 0, v7, vcc
	flat_store_dword v[20:21], v18 offset:1024
.LBB1510_234:
	s_or_b64 exec, exec, s[0:1]
	v_or_b32_e32 v1, 0xa00, v0
	v_cmp_gt_u32_e32 vcc, s33, v1
	s_and_saveexec_b64 s[0:1], vcc
	s_cbranch_execz .LBB1510_236
; %bb.235:
	s_waitcnt lgkmcnt(0)
	v_add_co_u32_e32 v20, vcc, 0x2000, v6
	s_nop 1
	v_addc_co_u32_e32 v21, vcc, 0, v7, vcc
	flat_store_dword v[20:21], v19 offset:2048
.LBB1510_236:
	s_or_b64 exec, exec, s[0:1]
	v_or_b32_e32 v1, 0xb00, v0
	v_cmp_gt_u32_e32 vcc, s33, v1
	s_and_saveexec_b64 s[0:1], vcc
	s_cbranch_execz .LBB1510_238
; %bb.237:
	s_waitcnt lgkmcnt(0)
	v_add_co_u32_e32 v18, vcc, 0x2000, v6
	s_nop 1
	v_addc_co_u32_e32 v19, vcc, 0, v7, vcc
	flat_store_dword v[18:19], v16 offset:3072
.LBB1510_238:
	;; [unrolled: 48-line block ×4, first 2 shown]
	s_or_b64 exec, exec, s[0:1]
	v_or_b32_e32 v1, 0x1400, v0
	v_cmp_gt_u32_e32 vcc, s33, v1
	s_and_saveexec_b64 s[0:1], vcc
	s_cbranch_execz .LBB1510_256
; %bb.255:
	s_waitcnt lgkmcnt(0)
	v_add_co_u32_e32 v10, vcc, 0x5000, v6
	s_nop 1
	v_addc_co_u32_e32 v11, vcc, 0, v7, vcc
	flat_store_dword v[10:11], v9
.LBB1510_256:
	s_or_b64 exec, exec, s[0:1]
	v_or_b32_e32 v1, 0x1500, v0
	v_cmp_gt_u32_e32 vcc, s33, v1
	s_and_saveexec_b64 s[0:1], vcc
	s_cbranch_execz .LBB1510_258
; %bb.257:
	v_add_co_u32_e32 v6, vcc, 0x5000, v6
	s_nop 1
	v_addc_co_u32_e32 v7, vcc, 0, v7, vcc
	s_waitcnt lgkmcnt(0)
	flat_store_dword v[6:7], v4 offset:1024
.LBB1510_258:
	s_or_b64 exec, exec, s[0:1]
	s_waitcnt lgkmcnt(0)
	v_or_b32_e32 v4, 0x1600, v0
	v_mov_b32_e32 v1, v57
	v_cmp_gt_u32_e64 s[0:1], s33, v4
	s_branch .LBB1510_261
.LBB1510_259:
	s_mov_b64 s[0:1], 0
                                        ; implicit-def: $vgpr5
	s_cbranch_execz .LBB1510_261
; %bb.260:
	v_mul_u32_u24_e32 v1, 0x5c, v0
	s_barrier
	s_movk_i32 s2, 0x5c
	ds_write2_b32 v1, v60, v61 offset1:1
	ds_write2_b32 v1, v62, v63 offset0:2 offset1:3
	ds_write2_b32 v1, v64, v65 offset0:4 offset1:5
	;; [unrolled: 1-line block ×10, first 2 shown]
	ds_write_b32 v1, v82 offset:88
	v_mov_b32_e32 v1, 0
	v_mul_i32_i24_e32 v4, 0xffffffa8, v0
	v_mad_u32_u24 v4, v0, s2, v4
	v_mov_b32_e32 v57, v1
	s_waitcnt lgkmcnt(0)
	s_barrier
	ds_read2st64_b32 v[6:7], v4 offset1:4
	ds_read2st64_b32 v[8:9], v4 offset0:8 offset1:12
	ds_read2st64_b32 v[10:11], v4 offset0:16 offset1:20
	;; [unrolled: 1-line block ×10, first 2 shown]
	ds_read_b32 v5, v4 offset:22528
	v_lshl_add_u64 v[28:29], v[2:3], 0, v[56:57]
	s_movk_i32 s2, 0x1000
	s_waitcnt lgkmcnt(0)
	flat_store_dword v[28:29], v6
	flat_store_dword v[28:29], v7 offset:1024
	flat_store_dword v[28:29], v8 offset:2048
	flat_store_dword v[28:29], v9 offset:3072
	v_add_co_u32_e32 v6, vcc, s2, v28
	s_movk_i32 s2, 0x2000
	s_nop 0
	v_addc_co_u32_e32 v7, vcc, 0, v29, vcc
	flat_store_dword v[6:7], v10
	flat_store_dword v[6:7], v11 offset:1024
	flat_store_dword v[6:7], v12 offset:2048
	flat_store_dword v[6:7], v13 offset:3072
	v_add_co_u32_e32 v6, vcc, s2, v28
	s_movk_i32 s2, 0x3000
	s_nop 0
	v_addc_co_u32_e32 v7, vcc, 0, v29, vcc
	flat_store_dword v[6:7], v14
	flat_store_dword v[6:7], v15 offset:1024
	flat_store_dword v[6:7], v16 offset:2048
	;; [unrolled: 1-line block ×3, first 2 shown]
	v_add_co_u32_e32 v6, vcc, s2, v28
	s_or_b64 s[0:1], s[0:1], exec
	s_nop 0
	v_addc_co_u32_e32 v7, vcc, 0, v29, vcc
	flat_store_dword v[6:7], v18
	flat_store_dword v[6:7], v19 offset:1024
	flat_store_dword v[6:7], v20 offset:2048
	;; [unrolled: 1-line block ×3, first 2 shown]
	v_add_co_u32_e32 v6, vcc, 0x4000, v28
	s_nop 1
	v_addc_co_u32_e32 v7, vcc, 0, v29, vcc
	flat_store_dword v[6:7], v22
	flat_store_dword v[6:7], v23 offset:1024
	flat_store_dword v[6:7], v24 offset:2048
	;; [unrolled: 1-line block ×3, first 2 shown]
	v_add_co_u32_e32 v6, vcc, 0x5000, v28
	s_nop 1
	v_addc_co_u32_e32 v7, vcc, 0, v29, vcc
	flat_store_dword v[6:7], v26
	flat_store_dword v[6:7], v27 offset:1024
.LBB1510_261:
	s_and_saveexec_b64 s[2:3], s[0:1]
	s_cbranch_execz .LBB1510_263
; %bb.262:
	v_lshl_add_u64 v[0:1], v[0:1], 2, v[2:3]
	v_add_co_u32_e32 v0, vcc, 0x5000, v0
	s_nop 1
	v_addc_co_u32_e32 v1, vcc, 0, v1, vcc
	flat_store_dword v[0:1], v5 offset:2048
	s_endpgm
.LBB1510_263:
	s_endpgm
	.section	.rodata,"a",@progbits
	.p2align	6, 0x0
	.amdhsa_kernel _ZN7rocprim17ROCPRIM_400000_NS6detail17trampoline_kernelINS0_14default_configENS1_27scan_by_key_config_selectorIijEEZZNS1_16scan_by_key_implILNS1_25lookback_scan_determinismE0ELb1ES3_N6thrust23THRUST_200600_302600_NS6detail15normal_iteratorINS9_10device_ptrIiEEEENSB_INSC_IjEEEESG_jNS9_4plusIvEENS9_8equal_toIvEEjEE10hipError_tPvRmT2_T3_T4_T5_mT6_T7_P12ihipStream_tbENKUlT_T0_E_clISt17integral_constantIbLb1EES11_EEDaSW_SX_EUlSW_E_NS1_11comp_targetILNS1_3genE5ELNS1_11target_archE942ELNS1_3gpuE9ELNS1_3repE0EEENS1_30default_config_static_selectorELNS0_4arch9wavefront6targetE1EEEvT1_
		.amdhsa_group_segment_fixed_size 25600
		.amdhsa_private_segment_fixed_size 0
		.amdhsa_kernarg_size 112
		.amdhsa_user_sgpr_count 2
		.amdhsa_user_sgpr_dispatch_ptr 0
		.amdhsa_user_sgpr_queue_ptr 0
		.amdhsa_user_sgpr_kernarg_segment_ptr 1
		.amdhsa_user_sgpr_dispatch_id 0
		.amdhsa_user_sgpr_kernarg_preload_length 0
		.amdhsa_user_sgpr_kernarg_preload_offset 0
		.amdhsa_user_sgpr_private_segment_size 0
		.amdhsa_uses_dynamic_stack 0
		.amdhsa_enable_private_segment 0
		.amdhsa_system_sgpr_workgroup_id_x 1
		.amdhsa_system_sgpr_workgroup_id_y 0
		.amdhsa_system_sgpr_workgroup_id_z 0
		.amdhsa_system_sgpr_workgroup_info 0
		.amdhsa_system_vgpr_workitem_id 0
		.amdhsa_next_free_vgpr 83
		.amdhsa_next_free_sgpr 80
		.amdhsa_accum_offset 84
		.amdhsa_reserve_vcc 1
		.amdhsa_float_round_mode_32 0
		.amdhsa_float_round_mode_16_64 0
		.amdhsa_float_denorm_mode_32 3
		.amdhsa_float_denorm_mode_16_64 3
		.amdhsa_dx10_clamp 1
		.amdhsa_ieee_mode 1
		.amdhsa_fp16_overflow 0
		.amdhsa_tg_split 0
		.amdhsa_exception_fp_ieee_invalid_op 0
		.amdhsa_exception_fp_denorm_src 0
		.amdhsa_exception_fp_ieee_div_zero 0
		.amdhsa_exception_fp_ieee_overflow 0
		.amdhsa_exception_fp_ieee_underflow 0
		.amdhsa_exception_fp_ieee_inexact 0
		.amdhsa_exception_int_div_zero 0
	.end_amdhsa_kernel
	.section	.text._ZN7rocprim17ROCPRIM_400000_NS6detail17trampoline_kernelINS0_14default_configENS1_27scan_by_key_config_selectorIijEEZZNS1_16scan_by_key_implILNS1_25lookback_scan_determinismE0ELb1ES3_N6thrust23THRUST_200600_302600_NS6detail15normal_iteratorINS9_10device_ptrIiEEEENSB_INSC_IjEEEESG_jNS9_4plusIvEENS9_8equal_toIvEEjEE10hipError_tPvRmT2_T3_T4_T5_mT6_T7_P12ihipStream_tbENKUlT_T0_E_clISt17integral_constantIbLb1EES11_EEDaSW_SX_EUlSW_E_NS1_11comp_targetILNS1_3genE5ELNS1_11target_archE942ELNS1_3gpuE9ELNS1_3repE0EEENS1_30default_config_static_selectorELNS0_4arch9wavefront6targetE1EEEvT1_,"axG",@progbits,_ZN7rocprim17ROCPRIM_400000_NS6detail17trampoline_kernelINS0_14default_configENS1_27scan_by_key_config_selectorIijEEZZNS1_16scan_by_key_implILNS1_25lookback_scan_determinismE0ELb1ES3_N6thrust23THRUST_200600_302600_NS6detail15normal_iteratorINS9_10device_ptrIiEEEENSB_INSC_IjEEEESG_jNS9_4plusIvEENS9_8equal_toIvEEjEE10hipError_tPvRmT2_T3_T4_T5_mT6_T7_P12ihipStream_tbENKUlT_T0_E_clISt17integral_constantIbLb1EES11_EEDaSW_SX_EUlSW_E_NS1_11comp_targetILNS1_3genE5ELNS1_11target_archE942ELNS1_3gpuE9ELNS1_3repE0EEENS1_30default_config_static_selectorELNS0_4arch9wavefront6targetE1EEEvT1_,comdat
.Lfunc_end1510:
	.size	_ZN7rocprim17ROCPRIM_400000_NS6detail17trampoline_kernelINS0_14default_configENS1_27scan_by_key_config_selectorIijEEZZNS1_16scan_by_key_implILNS1_25lookback_scan_determinismE0ELb1ES3_N6thrust23THRUST_200600_302600_NS6detail15normal_iteratorINS9_10device_ptrIiEEEENSB_INSC_IjEEEESG_jNS9_4plusIvEENS9_8equal_toIvEEjEE10hipError_tPvRmT2_T3_T4_T5_mT6_T7_P12ihipStream_tbENKUlT_T0_E_clISt17integral_constantIbLb1EES11_EEDaSW_SX_EUlSW_E_NS1_11comp_targetILNS1_3genE5ELNS1_11target_archE942ELNS1_3gpuE9ELNS1_3repE0EEENS1_30default_config_static_selectorELNS0_4arch9wavefront6targetE1EEEvT1_, .Lfunc_end1510-_ZN7rocprim17ROCPRIM_400000_NS6detail17trampoline_kernelINS0_14default_configENS1_27scan_by_key_config_selectorIijEEZZNS1_16scan_by_key_implILNS1_25lookback_scan_determinismE0ELb1ES3_N6thrust23THRUST_200600_302600_NS6detail15normal_iteratorINS9_10device_ptrIiEEEENSB_INSC_IjEEEESG_jNS9_4plusIvEENS9_8equal_toIvEEjEE10hipError_tPvRmT2_T3_T4_T5_mT6_T7_P12ihipStream_tbENKUlT_T0_E_clISt17integral_constantIbLb1EES11_EEDaSW_SX_EUlSW_E_NS1_11comp_targetILNS1_3genE5ELNS1_11target_archE942ELNS1_3gpuE9ELNS1_3repE0EEENS1_30default_config_static_selectorELNS0_4arch9wavefront6targetE1EEEvT1_
                                        ; -- End function
	.section	.AMDGPU.csdata,"",@progbits
; Kernel info:
; codeLenInByte = 15924
; NumSgprs: 86
; NumVgprs: 83
; NumAgprs: 0
; TotalNumVgprs: 83
; ScratchSize: 0
; MemoryBound: 0
; FloatMode: 240
; IeeeMode: 1
; LDSByteSize: 25600 bytes/workgroup (compile time only)
; SGPRBlocks: 10
; VGPRBlocks: 10
; NumSGPRsForWavesPerEU: 86
; NumVGPRsForWavesPerEU: 83
; AccumOffset: 84
; Occupancy: 2
; WaveLimiterHint : 1
; COMPUTE_PGM_RSRC2:SCRATCH_EN: 0
; COMPUTE_PGM_RSRC2:USER_SGPR: 2
; COMPUTE_PGM_RSRC2:TRAP_HANDLER: 0
; COMPUTE_PGM_RSRC2:TGID_X_EN: 1
; COMPUTE_PGM_RSRC2:TGID_Y_EN: 0
; COMPUTE_PGM_RSRC2:TGID_Z_EN: 0
; COMPUTE_PGM_RSRC2:TIDIG_COMP_CNT: 0
; COMPUTE_PGM_RSRC3_GFX90A:ACCUM_OFFSET: 20
; COMPUTE_PGM_RSRC3_GFX90A:TG_SPLIT: 0
	.section	.text._ZN7rocprim17ROCPRIM_400000_NS6detail17trampoline_kernelINS0_14default_configENS1_27scan_by_key_config_selectorIijEEZZNS1_16scan_by_key_implILNS1_25lookback_scan_determinismE0ELb1ES3_N6thrust23THRUST_200600_302600_NS6detail15normal_iteratorINS9_10device_ptrIiEEEENSB_INSC_IjEEEESG_jNS9_4plusIvEENS9_8equal_toIvEEjEE10hipError_tPvRmT2_T3_T4_T5_mT6_T7_P12ihipStream_tbENKUlT_T0_E_clISt17integral_constantIbLb1EES11_EEDaSW_SX_EUlSW_E_NS1_11comp_targetILNS1_3genE4ELNS1_11target_archE910ELNS1_3gpuE8ELNS1_3repE0EEENS1_30default_config_static_selectorELNS0_4arch9wavefront6targetE1EEEvT1_,"axG",@progbits,_ZN7rocprim17ROCPRIM_400000_NS6detail17trampoline_kernelINS0_14default_configENS1_27scan_by_key_config_selectorIijEEZZNS1_16scan_by_key_implILNS1_25lookback_scan_determinismE0ELb1ES3_N6thrust23THRUST_200600_302600_NS6detail15normal_iteratorINS9_10device_ptrIiEEEENSB_INSC_IjEEEESG_jNS9_4plusIvEENS9_8equal_toIvEEjEE10hipError_tPvRmT2_T3_T4_T5_mT6_T7_P12ihipStream_tbENKUlT_T0_E_clISt17integral_constantIbLb1EES11_EEDaSW_SX_EUlSW_E_NS1_11comp_targetILNS1_3genE4ELNS1_11target_archE910ELNS1_3gpuE8ELNS1_3repE0EEENS1_30default_config_static_selectorELNS0_4arch9wavefront6targetE1EEEvT1_,comdat
	.protected	_ZN7rocprim17ROCPRIM_400000_NS6detail17trampoline_kernelINS0_14default_configENS1_27scan_by_key_config_selectorIijEEZZNS1_16scan_by_key_implILNS1_25lookback_scan_determinismE0ELb1ES3_N6thrust23THRUST_200600_302600_NS6detail15normal_iteratorINS9_10device_ptrIiEEEENSB_INSC_IjEEEESG_jNS9_4plusIvEENS9_8equal_toIvEEjEE10hipError_tPvRmT2_T3_T4_T5_mT6_T7_P12ihipStream_tbENKUlT_T0_E_clISt17integral_constantIbLb1EES11_EEDaSW_SX_EUlSW_E_NS1_11comp_targetILNS1_3genE4ELNS1_11target_archE910ELNS1_3gpuE8ELNS1_3repE0EEENS1_30default_config_static_selectorELNS0_4arch9wavefront6targetE1EEEvT1_ ; -- Begin function _ZN7rocprim17ROCPRIM_400000_NS6detail17trampoline_kernelINS0_14default_configENS1_27scan_by_key_config_selectorIijEEZZNS1_16scan_by_key_implILNS1_25lookback_scan_determinismE0ELb1ES3_N6thrust23THRUST_200600_302600_NS6detail15normal_iteratorINS9_10device_ptrIiEEEENSB_INSC_IjEEEESG_jNS9_4plusIvEENS9_8equal_toIvEEjEE10hipError_tPvRmT2_T3_T4_T5_mT6_T7_P12ihipStream_tbENKUlT_T0_E_clISt17integral_constantIbLb1EES11_EEDaSW_SX_EUlSW_E_NS1_11comp_targetILNS1_3genE4ELNS1_11target_archE910ELNS1_3gpuE8ELNS1_3repE0EEENS1_30default_config_static_selectorELNS0_4arch9wavefront6targetE1EEEvT1_
	.globl	_ZN7rocprim17ROCPRIM_400000_NS6detail17trampoline_kernelINS0_14default_configENS1_27scan_by_key_config_selectorIijEEZZNS1_16scan_by_key_implILNS1_25lookback_scan_determinismE0ELb1ES3_N6thrust23THRUST_200600_302600_NS6detail15normal_iteratorINS9_10device_ptrIiEEEENSB_INSC_IjEEEESG_jNS9_4plusIvEENS9_8equal_toIvEEjEE10hipError_tPvRmT2_T3_T4_T5_mT6_T7_P12ihipStream_tbENKUlT_T0_E_clISt17integral_constantIbLb1EES11_EEDaSW_SX_EUlSW_E_NS1_11comp_targetILNS1_3genE4ELNS1_11target_archE910ELNS1_3gpuE8ELNS1_3repE0EEENS1_30default_config_static_selectorELNS0_4arch9wavefront6targetE1EEEvT1_
	.p2align	8
	.type	_ZN7rocprim17ROCPRIM_400000_NS6detail17trampoline_kernelINS0_14default_configENS1_27scan_by_key_config_selectorIijEEZZNS1_16scan_by_key_implILNS1_25lookback_scan_determinismE0ELb1ES3_N6thrust23THRUST_200600_302600_NS6detail15normal_iteratorINS9_10device_ptrIiEEEENSB_INSC_IjEEEESG_jNS9_4plusIvEENS9_8equal_toIvEEjEE10hipError_tPvRmT2_T3_T4_T5_mT6_T7_P12ihipStream_tbENKUlT_T0_E_clISt17integral_constantIbLb1EES11_EEDaSW_SX_EUlSW_E_NS1_11comp_targetILNS1_3genE4ELNS1_11target_archE910ELNS1_3gpuE8ELNS1_3repE0EEENS1_30default_config_static_selectorELNS0_4arch9wavefront6targetE1EEEvT1_,@function
_ZN7rocprim17ROCPRIM_400000_NS6detail17trampoline_kernelINS0_14default_configENS1_27scan_by_key_config_selectorIijEEZZNS1_16scan_by_key_implILNS1_25lookback_scan_determinismE0ELb1ES3_N6thrust23THRUST_200600_302600_NS6detail15normal_iteratorINS9_10device_ptrIiEEEENSB_INSC_IjEEEESG_jNS9_4plusIvEENS9_8equal_toIvEEjEE10hipError_tPvRmT2_T3_T4_T5_mT6_T7_P12ihipStream_tbENKUlT_T0_E_clISt17integral_constantIbLb1EES11_EEDaSW_SX_EUlSW_E_NS1_11comp_targetILNS1_3genE4ELNS1_11target_archE910ELNS1_3gpuE8ELNS1_3repE0EEENS1_30default_config_static_selectorELNS0_4arch9wavefront6targetE1EEEvT1_: ; @_ZN7rocprim17ROCPRIM_400000_NS6detail17trampoline_kernelINS0_14default_configENS1_27scan_by_key_config_selectorIijEEZZNS1_16scan_by_key_implILNS1_25lookback_scan_determinismE0ELb1ES3_N6thrust23THRUST_200600_302600_NS6detail15normal_iteratorINS9_10device_ptrIiEEEENSB_INSC_IjEEEESG_jNS9_4plusIvEENS9_8equal_toIvEEjEE10hipError_tPvRmT2_T3_T4_T5_mT6_T7_P12ihipStream_tbENKUlT_T0_E_clISt17integral_constantIbLb1EES11_EEDaSW_SX_EUlSW_E_NS1_11comp_targetILNS1_3genE4ELNS1_11target_archE910ELNS1_3gpuE8ELNS1_3repE0EEENS1_30default_config_static_selectorELNS0_4arch9wavefront6targetE1EEEvT1_
; %bb.0:
	.section	.rodata,"a",@progbits
	.p2align	6, 0x0
	.amdhsa_kernel _ZN7rocprim17ROCPRIM_400000_NS6detail17trampoline_kernelINS0_14default_configENS1_27scan_by_key_config_selectorIijEEZZNS1_16scan_by_key_implILNS1_25lookback_scan_determinismE0ELb1ES3_N6thrust23THRUST_200600_302600_NS6detail15normal_iteratorINS9_10device_ptrIiEEEENSB_INSC_IjEEEESG_jNS9_4plusIvEENS9_8equal_toIvEEjEE10hipError_tPvRmT2_T3_T4_T5_mT6_T7_P12ihipStream_tbENKUlT_T0_E_clISt17integral_constantIbLb1EES11_EEDaSW_SX_EUlSW_E_NS1_11comp_targetILNS1_3genE4ELNS1_11target_archE910ELNS1_3gpuE8ELNS1_3repE0EEENS1_30default_config_static_selectorELNS0_4arch9wavefront6targetE1EEEvT1_
		.amdhsa_group_segment_fixed_size 0
		.amdhsa_private_segment_fixed_size 0
		.amdhsa_kernarg_size 112
		.amdhsa_user_sgpr_count 2
		.amdhsa_user_sgpr_dispatch_ptr 0
		.amdhsa_user_sgpr_queue_ptr 0
		.amdhsa_user_sgpr_kernarg_segment_ptr 1
		.amdhsa_user_sgpr_dispatch_id 0
		.amdhsa_user_sgpr_kernarg_preload_length 0
		.amdhsa_user_sgpr_kernarg_preload_offset 0
		.amdhsa_user_sgpr_private_segment_size 0
		.amdhsa_uses_dynamic_stack 0
		.amdhsa_enable_private_segment 0
		.amdhsa_system_sgpr_workgroup_id_x 1
		.amdhsa_system_sgpr_workgroup_id_y 0
		.amdhsa_system_sgpr_workgroup_id_z 0
		.amdhsa_system_sgpr_workgroup_info 0
		.amdhsa_system_vgpr_workitem_id 0
		.amdhsa_next_free_vgpr 1
		.amdhsa_next_free_sgpr 0
		.amdhsa_accum_offset 4
		.amdhsa_reserve_vcc 0
		.amdhsa_float_round_mode_32 0
		.amdhsa_float_round_mode_16_64 0
		.amdhsa_float_denorm_mode_32 3
		.amdhsa_float_denorm_mode_16_64 3
		.amdhsa_dx10_clamp 1
		.amdhsa_ieee_mode 1
		.amdhsa_fp16_overflow 0
		.amdhsa_tg_split 0
		.amdhsa_exception_fp_ieee_invalid_op 0
		.amdhsa_exception_fp_denorm_src 0
		.amdhsa_exception_fp_ieee_div_zero 0
		.amdhsa_exception_fp_ieee_overflow 0
		.amdhsa_exception_fp_ieee_underflow 0
		.amdhsa_exception_fp_ieee_inexact 0
		.amdhsa_exception_int_div_zero 0
	.end_amdhsa_kernel
	.section	.text._ZN7rocprim17ROCPRIM_400000_NS6detail17trampoline_kernelINS0_14default_configENS1_27scan_by_key_config_selectorIijEEZZNS1_16scan_by_key_implILNS1_25lookback_scan_determinismE0ELb1ES3_N6thrust23THRUST_200600_302600_NS6detail15normal_iteratorINS9_10device_ptrIiEEEENSB_INSC_IjEEEESG_jNS9_4plusIvEENS9_8equal_toIvEEjEE10hipError_tPvRmT2_T3_T4_T5_mT6_T7_P12ihipStream_tbENKUlT_T0_E_clISt17integral_constantIbLb1EES11_EEDaSW_SX_EUlSW_E_NS1_11comp_targetILNS1_3genE4ELNS1_11target_archE910ELNS1_3gpuE8ELNS1_3repE0EEENS1_30default_config_static_selectorELNS0_4arch9wavefront6targetE1EEEvT1_,"axG",@progbits,_ZN7rocprim17ROCPRIM_400000_NS6detail17trampoline_kernelINS0_14default_configENS1_27scan_by_key_config_selectorIijEEZZNS1_16scan_by_key_implILNS1_25lookback_scan_determinismE0ELb1ES3_N6thrust23THRUST_200600_302600_NS6detail15normal_iteratorINS9_10device_ptrIiEEEENSB_INSC_IjEEEESG_jNS9_4plusIvEENS9_8equal_toIvEEjEE10hipError_tPvRmT2_T3_T4_T5_mT6_T7_P12ihipStream_tbENKUlT_T0_E_clISt17integral_constantIbLb1EES11_EEDaSW_SX_EUlSW_E_NS1_11comp_targetILNS1_3genE4ELNS1_11target_archE910ELNS1_3gpuE8ELNS1_3repE0EEENS1_30default_config_static_selectorELNS0_4arch9wavefront6targetE1EEEvT1_,comdat
.Lfunc_end1511:
	.size	_ZN7rocprim17ROCPRIM_400000_NS6detail17trampoline_kernelINS0_14default_configENS1_27scan_by_key_config_selectorIijEEZZNS1_16scan_by_key_implILNS1_25lookback_scan_determinismE0ELb1ES3_N6thrust23THRUST_200600_302600_NS6detail15normal_iteratorINS9_10device_ptrIiEEEENSB_INSC_IjEEEESG_jNS9_4plusIvEENS9_8equal_toIvEEjEE10hipError_tPvRmT2_T3_T4_T5_mT6_T7_P12ihipStream_tbENKUlT_T0_E_clISt17integral_constantIbLb1EES11_EEDaSW_SX_EUlSW_E_NS1_11comp_targetILNS1_3genE4ELNS1_11target_archE910ELNS1_3gpuE8ELNS1_3repE0EEENS1_30default_config_static_selectorELNS0_4arch9wavefront6targetE1EEEvT1_, .Lfunc_end1511-_ZN7rocprim17ROCPRIM_400000_NS6detail17trampoline_kernelINS0_14default_configENS1_27scan_by_key_config_selectorIijEEZZNS1_16scan_by_key_implILNS1_25lookback_scan_determinismE0ELb1ES3_N6thrust23THRUST_200600_302600_NS6detail15normal_iteratorINS9_10device_ptrIiEEEENSB_INSC_IjEEEESG_jNS9_4plusIvEENS9_8equal_toIvEEjEE10hipError_tPvRmT2_T3_T4_T5_mT6_T7_P12ihipStream_tbENKUlT_T0_E_clISt17integral_constantIbLb1EES11_EEDaSW_SX_EUlSW_E_NS1_11comp_targetILNS1_3genE4ELNS1_11target_archE910ELNS1_3gpuE8ELNS1_3repE0EEENS1_30default_config_static_selectorELNS0_4arch9wavefront6targetE1EEEvT1_
                                        ; -- End function
	.section	.AMDGPU.csdata,"",@progbits
; Kernel info:
; codeLenInByte = 0
; NumSgprs: 6
; NumVgprs: 0
; NumAgprs: 0
; TotalNumVgprs: 0
; ScratchSize: 0
; MemoryBound: 0
; FloatMode: 240
; IeeeMode: 1
; LDSByteSize: 0 bytes/workgroup (compile time only)
; SGPRBlocks: 0
; VGPRBlocks: 0
; NumSGPRsForWavesPerEU: 6
; NumVGPRsForWavesPerEU: 1
; AccumOffset: 4
; Occupancy: 8
; WaveLimiterHint : 0
; COMPUTE_PGM_RSRC2:SCRATCH_EN: 0
; COMPUTE_PGM_RSRC2:USER_SGPR: 2
; COMPUTE_PGM_RSRC2:TRAP_HANDLER: 0
; COMPUTE_PGM_RSRC2:TGID_X_EN: 1
; COMPUTE_PGM_RSRC2:TGID_Y_EN: 0
; COMPUTE_PGM_RSRC2:TGID_Z_EN: 0
; COMPUTE_PGM_RSRC2:TIDIG_COMP_CNT: 0
; COMPUTE_PGM_RSRC3_GFX90A:ACCUM_OFFSET: 0
; COMPUTE_PGM_RSRC3_GFX90A:TG_SPLIT: 0
	.section	.text._ZN7rocprim17ROCPRIM_400000_NS6detail17trampoline_kernelINS0_14default_configENS1_27scan_by_key_config_selectorIijEEZZNS1_16scan_by_key_implILNS1_25lookback_scan_determinismE0ELb1ES3_N6thrust23THRUST_200600_302600_NS6detail15normal_iteratorINS9_10device_ptrIiEEEENSB_INSC_IjEEEESG_jNS9_4plusIvEENS9_8equal_toIvEEjEE10hipError_tPvRmT2_T3_T4_T5_mT6_T7_P12ihipStream_tbENKUlT_T0_E_clISt17integral_constantIbLb1EES11_EEDaSW_SX_EUlSW_E_NS1_11comp_targetILNS1_3genE3ELNS1_11target_archE908ELNS1_3gpuE7ELNS1_3repE0EEENS1_30default_config_static_selectorELNS0_4arch9wavefront6targetE1EEEvT1_,"axG",@progbits,_ZN7rocprim17ROCPRIM_400000_NS6detail17trampoline_kernelINS0_14default_configENS1_27scan_by_key_config_selectorIijEEZZNS1_16scan_by_key_implILNS1_25lookback_scan_determinismE0ELb1ES3_N6thrust23THRUST_200600_302600_NS6detail15normal_iteratorINS9_10device_ptrIiEEEENSB_INSC_IjEEEESG_jNS9_4plusIvEENS9_8equal_toIvEEjEE10hipError_tPvRmT2_T3_T4_T5_mT6_T7_P12ihipStream_tbENKUlT_T0_E_clISt17integral_constantIbLb1EES11_EEDaSW_SX_EUlSW_E_NS1_11comp_targetILNS1_3genE3ELNS1_11target_archE908ELNS1_3gpuE7ELNS1_3repE0EEENS1_30default_config_static_selectorELNS0_4arch9wavefront6targetE1EEEvT1_,comdat
	.protected	_ZN7rocprim17ROCPRIM_400000_NS6detail17trampoline_kernelINS0_14default_configENS1_27scan_by_key_config_selectorIijEEZZNS1_16scan_by_key_implILNS1_25lookback_scan_determinismE0ELb1ES3_N6thrust23THRUST_200600_302600_NS6detail15normal_iteratorINS9_10device_ptrIiEEEENSB_INSC_IjEEEESG_jNS9_4plusIvEENS9_8equal_toIvEEjEE10hipError_tPvRmT2_T3_T4_T5_mT6_T7_P12ihipStream_tbENKUlT_T0_E_clISt17integral_constantIbLb1EES11_EEDaSW_SX_EUlSW_E_NS1_11comp_targetILNS1_3genE3ELNS1_11target_archE908ELNS1_3gpuE7ELNS1_3repE0EEENS1_30default_config_static_selectorELNS0_4arch9wavefront6targetE1EEEvT1_ ; -- Begin function _ZN7rocprim17ROCPRIM_400000_NS6detail17trampoline_kernelINS0_14default_configENS1_27scan_by_key_config_selectorIijEEZZNS1_16scan_by_key_implILNS1_25lookback_scan_determinismE0ELb1ES3_N6thrust23THRUST_200600_302600_NS6detail15normal_iteratorINS9_10device_ptrIiEEEENSB_INSC_IjEEEESG_jNS9_4plusIvEENS9_8equal_toIvEEjEE10hipError_tPvRmT2_T3_T4_T5_mT6_T7_P12ihipStream_tbENKUlT_T0_E_clISt17integral_constantIbLb1EES11_EEDaSW_SX_EUlSW_E_NS1_11comp_targetILNS1_3genE3ELNS1_11target_archE908ELNS1_3gpuE7ELNS1_3repE0EEENS1_30default_config_static_selectorELNS0_4arch9wavefront6targetE1EEEvT1_
	.globl	_ZN7rocprim17ROCPRIM_400000_NS6detail17trampoline_kernelINS0_14default_configENS1_27scan_by_key_config_selectorIijEEZZNS1_16scan_by_key_implILNS1_25lookback_scan_determinismE0ELb1ES3_N6thrust23THRUST_200600_302600_NS6detail15normal_iteratorINS9_10device_ptrIiEEEENSB_INSC_IjEEEESG_jNS9_4plusIvEENS9_8equal_toIvEEjEE10hipError_tPvRmT2_T3_T4_T5_mT6_T7_P12ihipStream_tbENKUlT_T0_E_clISt17integral_constantIbLb1EES11_EEDaSW_SX_EUlSW_E_NS1_11comp_targetILNS1_3genE3ELNS1_11target_archE908ELNS1_3gpuE7ELNS1_3repE0EEENS1_30default_config_static_selectorELNS0_4arch9wavefront6targetE1EEEvT1_
	.p2align	8
	.type	_ZN7rocprim17ROCPRIM_400000_NS6detail17trampoline_kernelINS0_14default_configENS1_27scan_by_key_config_selectorIijEEZZNS1_16scan_by_key_implILNS1_25lookback_scan_determinismE0ELb1ES3_N6thrust23THRUST_200600_302600_NS6detail15normal_iteratorINS9_10device_ptrIiEEEENSB_INSC_IjEEEESG_jNS9_4plusIvEENS9_8equal_toIvEEjEE10hipError_tPvRmT2_T3_T4_T5_mT6_T7_P12ihipStream_tbENKUlT_T0_E_clISt17integral_constantIbLb1EES11_EEDaSW_SX_EUlSW_E_NS1_11comp_targetILNS1_3genE3ELNS1_11target_archE908ELNS1_3gpuE7ELNS1_3repE0EEENS1_30default_config_static_selectorELNS0_4arch9wavefront6targetE1EEEvT1_,@function
_ZN7rocprim17ROCPRIM_400000_NS6detail17trampoline_kernelINS0_14default_configENS1_27scan_by_key_config_selectorIijEEZZNS1_16scan_by_key_implILNS1_25lookback_scan_determinismE0ELb1ES3_N6thrust23THRUST_200600_302600_NS6detail15normal_iteratorINS9_10device_ptrIiEEEENSB_INSC_IjEEEESG_jNS9_4plusIvEENS9_8equal_toIvEEjEE10hipError_tPvRmT2_T3_T4_T5_mT6_T7_P12ihipStream_tbENKUlT_T0_E_clISt17integral_constantIbLb1EES11_EEDaSW_SX_EUlSW_E_NS1_11comp_targetILNS1_3genE3ELNS1_11target_archE908ELNS1_3gpuE7ELNS1_3repE0EEENS1_30default_config_static_selectorELNS0_4arch9wavefront6targetE1EEEvT1_: ; @_ZN7rocprim17ROCPRIM_400000_NS6detail17trampoline_kernelINS0_14default_configENS1_27scan_by_key_config_selectorIijEEZZNS1_16scan_by_key_implILNS1_25lookback_scan_determinismE0ELb1ES3_N6thrust23THRUST_200600_302600_NS6detail15normal_iteratorINS9_10device_ptrIiEEEENSB_INSC_IjEEEESG_jNS9_4plusIvEENS9_8equal_toIvEEjEE10hipError_tPvRmT2_T3_T4_T5_mT6_T7_P12ihipStream_tbENKUlT_T0_E_clISt17integral_constantIbLb1EES11_EEDaSW_SX_EUlSW_E_NS1_11comp_targetILNS1_3genE3ELNS1_11target_archE908ELNS1_3gpuE7ELNS1_3repE0EEENS1_30default_config_static_selectorELNS0_4arch9wavefront6targetE1EEEvT1_
; %bb.0:
	.section	.rodata,"a",@progbits
	.p2align	6, 0x0
	.amdhsa_kernel _ZN7rocprim17ROCPRIM_400000_NS6detail17trampoline_kernelINS0_14default_configENS1_27scan_by_key_config_selectorIijEEZZNS1_16scan_by_key_implILNS1_25lookback_scan_determinismE0ELb1ES3_N6thrust23THRUST_200600_302600_NS6detail15normal_iteratorINS9_10device_ptrIiEEEENSB_INSC_IjEEEESG_jNS9_4plusIvEENS9_8equal_toIvEEjEE10hipError_tPvRmT2_T3_T4_T5_mT6_T7_P12ihipStream_tbENKUlT_T0_E_clISt17integral_constantIbLb1EES11_EEDaSW_SX_EUlSW_E_NS1_11comp_targetILNS1_3genE3ELNS1_11target_archE908ELNS1_3gpuE7ELNS1_3repE0EEENS1_30default_config_static_selectorELNS0_4arch9wavefront6targetE1EEEvT1_
		.amdhsa_group_segment_fixed_size 0
		.amdhsa_private_segment_fixed_size 0
		.amdhsa_kernarg_size 112
		.amdhsa_user_sgpr_count 2
		.amdhsa_user_sgpr_dispatch_ptr 0
		.amdhsa_user_sgpr_queue_ptr 0
		.amdhsa_user_sgpr_kernarg_segment_ptr 1
		.amdhsa_user_sgpr_dispatch_id 0
		.amdhsa_user_sgpr_kernarg_preload_length 0
		.amdhsa_user_sgpr_kernarg_preload_offset 0
		.amdhsa_user_sgpr_private_segment_size 0
		.amdhsa_uses_dynamic_stack 0
		.amdhsa_enable_private_segment 0
		.amdhsa_system_sgpr_workgroup_id_x 1
		.amdhsa_system_sgpr_workgroup_id_y 0
		.amdhsa_system_sgpr_workgroup_id_z 0
		.amdhsa_system_sgpr_workgroup_info 0
		.amdhsa_system_vgpr_workitem_id 0
		.amdhsa_next_free_vgpr 1
		.amdhsa_next_free_sgpr 0
		.amdhsa_accum_offset 4
		.amdhsa_reserve_vcc 0
		.amdhsa_float_round_mode_32 0
		.amdhsa_float_round_mode_16_64 0
		.amdhsa_float_denorm_mode_32 3
		.amdhsa_float_denorm_mode_16_64 3
		.amdhsa_dx10_clamp 1
		.amdhsa_ieee_mode 1
		.amdhsa_fp16_overflow 0
		.amdhsa_tg_split 0
		.amdhsa_exception_fp_ieee_invalid_op 0
		.amdhsa_exception_fp_denorm_src 0
		.amdhsa_exception_fp_ieee_div_zero 0
		.amdhsa_exception_fp_ieee_overflow 0
		.amdhsa_exception_fp_ieee_underflow 0
		.amdhsa_exception_fp_ieee_inexact 0
		.amdhsa_exception_int_div_zero 0
	.end_amdhsa_kernel
	.section	.text._ZN7rocprim17ROCPRIM_400000_NS6detail17trampoline_kernelINS0_14default_configENS1_27scan_by_key_config_selectorIijEEZZNS1_16scan_by_key_implILNS1_25lookback_scan_determinismE0ELb1ES3_N6thrust23THRUST_200600_302600_NS6detail15normal_iteratorINS9_10device_ptrIiEEEENSB_INSC_IjEEEESG_jNS9_4plusIvEENS9_8equal_toIvEEjEE10hipError_tPvRmT2_T3_T4_T5_mT6_T7_P12ihipStream_tbENKUlT_T0_E_clISt17integral_constantIbLb1EES11_EEDaSW_SX_EUlSW_E_NS1_11comp_targetILNS1_3genE3ELNS1_11target_archE908ELNS1_3gpuE7ELNS1_3repE0EEENS1_30default_config_static_selectorELNS0_4arch9wavefront6targetE1EEEvT1_,"axG",@progbits,_ZN7rocprim17ROCPRIM_400000_NS6detail17trampoline_kernelINS0_14default_configENS1_27scan_by_key_config_selectorIijEEZZNS1_16scan_by_key_implILNS1_25lookback_scan_determinismE0ELb1ES3_N6thrust23THRUST_200600_302600_NS6detail15normal_iteratorINS9_10device_ptrIiEEEENSB_INSC_IjEEEESG_jNS9_4plusIvEENS9_8equal_toIvEEjEE10hipError_tPvRmT2_T3_T4_T5_mT6_T7_P12ihipStream_tbENKUlT_T0_E_clISt17integral_constantIbLb1EES11_EEDaSW_SX_EUlSW_E_NS1_11comp_targetILNS1_3genE3ELNS1_11target_archE908ELNS1_3gpuE7ELNS1_3repE0EEENS1_30default_config_static_selectorELNS0_4arch9wavefront6targetE1EEEvT1_,comdat
.Lfunc_end1512:
	.size	_ZN7rocprim17ROCPRIM_400000_NS6detail17trampoline_kernelINS0_14default_configENS1_27scan_by_key_config_selectorIijEEZZNS1_16scan_by_key_implILNS1_25lookback_scan_determinismE0ELb1ES3_N6thrust23THRUST_200600_302600_NS6detail15normal_iteratorINS9_10device_ptrIiEEEENSB_INSC_IjEEEESG_jNS9_4plusIvEENS9_8equal_toIvEEjEE10hipError_tPvRmT2_T3_T4_T5_mT6_T7_P12ihipStream_tbENKUlT_T0_E_clISt17integral_constantIbLb1EES11_EEDaSW_SX_EUlSW_E_NS1_11comp_targetILNS1_3genE3ELNS1_11target_archE908ELNS1_3gpuE7ELNS1_3repE0EEENS1_30default_config_static_selectorELNS0_4arch9wavefront6targetE1EEEvT1_, .Lfunc_end1512-_ZN7rocprim17ROCPRIM_400000_NS6detail17trampoline_kernelINS0_14default_configENS1_27scan_by_key_config_selectorIijEEZZNS1_16scan_by_key_implILNS1_25lookback_scan_determinismE0ELb1ES3_N6thrust23THRUST_200600_302600_NS6detail15normal_iteratorINS9_10device_ptrIiEEEENSB_INSC_IjEEEESG_jNS9_4plusIvEENS9_8equal_toIvEEjEE10hipError_tPvRmT2_T3_T4_T5_mT6_T7_P12ihipStream_tbENKUlT_T0_E_clISt17integral_constantIbLb1EES11_EEDaSW_SX_EUlSW_E_NS1_11comp_targetILNS1_3genE3ELNS1_11target_archE908ELNS1_3gpuE7ELNS1_3repE0EEENS1_30default_config_static_selectorELNS0_4arch9wavefront6targetE1EEEvT1_
                                        ; -- End function
	.section	.AMDGPU.csdata,"",@progbits
; Kernel info:
; codeLenInByte = 0
; NumSgprs: 6
; NumVgprs: 0
; NumAgprs: 0
; TotalNumVgprs: 0
; ScratchSize: 0
; MemoryBound: 0
; FloatMode: 240
; IeeeMode: 1
; LDSByteSize: 0 bytes/workgroup (compile time only)
; SGPRBlocks: 0
; VGPRBlocks: 0
; NumSGPRsForWavesPerEU: 6
; NumVGPRsForWavesPerEU: 1
; AccumOffset: 4
; Occupancy: 8
; WaveLimiterHint : 0
; COMPUTE_PGM_RSRC2:SCRATCH_EN: 0
; COMPUTE_PGM_RSRC2:USER_SGPR: 2
; COMPUTE_PGM_RSRC2:TRAP_HANDLER: 0
; COMPUTE_PGM_RSRC2:TGID_X_EN: 1
; COMPUTE_PGM_RSRC2:TGID_Y_EN: 0
; COMPUTE_PGM_RSRC2:TGID_Z_EN: 0
; COMPUTE_PGM_RSRC2:TIDIG_COMP_CNT: 0
; COMPUTE_PGM_RSRC3_GFX90A:ACCUM_OFFSET: 0
; COMPUTE_PGM_RSRC3_GFX90A:TG_SPLIT: 0
	.section	.text._ZN7rocprim17ROCPRIM_400000_NS6detail17trampoline_kernelINS0_14default_configENS1_27scan_by_key_config_selectorIijEEZZNS1_16scan_by_key_implILNS1_25lookback_scan_determinismE0ELb1ES3_N6thrust23THRUST_200600_302600_NS6detail15normal_iteratorINS9_10device_ptrIiEEEENSB_INSC_IjEEEESG_jNS9_4plusIvEENS9_8equal_toIvEEjEE10hipError_tPvRmT2_T3_T4_T5_mT6_T7_P12ihipStream_tbENKUlT_T0_E_clISt17integral_constantIbLb1EES11_EEDaSW_SX_EUlSW_E_NS1_11comp_targetILNS1_3genE2ELNS1_11target_archE906ELNS1_3gpuE6ELNS1_3repE0EEENS1_30default_config_static_selectorELNS0_4arch9wavefront6targetE1EEEvT1_,"axG",@progbits,_ZN7rocprim17ROCPRIM_400000_NS6detail17trampoline_kernelINS0_14default_configENS1_27scan_by_key_config_selectorIijEEZZNS1_16scan_by_key_implILNS1_25lookback_scan_determinismE0ELb1ES3_N6thrust23THRUST_200600_302600_NS6detail15normal_iteratorINS9_10device_ptrIiEEEENSB_INSC_IjEEEESG_jNS9_4plusIvEENS9_8equal_toIvEEjEE10hipError_tPvRmT2_T3_T4_T5_mT6_T7_P12ihipStream_tbENKUlT_T0_E_clISt17integral_constantIbLb1EES11_EEDaSW_SX_EUlSW_E_NS1_11comp_targetILNS1_3genE2ELNS1_11target_archE906ELNS1_3gpuE6ELNS1_3repE0EEENS1_30default_config_static_selectorELNS0_4arch9wavefront6targetE1EEEvT1_,comdat
	.protected	_ZN7rocprim17ROCPRIM_400000_NS6detail17trampoline_kernelINS0_14default_configENS1_27scan_by_key_config_selectorIijEEZZNS1_16scan_by_key_implILNS1_25lookback_scan_determinismE0ELb1ES3_N6thrust23THRUST_200600_302600_NS6detail15normal_iteratorINS9_10device_ptrIiEEEENSB_INSC_IjEEEESG_jNS9_4plusIvEENS9_8equal_toIvEEjEE10hipError_tPvRmT2_T3_T4_T5_mT6_T7_P12ihipStream_tbENKUlT_T0_E_clISt17integral_constantIbLb1EES11_EEDaSW_SX_EUlSW_E_NS1_11comp_targetILNS1_3genE2ELNS1_11target_archE906ELNS1_3gpuE6ELNS1_3repE0EEENS1_30default_config_static_selectorELNS0_4arch9wavefront6targetE1EEEvT1_ ; -- Begin function _ZN7rocprim17ROCPRIM_400000_NS6detail17trampoline_kernelINS0_14default_configENS1_27scan_by_key_config_selectorIijEEZZNS1_16scan_by_key_implILNS1_25lookback_scan_determinismE0ELb1ES3_N6thrust23THRUST_200600_302600_NS6detail15normal_iteratorINS9_10device_ptrIiEEEENSB_INSC_IjEEEESG_jNS9_4plusIvEENS9_8equal_toIvEEjEE10hipError_tPvRmT2_T3_T4_T5_mT6_T7_P12ihipStream_tbENKUlT_T0_E_clISt17integral_constantIbLb1EES11_EEDaSW_SX_EUlSW_E_NS1_11comp_targetILNS1_3genE2ELNS1_11target_archE906ELNS1_3gpuE6ELNS1_3repE0EEENS1_30default_config_static_selectorELNS0_4arch9wavefront6targetE1EEEvT1_
	.globl	_ZN7rocprim17ROCPRIM_400000_NS6detail17trampoline_kernelINS0_14default_configENS1_27scan_by_key_config_selectorIijEEZZNS1_16scan_by_key_implILNS1_25lookback_scan_determinismE0ELb1ES3_N6thrust23THRUST_200600_302600_NS6detail15normal_iteratorINS9_10device_ptrIiEEEENSB_INSC_IjEEEESG_jNS9_4plusIvEENS9_8equal_toIvEEjEE10hipError_tPvRmT2_T3_T4_T5_mT6_T7_P12ihipStream_tbENKUlT_T0_E_clISt17integral_constantIbLb1EES11_EEDaSW_SX_EUlSW_E_NS1_11comp_targetILNS1_3genE2ELNS1_11target_archE906ELNS1_3gpuE6ELNS1_3repE0EEENS1_30default_config_static_selectorELNS0_4arch9wavefront6targetE1EEEvT1_
	.p2align	8
	.type	_ZN7rocprim17ROCPRIM_400000_NS6detail17trampoline_kernelINS0_14default_configENS1_27scan_by_key_config_selectorIijEEZZNS1_16scan_by_key_implILNS1_25lookback_scan_determinismE0ELb1ES3_N6thrust23THRUST_200600_302600_NS6detail15normal_iteratorINS9_10device_ptrIiEEEENSB_INSC_IjEEEESG_jNS9_4plusIvEENS9_8equal_toIvEEjEE10hipError_tPvRmT2_T3_T4_T5_mT6_T7_P12ihipStream_tbENKUlT_T0_E_clISt17integral_constantIbLb1EES11_EEDaSW_SX_EUlSW_E_NS1_11comp_targetILNS1_3genE2ELNS1_11target_archE906ELNS1_3gpuE6ELNS1_3repE0EEENS1_30default_config_static_selectorELNS0_4arch9wavefront6targetE1EEEvT1_,@function
_ZN7rocprim17ROCPRIM_400000_NS6detail17trampoline_kernelINS0_14default_configENS1_27scan_by_key_config_selectorIijEEZZNS1_16scan_by_key_implILNS1_25lookback_scan_determinismE0ELb1ES3_N6thrust23THRUST_200600_302600_NS6detail15normal_iteratorINS9_10device_ptrIiEEEENSB_INSC_IjEEEESG_jNS9_4plusIvEENS9_8equal_toIvEEjEE10hipError_tPvRmT2_T3_T4_T5_mT6_T7_P12ihipStream_tbENKUlT_T0_E_clISt17integral_constantIbLb1EES11_EEDaSW_SX_EUlSW_E_NS1_11comp_targetILNS1_3genE2ELNS1_11target_archE906ELNS1_3gpuE6ELNS1_3repE0EEENS1_30default_config_static_selectorELNS0_4arch9wavefront6targetE1EEEvT1_: ; @_ZN7rocprim17ROCPRIM_400000_NS6detail17trampoline_kernelINS0_14default_configENS1_27scan_by_key_config_selectorIijEEZZNS1_16scan_by_key_implILNS1_25lookback_scan_determinismE0ELb1ES3_N6thrust23THRUST_200600_302600_NS6detail15normal_iteratorINS9_10device_ptrIiEEEENSB_INSC_IjEEEESG_jNS9_4plusIvEENS9_8equal_toIvEEjEE10hipError_tPvRmT2_T3_T4_T5_mT6_T7_P12ihipStream_tbENKUlT_T0_E_clISt17integral_constantIbLb1EES11_EEDaSW_SX_EUlSW_E_NS1_11comp_targetILNS1_3genE2ELNS1_11target_archE906ELNS1_3gpuE6ELNS1_3repE0EEENS1_30default_config_static_selectorELNS0_4arch9wavefront6targetE1EEEvT1_
; %bb.0:
	.section	.rodata,"a",@progbits
	.p2align	6, 0x0
	.amdhsa_kernel _ZN7rocprim17ROCPRIM_400000_NS6detail17trampoline_kernelINS0_14default_configENS1_27scan_by_key_config_selectorIijEEZZNS1_16scan_by_key_implILNS1_25lookback_scan_determinismE0ELb1ES3_N6thrust23THRUST_200600_302600_NS6detail15normal_iteratorINS9_10device_ptrIiEEEENSB_INSC_IjEEEESG_jNS9_4plusIvEENS9_8equal_toIvEEjEE10hipError_tPvRmT2_T3_T4_T5_mT6_T7_P12ihipStream_tbENKUlT_T0_E_clISt17integral_constantIbLb1EES11_EEDaSW_SX_EUlSW_E_NS1_11comp_targetILNS1_3genE2ELNS1_11target_archE906ELNS1_3gpuE6ELNS1_3repE0EEENS1_30default_config_static_selectorELNS0_4arch9wavefront6targetE1EEEvT1_
		.amdhsa_group_segment_fixed_size 0
		.amdhsa_private_segment_fixed_size 0
		.amdhsa_kernarg_size 112
		.amdhsa_user_sgpr_count 2
		.amdhsa_user_sgpr_dispatch_ptr 0
		.amdhsa_user_sgpr_queue_ptr 0
		.amdhsa_user_sgpr_kernarg_segment_ptr 1
		.amdhsa_user_sgpr_dispatch_id 0
		.amdhsa_user_sgpr_kernarg_preload_length 0
		.amdhsa_user_sgpr_kernarg_preload_offset 0
		.amdhsa_user_sgpr_private_segment_size 0
		.amdhsa_uses_dynamic_stack 0
		.amdhsa_enable_private_segment 0
		.amdhsa_system_sgpr_workgroup_id_x 1
		.amdhsa_system_sgpr_workgroup_id_y 0
		.amdhsa_system_sgpr_workgroup_id_z 0
		.amdhsa_system_sgpr_workgroup_info 0
		.amdhsa_system_vgpr_workitem_id 0
		.amdhsa_next_free_vgpr 1
		.amdhsa_next_free_sgpr 0
		.amdhsa_accum_offset 4
		.amdhsa_reserve_vcc 0
		.amdhsa_float_round_mode_32 0
		.amdhsa_float_round_mode_16_64 0
		.amdhsa_float_denorm_mode_32 3
		.amdhsa_float_denorm_mode_16_64 3
		.amdhsa_dx10_clamp 1
		.amdhsa_ieee_mode 1
		.amdhsa_fp16_overflow 0
		.amdhsa_tg_split 0
		.amdhsa_exception_fp_ieee_invalid_op 0
		.amdhsa_exception_fp_denorm_src 0
		.amdhsa_exception_fp_ieee_div_zero 0
		.amdhsa_exception_fp_ieee_overflow 0
		.amdhsa_exception_fp_ieee_underflow 0
		.amdhsa_exception_fp_ieee_inexact 0
		.amdhsa_exception_int_div_zero 0
	.end_amdhsa_kernel
	.section	.text._ZN7rocprim17ROCPRIM_400000_NS6detail17trampoline_kernelINS0_14default_configENS1_27scan_by_key_config_selectorIijEEZZNS1_16scan_by_key_implILNS1_25lookback_scan_determinismE0ELb1ES3_N6thrust23THRUST_200600_302600_NS6detail15normal_iteratorINS9_10device_ptrIiEEEENSB_INSC_IjEEEESG_jNS9_4plusIvEENS9_8equal_toIvEEjEE10hipError_tPvRmT2_T3_T4_T5_mT6_T7_P12ihipStream_tbENKUlT_T0_E_clISt17integral_constantIbLb1EES11_EEDaSW_SX_EUlSW_E_NS1_11comp_targetILNS1_3genE2ELNS1_11target_archE906ELNS1_3gpuE6ELNS1_3repE0EEENS1_30default_config_static_selectorELNS0_4arch9wavefront6targetE1EEEvT1_,"axG",@progbits,_ZN7rocprim17ROCPRIM_400000_NS6detail17trampoline_kernelINS0_14default_configENS1_27scan_by_key_config_selectorIijEEZZNS1_16scan_by_key_implILNS1_25lookback_scan_determinismE0ELb1ES3_N6thrust23THRUST_200600_302600_NS6detail15normal_iteratorINS9_10device_ptrIiEEEENSB_INSC_IjEEEESG_jNS9_4plusIvEENS9_8equal_toIvEEjEE10hipError_tPvRmT2_T3_T4_T5_mT6_T7_P12ihipStream_tbENKUlT_T0_E_clISt17integral_constantIbLb1EES11_EEDaSW_SX_EUlSW_E_NS1_11comp_targetILNS1_3genE2ELNS1_11target_archE906ELNS1_3gpuE6ELNS1_3repE0EEENS1_30default_config_static_selectorELNS0_4arch9wavefront6targetE1EEEvT1_,comdat
.Lfunc_end1513:
	.size	_ZN7rocprim17ROCPRIM_400000_NS6detail17trampoline_kernelINS0_14default_configENS1_27scan_by_key_config_selectorIijEEZZNS1_16scan_by_key_implILNS1_25lookback_scan_determinismE0ELb1ES3_N6thrust23THRUST_200600_302600_NS6detail15normal_iteratorINS9_10device_ptrIiEEEENSB_INSC_IjEEEESG_jNS9_4plusIvEENS9_8equal_toIvEEjEE10hipError_tPvRmT2_T3_T4_T5_mT6_T7_P12ihipStream_tbENKUlT_T0_E_clISt17integral_constantIbLb1EES11_EEDaSW_SX_EUlSW_E_NS1_11comp_targetILNS1_3genE2ELNS1_11target_archE906ELNS1_3gpuE6ELNS1_3repE0EEENS1_30default_config_static_selectorELNS0_4arch9wavefront6targetE1EEEvT1_, .Lfunc_end1513-_ZN7rocprim17ROCPRIM_400000_NS6detail17trampoline_kernelINS0_14default_configENS1_27scan_by_key_config_selectorIijEEZZNS1_16scan_by_key_implILNS1_25lookback_scan_determinismE0ELb1ES3_N6thrust23THRUST_200600_302600_NS6detail15normal_iteratorINS9_10device_ptrIiEEEENSB_INSC_IjEEEESG_jNS9_4plusIvEENS9_8equal_toIvEEjEE10hipError_tPvRmT2_T3_T4_T5_mT6_T7_P12ihipStream_tbENKUlT_T0_E_clISt17integral_constantIbLb1EES11_EEDaSW_SX_EUlSW_E_NS1_11comp_targetILNS1_3genE2ELNS1_11target_archE906ELNS1_3gpuE6ELNS1_3repE0EEENS1_30default_config_static_selectorELNS0_4arch9wavefront6targetE1EEEvT1_
                                        ; -- End function
	.section	.AMDGPU.csdata,"",@progbits
; Kernel info:
; codeLenInByte = 0
; NumSgprs: 6
; NumVgprs: 0
; NumAgprs: 0
; TotalNumVgprs: 0
; ScratchSize: 0
; MemoryBound: 0
; FloatMode: 240
; IeeeMode: 1
; LDSByteSize: 0 bytes/workgroup (compile time only)
; SGPRBlocks: 0
; VGPRBlocks: 0
; NumSGPRsForWavesPerEU: 6
; NumVGPRsForWavesPerEU: 1
; AccumOffset: 4
; Occupancy: 8
; WaveLimiterHint : 0
; COMPUTE_PGM_RSRC2:SCRATCH_EN: 0
; COMPUTE_PGM_RSRC2:USER_SGPR: 2
; COMPUTE_PGM_RSRC2:TRAP_HANDLER: 0
; COMPUTE_PGM_RSRC2:TGID_X_EN: 1
; COMPUTE_PGM_RSRC2:TGID_Y_EN: 0
; COMPUTE_PGM_RSRC2:TGID_Z_EN: 0
; COMPUTE_PGM_RSRC2:TIDIG_COMP_CNT: 0
; COMPUTE_PGM_RSRC3_GFX90A:ACCUM_OFFSET: 0
; COMPUTE_PGM_RSRC3_GFX90A:TG_SPLIT: 0
	.section	.text._ZN7rocprim17ROCPRIM_400000_NS6detail17trampoline_kernelINS0_14default_configENS1_27scan_by_key_config_selectorIijEEZZNS1_16scan_by_key_implILNS1_25lookback_scan_determinismE0ELb1ES3_N6thrust23THRUST_200600_302600_NS6detail15normal_iteratorINS9_10device_ptrIiEEEENSB_INSC_IjEEEESG_jNS9_4plusIvEENS9_8equal_toIvEEjEE10hipError_tPvRmT2_T3_T4_T5_mT6_T7_P12ihipStream_tbENKUlT_T0_E_clISt17integral_constantIbLb1EES11_EEDaSW_SX_EUlSW_E_NS1_11comp_targetILNS1_3genE10ELNS1_11target_archE1200ELNS1_3gpuE4ELNS1_3repE0EEENS1_30default_config_static_selectorELNS0_4arch9wavefront6targetE1EEEvT1_,"axG",@progbits,_ZN7rocprim17ROCPRIM_400000_NS6detail17trampoline_kernelINS0_14default_configENS1_27scan_by_key_config_selectorIijEEZZNS1_16scan_by_key_implILNS1_25lookback_scan_determinismE0ELb1ES3_N6thrust23THRUST_200600_302600_NS6detail15normal_iteratorINS9_10device_ptrIiEEEENSB_INSC_IjEEEESG_jNS9_4plusIvEENS9_8equal_toIvEEjEE10hipError_tPvRmT2_T3_T4_T5_mT6_T7_P12ihipStream_tbENKUlT_T0_E_clISt17integral_constantIbLb1EES11_EEDaSW_SX_EUlSW_E_NS1_11comp_targetILNS1_3genE10ELNS1_11target_archE1200ELNS1_3gpuE4ELNS1_3repE0EEENS1_30default_config_static_selectorELNS0_4arch9wavefront6targetE1EEEvT1_,comdat
	.protected	_ZN7rocprim17ROCPRIM_400000_NS6detail17trampoline_kernelINS0_14default_configENS1_27scan_by_key_config_selectorIijEEZZNS1_16scan_by_key_implILNS1_25lookback_scan_determinismE0ELb1ES3_N6thrust23THRUST_200600_302600_NS6detail15normal_iteratorINS9_10device_ptrIiEEEENSB_INSC_IjEEEESG_jNS9_4plusIvEENS9_8equal_toIvEEjEE10hipError_tPvRmT2_T3_T4_T5_mT6_T7_P12ihipStream_tbENKUlT_T0_E_clISt17integral_constantIbLb1EES11_EEDaSW_SX_EUlSW_E_NS1_11comp_targetILNS1_3genE10ELNS1_11target_archE1200ELNS1_3gpuE4ELNS1_3repE0EEENS1_30default_config_static_selectorELNS0_4arch9wavefront6targetE1EEEvT1_ ; -- Begin function _ZN7rocprim17ROCPRIM_400000_NS6detail17trampoline_kernelINS0_14default_configENS1_27scan_by_key_config_selectorIijEEZZNS1_16scan_by_key_implILNS1_25lookback_scan_determinismE0ELb1ES3_N6thrust23THRUST_200600_302600_NS6detail15normal_iteratorINS9_10device_ptrIiEEEENSB_INSC_IjEEEESG_jNS9_4plusIvEENS9_8equal_toIvEEjEE10hipError_tPvRmT2_T3_T4_T5_mT6_T7_P12ihipStream_tbENKUlT_T0_E_clISt17integral_constantIbLb1EES11_EEDaSW_SX_EUlSW_E_NS1_11comp_targetILNS1_3genE10ELNS1_11target_archE1200ELNS1_3gpuE4ELNS1_3repE0EEENS1_30default_config_static_selectorELNS0_4arch9wavefront6targetE1EEEvT1_
	.globl	_ZN7rocprim17ROCPRIM_400000_NS6detail17trampoline_kernelINS0_14default_configENS1_27scan_by_key_config_selectorIijEEZZNS1_16scan_by_key_implILNS1_25lookback_scan_determinismE0ELb1ES3_N6thrust23THRUST_200600_302600_NS6detail15normal_iteratorINS9_10device_ptrIiEEEENSB_INSC_IjEEEESG_jNS9_4plusIvEENS9_8equal_toIvEEjEE10hipError_tPvRmT2_T3_T4_T5_mT6_T7_P12ihipStream_tbENKUlT_T0_E_clISt17integral_constantIbLb1EES11_EEDaSW_SX_EUlSW_E_NS1_11comp_targetILNS1_3genE10ELNS1_11target_archE1200ELNS1_3gpuE4ELNS1_3repE0EEENS1_30default_config_static_selectorELNS0_4arch9wavefront6targetE1EEEvT1_
	.p2align	8
	.type	_ZN7rocprim17ROCPRIM_400000_NS6detail17trampoline_kernelINS0_14default_configENS1_27scan_by_key_config_selectorIijEEZZNS1_16scan_by_key_implILNS1_25lookback_scan_determinismE0ELb1ES3_N6thrust23THRUST_200600_302600_NS6detail15normal_iteratorINS9_10device_ptrIiEEEENSB_INSC_IjEEEESG_jNS9_4plusIvEENS9_8equal_toIvEEjEE10hipError_tPvRmT2_T3_T4_T5_mT6_T7_P12ihipStream_tbENKUlT_T0_E_clISt17integral_constantIbLb1EES11_EEDaSW_SX_EUlSW_E_NS1_11comp_targetILNS1_3genE10ELNS1_11target_archE1200ELNS1_3gpuE4ELNS1_3repE0EEENS1_30default_config_static_selectorELNS0_4arch9wavefront6targetE1EEEvT1_,@function
_ZN7rocprim17ROCPRIM_400000_NS6detail17trampoline_kernelINS0_14default_configENS1_27scan_by_key_config_selectorIijEEZZNS1_16scan_by_key_implILNS1_25lookback_scan_determinismE0ELb1ES3_N6thrust23THRUST_200600_302600_NS6detail15normal_iteratorINS9_10device_ptrIiEEEENSB_INSC_IjEEEESG_jNS9_4plusIvEENS9_8equal_toIvEEjEE10hipError_tPvRmT2_T3_T4_T5_mT6_T7_P12ihipStream_tbENKUlT_T0_E_clISt17integral_constantIbLb1EES11_EEDaSW_SX_EUlSW_E_NS1_11comp_targetILNS1_3genE10ELNS1_11target_archE1200ELNS1_3gpuE4ELNS1_3repE0EEENS1_30default_config_static_selectorELNS0_4arch9wavefront6targetE1EEEvT1_: ; @_ZN7rocprim17ROCPRIM_400000_NS6detail17trampoline_kernelINS0_14default_configENS1_27scan_by_key_config_selectorIijEEZZNS1_16scan_by_key_implILNS1_25lookback_scan_determinismE0ELb1ES3_N6thrust23THRUST_200600_302600_NS6detail15normal_iteratorINS9_10device_ptrIiEEEENSB_INSC_IjEEEESG_jNS9_4plusIvEENS9_8equal_toIvEEjEE10hipError_tPvRmT2_T3_T4_T5_mT6_T7_P12ihipStream_tbENKUlT_T0_E_clISt17integral_constantIbLb1EES11_EEDaSW_SX_EUlSW_E_NS1_11comp_targetILNS1_3genE10ELNS1_11target_archE1200ELNS1_3gpuE4ELNS1_3repE0EEENS1_30default_config_static_selectorELNS0_4arch9wavefront6targetE1EEEvT1_
; %bb.0:
	.section	.rodata,"a",@progbits
	.p2align	6, 0x0
	.amdhsa_kernel _ZN7rocprim17ROCPRIM_400000_NS6detail17trampoline_kernelINS0_14default_configENS1_27scan_by_key_config_selectorIijEEZZNS1_16scan_by_key_implILNS1_25lookback_scan_determinismE0ELb1ES3_N6thrust23THRUST_200600_302600_NS6detail15normal_iteratorINS9_10device_ptrIiEEEENSB_INSC_IjEEEESG_jNS9_4plusIvEENS9_8equal_toIvEEjEE10hipError_tPvRmT2_T3_T4_T5_mT6_T7_P12ihipStream_tbENKUlT_T0_E_clISt17integral_constantIbLb1EES11_EEDaSW_SX_EUlSW_E_NS1_11comp_targetILNS1_3genE10ELNS1_11target_archE1200ELNS1_3gpuE4ELNS1_3repE0EEENS1_30default_config_static_selectorELNS0_4arch9wavefront6targetE1EEEvT1_
		.amdhsa_group_segment_fixed_size 0
		.amdhsa_private_segment_fixed_size 0
		.amdhsa_kernarg_size 112
		.amdhsa_user_sgpr_count 2
		.amdhsa_user_sgpr_dispatch_ptr 0
		.amdhsa_user_sgpr_queue_ptr 0
		.amdhsa_user_sgpr_kernarg_segment_ptr 1
		.amdhsa_user_sgpr_dispatch_id 0
		.amdhsa_user_sgpr_kernarg_preload_length 0
		.amdhsa_user_sgpr_kernarg_preload_offset 0
		.amdhsa_user_sgpr_private_segment_size 0
		.amdhsa_uses_dynamic_stack 0
		.amdhsa_enable_private_segment 0
		.amdhsa_system_sgpr_workgroup_id_x 1
		.amdhsa_system_sgpr_workgroup_id_y 0
		.amdhsa_system_sgpr_workgroup_id_z 0
		.amdhsa_system_sgpr_workgroup_info 0
		.amdhsa_system_vgpr_workitem_id 0
		.amdhsa_next_free_vgpr 1
		.amdhsa_next_free_sgpr 0
		.amdhsa_accum_offset 4
		.amdhsa_reserve_vcc 0
		.amdhsa_float_round_mode_32 0
		.amdhsa_float_round_mode_16_64 0
		.amdhsa_float_denorm_mode_32 3
		.amdhsa_float_denorm_mode_16_64 3
		.amdhsa_dx10_clamp 1
		.amdhsa_ieee_mode 1
		.amdhsa_fp16_overflow 0
		.amdhsa_tg_split 0
		.amdhsa_exception_fp_ieee_invalid_op 0
		.amdhsa_exception_fp_denorm_src 0
		.amdhsa_exception_fp_ieee_div_zero 0
		.amdhsa_exception_fp_ieee_overflow 0
		.amdhsa_exception_fp_ieee_underflow 0
		.amdhsa_exception_fp_ieee_inexact 0
		.amdhsa_exception_int_div_zero 0
	.end_amdhsa_kernel
	.section	.text._ZN7rocprim17ROCPRIM_400000_NS6detail17trampoline_kernelINS0_14default_configENS1_27scan_by_key_config_selectorIijEEZZNS1_16scan_by_key_implILNS1_25lookback_scan_determinismE0ELb1ES3_N6thrust23THRUST_200600_302600_NS6detail15normal_iteratorINS9_10device_ptrIiEEEENSB_INSC_IjEEEESG_jNS9_4plusIvEENS9_8equal_toIvEEjEE10hipError_tPvRmT2_T3_T4_T5_mT6_T7_P12ihipStream_tbENKUlT_T0_E_clISt17integral_constantIbLb1EES11_EEDaSW_SX_EUlSW_E_NS1_11comp_targetILNS1_3genE10ELNS1_11target_archE1200ELNS1_3gpuE4ELNS1_3repE0EEENS1_30default_config_static_selectorELNS0_4arch9wavefront6targetE1EEEvT1_,"axG",@progbits,_ZN7rocprim17ROCPRIM_400000_NS6detail17trampoline_kernelINS0_14default_configENS1_27scan_by_key_config_selectorIijEEZZNS1_16scan_by_key_implILNS1_25lookback_scan_determinismE0ELb1ES3_N6thrust23THRUST_200600_302600_NS6detail15normal_iteratorINS9_10device_ptrIiEEEENSB_INSC_IjEEEESG_jNS9_4plusIvEENS9_8equal_toIvEEjEE10hipError_tPvRmT2_T3_T4_T5_mT6_T7_P12ihipStream_tbENKUlT_T0_E_clISt17integral_constantIbLb1EES11_EEDaSW_SX_EUlSW_E_NS1_11comp_targetILNS1_3genE10ELNS1_11target_archE1200ELNS1_3gpuE4ELNS1_3repE0EEENS1_30default_config_static_selectorELNS0_4arch9wavefront6targetE1EEEvT1_,comdat
.Lfunc_end1514:
	.size	_ZN7rocprim17ROCPRIM_400000_NS6detail17trampoline_kernelINS0_14default_configENS1_27scan_by_key_config_selectorIijEEZZNS1_16scan_by_key_implILNS1_25lookback_scan_determinismE0ELb1ES3_N6thrust23THRUST_200600_302600_NS6detail15normal_iteratorINS9_10device_ptrIiEEEENSB_INSC_IjEEEESG_jNS9_4plusIvEENS9_8equal_toIvEEjEE10hipError_tPvRmT2_T3_T4_T5_mT6_T7_P12ihipStream_tbENKUlT_T0_E_clISt17integral_constantIbLb1EES11_EEDaSW_SX_EUlSW_E_NS1_11comp_targetILNS1_3genE10ELNS1_11target_archE1200ELNS1_3gpuE4ELNS1_3repE0EEENS1_30default_config_static_selectorELNS0_4arch9wavefront6targetE1EEEvT1_, .Lfunc_end1514-_ZN7rocprim17ROCPRIM_400000_NS6detail17trampoline_kernelINS0_14default_configENS1_27scan_by_key_config_selectorIijEEZZNS1_16scan_by_key_implILNS1_25lookback_scan_determinismE0ELb1ES3_N6thrust23THRUST_200600_302600_NS6detail15normal_iteratorINS9_10device_ptrIiEEEENSB_INSC_IjEEEESG_jNS9_4plusIvEENS9_8equal_toIvEEjEE10hipError_tPvRmT2_T3_T4_T5_mT6_T7_P12ihipStream_tbENKUlT_T0_E_clISt17integral_constantIbLb1EES11_EEDaSW_SX_EUlSW_E_NS1_11comp_targetILNS1_3genE10ELNS1_11target_archE1200ELNS1_3gpuE4ELNS1_3repE0EEENS1_30default_config_static_selectorELNS0_4arch9wavefront6targetE1EEEvT1_
                                        ; -- End function
	.section	.AMDGPU.csdata,"",@progbits
; Kernel info:
; codeLenInByte = 0
; NumSgprs: 6
; NumVgprs: 0
; NumAgprs: 0
; TotalNumVgprs: 0
; ScratchSize: 0
; MemoryBound: 0
; FloatMode: 240
; IeeeMode: 1
; LDSByteSize: 0 bytes/workgroup (compile time only)
; SGPRBlocks: 0
; VGPRBlocks: 0
; NumSGPRsForWavesPerEU: 6
; NumVGPRsForWavesPerEU: 1
; AccumOffset: 4
; Occupancy: 8
; WaveLimiterHint : 0
; COMPUTE_PGM_RSRC2:SCRATCH_EN: 0
; COMPUTE_PGM_RSRC2:USER_SGPR: 2
; COMPUTE_PGM_RSRC2:TRAP_HANDLER: 0
; COMPUTE_PGM_RSRC2:TGID_X_EN: 1
; COMPUTE_PGM_RSRC2:TGID_Y_EN: 0
; COMPUTE_PGM_RSRC2:TGID_Z_EN: 0
; COMPUTE_PGM_RSRC2:TIDIG_COMP_CNT: 0
; COMPUTE_PGM_RSRC3_GFX90A:ACCUM_OFFSET: 0
; COMPUTE_PGM_RSRC3_GFX90A:TG_SPLIT: 0
	.section	.text._ZN7rocprim17ROCPRIM_400000_NS6detail17trampoline_kernelINS0_14default_configENS1_27scan_by_key_config_selectorIijEEZZNS1_16scan_by_key_implILNS1_25lookback_scan_determinismE0ELb1ES3_N6thrust23THRUST_200600_302600_NS6detail15normal_iteratorINS9_10device_ptrIiEEEENSB_INSC_IjEEEESG_jNS9_4plusIvEENS9_8equal_toIvEEjEE10hipError_tPvRmT2_T3_T4_T5_mT6_T7_P12ihipStream_tbENKUlT_T0_E_clISt17integral_constantIbLb1EES11_EEDaSW_SX_EUlSW_E_NS1_11comp_targetILNS1_3genE9ELNS1_11target_archE1100ELNS1_3gpuE3ELNS1_3repE0EEENS1_30default_config_static_selectorELNS0_4arch9wavefront6targetE1EEEvT1_,"axG",@progbits,_ZN7rocprim17ROCPRIM_400000_NS6detail17trampoline_kernelINS0_14default_configENS1_27scan_by_key_config_selectorIijEEZZNS1_16scan_by_key_implILNS1_25lookback_scan_determinismE0ELb1ES3_N6thrust23THRUST_200600_302600_NS6detail15normal_iteratorINS9_10device_ptrIiEEEENSB_INSC_IjEEEESG_jNS9_4plusIvEENS9_8equal_toIvEEjEE10hipError_tPvRmT2_T3_T4_T5_mT6_T7_P12ihipStream_tbENKUlT_T0_E_clISt17integral_constantIbLb1EES11_EEDaSW_SX_EUlSW_E_NS1_11comp_targetILNS1_3genE9ELNS1_11target_archE1100ELNS1_3gpuE3ELNS1_3repE0EEENS1_30default_config_static_selectorELNS0_4arch9wavefront6targetE1EEEvT1_,comdat
	.protected	_ZN7rocprim17ROCPRIM_400000_NS6detail17trampoline_kernelINS0_14default_configENS1_27scan_by_key_config_selectorIijEEZZNS1_16scan_by_key_implILNS1_25lookback_scan_determinismE0ELb1ES3_N6thrust23THRUST_200600_302600_NS6detail15normal_iteratorINS9_10device_ptrIiEEEENSB_INSC_IjEEEESG_jNS9_4plusIvEENS9_8equal_toIvEEjEE10hipError_tPvRmT2_T3_T4_T5_mT6_T7_P12ihipStream_tbENKUlT_T0_E_clISt17integral_constantIbLb1EES11_EEDaSW_SX_EUlSW_E_NS1_11comp_targetILNS1_3genE9ELNS1_11target_archE1100ELNS1_3gpuE3ELNS1_3repE0EEENS1_30default_config_static_selectorELNS0_4arch9wavefront6targetE1EEEvT1_ ; -- Begin function _ZN7rocprim17ROCPRIM_400000_NS6detail17trampoline_kernelINS0_14default_configENS1_27scan_by_key_config_selectorIijEEZZNS1_16scan_by_key_implILNS1_25lookback_scan_determinismE0ELb1ES3_N6thrust23THRUST_200600_302600_NS6detail15normal_iteratorINS9_10device_ptrIiEEEENSB_INSC_IjEEEESG_jNS9_4plusIvEENS9_8equal_toIvEEjEE10hipError_tPvRmT2_T3_T4_T5_mT6_T7_P12ihipStream_tbENKUlT_T0_E_clISt17integral_constantIbLb1EES11_EEDaSW_SX_EUlSW_E_NS1_11comp_targetILNS1_3genE9ELNS1_11target_archE1100ELNS1_3gpuE3ELNS1_3repE0EEENS1_30default_config_static_selectorELNS0_4arch9wavefront6targetE1EEEvT1_
	.globl	_ZN7rocprim17ROCPRIM_400000_NS6detail17trampoline_kernelINS0_14default_configENS1_27scan_by_key_config_selectorIijEEZZNS1_16scan_by_key_implILNS1_25lookback_scan_determinismE0ELb1ES3_N6thrust23THRUST_200600_302600_NS6detail15normal_iteratorINS9_10device_ptrIiEEEENSB_INSC_IjEEEESG_jNS9_4plusIvEENS9_8equal_toIvEEjEE10hipError_tPvRmT2_T3_T4_T5_mT6_T7_P12ihipStream_tbENKUlT_T0_E_clISt17integral_constantIbLb1EES11_EEDaSW_SX_EUlSW_E_NS1_11comp_targetILNS1_3genE9ELNS1_11target_archE1100ELNS1_3gpuE3ELNS1_3repE0EEENS1_30default_config_static_selectorELNS0_4arch9wavefront6targetE1EEEvT1_
	.p2align	8
	.type	_ZN7rocprim17ROCPRIM_400000_NS6detail17trampoline_kernelINS0_14default_configENS1_27scan_by_key_config_selectorIijEEZZNS1_16scan_by_key_implILNS1_25lookback_scan_determinismE0ELb1ES3_N6thrust23THRUST_200600_302600_NS6detail15normal_iteratorINS9_10device_ptrIiEEEENSB_INSC_IjEEEESG_jNS9_4plusIvEENS9_8equal_toIvEEjEE10hipError_tPvRmT2_T3_T4_T5_mT6_T7_P12ihipStream_tbENKUlT_T0_E_clISt17integral_constantIbLb1EES11_EEDaSW_SX_EUlSW_E_NS1_11comp_targetILNS1_3genE9ELNS1_11target_archE1100ELNS1_3gpuE3ELNS1_3repE0EEENS1_30default_config_static_selectorELNS0_4arch9wavefront6targetE1EEEvT1_,@function
_ZN7rocprim17ROCPRIM_400000_NS6detail17trampoline_kernelINS0_14default_configENS1_27scan_by_key_config_selectorIijEEZZNS1_16scan_by_key_implILNS1_25lookback_scan_determinismE0ELb1ES3_N6thrust23THRUST_200600_302600_NS6detail15normal_iteratorINS9_10device_ptrIiEEEENSB_INSC_IjEEEESG_jNS9_4plusIvEENS9_8equal_toIvEEjEE10hipError_tPvRmT2_T3_T4_T5_mT6_T7_P12ihipStream_tbENKUlT_T0_E_clISt17integral_constantIbLb1EES11_EEDaSW_SX_EUlSW_E_NS1_11comp_targetILNS1_3genE9ELNS1_11target_archE1100ELNS1_3gpuE3ELNS1_3repE0EEENS1_30default_config_static_selectorELNS0_4arch9wavefront6targetE1EEEvT1_: ; @_ZN7rocprim17ROCPRIM_400000_NS6detail17trampoline_kernelINS0_14default_configENS1_27scan_by_key_config_selectorIijEEZZNS1_16scan_by_key_implILNS1_25lookback_scan_determinismE0ELb1ES3_N6thrust23THRUST_200600_302600_NS6detail15normal_iteratorINS9_10device_ptrIiEEEENSB_INSC_IjEEEESG_jNS9_4plusIvEENS9_8equal_toIvEEjEE10hipError_tPvRmT2_T3_T4_T5_mT6_T7_P12ihipStream_tbENKUlT_T0_E_clISt17integral_constantIbLb1EES11_EEDaSW_SX_EUlSW_E_NS1_11comp_targetILNS1_3genE9ELNS1_11target_archE1100ELNS1_3gpuE3ELNS1_3repE0EEENS1_30default_config_static_selectorELNS0_4arch9wavefront6targetE1EEEvT1_
; %bb.0:
	.section	.rodata,"a",@progbits
	.p2align	6, 0x0
	.amdhsa_kernel _ZN7rocprim17ROCPRIM_400000_NS6detail17trampoline_kernelINS0_14default_configENS1_27scan_by_key_config_selectorIijEEZZNS1_16scan_by_key_implILNS1_25lookback_scan_determinismE0ELb1ES3_N6thrust23THRUST_200600_302600_NS6detail15normal_iteratorINS9_10device_ptrIiEEEENSB_INSC_IjEEEESG_jNS9_4plusIvEENS9_8equal_toIvEEjEE10hipError_tPvRmT2_T3_T4_T5_mT6_T7_P12ihipStream_tbENKUlT_T0_E_clISt17integral_constantIbLb1EES11_EEDaSW_SX_EUlSW_E_NS1_11comp_targetILNS1_3genE9ELNS1_11target_archE1100ELNS1_3gpuE3ELNS1_3repE0EEENS1_30default_config_static_selectorELNS0_4arch9wavefront6targetE1EEEvT1_
		.amdhsa_group_segment_fixed_size 0
		.amdhsa_private_segment_fixed_size 0
		.amdhsa_kernarg_size 112
		.amdhsa_user_sgpr_count 2
		.amdhsa_user_sgpr_dispatch_ptr 0
		.amdhsa_user_sgpr_queue_ptr 0
		.amdhsa_user_sgpr_kernarg_segment_ptr 1
		.amdhsa_user_sgpr_dispatch_id 0
		.amdhsa_user_sgpr_kernarg_preload_length 0
		.amdhsa_user_sgpr_kernarg_preload_offset 0
		.amdhsa_user_sgpr_private_segment_size 0
		.amdhsa_uses_dynamic_stack 0
		.amdhsa_enable_private_segment 0
		.amdhsa_system_sgpr_workgroup_id_x 1
		.amdhsa_system_sgpr_workgroup_id_y 0
		.amdhsa_system_sgpr_workgroup_id_z 0
		.amdhsa_system_sgpr_workgroup_info 0
		.amdhsa_system_vgpr_workitem_id 0
		.amdhsa_next_free_vgpr 1
		.amdhsa_next_free_sgpr 0
		.amdhsa_accum_offset 4
		.amdhsa_reserve_vcc 0
		.amdhsa_float_round_mode_32 0
		.amdhsa_float_round_mode_16_64 0
		.amdhsa_float_denorm_mode_32 3
		.amdhsa_float_denorm_mode_16_64 3
		.amdhsa_dx10_clamp 1
		.amdhsa_ieee_mode 1
		.amdhsa_fp16_overflow 0
		.amdhsa_tg_split 0
		.amdhsa_exception_fp_ieee_invalid_op 0
		.amdhsa_exception_fp_denorm_src 0
		.amdhsa_exception_fp_ieee_div_zero 0
		.amdhsa_exception_fp_ieee_overflow 0
		.amdhsa_exception_fp_ieee_underflow 0
		.amdhsa_exception_fp_ieee_inexact 0
		.amdhsa_exception_int_div_zero 0
	.end_amdhsa_kernel
	.section	.text._ZN7rocprim17ROCPRIM_400000_NS6detail17trampoline_kernelINS0_14default_configENS1_27scan_by_key_config_selectorIijEEZZNS1_16scan_by_key_implILNS1_25lookback_scan_determinismE0ELb1ES3_N6thrust23THRUST_200600_302600_NS6detail15normal_iteratorINS9_10device_ptrIiEEEENSB_INSC_IjEEEESG_jNS9_4plusIvEENS9_8equal_toIvEEjEE10hipError_tPvRmT2_T3_T4_T5_mT6_T7_P12ihipStream_tbENKUlT_T0_E_clISt17integral_constantIbLb1EES11_EEDaSW_SX_EUlSW_E_NS1_11comp_targetILNS1_3genE9ELNS1_11target_archE1100ELNS1_3gpuE3ELNS1_3repE0EEENS1_30default_config_static_selectorELNS0_4arch9wavefront6targetE1EEEvT1_,"axG",@progbits,_ZN7rocprim17ROCPRIM_400000_NS6detail17trampoline_kernelINS0_14default_configENS1_27scan_by_key_config_selectorIijEEZZNS1_16scan_by_key_implILNS1_25lookback_scan_determinismE0ELb1ES3_N6thrust23THRUST_200600_302600_NS6detail15normal_iteratorINS9_10device_ptrIiEEEENSB_INSC_IjEEEESG_jNS9_4plusIvEENS9_8equal_toIvEEjEE10hipError_tPvRmT2_T3_T4_T5_mT6_T7_P12ihipStream_tbENKUlT_T0_E_clISt17integral_constantIbLb1EES11_EEDaSW_SX_EUlSW_E_NS1_11comp_targetILNS1_3genE9ELNS1_11target_archE1100ELNS1_3gpuE3ELNS1_3repE0EEENS1_30default_config_static_selectorELNS0_4arch9wavefront6targetE1EEEvT1_,comdat
.Lfunc_end1515:
	.size	_ZN7rocprim17ROCPRIM_400000_NS6detail17trampoline_kernelINS0_14default_configENS1_27scan_by_key_config_selectorIijEEZZNS1_16scan_by_key_implILNS1_25lookback_scan_determinismE0ELb1ES3_N6thrust23THRUST_200600_302600_NS6detail15normal_iteratorINS9_10device_ptrIiEEEENSB_INSC_IjEEEESG_jNS9_4plusIvEENS9_8equal_toIvEEjEE10hipError_tPvRmT2_T3_T4_T5_mT6_T7_P12ihipStream_tbENKUlT_T0_E_clISt17integral_constantIbLb1EES11_EEDaSW_SX_EUlSW_E_NS1_11comp_targetILNS1_3genE9ELNS1_11target_archE1100ELNS1_3gpuE3ELNS1_3repE0EEENS1_30default_config_static_selectorELNS0_4arch9wavefront6targetE1EEEvT1_, .Lfunc_end1515-_ZN7rocprim17ROCPRIM_400000_NS6detail17trampoline_kernelINS0_14default_configENS1_27scan_by_key_config_selectorIijEEZZNS1_16scan_by_key_implILNS1_25lookback_scan_determinismE0ELb1ES3_N6thrust23THRUST_200600_302600_NS6detail15normal_iteratorINS9_10device_ptrIiEEEENSB_INSC_IjEEEESG_jNS9_4plusIvEENS9_8equal_toIvEEjEE10hipError_tPvRmT2_T3_T4_T5_mT6_T7_P12ihipStream_tbENKUlT_T0_E_clISt17integral_constantIbLb1EES11_EEDaSW_SX_EUlSW_E_NS1_11comp_targetILNS1_3genE9ELNS1_11target_archE1100ELNS1_3gpuE3ELNS1_3repE0EEENS1_30default_config_static_selectorELNS0_4arch9wavefront6targetE1EEEvT1_
                                        ; -- End function
	.section	.AMDGPU.csdata,"",@progbits
; Kernel info:
; codeLenInByte = 0
; NumSgprs: 6
; NumVgprs: 0
; NumAgprs: 0
; TotalNumVgprs: 0
; ScratchSize: 0
; MemoryBound: 0
; FloatMode: 240
; IeeeMode: 1
; LDSByteSize: 0 bytes/workgroup (compile time only)
; SGPRBlocks: 0
; VGPRBlocks: 0
; NumSGPRsForWavesPerEU: 6
; NumVGPRsForWavesPerEU: 1
; AccumOffset: 4
; Occupancy: 8
; WaveLimiterHint : 0
; COMPUTE_PGM_RSRC2:SCRATCH_EN: 0
; COMPUTE_PGM_RSRC2:USER_SGPR: 2
; COMPUTE_PGM_RSRC2:TRAP_HANDLER: 0
; COMPUTE_PGM_RSRC2:TGID_X_EN: 1
; COMPUTE_PGM_RSRC2:TGID_Y_EN: 0
; COMPUTE_PGM_RSRC2:TGID_Z_EN: 0
; COMPUTE_PGM_RSRC2:TIDIG_COMP_CNT: 0
; COMPUTE_PGM_RSRC3_GFX90A:ACCUM_OFFSET: 0
; COMPUTE_PGM_RSRC3_GFX90A:TG_SPLIT: 0
	.section	.text._ZN7rocprim17ROCPRIM_400000_NS6detail17trampoline_kernelINS0_14default_configENS1_27scan_by_key_config_selectorIijEEZZNS1_16scan_by_key_implILNS1_25lookback_scan_determinismE0ELb1ES3_N6thrust23THRUST_200600_302600_NS6detail15normal_iteratorINS9_10device_ptrIiEEEENSB_INSC_IjEEEESG_jNS9_4plusIvEENS9_8equal_toIvEEjEE10hipError_tPvRmT2_T3_T4_T5_mT6_T7_P12ihipStream_tbENKUlT_T0_E_clISt17integral_constantIbLb1EES11_EEDaSW_SX_EUlSW_E_NS1_11comp_targetILNS1_3genE8ELNS1_11target_archE1030ELNS1_3gpuE2ELNS1_3repE0EEENS1_30default_config_static_selectorELNS0_4arch9wavefront6targetE1EEEvT1_,"axG",@progbits,_ZN7rocprim17ROCPRIM_400000_NS6detail17trampoline_kernelINS0_14default_configENS1_27scan_by_key_config_selectorIijEEZZNS1_16scan_by_key_implILNS1_25lookback_scan_determinismE0ELb1ES3_N6thrust23THRUST_200600_302600_NS6detail15normal_iteratorINS9_10device_ptrIiEEEENSB_INSC_IjEEEESG_jNS9_4plusIvEENS9_8equal_toIvEEjEE10hipError_tPvRmT2_T3_T4_T5_mT6_T7_P12ihipStream_tbENKUlT_T0_E_clISt17integral_constantIbLb1EES11_EEDaSW_SX_EUlSW_E_NS1_11comp_targetILNS1_3genE8ELNS1_11target_archE1030ELNS1_3gpuE2ELNS1_3repE0EEENS1_30default_config_static_selectorELNS0_4arch9wavefront6targetE1EEEvT1_,comdat
	.protected	_ZN7rocprim17ROCPRIM_400000_NS6detail17trampoline_kernelINS0_14default_configENS1_27scan_by_key_config_selectorIijEEZZNS1_16scan_by_key_implILNS1_25lookback_scan_determinismE0ELb1ES3_N6thrust23THRUST_200600_302600_NS6detail15normal_iteratorINS9_10device_ptrIiEEEENSB_INSC_IjEEEESG_jNS9_4plusIvEENS9_8equal_toIvEEjEE10hipError_tPvRmT2_T3_T4_T5_mT6_T7_P12ihipStream_tbENKUlT_T0_E_clISt17integral_constantIbLb1EES11_EEDaSW_SX_EUlSW_E_NS1_11comp_targetILNS1_3genE8ELNS1_11target_archE1030ELNS1_3gpuE2ELNS1_3repE0EEENS1_30default_config_static_selectorELNS0_4arch9wavefront6targetE1EEEvT1_ ; -- Begin function _ZN7rocprim17ROCPRIM_400000_NS6detail17trampoline_kernelINS0_14default_configENS1_27scan_by_key_config_selectorIijEEZZNS1_16scan_by_key_implILNS1_25lookback_scan_determinismE0ELb1ES3_N6thrust23THRUST_200600_302600_NS6detail15normal_iteratorINS9_10device_ptrIiEEEENSB_INSC_IjEEEESG_jNS9_4plusIvEENS9_8equal_toIvEEjEE10hipError_tPvRmT2_T3_T4_T5_mT6_T7_P12ihipStream_tbENKUlT_T0_E_clISt17integral_constantIbLb1EES11_EEDaSW_SX_EUlSW_E_NS1_11comp_targetILNS1_3genE8ELNS1_11target_archE1030ELNS1_3gpuE2ELNS1_3repE0EEENS1_30default_config_static_selectorELNS0_4arch9wavefront6targetE1EEEvT1_
	.globl	_ZN7rocprim17ROCPRIM_400000_NS6detail17trampoline_kernelINS0_14default_configENS1_27scan_by_key_config_selectorIijEEZZNS1_16scan_by_key_implILNS1_25lookback_scan_determinismE0ELb1ES3_N6thrust23THRUST_200600_302600_NS6detail15normal_iteratorINS9_10device_ptrIiEEEENSB_INSC_IjEEEESG_jNS9_4plusIvEENS9_8equal_toIvEEjEE10hipError_tPvRmT2_T3_T4_T5_mT6_T7_P12ihipStream_tbENKUlT_T0_E_clISt17integral_constantIbLb1EES11_EEDaSW_SX_EUlSW_E_NS1_11comp_targetILNS1_3genE8ELNS1_11target_archE1030ELNS1_3gpuE2ELNS1_3repE0EEENS1_30default_config_static_selectorELNS0_4arch9wavefront6targetE1EEEvT1_
	.p2align	8
	.type	_ZN7rocprim17ROCPRIM_400000_NS6detail17trampoline_kernelINS0_14default_configENS1_27scan_by_key_config_selectorIijEEZZNS1_16scan_by_key_implILNS1_25lookback_scan_determinismE0ELb1ES3_N6thrust23THRUST_200600_302600_NS6detail15normal_iteratorINS9_10device_ptrIiEEEENSB_INSC_IjEEEESG_jNS9_4plusIvEENS9_8equal_toIvEEjEE10hipError_tPvRmT2_T3_T4_T5_mT6_T7_P12ihipStream_tbENKUlT_T0_E_clISt17integral_constantIbLb1EES11_EEDaSW_SX_EUlSW_E_NS1_11comp_targetILNS1_3genE8ELNS1_11target_archE1030ELNS1_3gpuE2ELNS1_3repE0EEENS1_30default_config_static_selectorELNS0_4arch9wavefront6targetE1EEEvT1_,@function
_ZN7rocprim17ROCPRIM_400000_NS6detail17trampoline_kernelINS0_14default_configENS1_27scan_by_key_config_selectorIijEEZZNS1_16scan_by_key_implILNS1_25lookback_scan_determinismE0ELb1ES3_N6thrust23THRUST_200600_302600_NS6detail15normal_iteratorINS9_10device_ptrIiEEEENSB_INSC_IjEEEESG_jNS9_4plusIvEENS9_8equal_toIvEEjEE10hipError_tPvRmT2_T3_T4_T5_mT6_T7_P12ihipStream_tbENKUlT_T0_E_clISt17integral_constantIbLb1EES11_EEDaSW_SX_EUlSW_E_NS1_11comp_targetILNS1_3genE8ELNS1_11target_archE1030ELNS1_3gpuE2ELNS1_3repE0EEENS1_30default_config_static_selectorELNS0_4arch9wavefront6targetE1EEEvT1_: ; @_ZN7rocprim17ROCPRIM_400000_NS6detail17trampoline_kernelINS0_14default_configENS1_27scan_by_key_config_selectorIijEEZZNS1_16scan_by_key_implILNS1_25lookback_scan_determinismE0ELb1ES3_N6thrust23THRUST_200600_302600_NS6detail15normal_iteratorINS9_10device_ptrIiEEEENSB_INSC_IjEEEESG_jNS9_4plusIvEENS9_8equal_toIvEEjEE10hipError_tPvRmT2_T3_T4_T5_mT6_T7_P12ihipStream_tbENKUlT_T0_E_clISt17integral_constantIbLb1EES11_EEDaSW_SX_EUlSW_E_NS1_11comp_targetILNS1_3genE8ELNS1_11target_archE1030ELNS1_3gpuE2ELNS1_3repE0EEENS1_30default_config_static_selectorELNS0_4arch9wavefront6targetE1EEEvT1_
; %bb.0:
	.section	.rodata,"a",@progbits
	.p2align	6, 0x0
	.amdhsa_kernel _ZN7rocprim17ROCPRIM_400000_NS6detail17trampoline_kernelINS0_14default_configENS1_27scan_by_key_config_selectorIijEEZZNS1_16scan_by_key_implILNS1_25lookback_scan_determinismE0ELb1ES3_N6thrust23THRUST_200600_302600_NS6detail15normal_iteratorINS9_10device_ptrIiEEEENSB_INSC_IjEEEESG_jNS9_4plusIvEENS9_8equal_toIvEEjEE10hipError_tPvRmT2_T3_T4_T5_mT6_T7_P12ihipStream_tbENKUlT_T0_E_clISt17integral_constantIbLb1EES11_EEDaSW_SX_EUlSW_E_NS1_11comp_targetILNS1_3genE8ELNS1_11target_archE1030ELNS1_3gpuE2ELNS1_3repE0EEENS1_30default_config_static_selectorELNS0_4arch9wavefront6targetE1EEEvT1_
		.amdhsa_group_segment_fixed_size 0
		.amdhsa_private_segment_fixed_size 0
		.amdhsa_kernarg_size 112
		.amdhsa_user_sgpr_count 2
		.amdhsa_user_sgpr_dispatch_ptr 0
		.amdhsa_user_sgpr_queue_ptr 0
		.amdhsa_user_sgpr_kernarg_segment_ptr 1
		.amdhsa_user_sgpr_dispatch_id 0
		.amdhsa_user_sgpr_kernarg_preload_length 0
		.amdhsa_user_sgpr_kernarg_preload_offset 0
		.amdhsa_user_sgpr_private_segment_size 0
		.amdhsa_uses_dynamic_stack 0
		.amdhsa_enable_private_segment 0
		.amdhsa_system_sgpr_workgroup_id_x 1
		.amdhsa_system_sgpr_workgroup_id_y 0
		.amdhsa_system_sgpr_workgroup_id_z 0
		.amdhsa_system_sgpr_workgroup_info 0
		.amdhsa_system_vgpr_workitem_id 0
		.amdhsa_next_free_vgpr 1
		.amdhsa_next_free_sgpr 0
		.amdhsa_accum_offset 4
		.amdhsa_reserve_vcc 0
		.amdhsa_float_round_mode_32 0
		.amdhsa_float_round_mode_16_64 0
		.amdhsa_float_denorm_mode_32 3
		.amdhsa_float_denorm_mode_16_64 3
		.amdhsa_dx10_clamp 1
		.amdhsa_ieee_mode 1
		.amdhsa_fp16_overflow 0
		.amdhsa_tg_split 0
		.amdhsa_exception_fp_ieee_invalid_op 0
		.amdhsa_exception_fp_denorm_src 0
		.amdhsa_exception_fp_ieee_div_zero 0
		.amdhsa_exception_fp_ieee_overflow 0
		.amdhsa_exception_fp_ieee_underflow 0
		.amdhsa_exception_fp_ieee_inexact 0
		.amdhsa_exception_int_div_zero 0
	.end_amdhsa_kernel
	.section	.text._ZN7rocprim17ROCPRIM_400000_NS6detail17trampoline_kernelINS0_14default_configENS1_27scan_by_key_config_selectorIijEEZZNS1_16scan_by_key_implILNS1_25lookback_scan_determinismE0ELb1ES3_N6thrust23THRUST_200600_302600_NS6detail15normal_iteratorINS9_10device_ptrIiEEEENSB_INSC_IjEEEESG_jNS9_4plusIvEENS9_8equal_toIvEEjEE10hipError_tPvRmT2_T3_T4_T5_mT6_T7_P12ihipStream_tbENKUlT_T0_E_clISt17integral_constantIbLb1EES11_EEDaSW_SX_EUlSW_E_NS1_11comp_targetILNS1_3genE8ELNS1_11target_archE1030ELNS1_3gpuE2ELNS1_3repE0EEENS1_30default_config_static_selectorELNS0_4arch9wavefront6targetE1EEEvT1_,"axG",@progbits,_ZN7rocprim17ROCPRIM_400000_NS6detail17trampoline_kernelINS0_14default_configENS1_27scan_by_key_config_selectorIijEEZZNS1_16scan_by_key_implILNS1_25lookback_scan_determinismE0ELb1ES3_N6thrust23THRUST_200600_302600_NS6detail15normal_iteratorINS9_10device_ptrIiEEEENSB_INSC_IjEEEESG_jNS9_4plusIvEENS9_8equal_toIvEEjEE10hipError_tPvRmT2_T3_T4_T5_mT6_T7_P12ihipStream_tbENKUlT_T0_E_clISt17integral_constantIbLb1EES11_EEDaSW_SX_EUlSW_E_NS1_11comp_targetILNS1_3genE8ELNS1_11target_archE1030ELNS1_3gpuE2ELNS1_3repE0EEENS1_30default_config_static_selectorELNS0_4arch9wavefront6targetE1EEEvT1_,comdat
.Lfunc_end1516:
	.size	_ZN7rocprim17ROCPRIM_400000_NS6detail17trampoline_kernelINS0_14default_configENS1_27scan_by_key_config_selectorIijEEZZNS1_16scan_by_key_implILNS1_25lookback_scan_determinismE0ELb1ES3_N6thrust23THRUST_200600_302600_NS6detail15normal_iteratorINS9_10device_ptrIiEEEENSB_INSC_IjEEEESG_jNS9_4plusIvEENS9_8equal_toIvEEjEE10hipError_tPvRmT2_T3_T4_T5_mT6_T7_P12ihipStream_tbENKUlT_T0_E_clISt17integral_constantIbLb1EES11_EEDaSW_SX_EUlSW_E_NS1_11comp_targetILNS1_3genE8ELNS1_11target_archE1030ELNS1_3gpuE2ELNS1_3repE0EEENS1_30default_config_static_selectorELNS0_4arch9wavefront6targetE1EEEvT1_, .Lfunc_end1516-_ZN7rocprim17ROCPRIM_400000_NS6detail17trampoline_kernelINS0_14default_configENS1_27scan_by_key_config_selectorIijEEZZNS1_16scan_by_key_implILNS1_25lookback_scan_determinismE0ELb1ES3_N6thrust23THRUST_200600_302600_NS6detail15normal_iteratorINS9_10device_ptrIiEEEENSB_INSC_IjEEEESG_jNS9_4plusIvEENS9_8equal_toIvEEjEE10hipError_tPvRmT2_T3_T4_T5_mT6_T7_P12ihipStream_tbENKUlT_T0_E_clISt17integral_constantIbLb1EES11_EEDaSW_SX_EUlSW_E_NS1_11comp_targetILNS1_3genE8ELNS1_11target_archE1030ELNS1_3gpuE2ELNS1_3repE0EEENS1_30default_config_static_selectorELNS0_4arch9wavefront6targetE1EEEvT1_
                                        ; -- End function
	.section	.AMDGPU.csdata,"",@progbits
; Kernel info:
; codeLenInByte = 0
; NumSgprs: 6
; NumVgprs: 0
; NumAgprs: 0
; TotalNumVgprs: 0
; ScratchSize: 0
; MemoryBound: 0
; FloatMode: 240
; IeeeMode: 1
; LDSByteSize: 0 bytes/workgroup (compile time only)
; SGPRBlocks: 0
; VGPRBlocks: 0
; NumSGPRsForWavesPerEU: 6
; NumVGPRsForWavesPerEU: 1
; AccumOffset: 4
; Occupancy: 8
; WaveLimiterHint : 0
; COMPUTE_PGM_RSRC2:SCRATCH_EN: 0
; COMPUTE_PGM_RSRC2:USER_SGPR: 2
; COMPUTE_PGM_RSRC2:TRAP_HANDLER: 0
; COMPUTE_PGM_RSRC2:TGID_X_EN: 1
; COMPUTE_PGM_RSRC2:TGID_Y_EN: 0
; COMPUTE_PGM_RSRC2:TGID_Z_EN: 0
; COMPUTE_PGM_RSRC2:TIDIG_COMP_CNT: 0
; COMPUTE_PGM_RSRC3_GFX90A:ACCUM_OFFSET: 0
; COMPUTE_PGM_RSRC3_GFX90A:TG_SPLIT: 0
	.section	.text._ZN7rocprim17ROCPRIM_400000_NS6detail17trampoline_kernelINS0_14default_configENS1_27scan_by_key_config_selectorIijEEZZNS1_16scan_by_key_implILNS1_25lookback_scan_determinismE0ELb1ES3_N6thrust23THRUST_200600_302600_NS6detail15normal_iteratorINS9_10device_ptrIiEEEENSB_INSC_IjEEEESG_jNS9_4plusIvEENS9_8equal_toIvEEjEE10hipError_tPvRmT2_T3_T4_T5_mT6_T7_P12ihipStream_tbENKUlT_T0_E_clISt17integral_constantIbLb1EES10_IbLb0EEEEDaSW_SX_EUlSW_E_NS1_11comp_targetILNS1_3genE0ELNS1_11target_archE4294967295ELNS1_3gpuE0ELNS1_3repE0EEENS1_30default_config_static_selectorELNS0_4arch9wavefront6targetE1EEEvT1_,"axG",@progbits,_ZN7rocprim17ROCPRIM_400000_NS6detail17trampoline_kernelINS0_14default_configENS1_27scan_by_key_config_selectorIijEEZZNS1_16scan_by_key_implILNS1_25lookback_scan_determinismE0ELb1ES3_N6thrust23THRUST_200600_302600_NS6detail15normal_iteratorINS9_10device_ptrIiEEEENSB_INSC_IjEEEESG_jNS9_4plusIvEENS9_8equal_toIvEEjEE10hipError_tPvRmT2_T3_T4_T5_mT6_T7_P12ihipStream_tbENKUlT_T0_E_clISt17integral_constantIbLb1EES10_IbLb0EEEEDaSW_SX_EUlSW_E_NS1_11comp_targetILNS1_3genE0ELNS1_11target_archE4294967295ELNS1_3gpuE0ELNS1_3repE0EEENS1_30default_config_static_selectorELNS0_4arch9wavefront6targetE1EEEvT1_,comdat
	.protected	_ZN7rocprim17ROCPRIM_400000_NS6detail17trampoline_kernelINS0_14default_configENS1_27scan_by_key_config_selectorIijEEZZNS1_16scan_by_key_implILNS1_25lookback_scan_determinismE0ELb1ES3_N6thrust23THRUST_200600_302600_NS6detail15normal_iteratorINS9_10device_ptrIiEEEENSB_INSC_IjEEEESG_jNS9_4plusIvEENS9_8equal_toIvEEjEE10hipError_tPvRmT2_T3_T4_T5_mT6_T7_P12ihipStream_tbENKUlT_T0_E_clISt17integral_constantIbLb1EES10_IbLb0EEEEDaSW_SX_EUlSW_E_NS1_11comp_targetILNS1_3genE0ELNS1_11target_archE4294967295ELNS1_3gpuE0ELNS1_3repE0EEENS1_30default_config_static_selectorELNS0_4arch9wavefront6targetE1EEEvT1_ ; -- Begin function _ZN7rocprim17ROCPRIM_400000_NS6detail17trampoline_kernelINS0_14default_configENS1_27scan_by_key_config_selectorIijEEZZNS1_16scan_by_key_implILNS1_25lookback_scan_determinismE0ELb1ES3_N6thrust23THRUST_200600_302600_NS6detail15normal_iteratorINS9_10device_ptrIiEEEENSB_INSC_IjEEEESG_jNS9_4plusIvEENS9_8equal_toIvEEjEE10hipError_tPvRmT2_T3_T4_T5_mT6_T7_P12ihipStream_tbENKUlT_T0_E_clISt17integral_constantIbLb1EES10_IbLb0EEEEDaSW_SX_EUlSW_E_NS1_11comp_targetILNS1_3genE0ELNS1_11target_archE4294967295ELNS1_3gpuE0ELNS1_3repE0EEENS1_30default_config_static_selectorELNS0_4arch9wavefront6targetE1EEEvT1_
	.globl	_ZN7rocprim17ROCPRIM_400000_NS6detail17trampoline_kernelINS0_14default_configENS1_27scan_by_key_config_selectorIijEEZZNS1_16scan_by_key_implILNS1_25lookback_scan_determinismE0ELb1ES3_N6thrust23THRUST_200600_302600_NS6detail15normal_iteratorINS9_10device_ptrIiEEEENSB_INSC_IjEEEESG_jNS9_4plusIvEENS9_8equal_toIvEEjEE10hipError_tPvRmT2_T3_T4_T5_mT6_T7_P12ihipStream_tbENKUlT_T0_E_clISt17integral_constantIbLb1EES10_IbLb0EEEEDaSW_SX_EUlSW_E_NS1_11comp_targetILNS1_3genE0ELNS1_11target_archE4294967295ELNS1_3gpuE0ELNS1_3repE0EEENS1_30default_config_static_selectorELNS0_4arch9wavefront6targetE1EEEvT1_
	.p2align	8
	.type	_ZN7rocprim17ROCPRIM_400000_NS6detail17trampoline_kernelINS0_14default_configENS1_27scan_by_key_config_selectorIijEEZZNS1_16scan_by_key_implILNS1_25lookback_scan_determinismE0ELb1ES3_N6thrust23THRUST_200600_302600_NS6detail15normal_iteratorINS9_10device_ptrIiEEEENSB_INSC_IjEEEESG_jNS9_4plusIvEENS9_8equal_toIvEEjEE10hipError_tPvRmT2_T3_T4_T5_mT6_T7_P12ihipStream_tbENKUlT_T0_E_clISt17integral_constantIbLb1EES10_IbLb0EEEEDaSW_SX_EUlSW_E_NS1_11comp_targetILNS1_3genE0ELNS1_11target_archE4294967295ELNS1_3gpuE0ELNS1_3repE0EEENS1_30default_config_static_selectorELNS0_4arch9wavefront6targetE1EEEvT1_,@function
_ZN7rocprim17ROCPRIM_400000_NS6detail17trampoline_kernelINS0_14default_configENS1_27scan_by_key_config_selectorIijEEZZNS1_16scan_by_key_implILNS1_25lookback_scan_determinismE0ELb1ES3_N6thrust23THRUST_200600_302600_NS6detail15normal_iteratorINS9_10device_ptrIiEEEENSB_INSC_IjEEEESG_jNS9_4plusIvEENS9_8equal_toIvEEjEE10hipError_tPvRmT2_T3_T4_T5_mT6_T7_P12ihipStream_tbENKUlT_T0_E_clISt17integral_constantIbLb1EES10_IbLb0EEEEDaSW_SX_EUlSW_E_NS1_11comp_targetILNS1_3genE0ELNS1_11target_archE4294967295ELNS1_3gpuE0ELNS1_3repE0EEENS1_30default_config_static_selectorELNS0_4arch9wavefront6targetE1EEEvT1_: ; @_ZN7rocprim17ROCPRIM_400000_NS6detail17trampoline_kernelINS0_14default_configENS1_27scan_by_key_config_selectorIijEEZZNS1_16scan_by_key_implILNS1_25lookback_scan_determinismE0ELb1ES3_N6thrust23THRUST_200600_302600_NS6detail15normal_iteratorINS9_10device_ptrIiEEEENSB_INSC_IjEEEESG_jNS9_4plusIvEENS9_8equal_toIvEEjEE10hipError_tPvRmT2_T3_T4_T5_mT6_T7_P12ihipStream_tbENKUlT_T0_E_clISt17integral_constantIbLb1EES10_IbLb0EEEEDaSW_SX_EUlSW_E_NS1_11comp_targetILNS1_3genE0ELNS1_11target_archE4294967295ELNS1_3gpuE0ELNS1_3repE0EEENS1_30default_config_static_selectorELNS0_4arch9wavefront6targetE1EEEvT1_
; %bb.0:
	.section	.rodata,"a",@progbits
	.p2align	6, 0x0
	.amdhsa_kernel _ZN7rocprim17ROCPRIM_400000_NS6detail17trampoline_kernelINS0_14default_configENS1_27scan_by_key_config_selectorIijEEZZNS1_16scan_by_key_implILNS1_25lookback_scan_determinismE0ELb1ES3_N6thrust23THRUST_200600_302600_NS6detail15normal_iteratorINS9_10device_ptrIiEEEENSB_INSC_IjEEEESG_jNS9_4plusIvEENS9_8equal_toIvEEjEE10hipError_tPvRmT2_T3_T4_T5_mT6_T7_P12ihipStream_tbENKUlT_T0_E_clISt17integral_constantIbLb1EES10_IbLb0EEEEDaSW_SX_EUlSW_E_NS1_11comp_targetILNS1_3genE0ELNS1_11target_archE4294967295ELNS1_3gpuE0ELNS1_3repE0EEENS1_30default_config_static_selectorELNS0_4arch9wavefront6targetE1EEEvT1_
		.amdhsa_group_segment_fixed_size 0
		.amdhsa_private_segment_fixed_size 0
		.amdhsa_kernarg_size 112
		.amdhsa_user_sgpr_count 2
		.amdhsa_user_sgpr_dispatch_ptr 0
		.amdhsa_user_sgpr_queue_ptr 0
		.amdhsa_user_sgpr_kernarg_segment_ptr 1
		.amdhsa_user_sgpr_dispatch_id 0
		.amdhsa_user_sgpr_kernarg_preload_length 0
		.amdhsa_user_sgpr_kernarg_preload_offset 0
		.amdhsa_user_sgpr_private_segment_size 0
		.amdhsa_uses_dynamic_stack 0
		.amdhsa_enable_private_segment 0
		.amdhsa_system_sgpr_workgroup_id_x 1
		.amdhsa_system_sgpr_workgroup_id_y 0
		.amdhsa_system_sgpr_workgroup_id_z 0
		.amdhsa_system_sgpr_workgroup_info 0
		.amdhsa_system_vgpr_workitem_id 0
		.amdhsa_next_free_vgpr 1
		.amdhsa_next_free_sgpr 0
		.amdhsa_accum_offset 4
		.amdhsa_reserve_vcc 0
		.amdhsa_float_round_mode_32 0
		.amdhsa_float_round_mode_16_64 0
		.amdhsa_float_denorm_mode_32 3
		.amdhsa_float_denorm_mode_16_64 3
		.amdhsa_dx10_clamp 1
		.amdhsa_ieee_mode 1
		.amdhsa_fp16_overflow 0
		.amdhsa_tg_split 0
		.amdhsa_exception_fp_ieee_invalid_op 0
		.amdhsa_exception_fp_denorm_src 0
		.amdhsa_exception_fp_ieee_div_zero 0
		.amdhsa_exception_fp_ieee_overflow 0
		.amdhsa_exception_fp_ieee_underflow 0
		.amdhsa_exception_fp_ieee_inexact 0
		.amdhsa_exception_int_div_zero 0
	.end_amdhsa_kernel
	.section	.text._ZN7rocprim17ROCPRIM_400000_NS6detail17trampoline_kernelINS0_14default_configENS1_27scan_by_key_config_selectorIijEEZZNS1_16scan_by_key_implILNS1_25lookback_scan_determinismE0ELb1ES3_N6thrust23THRUST_200600_302600_NS6detail15normal_iteratorINS9_10device_ptrIiEEEENSB_INSC_IjEEEESG_jNS9_4plusIvEENS9_8equal_toIvEEjEE10hipError_tPvRmT2_T3_T4_T5_mT6_T7_P12ihipStream_tbENKUlT_T0_E_clISt17integral_constantIbLb1EES10_IbLb0EEEEDaSW_SX_EUlSW_E_NS1_11comp_targetILNS1_3genE0ELNS1_11target_archE4294967295ELNS1_3gpuE0ELNS1_3repE0EEENS1_30default_config_static_selectorELNS0_4arch9wavefront6targetE1EEEvT1_,"axG",@progbits,_ZN7rocprim17ROCPRIM_400000_NS6detail17trampoline_kernelINS0_14default_configENS1_27scan_by_key_config_selectorIijEEZZNS1_16scan_by_key_implILNS1_25lookback_scan_determinismE0ELb1ES3_N6thrust23THRUST_200600_302600_NS6detail15normal_iteratorINS9_10device_ptrIiEEEENSB_INSC_IjEEEESG_jNS9_4plusIvEENS9_8equal_toIvEEjEE10hipError_tPvRmT2_T3_T4_T5_mT6_T7_P12ihipStream_tbENKUlT_T0_E_clISt17integral_constantIbLb1EES10_IbLb0EEEEDaSW_SX_EUlSW_E_NS1_11comp_targetILNS1_3genE0ELNS1_11target_archE4294967295ELNS1_3gpuE0ELNS1_3repE0EEENS1_30default_config_static_selectorELNS0_4arch9wavefront6targetE1EEEvT1_,comdat
.Lfunc_end1517:
	.size	_ZN7rocprim17ROCPRIM_400000_NS6detail17trampoline_kernelINS0_14default_configENS1_27scan_by_key_config_selectorIijEEZZNS1_16scan_by_key_implILNS1_25lookback_scan_determinismE0ELb1ES3_N6thrust23THRUST_200600_302600_NS6detail15normal_iteratorINS9_10device_ptrIiEEEENSB_INSC_IjEEEESG_jNS9_4plusIvEENS9_8equal_toIvEEjEE10hipError_tPvRmT2_T3_T4_T5_mT6_T7_P12ihipStream_tbENKUlT_T0_E_clISt17integral_constantIbLb1EES10_IbLb0EEEEDaSW_SX_EUlSW_E_NS1_11comp_targetILNS1_3genE0ELNS1_11target_archE4294967295ELNS1_3gpuE0ELNS1_3repE0EEENS1_30default_config_static_selectorELNS0_4arch9wavefront6targetE1EEEvT1_, .Lfunc_end1517-_ZN7rocprim17ROCPRIM_400000_NS6detail17trampoline_kernelINS0_14default_configENS1_27scan_by_key_config_selectorIijEEZZNS1_16scan_by_key_implILNS1_25lookback_scan_determinismE0ELb1ES3_N6thrust23THRUST_200600_302600_NS6detail15normal_iteratorINS9_10device_ptrIiEEEENSB_INSC_IjEEEESG_jNS9_4plusIvEENS9_8equal_toIvEEjEE10hipError_tPvRmT2_T3_T4_T5_mT6_T7_P12ihipStream_tbENKUlT_T0_E_clISt17integral_constantIbLb1EES10_IbLb0EEEEDaSW_SX_EUlSW_E_NS1_11comp_targetILNS1_3genE0ELNS1_11target_archE4294967295ELNS1_3gpuE0ELNS1_3repE0EEENS1_30default_config_static_selectorELNS0_4arch9wavefront6targetE1EEEvT1_
                                        ; -- End function
	.section	.AMDGPU.csdata,"",@progbits
; Kernel info:
; codeLenInByte = 0
; NumSgprs: 6
; NumVgprs: 0
; NumAgprs: 0
; TotalNumVgprs: 0
; ScratchSize: 0
; MemoryBound: 0
; FloatMode: 240
; IeeeMode: 1
; LDSByteSize: 0 bytes/workgroup (compile time only)
; SGPRBlocks: 0
; VGPRBlocks: 0
; NumSGPRsForWavesPerEU: 6
; NumVGPRsForWavesPerEU: 1
; AccumOffset: 4
; Occupancy: 8
; WaveLimiterHint : 0
; COMPUTE_PGM_RSRC2:SCRATCH_EN: 0
; COMPUTE_PGM_RSRC2:USER_SGPR: 2
; COMPUTE_PGM_RSRC2:TRAP_HANDLER: 0
; COMPUTE_PGM_RSRC2:TGID_X_EN: 1
; COMPUTE_PGM_RSRC2:TGID_Y_EN: 0
; COMPUTE_PGM_RSRC2:TGID_Z_EN: 0
; COMPUTE_PGM_RSRC2:TIDIG_COMP_CNT: 0
; COMPUTE_PGM_RSRC3_GFX90A:ACCUM_OFFSET: 0
; COMPUTE_PGM_RSRC3_GFX90A:TG_SPLIT: 0
	.section	.text._ZN7rocprim17ROCPRIM_400000_NS6detail17trampoline_kernelINS0_14default_configENS1_27scan_by_key_config_selectorIijEEZZNS1_16scan_by_key_implILNS1_25lookback_scan_determinismE0ELb1ES3_N6thrust23THRUST_200600_302600_NS6detail15normal_iteratorINS9_10device_ptrIiEEEENSB_INSC_IjEEEESG_jNS9_4plusIvEENS9_8equal_toIvEEjEE10hipError_tPvRmT2_T3_T4_T5_mT6_T7_P12ihipStream_tbENKUlT_T0_E_clISt17integral_constantIbLb1EES10_IbLb0EEEEDaSW_SX_EUlSW_E_NS1_11comp_targetILNS1_3genE10ELNS1_11target_archE1201ELNS1_3gpuE5ELNS1_3repE0EEENS1_30default_config_static_selectorELNS0_4arch9wavefront6targetE1EEEvT1_,"axG",@progbits,_ZN7rocprim17ROCPRIM_400000_NS6detail17trampoline_kernelINS0_14default_configENS1_27scan_by_key_config_selectorIijEEZZNS1_16scan_by_key_implILNS1_25lookback_scan_determinismE0ELb1ES3_N6thrust23THRUST_200600_302600_NS6detail15normal_iteratorINS9_10device_ptrIiEEEENSB_INSC_IjEEEESG_jNS9_4plusIvEENS9_8equal_toIvEEjEE10hipError_tPvRmT2_T3_T4_T5_mT6_T7_P12ihipStream_tbENKUlT_T0_E_clISt17integral_constantIbLb1EES10_IbLb0EEEEDaSW_SX_EUlSW_E_NS1_11comp_targetILNS1_3genE10ELNS1_11target_archE1201ELNS1_3gpuE5ELNS1_3repE0EEENS1_30default_config_static_selectorELNS0_4arch9wavefront6targetE1EEEvT1_,comdat
	.protected	_ZN7rocprim17ROCPRIM_400000_NS6detail17trampoline_kernelINS0_14default_configENS1_27scan_by_key_config_selectorIijEEZZNS1_16scan_by_key_implILNS1_25lookback_scan_determinismE0ELb1ES3_N6thrust23THRUST_200600_302600_NS6detail15normal_iteratorINS9_10device_ptrIiEEEENSB_INSC_IjEEEESG_jNS9_4plusIvEENS9_8equal_toIvEEjEE10hipError_tPvRmT2_T3_T4_T5_mT6_T7_P12ihipStream_tbENKUlT_T0_E_clISt17integral_constantIbLb1EES10_IbLb0EEEEDaSW_SX_EUlSW_E_NS1_11comp_targetILNS1_3genE10ELNS1_11target_archE1201ELNS1_3gpuE5ELNS1_3repE0EEENS1_30default_config_static_selectorELNS0_4arch9wavefront6targetE1EEEvT1_ ; -- Begin function _ZN7rocprim17ROCPRIM_400000_NS6detail17trampoline_kernelINS0_14default_configENS1_27scan_by_key_config_selectorIijEEZZNS1_16scan_by_key_implILNS1_25lookback_scan_determinismE0ELb1ES3_N6thrust23THRUST_200600_302600_NS6detail15normal_iteratorINS9_10device_ptrIiEEEENSB_INSC_IjEEEESG_jNS9_4plusIvEENS9_8equal_toIvEEjEE10hipError_tPvRmT2_T3_T4_T5_mT6_T7_P12ihipStream_tbENKUlT_T0_E_clISt17integral_constantIbLb1EES10_IbLb0EEEEDaSW_SX_EUlSW_E_NS1_11comp_targetILNS1_3genE10ELNS1_11target_archE1201ELNS1_3gpuE5ELNS1_3repE0EEENS1_30default_config_static_selectorELNS0_4arch9wavefront6targetE1EEEvT1_
	.globl	_ZN7rocprim17ROCPRIM_400000_NS6detail17trampoline_kernelINS0_14default_configENS1_27scan_by_key_config_selectorIijEEZZNS1_16scan_by_key_implILNS1_25lookback_scan_determinismE0ELb1ES3_N6thrust23THRUST_200600_302600_NS6detail15normal_iteratorINS9_10device_ptrIiEEEENSB_INSC_IjEEEESG_jNS9_4plusIvEENS9_8equal_toIvEEjEE10hipError_tPvRmT2_T3_T4_T5_mT6_T7_P12ihipStream_tbENKUlT_T0_E_clISt17integral_constantIbLb1EES10_IbLb0EEEEDaSW_SX_EUlSW_E_NS1_11comp_targetILNS1_3genE10ELNS1_11target_archE1201ELNS1_3gpuE5ELNS1_3repE0EEENS1_30default_config_static_selectorELNS0_4arch9wavefront6targetE1EEEvT1_
	.p2align	8
	.type	_ZN7rocprim17ROCPRIM_400000_NS6detail17trampoline_kernelINS0_14default_configENS1_27scan_by_key_config_selectorIijEEZZNS1_16scan_by_key_implILNS1_25lookback_scan_determinismE0ELb1ES3_N6thrust23THRUST_200600_302600_NS6detail15normal_iteratorINS9_10device_ptrIiEEEENSB_INSC_IjEEEESG_jNS9_4plusIvEENS9_8equal_toIvEEjEE10hipError_tPvRmT2_T3_T4_T5_mT6_T7_P12ihipStream_tbENKUlT_T0_E_clISt17integral_constantIbLb1EES10_IbLb0EEEEDaSW_SX_EUlSW_E_NS1_11comp_targetILNS1_3genE10ELNS1_11target_archE1201ELNS1_3gpuE5ELNS1_3repE0EEENS1_30default_config_static_selectorELNS0_4arch9wavefront6targetE1EEEvT1_,@function
_ZN7rocprim17ROCPRIM_400000_NS6detail17trampoline_kernelINS0_14default_configENS1_27scan_by_key_config_selectorIijEEZZNS1_16scan_by_key_implILNS1_25lookback_scan_determinismE0ELb1ES3_N6thrust23THRUST_200600_302600_NS6detail15normal_iteratorINS9_10device_ptrIiEEEENSB_INSC_IjEEEESG_jNS9_4plusIvEENS9_8equal_toIvEEjEE10hipError_tPvRmT2_T3_T4_T5_mT6_T7_P12ihipStream_tbENKUlT_T0_E_clISt17integral_constantIbLb1EES10_IbLb0EEEEDaSW_SX_EUlSW_E_NS1_11comp_targetILNS1_3genE10ELNS1_11target_archE1201ELNS1_3gpuE5ELNS1_3repE0EEENS1_30default_config_static_selectorELNS0_4arch9wavefront6targetE1EEEvT1_: ; @_ZN7rocprim17ROCPRIM_400000_NS6detail17trampoline_kernelINS0_14default_configENS1_27scan_by_key_config_selectorIijEEZZNS1_16scan_by_key_implILNS1_25lookback_scan_determinismE0ELb1ES3_N6thrust23THRUST_200600_302600_NS6detail15normal_iteratorINS9_10device_ptrIiEEEENSB_INSC_IjEEEESG_jNS9_4plusIvEENS9_8equal_toIvEEjEE10hipError_tPvRmT2_T3_T4_T5_mT6_T7_P12ihipStream_tbENKUlT_T0_E_clISt17integral_constantIbLb1EES10_IbLb0EEEEDaSW_SX_EUlSW_E_NS1_11comp_targetILNS1_3genE10ELNS1_11target_archE1201ELNS1_3gpuE5ELNS1_3repE0EEENS1_30default_config_static_selectorELNS0_4arch9wavefront6targetE1EEEvT1_
; %bb.0:
	.section	.rodata,"a",@progbits
	.p2align	6, 0x0
	.amdhsa_kernel _ZN7rocprim17ROCPRIM_400000_NS6detail17trampoline_kernelINS0_14default_configENS1_27scan_by_key_config_selectorIijEEZZNS1_16scan_by_key_implILNS1_25lookback_scan_determinismE0ELb1ES3_N6thrust23THRUST_200600_302600_NS6detail15normal_iteratorINS9_10device_ptrIiEEEENSB_INSC_IjEEEESG_jNS9_4plusIvEENS9_8equal_toIvEEjEE10hipError_tPvRmT2_T3_T4_T5_mT6_T7_P12ihipStream_tbENKUlT_T0_E_clISt17integral_constantIbLb1EES10_IbLb0EEEEDaSW_SX_EUlSW_E_NS1_11comp_targetILNS1_3genE10ELNS1_11target_archE1201ELNS1_3gpuE5ELNS1_3repE0EEENS1_30default_config_static_selectorELNS0_4arch9wavefront6targetE1EEEvT1_
		.amdhsa_group_segment_fixed_size 0
		.amdhsa_private_segment_fixed_size 0
		.amdhsa_kernarg_size 112
		.amdhsa_user_sgpr_count 2
		.amdhsa_user_sgpr_dispatch_ptr 0
		.amdhsa_user_sgpr_queue_ptr 0
		.amdhsa_user_sgpr_kernarg_segment_ptr 1
		.amdhsa_user_sgpr_dispatch_id 0
		.amdhsa_user_sgpr_kernarg_preload_length 0
		.amdhsa_user_sgpr_kernarg_preload_offset 0
		.amdhsa_user_sgpr_private_segment_size 0
		.amdhsa_uses_dynamic_stack 0
		.amdhsa_enable_private_segment 0
		.amdhsa_system_sgpr_workgroup_id_x 1
		.amdhsa_system_sgpr_workgroup_id_y 0
		.amdhsa_system_sgpr_workgroup_id_z 0
		.amdhsa_system_sgpr_workgroup_info 0
		.amdhsa_system_vgpr_workitem_id 0
		.amdhsa_next_free_vgpr 1
		.amdhsa_next_free_sgpr 0
		.amdhsa_accum_offset 4
		.amdhsa_reserve_vcc 0
		.amdhsa_float_round_mode_32 0
		.amdhsa_float_round_mode_16_64 0
		.amdhsa_float_denorm_mode_32 3
		.amdhsa_float_denorm_mode_16_64 3
		.amdhsa_dx10_clamp 1
		.amdhsa_ieee_mode 1
		.amdhsa_fp16_overflow 0
		.amdhsa_tg_split 0
		.amdhsa_exception_fp_ieee_invalid_op 0
		.amdhsa_exception_fp_denorm_src 0
		.amdhsa_exception_fp_ieee_div_zero 0
		.amdhsa_exception_fp_ieee_overflow 0
		.amdhsa_exception_fp_ieee_underflow 0
		.amdhsa_exception_fp_ieee_inexact 0
		.amdhsa_exception_int_div_zero 0
	.end_amdhsa_kernel
	.section	.text._ZN7rocprim17ROCPRIM_400000_NS6detail17trampoline_kernelINS0_14default_configENS1_27scan_by_key_config_selectorIijEEZZNS1_16scan_by_key_implILNS1_25lookback_scan_determinismE0ELb1ES3_N6thrust23THRUST_200600_302600_NS6detail15normal_iteratorINS9_10device_ptrIiEEEENSB_INSC_IjEEEESG_jNS9_4plusIvEENS9_8equal_toIvEEjEE10hipError_tPvRmT2_T3_T4_T5_mT6_T7_P12ihipStream_tbENKUlT_T0_E_clISt17integral_constantIbLb1EES10_IbLb0EEEEDaSW_SX_EUlSW_E_NS1_11comp_targetILNS1_3genE10ELNS1_11target_archE1201ELNS1_3gpuE5ELNS1_3repE0EEENS1_30default_config_static_selectorELNS0_4arch9wavefront6targetE1EEEvT1_,"axG",@progbits,_ZN7rocprim17ROCPRIM_400000_NS6detail17trampoline_kernelINS0_14default_configENS1_27scan_by_key_config_selectorIijEEZZNS1_16scan_by_key_implILNS1_25lookback_scan_determinismE0ELb1ES3_N6thrust23THRUST_200600_302600_NS6detail15normal_iteratorINS9_10device_ptrIiEEEENSB_INSC_IjEEEESG_jNS9_4plusIvEENS9_8equal_toIvEEjEE10hipError_tPvRmT2_T3_T4_T5_mT6_T7_P12ihipStream_tbENKUlT_T0_E_clISt17integral_constantIbLb1EES10_IbLb0EEEEDaSW_SX_EUlSW_E_NS1_11comp_targetILNS1_3genE10ELNS1_11target_archE1201ELNS1_3gpuE5ELNS1_3repE0EEENS1_30default_config_static_selectorELNS0_4arch9wavefront6targetE1EEEvT1_,comdat
.Lfunc_end1518:
	.size	_ZN7rocprim17ROCPRIM_400000_NS6detail17trampoline_kernelINS0_14default_configENS1_27scan_by_key_config_selectorIijEEZZNS1_16scan_by_key_implILNS1_25lookback_scan_determinismE0ELb1ES3_N6thrust23THRUST_200600_302600_NS6detail15normal_iteratorINS9_10device_ptrIiEEEENSB_INSC_IjEEEESG_jNS9_4plusIvEENS9_8equal_toIvEEjEE10hipError_tPvRmT2_T3_T4_T5_mT6_T7_P12ihipStream_tbENKUlT_T0_E_clISt17integral_constantIbLb1EES10_IbLb0EEEEDaSW_SX_EUlSW_E_NS1_11comp_targetILNS1_3genE10ELNS1_11target_archE1201ELNS1_3gpuE5ELNS1_3repE0EEENS1_30default_config_static_selectorELNS0_4arch9wavefront6targetE1EEEvT1_, .Lfunc_end1518-_ZN7rocprim17ROCPRIM_400000_NS6detail17trampoline_kernelINS0_14default_configENS1_27scan_by_key_config_selectorIijEEZZNS1_16scan_by_key_implILNS1_25lookback_scan_determinismE0ELb1ES3_N6thrust23THRUST_200600_302600_NS6detail15normal_iteratorINS9_10device_ptrIiEEEENSB_INSC_IjEEEESG_jNS9_4plusIvEENS9_8equal_toIvEEjEE10hipError_tPvRmT2_T3_T4_T5_mT6_T7_P12ihipStream_tbENKUlT_T0_E_clISt17integral_constantIbLb1EES10_IbLb0EEEEDaSW_SX_EUlSW_E_NS1_11comp_targetILNS1_3genE10ELNS1_11target_archE1201ELNS1_3gpuE5ELNS1_3repE0EEENS1_30default_config_static_selectorELNS0_4arch9wavefront6targetE1EEEvT1_
                                        ; -- End function
	.section	.AMDGPU.csdata,"",@progbits
; Kernel info:
; codeLenInByte = 0
; NumSgprs: 6
; NumVgprs: 0
; NumAgprs: 0
; TotalNumVgprs: 0
; ScratchSize: 0
; MemoryBound: 0
; FloatMode: 240
; IeeeMode: 1
; LDSByteSize: 0 bytes/workgroup (compile time only)
; SGPRBlocks: 0
; VGPRBlocks: 0
; NumSGPRsForWavesPerEU: 6
; NumVGPRsForWavesPerEU: 1
; AccumOffset: 4
; Occupancy: 8
; WaveLimiterHint : 0
; COMPUTE_PGM_RSRC2:SCRATCH_EN: 0
; COMPUTE_PGM_RSRC2:USER_SGPR: 2
; COMPUTE_PGM_RSRC2:TRAP_HANDLER: 0
; COMPUTE_PGM_RSRC2:TGID_X_EN: 1
; COMPUTE_PGM_RSRC2:TGID_Y_EN: 0
; COMPUTE_PGM_RSRC2:TGID_Z_EN: 0
; COMPUTE_PGM_RSRC2:TIDIG_COMP_CNT: 0
; COMPUTE_PGM_RSRC3_GFX90A:ACCUM_OFFSET: 0
; COMPUTE_PGM_RSRC3_GFX90A:TG_SPLIT: 0
	.section	.text._ZN7rocprim17ROCPRIM_400000_NS6detail17trampoline_kernelINS0_14default_configENS1_27scan_by_key_config_selectorIijEEZZNS1_16scan_by_key_implILNS1_25lookback_scan_determinismE0ELb1ES3_N6thrust23THRUST_200600_302600_NS6detail15normal_iteratorINS9_10device_ptrIiEEEENSB_INSC_IjEEEESG_jNS9_4plusIvEENS9_8equal_toIvEEjEE10hipError_tPvRmT2_T3_T4_T5_mT6_T7_P12ihipStream_tbENKUlT_T0_E_clISt17integral_constantIbLb1EES10_IbLb0EEEEDaSW_SX_EUlSW_E_NS1_11comp_targetILNS1_3genE5ELNS1_11target_archE942ELNS1_3gpuE9ELNS1_3repE0EEENS1_30default_config_static_selectorELNS0_4arch9wavefront6targetE1EEEvT1_,"axG",@progbits,_ZN7rocprim17ROCPRIM_400000_NS6detail17trampoline_kernelINS0_14default_configENS1_27scan_by_key_config_selectorIijEEZZNS1_16scan_by_key_implILNS1_25lookback_scan_determinismE0ELb1ES3_N6thrust23THRUST_200600_302600_NS6detail15normal_iteratorINS9_10device_ptrIiEEEENSB_INSC_IjEEEESG_jNS9_4plusIvEENS9_8equal_toIvEEjEE10hipError_tPvRmT2_T3_T4_T5_mT6_T7_P12ihipStream_tbENKUlT_T0_E_clISt17integral_constantIbLb1EES10_IbLb0EEEEDaSW_SX_EUlSW_E_NS1_11comp_targetILNS1_3genE5ELNS1_11target_archE942ELNS1_3gpuE9ELNS1_3repE0EEENS1_30default_config_static_selectorELNS0_4arch9wavefront6targetE1EEEvT1_,comdat
	.protected	_ZN7rocprim17ROCPRIM_400000_NS6detail17trampoline_kernelINS0_14default_configENS1_27scan_by_key_config_selectorIijEEZZNS1_16scan_by_key_implILNS1_25lookback_scan_determinismE0ELb1ES3_N6thrust23THRUST_200600_302600_NS6detail15normal_iteratorINS9_10device_ptrIiEEEENSB_INSC_IjEEEESG_jNS9_4plusIvEENS9_8equal_toIvEEjEE10hipError_tPvRmT2_T3_T4_T5_mT6_T7_P12ihipStream_tbENKUlT_T0_E_clISt17integral_constantIbLb1EES10_IbLb0EEEEDaSW_SX_EUlSW_E_NS1_11comp_targetILNS1_3genE5ELNS1_11target_archE942ELNS1_3gpuE9ELNS1_3repE0EEENS1_30default_config_static_selectorELNS0_4arch9wavefront6targetE1EEEvT1_ ; -- Begin function _ZN7rocprim17ROCPRIM_400000_NS6detail17trampoline_kernelINS0_14default_configENS1_27scan_by_key_config_selectorIijEEZZNS1_16scan_by_key_implILNS1_25lookback_scan_determinismE0ELb1ES3_N6thrust23THRUST_200600_302600_NS6detail15normal_iteratorINS9_10device_ptrIiEEEENSB_INSC_IjEEEESG_jNS9_4plusIvEENS9_8equal_toIvEEjEE10hipError_tPvRmT2_T3_T4_T5_mT6_T7_P12ihipStream_tbENKUlT_T0_E_clISt17integral_constantIbLb1EES10_IbLb0EEEEDaSW_SX_EUlSW_E_NS1_11comp_targetILNS1_3genE5ELNS1_11target_archE942ELNS1_3gpuE9ELNS1_3repE0EEENS1_30default_config_static_selectorELNS0_4arch9wavefront6targetE1EEEvT1_
	.globl	_ZN7rocprim17ROCPRIM_400000_NS6detail17trampoline_kernelINS0_14default_configENS1_27scan_by_key_config_selectorIijEEZZNS1_16scan_by_key_implILNS1_25lookback_scan_determinismE0ELb1ES3_N6thrust23THRUST_200600_302600_NS6detail15normal_iteratorINS9_10device_ptrIiEEEENSB_INSC_IjEEEESG_jNS9_4plusIvEENS9_8equal_toIvEEjEE10hipError_tPvRmT2_T3_T4_T5_mT6_T7_P12ihipStream_tbENKUlT_T0_E_clISt17integral_constantIbLb1EES10_IbLb0EEEEDaSW_SX_EUlSW_E_NS1_11comp_targetILNS1_3genE5ELNS1_11target_archE942ELNS1_3gpuE9ELNS1_3repE0EEENS1_30default_config_static_selectorELNS0_4arch9wavefront6targetE1EEEvT1_
	.p2align	8
	.type	_ZN7rocprim17ROCPRIM_400000_NS6detail17trampoline_kernelINS0_14default_configENS1_27scan_by_key_config_selectorIijEEZZNS1_16scan_by_key_implILNS1_25lookback_scan_determinismE0ELb1ES3_N6thrust23THRUST_200600_302600_NS6detail15normal_iteratorINS9_10device_ptrIiEEEENSB_INSC_IjEEEESG_jNS9_4plusIvEENS9_8equal_toIvEEjEE10hipError_tPvRmT2_T3_T4_T5_mT6_T7_P12ihipStream_tbENKUlT_T0_E_clISt17integral_constantIbLb1EES10_IbLb0EEEEDaSW_SX_EUlSW_E_NS1_11comp_targetILNS1_3genE5ELNS1_11target_archE942ELNS1_3gpuE9ELNS1_3repE0EEENS1_30default_config_static_selectorELNS0_4arch9wavefront6targetE1EEEvT1_,@function
_ZN7rocprim17ROCPRIM_400000_NS6detail17trampoline_kernelINS0_14default_configENS1_27scan_by_key_config_selectorIijEEZZNS1_16scan_by_key_implILNS1_25lookback_scan_determinismE0ELb1ES3_N6thrust23THRUST_200600_302600_NS6detail15normal_iteratorINS9_10device_ptrIiEEEENSB_INSC_IjEEEESG_jNS9_4plusIvEENS9_8equal_toIvEEjEE10hipError_tPvRmT2_T3_T4_T5_mT6_T7_P12ihipStream_tbENKUlT_T0_E_clISt17integral_constantIbLb1EES10_IbLb0EEEEDaSW_SX_EUlSW_E_NS1_11comp_targetILNS1_3genE5ELNS1_11target_archE942ELNS1_3gpuE9ELNS1_3repE0EEENS1_30default_config_static_selectorELNS0_4arch9wavefront6targetE1EEEvT1_: ; @_ZN7rocprim17ROCPRIM_400000_NS6detail17trampoline_kernelINS0_14default_configENS1_27scan_by_key_config_selectorIijEEZZNS1_16scan_by_key_implILNS1_25lookback_scan_determinismE0ELb1ES3_N6thrust23THRUST_200600_302600_NS6detail15normal_iteratorINS9_10device_ptrIiEEEENSB_INSC_IjEEEESG_jNS9_4plusIvEENS9_8equal_toIvEEjEE10hipError_tPvRmT2_T3_T4_T5_mT6_T7_P12ihipStream_tbENKUlT_T0_E_clISt17integral_constantIbLb1EES10_IbLb0EEEEDaSW_SX_EUlSW_E_NS1_11comp_targetILNS1_3genE5ELNS1_11target_archE942ELNS1_3gpuE9ELNS1_3repE0EEENS1_30default_config_static_selectorELNS0_4arch9wavefront6targetE1EEEvT1_
; %bb.0:
	s_load_dwordx8 s[48:55], s[0:1], 0x0
	s_load_dword s76, s[0:1], 0x20
	s_load_dwordx4 s[56:59], s[0:1], 0x28
	s_load_dwordx2 s[68:69], s[0:1], 0x38
	s_load_dword s3, s[0:1], 0x40
	s_load_dwordx4 s[60:63], s[0:1], 0x48
	s_waitcnt lgkmcnt(0)
	s_lshl_b64 s[64:65], s[50:51], 2
	s_add_u32 s4, s48, s64
	s_addc_u32 s5, s49, s65
	s_add_u32 s6, s52, s64
	s_mul_i32 s0, s69, s3
	s_mul_hi_u32 s1, s68, s3
	s_addc_u32 s7, s53, s65
	s_add_i32 s8, s1, s0
	s_mul_i32 s0, s2, 0x1700
	s_mov_b32 s1, 0
	s_lshl_b64 s[66:67], s[0:1], 2
	s_add_u32 s70, s4, s66
	s_addc_u32 s71, s5, s67
	s_add_u32 s52, s6, s66
	s_mul_i32 s3, s68, s3
	s_addc_u32 s53, s7, s67
	s_add_u32 s0, s3, s2
	s_addc_u32 s1, s8, 0
	s_add_u32 s6, s60, -1
	s_addc_u32 s7, s61, -1
	v_mov_b64_e32 v[2:3], s[6:7]
	v_cmp_ge_u64_e64 s[0:1], s[0:1], v[2:3]
	s_mov_b64 s[4:5], -1
	s_and_b64 vcc, exec, s[0:1]
	s_mul_i32 s33, s6, 0xffffe900
	s_barrier
	s_cbranch_vccz .LBB1519_71
; %bb.1:
	v_mov_b64_e32 v[2:3], s[70:71]
	flat_load_dword v1, v[2:3]
	s_add_i32 s3, s33, s58
	v_cmp_gt_u32_e32 vcc, s3, v0
	s_waitcnt vmcnt(0) lgkmcnt(0)
	v_mov_b32_e32 v3, v1
	s_and_saveexec_b64 s[4:5], vcc
	s_cbranch_execz .LBB1519_3
; %bb.2:
	v_lshlrev_b32_e32 v2, 2, v0
	v_mov_b32_e32 v3, 0
	v_lshl_add_u64 v[2:3], s[70:71], 0, v[2:3]
	flat_load_dword v3, v[2:3]
.LBB1519_3:
	s_or_b64 exec, exec, s[4:5]
	v_or_b32_e32 v2, 0x100, v0
	v_cmp_gt_u32_e64 s[48:49], s3, v2
	v_mov_b32_e32 v4, v1
	s_and_saveexec_b64 s[4:5], s[48:49]
	s_cbranch_execz .LBB1519_5
; %bb.4:
	v_lshlrev_b32_e32 v4, 2, v0
	v_mov_b32_e32 v5, 0
	v_lshl_add_u64 v[4:5], s[70:71], 0, v[4:5]
	flat_load_dword v4, v[4:5] offset:1024
.LBB1519_5:
	s_or_b64 exec, exec, s[4:5]
	v_or_b32_e32 v2, 0x200, v0
	v_cmp_gt_u32_e64 s[4:5], s3, v2
	v_mov_b32_e32 v5, v1
	s_and_saveexec_b64 s[6:7], s[4:5]
	s_cbranch_execz .LBB1519_7
; %bb.6:
	v_lshlrev_b32_e32 v6, 2, v0
	v_mov_b32_e32 v7, 0
	v_lshl_add_u64 v[6:7], s[70:71], 0, v[6:7]
	flat_load_dword v5, v[6:7] offset:2048
.LBB1519_7:
	;; [unrolled: 12-line block ×3, first 2 shown]
	s_or_b64 exec, exec, s[8:9]
	v_or_b32_e32 v10, 0x400, v0
	v_cmp_gt_u32_e64 s[8:9], s3, v10
	v_mov_b32_e32 v7, v1
	s_and_saveexec_b64 s[10:11], s[8:9]
	s_cbranch_execz .LBB1519_11
; %bb.10:
	v_lshlrev_b32_e32 v8, 2, v10
	v_mov_b32_e32 v9, 0
	v_lshl_add_u64 v[8:9], s[70:71], 0, v[8:9]
	flat_load_dword v7, v[8:9]
.LBB1519_11:
	s_or_b64 exec, exec, s[10:11]
	v_or_b32_e32 v11, 0x500, v0
	v_cmp_gt_u32_e64 s[10:11], s3, v11
	v_mov_b32_e32 v8, v1
	s_and_saveexec_b64 s[12:13], s[10:11]
	s_cbranch_execz .LBB1519_13
; %bb.12:
	v_lshlrev_b32_e32 v8, 2, v11
	v_mov_b32_e32 v9, 0
	v_lshl_add_u64 v[8:9], s[70:71], 0, v[8:9]
	flat_load_dword v8, v[8:9]
.LBB1519_13:
	;; [unrolled: 12-line block ×18, first 2 shown]
	s_or_b64 exec, exec, s[46:47]
	v_or_b32_e32 v28, 0x1600, v0
	v_cmp_gt_u32_e64 s[46:47], s3, v28
	s_and_saveexec_b64 s[50:51], s[46:47]
	s_cbranch_execz .LBB1519_47
; %bb.46:
	v_lshlrev_b32_e32 v44, 2, v28
	v_mov_b32_e32 v45, 0
	v_lshl_add_u64 v[44:45], s[70:71], 0, v[44:45]
	flat_load_dword v1, v[44:45]
.LBB1519_47:
	s_or_b64 exec, exec, s[50:51]
	v_lshlrev_b32_e32 v2, 2, v0
	s_waitcnt vmcnt(0) lgkmcnt(0)
	ds_write2st64_b32 v2, v3, v4 offset1:4
	ds_write2st64_b32 v2, v5, v6 offset0:8 offset1:12
	ds_write2st64_b32 v2, v7, v8 offset0:16 offset1:20
	ds_write2st64_b32 v2, v9, v29 offset0:24 offset1:28
	ds_write2st64_b32 v2, v30, v31 offset0:32 offset1:36
	ds_write2st64_b32 v2, v32, v33 offset0:40 offset1:44
	ds_write2st64_b32 v2, v34, v35 offset0:48 offset1:52
	ds_write2st64_b32 v2, v36, v37 offset0:56 offset1:60
	ds_write2st64_b32 v2, v38, v39 offset0:64 offset1:68
	ds_write2st64_b32 v2, v40, v41 offset0:72 offset1:76
	ds_write2st64_b32 v2, v42, v43 offset0:80 offset1:84
	ds_write_b32 v2, v1 offset:22528
	v_mov_b64_e32 v[4:5], s[70:71]
	s_waitcnt lgkmcnt(0)
	s_barrier
	flat_load_dword v1, v[4:5]
	s_movk_i32 s50, 0x58
	v_mad_u32_u24 v70, v0, s50, v2
	s_movk_i32 s50, 0xffa8
	v_mad_i32_i24 v3, v0, s50, v70
	s_movk_i32 s50, 0xff
	v_cmp_ne_u32_e64 s[50:51], s50, v0
	ds_read_b32 v72, v70
	ds_read2_b32 v[68:69], v70 offset0:1 offset1:2
	ds_read2_b32 v[66:67], v70 offset0:3 offset1:4
	;; [unrolled: 1-line block ×11, first 2 shown]
	s_waitcnt lgkmcnt(0)
	ds_write_b32 v3, v72 offset:24576
	s_waitcnt lgkmcnt(0)
	s_barrier
	s_and_saveexec_b64 s[60:61], s[50:51]
	s_cbranch_execz .LBB1519_49
; %bb.48:
	s_waitcnt vmcnt(0)
	ds_read_b32 v1, v2 offset:24580
.LBB1519_49:
	s_or_b64 exec, exec, s[60:61]
	v_mov_b32_e32 v3, 0
	s_waitcnt lgkmcnt(0)
	s_barrier
	s_waitcnt lgkmcnt(0)
                                        ; implicit-def: $vgpr29
	s_and_saveexec_b64 s[50:51], vcc
	s_cbranch_execz .LBB1519_72
; %bb.50:
	v_lshl_add_u64 v[30:31], s[52:53], 0, v[2:3]
	flat_load_dword v29, v[30:31]
	s_or_b64 exec, exec, s[50:51]
                                        ; implicit-def: $vgpr30
	s_and_saveexec_b64 s[50:51], s[48:49]
	s_cbranch_execnz .LBB1519_73
.LBB1519_51:
	s_or_b64 exec, exec, s[50:51]
                                        ; implicit-def: $vgpr31
	s_and_saveexec_b64 s[48:49], s[4:5]
	s_cbranch_execz .LBB1519_74
.LBB1519_52:
	v_mov_b32_e32 v3, 0
	v_lshl_add_u64 v[32:33], s[52:53], 0, v[2:3]
	flat_load_dword v31, v[32:33] offset:2048
	s_or_b64 exec, exec, s[48:49]
                                        ; implicit-def: $vgpr3
	s_and_saveexec_b64 s[4:5], s[6:7]
	s_cbranch_execnz .LBB1519_75
.LBB1519_53:
	s_or_b64 exec, exec, s[4:5]
                                        ; implicit-def: $vgpr32
	s_and_saveexec_b64 s[4:5], s[8:9]
	s_cbranch_execz .LBB1519_76
.LBB1519_54:
	v_lshlrev_b32_e32 v32, 2, v10
	v_mov_b32_e32 v33, 0
	v_lshl_add_u64 v[32:33], s[52:53], 0, v[32:33]
	flat_load_dword v32, v[32:33]
	s_or_b64 exec, exec, s[4:5]
                                        ; implicit-def: $vgpr10
	s_and_saveexec_b64 s[4:5], s[10:11]
	s_cbranch_execnz .LBB1519_77
.LBB1519_55:
	s_or_b64 exec, exec, s[4:5]
                                        ; implicit-def: $vgpr11
	s_and_saveexec_b64 s[4:5], s[12:13]
	s_cbranch_execz .LBB1519_78
.LBB1519_56:
	v_lshlrev_b32_e32 v34, 2, v12
	v_mov_b32_e32 v35, 0
	v_lshl_add_u64 v[34:35], s[52:53], 0, v[34:35]
	flat_load_dword v11, v[34:35]
	s_or_b64 exec, exec, s[4:5]
                                        ; implicit-def: $vgpr12
	s_and_saveexec_b64 s[4:5], s[14:15]
	s_cbranch_execnz .LBB1519_79
.LBB1519_57:
	s_or_b64 exec, exec, s[4:5]
                                        ; implicit-def: $vgpr13
	s_and_saveexec_b64 s[4:5], s[16:17]
	s_cbranch_execz .LBB1519_80
.LBB1519_58:
	v_lshlrev_b32_e32 v34, 2, v14
	v_mov_b32_e32 v35, 0
	v_lshl_add_u64 v[34:35], s[52:53], 0, v[34:35]
	flat_load_dword v13, v[34:35]
	s_or_b64 exec, exec, s[4:5]
                                        ; implicit-def: $vgpr14
	s_and_saveexec_b64 s[4:5], s[18:19]
	s_cbranch_execnz .LBB1519_81
.LBB1519_59:
	s_or_b64 exec, exec, s[4:5]
                                        ; implicit-def: $vgpr15
	s_and_saveexec_b64 s[4:5], s[20:21]
	s_cbranch_execz .LBB1519_82
.LBB1519_60:
	v_lshlrev_b32_e32 v34, 2, v16
	v_mov_b32_e32 v35, 0
	v_lshl_add_u64 v[34:35], s[52:53], 0, v[34:35]
	flat_load_dword v15, v[34:35]
	s_or_b64 exec, exec, s[4:5]
                                        ; implicit-def: $vgpr16
	s_and_saveexec_b64 s[4:5], s[22:23]
	s_cbranch_execnz .LBB1519_83
.LBB1519_61:
	s_or_b64 exec, exec, s[4:5]
                                        ; implicit-def: $vgpr17
	s_and_saveexec_b64 s[4:5], s[24:25]
	s_cbranch_execz .LBB1519_84
.LBB1519_62:
	v_lshlrev_b32_e32 v34, 2, v18
	v_mov_b32_e32 v35, 0
	v_lshl_add_u64 v[34:35], s[52:53], 0, v[34:35]
	flat_load_dword v17, v[34:35]
	s_or_b64 exec, exec, s[4:5]
                                        ; implicit-def: $vgpr18
	s_and_saveexec_b64 s[4:5], s[26:27]
	s_cbranch_execnz .LBB1519_85
.LBB1519_63:
	s_or_b64 exec, exec, s[4:5]
                                        ; implicit-def: $vgpr19
	s_and_saveexec_b64 s[4:5], s[28:29]
	s_cbranch_execz .LBB1519_86
.LBB1519_64:
	v_lshlrev_b32_e32 v34, 2, v20
	v_mov_b32_e32 v35, 0
	v_lshl_add_u64 v[34:35], s[52:53], 0, v[34:35]
	flat_load_dword v19, v[34:35]
	s_or_b64 exec, exec, s[4:5]
                                        ; implicit-def: $vgpr20
	s_and_saveexec_b64 s[4:5], s[30:31]
	s_cbranch_execnz .LBB1519_87
.LBB1519_65:
	s_or_b64 exec, exec, s[4:5]
                                        ; implicit-def: $vgpr21
	s_and_saveexec_b64 s[4:5], s[34:35]
	s_cbranch_execz .LBB1519_88
.LBB1519_66:
	v_lshlrev_b32_e32 v34, 2, v22
	v_mov_b32_e32 v35, 0
	v_lshl_add_u64 v[34:35], s[52:53], 0, v[34:35]
	flat_load_dword v21, v[34:35]
	s_or_b64 exec, exec, s[4:5]
                                        ; implicit-def: $vgpr22
	s_and_saveexec_b64 s[4:5], s[36:37]
	s_cbranch_execnz .LBB1519_89
.LBB1519_67:
	s_or_b64 exec, exec, s[4:5]
                                        ; implicit-def: $vgpr23
	s_and_saveexec_b64 s[4:5], s[38:39]
	s_cbranch_execz .LBB1519_90
.LBB1519_68:
	v_lshlrev_b32_e32 v34, 2, v24
	v_mov_b32_e32 v35, 0
	v_lshl_add_u64 v[34:35], s[52:53], 0, v[34:35]
	flat_load_dword v23, v[34:35]
	s_or_b64 exec, exec, s[4:5]
                                        ; implicit-def: $vgpr24
	s_and_saveexec_b64 s[4:5], s[40:41]
	s_cbranch_execnz .LBB1519_91
.LBB1519_69:
	s_or_b64 exec, exec, s[4:5]
                                        ; implicit-def: $vgpr25
	s_and_saveexec_b64 s[4:5], s[42:43]
	s_cbranch_execz .LBB1519_92
.LBB1519_70:
	v_lshlrev_b32_e32 v34, 2, v26
	v_mov_b32_e32 v35, 0
	v_lshl_add_u64 v[34:35], s[52:53], 0, v[34:35]
	flat_load_dword v25, v[34:35]
	s_or_b64 exec, exec, s[4:5]
                                        ; implicit-def: $vgpr26
	s_and_saveexec_b64 s[4:5], s[44:45]
	s_cbranch_execz .LBB1519_94
	s_branch .LBB1519_93
.LBB1519_71:
	s_mov_b64 s[10:11], 0
                                        ; implicit-def: $sgpr8_sgpr9
                                        ; implicit-def: $vgpr2
                                        ; implicit-def: $vgpr10_vgpr11
                                        ; implicit-def: $vgpr12_vgpr13
                                        ; implicit-def: $vgpr14_vgpr15
                                        ; implicit-def: $vgpr16_vgpr17
                                        ; implicit-def: $vgpr18_vgpr19
                                        ; implicit-def: $vgpr20_vgpr21
                                        ; implicit-def: $vgpr22_vgpr23
                                        ; implicit-def: $vgpr24_vgpr25
                                        ; implicit-def: $vgpr26_vgpr27
                                        ; implicit-def: $vgpr28_vgpr29
                                        ; implicit-def: $vgpr30_vgpr31
                                        ; implicit-def: $vgpr32_vgpr33
                                        ; implicit-def: $vgpr34_vgpr35
                                        ; implicit-def: $vgpr36_vgpr37
                                        ; implicit-def: $vgpr38_vgpr39
                                        ; implicit-def: $vgpr40_vgpr41
                                        ; implicit-def: $vgpr42_vgpr43
                                        ; implicit-def: $vgpr44_vgpr45
                                        ; implicit-def: $vgpr46_vgpr47
                                        ; implicit-def: $vgpr48_vgpr49
                                        ; implicit-def: $vgpr50_vgpr51
                                        ; implicit-def: $vgpr52_vgpr53
                                        ; implicit-def: $sgpr6_sgpr7
	s_and_b64 vcc, exec, s[4:5]
	v_lshlrev_b32_e32 v54, 2, v0
	s_cbranch_vccz .LBB1519_148
	s_branch .LBB1519_143
.LBB1519_72:
	s_or_b64 exec, exec, s[50:51]
                                        ; implicit-def: $vgpr30
	s_and_saveexec_b64 s[50:51], s[48:49]
	s_cbranch_execz .LBB1519_51
.LBB1519_73:
	v_mov_b32_e32 v3, 0
	v_lshl_add_u64 v[30:31], s[52:53], 0, v[2:3]
	flat_load_dword v30, v[30:31] offset:1024
	s_or_b64 exec, exec, s[50:51]
                                        ; implicit-def: $vgpr31
	s_and_saveexec_b64 s[48:49], s[4:5]
	s_cbranch_execnz .LBB1519_52
.LBB1519_74:
	s_or_b64 exec, exec, s[48:49]
                                        ; implicit-def: $vgpr3
	s_and_saveexec_b64 s[4:5], s[6:7]
	s_cbranch_execz .LBB1519_53
.LBB1519_75:
	v_mov_b32_e32 v3, 0
	v_lshl_add_u64 v[32:33], s[52:53], 0, v[2:3]
	flat_load_dword v3, v[32:33] offset:3072
	s_or_b64 exec, exec, s[4:5]
                                        ; implicit-def: $vgpr32
	s_and_saveexec_b64 s[4:5], s[8:9]
	s_cbranch_execnz .LBB1519_54
.LBB1519_76:
	s_or_b64 exec, exec, s[4:5]
                                        ; implicit-def: $vgpr10
	s_and_saveexec_b64 s[4:5], s[10:11]
	s_cbranch_execz .LBB1519_55
.LBB1519_77:
	v_lshlrev_b32_e32 v10, 2, v11
	v_mov_b32_e32 v11, 0
	v_lshl_add_u64 v[10:11], s[52:53], 0, v[10:11]
	flat_load_dword v10, v[10:11]
	s_or_b64 exec, exec, s[4:5]
                                        ; implicit-def: $vgpr11
	s_and_saveexec_b64 s[4:5], s[12:13]
	s_cbranch_execnz .LBB1519_56
.LBB1519_78:
	s_or_b64 exec, exec, s[4:5]
                                        ; implicit-def: $vgpr12
	s_and_saveexec_b64 s[4:5], s[14:15]
	s_cbranch_execz .LBB1519_57
.LBB1519_79:
	v_lshlrev_b32_e32 v12, 2, v13
	v_mov_b32_e32 v13, 0
	v_lshl_add_u64 v[12:13], s[52:53], 0, v[12:13]
	flat_load_dword v12, v[12:13]
	s_or_b64 exec, exec, s[4:5]
                                        ; implicit-def: $vgpr13
	s_and_saveexec_b64 s[4:5], s[16:17]
	s_cbranch_execnz .LBB1519_58
.LBB1519_80:
	s_or_b64 exec, exec, s[4:5]
                                        ; implicit-def: $vgpr14
	s_and_saveexec_b64 s[4:5], s[18:19]
	s_cbranch_execz .LBB1519_59
.LBB1519_81:
	v_lshlrev_b32_e32 v14, 2, v15
	v_mov_b32_e32 v15, 0
	v_lshl_add_u64 v[14:15], s[52:53], 0, v[14:15]
	flat_load_dword v14, v[14:15]
	s_or_b64 exec, exec, s[4:5]
                                        ; implicit-def: $vgpr15
	s_and_saveexec_b64 s[4:5], s[20:21]
	s_cbranch_execnz .LBB1519_60
.LBB1519_82:
	s_or_b64 exec, exec, s[4:5]
                                        ; implicit-def: $vgpr16
	s_and_saveexec_b64 s[4:5], s[22:23]
	s_cbranch_execz .LBB1519_61
.LBB1519_83:
	v_lshlrev_b32_e32 v16, 2, v17
	v_mov_b32_e32 v17, 0
	v_lshl_add_u64 v[16:17], s[52:53], 0, v[16:17]
	flat_load_dword v16, v[16:17]
	s_or_b64 exec, exec, s[4:5]
                                        ; implicit-def: $vgpr17
	s_and_saveexec_b64 s[4:5], s[24:25]
	s_cbranch_execnz .LBB1519_62
.LBB1519_84:
	s_or_b64 exec, exec, s[4:5]
                                        ; implicit-def: $vgpr18
	s_and_saveexec_b64 s[4:5], s[26:27]
	s_cbranch_execz .LBB1519_63
.LBB1519_85:
	v_lshlrev_b32_e32 v18, 2, v19
	v_mov_b32_e32 v19, 0
	v_lshl_add_u64 v[18:19], s[52:53], 0, v[18:19]
	flat_load_dword v18, v[18:19]
	s_or_b64 exec, exec, s[4:5]
                                        ; implicit-def: $vgpr19
	s_and_saveexec_b64 s[4:5], s[28:29]
	s_cbranch_execnz .LBB1519_64
.LBB1519_86:
	s_or_b64 exec, exec, s[4:5]
                                        ; implicit-def: $vgpr20
	s_and_saveexec_b64 s[4:5], s[30:31]
	s_cbranch_execz .LBB1519_65
.LBB1519_87:
	v_lshlrev_b32_e32 v20, 2, v21
	v_mov_b32_e32 v21, 0
	v_lshl_add_u64 v[20:21], s[52:53], 0, v[20:21]
	flat_load_dword v20, v[20:21]
	s_or_b64 exec, exec, s[4:5]
                                        ; implicit-def: $vgpr21
	s_and_saveexec_b64 s[4:5], s[34:35]
	s_cbranch_execnz .LBB1519_66
.LBB1519_88:
	s_or_b64 exec, exec, s[4:5]
                                        ; implicit-def: $vgpr22
	s_and_saveexec_b64 s[4:5], s[36:37]
	s_cbranch_execz .LBB1519_67
.LBB1519_89:
	v_lshlrev_b32_e32 v22, 2, v23
	v_mov_b32_e32 v23, 0
	v_lshl_add_u64 v[22:23], s[52:53], 0, v[22:23]
	flat_load_dword v22, v[22:23]
	s_or_b64 exec, exec, s[4:5]
                                        ; implicit-def: $vgpr23
	s_and_saveexec_b64 s[4:5], s[38:39]
	s_cbranch_execnz .LBB1519_68
.LBB1519_90:
	s_or_b64 exec, exec, s[4:5]
                                        ; implicit-def: $vgpr24
	s_and_saveexec_b64 s[4:5], s[40:41]
	s_cbranch_execz .LBB1519_69
.LBB1519_91:
	v_lshlrev_b32_e32 v24, 2, v25
	v_mov_b32_e32 v25, 0
	v_lshl_add_u64 v[24:25], s[52:53], 0, v[24:25]
	flat_load_dword v24, v[24:25]
	s_or_b64 exec, exec, s[4:5]
                                        ; implicit-def: $vgpr25
	s_and_saveexec_b64 s[4:5], s[42:43]
	s_cbranch_execnz .LBB1519_70
.LBB1519_92:
	s_or_b64 exec, exec, s[4:5]
                                        ; implicit-def: $vgpr26
	s_and_saveexec_b64 s[4:5], s[44:45]
	s_cbranch_execz .LBB1519_94
.LBB1519_93:
	v_lshlrev_b32_e32 v26, 2, v27
	v_mov_b32_e32 v27, 0
	v_lshl_add_u64 v[26:27], s[52:53], 0, v[26:27]
	flat_load_dword v26, v[26:27]
.LBB1519_94:
	s_or_b64 exec, exec, s[4:5]
	v_mul_u32_u24_e32 v71, 23, v0
                                        ; implicit-def: $vgpr27
	s_and_saveexec_b64 s[4:5], s[46:47]
	s_cbranch_execz .LBB1519_96
; %bb.95:
	v_lshlrev_b32_e32 v34, 2, v28
	v_mov_b32_e32 v35, 0
	v_lshl_add_u64 v[34:35], s[52:53], 0, v[34:35]
	flat_load_dword v27, v[34:35]
.LBB1519_96:
	s_or_b64 exec, exec, s[4:5]
	s_waitcnt vmcnt(0) lgkmcnt(0)
	ds_write2st64_b32 v2, v29, v30 offset1:4
	ds_write2st64_b32 v2, v31, v3 offset0:8 offset1:12
	ds_write2st64_b32 v2, v32, v10 offset0:16 offset1:20
	;; [unrolled: 1-line block ×10, first 2 shown]
	ds_write_b32 v2, v27 offset:22528
	v_mov_b64_e32 v[10:11], 0
	v_cmp_gt_u32_e32 vcc, s3, v71
	s_mov_b64 s[10:11], 0
	s_mov_b64 s[4:5], 0
	v_mov_b64_e32 v[12:13], v[10:11]
	v_mov_b64_e32 v[14:15], v[10:11]
	;; [unrolled: 1-line block ×21, first 2 shown]
	s_waitcnt lgkmcnt(0)
	s_barrier
	s_waitcnt lgkmcnt(0)
                                        ; implicit-def: $sgpr8_sgpr9
                                        ; implicit-def: $vgpr2
	s_and_saveexec_b64 s[6:7], vcc
	s_cbranch_execz .LBB1519_142
; %bb.97:
	ds_read_b32 v2, v70
	v_mov_b32_e32 v10, s76
	v_cmp_eq_u32_e32 vcc, v72, v68
	v_add_u32_e32 v3, 1, v71
	v_mov_b64_e32 v[12:13], 0
	s_waitcnt lgkmcnt(0)
	v_cndmask_b32_e32 v10, v10, v2, vcc
	v_cmp_ne_u32_e32 vcc, v72, v68
	s_mov_b64 s[12:13], 0
	v_mov_b64_e32 v[14:15], v[12:13]
	v_cndmask_b32_e64 v11, 0, 1, vcc
	v_cmp_gt_u32_e32 vcc, s3, v3
	v_mov_b64_e32 v[16:17], v[12:13]
	v_mov_b64_e32 v[18:19], v[12:13]
	;; [unrolled: 1-line block ×19, first 2 shown]
                                        ; implicit-def: $sgpr14_sgpr15
                                        ; implicit-def: $vgpr2
	s_and_saveexec_b64 s[8:9], vcc
	s_cbranch_execz .LBB1519_141
; %bb.98:
	ds_read2_b32 v[2:3], v70 offset0:1 offset1:2
	v_mov_b32_e32 v12, s76
	v_cmp_eq_u32_e32 vcc, v68, v69
	v_add_u32_e32 v14, 2, v71
	s_mov_b64 s[14:15], 0
	s_waitcnt lgkmcnt(0)
	v_cndmask_b32_e32 v12, v12, v2, vcc
	v_cmp_ne_u32_e32 vcc, v68, v69
                                        ; implicit-def: $sgpr16_sgpr17
                                        ; implicit-def: $vgpr2
	s_nop 1
	v_cndmask_b32_e64 v13, 0, 1, vcc
	v_cmp_gt_u32_e32 vcc, s3, v14
	v_mov_b64_e32 v[14:15], 0
	v_mov_b64_e32 v[16:17], v[14:15]
	;; [unrolled: 1-line block ×20, first 2 shown]
	s_and_saveexec_b64 s[10:11], vcc
	s_cbranch_execz .LBB1519_140
; %bb.99:
	v_mov_b32_e32 v14, s76
	v_cmp_eq_u32_e32 vcc, v69, v66
	v_add_u32_e32 v2, 3, v71
	v_mov_b64_e32 v[16:17], 0
	v_cndmask_b32_e32 v14, v14, v3, vcc
	v_cmp_ne_u32_e32 vcc, v69, v66
	s_mov_b64 s[16:17], 0
	v_mov_b64_e32 v[18:19], v[16:17]
	v_cndmask_b32_e64 v15, 0, 1, vcc
	v_cmp_gt_u32_e32 vcc, s3, v2
	v_mov_b64_e32 v[20:21], v[16:17]
	v_mov_b64_e32 v[22:23], v[16:17]
	;; [unrolled: 1-line block ×17, first 2 shown]
                                        ; implicit-def: $sgpr18_sgpr19
                                        ; implicit-def: $vgpr2
	s_and_saveexec_b64 s[12:13], vcc
	s_cbranch_execz .LBB1519_139
; %bb.100:
	ds_read2_b32 v[2:3], v70 offset0:3 offset1:4
	v_mov_b32_e32 v16, s76
	v_cmp_eq_u32_e32 vcc, v66, v67
	v_add_u32_e32 v18, 4, v71
	s_mov_b64 s[18:19], 0
	s_waitcnt lgkmcnt(0)
	v_cndmask_b32_e32 v16, v16, v2, vcc
	v_cmp_ne_u32_e32 vcc, v66, v67
                                        ; implicit-def: $sgpr20_sgpr21
                                        ; implicit-def: $vgpr2
	s_nop 1
	v_cndmask_b32_e64 v17, 0, 1, vcc
	v_cmp_gt_u32_e32 vcc, s3, v18
	v_mov_b64_e32 v[18:19], 0
	v_mov_b64_e32 v[20:21], v[18:19]
	;; [unrolled: 1-line block ×18, first 2 shown]
	s_and_saveexec_b64 s[14:15], vcc
	s_cbranch_execz .LBB1519_138
; %bb.101:
	v_mov_b32_e32 v18, s76
	v_cmp_eq_u32_e32 vcc, v67, v64
	v_add_u32_e32 v2, 5, v71
	v_mov_b64_e32 v[20:21], 0
	v_cndmask_b32_e32 v18, v18, v3, vcc
	v_cmp_ne_u32_e32 vcc, v67, v64
	s_mov_b64 s[20:21], 0
	v_mov_b64_e32 v[22:23], v[20:21]
	v_cndmask_b32_e64 v19, 0, 1, vcc
	v_cmp_gt_u32_e32 vcc, s3, v2
	v_mov_b64_e32 v[24:25], v[20:21]
	v_mov_b64_e32 v[26:27], v[20:21]
	;; [unrolled: 1-line block ×15, first 2 shown]
                                        ; implicit-def: $sgpr22_sgpr23
                                        ; implicit-def: $vgpr2
	s_and_saveexec_b64 s[16:17], vcc
	s_cbranch_execz .LBB1519_137
; %bb.102:
	ds_read2_b32 v[2:3], v70 offset0:5 offset1:6
	v_mov_b32_e32 v20, s76
	v_cmp_eq_u32_e32 vcc, v64, v65
	v_add_u32_e32 v22, 6, v71
	s_mov_b64 s[22:23], 0
	s_waitcnt lgkmcnt(0)
	v_cndmask_b32_e32 v20, v20, v2, vcc
	v_cmp_ne_u32_e32 vcc, v64, v65
                                        ; implicit-def: $sgpr24_sgpr25
                                        ; implicit-def: $vgpr2
	s_nop 1
	v_cndmask_b32_e64 v21, 0, 1, vcc
	v_cmp_gt_u32_e32 vcc, s3, v22
	v_mov_b64_e32 v[22:23], 0
	v_mov_b64_e32 v[24:25], v[22:23]
	;; [unrolled: 1-line block ×16, first 2 shown]
	s_and_saveexec_b64 s[18:19], vcc
	s_cbranch_execz .LBB1519_136
; %bb.103:
	v_mov_b32_e32 v22, s76
	v_cmp_eq_u32_e32 vcc, v65, v62
	v_add_u32_e32 v2, 7, v71
	v_mov_b64_e32 v[24:25], 0
	v_cndmask_b32_e32 v22, v22, v3, vcc
	v_cmp_ne_u32_e32 vcc, v65, v62
	s_mov_b64 s[24:25], 0
	v_mov_b64_e32 v[26:27], v[24:25]
	v_cndmask_b32_e64 v23, 0, 1, vcc
	v_cmp_gt_u32_e32 vcc, s3, v2
	v_mov_b64_e32 v[28:29], v[24:25]
	v_mov_b64_e32 v[30:31], v[24:25]
	;; [unrolled: 1-line block ×13, first 2 shown]
                                        ; implicit-def: $sgpr26_sgpr27
                                        ; implicit-def: $vgpr2
	s_and_saveexec_b64 s[20:21], vcc
	s_cbranch_execz .LBB1519_135
; %bb.104:
	ds_read2_b32 v[2:3], v70 offset0:7 offset1:8
	v_mov_b32_e32 v24, s76
	v_cmp_eq_u32_e32 vcc, v62, v63
	v_add_u32_e32 v26, 8, v71
	s_mov_b64 s[26:27], 0
	s_waitcnt lgkmcnt(0)
	v_cndmask_b32_e32 v24, v24, v2, vcc
	v_cmp_ne_u32_e32 vcc, v62, v63
                                        ; implicit-def: $sgpr28_sgpr29
                                        ; implicit-def: $vgpr2
	s_nop 1
	v_cndmask_b32_e64 v25, 0, 1, vcc
	v_cmp_gt_u32_e32 vcc, s3, v26
	v_mov_b64_e32 v[26:27], 0
	v_mov_b64_e32 v[28:29], v[26:27]
	;; [unrolled: 1-line block ×14, first 2 shown]
	s_and_saveexec_b64 s[22:23], vcc
	s_cbranch_execz .LBB1519_134
; %bb.105:
	v_mov_b32_e32 v26, s76
	v_cmp_eq_u32_e32 vcc, v63, v60
	v_add_u32_e32 v2, 9, v71
	v_mov_b64_e32 v[28:29], 0
	v_cndmask_b32_e32 v26, v26, v3, vcc
	v_cmp_ne_u32_e32 vcc, v63, v60
	s_mov_b64 s[28:29], 0
	v_mov_b64_e32 v[30:31], v[28:29]
	v_cndmask_b32_e64 v27, 0, 1, vcc
	v_cmp_gt_u32_e32 vcc, s3, v2
	v_mov_b64_e32 v[32:33], v[28:29]
	v_mov_b64_e32 v[34:35], v[28:29]
	;; [unrolled: 1-line block ×11, first 2 shown]
                                        ; implicit-def: $sgpr30_sgpr31
                                        ; implicit-def: $vgpr2
	s_and_saveexec_b64 s[24:25], vcc
	s_cbranch_execz .LBB1519_133
; %bb.106:
	ds_read2_b32 v[2:3], v70 offset0:9 offset1:10
	v_mov_b32_e32 v28, s76
	v_cmp_eq_u32_e32 vcc, v60, v61
	v_add_u32_e32 v30, 10, v71
	s_mov_b64 s[30:31], 0
	s_waitcnt lgkmcnt(0)
	v_cndmask_b32_e32 v28, v28, v2, vcc
	v_cmp_ne_u32_e32 vcc, v60, v61
                                        ; implicit-def: $sgpr34_sgpr35
                                        ; implicit-def: $vgpr2
	s_nop 1
	v_cndmask_b32_e64 v29, 0, 1, vcc
	v_cmp_gt_u32_e32 vcc, s3, v30
	v_mov_b64_e32 v[30:31], 0
	v_mov_b64_e32 v[32:33], v[30:31]
	;; [unrolled: 1-line block ×12, first 2 shown]
	s_and_saveexec_b64 s[26:27], vcc
	s_cbranch_execz .LBB1519_132
; %bb.107:
	v_mov_b32_e32 v30, s76
	v_cmp_eq_u32_e32 vcc, v61, v58
	v_add_u32_e32 v2, 11, v71
	v_mov_b64_e32 v[32:33], 0
	v_cndmask_b32_e32 v30, v30, v3, vcc
	v_cmp_ne_u32_e32 vcc, v61, v58
	s_mov_b64 s[34:35], 0
	v_mov_b64_e32 v[34:35], v[32:33]
	v_cndmask_b32_e64 v31, 0, 1, vcc
	v_cmp_gt_u32_e32 vcc, s3, v2
	v_mov_b64_e32 v[36:37], v[32:33]
	v_mov_b64_e32 v[38:39], v[32:33]
	;; [unrolled: 1-line block ×9, first 2 shown]
                                        ; implicit-def: $sgpr36_sgpr37
                                        ; implicit-def: $vgpr2
	s_and_saveexec_b64 s[28:29], vcc
	s_cbranch_execz .LBB1519_131
; %bb.108:
	ds_read2_b32 v[2:3], v70 offset0:11 offset1:12
	v_mov_b32_e32 v32, s76
	v_cmp_eq_u32_e32 vcc, v58, v59
	v_add_u32_e32 v34, 12, v71
	s_mov_b64 s[36:37], 0
	s_waitcnt lgkmcnt(0)
	v_cndmask_b32_e32 v32, v32, v2, vcc
	v_cmp_ne_u32_e32 vcc, v58, v59
                                        ; implicit-def: $sgpr38_sgpr39
                                        ; implicit-def: $vgpr2
	s_nop 1
	v_cndmask_b32_e64 v33, 0, 1, vcc
	v_cmp_gt_u32_e32 vcc, s3, v34
	v_mov_b64_e32 v[34:35], 0
	v_mov_b64_e32 v[36:37], v[34:35]
	;; [unrolled: 1-line block ×10, first 2 shown]
	s_and_saveexec_b64 s[30:31], vcc
	s_cbranch_execz .LBB1519_130
; %bb.109:
	v_mov_b32_e32 v34, s76
	v_cmp_eq_u32_e32 vcc, v59, v56
	v_add_u32_e32 v2, 13, v71
	v_mov_b64_e32 v[36:37], 0
	v_cndmask_b32_e32 v34, v34, v3, vcc
	v_cmp_ne_u32_e32 vcc, v59, v56
	s_mov_b64 s[38:39], 0
	v_mov_b64_e32 v[38:39], v[36:37]
	v_cndmask_b32_e64 v35, 0, 1, vcc
	v_cmp_gt_u32_e32 vcc, s3, v2
	v_mov_b64_e32 v[40:41], v[36:37]
	v_mov_b64_e32 v[42:43], v[36:37]
	;; [unrolled: 1-line block ×7, first 2 shown]
                                        ; implicit-def: $sgpr40_sgpr41
                                        ; implicit-def: $vgpr2
	s_and_saveexec_b64 s[34:35], vcc
	s_cbranch_execz .LBB1519_129
; %bb.110:
	ds_read2_b32 v[2:3], v70 offset0:13 offset1:14
	v_mov_b32_e32 v36, s76
	v_cmp_eq_u32_e32 vcc, v56, v57
	v_add_u32_e32 v38, 14, v71
	s_mov_b64 s[40:41], 0
	s_waitcnt lgkmcnt(0)
	v_cndmask_b32_e32 v36, v36, v2, vcc
	v_cmp_ne_u32_e32 vcc, v56, v57
                                        ; implicit-def: $sgpr42_sgpr43
                                        ; implicit-def: $vgpr2
	s_nop 1
	v_cndmask_b32_e64 v37, 0, 1, vcc
	v_cmp_gt_u32_e32 vcc, s3, v38
	v_mov_b64_e32 v[38:39], 0
	v_mov_b64_e32 v[40:41], v[38:39]
	;; [unrolled: 1-line block ×8, first 2 shown]
	s_and_saveexec_b64 s[36:37], vcc
	s_cbranch_execz .LBB1519_128
; %bb.111:
	v_mov_b32_e32 v38, s76
	v_cmp_eq_u32_e32 vcc, v57, v54
	v_add_u32_e32 v2, 15, v71
	v_mov_b64_e32 v[40:41], 0
	v_cndmask_b32_e32 v38, v38, v3, vcc
	v_cmp_ne_u32_e32 vcc, v57, v54
	s_mov_b64 s[42:43], 0
	v_mov_b64_e32 v[42:43], v[40:41]
	v_cndmask_b32_e64 v39, 0, 1, vcc
	v_cmp_gt_u32_e32 vcc, s3, v2
	v_mov_b64_e32 v[44:45], v[40:41]
	v_mov_b64_e32 v[46:47], v[40:41]
	;; [unrolled: 1-line block ×5, first 2 shown]
                                        ; implicit-def: $sgpr44_sgpr45
                                        ; implicit-def: $vgpr2
	s_and_saveexec_b64 s[38:39], vcc
	s_cbranch_execz .LBB1519_127
; %bb.112:
	ds_read2_b32 v[2:3], v70 offset0:15 offset1:16
	v_mov_b32_e32 v40, s76
	v_cmp_eq_u32_e32 vcc, v54, v55
	v_add_u32_e32 v42, 16, v71
	s_mov_b64 s[44:45], 0
	s_waitcnt lgkmcnt(0)
	v_cndmask_b32_e32 v40, v40, v2, vcc
	v_cmp_ne_u32_e32 vcc, v54, v55
                                        ; implicit-def: $sgpr46_sgpr47
                                        ; implicit-def: $vgpr2
	s_nop 1
	v_cndmask_b32_e64 v41, 0, 1, vcc
	v_cmp_gt_u32_e32 vcc, s3, v42
	v_mov_b64_e32 v[42:43], 0
	v_mov_b64_e32 v[44:45], v[42:43]
	;; [unrolled: 1-line block ×6, first 2 shown]
	s_and_saveexec_b64 s[40:41], vcc
	s_cbranch_execz .LBB1519_126
; %bb.113:
	v_mov_b32_e32 v42, s76
	v_cmp_eq_u32_e32 vcc, v55, v8
	v_add_u32_e32 v2, 17, v71
	v_mov_b64_e32 v[44:45], 0
	v_cndmask_b32_e32 v42, v42, v3, vcc
	v_cmp_ne_u32_e32 vcc, v55, v8
	s_mov_b64 s[46:47], 0
	v_mov_b64_e32 v[46:47], v[44:45]
	v_cndmask_b32_e64 v43, 0, 1, vcc
	v_cmp_gt_u32_e32 vcc, s3, v2
	v_mov_b64_e32 v[48:49], v[44:45]
	v_mov_b64_e32 v[50:51], v[44:45]
	;; [unrolled: 1-line block ×3, first 2 shown]
                                        ; implicit-def: $sgpr48_sgpr49
                                        ; implicit-def: $vgpr2
	s_and_saveexec_b64 s[42:43], vcc
	s_cbranch_execz .LBB1519_125
; %bb.114:
	ds_read2_b32 v[2:3], v70 offset0:17 offset1:18
	v_mov_b32_e32 v44, s76
	v_cmp_eq_u32_e32 vcc, v8, v9
	v_add_u32_e32 v46, 18, v71
	s_mov_b64 s[48:49], 0
	s_waitcnt lgkmcnt(0)
	v_cndmask_b32_e32 v44, v44, v2, vcc
	v_cmp_ne_u32_e32 vcc, v8, v9
                                        ; implicit-def: $sgpr50_sgpr51
                                        ; implicit-def: $vgpr2
	s_nop 1
	v_cndmask_b32_e64 v45, 0, 1, vcc
	v_cmp_gt_u32_e32 vcc, s3, v46
	v_mov_b64_e32 v[46:47], 0
	v_mov_b64_e32 v[48:49], v[46:47]
	;; [unrolled: 1-line block ×4, first 2 shown]
	s_and_saveexec_b64 s[44:45], vcc
	s_cbranch_execz .LBB1519_124
; %bb.115:
	v_mov_b32_e32 v8, s76
	v_cmp_eq_u32_e32 vcc, v9, v6
	v_add_u32_e32 v2, 19, v71
	v_mov_b64_e32 v[48:49], 0
	v_cndmask_b32_e32 v46, v8, v3, vcc
	v_cmp_ne_u32_e32 vcc, v9, v6
	s_mov_b64 s[50:51], 0
	v_mov_b64_e32 v[50:51], v[48:49]
	v_cndmask_b32_e64 v47, 0, 1, vcc
	v_cmp_gt_u32_e32 vcc, s3, v2
	v_mov_b64_e32 v[52:53], v[48:49]
                                        ; implicit-def: $sgpr60_sgpr61
                                        ; implicit-def: $vgpr2
	s_and_saveexec_b64 s[46:47], vcc
	s_cbranch_execz .LBB1519_123
; %bb.116:
	ds_read2_b32 v[2:3], v70 offset0:19 offset1:20
	v_mov_b32_e32 v9, s76
	v_cmp_eq_u32_e32 vcc, v6, v7
	v_add_u32_e32 v8, 20, v71
	v_mov_b64_e32 v[50:51], 0
	s_waitcnt lgkmcnt(0)
	v_cndmask_b32_e32 v48, v9, v2, vcc
	v_cmp_ne_u32_e32 vcc, v6, v7
	s_mov_b64 s[60:61], 0
	v_mov_b64_e32 v[52:53], v[50:51]
	v_cndmask_b32_e64 v49, 0, 1, vcc
	v_cmp_gt_u32_e32 vcc, s3, v8
                                        ; implicit-def: $sgpr72_sgpr73
                                        ; implicit-def: $vgpr2
	s_and_saveexec_b64 s[48:49], vcc
	s_cbranch_execz .LBB1519_122
; %bb.117:
	v_mov_b32_e32 v6, s76
	v_cmp_eq_u32_e32 vcc, v7, v4
	v_add_u32_e32 v2, 21, v71
	v_mov_b64_e32 v[52:53], 0
	v_cndmask_b32_e32 v50, v6, v3, vcc
	v_cmp_ne_u32_e32 vcc, v7, v4
                                        ; implicit-def: $sgpr72_sgpr73
	s_nop 1
	v_cndmask_b32_e64 v51, 0, 1, vcc
	v_cmp_gt_u32_e32 vcc, s3, v2
                                        ; implicit-def: $vgpr2
	s_and_saveexec_b64 s[50:51], vcc
	s_cbranch_execz .LBB1519_121
; %bb.118:
	ds_read2_b32 v[2:3], v70 offset0:21 offset1:22
	v_mov_b32_e32 v7, s76
	v_cmp_eq_u32_e32 vcc, v4, v5
	v_add_u32_e32 v6, 22, v71
                                        ; implicit-def: $sgpr72_sgpr73
	s_waitcnt lgkmcnt(0)
	v_cndmask_b32_e32 v52, v7, v2, vcc
	v_cmp_ne_u32_e32 vcc, v4, v5
                                        ; implicit-def: $vgpr2
	s_nop 1
	v_cndmask_b32_e64 v53, 0, 1, vcc
	v_cmp_gt_u32_e32 vcc, s3, v6
	s_and_saveexec_b64 s[74:75], vcc
	s_xor_b64 s[74:75], exec, s[74:75]
; %bb.119:
	v_mov_b32_e32 v2, s76
	v_cmp_ne_u32_e32 vcc, v5, v1
	s_mov_b64 s[60:61], exec
	s_and_b64 s[72:73], vcc, exec
	v_cndmask_b32_e32 v2, v3, v2, vcc
; %bb.120:
	s_or_b64 exec, exec, s[74:75]
	s_and_b64 s[72:73], s[72:73], exec
	s_and_b64 s[60:61], s[60:61], exec
.LBB1519_121:
	s_or_b64 exec, exec, s[50:51]
	s_and_b64 s[72:73], s[72:73], exec
	s_and_b64 s[50:51], s[60:61], exec
.LBB1519_122:
	s_or_b64 exec, exec, s[48:49]
	s_and_b64 s[60:61], s[72:73], exec
	s_and_b64 s[48:49], s[50:51], exec
.LBB1519_123:
	s_or_b64 exec, exec, s[46:47]
	s_and_b64 s[50:51], s[60:61], exec
	s_and_b64 s[46:47], s[48:49], exec
.LBB1519_124:
	s_or_b64 exec, exec, s[44:45]
	s_and_b64 s[48:49], s[50:51], exec
	s_and_b64 s[44:45], s[46:47], exec
.LBB1519_125:
	s_or_b64 exec, exec, s[42:43]
	s_and_b64 s[46:47], s[48:49], exec
	s_and_b64 s[42:43], s[44:45], exec
.LBB1519_126:
	s_or_b64 exec, exec, s[40:41]
	s_and_b64 s[44:45], s[46:47], exec
	s_and_b64 s[40:41], s[42:43], exec
.LBB1519_127:
	s_or_b64 exec, exec, s[38:39]
	s_and_b64 s[42:43], s[44:45], exec
	s_and_b64 s[38:39], s[40:41], exec
.LBB1519_128:
	s_or_b64 exec, exec, s[36:37]
	s_and_b64 s[40:41], s[42:43], exec
	s_and_b64 s[36:37], s[38:39], exec
.LBB1519_129:
	s_or_b64 exec, exec, s[34:35]
	s_and_b64 s[38:39], s[40:41], exec
	s_and_b64 s[34:35], s[36:37], exec
.LBB1519_130:
	s_or_b64 exec, exec, s[30:31]
	s_and_b64 s[36:37], s[38:39], exec
	s_and_b64 s[30:31], s[34:35], exec
.LBB1519_131:
	s_or_b64 exec, exec, s[28:29]
	s_and_b64 s[34:35], s[36:37], exec
	s_and_b64 s[28:29], s[30:31], exec
.LBB1519_132:
	s_or_b64 exec, exec, s[26:27]
	s_and_b64 s[30:31], s[34:35], exec
	s_and_b64 s[26:27], s[28:29], exec
.LBB1519_133:
	s_or_b64 exec, exec, s[24:25]
	s_and_b64 s[28:29], s[30:31], exec
	s_and_b64 s[24:25], s[26:27], exec
.LBB1519_134:
	s_or_b64 exec, exec, s[22:23]
	s_and_b64 s[26:27], s[28:29], exec
	s_and_b64 s[22:23], s[24:25], exec
.LBB1519_135:
	s_or_b64 exec, exec, s[20:21]
	s_and_b64 s[24:25], s[26:27], exec
	s_and_b64 s[20:21], s[22:23], exec
.LBB1519_136:
	s_or_b64 exec, exec, s[18:19]
	s_and_b64 s[22:23], s[24:25], exec
	s_and_b64 s[18:19], s[20:21], exec
.LBB1519_137:
	s_or_b64 exec, exec, s[16:17]
	s_and_b64 s[20:21], s[22:23], exec
	s_and_b64 s[16:17], s[18:19], exec
.LBB1519_138:
	s_or_b64 exec, exec, s[14:15]
	s_and_b64 s[18:19], s[20:21], exec
	s_and_b64 s[14:15], s[16:17], exec
.LBB1519_139:
	s_or_b64 exec, exec, s[12:13]
	s_and_b64 s[16:17], s[18:19], exec
	s_and_b64 s[12:13], s[14:15], exec
.LBB1519_140:
	s_or_b64 exec, exec, s[10:11]
	s_and_b64 s[14:15], s[16:17], exec
	s_and_b64 s[10:11], s[12:13], exec
.LBB1519_141:
	s_or_b64 exec, exec, s[8:9]
	s_and_b64 s[8:9], s[14:15], exec
	s_and_b64 s[10:11], s[10:11], exec
.LBB1519_142:
	s_or_b64 exec, exec, s[6:7]
	s_mov_b64 s[6:7], 0
	s_and_b64 vcc, exec, s[4:5]
	v_lshlrev_b32_e32 v54, 2, v0
	s_cbranch_vccz .LBB1519_148
.LBB1519_143:
	v_mov_b32_e32 v55, 0
	v_lshl_add_u64 v[2:3], s[70:71], 0, v[54:55]
	v_add_co_u32_e32 v4, vcc, 0x1000, v2
	s_movk_i32 s6, 0x58
	s_nop 0
	v_addc_co_u32_e32 v5, vcc, 0, v3, vcc
	flat_load_dword v1, v[2:3]
	flat_load_dword v8, v[2:3] offset:1024
	flat_load_dword v9, v[2:3] offset:2048
	;; [unrolled: 1-line block ×3, first 2 shown]
	flat_load_dword v11, v[4:5]
	flat_load_dword v12, v[4:5] offset:1024
	flat_load_dword v13, v[4:5] offset:2048
	;; [unrolled: 1-line block ×3, first 2 shown]
	v_add_co_u32_e32 v4, vcc, 0x2000, v2
	s_movk_i32 s10, 0x1000
	s_nop 0
	v_addc_co_u32_e32 v5, vcc, 0, v3, vcc
	v_add_co_u32_e32 v6, vcc, 0x3000, v2
	s_mov_b32 s4, 0
	s_nop 0
	v_addc_co_u32_e32 v7, vcc, 0, v3, vcc
	flat_load_dword v15, v[4:5]
	flat_load_dword v16, v[4:5] offset:1024
	flat_load_dword v17, v[4:5] offset:2048
	;; [unrolled: 1-line block ×3, first 2 shown]
	flat_load_dword v19, v[6:7]
	flat_load_dword v20, v[6:7] offset:1024
	flat_load_dword v21, v[6:7] offset:2048
	;; [unrolled: 1-line block ×3, first 2 shown]
	v_add_co_u32_e32 v4, vcc, 0x4000, v2
	s_movk_i32 s9, 0x2000
	s_nop 0
	v_addc_co_u32_e32 v5, vcc, 0, v3, vcc
	v_add_co_u32_e32 v2, vcc, 0x5000, v2
	s_movk_i32 s8, 0x3000
	s_nop 0
	v_addc_co_u32_e32 v3, vcc, 0, v3, vcc
	flat_load_dword v6, v[4:5]
	flat_load_dword v7, v[4:5] offset:1024
	flat_load_dword v23, v[4:5] offset:2048
	;; [unrolled: 1-line block ×3, first 2 shown]
	flat_load_dword v25, v[2:3]
	flat_load_dword v26, v[2:3] offset:1024
	flat_load_dword v27, v[2:3] offset:2048
	v_mov_b32_e32 v2, s70
	v_mov_b32_e32 v3, s71
	v_add_co_u32_e32 v2, vcc, 0x5000, v2
	s_movk_i32 s5, 0x4000
	s_nop 0
	v_addc_co_u32_e32 v3, vcc, 0, v3, vcc
	s_movk_i32 s3, 0x5000
	s_waitcnt vmcnt(0) lgkmcnt(0)
	ds_write2st64_b32 v54, v1, v8 offset1:4
	ds_write2st64_b32 v54, v9, v10 offset0:8 offset1:12
	ds_write2st64_b32 v54, v11, v12 offset0:16 offset1:20
	ds_write2st64_b32 v54, v13, v14 offset0:24 offset1:28
	ds_write2st64_b32 v54, v15, v16 offset0:32 offset1:36
	ds_write2st64_b32 v54, v17, v18 offset0:40 offset1:44
	ds_write2st64_b32 v54, v19, v20 offset0:48 offset1:52
	ds_write2st64_b32 v54, v21, v22 offset0:56 offset1:60
	ds_write2st64_b32 v54, v6, v7 offset0:64 offset1:68
	ds_write2st64_b32 v54, v23, v24 offset0:72 offset1:76
	ds_write2st64_b32 v54, v25, v26 offset0:80 offset1:84
	ds_write_b32 v54, v27 offset:22528
	s_waitcnt lgkmcnt(0)
	s_barrier
	flat_load_dword v1, v[2:3] offset:3072
	v_mad_u32_u24 v12, v0, s6, v54
	s_movk_i32 s6, 0xffa8
	v_mad_i32_i24 v11, v0, s6, v12
	s_movk_i32 s6, 0xff
	v_cmp_ne_u32_e32 vcc, s6, v0
	ds_read_b32 v10, v12
	ds_read2_b32 v[14:15], v12 offset0:1 offset1:2
	ds_read2_b32 v[18:19], v12 offset0:3 offset1:4
	ds_read2_b32 v[22:23], v12 offset0:5 offset1:6
	ds_read2_b32 v[26:27], v12 offset0:7 offset1:8
	ds_read2_b32 v[30:31], v12 offset0:9 offset1:10
	ds_read2_b32 v[34:35], v12 offset0:11 offset1:12
	ds_read2_b32 v[38:39], v12 offset0:13 offset1:14
	ds_read2_b32 v[8:9], v12 offset0:15 offset1:16
	ds_read2_b32 v[6:7], v12 offset0:17 offset1:18
	ds_read2_b32 v[4:5], v12 offset0:19 offset1:20
	ds_read2_b32 v[2:3], v12 offset0:21 offset1:22
	s_waitcnt lgkmcnt(0)
	ds_write_b32 v11, v10 offset:24576
	s_waitcnt lgkmcnt(0)
	s_barrier
	s_and_saveexec_b64 s[6:7], vcc
	s_cbranch_execz .LBB1519_145
; %bb.144:
	s_waitcnt vmcnt(0)
	ds_read_b32 v1, v54 offset:24580
.LBB1519_145:
	s_or_b64 exec, exec, s[6:7]
	v_lshl_add_u64 v[16:17], s[52:53], 0, v[54:55]
	v_add_co_u32_e32 v20, vcc, s10, v16
	s_waitcnt lgkmcnt(0)
	s_nop 0
	v_addc_co_u32_e32 v21, vcc, 0, v17, vcc
	s_barrier
	flat_load_dword v11, v[16:17]
	flat_load_dword v13, v[16:17] offset:1024
	flat_load_dword v28, v[16:17] offset:2048
	;; [unrolled: 1-line block ×3, first 2 shown]
	flat_load_dword v32, v[20:21]
	flat_load_dword v33, v[20:21] offset:1024
	flat_load_dword v36, v[20:21] offset:2048
	;; [unrolled: 1-line block ×3, first 2 shown]
	v_add_co_u32_e32 v20, vcc, s9, v16
	s_nop 1
	v_addc_co_u32_e32 v21, vcc, 0, v17, vcc
	v_add_co_u32_e32 v24, vcc, s8, v16
	s_nop 1
	v_addc_co_u32_e32 v25, vcc, 0, v17, vcc
	flat_load_dword v40, v[20:21]
	flat_load_dword v41, v[20:21] offset:1024
	flat_load_dword v42, v[20:21] offset:2048
	;; [unrolled: 1-line block ×3, first 2 shown]
	flat_load_dword v44, v[24:25]
	flat_load_dword v45, v[24:25] offset:1024
	flat_load_dword v46, v[24:25] offset:2048
	;; [unrolled: 1-line block ×3, first 2 shown]
	v_add_co_u32_e32 v20, vcc, s5, v16
	s_mov_b32 s5, 1
	s_nop 0
	v_addc_co_u32_e32 v21, vcc, 0, v17, vcc
	v_add_co_u32_e32 v16, vcc, s3, v16
	s_nop 1
	v_addc_co_u32_e32 v17, vcc, 0, v17, vcc
	flat_load_dword v24, v[20:21]
	flat_load_dword v25, v[20:21] offset:1024
	flat_load_dword v48, v[20:21] offset:2048
	;; [unrolled: 1-line block ×3, first 2 shown]
	flat_load_dword v50, v[16:17]
	flat_load_dword v51, v[16:17] offset:1024
	flat_load_dword v52, v[16:17] offset:2048
	v_cmp_eq_u32_e32 vcc, v10, v14
	s_waitcnt vmcnt(0) lgkmcnt(0)
	ds_write2st64_b32 v54, v11, v13 offset1:4
	ds_write2st64_b32 v54, v28, v29 offset0:8 offset1:12
	ds_write2st64_b32 v54, v32, v33 offset0:16 offset1:20
	;; [unrolled: 1-line block ×10, first 2 shown]
	ds_write_b32 v54, v52 offset:22528
	s_waitcnt lgkmcnt(0)
	s_barrier
	ds_read2_b32 v[16:17], v12 offset0:1 offset1:2
	ds_read2_b32 v[20:21], v12 offset0:3 offset1:4
	ds_read2_b32 v[24:25], v12 offset0:5 offset1:6
	ds_read2_b32 v[28:29], v12 offset0:7 offset1:8
	ds_read2_b32 v[32:33], v12 offset0:9 offset1:10
	ds_read2_b32 v[36:37], v12 offset0:11 offset1:12
	ds_read2_b32 v[40:41], v12 offset0:13 offset1:14
	ds_read2_b32 v[42:43], v12 offset0:15 offset1:16
	ds_read2_b32 v[46:47], v12 offset0:17 offset1:18
	ds_read2_b32 v[50:51], v12 offset0:19 offset1:20
	ds_read2_b32 v[56:57], v12 offset0:21 offset1:22
	v_mov_b64_e32 v[10:11], s[4:5]
	v_mov_b32_e32 v13, s76
	s_and_saveexec_b64 s[4:5], vcc
	s_cbranch_execz .LBB1519_147
; %bb.146:
	ds_read_b32 v13, v12
	v_mov_b64_e32 v[10:11], 0
.LBB1519_147:
	s_or_b64 exec, exec, s[4:5]
	v_mov_b32_e32 v55, s76
	v_cmp_eq_u32_e32 vcc, v14, v15
	s_waitcnt lgkmcnt(0)
	v_or_b32_e32 v10, v10, v13
	v_cmp_ne_u32_e64 s[8:9], v3, v1
	v_cndmask_b32_e32 v12, v55, v16, vcc
	v_cmp_ne_u32_e32 vcc, v14, v15
	s_mov_b64 s[10:11], -1
                                        ; implicit-def: $sgpr6_sgpr7
	s_nop 0
	v_cndmask_b32_e64 v13, 0, 1, vcc
	v_cmp_eq_u32_e32 vcc, v15, v18
	s_nop 1
	v_cndmask_b32_e32 v14, v55, v17, vcc
	v_cmp_ne_u32_e32 vcc, v15, v18
	s_nop 1
	v_cndmask_b32_e64 v15, 0, 1, vcc
	v_cmp_eq_u32_e32 vcc, v18, v19
	s_nop 1
	v_cndmask_b32_e32 v16, v55, v20, vcc
	v_cmp_ne_u32_e32 vcc, v18, v19
	;; [unrolled: 6-line block ×20, first 2 shown]
	v_cndmask_b32_e64 v2, v57, v55, s[8:9]
	s_nop 0
	v_cndmask_b32_e64 v53, 0, 1, vcc
.LBB1519_148:
	v_mov_b64_e32 v[56:57], s[6:7]
	s_and_saveexec_b64 s[4:5], s[10:11]
; %bb.149:
	v_cndmask_b32_e64 v3, 0, 1, s[8:9]
	v_mov_b64_e32 v[56:57], v[2:3]
; %bb.150:
	s_or_b64 exec, exec, s[4:5]
	s_mov_b32 s46, 0
	s_cmp_lg_u32 s2, 0
	v_or_b32_e32 v55, v57, v53
	v_lshrrev_b32_e32 v1, 5, v0
	v_cmp_gt_u32_e32 vcc, 64, v0
	s_barrier
	s_cbranch_scc0 .LBB1519_189
; %bb.151:
	s_mov_b32 s47, 1
	v_cmp_gt_u64_e64 s[50:51], s[46:47], v[12:13]
	v_cmp_gt_u64_e64 s[4:5], s[46:47], v[14:15]
	v_cmp_gt_u64_e64 s[6:7], s[46:47], v[16:17]
	v_cndmask_b32_e64 v2, 0, v10, s[50:51]
	v_add_u32_e32 v2, v2, v12
	v_cndmask_b32_e64 v2, 0, v2, s[4:5]
	v_add_u32_e32 v2, v2, v14
	v_cndmask_b32_e64 v2, 0, v2, s[6:7]
	v_add_u32_e32 v2, v2, v16
	v_cmp_gt_u64_e64 s[8:9], s[46:47], v[18:19]
	v_cmp_gt_u64_e64 s[10:11], s[46:47], v[20:21]
	v_cmp_gt_u64_e64 s[12:13], s[46:47], v[22:23]
	v_cndmask_b32_e64 v2, 0, v2, s[8:9]
	v_add_u32_e32 v2, v2, v18
	v_cndmask_b32_e64 v2, 0, v2, s[10:11]
	v_add_u32_e32 v2, v2, v20
	v_cndmask_b32_e64 v2, 0, v2, s[12:13]
	v_add_u32_e32 v2, v2, v22
	;; [unrolled: 9-line block ×7, first 2 shown]
	v_cmp_gt_u64_e64 s[46:47], s[46:47], v[56:57]
	s_nop 1
	v_cndmask_b32_e64 v2, 0, v2, s[46:47]
	v_add_u32_e32 v62, v2, v56
	v_or3_b32 v2, v55, v51, v49
	v_or3_b32 v2, v2, v47, v45
	;; [unrolled: 1-line block ×10, first 2 shown]
	v_and_b32_e32 v2, 1, v2
	v_cmp_eq_u32_e64 s[46:47], 1, v2
	v_add_lshl_u32 v2, v1, v0, 3
	s_nop 0
	v_cndmask_b32_e64 v63, v11, 1, s[46:47]
	ds_write_b32 v2, v62
	ds_write_b8 v2, v63 offset:4
	s_waitcnt lgkmcnt(0)
	s_barrier
	s_and_saveexec_b64 s[48:49], vcc
	s_cbranch_execz .LBB1519_163
; %bb.152:
	v_lshrrev_b32_e32 v2, 3, v0
	v_add_lshl_u32 v4, v2, v54, 3
	ds_read2_b32 v[6:7], v4 offset0:2 offset1:4
	ds_read_b64 v[2:3], v4
	ds_read_u8 v8, v4 offset:12
	ds_read_u8 v9, v4 offset:20
	ds_read_b32 v58, v4 offset:24
	ds_read_u8 v59, v4 offset:28
	v_mov_b32_e32 v60, 0
	s_waitcnt lgkmcnt(3)
	v_cmp_eq_u16_sdwa s[46:47], v8, v60 src0_sel:BYTE_0 src1_sel:DWORD
	v_and_b32_e32 v5, 1, v3
	s_nop 0
	v_cndmask_b32_e64 v61, 0, v2, s[46:47]
	v_add_u32_e32 v6, v61, v6
	s_waitcnt lgkmcnt(2)
	v_cmp_eq_u16_sdwa s[46:47], v9, v60 src0_sel:BYTE_0 src1_sel:DWORD
	s_nop 1
	v_cndmask_b32_e64 v6, 0, v6, s[46:47]
	v_add_u32_e32 v6, v6, v7
	s_waitcnt lgkmcnt(0)
	v_cmp_eq_u16_e64 s[46:47], 0, v59
	s_nop 1
	v_cndmask_b32_e64 v6, 0, v6, s[46:47]
	v_add_u32_e32 v7, v6, v58
	v_or_b32_e32 v6, v59, v9
	v_or_b32_e32 v6, v6, v8
	v_and_b32_e32 v6, 1, v6
	v_cmp_eq_u32_e64 s[46:47], 1, v6
	v_mbcnt_lo_u32_b32 v8, -1, 0
	v_and_b32_e32 v6, 0xffffff00, v3
	v_cndmask_b32_e64 v9, v5, 1, s[46:47]
	v_mbcnt_hi_u32_b32 v8, -1, v8
	v_and_b32_e32 v59, 15, v8
	v_or_b32_sdwa v58, v6, v9 dst_sel:DWORD dst_unused:UNUSED_PAD src0_sel:DWORD src1_sel:WORD_0
	v_mov_b32_dpp v60, v7 row_shr:1 row_mask:0xf bank_mask:0xf
	v_cmp_ne_u32_e64 s[46:47], 0, v59
	v_mov_b32_dpp v61, v58 row_shr:1 row_mask:0xf bank_mask:0xf
	s_and_saveexec_b64 s[52:53], s[46:47]
; %bb.153:
	v_and_b32_e32 v58, 1, v9
	v_and_b32_e32 v61, 1, v61
	v_cmp_eq_u32_e64 s[46:47], 1, v58
	s_nop 1
	v_cndmask_b32_e64 v61, v61, 1, s[46:47]
	v_cmp_eq_u16_e64 s[46:47], 0, v9
	v_or_b32_sdwa v58, v6, v61 dst_sel:DWORD dst_unused:UNUSED_PAD src0_sel:DWORD src1_sel:WORD_0
	s_nop 0
	v_cndmask_b32_e64 v9, 0, v60, s[46:47]
	v_add_u32_e32 v7, v9, v7
	v_mov_b32_e32 v9, v61
; %bb.154:
	s_or_b64 exec, exec, s[52:53]
	v_mov_b32_dpp v60, v7 row_shr:2 row_mask:0xf bank_mask:0xf
	v_mov_b32_dpp v61, v58 row_shr:2 row_mask:0xf bank_mask:0xf
	v_cmp_lt_u32_e64 s[46:47], 1, v59
	s_and_saveexec_b64 s[52:53], s[46:47]
; %bb.155:
	v_and_b32_e32 v58, 1, v9
	v_and_b32_e32 v61, 1, v61
	v_cmp_eq_u32_e64 s[46:47], 1, v58
	s_nop 1
	v_cndmask_b32_e64 v61, v61, 1, s[46:47]
	v_cmp_eq_u16_e64 s[46:47], 0, v9
	v_or_b32_sdwa v58, v6, v61 dst_sel:DWORD dst_unused:UNUSED_PAD src0_sel:DWORD src1_sel:WORD_0
	s_nop 0
	v_cndmask_b32_e64 v9, 0, v60, s[46:47]
	v_add_u32_e32 v7, v9, v7
	v_mov_b32_e32 v9, v61
; %bb.156:
	s_or_b64 exec, exec, s[52:53]
	v_mov_b32_dpp v60, v7 row_shr:4 row_mask:0xf bank_mask:0xf
	v_mov_b32_dpp v61, v58 row_shr:4 row_mask:0xf bank_mask:0xf
	v_cmp_lt_u32_e64 s[46:47], 3, v59
	;; [unrolled: 18-line block ×3, first 2 shown]
	s_and_saveexec_b64 s[52:53], s[46:47]
; %bb.159:
	v_and_b32_e32 v58, 1, v9
	v_and_b32_e32 v59, 1, v61
	v_cmp_eq_u32_e64 s[46:47], 1, v58
	s_nop 1
	v_cndmask_b32_e64 v59, v59, 1, s[46:47]
	v_cmp_eq_u16_e64 s[46:47], 0, v9
	v_or_b32_sdwa v58, v6, v59 dst_sel:DWORD dst_unused:UNUSED_PAD src0_sel:DWORD src1_sel:WORD_0
	s_nop 0
	v_cndmask_b32_e64 v9, 0, v60, s[46:47]
	v_add_u32_e32 v7, v9, v7
	v_mov_b32_e32 v9, v59
; %bb.160:
	s_or_b64 exec, exec, s[52:53]
	v_and_b32_e32 v61, 16, v8
	v_mov_b32_dpp v59, v7 row_bcast:15 row_mask:0xf bank_mask:0xf
	v_mov_b32_dpp v60, v58 row_bcast:15 row_mask:0xf bank_mask:0xf
	v_cmp_ne_u32_e64 s[46:47], 0, v61
	s_and_saveexec_b64 s[52:53], s[46:47]
; %bb.161:
	v_and_b32_e32 v58, 1, v9
	v_and_b32_e32 v60, 1, v60
	v_cmp_eq_u32_e64 s[46:47], 1, v58
	s_nop 1
	v_cndmask_b32_e64 v60, v60, 1, s[46:47]
	v_cmp_eq_u16_e64 s[46:47], 0, v9
	v_or_b32_sdwa v58, v6, v60 dst_sel:DWORD dst_unused:UNUSED_PAD src0_sel:DWORD src1_sel:WORD_0
	s_nop 0
	v_cndmask_b32_e64 v9, 0, v59, s[46:47]
	v_add_u32_e32 v7, v9, v7
	v_mov_b32_e32 v9, v60
; %bb.162:
	s_or_b64 exec, exec, s[52:53]
	v_mov_b32_dpp v58, v58 row_bcast:31 row_mask:0xf bank_mask:0xf
	v_and_b32_e32 v60, 1, v9
	v_and_b32_e32 v58, 1, v58
	v_cmp_eq_u32_e64 s[46:47], 1, v60
	v_mov_b32_e32 v60, 0
	v_cmp_eq_u16_sdwa s[52:53], v9, v60 src0_sel:BYTE_0 src1_sel:DWORD
	v_cndmask_b32_e64 v58, v58, 1, s[46:47]
	v_cmp_lt_u32_e64 s[46:47], 31, v8
	v_mov_b32_dpp v59, v7 row_bcast:31 row_mask:0xf bank_mask:0xf
	s_movk_i32 s3, 0xff
	v_cndmask_b32_e64 v9, v9, v58, s[46:47]
	s_and_b64 s[46:47], s[46:47], s[52:53]
	v_cndmask_b32_e64 v58, 0, v59, s[46:47]
	v_add_u32_e32 v7, v58, v7
	v_add_u32_e32 v58, -1, v8
	v_and_b32_e32 v59, 64, v8
	v_cmp_lt_i32_e64 s[46:47], v58, v59
	v_and_or_b32 v6, v9, s3, v6
	s_nop 0
	v_cndmask_b32_e64 v8, v58, v8, s[46:47]
	v_lshlrev_b32_e32 v8, 2, v8
	ds_bpermute_b32 v7, v8, v7
	ds_bpermute_b32 v6, v8, v6
	v_cmp_eq_u16_sdwa s[46:47], v3, v60 src0_sel:BYTE_0 src1_sel:DWORD
	; wave barrier
	s_waitcnt lgkmcnt(1)
	s_nop 0
	v_cndmask_b32_e64 v3, 0, v7, s[46:47]
	v_add_u32_e32 v2, v3, v2
	s_waitcnt lgkmcnt(0)
	v_and_b32_e32 v3, 1, v6
	v_cmp_eq_u32_e64 s[46:47], 1, v5
	s_nop 1
	v_cndmask_b32_e64 v3, v3, 1, s[46:47]
	v_cmp_eq_u32_e64 s[46:47], 0, v0
	s_nop 1
	v_cndmask_b32_e64 v5, v2, v62, s[46:47]
	v_cndmask_b32_e64 v6, v3, v63, s[46:47]
	ds_write_b32 v4, v5
	ds_write_b8 v4, v6 offset:4
	; wave barrier
	ds_read_u8 v7, v4 offset:12
	ds_read2_b32 v[2:3], v4 offset0:2 offset1:4
	ds_read_u8 v8, v4 offset:20
	ds_read_b32 v9, v4 offset:24
	ds_read_u8 v58, v4 offset:28
	s_waitcnt lgkmcnt(4)
	v_cmp_eq_u16_e64 s[46:47], 0, v7
	s_nop 1
	v_cndmask_b32_e64 v5, 0, v5, s[46:47]
	s_waitcnt lgkmcnt(3)
	v_add_u32_e32 v2, v5, v2
	v_and_b32_e32 v5, 1, v7
	v_cmp_eq_u32_e64 s[46:47], 1, v5
	s_nop 1
	v_cndmask_b32_e64 v5, v6, 1, s[46:47]
	s_waitcnt lgkmcnt(2)
	v_cmp_eq_u16_e64 s[46:47], 0, v8
	ds_write_b8 v4, v5 offset:12
	s_nop 0
	v_cndmask_b32_e64 v6, 0, v2, s[46:47]
	v_add_u32_e32 v3, v6, v3
	v_and_b32_e32 v6, 1, v8
	v_cmp_eq_u32_e64 s[46:47], 1, v6
	s_nop 1
	v_cndmask_b32_e64 v5, v5, 1, s[46:47]
	s_waitcnt lgkmcnt(1)
	v_cmp_eq_u16_e64 s[46:47], 0, v58
	ds_write2_b32 v4, v2, v3 offset0:2 offset1:4
	ds_write_b8 v4, v5 offset:20
	v_cndmask_b32_e64 v2, 0, v3, s[46:47]
	v_and_b32_e32 v3, 1, v58
	v_add_u32_e32 v2, v2, v9
	v_cmp_eq_u32_e64 s[46:47], 1, v3
	s_nop 1
	v_cndmask_b32_e64 v3, v5, 1, s[46:47]
	ds_write_b32 v4, v2 offset:24
	ds_write_b8 v4, v3 offset:28
.LBB1519_163:
	s_or_b64 exec, exec, s[48:49]
	v_cmp_eq_u32_e64 s[46:47], 0, v0
	v_cmp_ne_u32_e64 s[48:49], 0, v0
	s_waitcnt lgkmcnt(0)
	s_barrier
	s_and_saveexec_b64 s[52:53], s[48:49]
	s_cbranch_execz .LBB1519_165
; %bb.164:
	v_add_u32_e32 v2, -1, v0
	v_lshrrev_b32_e32 v3, 5, v2
	v_add_lshl_u32 v2, v3, v2, 3
	ds_read_b32 v62, v2
	ds_read_u8 v63, v2 offset:4
.LBB1519_165:
	s_or_b64 exec, exec, s[52:53]
	s_and_saveexec_b64 s[60:61], vcc
	s_cbranch_execz .LBB1519_188
; %bb.166:
	v_mov_b32_e32 v5, 0
	ds_read_b64 v[2:3], v5 offset:2096
	v_mbcnt_lo_u32_b32 v4, -1, 0
	v_mbcnt_hi_u32_b32 v73, -1, v4
	s_mov_b32 s71, 0
	v_cmp_eq_u32_e64 s[48:49], 0, v73
	s_waitcnt lgkmcnt(0)
	v_readfirstlane_b32 s3, v3
	s_and_saveexec_b64 s[52:53], s[48:49]
	s_cbranch_execz .LBB1519_168
; %bb.167:
	s_add_i32 s70, s2, 64
	s_lshl_b64 s[72:73], s[70:71], 4
	s_add_u32 s72, s56, s72
	s_addc_u32 s73, s57, s73
	s_and_b32 s75, s3, 0xff000000
	s_mov_b32 s74, s71
	s_and_b32 s79, s3, 0xff0000
	s_mov_b32 s78, s71
	s_or_b64 s[74:75], s[78:79], s[74:75]
	s_and_b32 s79, s3, 0xff00
	s_or_b64 s[74:75], s[74:75], s[78:79]
	s_and_b32 s79, s3, 0xff
	s_or_b64 s[70:71], s[74:75], s[78:79]
	v_mov_b32_e32 v3, s71
	v_mov_b32_e32 v4, 1
	v_mov_b64_e32 v[6:7], s[72:73]
	;;#ASMSTART
	global_store_dwordx4 v[6:7], v[2:5] off sc1	
s_waitcnt vmcnt(0)
	;;#ASMEND
.LBB1519_168:
	s_or_b64 exec, exec, s[52:53]
	v_xad_u32 v58, v73, -1, s2
	v_add_u32_e32 v4, 64, v58
	v_lshl_add_u64 v[60:61], v[4:5], 4, s[56:57]
	;;#ASMSTART
	global_load_dwordx4 v[6:9], v[60:61] off sc1	
s_waitcnt vmcnt(0)
	;;#ASMEND
	s_nop 0
	v_and_b32_e32 v3, 0xff0000, v6
	v_and_b32_e32 v4, 0xff000000, v6
	;; [unrolled: 1-line block ×3, first 2 shown]
	v_or_b32_sdwa v3, v6, v3 dst_sel:DWORD dst_unused:UNUSED_PAD src0_sel:WORD_0 src1_sel:DWORD
	v_or3_b32 v7, 0, 0, v7
	v_or3_b32 v6, v3, v4, 0
	v_cmp_eq_u16_sdwa s[70:71], v8, v5 src0_sel:BYTE_0 src1_sel:DWORD
	s_and_saveexec_b64 s[52:53], s[70:71]
	s_cbranch_execz .LBB1519_174
; %bb.169:
	s_mov_b32 s59, 1
	s_mov_b64 s[70:71], 0
	v_mov_b32_e32 v3, 0
.LBB1519_170:                           ; =>This Loop Header: Depth=1
                                        ;     Child Loop BB1519_171 Depth 2
	s_max_u32 s72, s59, 1
.LBB1519_171:                           ;   Parent Loop BB1519_170 Depth=1
                                        ; =>  This Inner Loop Header: Depth=2
	s_add_i32 s72, s72, -1
	s_cmp_eq_u32 s72, 0
	s_sleep 1
	s_cbranch_scc0 .LBB1519_171
; %bb.172:                              ;   in Loop: Header=BB1519_170 Depth=1
	s_cmp_lt_u32 s59, 32
	s_cselect_b64 s[72:73], -1, 0
	s_cmp_lg_u64 s[72:73], 0
	s_addc_u32 s59, s59, 0
	;;#ASMSTART
	global_load_dwordx4 v[6:9], v[60:61] off sc1	
s_waitcnt vmcnt(0)
	;;#ASMEND
	s_nop 0
	v_cmp_ne_u16_sdwa s[72:73], v8, v3 src0_sel:BYTE_0 src1_sel:DWORD
	s_or_b64 s[70:71], s[72:73], s[70:71]
	s_andn2_b64 exec, exec, s[70:71]
	s_cbranch_execnz .LBB1519_170
; %bb.173:
	s_or_b64 exec, exec, s[70:71]
	v_and_b32_e32 v7, 0xff, v7
.LBB1519_174:
	s_or_b64 exec, exec, s[52:53]
	v_mov_b32_e32 v3, 2
	v_cmp_eq_u16_sdwa s[52:53], v8, v3 src0_sel:BYTE_0 src1_sel:DWORD
	v_lshlrev_b64 v[4:5], v73, -1
	v_and_b32_e32 v64, 63, v73
	v_and_b32_e32 v9, s53, v5
	v_or_b32_e32 v9, 0x80000000, v9
	v_and_b32_e32 v59, s52, v4
	v_ffbl_b32_e32 v9, v9
	v_add_u32_e32 v9, 32, v9
	v_ffbl_b32_e32 v59, v59
	v_cmp_ne_u32_e32 vcc, 63, v64
	v_min_u32_e32 v9, v59, v9
	s_mov_b32 s70, 0
	v_addc_co_u32_e32 v59, vcc, 0, v73, vcc
	v_lshlrev_b32_e32 v65, 2, v59
	ds_bpermute_b32 v59, v65, v7
	ds_bpermute_b32 v60, v65, v6
	v_and_b32_e32 v61, 1, v7
	s_mov_b32 s71, 1
	v_cmp_eq_u32_e32 vcc, 1, v61
	s_waitcnt lgkmcnt(1)
	v_and_b32_e32 v59, 1, v59
	v_cmp_lt_u32_e64 s[52:53], v64, v9
	v_cndmask_b32_e64 v59, v59, 1, vcc
	v_cmp_gt_u64_e32 vcc, s[70:71], v[6:7]
	s_and_b64 vcc, s[52:53], vcc
	v_and_b32_e32 v61, 0xffff, v59
	v_cndmask_b32_e64 v68, v7, v59, s[52:53]
	s_waitcnt lgkmcnt(0)
	v_cndmask_b32_e32 v59, 0, v60, vcc
	v_cmp_gt_u32_e32 vcc, 62, v64
	v_cndmask_b32_e64 v7, v7, v61, s[52:53]
	v_add_u32_e32 v6, v59, v6
	v_cndmask_b32_e64 v60, 0, 1, vcc
	v_lshlrev_b32_e32 v60, 1, v60
	v_add_lshl_u32 v66, v60, v73, 2
	ds_bpermute_b32 v60, v66, v7
	ds_bpermute_b32 v61, v66, v6
	v_and_b32_e32 v59, 1, v68
	v_cmp_eq_u32_e32 vcc, 1, v59
	v_mov_b32_e32 v59, 0
	s_waitcnt lgkmcnt(1)
	v_and_b32_e32 v60, 1, v60
	v_add_u32_e32 v67, 2, v64
	v_cndmask_b32_e64 v60, v60, 1, vcc
	v_cmp_eq_u16_sdwa vcc, v68, v59 src0_sel:BYTE_0 src1_sel:DWORD
	v_and_b32_e32 v69, 0xffff, v60
	v_add_u32_e32 v77, 32, v64
	s_waitcnt lgkmcnt(0)
	v_cndmask_b32_e32 v61, 0, v61, vcc
	v_cmp_gt_u32_e32 vcc, v67, v9
	s_nop 1
	v_cndmask_b32_e32 v60, v60, v68, vcc
	v_cndmask_b32_e64 v61, v61, 0, vcc
	v_cndmask_b32_e32 v7, v69, v7, vcc
	v_cmp_gt_u32_e32 vcc, 60, v64
	v_add_u32_e32 v6, v61, v6
	v_and_b32_e32 v71, 1, v60
	v_cndmask_b32_e64 v68, 0, 1, vcc
	v_lshlrev_b32_e32 v68, 2, v68
	v_add_lshl_u32 v68, v68, v73, 2
	ds_bpermute_b32 v70, v68, v7
	ds_bpermute_b32 v61, v68, v6
	v_cmp_eq_u32_e32 vcc, 1, v71
	v_add_u32_e32 v69, 4, v64
	s_waitcnt lgkmcnt(1)
	v_and_b32_e32 v70, 1, v70
	v_cndmask_b32_e64 v70, v70, 1, vcc
	v_cmp_eq_u16_sdwa vcc, v60, v59 src0_sel:BYTE_0 src1_sel:DWORD
	v_and_b32_e32 v71, 0xffff, v70
	s_waitcnt lgkmcnt(0)
	v_cndmask_b32_e32 v61, 0, v61, vcc
	v_cmp_gt_u32_e32 vcc, v69, v9
	s_nop 1
	v_cndmask_b32_e32 v60, v70, v60, vcc
	v_cndmask_b32_e64 v61, v61, 0, vcc
	v_cndmask_b32_e32 v7, v71, v7, vcc
	v_cmp_gt_u32_e32 vcc, 56, v64
	v_add_u32_e32 v6, v61, v6
	v_and_b32_e32 v74, 1, v60
	v_cndmask_b32_e64 v70, 0, 1, vcc
	v_lshlrev_b32_e32 v70, 3, v70
	v_add_lshl_u32 v70, v70, v73, 2
	ds_bpermute_b32 v72, v70, v7
	ds_bpermute_b32 v61, v70, v6
	v_cmp_eq_u32_e32 vcc, 1, v74
	v_add_u32_e32 v71, 8, v64
	s_waitcnt lgkmcnt(1)
	v_and_b32_e32 v72, 1, v72
	v_cndmask_b32_e64 v72, v72, 1, vcc
	v_cmp_eq_u16_sdwa vcc, v60, v59 src0_sel:BYTE_0 src1_sel:DWORD
	v_and_b32_e32 v74, 0xffff, v72
	;; [unrolled: 22-line block ×3, first 2 shown]
	s_waitcnt lgkmcnt(0)
	v_cndmask_b32_e32 v61, 0, v61, vcc
	v_cmp_gt_u32_e32 vcc, v74, v9
	s_nop 1
	v_cndmask_b32_e32 v60, v75, v60, vcc
	v_cndmask_b32_e64 v61, v61, 0, vcc
	v_cndmask_b32_e32 v7, v76, v7, vcc
	v_cmp_gt_u32_e32 vcc, 32, v64
	v_add_u32_e32 v6, v61, v6
	s_nop 0
	v_cndmask_b32_e64 v75, 0, 1, vcc
	v_lshlrev_b32_e32 v75, 5, v75
	v_add_lshl_u32 v76, v75, v73, 2
	ds_bpermute_b32 v7, v76, v7
	ds_bpermute_b32 v61, v76, v6
	v_and_b32_e32 v73, 1, v60
	v_cmp_eq_u32_e32 vcc, 1, v73
	s_waitcnt lgkmcnt(1)
	v_and_b32_e32 v7, 1, v7
	v_cndmask_b32_e64 v7, v7, 1, vcc
	v_cmp_eq_u16_sdwa vcc, v60, v59 src0_sel:BYTE_0 src1_sel:DWORD
	s_waitcnt lgkmcnt(0)
	s_nop 0
	v_cndmask_b32_e32 v61, 0, v61, vcc
	v_cmp_gt_u32_e32 vcc, v77, v9
	s_nop 1
	v_cndmask_b32_e64 v9, v61, 0, vcc
	v_cndmask_b32_e32 v7, v7, v60, vcc
	v_add_u32_e32 v6, v9, v6
	s_branch .LBB1519_176
.LBB1519_175:                           ;   in Loop: Header=BB1519_176 Depth=1
	s_or_b64 exec, exec, s[52:53]
	v_cmp_eq_u16_sdwa s[52:53], v8, v3 src0_sel:BYTE_0 src1_sel:DWORD
	ds_bpermute_b32 v61, v65, v7
	v_and_b32_e32 v78, 1, v7
	v_and_b32_e32 v9, s53, v5
	v_or_b32_e32 v9, 0x80000000, v9
	v_and_b32_e32 v60, s52, v4
	v_ffbl_b32_e32 v9, v9
	v_add_u32_e32 v9, 32, v9
	v_ffbl_b32_e32 v60, v60
	v_min_u32_e32 v9, v60, v9
	ds_bpermute_b32 v60, v65, v6
	s_waitcnt lgkmcnt(1)
	v_and_b32_e32 v61, 1, v61
	v_cmp_eq_u32_e32 vcc, 1, v78
	v_cmp_lt_u32_e64 s[52:53], v64, v9
	v_subrev_u32_e32 v58, 64, v58
	v_cndmask_b32_e64 v61, v61, 1, vcc
	v_cmp_gt_u64_e32 vcc, s[70:71], v[6:7]
	v_and_b32_e32 v78, 0xffff, v61
	v_cndmask_b32_e64 v61, v7, v61, s[52:53]
	v_cndmask_b32_e64 v7, v7, v78, s[52:53]
	s_and_b64 vcc, s[52:53], vcc
	ds_bpermute_b32 v78, v66, v7
	s_waitcnt lgkmcnt(1)
	v_cndmask_b32_e32 v60, 0, v60, vcc
	v_add_u32_e32 v6, v60, v6
	ds_bpermute_b32 v60, v66, v6
	v_and_b32_e32 v79, 1, v61
	s_waitcnt lgkmcnt(1)
	v_and_b32_e32 v78, 1, v78
	v_cmp_eq_u32_e32 vcc, 1, v79
	s_nop 1
	v_cndmask_b32_e64 v78, v78, 1, vcc
	v_cmp_eq_u16_sdwa vcc, v61, v59 src0_sel:BYTE_0 src1_sel:DWORD
	v_and_b32_e32 v79, 0xffff, v78
	s_waitcnt lgkmcnt(0)
	v_cndmask_b32_e32 v60, 0, v60, vcc
	v_cmp_gt_u32_e32 vcc, v67, v9
	s_nop 1
	v_cndmask_b32_e32 v7, v79, v7, vcc
	v_cndmask_b32_e32 v61, v78, v61, vcc
	ds_bpermute_b32 v78, v68, v7
	v_cndmask_b32_e64 v60, v60, 0, vcc
	v_add_u32_e32 v6, v60, v6
	ds_bpermute_b32 v60, v68, v6
	v_and_b32_e32 v79, 1, v61
	s_waitcnt lgkmcnt(1)
	v_and_b32_e32 v78, 1, v78
	v_cmp_eq_u32_e32 vcc, 1, v79
	s_nop 1
	v_cndmask_b32_e64 v78, v78, 1, vcc
	v_cmp_eq_u16_sdwa vcc, v61, v59 src0_sel:BYTE_0 src1_sel:DWORD
	v_and_b32_e32 v79, 0xffff, v78
	s_waitcnt lgkmcnt(0)
	v_cndmask_b32_e32 v60, 0, v60, vcc
	v_cmp_gt_u32_e32 vcc, v69, v9
	s_nop 1
	v_cndmask_b32_e32 v7, v79, v7, vcc
	v_cndmask_b32_e32 v61, v78, v61, vcc
	ds_bpermute_b32 v78, v70, v7
	v_cndmask_b32_e64 v60, v60, 0, vcc
	;; [unrolled: 18-line block ×3, first 2 shown]
	v_add_u32_e32 v6, v60, v6
	ds_bpermute_b32 v60, v72, v6
	v_and_b32_e32 v79, 1, v61
	s_waitcnt lgkmcnt(1)
	v_and_b32_e32 v78, 1, v78
	v_cmp_eq_u32_e32 vcc, 1, v79
	s_nop 1
	v_cndmask_b32_e64 v78, v78, 1, vcc
	v_cmp_eq_u16_sdwa vcc, v61, v59 src0_sel:BYTE_0 src1_sel:DWORD
	v_and_b32_e32 v79, 0xffff, v78
	s_waitcnt lgkmcnt(0)
	v_cndmask_b32_e32 v60, 0, v60, vcc
	v_cmp_gt_u32_e32 vcc, v74, v9
	s_nop 1
	v_cndmask_b32_e64 v60, v60, 0, vcc
	v_cndmask_b32_e32 v7, v79, v7, vcc
	ds_bpermute_b32 v7, v76, v7
	v_add_u32_e32 v6, v60, v6
	ds_bpermute_b32 v60, v76, v6
	v_cndmask_b32_e32 v61, v78, v61, vcc
	v_and_b32_e32 v78, 1, v61
	v_cmp_eq_u32_e32 vcc, 1, v78
	s_waitcnt lgkmcnt(1)
	s_nop 0
	v_cndmask_b32_e64 v7, v7, 1, vcc
	v_cmp_eq_u16_sdwa vcc, v61, v59 src0_sel:BYTE_0 src1_sel:DWORD
	s_waitcnt lgkmcnt(0)
	s_nop 0
	v_cndmask_b32_e32 v60, 0, v60, vcc
	v_cmp_gt_u32_e32 vcc, v77, v9
	s_nop 1
	v_cndmask_b32_e64 v9, v60, 0, vcc
	v_cndmask_b32_e32 v7, v7, v61, vcc
	v_add_u32_e32 v6, v9, v6
	v_cmp_eq_u16_sdwa vcc, v73, v59 src0_sel:BYTE_0 src1_sel:DWORD
	v_and_b32_e32 v9, 1, v73
	v_and_b32_e32 v7, 1, v7
	v_cndmask_b32_e32 v6, 0, v6, vcc
	v_cmp_eq_u32_e32 vcc, 1, v9
	v_add_u32_e32 v6, v6, v75
	s_nop 0
	v_cndmask_b32_e64 v7, v7, 1, vcc
.LBB1519_176:                           ; =>This Loop Header: Depth=1
                                        ;     Child Loop BB1519_179 Depth 2
                                        ;       Child Loop BB1519_180 Depth 3
	v_cmp_ne_u16_sdwa s[52:53], v8, v3 src0_sel:BYTE_0 src1_sel:DWORD
	v_mov_b32_e32 v73, v7
	v_mov_b32_e32 v75, v6
	v_cndmask_b32_e64 v7, 0, 1, s[52:53]
	;;#ASMSTART
	;;#ASMEND
	s_nop 0
	v_cmp_ne_u32_e32 vcc, 0, v7
	s_cmp_lg_u64 vcc, exec
	s_cbranch_scc1 .LBB1519_183
; %bb.177:                              ;   in Loop: Header=BB1519_176 Depth=1
	v_lshl_add_u64 v[60:61], v[58:59], 4, s[56:57]
	;;#ASMSTART
	global_load_dwordx4 v[6:9], v[60:61] off sc1	
s_waitcnt vmcnt(0)
	;;#ASMEND
	s_nop 0
	v_and_b32_e32 v9, 0xff0000, v6
	v_and_b32_e32 v78, 0xff000000, v6
	;; [unrolled: 1-line block ×3, first 2 shown]
	v_or_b32_sdwa v6, v6, v9 dst_sel:DWORD dst_unused:UNUSED_PAD src0_sel:WORD_0 src1_sel:DWORD
	v_or3_b32 v7, 0, 0, v7
	v_or3_b32 v6, v6, v78, 0
	v_cmp_eq_u16_sdwa s[72:73], v8, v59 src0_sel:BYTE_0 src1_sel:DWORD
	s_and_saveexec_b64 s[52:53], s[72:73]
	s_cbranch_execz .LBB1519_175
; %bb.178:                              ;   in Loop: Header=BB1519_176 Depth=1
	s_mov_b32 s59, 1
	s_mov_b64 s[72:73], 0
.LBB1519_179:                           ;   Parent Loop BB1519_176 Depth=1
                                        ; =>  This Loop Header: Depth=2
                                        ;       Child Loop BB1519_180 Depth 3
	s_max_u32 s74, s59, 1
.LBB1519_180:                           ;   Parent Loop BB1519_176 Depth=1
                                        ;     Parent Loop BB1519_179 Depth=2
                                        ; =>    This Inner Loop Header: Depth=3
	s_add_i32 s74, s74, -1
	s_cmp_eq_u32 s74, 0
	s_sleep 1
	s_cbranch_scc0 .LBB1519_180
; %bb.181:                              ;   in Loop: Header=BB1519_179 Depth=2
	s_cmp_lt_u32 s59, 32
	s_cselect_b64 s[74:75], -1, 0
	s_cmp_lg_u64 s[74:75], 0
	s_addc_u32 s59, s59, 0
	;;#ASMSTART
	global_load_dwordx4 v[6:9], v[60:61] off sc1	
s_waitcnt vmcnt(0)
	;;#ASMEND
	s_nop 0
	v_cmp_ne_u16_sdwa s[74:75], v8, v59 src0_sel:BYTE_0 src1_sel:DWORD
	s_or_b64 s[72:73], s[74:75], s[72:73]
	s_andn2_b64 exec, exec, s[72:73]
	s_cbranch_execnz .LBB1519_179
; %bb.182:                              ;   in Loop: Header=BB1519_176 Depth=1
	s_or_b64 exec, exec, s[72:73]
	v_and_b32_e32 v7, 0xff, v7
	s_branch .LBB1519_175
.LBB1519_183:                           ;   in Loop: Header=BB1519_176 Depth=1
                                        ; implicit-def: $vgpr7
                                        ; implicit-def: $vgpr6
                                        ; implicit-def: $vgpr8
	s_cbranch_execz .LBB1519_176
; %bb.184:
	s_and_saveexec_b64 s[52:53], s[48:49]
	s_cbranch_execz .LBB1519_186
; %bb.185:
	s_and_b32 s48, s3, 0xff
	s_cmp_eq_u32 s48, 0
	s_cselect_b64 vcc, -1, 0
	s_bitcmp1_b32 s3, 0
	s_mov_b32 s49, 0
	s_cselect_b64 s[70:71], -1, 0
	s_add_i32 s48, s2, 64
	s_lshl_b64 s[2:3], s[48:49], 4
	v_cndmask_b32_e32 v3, 0, v75, vcc
	s_add_u32 s2, s56, s2
	v_add_u32_e32 v2, v3, v2
	v_and_b32_e32 v3, 1, v73
	s_addc_u32 s3, s57, s3
	v_mov_b32_e32 v5, 0
	v_cndmask_b32_e64 v3, v3, 1, s[70:71]
	v_mov_b32_e32 v4, 2
	v_mov_b64_e32 v[6:7], s[2:3]
	;;#ASMSTART
	global_store_dwordx4 v[6:7], v[2:5] off sc1	
s_waitcnt vmcnt(0)
	;;#ASMEND
.LBB1519_186:
	s_or_b64 exec, exec, s[52:53]
	s_and_b64 exec, exec, s[46:47]
	s_cbranch_execz .LBB1519_188
; %bb.187:
	v_mov_b32_e32 v2, 0
	ds_write_b32 v2, v75
	ds_write_b8 v2, v73 offset:4
.LBB1519_188:
	s_or_b64 exec, exec, s[60:61]
	v_mov_b32_e32 v2, 0
	s_waitcnt lgkmcnt(0)
	s_barrier
	ds_read_b32 v3, v2
	v_cmp_eq_u16_sdwa vcc, v63, v2 src0_sel:BYTE_0 src1_sel:DWORD
	s_waitcnt lgkmcnt(0)
	s_nop 0
	v_cndmask_b32_e32 v4, 0, v3, vcc
	v_add_u32_e32 v4, v4, v62
	v_cndmask_b32_e64 v58, v4, v3, s[46:47]
	v_and_b32_e32 v3, 0xff, v11
	v_cmp_eq_u64_e32 vcc, 0, v[2:3]
	s_nop 1
	v_cndmask_b32_e32 v2, 0, v58, vcc
	v_add_u32_e32 v59, v2, v10
	v_cndmask_b32_e64 v2, 0, v59, s[50:51]
	v_add_u32_e32 v60, v2, v12
	v_cndmask_b32_e64 v2, 0, v60, s[4:5]
	;; [unrolled: 2-line block ×21, first 2 shown]
	v_add_u32_e32 v80, v2, v52
	s_branch .LBB1519_209
.LBB1519_189:
                                        ; implicit-def: $vgpr79
                                        ; implicit-def: $vgpr78
                                        ; implicit-def: $vgpr77
                                        ; implicit-def: $vgpr76
                                        ; implicit-def: $vgpr75
                                        ; implicit-def: $vgpr74
                                        ; implicit-def: $vgpr73
                                        ; implicit-def: $vgpr72
                                        ; implicit-def: $vgpr71
                                        ; implicit-def: $vgpr70
                                        ; implicit-def: $vgpr69
                                        ; implicit-def: $vgpr68
                                        ; implicit-def: $vgpr67
                                        ; implicit-def: $vgpr66
                                        ; implicit-def: $vgpr65
                                        ; implicit-def: $vgpr64
                                        ; implicit-def: $vgpr63
                                        ; implicit-def: $vgpr62
                                        ; implicit-def: $vgpr61
                                        ; implicit-def: $vgpr60
                                        ; implicit-def: $vgpr59
                                        ; implicit-def: $vgpr58
                                        ; implicit-def: $vgpr80
	s_cbranch_execz .LBB1519_209
; %bb.190:
	s_cmp_lg_u64 s[68:69], 0
	s_cselect_b32 s3, s63, 0
	s_cselect_b32 s2, s62, 0
	s_mov_b32 s44, 0
	s_cmp_eq_u64 s[2:3], 0
	v_mov_b32_e32 v4, s76
	s_cbranch_scc1 .LBB1519_192
; %bb.191:
	v_mov_b32_e32 v2, 0
	global_load_dword v4, v2, s[2:3]
.LBB1519_192:
	s_mov_b32 s45, 1
	v_cmp_gt_u64_e32 vcc, s[44:45], v[12:13]
	v_cmp_gt_u64_e64 s[2:3], s[44:45], v[14:15]
	v_cmp_gt_u64_e64 s[4:5], s[44:45], v[16:17]
	v_cndmask_b32_e32 v2, 0, v10, vcc
	v_add_u32_e32 v2, v2, v12
	v_cndmask_b32_e64 v2, 0, v2, s[2:3]
	v_add_u32_e32 v2, v2, v14
	v_cndmask_b32_e64 v2, 0, v2, s[4:5]
	v_add_u32_e32 v2, v2, v16
	v_cmp_gt_u64_e64 s[6:7], s[44:45], v[18:19]
	v_cmp_gt_u64_e64 s[8:9], s[44:45], v[20:21]
	v_cmp_gt_u64_e64 s[10:11], s[44:45], v[22:23]
	v_cndmask_b32_e64 v2, 0, v2, s[6:7]
	v_add_u32_e32 v2, v2, v18
	v_cndmask_b32_e64 v2, 0, v2, s[8:9]
	v_add_u32_e32 v2, v2, v20
	v_cndmask_b32_e64 v2, 0, v2, s[10:11]
	v_add_u32_e32 v2, v2, v22
	v_cmp_gt_u64_e64 s[12:13], s[44:45], v[24:25]
	v_cmp_gt_u64_e64 s[14:15], s[44:45], v[26:27]
	v_cmp_gt_u64_e64 s[16:17], s[44:45], v[28:29]
	v_cndmask_b32_e64 v2, 0, v2, s[12:13]
	;; [unrolled: 9-line block ×6, first 2 shown]
	v_add_u32_e32 v2, v2, v48
	v_cndmask_b32_e64 v2, 0, v2, s[40:41]
	v_add_u32_e32 v2, v2, v50
	v_cndmask_b32_e64 v2, 0, v2, s[42:43]
	v_add_u32_e32 v2, v2, v52
	v_cmp_gt_u64_e64 s[44:45], s[44:45], v[56:57]
	v_add_lshl_u32 v1, v1, v0, 3
	s_nop 0
	v_cndmask_b32_e64 v2, 0, v2, s[44:45]
	v_add_u32_e32 v5, v2, v56
	v_or3_b32 v2, v55, v51, v49
	v_or3_b32 v2, v2, v47, v45
	;; [unrolled: 1-line block ×10, first 2 shown]
	v_and_b32_e32 v2, 1, v2
	v_cmp_eq_u32_e64 s[44:45], 1, v2
	s_nop 1
	v_cndmask_b32_e64 v6, v11, 1, s[44:45]
	v_cmp_gt_u32_e64 s[44:45], 64, v0
	ds_write_b32 v1, v5
	ds_write_b8 v1, v6 offset:4
	s_waitcnt lgkmcnt(0)
	s_barrier
	s_and_saveexec_b64 s[46:47], s[44:45]
	s_cbranch_execz .LBB1519_204
; %bb.193:
	v_lshrrev_b32_e32 v1, 3, v0
	v_add_lshl_u32 v1, v1, v54, 3
	ds_read2_b32 v[8:9], v1 offset0:2 offset1:4
	ds_read_b64 v[2:3], v1
	ds_read_u8 v13, v1 offset:12
	ds_read_u8 v15, v1 offset:20
	ds_read_b32 v17, v1 offset:24
	ds_read_u8 v19, v1 offset:28
	v_mov_b32_e32 v21, 0
	s_waitcnt lgkmcnt(3)
	v_cmp_eq_u16_sdwa s[44:45], v13, v21 src0_sel:BYTE_0 src1_sel:DWORD
	v_and_b32_e32 v7, 1, v3
	s_nop 0
	v_cndmask_b32_e64 v23, 0, v2, s[44:45]
	v_add_u32_e32 v8, v23, v8
	s_waitcnt lgkmcnt(2)
	v_cmp_eq_u16_sdwa s[44:45], v15, v21 src0_sel:BYTE_0 src1_sel:DWORD
	s_nop 1
	v_cndmask_b32_e64 v8, 0, v8, s[44:45]
	v_add_u32_e32 v8, v8, v9
	s_waitcnt lgkmcnt(0)
	v_cmp_eq_u16_e64 s[44:45], 0, v19
	s_nop 1
	v_cndmask_b32_e64 v8, 0, v8, s[44:45]
	v_add_u32_e32 v9, v8, v17
	v_or_b32_e32 v8, v19, v15
	v_or_b32_e32 v8, v8, v13
	v_and_b32_e32 v8, 1, v8
	v_cmp_eq_u32_e64 s[44:45], 1, v8
	v_mbcnt_lo_u32_b32 v13, -1, 0
	v_and_b32_e32 v8, 0xffffff00, v3
	v_cndmask_b32_e64 v15, v7, 1, s[44:45]
	v_mbcnt_hi_u32_b32 v13, -1, v13
	v_and_b32_e32 v19, 15, v13
	v_or_b32_sdwa v17, v8, v15 dst_sel:DWORD dst_unused:UNUSED_PAD src0_sel:DWORD src1_sel:WORD_0
	v_mov_b32_dpp v21, v9 row_shr:1 row_mask:0xf bank_mask:0xf
	v_cmp_ne_u32_e64 s[44:45], 0, v19
	v_mov_b32_dpp v23, v17 row_shr:1 row_mask:0xf bank_mask:0xf
	s_and_saveexec_b64 s[48:49], s[44:45]
; %bb.194:
	v_and_b32_e32 v17, 1, v15
	v_and_b32_e32 v23, 1, v23
	v_cmp_eq_u32_e64 s[44:45], 1, v17
	s_nop 1
	v_cndmask_b32_e64 v23, v23, 1, s[44:45]
	v_cmp_eq_u16_e64 s[44:45], 0, v15
	v_or_b32_sdwa v17, v8, v23 dst_sel:DWORD dst_unused:UNUSED_PAD src0_sel:DWORD src1_sel:WORD_0
	s_nop 0
	v_cndmask_b32_e64 v15, 0, v21, s[44:45]
	v_add_u32_e32 v9, v15, v9
	v_mov_b32_e32 v15, v23
; %bb.195:
	s_or_b64 exec, exec, s[48:49]
	v_mov_b32_dpp v21, v9 row_shr:2 row_mask:0xf bank_mask:0xf
	v_mov_b32_dpp v23, v17 row_shr:2 row_mask:0xf bank_mask:0xf
	v_cmp_lt_u32_e64 s[44:45], 1, v19
	s_and_saveexec_b64 s[48:49], s[44:45]
; %bb.196:
	v_and_b32_e32 v17, 1, v15
	v_and_b32_e32 v23, 1, v23
	v_cmp_eq_u32_e64 s[44:45], 1, v17
	s_nop 1
	v_cndmask_b32_e64 v23, v23, 1, s[44:45]
	v_cmp_eq_u16_e64 s[44:45], 0, v15
	v_or_b32_sdwa v17, v8, v23 dst_sel:DWORD dst_unused:UNUSED_PAD src0_sel:DWORD src1_sel:WORD_0
	s_nop 0
	v_cndmask_b32_e64 v15, 0, v21, s[44:45]
	v_add_u32_e32 v9, v15, v9
	v_mov_b32_e32 v15, v23
; %bb.197:
	s_or_b64 exec, exec, s[48:49]
	v_mov_b32_dpp v21, v9 row_shr:4 row_mask:0xf bank_mask:0xf
	v_mov_b32_dpp v23, v17 row_shr:4 row_mask:0xf bank_mask:0xf
	v_cmp_lt_u32_e64 s[44:45], 3, v19
	;; [unrolled: 18-line block ×3, first 2 shown]
	s_and_saveexec_b64 s[48:49], s[44:45]
; %bb.200:
	v_and_b32_e32 v17, 1, v15
	v_and_b32_e32 v19, 1, v23
	v_cmp_eq_u32_e64 s[44:45], 1, v17
	s_nop 1
	v_cndmask_b32_e64 v19, v19, 1, s[44:45]
	v_cmp_eq_u16_e64 s[44:45], 0, v15
	v_or_b32_sdwa v17, v8, v19 dst_sel:DWORD dst_unused:UNUSED_PAD src0_sel:DWORD src1_sel:WORD_0
	s_nop 0
	v_cndmask_b32_e64 v15, 0, v21, s[44:45]
	v_add_u32_e32 v9, v15, v9
	v_mov_b32_e32 v15, v19
; %bb.201:
	s_or_b64 exec, exec, s[48:49]
	v_and_b32_e32 v23, 16, v13
	v_mov_b32_dpp v19, v9 row_bcast:15 row_mask:0xf bank_mask:0xf
	v_mov_b32_dpp v21, v17 row_bcast:15 row_mask:0xf bank_mask:0xf
	v_cmp_ne_u32_e64 s[44:45], 0, v23
	s_and_saveexec_b64 s[48:49], s[44:45]
; %bb.202:
	v_and_b32_e32 v17, 1, v15
	v_and_b32_e32 v21, 1, v21
	v_cmp_eq_u32_e64 s[44:45], 1, v17
	s_nop 1
	v_cndmask_b32_e64 v21, v21, 1, s[44:45]
	v_cmp_eq_u16_e64 s[44:45], 0, v15
	v_or_b32_sdwa v17, v8, v21 dst_sel:DWORD dst_unused:UNUSED_PAD src0_sel:DWORD src1_sel:WORD_0
	s_nop 0
	v_cndmask_b32_e64 v15, 0, v19, s[44:45]
	v_add_u32_e32 v9, v15, v9
	v_mov_b32_e32 v15, v21
; %bb.203:
	s_or_b64 exec, exec, s[48:49]
	v_mov_b32_dpp v17, v17 row_bcast:31 row_mask:0xf bank_mask:0xf
	v_and_b32_e32 v21, 1, v15
	v_and_b32_e32 v17, 1, v17
	v_cmp_eq_u32_e64 s[44:45], 1, v21
	v_mov_b32_e32 v21, 0
	v_cmp_eq_u16_sdwa s[48:49], v15, v21 src0_sel:BYTE_0 src1_sel:DWORD
	v_cndmask_b32_e64 v17, v17, 1, s[44:45]
	v_cmp_lt_u32_e64 s[44:45], 31, v13
	v_mov_b32_dpp v19, v9 row_bcast:31 row_mask:0xf bank_mask:0xf
	s_movk_i32 s50, 0xff
	v_cndmask_b32_e64 v15, v15, v17, s[44:45]
	s_and_b64 s[44:45], s[44:45], s[48:49]
	v_cndmask_b32_e64 v17, 0, v19, s[44:45]
	v_add_u32_e32 v9, v17, v9
	v_add_u32_e32 v17, -1, v13
	v_and_b32_e32 v19, 64, v13
	v_cmp_lt_i32_e64 s[44:45], v17, v19
	v_and_or_b32 v8, v15, s50, v8
	s_nop 0
	v_cndmask_b32_e64 v13, v17, v13, s[44:45]
	v_lshlrev_b32_e32 v13, 2, v13
	ds_bpermute_b32 v9, v13, v9
	ds_bpermute_b32 v8, v13, v8
	v_cmp_eq_u16_sdwa s[44:45], v3, v21 src0_sel:BYTE_0 src1_sel:DWORD
	; wave barrier
	s_waitcnt lgkmcnt(1)
	s_nop 0
	v_cndmask_b32_e64 v3, 0, v9, s[44:45]
	v_add_u32_e32 v2, v3, v2
	s_waitcnt lgkmcnt(0)
	v_and_b32_e32 v3, 1, v8
	v_cmp_eq_u32_e64 s[44:45], 1, v7
	s_nop 1
	v_cndmask_b32_e64 v3, v3, 1, s[44:45]
	v_cmp_eq_u32_e64 s[44:45], 0, v0
	s_nop 1
	v_cndmask_b32_e64 v5, v2, v5, s[44:45]
	v_cndmask_b32_e64 v6, v3, v6, s[44:45]
	ds_write_b32 v1, v5
	ds_write_b8 v1, v6 offset:4
	; wave barrier
	ds_read_u8 v7, v1 offset:12
	ds_read2_b32 v[2:3], v1 offset0:2 offset1:4
	ds_read_u8 v8, v1 offset:20
	ds_read_b32 v9, v1 offset:24
	ds_read_u8 v13, v1 offset:28
	s_waitcnt lgkmcnt(4)
	v_cmp_eq_u16_e64 s[44:45], 0, v7
	s_nop 1
	v_cndmask_b32_e64 v5, 0, v5, s[44:45]
	s_waitcnt lgkmcnt(3)
	v_add_u32_e32 v2, v5, v2
	v_and_b32_e32 v5, 1, v7
	v_cmp_eq_u32_e64 s[44:45], 1, v5
	s_nop 1
	v_cndmask_b32_e64 v5, v6, 1, s[44:45]
	s_waitcnt lgkmcnt(2)
	v_cmp_eq_u16_e64 s[44:45], 0, v8
	ds_write_b8 v1, v5 offset:12
	s_nop 0
	v_cndmask_b32_e64 v6, 0, v2, s[44:45]
	v_add_u32_e32 v3, v6, v3
	v_and_b32_e32 v6, 1, v8
	v_cmp_eq_u32_e64 s[44:45], 1, v6
	s_nop 1
	v_cndmask_b32_e64 v5, v5, 1, s[44:45]
	s_waitcnt lgkmcnt(1)
	v_cmp_eq_u16_e64 s[44:45], 0, v13
	ds_write2_b32 v1, v2, v3 offset0:2 offset1:4
	ds_write_b8 v1, v5 offset:20
	v_cndmask_b32_e64 v2, 0, v3, s[44:45]
	v_and_b32_e32 v3, 1, v13
	v_add_u32_e32 v2, v2, v9
	v_cmp_eq_u32_e64 s[44:45], 1, v3
	s_nop 1
	v_cndmask_b32_e64 v3, v5, 1, s[44:45]
	ds_write_b32 v1, v2 offset:24
	ds_write_b8 v1, v3 offset:28
.LBB1519_204:
	s_or_b64 exec, exec, s[46:47]
	v_cmp_eq_u32_e64 s[44:45], 0, v0
	v_cmp_ne_u32_e64 s[46:47], 0, v0
	s_waitcnt vmcnt(0)
	v_mov_b32_e32 v58, v4
	s_waitcnt lgkmcnt(0)
	s_barrier
	s_and_saveexec_b64 s[48:49], s[46:47]
	s_cbranch_execz .LBB1519_206
; %bb.205:
	v_add_u32_e32 v1, -1, v0
	v_lshrrev_b32_e32 v2, 5, v1
	v_add_lshl_u32 v1, v2, v1, 3
	ds_read_u8 v2, v1 offset:4
	ds_read_b32 v1, v1
	s_waitcnt lgkmcnt(1)
	v_cmp_eq_u16_e64 s[46:47], 0, v2
	s_nop 1
	v_cndmask_b32_e64 v2, 0, v4, s[46:47]
	s_waitcnt lgkmcnt(0)
	v_add_u32_e32 v58, v2, v1
.LBB1519_206:
	s_or_b64 exec, exec, s[48:49]
	v_and_b32_e32 v3, 0xff, v11
	v_mov_b32_e32 v2, 0
	v_cmp_eq_u64_e64 s[46:47], 0, v[2:3]
	s_nop 1
	v_cndmask_b32_e64 v1, 0, v58, s[46:47]
	v_add_u32_e32 v59, v1, v10
	v_cndmask_b32_e32 v1, 0, v59, vcc
	v_add_u32_e32 v60, v1, v12
	v_cndmask_b32_e64 v1, 0, v60, s[2:3]
	v_add_u32_e32 v61, v1, v14
	v_cndmask_b32_e64 v1, 0, v61, s[4:5]
	;; [unrolled: 2-line block ×20, first 2 shown]
	s_and_saveexec_b64 s[2:3], s[44:45]
	s_cbranch_execz .LBB1519_208
; %bb.207:
	ds_read_u8 v3, v2 offset:2100
	ds_read_b32 v5, v2 offset:2096
	s_add_u32 s4, s56, 0x400
	s_addc_u32 s5, s57, 0
	v_mov_b32_e32 v6, 2
	s_waitcnt lgkmcnt(1)
	v_cmp_eq_u16_e32 vcc, 0, v3
	v_mov_b32_e32 v7, v2
	s_nop 0
	v_cndmask_b32_e32 v4, 0, v4, vcc
	s_waitcnt lgkmcnt(0)
	v_add_u32_e32 v4, v4, v5
	v_and_b32_e32 v5, 0xffff, v3
	v_mov_b64_e32 v[2:3], s[4:5]
	;;#ASMSTART
	global_store_dwordx4 v[2:3], v[4:7] off sc1	
s_waitcnt vmcnt(0)
	;;#ASMEND
.LBB1519_208:
	s_or_b64 exec, exec, s[2:3]
	v_add_u32_e32 v80, v1, v52
.LBB1519_209:
	s_add_u32 s2, s54, s64
	s_addc_u32 s3, s55, s65
	s_add_u32 s2, s2, s66
	s_addc_u32 s3, s3, s67
	s_and_b64 vcc, exec, s[0:1]
	s_cbranch_vccz .LBB1519_255
; %bb.210:
	s_movk_i32 s0, 0x5c
	v_mul_i32_i24_e32 v26, 0xffffffa8, v0
	v_mul_u32_u24_e32 v1, 0x5c, v0
	v_mad_u32_u24 v2, v0, s0, v26
	s_barrier
	ds_write2_b32 v1, v58, v59 offset1:1
	ds_write2_b32 v1, v60, v61 offset0:2 offset1:3
	ds_write2_b32 v1, v62, v63 offset0:4 offset1:5
	;; [unrolled: 1-line block ×10, first 2 shown]
	ds_write_b32 v1, v80 offset:88
	s_waitcnt lgkmcnt(0)
	s_barrier
	ds_read2st64_b32 v[24:25], v2 offset0:4 offset1:8
	ds_read2st64_b32 v[22:23], v2 offset0:12 offset1:16
	;; [unrolled: 1-line block ×11, first 2 shown]
	s_add_i32 s33, s33, s58
	v_mov_b32_e32 v55, 0
	v_lshl_add_u64 v[4:5], s[2:3], 0, v[54:55]
	v_cmp_gt_u32_e32 vcc, s33, v0
	s_and_saveexec_b64 s[0:1], vcc
	s_cbranch_execz .LBB1519_212
; %bb.211:
	v_add_u32_e32 v1, v1, v26
	ds_read_b32 v1, v1
	s_waitcnt lgkmcnt(0)
	flat_store_dword v[4:5], v1
.LBB1519_212:
	s_or_b64 exec, exec, s[0:1]
	v_or_b32_e32 v1, 0x100, v0
	v_cmp_gt_u32_e32 vcc, s33, v1
	s_and_saveexec_b64 s[0:1], vcc
	s_cbranch_execz .LBB1519_214
; %bb.213:
	s_waitcnt lgkmcnt(0)
	flat_store_dword v[4:5], v24 offset:1024
.LBB1519_214:
	s_or_b64 exec, exec, s[0:1]
	v_or_b32_e32 v1, 0x200, v0
	v_cmp_gt_u32_e32 vcc, s33, v1
	s_and_saveexec_b64 s[0:1], vcc
	s_cbranch_execz .LBB1519_216
; %bb.215:
	s_waitcnt lgkmcnt(0)
	flat_store_dword v[4:5], v25 offset:2048
.LBB1519_216:
	;; [unrolled: 9-line block ×3, first 2 shown]
	s_or_b64 exec, exec, s[0:1]
	v_or_b32_e32 v1, 0x400, v0
	v_cmp_gt_u32_e32 vcc, s33, v1
	s_and_saveexec_b64 s[0:1], vcc
	s_cbranch_execz .LBB1519_220
; %bb.219:
	s_waitcnt lgkmcnt(0)
	v_add_co_u32_e32 v24, vcc, 0x1000, v4
	s_nop 1
	v_addc_co_u32_e32 v25, vcc, 0, v5, vcc
	flat_store_dword v[24:25], v23
.LBB1519_220:
	s_or_b64 exec, exec, s[0:1]
	v_or_b32_e32 v1, 0x500, v0
	v_cmp_gt_u32_e32 vcc, s33, v1
	s_and_saveexec_b64 s[0:1], vcc
	s_cbranch_execz .LBB1519_222
; %bb.221:
	s_waitcnt lgkmcnt(0)
	v_add_co_u32_e32 v22, vcc, 0x1000, v4
	s_nop 1
	v_addc_co_u32_e32 v23, vcc, 0, v5, vcc
	flat_store_dword v[22:23], v20 offset:1024
.LBB1519_222:
	s_or_b64 exec, exec, s[0:1]
	v_or_b32_e32 v1, 0x600, v0
	v_cmp_gt_u32_e32 vcc, s33, v1
	s_and_saveexec_b64 s[0:1], vcc
	s_cbranch_execz .LBB1519_224
; %bb.223:
	s_waitcnt lgkmcnt(0)
	v_add_co_u32_e32 v22, vcc, 0x1000, v4
	s_nop 1
	v_addc_co_u32_e32 v23, vcc, 0, v5, vcc
	flat_store_dword v[22:23], v21 offset:2048
.LBB1519_224:
	s_or_b64 exec, exec, s[0:1]
	v_or_b32_e32 v1, 0x700, v0
	v_cmp_gt_u32_e32 vcc, s33, v1
	s_and_saveexec_b64 s[0:1], vcc
	s_cbranch_execz .LBB1519_226
; %bb.225:
	s_waitcnt lgkmcnt(0)
	v_add_co_u32_e32 v20, vcc, 0x1000, v4
	s_nop 1
	v_addc_co_u32_e32 v21, vcc, 0, v5, vcc
	flat_store_dword v[20:21], v18 offset:3072
.LBB1519_226:
	s_or_b64 exec, exec, s[0:1]
	v_or_b32_e32 v1, 0x800, v0
	v_cmp_gt_u32_e32 vcc, s33, v1
	s_and_saveexec_b64 s[0:1], vcc
	s_cbranch_execz .LBB1519_228
; %bb.227:
	s_waitcnt lgkmcnt(0)
	v_add_co_u32_e32 v20, vcc, 0x2000, v4
	s_nop 1
	v_addc_co_u32_e32 v21, vcc, 0, v5, vcc
	flat_store_dword v[20:21], v19
.LBB1519_228:
	s_or_b64 exec, exec, s[0:1]
	v_or_b32_e32 v1, 0x900, v0
	v_cmp_gt_u32_e32 vcc, s33, v1
	s_and_saveexec_b64 s[0:1], vcc
	s_cbranch_execz .LBB1519_230
; %bb.229:
	s_waitcnt lgkmcnt(0)
	v_add_co_u32_e32 v18, vcc, 0x2000, v4
	s_nop 1
	v_addc_co_u32_e32 v19, vcc, 0, v5, vcc
	flat_store_dword v[18:19], v16 offset:1024
.LBB1519_230:
	s_or_b64 exec, exec, s[0:1]
	v_or_b32_e32 v1, 0xa00, v0
	v_cmp_gt_u32_e32 vcc, s33, v1
	s_and_saveexec_b64 s[0:1], vcc
	s_cbranch_execz .LBB1519_232
; %bb.231:
	s_waitcnt lgkmcnt(0)
	v_add_co_u32_e32 v18, vcc, 0x2000, v4
	s_nop 1
	v_addc_co_u32_e32 v19, vcc, 0, v5, vcc
	flat_store_dword v[18:19], v17 offset:2048
.LBB1519_232:
	s_or_b64 exec, exec, s[0:1]
	v_or_b32_e32 v1, 0xb00, v0
	v_cmp_gt_u32_e32 vcc, s33, v1
	s_and_saveexec_b64 s[0:1], vcc
	s_cbranch_execz .LBB1519_234
; %bb.233:
	s_waitcnt lgkmcnt(0)
	v_add_co_u32_e32 v16, vcc, 0x2000, v4
	s_nop 1
	v_addc_co_u32_e32 v17, vcc, 0, v5, vcc
	flat_store_dword v[16:17], v14 offset:3072
.LBB1519_234:
	;; [unrolled: 48-line block ×4, first 2 shown]
	s_or_b64 exec, exec, s[0:1]
	v_or_b32_e32 v1, 0x1400, v0
	v_cmp_gt_u32_e32 vcc, s33, v1
	s_and_saveexec_b64 s[0:1], vcc
	s_cbranch_execz .LBB1519_252
; %bb.251:
	s_waitcnt lgkmcnt(0)
	v_add_co_u32_e32 v8, vcc, 0x5000, v4
	s_nop 1
	v_addc_co_u32_e32 v9, vcc, 0, v5, vcc
	flat_store_dword v[8:9], v7
.LBB1519_252:
	s_or_b64 exec, exec, s[0:1]
	v_or_b32_e32 v1, 0x1500, v0
	v_cmp_gt_u32_e32 vcc, s33, v1
	s_and_saveexec_b64 s[0:1], vcc
	s_cbranch_execz .LBB1519_254
; %bb.253:
	v_add_co_u32_e32 v4, vcc, 0x5000, v4
	s_nop 1
	v_addc_co_u32_e32 v5, vcc, 0, v5, vcc
	s_waitcnt lgkmcnt(0)
	flat_store_dword v[4:5], v2 offset:1024
.LBB1519_254:
	s_or_b64 exec, exec, s[0:1]
	s_waitcnt lgkmcnt(0)
	v_or_b32_e32 v2, 0x1600, v0
	v_mov_b32_e32 v1, v55
	v_cmp_gt_u32_e64 s[0:1], s33, v2
	s_branch .LBB1519_257
.LBB1519_255:
	s_mov_b64 s[0:1], 0
                                        ; implicit-def: $vgpr3
	s_cbranch_execz .LBB1519_257
; %bb.256:
	v_mul_u32_u24_e32 v1, 0x5c, v0
	s_barrier
	s_movk_i32 s4, 0x5c
	ds_write2_b32 v1, v58, v59 offset1:1
	ds_write2_b32 v1, v60, v61 offset0:2 offset1:3
	ds_write2_b32 v1, v62, v63 offset0:4 offset1:5
	;; [unrolled: 1-line block ×10, first 2 shown]
	ds_write_b32 v1, v80 offset:88
	v_mov_b32_e32 v1, 0
	v_mul_i32_i24_e32 v2, 0xffffffa8, v0
	v_mad_u32_u24 v2, v0, s4, v2
	v_mov_b32_e32 v55, v1
	s_waitcnt lgkmcnt(0)
	s_barrier
	ds_read2st64_b32 v[4:5], v2 offset1:4
	ds_read2st64_b32 v[6:7], v2 offset0:8 offset1:12
	ds_read2st64_b32 v[8:9], v2 offset0:16 offset1:20
	;; [unrolled: 1-line block ×10, first 2 shown]
	ds_read_b32 v3, v2 offset:22528
	v_lshl_add_u64 v[26:27], s[2:3], 0, v[54:55]
	s_movk_i32 s4, 0x1000
	s_waitcnt lgkmcnt(0)
	flat_store_dword v[26:27], v4
	flat_store_dword v[26:27], v5 offset:1024
	flat_store_dword v[26:27], v6 offset:2048
	flat_store_dword v[26:27], v7 offset:3072
	v_add_co_u32_e32 v4, vcc, s4, v26
	s_movk_i32 s4, 0x2000
	s_nop 0
	v_addc_co_u32_e32 v5, vcc, 0, v27, vcc
	flat_store_dword v[4:5], v8
	flat_store_dword v[4:5], v9 offset:1024
	flat_store_dword v[4:5], v10 offset:2048
	;; [unrolled: 1-line block ×3, first 2 shown]
	v_add_co_u32_e32 v4, vcc, s4, v26
	s_movk_i32 s4, 0x3000
	s_nop 0
	v_addc_co_u32_e32 v5, vcc, 0, v27, vcc
	flat_store_dword v[4:5], v12
	flat_store_dword v[4:5], v13 offset:1024
	flat_store_dword v[4:5], v14 offset:2048
	flat_store_dword v[4:5], v15 offset:3072
	v_add_co_u32_e32 v4, vcc, s4, v26
	s_or_b64 s[0:1], s[0:1], exec
	s_nop 0
	v_addc_co_u32_e32 v5, vcc, 0, v27, vcc
	flat_store_dword v[4:5], v16
	flat_store_dword v[4:5], v17 offset:1024
	flat_store_dword v[4:5], v18 offset:2048
	;; [unrolled: 1-line block ×3, first 2 shown]
	v_add_co_u32_e32 v4, vcc, 0x4000, v26
	s_nop 1
	v_addc_co_u32_e32 v5, vcc, 0, v27, vcc
	flat_store_dword v[4:5], v20
	flat_store_dword v[4:5], v21 offset:1024
	flat_store_dword v[4:5], v22 offset:2048
	;; [unrolled: 1-line block ×3, first 2 shown]
	v_add_co_u32_e32 v4, vcc, 0x5000, v26
	s_nop 1
	v_addc_co_u32_e32 v5, vcc, 0, v27, vcc
	flat_store_dword v[4:5], v24
	flat_store_dword v[4:5], v25 offset:1024
.LBB1519_257:
	s_and_saveexec_b64 s[4:5], s[0:1]
	s_cbranch_execz .LBB1519_259
; %bb.258:
	v_lshl_add_u64 v[0:1], v[0:1], 2, s[2:3]
	v_add_co_u32_e32 v0, vcc, 0x5000, v0
	s_nop 1
	v_addc_co_u32_e32 v1, vcc, 0, v1, vcc
	flat_store_dword v[0:1], v3 offset:2048
	s_endpgm
.LBB1519_259:
	s_endpgm
	.section	.rodata,"a",@progbits
	.p2align	6, 0x0
	.amdhsa_kernel _ZN7rocprim17ROCPRIM_400000_NS6detail17trampoline_kernelINS0_14default_configENS1_27scan_by_key_config_selectorIijEEZZNS1_16scan_by_key_implILNS1_25lookback_scan_determinismE0ELb1ES3_N6thrust23THRUST_200600_302600_NS6detail15normal_iteratorINS9_10device_ptrIiEEEENSB_INSC_IjEEEESG_jNS9_4plusIvEENS9_8equal_toIvEEjEE10hipError_tPvRmT2_T3_T4_T5_mT6_T7_P12ihipStream_tbENKUlT_T0_E_clISt17integral_constantIbLb1EES10_IbLb0EEEEDaSW_SX_EUlSW_E_NS1_11comp_targetILNS1_3genE5ELNS1_11target_archE942ELNS1_3gpuE9ELNS1_3repE0EEENS1_30default_config_static_selectorELNS0_4arch9wavefront6targetE1EEEvT1_
		.amdhsa_group_segment_fixed_size 25600
		.amdhsa_private_segment_fixed_size 0
		.amdhsa_kernarg_size 112
		.amdhsa_user_sgpr_count 2
		.amdhsa_user_sgpr_dispatch_ptr 0
		.amdhsa_user_sgpr_queue_ptr 0
		.amdhsa_user_sgpr_kernarg_segment_ptr 1
		.amdhsa_user_sgpr_dispatch_id 0
		.amdhsa_user_sgpr_kernarg_preload_length 0
		.amdhsa_user_sgpr_kernarg_preload_offset 0
		.amdhsa_user_sgpr_private_segment_size 0
		.amdhsa_uses_dynamic_stack 0
		.amdhsa_enable_private_segment 0
		.amdhsa_system_sgpr_workgroup_id_x 1
		.amdhsa_system_sgpr_workgroup_id_y 0
		.amdhsa_system_sgpr_workgroup_id_z 0
		.amdhsa_system_sgpr_workgroup_info 0
		.amdhsa_system_vgpr_workitem_id 0
		.amdhsa_next_free_vgpr 81
		.amdhsa_next_free_sgpr 80
		.amdhsa_accum_offset 84
		.amdhsa_reserve_vcc 1
		.amdhsa_float_round_mode_32 0
		.amdhsa_float_round_mode_16_64 0
		.amdhsa_float_denorm_mode_32 3
		.amdhsa_float_denorm_mode_16_64 3
		.amdhsa_dx10_clamp 1
		.amdhsa_ieee_mode 1
		.amdhsa_fp16_overflow 0
		.amdhsa_tg_split 0
		.amdhsa_exception_fp_ieee_invalid_op 0
		.amdhsa_exception_fp_denorm_src 0
		.amdhsa_exception_fp_ieee_div_zero 0
		.amdhsa_exception_fp_ieee_overflow 0
		.amdhsa_exception_fp_ieee_underflow 0
		.amdhsa_exception_fp_ieee_inexact 0
		.amdhsa_exception_int_div_zero 0
	.end_amdhsa_kernel
	.section	.text._ZN7rocprim17ROCPRIM_400000_NS6detail17trampoline_kernelINS0_14default_configENS1_27scan_by_key_config_selectorIijEEZZNS1_16scan_by_key_implILNS1_25lookback_scan_determinismE0ELb1ES3_N6thrust23THRUST_200600_302600_NS6detail15normal_iteratorINS9_10device_ptrIiEEEENSB_INSC_IjEEEESG_jNS9_4plusIvEENS9_8equal_toIvEEjEE10hipError_tPvRmT2_T3_T4_T5_mT6_T7_P12ihipStream_tbENKUlT_T0_E_clISt17integral_constantIbLb1EES10_IbLb0EEEEDaSW_SX_EUlSW_E_NS1_11comp_targetILNS1_3genE5ELNS1_11target_archE942ELNS1_3gpuE9ELNS1_3repE0EEENS1_30default_config_static_selectorELNS0_4arch9wavefront6targetE1EEEvT1_,"axG",@progbits,_ZN7rocprim17ROCPRIM_400000_NS6detail17trampoline_kernelINS0_14default_configENS1_27scan_by_key_config_selectorIijEEZZNS1_16scan_by_key_implILNS1_25lookback_scan_determinismE0ELb1ES3_N6thrust23THRUST_200600_302600_NS6detail15normal_iteratorINS9_10device_ptrIiEEEENSB_INSC_IjEEEESG_jNS9_4plusIvEENS9_8equal_toIvEEjEE10hipError_tPvRmT2_T3_T4_T5_mT6_T7_P12ihipStream_tbENKUlT_T0_E_clISt17integral_constantIbLb1EES10_IbLb0EEEEDaSW_SX_EUlSW_E_NS1_11comp_targetILNS1_3genE5ELNS1_11target_archE942ELNS1_3gpuE9ELNS1_3repE0EEENS1_30default_config_static_selectorELNS0_4arch9wavefront6targetE1EEEvT1_,comdat
.Lfunc_end1519:
	.size	_ZN7rocprim17ROCPRIM_400000_NS6detail17trampoline_kernelINS0_14default_configENS1_27scan_by_key_config_selectorIijEEZZNS1_16scan_by_key_implILNS1_25lookback_scan_determinismE0ELb1ES3_N6thrust23THRUST_200600_302600_NS6detail15normal_iteratorINS9_10device_ptrIiEEEENSB_INSC_IjEEEESG_jNS9_4plusIvEENS9_8equal_toIvEEjEE10hipError_tPvRmT2_T3_T4_T5_mT6_T7_P12ihipStream_tbENKUlT_T0_E_clISt17integral_constantIbLb1EES10_IbLb0EEEEDaSW_SX_EUlSW_E_NS1_11comp_targetILNS1_3genE5ELNS1_11target_archE942ELNS1_3gpuE9ELNS1_3repE0EEENS1_30default_config_static_selectorELNS0_4arch9wavefront6targetE1EEEvT1_, .Lfunc_end1519-_ZN7rocprim17ROCPRIM_400000_NS6detail17trampoline_kernelINS0_14default_configENS1_27scan_by_key_config_selectorIijEEZZNS1_16scan_by_key_implILNS1_25lookback_scan_determinismE0ELb1ES3_N6thrust23THRUST_200600_302600_NS6detail15normal_iteratorINS9_10device_ptrIiEEEENSB_INSC_IjEEEESG_jNS9_4plusIvEENS9_8equal_toIvEEjEE10hipError_tPvRmT2_T3_T4_T5_mT6_T7_P12ihipStream_tbENKUlT_T0_E_clISt17integral_constantIbLb1EES10_IbLb0EEEEDaSW_SX_EUlSW_E_NS1_11comp_targetILNS1_3genE5ELNS1_11target_archE942ELNS1_3gpuE9ELNS1_3repE0EEENS1_30default_config_static_selectorELNS0_4arch9wavefront6targetE1EEEvT1_
                                        ; -- End function
	.section	.AMDGPU.csdata,"",@progbits
; Kernel info:
; codeLenInByte = 15836
; NumSgprs: 86
; NumVgprs: 81
; NumAgprs: 0
; TotalNumVgprs: 81
; ScratchSize: 0
; MemoryBound: 0
; FloatMode: 240
; IeeeMode: 1
; LDSByteSize: 25600 bytes/workgroup (compile time only)
; SGPRBlocks: 10
; VGPRBlocks: 10
; NumSGPRsForWavesPerEU: 86
; NumVGPRsForWavesPerEU: 81
; AccumOffset: 84
; Occupancy: 2
; WaveLimiterHint : 1
; COMPUTE_PGM_RSRC2:SCRATCH_EN: 0
; COMPUTE_PGM_RSRC2:USER_SGPR: 2
; COMPUTE_PGM_RSRC2:TRAP_HANDLER: 0
; COMPUTE_PGM_RSRC2:TGID_X_EN: 1
; COMPUTE_PGM_RSRC2:TGID_Y_EN: 0
; COMPUTE_PGM_RSRC2:TGID_Z_EN: 0
; COMPUTE_PGM_RSRC2:TIDIG_COMP_CNT: 0
; COMPUTE_PGM_RSRC3_GFX90A:ACCUM_OFFSET: 20
; COMPUTE_PGM_RSRC3_GFX90A:TG_SPLIT: 0
	.section	.text._ZN7rocprim17ROCPRIM_400000_NS6detail17trampoline_kernelINS0_14default_configENS1_27scan_by_key_config_selectorIijEEZZNS1_16scan_by_key_implILNS1_25lookback_scan_determinismE0ELb1ES3_N6thrust23THRUST_200600_302600_NS6detail15normal_iteratorINS9_10device_ptrIiEEEENSB_INSC_IjEEEESG_jNS9_4plusIvEENS9_8equal_toIvEEjEE10hipError_tPvRmT2_T3_T4_T5_mT6_T7_P12ihipStream_tbENKUlT_T0_E_clISt17integral_constantIbLb1EES10_IbLb0EEEEDaSW_SX_EUlSW_E_NS1_11comp_targetILNS1_3genE4ELNS1_11target_archE910ELNS1_3gpuE8ELNS1_3repE0EEENS1_30default_config_static_selectorELNS0_4arch9wavefront6targetE1EEEvT1_,"axG",@progbits,_ZN7rocprim17ROCPRIM_400000_NS6detail17trampoline_kernelINS0_14default_configENS1_27scan_by_key_config_selectorIijEEZZNS1_16scan_by_key_implILNS1_25lookback_scan_determinismE0ELb1ES3_N6thrust23THRUST_200600_302600_NS6detail15normal_iteratorINS9_10device_ptrIiEEEENSB_INSC_IjEEEESG_jNS9_4plusIvEENS9_8equal_toIvEEjEE10hipError_tPvRmT2_T3_T4_T5_mT6_T7_P12ihipStream_tbENKUlT_T0_E_clISt17integral_constantIbLb1EES10_IbLb0EEEEDaSW_SX_EUlSW_E_NS1_11comp_targetILNS1_3genE4ELNS1_11target_archE910ELNS1_3gpuE8ELNS1_3repE0EEENS1_30default_config_static_selectorELNS0_4arch9wavefront6targetE1EEEvT1_,comdat
	.protected	_ZN7rocprim17ROCPRIM_400000_NS6detail17trampoline_kernelINS0_14default_configENS1_27scan_by_key_config_selectorIijEEZZNS1_16scan_by_key_implILNS1_25lookback_scan_determinismE0ELb1ES3_N6thrust23THRUST_200600_302600_NS6detail15normal_iteratorINS9_10device_ptrIiEEEENSB_INSC_IjEEEESG_jNS9_4plusIvEENS9_8equal_toIvEEjEE10hipError_tPvRmT2_T3_T4_T5_mT6_T7_P12ihipStream_tbENKUlT_T0_E_clISt17integral_constantIbLb1EES10_IbLb0EEEEDaSW_SX_EUlSW_E_NS1_11comp_targetILNS1_3genE4ELNS1_11target_archE910ELNS1_3gpuE8ELNS1_3repE0EEENS1_30default_config_static_selectorELNS0_4arch9wavefront6targetE1EEEvT1_ ; -- Begin function _ZN7rocprim17ROCPRIM_400000_NS6detail17trampoline_kernelINS0_14default_configENS1_27scan_by_key_config_selectorIijEEZZNS1_16scan_by_key_implILNS1_25lookback_scan_determinismE0ELb1ES3_N6thrust23THRUST_200600_302600_NS6detail15normal_iteratorINS9_10device_ptrIiEEEENSB_INSC_IjEEEESG_jNS9_4plusIvEENS9_8equal_toIvEEjEE10hipError_tPvRmT2_T3_T4_T5_mT6_T7_P12ihipStream_tbENKUlT_T0_E_clISt17integral_constantIbLb1EES10_IbLb0EEEEDaSW_SX_EUlSW_E_NS1_11comp_targetILNS1_3genE4ELNS1_11target_archE910ELNS1_3gpuE8ELNS1_3repE0EEENS1_30default_config_static_selectorELNS0_4arch9wavefront6targetE1EEEvT1_
	.globl	_ZN7rocprim17ROCPRIM_400000_NS6detail17trampoline_kernelINS0_14default_configENS1_27scan_by_key_config_selectorIijEEZZNS1_16scan_by_key_implILNS1_25lookback_scan_determinismE0ELb1ES3_N6thrust23THRUST_200600_302600_NS6detail15normal_iteratorINS9_10device_ptrIiEEEENSB_INSC_IjEEEESG_jNS9_4plusIvEENS9_8equal_toIvEEjEE10hipError_tPvRmT2_T3_T4_T5_mT6_T7_P12ihipStream_tbENKUlT_T0_E_clISt17integral_constantIbLb1EES10_IbLb0EEEEDaSW_SX_EUlSW_E_NS1_11comp_targetILNS1_3genE4ELNS1_11target_archE910ELNS1_3gpuE8ELNS1_3repE0EEENS1_30default_config_static_selectorELNS0_4arch9wavefront6targetE1EEEvT1_
	.p2align	8
	.type	_ZN7rocprim17ROCPRIM_400000_NS6detail17trampoline_kernelINS0_14default_configENS1_27scan_by_key_config_selectorIijEEZZNS1_16scan_by_key_implILNS1_25lookback_scan_determinismE0ELb1ES3_N6thrust23THRUST_200600_302600_NS6detail15normal_iteratorINS9_10device_ptrIiEEEENSB_INSC_IjEEEESG_jNS9_4plusIvEENS9_8equal_toIvEEjEE10hipError_tPvRmT2_T3_T4_T5_mT6_T7_P12ihipStream_tbENKUlT_T0_E_clISt17integral_constantIbLb1EES10_IbLb0EEEEDaSW_SX_EUlSW_E_NS1_11comp_targetILNS1_3genE4ELNS1_11target_archE910ELNS1_3gpuE8ELNS1_3repE0EEENS1_30default_config_static_selectorELNS0_4arch9wavefront6targetE1EEEvT1_,@function
_ZN7rocprim17ROCPRIM_400000_NS6detail17trampoline_kernelINS0_14default_configENS1_27scan_by_key_config_selectorIijEEZZNS1_16scan_by_key_implILNS1_25lookback_scan_determinismE0ELb1ES3_N6thrust23THRUST_200600_302600_NS6detail15normal_iteratorINS9_10device_ptrIiEEEENSB_INSC_IjEEEESG_jNS9_4plusIvEENS9_8equal_toIvEEjEE10hipError_tPvRmT2_T3_T4_T5_mT6_T7_P12ihipStream_tbENKUlT_T0_E_clISt17integral_constantIbLb1EES10_IbLb0EEEEDaSW_SX_EUlSW_E_NS1_11comp_targetILNS1_3genE4ELNS1_11target_archE910ELNS1_3gpuE8ELNS1_3repE0EEENS1_30default_config_static_selectorELNS0_4arch9wavefront6targetE1EEEvT1_: ; @_ZN7rocprim17ROCPRIM_400000_NS6detail17trampoline_kernelINS0_14default_configENS1_27scan_by_key_config_selectorIijEEZZNS1_16scan_by_key_implILNS1_25lookback_scan_determinismE0ELb1ES3_N6thrust23THRUST_200600_302600_NS6detail15normal_iteratorINS9_10device_ptrIiEEEENSB_INSC_IjEEEESG_jNS9_4plusIvEENS9_8equal_toIvEEjEE10hipError_tPvRmT2_T3_T4_T5_mT6_T7_P12ihipStream_tbENKUlT_T0_E_clISt17integral_constantIbLb1EES10_IbLb0EEEEDaSW_SX_EUlSW_E_NS1_11comp_targetILNS1_3genE4ELNS1_11target_archE910ELNS1_3gpuE8ELNS1_3repE0EEENS1_30default_config_static_selectorELNS0_4arch9wavefront6targetE1EEEvT1_
; %bb.0:
	.section	.rodata,"a",@progbits
	.p2align	6, 0x0
	.amdhsa_kernel _ZN7rocprim17ROCPRIM_400000_NS6detail17trampoline_kernelINS0_14default_configENS1_27scan_by_key_config_selectorIijEEZZNS1_16scan_by_key_implILNS1_25lookback_scan_determinismE0ELb1ES3_N6thrust23THRUST_200600_302600_NS6detail15normal_iteratorINS9_10device_ptrIiEEEENSB_INSC_IjEEEESG_jNS9_4plusIvEENS9_8equal_toIvEEjEE10hipError_tPvRmT2_T3_T4_T5_mT6_T7_P12ihipStream_tbENKUlT_T0_E_clISt17integral_constantIbLb1EES10_IbLb0EEEEDaSW_SX_EUlSW_E_NS1_11comp_targetILNS1_3genE4ELNS1_11target_archE910ELNS1_3gpuE8ELNS1_3repE0EEENS1_30default_config_static_selectorELNS0_4arch9wavefront6targetE1EEEvT1_
		.amdhsa_group_segment_fixed_size 0
		.amdhsa_private_segment_fixed_size 0
		.amdhsa_kernarg_size 112
		.amdhsa_user_sgpr_count 2
		.amdhsa_user_sgpr_dispatch_ptr 0
		.amdhsa_user_sgpr_queue_ptr 0
		.amdhsa_user_sgpr_kernarg_segment_ptr 1
		.amdhsa_user_sgpr_dispatch_id 0
		.amdhsa_user_sgpr_kernarg_preload_length 0
		.amdhsa_user_sgpr_kernarg_preload_offset 0
		.amdhsa_user_sgpr_private_segment_size 0
		.amdhsa_uses_dynamic_stack 0
		.amdhsa_enable_private_segment 0
		.amdhsa_system_sgpr_workgroup_id_x 1
		.amdhsa_system_sgpr_workgroup_id_y 0
		.amdhsa_system_sgpr_workgroup_id_z 0
		.amdhsa_system_sgpr_workgroup_info 0
		.amdhsa_system_vgpr_workitem_id 0
		.amdhsa_next_free_vgpr 1
		.amdhsa_next_free_sgpr 0
		.amdhsa_accum_offset 4
		.amdhsa_reserve_vcc 0
		.amdhsa_float_round_mode_32 0
		.amdhsa_float_round_mode_16_64 0
		.amdhsa_float_denorm_mode_32 3
		.amdhsa_float_denorm_mode_16_64 3
		.amdhsa_dx10_clamp 1
		.amdhsa_ieee_mode 1
		.amdhsa_fp16_overflow 0
		.amdhsa_tg_split 0
		.amdhsa_exception_fp_ieee_invalid_op 0
		.amdhsa_exception_fp_denorm_src 0
		.amdhsa_exception_fp_ieee_div_zero 0
		.amdhsa_exception_fp_ieee_overflow 0
		.amdhsa_exception_fp_ieee_underflow 0
		.amdhsa_exception_fp_ieee_inexact 0
		.amdhsa_exception_int_div_zero 0
	.end_amdhsa_kernel
	.section	.text._ZN7rocprim17ROCPRIM_400000_NS6detail17trampoline_kernelINS0_14default_configENS1_27scan_by_key_config_selectorIijEEZZNS1_16scan_by_key_implILNS1_25lookback_scan_determinismE0ELb1ES3_N6thrust23THRUST_200600_302600_NS6detail15normal_iteratorINS9_10device_ptrIiEEEENSB_INSC_IjEEEESG_jNS9_4plusIvEENS9_8equal_toIvEEjEE10hipError_tPvRmT2_T3_T4_T5_mT6_T7_P12ihipStream_tbENKUlT_T0_E_clISt17integral_constantIbLb1EES10_IbLb0EEEEDaSW_SX_EUlSW_E_NS1_11comp_targetILNS1_3genE4ELNS1_11target_archE910ELNS1_3gpuE8ELNS1_3repE0EEENS1_30default_config_static_selectorELNS0_4arch9wavefront6targetE1EEEvT1_,"axG",@progbits,_ZN7rocprim17ROCPRIM_400000_NS6detail17trampoline_kernelINS0_14default_configENS1_27scan_by_key_config_selectorIijEEZZNS1_16scan_by_key_implILNS1_25lookback_scan_determinismE0ELb1ES3_N6thrust23THRUST_200600_302600_NS6detail15normal_iteratorINS9_10device_ptrIiEEEENSB_INSC_IjEEEESG_jNS9_4plusIvEENS9_8equal_toIvEEjEE10hipError_tPvRmT2_T3_T4_T5_mT6_T7_P12ihipStream_tbENKUlT_T0_E_clISt17integral_constantIbLb1EES10_IbLb0EEEEDaSW_SX_EUlSW_E_NS1_11comp_targetILNS1_3genE4ELNS1_11target_archE910ELNS1_3gpuE8ELNS1_3repE0EEENS1_30default_config_static_selectorELNS0_4arch9wavefront6targetE1EEEvT1_,comdat
.Lfunc_end1520:
	.size	_ZN7rocprim17ROCPRIM_400000_NS6detail17trampoline_kernelINS0_14default_configENS1_27scan_by_key_config_selectorIijEEZZNS1_16scan_by_key_implILNS1_25lookback_scan_determinismE0ELb1ES3_N6thrust23THRUST_200600_302600_NS6detail15normal_iteratorINS9_10device_ptrIiEEEENSB_INSC_IjEEEESG_jNS9_4plusIvEENS9_8equal_toIvEEjEE10hipError_tPvRmT2_T3_T4_T5_mT6_T7_P12ihipStream_tbENKUlT_T0_E_clISt17integral_constantIbLb1EES10_IbLb0EEEEDaSW_SX_EUlSW_E_NS1_11comp_targetILNS1_3genE4ELNS1_11target_archE910ELNS1_3gpuE8ELNS1_3repE0EEENS1_30default_config_static_selectorELNS0_4arch9wavefront6targetE1EEEvT1_, .Lfunc_end1520-_ZN7rocprim17ROCPRIM_400000_NS6detail17trampoline_kernelINS0_14default_configENS1_27scan_by_key_config_selectorIijEEZZNS1_16scan_by_key_implILNS1_25lookback_scan_determinismE0ELb1ES3_N6thrust23THRUST_200600_302600_NS6detail15normal_iteratorINS9_10device_ptrIiEEEENSB_INSC_IjEEEESG_jNS9_4plusIvEENS9_8equal_toIvEEjEE10hipError_tPvRmT2_T3_T4_T5_mT6_T7_P12ihipStream_tbENKUlT_T0_E_clISt17integral_constantIbLb1EES10_IbLb0EEEEDaSW_SX_EUlSW_E_NS1_11comp_targetILNS1_3genE4ELNS1_11target_archE910ELNS1_3gpuE8ELNS1_3repE0EEENS1_30default_config_static_selectorELNS0_4arch9wavefront6targetE1EEEvT1_
                                        ; -- End function
	.section	.AMDGPU.csdata,"",@progbits
; Kernel info:
; codeLenInByte = 0
; NumSgprs: 6
; NumVgprs: 0
; NumAgprs: 0
; TotalNumVgprs: 0
; ScratchSize: 0
; MemoryBound: 0
; FloatMode: 240
; IeeeMode: 1
; LDSByteSize: 0 bytes/workgroup (compile time only)
; SGPRBlocks: 0
; VGPRBlocks: 0
; NumSGPRsForWavesPerEU: 6
; NumVGPRsForWavesPerEU: 1
; AccumOffset: 4
; Occupancy: 8
; WaveLimiterHint : 0
; COMPUTE_PGM_RSRC2:SCRATCH_EN: 0
; COMPUTE_PGM_RSRC2:USER_SGPR: 2
; COMPUTE_PGM_RSRC2:TRAP_HANDLER: 0
; COMPUTE_PGM_RSRC2:TGID_X_EN: 1
; COMPUTE_PGM_RSRC2:TGID_Y_EN: 0
; COMPUTE_PGM_RSRC2:TGID_Z_EN: 0
; COMPUTE_PGM_RSRC2:TIDIG_COMP_CNT: 0
; COMPUTE_PGM_RSRC3_GFX90A:ACCUM_OFFSET: 0
; COMPUTE_PGM_RSRC3_GFX90A:TG_SPLIT: 0
	.section	.text._ZN7rocprim17ROCPRIM_400000_NS6detail17trampoline_kernelINS0_14default_configENS1_27scan_by_key_config_selectorIijEEZZNS1_16scan_by_key_implILNS1_25lookback_scan_determinismE0ELb1ES3_N6thrust23THRUST_200600_302600_NS6detail15normal_iteratorINS9_10device_ptrIiEEEENSB_INSC_IjEEEESG_jNS9_4plusIvEENS9_8equal_toIvEEjEE10hipError_tPvRmT2_T3_T4_T5_mT6_T7_P12ihipStream_tbENKUlT_T0_E_clISt17integral_constantIbLb1EES10_IbLb0EEEEDaSW_SX_EUlSW_E_NS1_11comp_targetILNS1_3genE3ELNS1_11target_archE908ELNS1_3gpuE7ELNS1_3repE0EEENS1_30default_config_static_selectorELNS0_4arch9wavefront6targetE1EEEvT1_,"axG",@progbits,_ZN7rocprim17ROCPRIM_400000_NS6detail17trampoline_kernelINS0_14default_configENS1_27scan_by_key_config_selectorIijEEZZNS1_16scan_by_key_implILNS1_25lookback_scan_determinismE0ELb1ES3_N6thrust23THRUST_200600_302600_NS6detail15normal_iteratorINS9_10device_ptrIiEEEENSB_INSC_IjEEEESG_jNS9_4plusIvEENS9_8equal_toIvEEjEE10hipError_tPvRmT2_T3_T4_T5_mT6_T7_P12ihipStream_tbENKUlT_T0_E_clISt17integral_constantIbLb1EES10_IbLb0EEEEDaSW_SX_EUlSW_E_NS1_11comp_targetILNS1_3genE3ELNS1_11target_archE908ELNS1_3gpuE7ELNS1_3repE0EEENS1_30default_config_static_selectorELNS0_4arch9wavefront6targetE1EEEvT1_,comdat
	.protected	_ZN7rocprim17ROCPRIM_400000_NS6detail17trampoline_kernelINS0_14default_configENS1_27scan_by_key_config_selectorIijEEZZNS1_16scan_by_key_implILNS1_25lookback_scan_determinismE0ELb1ES3_N6thrust23THRUST_200600_302600_NS6detail15normal_iteratorINS9_10device_ptrIiEEEENSB_INSC_IjEEEESG_jNS9_4plusIvEENS9_8equal_toIvEEjEE10hipError_tPvRmT2_T3_T4_T5_mT6_T7_P12ihipStream_tbENKUlT_T0_E_clISt17integral_constantIbLb1EES10_IbLb0EEEEDaSW_SX_EUlSW_E_NS1_11comp_targetILNS1_3genE3ELNS1_11target_archE908ELNS1_3gpuE7ELNS1_3repE0EEENS1_30default_config_static_selectorELNS0_4arch9wavefront6targetE1EEEvT1_ ; -- Begin function _ZN7rocprim17ROCPRIM_400000_NS6detail17trampoline_kernelINS0_14default_configENS1_27scan_by_key_config_selectorIijEEZZNS1_16scan_by_key_implILNS1_25lookback_scan_determinismE0ELb1ES3_N6thrust23THRUST_200600_302600_NS6detail15normal_iteratorINS9_10device_ptrIiEEEENSB_INSC_IjEEEESG_jNS9_4plusIvEENS9_8equal_toIvEEjEE10hipError_tPvRmT2_T3_T4_T5_mT6_T7_P12ihipStream_tbENKUlT_T0_E_clISt17integral_constantIbLb1EES10_IbLb0EEEEDaSW_SX_EUlSW_E_NS1_11comp_targetILNS1_3genE3ELNS1_11target_archE908ELNS1_3gpuE7ELNS1_3repE0EEENS1_30default_config_static_selectorELNS0_4arch9wavefront6targetE1EEEvT1_
	.globl	_ZN7rocprim17ROCPRIM_400000_NS6detail17trampoline_kernelINS0_14default_configENS1_27scan_by_key_config_selectorIijEEZZNS1_16scan_by_key_implILNS1_25lookback_scan_determinismE0ELb1ES3_N6thrust23THRUST_200600_302600_NS6detail15normal_iteratorINS9_10device_ptrIiEEEENSB_INSC_IjEEEESG_jNS9_4plusIvEENS9_8equal_toIvEEjEE10hipError_tPvRmT2_T3_T4_T5_mT6_T7_P12ihipStream_tbENKUlT_T0_E_clISt17integral_constantIbLb1EES10_IbLb0EEEEDaSW_SX_EUlSW_E_NS1_11comp_targetILNS1_3genE3ELNS1_11target_archE908ELNS1_3gpuE7ELNS1_3repE0EEENS1_30default_config_static_selectorELNS0_4arch9wavefront6targetE1EEEvT1_
	.p2align	8
	.type	_ZN7rocprim17ROCPRIM_400000_NS6detail17trampoline_kernelINS0_14default_configENS1_27scan_by_key_config_selectorIijEEZZNS1_16scan_by_key_implILNS1_25lookback_scan_determinismE0ELb1ES3_N6thrust23THRUST_200600_302600_NS6detail15normal_iteratorINS9_10device_ptrIiEEEENSB_INSC_IjEEEESG_jNS9_4plusIvEENS9_8equal_toIvEEjEE10hipError_tPvRmT2_T3_T4_T5_mT6_T7_P12ihipStream_tbENKUlT_T0_E_clISt17integral_constantIbLb1EES10_IbLb0EEEEDaSW_SX_EUlSW_E_NS1_11comp_targetILNS1_3genE3ELNS1_11target_archE908ELNS1_3gpuE7ELNS1_3repE0EEENS1_30default_config_static_selectorELNS0_4arch9wavefront6targetE1EEEvT1_,@function
_ZN7rocprim17ROCPRIM_400000_NS6detail17trampoline_kernelINS0_14default_configENS1_27scan_by_key_config_selectorIijEEZZNS1_16scan_by_key_implILNS1_25lookback_scan_determinismE0ELb1ES3_N6thrust23THRUST_200600_302600_NS6detail15normal_iteratorINS9_10device_ptrIiEEEENSB_INSC_IjEEEESG_jNS9_4plusIvEENS9_8equal_toIvEEjEE10hipError_tPvRmT2_T3_T4_T5_mT6_T7_P12ihipStream_tbENKUlT_T0_E_clISt17integral_constantIbLb1EES10_IbLb0EEEEDaSW_SX_EUlSW_E_NS1_11comp_targetILNS1_3genE3ELNS1_11target_archE908ELNS1_3gpuE7ELNS1_3repE0EEENS1_30default_config_static_selectorELNS0_4arch9wavefront6targetE1EEEvT1_: ; @_ZN7rocprim17ROCPRIM_400000_NS6detail17trampoline_kernelINS0_14default_configENS1_27scan_by_key_config_selectorIijEEZZNS1_16scan_by_key_implILNS1_25lookback_scan_determinismE0ELb1ES3_N6thrust23THRUST_200600_302600_NS6detail15normal_iteratorINS9_10device_ptrIiEEEENSB_INSC_IjEEEESG_jNS9_4plusIvEENS9_8equal_toIvEEjEE10hipError_tPvRmT2_T3_T4_T5_mT6_T7_P12ihipStream_tbENKUlT_T0_E_clISt17integral_constantIbLb1EES10_IbLb0EEEEDaSW_SX_EUlSW_E_NS1_11comp_targetILNS1_3genE3ELNS1_11target_archE908ELNS1_3gpuE7ELNS1_3repE0EEENS1_30default_config_static_selectorELNS0_4arch9wavefront6targetE1EEEvT1_
; %bb.0:
	.section	.rodata,"a",@progbits
	.p2align	6, 0x0
	.amdhsa_kernel _ZN7rocprim17ROCPRIM_400000_NS6detail17trampoline_kernelINS0_14default_configENS1_27scan_by_key_config_selectorIijEEZZNS1_16scan_by_key_implILNS1_25lookback_scan_determinismE0ELb1ES3_N6thrust23THRUST_200600_302600_NS6detail15normal_iteratorINS9_10device_ptrIiEEEENSB_INSC_IjEEEESG_jNS9_4plusIvEENS9_8equal_toIvEEjEE10hipError_tPvRmT2_T3_T4_T5_mT6_T7_P12ihipStream_tbENKUlT_T0_E_clISt17integral_constantIbLb1EES10_IbLb0EEEEDaSW_SX_EUlSW_E_NS1_11comp_targetILNS1_3genE3ELNS1_11target_archE908ELNS1_3gpuE7ELNS1_3repE0EEENS1_30default_config_static_selectorELNS0_4arch9wavefront6targetE1EEEvT1_
		.amdhsa_group_segment_fixed_size 0
		.amdhsa_private_segment_fixed_size 0
		.amdhsa_kernarg_size 112
		.amdhsa_user_sgpr_count 2
		.amdhsa_user_sgpr_dispatch_ptr 0
		.amdhsa_user_sgpr_queue_ptr 0
		.amdhsa_user_sgpr_kernarg_segment_ptr 1
		.amdhsa_user_sgpr_dispatch_id 0
		.amdhsa_user_sgpr_kernarg_preload_length 0
		.amdhsa_user_sgpr_kernarg_preload_offset 0
		.amdhsa_user_sgpr_private_segment_size 0
		.amdhsa_uses_dynamic_stack 0
		.amdhsa_enable_private_segment 0
		.amdhsa_system_sgpr_workgroup_id_x 1
		.amdhsa_system_sgpr_workgroup_id_y 0
		.amdhsa_system_sgpr_workgroup_id_z 0
		.amdhsa_system_sgpr_workgroup_info 0
		.amdhsa_system_vgpr_workitem_id 0
		.amdhsa_next_free_vgpr 1
		.amdhsa_next_free_sgpr 0
		.amdhsa_accum_offset 4
		.amdhsa_reserve_vcc 0
		.amdhsa_float_round_mode_32 0
		.amdhsa_float_round_mode_16_64 0
		.amdhsa_float_denorm_mode_32 3
		.amdhsa_float_denorm_mode_16_64 3
		.amdhsa_dx10_clamp 1
		.amdhsa_ieee_mode 1
		.amdhsa_fp16_overflow 0
		.amdhsa_tg_split 0
		.amdhsa_exception_fp_ieee_invalid_op 0
		.amdhsa_exception_fp_denorm_src 0
		.amdhsa_exception_fp_ieee_div_zero 0
		.amdhsa_exception_fp_ieee_overflow 0
		.amdhsa_exception_fp_ieee_underflow 0
		.amdhsa_exception_fp_ieee_inexact 0
		.amdhsa_exception_int_div_zero 0
	.end_amdhsa_kernel
	.section	.text._ZN7rocprim17ROCPRIM_400000_NS6detail17trampoline_kernelINS0_14default_configENS1_27scan_by_key_config_selectorIijEEZZNS1_16scan_by_key_implILNS1_25lookback_scan_determinismE0ELb1ES3_N6thrust23THRUST_200600_302600_NS6detail15normal_iteratorINS9_10device_ptrIiEEEENSB_INSC_IjEEEESG_jNS9_4plusIvEENS9_8equal_toIvEEjEE10hipError_tPvRmT2_T3_T4_T5_mT6_T7_P12ihipStream_tbENKUlT_T0_E_clISt17integral_constantIbLb1EES10_IbLb0EEEEDaSW_SX_EUlSW_E_NS1_11comp_targetILNS1_3genE3ELNS1_11target_archE908ELNS1_3gpuE7ELNS1_3repE0EEENS1_30default_config_static_selectorELNS0_4arch9wavefront6targetE1EEEvT1_,"axG",@progbits,_ZN7rocprim17ROCPRIM_400000_NS6detail17trampoline_kernelINS0_14default_configENS1_27scan_by_key_config_selectorIijEEZZNS1_16scan_by_key_implILNS1_25lookback_scan_determinismE0ELb1ES3_N6thrust23THRUST_200600_302600_NS6detail15normal_iteratorINS9_10device_ptrIiEEEENSB_INSC_IjEEEESG_jNS9_4plusIvEENS9_8equal_toIvEEjEE10hipError_tPvRmT2_T3_T4_T5_mT6_T7_P12ihipStream_tbENKUlT_T0_E_clISt17integral_constantIbLb1EES10_IbLb0EEEEDaSW_SX_EUlSW_E_NS1_11comp_targetILNS1_3genE3ELNS1_11target_archE908ELNS1_3gpuE7ELNS1_3repE0EEENS1_30default_config_static_selectorELNS0_4arch9wavefront6targetE1EEEvT1_,comdat
.Lfunc_end1521:
	.size	_ZN7rocprim17ROCPRIM_400000_NS6detail17trampoline_kernelINS0_14default_configENS1_27scan_by_key_config_selectorIijEEZZNS1_16scan_by_key_implILNS1_25lookback_scan_determinismE0ELb1ES3_N6thrust23THRUST_200600_302600_NS6detail15normal_iteratorINS9_10device_ptrIiEEEENSB_INSC_IjEEEESG_jNS9_4plusIvEENS9_8equal_toIvEEjEE10hipError_tPvRmT2_T3_T4_T5_mT6_T7_P12ihipStream_tbENKUlT_T0_E_clISt17integral_constantIbLb1EES10_IbLb0EEEEDaSW_SX_EUlSW_E_NS1_11comp_targetILNS1_3genE3ELNS1_11target_archE908ELNS1_3gpuE7ELNS1_3repE0EEENS1_30default_config_static_selectorELNS0_4arch9wavefront6targetE1EEEvT1_, .Lfunc_end1521-_ZN7rocprim17ROCPRIM_400000_NS6detail17trampoline_kernelINS0_14default_configENS1_27scan_by_key_config_selectorIijEEZZNS1_16scan_by_key_implILNS1_25lookback_scan_determinismE0ELb1ES3_N6thrust23THRUST_200600_302600_NS6detail15normal_iteratorINS9_10device_ptrIiEEEENSB_INSC_IjEEEESG_jNS9_4plusIvEENS9_8equal_toIvEEjEE10hipError_tPvRmT2_T3_T4_T5_mT6_T7_P12ihipStream_tbENKUlT_T0_E_clISt17integral_constantIbLb1EES10_IbLb0EEEEDaSW_SX_EUlSW_E_NS1_11comp_targetILNS1_3genE3ELNS1_11target_archE908ELNS1_3gpuE7ELNS1_3repE0EEENS1_30default_config_static_selectorELNS0_4arch9wavefront6targetE1EEEvT1_
                                        ; -- End function
	.section	.AMDGPU.csdata,"",@progbits
; Kernel info:
; codeLenInByte = 0
; NumSgprs: 6
; NumVgprs: 0
; NumAgprs: 0
; TotalNumVgprs: 0
; ScratchSize: 0
; MemoryBound: 0
; FloatMode: 240
; IeeeMode: 1
; LDSByteSize: 0 bytes/workgroup (compile time only)
; SGPRBlocks: 0
; VGPRBlocks: 0
; NumSGPRsForWavesPerEU: 6
; NumVGPRsForWavesPerEU: 1
; AccumOffset: 4
; Occupancy: 8
; WaveLimiterHint : 0
; COMPUTE_PGM_RSRC2:SCRATCH_EN: 0
; COMPUTE_PGM_RSRC2:USER_SGPR: 2
; COMPUTE_PGM_RSRC2:TRAP_HANDLER: 0
; COMPUTE_PGM_RSRC2:TGID_X_EN: 1
; COMPUTE_PGM_RSRC2:TGID_Y_EN: 0
; COMPUTE_PGM_RSRC2:TGID_Z_EN: 0
; COMPUTE_PGM_RSRC2:TIDIG_COMP_CNT: 0
; COMPUTE_PGM_RSRC3_GFX90A:ACCUM_OFFSET: 0
; COMPUTE_PGM_RSRC3_GFX90A:TG_SPLIT: 0
	.section	.text._ZN7rocprim17ROCPRIM_400000_NS6detail17trampoline_kernelINS0_14default_configENS1_27scan_by_key_config_selectorIijEEZZNS1_16scan_by_key_implILNS1_25lookback_scan_determinismE0ELb1ES3_N6thrust23THRUST_200600_302600_NS6detail15normal_iteratorINS9_10device_ptrIiEEEENSB_INSC_IjEEEESG_jNS9_4plusIvEENS9_8equal_toIvEEjEE10hipError_tPvRmT2_T3_T4_T5_mT6_T7_P12ihipStream_tbENKUlT_T0_E_clISt17integral_constantIbLb1EES10_IbLb0EEEEDaSW_SX_EUlSW_E_NS1_11comp_targetILNS1_3genE2ELNS1_11target_archE906ELNS1_3gpuE6ELNS1_3repE0EEENS1_30default_config_static_selectorELNS0_4arch9wavefront6targetE1EEEvT1_,"axG",@progbits,_ZN7rocprim17ROCPRIM_400000_NS6detail17trampoline_kernelINS0_14default_configENS1_27scan_by_key_config_selectorIijEEZZNS1_16scan_by_key_implILNS1_25lookback_scan_determinismE0ELb1ES3_N6thrust23THRUST_200600_302600_NS6detail15normal_iteratorINS9_10device_ptrIiEEEENSB_INSC_IjEEEESG_jNS9_4plusIvEENS9_8equal_toIvEEjEE10hipError_tPvRmT2_T3_T4_T5_mT6_T7_P12ihipStream_tbENKUlT_T0_E_clISt17integral_constantIbLb1EES10_IbLb0EEEEDaSW_SX_EUlSW_E_NS1_11comp_targetILNS1_3genE2ELNS1_11target_archE906ELNS1_3gpuE6ELNS1_3repE0EEENS1_30default_config_static_selectorELNS0_4arch9wavefront6targetE1EEEvT1_,comdat
	.protected	_ZN7rocprim17ROCPRIM_400000_NS6detail17trampoline_kernelINS0_14default_configENS1_27scan_by_key_config_selectorIijEEZZNS1_16scan_by_key_implILNS1_25lookback_scan_determinismE0ELb1ES3_N6thrust23THRUST_200600_302600_NS6detail15normal_iteratorINS9_10device_ptrIiEEEENSB_INSC_IjEEEESG_jNS9_4plusIvEENS9_8equal_toIvEEjEE10hipError_tPvRmT2_T3_T4_T5_mT6_T7_P12ihipStream_tbENKUlT_T0_E_clISt17integral_constantIbLb1EES10_IbLb0EEEEDaSW_SX_EUlSW_E_NS1_11comp_targetILNS1_3genE2ELNS1_11target_archE906ELNS1_3gpuE6ELNS1_3repE0EEENS1_30default_config_static_selectorELNS0_4arch9wavefront6targetE1EEEvT1_ ; -- Begin function _ZN7rocprim17ROCPRIM_400000_NS6detail17trampoline_kernelINS0_14default_configENS1_27scan_by_key_config_selectorIijEEZZNS1_16scan_by_key_implILNS1_25lookback_scan_determinismE0ELb1ES3_N6thrust23THRUST_200600_302600_NS6detail15normal_iteratorINS9_10device_ptrIiEEEENSB_INSC_IjEEEESG_jNS9_4plusIvEENS9_8equal_toIvEEjEE10hipError_tPvRmT2_T3_T4_T5_mT6_T7_P12ihipStream_tbENKUlT_T0_E_clISt17integral_constantIbLb1EES10_IbLb0EEEEDaSW_SX_EUlSW_E_NS1_11comp_targetILNS1_3genE2ELNS1_11target_archE906ELNS1_3gpuE6ELNS1_3repE0EEENS1_30default_config_static_selectorELNS0_4arch9wavefront6targetE1EEEvT1_
	.globl	_ZN7rocprim17ROCPRIM_400000_NS6detail17trampoline_kernelINS0_14default_configENS1_27scan_by_key_config_selectorIijEEZZNS1_16scan_by_key_implILNS1_25lookback_scan_determinismE0ELb1ES3_N6thrust23THRUST_200600_302600_NS6detail15normal_iteratorINS9_10device_ptrIiEEEENSB_INSC_IjEEEESG_jNS9_4plusIvEENS9_8equal_toIvEEjEE10hipError_tPvRmT2_T3_T4_T5_mT6_T7_P12ihipStream_tbENKUlT_T0_E_clISt17integral_constantIbLb1EES10_IbLb0EEEEDaSW_SX_EUlSW_E_NS1_11comp_targetILNS1_3genE2ELNS1_11target_archE906ELNS1_3gpuE6ELNS1_3repE0EEENS1_30default_config_static_selectorELNS0_4arch9wavefront6targetE1EEEvT1_
	.p2align	8
	.type	_ZN7rocprim17ROCPRIM_400000_NS6detail17trampoline_kernelINS0_14default_configENS1_27scan_by_key_config_selectorIijEEZZNS1_16scan_by_key_implILNS1_25lookback_scan_determinismE0ELb1ES3_N6thrust23THRUST_200600_302600_NS6detail15normal_iteratorINS9_10device_ptrIiEEEENSB_INSC_IjEEEESG_jNS9_4plusIvEENS9_8equal_toIvEEjEE10hipError_tPvRmT2_T3_T4_T5_mT6_T7_P12ihipStream_tbENKUlT_T0_E_clISt17integral_constantIbLb1EES10_IbLb0EEEEDaSW_SX_EUlSW_E_NS1_11comp_targetILNS1_3genE2ELNS1_11target_archE906ELNS1_3gpuE6ELNS1_3repE0EEENS1_30default_config_static_selectorELNS0_4arch9wavefront6targetE1EEEvT1_,@function
_ZN7rocprim17ROCPRIM_400000_NS6detail17trampoline_kernelINS0_14default_configENS1_27scan_by_key_config_selectorIijEEZZNS1_16scan_by_key_implILNS1_25lookback_scan_determinismE0ELb1ES3_N6thrust23THRUST_200600_302600_NS6detail15normal_iteratorINS9_10device_ptrIiEEEENSB_INSC_IjEEEESG_jNS9_4plusIvEENS9_8equal_toIvEEjEE10hipError_tPvRmT2_T3_T4_T5_mT6_T7_P12ihipStream_tbENKUlT_T0_E_clISt17integral_constantIbLb1EES10_IbLb0EEEEDaSW_SX_EUlSW_E_NS1_11comp_targetILNS1_3genE2ELNS1_11target_archE906ELNS1_3gpuE6ELNS1_3repE0EEENS1_30default_config_static_selectorELNS0_4arch9wavefront6targetE1EEEvT1_: ; @_ZN7rocprim17ROCPRIM_400000_NS6detail17trampoline_kernelINS0_14default_configENS1_27scan_by_key_config_selectorIijEEZZNS1_16scan_by_key_implILNS1_25lookback_scan_determinismE0ELb1ES3_N6thrust23THRUST_200600_302600_NS6detail15normal_iteratorINS9_10device_ptrIiEEEENSB_INSC_IjEEEESG_jNS9_4plusIvEENS9_8equal_toIvEEjEE10hipError_tPvRmT2_T3_T4_T5_mT6_T7_P12ihipStream_tbENKUlT_T0_E_clISt17integral_constantIbLb1EES10_IbLb0EEEEDaSW_SX_EUlSW_E_NS1_11comp_targetILNS1_3genE2ELNS1_11target_archE906ELNS1_3gpuE6ELNS1_3repE0EEENS1_30default_config_static_selectorELNS0_4arch9wavefront6targetE1EEEvT1_
; %bb.0:
	.section	.rodata,"a",@progbits
	.p2align	6, 0x0
	.amdhsa_kernel _ZN7rocprim17ROCPRIM_400000_NS6detail17trampoline_kernelINS0_14default_configENS1_27scan_by_key_config_selectorIijEEZZNS1_16scan_by_key_implILNS1_25lookback_scan_determinismE0ELb1ES3_N6thrust23THRUST_200600_302600_NS6detail15normal_iteratorINS9_10device_ptrIiEEEENSB_INSC_IjEEEESG_jNS9_4plusIvEENS9_8equal_toIvEEjEE10hipError_tPvRmT2_T3_T4_T5_mT6_T7_P12ihipStream_tbENKUlT_T0_E_clISt17integral_constantIbLb1EES10_IbLb0EEEEDaSW_SX_EUlSW_E_NS1_11comp_targetILNS1_3genE2ELNS1_11target_archE906ELNS1_3gpuE6ELNS1_3repE0EEENS1_30default_config_static_selectorELNS0_4arch9wavefront6targetE1EEEvT1_
		.amdhsa_group_segment_fixed_size 0
		.amdhsa_private_segment_fixed_size 0
		.amdhsa_kernarg_size 112
		.amdhsa_user_sgpr_count 2
		.amdhsa_user_sgpr_dispatch_ptr 0
		.amdhsa_user_sgpr_queue_ptr 0
		.amdhsa_user_sgpr_kernarg_segment_ptr 1
		.amdhsa_user_sgpr_dispatch_id 0
		.amdhsa_user_sgpr_kernarg_preload_length 0
		.amdhsa_user_sgpr_kernarg_preload_offset 0
		.amdhsa_user_sgpr_private_segment_size 0
		.amdhsa_uses_dynamic_stack 0
		.amdhsa_enable_private_segment 0
		.amdhsa_system_sgpr_workgroup_id_x 1
		.amdhsa_system_sgpr_workgroup_id_y 0
		.amdhsa_system_sgpr_workgroup_id_z 0
		.amdhsa_system_sgpr_workgroup_info 0
		.amdhsa_system_vgpr_workitem_id 0
		.amdhsa_next_free_vgpr 1
		.amdhsa_next_free_sgpr 0
		.amdhsa_accum_offset 4
		.amdhsa_reserve_vcc 0
		.amdhsa_float_round_mode_32 0
		.amdhsa_float_round_mode_16_64 0
		.amdhsa_float_denorm_mode_32 3
		.amdhsa_float_denorm_mode_16_64 3
		.amdhsa_dx10_clamp 1
		.amdhsa_ieee_mode 1
		.amdhsa_fp16_overflow 0
		.amdhsa_tg_split 0
		.amdhsa_exception_fp_ieee_invalid_op 0
		.amdhsa_exception_fp_denorm_src 0
		.amdhsa_exception_fp_ieee_div_zero 0
		.amdhsa_exception_fp_ieee_overflow 0
		.amdhsa_exception_fp_ieee_underflow 0
		.amdhsa_exception_fp_ieee_inexact 0
		.amdhsa_exception_int_div_zero 0
	.end_amdhsa_kernel
	.section	.text._ZN7rocprim17ROCPRIM_400000_NS6detail17trampoline_kernelINS0_14default_configENS1_27scan_by_key_config_selectorIijEEZZNS1_16scan_by_key_implILNS1_25lookback_scan_determinismE0ELb1ES3_N6thrust23THRUST_200600_302600_NS6detail15normal_iteratorINS9_10device_ptrIiEEEENSB_INSC_IjEEEESG_jNS9_4plusIvEENS9_8equal_toIvEEjEE10hipError_tPvRmT2_T3_T4_T5_mT6_T7_P12ihipStream_tbENKUlT_T0_E_clISt17integral_constantIbLb1EES10_IbLb0EEEEDaSW_SX_EUlSW_E_NS1_11comp_targetILNS1_3genE2ELNS1_11target_archE906ELNS1_3gpuE6ELNS1_3repE0EEENS1_30default_config_static_selectorELNS0_4arch9wavefront6targetE1EEEvT1_,"axG",@progbits,_ZN7rocprim17ROCPRIM_400000_NS6detail17trampoline_kernelINS0_14default_configENS1_27scan_by_key_config_selectorIijEEZZNS1_16scan_by_key_implILNS1_25lookback_scan_determinismE0ELb1ES3_N6thrust23THRUST_200600_302600_NS6detail15normal_iteratorINS9_10device_ptrIiEEEENSB_INSC_IjEEEESG_jNS9_4plusIvEENS9_8equal_toIvEEjEE10hipError_tPvRmT2_T3_T4_T5_mT6_T7_P12ihipStream_tbENKUlT_T0_E_clISt17integral_constantIbLb1EES10_IbLb0EEEEDaSW_SX_EUlSW_E_NS1_11comp_targetILNS1_3genE2ELNS1_11target_archE906ELNS1_3gpuE6ELNS1_3repE0EEENS1_30default_config_static_selectorELNS0_4arch9wavefront6targetE1EEEvT1_,comdat
.Lfunc_end1522:
	.size	_ZN7rocprim17ROCPRIM_400000_NS6detail17trampoline_kernelINS0_14default_configENS1_27scan_by_key_config_selectorIijEEZZNS1_16scan_by_key_implILNS1_25lookback_scan_determinismE0ELb1ES3_N6thrust23THRUST_200600_302600_NS6detail15normal_iteratorINS9_10device_ptrIiEEEENSB_INSC_IjEEEESG_jNS9_4plusIvEENS9_8equal_toIvEEjEE10hipError_tPvRmT2_T3_T4_T5_mT6_T7_P12ihipStream_tbENKUlT_T0_E_clISt17integral_constantIbLb1EES10_IbLb0EEEEDaSW_SX_EUlSW_E_NS1_11comp_targetILNS1_3genE2ELNS1_11target_archE906ELNS1_3gpuE6ELNS1_3repE0EEENS1_30default_config_static_selectorELNS0_4arch9wavefront6targetE1EEEvT1_, .Lfunc_end1522-_ZN7rocprim17ROCPRIM_400000_NS6detail17trampoline_kernelINS0_14default_configENS1_27scan_by_key_config_selectorIijEEZZNS1_16scan_by_key_implILNS1_25lookback_scan_determinismE0ELb1ES3_N6thrust23THRUST_200600_302600_NS6detail15normal_iteratorINS9_10device_ptrIiEEEENSB_INSC_IjEEEESG_jNS9_4plusIvEENS9_8equal_toIvEEjEE10hipError_tPvRmT2_T3_T4_T5_mT6_T7_P12ihipStream_tbENKUlT_T0_E_clISt17integral_constantIbLb1EES10_IbLb0EEEEDaSW_SX_EUlSW_E_NS1_11comp_targetILNS1_3genE2ELNS1_11target_archE906ELNS1_3gpuE6ELNS1_3repE0EEENS1_30default_config_static_selectorELNS0_4arch9wavefront6targetE1EEEvT1_
                                        ; -- End function
	.section	.AMDGPU.csdata,"",@progbits
; Kernel info:
; codeLenInByte = 0
; NumSgprs: 6
; NumVgprs: 0
; NumAgprs: 0
; TotalNumVgprs: 0
; ScratchSize: 0
; MemoryBound: 0
; FloatMode: 240
; IeeeMode: 1
; LDSByteSize: 0 bytes/workgroup (compile time only)
; SGPRBlocks: 0
; VGPRBlocks: 0
; NumSGPRsForWavesPerEU: 6
; NumVGPRsForWavesPerEU: 1
; AccumOffset: 4
; Occupancy: 8
; WaveLimiterHint : 0
; COMPUTE_PGM_RSRC2:SCRATCH_EN: 0
; COMPUTE_PGM_RSRC2:USER_SGPR: 2
; COMPUTE_PGM_RSRC2:TRAP_HANDLER: 0
; COMPUTE_PGM_RSRC2:TGID_X_EN: 1
; COMPUTE_PGM_RSRC2:TGID_Y_EN: 0
; COMPUTE_PGM_RSRC2:TGID_Z_EN: 0
; COMPUTE_PGM_RSRC2:TIDIG_COMP_CNT: 0
; COMPUTE_PGM_RSRC3_GFX90A:ACCUM_OFFSET: 0
; COMPUTE_PGM_RSRC3_GFX90A:TG_SPLIT: 0
	.section	.text._ZN7rocprim17ROCPRIM_400000_NS6detail17trampoline_kernelINS0_14default_configENS1_27scan_by_key_config_selectorIijEEZZNS1_16scan_by_key_implILNS1_25lookback_scan_determinismE0ELb1ES3_N6thrust23THRUST_200600_302600_NS6detail15normal_iteratorINS9_10device_ptrIiEEEENSB_INSC_IjEEEESG_jNS9_4plusIvEENS9_8equal_toIvEEjEE10hipError_tPvRmT2_T3_T4_T5_mT6_T7_P12ihipStream_tbENKUlT_T0_E_clISt17integral_constantIbLb1EES10_IbLb0EEEEDaSW_SX_EUlSW_E_NS1_11comp_targetILNS1_3genE10ELNS1_11target_archE1200ELNS1_3gpuE4ELNS1_3repE0EEENS1_30default_config_static_selectorELNS0_4arch9wavefront6targetE1EEEvT1_,"axG",@progbits,_ZN7rocprim17ROCPRIM_400000_NS6detail17trampoline_kernelINS0_14default_configENS1_27scan_by_key_config_selectorIijEEZZNS1_16scan_by_key_implILNS1_25lookback_scan_determinismE0ELb1ES3_N6thrust23THRUST_200600_302600_NS6detail15normal_iteratorINS9_10device_ptrIiEEEENSB_INSC_IjEEEESG_jNS9_4plusIvEENS9_8equal_toIvEEjEE10hipError_tPvRmT2_T3_T4_T5_mT6_T7_P12ihipStream_tbENKUlT_T0_E_clISt17integral_constantIbLb1EES10_IbLb0EEEEDaSW_SX_EUlSW_E_NS1_11comp_targetILNS1_3genE10ELNS1_11target_archE1200ELNS1_3gpuE4ELNS1_3repE0EEENS1_30default_config_static_selectorELNS0_4arch9wavefront6targetE1EEEvT1_,comdat
	.protected	_ZN7rocprim17ROCPRIM_400000_NS6detail17trampoline_kernelINS0_14default_configENS1_27scan_by_key_config_selectorIijEEZZNS1_16scan_by_key_implILNS1_25lookback_scan_determinismE0ELb1ES3_N6thrust23THRUST_200600_302600_NS6detail15normal_iteratorINS9_10device_ptrIiEEEENSB_INSC_IjEEEESG_jNS9_4plusIvEENS9_8equal_toIvEEjEE10hipError_tPvRmT2_T3_T4_T5_mT6_T7_P12ihipStream_tbENKUlT_T0_E_clISt17integral_constantIbLb1EES10_IbLb0EEEEDaSW_SX_EUlSW_E_NS1_11comp_targetILNS1_3genE10ELNS1_11target_archE1200ELNS1_3gpuE4ELNS1_3repE0EEENS1_30default_config_static_selectorELNS0_4arch9wavefront6targetE1EEEvT1_ ; -- Begin function _ZN7rocprim17ROCPRIM_400000_NS6detail17trampoline_kernelINS0_14default_configENS1_27scan_by_key_config_selectorIijEEZZNS1_16scan_by_key_implILNS1_25lookback_scan_determinismE0ELb1ES3_N6thrust23THRUST_200600_302600_NS6detail15normal_iteratorINS9_10device_ptrIiEEEENSB_INSC_IjEEEESG_jNS9_4plusIvEENS9_8equal_toIvEEjEE10hipError_tPvRmT2_T3_T4_T5_mT6_T7_P12ihipStream_tbENKUlT_T0_E_clISt17integral_constantIbLb1EES10_IbLb0EEEEDaSW_SX_EUlSW_E_NS1_11comp_targetILNS1_3genE10ELNS1_11target_archE1200ELNS1_3gpuE4ELNS1_3repE0EEENS1_30default_config_static_selectorELNS0_4arch9wavefront6targetE1EEEvT1_
	.globl	_ZN7rocprim17ROCPRIM_400000_NS6detail17trampoline_kernelINS0_14default_configENS1_27scan_by_key_config_selectorIijEEZZNS1_16scan_by_key_implILNS1_25lookback_scan_determinismE0ELb1ES3_N6thrust23THRUST_200600_302600_NS6detail15normal_iteratorINS9_10device_ptrIiEEEENSB_INSC_IjEEEESG_jNS9_4plusIvEENS9_8equal_toIvEEjEE10hipError_tPvRmT2_T3_T4_T5_mT6_T7_P12ihipStream_tbENKUlT_T0_E_clISt17integral_constantIbLb1EES10_IbLb0EEEEDaSW_SX_EUlSW_E_NS1_11comp_targetILNS1_3genE10ELNS1_11target_archE1200ELNS1_3gpuE4ELNS1_3repE0EEENS1_30default_config_static_selectorELNS0_4arch9wavefront6targetE1EEEvT1_
	.p2align	8
	.type	_ZN7rocprim17ROCPRIM_400000_NS6detail17trampoline_kernelINS0_14default_configENS1_27scan_by_key_config_selectorIijEEZZNS1_16scan_by_key_implILNS1_25lookback_scan_determinismE0ELb1ES3_N6thrust23THRUST_200600_302600_NS6detail15normal_iteratorINS9_10device_ptrIiEEEENSB_INSC_IjEEEESG_jNS9_4plusIvEENS9_8equal_toIvEEjEE10hipError_tPvRmT2_T3_T4_T5_mT6_T7_P12ihipStream_tbENKUlT_T0_E_clISt17integral_constantIbLb1EES10_IbLb0EEEEDaSW_SX_EUlSW_E_NS1_11comp_targetILNS1_3genE10ELNS1_11target_archE1200ELNS1_3gpuE4ELNS1_3repE0EEENS1_30default_config_static_selectorELNS0_4arch9wavefront6targetE1EEEvT1_,@function
_ZN7rocprim17ROCPRIM_400000_NS6detail17trampoline_kernelINS0_14default_configENS1_27scan_by_key_config_selectorIijEEZZNS1_16scan_by_key_implILNS1_25lookback_scan_determinismE0ELb1ES3_N6thrust23THRUST_200600_302600_NS6detail15normal_iteratorINS9_10device_ptrIiEEEENSB_INSC_IjEEEESG_jNS9_4plusIvEENS9_8equal_toIvEEjEE10hipError_tPvRmT2_T3_T4_T5_mT6_T7_P12ihipStream_tbENKUlT_T0_E_clISt17integral_constantIbLb1EES10_IbLb0EEEEDaSW_SX_EUlSW_E_NS1_11comp_targetILNS1_3genE10ELNS1_11target_archE1200ELNS1_3gpuE4ELNS1_3repE0EEENS1_30default_config_static_selectorELNS0_4arch9wavefront6targetE1EEEvT1_: ; @_ZN7rocprim17ROCPRIM_400000_NS6detail17trampoline_kernelINS0_14default_configENS1_27scan_by_key_config_selectorIijEEZZNS1_16scan_by_key_implILNS1_25lookback_scan_determinismE0ELb1ES3_N6thrust23THRUST_200600_302600_NS6detail15normal_iteratorINS9_10device_ptrIiEEEENSB_INSC_IjEEEESG_jNS9_4plusIvEENS9_8equal_toIvEEjEE10hipError_tPvRmT2_T3_T4_T5_mT6_T7_P12ihipStream_tbENKUlT_T0_E_clISt17integral_constantIbLb1EES10_IbLb0EEEEDaSW_SX_EUlSW_E_NS1_11comp_targetILNS1_3genE10ELNS1_11target_archE1200ELNS1_3gpuE4ELNS1_3repE0EEENS1_30default_config_static_selectorELNS0_4arch9wavefront6targetE1EEEvT1_
; %bb.0:
	.section	.rodata,"a",@progbits
	.p2align	6, 0x0
	.amdhsa_kernel _ZN7rocprim17ROCPRIM_400000_NS6detail17trampoline_kernelINS0_14default_configENS1_27scan_by_key_config_selectorIijEEZZNS1_16scan_by_key_implILNS1_25lookback_scan_determinismE0ELb1ES3_N6thrust23THRUST_200600_302600_NS6detail15normal_iteratorINS9_10device_ptrIiEEEENSB_INSC_IjEEEESG_jNS9_4plusIvEENS9_8equal_toIvEEjEE10hipError_tPvRmT2_T3_T4_T5_mT6_T7_P12ihipStream_tbENKUlT_T0_E_clISt17integral_constantIbLb1EES10_IbLb0EEEEDaSW_SX_EUlSW_E_NS1_11comp_targetILNS1_3genE10ELNS1_11target_archE1200ELNS1_3gpuE4ELNS1_3repE0EEENS1_30default_config_static_selectorELNS0_4arch9wavefront6targetE1EEEvT1_
		.amdhsa_group_segment_fixed_size 0
		.amdhsa_private_segment_fixed_size 0
		.amdhsa_kernarg_size 112
		.amdhsa_user_sgpr_count 2
		.amdhsa_user_sgpr_dispatch_ptr 0
		.amdhsa_user_sgpr_queue_ptr 0
		.amdhsa_user_sgpr_kernarg_segment_ptr 1
		.amdhsa_user_sgpr_dispatch_id 0
		.amdhsa_user_sgpr_kernarg_preload_length 0
		.amdhsa_user_sgpr_kernarg_preload_offset 0
		.amdhsa_user_sgpr_private_segment_size 0
		.amdhsa_uses_dynamic_stack 0
		.amdhsa_enable_private_segment 0
		.amdhsa_system_sgpr_workgroup_id_x 1
		.amdhsa_system_sgpr_workgroup_id_y 0
		.amdhsa_system_sgpr_workgroup_id_z 0
		.amdhsa_system_sgpr_workgroup_info 0
		.amdhsa_system_vgpr_workitem_id 0
		.amdhsa_next_free_vgpr 1
		.amdhsa_next_free_sgpr 0
		.amdhsa_accum_offset 4
		.amdhsa_reserve_vcc 0
		.amdhsa_float_round_mode_32 0
		.amdhsa_float_round_mode_16_64 0
		.amdhsa_float_denorm_mode_32 3
		.amdhsa_float_denorm_mode_16_64 3
		.amdhsa_dx10_clamp 1
		.amdhsa_ieee_mode 1
		.amdhsa_fp16_overflow 0
		.amdhsa_tg_split 0
		.amdhsa_exception_fp_ieee_invalid_op 0
		.amdhsa_exception_fp_denorm_src 0
		.amdhsa_exception_fp_ieee_div_zero 0
		.amdhsa_exception_fp_ieee_overflow 0
		.amdhsa_exception_fp_ieee_underflow 0
		.amdhsa_exception_fp_ieee_inexact 0
		.amdhsa_exception_int_div_zero 0
	.end_amdhsa_kernel
	.section	.text._ZN7rocprim17ROCPRIM_400000_NS6detail17trampoline_kernelINS0_14default_configENS1_27scan_by_key_config_selectorIijEEZZNS1_16scan_by_key_implILNS1_25lookback_scan_determinismE0ELb1ES3_N6thrust23THRUST_200600_302600_NS6detail15normal_iteratorINS9_10device_ptrIiEEEENSB_INSC_IjEEEESG_jNS9_4plusIvEENS9_8equal_toIvEEjEE10hipError_tPvRmT2_T3_T4_T5_mT6_T7_P12ihipStream_tbENKUlT_T0_E_clISt17integral_constantIbLb1EES10_IbLb0EEEEDaSW_SX_EUlSW_E_NS1_11comp_targetILNS1_3genE10ELNS1_11target_archE1200ELNS1_3gpuE4ELNS1_3repE0EEENS1_30default_config_static_selectorELNS0_4arch9wavefront6targetE1EEEvT1_,"axG",@progbits,_ZN7rocprim17ROCPRIM_400000_NS6detail17trampoline_kernelINS0_14default_configENS1_27scan_by_key_config_selectorIijEEZZNS1_16scan_by_key_implILNS1_25lookback_scan_determinismE0ELb1ES3_N6thrust23THRUST_200600_302600_NS6detail15normal_iteratorINS9_10device_ptrIiEEEENSB_INSC_IjEEEESG_jNS9_4plusIvEENS9_8equal_toIvEEjEE10hipError_tPvRmT2_T3_T4_T5_mT6_T7_P12ihipStream_tbENKUlT_T0_E_clISt17integral_constantIbLb1EES10_IbLb0EEEEDaSW_SX_EUlSW_E_NS1_11comp_targetILNS1_3genE10ELNS1_11target_archE1200ELNS1_3gpuE4ELNS1_3repE0EEENS1_30default_config_static_selectorELNS0_4arch9wavefront6targetE1EEEvT1_,comdat
.Lfunc_end1523:
	.size	_ZN7rocprim17ROCPRIM_400000_NS6detail17trampoline_kernelINS0_14default_configENS1_27scan_by_key_config_selectorIijEEZZNS1_16scan_by_key_implILNS1_25lookback_scan_determinismE0ELb1ES3_N6thrust23THRUST_200600_302600_NS6detail15normal_iteratorINS9_10device_ptrIiEEEENSB_INSC_IjEEEESG_jNS9_4plusIvEENS9_8equal_toIvEEjEE10hipError_tPvRmT2_T3_T4_T5_mT6_T7_P12ihipStream_tbENKUlT_T0_E_clISt17integral_constantIbLb1EES10_IbLb0EEEEDaSW_SX_EUlSW_E_NS1_11comp_targetILNS1_3genE10ELNS1_11target_archE1200ELNS1_3gpuE4ELNS1_3repE0EEENS1_30default_config_static_selectorELNS0_4arch9wavefront6targetE1EEEvT1_, .Lfunc_end1523-_ZN7rocprim17ROCPRIM_400000_NS6detail17trampoline_kernelINS0_14default_configENS1_27scan_by_key_config_selectorIijEEZZNS1_16scan_by_key_implILNS1_25lookback_scan_determinismE0ELb1ES3_N6thrust23THRUST_200600_302600_NS6detail15normal_iteratorINS9_10device_ptrIiEEEENSB_INSC_IjEEEESG_jNS9_4plusIvEENS9_8equal_toIvEEjEE10hipError_tPvRmT2_T3_T4_T5_mT6_T7_P12ihipStream_tbENKUlT_T0_E_clISt17integral_constantIbLb1EES10_IbLb0EEEEDaSW_SX_EUlSW_E_NS1_11comp_targetILNS1_3genE10ELNS1_11target_archE1200ELNS1_3gpuE4ELNS1_3repE0EEENS1_30default_config_static_selectorELNS0_4arch9wavefront6targetE1EEEvT1_
                                        ; -- End function
	.section	.AMDGPU.csdata,"",@progbits
; Kernel info:
; codeLenInByte = 0
; NumSgprs: 6
; NumVgprs: 0
; NumAgprs: 0
; TotalNumVgprs: 0
; ScratchSize: 0
; MemoryBound: 0
; FloatMode: 240
; IeeeMode: 1
; LDSByteSize: 0 bytes/workgroup (compile time only)
; SGPRBlocks: 0
; VGPRBlocks: 0
; NumSGPRsForWavesPerEU: 6
; NumVGPRsForWavesPerEU: 1
; AccumOffset: 4
; Occupancy: 8
; WaveLimiterHint : 0
; COMPUTE_PGM_RSRC2:SCRATCH_EN: 0
; COMPUTE_PGM_RSRC2:USER_SGPR: 2
; COMPUTE_PGM_RSRC2:TRAP_HANDLER: 0
; COMPUTE_PGM_RSRC2:TGID_X_EN: 1
; COMPUTE_PGM_RSRC2:TGID_Y_EN: 0
; COMPUTE_PGM_RSRC2:TGID_Z_EN: 0
; COMPUTE_PGM_RSRC2:TIDIG_COMP_CNT: 0
; COMPUTE_PGM_RSRC3_GFX90A:ACCUM_OFFSET: 0
; COMPUTE_PGM_RSRC3_GFX90A:TG_SPLIT: 0
	.section	.text._ZN7rocprim17ROCPRIM_400000_NS6detail17trampoline_kernelINS0_14default_configENS1_27scan_by_key_config_selectorIijEEZZNS1_16scan_by_key_implILNS1_25lookback_scan_determinismE0ELb1ES3_N6thrust23THRUST_200600_302600_NS6detail15normal_iteratorINS9_10device_ptrIiEEEENSB_INSC_IjEEEESG_jNS9_4plusIvEENS9_8equal_toIvEEjEE10hipError_tPvRmT2_T3_T4_T5_mT6_T7_P12ihipStream_tbENKUlT_T0_E_clISt17integral_constantIbLb1EES10_IbLb0EEEEDaSW_SX_EUlSW_E_NS1_11comp_targetILNS1_3genE9ELNS1_11target_archE1100ELNS1_3gpuE3ELNS1_3repE0EEENS1_30default_config_static_selectorELNS0_4arch9wavefront6targetE1EEEvT1_,"axG",@progbits,_ZN7rocprim17ROCPRIM_400000_NS6detail17trampoline_kernelINS0_14default_configENS1_27scan_by_key_config_selectorIijEEZZNS1_16scan_by_key_implILNS1_25lookback_scan_determinismE0ELb1ES3_N6thrust23THRUST_200600_302600_NS6detail15normal_iteratorINS9_10device_ptrIiEEEENSB_INSC_IjEEEESG_jNS9_4plusIvEENS9_8equal_toIvEEjEE10hipError_tPvRmT2_T3_T4_T5_mT6_T7_P12ihipStream_tbENKUlT_T0_E_clISt17integral_constantIbLb1EES10_IbLb0EEEEDaSW_SX_EUlSW_E_NS1_11comp_targetILNS1_3genE9ELNS1_11target_archE1100ELNS1_3gpuE3ELNS1_3repE0EEENS1_30default_config_static_selectorELNS0_4arch9wavefront6targetE1EEEvT1_,comdat
	.protected	_ZN7rocprim17ROCPRIM_400000_NS6detail17trampoline_kernelINS0_14default_configENS1_27scan_by_key_config_selectorIijEEZZNS1_16scan_by_key_implILNS1_25lookback_scan_determinismE0ELb1ES3_N6thrust23THRUST_200600_302600_NS6detail15normal_iteratorINS9_10device_ptrIiEEEENSB_INSC_IjEEEESG_jNS9_4plusIvEENS9_8equal_toIvEEjEE10hipError_tPvRmT2_T3_T4_T5_mT6_T7_P12ihipStream_tbENKUlT_T0_E_clISt17integral_constantIbLb1EES10_IbLb0EEEEDaSW_SX_EUlSW_E_NS1_11comp_targetILNS1_3genE9ELNS1_11target_archE1100ELNS1_3gpuE3ELNS1_3repE0EEENS1_30default_config_static_selectorELNS0_4arch9wavefront6targetE1EEEvT1_ ; -- Begin function _ZN7rocprim17ROCPRIM_400000_NS6detail17trampoline_kernelINS0_14default_configENS1_27scan_by_key_config_selectorIijEEZZNS1_16scan_by_key_implILNS1_25lookback_scan_determinismE0ELb1ES3_N6thrust23THRUST_200600_302600_NS6detail15normal_iteratorINS9_10device_ptrIiEEEENSB_INSC_IjEEEESG_jNS9_4plusIvEENS9_8equal_toIvEEjEE10hipError_tPvRmT2_T3_T4_T5_mT6_T7_P12ihipStream_tbENKUlT_T0_E_clISt17integral_constantIbLb1EES10_IbLb0EEEEDaSW_SX_EUlSW_E_NS1_11comp_targetILNS1_3genE9ELNS1_11target_archE1100ELNS1_3gpuE3ELNS1_3repE0EEENS1_30default_config_static_selectorELNS0_4arch9wavefront6targetE1EEEvT1_
	.globl	_ZN7rocprim17ROCPRIM_400000_NS6detail17trampoline_kernelINS0_14default_configENS1_27scan_by_key_config_selectorIijEEZZNS1_16scan_by_key_implILNS1_25lookback_scan_determinismE0ELb1ES3_N6thrust23THRUST_200600_302600_NS6detail15normal_iteratorINS9_10device_ptrIiEEEENSB_INSC_IjEEEESG_jNS9_4plusIvEENS9_8equal_toIvEEjEE10hipError_tPvRmT2_T3_T4_T5_mT6_T7_P12ihipStream_tbENKUlT_T0_E_clISt17integral_constantIbLb1EES10_IbLb0EEEEDaSW_SX_EUlSW_E_NS1_11comp_targetILNS1_3genE9ELNS1_11target_archE1100ELNS1_3gpuE3ELNS1_3repE0EEENS1_30default_config_static_selectorELNS0_4arch9wavefront6targetE1EEEvT1_
	.p2align	8
	.type	_ZN7rocprim17ROCPRIM_400000_NS6detail17trampoline_kernelINS0_14default_configENS1_27scan_by_key_config_selectorIijEEZZNS1_16scan_by_key_implILNS1_25lookback_scan_determinismE0ELb1ES3_N6thrust23THRUST_200600_302600_NS6detail15normal_iteratorINS9_10device_ptrIiEEEENSB_INSC_IjEEEESG_jNS9_4plusIvEENS9_8equal_toIvEEjEE10hipError_tPvRmT2_T3_T4_T5_mT6_T7_P12ihipStream_tbENKUlT_T0_E_clISt17integral_constantIbLb1EES10_IbLb0EEEEDaSW_SX_EUlSW_E_NS1_11comp_targetILNS1_3genE9ELNS1_11target_archE1100ELNS1_3gpuE3ELNS1_3repE0EEENS1_30default_config_static_selectorELNS0_4arch9wavefront6targetE1EEEvT1_,@function
_ZN7rocprim17ROCPRIM_400000_NS6detail17trampoline_kernelINS0_14default_configENS1_27scan_by_key_config_selectorIijEEZZNS1_16scan_by_key_implILNS1_25lookback_scan_determinismE0ELb1ES3_N6thrust23THRUST_200600_302600_NS6detail15normal_iteratorINS9_10device_ptrIiEEEENSB_INSC_IjEEEESG_jNS9_4plusIvEENS9_8equal_toIvEEjEE10hipError_tPvRmT2_T3_T4_T5_mT6_T7_P12ihipStream_tbENKUlT_T0_E_clISt17integral_constantIbLb1EES10_IbLb0EEEEDaSW_SX_EUlSW_E_NS1_11comp_targetILNS1_3genE9ELNS1_11target_archE1100ELNS1_3gpuE3ELNS1_3repE0EEENS1_30default_config_static_selectorELNS0_4arch9wavefront6targetE1EEEvT1_: ; @_ZN7rocprim17ROCPRIM_400000_NS6detail17trampoline_kernelINS0_14default_configENS1_27scan_by_key_config_selectorIijEEZZNS1_16scan_by_key_implILNS1_25lookback_scan_determinismE0ELb1ES3_N6thrust23THRUST_200600_302600_NS6detail15normal_iteratorINS9_10device_ptrIiEEEENSB_INSC_IjEEEESG_jNS9_4plusIvEENS9_8equal_toIvEEjEE10hipError_tPvRmT2_T3_T4_T5_mT6_T7_P12ihipStream_tbENKUlT_T0_E_clISt17integral_constantIbLb1EES10_IbLb0EEEEDaSW_SX_EUlSW_E_NS1_11comp_targetILNS1_3genE9ELNS1_11target_archE1100ELNS1_3gpuE3ELNS1_3repE0EEENS1_30default_config_static_selectorELNS0_4arch9wavefront6targetE1EEEvT1_
; %bb.0:
	.section	.rodata,"a",@progbits
	.p2align	6, 0x0
	.amdhsa_kernel _ZN7rocprim17ROCPRIM_400000_NS6detail17trampoline_kernelINS0_14default_configENS1_27scan_by_key_config_selectorIijEEZZNS1_16scan_by_key_implILNS1_25lookback_scan_determinismE0ELb1ES3_N6thrust23THRUST_200600_302600_NS6detail15normal_iteratorINS9_10device_ptrIiEEEENSB_INSC_IjEEEESG_jNS9_4plusIvEENS9_8equal_toIvEEjEE10hipError_tPvRmT2_T3_T4_T5_mT6_T7_P12ihipStream_tbENKUlT_T0_E_clISt17integral_constantIbLb1EES10_IbLb0EEEEDaSW_SX_EUlSW_E_NS1_11comp_targetILNS1_3genE9ELNS1_11target_archE1100ELNS1_3gpuE3ELNS1_3repE0EEENS1_30default_config_static_selectorELNS0_4arch9wavefront6targetE1EEEvT1_
		.amdhsa_group_segment_fixed_size 0
		.amdhsa_private_segment_fixed_size 0
		.amdhsa_kernarg_size 112
		.amdhsa_user_sgpr_count 2
		.amdhsa_user_sgpr_dispatch_ptr 0
		.amdhsa_user_sgpr_queue_ptr 0
		.amdhsa_user_sgpr_kernarg_segment_ptr 1
		.amdhsa_user_sgpr_dispatch_id 0
		.amdhsa_user_sgpr_kernarg_preload_length 0
		.amdhsa_user_sgpr_kernarg_preload_offset 0
		.amdhsa_user_sgpr_private_segment_size 0
		.amdhsa_uses_dynamic_stack 0
		.amdhsa_enable_private_segment 0
		.amdhsa_system_sgpr_workgroup_id_x 1
		.amdhsa_system_sgpr_workgroup_id_y 0
		.amdhsa_system_sgpr_workgroup_id_z 0
		.amdhsa_system_sgpr_workgroup_info 0
		.amdhsa_system_vgpr_workitem_id 0
		.amdhsa_next_free_vgpr 1
		.amdhsa_next_free_sgpr 0
		.amdhsa_accum_offset 4
		.amdhsa_reserve_vcc 0
		.amdhsa_float_round_mode_32 0
		.amdhsa_float_round_mode_16_64 0
		.amdhsa_float_denorm_mode_32 3
		.amdhsa_float_denorm_mode_16_64 3
		.amdhsa_dx10_clamp 1
		.amdhsa_ieee_mode 1
		.amdhsa_fp16_overflow 0
		.amdhsa_tg_split 0
		.amdhsa_exception_fp_ieee_invalid_op 0
		.amdhsa_exception_fp_denorm_src 0
		.amdhsa_exception_fp_ieee_div_zero 0
		.amdhsa_exception_fp_ieee_overflow 0
		.amdhsa_exception_fp_ieee_underflow 0
		.amdhsa_exception_fp_ieee_inexact 0
		.amdhsa_exception_int_div_zero 0
	.end_amdhsa_kernel
	.section	.text._ZN7rocprim17ROCPRIM_400000_NS6detail17trampoline_kernelINS0_14default_configENS1_27scan_by_key_config_selectorIijEEZZNS1_16scan_by_key_implILNS1_25lookback_scan_determinismE0ELb1ES3_N6thrust23THRUST_200600_302600_NS6detail15normal_iteratorINS9_10device_ptrIiEEEENSB_INSC_IjEEEESG_jNS9_4plusIvEENS9_8equal_toIvEEjEE10hipError_tPvRmT2_T3_T4_T5_mT6_T7_P12ihipStream_tbENKUlT_T0_E_clISt17integral_constantIbLb1EES10_IbLb0EEEEDaSW_SX_EUlSW_E_NS1_11comp_targetILNS1_3genE9ELNS1_11target_archE1100ELNS1_3gpuE3ELNS1_3repE0EEENS1_30default_config_static_selectorELNS0_4arch9wavefront6targetE1EEEvT1_,"axG",@progbits,_ZN7rocprim17ROCPRIM_400000_NS6detail17trampoline_kernelINS0_14default_configENS1_27scan_by_key_config_selectorIijEEZZNS1_16scan_by_key_implILNS1_25lookback_scan_determinismE0ELb1ES3_N6thrust23THRUST_200600_302600_NS6detail15normal_iteratorINS9_10device_ptrIiEEEENSB_INSC_IjEEEESG_jNS9_4plusIvEENS9_8equal_toIvEEjEE10hipError_tPvRmT2_T3_T4_T5_mT6_T7_P12ihipStream_tbENKUlT_T0_E_clISt17integral_constantIbLb1EES10_IbLb0EEEEDaSW_SX_EUlSW_E_NS1_11comp_targetILNS1_3genE9ELNS1_11target_archE1100ELNS1_3gpuE3ELNS1_3repE0EEENS1_30default_config_static_selectorELNS0_4arch9wavefront6targetE1EEEvT1_,comdat
.Lfunc_end1524:
	.size	_ZN7rocprim17ROCPRIM_400000_NS6detail17trampoline_kernelINS0_14default_configENS1_27scan_by_key_config_selectorIijEEZZNS1_16scan_by_key_implILNS1_25lookback_scan_determinismE0ELb1ES3_N6thrust23THRUST_200600_302600_NS6detail15normal_iteratorINS9_10device_ptrIiEEEENSB_INSC_IjEEEESG_jNS9_4plusIvEENS9_8equal_toIvEEjEE10hipError_tPvRmT2_T3_T4_T5_mT6_T7_P12ihipStream_tbENKUlT_T0_E_clISt17integral_constantIbLb1EES10_IbLb0EEEEDaSW_SX_EUlSW_E_NS1_11comp_targetILNS1_3genE9ELNS1_11target_archE1100ELNS1_3gpuE3ELNS1_3repE0EEENS1_30default_config_static_selectorELNS0_4arch9wavefront6targetE1EEEvT1_, .Lfunc_end1524-_ZN7rocprim17ROCPRIM_400000_NS6detail17trampoline_kernelINS0_14default_configENS1_27scan_by_key_config_selectorIijEEZZNS1_16scan_by_key_implILNS1_25lookback_scan_determinismE0ELb1ES3_N6thrust23THRUST_200600_302600_NS6detail15normal_iteratorINS9_10device_ptrIiEEEENSB_INSC_IjEEEESG_jNS9_4plusIvEENS9_8equal_toIvEEjEE10hipError_tPvRmT2_T3_T4_T5_mT6_T7_P12ihipStream_tbENKUlT_T0_E_clISt17integral_constantIbLb1EES10_IbLb0EEEEDaSW_SX_EUlSW_E_NS1_11comp_targetILNS1_3genE9ELNS1_11target_archE1100ELNS1_3gpuE3ELNS1_3repE0EEENS1_30default_config_static_selectorELNS0_4arch9wavefront6targetE1EEEvT1_
                                        ; -- End function
	.section	.AMDGPU.csdata,"",@progbits
; Kernel info:
; codeLenInByte = 0
; NumSgprs: 6
; NumVgprs: 0
; NumAgprs: 0
; TotalNumVgprs: 0
; ScratchSize: 0
; MemoryBound: 0
; FloatMode: 240
; IeeeMode: 1
; LDSByteSize: 0 bytes/workgroup (compile time only)
; SGPRBlocks: 0
; VGPRBlocks: 0
; NumSGPRsForWavesPerEU: 6
; NumVGPRsForWavesPerEU: 1
; AccumOffset: 4
; Occupancy: 8
; WaveLimiterHint : 0
; COMPUTE_PGM_RSRC2:SCRATCH_EN: 0
; COMPUTE_PGM_RSRC2:USER_SGPR: 2
; COMPUTE_PGM_RSRC2:TRAP_HANDLER: 0
; COMPUTE_PGM_RSRC2:TGID_X_EN: 1
; COMPUTE_PGM_RSRC2:TGID_Y_EN: 0
; COMPUTE_PGM_RSRC2:TGID_Z_EN: 0
; COMPUTE_PGM_RSRC2:TIDIG_COMP_CNT: 0
; COMPUTE_PGM_RSRC3_GFX90A:ACCUM_OFFSET: 0
; COMPUTE_PGM_RSRC3_GFX90A:TG_SPLIT: 0
	.section	.text._ZN7rocprim17ROCPRIM_400000_NS6detail17trampoline_kernelINS0_14default_configENS1_27scan_by_key_config_selectorIijEEZZNS1_16scan_by_key_implILNS1_25lookback_scan_determinismE0ELb1ES3_N6thrust23THRUST_200600_302600_NS6detail15normal_iteratorINS9_10device_ptrIiEEEENSB_INSC_IjEEEESG_jNS9_4plusIvEENS9_8equal_toIvEEjEE10hipError_tPvRmT2_T3_T4_T5_mT6_T7_P12ihipStream_tbENKUlT_T0_E_clISt17integral_constantIbLb1EES10_IbLb0EEEEDaSW_SX_EUlSW_E_NS1_11comp_targetILNS1_3genE8ELNS1_11target_archE1030ELNS1_3gpuE2ELNS1_3repE0EEENS1_30default_config_static_selectorELNS0_4arch9wavefront6targetE1EEEvT1_,"axG",@progbits,_ZN7rocprim17ROCPRIM_400000_NS6detail17trampoline_kernelINS0_14default_configENS1_27scan_by_key_config_selectorIijEEZZNS1_16scan_by_key_implILNS1_25lookback_scan_determinismE0ELb1ES3_N6thrust23THRUST_200600_302600_NS6detail15normal_iteratorINS9_10device_ptrIiEEEENSB_INSC_IjEEEESG_jNS9_4plusIvEENS9_8equal_toIvEEjEE10hipError_tPvRmT2_T3_T4_T5_mT6_T7_P12ihipStream_tbENKUlT_T0_E_clISt17integral_constantIbLb1EES10_IbLb0EEEEDaSW_SX_EUlSW_E_NS1_11comp_targetILNS1_3genE8ELNS1_11target_archE1030ELNS1_3gpuE2ELNS1_3repE0EEENS1_30default_config_static_selectorELNS0_4arch9wavefront6targetE1EEEvT1_,comdat
	.protected	_ZN7rocprim17ROCPRIM_400000_NS6detail17trampoline_kernelINS0_14default_configENS1_27scan_by_key_config_selectorIijEEZZNS1_16scan_by_key_implILNS1_25lookback_scan_determinismE0ELb1ES3_N6thrust23THRUST_200600_302600_NS6detail15normal_iteratorINS9_10device_ptrIiEEEENSB_INSC_IjEEEESG_jNS9_4plusIvEENS9_8equal_toIvEEjEE10hipError_tPvRmT2_T3_T4_T5_mT6_T7_P12ihipStream_tbENKUlT_T0_E_clISt17integral_constantIbLb1EES10_IbLb0EEEEDaSW_SX_EUlSW_E_NS1_11comp_targetILNS1_3genE8ELNS1_11target_archE1030ELNS1_3gpuE2ELNS1_3repE0EEENS1_30default_config_static_selectorELNS0_4arch9wavefront6targetE1EEEvT1_ ; -- Begin function _ZN7rocprim17ROCPRIM_400000_NS6detail17trampoline_kernelINS0_14default_configENS1_27scan_by_key_config_selectorIijEEZZNS1_16scan_by_key_implILNS1_25lookback_scan_determinismE0ELb1ES3_N6thrust23THRUST_200600_302600_NS6detail15normal_iteratorINS9_10device_ptrIiEEEENSB_INSC_IjEEEESG_jNS9_4plusIvEENS9_8equal_toIvEEjEE10hipError_tPvRmT2_T3_T4_T5_mT6_T7_P12ihipStream_tbENKUlT_T0_E_clISt17integral_constantIbLb1EES10_IbLb0EEEEDaSW_SX_EUlSW_E_NS1_11comp_targetILNS1_3genE8ELNS1_11target_archE1030ELNS1_3gpuE2ELNS1_3repE0EEENS1_30default_config_static_selectorELNS0_4arch9wavefront6targetE1EEEvT1_
	.globl	_ZN7rocprim17ROCPRIM_400000_NS6detail17trampoline_kernelINS0_14default_configENS1_27scan_by_key_config_selectorIijEEZZNS1_16scan_by_key_implILNS1_25lookback_scan_determinismE0ELb1ES3_N6thrust23THRUST_200600_302600_NS6detail15normal_iteratorINS9_10device_ptrIiEEEENSB_INSC_IjEEEESG_jNS9_4plusIvEENS9_8equal_toIvEEjEE10hipError_tPvRmT2_T3_T4_T5_mT6_T7_P12ihipStream_tbENKUlT_T0_E_clISt17integral_constantIbLb1EES10_IbLb0EEEEDaSW_SX_EUlSW_E_NS1_11comp_targetILNS1_3genE8ELNS1_11target_archE1030ELNS1_3gpuE2ELNS1_3repE0EEENS1_30default_config_static_selectorELNS0_4arch9wavefront6targetE1EEEvT1_
	.p2align	8
	.type	_ZN7rocprim17ROCPRIM_400000_NS6detail17trampoline_kernelINS0_14default_configENS1_27scan_by_key_config_selectorIijEEZZNS1_16scan_by_key_implILNS1_25lookback_scan_determinismE0ELb1ES3_N6thrust23THRUST_200600_302600_NS6detail15normal_iteratorINS9_10device_ptrIiEEEENSB_INSC_IjEEEESG_jNS9_4plusIvEENS9_8equal_toIvEEjEE10hipError_tPvRmT2_T3_T4_T5_mT6_T7_P12ihipStream_tbENKUlT_T0_E_clISt17integral_constantIbLb1EES10_IbLb0EEEEDaSW_SX_EUlSW_E_NS1_11comp_targetILNS1_3genE8ELNS1_11target_archE1030ELNS1_3gpuE2ELNS1_3repE0EEENS1_30default_config_static_selectorELNS0_4arch9wavefront6targetE1EEEvT1_,@function
_ZN7rocprim17ROCPRIM_400000_NS6detail17trampoline_kernelINS0_14default_configENS1_27scan_by_key_config_selectorIijEEZZNS1_16scan_by_key_implILNS1_25lookback_scan_determinismE0ELb1ES3_N6thrust23THRUST_200600_302600_NS6detail15normal_iteratorINS9_10device_ptrIiEEEENSB_INSC_IjEEEESG_jNS9_4plusIvEENS9_8equal_toIvEEjEE10hipError_tPvRmT2_T3_T4_T5_mT6_T7_P12ihipStream_tbENKUlT_T0_E_clISt17integral_constantIbLb1EES10_IbLb0EEEEDaSW_SX_EUlSW_E_NS1_11comp_targetILNS1_3genE8ELNS1_11target_archE1030ELNS1_3gpuE2ELNS1_3repE0EEENS1_30default_config_static_selectorELNS0_4arch9wavefront6targetE1EEEvT1_: ; @_ZN7rocprim17ROCPRIM_400000_NS6detail17trampoline_kernelINS0_14default_configENS1_27scan_by_key_config_selectorIijEEZZNS1_16scan_by_key_implILNS1_25lookback_scan_determinismE0ELb1ES3_N6thrust23THRUST_200600_302600_NS6detail15normal_iteratorINS9_10device_ptrIiEEEENSB_INSC_IjEEEESG_jNS9_4plusIvEENS9_8equal_toIvEEjEE10hipError_tPvRmT2_T3_T4_T5_mT6_T7_P12ihipStream_tbENKUlT_T0_E_clISt17integral_constantIbLb1EES10_IbLb0EEEEDaSW_SX_EUlSW_E_NS1_11comp_targetILNS1_3genE8ELNS1_11target_archE1030ELNS1_3gpuE2ELNS1_3repE0EEENS1_30default_config_static_selectorELNS0_4arch9wavefront6targetE1EEEvT1_
; %bb.0:
	.section	.rodata,"a",@progbits
	.p2align	6, 0x0
	.amdhsa_kernel _ZN7rocprim17ROCPRIM_400000_NS6detail17trampoline_kernelINS0_14default_configENS1_27scan_by_key_config_selectorIijEEZZNS1_16scan_by_key_implILNS1_25lookback_scan_determinismE0ELb1ES3_N6thrust23THRUST_200600_302600_NS6detail15normal_iteratorINS9_10device_ptrIiEEEENSB_INSC_IjEEEESG_jNS9_4plusIvEENS9_8equal_toIvEEjEE10hipError_tPvRmT2_T3_T4_T5_mT6_T7_P12ihipStream_tbENKUlT_T0_E_clISt17integral_constantIbLb1EES10_IbLb0EEEEDaSW_SX_EUlSW_E_NS1_11comp_targetILNS1_3genE8ELNS1_11target_archE1030ELNS1_3gpuE2ELNS1_3repE0EEENS1_30default_config_static_selectorELNS0_4arch9wavefront6targetE1EEEvT1_
		.amdhsa_group_segment_fixed_size 0
		.amdhsa_private_segment_fixed_size 0
		.amdhsa_kernarg_size 112
		.amdhsa_user_sgpr_count 2
		.amdhsa_user_sgpr_dispatch_ptr 0
		.amdhsa_user_sgpr_queue_ptr 0
		.amdhsa_user_sgpr_kernarg_segment_ptr 1
		.amdhsa_user_sgpr_dispatch_id 0
		.amdhsa_user_sgpr_kernarg_preload_length 0
		.amdhsa_user_sgpr_kernarg_preload_offset 0
		.amdhsa_user_sgpr_private_segment_size 0
		.amdhsa_uses_dynamic_stack 0
		.amdhsa_enable_private_segment 0
		.amdhsa_system_sgpr_workgroup_id_x 1
		.amdhsa_system_sgpr_workgroup_id_y 0
		.amdhsa_system_sgpr_workgroup_id_z 0
		.amdhsa_system_sgpr_workgroup_info 0
		.amdhsa_system_vgpr_workitem_id 0
		.amdhsa_next_free_vgpr 1
		.amdhsa_next_free_sgpr 0
		.amdhsa_accum_offset 4
		.amdhsa_reserve_vcc 0
		.amdhsa_float_round_mode_32 0
		.amdhsa_float_round_mode_16_64 0
		.amdhsa_float_denorm_mode_32 3
		.amdhsa_float_denorm_mode_16_64 3
		.amdhsa_dx10_clamp 1
		.amdhsa_ieee_mode 1
		.amdhsa_fp16_overflow 0
		.amdhsa_tg_split 0
		.amdhsa_exception_fp_ieee_invalid_op 0
		.amdhsa_exception_fp_denorm_src 0
		.amdhsa_exception_fp_ieee_div_zero 0
		.amdhsa_exception_fp_ieee_overflow 0
		.amdhsa_exception_fp_ieee_underflow 0
		.amdhsa_exception_fp_ieee_inexact 0
		.amdhsa_exception_int_div_zero 0
	.end_amdhsa_kernel
	.section	.text._ZN7rocprim17ROCPRIM_400000_NS6detail17trampoline_kernelINS0_14default_configENS1_27scan_by_key_config_selectorIijEEZZNS1_16scan_by_key_implILNS1_25lookback_scan_determinismE0ELb1ES3_N6thrust23THRUST_200600_302600_NS6detail15normal_iteratorINS9_10device_ptrIiEEEENSB_INSC_IjEEEESG_jNS9_4plusIvEENS9_8equal_toIvEEjEE10hipError_tPvRmT2_T3_T4_T5_mT6_T7_P12ihipStream_tbENKUlT_T0_E_clISt17integral_constantIbLb1EES10_IbLb0EEEEDaSW_SX_EUlSW_E_NS1_11comp_targetILNS1_3genE8ELNS1_11target_archE1030ELNS1_3gpuE2ELNS1_3repE0EEENS1_30default_config_static_selectorELNS0_4arch9wavefront6targetE1EEEvT1_,"axG",@progbits,_ZN7rocprim17ROCPRIM_400000_NS6detail17trampoline_kernelINS0_14default_configENS1_27scan_by_key_config_selectorIijEEZZNS1_16scan_by_key_implILNS1_25lookback_scan_determinismE0ELb1ES3_N6thrust23THRUST_200600_302600_NS6detail15normal_iteratorINS9_10device_ptrIiEEEENSB_INSC_IjEEEESG_jNS9_4plusIvEENS9_8equal_toIvEEjEE10hipError_tPvRmT2_T3_T4_T5_mT6_T7_P12ihipStream_tbENKUlT_T0_E_clISt17integral_constantIbLb1EES10_IbLb0EEEEDaSW_SX_EUlSW_E_NS1_11comp_targetILNS1_3genE8ELNS1_11target_archE1030ELNS1_3gpuE2ELNS1_3repE0EEENS1_30default_config_static_selectorELNS0_4arch9wavefront6targetE1EEEvT1_,comdat
.Lfunc_end1525:
	.size	_ZN7rocprim17ROCPRIM_400000_NS6detail17trampoline_kernelINS0_14default_configENS1_27scan_by_key_config_selectorIijEEZZNS1_16scan_by_key_implILNS1_25lookback_scan_determinismE0ELb1ES3_N6thrust23THRUST_200600_302600_NS6detail15normal_iteratorINS9_10device_ptrIiEEEENSB_INSC_IjEEEESG_jNS9_4plusIvEENS9_8equal_toIvEEjEE10hipError_tPvRmT2_T3_T4_T5_mT6_T7_P12ihipStream_tbENKUlT_T0_E_clISt17integral_constantIbLb1EES10_IbLb0EEEEDaSW_SX_EUlSW_E_NS1_11comp_targetILNS1_3genE8ELNS1_11target_archE1030ELNS1_3gpuE2ELNS1_3repE0EEENS1_30default_config_static_selectorELNS0_4arch9wavefront6targetE1EEEvT1_, .Lfunc_end1525-_ZN7rocprim17ROCPRIM_400000_NS6detail17trampoline_kernelINS0_14default_configENS1_27scan_by_key_config_selectorIijEEZZNS1_16scan_by_key_implILNS1_25lookback_scan_determinismE0ELb1ES3_N6thrust23THRUST_200600_302600_NS6detail15normal_iteratorINS9_10device_ptrIiEEEENSB_INSC_IjEEEESG_jNS9_4plusIvEENS9_8equal_toIvEEjEE10hipError_tPvRmT2_T3_T4_T5_mT6_T7_P12ihipStream_tbENKUlT_T0_E_clISt17integral_constantIbLb1EES10_IbLb0EEEEDaSW_SX_EUlSW_E_NS1_11comp_targetILNS1_3genE8ELNS1_11target_archE1030ELNS1_3gpuE2ELNS1_3repE0EEENS1_30default_config_static_selectorELNS0_4arch9wavefront6targetE1EEEvT1_
                                        ; -- End function
	.section	.AMDGPU.csdata,"",@progbits
; Kernel info:
; codeLenInByte = 0
; NumSgprs: 6
; NumVgprs: 0
; NumAgprs: 0
; TotalNumVgprs: 0
; ScratchSize: 0
; MemoryBound: 0
; FloatMode: 240
; IeeeMode: 1
; LDSByteSize: 0 bytes/workgroup (compile time only)
; SGPRBlocks: 0
; VGPRBlocks: 0
; NumSGPRsForWavesPerEU: 6
; NumVGPRsForWavesPerEU: 1
; AccumOffset: 4
; Occupancy: 8
; WaveLimiterHint : 0
; COMPUTE_PGM_RSRC2:SCRATCH_EN: 0
; COMPUTE_PGM_RSRC2:USER_SGPR: 2
; COMPUTE_PGM_RSRC2:TRAP_HANDLER: 0
; COMPUTE_PGM_RSRC2:TGID_X_EN: 1
; COMPUTE_PGM_RSRC2:TGID_Y_EN: 0
; COMPUTE_PGM_RSRC2:TGID_Z_EN: 0
; COMPUTE_PGM_RSRC2:TIDIG_COMP_CNT: 0
; COMPUTE_PGM_RSRC3_GFX90A:ACCUM_OFFSET: 0
; COMPUTE_PGM_RSRC3_GFX90A:TG_SPLIT: 0
	.section	.text._ZN7rocprim17ROCPRIM_400000_NS6detail17trampoline_kernelINS0_14default_configENS1_27scan_by_key_config_selectorIijEEZZNS1_16scan_by_key_implILNS1_25lookback_scan_determinismE0ELb1ES3_N6thrust23THRUST_200600_302600_NS6detail15normal_iteratorINS9_10device_ptrIiEEEENSB_INSC_IjEEEESG_jNS9_4plusIvEENS9_8equal_toIvEEjEE10hipError_tPvRmT2_T3_T4_T5_mT6_T7_P12ihipStream_tbENKUlT_T0_E_clISt17integral_constantIbLb0EES10_IbLb1EEEEDaSW_SX_EUlSW_E_NS1_11comp_targetILNS1_3genE0ELNS1_11target_archE4294967295ELNS1_3gpuE0ELNS1_3repE0EEENS1_30default_config_static_selectorELNS0_4arch9wavefront6targetE1EEEvT1_,"axG",@progbits,_ZN7rocprim17ROCPRIM_400000_NS6detail17trampoline_kernelINS0_14default_configENS1_27scan_by_key_config_selectorIijEEZZNS1_16scan_by_key_implILNS1_25lookback_scan_determinismE0ELb1ES3_N6thrust23THRUST_200600_302600_NS6detail15normal_iteratorINS9_10device_ptrIiEEEENSB_INSC_IjEEEESG_jNS9_4plusIvEENS9_8equal_toIvEEjEE10hipError_tPvRmT2_T3_T4_T5_mT6_T7_P12ihipStream_tbENKUlT_T0_E_clISt17integral_constantIbLb0EES10_IbLb1EEEEDaSW_SX_EUlSW_E_NS1_11comp_targetILNS1_3genE0ELNS1_11target_archE4294967295ELNS1_3gpuE0ELNS1_3repE0EEENS1_30default_config_static_selectorELNS0_4arch9wavefront6targetE1EEEvT1_,comdat
	.protected	_ZN7rocprim17ROCPRIM_400000_NS6detail17trampoline_kernelINS0_14default_configENS1_27scan_by_key_config_selectorIijEEZZNS1_16scan_by_key_implILNS1_25lookback_scan_determinismE0ELb1ES3_N6thrust23THRUST_200600_302600_NS6detail15normal_iteratorINS9_10device_ptrIiEEEENSB_INSC_IjEEEESG_jNS9_4plusIvEENS9_8equal_toIvEEjEE10hipError_tPvRmT2_T3_T4_T5_mT6_T7_P12ihipStream_tbENKUlT_T0_E_clISt17integral_constantIbLb0EES10_IbLb1EEEEDaSW_SX_EUlSW_E_NS1_11comp_targetILNS1_3genE0ELNS1_11target_archE4294967295ELNS1_3gpuE0ELNS1_3repE0EEENS1_30default_config_static_selectorELNS0_4arch9wavefront6targetE1EEEvT1_ ; -- Begin function _ZN7rocprim17ROCPRIM_400000_NS6detail17trampoline_kernelINS0_14default_configENS1_27scan_by_key_config_selectorIijEEZZNS1_16scan_by_key_implILNS1_25lookback_scan_determinismE0ELb1ES3_N6thrust23THRUST_200600_302600_NS6detail15normal_iteratorINS9_10device_ptrIiEEEENSB_INSC_IjEEEESG_jNS9_4plusIvEENS9_8equal_toIvEEjEE10hipError_tPvRmT2_T3_T4_T5_mT6_T7_P12ihipStream_tbENKUlT_T0_E_clISt17integral_constantIbLb0EES10_IbLb1EEEEDaSW_SX_EUlSW_E_NS1_11comp_targetILNS1_3genE0ELNS1_11target_archE4294967295ELNS1_3gpuE0ELNS1_3repE0EEENS1_30default_config_static_selectorELNS0_4arch9wavefront6targetE1EEEvT1_
	.globl	_ZN7rocprim17ROCPRIM_400000_NS6detail17trampoline_kernelINS0_14default_configENS1_27scan_by_key_config_selectorIijEEZZNS1_16scan_by_key_implILNS1_25lookback_scan_determinismE0ELb1ES3_N6thrust23THRUST_200600_302600_NS6detail15normal_iteratorINS9_10device_ptrIiEEEENSB_INSC_IjEEEESG_jNS9_4plusIvEENS9_8equal_toIvEEjEE10hipError_tPvRmT2_T3_T4_T5_mT6_T7_P12ihipStream_tbENKUlT_T0_E_clISt17integral_constantIbLb0EES10_IbLb1EEEEDaSW_SX_EUlSW_E_NS1_11comp_targetILNS1_3genE0ELNS1_11target_archE4294967295ELNS1_3gpuE0ELNS1_3repE0EEENS1_30default_config_static_selectorELNS0_4arch9wavefront6targetE1EEEvT1_
	.p2align	8
	.type	_ZN7rocprim17ROCPRIM_400000_NS6detail17trampoline_kernelINS0_14default_configENS1_27scan_by_key_config_selectorIijEEZZNS1_16scan_by_key_implILNS1_25lookback_scan_determinismE0ELb1ES3_N6thrust23THRUST_200600_302600_NS6detail15normal_iteratorINS9_10device_ptrIiEEEENSB_INSC_IjEEEESG_jNS9_4plusIvEENS9_8equal_toIvEEjEE10hipError_tPvRmT2_T3_T4_T5_mT6_T7_P12ihipStream_tbENKUlT_T0_E_clISt17integral_constantIbLb0EES10_IbLb1EEEEDaSW_SX_EUlSW_E_NS1_11comp_targetILNS1_3genE0ELNS1_11target_archE4294967295ELNS1_3gpuE0ELNS1_3repE0EEENS1_30default_config_static_selectorELNS0_4arch9wavefront6targetE1EEEvT1_,@function
_ZN7rocprim17ROCPRIM_400000_NS6detail17trampoline_kernelINS0_14default_configENS1_27scan_by_key_config_selectorIijEEZZNS1_16scan_by_key_implILNS1_25lookback_scan_determinismE0ELb1ES3_N6thrust23THRUST_200600_302600_NS6detail15normal_iteratorINS9_10device_ptrIiEEEENSB_INSC_IjEEEESG_jNS9_4plusIvEENS9_8equal_toIvEEjEE10hipError_tPvRmT2_T3_T4_T5_mT6_T7_P12ihipStream_tbENKUlT_T0_E_clISt17integral_constantIbLb0EES10_IbLb1EEEEDaSW_SX_EUlSW_E_NS1_11comp_targetILNS1_3genE0ELNS1_11target_archE4294967295ELNS1_3gpuE0ELNS1_3repE0EEENS1_30default_config_static_selectorELNS0_4arch9wavefront6targetE1EEEvT1_: ; @_ZN7rocprim17ROCPRIM_400000_NS6detail17trampoline_kernelINS0_14default_configENS1_27scan_by_key_config_selectorIijEEZZNS1_16scan_by_key_implILNS1_25lookback_scan_determinismE0ELb1ES3_N6thrust23THRUST_200600_302600_NS6detail15normal_iteratorINS9_10device_ptrIiEEEENSB_INSC_IjEEEESG_jNS9_4plusIvEENS9_8equal_toIvEEjEE10hipError_tPvRmT2_T3_T4_T5_mT6_T7_P12ihipStream_tbENKUlT_T0_E_clISt17integral_constantIbLb0EES10_IbLb1EEEEDaSW_SX_EUlSW_E_NS1_11comp_targetILNS1_3genE0ELNS1_11target_archE4294967295ELNS1_3gpuE0ELNS1_3repE0EEENS1_30default_config_static_selectorELNS0_4arch9wavefront6targetE1EEEvT1_
; %bb.0:
	.section	.rodata,"a",@progbits
	.p2align	6, 0x0
	.amdhsa_kernel _ZN7rocprim17ROCPRIM_400000_NS6detail17trampoline_kernelINS0_14default_configENS1_27scan_by_key_config_selectorIijEEZZNS1_16scan_by_key_implILNS1_25lookback_scan_determinismE0ELb1ES3_N6thrust23THRUST_200600_302600_NS6detail15normal_iteratorINS9_10device_ptrIiEEEENSB_INSC_IjEEEESG_jNS9_4plusIvEENS9_8equal_toIvEEjEE10hipError_tPvRmT2_T3_T4_T5_mT6_T7_P12ihipStream_tbENKUlT_T0_E_clISt17integral_constantIbLb0EES10_IbLb1EEEEDaSW_SX_EUlSW_E_NS1_11comp_targetILNS1_3genE0ELNS1_11target_archE4294967295ELNS1_3gpuE0ELNS1_3repE0EEENS1_30default_config_static_selectorELNS0_4arch9wavefront6targetE1EEEvT1_
		.amdhsa_group_segment_fixed_size 0
		.amdhsa_private_segment_fixed_size 0
		.amdhsa_kernarg_size 112
		.amdhsa_user_sgpr_count 2
		.amdhsa_user_sgpr_dispatch_ptr 0
		.amdhsa_user_sgpr_queue_ptr 0
		.amdhsa_user_sgpr_kernarg_segment_ptr 1
		.amdhsa_user_sgpr_dispatch_id 0
		.amdhsa_user_sgpr_kernarg_preload_length 0
		.amdhsa_user_sgpr_kernarg_preload_offset 0
		.amdhsa_user_sgpr_private_segment_size 0
		.amdhsa_uses_dynamic_stack 0
		.amdhsa_enable_private_segment 0
		.amdhsa_system_sgpr_workgroup_id_x 1
		.amdhsa_system_sgpr_workgroup_id_y 0
		.amdhsa_system_sgpr_workgroup_id_z 0
		.amdhsa_system_sgpr_workgroup_info 0
		.amdhsa_system_vgpr_workitem_id 0
		.amdhsa_next_free_vgpr 1
		.amdhsa_next_free_sgpr 0
		.amdhsa_accum_offset 4
		.amdhsa_reserve_vcc 0
		.amdhsa_float_round_mode_32 0
		.amdhsa_float_round_mode_16_64 0
		.amdhsa_float_denorm_mode_32 3
		.amdhsa_float_denorm_mode_16_64 3
		.amdhsa_dx10_clamp 1
		.amdhsa_ieee_mode 1
		.amdhsa_fp16_overflow 0
		.amdhsa_tg_split 0
		.amdhsa_exception_fp_ieee_invalid_op 0
		.amdhsa_exception_fp_denorm_src 0
		.amdhsa_exception_fp_ieee_div_zero 0
		.amdhsa_exception_fp_ieee_overflow 0
		.amdhsa_exception_fp_ieee_underflow 0
		.amdhsa_exception_fp_ieee_inexact 0
		.amdhsa_exception_int_div_zero 0
	.end_amdhsa_kernel
	.section	.text._ZN7rocprim17ROCPRIM_400000_NS6detail17trampoline_kernelINS0_14default_configENS1_27scan_by_key_config_selectorIijEEZZNS1_16scan_by_key_implILNS1_25lookback_scan_determinismE0ELb1ES3_N6thrust23THRUST_200600_302600_NS6detail15normal_iteratorINS9_10device_ptrIiEEEENSB_INSC_IjEEEESG_jNS9_4plusIvEENS9_8equal_toIvEEjEE10hipError_tPvRmT2_T3_T4_T5_mT6_T7_P12ihipStream_tbENKUlT_T0_E_clISt17integral_constantIbLb0EES10_IbLb1EEEEDaSW_SX_EUlSW_E_NS1_11comp_targetILNS1_3genE0ELNS1_11target_archE4294967295ELNS1_3gpuE0ELNS1_3repE0EEENS1_30default_config_static_selectorELNS0_4arch9wavefront6targetE1EEEvT1_,"axG",@progbits,_ZN7rocprim17ROCPRIM_400000_NS6detail17trampoline_kernelINS0_14default_configENS1_27scan_by_key_config_selectorIijEEZZNS1_16scan_by_key_implILNS1_25lookback_scan_determinismE0ELb1ES3_N6thrust23THRUST_200600_302600_NS6detail15normal_iteratorINS9_10device_ptrIiEEEENSB_INSC_IjEEEESG_jNS9_4plusIvEENS9_8equal_toIvEEjEE10hipError_tPvRmT2_T3_T4_T5_mT6_T7_P12ihipStream_tbENKUlT_T0_E_clISt17integral_constantIbLb0EES10_IbLb1EEEEDaSW_SX_EUlSW_E_NS1_11comp_targetILNS1_3genE0ELNS1_11target_archE4294967295ELNS1_3gpuE0ELNS1_3repE0EEENS1_30default_config_static_selectorELNS0_4arch9wavefront6targetE1EEEvT1_,comdat
.Lfunc_end1526:
	.size	_ZN7rocprim17ROCPRIM_400000_NS6detail17trampoline_kernelINS0_14default_configENS1_27scan_by_key_config_selectorIijEEZZNS1_16scan_by_key_implILNS1_25lookback_scan_determinismE0ELb1ES3_N6thrust23THRUST_200600_302600_NS6detail15normal_iteratorINS9_10device_ptrIiEEEENSB_INSC_IjEEEESG_jNS9_4plusIvEENS9_8equal_toIvEEjEE10hipError_tPvRmT2_T3_T4_T5_mT6_T7_P12ihipStream_tbENKUlT_T0_E_clISt17integral_constantIbLb0EES10_IbLb1EEEEDaSW_SX_EUlSW_E_NS1_11comp_targetILNS1_3genE0ELNS1_11target_archE4294967295ELNS1_3gpuE0ELNS1_3repE0EEENS1_30default_config_static_selectorELNS0_4arch9wavefront6targetE1EEEvT1_, .Lfunc_end1526-_ZN7rocprim17ROCPRIM_400000_NS6detail17trampoline_kernelINS0_14default_configENS1_27scan_by_key_config_selectorIijEEZZNS1_16scan_by_key_implILNS1_25lookback_scan_determinismE0ELb1ES3_N6thrust23THRUST_200600_302600_NS6detail15normal_iteratorINS9_10device_ptrIiEEEENSB_INSC_IjEEEESG_jNS9_4plusIvEENS9_8equal_toIvEEjEE10hipError_tPvRmT2_T3_T4_T5_mT6_T7_P12ihipStream_tbENKUlT_T0_E_clISt17integral_constantIbLb0EES10_IbLb1EEEEDaSW_SX_EUlSW_E_NS1_11comp_targetILNS1_3genE0ELNS1_11target_archE4294967295ELNS1_3gpuE0ELNS1_3repE0EEENS1_30default_config_static_selectorELNS0_4arch9wavefront6targetE1EEEvT1_
                                        ; -- End function
	.section	.AMDGPU.csdata,"",@progbits
; Kernel info:
; codeLenInByte = 0
; NumSgprs: 6
; NumVgprs: 0
; NumAgprs: 0
; TotalNumVgprs: 0
; ScratchSize: 0
; MemoryBound: 0
; FloatMode: 240
; IeeeMode: 1
; LDSByteSize: 0 bytes/workgroup (compile time only)
; SGPRBlocks: 0
; VGPRBlocks: 0
; NumSGPRsForWavesPerEU: 6
; NumVGPRsForWavesPerEU: 1
; AccumOffset: 4
; Occupancy: 8
; WaveLimiterHint : 0
; COMPUTE_PGM_RSRC2:SCRATCH_EN: 0
; COMPUTE_PGM_RSRC2:USER_SGPR: 2
; COMPUTE_PGM_RSRC2:TRAP_HANDLER: 0
; COMPUTE_PGM_RSRC2:TGID_X_EN: 1
; COMPUTE_PGM_RSRC2:TGID_Y_EN: 0
; COMPUTE_PGM_RSRC2:TGID_Z_EN: 0
; COMPUTE_PGM_RSRC2:TIDIG_COMP_CNT: 0
; COMPUTE_PGM_RSRC3_GFX90A:ACCUM_OFFSET: 0
; COMPUTE_PGM_RSRC3_GFX90A:TG_SPLIT: 0
	.section	.text._ZN7rocprim17ROCPRIM_400000_NS6detail17trampoline_kernelINS0_14default_configENS1_27scan_by_key_config_selectorIijEEZZNS1_16scan_by_key_implILNS1_25lookback_scan_determinismE0ELb1ES3_N6thrust23THRUST_200600_302600_NS6detail15normal_iteratorINS9_10device_ptrIiEEEENSB_INSC_IjEEEESG_jNS9_4plusIvEENS9_8equal_toIvEEjEE10hipError_tPvRmT2_T3_T4_T5_mT6_T7_P12ihipStream_tbENKUlT_T0_E_clISt17integral_constantIbLb0EES10_IbLb1EEEEDaSW_SX_EUlSW_E_NS1_11comp_targetILNS1_3genE10ELNS1_11target_archE1201ELNS1_3gpuE5ELNS1_3repE0EEENS1_30default_config_static_selectorELNS0_4arch9wavefront6targetE1EEEvT1_,"axG",@progbits,_ZN7rocprim17ROCPRIM_400000_NS6detail17trampoline_kernelINS0_14default_configENS1_27scan_by_key_config_selectorIijEEZZNS1_16scan_by_key_implILNS1_25lookback_scan_determinismE0ELb1ES3_N6thrust23THRUST_200600_302600_NS6detail15normal_iteratorINS9_10device_ptrIiEEEENSB_INSC_IjEEEESG_jNS9_4plusIvEENS9_8equal_toIvEEjEE10hipError_tPvRmT2_T3_T4_T5_mT6_T7_P12ihipStream_tbENKUlT_T0_E_clISt17integral_constantIbLb0EES10_IbLb1EEEEDaSW_SX_EUlSW_E_NS1_11comp_targetILNS1_3genE10ELNS1_11target_archE1201ELNS1_3gpuE5ELNS1_3repE0EEENS1_30default_config_static_selectorELNS0_4arch9wavefront6targetE1EEEvT1_,comdat
	.protected	_ZN7rocprim17ROCPRIM_400000_NS6detail17trampoline_kernelINS0_14default_configENS1_27scan_by_key_config_selectorIijEEZZNS1_16scan_by_key_implILNS1_25lookback_scan_determinismE0ELb1ES3_N6thrust23THRUST_200600_302600_NS6detail15normal_iteratorINS9_10device_ptrIiEEEENSB_INSC_IjEEEESG_jNS9_4plusIvEENS9_8equal_toIvEEjEE10hipError_tPvRmT2_T3_T4_T5_mT6_T7_P12ihipStream_tbENKUlT_T0_E_clISt17integral_constantIbLb0EES10_IbLb1EEEEDaSW_SX_EUlSW_E_NS1_11comp_targetILNS1_3genE10ELNS1_11target_archE1201ELNS1_3gpuE5ELNS1_3repE0EEENS1_30default_config_static_selectorELNS0_4arch9wavefront6targetE1EEEvT1_ ; -- Begin function _ZN7rocprim17ROCPRIM_400000_NS6detail17trampoline_kernelINS0_14default_configENS1_27scan_by_key_config_selectorIijEEZZNS1_16scan_by_key_implILNS1_25lookback_scan_determinismE0ELb1ES3_N6thrust23THRUST_200600_302600_NS6detail15normal_iteratorINS9_10device_ptrIiEEEENSB_INSC_IjEEEESG_jNS9_4plusIvEENS9_8equal_toIvEEjEE10hipError_tPvRmT2_T3_T4_T5_mT6_T7_P12ihipStream_tbENKUlT_T0_E_clISt17integral_constantIbLb0EES10_IbLb1EEEEDaSW_SX_EUlSW_E_NS1_11comp_targetILNS1_3genE10ELNS1_11target_archE1201ELNS1_3gpuE5ELNS1_3repE0EEENS1_30default_config_static_selectorELNS0_4arch9wavefront6targetE1EEEvT1_
	.globl	_ZN7rocprim17ROCPRIM_400000_NS6detail17trampoline_kernelINS0_14default_configENS1_27scan_by_key_config_selectorIijEEZZNS1_16scan_by_key_implILNS1_25lookback_scan_determinismE0ELb1ES3_N6thrust23THRUST_200600_302600_NS6detail15normal_iteratorINS9_10device_ptrIiEEEENSB_INSC_IjEEEESG_jNS9_4plusIvEENS9_8equal_toIvEEjEE10hipError_tPvRmT2_T3_T4_T5_mT6_T7_P12ihipStream_tbENKUlT_T0_E_clISt17integral_constantIbLb0EES10_IbLb1EEEEDaSW_SX_EUlSW_E_NS1_11comp_targetILNS1_3genE10ELNS1_11target_archE1201ELNS1_3gpuE5ELNS1_3repE0EEENS1_30default_config_static_selectorELNS0_4arch9wavefront6targetE1EEEvT1_
	.p2align	8
	.type	_ZN7rocprim17ROCPRIM_400000_NS6detail17trampoline_kernelINS0_14default_configENS1_27scan_by_key_config_selectorIijEEZZNS1_16scan_by_key_implILNS1_25lookback_scan_determinismE0ELb1ES3_N6thrust23THRUST_200600_302600_NS6detail15normal_iteratorINS9_10device_ptrIiEEEENSB_INSC_IjEEEESG_jNS9_4plusIvEENS9_8equal_toIvEEjEE10hipError_tPvRmT2_T3_T4_T5_mT6_T7_P12ihipStream_tbENKUlT_T0_E_clISt17integral_constantIbLb0EES10_IbLb1EEEEDaSW_SX_EUlSW_E_NS1_11comp_targetILNS1_3genE10ELNS1_11target_archE1201ELNS1_3gpuE5ELNS1_3repE0EEENS1_30default_config_static_selectorELNS0_4arch9wavefront6targetE1EEEvT1_,@function
_ZN7rocprim17ROCPRIM_400000_NS6detail17trampoline_kernelINS0_14default_configENS1_27scan_by_key_config_selectorIijEEZZNS1_16scan_by_key_implILNS1_25lookback_scan_determinismE0ELb1ES3_N6thrust23THRUST_200600_302600_NS6detail15normal_iteratorINS9_10device_ptrIiEEEENSB_INSC_IjEEEESG_jNS9_4plusIvEENS9_8equal_toIvEEjEE10hipError_tPvRmT2_T3_T4_T5_mT6_T7_P12ihipStream_tbENKUlT_T0_E_clISt17integral_constantIbLb0EES10_IbLb1EEEEDaSW_SX_EUlSW_E_NS1_11comp_targetILNS1_3genE10ELNS1_11target_archE1201ELNS1_3gpuE5ELNS1_3repE0EEENS1_30default_config_static_selectorELNS0_4arch9wavefront6targetE1EEEvT1_: ; @_ZN7rocprim17ROCPRIM_400000_NS6detail17trampoline_kernelINS0_14default_configENS1_27scan_by_key_config_selectorIijEEZZNS1_16scan_by_key_implILNS1_25lookback_scan_determinismE0ELb1ES3_N6thrust23THRUST_200600_302600_NS6detail15normal_iteratorINS9_10device_ptrIiEEEENSB_INSC_IjEEEESG_jNS9_4plusIvEENS9_8equal_toIvEEjEE10hipError_tPvRmT2_T3_T4_T5_mT6_T7_P12ihipStream_tbENKUlT_T0_E_clISt17integral_constantIbLb0EES10_IbLb1EEEEDaSW_SX_EUlSW_E_NS1_11comp_targetILNS1_3genE10ELNS1_11target_archE1201ELNS1_3gpuE5ELNS1_3repE0EEENS1_30default_config_static_selectorELNS0_4arch9wavefront6targetE1EEEvT1_
; %bb.0:
	.section	.rodata,"a",@progbits
	.p2align	6, 0x0
	.amdhsa_kernel _ZN7rocprim17ROCPRIM_400000_NS6detail17trampoline_kernelINS0_14default_configENS1_27scan_by_key_config_selectorIijEEZZNS1_16scan_by_key_implILNS1_25lookback_scan_determinismE0ELb1ES3_N6thrust23THRUST_200600_302600_NS6detail15normal_iteratorINS9_10device_ptrIiEEEENSB_INSC_IjEEEESG_jNS9_4plusIvEENS9_8equal_toIvEEjEE10hipError_tPvRmT2_T3_T4_T5_mT6_T7_P12ihipStream_tbENKUlT_T0_E_clISt17integral_constantIbLb0EES10_IbLb1EEEEDaSW_SX_EUlSW_E_NS1_11comp_targetILNS1_3genE10ELNS1_11target_archE1201ELNS1_3gpuE5ELNS1_3repE0EEENS1_30default_config_static_selectorELNS0_4arch9wavefront6targetE1EEEvT1_
		.amdhsa_group_segment_fixed_size 0
		.amdhsa_private_segment_fixed_size 0
		.amdhsa_kernarg_size 112
		.amdhsa_user_sgpr_count 2
		.amdhsa_user_sgpr_dispatch_ptr 0
		.amdhsa_user_sgpr_queue_ptr 0
		.amdhsa_user_sgpr_kernarg_segment_ptr 1
		.amdhsa_user_sgpr_dispatch_id 0
		.amdhsa_user_sgpr_kernarg_preload_length 0
		.amdhsa_user_sgpr_kernarg_preload_offset 0
		.amdhsa_user_sgpr_private_segment_size 0
		.amdhsa_uses_dynamic_stack 0
		.amdhsa_enable_private_segment 0
		.amdhsa_system_sgpr_workgroup_id_x 1
		.amdhsa_system_sgpr_workgroup_id_y 0
		.amdhsa_system_sgpr_workgroup_id_z 0
		.amdhsa_system_sgpr_workgroup_info 0
		.amdhsa_system_vgpr_workitem_id 0
		.amdhsa_next_free_vgpr 1
		.amdhsa_next_free_sgpr 0
		.amdhsa_accum_offset 4
		.amdhsa_reserve_vcc 0
		.amdhsa_float_round_mode_32 0
		.amdhsa_float_round_mode_16_64 0
		.amdhsa_float_denorm_mode_32 3
		.amdhsa_float_denorm_mode_16_64 3
		.amdhsa_dx10_clamp 1
		.amdhsa_ieee_mode 1
		.amdhsa_fp16_overflow 0
		.amdhsa_tg_split 0
		.amdhsa_exception_fp_ieee_invalid_op 0
		.amdhsa_exception_fp_denorm_src 0
		.amdhsa_exception_fp_ieee_div_zero 0
		.amdhsa_exception_fp_ieee_overflow 0
		.amdhsa_exception_fp_ieee_underflow 0
		.amdhsa_exception_fp_ieee_inexact 0
		.amdhsa_exception_int_div_zero 0
	.end_amdhsa_kernel
	.section	.text._ZN7rocprim17ROCPRIM_400000_NS6detail17trampoline_kernelINS0_14default_configENS1_27scan_by_key_config_selectorIijEEZZNS1_16scan_by_key_implILNS1_25lookback_scan_determinismE0ELb1ES3_N6thrust23THRUST_200600_302600_NS6detail15normal_iteratorINS9_10device_ptrIiEEEENSB_INSC_IjEEEESG_jNS9_4plusIvEENS9_8equal_toIvEEjEE10hipError_tPvRmT2_T3_T4_T5_mT6_T7_P12ihipStream_tbENKUlT_T0_E_clISt17integral_constantIbLb0EES10_IbLb1EEEEDaSW_SX_EUlSW_E_NS1_11comp_targetILNS1_3genE10ELNS1_11target_archE1201ELNS1_3gpuE5ELNS1_3repE0EEENS1_30default_config_static_selectorELNS0_4arch9wavefront6targetE1EEEvT1_,"axG",@progbits,_ZN7rocprim17ROCPRIM_400000_NS6detail17trampoline_kernelINS0_14default_configENS1_27scan_by_key_config_selectorIijEEZZNS1_16scan_by_key_implILNS1_25lookback_scan_determinismE0ELb1ES3_N6thrust23THRUST_200600_302600_NS6detail15normal_iteratorINS9_10device_ptrIiEEEENSB_INSC_IjEEEESG_jNS9_4plusIvEENS9_8equal_toIvEEjEE10hipError_tPvRmT2_T3_T4_T5_mT6_T7_P12ihipStream_tbENKUlT_T0_E_clISt17integral_constantIbLb0EES10_IbLb1EEEEDaSW_SX_EUlSW_E_NS1_11comp_targetILNS1_3genE10ELNS1_11target_archE1201ELNS1_3gpuE5ELNS1_3repE0EEENS1_30default_config_static_selectorELNS0_4arch9wavefront6targetE1EEEvT1_,comdat
.Lfunc_end1527:
	.size	_ZN7rocprim17ROCPRIM_400000_NS6detail17trampoline_kernelINS0_14default_configENS1_27scan_by_key_config_selectorIijEEZZNS1_16scan_by_key_implILNS1_25lookback_scan_determinismE0ELb1ES3_N6thrust23THRUST_200600_302600_NS6detail15normal_iteratorINS9_10device_ptrIiEEEENSB_INSC_IjEEEESG_jNS9_4plusIvEENS9_8equal_toIvEEjEE10hipError_tPvRmT2_T3_T4_T5_mT6_T7_P12ihipStream_tbENKUlT_T0_E_clISt17integral_constantIbLb0EES10_IbLb1EEEEDaSW_SX_EUlSW_E_NS1_11comp_targetILNS1_3genE10ELNS1_11target_archE1201ELNS1_3gpuE5ELNS1_3repE0EEENS1_30default_config_static_selectorELNS0_4arch9wavefront6targetE1EEEvT1_, .Lfunc_end1527-_ZN7rocprim17ROCPRIM_400000_NS6detail17trampoline_kernelINS0_14default_configENS1_27scan_by_key_config_selectorIijEEZZNS1_16scan_by_key_implILNS1_25lookback_scan_determinismE0ELb1ES3_N6thrust23THRUST_200600_302600_NS6detail15normal_iteratorINS9_10device_ptrIiEEEENSB_INSC_IjEEEESG_jNS9_4plusIvEENS9_8equal_toIvEEjEE10hipError_tPvRmT2_T3_T4_T5_mT6_T7_P12ihipStream_tbENKUlT_T0_E_clISt17integral_constantIbLb0EES10_IbLb1EEEEDaSW_SX_EUlSW_E_NS1_11comp_targetILNS1_3genE10ELNS1_11target_archE1201ELNS1_3gpuE5ELNS1_3repE0EEENS1_30default_config_static_selectorELNS0_4arch9wavefront6targetE1EEEvT1_
                                        ; -- End function
	.section	.AMDGPU.csdata,"",@progbits
; Kernel info:
; codeLenInByte = 0
; NumSgprs: 6
; NumVgprs: 0
; NumAgprs: 0
; TotalNumVgprs: 0
; ScratchSize: 0
; MemoryBound: 0
; FloatMode: 240
; IeeeMode: 1
; LDSByteSize: 0 bytes/workgroup (compile time only)
; SGPRBlocks: 0
; VGPRBlocks: 0
; NumSGPRsForWavesPerEU: 6
; NumVGPRsForWavesPerEU: 1
; AccumOffset: 4
; Occupancy: 8
; WaveLimiterHint : 0
; COMPUTE_PGM_RSRC2:SCRATCH_EN: 0
; COMPUTE_PGM_RSRC2:USER_SGPR: 2
; COMPUTE_PGM_RSRC2:TRAP_HANDLER: 0
; COMPUTE_PGM_RSRC2:TGID_X_EN: 1
; COMPUTE_PGM_RSRC2:TGID_Y_EN: 0
; COMPUTE_PGM_RSRC2:TGID_Z_EN: 0
; COMPUTE_PGM_RSRC2:TIDIG_COMP_CNT: 0
; COMPUTE_PGM_RSRC3_GFX90A:ACCUM_OFFSET: 0
; COMPUTE_PGM_RSRC3_GFX90A:TG_SPLIT: 0
	.section	.text._ZN7rocprim17ROCPRIM_400000_NS6detail17trampoline_kernelINS0_14default_configENS1_27scan_by_key_config_selectorIijEEZZNS1_16scan_by_key_implILNS1_25lookback_scan_determinismE0ELb1ES3_N6thrust23THRUST_200600_302600_NS6detail15normal_iteratorINS9_10device_ptrIiEEEENSB_INSC_IjEEEESG_jNS9_4plusIvEENS9_8equal_toIvEEjEE10hipError_tPvRmT2_T3_T4_T5_mT6_T7_P12ihipStream_tbENKUlT_T0_E_clISt17integral_constantIbLb0EES10_IbLb1EEEEDaSW_SX_EUlSW_E_NS1_11comp_targetILNS1_3genE5ELNS1_11target_archE942ELNS1_3gpuE9ELNS1_3repE0EEENS1_30default_config_static_selectorELNS0_4arch9wavefront6targetE1EEEvT1_,"axG",@progbits,_ZN7rocprim17ROCPRIM_400000_NS6detail17trampoline_kernelINS0_14default_configENS1_27scan_by_key_config_selectorIijEEZZNS1_16scan_by_key_implILNS1_25lookback_scan_determinismE0ELb1ES3_N6thrust23THRUST_200600_302600_NS6detail15normal_iteratorINS9_10device_ptrIiEEEENSB_INSC_IjEEEESG_jNS9_4plusIvEENS9_8equal_toIvEEjEE10hipError_tPvRmT2_T3_T4_T5_mT6_T7_P12ihipStream_tbENKUlT_T0_E_clISt17integral_constantIbLb0EES10_IbLb1EEEEDaSW_SX_EUlSW_E_NS1_11comp_targetILNS1_3genE5ELNS1_11target_archE942ELNS1_3gpuE9ELNS1_3repE0EEENS1_30default_config_static_selectorELNS0_4arch9wavefront6targetE1EEEvT1_,comdat
	.protected	_ZN7rocprim17ROCPRIM_400000_NS6detail17trampoline_kernelINS0_14default_configENS1_27scan_by_key_config_selectorIijEEZZNS1_16scan_by_key_implILNS1_25lookback_scan_determinismE0ELb1ES3_N6thrust23THRUST_200600_302600_NS6detail15normal_iteratorINS9_10device_ptrIiEEEENSB_INSC_IjEEEESG_jNS9_4plusIvEENS9_8equal_toIvEEjEE10hipError_tPvRmT2_T3_T4_T5_mT6_T7_P12ihipStream_tbENKUlT_T0_E_clISt17integral_constantIbLb0EES10_IbLb1EEEEDaSW_SX_EUlSW_E_NS1_11comp_targetILNS1_3genE5ELNS1_11target_archE942ELNS1_3gpuE9ELNS1_3repE0EEENS1_30default_config_static_selectorELNS0_4arch9wavefront6targetE1EEEvT1_ ; -- Begin function _ZN7rocprim17ROCPRIM_400000_NS6detail17trampoline_kernelINS0_14default_configENS1_27scan_by_key_config_selectorIijEEZZNS1_16scan_by_key_implILNS1_25lookback_scan_determinismE0ELb1ES3_N6thrust23THRUST_200600_302600_NS6detail15normal_iteratorINS9_10device_ptrIiEEEENSB_INSC_IjEEEESG_jNS9_4plusIvEENS9_8equal_toIvEEjEE10hipError_tPvRmT2_T3_T4_T5_mT6_T7_P12ihipStream_tbENKUlT_T0_E_clISt17integral_constantIbLb0EES10_IbLb1EEEEDaSW_SX_EUlSW_E_NS1_11comp_targetILNS1_3genE5ELNS1_11target_archE942ELNS1_3gpuE9ELNS1_3repE0EEENS1_30default_config_static_selectorELNS0_4arch9wavefront6targetE1EEEvT1_
	.globl	_ZN7rocprim17ROCPRIM_400000_NS6detail17trampoline_kernelINS0_14default_configENS1_27scan_by_key_config_selectorIijEEZZNS1_16scan_by_key_implILNS1_25lookback_scan_determinismE0ELb1ES3_N6thrust23THRUST_200600_302600_NS6detail15normal_iteratorINS9_10device_ptrIiEEEENSB_INSC_IjEEEESG_jNS9_4plusIvEENS9_8equal_toIvEEjEE10hipError_tPvRmT2_T3_T4_T5_mT6_T7_P12ihipStream_tbENKUlT_T0_E_clISt17integral_constantIbLb0EES10_IbLb1EEEEDaSW_SX_EUlSW_E_NS1_11comp_targetILNS1_3genE5ELNS1_11target_archE942ELNS1_3gpuE9ELNS1_3repE0EEENS1_30default_config_static_selectorELNS0_4arch9wavefront6targetE1EEEvT1_
	.p2align	8
	.type	_ZN7rocprim17ROCPRIM_400000_NS6detail17trampoline_kernelINS0_14default_configENS1_27scan_by_key_config_selectorIijEEZZNS1_16scan_by_key_implILNS1_25lookback_scan_determinismE0ELb1ES3_N6thrust23THRUST_200600_302600_NS6detail15normal_iteratorINS9_10device_ptrIiEEEENSB_INSC_IjEEEESG_jNS9_4plusIvEENS9_8equal_toIvEEjEE10hipError_tPvRmT2_T3_T4_T5_mT6_T7_P12ihipStream_tbENKUlT_T0_E_clISt17integral_constantIbLb0EES10_IbLb1EEEEDaSW_SX_EUlSW_E_NS1_11comp_targetILNS1_3genE5ELNS1_11target_archE942ELNS1_3gpuE9ELNS1_3repE0EEENS1_30default_config_static_selectorELNS0_4arch9wavefront6targetE1EEEvT1_,@function
_ZN7rocprim17ROCPRIM_400000_NS6detail17trampoline_kernelINS0_14default_configENS1_27scan_by_key_config_selectorIijEEZZNS1_16scan_by_key_implILNS1_25lookback_scan_determinismE0ELb1ES3_N6thrust23THRUST_200600_302600_NS6detail15normal_iteratorINS9_10device_ptrIiEEEENSB_INSC_IjEEEESG_jNS9_4plusIvEENS9_8equal_toIvEEjEE10hipError_tPvRmT2_T3_T4_T5_mT6_T7_P12ihipStream_tbENKUlT_T0_E_clISt17integral_constantIbLb0EES10_IbLb1EEEEDaSW_SX_EUlSW_E_NS1_11comp_targetILNS1_3genE5ELNS1_11target_archE942ELNS1_3gpuE9ELNS1_3repE0EEENS1_30default_config_static_selectorELNS0_4arch9wavefront6targetE1EEEvT1_: ; @_ZN7rocprim17ROCPRIM_400000_NS6detail17trampoline_kernelINS0_14default_configENS1_27scan_by_key_config_selectorIijEEZZNS1_16scan_by_key_implILNS1_25lookback_scan_determinismE0ELb1ES3_N6thrust23THRUST_200600_302600_NS6detail15normal_iteratorINS9_10device_ptrIiEEEENSB_INSC_IjEEEESG_jNS9_4plusIvEENS9_8equal_toIvEEjEE10hipError_tPvRmT2_T3_T4_T5_mT6_T7_P12ihipStream_tbENKUlT_T0_E_clISt17integral_constantIbLb0EES10_IbLb1EEEEDaSW_SX_EUlSW_E_NS1_11comp_targetILNS1_3genE5ELNS1_11target_archE942ELNS1_3gpuE9ELNS1_3repE0EEENS1_30default_config_static_selectorELNS0_4arch9wavefront6targetE1EEEvT1_
; %bb.0:
	s_load_dword s74, s[0:1], 0x20
	s_load_dwordx4 s[64:67], s[0:1], 0x28
	s_load_dwordx2 s[72:73], s[0:1], 0x38
	v_cmp_ne_u32_e64 s[4:5], 0, v0
	v_cmp_eq_u32_e64 s[52:53], 0, v0
	s_and_saveexec_b64 s[2:3], s[52:53]
	s_cbranch_execz .LBB1528_4
; %bb.1:
	s_mov_b64 s[8:9], exec
	v_mbcnt_lo_u32_b32 v1, s8, 0
	v_mbcnt_hi_u32_b32 v1, s9, v1
	v_cmp_eq_u32_e32 vcc, 0, v1
                                        ; implicit-def: $vgpr2
	s_and_saveexec_b64 s[6:7], vcc
	s_cbranch_execz .LBB1528_3
; %bb.2:
	s_load_dwordx2 s[10:11], s[0:1], 0x68
	s_bcnt1_i32_b64 s8, s[8:9]
	v_mov_b32_e32 v2, 0
	v_mov_b32_e32 v3, s8
	s_waitcnt lgkmcnt(0)
	global_atomic_add v2, v2, v3, s[10:11] sc0
.LBB1528_3:
	s_or_b64 exec, exec, s[6:7]
	s_waitcnt vmcnt(0)
	v_readfirstlane_b32 s6, v2
	v_mov_b32_e32 v2, 0
	s_nop 0
	v_add_u32_e32 v1, s6, v1
	ds_write_b32 v2, v1
.LBB1528_4:
	s_or_b64 exec, exec, s[2:3]
	s_load_dwordx8 s[56:63], s[0:1], 0x0
	s_load_dword s2, s[0:1], 0x40
	s_load_dwordx4 s[68:71], s[0:1], 0x48
	v_mov_b32_e32 v7, 0
	s_waitcnt lgkmcnt(0)
	s_lshl_b64 s[54:55], s[58:59], 2
	s_barrier
	ds_read_b32 v6, v7
	s_add_u32 s0, s56, s54
	s_addc_u32 s1, s57, s55
	s_add_u32 s6, s60, s54
	s_mul_i32 s3, s73, s2
	s_mul_hi_u32 s8, s72, s2
	s_addc_u32 s7, s61, s55
	s_add_i32 s3, s8, s3
	s_movk_i32 s8, 0x1700
	s_waitcnt lgkmcnt(0)
	v_mul_lo_u32 v2, v6, s8
	v_mov_b32_e32 v3, v7
	v_lshlrev_b64 v[10:11], 2, v[2:3]
	s_mul_i32 s2, s72, s2
	v_lshl_add_u64 v[2:3], s[6:7], 0, v[10:11]
	s_add_u32 s6, s68, -1
	v_readfirstlane_b32 s67, v6
	v_lshl_add_u64 v[6:7], s[2:3], 0, v[6:7]
	s_addc_u32 s7, s69, -1
	v_cmp_le_u64_e64 s[2:3], s[6:7], v[6:7]
	v_lshl_add_u64 v[4:5], s[0:1], 0, v[10:11]
	s_mov_b64 s[0:1], -1
	s_and_b64 vcc, exec, s[2:3]
	s_mul_i32 s33, s6, 0xffffe900
	s_barrier
	s_barrier
	s_cbranch_vccz .LBB1528_75
; %bb.5:
	flat_load_dword v1, v[4:5]
	s_add_i32 s60, s33, s66
	v_cmp_gt_u32_e32 vcc, s60, v0
	s_waitcnt vmcnt(0) lgkmcnt(0)
	v_mov_b32_e32 v8, v1
	s_and_saveexec_b64 s[0:1], vcc
	s_cbranch_execz .LBB1528_7
; %bb.6:
	v_lshlrev_b32_e32 v6, 2, v0
	v_mov_b32_e32 v7, 0
	v_lshl_add_u64 v[6:7], v[4:5], 0, v[6:7]
	flat_load_dword v8, v[6:7]
.LBB1528_7:
	s_or_b64 exec, exec, s[0:1]
	v_or_b32_e32 v6, 0x100, v0
	v_cmp_gt_u32_e64 s[6:7], s60, v6
	v_mov_b32_e32 v9, v1
	s_and_saveexec_b64 s[0:1], s[6:7]
	s_cbranch_execz .LBB1528_9
; %bb.8:
	v_lshlrev_b32_e32 v6, 2, v0
	v_mov_b32_e32 v7, 0
	v_lshl_add_u64 v[6:7], v[4:5], 0, v[6:7]
	flat_load_dword v9, v[6:7] offset:1024
.LBB1528_9:
	s_or_b64 exec, exec, s[0:1]
	v_or_b32_e32 v6, 0x200, v0
	v_cmp_gt_u32_e64 s[8:9], s60, v6
	v_mov_b32_e32 v49, v1
	s_and_saveexec_b64 s[0:1], s[8:9]
	s_cbranch_execz .LBB1528_11
; %bb.10:
	v_lshlrev_b32_e32 v6, 2, v0
	v_mov_b32_e32 v7, 0
	v_lshl_add_u64 v[6:7], v[4:5], 0, v[6:7]
	flat_load_dword v49, v[6:7] offset:2048
.LBB1528_11:
	;; [unrolled: 12-line block ×3, first 2 shown]
	s_or_b64 exec, exec, s[0:1]
	v_or_b32_e32 v6, 0x400, v0
	v_cmp_gt_u32_e64 s[12:13], s60, v6
	v_lshlrev_b32_e32 v6, 2, v6
	v_mov_b32_e32 v7, v1
	s_and_saveexec_b64 s[0:1], s[12:13]
	s_cbranch_execz .LBB1528_15
; %bb.14:
	v_mov_b32_e32 v7, 0
	v_lshl_add_u64 v[12:13], v[4:5], 0, v[6:7]
	flat_load_dword v7, v[12:13]
.LBB1528_15:
	s_or_b64 exec, exec, s[0:1]
	v_or_b32_e32 v12, 0x500, v0
	v_cmp_gt_u32_e64 s[14:15], s60, v12
	v_lshlrev_b32_e32 v12, 2, v12
	v_mov_b32_e32 v13, v1
	s_and_saveexec_b64 s[0:1], s[14:15]
	s_cbranch_execz .LBB1528_17
; %bb.16:
	v_mov_b32_e32 v13, 0
	v_lshl_add_u64 v[14:15], v[4:5], 0, v[12:13]
	flat_load_dword v13, v[14:15]
.LBB1528_17:
	;; [unrolled: 12-line block ×18, first 2 shown]
	s_or_b64 exec, exec, s[0:1]
	v_or_b32_e32 v46, 0x1600, v0
	v_cmp_gt_u32_e64 s[50:51], s60, v46
	v_lshlrev_b32_e32 v46, 2, v46
	s_and_saveexec_b64 s[0:1], s[50:51]
	s_cbranch_execz .LBB1528_51
; %bb.50:
	v_mov_b32_e32 v47, 0
	v_lshl_add_u64 v[52:53], v[4:5], 0, v[46:47]
	flat_load_dword v1, v[52:53]
.LBB1528_51:
	s_or_b64 exec, exec, s[0:1]
	v_lshlrev_b32_e32 v48, 2, v0
	s_waitcnt vmcnt(0) lgkmcnt(0)
	ds_write2st64_b32 v48, v8, v9 offset1:4
	ds_write2st64_b32 v48, v49, v50 offset0:8 offset1:12
	ds_write2st64_b32 v48, v7, v13 offset0:16 offset1:20
	;; [unrolled: 1-line block ×10, first 2 shown]
	ds_write_b32 v48, v1 offset:22528
	s_waitcnt lgkmcnt(0)
	s_barrier
	flat_load_dword v1, v[4:5]
	s_movk_i32 s0, 0x58
	v_mad_u32_u24 v76, v0, s0, v48
	s_movk_i32 s0, 0xffa8
	v_mad_i32_i24 v7, v0, s0, v76
	s_movk_i32 s0, 0xff
	v_cmp_ne_u32_e64 s[0:1], s0, v0
	ds_read_b32 v78, v76
	ds_read2_b32 v[74:75], v76 offset0:1 offset1:2
	ds_read2_b32 v[72:73], v76 offset0:3 offset1:4
	;; [unrolled: 1-line block ×11, first 2 shown]
	s_waitcnt lgkmcnt(0)
	ds_write_b32 v7, v78 offset:24576
	s_waitcnt lgkmcnt(0)
	s_barrier
	s_and_saveexec_b64 s[56:57], s[0:1]
	s_cbranch_execz .LBB1528_53
; %bb.52:
	s_waitcnt vmcnt(0)
	ds_read_b32 v1, v48 offset:24580
.LBB1528_53:
	s_or_b64 exec, exec, s[56:57]
	v_mov_b32_e32 v49, 0
	s_waitcnt lgkmcnt(0)
	s_barrier
	s_waitcnt lgkmcnt(0)
                                        ; implicit-def: $vgpr50
	s_and_saveexec_b64 s[0:1], vcc
	s_cbranch_execz .LBB1528_76
; %bb.54:
	v_lshl_add_u64 v[50:51], v[2:3], 0, v[48:49]
	flat_load_dword v50, v[50:51]
	s_or_b64 exec, exec, s[0:1]
                                        ; implicit-def: $vgpr51
	s_and_saveexec_b64 s[0:1], s[6:7]
	s_cbranch_execnz .LBB1528_77
.LBB1528_55:
	s_or_b64 exec, exec, s[0:1]
                                        ; implicit-def: $vgpr52
	s_and_saveexec_b64 s[0:1], s[8:9]
	s_cbranch_execz .LBB1528_78
.LBB1528_56:
	v_mov_b32_e32 v49, 0
	v_lshl_add_u64 v[52:53], v[2:3], 0, v[48:49]
	flat_load_dword v52, v[52:53] offset:2048
	s_or_b64 exec, exec, s[0:1]
                                        ; implicit-def: $vgpr49
	s_and_saveexec_b64 s[0:1], s[10:11]
	s_cbranch_execnz .LBB1528_79
.LBB1528_57:
	s_or_b64 exec, exec, s[0:1]
                                        ; implicit-def: $vgpr7
	s_and_saveexec_b64 s[0:1], s[12:13]
	s_cbranch_execz .LBB1528_80
.LBB1528_58:
	v_mov_b32_e32 v7, 0
	v_lshl_add_u64 v[6:7], v[2:3], 0, v[6:7]
	flat_load_dword v7, v[6:7]
	s_or_b64 exec, exec, s[0:1]
                                        ; implicit-def: $vgpr6
	s_and_saveexec_b64 s[0:1], s[14:15]
	s_cbranch_execnz .LBB1528_81
.LBB1528_59:
	s_or_b64 exec, exec, s[0:1]
                                        ; implicit-def: $vgpr12
	s_and_saveexec_b64 s[0:1], s[16:17]
	s_cbranch_execz .LBB1528_82
.LBB1528_60:
	v_mov_b32_e32 v15, 0
	v_lshl_add_u64 v[12:13], v[2:3], 0, v[14:15]
	flat_load_dword v12, v[12:13]
	s_or_b64 exec, exec, s[0:1]
                                        ; implicit-def: $vgpr13
	s_and_saveexec_b64 s[0:1], s[18:19]
	s_cbranch_execnz .LBB1528_83
.LBB1528_61:
	s_or_b64 exec, exec, s[0:1]
                                        ; implicit-def: $vgpr14
	s_and_saveexec_b64 s[0:1], s[20:21]
	s_cbranch_execz .LBB1528_84
.LBB1528_62:
	v_mov_b32_e32 v19, 0
	v_lshl_add_u64 v[14:15], v[2:3], 0, v[18:19]
	flat_load_dword v14, v[14:15]
	s_or_b64 exec, exec, s[0:1]
                                        ; implicit-def: $vgpr15
	s_and_saveexec_b64 s[0:1], s[22:23]
	s_cbranch_execnz .LBB1528_85
.LBB1528_63:
	s_or_b64 exec, exec, s[0:1]
                                        ; implicit-def: $vgpr16
	s_and_saveexec_b64 s[0:1], s[24:25]
	s_cbranch_execz .LBB1528_86
.LBB1528_64:
	v_mov_b32_e32 v23, 0
	v_lshl_add_u64 v[16:17], v[2:3], 0, v[22:23]
	flat_load_dword v16, v[16:17]
	s_or_b64 exec, exec, s[0:1]
                                        ; implicit-def: $vgpr17
	s_and_saveexec_b64 s[0:1], s[26:27]
	s_cbranch_execnz .LBB1528_87
.LBB1528_65:
	s_or_b64 exec, exec, s[0:1]
                                        ; implicit-def: $vgpr18
	s_and_saveexec_b64 s[0:1], s[28:29]
	s_cbranch_execz .LBB1528_88
.LBB1528_66:
	v_mov_b32_e32 v27, 0
	v_lshl_add_u64 v[18:19], v[2:3], 0, v[26:27]
	flat_load_dword v18, v[18:19]
	s_or_b64 exec, exec, s[0:1]
                                        ; implicit-def: $vgpr19
	s_and_saveexec_b64 s[0:1], s[30:31]
	s_cbranch_execnz .LBB1528_89
.LBB1528_67:
	s_or_b64 exec, exec, s[0:1]
                                        ; implicit-def: $vgpr20
	s_and_saveexec_b64 s[0:1], s[34:35]
	s_cbranch_execz .LBB1528_90
.LBB1528_68:
	v_mov_b32_e32 v31, 0
	v_lshl_add_u64 v[20:21], v[2:3], 0, v[30:31]
	flat_load_dword v20, v[20:21]
	s_or_b64 exec, exec, s[0:1]
                                        ; implicit-def: $vgpr21
	s_and_saveexec_b64 s[0:1], s[36:37]
	s_cbranch_execnz .LBB1528_91
.LBB1528_69:
	s_or_b64 exec, exec, s[0:1]
                                        ; implicit-def: $vgpr22
	s_and_saveexec_b64 s[0:1], s[38:39]
	s_cbranch_execz .LBB1528_92
.LBB1528_70:
	v_mov_b32_e32 v35, 0
	v_lshl_add_u64 v[22:23], v[2:3], 0, v[34:35]
	flat_load_dword v22, v[22:23]
	s_or_b64 exec, exec, s[0:1]
                                        ; implicit-def: $vgpr23
	s_and_saveexec_b64 s[0:1], s[40:41]
	s_cbranch_execnz .LBB1528_93
.LBB1528_71:
	s_or_b64 exec, exec, s[0:1]
                                        ; implicit-def: $vgpr24
	s_and_saveexec_b64 s[0:1], s[42:43]
	s_cbranch_execz .LBB1528_94
.LBB1528_72:
	v_mov_b32_e32 v39, 0
	v_lshl_add_u64 v[24:25], v[2:3], 0, v[38:39]
	flat_load_dword v24, v[24:25]
	s_or_b64 exec, exec, s[0:1]
                                        ; implicit-def: $vgpr25
	s_and_saveexec_b64 s[0:1], s[44:45]
	s_cbranch_execnz .LBB1528_95
.LBB1528_73:
	s_or_b64 exec, exec, s[0:1]
                                        ; implicit-def: $vgpr26
	s_and_saveexec_b64 s[0:1], s[46:47]
	s_cbranch_execz .LBB1528_96
.LBB1528_74:
	v_mov_b32_e32 v43, 0
	v_lshl_add_u64 v[26:27], v[2:3], 0, v[42:43]
	flat_load_dword v26, v[26:27]
	s_or_b64 exec, exec, s[0:1]
                                        ; implicit-def: $vgpr27
	s_and_saveexec_b64 s[0:1], s[48:49]
	s_cbranch_execz .LBB1528_98
	s_branch .LBB1528_97
.LBB1528_75:
	s_mov_b64 s[10:11], 0
                                        ; implicit-def: $sgpr8_sgpr9
                                        ; implicit-def: $vgpr6
                                        ; implicit-def: $vgpr12_vgpr13
                                        ; implicit-def: $vgpr14_vgpr15
                                        ; implicit-def: $vgpr16_vgpr17
                                        ; implicit-def: $vgpr18_vgpr19
                                        ; implicit-def: $vgpr20_vgpr21
                                        ; implicit-def: $vgpr22_vgpr23
                                        ; implicit-def: $vgpr24_vgpr25
                                        ; implicit-def: $vgpr26_vgpr27
                                        ; implicit-def: $vgpr28_vgpr29
                                        ; implicit-def: $vgpr30_vgpr31
                                        ; implicit-def: $vgpr32_vgpr33
                                        ; implicit-def: $vgpr34_vgpr35
                                        ; implicit-def: $vgpr36_vgpr37
                                        ; implicit-def: $vgpr38_vgpr39
                                        ; implicit-def: $vgpr40_vgpr41
                                        ; implicit-def: $vgpr42_vgpr43
                                        ; implicit-def: $vgpr44_vgpr45
                                        ; implicit-def: $vgpr46_vgpr47
                                        ; implicit-def: $vgpr48_vgpr49
                                        ; implicit-def: $vgpr50_vgpr51
                                        ; implicit-def: $vgpr52_vgpr53
                                        ; implicit-def: $vgpr54_vgpr55
                                        ; implicit-def: $sgpr6_sgpr7
	s_and_b64 vcc, exec, s[0:1]
	v_lshlrev_b32_e32 v56, 2, v0
	s_cbranch_vccz .LBB1528_152
	s_branch .LBB1528_147
.LBB1528_76:
	s_or_b64 exec, exec, s[0:1]
                                        ; implicit-def: $vgpr51
	s_and_saveexec_b64 s[0:1], s[6:7]
	s_cbranch_execz .LBB1528_55
.LBB1528_77:
	v_mov_b32_e32 v49, 0
	v_lshl_add_u64 v[52:53], v[2:3], 0, v[48:49]
	flat_load_dword v51, v[52:53] offset:1024
	s_or_b64 exec, exec, s[0:1]
                                        ; implicit-def: $vgpr52
	s_and_saveexec_b64 s[0:1], s[8:9]
	s_cbranch_execnz .LBB1528_56
.LBB1528_78:
	s_or_b64 exec, exec, s[0:1]
                                        ; implicit-def: $vgpr49
	s_and_saveexec_b64 s[0:1], s[10:11]
	s_cbranch_execz .LBB1528_57
.LBB1528_79:
	v_mov_b32_e32 v49, 0
	v_lshl_add_u64 v[54:55], v[2:3], 0, v[48:49]
	flat_load_dword v49, v[54:55] offset:3072
	s_or_b64 exec, exec, s[0:1]
                                        ; implicit-def: $vgpr7
	s_and_saveexec_b64 s[0:1], s[12:13]
	s_cbranch_execnz .LBB1528_58
.LBB1528_80:
	s_or_b64 exec, exec, s[0:1]
                                        ; implicit-def: $vgpr6
	s_and_saveexec_b64 s[0:1], s[14:15]
	s_cbranch_execz .LBB1528_59
.LBB1528_81:
	v_mov_b32_e32 v13, 0
	v_lshl_add_u64 v[12:13], v[2:3], 0, v[12:13]
	flat_load_dword v6, v[12:13]
	s_or_b64 exec, exec, s[0:1]
                                        ; implicit-def: $vgpr12
	s_and_saveexec_b64 s[0:1], s[16:17]
	s_cbranch_execnz .LBB1528_60
.LBB1528_82:
	s_or_b64 exec, exec, s[0:1]
                                        ; implicit-def: $vgpr13
	s_and_saveexec_b64 s[0:1], s[18:19]
	s_cbranch_execz .LBB1528_61
.LBB1528_83:
	v_mov_b32_e32 v17, 0
	v_lshl_add_u64 v[14:15], v[2:3], 0, v[16:17]
	flat_load_dword v13, v[14:15]
	s_or_b64 exec, exec, s[0:1]
                                        ; implicit-def: $vgpr14
	s_and_saveexec_b64 s[0:1], s[20:21]
	s_cbranch_execnz .LBB1528_62
.LBB1528_84:
	s_or_b64 exec, exec, s[0:1]
                                        ; implicit-def: $vgpr15
	s_and_saveexec_b64 s[0:1], s[22:23]
	s_cbranch_execz .LBB1528_63
.LBB1528_85:
	v_mov_b32_e32 v21, 0
	v_lshl_add_u64 v[16:17], v[2:3], 0, v[20:21]
	flat_load_dword v15, v[16:17]
	s_or_b64 exec, exec, s[0:1]
                                        ; implicit-def: $vgpr16
	s_and_saveexec_b64 s[0:1], s[24:25]
	s_cbranch_execnz .LBB1528_64
.LBB1528_86:
	s_or_b64 exec, exec, s[0:1]
                                        ; implicit-def: $vgpr17
	s_and_saveexec_b64 s[0:1], s[26:27]
	s_cbranch_execz .LBB1528_65
.LBB1528_87:
	v_mov_b32_e32 v25, 0
	v_lshl_add_u64 v[18:19], v[2:3], 0, v[24:25]
	flat_load_dword v17, v[18:19]
	s_or_b64 exec, exec, s[0:1]
                                        ; implicit-def: $vgpr18
	s_and_saveexec_b64 s[0:1], s[28:29]
	s_cbranch_execnz .LBB1528_66
.LBB1528_88:
	s_or_b64 exec, exec, s[0:1]
                                        ; implicit-def: $vgpr19
	s_and_saveexec_b64 s[0:1], s[30:31]
	s_cbranch_execz .LBB1528_67
.LBB1528_89:
	v_mov_b32_e32 v29, 0
	v_lshl_add_u64 v[20:21], v[2:3], 0, v[28:29]
	flat_load_dword v19, v[20:21]
	s_or_b64 exec, exec, s[0:1]
                                        ; implicit-def: $vgpr20
	s_and_saveexec_b64 s[0:1], s[34:35]
	s_cbranch_execnz .LBB1528_68
.LBB1528_90:
	s_or_b64 exec, exec, s[0:1]
                                        ; implicit-def: $vgpr21
	s_and_saveexec_b64 s[0:1], s[36:37]
	s_cbranch_execz .LBB1528_69
.LBB1528_91:
	v_mov_b32_e32 v33, 0
	v_lshl_add_u64 v[22:23], v[2:3], 0, v[32:33]
	flat_load_dword v21, v[22:23]
	s_or_b64 exec, exec, s[0:1]
                                        ; implicit-def: $vgpr22
	s_and_saveexec_b64 s[0:1], s[38:39]
	s_cbranch_execnz .LBB1528_70
.LBB1528_92:
	s_or_b64 exec, exec, s[0:1]
                                        ; implicit-def: $vgpr23
	s_and_saveexec_b64 s[0:1], s[40:41]
	s_cbranch_execz .LBB1528_71
.LBB1528_93:
	v_mov_b32_e32 v37, 0
	v_lshl_add_u64 v[24:25], v[2:3], 0, v[36:37]
	flat_load_dword v23, v[24:25]
	s_or_b64 exec, exec, s[0:1]
                                        ; implicit-def: $vgpr24
	s_and_saveexec_b64 s[0:1], s[42:43]
	s_cbranch_execnz .LBB1528_72
.LBB1528_94:
	s_or_b64 exec, exec, s[0:1]
                                        ; implicit-def: $vgpr25
	s_and_saveexec_b64 s[0:1], s[44:45]
	s_cbranch_execz .LBB1528_73
.LBB1528_95:
	v_mov_b32_e32 v41, 0
	v_lshl_add_u64 v[26:27], v[2:3], 0, v[40:41]
	flat_load_dword v25, v[26:27]
	s_or_b64 exec, exec, s[0:1]
                                        ; implicit-def: $vgpr26
	s_and_saveexec_b64 s[0:1], s[46:47]
	s_cbranch_execnz .LBB1528_74
.LBB1528_96:
	s_or_b64 exec, exec, s[0:1]
                                        ; implicit-def: $vgpr27
	s_and_saveexec_b64 s[0:1], s[48:49]
	s_cbranch_execz .LBB1528_98
.LBB1528_97:
	v_mov_b32_e32 v45, 0
	v_lshl_add_u64 v[28:29], v[2:3], 0, v[44:45]
	flat_load_dword v27, v[28:29]
.LBB1528_98:
	s_or_b64 exec, exec, s[0:1]
	v_mul_u32_u24_e32 v77, 23, v0
                                        ; implicit-def: $vgpr28
	s_and_saveexec_b64 s[0:1], s[50:51]
	s_cbranch_execz .LBB1528_100
; %bb.99:
	v_mov_b32_e32 v47, 0
	v_lshl_add_u64 v[28:29], v[2:3], 0, v[46:47]
	flat_load_dword v28, v[28:29]
.LBB1528_100:
	s_or_b64 exec, exec, s[0:1]
	s_waitcnt vmcnt(0) lgkmcnt(0)
	ds_write2st64_b32 v48, v50, v51 offset1:4
	ds_write2st64_b32 v48, v52, v49 offset0:8 offset1:12
	ds_write2st64_b32 v48, v7, v6 offset0:16 offset1:20
	;; [unrolled: 1-line block ×10, first 2 shown]
	ds_write_b32 v48, v28 offset:22528
	v_mov_b64_e32 v[12:13], 0
	v_cmp_gt_u32_e32 vcc, s60, v77
	s_mov_b64 s[10:11], 0
	s_mov_b64 s[0:1], 0
	v_mov_b64_e32 v[14:15], v[12:13]
	v_mov_b64_e32 v[16:17], v[12:13]
	;; [unrolled: 1-line block ×21, first 2 shown]
	s_waitcnt lgkmcnt(0)
	s_barrier
	s_waitcnt lgkmcnt(0)
                                        ; implicit-def: $sgpr8_sgpr9
                                        ; implicit-def: $vgpr6
	s_and_saveexec_b64 s[6:7], vcc
	s_cbranch_execz .LBB1528_146
; %bb.101:
	ds_read_b32 v6, v76
	v_mov_b32_e32 v12, s74
	v_cmp_eq_u32_e32 vcc, v78, v74
	v_add_u32_e32 v7, 1, v77
	v_mov_b64_e32 v[14:15], 0
	s_waitcnt lgkmcnt(0)
	v_cndmask_b32_e32 v12, v12, v6, vcc
	v_cmp_ne_u32_e32 vcc, v78, v74
	s_mov_b64 s[12:13], 0
	v_mov_b64_e32 v[16:17], v[14:15]
	v_cndmask_b32_e64 v13, 0, 1, vcc
	v_cmp_gt_u32_e32 vcc, s60, v7
	v_mov_b64_e32 v[18:19], v[14:15]
	v_mov_b64_e32 v[20:21], v[14:15]
	v_mov_b64_e32 v[22:23], v[14:15]
	v_mov_b64_e32 v[24:25], v[14:15]
	v_mov_b64_e32 v[26:27], v[14:15]
	v_mov_b64_e32 v[28:29], v[14:15]
	v_mov_b64_e32 v[30:31], v[14:15]
	v_mov_b64_e32 v[32:33], v[14:15]
	v_mov_b64_e32 v[34:35], v[14:15]
	v_mov_b64_e32 v[36:37], v[14:15]
	v_mov_b64_e32 v[38:39], v[14:15]
	v_mov_b64_e32 v[40:41], v[14:15]
	v_mov_b64_e32 v[42:43], v[14:15]
	v_mov_b64_e32 v[44:45], v[14:15]
	v_mov_b64_e32 v[46:47], v[14:15]
	v_mov_b64_e32 v[48:49], v[14:15]
	v_mov_b64_e32 v[50:51], v[14:15]
	v_mov_b64_e32 v[52:53], v[14:15]
	v_mov_b64_e32 v[54:55], v[14:15]
                                        ; implicit-def: $sgpr14_sgpr15
                                        ; implicit-def: $vgpr6
	s_and_saveexec_b64 s[8:9], vcc
	s_cbranch_execz .LBB1528_145
; %bb.102:
	ds_read2_b32 v[6:7], v76 offset0:1 offset1:2
	v_mov_b32_e32 v14, s74
	v_cmp_eq_u32_e32 vcc, v74, v75
	v_add_u32_e32 v16, 2, v77
	s_mov_b64 s[14:15], 0
	s_waitcnt lgkmcnt(0)
	v_cndmask_b32_e32 v14, v14, v6, vcc
	v_cmp_ne_u32_e32 vcc, v74, v75
                                        ; implicit-def: $sgpr16_sgpr17
                                        ; implicit-def: $vgpr6
	s_nop 1
	v_cndmask_b32_e64 v15, 0, 1, vcc
	v_cmp_gt_u32_e32 vcc, s60, v16
	v_mov_b64_e32 v[16:17], 0
	v_mov_b64_e32 v[18:19], v[16:17]
	;; [unrolled: 1-line block ×20, first 2 shown]
	s_and_saveexec_b64 s[10:11], vcc
	s_cbranch_execz .LBB1528_144
; %bb.103:
	v_mov_b32_e32 v16, s74
	v_cmp_eq_u32_e32 vcc, v75, v72
	v_add_u32_e32 v6, 3, v77
	v_mov_b64_e32 v[18:19], 0
	v_cndmask_b32_e32 v16, v16, v7, vcc
	v_cmp_ne_u32_e32 vcc, v75, v72
	s_mov_b64 s[16:17], 0
	v_mov_b64_e32 v[20:21], v[18:19]
	v_cndmask_b32_e64 v17, 0, 1, vcc
	v_cmp_gt_u32_e32 vcc, s60, v6
	v_mov_b64_e32 v[22:23], v[18:19]
	v_mov_b64_e32 v[24:25], v[18:19]
	;; [unrolled: 1-line block ×17, first 2 shown]
                                        ; implicit-def: $sgpr18_sgpr19
                                        ; implicit-def: $vgpr6
	s_and_saveexec_b64 s[12:13], vcc
	s_cbranch_execz .LBB1528_143
; %bb.104:
	ds_read2_b32 v[6:7], v76 offset0:3 offset1:4
	v_mov_b32_e32 v18, s74
	v_cmp_eq_u32_e32 vcc, v72, v73
	v_add_u32_e32 v20, 4, v77
	s_mov_b64 s[18:19], 0
	s_waitcnt lgkmcnt(0)
	v_cndmask_b32_e32 v18, v18, v6, vcc
	v_cmp_ne_u32_e32 vcc, v72, v73
                                        ; implicit-def: $sgpr20_sgpr21
                                        ; implicit-def: $vgpr6
	s_nop 1
	v_cndmask_b32_e64 v19, 0, 1, vcc
	v_cmp_gt_u32_e32 vcc, s60, v20
	v_mov_b64_e32 v[20:21], 0
	v_mov_b64_e32 v[22:23], v[20:21]
	;; [unrolled: 1-line block ×18, first 2 shown]
	s_and_saveexec_b64 s[14:15], vcc
	s_cbranch_execz .LBB1528_142
; %bb.105:
	v_mov_b32_e32 v20, s74
	v_cmp_eq_u32_e32 vcc, v73, v70
	v_add_u32_e32 v6, 5, v77
	v_mov_b64_e32 v[22:23], 0
	v_cndmask_b32_e32 v20, v20, v7, vcc
	v_cmp_ne_u32_e32 vcc, v73, v70
	s_mov_b64 s[20:21], 0
	v_mov_b64_e32 v[24:25], v[22:23]
	v_cndmask_b32_e64 v21, 0, 1, vcc
	v_cmp_gt_u32_e32 vcc, s60, v6
	v_mov_b64_e32 v[26:27], v[22:23]
	v_mov_b64_e32 v[28:29], v[22:23]
	;; [unrolled: 1-line block ×15, first 2 shown]
                                        ; implicit-def: $sgpr22_sgpr23
                                        ; implicit-def: $vgpr6
	s_and_saveexec_b64 s[16:17], vcc
	s_cbranch_execz .LBB1528_141
; %bb.106:
	ds_read2_b32 v[6:7], v76 offset0:5 offset1:6
	v_mov_b32_e32 v22, s74
	v_cmp_eq_u32_e32 vcc, v70, v71
	v_add_u32_e32 v24, 6, v77
	s_mov_b64 s[22:23], 0
	s_waitcnt lgkmcnt(0)
	v_cndmask_b32_e32 v22, v22, v6, vcc
	v_cmp_ne_u32_e32 vcc, v70, v71
                                        ; implicit-def: $sgpr24_sgpr25
                                        ; implicit-def: $vgpr6
	s_nop 1
	v_cndmask_b32_e64 v23, 0, 1, vcc
	v_cmp_gt_u32_e32 vcc, s60, v24
	v_mov_b64_e32 v[24:25], 0
	v_mov_b64_e32 v[26:27], v[24:25]
	;; [unrolled: 1-line block ×16, first 2 shown]
	s_and_saveexec_b64 s[18:19], vcc
	s_cbranch_execz .LBB1528_140
; %bb.107:
	v_mov_b32_e32 v24, s74
	v_cmp_eq_u32_e32 vcc, v71, v68
	v_add_u32_e32 v6, 7, v77
	v_mov_b64_e32 v[26:27], 0
	v_cndmask_b32_e32 v24, v24, v7, vcc
	v_cmp_ne_u32_e32 vcc, v71, v68
	s_mov_b64 s[24:25], 0
	v_mov_b64_e32 v[28:29], v[26:27]
	v_cndmask_b32_e64 v25, 0, 1, vcc
	v_cmp_gt_u32_e32 vcc, s60, v6
	v_mov_b64_e32 v[30:31], v[26:27]
	v_mov_b64_e32 v[32:33], v[26:27]
	;; [unrolled: 1-line block ×13, first 2 shown]
                                        ; implicit-def: $sgpr26_sgpr27
                                        ; implicit-def: $vgpr6
	s_and_saveexec_b64 s[20:21], vcc
	s_cbranch_execz .LBB1528_139
; %bb.108:
	ds_read2_b32 v[6:7], v76 offset0:7 offset1:8
	v_mov_b32_e32 v26, s74
	v_cmp_eq_u32_e32 vcc, v68, v69
	v_add_u32_e32 v28, 8, v77
	s_mov_b64 s[26:27], 0
	s_waitcnt lgkmcnt(0)
	v_cndmask_b32_e32 v26, v26, v6, vcc
	v_cmp_ne_u32_e32 vcc, v68, v69
                                        ; implicit-def: $sgpr28_sgpr29
                                        ; implicit-def: $vgpr6
	s_nop 1
	v_cndmask_b32_e64 v27, 0, 1, vcc
	v_cmp_gt_u32_e32 vcc, s60, v28
	v_mov_b64_e32 v[28:29], 0
	v_mov_b64_e32 v[30:31], v[28:29]
	;; [unrolled: 1-line block ×14, first 2 shown]
	s_and_saveexec_b64 s[22:23], vcc
	s_cbranch_execz .LBB1528_138
; %bb.109:
	v_mov_b32_e32 v28, s74
	v_cmp_eq_u32_e32 vcc, v69, v66
	v_add_u32_e32 v6, 9, v77
	v_mov_b64_e32 v[30:31], 0
	v_cndmask_b32_e32 v28, v28, v7, vcc
	v_cmp_ne_u32_e32 vcc, v69, v66
	s_mov_b64 s[28:29], 0
	v_mov_b64_e32 v[32:33], v[30:31]
	v_cndmask_b32_e64 v29, 0, 1, vcc
	v_cmp_gt_u32_e32 vcc, s60, v6
	v_mov_b64_e32 v[34:35], v[30:31]
	v_mov_b64_e32 v[36:37], v[30:31]
	;; [unrolled: 1-line block ×11, first 2 shown]
                                        ; implicit-def: $sgpr30_sgpr31
                                        ; implicit-def: $vgpr6
	s_and_saveexec_b64 s[24:25], vcc
	s_cbranch_execz .LBB1528_137
; %bb.110:
	ds_read2_b32 v[6:7], v76 offset0:9 offset1:10
	v_mov_b32_e32 v30, s74
	v_cmp_eq_u32_e32 vcc, v66, v67
	v_add_u32_e32 v32, 10, v77
	s_mov_b64 s[30:31], 0
	s_waitcnt lgkmcnt(0)
	v_cndmask_b32_e32 v30, v30, v6, vcc
	v_cmp_ne_u32_e32 vcc, v66, v67
                                        ; implicit-def: $sgpr34_sgpr35
                                        ; implicit-def: $vgpr6
	s_nop 1
	v_cndmask_b32_e64 v31, 0, 1, vcc
	v_cmp_gt_u32_e32 vcc, s60, v32
	v_mov_b64_e32 v[32:33], 0
	v_mov_b64_e32 v[34:35], v[32:33]
	v_mov_b64_e32 v[36:37], v[32:33]
	v_mov_b64_e32 v[38:39], v[32:33]
	v_mov_b64_e32 v[40:41], v[32:33]
	v_mov_b64_e32 v[42:43], v[32:33]
	v_mov_b64_e32 v[44:45], v[32:33]
	v_mov_b64_e32 v[46:47], v[32:33]
	v_mov_b64_e32 v[48:49], v[32:33]
	v_mov_b64_e32 v[50:51], v[32:33]
	v_mov_b64_e32 v[52:53], v[32:33]
	v_mov_b64_e32 v[54:55], v[32:33]
	s_and_saveexec_b64 s[26:27], vcc
	s_cbranch_execz .LBB1528_136
; %bb.111:
	v_mov_b32_e32 v32, s74
	v_cmp_eq_u32_e32 vcc, v67, v64
	v_add_u32_e32 v6, 11, v77
	v_mov_b64_e32 v[34:35], 0
	v_cndmask_b32_e32 v32, v32, v7, vcc
	v_cmp_ne_u32_e32 vcc, v67, v64
	s_mov_b64 s[34:35], 0
	v_mov_b64_e32 v[36:37], v[34:35]
	v_cndmask_b32_e64 v33, 0, 1, vcc
	v_cmp_gt_u32_e32 vcc, s60, v6
	v_mov_b64_e32 v[38:39], v[34:35]
	v_mov_b64_e32 v[40:41], v[34:35]
	;; [unrolled: 1-line block ×9, first 2 shown]
                                        ; implicit-def: $sgpr36_sgpr37
                                        ; implicit-def: $vgpr6
	s_and_saveexec_b64 s[28:29], vcc
	s_cbranch_execz .LBB1528_135
; %bb.112:
	ds_read2_b32 v[6:7], v76 offset0:11 offset1:12
	v_mov_b32_e32 v34, s74
	v_cmp_eq_u32_e32 vcc, v64, v65
	v_add_u32_e32 v36, 12, v77
	s_mov_b64 s[36:37], 0
	s_waitcnt lgkmcnt(0)
	v_cndmask_b32_e32 v34, v34, v6, vcc
	v_cmp_ne_u32_e32 vcc, v64, v65
                                        ; implicit-def: $sgpr38_sgpr39
                                        ; implicit-def: $vgpr6
	s_nop 1
	v_cndmask_b32_e64 v35, 0, 1, vcc
	v_cmp_gt_u32_e32 vcc, s60, v36
	v_mov_b64_e32 v[36:37], 0
	v_mov_b64_e32 v[38:39], v[36:37]
	;; [unrolled: 1-line block ×10, first 2 shown]
	s_and_saveexec_b64 s[30:31], vcc
	s_cbranch_execz .LBB1528_134
; %bb.113:
	v_mov_b32_e32 v36, s74
	v_cmp_eq_u32_e32 vcc, v65, v62
	v_add_u32_e32 v6, 13, v77
	v_mov_b64_e32 v[38:39], 0
	v_cndmask_b32_e32 v36, v36, v7, vcc
	v_cmp_ne_u32_e32 vcc, v65, v62
	s_mov_b64 s[38:39], 0
	v_mov_b64_e32 v[40:41], v[38:39]
	v_cndmask_b32_e64 v37, 0, 1, vcc
	v_cmp_gt_u32_e32 vcc, s60, v6
	v_mov_b64_e32 v[42:43], v[38:39]
	v_mov_b64_e32 v[44:45], v[38:39]
	;; [unrolled: 1-line block ×7, first 2 shown]
                                        ; implicit-def: $sgpr40_sgpr41
                                        ; implicit-def: $vgpr6
	s_and_saveexec_b64 s[34:35], vcc
	s_cbranch_execz .LBB1528_133
; %bb.114:
	ds_read2_b32 v[6:7], v76 offset0:13 offset1:14
	v_mov_b32_e32 v38, s74
	v_cmp_eq_u32_e32 vcc, v62, v63
	v_add_u32_e32 v40, 14, v77
	s_mov_b64 s[40:41], 0
	s_waitcnt lgkmcnt(0)
	v_cndmask_b32_e32 v38, v38, v6, vcc
	v_cmp_ne_u32_e32 vcc, v62, v63
                                        ; implicit-def: $sgpr42_sgpr43
                                        ; implicit-def: $vgpr6
	s_nop 1
	v_cndmask_b32_e64 v39, 0, 1, vcc
	v_cmp_gt_u32_e32 vcc, s60, v40
	v_mov_b64_e32 v[40:41], 0
	v_mov_b64_e32 v[42:43], v[40:41]
	;; [unrolled: 1-line block ×8, first 2 shown]
	s_and_saveexec_b64 s[36:37], vcc
	s_cbranch_execz .LBB1528_132
; %bb.115:
	v_mov_b32_e32 v40, s74
	v_cmp_eq_u32_e32 vcc, v63, v60
	v_add_u32_e32 v6, 15, v77
	v_mov_b64_e32 v[42:43], 0
	v_cndmask_b32_e32 v40, v40, v7, vcc
	v_cmp_ne_u32_e32 vcc, v63, v60
	s_mov_b64 s[42:43], 0
	v_mov_b64_e32 v[44:45], v[42:43]
	v_cndmask_b32_e64 v41, 0, 1, vcc
	v_cmp_gt_u32_e32 vcc, s60, v6
	v_mov_b64_e32 v[46:47], v[42:43]
	v_mov_b64_e32 v[48:49], v[42:43]
	;; [unrolled: 1-line block ×5, first 2 shown]
                                        ; implicit-def: $sgpr44_sgpr45
                                        ; implicit-def: $vgpr6
	s_and_saveexec_b64 s[38:39], vcc
	s_cbranch_execz .LBB1528_131
; %bb.116:
	ds_read2_b32 v[6:7], v76 offset0:15 offset1:16
	v_mov_b32_e32 v42, s74
	v_cmp_eq_u32_e32 vcc, v60, v61
	v_add_u32_e32 v44, 16, v77
	s_mov_b64 s[44:45], 0
	s_waitcnt lgkmcnt(0)
	v_cndmask_b32_e32 v42, v42, v6, vcc
	v_cmp_ne_u32_e32 vcc, v60, v61
                                        ; implicit-def: $sgpr46_sgpr47
                                        ; implicit-def: $vgpr6
	s_nop 1
	v_cndmask_b32_e64 v43, 0, 1, vcc
	v_cmp_gt_u32_e32 vcc, s60, v44
	v_mov_b64_e32 v[44:45], 0
	v_mov_b64_e32 v[46:47], v[44:45]
	;; [unrolled: 1-line block ×6, first 2 shown]
	s_and_saveexec_b64 s[40:41], vcc
	s_cbranch_execz .LBB1528_130
; %bb.117:
	v_mov_b32_e32 v44, s74
	v_cmp_eq_u32_e32 vcc, v61, v58
	v_add_u32_e32 v6, 17, v77
	v_mov_b64_e32 v[46:47], 0
	v_cndmask_b32_e32 v44, v44, v7, vcc
	v_cmp_ne_u32_e32 vcc, v61, v58
	s_mov_b64 s[46:47], 0
	v_mov_b64_e32 v[48:49], v[46:47]
	v_cndmask_b32_e64 v45, 0, 1, vcc
	v_cmp_gt_u32_e32 vcc, s60, v6
	v_mov_b64_e32 v[50:51], v[46:47]
	v_mov_b64_e32 v[52:53], v[46:47]
	;; [unrolled: 1-line block ×3, first 2 shown]
                                        ; implicit-def: $sgpr48_sgpr49
                                        ; implicit-def: $vgpr6
	s_and_saveexec_b64 s[42:43], vcc
	s_cbranch_execz .LBB1528_129
; %bb.118:
	ds_read2_b32 v[6:7], v76 offset0:17 offset1:18
	v_mov_b32_e32 v46, s74
	v_cmp_eq_u32_e32 vcc, v58, v59
	v_add_u32_e32 v48, 18, v77
	s_mov_b64 s[48:49], 0
	s_waitcnt lgkmcnt(0)
	v_cndmask_b32_e32 v46, v46, v6, vcc
	v_cmp_ne_u32_e32 vcc, v58, v59
                                        ; implicit-def: $sgpr50_sgpr51
                                        ; implicit-def: $vgpr6
	s_nop 1
	v_cndmask_b32_e64 v47, 0, 1, vcc
	v_cmp_gt_u32_e32 vcc, s60, v48
	v_mov_b64_e32 v[48:49], 0
	v_mov_b64_e32 v[50:51], v[48:49]
	;; [unrolled: 1-line block ×4, first 2 shown]
	s_and_saveexec_b64 s[44:45], vcc
	s_cbranch_execz .LBB1528_128
; %bb.119:
	v_mov_b32_e32 v48, s74
	v_cmp_eq_u32_e32 vcc, v59, v56
	v_add_u32_e32 v6, 19, v77
	v_mov_b64_e32 v[50:51], 0
	v_cndmask_b32_e32 v48, v48, v7, vcc
	v_cmp_ne_u32_e32 vcc, v59, v56
	s_mov_b64 s[50:51], 0
	v_mov_b64_e32 v[52:53], v[50:51]
	v_cndmask_b32_e64 v49, 0, 1, vcc
	v_cmp_gt_u32_e32 vcc, s60, v6
	v_mov_b64_e32 v[54:55], v[50:51]
                                        ; implicit-def: $sgpr56_sgpr57
                                        ; implicit-def: $vgpr6
	s_and_saveexec_b64 s[46:47], vcc
	s_cbranch_execz .LBB1528_127
; %bb.120:
	ds_read2_b32 v[6:7], v76 offset0:19 offset1:20
	v_mov_b32_e32 v50, s74
	v_cmp_eq_u32_e32 vcc, v56, v57
	v_add_u32_e32 v52, 20, v77
	s_mov_b64 s[56:57], 0
	s_waitcnt lgkmcnt(0)
	v_cndmask_b32_e32 v50, v50, v6, vcc
	v_cmp_ne_u32_e32 vcc, v56, v57
                                        ; implicit-def: $sgpr58_sgpr59
                                        ; implicit-def: $vgpr6
	s_nop 1
	v_cndmask_b32_e64 v51, 0, 1, vcc
	v_cmp_gt_u32_e32 vcc, s60, v52
	v_mov_b64_e32 v[52:53], 0
	v_mov_b64_e32 v[54:55], v[52:53]
	s_and_saveexec_b64 s[48:49], vcc
	s_cbranch_execz .LBB1528_126
; %bb.121:
	v_mov_b32_e32 v52, s74
	v_cmp_eq_u32_e32 vcc, v57, v8
	v_add_u32_e32 v6, 21, v77
	v_mov_b64_e32 v[54:55], 0
	v_cndmask_b32_e32 v52, v52, v7, vcc
	v_cmp_ne_u32_e32 vcc, v57, v8
                                        ; implicit-def: $sgpr58_sgpr59
	s_nop 1
	v_cndmask_b32_e64 v53, 0, 1, vcc
	v_cmp_gt_u32_e32 vcc, s60, v6
                                        ; implicit-def: $vgpr6
	s_and_saveexec_b64 s[50:51], vcc
	s_cbranch_execz .LBB1528_125
; %bb.122:
	ds_read2_b32 v[6:7], v76 offset0:21 offset1:22
	v_mov_b32_e32 v54, s74
	v_cmp_eq_u32_e32 vcc, v8, v9
	v_add_u32_e32 v56, 22, v77
                                        ; implicit-def: $sgpr58_sgpr59
	s_waitcnt lgkmcnt(0)
	v_cndmask_b32_e32 v54, v54, v6, vcc
	v_cmp_ne_u32_e32 vcc, v8, v9
                                        ; implicit-def: $vgpr6
	s_nop 1
	v_cndmask_b32_e64 v55, 0, 1, vcc
	v_cmp_gt_u32_e32 vcc, s60, v56
	s_and_saveexec_b64 s[60:61], vcc
	s_xor_b64 s[60:61], exec, s[60:61]
; %bb.123:
	v_mov_b32_e32 v6, s74
	v_cmp_ne_u32_e32 vcc, v9, v1
	s_mov_b64 s[56:57], exec
	s_and_b64 s[58:59], vcc, exec
	v_cndmask_b32_e32 v6, v7, v6, vcc
; %bb.124:
	s_or_b64 exec, exec, s[60:61]
	s_and_b64 s[58:59], s[58:59], exec
	s_and_b64 s[56:57], s[56:57], exec
.LBB1528_125:
	s_or_b64 exec, exec, s[50:51]
	s_and_b64 s[58:59], s[58:59], exec
	s_and_b64 s[50:51], s[56:57], exec
.LBB1528_126:
	s_or_b64 exec, exec, s[48:49]
	s_and_b64 s[56:57], s[58:59], exec
	s_and_b64 s[48:49], s[50:51], exec
.LBB1528_127:
	s_or_b64 exec, exec, s[46:47]
	s_and_b64 s[50:51], s[56:57], exec
	s_and_b64 s[46:47], s[48:49], exec
.LBB1528_128:
	s_or_b64 exec, exec, s[44:45]
	s_and_b64 s[48:49], s[50:51], exec
	s_and_b64 s[44:45], s[46:47], exec
.LBB1528_129:
	s_or_b64 exec, exec, s[42:43]
	s_and_b64 s[46:47], s[48:49], exec
	s_and_b64 s[42:43], s[44:45], exec
.LBB1528_130:
	s_or_b64 exec, exec, s[40:41]
	s_and_b64 s[44:45], s[46:47], exec
	s_and_b64 s[40:41], s[42:43], exec
.LBB1528_131:
	s_or_b64 exec, exec, s[38:39]
	s_and_b64 s[42:43], s[44:45], exec
	s_and_b64 s[38:39], s[40:41], exec
.LBB1528_132:
	s_or_b64 exec, exec, s[36:37]
	s_and_b64 s[40:41], s[42:43], exec
	s_and_b64 s[36:37], s[38:39], exec
.LBB1528_133:
	s_or_b64 exec, exec, s[34:35]
	s_and_b64 s[38:39], s[40:41], exec
	s_and_b64 s[34:35], s[36:37], exec
.LBB1528_134:
	s_or_b64 exec, exec, s[30:31]
	s_and_b64 s[36:37], s[38:39], exec
	s_and_b64 s[30:31], s[34:35], exec
.LBB1528_135:
	s_or_b64 exec, exec, s[28:29]
	s_and_b64 s[34:35], s[36:37], exec
	s_and_b64 s[28:29], s[30:31], exec
.LBB1528_136:
	s_or_b64 exec, exec, s[26:27]
	s_and_b64 s[30:31], s[34:35], exec
	s_and_b64 s[26:27], s[28:29], exec
.LBB1528_137:
	s_or_b64 exec, exec, s[24:25]
	s_and_b64 s[28:29], s[30:31], exec
	s_and_b64 s[24:25], s[26:27], exec
.LBB1528_138:
	s_or_b64 exec, exec, s[22:23]
	s_and_b64 s[26:27], s[28:29], exec
	s_and_b64 s[22:23], s[24:25], exec
.LBB1528_139:
	s_or_b64 exec, exec, s[20:21]
	s_and_b64 s[24:25], s[26:27], exec
	s_and_b64 s[20:21], s[22:23], exec
.LBB1528_140:
	s_or_b64 exec, exec, s[18:19]
	s_and_b64 s[22:23], s[24:25], exec
	s_and_b64 s[18:19], s[20:21], exec
.LBB1528_141:
	s_or_b64 exec, exec, s[16:17]
	s_and_b64 s[20:21], s[22:23], exec
	s_and_b64 s[16:17], s[18:19], exec
.LBB1528_142:
	s_or_b64 exec, exec, s[14:15]
	s_and_b64 s[18:19], s[20:21], exec
	s_and_b64 s[14:15], s[16:17], exec
.LBB1528_143:
	s_or_b64 exec, exec, s[12:13]
	s_and_b64 s[16:17], s[18:19], exec
	s_and_b64 s[12:13], s[14:15], exec
.LBB1528_144:
	s_or_b64 exec, exec, s[10:11]
	s_and_b64 s[14:15], s[16:17], exec
	s_and_b64 s[10:11], s[12:13], exec
.LBB1528_145:
	s_or_b64 exec, exec, s[8:9]
	s_and_b64 s[8:9], s[14:15], exec
	s_and_b64 s[10:11], s[10:11], exec
.LBB1528_146:
	s_or_b64 exec, exec, s[6:7]
	s_mov_b64 s[6:7], 0
	s_and_b64 vcc, exec, s[0:1]
	v_lshlrev_b32_e32 v56, 2, v0
	s_cbranch_vccz .LBB1528_152
.LBB1528_147:
	v_mov_b32_e32 v57, 0
	v_lshl_add_u64 v[6:7], v[4:5], 0, v[56:57]
	v_add_co_u32_e32 v8, vcc, 0x1000, v6
	s_movk_i32 s6, 0x58
	s_nop 0
	v_addc_co_u32_e32 v9, vcc, 0, v7, vcc
	flat_load_dword v1, v[6:7]
	flat_load_dword v14, v[6:7] offset:1024
	flat_load_dword v15, v[6:7] offset:2048
	;; [unrolled: 1-line block ×3, first 2 shown]
	flat_load_dword v17, v[8:9]
	flat_load_dword v18, v[8:9] offset:1024
	flat_load_dword v19, v[8:9] offset:2048
	;; [unrolled: 1-line block ×3, first 2 shown]
	v_add_co_u32_e32 v8, vcc, 0x2000, v6
	s_movk_i32 s11, 0x1000
	s_nop 0
	v_addc_co_u32_e32 v9, vcc, 0, v7, vcc
	v_add_co_u32_e32 v12, vcc, 0x3000, v6
	s_mov_b32 s0, 0
	s_nop 0
	v_addc_co_u32_e32 v13, vcc, 0, v7, vcc
	flat_load_dword v21, v[8:9]
	flat_load_dword v22, v[8:9] offset:1024
	flat_load_dword v23, v[8:9] offset:2048
	;; [unrolled: 1-line block ×3, first 2 shown]
	flat_load_dword v25, v[12:13]
	flat_load_dword v26, v[12:13] offset:1024
	flat_load_dword v27, v[12:13] offset:2048
	;; [unrolled: 1-line block ×3, first 2 shown]
	v_add_co_u32_e32 v8, vcc, 0x4000, v6
	s_movk_i32 s10, 0x2000
	s_nop 0
	v_addc_co_u32_e32 v9, vcc, 0, v7, vcc
	v_add_co_u32_e32 v6, vcc, 0x5000, v6
	s_movk_i32 s9, 0x3000
	s_nop 0
	v_addc_co_u32_e32 v7, vcc, 0, v7, vcc
	flat_load_dword v12, v[8:9]
	flat_load_dword v13, v[8:9] offset:1024
	flat_load_dword v29, v[8:9] offset:2048
	;; [unrolled: 1-line block ×3, first 2 shown]
	flat_load_dword v31, v[6:7]
	flat_load_dword v32, v[6:7] offset:1024
	flat_load_dword v33, v[6:7] offset:2048
	v_add_co_u32_e32 v4, vcc, 0x5000, v4
	s_movk_i32 s8, 0x4000
	s_nop 0
	v_addc_co_u32_e32 v5, vcc, 0, v5, vcc
	s_movk_i32 s1, 0x5000
	s_waitcnt vmcnt(0) lgkmcnt(0)
	ds_write2st64_b32 v56, v1, v14 offset1:4
	ds_write2st64_b32 v56, v15, v16 offset0:8 offset1:12
	ds_write2st64_b32 v56, v17, v18 offset0:16 offset1:20
	;; [unrolled: 1-line block ×10, first 2 shown]
	ds_write_b32 v56, v33 offset:22528
	s_waitcnt lgkmcnt(0)
	s_barrier
	flat_load_dword v1, v[4:5] offset:3072
	v_mad_u32_u24 v14, v0, s6, v56
	s_movk_i32 s6, 0xffa8
	v_mad_i32_i24 v13, v0, s6, v14
	s_movk_i32 s6, 0xff
	v_cmp_ne_u32_e32 vcc, s6, v0
	ds_read_b32 v12, v14
	ds_read2_b32 v[16:17], v14 offset0:1 offset1:2
	ds_read2_b32 v[20:21], v14 offset0:3 offset1:4
	;; [unrolled: 1-line block ×11, first 2 shown]
	s_waitcnt lgkmcnt(0)
	ds_write_b32 v13, v12 offset:24576
	s_waitcnt lgkmcnt(0)
	s_barrier
	s_and_saveexec_b64 s[6:7], vcc
	s_cbranch_execz .LBB1528_149
; %bb.148:
	s_waitcnt vmcnt(0)
	ds_read_b32 v1, v56 offset:24580
.LBB1528_149:
	s_or_b64 exec, exec, s[6:7]
	v_lshl_add_u64 v[2:3], v[2:3], 0, v[56:57]
	v_add_co_u32_e32 v18, vcc, s11, v2
	s_waitcnt lgkmcnt(0)
	s_nop 0
	v_addc_co_u32_e32 v19, vcc, 0, v3, vcc
	s_barrier
	flat_load_dword v13, v[2:3]
	flat_load_dword v15, v[2:3] offset:1024
	flat_load_dword v26, v[2:3] offset:2048
	;; [unrolled: 1-line block ×3, first 2 shown]
	flat_load_dword v30, v[18:19]
	flat_load_dword v31, v[18:19] offset:1024
	flat_load_dword v34, v[18:19] offset:2048
	;; [unrolled: 1-line block ×3, first 2 shown]
	v_add_co_u32_e32 v18, vcc, s10, v2
	s_nop 1
	v_addc_co_u32_e32 v19, vcc, 0, v3, vcc
	v_add_co_u32_e32 v22, vcc, s9, v2
	s_nop 1
	v_addc_co_u32_e32 v23, vcc, 0, v3, vcc
	flat_load_dword v38, v[18:19]
	flat_load_dword v39, v[18:19] offset:1024
	flat_load_dword v42, v[18:19] offset:2048
	flat_load_dword v43, v[18:19] offset:3072
	flat_load_dword v46, v[22:23]
	flat_load_dword v47, v[22:23] offset:1024
	flat_load_dword v48, v[22:23] offset:2048
	;; [unrolled: 1-line block ×3, first 2 shown]
	v_add_co_u32_e32 v18, vcc, s8, v2
	s_nop 1
	v_addc_co_u32_e32 v19, vcc, 0, v3, vcc
	v_add_co_u32_e32 v2, vcc, s1, v2
	s_mov_b32 s1, 1
	s_nop 0
	v_addc_co_u32_e32 v3, vcc, 0, v3, vcc
	flat_load_dword v22, v[18:19]
	flat_load_dword v23, v[18:19] offset:1024
	flat_load_dword v50, v[18:19] offset:2048
	;; [unrolled: 1-line block ×3, first 2 shown]
	flat_load_dword v52, v[2:3]
	flat_load_dword v53, v[2:3] offset:1024
	flat_load_dword v54, v[2:3] offset:2048
	v_cmp_eq_u32_e32 vcc, v12, v16
	s_waitcnt vmcnt(0) lgkmcnt(0)
	ds_write2st64_b32 v56, v13, v15 offset1:4
	ds_write2st64_b32 v56, v26, v27 offset0:8 offset1:12
	ds_write2st64_b32 v56, v30, v31 offset0:16 offset1:20
	;; [unrolled: 1-line block ×10, first 2 shown]
	ds_write_b32 v56, v54 offset:22528
	s_waitcnt lgkmcnt(0)
	s_barrier
	ds_read2_b32 v[18:19], v14 offset0:1 offset1:2
	ds_read2_b32 v[22:23], v14 offset0:3 offset1:4
	;; [unrolled: 1-line block ×11, first 2 shown]
	v_mov_b64_e32 v[12:13], s[0:1]
	v_mov_b32_e32 v15, s74
	s_and_saveexec_b64 s[0:1], vcc
	s_cbranch_execz .LBB1528_151
; %bb.150:
	ds_read_b32 v15, v14
	v_mov_b64_e32 v[12:13], 0
.LBB1528_151:
	s_or_b64 exec, exec, s[0:1]
	v_mov_b32_e32 v57, s74
	v_cmp_eq_u32_e32 vcc, v16, v17
	s_waitcnt lgkmcnt(0)
	v_or_b32_e32 v12, v12, v15
	v_cmp_ne_u32_e64 s[8:9], v5, v1
	v_cndmask_b32_e32 v14, v57, v18, vcc
	v_cmp_ne_u32_e32 vcc, v16, v17
	s_mov_b64 s[10:11], -1
                                        ; implicit-def: $sgpr6_sgpr7
	s_nop 0
	v_cndmask_b32_e64 v15, 0, 1, vcc
	v_cmp_eq_u32_e32 vcc, v17, v20
	s_nop 1
	v_cndmask_b32_e32 v16, v57, v19, vcc
	v_cmp_ne_u32_e32 vcc, v17, v20
	s_nop 1
	v_cndmask_b32_e64 v17, 0, 1, vcc
	v_cmp_eq_u32_e32 vcc, v20, v21
	s_nop 1
	v_cndmask_b32_e32 v18, v57, v22, vcc
	v_cmp_ne_u32_e32 vcc, v20, v21
	;; [unrolled: 6-line block ×18, first 2 shown]
	v_cndmask_b32_e64 v6, v3, v57, s[8:9]
	s_nop 0
	v_cndmask_b32_e64 v51, 0, 1, vcc
	v_cmp_eq_u32_e32 vcc, v7, v4
	s_nop 1
	v_cndmask_b32_e32 v52, v57, v53, vcc
	v_cmp_ne_u32_e32 vcc, v7, v4
	s_nop 1
	v_cndmask_b32_e64 v53, 0, 1, vcc
	v_cmp_eq_u32_e32 vcc, v4, v5
	s_nop 1
	v_cndmask_b32_e32 v54, v57, v2, vcc
	v_cmp_ne_u32_e32 vcc, v4, v5
	s_nop 1
	v_cndmask_b32_e64 v55, 0, 1, vcc
.LBB1528_152:
	v_mov_b64_e32 v[58:59], s[6:7]
	s_and_saveexec_b64 s[0:1], s[10:11]
; %bb.153:
	v_cndmask_b32_e64 v7, 0, 1, s[8:9]
	v_mov_b64_e32 v[58:59], v[6:7]
; %bb.154:
	s_or_b64 exec, exec, s[0:1]
	s_mov_b32 s0, 0
	s_cmp_lg_u32 s67, 0
	v_or_b32_e32 v57, v59, v55
	v_lshrrev_b32_e32 v1, 5, v0
	v_cmp_gt_u32_e32 vcc, 64, v0
	s_barrier
	s_cbranch_scc0 .LBB1528_189
; %bb.155:
	s_mov_b32 s1, 1
	v_cmp_gt_u64_e64 s[6:7], s[0:1], v[14:15]
	v_cmp_gt_u64_e64 s[8:9], s[0:1], v[16:17]
	v_cmp_gt_u64_e64 s[10:11], s[0:1], v[18:19]
	v_cndmask_b32_e64 v2, 0, v12, s[6:7]
	v_add_u32_e32 v2, v2, v14
	v_cndmask_b32_e64 v2, 0, v2, s[8:9]
	v_add_u32_e32 v2, v2, v16
	v_cndmask_b32_e64 v2, 0, v2, s[10:11]
	v_add_u32_e32 v2, v2, v18
	v_cmp_gt_u64_e64 s[12:13], s[0:1], v[20:21]
	v_cmp_gt_u64_e64 s[14:15], s[0:1], v[22:23]
	v_cmp_gt_u64_e64 s[16:17], s[0:1], v[24:25]
	v_cndmask_b32_e64 v2, 0, v2, s[12:13]
	v_add_u32_e32 v2, v2, v20
	v_cndmask_b32_e64 v2, 0, v2, s[14:15]
	v_add_u32_e32 v2, v2, v22
	v_cndmask_b32_e64 v2, 0, v2, s[16:17]
	v_add_u32_e32 v2, v2, v24
	;; [unrolled: 9-line block ×7, first 2 shown]
	v_cmp_gt_u64_e64 s[0:1], s[0:1], v[58:59]
	s_nop 1
	v_cndmask_b32_e64 v2, 0, v2, s[0:1]
	v_add_u32_e32 v64, v2, v58
	v_or3_b32 v2, v57, v53, v51
	v_or3_b32 v2, v2, v49, v47
	;; [unrolled: 1-line block ×10, first 2 shown]
	v_and_b32_e32 v2, 1, v2
	v_cmp_eq_u32_e64 s[0:1], 1, v2
	v_add_lshl_u32 v2, v1, v0, 3
	s_nop 0
	v_cndmask_b32_e64 v65, v13, 1, s[0:1]
	ds_write_b32 v2, v64
	ds_write_b8 v2, v65 offset:4
	s_waitcnt lgkmcnt(0)
	s_barrier
	s_and_saveexec_b64 s[50:51], vcc
	s_cbranch_execz .LBB1528_167
; %bb.156:
	v_lshrrev_b32_e32 v2, 3, v0
	v_add_lshl_u32 v4, v2, v56, 3
	ds_read2_b32 v[6:7], v4 offset0:2 offset1:4
	ds_read_b64 v[2:3], v4
	ds_read_u8 v8, v4 offset:12
	ds_read_u8 v9, v4 offset:20
	ds_read_b32 v60, v4 offset:24
	ds_read_u8 v61, v4 offset:28
	v_mov_b32_e32 v62, 0
	s_waitcnt lgkmcnt(3)
	v_cmp_eq_u16_sdwa s[0:1], v8, v62 src0_sel:BYTE_0 src1_sel:DWORD
	v_and_b32_e32 v5, 1, v3
	s_nop 0
	v_cndmask_b32_e64 v63, 0, v2, s[0:1]
	v_add_u32_e32 v6, v63, v6
	s_waitcnt lgkmcnt(2)
	v_cmp_eq_u16_sdwa s[0:1], v9, v62 src0_sel:BYTE_0 src1_sel:DWORD
	s_nop 1
	v_cndmask_b32_e64 v6, 0, v6, s[0:1]
	v_add_u32_e32 v6, v6, v7
	s_waitcnt lgkmcnt(0)
	v_cmp_eq_u16_e64 s[0:1], 0, v61
	s_nop 1
	v_cndmask_b32_e64 v6, 0, v6, s[0:1]
	v_add_u32_e32 v7, v6, v60
	v_or_b32_e32 v6, v61, v9
	v_or_b32_e32 v6, v6, v8
	v_and_b32_e32 v6, 1, v6
	v_cmp_eq_u32_e64 s[0:1], 1, v6
	v_mbcnt_lo_u32_b32 v8, -1, 0
	v_and_b32_e32 v6, 0xffffff00, v3
	v_cndmask_b32_e64 v9, v5, 1, s[0:1]
	v_mbcnt_hi_u32_b32 v8, -1, v8
	v_and_b32_e32 v61, 15, v8
	v_or_b32_sdwa v60, v6, v9 dst_sel:DWORD dst_unused:UNUSED_PAD src0_sel:DWORD src1_sel:WORD_0
	v_mov_b32_dpp v62, v7 row_shr:1 row_mask:0xf bank_mask:0xf
	v_cmp_ne_u32_e64 s[0:1], 0, v61
	v_mov_b32_dpp v63, v60 row_shr:1 row_mask:0xf bank_mask:0xf
	s_and_saveexec_b64 s[56:57], s[0:1]
; %bb.157:
	v_and_b32_e32 v60, 1, v9
	v_and_b32_e32 v63, 1, v63
	v_cmp_eq_u32_e64 s[0:1], 1, v60
	s_nop 1
	v_cndmask_b32_e64 v63, v63, 1, s[0:1]
	v_cmp_eq_u16_e64 s[0:1], 0, v9
	v_or_b32_sdwa v60, v6, v63 dst_sel:DWORD dst_unused:UNUSED_PAD src0_sel:DWORD src1_sel:WORD_0
	s_nop 0
	v_cndmask_b32_e64 v9, 0, v62, s[0:1]
	v_add_u32_e32 v7, v9, v7
	v_mov_b32_e32 v9, v63
; %bb.158:
	s_or_b64 exec, exec, s[56:57]
	v_mov_b32_dpp v62, v7 row_shr:2 row_mask:0xf bank_mask:0xf
	v_mov_b32_dpp v63, v60 row_shr:2 row_mask:0xf bank_mask:0xf
	v_cmp_lt_u32_e64 s[0:1], 1, v61
	s_and_saveexec_b64 s[56:57], s[0:1]
; %bb.159:
	v_and_b32_e32 v60, 1, v9
	v_and_b32_e32 v63, 1, v63
	v_cmp_eq_u32_e64 s[0:1], 1, v60
	s_nop 1
	v_cndmask_b32_e64 v63, v63, 1, s[0:1]
	v_cmp_eq_u16_e64 s[0:1], 0, v9
	v_or_b32_sdwa v60, v6, v63 dst_sel:DWORD dst_unused:UNUSED_PAD src0_sel:DWORD src1_sel:WORD_0
	s_nop 0
	v_cndmask_b32_e64 v9, 0, v62, s[0:1]
	v_add_u32_e32 v7, v9, v7
	v_mov_b32_e32 v9, v63
; %bb.160:
	s_or_b64 exec, exec, s[56:57]
	v_mov_b32_dpp v62, v7 row_shr:4 row_mask:0xf bank_mask:0xf
	v_mov_b32_dpp v63, v60 row_shr:4 row_mask:0xf bank_mask:0xf
	v_cmp_lt_u32_e64 s[0:1], 3, v61
	;; [unrolled: 18-line block ×3, first 2 shown]
	s_and_saveexec_b64 s[56:57], s[0:1]
; %bb.163:
	v_and_b32_e32 v60, 1, v9
	v_and_b32_e32 v61, 1, v63
	v_cmp_eq_u32_e64 s[0:1], 1, v60
	s_nop 1
	v_cndmask_b32_e64 v61, v61, 1, s[0:1]
	v_cmp_eq_u16_e64 s[0:1], 0, v9
	v_or_b32_sdwa v60, v6, v61 dst_sel:DWORD dst_unused:UNUSED_PAD src0_sel:DWORD src1_sel:WORD_0
	s_nop 0
	v_cndmask_b32_e64 v9, 0, v62, s[0:1]
	v_add_u32_e32 v7, v9, v7
	v_mov_b32_e32 v9, v61
; %bb.164:
	s_or_b64 exec, exec, s[56:57]
	v_and_b32_e32 v63, 16, v8
	v_mov_b32_dpp v61, v7 row_bcast:15 row_mask:0xf bank_mask:0xf
	v_mov_b32_dpp v62, v60 row_bcast:15 row_mask:0xf bank_mask:0xf
	v_cmp_ne_u32_e64 s[0:1], 0, v63
	s_and_saveexec_b64 s[56:57], s[0:1]
; %bb.165:
	v_and_b32_e32 v60, 1, v9
	v_and_b32_e32 v62, 1, v62
	v_cmp_eq_u32_e64 s[0:1], 1, v60
	s_nop 1
	v_cndmask_b32_e64 v62, v62, 1, s[0:1]
	v_cmp_eq_u16_e64 s[0:1], 0, v9
	v_or_b32_sdwa v60, v6, v62 dst_sel:DWORD dst_unused:UNUSED_PAD src0_sel:DWORD src1_sel:WORD_0
	s_nop 0
	v_cndmask_b32_e64 v9, 0, v61, s[0:1]
	v_add_u32_e32 v7, v9, v7
	v_mov_b32_e32 v9, v62
; %bb.166:
	s_or_b64 exec, exec, s[56:57]
	v_mov_b32_dpp v60, v60 row_bcast:31 row_mask:0xf bank_mask:0xf
	v_and_b32_e32 v62, 1, v9
	v_and_b32_e32 v60, 1, v60
	v_cmp_eq_u32_e64 s[0:1], 1, v62
	v_mov_b32_e32 v62, 0
	v_cmp_eq_u16_sdwa s[56:57], v9, v62 src0_sel:BYTE_0 src1_sel:DWORD
	v_cndmask_b32_e64 v60, v60, 1, s[0:1]
	v_cmp_lt_u32_e64 s[0:1], 31, v8
	v_mov_b32_dpp v61, v7 row_bcast:31 row_mask:0xf bank_mask:0xf
	s_movk_i32 s58, 0xff
	v_cndmask_b32_e64 v9, v9, v60, s[0:1]
	s_and_b64 s[0:1], s[0:1], s[56:57]
	v_cndmask_b32_e64 v60, 0, v61, s[0:1]
	v_add_u32_e32 v7, v60, v7
	v_add_u32_e32 v60, -1, v8
	v_and_b32_e32 v61, 64, v8
	v_cmp_lt_i32_e64 s[0:1], v60, v61
	v_and_or_b32 v6, v9, s58, v6
	s_nop 0
	v_cndmask_b32_e64 v8, v60, v8, s[0:1]
	v_lshlrev_b32_e32 v8, 2, v8
	ds_bpermute_b32 v7, v8, v7
	ds_bpermute_b32 v6, v8, v6
	v_cmp_eq_u16_sdwa s[0:1], v3, v62 src0_sel:BYTE_0 src1_sel:DWORD
	; wave barrier
	s_waitcnt lgkmcnt(1)
	s_nop 0
	v_cndmask_b32_e64 v3, 0, v7, s[0:1]
	v_add_u32_e32 v2, v3, v2
	s_waitcnt lgkmcnt(0)
	v_and_b32_e32 v3, 1, v6
	v_cmp_eq_u32_e64 s[0:1], 1, v5
	v_cndmask_b32_e64 v5, v2, v64, s[52:53]
	s_nop 0
	v_cndmask_b32_e64 v3, v3, 1, s[0:1]
	v_cndmask_b32_e64 v6, v3, v65, s[52:53]
	ds_write_b32 v4, v5
	ds_write_b8 v4, v6 offset:4
	; wave barrier
	ds_read_u8 v7, v4 offset:12
	ds_read2_b32 v[2:3], v4 offset0:2 offset1:4
	ds_read_u8 v8, v4 offset:20
	ds_read_b32 v9, v4 offset:24
	ds_read_u8 v60, v4 offset:28
	s_waitcnt lgkmcnt(4)
	v_cmp_eq_u16_e64 s[0:1], 0, v7
	s_nop 1
	v_cndmask_b32_e64 v5, 0, v5, s[0:1]
	s_waitcnt lgkmcnt(3)
	v_add_u32_e32 v2, v5, v2
	v_and_b32_e32 v5, 1, v7
	v_cmp_eq_u32_e64 s[0:1], 1, v5
	s_nop 1
	v_cndmask_b32_e64 v5, v6, 1, s[0:1]
	s_waitcnt lgkmcnt(2)
	v_cmp_eq_u16_e64 s[0:1], 0, v8
	ds_write_b8 v4, v5 offset:12
	s_nop 0
	v_cndmask_b32_e64 v6, 0, v2, s[0:1]
	v_add_u32_e32 v3, v6, v3
	v_and_b32_e32 v6, 1, v8
	v_cmp_eq_u32_e64 s[0:1], 1, v6
	s_nop 1
	v_cndmask_b32_e64 v5, v5, 1, s[0:1]
	s_waitcnt lgkmcnt(1)
	v_cmp_eq_u16_e64 s[0:1], 0, v60
	ds_write2_b32 v4, v2, v3 offset0:2 offset1:4
	ds_write_b8 v4, v5 offset:20
	v_cndmask_b32_e64 v2, 0, v3, s[0:1]
	v_and_b32_e32 v3, 1, v60
	v_add_u32_e32 v2, v2, v9
	v_cmp_eq_u32_e64 s[0:1], 1, v3
	s_nop 1
	v_cndmask_b32_e64 v3, v5, 1, s[0:1]
	ds_write_b32 v4, v2 offset:24
	ds_write_b8 v4, v3 offset:28
.LBB1528_167:
	s_or_b64 exec, exec, s[50:51]
	s_waitcnt lgkmcnt(0)
	s_barrier
	s_and_saveexec_b64 s[0:1], s[4:5]
	s_cbranch_execz .LBB1528_169
; %bb.168:
	v_add_u32_e32 v2, -1, v0
	v_lshrrev_b32_e32 v3, 5, v2
	v_add_lshl_u32 v2, v3, v2, 3
	ds_read_b32 v64, v2
	ds_read_u8 v65, v2 offset:4
.LBB1528_169:
	s_or_b64 exec, exec, s[0:1]
	s_and_saveexec_b64 s[56:57], vcc
	s_cbranch_execz .LBB1528_188
; %bb.170:
	v_mov_b32_e32 v5, 0
	ds_read_b64 v[2:3], v5 offset:2096
	v_mbcnt_lo_u32_b32 v4, -1, 0
	v_mbcnt_hi_u32_b32 v75, -1, v4
	s_mov_b32 s59, 0
	v_cmp_eq_u32_e64 s[50:51], 0, v75
	s_waitcnt lgkmcnt(0)
	v_readfirstlane_b32 s68, v3
	s_and_saveexec_b64 s[0:1], s[50:51]
	s_cbranch_execz .LBB1528_172
; %bb.171:
	s_add_i32 s58, s67, 64
	s_lshl_b64 s[60:61], s[58:59], 4
	s_add_u32 s60, s64, s60
	s_addc_u32 s61, s65, s61
	s_and_b32 s77, s68, 0xff000000
	s_mov_b32 s76, s59
	s_and_b32 s79, s68, 0xff0000
	s_mov_b32 s78, s59
	s_or_b64 s[76:77], s[78:79], s[76:77]
	s_and_b32 s79, s68, 0xff00
	s_or_b64 s[76:77], s[76:77], s[78:79]
	s_and_b32 s79, s68, 0xff
	s_or_b64 s[58:59], s[76:77], s[78:79]
	v_mov_b32_e32 v3, s59
	v_mov_b32_e32 v4, 1
	v_mov_b64_e32 v[6:7], s[60:61]
	;;#ASMSTART
	global_store_dwordx4 v[6:7], v[2:5] off sc1	
s_waitcnt vmcnt(0)
	;;#ASMEND
.LBB1528_172:
	s_or_b64 exec, exec, s[0:1]
	v_xad_u32 v60, v75, -1, s67
	v_add_u32_e32 v4, 64, v60
	v_lshl_add_u64 v[62:63], v[4:5], 4, s[64:65]
	;;#ASMSTART
	global_load_dwordx4 v[6:9], v[62:63] off sc1	
s_waitcnt vmcnt(0)
	;;#ASMEND
	s_nop 0
	v_and_b32_e32 v3, 0xff0000, v6
	v_and_b32_e32 v4, 0xff000000, v6
	;; [unrolled: 1-line block ×3, first 2 shown]
	v_or_b32_sdwa v3, v6, v3 dst_sel:DWORD dst_unused:UNUSED_PAD src0_sel:WORD_0 src1_sel:DWORD
	v_or3_b32 v7, 0, 0, v7
	v_or3_b32 v6, v3, v4, 0
	v_cmp_eq_u16_sdwa s[58:59], v8, v5 src0_sel:BYTE_0 src1_sel:DWORD
	s_and_saveexec_b64 s[0:1], s[58:59]
	s_cbranch_execz .LBB1528_176
; %bb.173:
	s_mov_b64 s[58:59], 0
	v_mov_b32_e32 v3, 0
.LBB1528_174:                           ; =>This Inner Loop Header: Depth=1
	;;#ASMSTART
	global_load_dwordx4 v[6:9], v[62:63] off sc1	
s_waitcnt vmcnt(0)
	;;#ASMEND
	s_nop 0
	v_cmp_ne_u16_sdwa s[60:61], v8, v3 src0_sel:BYTE_0 src1_sel:DWORD
	s_or_b64 s[58:59], s[60:61], s[58:59]
	s_andn2_b64 exec, exec, s[58:59]
	s_cbranch_execnz .LBB1528_174
; %bb.175:
	s_or_b64 exec, exec, s[58:59]
	v_and_b32_e32 v7, 0xff, v7
.LBB1528_176:
	s_or_b64 exec, exec, s[0:1]
	v_mov_b32_e32 v3, 2
	v_cmp_eq_u16_sdwa s[0:1], v8, v3 src0_sel:BYTE_0 src1_sel:DWORD
	v_lshlrev_b64 v[4:5], v75, -1
	v_and_b32_e32 v66, 63, v75
	v_and_b32_e32 v9, s1, v5
	v_or_b32_e32 v9, 0x80000000, v9
	v_and_b32_e32 v61, s0, v4
	v_ffbl_b32_e32 v9, v9
	v_add_u32_e32 v9, 32, v9
	v_ffbl_b32_e32 v61, v61
	v_cmp_ne_u32_e32 vcc, 63, v66
	v_min_u32_e32 v9, v61, v9
	s_mov_b32 s58, 0
	v_addc_co_u32_e32 v61, vcc, 0, v75, vcc
	v_lshlrev_b32_e32 v67, 2, v61
	ds_bpermute_b32 v61, v67, v7
	ds_bpermute_b32 v62, v67, v6
	v_and_b32_e32 v63, 1, v7
	s_mov_b32 s59, 1
	v_cmp_eq_u32_e32 vcc, 1, v63
	s_waitcnt lgkmcnt(1)
	v_and_b32_e32 v61, 1, v61
	v_cmp_lt_u32_e64 s[0:1], v66, v9
	v_cndmask_b32_e64 v61, v61, 1, vcc
	v_cmp_gt_u64_e32 vcc, s[58:59], v[6:7]
	s_and_b64 vcc, s[0:1], vcc
	v_and_b32_e32 v63, 0xffff, v61
	v_cndmask_b32_e64 v70, v7, v61, s[0:1]
	s_waitcnt lgkmcnt(0)
	v_cndmask_b32_e32 v61, 0, v62, vcc
	v_cmp_gt_u32_e32 vcc, 62, v66
	v_cndmask_b32_e64 v7, v7, v63, s[0:1]
	v_add_u32_e32 v6, v61, v6
	v_cndmask_b32_e64 v62, 0, 1, vcc
	v_lshlrev_b32_e32 v62, 1, v62
	v_add_lshl_u32 v68, v62, v75, 2
	ds_bpermute_b32 v62, v68, v7
	ds_bpermute_b32 v63, v68, v6
	v_and_b32_e32 v61, 1, v70
	v_cmp_eq_u32_e32 vcc, 1, v61
	v_mov_b32_e32 v61, 0
	s_waitcnt lgkmcnt(1)
	v_and_b32_e32 v62, 1, v62
	v_add_u32_e32 v69, 2, v66
	v_cndmask_b32_e64 v62, v62, 1, vcc
	v_cmp_eq_u16_sdwa vcc, v70, v61 src0_sel:BYTE_0 src1_sel:DWORD
	v_and_b32_e32 v71, 0xffff, v62
	v_add_u32_e32 v79, 32, v66
	s_waitcnt lgkmcnt(0)
	v_cndmask_b32_e32 v63, 0, v63, vcc
	v_cmp_gt_u32_e32 vcc, v69, v9
	s_nop 1
	v_cndmask_b32_e32 v62, v62, v70, vcc
	v_cndmask_b32_e64 v63, v63, 0, vcc
	v_cndmask_b32_e32 v7, v71, v7, vcc
	v_cmp_gt_u32_e32 vcc, 60, v66
	v_add_u32_e32 v6, v63, v6
	v_and_b32_e32 v73, 1, v62
	v_cndmask_b32_e64 v70, 0, 1, vcc
	v_lshlrev_b32_e32 v70, 2, v70
	v_add_lshl_u32 v70, v70, v75, 2
	ds_bpermute_b32 v72, v70, v7
	ds_bpermute_b32 v63, v70, v6
	v_cmp_eq_u32_e32 vcc, 1, v73
	v_add_u32_e32 v71, 4, v66
	s_waitcnt lgkmcnt(1)
	v_and_b32_e32 v72, 1, v72
	v_cndmask_b32_e64 v72, v72, 1, vcc
	v_cmp_eq_u16_sdwa vcc, v62, v61 src0_sel:BYTE_0 src1_sel:DWORD
	v_and_b32_e32 v73, 0xffff, v72
	s_waitcnt lgkmcnt(0)
	v_cndmask_b32_e32 v63, 0, v63, vcc
	v_cmp_gt_u32_e32 vcc, v71, v9
	s_nop 1
	v_cndmask_b32_e32 v62, v72, v62, vcc
	v_cndmask_b32_e64 v63, v63, 0, vcc
	v_cndmask_b32_e32 v7, v73, v7, vcc
	v_cmp_gt_u32_e32 vcc, 56, v66
	v_add_u32_e32 v6, v63, v6
	v_and_b32_e32 v76, 1, v62
	v_cndmask_b32_e64 v72, 0, 1, vcc
	v_lshlrev_b32_e32 v72, 3, v72
	v_add_lshl_u32 v72, v72, v75, 2
	ds_bpermute_b32 v74, v72, v7
	ds_bpermute_b32 v63, v72, v6
	v_cmp_eq_u32_e32 vcc, 1, v76
	v_add_u32_e32 v73, 8, v66
	s_waitcnt lgkmcnt(1)
	v_and_b32_e32 v74, 1, v74
	v_cndmask_b32_e64 v74, v74, 1, vcc
	v_cmp_eq_u16_sdwa vcc, v62, v61 src0_sel:BYTE_0 src1_sel:DWORD
	v_and_b32_e32 v76, 0xffff, v74
	;; [unrolled: 22-line block ×3, first 2 shown]
	s_waitcnt lgkmcnt(0)
	v_cndmask_b32_e32 v63, 0, v63, vcc
	v_cmp_gt_u32_e32 vcc, v76, v9
	s_nop 1
	v_cndmask_b32_e32 v62, v77, v62, vcc
	v_cndmask_b32_e64 v63, v63, 0, vcc
	v_cndmask_b32_e32 v7, v78, v7, vcc
	v_cmp_gt_u32_e32 vcc, 32, v66
	v_add_u32_e32 v6, v63, v6
	s_nop 0
	v_cndmask_b32_e64 v77, 0, 1, vcc
	v_lshlrev_b32_e32 v77, 5, v77
	v_add_lshl_u32 v78, v77, v75, 2
	ds_bpermute_b32 v7, v78, v7
	ds_bpermute_b32 v63, v78, v6
	v_and_b32_e32 v75, 1, v62
	v_cmp_eq_u32_e32 vcc, 1, v75
	s_waitcnt lgkmcnt(1)
	v_and_b32_e32 v7, 1, v7
	v_cndmask_b32_e64 v7, v7, 1, vcc
	v_cmp_eq_u16_sdwa vcc, v62, v61 src0_sel:BYTE_0 src1_sel:DWORD
	s_waitcnt lgkmcnt(0)
	s_nop 0
	v_cndmask_b32_e32 v63, 0, v63, vcc
	v_cmp_gt_u32_e32 vcc, v79, v9
	s_nop 1
	v_cndmask_b32_e64 v9, v63, 0, vcc
	v_cndmask_b32_e32 v7, v7, v62, vcc
	v_add_u32_e32 v6, v9, v6
	s_branch .LBB1528_178
.LBB1528_177:                           ;   in Loop: Header=BB1528_178 Depth=1
	s_or_b64 exec, exec, s[0:1]
	v_cmp_eq_u16_sdwa s[0:1], v8, v3 src0_sel:BYTE_0 src1_sel:DWORD
	ds_bpermute_b32 v63, v67, v7
	v_and_b32_e32 v80, 1, v7
	v_and_b32_e32 v9, s1, v5
	v_or_b32_e32 v9, 0x80000000, v9
	v_and_b32_e32 v62, s0, v4
	v_ffbl_b32_e32 v9, v9
	v_add_u32_e32 v9, 32, v9
	v_ffbl_b32_e32 v62, v62
	v_min_u32_e32 v9, v62, v9
	ds_bpermute_b32 v62, v67, v6
	s_waitcnt lgkmcnt(1)
	v_and_b32_e32 v63, 1, v63
	v_cmp_eq_u32_e32 vcc, 1, v80
	v_cmp_lt_u32_e64 s[0:1], v66, v9
	v_subrev_u32_e32 v60, 64, v60
	v_cndmask_b32_e64 v63, v63, 1, vcc
	v_cmp_gt_u64_e32 vcc, s[58:59], v[6:7]
	v_and_b32_e32 v80, 0xffff, v63
	v_cndmask_b32_e64 v63, v7, v63, s[0:1]
	v_cndmask_b32_e64 v7, v7, v80, s[0:1]
	s_and_b64 vcc, s[0:1], vcc
	ds_bpermute_b32 v80, v68, v7
	s_waitcnt lgkmcnt(1)
	v_cndmask_b32_e32 v62, 0, v62, vcc
	v_add_u32_e32 v6, v62, v6
	ds_bpermute_b32 v62, v68, v6
	v_and_b32_e32 v81, 1, v63
	s_waitcnt lgkmcnt(1)
	v_and_b32_e32 v80, 1, v80
	v_cmp_eq_u32_e32 vcc, 1, v81
	s_nop 1
	v_cndmask_b32_e64 v80, v80, 1, vcc
	v_cmp_eq_u16_sdwa vcc, v63, v61 src0_sel:BYTE_0 src1_sel:DWORD
	v_and_b32_e32 v81, 0xffff, v80
	s_waitcnt lgkmcnt(0)
	v_cndmask_b32_e32 v62, 0, v62, vcc
	v_cmp_gt_u32_e32 vcc, v69, v9
	s_nop 1
	v_cndmask_b32_e32 v7, v81, v7, vcc
	v_cndmask_b32_e32 v63, v80, v63, vcc
	ds_bpermute_b32 v80, v70, v7
	v_cndmask_b32_e64 v62, v62, 0, vcc
	v_add_u32_e32 v6, v62, v6
	ds_bpermute_b32 v62, v70, v6
	v_and_b32_e32 v81, 1, v63
	s_waitcnt lgkmcnt(1)
	v_and_b32_e32 v80, 1, v80
	v_cmp_eq_u32_e32 vcc, 1, v81
	s_nop 1
	v_cndmask_b32_e64 v80, v80, 1, vcc
	v_cmp_eq_u16_sdwa vcc, v63, v61 src0_sel:BYTE_0 src1_sel:DWORD
	v_and_b32_e32 v81, 0xffff, v80
	s_waitcnt lgkmcnt(0)
	v_cndmask_b32_e32 v62, 0, v62, vcc
	v_cmp_gt_u32_e32 vcc, v71, v9
	s_nop 1
	v_cndmask_b32_e32 v7, v81, v7, vcc
	v_cndmask_b32_e32 v63, v80, v63, vcc
	ds_bpermute_b32 v80, v72, v7
	v_cndmask_b32_e64 v62, v62, 0, vcc
	;; [unrolled: 18-line block ×3, first 2 shown]
	v_add_u32_e32 v6, v62, v6
	ds_bpermute_b32 v62, v74, v6
	v_and_b32_e32 v81, 1, v63
	s_waitcnt lgkmcnt(1)
	v_and_b32_e32 v80, 1, v80
	v_cmp_eq_u32_e32 vcc, 1, v81
	s_nop 1
	v_cndmask_b32_e64 v80, v80, 1, vcc
	v_cmp_eq_u16_sdwa vcc, v63, v61 src0_sel:BYTE_0 src1_sel:DWORD
	v_and_b32_e32 v81, 0xffff, v80
	s_waitcnt lgkmcnt(0)
	v_cndmask_b32_e32 v62, 0, v62, vcc
	v_cmp_gt_u32_e32 vcc, v76, v9
	s_nop 1
	v_cndmask_b32_e64 v62, v62, 0, vcc
	v_cndmask_b32_e32 v7, v81, v7, vcc
	ds_bpermute_b32 v7, v78, v7
	v_add_u32_e32 v6, v62, v6
	ds_bpermute_b32 v62, v78, v6
	v_cndmask_b32_e32 v63, v80, v63, vcc
	v_and_b32_e32 v80, 1, v63
	v_cmp_eq_u32_e32 vcc, 1, v80
	s_waitcnt lgkmcnt(1)
	s_nop 0
	v_cndmask_b32_e64 v7, v7, 1, vcc
	v_cmp_eq_u16_sdwa vcc, v63, v61 src0_sel:BYTE_0 src1_sel:DWORD
	s_waitcnt lgkmcnt(0)
	s_nop 0
	v_cndmask_b32_e32 v62, 0, v62, vcc
	v_cmp_gt_u32_e32 vcc, v79, v9
	s_nop 1
	v_cndmask_b32_e64 v9, v62, 0, vcc
	v_cndmask_b32_e32 v7, v7, v63, vcc
	v_add_u32_e32 v6, v9, v6
	v_cmp_eq_u16_sdwa vcc, v75, v61 src0_sel:BYTE_0 src1_sel:DWORD
	v_and_b32_e32 v9, 1, v75
	v_and_b32_e32 v7, 1, v7
	v_cndmask_b32_e32 v6, 0, v6, vcc
	v_cmp_eq_u32_e32 vcc, 1, v9
	v_add_u32_e32 v6, v6, v77
	s_nop 0
	v_cndmask_b32_e64 v7, v7, 1, vcc
.LBB1528_178:                           ; =>This Loop Header: Depth=1
                                        ;     Child Loop BB1528_181 Depth 2
	v_cmp_ne_u16_sdwa s[0:1], v8, v3 src0_sel:BYTE_0 src1_sel:DWORD
	v_mov_b32_e32 v75, v7
	v_mov_b32_e32 v77, v6
	v_cndmask_b32_e64 v7, 0, 1, s[0:1]
	;;#ASMSTART
	;;#ASMEND
	s_nop 0
	v_cmp_ne_u32_e32 vcc, 0, v7
	s_cmp_lg_u64 vcc, exec
	s_cbranch_scc1 .LBB1528_183
; %bb.179:                              ;   in Loop: Header=BB1528_178 Depth=1
	v_lshl_add_u64 v[62:63], v[60:61], 4, s[64:65]
	;;#ASMSTART
	global_load_dwordx4 v[6:9], v[62:63] off sc1	
s_waitcnt vmcnt(0)
	;;#ASMEND
	s_nop 0
	v_and_b32_e32 v9, 0xff0000, v6
	v_and_b32_e32 v80, 0xff000000, v6
	;; [unrolled: 1-line block ×3, first 2 shown]
	v_or_b32_sdwa v6, v6, v9 dst_sel:DWORD dst_unused:UNUSED_PAD src0_sel:WORD_0 src1_sel:DWORD
	v_or3_b32 v7, 0, 0, v7
	v_or3_b32 v6, v6, v80, 0
	v_cmp_eq_u16_sdwa s[60:61], v8, v61 src0_sel:BYTE_0 src1_sel:DWORD
	s_and_saveexec_b64 s[0:1], s[60:61]
	s_cbranch_execz .LBB1528_177
; %bb.180:                              ;   in Loop: Header=BB1528_178 Depth=1
	s_mov_b64 s[60:61], 0
.LBB1528_181:                           ;   Parent Loop BB1528_178 Depth=1
                                        ; =>  This Inner Loop Header: Depth=2
	;;#ASMSTART
	global_load_dwordx4 v[6:9], v[62:63] off sc1	
s_waitcnt vmcnt(0)
	;;#ASMEND
	s_nop 0
	v_cmp_ne_u16_sdwa s[76:77], v8, v61 src0_sel:BYTE_0 src1_sel:DWORD
	s_or_b64 s[60:61], s[76:77], s[60:61]
	s_andn2_b64 exec, exec, s[60:61]
	s_cbranch_execnz .LBB1528_181
; %bb.182:                              ;   in Loop: Header=BB1528_178 Depth=1
	s_or_b64 exec, exec, s[60:61]
	v_and_b32_e32 v7, 0xff, v7
	s_branch .LBB1528_177
.LBB1528_183:                           ;   in Loop: Header=BB1528_178 Depth=1
                                        ; implicit-def: $vgpr7
                                        ; implicit-def: $vgpr6
                                        ; implicit-def: $vgpr8
	s_cbranch_execz .LBB1528_178
; %bb.184:
	s_and_saveexec_b64 s[0:1], s[50:51]
	s_cbranch_execz .LBB1528_186
; %bb.185:
	s_and_b32 s50, s68, 0xff
	s_cmp_eq_u32 s50, 0
	s_cselect_b64 vcc, -1, 0
	s_bitcmp1_b32 s68, 0
	s_mov_b32 s51, 0
	s_cselect_b64 s[58:59], -1, 0
	s_add_i32 s50, s67, 64
	s_lshl_b64 s[50:51], s[50:51], 4
	v_cndmask_b32_e32 v3, 0, v77, vcc
	s_add_u32 s50, s64, s50
	v_add_u32_e32 v2, v3, v2
	v_and_b32_e32 v3, 1, v75
	s_addc_u32 s51, s65, s51
	v_mov_b32_e32 v5, 0
	v_cndmask_b32_e64 v3, v3, 1, s[58:59]
	v_mov_b32_e32 v4, 2
	v_mov_b64_e32 v[6:7], s[50:51]
	;;#ASMSTART
	global_store_dwordx4 v[6:7], v[2:5] off sc1	
s_waitcnt vmcnt(0)
	;;#ASMEND
.LBB1528_186:
	s_or_b64 exec, exec, s[0:1]
	s_and_b64 exec, exec, s[52:53]
	s_cbranch_execz .LBB1528_188
; %bb.187:
	v_mov_b32_e32 v2, 0
	ds_write_b32 v2, v77
	ds_write_b8 v2, v75 offset:4
.LBB1528_188:
	s_or_b64 exec, exec, s[56:57]
	v_mov_b32_e32 v2, 0
	s_waitcnt lgkmcnt(0)
	s_barrier
	ds_read_b32 v3, v2
	v_cmp_eq_u16_sdwa vcc, v65, v2 src0_sel:BYTE_0 src1_sel:DWORD
	s_waitcnt lgkmcnt(0)
	s_nop 0
	v_cndmask_b32_e32 v4, 0, v3, vcc
	v_add_u32_e32 v4, v4, v64
	v_cndmask_b32_e64 v60, v4, v3, s[52:53]
	v_and_b32_e32 v3, 0xff, v13
	v_cmp_eq_u64_e32 vcc, 0, v[2:3]
	s_nop 1
	v_cndmask_b32_e32 v2, 0, v60, vcc
	v_add_u32_e32 v61, v2, v12
	v_cndmask_b32_e64 v2, 0, v61, s[6:7]
	v_add_u32_e32 v62, v2, v14
	v_cndmask_b32_e64 v2, 0, v62, s[8:9]
	;; [unrolled: 2-line block ×21, first 2 shown]
	v_add_u32_e32 v82, v2, v54
	s_branch .LBB1528_209
.LBB1528_189:
                                        ; implicit-def: $vgpr81
                                        ; implicit-def: $vgpr80
                                        ; implicit-def: $vgpr79
                                        ; implicit-def: $vgpr78
                                        ; implicit-def: $vgpr77
                                        ; implicit-def: $vgpr76
                                        ; implicit-def: $vgpr75
                                        ; implicit-def: $vgpr74
                                        ; implicit-def: $vgpr73
                                        ; implicit-def: $vgpr72
                                        ; implicit-def: $vgpr71
                                        ; implicit-def: $vgpr70
                                        ; implicit-def: $vgpr69
                                        ; implicit-def: $vgpr68
                                        ; implicit-def: $vgpr67
                                        ; implicit-def: $vgpr66
                                        ; implicit-def: $vgpr65
                                        ; implicit-def: $vgpr64
                                        ; implicit-def: $vgpr63
                                        ; implicit-def: $vgpr62
                                        ; implicit-def: $vgpr61
                                        ; implicit-def: $vgpr60
                                        ; implicit-def: $vgpr82
	s_cbranch_execz .LBB1528_209
; %bb.190:
	s_cmp_lg_u64 s[72:73], 0
	s_cselect_b32 s7, s71, 0
	s_cselect_b32 s6, s70, 0
	s_mov_b32 s0, 0
	s_cmp_eq_u64 s[6:7], 0
	v_mov_b32_e32 v4, s74
	s_cbranch_scc1 .LBB1528_192
; %bb.191:
	v_mov_b32_e32 v2, 0
	global_load_dword v4, v2, s[6:7]
.LBB1528_192:
	s_mov_b32 s1, 1
	v_cmp_gt_u64_e32 vcc, s[0:1], v[14:15]
	v_cmp_gt_u64_e64 s[6:7], s[0:1], v[16:17]
	v_cmp_gt_u64_e64 s[8:9], s[0:1], v[18:19]
	v_cndmask_b32_e32 v2, 0, v12, vcc
	v_add_u32_e32 v2, v2, v14
	v_cndmask_b32_e64 v2, 0, v2, s[6:7]
	v_add_u32_e32 v2, v2, v16
	v_cndmask_b32_e64 v2, 0, v2, s[8:9]
	v_add_u32_e32 v2, v2, v18
	v_cmp_gt_u64_e64 s[10:11], s[0:1], v[20:21]
	v_cmp_gt_u64_e64 s[12:13], s[0:1], v[22:23]
	v_cmp_gt_u64_e64 s[14:15], s[0:1], v[24:25]
	v_cndmask_b32_e64 v2, 0, v2, s[10:11]
	v_add_u32_e32 v2, v2, v20
	v_cndmask_b32_e64 v2, 0, v2, s[12:13]
	v_add_u32_e32 v2, v2, v22
	v_cndmask_b32_e64 v2, 0, v2, s[14:15]
	v_add_u32_e32 v2, v2, v24
	v_cmp_gt_u64_e64 s[16:17], s[0:1], v[26:27]
	v_cmp_gt_u64_e64 s[18:19], s[0:1], v[28:29]
	v_cmp_gt_u64_e64 s[20:21], s[0:1], v[30:31]
	v_cndmask_b32_e64 v2, 0, v2, s[16:17]
	v_add_u32_e32 v2, v2, v26
	v_cndmask_b32_e64 v2, 0, v2, s[18:19]
	v_add_u32_e32 v2, v2, v28
	v_cndmask_b32_e64 v2, 0, v2, s[20:21]
	v_add_u32_e32 v2, v2, v30
	v_cmp_gt_u64_e64 s[22:23], s[0:1], v[32:33]
	v_cmp_gt_u64_e64 s[24:25], s[0:1], v[34:35]
	v_cmp_gt_u64_e64 s[26:27], s[0:1], v[36:37]
	v_cndmask_b32_e64 v2, 0, v2, s[22:23]
	v_add_u32_e32 v2, v2, v32
	v_cndmask_b32_e64 v2, 0, v2, s[24:25]
	v_add_u32_e32 v2, v2, v34
	v_cndmask_b32_e64 v2, 0, v2, s[26:27]
	v_add_u32_e32 v2, v2, v36
	v_cmp_gt_u64_e64 s[28:29], s[0:1], v[38:39]
	v_cmp_gt_u64_e64 s[30:31], s[0:1], v[40:41]
	v_cmp_gt_u64_e64 s[34:35], s[0:1], v[42:43]
	v_cndmask_b32_e64 v2, 0, v2, s[28:29]
	v_add_u32_e32 v2, v2, v38
	v_cndmask_b32_e64 v2, 0, v2, s[30:31]
	v_add_u32_e32 v2, v2, v40
	v_cndmask_b32_e64 v2, 0, v2, s[34:35]
	v_add_u32_e32 v2, v2, v42
	v_cmp_gt_u64_e64 s[36:37], s[0:1], v[44:45]
	v_cmp_gt_u64_e64 s[38:39], s[0:1], v[46:47]
	v_cmp_gt_u64_e64 s[40:41], s[0:1], v[48:49]
	v_cndmask_b32_e64 v2, 0, v2, s[36:37]
	v_add_u32_e32 v2, v2, v44
	v_cndmask_b32_e64 v2, 0, v2, s[38:39]
	v_add_u32_e32 v2, v2, v46
	v_cndmask_b32_e64 v2, 0, v2, s[40:41]
	v_add_u32_e32 v2, v2, v48
	v_cmp_gt_u64_e64 s[42:43], s[0:1], v[50:51]
	v_cmp_gt_u64_e64 s[44:45], s[0:1], v[52:53]
	v_cmp_gt_u64_e64 s[46:47], s[0:1], v[54:55]
	v_cndmask_b32_e64 v2, 0, v2, s[42:43]
	v_add_u32_e32 v2, v2, v50
	v_cndmask_b32_e64 v2, 0, v2, s[44:45]
	v_add_u32_e32 v2, v2, v52
	v_cndmask_b32_e64 v2, 0, v2, s[46:47]
	v_add_u32_e32 v2, v2, v54
	v_cmp_gt_u64_e64 s[0:1], s[0:1], v[58:59]
	v_add_lshl_u32 v1, v1, v0, 3
	s_nop 0
	v_cndmask_b32_e64 v2, 0, v2, s[0:1]
	v_add_u32_e32 v5, v2, v58
	v_or3_b32 v2, v57, v53, v51
	v_or3_b32 v2, v2, v49, v47
	;; [unrolled: 1-line block ×10, first 2 shown]
	v_and_b32_e32 v2, 1, v2
	v_cmp_eq_u32_e64 s[0:1], 1, v2
	s_nop 1
	v_cndmask_b32_e64 v6, v13, 1, s[0:1]
	v_cmp_gt_u32_e64 s[0:1], 64, v0
	ds_write_b32 v1, v5
	ds_write_b8 v1, v6 offset:4
	s_waitcnt lgkmcnt(0)
	s_barrier
	s_and_saveexec_b64 s[48:49], s[0:1]
	s_cbranch_execz .LBB1528_204
; %bb.193:
	v_lshrrev_b32_e32 v1, 3, v0
	v_add_lshl_u32 v1, v1, v56, 3
	ds_read2_b32 v[8:9], v1 offset0:2 offset1:4
	ds_read_b64 v[2:3], v1
	ds_read_u8 v15, v1 offset:12
	ds_read_u8 v17, v1 offset:20
	ds_read_b32 v19, v1 offset:24
	ds_read_u8 v21, v1 offset:28
	v_mov_b32_e32 v23, 0
	s_waitcnt lgkmcnt(3)
	v_cmp_eq_u16_sdwa s[0:1], v15, v23 src0_sel:BYTE_0 src1_sel:DWORD
	v_and_b32_e32 v7, 1, v3
	s_nop 0
	v_cndmask_b32_e64 v25, 0, v2, s[0:1]
	v_add_u32_e32 v8, v25, v8
	s_waitcnt lgkmcnt(2)
	v_cmp_eq_u16_sdwa s[0:1], v17, v23 src0_sel:BYTE_0 src1_sel:DWORD
	s_nop 1
	v_cndmask_b32_e64 v8, 0, v8, s[0:1]
	v_add_u32_e32 v8, v8, v9
	s_waitcnt lgkmcnt(0)
	v_cmp_eq_u16_e64 s[0:1], 0, v21
	s_nop 1
	v_cndmask_b32_e64 v8, 0, v8, s[0:1]
	v_add_u32_e32 v9, v8, v19
	v_or_b32_e32 v8, v21, v17
	v_or_b32_e32 v8, v8, v15
	v_and_b32_e32 v8, 1, v8
	v_cmp_eq_u32_e64 s[0:1], 1, v8
	v_mbcnt_lo_u32_b32 v15, -1, 0
	v_and_b32_e32 v8, 0xffffff00, v3
	v_cndmask_b32_e64 v17, v7, 1, s[0:1]
	v_mbcnt_hi_u32_b32 v15, -1, v15
	v_and_b32_e32 v21, 15, v15
	v_or_b32_sdwa v19, v8, v17 dst_sel:DWORD dst_unused:UNUSED_PAD src0_sel:DWORD src1_sel:WORD_0
	v_mov_b32_dpp v23, v9 row_shr:1 row_mask:0xf bank_mask:0xf
	v_cmp_ne_u32_e64 s[0:1], 0, v21
	v_mov_b32_dpp v25, v19 row_shr:1 row_mask:0xf bank_mask:0xf
	s_and_saveexec_b64 s[50:51], s[0:1]
; %bb.194:
	v_and_b32_e32 v19, 1, v17
	v_and_b32_e32 v25, 1, v25
	v_cmp_eq_u32_e64 s[0:1], 1, v19
	s_nop 1
	v_cndmask_b32_e64 v25, v25, 1, s[0:1]
	v_cmp_eq_u16_e64 s[0:1], 0, v17
	v_or_b32_sdwa v19, v8, v25 dst_sel:DWORD dst_unused:UNUSED_PAD src0_sel:DWORD src1_sel:WORD_0
	s_nop 0
	v_cndmask_b32_e64 v17, 0, v23, s[0:1]
	v_add_u32_e32 v9, v17, v9
	v_mov_b32_e32 v17, v25
; %bb.195:
	s_or_b64 exec, exec, s[50:51]
	v_mov_b32_dpp v23, v9 row_shr:2 row_mask:0xf bank_mask:0xf
	v_mov_b32_dpp v25, v19 row_shr:2 row_mask:0xf bank_mask:0xf
	v_cmp_lt_u32_e64 s[0:1], 1, v21
	s_and_saveexec_b64 s[50:51], s[0:1]
; %bb.196:
	v_and_b32_e32 v19, 1, v17
	v_and_b32_e32 v25, 1, v25
	v_cmp_eq_u32_e64 s[0:1], 1, v19
	s_nop 1
	v_cndmask_b32_e64 v25, v25, 1, s[0:1]
	v_cmp_eq_u16_e64 s[0:1], 0, v17
	v_or_b32_sdwa v19, v8, v25 dst_sel:DWORD dst_unused:UNUSED_PAD src0_sel:DWORD src1_sel:WORD_0
	s_nop 0
	v_cndmask_b32_e64 v17, 0, v23, s[0:1]
	v_add_u32_e32 v9, v17, v9
	v_mov_b32_e32 v17, v25
; %bb.197:
	s_or_b64 exec, exec, s[50:51]
	v_mov_b32_dpp v23, v9 row_shr:4 row_mask:0xf bank_mask:0xf
	v_mov_b32_dpp v25, v19 row_shr:4 row_mask:0xf bank_mask:0xf
	v_cmp_lt_u32_e64 s[0:1], 3, v21
	;; [unrolled: 18-line block ×3, first 2 shown]
	s_and_saveexec_b64 s[50:51], s[0:1]
; %bb.200:
	v_and_b32_e32 v19, 1, v17
	v_and_b32_e32 v21, 1, v25
	v_cmp_eq_u32_e64 s[0:1], 1, v19
	s_nop 1
	v_cndmask_b32_e64 v21, v21, 1, s[0:1]
	v_cmp_eq_u16_e64 s[0:1], 0, v17
	v_or_b32_sdwa v19, v8, v21 dst_sel:DWORD dst_unused:UNUSED_PAD src0_sel:DWORD src1_sel:WORD_0
	s_nop 0
	v_cndmask_b32_e64 v17, 0, v23, s[0:1]
	v_add_u32_e32 v9, v17, v9
	v_mov_b32_e32 v17, v21
; %bb.201:
	s_or_b64 exec, exec, s[50:51]
	v_and_b32_e32 v25, 16, v15
	v_mov_b32_dpp v21, v9 row_bcast:15 row_mask:0xf bank_mask:0xf
	v_mov_b32_dpp v23, v19 row_bcast:15 row_mask:0xf bank_mask:0xf
	v_cmp_ne_u32_e64 s[0:1], 0, v25
	s_and_saveexec_b64 s[50:51], s[0:1]
; %bb.202:
	v_and_b32_e32 v19, 1, v17
	v_and_b32_e32 v23, 1, v23
	v_cmp_eq_u32_e64 s[0:1], 1, v19
	s_nop 1
	v_cndmask_b32_e64 v23, v23, 1, s[0:1]
	v_cmp_eq_u16_e64 s[0:1], 0, v17
	v_or_b32_sdwa v19, v8, v23 dst_sel:DWORD dst_unused:UNUSED_PAD src0_sel:DWORD src1_sel:WORD_0
	s_nop 0
	v_cndmask_b32_e64 v17, 0, v21, s[0:1]
	v_add_u32_e32 v9, v17, v9
	v_mov_b32_e32 v17, v23
; %bb.203:
	s_or_b64 exec, exec, s[50:51]
	v_mov_b32_dpp v19, v19 row_bcast:31 row_mask:0xf bank_mask:0xf
	v_and_b32_e32 v23, 1, v17
	v_and_b32_e32 v19, 1, v19
	v_cmp_eq_u32_e64 s[0:1], 1, v23
	v_mov_b32_e32 v23, 0
	v_cmp_eq_u16_sdwa s[50:51], v17, v23 src0_sel:BYTE_0 src1_sel:DWORD
	v_cndmask_b32_e64 v19, v19, 1, s[0:1]
	v_cmp_lt_u32_e64 s[0:1], 31, v15
	v_mov_b32_dpp v21, v9 row_bcast:31 row_mask:0xf bank_mask:0xf
	s_movk_i32 s56, 0xff
	v_cndmask_b32_e64 v17, v17, v19, s[0:1]
	s_and_b64 s[0:1], s[0:1], s[50:51]
	v_cndmask_b32_e64 v19, 0, v21, s[0:1]
	v_add_u32_e32 v9, v19, v9
	v_add_u32_e32 v19, -1, v15
	v_and_b32_e32 v21, 64, v15
	v_cmp_lt_i32_e64 s[0:1], v19, v21
	v_and_or_b32 v8, v17, s56, v8
	s_nop 0
	v_cndmask_b32_e64 v15, v19, v15, s[0:1]
	v_lshlrev_b32_e32 v15, 2, v15
	ds_bpermute_b32 v9, v15, v9
	ds_bpermute_b32 v8, v15, v8
	v_cmp_eq_u16_sdwa s[0:1], v3, v23 src0_sel:BYTE_0 src1_sel:DWORD
	; wave barrier
	s_waitcnt lgkmcnt(1)
	s_nop 0
	v_cndmask_b32_e64 v3, 0, v9, s[0:1]
	v_add_u32_e32 v2, v3, v2
	s_waitcnt lgkmcnt(0)
	v_and_b32_e32 v3, 1, v8
	v_cmp_eq_u32_e64 s[0:1], 1, v7
	v_cndmask_b32_e64 v5, v2, v5, s[52:53]
	s_nop 0
	v_cndmask_b32_e64 v3, v3, 1, s[0:1]
	v_cndmask_b32_e64 v6, v3, v6, s[52:53]
	ds_write_b32 v1, v5
	ds_write_b8 v1, v6 offset:4
	; wave barrier
	ds_read_u8 v7, v1 offset:12
	ds_read2_b32 v[2:3], v1 offset0:2 offset1:4
	ds_read_u8 v8, v1 offset:20
	ds_read_b32 v9, v1 offset:24
	ds_read_u8 v15, v1 offset:28
	s_waitcnt lgkmcnt(4)
	v_cmp_eq_u16_e64 s[0:1], 0, v7
	s_nop 1
	v_cndmask_b32_e64 v5, 0, v5, s[0:1]
	s_waitcnt lgkmcnt(3)
	v_add_u32_e32 v2, v5, v2
	v_and_b32_e32 v5, 1, v7
	v_cmp_eq_u32_e64 s[0:1], 1, v5
	s_nop 1
	v_cndmask_b32_e64 v5, v6, 1, s[0:1]
	s_waitcnt lgkmcnt(2)
	v_cmp_eq_u16_e64 s[0:1], 0, v8
	ds_write_b8 v1, v5 offset:12
	s_nop 0
	v_cndmask_b32_e64 v6, 0, v2, s[0:1]
	v_add_u32_e32 v3, v6, v3
	v_and_b32_e32 v6, 1, v8
	v_cmp_eq_u32_e64 s[0:1], 1, v6
	s_nop 1
	v_cndmask_b32_e64 v5, v5, 1, s[0:1]
	s_waitcnt lgkmcnt(1)
	v_cmp_eq_u16_e64 s[0:1], 0, v15
	ds_write2_b32 v1, v2, v3 offset0:2 offset1:4
	ds_write_b8 v1, v5 offset:20
	v_cndmask_b32_e64 v2, 0, v3, s[0:1]
	v_and_b32_e32 v3, 1, v15
	v_add_u32_e32 v2, v2, v9
	v_cmp_eq_u32_e64 s[0:1], 1, v3
	s_nop 1
	v_cndmask_b32_e64 v3, v5, 1, s[0:1]
	ds_write_b32 v1, v2 offset:24
	ds_write_b8 v1, v3 offset:28
.LBB1528_204:
	s_or_b64 exec, exec, s[48:49]
	s_waitcnt vmcnt(0)
	v_mov_b32_e32 v60, v4
	s_waitcnt lgkmcnt(0)
	s_barrier
	s_and_saveexec_b64 s[48:49], s[4:5]
	s_cbranch_execz .LBB1528_206
; %bb.205:
	v_add_u32_e32 v1, -1, v0
	v_lshrrev_b32_e32 v2, 5, v1
	v_add_lshl_u32 v1, v2, v1, 3
	ds_read_u8 v2, v1 offset:4
	ds_read_b32 v1, v1
	s_waitcnt lgkmcnt(1)
	v_cmp_eq_u16_e64 s[0:1], 0, v2
	s_nop 1
	v_cndmask_b32_e64 v2, 0, v4, s[0:1]
	s_waitcnt lgkmcnt(0)
	v_add_u32_e32 v60, v2, v1
.LBB1528_206:
	s_or_b64 exec, exec, s[48:49]
	v_and_b32_e32 v3, 0xff, v13
	v_mov_b32_e32 v2, 0
	v_cmp_eq_u64_e64 s[0:1], 0, v[2:3]
	s_nop 1
	v_cndmask_b32_e64 v1, 0, v60, s[0:1]
	v_add_u32_e32 v61, v1, v12
	v_cndmask_b32_e32 v1, 0, v61, vcc
	v_add_u32_e32 v62, v1, v14
	v_cndmask_b32_e64 v1, 0, v62, s[6:7]
	v_add_u32_e32 v63, v1, v16
	v_cndmask_b32_e64 v1, 0, v63, s[8:9]
	;; [unrolled: 2-line block ×20, first 2 shown]
	s_and_saveexec_b64 s[0:1], s[52:53]
	s_cbranch_execz .LBB1528_208
; %bb.207:
	ds_read_u8 v3, v2 offset:2100
	ds_read_b32 v5, v2 offset:2096
	s_add_u32 s4, s64, 0x400
	s_addc_u32 s5, s65, 0
	v_mov_b32_e32 v6, 2
	s_waitcnt lgkmcnt(1)
	v_cmp_eq_u16_e32 vcc, 0, v3
	v_mov_b32_e32 v7, v2
	s_nop 0
	v_cndmask_b32_e32 v4, 0, v4, vcc
	s_waitcnt lgkmcnt(0)
	v_add_u32_e32 v4, v4, v5
	v_and_b32_e32 v5, 0xffff, v3
	v_mov_b64_e32 v[2:3], s[4:5]
	;;#ASMSTART
	global_store_dwordx4 v[2:3], v[4:7] off sc1	
s_waitcnt vmcnt(0)
	;;#ASMEND
.LBB1528_208:
	s_or_b64 exec, exec, s[0:1]
	v_add_u32_e32 v82, v1, v54
.LBB1528_209:
	s_add_u32 s0, s62, s54
	s_addc_u32 s1, s63, s55
	v_lshl_add_u64 v[2:3], s[0:1], 0, v[10:11]
	s_and_b64 vcc, exec, s[2:3]
	s_cbranch_vccz .LBB1528_255
; %bb.210:
	s_movk_i32 s0, 0x5c
	v_mul_i32_i24_e32 v28, 0xffffffa8, v0
	v_mul_u32_u24_e32 v1, 0x5c, v0
	v_mad_u32_u24 v4, v0, s0, v28
	s_barrier
	ds_write2_b32 v1, v60, v61 offset1:1
	ds_write2_b32 v1, v62, v63 offset0:2 offset1:3
	ds_write2_b32 v1, v64, v65 offset0:4 offset1:5
	ds_write2_b32 v1, v66, v67 offset0:6 offset1:7
	ds_write2_b32 v1, v68, v69 offset0:8 offset1:9
	ds_write2_b32 v1, v70, v71 offset0:10 offset1:11
	ds_write2_b32 v1, v72, v73 offset0:12 offset1:13
	ds_write2_b32 v1, v74, v75 offset0:14 offset1:15
	ds_write2_b32 v1, v76, v77 offset0:16 offset1:17
	ds_write2_b32 v1, v78, v79 offset0:18 offset1:19
	ds_write2_b32 v1, v80, v81 offset0:20 offset1:21
	ds_write_b32 v1, v82 offset:88
	s_waitcnt lgkmcnt(0)
	s_barrier
	ds_read2st64_b32 v[26:27], v4 offset0:4 offset1:8
	ds_read2st64_b32 v[24:25], v4 offset0:12 offset1:16
	;; [unrolled: 1-line block ×11, first 2 shown]
	s_add_i32 s33, s33, s66
	v_mov_b32_e32 v57, 0
	v_lshl_add_u64 v[6:7], v[2:3], 0, v[56:57]
	v_cmp_gt_u32_e32 vcc, s33, v0
	s_and_saveexec_b64 s[0:1], vcc
	s_cbranch_execz .LBB1528_212
; %bb.211:
	v_add_u32_e32 v1, v1, v28
	ds_read_b32 v1, v1
	s_waitcnt lgkmcnt(0)
	flat_store_dword v[6:7], v1
.LBB1528_212:
	s_or_b64 exec, exec, s[0:1]
	v_or_b32_e32 v1, 0x100, v0
	v_cmp_gt_u32_e32 vcc, s33, v1
	s_and_saveexec_b64 s[0:1], vcc
	s_cbranch_execz .LBB1528_214
; %bb.213:
	s_waitcnt lgkmcnt(0)
	flat_store_dword v[6:7], v26 offset:1024
.LBB1528_214:
	s_or_b64 exec, exec, s[0:1]
	v_or_b32_e32 v1, 0x200, v0
	v_cmp_gt_u32_e32 vcc, s33, v1
	s_and_saveexec_b64 s[0:1], vcc
	s_cbranch_execz .LBB1528_216
; %bb.215:
	s_waitcnt lgkmcnt(0)
	flat_store_dword v[6:7], v27 offset:2048
.LBB1528_216:
	;; [unrolled: 9-line block ×3, first 2 shown]
	s_or_b64 exec, exec, s[0:1]
	v_or_b32_e32 v1, 0x400, v0
	v_cmp_gt_u32_e32 vcc, s33, v1
	s_and_saveexec_b64 s[0:1], vcc
	s_cbranch_execz .LBB1528_220
; %bb.219:
	s_waitcnt lgkmcnt(0)
	v_add_co_u32_e32 v26, vcc, 0x1000, v6
	s_nop 1
	v_addc_co_u32_e32 v27, vcc, 0, v7, vcc
	flat_store_dword v[26:27], v25
.LBB1528_220:
	s_or_b64 exec, exec, s[0:1]
	v_or_b32_e32 v1, 0x500, v0
	v_cmp_gt_u32_e32 vcc, s33, v1
	s_and_saveexec_b64 s[0:1], vcc
	s_cbranch_execz .LBB1528_222
; %bb.221:
	s_waitcnt lgkmcnt(0)
	v_add_co_u32_e32 v24, vcc, 0x1000, v6
	s_nop 1
	v_addc_co_u32_e32 v25, vcc, 0, v7, vcc
	flat_store_dword v[24:25], v22 offset:1024
.LBB1528_222:
	s_or_b64 exec, exec, s[0:1]
	v_or_b32_e32 v1, 0x600, v0
	v_cmp_gt_u32_e32 vcc, s33, v1
	s_and_saveexec_b64 s[0:1], vcc
	s_cbranch_execz .LBB1528_224
; %bb.223:
	s_waitcnt lgkmcnt(0)
	v_add_co_u32_e32 v24, vcc, 0x1000, v6
	s_nop 1
	v_addc_co_u32_e32 v25, vcc, 0, v7, vcc
	flat_store_dword v[24:25], v23 offset:2048
.LBB1528_224:
	s_or_b64 exec, exec, s[0:1]
	v_or_b32_e32 v1, 0x700, v0
	v_cmp_gt_u32_e32 vcc, s33, v1
	s_and_saveexec_b64 s[0:1], vcc
	s_cbranch_execz .LBB1528_226
; %bb.225:
	s_waitcnt lgkmcnt(0)
	v_add_co_u32_e32 v22, vcc, 0x1000, v6
	s_nop 1
	v_addc_co_u32_e32 v23, vcc, 0, v7, vcc
	flat_store_dword v[22:23], v20 offset:3072
.LBB1528_226:
	s_or_b64 exec, exec, s[0:1]
	v_or_b32_e32 v1, 0x800, v0
	v_cmp_gt_u32_e32 vcc, s33, v1
	s_and_saveexec_b64 s[0:1], vcc
	s_cbranch_execz .LBB1528_228
; %bb.227:
	s_waitcnt lgkmcnt(0)
	v_add_co_u32_e32 v22, vcc, 0x2000, v6
	s_nop 1
	v_addc_co_u32_e32 v23, vcc, 0, v7, vcc
	flat_store_dword v[22:23], v21
.LBB1528_228:
	s_or_b64 exec, exec, s[0:1]
	v_or_b32_e32 v1, 0x900, v0
	v_cmp_gt_u32_e32 vcc, s33, v1
	s_and_saveexec_b64 s[0:1], vcc
	s_cbranch_execz .LBB1528_230
; %bb.229:
	s_waitcnt lgkmcnt(0)
	v_add_co_u32_e32 v20, vcc, 0x2000, v6
	s_nop 1
	v_addc_co_u32_e32 v21, vcc, 0, v7, vcc
	flat_store_dword v[20:21], v18 offset:1024
.LBB1528_230:
	s_or_b64 exec, exec, s[0:1]
	v_or_b32_e32 v1, 0xa00, v0
	v_cmp_gt_u32_e32 vcc, s33, v1
	s_and_saveexec_b64 s[0:1], vcc
	s_cbranch_execz .LBB1528_232
; %bb.231:
	s_waitcnt lgkmcnt(0)
	v_add_co_u32_e32 v20, vcc, 0x2000, v6
	s_nop 1
	v_addc_co_u32_e32 v21, vcc, 0, v7, vcc
	flat_store_dword v[20:21], v19 offset:2048
.LBB1528_232:
	s_or_b64 exec, exec, s[0:1]
	v_or_b32_e32 v1, 0xb00, v0
	v_cmp_gt_u32_e32 vcc, s33, v1
	s_and_saveexec_b64 s[0:1], vcc
	s_cbranch_execz .LBB1528_234
; %bb.233:
	s_waitcnt lgkmcnt(0)
	v_add_co_u32_e32 v18, vcc, 0x2000, v6
	s_nop 1
	v_addc_co_u32_e32 v19, vcc, 0, v7, vcc
	flat_store_dword v[18:19], v16 offset:3072
.LBB1528_234:
	;; [unrolled: 48-line block ×4, first 2 shown]
	s_or_b64 exec, exec, s[0:1]
	v_or_b32_e32 v1, 0x1400, v0
	v_cmp_gt_u32_e32 vcc, s33, v1
	s_and_saveexec_b64 s[0:1], vcc
	s_cbranch_execz .LBB1528_252
; %bb.251:
	s_waitcnt lgkmcnt(0)
	v_add_co_u32_e32 v10, vcc, 0x5000, v6
	s_nop 1
	v_addc_co_u32_e32 v11, vcc, 0, v7, vcc
	flat_store_dword v[10:11], v9
.LBB1528_252:
	s_or_b64 exec, exec, s[0:1]
	v_or_b32_e32 v1, 0x1500, v0
	v_cmp_gt_u32_e32 vcc, s33, v1
	s_and_saveexec_b64 s[0:1], vcc
	s_cbranch_execz .LBB1528_254
; %bb.253:
	v_add_co_u32_e32 v6, vcc, 0x5000, v6
	s_nop 1
	v_addc_co_u32_e32 v7, vcc, 0, v7, vcc
	s_waitcnt lgkmcnt(0)
	flat_store_dword v[6:7], v4 offset:1024
.LBB1528_254:
	s_or_b64 exec, exec, s[0:1]
	s_waitcnt lgkmcnt(0)
	v_or_b32_e32 v4, 0x1600, v0
	v_mov_b32_e32 v1, v57
	v_cmp_gt_u32_e64 s[0:1], s33, v4
	s_branch .LBB1528_257
.LBB1528_255:
	s_mov_b64 s[0:1], 0
                                        ; implicit-def: $vgpr5
	s_cbranch_execz .LBB1528_257
; %bb.256:
	v_mul_u32_u24_e32 v1, 0x5c, v0
	s_barrier
	s_movk_i32 s2, 0x5c
	ds_write2_b32 v1, v60, v61 offset1:1
	ds_write2_b32 v1, v62, v63 offset0:2 offset1:3
	ds_write2_b32 v1, v64, v65 offset0:4 offset1:5
	;; [unrolled: 1-line block ×10, first 2 shown]
	ds_write_b32 v1, v82 offset:88
	v_mov_b32_e32 v1, 0
	v_mul_i32_i24_e32 v4, 0xffffffa8, v0
	v_mad_u32_u24 v4, v0, s2, v4
	v_mov_b32_e32 v57, v1
	s_waitcnt lgkmcnt(0)
	s_barrier
	ds_read2st64_b32 v[6:7], v4 offset1:4
	ds_read2st64_b32 v[8:9], v4 offset0:8 offset1:12
	ds_read2st64_b32 v[10:11], v4 offset0:16 offset1:20
	;; [unrolled: 1-line block ×10, first 2 shown]
	ds_read_b32 v5, v4 offset:22528
	v_lshl_add_u64 v[28:29], v[2:3], 0, v[56:57]
	s_movk_i32 s2, 0x1000
	s_waitcnt lgkmcnt(0)
	flat_store_dword v[28:29], v6
	flat_store_dword v[28:29], v7 offset:1024
	flat_store_dword v[28:29], v8 offset:2048
	;; [unrolled: 1-line block ×3, first 2 shown]
	v_add_co_u32_e32 v6, vcc, s2, v28
	s_movk_i32 s2, 0x2000
	s_nop 0
	v_addc_co_u32_e32 v7, vcc, 0, v29, vcc
	flat_store_dword v[6:7], v10
	flat_store_dword v[6:7], v11 offset:1024
	flat_store_dword v[6:7], v12 offset:2048
	;; [unrolled: 1-line block ×3, first 2 shown]
	v_add_co_u32_e32 v6, vcc, s2, v28
	s_movk_i32 s2, 0x3000
	s_nop 0
	v_addc_co_u32_e32 v7, vcc, 0, v29, vcc
	flat_store_dword v[6:7], v14
	flat_store_dword v[6:7], v15 offset:1024
	flat_store_dword v[6:7], v16 offset:2048
	;; [unrolled: 1-line block ×3, first 2 shown]
	v_add_co_u32_e32 v6, vcc, s2, v28
	s_or_b64 s[0:1], s[0:1], exec
	s_nop 0
	v_addc_co_u32_e32 v7, vcc, 0, v29, vcc
	flat_store_dword v[6:7], v18
	flat_store_dword v[6:7], v19 offset:1024
	flat_store_dword v[6:7], v20 offset:2048
	;; [unrolled: 1-line block ×3, first 2 shown]
	v_add_co_u32_e32 v6, vcc, 0x4000, v28
	s_nop 1
	v_addc_co_u32_e32 v7, vcc, 0, v29, vcc
	flat_store_dword v[6:7], v22
	flat_store_dword v[6:7], v23 offset:1024
	flat_store_dword v[6:7], v24 offset:2048
	;; [unrolled: 1-line block ×3, first 2 shown]
	v_add_co_u32_e32 v6, vcc, 0x5000, v28
	s_nop 1
	v_addc_co_u32_e32 v7, vcc, 0, v29, vcc
	flat_store_dword v[6:7], v26
	flat_store_dword v[6:7], v27 offset:1024
.LBB1528_257:
	s_and_saveexec_b64 s[2:3], s[0:1]
	s_cbranch_execz .LBB1528_259
; %bb.258:
	v_lshl_add_u64 v[0:1], v[0:1], 2, v[2:3]
	v_add_co_u32_e32 v0, vcc, 0x5000, v0
	s_nop 1
	v_addc_co_u32_e32 v1, vcc, 0, v1, vcc
	flat_store_dword v[0:1], v5 offset:2048
	s_endpgm
.LBB1528_259:
	s_endpgm
	.section	.rodata,"a",@progbits
	.p2align	6, 0x0
	.amdhsa_kernel _ZN7rocprim17ROCPRIM_400000_NS6detail17trampoline_kernelINS0_14default_configENS1_27scan_by_key_config_selectorIijEEZZNS1_16scan_by_key_implILNS1_25lookback_scan_determinismE0ELb1ES3_N6thrust23THRUST_200600_302600_NS6detail15normal_iteratorINS9_10device_ptrIiEEEENSB_INSC_IjEEEESG_jNS9_4plusIvEENS9_8equal_toIvEEjEE10hipError_tPvRmT2_T3_T4_T5_mT6_T7_P12ihipStream_tbENKUlT_T0_E_clISt17integral_constantIbLb0EES10_IbLb1EEEEDaSW_SX_EUlSW_E_NS1_11comp_targetILNS1_3genE5ELNS1_11target_archE942ELNS1_3gpuE9ELNS1_3repE0EEENS1_30default_config_static_selectorELNS0_4arch9wavefront6targetE1EEEvT1_
		.amdhsa_group_segment_fixed_size 25600
		.amdhsa_private_segment_fixed_size 0
		.amdhsa_kernarg_size 112
		.amdhsa_user_sgpr_count 2
		.amdhsa_user_sgpr_dispatch_ptr 0
		.amdhsa_user_sgpr_queue_ptr 0
		.amdhsa_user_sgpr_kernarg_segment_ptr 1
		.amdhsa_user_sgpr_dispatch_id 0
		.amdhsa_user_sgpr_kernarg_preload_length 0
		.amdhsa_user_sgpr_kernarg_preload_offset 0
		.amdhsa_user_sgpr_private_segment_size 0
		.amdhsa_uses_dynamic_stack 0
		.amdhsa_enable_private_segment 0
		.amdhsa_system_sgpr_workgroup_id_x 1
		.amdhsa_system_sgpr_workgroup_id_y 0
		.amdhsa_system_sgpr_workgroup_id_z 0
		.amdhsa_system_sgpr_workgroup_info 0
		.amdhsa_system_vgpr_workitem_id 0
		.amdhsa_next_free_vgpr 83
		.amdhsa_next_free_sgpr 80
		.amdhsa_accum_offset 84
		.amdhsa_reserve_vcc 1
		.amdhsa_float_round_mode_32 0
		.amdhsa_float_round_mode_16_64 0
		.amdhsa_float_denorm_mode_32 3
		.amdhsa_float_denorm_mode_16_64 3
		.amdhsa_dx10_clamp 1
		.amdhsa_ieee_mode 1
		.amdhsa_fp16_overflow 0
		.amdhsa_tg_split 0
		.amdhsa_exception_fp_ieee_invalid_op 0
		.amdhsa_exception_fp_denorm_src 0
		.amdhsa_exception_fp_ieee_div_zero 0
		.amdhsa_exception_fp_ieee_overflow 0
		.amdhsa_exception_fp_ieee_underflow 0
		.amdhsa_exception_fp_ieee_inexact 0
		.amdhsa_exception_int_div_zero 0
	.end_amdhsa_kernel
	.section	.text._ZN7rocprim17ROCPRIM_400000_NS6detail17trampoline_kernelINS0_14default_configENS1_27scan_by_key_config_selectorIijEEZZNS1_16scan_by_key_implILNS1_25lookback_scan_determinismE0ELb1ES3_N6thrust23THRUST_200600_302600_NS6detail15normal_iteratorINS9_10device_ptrIiEEEENSB_INSC_IjEEEESG_jNS9_4plusIvEENS9_8equal_toIvEEjEE10hipError_tPvRmT2_T3_T4_T5_mT6_T7_P12ihipStream_tbENKUlT_T0_E_clISt17integral_constantIbLb0EES10_IbLb1EEEEDaSW_SX_EUlSW_E_NS1_11comp_targetILNS1_3genE5ELNS1_11target_archE942ELNS1_3gpuE9ELNS1_3repE0EEENS1_30default_config_static_selectorELNS0_4arch9wavefront6targetE1EEEvT1_,"axG",@progbits,_ZN7rocprim17ROCPRIM_400000_NS6detail17trampoline_kernelINS0_14default_configENS1_27scan_by_key_config_selectorIijEEZZNS1_16scan_by_key_implILNS1_25lookback_scan_determinismE0ELb1ES3_N6thrust23THRUST_200600_302600_NS6detail15normal_iteratorINS9_10device_ptrIiEEEENSB_INSC_IjEEEESG_jNS9_4plusIvEENS9_8equal_toIvEEjEE10hipError_tPvRmT2_T3_T4_T5_mT6_T7_P12ihipStream_tbENKUlT_T0_E_clISt17integral_constantIbLb0EES10_IbLb1EEEEDaSW_SX_EUlSW_E_NS1_11comp_targetILNS1_3genE5ELNS1_11target_archE942ELNS1_3gpuE9ELNS1_3repE0EEENS1_30default_config_static_selectorELNS0_4arch9wavefront6targetE1EEEvT1_,comdat
.Lfunc_end1528:
	.size	_ZN7rocprim17ROCPRIM_400000_NS6detail17trampoline_kernelINS0_14default_configENS1_27scan_by_key_config_selectorIijEEZZNS1_16scan_by_key_implILNS1_25lookback_scan_determinismE0ELb1ES3_N6thrust23THRUST_200600_302600_NS6detail15normal_iteratorINS9_10device_ptrIiEEEENSB_INSC_IjEEEESG_jNS9_4plusIvEENS9_8equal_toIvEEjEE10hipError_tPvRmT2_T3_T4_T5_mT6_T7_P12ihipStream_tbENKUlT_T0_E_clISt17integral_constantIbLb0EES10_IbLb1EEEEDaSW_SX_EUlSW_E_NS1_11comp_targetILNS1_3genE5ELNS1_11target_archE942ELNS1_3gpuE9ELNS1_3repE0EEENS1_30default_config_static_selectorELNS0_4arch9wavefront6targetE1EEEvT1_, .Lfunc_end1528-_ZN7rocprim17ROCPRIM_400000_NS6detail17trampoline_kernelINS0_14default_configENS1_27scan_by_key_config_selectorIijEEZZNS1_16scan_by_key_implILNS1_25lookback_scan_determinismE0ELb1ES3_N6thrust23THRUST_200600_302600_NS6detail15normal_iteratorINS9_10device_ptrIiEEEENSB_INSC_IjEEEESG_jNS9_4plusIvEENS9_8equal_toIvEEjEE10hipError_tPvRmT2_T3_T4_T5_mT6_T7_P12ihipStream_tbENKUlT_T0_E_clISt17integral_constantIbLb0EES10_IbLb1EEEEDaSW_SX_EUlSW_E_NS1_11comp_targetILNS1_3genE5ELNS1_11target_archE942ELNS1_3gpuE9ELNS1_3repE0EEENS1_30default_config_static_selectorELNS0_4arch9wavefront6targetE1EEEvT1_
                                        ; -- End function
	.section	.AMDGPU.csdata,"",@progbits
; Kernel info:
; codeLenInByte = 15768
; NumSgprs: 86
; NumVgprs: 83
; NumAgprs: 0
; TotalNumVgprs: 83
; ScratchSize: 0
; MemoryBound: 0
; FloatMode: 240
; IeeeMode: 1
; LDSByteSize: 25600 bytes/workgroup (compile time only)
; SGPRBlocks: 10
; VGPRBlocks: 10
; NumSGPRsForWavesPerEU: 86
; NumVGPRsForWavesPerEU: 83
; AccumOffset: 84
; Occupancy: 2
; WaveLimiterHint : 1
; COMPUTE_PGM_RSRC2:SCRATCH_EN: 0
; COMPUTE_PGM_RSRC2:USER_SGPR: 2
; COMPUTE_PGM_RSRC2:TRAP_HANDLER: 0
; COMPUTE_PGM_RSRC2:TGID_X_EN: 1
; COMPUTE_PGM_RSRC2:TGID_Y_EN: 0
; COMPUTE_PGM_RSRC2:TGID_Z_EN: 0
; COMPUTE_PGM_RSRC2:TIDIG_COMP_CNT: 0
; COMPUTE_PGM_RSRC3_GFX90A:ACCUM_OFFSET: 20
; COMPUTE_PGM_RSRC3_GFX90A:TG_SPLIT: 0
	.section	.text._ZN7rocprim17ROCPRIM_400000_NS6detail17trampoline_kernelINS0_14default_configENS1_27scan_by_key_config_selectorIijEEZZNS1_16scan_by_key_implILNS1_25lookback_scan_determinismE0ELb1ES3_N6thrust23THRUST_200600_302600_NS6detail15normal_iteratorINS9_10device_ptrIiEEEENSB_INSC_IjEEEESG_jNS9_4plusIvEENS9_8equal_toIvEEjEE10hipError_tPvRmT2_T3_T4_T5_mT6_T7_P12ihipStream_tbENKUlT_T0_E_clISt17integral_constantIbLb0EES10_IbLb1EEEEDaSW_SX_EUlSW_E_NS1_11comp_targetILNS1_3genE4ELNS1_11target_archE910ELNS1_3gpuE8ELNS1_3repE0EEENS1_30default_config_static_selectorELNS0_4arch9wavefront6targetE1EEEvT1_,"axG",@progbits,_ZN7rocprim17ROCPRIM_400000_NS6detail17trampoline_kernelINS0_14default_configENS1_27scan_by_key_config_selectorIijEEZZNS1_16scan_by_key_implILNS1_25lookback_scan_determinismE0ELb1ES3_N6thrust23THRUST_200600_302600_NS6detail15normal_iteratorINS9_10device_ptrIiEEEENSB_INSC_IjEEEESG_jNS9_4plusIvEENS9_8equal_toIvEEjEE10hipError_tPvRmT2_T3_T4_T5_mT6_T7_P12ihipStream_tbENKUlT_T0_E_clISt17integral_constantIbLb0EES10_IbLb1EEEEDaSW_SX_EUlSW_E_NS1_11comp_targetILNS1_3genE4ELNS1_11target_archE910ELNS1_3gpuE8ELNS1_3repE0EEENS1_30default_config_static_selectorELNS0_4arch9wavefront6targetE1EEEvT1_,comdat
	.protected	_ZN7rocprim17ROCPRIM_400000_NS6detail17trampoline_kernelINS0_14default_configENS1_27scan_by_key_config_selectorIijEEZZNS1_16scan_by_key_implILNS1_25lookback_scan_determinismE0ELb1ES3_N6thrust23THRUST_200600_302600_NS6detail15normal_iteratorINS9_10device_ptrIiEEEENSB_INSC_IjEEEESG_jNS9_4plusIvEENS9_8equal_toIvEEjEE10hipError_tPvRmT2_T3_T4_T5_mT6_T7_P12ihipStream_tbENKUlT_T0_E_clISt17integral_constantIbLb0EES10_IbLb1EEEEDaSW_SX_EUlSW_E_NS1_11comp_targetILNS1_3genE4ELNS1_11target_archE910ELNS1_3gpuE8ELNS1_3repE0EEENS1_30default_config_static_selectorELNS0_4arch9wavefront6targetE1EEEvT1_ ; -- Begin function _ZN7rocprim17ROCPRIM_400000_NS6detail17trampoline_kernelINS0_14default_configENS1_27scan_by_key_config_selectorIijEEZZNS1_16scan_by_key_implILNS1_25lookback_scan_determinismE0ELb1ES3_N6thrust23THRUST_200600_302600_NS6detail15normal_iteratorINS9_10device_ptrIiEEEENSB_INSC_IjEEEESG_jNS9_4plusIvEENS9_8equal_toIvEEjEE10hipError_tPvRmT2_T3_T4_T5_mT6_T7_P12ihipStream_tbENKUlT_T0_E_clISt17integral_constantIbLb0EES10_IbLb1EEEEDaSW_SX_EUlSW_E_NS1_11comp_targetILNS1_3genE4ELNS1_11target_archE910ELNS1_3gpuE8ELNS1_3repE0EEENS1_30default_config_static_selectorELNS0_4arch9wavefront6targetE1EEEvT1_
	.globl	_ZN7rocprim17ROCPRIM_400000_NS6detail17trampoline_kernelINS0_14default_configENS1_27scan_by_key_config_selectorIijEEZZNS1_16scan_by_key_implILNS1_25lookback_scan_determinismE0ELb1ES3_N6thrust23THRUST_200600_302600_NS6detail15normal_iteratorINS9_10device_ptrIiEEEENSB_INSC_IjEEEESG_jNS9_4plusIvEENS9_8equal_toIvEEjEE10hipError_tPvRmT2_T3_T4_T5_mT6_T7_P12ihipStream_tbENKUlT_T0_E_clISt17integral_constantIbLb0EES10_IbLb1EEEEDaSW_SX_EUlSW_E_NS1_11comp_targetILNS1_3genE4ELNS1_11target_archE910ELNS1_3gpuE8ELNS1_3repE0EEENS1_30default_config_static_selectorELNS0_4arch9wavefront6targetE1EEEvT1_
	.p2align	8
	.type	_ZN7rocprim17ROCPRIM_400000_NS6detail17trampoline_kernelINS0_14default_configENS1_27scan_by_key_config_selectorIijEEZZNS1_16scan_by_key_implILNS1_25lookback_scan_determinismE0ELb1ES3_N6thrust23THRUST_200600_302600_NS6detail15normal_iteratorINS9_10device_ptrIiEEEENSB_INSC_IjEEEESG_jNS9_4plusIvEENS9_8equal_toIvEEjEE10hipError_tPvRmT2_T3_T4_T5_mT6_T7_P12ihipStream_tbENKUlT_T0_E_clISt17integral_constantIbLb0EES10_IbLb1EEEEDaSW_SX_EUlSW_E_NS1_11comp_targetILNS1_3genE4ELNS1_11target_archE910ELNS1_3gpuE8ELNS1_3repE0EEENS1_30default_config_static_selectorELNS0_4arch9wavefront6targetE1EEEvT1_,@function
_ZN7rocprim17ROCPRIM_400000_NS6detail17trampoline_kernelINS0_14default_configENS1_27scan_by_key_config_selectorIijEEZZNS1_16scan_by_key_implILNS1_25lookback_scan_determinismE0ELb1ES3_N6thrust23THRUST_200600_302600_NS6detail15normal_iteratorINS9_10device_ptrIiEEEENSB_INSC_IjEEEESG_jNS9_4plusIvEENS9_8equal_toIvEEjEE10hipError_tPvRmT2_T3_T4_T5_mT6_T7_P12ihipStream_tbENKUlT_T0_E_clISt17integral_constantIbLb0EES10_IbLb1EEEEDaSW_SX_EUlSW_E_NS1_11comp_targetILNS1_3genE4ELNS1_11target_archE910ELNS1_3gpuE8ELNS1_3repE0EEENS1_30default_config_static_selectorELNS0_4arch9wavefront6targetE1EEEvT1_: ; @_ZN7rocprim17ROCPRIM_400000_NS6detail17trampoline_kernelINS0_14default_configENS1_27scan_by_key_config_selectorIijEEZZNS1_16scan_by_key_implILNS1_25lookback_scan_determinismE0ELb1ES3_N6thrust23THRUST_200600_302600_NS6detail15normal_iteratorINS9_10device_ptrIiEEEENSB_INSC_IjEEEESG_jNS9_4plusIvEENS9_8equal_toIvEEjEE10hipError_tPvRmT2_T3_T4_T5_mT6_T7_P12ihipStream_tbENKUlT_T0_E_clISt17integral_constantIbLb0EES10_IbLb1EEEEDaSW_SX_EUlSW_E_NS1_11comp_targetILNS1_3genE4ELNS1_11target_archE910ELNS1_3gpuE8ELNS1_3repE0EEENS1_30default_config_static_selectorELNS0_4arch9wavefront6targetE1EEEvT1_
; %bb.0:
	.section	.rodata,"a",@progbits
	.p2align	6, 0x0
	.amdhsa_kernel _ZN7rocprim17ROCPRIM_400000_NS6detail17trampoline_kernelINS0_14default_configENS1_27scan_by_key_config_selectorIijEEZZNS1_16scan_by_key_implILNS1_25lookback_scan_determinismE0ELb1ES3_N6thrust23THRUST_200600_302600_NS6detail15normal_iteratorINS9_10device_ptrIiEEEENSB_INSC_IjEEEESG_jNS9_4plusIvEENS9_8equal_toIvEEjEE10hipError_tPvRmT2_T3_T4_T5_mT6_T7_P12ihipStream_tbENKUlT_T0_E_clISt17integral_constantIbLb0EES10_IbLb1EEEEDaSW_SX_EUlSW_E_NS1_11comp_targetILNS1_3genE4ELNS1_11target_archE910ELNS1_3gpuE8ELNS1_3repE0EEENS1_30default_config_static_selectorELNS0_4arch9wavefront6targetE1EEEvT1_
		.amdhsa_group_segment_fixed_size 0
		.amdhsa_private_segment_fixed_size 0
		.amdhsa_kernarg_size 112
		.amdhsa_user_sgpr_count 2
		.amdhsa_user_sgpr_dispatch_ptr 0
		.amdhsa_user_sgpr_queue_ptr 0
		.amdhsa_user_sgpr_kernarg_segment_ptr 1
		.amdhsa_user_sgpr_dispatch_id 0
		.amdhsa_user_sgpr_kernarg_preload_length 0
		.amdhsa_user_sgpr_kernarg_preload_offset 0
		.amdhsa_user_sgpr_private_segment_size 0
		.amdhsa_uses_dynamic_stack 0
		.amdhsa_enable_private_segment 0
		.amdhsa_system_sgpr_workgroup_id_x 1
		.amdhsa_system_sgpr_workgroup_id_y 0
		.amdhsa_system_sgpr_workgroup_id_z 0
		.amdhsa_system_sgpr_workgroup_info 0
		.amdhsa_system_vgpr_workitem_id 0
		.amdhsa_next_free_vgpr 1
		.amdhsa_next_free_sgpr 0
		.amdhsa_accum_offset 4
		.amdhsa_reserve_vcc 0
		.amdhsa_float_round_mode_32 0
		.amdhsa_float_round_mode_16_64 0
		.amdhsa_float_denorm_mode_32 3
		.amdhsa_float_denorm_mode_16_64 3
		.amdhsa_dx10_clamp 1
		.amdhsa_ieee_mode 1
		.amdhsa_fp16_overflow 0
		.amdhsa_tg_split 0
		.amdhsa_exception_fp_ieee_invalid_op 0
		.amdhsa_exception_fp_denorm_src 0
		.amdhsa_exception_fp_ieee_div_zero 0
		.amdhsa_exception_fp_ieee_overflow 0
		.amdhsa_exception_fp_ieee_underflow 0
		.amdhsa_exception_fp_ieee_inexact 0
		.amdhsa_exception_int_div_zero 0
	.end_amdhsa_kernel
	.section	.text._ZN7rocprim17ROCPRIM_400000_NS6detail17trampoline_kernelINS0_14default_configENS1_27scan_by_key_config_selectorIijEEZZNS1_16scan_by_key_implILNS1_25lookback_scan_determinismE0ELb1ES3_N6thrust23THRUST_200600_302600_NS6detail15normal_iteratorINS9_10device_ptrIiEEEENSB_INSC_IjEEEESG_jNS9_4plusIvEENS9_8equal_toIvEEjEE10hipError_tPvRmT2_T3_T4_T5_mT6_T7_P12ihipStream_tbENKUlT_T0_E_clISt17integral_constantIbLb0EES10_IbLb1EEEEDaSW_SX_EUlSW_E_NS1_11comp_targetILNS1_3genE4ELNS1_11target_archE910ELNS1_3gpuE8ELNS1_3repE0EEENS1_30default_config_static_selectorELNS0_4arch9wavefront6targetE1EEEvT1_,"axG",@progbits,_ZN7rocprim17ROCPRIM_400000_NS6detail17trampoline_kernelINS0_14default_configENS1_27scan_by_key_config_selectorIijEEZZNS1_16scan_by_key_implILNS1_25lookback_scan_determinismE0ELb1ES3_N6thrust23THRUST_200600_302600_NS6detail15normal_iteratorINS9_10device_ptrIiEEEENSB_INSC_IjEEEESG_jNS9_4plusIvEENS9_8equal_toIvEEjEE10hipError_tPvRmT2_T3_T4_T5_mT6_T7_P12ihipStream_tbENKUlT_T0_E_clISt17integral_constantIbLb0EES10_IbLb1EEEEDaSW_SX_EUlSW_E_NS1_11comp_targetILNS1_3genE4ELNS1_11target_archE910ELNS1_3gpuE8ELNS1_3repE0EEENS1_30default_config_static_selectorELNS0_4arch9wavefront6targetE1EEEvT1_,comdat
.Lfunc_end1529:
	.size	_ZN7rocprim17ROCPRIM_400000_NS6detail17trampoline_kernelINS0_14default_configENS1_27scan_by_key_config_selectorIijEEZZNS1_16scan_by_key_implILNS1_25lookback_scan_determinismE0ELb1ES3_N6thrust23THRUST_200600_302600_NS6detail15normal_iteratorINS9_10device_ptrIiEEEENSB_INSC_IjEEEESG_jNS9_4plusIvEENS9_8equal_toIvEEjEE10hipError_tPvRmT2_T3_T4_T5_mT6_T7_P12ihipStream_tbENKUlT_T0_E_clISt17integral_constantIbLb0EES10_IbLb1EEEEDaSW_SX_EUlSW_E_NS1_11comp_targetILNS1_3genE4ELNS1_11target_archE910ELNS1_3gpuE8ELNS1_3repE0EEENS1_30default_config_static_selectorELNS0_4arch9wavefront6targetE1EEEvT1_, .Lfunc_end1529-_ZN7rocprim17ROCPRIM_400000_NS6detail17trampoline_kernelINS0_14default_configENS1_27scan_by_key_config_selectorIijEEZZNS1_16scan_by_key_implILNS1_25lookback_scan_determinismE0ELb1ES3_N6thrust23THRUST_200600_302600_NS6detail15normal_iteratorINS9_10device_ptrIiEEEENSB_INSC_IjEEEESG_jNS9_4plusIvEENS9_8equal_toIvEEjEE10hipError_tPvRmT2_T3_T4_T5_mT6_T7_P12ihipStream_tbENKUlT_T0_E_clISt17integral_constantIbLb0EES10_IbLb1EEEEDaSW_SX_EUlSW_E_NS1_11comp_targetILNS1_3genE4ELNS1_11target_archE910ELNS1_3gpuE8ELNS1_3repE0EEENS1_30default_config_static_selectorELNS0_4arch9wavefront6targetE1EEEvT1_
                                        ; -- End function
	.section	.AMDGPU.csdata,"",@progbits
; Kernel info:
; codeLenInByte = 0
; NumSgprs: 6
; NumVgprs: 0
; NumAgprs: 0
; TotalNumVgprs: 0
; ScratchSize: 0
; MemoryBound: 0
; FloatMode: 240
; IeeeMode: 1
; LDSByteSize: 0 bytes/workgroup (compile time only)
; SGPRBlocks: 0
; VGPRBlocks: 0
; NumSGPRsForWavesPerEU: 6
; NumVGPRsForWavesPerEU: 1
; AccumOffset: 4
; Occupancy: 8
; WaveLimiterHint : 0
; COMPUTE_PGM_RSRC2:SCRATCH_EN: 0
; COMPUTE_PGM_RSRC2:USER_SGPR: 2
; COMPUTE_PGM_RSRC2:TRAP_HANDLER: 0
; COMPUTE_PGM_RSRC2:TGID_X_EN: 1
; COMPUTE_PGM_RSRC2:TGID_Y_EN: 0
; COMPUTE_PGM_RSRC2:TGID_Z_EN: 0
; COMPUTE_PGM_RSRC2:TIDIG_COMP_CNT: 0
; COMPUTE_PGM_RSRC3_GFX90A:ACCUM_OFFSET: 0
; COMPUTE_PGM_RSRC3_GFX90A:TG_SPLIT: 0
	.section	.text._ZN7rocprim17ROCPRIM_400000_NS6detail17trampoline_kernelINS0_14default_configENS1_27scan_by_key_config_selectorIijEEZZNS1_16scan_by_key_implILNS1_25lookback_scan_determinismE0ELb1ES3_N6thrust23THRUST_200600_302600_NS6detail15normal_iteratorINS9_10device_ptrIiEEEENSB_INSC_IjEEEESG_jNS9_4plusIvEENS9_8equal_toIvEEjEE10hipError_tPvRmT2_T3_T4_T5_mT6_T7_P12ihipStream_tbENKUlT_T0_E_clISt17integral_constantIbLb0EES10_IbLb1EEEEDaSW_SX_EUlSW_E_NS1_11comp_targetILNS1_3genE3ELNS1_11target_archE908ELNS1_3gpuE7ELNS1_3repE0EEENS1_30default_config_static_selectorELNS0_4arch9wavefront6targetE1EEEvT1_,"axG",@progbits,_ZN7rocprim17ROCPRIM_400000_NS6detail17trampoline_kernelINS0_14default_configENS1_27scan_by_key_config_selectorIijEEZZNS1_16scan_by_key_implILNS1_25lookback_scan_determinismE0ELb1ES3_N6thrust23THRUST_200600_302600_NS6detail15normal_iteratorINS9_10device_ptrIiEEEENSB_INSC_IjEEEESG_jNS9_4plusIvEENS9_8equal_toIvEEjEE10hipError_tPvRmT2_T3_T4_T5_mT6_T7_P12ihipStream_tbENKUlT_T0_E_clISt17integral_constantIbLb0EES10_IbLb1EEEEDaSW_SX_EUlSW_E_NS1_11comp_targetILNS1_3genE3ELNS1_11target_archE908ELNS1_3gpuE7ELNS1_3repE0EEENS1_30default_config_static_selectorELNS0_4arch9wavefront6targetE1EEEvT1_,comdat
	.protected	_ZN7rocprim17ROCPRIM_400000_NS6detail17trampoline_kernelINS0_14default_configENS1_27scan_by_key_config_selectorIijEEZZNS1_16scan_by_key_implILNS1_25lookback_scan_determinismE0ELb1ES3_N6thrust23THRUST_200600_302600_NS6detail15normal_iteratorINS9_10device_ptrIiEEEENSB_INSC_IjEEEESG_jNS9_4plusIvEENS9_8equal_toIvEEjEE10hipError_tPvRmT2_T3_T4_T5_mT6_T7_P12ihipStream_tbENKUlT_T0_E_clISt17integral_constantIbLb0EES10_IbLb1EEEEDaSW_SX_EUlSW_E_NS1_11comp_targetILNS1_3genE3ELNS1_11target_archE908ELNS1_3gpuE7ELNS1_3repE0EEENS1_30default_config_static_selectorELNS0_4arch9wavefront6targetE1EEEvT1_ ; -- Begin function _ZN7rocprim17ROCPRIM_400000_NS6detail17trampoline_kernelINS0_14default_configENS1_27scan_by_key_config_selectorIijEEZZNS1_16scan_by_key_implILNS1_25lookback_scan_determinismE0ELb1ES3_N6thrust23THRUST_200600_302600_NS6detail15normal_iteratorINS9_10device_ptrIiEEEENSB_INSC_IjEEEESG_jNS9_4plusIvEENS9_8equal_toIvEEjEE10hipError_tPvRmT2_T3_T4_T5_mT6_T7_P12ihipStream_tbENKUlT_T0_E_clISt17integral_constantIbLb0EES10_IbLb1EEEEDaSW_SX_EUlSW_E_NS1_11comp_targetILNS1_3genE3ELNS1_11target_archE908ELNS1_3gpuE7ELNS1_3repE0EEENS1_30default_config_static_selectorELNS0_4arch9wavefront6targetE1EEEvT1_
	.globl	_ZN7rocprim17ROCPRIM_400000_NS6detail17trampoline_kernelINS0_14default_configENS1_27scan_by_key_config_selectorIijEEZZNS1_16scan_by_key_implILNS1_25lookback_scan_determinismE0ELb1ES3_N6thrust23THRUST_200600_302600_NS6detail15normal_iteratorINS9_10device_ptrIiEEEENSB_INSC_IjEEEESG_jNS9_4plusIvEENS9_8equal_toIvEEjEE10hipError_tPvRmT2_T3_T4_T5_mT6_T7_P12ihipStream_tbENKUlT_T0_E_clISt17integral_constantIbLb0EES10_IbLb1EEEEDaSW_SX_EUlSW_E_NS1_11comp_targetILNS1_3genE3ELNS1_11target_archE908ELNS1_3gpuE7ELNS1_3repE0EEENS1_30default_config_static_selectorELNS0_4arch9wavefront6targetE1EEEvT1_
	.p2align	8
	.type	_ZN7rocprim17ROCPRIM_400000_NS6detail17trampoline_kernelINS0_14default_configENS1_27scan_by_key_config_selectorIijEEZZNS1_16scan_by_key_implILNS1_25lookback_scan_determinismE0ELb1ES3_N6thrust23THRUST_200600_302600_NS6detail15normal_iteratorINS9_10device_ptrIiEEEENSB_INSC_IjEEEESG_jNS9_4plusIvEENS9_8equal_toIvEEjEE10hipError_tPvRmT2_T3_T4_T5_mT6_T7_P12ihipStream_tbENKUlT_T0_E_clISt17integral_constantIbLb0EES10_IbLb1EEEEDaSW_SX_EUlSW_E_NS1_11comp_targetILNS1_3genE3ELNS1_11target_archE908ELNS1_3gpuE7ELNS1_3repE0EEENS1_30default_config_static_selectorELNS0_4arch9wavefront6targetE1EEEvT1_,@function
_ZN7rocprim17ROCPRIM_400000_NS6detail17trampoline_kernelINS0_14default_configENS1_27scan_by_key_config_selectorIijEEZZNS1_16scan_by_key_implILNS1_25lookback_scan_determinismE0ELb1ES3_N6thrust23THRUST_200600_302600_NS6detail15normal_iteratorINS9_10device_ptrIiEEEENSB_INSC_IjEEEESG_jNS9_4plusIvEENS9_8equal_toIvEEjEE10hipError_tPvRmT2_T3_T4_T5_mT6_T7_P12ihipStream_tbENKUlT_T0_E_clISt17integral_constantIbLb0EES10_IbLb1EEEEDaSW_SX_EUlSW_E_NS1_11comp_targetILNS1_3genE3ELNS1_11target_archE908ELNS1_3gpuE7ELNS1_3repE0EEENS1_30default_config_static_selectorELNS0_4arch9wavefront6targetE1EEEvT1_: ; @_ZN7rocprim17ROCPRIM_400000_NS6detail17trampoline_kernelINS0_14default_configENS1_27scan_by_key_config_selectorIijEEZZNS1_16scan_by_key_implILNS1_25lookback_scan_determinismE0ELb1ES3_N6thrust23THRUST_200600_302600_NS6detail15normal_iteratorINS9_10device_ptrIiEEEENSB_INSC_IjEEEESG_jNS9_4plusIvEENS9_8equal_toIvEEjEE10hipError_tPvRmT2_T3_T4_T5_mT6_T7_P12ihipStream_tbENKUlT_T0_E_clISt17integral_constantIbLb0EES10_IbLb1EEEEDaSW_SX_EUlSW_E_NS1_11comp_targetILNS1_3genE3ELNS1_11target_archE908ELNS1_3gpuE7ELNS1_3repE0EEENS1_30default_config_static_selectorELNS0_4arch9wavefront6targetE1EEEvT1_
; %bb.0:
	.section	.rodata,"a",@progbits
	.p2align	6, 0x0
	.amdhsa_kernel _ZN7rocprim17ROCPRIM_400000_NS6detail17trampoline_kernelINS0_14default_configENS1_27scan_by_key_config_selectorIijEEZZNS1_16scan_by_key_implILNS1_25lookback_scan_determinismE0ELb1ES3_N6thrust23THRUST_200600_302600_NS6detail15normal_iteratorINS9_10device_ptrIiEEEENSB_INSC_IjEEEESG_jNS9_4plusIvEENS9_8equal_toIvEEjEE10hipError_tPvRmT2_T3_T4_T5_mT6_T7_P12ihipStream_tbENKUlT_T0_E_clISt17integral_constantIbLb0EES10_IbLb1EEEEDaSW_SX_EUlSW_E_NS1_11comp_targetILNS1_3genE3ELNS1_11target_archE908ELNS1_3gpuE7ELNS1_3repE0EEENS1_30default_config_static_selectorELNS0_4arch9wavefront6targetE1EEEvT1_
		.amdhsa_group_segment_fixed_size 0
		.amdhsa_private_segment_fixed_size 0
		.amdhsa_kernarg_size 112
		.amdhsa_user_sgpr_count 2
		.amdhsa_user_sgpr_dispatch_ptr 0
		.amdhsa_user_sgpr_queue_ptr 0
		.amdhsa_user_sgpr_kernarg_segment_ptr 1
		.amdhsa_user_sgpr_dispatch_id 0
		.amdhsa_user_sgpr_kernarg_preload_length 0
		.amdhsa_user_sgpr_kernarg_preload_offset 0
		.amdhsa_user_sgpr_private_segment_size 0
		.amdhsa_uses_dynamic_stack 0
		.amdhsa_enable_private_segment 0
		.amdhsa_system_sgpr_workgroup_id_x 1
		.amdhsa_system_sgpr_workgroup_id_y 0
		.amdhsa_system_sgpr_workgroup_id_z 0
		.amdhsa_system_sgpr_workgroup_info 0
		.amdhsa_system_vgpr_workitem_id 0
		.amdhsa_next_free_vgpr 1
		.amdhsa_next_free_sgpr 0
		.amdhsa_accum_offset 4
		.amdhsa_reserve_vcc 0
		.amdhsa_float_round_mode_32 0
		.amdhsa_float_round_mode_16_64 0
		.amdhsa_float_denorm_mode_32 3
		.amdhsa_float_denorm_mode_16_64 3
		.amdhsa_dx10_clamp 1
		.amdhsa_ieee_mode 1
		.amdhsa_fp16_overflow 0
		.amdhsa_tg_split 0
		.amdhsa_exception_fp_ieee_invalid_op 0
		.amdhsa_exception_fp_denorm_src 0
		.amdhsa_exception_fp_ieee_div_zero 0
		.amdhsa_exception_fp_ieee_overflow 0
		.amdhsa_exception_fp_ieee_underflow 0
		.amdhsa_exception_fp_ieee_inexact 0
		.amdhsa_exception_int_div_zero 0
	.end_amdhsa_kernel
	.section	.text._ZN7rocprim17ROCPRIM_400000_NS6detail17trampoline_kernelINS0_14default_configENS1_27scan_by_key_config_selectorIijEEZZNS1_16scan_by_key_implILNS1_25lookback_scan_determinismE0ELb1ES3_N6thrust23THRUST_200600_302600_NS6detail15normal_iteratorINS9_10device_ptrIiEEEENSB_INSC_IjEEEESG_jNS9_4plusIvEENS9_8equal_toIvEEjEE10hipError_tPvRmT2_T3_T4_T5_mT6_T7_P12ihipStream_tbENKUlT_T0_E_clISt17integral_constantIbLb0EES10_IbLb1EEEEDaSW_SX_EUlSW_E_NS1_11comp_targetILNS1_3genE3ELNS1_11target_archE908ELNS1_3gpuE7ELNS1_3repE0EEENS1_30default_config_static_selectorELNS0_4arch9wavefront6targetE1EEEvT1_,"axG",@progbits,_ZN7rocprim17ROCPRIM_400000_NS6detail17trampoline_kernelINS0_14default_configENS1_27scan_by_key_config_selectorIijEEZZNS1_16scan_by_key_implILNS1_25lookback_scan_determinismE0ELb1ES3_N6thrust23THRUST_200600_302600_NS6detail15normal_iteratorINS9_10device_ptrIiEEEENSB_INSC_IjEEEESG_jNS9_4plusIvEENS9_8equal_toIvEEjEE10hipError_tPvRmT2_T3_T4_T5_mT6_T7_P12ihipStream_tbENKUlT_T0_E_clISt17integral_constantIbLb0EES10_IbLb1EEEEDaSW_SX_EUlSW_E_NS1_11comp_targetILNS1_3genE3ELNS1_11target_archE908ELNS1_3gpuE7ELNS1_3repE0EEENS1_30default_config_static_selectorELNS0_4arch9wavefront6targetE1EEEvT1_,comdat
.Lfunc_end1530:
	.size	_ZN7rocprim17ROCPRIM_400000_NS6detail17trampoline_kernelINS0_14default_configENS1_27scan_by_key_config_selectorIijEEZZNS1_16scan_by_key_implILNS1_25lookback_scan_determinismE0ELb1ES3_N6thrust23THRUST_200600_302600_NS6detail15normal_iteratorINS9_10device_ptrIiEEEENSB_INSC_IjEEEESG_jNS9_4plusIvEENS9_8equal_toIvEEjEE10hipError_tPvRmT2_T3_T4_T5_mT6_T7_P12ihipStream_tbENKUlT_T0_E_clISt17integral_constantIbLb0EES10_IbLb1EEEEDaSW_SX_EUlSW_E_NS1_11comp_targetILNS1_3genE3ELNS1_11target_archE908ELNS1_3gpuE7ELNS1_3repE0EEENS1_30default_config_static_selectorELNS0_4arch9wavefront6targetE1EEEvT1_, .Lfunc_end1530-_ZN7rocprim17ROCPRIM_400000_NS6detail17trampoline_kernelINS0_14default_configENS1_27scan_by_key_config_selectorIijEEZZNS1_16scan_by_key_implILNS1_25lookback_scan_determinismE0ELb1ES3_N6thrust23THRUST_200600_302600_NS6detail15normal_iteratorINS9_10device_ptrIiEEEENSB_INSC_IjEEEESG_jNS9_4plusIvEENS9_8equal_toIvEEjEE10hipError_tPvRmT2_T3_T4_T5_mT6_T7_P12ihipStream_tbENKUlT_T0_E_clISt17integral_constantIbLb0EES10_IbLb1EEEEDaSW_SX_EUlSW_E_NS1_11comp_targetILNS1_3genE3ELNS1_11target_archE908ELNS1_3gpuE7ELNS1_3repE0EEENS1_30default_config_static_selectorELNS0_4arch9wavefront6targetE1EEEvT1_
                                        ; -- End function
	.section	.AMDGPU.csdata,"",@progbits
; Kernel info:
; codeLenInByte = 0
; NumSgprs: 6
; NumVgprs: 0
; NumAgprs: 0
; TotalNumVgprs: 0
; ScratchSize: 0
; MemoryBound: 0
; FloatMode: 240
; IeeeMode: 1
; LDSByteSize: 0 bytes/workgroup (compile time only)
; SGPRBlocks: 0
; VGPRBlocks: 0
; NumSGPRsForWavesPerEU: 6
; NumVGPRsForWavesPerEU: 1
; AccumOffset: 4
; Occupancy: 8
; WaveLimiterHint : 0
; COMPUTE_PGM_RSRC2:SCRATCH_EN: 0
; COMPUTE_PGM_RSRC2:USER_SGPR: 2
; COMPUTE_PGM_RSRC2:TRAP_HANDLER: 0
; COMPUTE_PGM_RSRC2:TGID_X_EN: 1
; COMPUTE_PGM_RSRC2:TGID_Y_EN: 0
; COMPUTE_PGM_RSRC2:TGID_Z_EN: 0
; COMPUTE_PGM_RSRC2:TIDIG_COMP_CNT: 0
; COMPUTE_PGM_RSRC3_GFX90A:ACCUM_OFFSET: 0
; COMPUTE_PGM_RSRC3_GFX90A:TG_SPLIT: 0
	.section	.text._ZN7rocprim17ROCPRIM_400000_NS6detail17trampoline_kernelINS0_14default_configENS1_27scan_by_key_config_selectorIijEEZZNS1_16scan_by_key_implILNS1_25lookback_scan_determinismE0ELb1ES3_N6thrust23THRUST_200600_302600_NS6detail15normal_iteratorINS9_10device_ptrIiEEEENSB_INSC_IjEEEESG_jNS9_4plusIvEENS9_8equal_toIvEEjEE10hipError_tPvRmT2_T3_T4_T5_mT6_T7_P12ihipStream_tbENKUlT_T0_E_clISt17integral_constantIbLb0EES10_IbLb1EEEEDaSW_SX_EUlSW_E_NS1_11comp_targetILNS1_3genE2ELNS1_11target_archE906ELNS1_3gpuE6ELNS1_3repE0EEENS1_30default_config_static_selectorELNS0_4arch9wavefront6targetE1EEEvT1_,"axG",@progbits,_ZN7rocprim17ROCPRIM_400000_NS6detail17trampoline_kernelINS0_14default_configENS1_27scan_by_key_config_selectorIijEEZZNS1_16scan_by_key_implILNS1_25lookback_scan_determinismE0ELb1ES3_N6thrust23THRUST_200600_302600_NS6detail15normal_iteratorINS9_10device_ptrIiEEEENSB_INSC_IjEEEESG_jNS9_4plusIvEENS9_8equal_toIvEEjEE10hipError_tPvRmT2_T3_T4_T5_mT6_T7_P12ihipStream_tbENKUlT_T0_E_clISt17integral_constantIbLb0EES10_IbLb1EEEEDaSW_SX_EUlSW_E_NS1_11comp_targetILNS1_3genE2ELNS1_11target_archE906ELNS1_3gpuE6ELNS1_3repE0EEENS1_30default_config_static_selectorELNS0_4arch9wavefront6targetE1EEEvT1_,comdat
	.protected	_ZN7rocprim17ROCPRIM_400000_NS6detail17trampoline_kernelINS0_14default_configENS1_27scan_by_key_config_selectorIijEEZZNS1_16scan_by_key_implILNS1_25lookback_scan_determinismE0ELb1ES3_N6thrust23THRUST_200600_302600_NS6detail15normal_iteratorINS9_10device_ptrIiEEEENSB_INSC_IjEEEESG_jNS9_4plusIvEENS9_8equal_toIvEEjEE10hipError_tPvRmT2_T3_T4_T5_mT6_T7_P12ihipStream_tbENKUlT_T0_E_clISt17integral_constantIbLb0EES10_IbLb1EEEEDaSW_SX_EUlSW_E_NS1_11comp_targetILNS1_3genE2ELNS1_11target_archE906ELNS1_3gpuE6ELNS1_3repE0EEENS1_30default_config_static_selectorELNS0_4arch9wavefront6targetE1EEEvT1_ ; -- Begin function _ZN7rocprim17ROCPRIM_400000_NS6detail17trampoline_kernelINS0_14default_configENS1_27scan_by_key_config_selectorIijEEZZNS1_16scan_by_key_implILNS1_25lookback_scan_determinismE0ELb1ES3_N6thrust23THRUST_200600_302600_NS6detail15normal_iteratorINS9_10device_ptrIiEEEENSB_INSC_IjEEEESG_jNS9_4plusIvEENS9_8equal_toIvEEjEE10hipError_tPvRmT2_T3_T4_T5_mT6_T7_P12ihipStream_tbENKUlT_T0_E_clISt17integral_constantIbLb0EES10_IbLb1EEEEDaSW_SX_EUlSW_E_NS1_11comp_targetILNS1_3genE2ELNS1_11target_archE906ELNS1_3gpuE6ELNS1_3repE0EEENS1_30default_config_static_selectorELNS0_4arch9wavefront6targetE1EEEvT1_
	.globl	_ZN7rocprim17ROCPRIM_400000_NS6detail17trampoline_kernelINS0_14default_configENS1_27scan_by_key_config_selectorIijEEZZNS1_16scan_by_key_implILNS1_25lookback_scan_determinismE0ELb1ES3_N6thrust23THRUST_200600_302600_NS6detail15normal_iteratorINS9_10device_ptrIiEEEENSB_INSC_IjEEEESG_jNS9_4plusIvEENS9_8equal_toIvEEjEE10hipError_tPvRmT2_T3_T4_T5_mT6_T7_P12ihipStream_tbENKUlT_T0_E_clISt17integral_constantIbLb0EES10_IbLb1EEEEDaSW_SX_EUlSW_E_NS1_11comp_targetILNS1_3genE2ELNS1_11target_archE906ELNS1_3gpuE6ELNS1_3repE0EEENS1_30default_config_static_selectorELNS0_4arch9wavefront6targetE1EEEvT1_
	.p2align	8
	.type	_ZN7rocprim17ROCPRIM_400000_NS6detail17trampoline_kernelINS0_14default_configENS1_27scan_by_key_config_selectorIijEEZZNS1_16scan_by_key_implILNS1_25lookback_scan_determinismE0ELb1ES3_N6thrust23THRUST_200600_302600_NS6detail15normal_iteratorINS9_10device_ptrIiEEEENSB_INSC_IjEEEESG_jNS9_4plusIvEENS9_8equal_toIvEEjEE10hipError_tPvRmT2_T3_T4_T5_mT6_T7_P12ihipStream_tbENKUlT_T0_E_clISt17integral_constantIbLb0EES10_IbLb1EEEEDaSW_SX_EUlSW_E_NS1_11comp_targetILNS1_3genE2ELNS1_11target_archE906ELNS1_3gpuE6ELNS1_3repE0EEENS1_30default_config_static_selectorELNS0_4arch9wavefront6targetE1EEEvT1_,@function
_ZN7rocprim17ROCPRIM_400000_NS6detail17trampoline_kernelINS0_14default_configENS1_27scan_by_key_config_selectorIijEEZZNS1_16scan_by_key_implILNS1_25lookback_scan_determinismE0ELb1ES3_N6thrust23THRUST_200600_302600_NS6detail15normal_iteratorINS9_10device_ptrIiEEEENSB_INSC_IjEEEESG_jNS9_4plusIvEENS9_8equal_toIvEEjEE10hipError_tPvRmT2_T3_T4_T5_mT6_T7_P12ihipStream_tbENKUlT_T0_E_clISt17integral_constantIbLb0EES10_IbLb1EEEEDaSW_SX_EUlSW_E_NS1_11comp_targetILNS1_3genE2ELNS1_11target_archE906ELNS1_3gpuE6ELNS1_3repE0EEENS1_30default_config_static_selectorELNS0_4arch9wavefront6targetE1EEEvT1_: ; @_ZN7rocprim17ROCPRIM_400000_NS6detail17trampoline_kernelINS0_14default_configENS1_27scan_by_key_config_selectorIijEEZZNS1_16scan_by_key_implILNS1_25lookback_scan_determinismE0ELb1ES3_N6thrust23THRUST_200600_302600_NS6detail15normal_iteratorINS9_10device_ptrIiEEEENSB_INSC_IjEEEESG_jNS9_4plusIvEENS9_8equal_toIvEEjEE10hipError_tPvRmT2_T3_T4_T5_mT6_T7_P12ihipStream_tbENKUlT_T0_E_clISt17integral_constantIbLb0EES10_IbLb1EEEEDaSW_SX_EUlSW_E_NS1_11comp_targetILNS1_3genE2ELNS1_11target_archE906ELNS1_3gpuE6ELNS1_3repE0EEENS1_30default_config_static_selectorELNS0_4arch9wavefront6targetE1EEEvT1_
; %bb.0:
	.section	.rodata,"a",@progbits
	.p2align	6, 0x0
	.amdhsa_kernel _ZN7rocprim17ROCPRIM_400000_NS6detail17trampoline_kernelINS0_14default_configENS1_27scan_by_key_config_selectorIijEEZZNS1_16scan_by_key_implILNS1_25lookback_scan_determinismE0ELb1ES3_N6thrust23THRUST_200600_302600_NS6detail15normal_iteratorINS9_10device_ptrIiEEEENSB_INSC_IjEEEESG_jNS9_4plusIvEENS9_8equal_toIvEEjEE10hipError_tPvRmT2_T3_T4_T5_mT6_T7_P12ihipStream_tbENKUlT_T0_E_clISt17integral_constantIbLb0EES10_IbLb1EEEEDaSW_SX_EUlSW_E_NS1_11comp_targetILNS1_3genE2ELNS1_11target_archE906ELNS1_3gpuE6ELNS1_3repE0EEENS1_30default_config_static_selectorELNS0_4arch9wavefront6targetE1EEEvT1_
		.amdhsa_group_segment_fixed_size 0
		.amdhsa_private_segment_fixed_size 0
		.amdhsa_kernarg_size 112
		.amdhsa_user_sgpr_count 2
		.amdhsa_user_sgpr_dispatch_ptr 0
		.amdhsa_user_sgpr_queue_ptr 0
		.amdhsa_user_sgpr_kernarg_segment_ptr 1
		.amdhsa_user_sgpr_dispatch_id 0
		.amdhsa_user_sgpr_kernarg_preload_length 0
		.amdhsa_user_sgpr_kernarg_preload_offset 0
		.amdhsa_user_sgpr_private_segment_size 0
		.amdhsa_uses_dynamic_stack 0
		.amdhsa_enable_private_segment 0
		.amdhsa_system_sgpr_workgroup_id_x 1
		.amdhsa_system_sgpr_workgroup_id_y 0
		.amdhsa_system_sgpr_workgroup_id_z 0
		.amdhsa_system_sgpr_workgroup_info 0
		.amdhsa_system_vgpr_workitem_id 0
		.amdhsa_next_free_vgpr 1
		.amdhsa_next_free_sgpr 0
		.amdhsa_accum_offset 4
		.amdhsa_reserve_vcc 0
		.amdhsa_float_round_mode_32 0
		.amdhsa_float_round_mode_16_64 0
		.amdhsa_float_denorm_mode_32 3
		.amdhsa_float_denorm_mode_16_64 3
		.amdhsa_dx10_clamp 1
		.amdhsa_ieee_mode 1
		.amdhsa_fp16_overflow 0
		.amdhsa_tg_split 0
		.amdhsa_exception_fp_ieee_invalid_op 0
		.amdhsa_exception_fp_denorm_src 0
		.amdhsa_exception_fp_ieee_div_zero 0
		.amdhsa_exception_fp_ieee_overflow 0
		.amdhsa_exception_fp_ieee_underflow 0
		.amdhsa_exception_fp_ieee_inexact 0
		.amdhsa_exception_int_div_zero 0
	.end_amdhsa_kernel
	.section	.text._ZN7rocprim17ROCPRIM_400000_NS6detail17trampoline_kernelINS0_14default_configENS1_27scan_by_key_config_selectorIijEEZZNS1_16scan_by_key_implILNS1_25lookback_scan_determinismE0ELb1ES3_N6thrust23THRUST_200600_302600_NS6detail15normal_iteratorINS9_10device_ptrIiEEEENSB_INSC_IjEEEESG_jNS9_4plusIvEENS9_8equal_toIvEEjEE10hipError_tPvRmT2_T3_T4_T5_mT6_T7_P12ihipStream_tbENKUlT_T0_E_clISt17integral_constantIbLb0EES10_IbLb1EEEEDaSW_SX_EUlSW_E_NS1_11comp_targetILNS1_3genE2ELNS1_11target_archE906ELNS1_3gpuE6ELNS1_3repE0EEENS1_30default_config_static_selectorELNS0_4arch9wavefront6targetE1EEEvT1_,"axG",@progbits,_ZN7rocprim17ROCPRIM_400000_NS6detail17trampoline_kernelINS0_14default_configENS1_27scan_by_key_config_selectorIijEEZZNS1_16scan_by_key_implILNS1_25lookback_scan_determinismE0ELb1ES3_N6thrust23THRUST_200600_302600_NS6detail15normal_iteratorINS9_10device_ptrIiEEEENSB_INSC_IjEEEESG_jNS9_4plusIvEENS9_8equal_toIvEEjEE10hipError_tPvRmT2_T3_T4_T5_mT6_T7_P12ihipStream_tbENKUlT_T0_E_clISt17integral_constantIbLb0EES10_IbLb1EEEEDaSW_SX_EUlSW_E_NS1_11comp_targetILNS1_3genE2ELNS1_11target_archE906ELNS1_3gpuE6ELNS1_3repE0EEENS1_30default_config_static_selectorELNS0_4arch9wavefront6targetE1EEEvT1_,comdat
.Lfunc_end1531:
	.size	_ZN7rocprim17ROCPRIM_400000_NS6detail17trampoline_kernelINS0_14default_configENS1_27scan_by_key_config_selectorIijEEZZNS1_16scan_by_key_implILNS1_25lookback_scan_determinismE0ELb1ES3_N6thrust23THRUST_200600_302600_NS6detail15normal_iteratorINS9_10device_ptrIiEEEENSB_INSC_IjEEEESG_jNS9_4plusIvEENS9_8equal_toIvEEjEE10hipError_tPvRmT2_T3_T4_T5_mT6_T7_P12ihipStream_tbENKUlT_T0_E_clISt17integral_constantIbLb0EES10_IbLb1EEEEDaSW_SX_EUlSW_E_NS1_11comp_targetILNS1_3genE2ELNS1_11target_archE906ELNS1_3gpuE6ELNS1_3repE0EEENS1_30default_config_static_selectorELNS0_4arch9wavefront6targetE1EEEvT1_, .Lfunc_end1531-_ZN7rocprim17ROCPRIM_400000_NS6detail17trampoline_kernelINS0_14default_configENS1_27scan_by_key_config_selectorIijEEZZNS1_16scan_by_key_implILNS1_25lookback_scan_determinismE0ELb1ES3_N6thrust23THRUST_200600_302600_NS6detail15normal_iteratorINS9_10device_ptrIiEEEENSB_INSC_IjEEEESG_jNS9_4plusIvEENS9_8equal_toIvEEjEE10hipError_tPvRmT2_T3_T4_T5_mT6_T7_P12ihipStream_tbENKUlT_T0_E_clISt17integral_constantIbLb0EES10_IbLb1EEEEDaSW_SX_EUlSW_E_NS1_11comp_targetILNS1_3genE2ELNS1_11target_archE906ELNS1_3gpuE6ELNS1_3repE0EEENS1_30default_config_static_selectorELNS0_4arch9wavefront6targetE1EEEvT1_
                                        ; -- End function
	.section	.AMDGPU.csdata,"",@progbits
; Kernel info:
; codeLenInByte = 0
; NumSgprs: 6
; NumVgprs: 0
; NumAgprs: 0
; TotalNumVgprs: 0
; ScratchSize: 0
; MemoryBound: 0
; FloatMode: 240
; IeeeMode: 1
; LDSByteSize: 0 bytes/workgroup (compile time only)
; SGPRBlocks: 0
; VGPRBlocks: 0
; NumSGPRsForWavesPerEU: 6
; NumVGPRsForWavesPerEU: 1
; AccumOffset: 4
; Occupancy: 8
; WaveLimiterHint : 0
; COMPUTE_PGM_RSRC2:SCRATCH_EN: 0
; COMPUTE_PGM_RSRC2:USER_SGPR: 2
; COMPUTE_PGM_RSRC2:TRAP_HANDLER: 0
; COMPUTE_PGM_RSRC2:TGID_X_EN: 1
; COMPUTE_PGM_RSRC2:TGID_Y_EN: 0
; COMPUTE_PGM_RSRC2:TGID_Z_EN: 0
; COMPUTE_PGM_RSRC2:TIDIG_COMP_CNT: 0
; COMPUTE_PGM_RSRC3_GFX90A:ACCUM_OFFSET: 0
; COMPUTE_PGM_RSRC3_GFX90A:TG_SPLIT: 0
	.section	.text._ZN7rocprim17ROCPRIM_400000_NS6detail17trampoline_kernelINS0_14default_configENS1_27scan_by_key_config_selectorIijEEZZNS1_16scan_by_key_implILNS1_25lookback_scan_determinismE0ELb1ES3_N6thrust23THRUST_200600_302600_NS6detail15normal_iteratorINS9_10device_ptrIiEEEENSB_INSC_IjEEEESG_jNS9_4plusIvEENS9_8equal_toIvEEjEE10hipError_tPvRmT2_T3_T4_T5_mT6_T7_P12ihipStream_tbENKUlT_T0_E_clISt17integral_constantIbLb0EES10_IbLb1EEEEDaSW_SX_EUlSW_E_NS1_11comp_targetILNS1_3genE10ELNS1_11target_archE1200ELNS1_3gpuE4ELNS1_3repE0EEENS1_30default_config_static_selectorELNS0_4arch9wavefront6targetE1EEEvT1_,"axG",@progbits,_ZN7rocprim17ROCPRIM_400000_NS6detail17trampoline_kernelINS0_14default_configENS1_27scan_by_key_config_selectorIijEEZZNS1_16scan_by_key_implILNS1_25lookback_scan_determinismE0ELb1ES3_N6thrust23THRUST_200600_302600_NS6detail15normal_iteratorINS9_10device_ptrIiEEEENSB_INSC_IjEEEESG_jNS9_4plusIvEENS9_8equal_toIvEEjEE10hipError_tPvRmT2_T3_T4_T5_mT6_T7_P12ihipStream_tbENKUlT_T0_E_clISt17integral_constantIbLb0EES10_IbLb1EEEEDaSW_SX_EUlSW_E_NS1_11comp_targetILNS1_3genE10ELNS1_11target_archE1200ELNS1_3gpuE4ELNS1_3repE0EEENS1_30default_config_static_selectorELNS0_4arch9wavefront6targetE1EEEvT1_,comdat
	.protected	_ZN7rocprim17ROCPRIM_400000_NS6detail17trampoline_kernelINS0_14default_configENS1_27scan_by_key_config_selectorIijEEZZNS1_16scan_by_key_implILNS1_25lookback_scan_determinismE0ELb1ES3_N6thrust23THRUST_200600_302600_NS6detail15normal_iteratorINS9_10device_ptrIiEEEENSB_INSC_IjEEEESG_jNS9_4plusIvEENS9_8equal_toIvEEjEE10hipError_tPvRmT2_T3_T4_T5_mT6_T7_P12ihipStream_tbENKUlT_T0_E_clISt17integral_constantIbLb0EES10_IbLb1EEEEDaSW_SX_EUlSW_E_NS1_11comp_targetILNS1_3genE10ELNS1_11target_archE1200ELNS1_3gpuE4ELNS1_3repE0EEENS1_30default_config_static_selectorELNS0_4arch9wavefront6targetE1EEEvT1_ ; -- Begin function _ZN7rocprim17ROCPRIM_400000_NS6detail17trampoline_kernelINS0_14default_configENS1_27scan_by_key_config_selectorIijEEZZNS1_16scan_by_key_implILNS1_25lookback_scan_determinismE0ELb1ES3_N6thrust23THRUST_200600_302600_NS6detail15normal_iteratorINS9_10device_ptrIiEEEENSB_INSC_IjEEEESG_jNS9_4plusIvEENS9_8equal_toIvEEjEE10hipError_tPvRmT2_T3_T4_T5_mT6_T7_P12ihipStream_tbENKUlT_T0_E_clISt17integral_constantIbLb0EES10_IbLb1EEEEDaSW_SX_EUlSW_E_NS1_11comp_targetILNS1_3genE10ELNS1_11target_archE1200ELNS1_3gpuE4ELNS1_3repE0EEENS1_30default_config_static_selectorELNS0_4arch9wavefront6targetE1EEEvT1_
	.globl	_ZN7rocprim17ROCPRIM_400000_NS6detail17trampoline_kernelINS0_14default_configENS1_27scan_by_key_config_selectorIijEEZZNS1_16scan_by_key_implILNS1_25lookback_scan_determinismE0ELb1ES3_N6thrust23THRUST_200600_302600_NS6detail15normal_iteratorINS9_10device_ptrIiEEEENSB_INSC_IjEEEESG_jNS9_4plusIvEENS9_8equal_toIvEEjEE10hipError_tPvRmT2_T3_T4_T5_mT6_T7_P12ihipStream_tbENKUlT_T0_E_clISt17integral_constantIbLb0EES10_IbLb1EEEEDaSW_SX_EUlSW_E_NS1_11comp_targetILNS1_3genE10ELNS1_11target_archE1200ELNS1_3gpuE4ELNS1_3repE0EEENS1_30default_config_static_selectorELNS0_4arch9wavefront6targetE1EEEvT1_
	.p2align	8
	.type	_ZN7rocprim17ROCPRIM_400000_NS6detail17trampoline_kernelINS0_14default_configENS1_27scan_by_key_config_selectorIijEEZZNS1_16scan_by_key_implILNS1_25lookback_scan_determinismE0ELb1ES3_N6thrust23THRUST_200600_302600_NS6detail15normal_iteratorINS9_10device_ptrIiEEEENSB_INSC_IjEEEESG_jNS9_4plusIvEENS9_8equal_toIvEEjEE10hipError_tPvRmT2_T3_T4_T5_mT6_T7_P12ihipStream_tbENKUlT_T0_E_clISt17integral_constantIbLb0EES10_IbLb1EEEEDaSW_SX_EUlSW_E_NS1_11comp_targetILNS1_3genE10ELNS1_11target_archE1200ELNS1_3gpuE4ELNS1_3repE0EEENS1_30default_config_static_selectorELNS0_4arch9wavefront6targetE1EEEvT1_,@function
_ZN7rocprim17ROCPRIM_400000_NS6detail17trampoline_kernelINS0_14default_configENS1_27scan_by_key_config_selectorIijEEZZNS1_16scan_by_key_implILNS1_25lookback_scan_determinismE0ELb1ES3_N6thrust23THRUST_200600_302600_NS6detail15normal_iteratorINS9_10device_ptrIiEEEENSB_INSC_IjEEEESG_jNS9_4plusIvEENS9_8equal_toIvEEjEE10hipError_tPvRmT2_T3_T4_T5_mT6_T7_P12ihipStream_tbENKUlT_T0_E_clISt17integral_constantIbLb0EES10_IbLb1EEEEDaSW_SX_EUlSW_E_NS1_11comp_targetILNS1_3genE10ELNS1_11target_archE1200ELNS1_3gpuE4ELNS1_3repE0EEENS1_30default_config_static_selectorELNS0_4arch9wavefront6targetE1EEEvT1_: ; @_ZN7rocprim17ROCPRIM_400000_NS6detail17trampoline_kernelINS0_14default_configENS1_27scan_by_key_config_selectorIijEEZZNS1_16scan_by_key_implILNS1_25lookback_scan_determinismE0ELb1ES3_N6thrust23THRUST_200600_302600_NS6detail15normal_iteratorINS9_10device_ptrIiEEEENSB_INSC_IjEEEESG_jNS9_4plusIvEENS9_8equal_toIvEEjEE10hipError_tPvRmT2_T3_T4_T5_mT6_T7_P12ihipStream_tbENKUlT_T0_E_clISt17integral_constantIbLb0EES10_IbLb1EEEEDaSW_SX_EUlSW_E_NS1_11comp_targetILNS1_3genE10ELNS1_11target_archE1200ELNS1_3gpuE4ELNS1_3repE0EEENS1_30default_config_static_selectorELNS0_4arch9wavefront6targetE1EEEvT1_
; %bb.0:
	.section	.rodata,"a",@progbits
	.p2align	6, 0x0
	.amdhsa_kernel _ZN7rocprim17ROCPRIM_400000_NS6detail17trampoline_kernelINS0_14default_configENS1_27scan_by_key_config_selectorIijEEZZNS1_16scan_by_key_implILNS1_25lookback_scan_determinismE0ELb1ES3_N6thrust23THRUST_200600_302600_NS6detail15normal_iteratorINS9_10device_ptrIiEEEENSB_INSC_IjEEEESG_jNS9_4plusIvEENS9_8equal_toIvEEjEE10hipError_tPvRmT2_T3_T4_T5_mT6_T7_P12ihipStream_tbENKUlT_T0_E_clISt17integral_constantIbLb0EES10_IbLb1EEEEDaSW_SX_EUlSW_E_NS1_11comp_targetILNS1_3genE10ELNS1_11target_archE1200ELNS1_3gpuE4ELNS1_3repE0EEENS1_30default_config_static_selectorELNS0_4arch9wavefront6targetE1EEEvT1_
		.amdhsa_group_segment_fixed_size 0
		.amdhsa_private_segment_fixed_size 0
		.amdhsa_kernarg_size 112
		.amdhsa_user_sgpr_count 2
		.amdhsa_user_sgpr_dispatch_ptr 0
		.amdhsa_user_sgpr_queue_ptr 0
		.amdhsa_user_sgpr_kernarg_segment_ptr 1
		.amdhsa_user_sgpr_dispatch_id 0
		.amdhsa_user_sgpr_kernarg_preload_length 0
		.amdhsa_user_sgpr_kernarg_preload_offset 0
		.amdhsa_user_sgpr_private_segment_size 0
		.amdhsa_uses_dynamic_stack 0
		.amdhsa_enable_private_segment 0
		.amdhsa_system_sgpr_workgroup_id_x 1
		.amdhsa_system_sgpr_workgroup_id_y 0
		.amdhsa_system_sgpr_workgroup_id_z 0
		.amdhsa_system_sgpr_workgroup_info 0
		.amdhsa_system_vgpr_workitem_id 0
		.amdhsa_next_free_vgpr 1
		.amdhsa_next_free_sgpr 0
		.amdhsa_accum_offset 4
		.amdhsa_reserve_vcc 0
		.amdhsa_float_round_mode_32 0
		.amdhsa_float_round_mode_16_64 0
		.amdhsa_float_denorm_mode_32 3
		.amdhsa_float_denorm_mode_16_64 3
		.amdhsa_dx10_clamp 1
		.amdhsa_ieee_mode 1
		.amdhsa_fp16_overflow 0
		.amdhsa_tg_split 0
		.amdhsa_exception_fp_ieee_invalid_op 0
		.amdhsa_exception_fp_denorm_src 0
		.amdhsa_exception_fp_ieee_div_zero 0
		.amdhsa_exception_fp_ieee_overflow 0
		.amdhsa_exception_fp_ieee_underflow 0
		.amdhsa_exception_fp_ieee_inexact 0
		.amdhsa_exception_int_div_zero 0
	.end_amdhsa_kernel
	.section	.text._ZN7rocprim17ROCPRIM_400000_NS6detail17trampoline_kernelINS0_14default_configENS1_27scan_by_key_config_selectorIijEEZZNS1_16scan_by_key_implILNS1_25lookback_scan_determinismE0ELb1ES3_N6thrust23THRUST_200600_302600_NS6detail15normal_iteratorINS9_10device_ptrIiEEEENSB_INSC_IjEEEESG_jNS9_4plusIvEENS9_8equal_toIvEEjEE10hipError_tPvRmT2_T3_T4_T5_mT6_T7_P12ihipStream_tbENKUlT_T0_E_clISt17integral_constantIbLb0EES10_IbLb1EEEEDaSW_SX_EUlSW_E_NS1_11comp_targetILNS1_3genE10ELNS1_11target_archE1200ELNS1_3gpuE4ELNS1_3repE0EEENS1_30default_config_static_selectorELNS0_4arch9wavefront6targetE1EEEvT1_,"axG",@progbits,_ZN7rocprim17ROCPRIM_400000_NS6detail17trampoline_kernelINS0_14default_configENS1_27scan_by_key_config_selectorIijEEZZNS1_16scan_by_key_implILNS1_25lookback_scan_determinismE0ELb1ES3_N6thrust23THRUST_200600_302600_NS6detail15normal_iteratorINS9_10device_ptrIiEEEENSB_INSC_IjEEEESG_jNS9_4plusIvEENS9_8equal_toIvEEjEE10hipError_tPvRmT2_T3_T4_T5_mT6_T7_P12ihipStream_tbENKUlT_T0_E_clISt17integral_constantIbLb0EES10_IbLb1EEEEDaSW_SX_EUlSW_E_NS1_11comp_targetILNS1_3genE10ELNS1_11target_archE1200ELNS1_3gpuE4ELNS1_3repE0EEENS1_30default_config_static_selectorELNS0_4arch9wavefront6targetE1EEEvT1_,comdat
.Lfunc_end1532:
	.size	_ZN7rocprim17ROCPRIM_400000_NS6detail17trampoline_kernelINS0_14default_configENS1_27scan_by_key_config_selectorIijEEZZNS1_16scan_by_key_implILNS1_25lookback_scan_determinismE0ELb1ES3_N6thrust23THRUST_200600_302600_NS6detail15normal_iteratorINS9_10device_ptrIiEEEENSB_INSC_IjEEEESG_jNS9_4plusIvEENS9_8equal_toIvEEjEE10hipError_tPvRmT2_T3_T4_T5_mT6_T7_P12ihipStream_tbENKUlT_T0_E_clISt17integral_constantIbLb0EES10_IbLb1EEEEDaSW_SX_EUlSW_E_NS1_11comp_targetILNS1_3genE10ELNS1_11target_archE1200ELNS1_3gpuE4ELNS1_3repE0EEENS1_30default_config_static_selectorELNS0_4arch9wavefront6targetE1EEEvT1_, .Lfunc_end1532-_ZN7rocprim17ROCPRIM_400000_NS6detail17trampoline_kernelINS0_14default_configENS1_27scan_by_key_config_selectorIijEEZZNS1_16scan_by_key_implILNS1_25lookback_scan_determinismE0ELb1ES3_N6thrust23THRUST_200600_302600_NS6detail15normal_iteratorINS9_10device_ptrIiEEEENSB_INSC_IjEEEESG_jNS9_4plusIvEENS9_8equal_toIvEEjEE10hipError_tPvRmT2_T3_T4_T5_mT6_T7_P12ihipStream_tbENKUlT_T0_E_clISt17integral_constantIbLb0EES10_IbLb1EEEEDaSW_SX_EUlSW_E_NS1_11comp_targetILNS1_3genE10ELNS1_11target_archE1200ELNS1_3gpuE4ELNS1_3repE0EEENS1_30default_config_static_selectorELNS0_4arch9wavefront6targetE1EEEvT1_
                                        ; -- End function
	.section	.AMDGPU.csdata,"",@progbits
; Kernel info:
; codeLenInByte = 0
; NumSgprs: 6
; NumVgprs: 0
; NumAgprs: 0
; TotalNumVgprs: 0
; ScratchSize: 0
; MemoryBound: 0
; FloatMode: 240
; IeeeMode: 1
; LDSByteSize: 0 bytes/workgroup (compile time only)
; SGPRBlocks: 0
; VGPRBlocks: 0
; NumSGPRsForWavesPerEU: 6
; NumVGPRsForWavesPerEU: 1
; AccumOffset: 4
; Occupancy: 8
; WaveLimiterHint : 0
; COMPUTE_PGM_RSRC2:SCRATCH_EN: 0
; COMPUTE_PGM_RSRC2:USER_SGPR: 2
; COMPUTE_PGM_RSRC2:TRAP_HANDLER: 0
; COMPUTE_PGM_RSRC2:TGID_X_EN: 1
; COMPUTE_PGM_RSRC2:TGID_Y_EN: 0
; COMPUTE_PGM_RSRC2:TGID_Z_EN: 0
; COMPUTE_PGM_RSRC2:TIDIG_COMP_CNT: 0
; COMPUTE_PGM_RSRC3_GFX90A:ACCUM_OFFSET: 0
; COMPUTE_PGM_RSRC3_GFX90A:TG_SPLIT: 0
	.section	.text._ZN7rocprim17ROCPRIM_400000_NS6detail17trampoline_kernelINS0_14default_configENS1_27scan_by_key_config_selectorIijEEZZNS1_16scan_by_key_implILNS1_25lookback_scan_determinismE0ELb1ES3_N6thrust23THRUST_200600_302600_NS6detail15normal_iteratorINS9_10device_ptrIiEEEENSB_INSC_IjEEEESG_jNS9_4plusIvEENS9_8equal_toIvEEjEE10hipError_tPvRmT2_T3_T4_T5_mT6_T7_P12ihipStream_tbENKUlT_T0_E_clISt17integral_constantIbLb0EES10_IbLb1EEEEDaSW_SX_EUlSW_E_NS1_11comp_targetILNS1_3genE9ELNS1_11target_archE1100ELNS1_3gpuE3ELNS1_3repE0EEENS1_30default_config_static_selectorELNS0_4arch9wavefront6targetE1EEEvT1_,"axG",@progbits,_ZN7rocprim17ROCPRIM_400000_NS6detail17trampoline_kernelINS0_14default_configENS1_27scan_by_key_config_selectorIijEEZZNS1_16scan_by_key_implILNS1_25lookback_scan_determinismE0ELb1ES3_N6thrust23THRUST_200600_302600_NS6detail15normal_iteratorINS9_10device_ptrIiEEEENSB_INSC_IjEEEESG_jNS9_4plusIvEENS9_8equal_toIvEEjEE10hipError_tPvRmT2_T3_T4_T5_mT6_T7_P12ihipStream_tbENKUlT_T0_E_clISt17integral_constantIbLb0EES10_IbLb1EEEEDaSW_SX_EUlSW_E_NS1_11comp_targetILNS1_3genE9ELNS1_11target_archE1100ELNS1_3gpuE3ELNS1_3repE0EEENS1_30default_config_static_selectorELNS0_4arch9wavefront6targetE1EEEvT1_,comdat
	.protected	_ZN7rocprim17ROCPRIM_400000_NS6detail17trampoline_kernelINS0_14default_configENS1_27scan_by_key_config_selectorIijEEZZNS1_16scan_by_key_implILNS1_25lookback_scan_determinismE0ELb1ES3_N6thrust23THRUST_200600_302600_NS6detail15normal_iteratorINS9_10device_ptrIiEEEENSB_INSC_IjEEEESG_jNS9_4plusIvEENS9_8equal_toIvEEjEE10hipError_tPvRmT2_T3_T4_T5_mT6_T7_P12ihipStream_tbENKUlT_T0_E_clISt17integral_constantIbLb0EES10_IbLb1EEEEDaSW_SX_EUlSW_E_NS1_11comp_targetILNS1_3genE9ELNS1_11target_archE1100ELNS1_3gpuE3ELNS1_3repE0EEENS1_30default_config_static_selectorELNS0_4arch9wavefront6targetE1EEEvT1_ ; -- Begin function _ZN7rocprim17ROCPRIM_400000_NS6detail17trampoline_kernelINS0_14default_configENS1_27scan_by_key_config_selectorIijEEZZNS1_16scan_by_key_implILNS1_25lookback_scan_determinismE0ELb1ES3_N6thrust23THRUST_200600_302600_NS6detail15normal_iteratorINS9_10device_ptrIiEEEENSB_INSC_IjEEEESG_jNS9_4plusIvEENS9_8equal_toIvEEjEE10hipError_tPvRmT2_T3_T4_T5_mT6_T7_P12ihipStream_tbENKUlT_T0_E_clISt17integral_constantIbLb0EES10_IbLb1EEEEDaSW_SX_EUlSW_E_NS1_11comp_targetILNS1_3genE9ELNS1_11target_archE1100ELNS1_3gpuE3ELNS1_3repE0EEENS1_30default_config_static_selectorELNS0_4arch9wavefront6targetE1EEEvT1_
	.globl	_ZN7rocprim17ROCPRIM_400000_NS6detail17trampoline_kernelINS0_14default_configENS1_27scan_by_key_config_selectorIijEEZZNS1_16scan_by_key_implILNS1_25lookback_scan_determinismE0ELb1ES3_N6thrust23THRUST_200600_302600_NS6detail15normal_iteratorINS9_10device_ptrIiEEEENSB_INSC_IjEEEESG_jNS9_4plusIvEENS9_8equal_toIvEEjEE10hipError_tPvRmT2_T3_T4_T5_mT6_T7_P12ihipStream_tbENKUlT_T0_E_clISt17integral_constantIbLb0EES10_IbLb1EEEEDaSW_SX_EUlSW_E_NS1_11comp_targetILNS1_3genE9ELNS1_11target_archE1100ELNS1_3gpuE3ELNS1_3repE0EEENS1_30default_config_static_selectorELNS0_4arch9wavefront6targetE1EEEvT1_
	.p2align	8
	.type	_ZN7rocprim17ROCPRIM_400000_NS6detail17trampoline_kernelINS0_14default_configENS1_27scan_by_key_config_selectorIijEEZZNS1_16scan_by_key_implILNS1_25lookback_scan_determinismE0ELb1ES3_N6thrust23THRUST_200600_302600_NS6detail15normal_iteratorINS9_10device_ptrIiEEEENSB_INSC_IjEEEESG_jNS9_4plusIvEENS9_8equal_toIvEEjEE10hipError_tPvRmT2_T3_T4_T5_mT6_T7_P12ihipStream_tbENKUlT_T0_E_clISt17integral_constantIbLb0EES10_IbLb1EEEEDaSW_SX_EUlSW_E_NS1_11comp_targetILNS1_3genE9ELNS1_11target_archE1100ELNS1_3gpuE3ELNS1_3repE0EEENS1_30default_config_static_selectorELNS0_4arch9wavefront6targetE1EEEvT1_,@function
_ZN7rocprim17ROCPRIM_400000_NS6detail17trampoline_kernelINS0_14default_configENS1_27scan_by_key_config_selectorIijEEZZNS1_16scan_by_key_implILNS1_25lookback_scan_determinismE0ELb1ES3_N6thrust23THRUST_200600_302600_NS6detail15normal_iteratorINS9_10device_ptrIiEEEENSB_INSC_IjEEEESG_jNS9_4plusIvEENS9_8equal_toIvEEjEE10hipError_tPvRmT2_T3_T4_T5_mT6_T7_P12ihipStream_tbENKUlT_T0_E_clISt17integral_constantIbLb0EES10_IbLb1EEEEDaSW_SX_EUlSW_E_NS1_11comp_targetILNS1_3genE9ELNS1_11target_archE1100ELNS1_3gpuE3ELNS1_3repE0EEENS1_30default_config_static_selectorELNS0_4arch9wavefront6targetE1EEEvT1_: ; @_ZN7rocprim17ROCPRIM_400000_NS6detail17trampoline_kernelINS0_14default_configENS1_27scan_by_key_config_selectorIijEEZZNS1_16scan_by_key_implILNS1_25lookback_scan_determinismE0ELb1ES3_N6thrust23THRUST_200600_302600_NS6detail15normal_iteratorINS9_10device_ptrIiEEEENSB_INSC_IjEEEESG_jNS9_4plusIvEENS9_8equal_toIvEEjEE10hipError_tPvRmT2_T3_T4_T5_mT6_T7_P12ihipStream_tbENKUlT_T0_E_clISt17integral_constantIbLb0EES10_IbLb1EEEEDaSW_SX_EUlSW_E_NS1_11comp_targetILNS1_3genE9ELNS1_11target_archE1100ELNS1_3gpuE3ELNS1_3repE0EEENS1_30default_config_static_selectorELNS0_4arch9wavefront6targetE1EEEvT1_
; %bb.0:
	.section	.rodata,"a",@progbits
	.p2align	6, 0x0
	.amdhsa_kernel _ZN7rocprim17ROCPRIM_400000_NS6detail17trampoline_kernelINS0_14default_configENS1_27scan_by_key_config_selectorIijEEZZNS1_16scan_by_key_implILNS1_25lookback_scan_determinismE0ELb1ES3_N6thrust23THRUST_200600_302600_NS6detail15normal_iteratorINS9_10device_ptrIiEEEENSB_INSC_IjEEEESG_jNS9_4plusIvEENS9_8equal_toIvEEjEE10hipError_tPvRmT2_T3_T4_T5_mT6_T7_P12ihipStream_tbENKUlT_T0_E_clISt17integral_constantIbLb0EES10_IbLb1EEEEDaSW_SX_EUlSW_E_NS1_11comp_targetILNS1_3genE9ELNS1_11target_archE1100ELNS1_3gpuE3ELNS1_3repE0EEENS1_30default_config_static_selectorELNS0_4arch9wavefront6targetE1EEEvT1_
		.amdhsa_group_segment_fixed_size 0
		.amdhsa_private_segment_fixed_size 0
		.amdhsa_kernarg_size 112
		.amdhsa_user_sgpr_count 2
		.amdhsa_user_sgpr_dispatch_ptr 0
		.amdhsa_user_sgpr_queue_ptr 0
		.amdhsa_user_sgpr_kernarg_segment_ptr 1
		.amdhsa_user_sgpr_dispatch_id 0
		.amdhsa_user_sgpr_kernarg_preload_length 0
		.amdhsa_user_sgpr_kernarg_preload_offset 0
		.amdhsa_user_sgpr_private_segment_size 0
		.amdhsa_uses_dynamic_stack 0
		.amdhsa_enable_private_segment 0
		.amdhsa_system_sgpr_workgroup_id_x 1
		.amdhsa_system_sgpr_workgroup_id_y 0
		.amdhsa_system_sgpr_workgroup_id_z 0
		.amdhsa_system_sgpr_workgroup_info 0
		.amdhsa_system_vgpr_workitem_id 0
		.amdhsa_next_free_vgpr 1
		.amdhsa_next_free_sgpr 0
		.amdhsa_accum_offset 4
		.amdhsa_reserve_vcc 0
		.amdhsa_float_round_mode_32 0
		.amdhsa_float_round_mode_16_64 0
		.amdhsa_float_denorm_mode_32 3
		.amdhsa_float_denorm_mode_16_64 3
		.amdhsa_dx10_clamp 1
		.amdhsa_ieee_mode 1
		.amdhsa_fp16_overflow 0
		.amdhsa_tg_split 0
		.amdhsa_exception_fp_ieee_invalid_op 0
		.amdhsa_exception_fp_denorm_src 0
		.amdhsa_exception_fp_ieee_div_zero 0
		.amdhsa_exception_fp_ieee_overflow 0
		.amdhsa_exception_fp_ieee_underflow 0
		.amdhsa_exception_fp_ieee_inexact 0
		.amdhsa_exception_int_div_zero 0
	.end_amdhsa_kernel
	.section	.text._ZN7rocprim17ROCPRIM_400000_NS6detail17trampoline_kernelINS0_14default_configENS1_27scan_by_key_config_selectorIijEEZZNS1_16scan_by_key_implILNS1_25lookback_scan_determinismE0ELb1ES3_N6thrust23THRUST_200600_302600_NS6detail15normal_iteratorINS9_10device_ptrIiEEEENSB_INSC_IjEEEESG_jNS9_4plusIvEENS9_8equal_toIvEEjEE10hipError_tPvRmT2_T3_T4_T5_mT6_T7_P12ihipStream_tbENKUlT_T0_E_clISt17integral_constantIbLb0EES10_IbLb1EEEEDaSW_SX_EUlSW_E_NS1_11comp_targetILNS1_3genE9ELNS1_11target_archE1100ELNS1_3gpuE3ELNS1_3repE0EEENS1_30default_config_static_selectorELNS0_4arch9wavefront6targetE1EEEvT1_,"axG",@progbits,_ZN7rocprim17ROCPRIM_400000_NS6detail17trampoline_kernelINS0_14default_configENS1_27scan_by_key_config_selectorIijEEZZNS1_16scan_by_key_implILNS1_25lookback_scan_determinismE0ELb1ES3_N6thrust23THRUST_200600_302600_NS6detail15normal_iteratorINS9_10device_ptrIiEEEENSB_INSC_IjEEEESG_jNS9_4plusIvEENS9_8equal_toIvEEjEE10hipError_tPvRmT2_T3_T4_T5_mT6_T7_P12ihipStream_tbENKUlT_T0_E_clISt17integral_constantIbLb0EES10_IbLb1EEEEDaSW_SX_EUlSW_E_NS1_11comp_targetILNS1_3genE9ELNS1_11target_archE1100ELNS1_3gpuE3ELNS1_3repE0EEENS1_30default_config_static_selectorELNS0_4arch9wavefront6targetE1EEEvT1_,comdat
.Lfunc_end1533:
	.size	_ZN7rocprim17ROCPRIM_400000_NS6detail17trampoline_kernelINS0_14default_configENS1_27scan_by_key_config_selectorIijEEZZNS1_16scan_by_key_implILNS1_25lookback_scan_determinismE0ELb1ES3_N6thrust23THRUST_200600_302600_NS6detail15normal_iteratorINS9_10device_ptrIiEEEENSB_INSC_IjEEEESG_jNS9_4plusIvEENS9_8equal_toIvEEjEE10hipError_tPvRmT2_T3_T4_T5_mT6_T7_P12ihipStream_tbENKUlT_T0_E_clISt17integral_constantIbLb0EES10_IbLb1EEEEDaSW_SX_EUlSW_E_NS1_11comp_targetILNS1_3genE9ELNS1_11target_archE1100ELNS1_3gpuE3ELNS1_3repE0EEENS1_30default_config_static_selectorELNS0_4arch9wavefront6targetE1EEEvT1_, .Lfunc_end1533-_ZN7rocprim17ROCPRIM_400000_NS6detail17trampoline_kernelINS0_14default_configENS1_27scan_by_key_config_selectorIijEEZZNS1_16scan_by_key_implILNS1_25lookback_scan_determinismE0ELb1ES3_N6thrust23THRUST_200600_302600_NS6detail15normal_iteratorINS9_10device_ptrIiEEEENSB_INSC_IjEEEESG_jNS9_4plusIvEENS9_8equal_toIvEEjEE10hipError_tPvRmT2_T3_T4_T5_mT6_T7_P12ihipStream_tbENKUlT_T0_E_clISt17integral_constantIbLb0EES10_IbLb1EEEEDaSW_SX_EUlSW_E_NS1_11comp_targetILNS1_3genE9ELNS1_11target_archE1100ELNS1_3gpuE3ELNS1_3repE0EEENS1_30default_config_static_selectorELNS0_4arch9wavefront6targetE1EEEvT1_
                                        ; -- End function
	.section	.AMDGPU.csdata,"",@progbits
; Kernel info:
; codeLenInByte = 0
; NumSgprs: 6
; NumVgprs: 0
; NumAgprs: 0
; TotalNumVgprs: 0
; ScratchSize: 0
; MemoryBound: 0
; FloatMode: 240
; IeeeMode: 1
; LDSByteSize: 0 bytes/workgroup (compile time only)
; SGPRBlocks: 0
; VGPRBlocks: 0
; NumSGPRsForWavesPerEU: 6
; NumVGPRsForWavesPerEU: 1
; AccumOffset: 4
; Occupancy: 8
; WaveLimiterHint : 0
; COMPUTE_PGM_RSRC2:SCRATCH_EN: 0
; COMPUTE_PGM_RSRC2:USER_SGPR: 2
; COMPUTE_PGM_RSRC2:TRAP_HANDLER: 0
; COMPUTE_PGM_RSRC2:TGID_X_EN: 1
; COMPUTE_PGM_RSRC2:TGID_Y_EN: 0
; COMPUTE_PGM_RSRC2:TGID_Z_EN: 0
; COMPUTE_PGM_RSRC2:TIDIG_COMP_CNT: 0
; COMPUTE_PGM_RSRC3_GFX90A:ACCUM_OFFSET: 0
; COMPUTE_PGM_RSRC3_GFX90A:TG_SPLIT: 0
	.section	.text._ZN7rocprim17ROCPRIM_400000_NS6detail17trampoline_kernelINS0_14default_configENS1_27scan_by_key_config_selectorIijEEZZNS1_16scan_by_key_implILNS1_25lookback_scan_determinismE0ELb1ES3_N6thrust23THRUST_200600_302600_NS6detail15normal_iteratorINS9_10device_ptrIiEEEENSB_INSC_IjEEEESG_jNS9_4plusIvEENS9_8equal_toIvEEjEE10hipError_tPvRmT2_T3_T4_T5_mT6_T7_P12ihipStream_tbENKUlT_T0_E_clISt17integral_constantIbLb0EES10_IbLb1EEEEDaSW_SX_EUlSW_E_NS1_11comp_targetILNS1_3genE8ELNS1_11target_archE1030ELNS1_3gpuE2ELNS1_3repE0EEENS1_30default_config_static_selectorELNS0_4arch9wavefront6targetE1EEEvT1_,"axG",@progbits,_ZN7rocprim17ROCPRIM_400000_NS6detail17trampoline_kernelINS0_14default_configENS1_27scan_by_key_config_selectorIijEEZZNS1_16scan_by_key_implILNS1_25lookback_scan_determinismE0ELb1ES3_N6thrust23THRUST_200600_302600_NS6detail15normal_iteratorINS9_10device_ptrIiEEEENSB_INSC_IjEEEESG_jNS9_4plusIvEENS9_8equal_toIvEEjEE10hipError_tPvRmT2_T3_T4_T5_mT6_T7_P12ihipStream_tbENKUlT_T0_E_clISt17integral_constantIbLb0EES10_IbLb1EEEEDaSW_SX_EUlSW_E_NS1_11comp_targetILNS1_3genE8ELNS1_11target_archE1030ELNS1_3gpuE2ELNS1_3repE0EEENS1_30default_config_static_selectorELNS0_4arch9wavefront6targetE1EEEvT1_,comdat
	.protected	_ZN7rocprim17ROCPRIM_400000_NS6detail17trampoline_kernelINS0_14default_configENS1_27scan_by_key_config_selectorIijEEZZNS1_16scan_by_key_implILNS1_25lookback_scan_determinismE0ELb1ES3_N6thrust23THRUST_200600_302600_NS6detail15normal_iteratorINS9_10device_ptrIiEEEENSB_INSC_IjEEEESG_jNS9_4plusIvEENS9_8equal_toIvEEjEE10hipError_tPvRmT2_T3_T4_T5_mT6_T7_P12ihipStream_tbENKUlT_T0_E_clISt17integral_constantIbLb0EES10_IbLb1EEEEDaSW_SX_EUlSW_E_NS1_11comp_targetILNS1_3genE8ELNS1_11target_archE1030ELNS1_3gpuE2ELNS1_3repE0EEENS1_30default_config_static_selectorELNS0_4arch9wavefront6targetE1EEEvT1_ ; -- Begin function _ZN7rocprim17ROCPRIM_400000_NS6detail17trampoline_kernelINS0_14default_configENS1_27scan_by_key_config_selectorIijEEZZNS1_16scan_by_key_implILNS1_25lookback_scan_determinismE0ELb1ES3_N6thrust23THRUST_200600_302600_NS6detail15normal_iteratorINS9_10device_ptrIiEEEENSB_INSC_IjEEEESG_jNS9_4plusIvEENS9_8equal_toIvEEjEE10hipError_tPvRmT2_T3_T4_T5_mT6_T7_P12ihipStream_tbENKUlT_T0_E_clISt17integral_constantIbLb0EES10_IbLb1EEEEDaSW_SX_EUlSW_E_NS1_11comp_targetILNS1_3genE8ELNS1_11target_archE1030ELNS1_3gpuE2ELNS1_3repE0EEENS1_30default_config_static_selectorELNS0_4arch9wavefront6targetE1EEEvT1_
	.globl	_ZN7rocprim17ROCPRIM_400000_NS6detail17trampoline_kernelINS0_14default_configENS1_27scan_by_key_config_selectorIijEEZZNS1_16scan_by_key_implILNS1_25lookback_scan_determinismE0ELb1ES3_N6thrust23THRUST_200600_302600_NS6detail15normal_iteratorINS9_10device_ptrIiEEEENSB_INSC_IjEEEESG_jNS9_4plusIvEENS9_8equal_toIvEEjEE10hipError_tPvRmT2_T3_T4_T5_mT6_T7_P12ihipStream_tbENKUlT_T0_E_clISt17integral_constantIbLb0EES10_IbLb1EEEEDaSW_SX_EUlSW_E_NS1_11comp_targetILNS1_3genE8ELNS1_11target_archE1030ELNS1_3gpuE2ELNS1_3repE0EEENS1_30default_config_static_selectorELNS0_4arch9wavefront6targetE1EEEvT1_
	.p2align	8
	.type	_ZN7rocprim17ROCPRIM_400000_NS6detail17trampoline_kernelINS0_14default_configENS1_27scan_by_key_config_selectorIijEEZZNS1_16scan_by_key_implILNS1_25lookback_scan_determinismE0ELb1ES3_N6thrust23THRUST_200600_302600_NS6detail15normal_iteratorINS9_10device_ptrIiEEEENSB_INSC_IjEEEESG_jNS9_4plusIvEENS9_8equal_toIvEEjEE10hipError_tPvRmT2_T3_T4_T5_mT6_T7_P12ihipStream_tbENKUlT_T0_E_clISt17integral_constantIbLb0EES10_IbLb1EEEEDaSW_SX_EUlSW_E_NS1_11comp_targetILNS1_3genE8ELNS1_11target_archE1030ELNS1_3gpuE2ELNS1_3repE0EEENS1_30default_config_static_selectorELNS0_4arch9wavefront6targetE1EEEvT1_,@function
_ZN7rocprim17ROCPRIM_400000_NS6detail17trampoline_kernelINS0_14default_configENS1_27scan_by_key_config_selectorIijEEZZNS1_16scan_by_key_implILNS1_25lookback_scan_determinismE0ELb1ES3_N6thrust23THRUST_200600_302600_NS6detail15normal_iteratorINS9_10device_ptrIiEEEENSB_INSC_IjEEEESG_jNS9_4plusIvEENS9_8equal_toIvEEjEE10hipError_tPvRmT2_T3_T4_T5_mT6_T7_P12ihipStream_tbENKUlT_T0_E_clISt17integral_constantIbLb0EES10_IbLb1EEEEDaSW_SX_EUlSW_E_NS1_11comp_targetILNS1_3genE8ELNS1_11target_archE1030ELNS1_3gpuE2ELNS1_3repE0EEENS1_30default_config_static_selectorELNS0_4arch9wavefront6targetE1EEEvT1_: ; @_ZN7rocprim17ROCPRIM_400000_NS6detail17trampoline_kernelINS0_14default_configENS1_27scan_by_key_config_selectorIijEEZZNS1_16scan_by_key_implILNS1_25lookback_scan_determinismE0ELb1ES3_N6thrust23THRUST_200600_302600_NS6detail15normal_iteratorINS9_10device_ptrIiEEEENSB_INSC_IjEEEESG_jNS9_4plusIvEENS9_8equal_toIvEEjEE10hipError_tPvRmT2_T3_T4_T5_mT6_T7_P12ihipStream_tbENKUlT_T0_E_clISt17integral_constantIbLb0EES10_IbLb1EEEEDaSW_SX_EUlSW_E_NS1_11comp_targetILNS1_3genE8ELNS1_11target_archE1030ELNS1_3gpuE2ELNS1_3repE0EEENS1_30default_config_static_selectorELNS0_4arch9wavefront6targetE1EEEvT1_
; %bb.0:
	.section	.rodata,"a",@progbits
	.p2align	6, 0x0
	.amdhsa_kernel _ZN7rocprim17ROCPRIM_400000_NS6detail17trampoline_kernelINS0_14default_configENS1_27scan_by_key_config_selectorIijEEZZNS1_16scan_by_key_implILNS1_25lookback_scan_determinismE0ELb1ES3_N6thrust23THRUST_200600_302600_NS6detail15normal_iteratorINS9_10device_ptrIiEEEENSB_INSC_IjEEEESG_jNS9_4plusIvEENS9_8equal_toIvEEjEE10hipError_tPvRmT2_T3_T4_T5_mT6_T7_P12ihipStream_tbENKUlT_T0_E_clISt17integral_constantIbLb0EES10_IbLb1EEEEDaSW_SX_EUlSW_E_NS1_11comp_targetILNS1_3genE8ELNS1_11target_archE1030ELNS1_3gpuE2ELNS1_3repE0EEENS1_30default_config_static_selectorELNS0_4arch9wavefront6targetE1EEEvT1_
		.amdhsa_group_segment_fixed_size 0
		.amdhsa_private_segment_fixed_size 0
		.amdhsa_kernarg_size 112
		.amdhsa_user_sgpr_count 2
		.amdhsa_user_sgpr_dispatch_ptr 0
		.amdhsa_user_sgpr_queue_ptr 0
		.amdhsa_user_sgpr_kernarg_segment_ptr 1
		.amdhsa_user_sgpr_dispatch_id 0
		.amdhsa_user_sgpr_kernarg_preload_length 0
		.amdhsa_user_sgpr_kernarg_preload_offset 0
		.amdhsa_user_sgpr_private_segment_size 0
		.amdhsa_uses_dynamic_stack 0
		.amdhsa_enable_private_segment 0
		.amdhsa_system_sgpr_workgroup_id_x 1
		.amdhsa_system_sgpr_workgroup_id_y 0
		.amdhsa_system_sgpr_workgroup_id_z 0
		.amdhsa_system_sgpr_workgroup_info 0
		.amdhsa_system_vgpr_workitem_id 0
		.amdhsa_next_free_vgpr 1
		.amdhsa_next_free_sgpr 0
		.amdhsa_accum_offset 4
		.amdhsa_reserve_vcc 0
		.amdhsa_float_round_mode_32 0
		.amdhsa_float_round_mode_16_64 0
		.amdhsa_float_denorm_mode_32 3
		.amdhsa_float_denorm_mode_16_64 3
		.amdhsa_dx10_clamp 1
		.amdhsa_ieee_mode 1
		.amdhsa_fp16_overflow 0
		.amdhsa_tg_split 0
		.amdhsa_exception_fp_ieee_invalid_op 0
		.amdhsa_exception_fp_denorm_src 0
		.amdhsa_exception_fp_ieee_div_zero 0
		.amdhsa_exception_fp_ieee_overflow 0
		.amdhsa_exception_fp_ieee_underflow 0
		.amdhsa_exception_fp_ieee_inexact 0
		.amdhsa_exception_int_div_zero 0
	.end_amdhsa_kernel
	.section	.text._ZN7rocprim17ROCPRIM_400000_NS6detail17trampoline_kernelINS0_14default_configENS1_27scan_by_key_config_selectorIijEEZZNS1_16scan_by_key_implILNS1_25lookback_scan_determinismE0ELb1ES3_N6thrust23THRUST_200600_302600_NS6detail15normal_iteratorINS9_10device_ptrIiEEEENSB_INSC_IjEEEESG_jNS9_4plusIvEENS9_8equal_toIvEEjEE10hipError_tPvRmT2_T3_T4_T5_mT6_T7_P12ihipStream_tbENKUlT_T0_E_clISt17integral_constantIbLb0EES10_IbLb1EEEEDaSW_SX_EUlSW_E_NS1_11comp_targetILNS1_3genE8ELNS1_11target_archE1030ELNS1_3gpuE2ELNS1_3repE0EEENS1_30default_config_static_selectorELNS0_4arch9wavefront6targetE1EEEvT1_,"axG",@progbits,_ZN7rocprim17ROCPRIM_400000_NS6detail17trampoline_kernelINS0_14default_configENS1_27scan_by_key_config_selectorIijEEZZNS1_16scan_by_key_implILNS1_25lookback_scan_determinismE0ELb1ES3_N6thrust23THRUST_200600_302600_NS6detail15normal_iteratorINS9_10device_ptrIiEEEENSB_INSC_IjEEEESG_jNS9_4plusIvEENS9_8equal_toIvEEjEE10hipError_tPvRmT2_T3_T4_T5_mT6_T7_P12ihipStream_tbENKUlT_T0_E_clISt17integral_constantIbLb0EES10_IbLb1EEEEDaSW_SX_EUlSW_E_NS1_11comp_targetILNS1_3genE8ELNS1_11target_archE1030ELNS1_3gpuE2ELNS1_3repE0EEENS1_30default_config_static_selectorELNS0_4arch9wavefront6targetE1EEEvT1_,comdat
.Lfunc_end1534:
	.size	_ZN7rocprim17ROCPRIM_400000_NS6detail17trampoline_kernelINS0_14default_configENS1_27scan_by_key_config_selectorIijEEZZNS1_16scan_by_key_implILNS1_25lookback_scan_determinismE0ELb1ES3_N6thrust23THRUST_200600_302600_NS6detail15normal_iteratorINS9_10device_ptrIiEEEENSB_INSC_IjEEEESG_jNS9_4plusIvEENS9_8equal_toIvEEjEE10hipError_tPvRmT2_T3_T4_T5_mT6_T7_P12ihipStream_tbENKUlT_T0_E_clISt17integral_constantIbLb0EES10_IbLb1EEEEDaSW_SX_EUlSW_E_NS1_11comp_targetILNS1_3genE8ELNS1_11target_archE1030ELNS1_3gpuE2ELNS1_3repE0EEENS1_30default_config_static_selectorELNS0_4arch9wavefront6targetE1EEEvT1_, .Lfunc_end1534-_ZN7rocprim17ROCPRIM_400000_NS6detail17trampoline_kernelINS0_14default_configENS1_27scan_by_key_config_selectorIijEEZZNS1_16scan_by_key_implILNS1_25lookback_scan_determinismE0ELb1ES3_N6thrust23THRUST_200600_302600_NS6detail15normal_iteratorINS9_10device_ptrIiEEEENSB_INSC_IjEEEESG_jNS9_4plusIvEENS9_8equal_toIvEEjEE10hipError_tPvRmT2_T3_T4_T5_mT6_T7_P12ihipStream_tbENKUlT_T0_E_clISt17integral_constantIbLb0EES10_IbLb1EEEEDaSW_SX_EUlSW_E_NS1_11comp_targetILNS1_3genE8ELNS1_11target_archE1030ELNS1_3gpuE2ELNS1_3repE0EEENS1_30default_config_static_selectorELNS0_4arch9wavefront6targetE1EEEvT1_
                                        ; -- End function
	.section	.AMDGPU.csdata,"",@progbits
; Kernel info:
; codeLenInByte = 0
; NumSgprs: 6
; NumVgprs: 0
; NumAgprs: 0
; TotalNumVgprs: 0
; ScratchSize: 0
; MemoryBound: 0
; FloatMode: 240
; IeeeMode: 1
; LDSByteSize: 0 bytes/workgroup (compile time only)
; SGPRBlocks: 0
; VGPRBlocks: 0
; NumSGPRsForWavesPerEU: 6
; NumVGPRsForWavesPerEU: 1
; AccumOffset: 4
; Occupancy: 8
; WaveLimiterHint : 0
; COMPUTE_PGM_RSRC2:SCRATCH_EN: 0
; COMPUTE_PGM_RSRC2:USER_SGPR: 2
; COMPUTE_PGM_RSRC2:TRAP_HANDLER: 0
; COMPUTE_PGM_RSRC2:TGID_X_EN: 1
; COMPUTE_PGM_RSRC2:TGID_Y_EN: 0
; COMPUTE_PGM_RSRC2:TGID_Z_EN: 0
; COMPUTE_PGM_RSRC2:TIDIG_COMP_CNT: 0
; COMPUTE_PGM_RSRC3_GFX90A:ACCUM_OFFSET: 0
; COMPUTE_PGM_RSRC3_GFX90A:TG_SPLIT: 0
	.section	.text._ZN7rocprim17ROCPRIM_400000_NS6detail17trampoline_kernelINS0_14default_configENS1_27scan_by_key_config_selectorIitEEZZNS1_16scan_by_key_implILNS1_25lookback_scan_determinismE0ELb1ES3_N6thrust23THRUST_200600_302600_NS6detail15normal_iteratorINS9_10device_ptrIiEEEENSB_INSC_ItEEEESG_tNS9_4plusIvEENS9_8equal_toIvEEtEE10hipError_tPvRmT2_T3_T4_T5_mT6_T7_P12ihipStream_tbENKUlT_T0_E_clISt17integral_constantIbLb0EES11_EEDaSW_SX_EUlSW_E_NS1_11comp_targetILNS1_3genE0ELNS1_11target_archE4294967295ELNS1_3gpuE0ELNS1_3repE0EEENS1_30default_config_static_selectorELNS0_4arch9wavefront6targetE1EEEvT1_,"axG",@progbits,_ZN7rocprim17ROCPRIM_400000_NS6detail17trampoline_kernelINS0_14default_configENS1_27scan_by_key_config_selectorIitEEZZNS1_16scan_by_key_implILNS1_25lookback_scan_determinismE0ELb1ES3_N6thrust23THRUST_200600_302600_NS6detail15normal_iteratorINS9_10device_ptrIiEEEENSB_INSC_ItEEEESG_tNS9_4plusIvEENS9_8equal_toIvEEtEE10hipError_tPvRmT2_T3_T4_T5_mT6_T7_P12ihipStream_tbENKUlT_T0_E_clISt17integral_constantIbLb0EES11_EEDaSW_SX_EUlSW_E_NS1_11comp_targetILNS1_3genE0ELNS1_11target_archE4294967295ELNS1_3gpuE0ELNS1_3repE0EEENS1_30default_config_static_selectorELNS0_4arch9wavefront6targetE1EEEvT1_,comdat
	.protected	_ZN7rocprim17ROCPRIM_400000_NS6detail17trampoline_kernelINS0_14default_configENS1_27scan_by_key_config_selectorIitEEZZNS1_16scan_by_key_implILNS1_25lookback_scan_determinismE0ELb1ES3_N6thrust23THRUST_200600_302600_NS6detail15normal_iteratorINS9_10device_ptrIiEEEENSB_INSC_ItEEEESG_tNS9_4plusIvEENS9_8equal_toIvEEtEE10hipError_tPvRmT2_T3_T4_T5_mT6_T7_P12ihipStream_tbENKUlT_T0_E_clISt17integral_constantIbLb0EES11_EEDaSW_SX_EUlSW_E_NS1_11comp_targetILNS1_3genE0ELNS1_11target_archE4294967295ELNS1_3gpuE0ELNS1_3repE0EEENS1_30default_config_static_selectorELNS0_4arch9wavefront6targetE1EEEvT1_ ; -- Begin function _ZN7rocprim17ROCPRIM_400000_NS6detail17trampoline_kernelINS0_14default_configENS1_27scan_by_key_config_selectorIitEEZZNS1_16scan_by_key_implILNS1_25lookback_scan_determinismE0ELb1ES3_N6thrust23THRUST_200600_302600_NS6detail15normal_iteratorINS9_10device_ptrIiEEEENSB_INSC_ItEEEESG_tNS9_4plusIvEENS9_8equal_toIvEEtEE10hipError_tPvRmT2_T3_T4_T5_mT6_T7_P12ihipStream_tbENKUlT_T0_E_clISt17integral_constantIbLb0EES11_EEDaSW_SX_EUlSW_E_NS1_11comp_targetILNS1_3genE0ELNS1_11target_archE4294967295ELNS1_3gpuE0ELNS1_3repE0EEENS1_30default_config_static_selectorELNS0_4arch9wavefront6targetE1EEEvT1_
	.globl	_ZN7rocprim17ROCPRIM_400000_NS6detail17trampoline_kernelINS0_14default_configENS1_27scan_by_key_config_selectorIitEEZZNS1_16scan_by_key_implILNS1_25lookback_scan_determinismE0ELb1ES3_N6thrust23THRUST_200600_302600_NS6detail15normal_iteratorINS9_10device_ptrIiEEEENSB_INSC_ItEEEESG_tNS9_4plusIvEENS9_8equal_toIvEEtEE10hipError_tPvRmT2_T3_T4_T5_mT6_T7_P12ihipStream_tbENKUlT_T0_E_clISt17integral_constantIbLb0EES11_EEDaSW_SX_EUlSW_E_NS1_11comp_targetILNS1_3genE0ELNS1_11target_archE4294967295ELNS1_3gpuE0ELNS1_3repE0EEENS1_30default_config_static_selectorELNS0_4arch9wavefront6targetE1EEEvT1_
	.p2align	8
	.type	_ZN7rocprim17ROCPRIM_400000_NS6detail17trampoline_kernelINS0_14default_configENS1_27scan_by_key_config_selectorIitEEZZNS1_16scan_by_key_implILNS1_25lookback_scan_determinismE0ELb1ES3_N6thrust23THRUST_200600_302600_NS6detail15normal_iteratorINS9_10device_ptrIiEEEENSB_INSC_ItEEEESG_tNS9_4plusIvEENS9_8equal_toIvEEtEE10hipError_tPvRmT2_T3_T4_T5_mT6_T7_P12ihipStream_tbENKUlT_T0_E_clISt17integral_constantIbLb0EES11_EEDaSW_SX_EUlSW_E_NS1_11comp_targetILNS1_3genE0ELNS1_11target_archE4294967295ELNS1_3gpuE0ELNS1_3repE0EEENS1_30default_config_static_selectorELNS0_4arch9wavefront6targetE1EEEvT1_,@function
_ZN7rocprim17ROCPRIM_400000_NS6detail17trampoline_kernelINS0_14default_configENS1_27scan_by_key_config_selectorIitEEZZNS1_16scan_by_key_implILNS1_25lookback_scan_determinismE0ELb1ES3_N6thrust23THRUST_200600_302600_NS6detail15normal_iteratorINS9_10device_ptrIiEEEENSB_INSC_ItEEEESG_tNS9_4plusIvEENS9_8equal_toIvEEtEE10hipError_tPvRmT2_T3_T4_T5_mT6_T7_P12ihipStream_tbENKUlT_T0_E_clISt17integral_constantIbLb0EES11_EEDaSW_SX_EUlSW_E_NS1_11comp_targetILNS1_3genE0ELNS1_11target_archE4294967295ELNS1_3gpuE0ELNS1_3repE0EEENS1_30default_config_static_selectorELNS0_4arch9wavefront6targetE1EEEvT1_: ; @_ZN7rocprim17ROCPRIM_400000_NS6detail17trampoline_kernelINS0_14default_configENS1_27scan_by_key_config_selectorIitEEZZNS1_16scan_by_key_implILNS1_25lookback_scan_determinismE0ELb1ES3_N6thrust23THRUST_200600_302600_NS6detail15normal_iteratorINS9_10device_ptrIiEEEENSB_INSC_ItEEEESG_tNS9_4plusIvEENS9_8equal_toIvEEtEE10hipError_tPvRmT2_T3_T4_T5_mT6_T7_P12ihipStream_tbENKUlT_T0_E_clISt17integral_constantIbLb0EES11_EEDaSW_SX_EUlSW_E_NS1_11comp_targetILNS1_3genE0ELNS1_11target_archE4294967295ELNS1_3gpuE0ELNS1_3repE0EEENS1_30default_config_static_selectorELNS0_4arch9wavefront6targetE1EEEvT1_
; %bb.0:
	.section	.rodata,"a",@progbits
	.p2align	6, 0x0
	.amdhsa_kernel _ZN7rocprim17ROCPRIM_400000_NS6detail17trampoline_kernelINS0_14default_configENS1_27scan_by_key_config_selectorIitEEZZNS1_16scan_by_key_implILNS1_25lookback_scan_determinismE0ELb1ES3_N6thrust23THRUST_200600_302600_NS6detail15normal_iteratorINS9_10device_ptrIiEEEENSB_INSC_ItEEEESG_tNS9_4plusIvEENS9_8equal_toIvEEtEE10hipError_tPvRmT2_T3_T4_T5_mT6_T7_P12ihipStream_tbENKUlT_T0_E_clISt17integral_constantIbLb0EES11_EEDaSW_SX_EUlSW_E_NS1_11comp_targetILNS1_3genE0ELNS1_11target_archE4294967295ELNS1_3gpuE0ELNS1_3repE0EEENS1_30default_config_static_selectorELNS0_4arch9wavefront6targetE1EEEvT1_
		.amdhsa_group_segment_fixed_size 0
		.amdhsa_private_segment_fixed_size 0
		.amdhsa_kernarg_size 112
		.amdhsa_user_sgpr_count 2
		.amdhsa_user_sgpr_dispatch_ptr 0
		.amdhsa_user_sgpr_queue_ptr 0
		.amdhsa_user_sgpr_kernarg_segment_ptr 1
		.amdhsa_user_sgpr_dispatch_id 0
		.amdhsa_user_sgpr_kernarg_preload_length 0
		.amdhsa_user_sgpr_kernarg_preload_offset 0
		.amdhsa_user_sgpr_private_segment_size 0
		.amdhsa_uses_dynamic_stack 0
		.amdhsa_enable_private_segment 0
		.amdhsa_system_sgpr_workgroup_id_x 1
		.amdhsa_system_sgpr_workgroup_id_y 0
		.amdhsa_system_sgpr_workgroup_id_z 0
		.amdhsa_system_sgpr_workgroup_info 0
		.amdhsa_system_vgpr_workitem_id 0
		.amdhsa_next_free_vgpr 1
		.amdhsa_next_free_sgpr 0
		.amdhsa_accum_offset 4
		.amdhsa_reserve_vcc 0
		.amdhsa_float_round_mode_32 0
		.amdhsa_float_round_mode_16_64 0
		.amdhsa_float_denorm_mode_32 3
		.amdhsa_float_denorm_mode_16_64 3
		.amdhsa_dx10_clamp 1
		.amdhsa_ieee_mode 1
		.amdhsa_fp16_overflow 0
		.amdhsa_tg_split 0
		.amdhsa_exception_fp_ieee_invalid_op 0
		.amdhsa_exception_fp_denorm_src 0
		.amdhsa_exception_fp_ieee_div_zero 0
		.amdhsa_exception_fp_ieee_overflow 0
		.amdhsa_exception_fp_ieee_underflow 0
		.amdhsa_exception_fp_ieee_inexact 0
		.amdhsa_exception_int_div_zero 0
	.end_amdhsa_kernel
	.section	.text._ZN7rocprim17ROCPRIM_400000_NS6detail17trampoline_kernelINS0_14default_configENS1_27scan_by_key_config_selectorIitEEZZNS1_16scan_by_key_implILNS1_25lookback_scan_determinismE0ELb1ES3_N6thrust23THRUST_200600_302600_NS6detail15normal_iteratorINS9_10device_ptrIiEEEENSB_INSC_ItEEEESG_tNS9_4plusIvEENS9_8equal_toIvEEtEE10hipError_tPvRmT2_T3_T4_T5_mT6_T7_P12ihipStream_tbENKUlT_T0_E_clISt17integral_constantIbLb0EES11_EEDaSW_SX_EUlSW_E_NS1_11comp_targetILNS1_3genE0ELNS1_11target_archE4294967295ELNS1_3gpuE0ELNS1_3repE0EEENS1_30default_config_static_selectorELNS0_4arch9wavefront6targetE1EEEvT1_,"axG",@progbits,_ZN7rocprim17ROCPRIM_400000_NS6detail17trampoline_kernelINS0_14default_configENS1_27scan_by_key_config_selectorIitEEZZNS1_16scan_by_key_implILNS1_25lookback_scan_determinismE0ELb1ES3_N6thrust23THRUST_200600_302600_NS6detail15normal_iteratorINS9_10device_ptrIiEEEENSB_INSC_ItEEEESG_tNS9_4plusIvEENS9_8equal_toIvEEtEE10hipError_tPvRmT2_T3_T4_T5_mT6_T7_P12ihipStream_tbENKUlT_T0_E_clISt17integral_constantIbLb0EES11_EEDaSW_SX_EUlSW_E_NS1_11comp_targetILNS1_3genE0ELNS1_11target_archE4294967295ELNS1_3gpuE0ELNS1_3repE0EEENS1_30default_config_static_selectorELNS0_4arch9wavefront6targetE1EEEvT1_,comdat
.Lfunc_end1535:
	.size	_ZN7rocprim17ROCPRIM_400000_NS6detail17trampoline_kernelINS0_14default_configENS1_27scan_by_key_config_selectorIitEEZZNS1_16scan_by_key_implILNS1_25lookback_scan_determinismE0ELb1ES3_N6thrust23THRUST_200600_302600_NS6detail15normal_iteratorINS9_10device_ptrIiEEEENSB_INSC_ItEEEESG_tNS9_4plusIvEENS9_8equal_toIvEEtEE10hipError_tPvRmT2_T3_T4_T5_mT6_T7_P12ihipStream_tbENKUlT_T0_E_clISt17integral_constantIbLb0EES11_EEDaSW_SX_EUlSW_E_NS1_11comp_targetILNS1_3genE0ELNS1_11target_archE4294967295ELNS1_3gpuE0ELNS1_3repE0EEENS1_30default_config_static_selectorELNS0_4arch9wavefront6targetE1EEEvT1_, .Lfunc_end1535-_ZN7rocprim17ROCPRIM_400000_NS6detail17trampoline_kernelINS0_14default_configENS1_27scan_by_key_config_selectorIitEEZZNS1_16scan_by_key_implILNS1_25lookback_scan_determinismE0ELb1ES3_N6thrust23THRUST_200600_302600_NS6detail15normal_iteratorINS9_10device_ptrIiEEEENSB_INSC_ItEEEESG_tNS9_4plusIvEENS9_8equal_toIvEEtEE10hipError_tPvRmT2_T3_T4_T5_mT6_T7_P12ihipStream_tbENKUlT_T0_E_clISt17integral_constantIbLb0EES11_EEDaSW_SX_EUlSW_E_NS1_11comp_targetILNS1_3genE0ELNS1_11target_archE4294967295ELNS1_3gpuE0ELNS1_3repE0EEENS1_30default_config_static_selectorELNS0_4arch9wavefront6targetE1EEEvT1_
                                        ; -- End function
	.section	.AMDGPU.csdata,"",@progbits
; Kernel info:
; codeLenInByte = 0
; NumSgprs: 6
; NumVgprs: 0
; NumAgprs: 0
; TotalNumVgprs: 0
; ScratchSize: 0
; MemoryBound: 0
; FloatMode: 240
; IeeeMode: 1
; LDSByteSize: 0 bytes/workgroup (compile time only)
; SGPRBlocks: 0
; VGPRBlocks: 0
; NumSGPRsForWavesPerEU: 6
; NumVGPRsForWavesPerEU: 1
; AccumOffset: 4
; Occupancy: 8
; WaveLimiterHint : 0
; COMPUTE_PGM_RSRC2:SCRATCH_EN: 0
; COMPUTE_PGM_RSRC2:USER_SGPR: 2
; COMPUTE_PGM_RSRC2:TRAP_HANDLER: 0
; COMPUTE_PGM_RSRC2:TGID_X_EN: 1
; COMPUTE_PGM_RSRC2:TGID_Y_EN: 0
; COMPUTE_PGM_RSRC2:TGID_Z_EN: 0
; COMPUTE_PGM_RSRC2:TIDIG_COMP_CNT: 0
; COMPUTE_PGM_RSRC3_GFX90A:ACCUM_OFFSET: 0
; COMPUTE_PGM_RSRC3_GFX90A:TG_SPLIT: 0
	.section	.text._ZN7rocprim17ROCPRIM_400000_NS6detail17trampoline_kernelINS0_14default_configENS1_27scan_by_key_config_selectorIitEEZZNS1_16scan_by_key_implILNS1_25lookback_scan_determinismE0ELb1ES3_N6thrust23THRUST_200600_302600_NS6detail15normal_iteratorINS9_10device_ptrIiEEEENSB_INSC_ItEEEESG_tNS9_4plusIvEENS9_8equal_toIvEEtEE10hipError_tPvRmT2_T3_T4_T5_mT6_T7_P12ihipStream_tbENKUlT_T0_E_clISt17integral_constantIbLb0EES11_EEDaSW_SX_EUlSW_E_NS1_11comp_targetILNS1_3genE10ELNS1_11target_archE1201ELNS1_3gpuE5ELNS1_3repE0EEENS1_30default_config_static_selectorELNS0_4arch9wavefront6targetE1EEEvT1_,"axG",@progbits,_ZN7rocprim17ROCPRIM_400000_NS6detail17trampoline_kernelINS0_14default_configENS1_27scan_by_key_config_selectorIitEEZZNS1_16scan_by_key_implILNS1_25lookback_scan_determinismE0ELb1ES3_N6thrust23THRUST_200600_302600_NS6detail15normal_iteratorINS9_10device_ptrIiEEEENSB_INSC_ItEEEESG_tNS9_4plusIvEENS9_8equal_toIvEEtEE10hipError_tPvRmT2_T3_T4_T5_mT6_T7_P12ihipStream_tbENKUlT_T0_E_clISt17integral_constantIbLb0EES11_EEDaSW_SX_EUlSW_E_NS1_11comp_targetILNS1_3genE10ELNS1_11target_archE1201ELNS1_3gpuE5ELNS1_3repE0EEENS1_30default_config_static_selectorELNS0_4arch9wavefront6targetE1EEEvT1_,comdat
	.protected	_ZN7rocprim17ROCPRIM_400000_NS6detail17trampoline_kernelINS0_14default_configENS1_27scan_by_key_config_selectorIitEEZZNS1_16scan_by_key_implILNS1_25lookback_scan_determinismE0ELb1ES3_N6thrust23THRUST_200600_302600_NS6detail15normal_iteratorINS9_10device_ptrIiEEEENSB_INSC_ItEEEESG_tNS9_4plusIvEENS9_8equal_toIvEEtEE10hipError_tPvRmT2_T3_T4_T5_mT6_T7_P12ihipStream_tbENKUlT_T0_E_clISt17integral_constantIbLb0EES11_EEDaSW_SX_EUlSW_E_NS1_11comp_targetILNS1_3genE10ELNS1_11target_archE1201ELNS1_3gpuE5ELNS1_3repE0EEENS1_30default_config_static_selectorELNS0_4arch9wavefront6targetE1EEEvT1_ ; -- Begin function _ZN7rocprim17ROCPRIM_400000_NS6detail17trampoline_kernelINS0_14default_configENS1_27scan_by_key_config_selectorIitEEZZNS1_16scan_by_key_implILNS1_25lookback_scan_determinismE0ELb1ES3_N6thrust23THRUST_200600_302600_NS6detail15normal_iteratorINS9_10device_ptrIiEEEENSB_INSC_ItEEEESG_tNS9_4plusIvEENS9_8equal_toIvEEtEE10hipError_tPvRmT2_T3_T4_T5_mT6_T7_P12ihipStream_tbENKUlT_T0_E_clISt17integral_constantIbLb0EES11_EEDaSW_SX_EUlSW_E_NS1_11comp_targetILNS1_3genE10ELNS1_11target_archE1201ELNS1_3gpuE5ELNS1_3repE0EEENS1_30default_config_static_selectorELNS0_4arch9wavefront6targetE1EEEvT1_
	.globl	_ZN7rocprim17ROCPRIM_400000_NS6detail17trampoline_kernelINS0_14default_configENS1_27scan_by_key_config_selectorIitEEZZNS1_16scan_by_key_implILNS1_25lookback_scan_determinismE0ELb1ES3_N6thrust23THRUST_200600_302600_NS6detail15normal_iteratorINS9_10device_ptrIiEEEENSB_INSC_ItEEEESG_tNS9_4plusIvEENS9_8equal_toIvEEtEE10hipError_tPvRmT2_T3_T4_T5_mT6_T7_P12ihipStream_tbENKUlT_T0_E_clISt17integral_constantIbLb0EES11_EEDaSW_SX_EUlSW_E_NS1_11comp_targetILNS1_3genE10ELNS1_11target_archE1201ELNS1_3gpuE5ELNS1_3repE0EEENS1_30default_config_static_selectorELNS0_4arch9wavefront6targetE1EEEvT1_
	.p2align	8
	.type	_ZN7rocprim17ROCPRIM_400000_NS6detail17trampoline_kernelINS0_14default_configENS1_27scan_by_key_config_selectorIitEEZZNS1_16scan_by_key_implILNS1_25lookback_scan_determinismE0ELb1ES3_N6thrust23THRUST_200600_302600_NS6detail15normal_iteratorINS9_10device_ptrIiEEEENSB_INSC_ItEEEESG_tNS9_4plusIvEENS9_8equal_toIvEEtEE10hipError_tPvRmT2_T3_T4_T5_mT6_T7_P12ihipStream_tbENKUlT_T0_E_clISt17integral_constantIbLb0EES11_EEDaSW_SX_EUlSW_E_NS1_11comp_targetILNS1_3genE10ELNS1_11target_archE1201ELNS1_3gpuE5ELNS1_3repE0EEENS1_30default_config_static_selectorELNS0_4arch9wavefront6targetE1EEEvT1_,@function
_ZN7rocprim17ROCPRIM_400000_NS6detail17trampoline_kernelINS0_14default_configENS1_27scan_by_key_config_selectorIitEEZZNS1_16scan_by_key_implILNS1_25lookback_scan_determinismE0ELb1ES3_N6thrust23THRUST_200600_302600_NS6detail15normal_iteratorINS9_10device_ptrIiEEEENSB_INSC_ItEEEESG_tNS9_4plusIvEENS9_8equal_toIvEEtEE10hipError_tPvRmT2_T3_T4_T5_mT6_T7_P12ihipStream_tbENKUlT_T0_E_clISt17integral_constantIbLb0EES11_EEDaSW_SX_EUlSW_E_NS1_11comp_targetILNS1_3genE10ELNS1_11target_archE1201ELNS1_3gpuE5ELNS1_3repE0EEENS1_30default_config_static_selectorELNS0_4arch9wavefront6targetE1EEEvT1_: ; @_ZN7rocprim17ROCPRIM_400000_NS6detail17trampoline_kernelINS0_14default_configENS1_27scan_by_key_config_selectorIitEEZZNS1_16scan_by_key_implILNS1_25lookback_scan_determinismE0ELb1ES3_N6thrust23THRUST_200600_302600_NS6detail15normal_iteratorINS9_10device_ptrIiEEEENSB_INSC_ItEEEESG_tNS9_4plusIvEENS9_8equal_toIvEEtEE10hipError_tPvRmT2_T3_T4_T5_mT6_T7_P12ihipStream_tbENKUlT_T0_E_clISt17integral_constantIbLb0EES11_EEDaSW_SX_EUlSW_E_NS1_11comp_targetILNS1_3genE10ELNS1_11target_archE1201ELNS1_3gpuE5ELNS1_3repE0EEENS1_30default_config_static_selectorELNS0_4arch9wavefront6targetE1EEEvT1_
; %bb.0:
	.section	.rodata,"a",@progbits
	.p2align	6, 0x0
	.amdhsa_kernel _ZN7rocprim17ROCPRIM_400000_NS6detail17trampoline_kernelINS0_14default_configENS1_27scan_by_key_config_selectorIitEEZZNS1_16scan_by_key_implILNS1_25lookback_scan_determinismE0ELb1ES3_N6thrust23THRUST_200600_302600_NS6detail15normal_iteratorINS9_10device_ptrIiEEEENSB_INSC_ItEEEESG_tNS9_4plusIvEENS9_8equal_toIvEEtEE10hipError_tPvRmT2_T3_T4_T5_mT6_T7_P12ihipStream_tbENKUlT_T0_E_clISt17integral_constantIbLb0EES11_EEDaSW_SX_EUlSW_E_NS1_11comp_targetILNS1_3genE10ELNS1_11target_archE1201ELNS1_3gpuE5ELNS1_3repE0EEENS1_30default_config_static_selectorELNS0_4arch9wavefront6targetE1EEEvT1_
		.amdhsa_group_segment_fixed_size 0
		.amdhsa_private_segment_fixed_size 0
		.amdhsa_kernarg_size 112
		.amdhsa_user_sgpr_count 2
		.amdhsa_user_sgpr_dispatch_ptr 0
		.amdhsa_user_sgpr_queue_ptr 0
		.amdhsa_user_sgpr_kernarg_segment_ptr 1
		.amdhsa_user_sgpr_dispatch_id 0
		.amdhsa_user_sgpr_kernarg_preload_length 0
		.amdhsa_user_sgpr_kernarg_preload_offset 0
		.amdhsa_user_sgpr_private_segment_size 0
		.amdhsa_uses_dynamic_stack 0
		.amdhsa_enable_private_segment 0
		.amdhsa_system_sgpr_workgroup_id_x 1
		.amdhsa_system_sgpr_workgroup_id_y 0
		.amdhsa_system_sgpr_workgroup_id_z 0
		.amdhsa_system_sgpr_workgroup_info 0
		.amdhsa_system_vgpr_workitem_id 0
		.amdhsa_next_free_vgpr 1
		.amdhsa_next_free_sgpr 0
		.amdhsa_accum_offset 4
		.amdhsa_reserve_vcc 0
		.amdhsa_float_round_mode_32 0
		.amdhsa_float_round_mode_16_64 0
		.amdhsa_float_denorm_mode_32 3
		.amdhsa_float_denorm_mode_16_64 3
		.amdhsa_dx10_clamp 1
		.amdhsa_ieee_mode 1
		.amdhsa_fp16_overflow 0
		.amdhsa_tg_split 0
		.amdhsa_exception_fp_ieee_invalid_op 0
		.amdhsa_exception_fp_denorm_src 0
		.amdhsa_exception_fp_ieee_div_zero 0
		.amdhsa_exception_fp_ieee_overflow 0
		.amdhsa_exception_fp_ieee_underflow 0
		.amdhsa_exception_fp_ieee_inexact 0
		.amdhsa_exception_int_div_zero 0
	.end_amdhsa_kernel
	.section	.text._ZN7rocprim17ROCPRIM_400000_NS6detail17trampoline_kernelINS0_14default_configENS1_27scan_by_key_config_selectorIitEEZZNS1_16scan_by_key_implILNS1_25lookback_scan_determinismE0ELb1ES3_N6thrust23THRUST_200600_302600_NS6detail15normal_iteratorINS9_10device_ptrIiEEEENSB_INSC_ItEEEESG_tNS9_4plusIvEENS9_8equal_toIvEEtEE10hipError_tPvRmT2_T3_T4_T5_mT6_T7_P12ihipStream_tbENKUlT_T0_E_clISt17integral_constantIbLb0EES11_EEDaSW_SX_EUlSW_E_NS1_11comp_targetILNS1_3genE10ELNS1_11target_archE1201ELNS1_3gpuE5ELNS1_3repE0EEENS1_30default_config_static_selectorELNS0_4arch9wavefront6targetE1EEEvT1_,"axG",@progbits,_ZN7rocprim17ROCPRIM_400000_NS6detail17trampoline_kernelINS0_14default_configENS1_27scan_by_key_config_selectorIitEEZZNS1_16scan_by_key_implILNS1_25lookback_scan_determinismE0ELb1ES3_N6thrust23THRUST_200600_302600_NS6detail15normal_iteratorINS9_10device_ptrIiEEEENSB_INSC_ItEEEESG_tNS9_4plusIvEENS9_8equal_toIvEEtEE10hipError_tPvRmT2_T3_T4_T5_mT6_T7_P12ihipStream_tbENKUlT_T0_E_clISt17integral_constantIbLb0EES11_EEDaSW_SX_EUlSW_E_NS1_11comp_targetILNS1_3genE10ELNS1_11target_archE1201ELNS1_3gpuE5ELNS1_3repE0EEENS1_30default_config_static_selectorELNS0_4arch9wavefront6targetE1EEEvT1_,comdat
.Lfunc_end1536:
	.size	_ZN7rocprim17ROCPRIM_400000_NS6detail17trampoline_kernelINS0_14default_configENS1_27scan_by_key_config_selectorIitEEZZNS1_16scan_by_key_implILNS1_25lookback_scan_determinismE0ELb1ES3_N6thrust23THRUST_200600_302600_NS6detail15normal_iteratorINS9_10device_ptrIiEEEENSB_INSC_ItEEEESG_tNS9_4plusIvEENS9_8equal_toIvEEtEE10hipError_tPvRmT2_T3_T4_T5_mT6_T7_P12ihipStream_tbENKUlT_T0_E_clISt17integral_constantIbLb0EES11_EEDaSW_SX_EUlSW_E_NS1_11comp_targetILNS1_3genE10ELNS1_11target_archE1201ELNS1_3gpuE5ELNS1_3repE0EEENS1_30default_config_static_selectorELNS0_4arch9wavefront6targetE1EEEvT1_, .Lfunc_end1536-_ZN7rocprim17ROCPRIM_400000_NS6detail17trampoline_kernelINS0_14default_configENS1_27scan_by_key_config_selectorIitEEZZNS1_16scan_by_key_implILNS1_25lookback_scan_determinismE0ELb1ES3_N6thrust23THRUST_200600_302600_NS6detail15normal_iteratorINS9_10device_ptrIiEEEENSB_INSC_ItEEEESG_tNS9_4plusIvEENS9_8equal_toIvEEtEE10hipError_tPvRmT2_T3_T4_T5_mT6_T7_P12ihipStream_tbENKUlT_T0_E_clISt17integral_constantIbLb0EES11_EEDaSW_SX_EUlSW_E_NS1_11comp_targetILNS1_3genE10ELNS1_11target_archE1201ELNS1_3gpuE5ELNS1_3repE0EEENS1_30default_config_static_selectorELNS0_4arch9wavefront6targetE1EEEvT1_
                                        ; -- End function
	.section	.AMDGPU.csdata,"",@progbits
; Kernel info:
; codeLenInByte = 0
; NumSgprs: 6
; NumVgprs: 0
; NumAgprs: 0
; TotalNumVgprs: 0
; ScratchSize: 0
; MemoryBound: 0
; FloatMode: 240
; IeeeMode: 1
; LDSByteSize: 0 bytes/workgroup (compile time only)
; SGPRBlocks: 0
; VGPRBlocks: 0
; NumSGPRsForWavesPerEU: 6
; NumVGPRsForWavesPerEU: 1
; AccumOffset: 4
; Occupancy: 8
; WaveLimiterHint : 0
; COMPUTE_PGM_RSRC2:SCRATCH_EN: 0
; COMPUTE_PGM_RSRC2:USER_SGPR: 2
; COMPUTE_PGM_RSRC2:TRAP_HANDLER: 0
; COMPUTE_PGM_RSRC2:TGID_X_EN: 1
; COMPUTE_PGM_RSRC2:TGID_Y_EN: 0
; COMPUTE_PGM_RSRC2:TGID_Z_EN: 0
; COMPUTE_PGM_RSRC2:TIDIG_COMP_CNT: 0
; COMPUTE_PGM_RSRC3_GFX90A:ACCUM_OFFSET: 0
; COMPUTE_PGM_RSRC3_GFX90A:TG_SPLIT: 0
	.section	.text._ZN7rocprim17ROCPRIM_400000_NS6detail17trampoline_kernelINS0_14default_configENS1_27scan_by_key_config_selectorIitEEZZNS1_16scan_by_key_implILNS1_25lookback_scan_determinismE0ELb1ES3_N6thrust23THRUST_200600_302600_NS6detail15normal_iteratorINS9_10device_ptrIiEEEENSB_INSC_ItEEEESG_tNS9_4plusIvEENS9_8equal_toIvEEtEE10hipError_tPvRmT2_T3_T4_T5_mT6_T7_P12ihipStream_tbENKUlT_T0_E_clISt17integral_constantIbLb0EES11_EEDaSW_SX_EUlSW_E_NS1_11comp_targetILNS1_3genE5ELNS1_11target_archE942ELNS1_3gpuE9ELNS1_3repE0EEENS1_30default_config_static_selectorELNS0_4arch9wavefront6targetE1EEEvT1_,"axG",@progbits,_ZN7rocprim17ROCPRIM_400000_NS6detail17trampoline_kernelINS0_14default_configENS1_27scan_by_key_config_selectorIitEEZZNS1_16scan_by_key_implILNS1_25lookback_scan_determinismE0ELb1ES3_N6thrust23THRUST_200600_302600_NS6detail15normal_iteratorINS9_10device_ptrIiEEEENSB_INSC_ItEEEESG_tNS9_4plusIvEENS9_8equal_toIvEEtEE10hipError_tPvRmT2_T3_T4_T5_mT6_T7_P12ihipStream_tbENKUlT_T0_E_clISt17integral_constantIbLb0EES11_EEDaSW_SX_EUlSW_E_NS1_11comp_targetILNS1_3genE5ELNS1_11target_archE942ELNS1_3gpuE9ELNS1_3repE0EEENS1_30default_config_static_selectorELNS0_4arch9wavefront6targetE1EEEvT1_,comdat
	.protected	_ZN7rocprim17ROCPRIM_400000_NS6detail17trampoline_kernelINS0_14default_configENS1_27scan_by_key_config_selectorIitEEZZNS1_16scan_by_key_implILNS1_25lookback_scan_determinismE0ELb1ES3_N6thrust23THRUST_200600_302600_NS6detail15normal_iteratorINS9_10device_ptrIiEEEENSB_INSC_ItEEEESG_tNS9_4plusIvEENS9_8equal_toIvEEtEE10hipError_tPvRmT2_T3_T4_T5_mT6_T7_P12ihipStream_tbENKUlT_T0_E_clISt17integral_constantIbLb0EES11_EEDaSW_SX_EUlSW_E_NS1_11comp_targetILNS1_3genE5ELNS1_11target_archE942ELNS1_3gpuE9ELNS1_3repE0EEENS1_30default_config_static_selectorELNS0_4arch9wavefront6targetE1EEEvT1_ ; -- Begin function _ZN7rocprim17ROCPRIM_400000_NS6detail17trampoline_kernelINS0_14default_configENS1_27scan_by_key_config_selectorIitEEZZNS1_16scan_by_key_implILNS1_25lookback_scan_determinismE0ELb1ES3_N6thrust23THRUST_200600_302600_NS6detail15normal_iteratorINS9_10device_ptrIiEEEENSB_INSC_ItEEEESG_tNS9_4plusIvEENS9_8equal_toIvEEtEE10hipError_tPvRmT2_T3_T4_T5_mT6_T7_P12ihipStream_tbENKUlT_T0_E_clISt17integral_constantIbLb0EES11_EEDaSW_SX_EUlSW_E_NS1_11comp_targetILNS1_3genE5ELNS1_11target_archE942ELNS1_3gpuE9ELNS1_3repE0EEENS1_30default_config_static_selectorELNS0_4arch9wavefront6targetE1EEEvT1_
	.globl	_ZN7rocprim17ROCPRIM_400000_NS6detail17trampoline_kernelINS0_14default_configENS1_27scan_by_key_config_selectorIitEEZZNS1_16scan_by_key_implILNS1_25lookback_scan_determinismE0ELb1ES3_N6thrust23THRUST_200600_302600_NS6detail15normal_iteratorINS9_10device_ptrIiEEEENSB_INSC_ItEEEESG_tNS9_4plusIvEENS9_8equal_toIvEEtEE10hipError_tPvRmT2_T3_T4_T5_mT6_T7_P12ihipStream_tbENKUlT_T0_E_clISt17integral_constantIbLb0EES11_EEDaSW_SX_EUlSW_E_NS1_11comp_targetILNS1_3genE5ELNS1_11target_archE942ELNS1_3gpuE9ELNS1_3repE0EEENS1_30default_config_static_selectorELNS0_4arch9wavefront6targetE1EEEvT1_
	.p2align	8
	.type	_ZN7rocprim17ROCPRIM_400000_NS6detail17trampoline_kernelINS0_14default_configENS1_27scan_by_key_config_selectorIitEEZZNS1_16scan_by_key_implILNS1_25lookback_scan_determinismE0ELb1ES3_N6thrust23THRUST_200600_302600_NS6detail15normal_iteratorINS9_10device_ptrIiEEEENSB_INSC_ItEEEESG_tNS9_4plusIvEENS9_8equal_toIvEEtEE10hipError_tPvRmT2_T3_T4_T5_mT6_T7_P12ihipStream_tbENKUlT_T0_E_clISt17integral_constantIbLb0EES11_EEDaSW_SX_EUlSW_E_NS1_11comp_targetILNS1_3genE5ELNS1_11target_archE942ELNS1_3gpuE9ELNS1_3repE0EEENS1_30default_config_static_selectorELNS0_4arch9wavefront6targetE1EEEvT1_,@function
_ZN7rocprim17ROCPRIM_400000_NS6detail17trampoline_kernelINS0_14default_configENS1_27scan_by_key_config_selectorIitEEZZNS1_16scan_by_key_implILNS1_25lookback_scan_determinismE0ELb1ES3_N6thrust23THRUST_200600_302600_NS6detail15normal_iteratorINS9_10device_ptrIiEEEENSB_INSC_ItEEEESG_tNS9_4plusIvEENS9_8equal_toIvEEtEE10hipError_tPvRmT2_T3_T4_T5_mT6_T7_P12ihipStream_tbENKUlT_T0_E_clISt17integral_constantIbLb0EES11_EEDaSW_SX_EUlSW_E_NS1_11comp_targetILNS1_3genE5ELNS1_11target_archE942ELNS1_3gpuE9ELNS1_3repE0EEENS1_30default_config_static_selectorELNS0_4arch9wavefront6targetE1EEEvT1_: ; @_ZN7rocprim17ROCPRIM_400000_NS6detail17trampoline_kernelINS0_14default_configENS1_27scan_by_key_config_selectorIitEEZZNS1_16scan_by_key_implILNS1_25lookback_scan_determinismE0ELb1ES3_N6thrust23THRUST_200600_302600_NS6detail15normal_iteratorINS9_10device_ptrIiEEEENSB_INSC_ItEEEESG_tNS9_4plusIvEENS9_8equal_toIvEEtEE10hipError_tPvRmT2_T3_T4_T5_mT6_T7_P12ihipStream_tbENKUlT_T0_E_clISt17integral_constantIbLb0EES11_EEDaSW_SX_EUlSW_E_NS1_11comp_targetILNS1_3genE5ELNS1_11target_archE942ELNS1_3gpuE9ELNS1_3repE0EEENS1_30default_config_static_selectorELNS0_4arch9wavefront6targetE1EEEvT1_
; %bb.0:
	s_load_dwordx8 s[48:55], s[0:1], 0x0
	s_load_dword s80, s[0:1], 0x20
	s_load_dwordx4 s[56:59], s[0:1], 0x28
	s_load_dwordx2 s[68:69], s[0:1], 0x38
	s_load_dword s3, s[0:1], 0x40
	s_load_dwordx4 s[60:63], s[0:1], 0x48
	s_waitcnt lgkmcnt(0)
	s_lshl_b64 s[0:1], s[50:51], 2
	s_add_u32 s6, s48, s0
	s_addc_u32 s7, s49, s1
	s_lshl_b64 s[64:65], s[50:51], 1
	s_add_u32 s8, s52, s64
	s_mul_i32 s0, s69, s3
	s_mul_hi_u32 s1, s68, s3
	s_addc_u32 s9, s53, s65
	s_add_i32 s10, s1, s0
	s_mul_i32 s0, s2, 0x1800
	s_mov_b32 s1, 0
	s_lshl_b64 s[4:5], s[0:1], 2
	s_add_u32 s72, s6, s4
	s_addc_u32 s73, s7, s5
	s_lshl_b64 s[66:67], s[0:1], 1
	s_add_u32 s70, s8, s66
	s_mul_i32 s3, s68, s3
	s_addc_u32 s71, s9, s67
	s_add_u32 s0, s3, s2
	s_addc_u32 s1, s10, 0
	s_add_u32 s4, s60, -1
	s_addc_u32 s5, s61, -1
	v_mov_b64_e32 v[2:3], s[4:5]
	v_cmp_ge_u64_e64 s[0:1], s[0:1], v[2:3]
	s_mov_b64 s[20:21], -1
	s_and_b64 vcc, exec, s[0:1]
	s_mul_i32 s33, s4, 0xffffe800
	s_barrier
	s_cbranch_vccz .LBB1537_126
; %bb.1:
	v_mov_b64_e32 v[2:3], s[72:73]
	flat_load_dword v2, v[2:3]
	s_add_i32 s3, s33, s58
	v_cmp_gt_u32_e32 vcc, s3, v0
	s_waitcnt vmcnt(0) lgkmcnt(0)
	v_mov_b32_e32 v3, v2
	s_and_saveexec_b64 s[4:5], vcc
	s_cbranch_execz .LBB1537_3
; %bb.2:
	v_lshlrev_b32_e32 v4, 2, v0
	v_mov_b32_e32 v5, 0
	v_lshl_add_u64 v[4:5], s[72:73], 0, v[4:5]
	flat_load_dword v3, v[4:5]
.LBB1537_3:
	s_or_b64 exec, exec, s[4:5]
	v_or_b32_e32 v1, 0x100, v0
	v_cmp_gt_u32_e64 s[50:51], s3, v1
	v_mov_b32_e32 v19, v2
	s_and_saveexec_b64 s[4:5], s[50:51]
	s_cbranch_execz .LBB1537_5
; %bb.4:
	v_lshlrev_b32_e32 v4, 2, v0
	v_mov_b32_e32 v5, 0
	v_lshl_add_u64 v[4:5], s[72:73], 0, v[4:5]
	flat_load_dword v19, v[4:5] offset:1024
.LBB1537_5:
	s_or_b64 exec, exec, s[4:5]
	v_or_b32_e32 v1, 0x200, v0
	v_cmp_gt_u32_e64 s[4:5], s3, v1
	v_mov_b32_e32 v20, v2
	s_and_saveexec_b64 s[6:7], s[4:5]
	s_cbranch_execz .LBB1537_7
; %bb.6:
	v_lshlrev_b32_e32 v4, 2, v0
	v_mov_b32_e32 v5, 0
	v_lshl_add_u64 v[4:5], s[72:73], 0, v[4:5]
	flat_load_dword v20, v[4:5] offset:2048
.LBB1537_7:
	;; [unrolled: 12-line block ×3, first 2 shown]
	s_or_b64 exec, exec, s[8:9]
	v_or_b32_e32 v1, 0x400, v0
	v_cmp_gt_u32_e64 s[8:9], s3, v1
	v_mov_b32_e32 v22, v2
	s_and_saveexec_b64 s[10:11], s[8:9]
	s_cbranch_execz .LBB1537_11
; %bb.10:
	v_lshlrev_b32_e32 v4, 2, v1
	v_mov_b32_e32 v5, 0
	v_lshl_add_u64 v[4:5], s[72:73], 0, v[4:5]
	flat_load_dword v22, v[4:5]
.LBB1537_11:
	s_or_b64 exec, exec, s[10:11]
	v_or_b32_e32 v1, 0x500, v0
	v_cmp_gt_u32_e64 s[10:11], s3, v1
	v_mov_b32_e32 v23, v2
	s_and_saveexec_b64 s[12:13], s[10:11]
	s_cbranch_execz .LBB1537_13
; %bb.12:
	v_lshlrev_b32_e32 v4, 2, v1
	v_mov_b32_e32 v5, 0
	v_lshl_add_u64 v[4:5], s[72:73], 0, v[4:5]
	flat_load_dword v23, v[4:5]
.LBB1537_13:
	;; [unrolled: 12-line block ×19, first 2 shown]
	s_or_b64 exec, exec, s[48:49]
	v_or_b32_e32 v18, 0x1700, v0
	v_cmp_gt_u32_e64 s[48:49], s3, v18
	s_and_saveexec_b64 s[52:53], s[48:49]
	s_cbranch_execz .LBB1537_49
; %bb.48:
	v_lshlrev_b32_e32 v42, 2, v18
	v_mov_b32_e32 v43, 0
	v_lshl_add_u64 v[42:43], s[72:73], 0, v[42:43]
	flat_load_dword v2, v[42:43]
.LBB1537_49:
	s_or_b64 exec, exec, s[52:53]
	v_lshlrev_b32_e32 v46, 2, v0
	s_waitcnt vmcnt(0) lgkmcnt(0)
	ds_write2st64_b32 v46, v3, v19 offset1:4
	ds_write2st64_b32 v46, v20, v21 offset0:8 offset1:12
	ds_write2st64_b32 v46, v22, v23 offset0:16 offset1:20
	;; [unrolled: 1-line block ×11, first 2 shown]
	v_mov_b64_e32 v[2:3], s[72:73]
	s_waitcnt lgkmcnt(0)
	s_barrier
	flat_load_dword v52, v[2:3]
	s_movk_i32 s52, 0x5c
	v_mad_u32_u24 v2, v0, s52, v46
	s_movk_i32 s52, 0xffa4
	v_mad_i32_i24 v19, v0, s52, v2
	s_movk_i32 s52, 0xff
	v_cmp_ne_u32_e64 s[52:53], s52, v0
	ds_read_b128 v[42:45], v2
	ds_read_b128 v[38:41], v2 offset:16
	ds_read_b128 v[34:37], v2 offset:32
	ds_read_b128 v[30:33], v2 offset:48
	ds_read_b128 v[26:29], v2 offset:64
	ds_read_b128 v[22:25], v2 offset:80
	s_waitcnt lgkmcnt(0)
	ds_write_b32 v19, v42 offset:25600
	s_waitcnt lgkmcnt(0)
	s_barrier
	s_and_saveexec_b64 s[60:61], s[52:53]
	s_cbranch_execz .LBB1537_51
; %bb.50:
	s_waitcnt vmcnt(0)
	ds_read_b32 v52, v46 offset:25604
.LBB1537_51:
	s_or_b64 exec, exec, s[60:61]
	v_mov_b32_e32 v3, 0
	s_waitcnt lgkmcnt(0)
	s_barrier
	s_waitcnt lgkmcnt(0)
                                        ; implicit-def: $vgpr2
	s_and_saveexec_b64 s[52:53], vcc
	s_cbranch_execz .LBB1537_201
; %bb.52:
	v_lshlrev_b32_e32 v2, 1, v0
	v_lshl_add_u64 v[2:3], s[70:71], 0, v[2:3]
	flat_load_ushort v2, v[2:3]
	s_or_b64 exec, exec, s[52:53]
                                        ; implicit-def: $vgpr3
	s_and_saveexec_b64 s[52:53], s[50:51]
	s_cbranch_execnz .LBB1537_202
.LBB1537_53:
	s_or_b64 exec, exec, s[52:53]
                                        ; implicit-def: $vgpr20
	s_and_saveexec_b64 s[50:51], s[4:5]
	s_cbranch_execz .LBB1537_203
.LBB1537_54:
	v_lshlrev_b32_e32 v20, 1, v0
	v_mov_b32_e32 v21, 0
	v_lshl_add_u64 v[20:21], s[70:71], 0, v[20:21]
	flat_load_ushort v20, v[20:21] offset:1024
	s_or_b64 exec, exec, s[50:51]
                                        ; implicit-def: $vgpr21
	s_and_saveexec_b64 s[4:5], s[6:7]
	s_cbranch_execnz .LBB1537_204
.LBB1537_55:
	s_or_b64 exec, exec, s[4:5]
                                        ; implicit-def: $vgpr46
	s_and_saveexec_b64 s[4:5], s[8:9]
	s_cbranch_execz .LBB1537_205
.LBB1537_56:
	v_lshlrev_b32_e32 v46, 1, v0
	v_mov_b32_e32 v47, 0
	v_lshl_add_u64 v[46:47], s[70:71], 0, v[46:47]
	flat_load_ushort v46, v[46:47] offset:2048
	s_or_b64 exec, exec, s[4:5]
                                        ; implicit-def: $vgpr47
	s_and_saveexec_b64 s[4:5], s[10:11]
	s_cbranch_execnz .LBB1537_206
.LBB1537_57:
	s_or_b64 exec, exec, s[4:5]
                                        ; implicit-def: $vgpr48
	s_and_saveexec_b64 s[4:5], s[12:13]
	s_cbranch_execz .LBB1537_207
.LBB1537_58:
	v_lshlrev_b32_e32 v48, 1, v0
	v_mov_b32_e32 v49, 0
	v_lshl_add_u64 v[48:49], s[70:71], 0, v[48:49]
	flat_load_ushort v48, v[48:49] offset:3072
	s_or_b64 exec, exec, s[4:5]
                                        ; implicit-def: $vgpr49
	s_and_saveexec_b64 s[4:5], s[14:15]
	s_cbranch_execnz .LBB1537_208
.LBB1537_59:
	s_or_b64 exec, exec, s[4:5]
                                        ; implicit-def: $vgpr50
	s_and_saveexec_b64 s[4:5], s[16:17]
	s_cbranch_execz .LBB1537_209
.LBB1537_60:
	v_lshlrev_b32_e32 v50, 1, v1
	v_mov_b32_e32 v51, 0
	v_lshl_add_u64 v[50:51], s[70:71], 0, v[50:51]
	flat_load_ushort v50, v[50:51]
	s_or_b64 exec, exec, s[4:5]
                                        ; implicit-def: $vgpr1
	s_and_saveexec_b64 s[4:5], s[18:19]
	s_cbranch_execnz .LBB1537_210
.LBB1537_61:
	s_or_b64 exec, exec, s[4:5]
                                        ; implicit-def: $vgpr4
	s_and_saveexec_b64 s[4:5], s[20:21]
	s_cbranch_execz .LBB1537_211
.LBB1537_62:
	v_lshlrev_b32_e32 v4, 1, v5
	v_mov_b32_e32 v5, 0
	v_lshl_add_u64 v[4:5], s[70:71], 0, v[4:5]
	flat_load_ushort v4, v[4:5]
	s_or_b64 exec, exec, s[4:5]
                                        ; implicit-def: $vgpr5
	s_and_saveexec_b64 s[4:5], s[22:23]
	s_cbranch_execnz .LBB1537_212
.LBB1537_63:
	s_or_b64 exec, exec, s[4:5]
                                        ; implicit-def: $vgpr6
	s_and_saveexec_b64 s[4:5], s[24:25]
	s_cbranch_execz .LBB1537_213
.LBB1537_64:
	v_lshlrev_b32_e32 v6, 1, v7
	v_mov_b32_e32 v7, 0
	v_lshl_add_u64 v[6:7], s[70:71], 0, v[6:7]
	flat_load_ushort v6, v[6:7]
	s_or_b64 exec, exec, s[4:5]
                                        ; implicit-def: $vgpr7
	s_and_saveexec_b64 s[4:5], s[26:27]
	s_cbranch_execnz .LBB1537_214
.LBB1537_65:
	s_or_b64 exec, exec, s[4:5]
                                        ; implicit-def: $vgpr8
	s_and_saveexec_b64 s[4:5], s[28:29]
	s_cbranch_execz .LBB1537_215
.LBB1537_66:
	v_lshlrev_b32_e32 v8, 1, v9
	v_mov_b32_e32 v9, 0
	v_lshl_add_u64 v[8:9], s[70:71], 0, v[8:9]
	flat_load_ushort v8, v[8:9]
	s_or_b64 exec, exec, s[4:5]
                                        ; implicit-def: $vgpr9
	s_and_saveexec_b64 s[4:5], s[30:31]
	s_cbranch_execnz .LBB1537_216
.LBB1537_67:
	s_or_b64 exec, exec, s[4:5]
                                        ; implicit-def: $vgpr10
	s_and_saveexec_b64 s[4:5], s[34:35]
	s_cbranch_execz .LBB1537_217
.LBB1537_68:
	v_lshlrev_b32_e32 v10, 1, v11
	v_mov_b32_e32 v11, 0
	v_lshl_add_u64 v[10:11], s[70:71], 0, v[10:11]
	flat_load_ushort v10, v[10:11]
	s_or_b64 exec, exec, s[4:5]
                                        ; implicit-def: $vgpr11
	s_and_saveexec_b64 s[4:5], s[36:37]
	s_cbranch_execnz .LBB1537_218
.LBB1537_69:
	s_or_b64 exec, exec, s[4:5]
                                        ; implicit-def: $vgpr12
	s_and_saveexec_b64 s[4:5], s[38:39]
	s_cbranch_execz .LBB1537_219
.LBB1537_70:
	v_lshlrev_b32_e32 v12, 1, v13
	v_mov_b32_e32 v13, 0
	v_lshl_add_u64 v[12:13], s[70:71], 0, v[12:13]
	flat_load_ushort v12, v[12:13]
	s_or_b64 exec, exec, s[4:5]
                                        ; implicit-def: $vgpr13
	s_and_saveexec_b64 s[4:5], s[40:41]
	s_cbranch_execnz .LBB1537_220
.LBB1537_71:
	s_or_b64 exec, exec, s[4:5]
                                        ; implicit-def: $vgpr14
	s_and_saveexec_b64 s[4:5], s[42:43]
	s_cbranch_execz .LBB1537_221
.LBB1537_72:
	v_lshlrev_b32_e32 v14, 1, v15
	v_mov_b32_e32 v15, 0
	v_lshl_add_u64 v[14:15], s[70:71], 0, v[14:15]
	flat_load_ushort v14, v[14:15]
	s_or_b64 exec, exec, s[4:5]
                                        ; implicit-def: $vgpr15
	s_and_saveexec_b64 s[4:5], s[44:45]
	s_cbranch_execnz .LBB1537_222
.LBB1537_73:
	s_or_b64 exec, exec, s[4:5]
                                        ; implicit-def: $vgpr16
	s_and_saveexec_b64 s[4:5], s[46:47]
	s_cbranch_execz .LBB1537_75
.LBB1537_74:
	v_lshlrev_b32_e32 v16, 1, v17
	v_mov_b32_e32 v17, 0
	v_lshl_add_u64 v[16:17], s[70:71], 0, v[16:17]
	flat_load_ushort v16, v[16:17]
.LBB1537_75:
	s_or_b64 exec, exec, s[4:5]
	v_mul_u32_u24_e32 v54, 24, v0
                                        ; implicit-def: $vgpr17
	s_and_saveexec_b64 s[4:5], s[48:49]
	s_cbranch_execz .LBB1537_77
; %bb.76:
	v_lshlrev_b32_e32 v56, 1, v18
	v_mov_b32_e32 v57, 0
	v_lshl_add_u64 v[56:57], s[70:71], 0, v[56:57]
	flat_load_ushort v17, v[56:57]
.LBB1537_77:
	s_or_b64 exec, exec, s[4:5]
	v_lshlrev_b32_e32 v18, 1, v0
	s_mov_b32 s4, 0
	v_sub_u32_e32 v55, v19, v18
	s_mov_b32 s5, s4
	s_waitcnt vmcnt(0) lgkmcnt(0)
	ds_write_b16 v55, v2
	ds_write_b16 v55, v3 offset:512
	ds_write_b16 v55, v20 offset:1024
	;; [unrolled: 1-line block ×23, first 2 shown]
	s_mov_b32 s6, s4
	s_mov_b32 s7, s4
	;; [unrolled: 1-line block ×6, first 2 shown]
	v_mov_b64_e32 v[2:3], s[4:5]
	s_mov_b32 s14, s4
	s_mov_b32 s15, s4
	v_mov_b64_e32 v[8:9], s[10:11]
	s_mov_b32 s12, s4
	s_mov_b32 s13, s4
	v_mov_b64_e32 v[20:21], s[14:15]
	v_mov_b64_e32 v[4:5], s[6:7]
	;; [unrolled: 1-line block ×4, first 2 shown]
	v_cmp_gt_u32_e32 vcc, s3, v54
	s_mov_b64 s[20:21], 0
	v_mov_b64_e32 v[18:19], s[12:13]
	v_mov_b32_e32 v1, 0
	s_mov_b64 s[10:11], 0
	v_mov_b64_e32 v[14:15], v[6:7]
	v_mov_b64_e32 v[12:13], v[4:5]
	;; [unrolled: 1-line block ×3, first 2 shown]
	v_mov_b32_e32 v50, 0
	v_mov_b32_e32 v51, 0
	s_waitcnt lgkmcnt(0)
	s_barrier
	s_waitcnt lgkmcnt(0)
                                        ; implicit-def: $sgpr8_sgpr9
                                        ; implicit-def: $vgpr53
	s_and_saveexec_b64 s[6:7], vcc
	s_cbranch_execz .LBB1537_125
; %bb.78:
	v_mad_u32_u24 v1, v0, 46, v55
	ds_read_u16 v1, v1
	v_mov_b32_e32 v3, s80
	v_cmp_eq_u32_e32 vcc, v42, v43
	s_mov_b32 s8, 0
	v_or_b32_e32 v2, 1, v54
	s_waitcnt lgkmcnt(0)
	v_cndmask_b32_e32 v1, v3, v1, vcc
	v_cmp_ne_u32_e32 vcc, v42, v43
	v_and_b32_e32 v1, 0xffff, v1
	s_mov_b32 s9, s8
	v_cndmask_b32_e64 v3, 0, 1, vcc
	v_lshl_or_b32 v1, v3, 16, v1
	v_cmp_gt_u32_e32 vcc, s3, v2
	s_mov_b32 s10, s8
	s_mov_b32 s11, s8
	;; [unrolled: 1-line block ×6, first 2 shown]
	v_mov_b64_e32 v[2:3], s[8:9]
	s_mov_b32 s18, s8
	s_mov_b32 s19, s8
	v_mov_b64_e32 v[8:9], s[14:15]
	s_mov_b32 s16, s8
	s_mov_b32 s17, s8
	v_mov_b64_e32 v[20:21], s[18:19]
	v_mov_b64_e32 v[4:5], s[10:11]
	;; [unrolled: 1-line block ×4, first 2 shown]
	s_mov_b64 s[24:25], 0
	v_mov_b64_e32 v[18:19], s[16:17]
	v_mov_b32_e32 v50, 0
	v_mov_b64_e32 v[14:15], v[6:7]
	v_mov_b64_e32 v[12:13], v[4:5]
	;; [unrolled: 1-line block ×3, first 2 shown]
	v_mov_b32_e32 v51, 0
                                        ; implicit-def: $sgpr26_sgpr27
                                        ; implicit-def: $vgpr53
	s_and_saveexec_b64 s[22:23], vcc
	s_cbranch_execz .LBB1537_124
; %bb.79:
	v_mul_u32_u24_e32 v2, 46, v0
	v_add_u32_e32 v42, v55, v2
	ds_read_b128 v[46:49], v42 offset:2
	v_mov_b32_e32 v3, s80
	v_cmp_eq_u32_e32 vcc, v43, v44
	v_or_b32_e32 v2, 2, v54
	v_mov_b64_e32 v[20:21], s[18:19]
	s_waitcnt lgkmcnt(0)
	v_cndmask_b32_e32 v3, v3, v46, vcc
	v_cmp_ne_u32_e32 vcc, v43, v44
	v_and_b32_e32 v3, 0xffff, v3
	v_mov_b64_e32 v[18:19], s[16:17]
	v_cndmask_b32_e64 v4, 0, 1, vcc
	v_lshl_or_b32 v50, v4, 16, v3
	v_cmp_gt_u32_e32 vcc, s3, v2
	v_mov_b64_e32 v[2:3], s[8:9]
	v_mov_b64_e32 v[8:9], s[14:15]
	;; [unrolled: 1-line block ×5, first 2 shown]
	v_mov_b32_e32 v51, 0
	v_mov_b64_e32 v[14:15], v[6:7]
	v_mov_b64_e32 v[12:13], v[4:5]
	;; [unrolled: 1-line block ×3, first 2 shown]
                                        ; implicit-def: $sgpr8_sgpr9
                                        ; implicit-def: $vgpr53
	s_and_saveexec_b64 s[16:17], vcc
	s_cbranch_execz .LBB1537_123
; %bb.80:
	v_lshrrev_b32_e32 v2, 16, v46
	v_mov_b32_e32 v4, s80
	v_cmp_eq_u32_e32 vcc, v44, v45
	s_mov_b32 s8, 0
	v_or_b32_e32 v3, 3, v54
	v_cndmask_b32_e32 v2, v4, v2, vcc
	v_cmp_ne_u32_e32 vcc, v44, v45
	v_and_b32_e32 v2, 0xffff, v2
	s_mov_b32 s9, s8
	v_cndmask_b32_e64 v4, 0, 1, vcc
	v_lshl_or_b32 v21, v4, 16, v2
	v_cmp_gt_u32_e32 vcc, s3, v3
	s_mov_b32 s10, s8
	s_mov_b32 s11, s8
	;; [unrolled: 1-line block ×6, first 2 shown]
	v_mov_b64_e32 v[2:3], s[8:9]
	v_mov_b64_e32 v[8:9], s[14:15]
	v_mov_b32_e32 v18, 0
	v_mov_b64_e32 v[4:5], s[10:11]
	v_mov_b64_e32 v[6:7], s[12:13]
	;; [unrolled: 1-line block ×3, first 2 shown]
	v_mov_b32_e32 v19, v18
	v_mov_b32_e32 v20, v18
	v_mov_b64_e32 v[14:15], v[6:7]
	v_mov_b64_e32 v[12:13], v[4:5]
	;; [unrolled: 1-line block ×3, first 2 shown]
	v_mov_b32_e32 v51, v18
                                        ; implicit-def: $sgpr28_sgpr29
                                        ; implicit-def: $vgpr53
	s_and_saveexec_b64 s[18:19], vcc
	s_cbranch_execz .LBB1537_122
; %bb.81:
	v_mov_b32_e32 v3, s80
	v_cmp_eq_u32_e32 vcc, v45, v38
	v_or_b32_e32 v2, 4, v54
	v_mov_b32_e32 v18, 0
	v_cndmask_b32_e32 v3, v3, v47, vcc
	v_cmp_ne_u32_e32 vcc, v45, v38
	v_and_b32_e32 v3, 0xffff, v3
	v_mov_b32_e32 v19, v18
	v_cndmask_b32_e64 v4, 0, 1, vcc
	v_lshl_or_b32 v20, v4, 16, v3
	v_cmp_gt_u32_e32 vcc, s3, v2
	v_mov_b64_e32 v[2:3], s[8:9]
	v_mov_b64_e32 v[8:9], s[14:15]
	;; [unrolled: 1-line block ×5, first 2 shown]
	s_mov_b64 s[26:27], 0
	v_mov_b64_e32 v[14:15], v[6:7]
	v_mov_b64_e32 v[12:13], v[4:5]
	;; [unrolled: 1-line block ×3, first 2 shown]
	v_mov_b32_e32 v51, v18
                                        ; implicit-def: $sgpr8_sgpr9
                                        ; implicit-def: $vgpr53
	s_and_saveexec_b64 s[24:25], vcc
	s_cbranch_execz .LBB1537_121
; %bb.82:
	v_lshrrev_b32_e32 v2, 16, v47
	v_mov_b32_e32 v4, s80
	v_cmp_eq_u32_e32 vcc, v38, v39
	s_mov_b32 s8, 0
	v_or_b32_e32 v3, 5, v54
	v_cndmask_b32_e32 v2, v4, v2, vcc
	v_cmp_ne_u32_e32 vcc, v38, v39
	v_and_b32_e32 v2, 0xffff, v2
	s_mov_b32 s9, s8
	v_cndmask_b32_e64 v4, 0, 1, vcc
	v_lshl_or_b32 v19, v4, 16, v2
	v_cmp_gt_u32_e32 vcc, s3, v3
	s_mov_b32 s10, s8
	s_mov_b32 s11, s8
	;; [unrolled: 1-line block ×6, first 2 shown]
	v_mov_b64_e32 v[2:3], s[8:9]
	v_mov_b64_e32 v[8:9], s[14:15]
	;; [unrolled: 1-line block ×5, first 2 shown]
	v_mov_b32_e32 v18, s8
	s_mov_b64 s[28:29], 0
	v_mov_b32_e32 v51, 0
	v_mov_b64_e32 v[14:15], v[6:7]
	v_mov_b64_e32 v[12:13], v[4:5]
	;; [unrolled: 1-line block ×3, first 2 shown]
                                        ; implicit-def: $sgpr34_sgpr35
                                        ; implicit-def: $vgpr53
	s_and_saveexec_b64 s[26:27], vcc
	s_cbranch_execz .LBB1537_120
; %bb.83:
	v_mov_b32_e32 v3, s80
	v_cmp_eq_u32_e32 vcc, v39, v40
	v_or_b32_e32 v2, 6, v54
	s_mov_b64 s[30:31], 0
	v_cndmask_b32_e32 v3, v3, v48, vcc
	v_cmp_ne_u32_e32 vcc, v39, v40
	v_and_b32_e32 v3, 0xffff, v3
	v_mov_b32_e32 v51, 0
	v_cndmask_b32_e64 v4, 0, 1, vcc
	v_lshl_or_b32 v18, v4, 16, v3
	v_cmp_gt_u32_e32 vcc, s3, v2
	v_mov_b64_e32 v[2:3], s[8:9]
	v_mov_b64_e32 v[8:9], s[14:15]
	;; [unrolled: 1-line block ×8, first 2 shown]
                                        ; implicit-def: $sgpr8_sgpr9
                                        ; implicit-def: $vgpr53
	s_and_saveexec_b64 s[28:29], vcc
	s_cbranch_execz .LBB1537_119
; %bb.84:
	v_lshrrev_b32_e32 v2, 16, v48
	v_mov_b32_e32 v4, s80
	v_cmp_eq_u32_e32 vcc, v40, v41
	s_mov_b32 s8, 0
	v_or_b32_e32 v3, 7, v54
	v_cndmask_b32_e32 v2, v4, v2, vcc
	v_cmp_ne_u32_e32 vcc, v40, v41
	v_and_b32_e32 v2, 0xffff, v2
	s_mov_b32 s9, s8
	v_cndmask_b32_e64 v4, 0, 1, vcc
	v_lshl_or_b32 v51, v4, 16, v2
	v_cmp_gt_u32_e32 vcc, s3, v3
	s_mov_b32 s10, s8
	s_mov_b32 s11, s8
	;; [unrolled: 1-line block ×6, first 2 shown]
	v_mov_b64_e32 v[2:3], s[8:9]
	v_mov_b64_e32 v[8:9], s[14:15]
	;; [unrolled: 1-line block ×5, first 2 shown]
	s_mov_b64 s[34:35], 0
	v_mov_b64_e32 v[14:15], v[6:7]
	v_mov_b64_e32 v[12:13], v[4:5]
	;; [unrolled: 1-line block ×3, first 2 shown]
                                        ; implicit-def: $sgpr38_sgpr39
                                        ; implicit-def: $vgpr53
	s_and_saveexec_b64 s[30:31], vcc
	s_cbranch_execz .LBB1537_118
; %bb.85:
	v_mov_b32_e32 v3, s80
	v_cmp_eq_u32_e32 vcc, v41, v34
	v_add_u32_e32 v2, 8, v54
	v_mov_b64_e32 v[16:17], s[14:15]
	v_cndmask_b32_e32 v3, v3, v49, vcc
	v_cmp_ne_u32_e32 vcc, v41, v34
	v_and_b32_e32 v3, 0xffff, v3
	s_mov_b64 s[36:37], 0
	v_cndmask_b32_e64 v4, 0, 1, vcc
	v_cmp_gt_u32_e32 vcc, s3, v2
	v_mov_b32_e32 v2, 0
	v_lshl_or_b32 v9, v4, 16, v3
	v_mov_b32_e32 v3, v2
	v_mov_b32_e32 v4, v2
	;; [unrolled: 1-line block ×6, first 2 shown]
	v_mov_b64_e32 v[14:15], s[12:13]
	v_mov_b64_e32 v[12:13], s[10:11]
	;; [unrolled: 1-line block ×3, first 2 shown]
                                        ; implicit-def: $sgpr8_sgpr9
                                        ; implicit-def: $vgpr53
	s_and_saveexec_b64 s[34:35], vcc
	s_cbranch_execz .LBB1537_117
; %bb.86:
	v_lshrrev_b32_e32 v3, 16, v49
	v_mov_b32_e32 v5, s80
	v_cmp_eq_u32_e32 vcc, v34, v35
	s_mov_b32 s8, 0
	s_mov_b32 s14, s8
	v_cndmask_b32_e32 v3, v5, v3, vcc
	v_cmp_ne_u32_e32 vcc, v34, v35
	s_mov_b32 s15, s8
	v_add_u32_e32 v4, 9, v54
	v_and_b32_e32 v3, 0xffff, v3
	v_cndmask_b32_e64 v5, 0, 1, vcc
	s_mov_b32 s9, s8
	s_mov_b32 s10, s8
	;; [unrolled: 1-line block ×5, first 2 shown]
	v_mov_b64_e32 v[16:17], s[14:15]
	v_lshl_or_b32 v8, v5, 16, v3
	v_cmp_gt_u32_e32 vcc, s3, v4
	v_mov_b32_e32 v3, v2
	v_mov_b32_e32 v4, v2
	;; [unrolled: 1-line block ×5, first 2 shown]
	s_mov_b64 s[38:39], 0
	v_mov_b64_e32 v[14:15], s[12:13]
	v_mov_b64_e32 v[12:13], s[10:11]
	v_mov_b64_e32 v[10:11], s[8:9]
                                        ; implicit-def: $sgpr42_sgpr43
                                        ; implicit-def: $vgpr53
	s_and_saveexec_b64 s[36:37], vcc
	s_cbranch_execz .LBB1537_116
; %bb.87:
	ds_read_b128 v[38:41], v42 offset:18
	v_mov_b32_e32 v3, s80
	v_cmp_eq_u32_e32 vcc, v35, v36
	v_add_u32_e32 v2, 10, v54
	v_mov_b64_e32 v[16:17], s[14:15]
	s_waitcnt lgkmcnt(0)
	v_cndmask_b32_e32 v3, v3, v38, vcc
	v_cmp_ne_u32_e32 vcc, v35, v36
	v_and_b32_e32 v3, 0xffff, v3
	s_mov_b64 s[40:41], 0
	v_cndmask_b32_e64 v4, 0, 1, vcc
	v_cmp_gt_u32_e32 vcc, s3, v2
	v_mov_b32_e32 v2, 0
	v_lshl_or_b32 v7, v4, 16, v3
	v_mov_b32_e32 v3, v2
	v_mov_b32_e32 v4, v2
	;; [unrolled: 1-line block ×4, first 2 shown]
	v_mov_b64_e32 v[14:15], s[12:13]
	v_mov_b64_e32 v[12:13], s[10:11]
	;; [unrolled: 1-line block ×3, first 2 shown]
                                        ; implicit-def: $sgpr8_sgpr9
                                        ; implicit-def: $vgpr53
	s_and_saveexec_b64 s[38:39], vcc
	s_cbranch_execz .LBB1537_115
; %bb.88:
	v_lshrrev_b32_e32 v3, 16, v38
	v_mov_b32_e32 v5, s80
	v_cmp_eq_u32_e32 vcc, v36, v37
	s_mov_b32 s8, 0
	s_mov_b32 s14, s8
	v_cndmask_b32_e32 v3, v5, v3, vcc
	v_cmp_ne_u32_e32 vcc, v36, v37
	s_mov_b32 s15, s8
	v_add_u32_e32 v4, 11, v54
	v_and_b32_e32 v3, 0xffff, v3
	v_cndmask_b32_e64 v5, 0, 1, vcc
	s_mov_b32 s9, s8
	s_mov_b32 s10, s8
	;; [unrolled: 1-line block ×5, first 2 shown]
	v_mov_b64_e32 v[16:17], s[14:15]
	v_lshl_or_b32 v6, v5, 16, v3
	v_cmp_gt_u32_e32 vcc, s3, v4
	v_mov_b32_e32 v3, v2
	v_mov_b32_e32 v4, v2
	;; [unrolled: 1-line block ×3, first 2 shown]
	s_mov_b64 s[42:43], 0
	v_mov_b64_e32 v[14:15], s[12:13]
	v_mov_b64_e32 v[12:13], s[10:11]
	;; [unrolled: 1-line block ×3, first 2 shown]
                                        ; implicit-def: $sgpr46_sgpr47
                                        ; implicit-def: $vgpr53
	s_and_saveexec_b64 s[40:41], vcc
	s_cbranch_execz .LBB1537_114
; %bb.89:
	v_mov_b32_e32 v3, s80
	v_cmp_eq_u32_e32 vcc, v37, v30
	v_add_u32_e32 v2, 12, v54
	v_mov_b64_e32 v[16:17], s[14:15]
	v_cndmask_b32_e32 v3, v3, v39, vcc
	v_cmp_ne_u32_e32 vcc, v37, v30
	v_and_b32_e32 v3, 0xffff, v3
	s_mov_b64 s[44:45], 0
	v_cndmask_b32_e64 v4, 0, 1, vcc
	v_cmp_gt_u32_e32 vcc, s3, v2
	v_mov_b32_e32 v2, 0
	v_lshl_or_b32 v5, v4, 16, v3
	v_mov_b32_e32 v3, v2
	v_mov_b32_e32 v4, v2
	v_mov_b64_e32 v[14:15], s[12:13]
	v_mov_b64_e32 v[12:13], s[10:11]
	;; [unrolled: 1-line block ×3, first 2 shown]
                                        ; implicit-def: $sgpr8_sgpr9
                                        ; implicit-def: $vgpr53
	s_and_saveexec_b64 s[42:43], vcc
	s_cbranch_execz .LBB1537_113
; %bb.90:
	v_lshrrev_b32_e32 v3, 16, v39
	v_mov_b32_e32 v4, s80
	v_cmp_eq_u32_e32 vcc, v30, v31
	s_mov_b32 s8, 0
	v_add_u32_e32 v10, 13, v54
	v_cndmask_b32_e32 v3, v4, v3, vcc
	v_cmp_ne_u32_e32 vcc, v30, v31
	s_mov_b32 s14, s8
	s_mov_b32 s15, s8
	v_and_b32_e32 v3, 0xffff, v3
	v_cndmask_b32_e64 v4, 0, 1, vcc
	v_cmp_gt_u32_e32 vcc, s3, v10
	s_mov_b32 s9, s8
	s_mov_b32 s10, s8
	;; [unrolled: 1-line block ×5, first 2 shown]
	v_mov_b64_e32 v[16:17], s[14:15]
	v_lshl_or_b32 v4, v4, 16, v3
	v_mov_b32_e32 v3, v2
	s_mov_b64 s[46:47], 0
	v_mov_b64_e32 v[14:15], s[12:13]
	v_mov_b64_e32 v[12:13], s[10:11]
	;; [unrolled: 1-line block ×3, first 2 shown]
                                        ; implicit-def: $sgpr48_sgpr49
                                        ; implicit-def: $vgpr53
	s_and_saveexec_b64 s[44:45], vcc
	s_cbranch_execz .LBB1537_112
; %bb.91:
	v_mov_b32_e32 v3, s80
	v_cmp_eq_u32_e32 vcc, v31, v32
	v_add_u32_e32 v2, 14, v54
                                        ; implicit-def: $vgpr53
	s_nop 0
	v_cndmask_b32_e32 v3, v3, v40, vcc
	v_cmp_ne_u32_e32 vcc, v31, v32
	v_and_b32_e32 v3, 0xffff, v3
	s_nop 0
	v_cndmask_b32_e64 v10, 0, 1, vcc
	v_lshl_or_b32 v3, v10, 16, v3
	v_mov_b64_e32 v[16:17], s[14:15]
	v_cmp_gt_u32_e32 vcc, s3, v2
	v_mov_b32_e32 v2, s8
	v_mov_b64_e32 v[14:15], s[12:13]
	v_mov_b64_e32 v[12:13], s[10:11]
	;; [unrolled: 1-line block ×3, first 2 shown]
                                        ; implicit-def: $sgpr10_sgpr11
	s_and_saveexec_b64 s[8:9], vcc
	s_cbranch_execz .LBB1537_111
; %bb.92:
	v_lshrrev_b32_e32 v2, 16, v40
	v_mov_b32_e32 v11, s80
	v_cmp_eq_u32_e32 vcc, v32, v33
	s_mov_b32 s84, 0
	v_add_u32_e32 v10, 15, v54
	v_cndmask_b32_e32 v2, v11, v2, vcc
	v_cmp_ne_u32_e32 vcc, v32, v33
	v_and_b32_e32 v2, 0xffff, v2
	s_mov_b32 s85, s84
	v_cndmask_b32_e64 v11, 0, 1, vcc
	v_lshl_or_b32 v2, v11, 16, v2
	v_cmp_gt_u32_e32 vcc, s3, v10
	s_mov_b32 s86, s84
	s_mov_b32 s87, s84
	;; [unrolled: 1-line block ×6, first 2 shown]
	v_mov_b64_e32 v[10:11], s[84:85]
	s_mov_b64 s[12:13], 0
	v_mov_b64_e32 v[12:13], s[86:87]
	v_mov_b64_e32 v[14:15], s[88:89]
	;; [unrolled: 1-line block ×3, first 2 shown]
                                        ; implicit-def: $sgpr46_sgpr47
                                        ; implicit-def: $vgpr53
	s_and_saveexec_b64 s[10:11], vcc
	s_cbranch_execz .LBB1537_110
; %bb.93:
	v_mov_b32_e32 v10, s80
	v_cmp_eq_u32_e32 vcc, v33, v26
	v_add_u32_e32 v11, 16, v54
	s_mov_b64 s[14:15], 0
	v_cndmask_b32_e32 v10, v10, v41, vcc
	v_cmp_ne_u32_e32 vcc, v33, v26
	v_and_b32_e32 v10, 0xffff, v10
                                        ; implicit-def: $sgpr48_sgpr49
                                        ; implicit-def: $vgpr53
	s_nop 0
	v_cndmask_b32_e64 v12, 0, 1, vcc
	v_lshl_or_b32 v10, v12, 16, v10
	v_mov_b32_e32 v12, 0
	v_cmp_gt_u32_e32 vcc, s3, v11
	v_mov_b32_e32 v11, v12
	v_mov_b32_e32 v13, v12
	;; [unrolled: 1-line block ×6, first 2 shown]
	s_and_saveexec_b64 s[12:13], vcc
	s_cbranch_execz .LBB1537_109
; %bb.94:
	v_lshrrev_b32_e32 v11, 16, v41
	v_mov_b32_e32 v14, s80
	v_cmp_eq_u32_e32 vcc, v26, v27
	v_add_u32_e32 v13, 17, v54
	v_mov_b32_e32 v15, v12
	v_cndmask_b32_e32 v11, v14, v11, vcc
	v_cmp_ne_u32_e32 vcc, v26, v27
	v_and_b32_e32 v11, 0xffff, v11
	v_mov_b32_e32 v16, v12
	v_cndmask_b32_e64 v14, 0, 1, vcc
	v_lshl_or_b32 v11, v14, 16, v11
	v_cmp_gt_u32_e32 vcc, s3, v13
	v_mov_b32_e32 v13, v12
	v_mov_b32_e32 v14, v12
	;; [unrolled: 1-line block ×3, first 2 shown]
	s_mov_b64 s[46:47], 0
                                        ; implicit-def: $sgpr50_sgpr51
                                        ; implicit-def: $vgpr53
	s_and_saveexec_b64 s[14:15], vcc
	s_cbranch_execz .LBB1537_108
; %bb.95:
	ds_read_b96 v[30:32], v42 offset:34
	v_mov_b32_e32 v12, s80
	v_cmp_eq_u32_e32 vcc, v27, v28
	v_add_u32_e32 v13, 18, v54
	s_mov_b64 s[48:49], 0
	s_waitcnt lgkmcnt(0)
	v_cndmask_b32_e32 v12, v12, v30, vcc
	v_cmp_ne_u32_e32 vcc, v27, v28
	v_and_b32_e32 v12, 0xffff, v12
                                        ; implicit-def: $sgpr52_sgpr53
                                        ; implicit-def: $vgpr53
	s_nop 0
	v_cndmask_b32_e64 v14, 0, 1, vcc
	v_lshl_or_b32 v12, v14, 16, v12
	v_mov_b32_e32 v14, 0
	v_cmp_gt_u32_e32 vcc, s3, v13
	v_mov_b32_e32 v13, v14
	v_mov_b32_e32 v15, v14
	;; [unrolled: 1-line block ×4, first 2 shown]
	s_and_saveexec_b64 s[46:47], vcc
	s_cbranch_execz .LBB1537_107
; %bb.96:
	v_lshrrev_b32_e32 v13, 16, v30
	v_mov_b32_e32 v16, s80
	v_cmp_eq_u32_e32 vcc, v28, v29
	v_add_u32_e32 v15, 19, v54
	v_mov_b32_e32 v17, v14
	v_cndmask_b32_e32 v13, v16, v13, vcc
	v_cmp_ne_u32_e32 vcc, v28, v29
	v_and_b32_e32 v13, 0xffff, v13
	s_mov_b64 s[50:51], 0
	v_cndmask_b32_e64 v16, 0, 1, vcc
	v_lshl_or_b32 v13, v16, 16, v13
	v_cmp_gt_u32_e32 vcc, s3, v15
	v_mov_b32_e32 v15, v14
	v_mov_b32_e32 v16, v14
                                        ; implicit-def: $sgpr60_sgpr61
                                        ; implicit-def: $vgpr53
	s_and_saveexec_b64 s[48:49], vcc
	s_cbranch_execz .LBB1537_106
; %bb.97:
	v_mov_b32_e32 v14, s80
	v_cmp_eq_u32_e32 vcc, v29, v22
	v_add_u32_e32 v15, 20, v54
	s_mov_b64 s[52:53], 0
	v_cndmask_b32_e32 v14, v14, v31, vcc
	v_cmp_ne_u32_e32 vcc, v29, v22
	v_and_b32_e32 v14, 0xffff, v14
                                        ; implicit-def: $sgpr74_sgpr75
                                        ; implicit-def: $vgpr53
	s_nop 0
	v_cndmask_b32_e64 v16, 0, 1, vcc
	v_lshl_or_b32 v14, v16, 16, v14
	v_mov_b32_e32 v16, 0
	v_cmp_gt_u32_e32 vcc, s3, v15
	v_mov_b32_e32 v15, v16
	v_mov_b32_e32 v17, v16
	s_and_saveexec_b64 s[50:51], vcc
	s_cbranch_execz .LBB1537_105
; %bb.98:
	v_lshrrev_b32_e32 v15, 16, v31
	v_mov_b32_e32 v26, s80
	v_cmp_eq_u32_e32 vcc, v22, v23
	v_add_u32_e32 v17, 21, v54
	s_mov_b32 s5, 0
	v_cndmask_b32_e32 v15, v26, v15, vcc
	v_cmp_ne_u32_e32 vcc, v22, v23
	v_and_b32_e32 v15, 0xffff, v15
	s_mov_b64 s[60:61], 0
	v_cndmask_b32_e64 v22, 0, 1, vcc
	v_lshl_or_b32 v15, v22, 16, v15
	v_cmp_gt_u32_e32 vcc, s3, v17
	v_mov_b32_e32 v17, v16
                                        ; implicit-def: $sgpr76_sgpr77
                                        ; implicit-def: $vgpr53
	s_and_saveexec_b64 s[52:53], vcc
	s_cbranch_execz .LBB1537_104
; %bb.99:
	v_mov_b32_e32 v16, s80
	v_cmp_eq_u32_e32 vcc, v23, v24
	v_add_u32_e32 v17, 22, v54
	s_mov_b64 s[74:75], 0
	v_cndmask_b32_e32 v16, v16, v32, vcc
	v_cmp_ne_u32_e32 vcc, v23, v24
	v_and_b32_e32 v16, 0xffff, v16
                                        ; implicit-def: $sgpr76_sgpr77
                                        ; implicit-def: $vgpr53
	s_nop 0
	v_cndmask_b32_e64 v22, 0, 1, vcc
	v_lshl_or_b32 v16, v22, 16, v16
	v_cmp_gt_u32_e32 vcc, s3, v17
	v_mov_b32_e32 v17, s5
	s_and_saveexec_b64 s[60:61], vcc
	s_cbranch_execz .LBB1537_103
; %bb.100:
	v_lshrrev_b32_e32 v17, 16, v32
	v_mov_b32_e32 v23, s80
	v_cmp_eq_u32_e32 vcc, v24, v25
	v_add_u32_e32 v22, 23, v54
                                        ; implicit-def: $sgpr76_sgpr77
                                        ; implicit-def: $vgpr53
	s_nop 0
	v_cndmask_b32_e32 v17, v23, v17, vcc
	v_cmp_ne_u32_e32 vcc, v24, v25
	v_and_b32_e32 v17, 0xffff, v17
	s_nop 0
	v_cndmask_b32_e64 v23, 0, 1, vcc
	v_lshl_or_b32 v17, v23, 16, v17
	v_cmp_gt_u32_e32 vcc, s3, v22
	s_and_saveexec_b64 s[78:79], vcc
	s_xor_b64 s[78:79], exec, s[78:79]
	s_cbranch_execz .LBB1537_102
; %bb.101:
	ds_read_u16 v22, v42 offset:46
	v_mov_b32_e32 v23, s80
	v_cmp_ne_u32_e32 vcc, v25, v52
	s_mov_b64 s[74:75], exec
	s_and_b64 s[76:77], vcc, exec
	s_waitcnt lgkmcnt(0)
	v_cndmask_b32_e32 v53, v22, v23, vcc
.LBB1537_102:
	s_or_b64 exec, exec, s[78:79]
	s_and_b64 s[76:77], s[76:77], exec
	s_and_b64 s[74:75], s[74:75], exec
.LBB1537_103:
	s_or_b64 exec, exec, s[60:61]
	s_and_b64 s[76:77], s[76:77], exec
	s_and_b64 s[60:61], s[74:75], exec
.LBB1537_104:
	s_or_b64 exec, exec, s[52:53]
	s_and_b64 s[74:75], s[76:77], exec
	s_and_b64 s[52:53], s[60:61], exec
.LBB1537_105:
	s_or_b64 exec, exec, s[50:51]
	s_and_b64 s[60:61], s[74:75], exec
	s_and_b64 s[50:51], s[52:53], exec
.LBB1537_106:
	s_or_b64 exec, exec, s[48:49]
	s_and_b64 s[52:53], s[60:61], exec
	s_and_b64 s[48:49], s[50:51], exec
.LBB1537_107:
	s_or_b64 exec, exec, s[46:47]
	s_and_b64 s[50:51], s[52:53], exec
	s_and_b64 s[46:47], s[48:49], exec
.LBB1537_108:
	s_or_b64 exec, exec, s[14:15]
	s_and_b64 s[48:49], s[50:51], exec
	s_and_b64 s[14:15], s[46:47], exec
.LBB1537_109:
	s_or_b64 exec, exec, s[12:13]
	s_and_b64 s[46:47], s[48:49], exec
	s_and_b64 s[12:13], s[14:15], exec
.LBB1537_110:
	s_or_b64 exec, exec, s[10:11]
	s_and_b64 s[10:11], s[46:47], exec
	s_and_b64 s[46:47], s[12:13], exec
.LBB1537_111:
	s_or_b64 exec, exec, s[8:9]
	s_and_b64 s[48:49], s[10:11], exec
	s_and_b64 s[46:47], s[46:47], exec
.LBB1537_112:
	s_or_b64 exec, exec, s[44:45]
	s_and_b64 s[8:9], s[48:49], exec
	s_and_b64 s[44:45], s[46:47], exec
.LBB1537_113:
	s_or_b64 exec, exec, s[42:43]
	s_and_b64 s[46:47], s[8:9], exec
	s_and_b64 s[42:43], s[44:45], exec
.LBB1537_114:
	s_or_b64 exec, exec, s[40:41]
	s_and_b64 s[8:9], s[46:47], exec
	s_and_b64 s[40:41], s[42:43], exec
.LBB1537_115:
	s_or_b64 exec, exec, s[38:39]
	s_and_b64 s[42:43], s[8:9], exec
	s_and_b64 s[38:39], s[40:41], exec
.LBB1537_116:
	s_or_b64 exec, exec, s[36:37]
	s_and_b64 s[8:9], s[42:43], exec
	s_and_b64 s[36:37], s[38:39], exec
.LBB1537_117:
	s_or_b64 exec, exec, s[34:35]
	s_and_b64 s[38:39], s[8:9], exec
	s_and_b64 s[34:35], s[36:37], exec
.LBB1537_118:
	s_or_b64 exec, exec, s[30:31]
	s_and_b64 s[8:9], s[38:39], exec
	s_and_b64 s[30:31], s[34:35], exec
.LBB1537_119:
	s_or_b64 exec, exec, s[28:29]
	s_and_b64 s[34:35], s[8:9], exec
	s_and_b64 s[28:29], s[30:31], exec
.LBB1537_120:
	s_or_b64 exec, exec, s[26:27]
	s_and_b64 s[8:9], s[34:35], exec
	s_and_b64 s[26:27], s[28:29], exec
.LBB1537_121:
	s_or_b64 exec, exec, s[24:25]
	s_and_b64 s[28:29], s[8:9], exec
	s_and_b64 s[24:25], s[26:27], exec
.LBB1537_122:
	s_or_b64 exec, exec, s[18:19]
	s_and_b64 s[8:9], s[28:29], exec
	s_and_b64 s[24:25], s[24:25], exec
.LBB1537_123:
	s_or_b64 exec, exec, s[16:17]
	s_and_b64 s[26:27], s[8:9], exec
	s_and_b64 s[24:25], s[24:25], exec
.LBB1537_124:
	s_or_b64 exec, exec, s[22:23]
	s_and_b64 s[8:9], s[26:27], exec
	s_and_b64 s[10:11], s[24:25], exec
.LBB1537_125:
	s_or_b64 exec, exec, s[6:7]
	s_and_b64 vcc, exec, s[20:21]
	s_cbranch_vccnz .LBB1537_127
	s_branch .LBB1537_132
.LBB1537_126:
	s_mov_b64 s[10:11], 0
                                        ; implicit-def: $sgpr8_sgpr9
                                        ; implicit-def: $vgpr18_vgpr19_vgpr20_vgpr21
                                        ; implicit-def: $vgpr2_vgpr3_vgpr4_vgpr5_vgpr6_vgpr7_vgpr8_vgpr9
                                        ; implicit-def: $vgpr10_vgpr11_vgpr12_vgpr13_vgpr14_vgpr15_vgpr16_vgpr17
                                        ; implicit-def: $vgpr53
                                        ; implicit-def: $vgpr1
                                        ; implicit-def: $vgpr50
                                        ; implicit-def: $vgpr51
                                        ; implicit-def: $sgpr4
	s_and_b64 vcc, exec, s[20:21]
	s_cbranch_vccz .LBB1537_132
.LBB1537_127:
	v_mov_b32_e32 v7, 0
	v_lshlrev_b32_e32 v6, 2, v0
	v_lshl_add_u64 v[2:3], s[72:73], 0, v[6:7]
	v_add_co_u32_e32 v4, vcc, 0x1000, v2
	s_movk_i32 s3, 0x6000
	s_nop 0
	v_addc_co_u32_e32 v5, vcc, 0, v3, vcc
	flat_load_dword v1, v[2:3]
	flat_load_dword v10, v[2:3] offset:1024
	flat_load_dword v11, v[2:3] offset:2048
	flat_load_dword v12, v[2:3] offset:3072
	flat_load_dword v13, v[4:5]
	flat_load_dword v14, v[4:5] offset:1024
	flat_load_dword v15, v[4:5] offset:2048
	flat_load_dword v16, v[4:5] offset:3072
	v_add_co_u32_e32 v4, vcc, 0x2000, v2
	s_movk_i32 s4, 0x5c
	s_nop 0
	v_addc_co_u32_e32 v5, vcc, 0, v3, vcc
	v_add_co_u32_e32 v8, vcc, 0x3000, v2
	s_movk_i32 s6, 0x1000
	s_nop 0
	v_addc_co_u32_e32 v9, vcc, 0, v3, vcc
	flat_load_dword v17, v[4:5]
	flat_load_dword v18, v[4:5] offset:1024
	flat_load_dword v19, v[4:5] offset:2048
	;; [unrolled: 1-line block ×3, first 2 shown]
	flat_load_dword v21, v[8:9]
	flat_load_dword v22, v[8:9] offset:1024
	flat_load_dword v23, v[8:9] offset:2048
	;; [unrolled: 1-line block ×3, first 2 shown]
	v_add_co_u32_e32 v4, vcc, 0x4000, v2
	s_nop 1
	v_addc_co_u32_e32 v5, vcc, 0, v3, vcc
	v_add_co_u32_e32 v2, vcc, 0x5000, v2
	s_nop 1
	v_addc_co_u32_e32 v3, vcc, 0, v3, vcc
	flat_load_dword v8, v[4:5]
	flat_load_dword v9, v[4:5] offset:1024
	flat_load_dword v25, v[4:5] offset:2048
	;; [unrolled: 1-line block ×3, first 2 shown]
	flat_load_dword v27, v[2:3]
	flat_load_dword v28, v[2:3] offset:1024
	flat_load_dword v29, v[2:3] offset:2048
	flat_load_dword v30, v[2:3] offset:3072
	v_mov_b32_e32 v2, s72
	v_mov_b32_e32 v3, s73
	v_add_co_u32_e32 v2, vcc, s3, v2
	s_movk_i32 s3, 0x2000
	s_nop 0
	v_addc_co_u32_e32 v3, vcc, 0, v3, vcc
	s_waitcnt vmcnt(0) lgkmcnt(0)
	ds_write2st64_b32 v6, v1, v10 offset1:4
	ds_write2st64_b32 v6, v11, v12 offset0:8 offset1:12
	ds_write2st64_b32 v6, v13, v14 offset0:16 offset1:20
	;; [unrolled: 1-line block ×11, first 2 shown]
	s_waitcnt lgkmcnt(0)
	s_barrier
	flat_load_dword v40, v[2:3]
	v_mad_u32_u24 v1, v0, s4, v6
	s_movk_i32 s4, 0xffa4
	ds_read2_b32 v[22:23], v1 offset0:6 offset1:23
	ds_read_b64 v[18:19], v1
	ds_read2_b64 v[2:5], v1 offset0:1 offset1:2
	ds_read2_b32 v[32:33], v1 offset0:13 offset1:14
	ds_read2_b32 v[34:35], v1 offset0:11 offset1:12
	;; [unrolled: 1-line block ×8, first 2 shown]
	v_mad_i32_i24 v1, v0, s4, v1
	s_movk_i32 s4, 0xff
	v_cmp_ne_u32_e32 vcc, s4, v0
	s_waitcnt lgkmcnt(0)
	ds_write_b32 v1, v18 offset:25600
	s_waitcnt lgkmcnt(0)
	s_barrier
	s_and_saveexec_b64 s[4:5], vcc
	s_cbranch_execz .LBB1537_129
; %bb.128:
	s_waitcnt vmcnt(0)
	ds_read_b32 v40, v6 offset:25604
.LBB1537_129:
	s_or_b64 exec, exec, s[4:5]
	v_lshlrev_b32_e32 v6, 1, v0
	v_lshl_add_u64 v[8:9], s[70:71], 0, v[6:7]
	v_add_co_u32_e32 v10, vcc, s6, v8
	s_waitcnt lgkmcnt(0)
	s_nop 0
	v_addc_co_u32_e32 v11, vcc, 0, v9, vcc
	s_barrier
	flat_load_ushort v7, v[8:9]
	flat_load_ushort v12, v[8:9] offset:512
	flat_load_ushort v13, v[8:9] offset:1024
	flat_load_ushort v14, v[8:9] offset:1536
	flat_load_ushort v15, v[8:9] offset:2048
	flat_load_ushort v16, v[8:9] offset:2560
	flat_load_ushort v17, v[8:9] offset:3072
	flat_load_ushort v20, v[8:9] offset:3584
	v_add_co_u32_e32 v8, vcc, s3, v8
	flat_load_ushort v21, v[10:11]
	flat_load_ushort v41, v[10:11] offset:512
	flat_load_ushort v42, v[10:11] offset:1024
	;; [unrolled: 1-line block ×7, first 2 shown]
	v_addc_co_u32_e32 v9, vcc, 0, v9, vcc
	flat_load_ushort v10, v[8:9]
	flat_load_ushort v11, v[8:9] offset:512
	flat_load_ushort v48, v[8:9] offset:1024
	;; [unrolled: 1-line block ×7, first 2 shown]
	v_sub_u32_e32 v1, v1, v6
	v_mad_u32_u24 v54, v0, 46, v1
	v_cmp_eq_u32_e32 vcc, v18, v19
	v_mov_b32_e32 v18, s80
	s_waitcnt vmcnt(0) lgkmcnt(0)
	ds_write_b16 v1, v7
	ds_write_b16 v1, v12 offset:512
	ds_write_b16 v1, v13 offset:1024
	;; [unrolled: 1-line block ×23, first 2 shown]
	s_waitcnt lgkmcnt(0)
	s_barrier
	ds_read_b96 v[14:16], v54 offset:2
	ds_read_b128 v[6:9], v54 offset:14
	ds_read_b128 v[10:13], v54 offset:30
	ds_read_u16 v41, v54 offset:46
	v_mov_b32_e32 v17, 0x10000
	s_and_saveexec_b64 s[4:5], vcc
	s_cbranch_execz .LBB1537_131
; %bb.130:
	v_mul_u32_u24_e32 v17, 46, v0
	v_add_u32_e32 v1, v1, v17
	ds_read_u16 v18, v1
	v_mov_b32_e32 v17, 0
.LBB1537_131:
	s_or_b64 exec, exec, s[4:5]
	v_mov_b32_e32 v47, s80
	v_cmp_eq_u32_e32 vcc, v19, v2
	s_waitcnt lgkmcnt(3)
	v_lshrrev_b32_e32 v21, 16, v14
	s_waitcnt lgkmcnt(0)
	v_or_b32_sdwa v1, v17, v18 dst_sel:DWORD dst_unused:UNUSED_PAD src0_sel:DWORD src1_sel:WORD_0
	v_cndmask_b32_e32 v14, v47, v14, vcc
	v_cmp_ne_u32_e32 vcc, v19, v2
	v_and_b32_e32 v14, 0xffff, v14
	v_lshrrev_b32_e32 v20, 16, v15
	v_cndmask_b32_e64 v17, 0, 1, vcc
	v_cmp_eq_u32_e32 vcc, v2, v3
	v_lshl_or_b32 v50, v17, 16, v14
	v_lshrrev_b32_e32 v42, 16, v16
	v_cndmask_b32_e32 v14, v47, v21, vcc
	v_cmp_eq_u32_e32 vcc, v4, v5
	v_and_b32_e32 v14, 0xffff, v14
	v_lshrrev_b32_e32 v46, 16, v6
	v_cndmask_b32_e32 v17, v47, v20, vcc
	v_cmp_eq_u32_e32 vcc, v3, v4
	v_and_b32_e32 v17, 0xffff, v17
	;; [unrolled: 4-line block ×3, first 2 shown]
	v_lshrrev_b32_e32 v44, 16, v8
	v_cndmask_b32_e32 v16, v47, v16, vcc
	v_cmp_ne_u32_e32 vcc, v3, v4
	v_lshrrev_b32_e32 v43, 16, v9
	v_and_b32_e32 v16, 0xffff, v16
	v_cndmask_b32_e64 v18, 0, 1, vcc
	v_cmp_ne_u32_e32 vcc, v5, v22
	v_lshl_or_b32 v20, v18, 16, v15
	v_cmp_ne_u32_e64 s[8:9], v23, v40
	v_cndmask_b32_e64 v15, 0, 1, vcc
	v_cmp_ne_u32_e32 vcc, v2, v3
	v_lshl_or_b32 v18, v15, 16, v16
	v_lshrrev_b32_e32 v16, 16, v11
	v_cndmask_b32_e64 v2, 0, 1, vcc
	v_cmp_ne_u32_e32 vcc, v4, v5
	v_lshl_or_b32 v21, v2, 16, v14
	v_cndmask_b32_e64 v53, v41, v47, s[8:9]
	v_cndmask_b32_e64 v2, 0, 1, vcc
	v_cmp_eq_u32_e32 vcc, v22, v38
	v_lshl_or_b32 v19, v2, 16, v17
	v_lshrrev_b32_e32 v17, 16, v10
	v_cndmask_b32_e32 v2, v47, v42, vcc
	v_cmp_ne_u32_e32 vcc, v22, v38
	v_and_b32_e32 v2, 0xffff, v2
	s_mov_b64 s[10:11], -1
	v_cndmask_b32_e64 v3, 0, 1, vcc
	v_cmp_eq_u32_e32 vcc, v39, v36
	v_lshl_or_b32 v51, v3, 16, v2
                                        ; implicit-def: $sgpr4
	s_nop 0
	v_cndmask_b32_e32 v2, v47, v46, vcc
	v_cmp_eq_u32_e32 vcc, v37, v34
	v_and_b32_e32 v2, 0xffff, v2
	s_nop 0
	v_cndmask_b32_e32 v3, v47, v45, vcc
	v_cmp_eq_u32_e32 vcc, v35, v32
	v_and_b32_e32 v15, 0xffff, v3
	;; [unrolled: 4-line block ×7, first 2 shown]
	s_nop 0
	v_cndmask_b32_e32 v9, v47, v9, vcc
	v_cmp_ne_u32_e32 vcc, v38, v39
	v_and_b32_e32 v3, 0xffff, v9
	s_nop 0
	v_cndmask_b32_e64 v8, 0, 1, vcc
	v_cmp_ne_u32_e32 vcc, v36, v37
	v_lshl_or_b32 v9, v8, 16, v6
	s_nop 0
	v_cndmask_b32_e64 v6, 0, 1, vcc
	v_cmp_ne_u32_e32 vcc, v34, v35
	v_lshl_or_b32 v7, v6, 16, v7
	;; [unrolled: 4-line block ×6, first 2 shown]
	v_lshrrev_b32_e32 v15, 16, v12
	v_cndmask_b32_e64 v2, 0, 1, vcc
	v_cmp_ne_u32_e32 vcc, v33, v26
	v_lshl_or_b32 v4, v2, 16, v4
	s_nop 0
	v_cndmask_b32_e64 v2, 0, 1, vcc
	v_lshl_or_b32 v2, v2, 16, v14
	v_lshrrev_b32_e32 v14, 16, v13
	v_cmp_eq_u32_e32 vcc, v31, v23
	s_nop 1
	v_cndmask_b32_e32 v14, v47, v14, vcc
	v_cmp_eq_u32_e32 vcc, v29, v30
	s_nop 1
	v_cndmask_b32_e32 v15, v47, v15, vcc
	v_cmp_eq_u32_e32 vcc, v25, v28
	v_and_b32_e32 v15, 0xffff, v15
	s_nop 0
	v_cndmask_b32_e32 v16, v47, v16, vcc
	v_cmp_eq_u32_e32 vcc, v27, v24
	v_and_b32_e32 v32, 0xffff, v16
	;; [unrolled: 4-line block ×3, first 2 shown]
	v_and_b32_e32 v17, 0xffff, v14
	v_cndmask_b32_e32 v13, v47, v13, vcc
	v_cmp_eq_u32_e32 vcc, v28, v29
	v_and_b32_e32 v13, 0xffff, v13
	s_nop 0
	v_cndmask_b32_e32 v12, v47, v12, vcc
	v_cmp_eq_u32_e32 vcc, v24, v25
	v_and_b32_e32 v12, 0xffff, v12
	s_nop 0
	;; [unrolled: 4-line block ×3, first 2 shown]
	v_cndmask_b32_e32 v10, v47, v10, vcc
	v_cmp_ne_u32_e32 vcc, v30, v31
	v_and_b32_e32 v10, 0xffff, v10
	s_nop 0
	v_cndmask_b32_e64 v14, 0, 1, vcc
	v_cmp_ne_u32_e32 vcc, v28, v29
	v_lshl_or_b32 v16, v14, 16, v13
	s_nop 0
	v_cndmask_b32_e64 v13, 0, 1, vcc
	v_cmp_ne_u32_e32 vcc, v24, v25
	v_lshl_or_b32 v14, v13, 16, v12
	s_nop 0
	v_cndmask_b32_e64 v12, 0, 1, vcc
	v_cmp_ne_u32_e32 vcc, v26, v27
	v_lshl_or_b32 v12, v12, 16, v11
	s_nop 0
	v_cndmask_b32_e64 v11, 0, 1, vcc
	v_cmp_ne_u32_e32 vcc, v31, v23
	v_lshl_or_b32 v10, v11, 16, v10
	s_nop 0
	v_cndmask_b32_e64 v11, 0, 1, vcc
	v_cmp_ne_u32_e32 vcc, v29, v30
	v_lshl_or_b32 v17, v11, 16, v17
	s_nop 0
	v_cndmask_b32_e64 v11, 0, 1, vcc
	v_cmp_ne_u32_e32 vcc, v25, v28
	v_lshl_or_b32 v15, v11, 16, v15
	s_nop 0
	v_cndmask_b32_e64 v11, 0, 1, vcc
	v_cmp_ne_u32_e32 vcc, v27, v24
	v_lshl_or_b32 v13, v11, 16, v32
	s_nop 0
	v_cndmask_b32_e64 v11, 0, 1, vcc
	v_lshl_or_b32 v11, v11, 16, v22
.LBB1537_132:
	v_mov_b32_e32 v32, s4
	s_and_saveexec_b64 s[4:5], s[10:11]
; %bb.133:
	v_mov_b32_e32 v22, 0x10000
	v_cndmask_b32_e64 v22, 0, v22, s[8:9]
	v_or_b32_sdwa v32, v22, v53 dst_sel:DWORD dst_unused:UNUSED_PAD src0_sel:DWORD src1_sel:WORD_0
; %bb.134:
	s_or_b64 exec, exec, s[4:5]
	s_cmp_lg_u32 s2, 0
	v_mbcnt_lo_u32_b32 v33, -1, 0
	s_barrier
	s_cbranch_scc0 .LBB1537_223
; %bb.135:
	s_mov_b32 s3, 0x10000
	v_cmp_gt_u32_e64 s[50:51], s3, v50
	v_cmp_gt_u32_e64 s[4:5], s3, v21
	v_cmp_gt_u32_e64 s[6:7], s3, v20
	v_cndmask_b32_e64 v22, 0, v1, s[50:51]
	v_add_u16_e32 v22, v22, v50
	v_cndmask_b32_e64 v22, 0, v22, s[4:5]
	v_add_u16_e32 v22, v22, v21
	v_cndmask_b32_e64 v22, 0, v22, s[6:7]
	v_add_u16_e32 v22, v22, v20
	v_cmp_gt_u32_e64 s[8:9], s3, v19
	v_cmp_gt_u32_e64 s[10:11], s3, v18
	v_cmp_gt_u32_e64 s[12:13], s3, v51
	v_cndmask_b32_e64 v22, 0, v22, s[8:9]
	v_add_u16_e32 v22, v22, v19
	v_cndmask_b32_e64 v22, 0, v22, s[10:11]
	v_add_u16_e32 v22, v22, v18
	v_cndmask_b32_e64 v22, 0, v22, s[12:13]
	v_add_u16_e32 v22, v22, v51
	;; [unrolled: 9-line block ×5, first 2 shown]
	v_cmp_gt_u32_e64 s[34:35], s3, v11
	v_cmp_gt_u32_e64 s[36:37], s3, v12
	v_or3_b32 v25, v32, v17, v16
	v_cndmask_b32_e64 v22, 0, v22, s[34:35]
	v_add_u16_e32 v22, v22, v11
	v_cndmask_b32_e64 v22, 0, v22, s[36:37]
	v_add_u16_e32 v22, v22, v12
	v_cmp_gt_u32_e64 s[38:39], s3, v13
	v_or3_b32 v25, v25, v15, v14
	v_or3_b32 v25, v25, v13, v12
	v_cndmask_b32_e64 v22, 0, v22, s[38:39]
	v_add_u16_e32 v22, v22, v13
	v_cmp_gt_u32_e64 s[40:41], s3, v14
	v_or3_b32 v25, v25, v11, v10
	v_or3_b32 v25, v25, v2, v3
	;; [unrolled: 5-line block ×5, first 2 shown]
	v_cndmask_b32_e64 v22, 0, v22, s[46:47]
	v_add_u16_e32 v22, v22, v17
	v_cmp_gt_u32_e32 vcc, s3, v32
	v_and_b32_e32 v25, 0x10000, v25
	v_and_b32_e32 v23, 0x10000, v1
	v_cndmask_b32_e32 v24, 0, v22, vcc
	v_mov_b32_e32 v26, 0x10000
	v_cmp_ne_u32_e32 vcc, 0, v25
	v_add_u16_e32 v22, v24, v32
	v_add_u16_e32 v24, v24, v32
	v_cndmask_b32_e32 v26, v23, v26, vcc
	v_mbcnt_hi_u32_b32 v25, -1, v33
	v_and_b32_e32 v27, 15, v25
	v_or_b32_e32 v24, v26, v24
	v_lshrrev_b32_e32 v23, 16, v26
	v_cmp_ne_u32_e32 vcc, 0, v27
	v_mov_b32_dpp v28, v24 row_shr:1 row_mask:0xf bank_mask:0xf
	s_and_saveexec_b64 s[48:49], vcc
	s_cbranch_execz .LBB1537_137
; %bb.136:
	v_cmp_eq_u32_e32 vcc, 0, v26
	v_and_b32_e32 v23, 0x10000, v26
	v_mov_b32_e32 v26, 1
	v_cndmask_b32_e32 v24, 0, v28, vcc
	v_and_b32_sdwa v26, v28, v26 dst_sel:DWORD dst_unused:UNUSED_PAD src0_sel:WORD_1 src1_sel:DWORD
	v_cmp_ne_u32_e32 vcc, 0, v23
	v_add_u16_e32 v29, v24, v22
	v_add_u16_e32 v22, v24, v22
	v_cndmask_b32_e64 v23, v26, 1, vcc
	v_lshlrev_b32_e32 v26, 16, v23
	v_or_b32_e32 v24, v26, v22
	v_mov_b32_e32 v22, v29
.LBB1537_137:
	s_or_b64 exec, exec, s[48:49]
	v_lshrrev_b32_e32 v26, 16, v24
	v_mov_b32_dpp v28, v24 row_shr:2 row_mask:0xf bank_mask:0xf
	v_cmp_lt_u32_e32 vcc, 1, v27
	s_and_saveexec_b64 s[48:49], vcc
	s_cbranch_execz .LBB1537_139
; %bb.138:
	v_cmp_gt_u32_e32 vcc, s3, v24
	v_and_b32_e32 v23, 0x10000, v24
	v_mov_b32_e32 v24, 1
	v_cndmask_b32_e32 v26, 0, v28, vcc
	v_and_b32_sdwa v24, v28, v24 dst_sel:DWORD dst_unused:UNUSED_PAD src0_sel:WORD_1 src1_sel:DWORD
	v_cmp_ne_u32_e32 vcc, 0, v23
	v_add_u16_e32 v29, v26, v22
	v_add_u16_e32 v22, v26, v22
	v_cndmask_b32_e64 v23, v24, 1, vcc
	v_lshlrev_b32_e32 v24, 16, v23
	v_or_b32_e32 v24, v24, v22
	v_mov_b32_e32 v26, v23
	v_mov_b32_e32 v22, v29
.LBB1537_139:
	s_or_b64 exec, exec, s[48:49]
	v_mov_b32_dpp v28, v24 row_shr:4 row_mask:0xf bank_mask:0xf
	v_cmp_lt_u32_e32 vcc, 3, v27
	s_and_saveexec_b64 s[48:49], vcc
	s_cbranch_execz .LBB1537_141
; %bb.140:
	v_cmp_eq_u16_e32 vcc, 0, v26
	v_and_b32_e32 v23, 1, v26
	v_mov_b32_e32 v26, 1
	v_cndmask_b32_e32 v24, 0, v28, vcc
	v_and_b32_sdwa v26, v28, v26 dst_sel:DWORD dst_unused:UNUSED_PAD src0_sel:WORD_1 src1_sel:DWORD
	v_cmp_eq_u32_e32 vcc, 1, v23
	v_add_u16_e32 v29, v24, v22
	v_add_u16_e32 v22, v24, v22
	v_cndmask_b32_e64 v23, v26, 1, vcc
	v_lshlrev_b32_e32 v26, 16, v23
	v_or_b32_e32 v24, v26, v22
	v_mov_b32_e32 v26, v23
	v_mov_b32_e32 v22, v29
.LBB1537_141:
	s_or_b64 exec, exec, s[48:49]
	v_mov_b32_dpp v28, v24 row_shr:8 row_mask:0xf bank_mask:0xf
	v_cmp_lt_u32_e32 vcc, 7, v27
	s_and_saveexec_b64 s[48:49], vcc
	s_cbranch_execz .LBB1537_143
; %bb.142:
	v_cmp_eq_u16_e32 vcc, 0, v26
	v_and_b32_e32 v23, 1, v26
	v_mov_b32_e32 v26, 1
	v_cndmask_b32_e32 v24, 0, v28, vcc
	v_and_b32_sdwa v26, v28, v26 dst_sel:DWORD dst_unused:UNUSED_PAD src0_sel:WORD_1 src1_sel:DWORD
	v_cmp_eq_u32_e32 vcc, 1, v23
	v_add_u16_e32 v27, v24, v22
	v_add_u16_e32 v22, v24, v22
	v_cndmask_b32_e64 v23, v26, 1, vcc
	v_lshlrev_b32_e32 v26, 16, v23
	v_or_b32_e32 v24, v26, v22
	v_mov_b32_e32 v26, v23
	v_mov_b32_e32 v22, v27
.LBB1537_143:
	s_or_b64 exec, exec, s[48:49]
	v_and_b32_e32 v28, 16, v25
	v_mov_b32_dpp v27, v24 row_bcast:15 row_mask:0xf bank_mask:0xf
	v_cmp_ne_u32_e32 vcc, 0, v28
	s_and_saveexec_b64 s[48:49], vcc
	s_cbranch_execz .LBB1537_145
; %bb.144:
	v_cmp_eq_u16_e32 vcc, 0, v26
	v_and_b32_e32 v23, 1, v26
	v_mov_b32_e32 v26, 1
	v_cndmask_b32_e32 v24, 0, v27, vcc
	v_and_b32_sdwa v26, v27, v26 dst_sel:DWORD dst_unused:UNUSED_PAD src0_sel:WORD_1 src1_sel:DWORD
	v_cmp_eq_u32_e32 vcc, 1, v23
	v_add_u16_e32 v28, v24, v22
	v_add_u16_e32 v22, v24, v22
	v_cndmask_b32_e64 v23, v26, 1, vcc
	v_lshlrev_b32_e32 v26, 16, v23
	v_or_b32_e32 v24, v26, v22
	v_mov_b32_e32 v26, v23
	v_mov_b32_e32 v22, v28
.LBB1537_145:
	s_or_b64 exec, exec, s[48:49]
	v_mov_b32_dpp v24, v24 row_bcast:31 row_mask:0xf bank_mask:0xf
	v_cmp_lt_u32_e32 vcc, 31, v25
	s_and_saveexec_b64 s[48:49], vcc
; %bb.146:
	v_cmp_eq_u16_e32 vcc, 0, v26
	s_nop 1
	v_cndmask_b32_e32 v23, 0, v24, vcc
	v_add_u16_e32 v22, v23, v22
	v_and_b32_e32 v23, 1, v26
	v_mov_b32_e32 v26, 1
	v_and_b32_sdwa v24, v24, v26 dst_sel:DWORD dst_unused:UNUSED_PAD src0_sel:WORD_1 src1_sel:DWORD
	v_cmp_eq_u32_e32 vcc, 1, v23
	s_nop 1
	v_cndmask_b32_e64 v23, v24, 1, vcc
; %bb.147:
	s_or_b64 exec, exec, s[48:49]
	v_or_b32_e32 v26, 63, v0
	v_lshrrev_b32_e32 v24, 6, v0
	v_cmp_eq_u32_e32 vcc, v26, v0
	s_and_saveexec_b64 s[48:49], vcc
	s_cbranch_execz .LBB1537_149
; %bb.148:
	v_lshlrev_b32_e32 v26, 2, v24
	ds_write_b16 v26, v22
	ds_write_b8 v26, v23 offset:2
.LBB1537_149:
	s_or_b64 exec, exec, s[48:49]
	v_cmp_gt_u32_e32 vcc, 4, v0
	s_waitcnt lgkmcnt(0)
	s_barrier
	s_and_saveexec_b64 s[48:49], vcc
	s_cbranch_execz .LBB1537_155
; %bb.150:
	v_lshlrev_b32_e32 v26, 2, v0
	ds_read_b32 v27, v26
	v_and_b32_e32 v30, 3, v25
	v_cmp_ne_u32_e32 vcc, 0, v30
	s_waitcnt lgkmcnt(0)
	v_lshrrev_b32_e32 v29, 16, v27
	v_mov_b32_dpp v31, v27 row_shr:1 row_mask:0xf bank_mask:0xf
	v_mov_b32_e32 v28, v27
	s_and_saveexec_b64 s[52:53], vcc
	s_cbranch_execz .LBB1537_152
; %bb.151:
	v_mov_b32_e32 v28, 0
	v_cmp_eq_u16_sdwa vcc, v29, v28 src0_sel:BYTE_0 src1_sel:DWORD
	v_and_b32_e32 v29, 0x10000, v27
	v_mov_b32_e32 v36, 1
	v_cndmask_b32_e32 v35, 0, v31, vcc
	v_and_b32_sdwa v31, v31, v36 dst_sel:DWORD dst_unused:UNUSED_PAD src0_sel:WORD_1 src1_sel:DWORD
	v_cmp_ne_u32_e32 vcc, 0, v29
	v_and_b32_e32 v34, 0xff000000, v27
	v_add_u16_e32 v28, v35, v27
	v_cndmask_b32_e64 v29, v31, 1, vcc
	v_lshlrev_b32_e32 v31, 16, v29
	v_add_u16_e32 v27, v35, v27
	v_or3_b32 v27, v31, v34, v27
.LBB1537_152:
	s_or_b64 exec, exec, s[52:53]
	s_nop 0
	v_mov_b32_dpp v31, v27 row_shr:2 row_mask:0xf bank_mask:0xf
	v_cmp_lt_u32_e32 vcc, 1, v30
	s_and_saveexec_b64 s[52:53], vcc
; %bb.153:
	v_and_b32_e32 v29, 0xff0000, v27
	v_cmp_eq_u32_e32 vcc, 0, v29
	v_and_b32_e32 v27, 0x10000, v27
	s_nop 0
	v_cndmask_b32_e32 v29, 0, v31, vcc
	v_add_u16_e32 v28, v29, v28
	v_mov_b32_e32 v29, 1
	v_and_b32_sdwa v29, v31, v29 dst_sel:DWORD dst_unused:UNUSED_PAD src0_sel:WORD_1 src1_sel:DWORD
	v_cmp_eq_u32_e32 vcc, 0, v27
	s_nop 1
	v_cndmask_b32_e32 v29, 1, v29, vcc
; %bb.154:
	s_or_b64 exec, exec, s[52:53]
	ds_write_b16 v26, v28
	ds_write_b8 v26, v29 offset:2
.LBB1537_155:
	s_or_b64 exec, exec, s[48:49]
	v_cmp_gt_u32_e32 vcc, 64, v0
	v_cmp_lt_u32_e64 s[48:49], 63, v0
	v_mov_b32_e32 v34, 0
	v_mov_b32_e32 v35, 0
	s_waitcnt lgkmcnt(0)
	s_barrier
	s_and_saveexec_b64 s[52:53], s[48:49]
	s_cbranch_execz .LBB1537_157
; %bb.156:
	v_lshl_add_u32 v24, v24, 2, -4
	ds_read_u16 v34, v24
	ds_read_u8 v35, v24 offset:2
	v_and_b32_e32 v26, 1, v23
	v_cmp_eq_u16_e64 s[48:49], 0, v23
	s_waitcnt lgkmcnt(1)
	s_nop 0
	v_cndmask_b32_e64 v23, 0, v34, s[48:49]
	v_cmp_eq_u32_e64 s[48:49], 1, v26
	v_add_u16_e32 v22, v23, v22
	s_waitcnt lgkmcnt(0)
	v_cndmask_b32_e64 v23, v35, 1, s[48:49]
.LBB1537_157:
	s_or_b64 exec, exec, s[52:53]
	v_and_b32_e32 v23, 0xff, v23
	v_and_b32_e32 v22, 0xffff, v22
	v_lshl_or_b32 v22, v23, 16, v22
	v_add_u32_e32 v23, -1, v25
	v_and_b32_e32 v24, 64, v25
	v_cmp_lt_i32_e64 s[48:49], v23, v24
	s_nop 1
	v_cndmask_b32_e64 v23, v23, v25, s[48:49]
	v_lshlrev_b32_e32 v23, 2, v23
	ds_bpermute_b32 v36, v23, v22
	v_cmp_eq_u32_e64 s[48:49], 0, v25
	s_and_saveexec_b64 s[52:53], vcc
	s_cbranch_execz .LBB1537_200
; %bb.158:
	v_mov_b32_e32 v29, 0
	ds_read_b32 v22, v29 offset:12
	s_and_saveexec_b64 s[60:61], s[48:49]
	s_cbranch_execz .LBB1537_160
; %bb.159:
	s_add_i32 s70, s2, 64
	s_mov_b32 s71, 0
	s_lshl_b64 s[70:71], s[70:71], 3
	s_add_u32 s70, s56, s70
	v_mov_b32_e32 v23, 1
	s_addc_u32 s71, s57, s71
	s_waitcnt lgkmcnt(0)
	global_store_dwordx2 v29, v[22:23], s[70:71] sc1
.LBB1537_160:
	s_or_b64 exec, exec, s[60:61]
	v_xad_u32 v24, v25, -1, s2
	v_add_u32_e32 v28, 64, v24
	v_lshl_add_u64 v[30:31], v[28:29], 3, s[56:57]
	global_load_dwordx2 v[26:27], v[30:31], off sc1
	s_waitcnt vmcnt(0)
	v_cmp_eq_u16_sdwa s[70:71], v27, v29 src0_sel:BYTE_0 src1_sel:DWORD
	s_and_saveexec_b64 s[60:61], s[70:71]
	s_cbranch_execz .LBB1537_164
; %bb.161:
	s_mov_b64 s[70:71], 0
	v_mov_b32_e32 v23, 0
.LBB1537_162:                           ; =>This Inner Loop Header: Depth=1
	global_load_dwordx2 v[26:27], v[30:31], off sc1
	s_waitcnt vmcnt(0)
	v_cmp_ne_u16_sdwa s[72:73], v27, v23 src0_sel:BYTE_0 src1_sel:DWORD
	s_or_b64 s[70:71], s[72:73], s[70:71]
	s_andn2_b64 exec, exec, s[70:71]
	s_cbranch_execnz .LBB1537_162
; %bb.163:
	s_or_b64 exec, exec, s[70:71]
.LBB1537_164:
	s_or_b64 exec, exec, s[60:61]
	v_mov_b32_e32 v23, 2
	v_cmp_eq_u16_sdwa s[60:61], v27, v23 src0_sel:BYTE_0 src1_sel:DWORD
	v_lshlrev_b64 v[28:29], v25, -1
	v_and_b32_e32 v48, 0xffffff, v26
	v_and_b32_e32 v23, s61, v29
	v_or_b32_e32 v23, 0x80000000, v23
	v_ffbl_b32_e32 v23, v23
	v_add_u32_e32 v31, 32, v23
	v_and_b32_e32 v23, 63, v25
	v_cmp_ne_u32_e32 vcc, 63, v23
	v_and_b32_e32 v30, s60, v28
	v_ffbl_b32_e32 v30, v30
	v_addc_co_u32_e32 v37, vcc, 0, v25, vcc
	v_lshlrev_b32_e32 v37, 2, v37
	ds_bpermute_b32 v38, v37, v48
	v_min_u32_e32 v31, v30, v31
	v_lshrrev_b32_e32 v30, 16, v26
	v_cmp_lt_u32_e32 vcc, v23, v31
	v_bfe_u32 v46, v26, 16, 8
	s_and_saveexec_b64 s[60:61], vcc
	s_cbranch_execz .LBB1537_166
; %bb.165:
	v_and_b32_e32 v30, 0xff0000, v26
	v_cmp_eq_u32_e32 vcc, 0, v30
	v_and_b32_e32 v30, 0x10000, v30
	v_mov_b32_e32 v41, 1
	s_waitcnt lgkmcnt(0)
	v_cndmask_b32_e32 v39, 0, v38, vcc
	v_and_b32_sdwa v38, v38, v41 dst_sel:DWORD dst_unused:UNUSED_PAD src0_sel:WORD_1 src1_sel:DWORD
	v_cmp_ne_u32_e32 vcc, 0, v30
	v_add_u16_e32 v40, v39, v26
	v_add_u16_e32 v26, v39, v26
	v_cndmask_b32_e64 v30, v38, 1, vcc
	v_lshlrev_b32_e32 v38, 16, v30
	v_or_b32_e32 v48, v38, v26
	v_mov_b32_e32 v26, v40
	v_mov_b32_e32 v46, v30
.LBB1537_166:
	s_or_b64 exec, exec, s[60:61]
	v_cmp_gt_u32_e32 vcc, 62, v23
	v_add_u32_e32 v39, 2, v23
	s_waitcnt lgkmcnt(0)
	v_cndmask_b32_e64 v38, 0, 1, vcc
	v_lshlrev_b32_e32 v38, 1, v38
	v_add_lshl_u32 v38, v38, v25, 2
	ds_bpermute_b32 v40, v38, v48
	v_cmp_le_u32_e32 vcc, v39, v31
	s_and_saveexec_b64 s[60:61], vcc
	s_cbranch_execz .LBB1537_168
; %bb.167:
	v_cmp_eq_u16_e32 vcc, 0, v46
	v_and_b32_e32 v30, 1, v46
	v_mov_b32_e32 v43, 1
	s_waitcnt lgkmcnt(0)
	v_cndmask_b32_e32 v41, 0, v40, vcc
	v_and_b32_sdwa v40, v40, v43 dst_sel:DWORD dst_unused:UNUSED_PAD src0_sel:WORD_1 src1_sel:DWORD
	v_cmp_eq_u32_e32 vcc, 1, v30
	v_add_u16_e32 v42, v41, v26
	v_add_u16_e32 v26, v41, v26
	v_cndmask_b32_e64 v30, v40, 1, vcc
	v_lshlrev_b32_e32 v40, 16, v30
	v_or_b32_e32 v48, v40, v26
	v_mov_b32_e32 v26, v42
	v_mov_b32_e32 v46, v30
.LBB1537_168:
	s_or_b64 exec, exec, s[60:61]
	v_cmp_gt_u32_e32 vcc, 60, v23
	v_add_u32_e32 v41, 4, v23
	s_waitcnt lgkmcnt(0)
	v_cndmask_b32_e64 v40, 0, 1, vcc
	v_lshlrev_b32_e32 v40, 2, v40
	v_add_lshl_u32 v40, v40, v25, 2
	ds_bpermute_b32 v42, v40, v48
	v_cmp_le_u32_e32 vcc, v41, v31
	s_and_saveexec_b64 s[60:61], vcc
	s_cbranch_execz .LBB1537_170
; %bb.169:
	v_cmp_eq_u16_e32 vcc, 0, v46
	v_and_b32_e32 v30, 1, v46
	v_mov_b32_e32 v45, 1
	s_waitcnt lgkmcnt(0)
	v_cndmask_b32_e32 v43, 0, v42, vcc
	v_and_b32_sdwa v42, v42, v45 dst_sel:DWORD dst_unused:UNUSED_PAD src0_sel:WORD_1 src1_sel:DWORD
	v_cmp_eq_u32_e32 vcc, 1, v30
	v_add_u16_e32 v44, v43, v26
	v_add_u16_e32 v26, v43, v26
	v_cndmask_b32_e64 v30, v42, 1, vcc
	v_lshlrev_b32_e32 v42, 16, v30
	v_or_b32_e32 v48, v42, v26
	v_mov_b32_e32 v26, v44
	v_mov_b32_e32 v46, v30
.LBB1537_170:
	;; [unrolled: 27-line block ×4, first 2 shown]
	s_or_b64 exec, exec, s[60:61]
	v_cmp_gt_u32_e32 vcc, 32, v23
	v_add_u32_e32 v49, 32, v23
	s_waitcnt lgkmcnt(0)
	v_cndmask_b32_e64 v47, 0, 1, vcc
	v_lshlrev_b32_e32 v47, 5, v47
	v_add_lshl_u32 v47, v47, v25, 2
	ds_bpermute_b32 v25, v47, v48
	v_cmp_le_u32_e32 vcc, v49, v31
	s_and_saveexec_b64 s[60:61], vcc
	s_cbranch_execz .LBB1537_176
; %bb.175:
	v_cmp_eq_u16_e32 vcc, 0, v46
	v_mov_b32_e32 v31, 1
	s_waitcnt lgkmcnt(0)
	v_cndmask_b32_e32 v30, 0, v25, vcc
	v_add_u16_e32 v26, v30, v26
	v_and_b32_e32 v30, 1, v46
	v_and_b32_sdwa v25, v25, v31 dst_sel:DWORD dst_unused:UNUSED_PAD src0_sel:WORD_1 src1_sel:DWORD
	v_cmp_eq_u32_e32 vcc, 1, v30
	s_nop 1
	v_cndmask_b32_e64 v30, v25, 1, vcc
.LBB1537_176:
	s_or_b64 exec, exec, s[60:61]
	s_waitcnt lgkmcnt(0)
	v_mov_b32_e32 v25, 0
	v_mov_b32_e32 v52, 2
	;; [unrolled: 1-line block ×3, first 2 shown]
	s_branch .LBB1537_178
.LBB1537_177:                           ;   in Loop: Header=BB1537_178 Depth=1
	s_or_b64 exec, exec, s[60:61]
	v_cmp_eq_u16_sdwa vcc, v46, v25 src0_sel:BYTE_0 src1_sel:DWORD
	v_and_b32_e32 v30, 1, v46
	v_and_b32_e32 v31, 1, v31
	v_cndmask_b32_e32 v26, 0, v26, vcc
	v_cmp_eq_u32_e32 vcc, 1, v30
	v_subrev_u32_e32 v24, 64, v24
	v_add_u16_e32 v26, v26, v48
	v_cndmask_b32_e64 v30, v31, 1, vcc
.LBB1537_178:                           ; =>This Loop Header: Depth=1
                                        ;     Child Loop BB1537_181 Depth 2
	v_cmp_ne_u16_sdwa s[60:61], v27, v52 src0_sel:BYTE_0 src1_sel:DWORD
	v_mov_b32_e32 v46, v30
	v_mov_b32_e32 v48, v26
	v_cndmask_b32_e64 v27, 0, 1, s[60:61]
	;;#ASMSTART
	;;#ASMEND
	s_nop 0
	v_cmp_ne_u32_e32 vcc, 0, v27
	s_cmp_lg_u64 vcc, exec
	s_cbranch_scc1 .LBB1537_195
; %bb.179:                              ;   in Loop: Header=BB1537_178 Depth=1
	v_lshl_add_u64 v[30:31], v[24:25], 3, s[56:57]
	global_load_dwordx2 v[26:27], v[30:31], off sc1
	s_waitcnt vmcnt(0)
	v_cmp_eq_u16_sdwa s[70:71], v27, v25 src0_sel:BYTE_0 src1_sel:DWORD
	s_and_saveexec_b64 s[60:61], s[70:71]
	s_cbranch_execz .LBB1537_183
; %bb.180:                              ;   in Loop: Header=BB1537_178 Depth=1
	s_mov_b64 s[70:71], 0
.LBB1537_181:                           ;   Parent Loop BB1537_178 Depth=1
                                        ; =>  This Inner Loop Header: Depth=2
	global_load_dwordx2 v[26:27], v[30:31], off sc1
	s_waitcnt vmcnt(0)
	v_cmp_ne_u16_sdwa s[72:73], v27, v25 src0_sel:BYTE_0 src1_sel:DWORD
	s_or_b64 s[70:71], s[72:73], s[70:71]
	s_andn2_b64 exec, exec, s[70:71]
	s_cbranch_execnz .LBB1537_181
; %bb.182:                              ;   in Loop: Header=BB1537_178 Depth=1
	s_or_b64 exec, exec, s[70:71]
.LBB1537_183:                           ;   in Loop: Header=BB1537_178 Depth=1
	s_or_b64 exec, exec, s[60:61]
	v_cmp_eq_u16_sdwa s[60:61], v27, v52 src0_sel:BYTE_0 src1_sel:DWORD
	s_waitcnt lgkmcnt(0)
	v_and_b32_e32 v55, 0xffffff, v26
	ds_bpermute_b32 v56, v37, v55
	v_and_b32_e32 v30, s61, v29
	v_or_b32_e32 v30, 0x80000000, v30
	v_and_b32_e32 v31, s60, v28
	v_ffbl_b32_e32 v30, v30
	v_add_u32_e32 v30, 32, v30
	v_ffbl_b32_e32 v31, v31
	v_min_u32_e32 v30, v31, v30
	v_lshrrev_b32_e32 v31, 16, v26
	v_cmp_lt_u32_e32 vcc, v23, v30
	v_bfe_u32 v54, v26, 16, 8
	s_and_saveexec_b64 s[60:61], vcc
	s_cbranch_execz .LBB1537_185
; %bb.184:                              ;   in Loop: Header=BB1537_178 Depth=1
	v_and_b32_e32 v31, 0xff0000, v26
	v_cmp_eq_u32_e32 vcc, 0, v31
	v_and_b32_e32 v31, 0x10000, v31
	s_waitcnt lgkmcnt(0)
	v_and_b32_sdwa v55, v56, v53 dst_sel:DWORD dst_unused:UNUSED_PAD src0_sel:WORD_1 src1_sel:DWORD
	v_cndmask_b32_e32 v54, 0, v56, vcc
	v_cmp_ne_u32_e32 vcc, 0, v31
	v_add_u16_e32 v57, v54, v26
	v_add_u16_e32 v26, v54, v26
	v_cndmask_b32_e64 v31, v55, 1, vcc
	v_lshlrev_b32_e32 v55, 16, v31
	v_or_b32_e32 v55, v55, v26
	v_mov_b32_e32 v26, v57
	v_mov_b32_e32 v54, v31
.LBB1537_185:                           ;   in Loop: Header=BB1537_178 Depth=1
	s_or_b64 exec, exec, s[60:61]
	s_waitcnt lgkmcnt(0)
	ds_bpermute_b32 v56, v38, v55
	v_cmp_le_u32_e32 vcc, v39, v30
	s_and_saveexec_b64 s[60:61], vcc
	s_cbranch_execz .LBB1537_187
; %bb.186:                              ;   in Loop: Header=BB1537_178 Depth=1
	v_cmp_eq_u16_e32 vcc, 0, v54
	v_and_b32_e32 v31, 1, v54
	s_waitcnt lgkmcnt(0)
	v_and_b32_sdwa v54, v56, v53 dst_sel:DWORD dst_unused:UNUSED_PAD src0_sel:WORD_1 src1_sel:DWORD
	v_cndmask_b32_e32 v55, 0, v56, vcc
	v_cmp_eq_u32_e32 vcc, 1, v31
	v_add_u16_e32 v57, v55, v26
	v_add_u16_e32 v26, v55, v26
	v_cndmask_b32_e64 v31, v54, 1, vcc
	v_lshlrev_b32_e32 v54, 16, v31
	v_or_b32_e32 v55, v54, v26
	v_mov_b32_e32 v26, v57
	v_mov_b32_e32 v54, v31
.LBB1537_187:                           ;   in Loop: Header=BB1537_178 Depth=1
	s_or_b64 exec, exec, s[60:61]
	s_waitcnt lgkmcnt(0)
	ds_bpermute_b32 v56, v40, v55
	v_cmp_le_u32_e32 vcc, v41, v30
	s_and_saveexec_b64 s[60:61], vcc
	s_cbranch_execz .LBB1537_189
; %bb.188:                              ;   in Loop: Header=BB1537_178 Depth=1
	v_cmp_eq_u16_e32 vcc, 0, v54
	v_and_b32_e32 v31, 1, v54
	s_waitcnt lgkmcnt(0)
	v_and_b32_sdwa v54, v56, v53 dst_sel:DWORD dst_unused:UNUSED_PAD src0_sel:WORD_1 src1_sel:DWORD
	v_cndmask_b32_e32 v55, 0, v56, vcc
	v_cmp_eq_u32_e32 vcc, 1, v31
	v_add_u16_e32 v57, v55, v26
	v_add_u16_e32 v26, v55, v26
	v_cndmask_b32_e64 v31, v54, 1, vcc
	v_lshlrev_b32_e32 v54, 16, v31
	v_or_b32_e32 v55, v54, v26
	v_mov_b32_e32 v26, v57
	v_mov_b32_e32 v54, v31
.LBB1537_189:                           ;   in Loop: Header=BB1537_178 Depth=1
	;; [unrolled: 21-line block ×4, first 2 shown]
	s_or_b64 exec, exec, s[60:61]
	ds_bpermute_b32 v55, v47, v55
	v_cmp_le_u32_e32 vcc, v49, v30
	s_and_saveexec_b64 s[60:61], vcc
	s_cbranch_execz .LBB1537_177
; %bb.194:                              ;   in Loop: Header=BB1537_178 Depth=1
	v_cmp_eq_u16_e32 vcc, 0, v54
	s_waitcnt lgkmcnt(0)
	v_lshrrev_b32_e32 v31, 16, v55
	v_cndmask_b32_e32 v30, 0, v55, vcc
	v_add_u16_e32 v26, v30, v26
	v_and_b32_e32 v30, 1, v54
	v_cmp_eq_u32_e32 vcc, 1, v30
	s_nop 1
	v_cndmask_b32_e64 v31, v31, 1, vcc
	s_branch .LBB1537_177
.LBB1537_195:                           ;   in Loop: Header=BB1537_178 Depth=1
                                        ; implicit-def: $vgpr30
                                        ; implicit-def: $vgpr26
	s_cbranch_execz .LBB1537_178
; %bb.196:
	s_and_saveexec_b64 s[60:61], s[48:49]
	s_cbranch_execz .LBB1537_198
; %bb.197:
	v_and_b32_e32 v23, 0xff0000, v22
	s_mov_b32 s3, 0
	v_cmp_eq_u32_e32 vcc, 0, v23
	v_and_b32_e32 v24, 0x10000, v22
	v_mov_b32_e32 v25, 1
	s_add_i32 s2, s2, 64
	v_cndmask_b32_e32 v23, 0, v48, vcc
	v_and_b32_sdwa v25, v46, v25 dst_sel:WORD_1 dst_unused:UNUSED_PAD src0_sel:DWORD src1_sel:DWORD
	v_mov_b32_e32 v26, 0x10000
	v_cmp_eq_u32_e32 vcc, 0, v24
	s_lshl_b64 s[2:3], s[2:3], 3
	s_add_u32 s2, s56, s2
	v_cndmask_b32_e32 v24, v26, v25, vcc
	v_add_u16_e32 v22, v23, v22
	s_addc_u32 s3, s57, s3
	v_mov_b32_e32 v25, 0
	v_or_b32_e32 v22, v24, v22
	v_mov_b32_e32 v23, 2
	global_store_dwordx2 v25, v[22:23], s[2:3] sc1
.LBB1537_198:
	s_or_b64 exec, exec, s[60:61]
	v_cmp_eq_u32_e32 vcc, 0, v0
	s_and_b64 exec, exec, vcc
	s_cbranch_execz .LBB1537_200
; %bb.199:
	v_mov_b32_e32 v22, 0
	ds_write_b16 v22, v48 offset:12
	ds_write_b8 v22, v46 offset:14
.LBB1537_200:
	s_or_b64 exec, exec, s[52:53]
	v_mov_b32_e32 v22, 0
	s_waitcnt lgkmcnt(0)
	s_barrier
	ds_read_b32 v23, v22 offset:12
	v_lshrrev_b32_e32 v24, 16, v36
	v_cndmask_b32_e64 v24, v24, v35, s[48:49]
	v_cmp_eq_u16_sdwa vcc, v24, v22 src0_sel:BYTE_0 src1_sel:DWORD
	v_cndmask_b32_e64 v25, v36, v34, s[48:49]
	s_waitcnt lgkmcnt(0)
	v_cndmask_b32_e32 v22, 0, v23, vcc
	v_add_u16_e32 v22, v22, v25
	v_cmp_eq_u32_e32 vcc, 0, v0
	s_nop 1
	v_cndmask_b32_e32 v24, v22, v23, vcc
	v_and_b32_e32 v22, 0xff0000, v1
	v_cmp_eq_u32_e32 vcc, 0, v22
	s_nop 1
	v_cndmask_b32_e32 v22, 0, v24, vcc
	v_add_u16_e32 v22, v22, v1
	v_cndmask_b32_e64 v23, 0, v22, s[50:51]
	v_add_u16_e32 v23, v23, v50
	v_cndmask_b32_e64 v25, 0, v23, s[4:5]
	;; [unrolled: 2-line block ×22, first 2 shown]
	v_add_u16_e32 v47, v47, v17
	s_branch .LBB1537_251
.LBB1537_201:
	s_or_b64 exec, exec, s[52:53]
                                        ; implicit-def: $vgpr3
	s_and_saveexec_b64 s[52:53], s[50:51]
	s_cbranch_execz .LBB1537_53
.LBB1537_202:
	v_lshlrev_b32_e32 v20, 1, v0
	v_mov_b32_e32 v21, 0
	v_lshl_add_u64 v[20:21], s[70:71], 0, v[20:21]
	flat_load_ushort v3, v[20:21] offset:512
	s_or_b64 exec, exec, s[52:53]
                                        ; implicit-def: $vgpr20
	s_and_saveexec_b64 s[50:51], s[4:5]
	s_cbranch_execnz .LBB1537_54
.LBB1537_203:
	s_or_b64 exec, exec, s[50:51]
                                        ; implicit-def: $vgpr21
	s_and_saveexec_b64 s[4:5], s[6:7]
	s_cbranch_execz .LBB1537_55
.LBB1537_204:
	v_lshlrev_b32_e32 v46, 1, v0
	v_mov_b32_e32 v47, 0
	v_lshl_add_u64 v[46:47], s[70:71], 0, v[46:47]
	flat_load_ushort v21, v[46:47] offset:1536
	s_or_b64 exec, exec, s[4:5]
                                        ; implicit-def: $vgpr46
	s_and_saveexec_b64 s[4:5], s[8:9]
	s_cbranch_execnz .LBB1537_56
.LBB1537_205:
	s_or_b64 exec, exec, s[4:5]
                                        ; implicit-def: $vgpr47
	s_and_saveexec_b64 s[4:5], s[10:11]
	s_cbranch_execz .LBB1537_57
.LBB1537_206:
	v_lshlrev_b32_e32 v48, 1, v0
	v_mov_b32_e32 v49, 0
	v_lshl_add_u64 v[48:49], s[70:71], 0, v[48:49]
	flat_load_ushort v47, v[48:49] offset:2560
	s_or_b64 exec, exec, s[4:5]
                                        ; implicit-def: $vgpr48
	s_and_saveexec_b64 s[4:5], s[12:13]
	s_cbranch_execnz .LBB1537_58
.LBB1537_207:
	s_or_b64 exec, exec, s[4:5]
                                        ; implicit-def: $vgpr49
	s_and_saveexec_b64 s[4:5], s[14:15]
	s_cbranch_execz .LBB1537_59
.LBB1537_208:
	v_lshlrev_b32_e32 v50, 1, v0
	v_mov_b32_e32 v51, 0
	v_lshl_add_u64 v[50:51], s[70:71], 0, v[50:51]
	flat_load_ushort v49, v[50:51] offset:3584
	s_or_b64 exec, exec, s[4:5]
                                        ; implicit-def: $vgpr50
	s_and_saveexec_b64 s[4:5], s[16:17]
	s_cbranch_execnz .LBB1537_60
.LBB1537_209:
	s_or_b64 exec, exec, s[4:5]
                                        ; implicit-def: $vgpr1
	s_and_saveexec_b64 s[4:5], s[18:19]
	s_cbranch_execz .LBB1537_61
.LBB1537_210:
	v_lshlrev_b32_e32 v54, 1, v4
	v_mov_b32_e32 v55, 0
	v_lshl_add_u64 v[54:55], s[70:71], 0, v[54:55]
	flat_load_ushort v1, v[54:55]
	s_or_b64 exec, exec, s[4:5]
                                        ; implicit-def: $vgpr4
	s_and_saveexec_b64 s[4:5], s[20:21]
	s_cbranch_execnz .LBB1537_62
.LBB1537_211:
	s_or_b64 exec, exec, s[4:5]
                                        ; implicit-def: $vgpr5
	s_and_saveexec_b64 s[4:5], s[22:23]
	s_cbranch_execz .LBB1537_63
.LBB1537_212:
	v_lshlrev_b32_e32 v54, 1, v6
	v_mov_b32_e32 v55, 0
	v_lshl_add_u64 v[54:55], s[70:71], 0, v[54:55]
	flat_load_ushort v5, v[54:55]
	s_or_b64 exec, exec, s[4:5]
                                        ; implicit-def: $vgpr6
	s_and_saveexec_b64 s[4:5], s[24:25]
	s_cbranch_execnz .LBB1537_64
.LBB1537_213:
	s_or_b64 exec, exec, s[4:5]
                                        ; implicit-def: $vgpr7
	s_and_saveexec_b64 s[4:5], s[26:27]
	s_cbranch_execz .LBB1537_65
.LBB1537_214:
	v_lshlrev_b32_e32 v54, 1, v8
	v_mov_b32_e32 v55, 0
	v_lshl_add_u64 v[54:55], s[70:71], 0, v[54:55]
	flat_load_ushort v7, v[54:55]
	s_or_b64 exec, exec, s[4:5]
                                        ; implicit-def: $vgpr8
	s_and_saveexec_b64 s[4:5], s[28:29]
	s_cbranch_execnz .LBB1537_66
.LBB1537_215:
	s_or_b64 exec, exec, s[4:5]
                                        ; implicit-def: $vgpr9
	s_and_saveexec_b64 s[4:5], s[30:31]
	s_cbranch_execz .LBB1537_67
.LBB1537_216:
	v_lshlrev_b32_e32 v54, 1, v10
	v_mov_b32_e32 v55, 0
	v_lshl_add_u64 v[54:55], s[70:71], 0, v[54:55]
	flat_load_ushort v9, v[54:55]
	s_or_b64 exec, exec, s[4:5]
                                        ; implicit-def: $vgpr10
	s_and_saveexec_b64 s[4:5], s[34:35]
	s_cbranch_execnz .LBB1537_68
.LBB1537_217:
	s_or_b64 exec, exec, s[4:5]
                                        ; implicit-def: $vgpr11
	s_and_saveexec_b64 s[4:5], s[36:37]
	s_cbranch_execz .LBB1537_69
.LBB1537_218:
	v_lshlrev_b32_e32 v54, 1, v12
	v_mov_b32_e32 v55, 0
	v_lshl_add_u64 v[54:55], s[70:71], 0, v[54:55]
	flat_load_ushort v11, v[54:55]
	s_or_b64 exec, exec, s[4:5]
                                        ; implicit-def: $vgpr12
	s_and_saveexec_b64 s[4:5], s[38:39]
	s_cbranch_execnz .LBB1537_70
.LBB1537_219:
	s_or_b64 exec, exec, s[4:5]
                                        ; implicit-def: $vgpr13
	s_and_saveexec_b64 s[4:5], s[40:41]
	s_cbranch_execz .LBB1537_71
.LBB1537_220:
	v_lshlrev_b32_e32 v54, 1, v14
	v_mov_b32_e32 v55, 0
	v_lshl_add_u64 v[54:55], s[70:71], 0, v[54:55]
	flat_load_ushort v13, v[54:55]
	s_or_b64 exec, exec, s[4:5]
                                        ; implicit-def: $vgpr14
	s_and_saveexec_b64 s[4:5], s[42:43]
	s_cbranch_execnz .LBB1537_72
.LBB1537_221:
	s_or_b64 exec, exec, s[4:5]
                                        ; implicit-def: $vgpr15
	s_and_saveexec_b64 s[4:5], s[44:45]
	s_cbranch_execz .LBB1537_73
.LBB1537_222:
	v_lshlrev_b32_e32 v54, 1, v16
	v_mov_b32_e32 v55, 0
	v_lshl_add_u64 v[54:55], s[70:71], 0, v[54:55]
	flat_load_ushort v15, v[54:55]
	s_or_b64 exec, exec, s[4:5]
                                        ; implicit-def: $vgpr16
	s_and_saveexec_b64 s[4:5], s[46:47]
	s_cbranch_execz .LBB1537_75
	s_branch .LBB1537_74
.LBB1537_223:
                                        ; implicit-def: $vgpr24
                                        ; implicit-def: $vgpr22
                                        ; implicit-def: $vgpr23
                                        ; implicit-def: $vgpr25
                                        ; implicit-def: $vgpr26
                                        ; implicit-def: $vgpr27
                                        ; implicit-def: $vgpr29
                                        ; implicit-def: $vgpr31
                                        ; implicit-def: $vgpr28
                                        ; implicit-def: $vgpr30
                                        ; implicit-def: $vgpr34
                                        ; implicit-def: $vgpr35
                                        ; implicit-def: $vgpr36
                                        ; implicit-def: $vgpr37
                                        ; implicit-def: $vgpr39
                                        ; implicit-def: $vgpr41
                                        ; implicit-def: $vgpr38
                                        ; implicit-def: $vgpr40
                                        ; implicit-def: $vgpr42
                                        ; implicit-def: $vgpr43
                                        ; implicit-def: $vgpr44
                                        ; implicit-def: $vgpr45
                                        ; implicit-def: $vgpr46
                                        ; implicit-def: $vgpr47
	s_cbranch_execz .LBB1537_251
; %bb.224:
	s_cmp_lg_u64 s[68:69], 0
	s_cselect_b32 s3, s63, 0
	s_cselect_b32 s2, s62, 0
	s_cmp_eq_u64 s[2:3], 0
	v_mov_b32_e32 v47, s80
	s_cbranch_scc1 .LBB1537_226
; %bb.225:
	v_mov_b32_e32 v22, 0
	global_load_ushort v47, v22, s[2:3]
.LBB1537_226:
	s_mov_b32 s50, 0x10000
	v_cmp_gt_u32_e32 vcc, s50, v50
	v_cmp_gt_u32_e64 s[2:3], s50, v21
	v_cmp_gt_u32_e64 s[4:5], s50, v20
	v_cndmask_b32_e32 v22, 0, v1, vcc
	v_add_u16_e32 v22, v22, v50
	v_cndmask_b32_e64 v22, 0, v22, s[2:3]
	v_add_u16_e32 v22, v22, v21
	v_cndmask_b32_e64 v22, 0, v22, s[4:5]
	v_add_u16_e32 v22, v22, v20
	v_cmp_gt_u32_e64 s[6:7], s50, v19
	v_cmp_gt_u32_e64 s[8:9], s50, v18
	v_cmp_gt_u32_e64 s[10:11], s50, v51
	v_cndmask_b32_e64 v22, 0, v22, s[6:7]
	v_add_u16_e32 v22, v22, v19
	v_cndmask_b32_e64 v22, 0, v22, s[8:9]
	v_add_u16_e32 v22, v22, v18
	v_cndmask_b32_e64 v22, 0, v22, s[10:11]
	v_add_u16_e32 v22, v22, v51
	v_cmp_gt_u32_e64 s[12:13], s50, v9
	v_cmp_gt_u32_e64 s[14:15], s50, v8
	v_cmp_gt_u32_e64 s[16:17], s50, v7
	v_cndmask_b32_e64 v22, 0, v22, s[12:13]
	;; [unrolled: 9-line block ×5, first 2 shown]
	v_add_u16_e32 v22, v22, v11
	v_cndmask_b32_e64 v22, 0, v22, s[34:35]
	v_add_u16_e32 v22, v22, v12
	v_cndmask_b32_e64 v22, 0, v22, s[36:37]
	v_add_u16_e32 v22, v22, v13
	v_cmp_gt_u32_e64 s[38:39], s50, v14
	v_bfe_u32 v25, v19, 16, 1
	v_cmp_gt_u32_e64 s[40:41], s50, v15
	v_cndmask_b32_e64 v22, 0, v22, s[38:39]
	v_add_u16_e32 v22, v22, v14
	v_lshlrev_b16_e32 v26, 1, v25
	v_mov_b32_e32 v25, 1
	v_cndmask_b32_e64 v22, 0, v22, s[40:41]
	v_and_b32_sdwa v27, v18, v25 dst_sel:DWORD dst_unused:UNUSED_PAD src0_sel:WORD_1 src1_sel:DWORD
	v_add_u16_e32 v22, v22, v15
	v_cmp_gt_u32_e64 s[42:43], s50, v16
	v_or_b32_e32 v26, v27, v26
	v_bfe_u32 v27, v21, 16, 1
	v_and_b32_sdwa v28, v20, v25 dst_sel:DWORD dst_unused:UNUSED_PAD src0_sel:WORD_1 src1_sel:DWORD
	v_cndmask_b32_e64 v22, 0, v22, s[42:43]
	v_lshlrev_b16_e32 v27, 3, v27
	v_lshlrev_b16_e32 v28, 2, v28
	v_add_u16_e32 v22, v22, v16
	v_cmp_gt_u32_e64 s[44:45], s50, v17
	v_or_b32_e32 v27, v27, v28
	v_or_b32_e32 v26, v26, v27
	v_cndmask_b32_e64 v22, 0, v22, s[44:45]
	v_and_b32_e32 v27, 0x10000, v51
	v_add_u16_e32 v22, v22, v17
	v_cmp_gt_u32_e64 s[50:51], s50, v32
	v_and_b32_e32 v28, 0x10000, v32
	v_cmp_ne_u32_e64 s[48:49], 0, v27
	v_cndmask_b32_e64 v27, 0, v22, s[50:51]
	v_cmp_ne_u32_e64 s[50:51], 0, v28
	v_or_b32_e32 v28, v16, v8
	v_or_b32_e32 v29, v17, v9
	;; [unrolled: 1-line block ×7, first 2 shown]
	v_bfe_u32 v31, v31, 16, 1
	v_bfe_u32 v29, v29, 16, 1
	v_and_b32_sdwa v28, v28, v25 dst_sel:DWORD dst_unused:UNUSED_PAD src0_sel:WORD_1 src1_sel:DWORD
	v_or_b32_e32 v36, v10, v2
	v_bfe_u32 v37, v37, 16, 1
	v_bfe_u32 v35, v35, 16, 1
	v_and_b32_sdwa v34, v34, v25 dst_sel:DWORD dst_unused:UNUSED_PAD src0_sel:WORD_1 src1_sel:DWORD
	v_lshlrev_b16_e32 v31, 1, v31
	v_and_b32_sdwa v30, v30, v25 dst_sel:DWORD dst_unused:UNUSED_PAD src0_sel:WORD_1 src1_sel:DWORD
	v_lshlrev_b16_e32 v29, 3, v29
	v_lshlrev_b16_e32 v28, 2, v28
	;; [unrolled: 1-line block ×3, first 2 shown]
	v_and_b32_sdwa v36, v36, v25 dst_sel:DWORD dst_unused:UNUSED_PAD src0_sel:WORD_1 src1_sel:DWORD
	v_lshlrev_b16_e32 v35, 3, v35
	v_lshlrev_b16_e32 v34, 2, v34
	v_or_b32_e32 v30, v30, v31
	v_or_b32_e32 v28, v29, v28
	;; [unrolled: 1-line block ×6, first 2 shown]
	v_lshlrev_b16_e32 v28, 4, v28
	v_or_b32_e32 v28, v34, v28
	v_or_b32_e32 v26, v28, v26
	v_mov_b32_e32 v28, 0
	v_cmp_ne_u16_sdwa s[52:53], v26, v28 src0_sel:BYTE_0 src1_sel:DWORD
	v_and_b32_e32 v24, 0x10000, v50
	s_or_b64 s[50:51], s[50:51], s[52:53]
	v_cmp_ne_u32_e64 s[46:47], 0, v24
	s_or_b64 s[48:49], s[50:51], s[48:49]
	v_mov_b32_e32 v23, 0x10000
	v_and_b32_e32 v24, 0x10000, v1
	s_or_b64 s[46:47], s[48:49], s[46:47]
	v_cndmask_b32_e64 v28, v24, v23, s[46:47]
	v_add_u16_e32 v26, v27, v32
	v_mbcnt_hi_u32_b32 v23, -1, v33
	v_add_u16_e32 v22, v27, v32
	v_and_b32_e32 v27, 15, v23
	v_or_b32_e32 v26, v28, v26
	v_lshrrev_b32_e32 v24, 16, v28
	v_cmp_ne_u32_e64 s[46:47], 0, v27
	v_mov_b32_dpp v29, v26 row_shr:1 row_mask:0xf bank_mask:0xf
	s_and_saveexec_b64 s[48:49], s[46:47]
; %bb.227:
	v_cmp_eq_u32_e64 s[46:47], 0, v28
	v_and_b32_e32 v24, 0x10000, v28
	v_and_b32_sdwa v25, v29, v25 dst_sel:DWORD dst_unused:UNUSED_PAD src0_sel:WORD_1 src1_sel:DWORD
	v_cndmask_b32_e64 v26, 0, v29, s[46:47]
	v_cmp_ne_u32_e64 s[46:47], 0, v24
	v_add_u16_e32 v30, v26, v22
	v_add_u16_e32 v22, v26, v22
	v_cndmask_b32_e64 v24, v25, 1, s[46:47]
	v_lshlrev_b32_e32 v25, 16, v24
	v_or_b32_e32 v26, v25, v22
	v_mov_b32_e32 v22, v30
; %bb.228:
	s_or_b64 exec, exec, s[48:49]
	v_lshrrev_b32_e32 v25, 16, v26
	v_mov_b32_dpp v28, v26 row_shr:2 row_mask:0xf bank_mask:0xf
	v_cmp_lt_u32_e64 s[46:47], 1, v27
	s_and_saveexec_b64 s[48:49], s[46:47]
	s_cbranch_execz .LBB1537_230
; %bb.229:
	s_mov_b32 s46, 0x10000
	v_cmp_gt_u32_e64 s[46:47], s46, v26
	v_and_b32_e32 v24, 0x10000, v26
	v_mov_b32_e32 v26, 1
	v_cndmask_b32_e64 v25, 0, v28, s[46:47]
	v_and_b32_sdwa v26, v28, v26 dst_sel:DWORD dst_unused:UNUSED_PAD src0_sel:WORD_1 src1_sel:DWORD
	v_cmp_ne_u32_e64 s[46:47], 0, v24
	v_add_u16_e32 v29, v25, v22
	v_add_u16_e32 v22, v25, v22
	v_cndmask_b32_e64 v24, v26, 1, s[46:47]
	v_lshlrev_b32_e32 v26, 16, v24
	v_or_b32_e32 v26, v26, v22
	v_mov_b32_e32 v25, v24
	v_mov_b32_e32 v22, v29
.LBB1537_230:
	s_or_b64 exec, exec, s[48:49]
	v_mov_b32_dpp v28, v26 row_shr:4 row_mask:0xf bank_mask:0xf
	v_cmp_lt_u32_e64 s[46:47], 3, v27
	s_and_saveexec_b64 s[48:49], s[46:47]
	s_cbranch_execz .LBB1537_232
; %bb.231:
	v_cmp_eq_u16_e64 s[46:47], 0, v25
	v_and_b32_e32 v24, 1, v25
	v_mov_b32_e32 v25, 1
	v_cndmask_b32_e64 v26, 0, v28, s[46:47]
	v_and_b32_sdwa v25, v28, v25 dst_sel:DWORD dst_unused:UNUSED_PAD src0_sel:WORD_1 src1_sel:DWORD
	v_cmp_eq_u32_e64 s[46:47], 1, v24
	v_add_u16_e32 v29, v26, v22
	v_add_u16_e32 v22, v26, v22
	v_cndmask_b32_e64 v24, v25, 1, s[46:47]
	v_lshlrev_b32_e32 v25, 16, v24
	v_or_b32_e32 v26, v25, v22
	v_mov_b32_e32 v25, v24
	v_mov_b32_e32 v22, v29
.LBB1537_232:
	s_or_b64 exec, exec, s[48:49]
	v_mov_b32_dpp v28, v26 row_shr:8 row_mask:0xf bank_mask:0xf
	v_cmp_lt_u32_e64 s[46:47], 7, v27
	s_and_saveexec_b64 s[48:49], s[46:47]
	s_cbranch_execz .LBB1537_234
; %bb.233:
	v_cmp_eq_u16_e64 s[46:47], 0, v25
	v_and_b32_e32 v24, 1, v25
	v_mov_b32_e32 v25, 1
	v_cndmask_b32_e64 v26, 0, v28, s[46:47]
	v_and_b32_sdwa v25, v28, v25 dst_sel:DWORD dst_unused:UNUSED_PAD src0_sel:WORD_1 src1_sel:DWORD
	v_cmp_eq_u32_e64 s[46:47], 1, v24
	v_add_u16_e32 v27, v26, v22
	v_add_u16_e32 v22, v26, v22
	v_cndmask_b32_e64 v24, v25, 1, s[46:47]
	v_lshlrev_b32_e32 v25, 16, v24
	v_or_b32_e32 v26, v25, v22
	v_mov_b32_e32 v25, v24
	v_mov_b32_e32 v22, v27
.LBB1537_234:
	s_or_b64 exec, exec, s[48:49]
	v_and_b32_e32 v28, 16, v23
	v_mov_b32_dpp v27, v26 row_bcast:15 row_mask:0xf bank_mask:0xf
	v_cmp_ne_u32_e64 s[46:47], 0, v28
	s_and_saveexec_b64 s[48:49], s[46:47]
	s_cbranch_execz .LBB1537_236
; %bb.235:
	v_cmp_eq_u16_e64 s[46:47], 0, v25
	v_and_b32_e32 v24, 1, v25
	v_mov_b32_e32 v25, 1
	v_cndmask_b32_e64 v26, 0, v27, s[46:47]
	v_and_b32_sdwa v25, v27, v25 dst_sel:DWORD dst_unused:UNUSED_PAD src0_sel:WORD_1 src1_sel:DWORD
	v_cmp_eq_u32_e64 s[46:47], 1, v24
	v_add_u16_e32 v28, v26, v22
	v_add_u16_e32 v22, v26, v22
	v_cndmask_b32_e64 v24, v25, 1, s[46:47]
	v_lshlrev_b32_e32 v25, 16, v24
	v_or_b32_e32 v26, v25, v22
	v_mov_b32_e32 v25, v24
	v_mov_b32_e32 v22, v28
.LBB1537_236:
	s_or_b64 exec, exec, s[48:49]
	v_mov_b32_dpp v26, v26 row_bcast:31 row_mask:0xf bank_mask:0xf
	v_cmp_lt_u32_e64 s[46:47], 31, v23
	s_and_saveexec_b64 s[48:49], s[46:47]
; %bb.237:
	v_cmp_eq_u16_e64 s[46:47], 0, v25
	s_nop 1
	v_cndmask_b32_e64 v24, 0, v26, s[46:47]
	v_add_u16_e32 v22, v24, v22
	v_and_b32_e32 v24, 1, v25
	v_mov_b32_e32 v25, 1
	v_and_b32_sdwa v25, v26, v25 dst_sel:DWORD dst_unused:UNUSED_PAD src0_sel:WORD_1 src1_sel:DWORD
	v_cmp_eq_u32_e64 s[46:47], 1, v24
	s_nop 1
	v_cndmask_b32_e64 v24, v25, 1, s[46:47]
; %bb.238:
	s_or_b64 exec, exec, s[48:49]
	v_or_b32_e32 v26, 63, v0
	v_lshrrev_b32_e32 v25, 6, v0
	v_cmp_eq_u32_e64 s[46:47], v26, v0
	s_and_saveexec_b64 s[48:49], s[46:47]
	s_cbranch_execz .LBB1537_240
; %bb.239:
	v_lshlrev_b32_e32 v26, 2, v25
	ds_write_b16 v26, v22
	ds_write_b8 v26, v24 offset:2
.LBB1537_240:
	s_or_b64 exec, exec, s[48:49]
	v_cmp_gt_u32_e64 s[46:47], 4, v0
	s_waitcnt lgkmcnt(0)
	s_barrier
	s_and_saveexec_b64 s[48:49], s[46:47]
	s_cbranch_execz .LBB1537_246
; %bb.241:
	v_lshlrev_b32_e32 v26, 2, v0
	ds_read_b32 v27, v26
	v_and_b32_e32 v30, 3, v23
	v_cmp_ne_u32_e64 s[46:47], 0, v30
	s_waitcnt lgkmcnt(0)
	v_lshrrev_b32_e32 v29, 16, v27
	v_mov_b32_dpp v31, v27 row_shr:1 row_mask:0xf bank_mask:0xf
	v_mov_b32_e32 v28, v27
	s_and_saveexec_b64 s[50:51], s[46:47]
	s_cbranch_execz .LBB1537_243
; %bb.242:
	v_mov_b32_e32 v28, 0
	v_cmp_eq_u16_sdwa s[46:47], v29, v28 src0_sel:BYTE_0 src1_sel:DWORD
	v_and_b32_e32 v29, 0x10000, v27
	v_mov_b32_e32 v34, 1
	v_cndmask_b32_e64 v33, 0, v31, s[46:47]
	v_and_b32_sdwa v31, v31, v34 dst_sel:DWORD dst_unused:UNUSED_PAD src0_sel:WORD_1 src1_sel:DWORD
	v_cmp_ne_u32_e64 s[46:47], 0, v29
	v_and_b32_e32 v32, 0xff000000, v27
	v_add_u16_e32 v28, v33, v27
	v_cndmask_b32_e64 v29, v31, 1, s[46:47]
	v_lshlrev_b32_e32 v31, 16, v29
	v_add_u16_e32 v27, v33, v27
	v_or3_b32 v27, v31, v32, v27
.LBB1537_243:
	s_or_b64 exec, exec, s[50:51]
	s_nop 0
	v_mov_b32_dpp v31, v27 row_shr:2 row_mask:0xf bank_mask:0xf
	v_cmp_lt_u32_e64 s[46:47], 1, v30
	s_and_saveexec_b64 s[50:51], s[46:47]
; %bb.244:
	v_and_b32_e32 v29, 0xff0000, v27
	v_cmp_eq_u32_e64 s[46:47], 0, v29
	v_and_b32_e32 v27, 0x10000, v27
	s_nop 0
	v_cndmask_b32_e64 v29, 0, v31, s[46:47]
	v_add_u16_e32 v28, v29, v28
	v_mov_b32_e32 v29, 1
	v_and_b32_sdwa v29, v31, v29 dst_sel:DWORD dst_unused:UNUSED_PAD src0_sel:WORD_1 src1_sel:DWORD
	v_cmp_eq_u32_e64 s[46:47], 0, v27
	s_nop 1
	v_cndmask_b32_e64 v29, 1, v29, s[46:47]
; %bb.245:
	s_or_b64 exec, exec, s[50:51]
	ds_write_b16 v26, v28
	ds_write_b8 v26, v29 offset:2
.LBB1537_246:
	s_or_b64 exec, exec, s[48:49]
	v_cmp_lt_u32_e64 s[46:47], 63, v0
	v_mov_b32_e32 v27, 0
	s_waitcnt vmcnt(0)
	v_mov_b32_e32 v26, v47
	s_waitcnt lgkmcnt(0)
	s_barrier
	s_and_saveexec_b64 s[48:49], s[46:47]
	s_cbranch_execz .LBB1537_248
; %bb.247:
	v_lshl_add_u32 v25, v25, 2, -4
	ds_read_u8 v27, v25 offset:2
	ds_read_u16 v25, v25
	s_waitcnt lgkmcnt(1)
	v_cmp_eq_u16_e64 s[46:47], 0, v27
	s_nop 1
	v_cndmask_b32_e64 v26, 0, v47, s[46:47]
	s_waitcnt lgkmcnt(0)
	v_add_u16_e32 v26, v26, v25
.LBB1537_248:
	s_or_b64 exec, exec, s[48:49]
	v_cmp_eq_u16_e64 s[46:47], 0, v24
	v_and_b32_e32 v24, 1, v24
	v_lshlrev_b32_e32 v27, 16, v27
	v_cndmask_b32_e64 v25, 0, v26, s[46:47]
	v_mov_b32_e32 v28, 0x10000
	v_cmp_eq_u32_e64 s[46:47], 1, v24
	v_add_u16_e32 v22, v25, v22
	v_and_b32_e32 v25, 64, v23
	v_cndmask_b32_e64 v24, v27, v28, s[46:47]
	v_or_b32_e32 v22, v24, v22
	v_add_u32_e32 v24, -1, v23
	v_cmp_lt_i32_e64 s[46:47], v24, v25
	s_nop 1
	v_cndmask_b32_e64 v24, v24, v23, s[46:47]
	v_lshlrev_b32_e32 v24, 2, v24
	ds_bpermute_b32 v22, v24, v22
	v_cmp_eq_u32_e64 s[46:47], 0, v23
	v_and_b32_e32 v23, 0xff0000, v1
	v_cmp_eq_u32_e64 s[48:49], 0, v23
	s_waitcnt lgkmcnt(0)
	v_cndmask_b32_e64 v24, v22, v26, s[46:47]
	v_cmp_eq_u32_e64 s[46:47], 0, v0
	s_nop 1
	v_cndmask_b32_e64 v22, v24, v47, s[46:47]
	v_cndmask_b32_e64 v22, 0, v22, s[48:49]
	v_add_u16_e32 v22, v22, v1
	v_cndmask_b32_e32 v1, 0, v22, vcc
	v_add_u16_e32 v23, v1, v50
	v_cndmask_b32_e64 v1, 0, v23, s[2:3]
	v_add_u16_e32 v25, v1, v21
	v_cndmask_b32_e64 v1, 0, v25, s[4:5]
	v_add_u16_e32 v26, v1, v20
	v_cndmask_b32_e64 v1, 0, v26, s[6:7]
	v_add_u16_e32 v27, v1, v19
	v_cndmask_b32_e64 v1, 0, v27, s[8:9]
	v_add_u16_e32 v29, v1, v18
	v_cndmask_b32_e64 v1, 0, v29, s[10:11]
	v_add_u16_e32 v31, v1, v51
	v_cndmask_b32_e64 v1, 0, v31, s[12:13]
	v_add_u16_e32 v28, v1, v9
	v_cndmask_b32_e64 v1, 0, v28, s[14:15]
	v_add_u16_e32 v30, v1, v8
	v_cndmask_b32_e64 v1, 0, v30, s[16:17]
	v_add_u16_e32 v34, v1, v7
	v_cndmask_b32_e64 v1, 0, v34, s[18:19]
	v_add_u16_e32 v35, v1, v6
	v_cndmask_b32_e64 v1, 0, v35, s[20:21]
	v_add_u16_e32 v36, v1, v5
	v_cndmask_b32_e64 v1, 0, v36, s[22:23]
	v_add_u16_e32 v37, v1, v4
	v_cndmask_b32_e64 v1, 0, v37, s[24:25]
	v_add_u16_e32 v39, v1, v3
	v_cndmask_b32_e64 v1, 0, v39, s[26:27]
	v_add_u16_e32 v41, v1, v2
	v_cndmask_b32_e64 v1, 0, v41, s[28:29]
	v_add_u16_e32 v38, v1, v10
	v_cndmask_b32_e64 v1, 0, v38, s[30:31]
	v_add_u16_e32 v40, v1, v11
	v_cndmask_b32_e64 v1, 0, v40, s[34:35]
	v_add_u16_e32 v42, v1, v12
	v_cndmask_b32_e64 v1, 0, v42, s[36:37]
	v_add_u16_e32 v43, v1, v13
	v_cndmask_b32_e64 v1, 0, v43, s[38:39]
	v_add_u16_e32 v44, v1, v14
	v_cndmask_b32_e64 v1, 0, v44, s[40:41]
	v_add_u16_e32 v45, v1, v15
	v_cndmask_b32_e64 v1, 0, v45, s[42:43]
	v_add_u16_e32 v46, v1, v16
	v_cndmask_b32_e64 v1, 0, v46, s[44:45]
	s_and_saveexec_b64 s[2:3], s[46:47]
	s_cbranch_execz .LBB1537_250
; %bb.249:
	v_mov_b32_e32 v4, 0
	ds_read_u8 v2, v4 offset:14
	ds_read_u16 v5, v4 offset:12
	v_mov_b32_e32 v3, 2
	v_mov_b32_e32 v24, v47
	s_waitcnt lgkmcnt(1)
	v_cmp_eq_u32_e32 vcc, 0, v2
	v_lshlrev_b32_e32 v6, 16, v2
	s_nop 0
	v_cndmask_b32_e32 v2, 0, v47, vcc
	s_waitcnt lgkmcnt(0)
	v_add_u32_e32 v2, v2, v5
	v_or_b32_sdwa v2, v6, v2 dst_sel:DWORD dst_unused:UNUSED_PAD src0_sel:DWORD src1_sel:WORD_0
	global_store_dwordx2 v4, v[2:3], s[56:57] offset:512 sc1
.LBB1537_250:
	s_or_b64 exec, exec, s[2:3]
	v_add_u16_e32 v47, v1, v17
.LBB1537_251:
	s_add_u32 s2, s54, s64
	s_addc_u32 s3, s55, s65
	s_add_u32 s2, s2, s66
	v_mul_u32_u24_e32 v1, 24, v0
	s_addc_u32 s3, s3, s67
	s_and_b64 vcc, exec, s[0:1]
	v_lshlrev_b32_e32 v6, 1, v1
	v_lshlrev_b32_e32 v2, 1, v0
	s_cbranch_vccz .LBB1537_299
; %bb.252:
	s_mov_b32 s0, 0x5040100
	v_perm_b32 v11, v31, v29, s0
	v_perm_b32 v10, v27, v26, s0
	;; [unrolled: 1-line block ×4, first 2 shown]
	s_barrier
	ds_write_b128 v6, v[8:11]
	v_perm_b32 v11, v41, v39, s0
	v_perm_b32 v10, v37, v36, s0
	;; [unrolled: 1-line block ×4, first 2 shown]
	ds_write_b128 v6, v[8:11] offset:16
	v_perm_b32 v11, v47, v46, s0
	v_perm_b32 v10, v45, v44, s0
	;; [unrolled: 1-line block ×4, first 2 shown]
	s_movk_i32 s0, 0xffd2
	v_mad_i32_i24 v3, v0, s0, v6
	ds_write_b128 v6, v[8:11] offset:32
	s_waitcnt lgkmcnt(0)
	s_barrier
	ds_read_u16 v52, v3 offset:512
	ds_read_u16 v51, v3 offset:1024
	;; [unrolled: 1-line block ×23, first 2 shown]
	s_add_i32 s33, s33, s58
	v_mov_b32_e32 v3, 0
	v_lshl_add_u64 v[4:5], s[2:3], 0, v[2:3]
	v_cmp_gt_u32_e32 vcc, s33, v0
	s_and_saveexec_b64 s[0:1], vcc
	s_cbranch_execz .LBB1537_254
; %bb.253:
	v_mul_i32_i24_e32 v53, 0xffffffd2, v0
	v_add_u32_e32 v53, v6, v53
	ds_read_u16 v53, v53
	s_waitcnt lgkmcnt(0)
	flat_store_short v[4:5], v53
.LBB1537_254:
	s_or_b64 exec, exec, s[0:1]
	v_or_b32_e32 v53, 0x100, v0
	v_cmp_gt_u32_e32 vcc, s33, v53
	s_and_saveexec_b64 s[0:1], vcc
	s_cbranch_execz .LBB1537_256
; %bb.255:
	s_waitcnt lgkmcnt(0)
	flat_store_short v[4:5], v52 offset:512
.LBB1537_256:
	s_or_b64 exec, exec, s[0:1]
	s_waitcnt lgkmcnt(0)
	v_or_b32_e32 v52, 0x200, v0
	v_cmp_gt_u32_e32 vcc, s33, v52
	s_and_saveexec_b64 s[0:1], vcc
	s_cbranch_execz .LBB1537_258
; %bb.257:
	flat_store_short v[4:5], v51 offset:1024
.LBB1537_258:
	s_or_b64 exec, exec, s[0:1]
	v_or_b32_e32 v51, 0x300, v0
	v_cmp_gt_u32_e32 vcc, s33, v51
	s_and_saveexec_b64 s[0:1], vcc
	s_cbranch_execz .LBB1537_260
; %bb.259:
	flat_store_short v[4:5], v50 offset:1536
.LBB1537_260:
	s_or_b64 exec, exec, s[0:1]
	;; [unrolled: 8-line block ×6, first 2 shown]
	v_or_b32_e32 v32, 0x800, v0
	v_cmp_gt_u32_e32 vcc, s33, v32
	s_and_saveexec_b64 s[0:1], vcc
	s_cbranch_execz .LBB1537_270
; %bb.269:
	v_add_co_u32_e32 v32, vcc, 0x1000, v4
	s_nop 1
	v_addc_co_u32_e32 v33, vcc, 0, v5, vcc
	flat_store_short v[32:33], v21
.LBB1537_270:
	s_or_b64 exec, exec, s[0:1]
	v_or_b32_e32 v21, 0x900, v0
	v_cmp_gt_u32_e32 vcc, s33, v21
	s_and_saveexec_b64 s[0:1], vcc
	s_cbranch_execz .LBB1537_272
; %bb.271:
	v_add_co_u32_e32 v32, vcc, 0x1000, v4
	s_nop 1
	v_addc_co_u32_e32 v33, vcc, 0, v5, vcc
	flat_store_short v[32:33], v20 offset:512
.LBB1537_272:
	s_or_b64 exec, exec, s[0:1]
	v_or_b32_e32 v20, 0xa00, v0
	v_cmp_gt_u32_e32 vcc, s33, v20
	s_and_saveexec_b64 s[0:1], vcc
	s_cbranch_execz .LBB1537_274
; %bb.273:
	v_add_co_u32_e32 v20, vcc, 0x1000, v4
	s_nop 1
	v_addc_co_u32_e32 v21, vcc, 0, v5, vcc
	flat_store_short v[20:21], v19 offset:1024
.LBB1537_274:
	;; [unrolled: 11-line block ×7, first 2 shown]
	s_or_b64 exec, exec, s[0:1]
	v_or_b32_e32 v14, 0x1000, v0
	v_cmp_gt_u32_e32 vcc, s33, v14
	s_and_saveexec_b64 s[0:1], vcc
	s_cbranch_execz .LBB1537_286
; %bb.285:
	v_add_co_u32_e32 v14, vcc, 0x2000, v4
	s_nop 1
	v_addc_co_u32_e32 v15, vcc, 0, v5, vcc
	flat_store_short v[14:15], v13
.LBB1537_286:
	s_or_b64 exec, exec, s[0:1]
	v_or_b32_e32 v13, 0x1100, v0
	v_cmp_gt_u32_e32 vcc, s33, v13
	s_and_saveexec_b64 s[0:1], vcc
	s_cbranch_execz .LBB1537_288
; %bb.287:
	v_add_co_u32_e32 v14, vcc, 0x2000, v4
	s_nop 1
	v_addc_co_u32_e32 v15, vcc, 0, v5, vcc
	flat_store_short v[14:15], v12 offset:512
.LBB1537_288:
	s_or_b64 exec, exec, s[0:1]
	v_or_b32_e32 v12, 0x1200, v0
	v_cmp_gt_u32_e32 vcc, s33, v12
	s_and_saveexec_b64 s[0:1], vcc
	s_cbranch_execz .LBB1537_290
; %bb.289:
	v_add_co_u32_e32 v12, vcc, 0x2000, v4
	s_nop 1
	v_addc_co_u32_e32 v13, vcc, 0, v5, vcc
	flat_store_short v[12:13], v11 offset:1024
.LBB1537_290:
	;; [unrolled: 11-line block ×6, first 2 shown]
	s_or_b64 exec, exec, s[0:1]
	v_mov_b32_e32 v1, v3
	v_or_b32_e32 v3, 0x1700, v0
	v_cmp_gt_u32_e64 s[0:1], s33, v3
	s_branch .LBB1537_301
.LBB1537_299:
	s_mov_b64 s[0:1], 0
                                        ; implicit-def: $vgpr7
	s_cbranch_execz .LBB1537_301
; %bb.300:
	s_mov_b32 s4, 0x5040100
	v_perm_b32 v11, v31, v29, s4
	v_perm_b32 v10, v27, v26, s4
	;; [unrolled: 1-line block ×4, first 2 shown]
	s_waitcnt lgkmcnt(0)
	s_barrier
	ds_write_b128 v6, v[8:11]
	v_perm_b32 v11, v41, v39, s4
	v_perm_b32 v10, v37, v36, s4
	;; [unrolled: 1-line block ×4, first 2 shown]
	ds_write_b128 v6, v[8:11] offset:16
	v_perm_b32 v11, v47, v46, s4
	v_perm_b32 v10, v45, v44, s4
	;; [unrolled: 1-line block ×4, first 2 shown]
	s_movk_i32 s4, 0xffd2
	v_mov_b32_e32 v1, 0
	v_mad_i32_i24 v3, v0, s4, v6
	ds_write_b128 v6, v[8:11] offset:32
	s_waitcnt lgkmcnt(0)
	s_barrier
	ds_read_u16 v4, v3
	ds_read_u16 v5, v3 offset:512
	ds_read_u16 v6, v3 offset:1024
	;; [unrolled: 1-line block ×23, first 2 shown]
	v_mov_b32_e32 v3, v1
	v_lshl_add_u64 v[2:3], s[2:3], 0, v[2:3]
	s_movk_i32 s4, 0x1000
	s_waitcnt lgkmcnt(0)
	flat_store_short v[2:3], v4
	flat_store_short v[2:3], v5 offset:512
	flat_store_short v[2:3], v6 offset:1024
	;; [unrolled: 1-line block ×7, first 2 shown]
	v_add_co_u32_e32 v4, vcc, s4, v2
	s_or_b64 s[0:1], s[0:1], exec
	s_nop 0
	v_addc_co_u32_e32 v5, vcc, 0, v3, vcc
	v_add_co_u32_e32 v2, vcc, 0x2000, v2
	flat_store_short v[4:5], v13
	flat_store_short v[4:5], v14 offset:512
	flat_store_short v[4:5], v15 offset:1024
	;; [unrolled: 1-line block ×7, first 2 shown]
	v_addc_co_u32_e32 v3, vcc, 0, v3, vcc
	flat_store_short v[2:3], v21
	flat_store_short v[2:3], v22 offset:512
	flat_store_short v[2:3], v23 offset:1024
	;; [unrolled: 1-line block ×6, first 2 shown]
.LBB1537_301:
	s_and_saveexec_b64 s[4:5], s[0:1]
	s_cbranch_execz .LBB1537_303
; %bb.302:
	v_lshl_add_u64 v[0:1], v[0:1], 1, s[2:3]
	v_add_co_u32_e32 v0, vcc, 0x2000, v0
	s_nop 1
	v_addc_co_u32_e32 v1, vcc, 0, v1, vcc
	flat_store_short v[0:1], v7 offset:3584
	s_endpgm
.LBB1537_303:
	s_endpgm
	.section	.rodata,"a",@progbits
	.p2align	6, 0x0
	.amdhsa_kernel _ZN7rocprim17ROCPRIM_400000_NS6detail17trampoline_kernelINS0_14default_configENS1_27scan_by_key_config_selectorIitEEZZNS1_16scan_by_key_implILNS1_25lookback_scan_determinismE0ELb1ES3_N6thrust23THRUST_200600_302600_NS6detail15normal_iteratorINS9_10device_ptrIiEEEENSB_INSC_ItEEEESG_tNS9_4plusIvEENS9_8equal_toIvEEtEE10hipError_tPvRmT2_T3_T4_T5_mT6_T7_P12ihipStream_tbENKUlT_T0_E_clISt17integral_constantIbLb0EES11_EEDaSW_SX_EUlSW_E_NS1_11comp_targetILNS1_3genE5ELNS1_11target_archE942ELNS1_3gpuE9ELNS1_3repE0EEENS1_30default_config_static_selectorELNS0_4arch9wavefront6targetE1EEEvT1_
		.amdhsa_group_segment_fixed_size 26624
		.amdhsa_private_segment_fixed_size 0
		.amdhsa_kernarg_size 112
		.amdhsa_user_sgpr_count 2
		.amdhsa_user_sgpr_dispatch_ptr 0
		.amdhsa_user_sgpr_queue_ptr 0
		.amdhsa_user_sgpr_kernarg_segment_ptr 1
		.amdhsa_user_sgpr_dispatch_id 0
		.amdhsa_user_sgpr_kernarg_preload_length 0
		.amdhsa_user_sgpr_kernarg_preload_offset 0
		.amdhsa_user_sgpr_private_segment_size 0
		.amdhsa_uses_dynamic_stack 0
		.amdhsa_enable_private_segment 0
		.amdhsa_system_sgpr_workgroup_id_x 1
		.amdhsa_system_sgpr_workgroup_id_y 0
		.amdhsa_system_sgpr_workgroup_id_z 0
		.amdhsa_system_sgpr_workgroup_info 0
		.amdhsa_system_vgpr_workitem_id 0
		.amdhsa_next_free_vgpr 58
		.amdhsa_next_free_sgpr 92
		.amdhsa_accum_offset 60
		.amdhsa_reserve_vcc 1
		.amdhsa_float_round_mode_32 0
		.amdhsa_float_round_mode_16_64 0
		.amdhsa_float_denorm_mode_32 3
		.amdhsa_float_denorm_mode_16_64 3
		.amdhsa_dx10_clamp 1
		.amdhsa_ieee_mode 1
		.amdhsa_fp16_overflow 0
		.amdhsa_tg_split 0
		.amdhsa_exception_fp_ieee_invalid_op 0
		.amdhsa_exception_fp_denorm_src 0
		.amdhsa_exception_fp_ieee_div_zero 0
		.amdhsa_exception_fp_ieee_overflow 0
		.amdhsa_exception_fp_ieee_underflow 0
		.amdhsa_exception_fp_ieee_inexact 0
		.amdhsa_exception_int_div_zero 0
	.end_amdhsa_kernel
	.section	.text._ZN7rocprim17ROCPRIM_400000_NS6detail17trampoline_kernelINS0_14default_configENS1_27scan_by_key_config_selectorIitEEZZNS1_16scan_by_key_implILNS1_25lookback_scan_determinismE0ELb1ES3_N6thrust23THRUST_200600_302600_NS6detail15normal_iteratorINS9_10device_ptrIiEEEENSB_INSC_ItEEEESG_tNS9_4plusIvEENS9_8equal_toIvEEtEE10hipError_tPvRmT2_T3_T4_T5_mT6_T7_P12ihipStream_tbENKUlT_T0_E_clISt17integral_constantIbLb0EES11_EEDaSW_SX_EUlSW_E_NS1_11comp_targetILNS1_3genE5ELNS1_11target_archE942ELNS1_3gpuE9ELNS1_3repE0EEENS1_30default_config_static_selectorELNS0_4arch9wavefront6targetE1EEEvT1_,"axG",@progbits,_ZN7rocprim17ROCPRIM_400000_NS6detail17trampoline_kernelINS0_14default_configENS1_27scan_by_key_config_selectorIitEEZZNS1_16scan_by_key_implILNS1_25lookback_scan_determinismE0ELb1ES3_N6thrust23THRUST_200600_302600_NS6detail15normal_iteratorINS9_10device_ptrIiEEEENSB_INSC_ItEEEESG_tNS9_4plusIvEENS9_8equal_toIvEEtEE10hipError_tPvRmT2_T3_T4_T5_mT6_T7_P12ihipStream_tbENKUlT_T0_E_clISt17integral_constantIbLb0EES11_EEDaSW_SX_EUlSW_E_NS1_11comp_targetILNS1_3genE5ELNS1_11target_archE942ELNS1_3gpuE9ELNS1_3repE0EEENS1_30default_config_static_selectorELNS0_4arch9wavefront6targetE1EEEvT1_,comdat
.Lfunc_end1537:
	.size	_ZN7rocprim17ROCPRIM_400000_NS6detail17trampoline_kernelINS0_14default_configENS1_27scan_by_key_config_selectorIitEEZZNS1_16scan_by_key_implILNS1_25lookback_scan_determinismE0ELb1ES3_N6thrust23THRUST_200600_302600_NS6detail15normal_iteratorINS9_10device_ptrIiEEEENSB_INSC_ItEEEESG_tNS9_4plusIvEENS9_8equal_toIvEEtEE10hipError_tPvRmT2_T3_T4_T5_mT6_T7_P12ihipStream_tbENKUlT_T0_E_clISt17integral_constantIbLb0EES11_EEDaSW_SX_EUlSW_E_NS1_11comp_targetILNS1_3genE5ELNS1_11target_archE942ELNS1_3gpuE9ELNS1_3repE0EEENS1_30default_config_static_selectorELNS0_4arch9wavefront6targetE1EEEvT1_, .Lfunc_end1537-_ZN7rocprim17ROCPRIM_400000_NS6detail17trampoline_kernelINS0_14default_configENS1_27scan_by_key_config_selectorIitEEZZNS1_16scan_by_key_implILNS1_25lookback_scan_determinismE0ELb1ES3_N6thrust23THRUST_200600_302600_NS6detail15normal_iteratorINS9_10device_ptrIiEEEENSB_INSC_ItEEEESG_tNS9_4plusIvEENS9_8equal_toIvEEtEE10hipError_tPvRmT2_T3_T4_T5_mT6_T7_P12ihipStream_tbENKUlT_T0_E_clISt17integral_constantIbLb0EES11_EEDaSW_SX_EUlSW_E_NS1_11comp_targetILNS1_3genE5ELNS1_11target_archE942ELNS1_3gpuE9ELNS1_3repE0EEENS1_30default_config_static_selectorELNS0_4arch9wavefront6targetE1EEEvT1_
                                        ; -- End function
	.section	.AMDGPU.csdata,"",@progbits
; Kernel info:
; codeLenInByte = 16396
; NumSgprs: 98
; NumVgprs: 58
; NumAgprs: 0
; TotalNumVgprs: 58
; ScratchSize: 0
; MemoryBound: 0
; FloatMode: 240
; IeeeMode: 1
; LDSByteSize: 26624 bytes/workgroup (compile time only)
; SGPRBlocks: 12
; VGPRBlocks: 7
; NumSGPRsForWavesPerEU: 98
; NumVGPRsForWavesPerEU: 58
; AccumOffset: 60
; Occupancy: 2
; WaveLimiterHint : 1
; COMPUTE_PGM_RSRC2:SCRATCH_EN: 0
; COMPUTE_PGM_RSRC2:USER_SGPR: 2
; COMPUTE_PGM_RSRC2:TRAP_HANDLER: 0
; COMPUTE_PGM_RSRC2:TGID_X_EN: 1
; COMPUTE_PGM_RSRC2:TGID_Y_EN: 0
; COMPUTE_PGM_RSRC2:TGID_Z_EN: 0
; COMPUTE_PGM_RSRC2:TIDIG_COMP_CNT: 0
; COMPUTE_PGM_RSRC3_GFX90A:ACCUM_OFFSET: 14
; COMPUTE_PGM_RSRC3_GFX90A:TG_SPLIT: 0
	.section	.text._ZN7rocprim17ROCPRIM_400000_NS6detail17trampoline_kernelINS0_14default_configENS1_27scan_by_key_config_selectorIitEEZZNS1_16scan_by_key_implILNS1_25lookback_scan_determinismE0ELb1ES3_N6thrust23THRUST_200600_302600_NS6detail15normal_iteratorINS9_10device_ptrIiEEEENSB_INSC_ItEEEESG_tNS9_4plusIvEENS9_8equal_toIvEEtEE10hipError_tPvRmT2_T3_T4_T5_mT6_T7_P12ihipStream_tbENKUlT_T0_E_clISt17integral_constantIbLb0EES11_EEDaSW_SX_EUlSW_E_NS1_11comp_targetILNS1_3genE4ELNS1_11target_archE910ELNS1_3gpuE8ELNS1_3repE0EEENS1_30default_config_static_selectorELNS0_4arch9wavefront6targetE1EEEvT1_,"axG",@progbits,_ZN7rocprim17ROCPRIM_400000_NS6detail17trampoline_kernelINS0_14default_configENS1_27scan_by_key_config_selectorIitEEZZNS1_16scan_by_key_implILNS1_25lookback_scan_determinismE0ELb1ES3_N6thrust23THRUST_200600_302600_NS6detail15normal_iteratorINS9_10device_ptrIiEEEENSB_INSC_ItEEEESG_tNS9_4plusIvEENS9_8equal_toIvEEtEE10hipError_tPvRmT2_T3_T4_T5_mT6_T7_P12ihipStream_tbENKUlT_T0_E_clISt17integral_constantIbLb0EES11_EEDaSW_SX_EUlSW_E_NS1_11comp_targetILNS1_3genE4ELNS1_11target_archE910ELNS1_3gpuE8ELNS1_3repE0EEENS1_30default_config_static_selectorELNS0_4arch9wavefront6targetE1EEEvT1_,comdat
	.protected	_ZN7rocprim17ROCPRIM_400000_NS6detail17trampoline_kernelINS0_14default_configENS1_27scan_by_key_config_selectorIitEEZZNS1_16scan_by_key_implILNS1_25lookback_scan_determinismE0ELb1ES3_N6thrust23THRUST_200600_302600_NS6detail15normal_iteratorINS9_10device_ptrIiEEEENSB_INSC_ItEEEESG_tNS9_4plusIvEENS9_8equal_toIvEEtEE10hipError_tPvRmT2_T3_T4_T5_mT6_T7_P12ihipStream_tbENKUlT_T0_E_clISt17integral_constantIbLb0EES11_EEDaSW_SX_EUlSW_E_NS1_11comp_targetILNS1_3genE4ELNS1_11target_archE910ELNS1_3gpuE8ELNS1_3repE0EEENS1_30default_config_static_selectorELNS0_4arch9wavefront6targetE1EEEvT1_ ; -- Begin function _ZN7rocprim17ROCPRIM_400000_NS6detail17trampoline_kernelINS0_14default_configENS1_27scan_by_key_config_selectorIitEEZZNS1_16scan_by_key_implILNS1_25lookback_scan_determinismE0ELb1ES3_N6thrust23THRUST_200600_302600_NS6detail15normal_iteratorINS9_10device_ptrIiEEEENSB_INSC_ItEEEESG_tNS9_4plusIvEENS9_8equal_toIvEEtEE10hipError_tPvRmT2_T3_T4_T5_mT6_T7_P12ihipStream_tbENKUlT_T0_E_clISt17integral_constantIbLb0EES11_EEDaSW_SX_EUlSW_E_NS1_11comp_targetILNS1_3genE4ELNS1_11target_archE910ELNS1_3gpuE8ELNS1_3repE0EEENS1_30default_config_static_selectorELNS0_4arch9wavefront6targetE1EEEvT1_
	.globl	_ZN7rocprim17ROCPRIM_400000_NS6detail17trampoline_kernelINS0_14default_configENS1_27scan_by_key_config_selectorIitEEZZNS1_16scan_by_key_implILNS1_25lookback_scan_determinismE0ELb1ES3_N6thrust23THRUST_200600_302600_NS6detail15normal_iteratorINS9_10device_ptrIiEEEENSB_INSC_ItEEEESG_tNS9_4plusIvEENS9_8equal_toIvEEtEE10hipError_tPvRmT2_T3_T4_T5_mT6_T7_P12ihipStream_tbENKUlT_T0_E_clISt17integral_constantIbLb0EES11_EEDaSW_SX_EUlSW_E_NS1_11comp_targetILNS1_3genE4ELNS1_11target_archE910ELNS1_3gpuE8ELNS1_3repE0EEENS1_30default_config_static_selectorELNS0_4arch9wavefront6targetE1EEEvT1_
	.p2align	8
	.type	_ZN7rocprim17ROCPRIM_400000_NS6detail17trampoline_kernelINS0_14default_configENS1_27scan_by_key_config_selectorIitEEZZNS1_16scan_by_key_implILNS1_25lookback_scan_determinismE0ELb1ES3_N6thrust23THRUST_200600_302600_NS6detail15normal_iteratorINS9_10device_ptrIiEEEENSB_INSC_ItEEEESG_tNS9_4plusIvEENS9_8equal_toIvEEtEE10hipError_tPvRmT2_T3_T4_T5_mT6_T7_P12ihipStream_tbENKUlT_T0_E_clISt17integral_constantIbLb0EES11_EEDaSW_SX_EUlSW_E_NS1_11comp_targetILNS1_3genE4ELNS1_11target_archE910ELNS1_3gpuE8ELNS1_3repE0EEENS1_30default_config_static_selectorELNS0_4arch9wavefront6targetE1EEEvT1_,@function
_ZN7rocprim17ROCPRIM_400000_NS6detail17trampoline_kernelINS0_14default_configENS1_27scan_by_key_config_selectorIitEEZZNS1_16scan_by_key_implILNS1_25lookback_scan_determinismE0ELb1ES3_N6thrust23THRUST_200600_302600_NS6detail15normal_iteratorINS9_10device_ptrIiEEEENSB_INSC_ItEEEESG_tNS9_4plusIvEENS9_8equal_toIvEEtEE10hipError_tPvRmT2_T3_T4_T5_mT6_T7_P12ihipStream_tbENKUlT_T0_E_clISt17integral_constantIbLb0EES11_EEDaSW_SX_EUlSW_E_NS1_11comp_targetILNS1_3genE4ELNS1_11target_archE910ELNS1_3gpuE8ELNS1_3repE0EEENS1_30default_config_static_selectorELNS0_4arch9wavefront6targetE1EEEvT1_: ; @_ZN7rocprim17ROCPRIM_400000_NS6detail17trampoline_kernelINS0_14default_configENS1_27scan_by_key_config_selectorIitEEZZNS1_16scan_by_key_implILNS1_25lookback_scan_determinismE0ELb1ES3_N6thrust23THRUST_200600_302600_NS6detail15normal_iteratorINS9_10device_ptrIiEEEENSB_INSC_ItEEEESG_tNS9_4plusIvEENS9_8equal_toIvEEtEE10hipError_tPvRmT2_T3_T4_T5_mT6_T7_P12ihipStream_tbENKUlT_T0_E_clISt17integral_constantIbLb0EES11_EEDaSW_SX_EUlSW_E_NS1_11comp_targetILNS1_3genE4ELNS1_11target_archE910ELNS1_3gpuE8ELNS1_3repE0EEENS1_30default_config_static_selectorELNS0_4arch9wavefront6targetE1EEEvT1_
; %bb.0:
	.section	.rodata,"a",@progbits
	.p2align	6, 0x0
	.amdhsa_kernel _ZN7rocprim17ROCPRIM_400000_NS6detail17trampoline_kernelINS0_14default_configENS1_27scan_by_key_config_selectorIitEEZZNS1_16scan_by_key_implILNS1_25lookback_scan_determinismE0ELb1ES3_N6thrust23THRUST_200600_302600_NS6detail15normal_iteratorINS9_10device_ptrIiEEEENSB_INSC_ItEEEESG_tNS9_4plusIvEENS9_8equal_toIvEEtEE10hipError_tPvRmT2_T3_T4_T5_mT6_T7_P12ihipStream_tbENKUlT_T0_E_clISt17integral_constantIbLb0EES11_EEDaSW_SX_EUlSW_E_NS1_11comp_targetILNS1_3genE4ELNS1_11target_archE910ELNS1_3gpuE8ELNS1_3repE0EEENS1_30default_config_static_selectorELNS0_4arch9wavefront6targetE1EEEvT1_
		.amdhsa_group_segment_fixed_size 0
		.amdhsa_private_segment_fixed_size 0
		.amdhsa_kernarg_size 112
		.amdhsa_user_sgpr_count 2
		.amdhsa_user_sgpr_dispatch_ptr 0
		.amdhsa_user_sgpr_queue_ptr 0
		.amdhsa_user_sgpr_kernarg_segment_ptr 1
		.amdhsa_user_sgpr_dispatch_id 0
		.amdhsa_user_sgpr_kernarg_preload_length 0
		.amdhsa_user_sgpr_kernarg_preload_offset 0
		.amdhsa_user_sgpr_private_segment_size 0
		.amdhsa_uses_dynamic_stack 0
		.amdhsa_enable_private_segment 0
		.amdhsa_system_sgpr_workgroup_id_x 1
		.amdhsa_system_sgpr_workgroup_id_y 0
		.amdhsa_system_sgpr_workgroup_id_z 0
		.amdhsa_system_sgpr_workgroup_info 0
		.amdhsa_system_vgpr_workitem_id 0
		.amdhsa_next_free_vgpr 1
		.amdhsa_next_free_sgpr 0
		.amdhsa_accum_offset 4
		.amdhsa_reserve_vcc 0
		.amdhsa_float_round_mode_32 0
		.amdhsa_float_round_mode_16_64 0
		.amdhsa_float_denorm_mode_32 3
		.amdhsa_float_denorm_mode_16_64 3
		.amdhsa_dx10_clamp 1
		.amdhsa_ieee_mode 1
		.amdhsa_fp16_overflow 0
		.amdhsa_tg_split 0
		.amdhsa_exception_fp_ieee_invalid_op 0
		.amdhsa_exception_fp_denorm_src 0
		.amdhsa_exception_fp_ieee_div_zero 0
		.amdhsa_exception_fp_ieee_overflow 0
		.amdhsa_exception_fp_ieee_underflow 0
		.amdhsa_exception_fp_ieee_inexact 0
		.amdhsa_exception_int_div_zero 0
	.end_amdhsa_kernel
	.section	.text._ZN7rocprim17ROCPRIM_400000_NS6detail17trampoline_kernelINS0_14default_configENS1_27scan_by_key_config_selectorIitEEZZNS1_16scan_by_key_implILNS1_25lookback_scan_determinismE0ELb1ES3_N6thrust23THRUST_200600_302600_NS6detail15normal_iteratorINS9_10device_ptrIiEEEENSB_INSC_ItEEEESG_tNS9_4plusIvEENS9_8equal_toIvEEtEE10hipError_tPvRmT2_T3_T4_T5_mT6_T7_P12ihipStream_tbENKUlT_T0_E_clISt17integral_constantIbLb0EES11_EEDaSW_SX_EUlSW_E_NS1_11comp_targetILNS1_3genE4ELNS1_11target_archE910ELNS1_3gpuE8ELNS1_3repE0EEENS1_30default_config_static_selectorELNS0_4arch9wavefront6targetE1EEEvT1_,"axG",@progbits,_ZN7rocprim17ROCPRIM_400000_NS6detail17trampoline_kernelINS0_14default_configENS1_27scan_by_key_config_selectorIitEEZZNS1_16scan_by_key_implILNS1_25lookback_scan_determinismE0ELb1ES3_N6thrust23THRUST_200600_302600_NS6detail15normal_iteratorINS9_10device_ptrIiEEEENSB_INSC_ItEEEESG_tNS9_4plusIvEENS9_8equal_toIvEEtEE10hipError_tPvRmT2_T3_T4_T5_mT6_T7_P12ihipStream_tbENKUlT_T0_E_clISt17integral_constantIbLb0EES11_EEDaSW_SX_EUlSW_E_NS1_11comp_targetILNS1_3genE4ELNS1_11target_archE910ELNS1_3gpuE8ELNS1_3repE0EEENS1_30default_config_static_selectorELNS0_4arch9wavefront6targetE1EEEvT1_,comdat
.Lfunc_end1538:
	.size	_ZN7rocprim17ROCPRIM_400000_NS6detail17trampoline_kernelINS0_14default_configENS1_27scan_by_key_config_selectorIitEEZZNS1_16scan_by_key_implILNS1_25lookback_scan_determinismE0ELb1ES3_N6thrust23THRUST_200600_302600_NS6detail15normal_iteratorINS9_10device_ptrIiEEEENSB_INSC_ItEEEESG_tNS9_4plusIvEENS9_8equal_toIvEEtEE10hipError_tPvRmT2_T3_T4_T5_mT6_T7_P12ihipStream_tbENKUlT_T0_E_clISt17integral_constantIbLb0EES11_EEDaSW_SX_EUlSW_E_NS1_11comp_targetILNS1_3genE4ELNS1_11target_archE910ELNS1_3gpuE8ELNS1_3repE0EEENS1_30default_config_static_selectorELNS0_4arch9wavefront6targetE1EEEvT1_, .Lfunc_end1538-_ZN7rocprim17ROCPRIM_400000_NS6detail17trampoline_kernelINS0_14default_configENS1_27scan_by_key_config_selectorIitEEZZNS1_16scan_by_key_implILNS1_25lookback_scan_determinismE0ELb1ES3_N6thrust23THRUST_200600_302600_NS6detail15normal_iteratorINS9_10device_ptrIiEEEENSB_INSC_ItEEEESG_tNS9_4plusIvEENS9_8equal_toIvEEtEE10hipError_tPvRmT2_T3_T4_T5_mT6_T7_P12ihipStream_tbENKUlT_T0_E_clISt17integral_constantIbLb0EES11_EEDaSW_SX_EUlSW_E_NS1_11comp_targetILNS1_3genE4ELNS1_11target_archE910ELNS1_3gpuE8ELNS1_3repE0EEENS1_30default_config_static_selectorELNS0_4arch9wavefront6targetE1EEEvT1_
                                        ; -- End function
	.section	.AMDGPU.csdata,"",@progbits
; Kernel info:
; codeLenInByte = 0
; NumSgprs: 6
; NumVgprs: 0
; NumAgprs: 0
; TotalNumVgprs: 0
; ScratchSize: 0
; MemoryBound: 0
; FloatMode: 240
; IeeeMode: 1
; LDSByteSize: 0 bytes/workgroup (compile time only)
; SGPRBlocks: 0
; VGPRBlocks: 0
; NumSGPRsForWavesPerEU: 6
; NumVGPRsForWavesPerEU: 1
; AccumOffset: 4
; Occupancy: 8
; WaveLimiterHint : 0
; COMPUTE_PGM_RSRC2:SCRATCH_EN: 0
; COMPUTE_PGM_RSRC2:USER_SGPR: 2
; COMPUTE_PGM_RSRC2:TRAP_HANDLER: 0
; COMPUTE_PGM_RSRC2:TGID_X_EN: 1
; COMPUTE_PGM_RSRC2:TGID_Y_EN: 0
; COMPUTE_PGM_RSRC2:TGID_Z_EN: 0
; COMPUTE_PGM_RSRC2:TIDIG_COMP_CNT: 0
; COMPUTE_PGM_RSRC3_GFX90A:ACCUM_OFFSET: 0
; COMPUTE_PGM_RSRC3_GFX90A:TG_SPLIT: 0
	.section	.text._ZN7rocprim17ROCPRIM_400000_NS6detail17trampoline_kernelINS0_14default_configENS1_27scan_by_key_config_selectorIitEEZZNS1_16scan_by_key_implILNS1_25lookback_scan_determinismE0ELb1ES3_N6thrust23THRUST_200600_302600_NS6detail15normal_iteratorINS9_10device_ptrIiEEEENSB_INSC_ItEEEESG_tNS9_4plusIvEENS9_8equal_toIvEEtEE10hipError_tPvRmT2_T3_T4_T5_mT6_T7_P12ihipStream_tbENKUlT_T0_E_clISt17integral_constantIbLb0EES11_EEDaSW_SX_EUlSW_E_NS1_11comp_targetILNS1_3genE3ELNS1_11target_archE908ELNS1_3gpuE7ELNS1_3repE0EEENS1_30default_config_static_selectorELNS0_4arch9wavefront6targetE1EEEvT1_,"axG",@progbits,_ZN7rocprim17ROCPRIM_400000_NS6detail17trampoline_kernelINS0_14default_configENS1_27scan_by_key_config_selectorIitEEZZNS1_16scan_by_key_implILNS1_25lookback_scan_determinismE0ELb1ES3_N6thrust23THRUST_200600_302600_NS6detail15normal_iteratorINS9_10device_ptrIiEEEENSB_INSC_ItEEEESG_tNS9_4plusIvEENS9_8equal_toIvEEtEE10hipError_tPvRmT2_T3_T4_T5_mT6_T7_P12ihipStream_tbENKUlT_T0_E_clISt17integral_constantIbLb0EES11_EEDaSW_SX_EUlSW_E_NS1_11comp_targetILNS1_3genE3ELNS1_11target_archE908ELNS1_3gpuE7ELNS1_3repE0EEENS1_30default_config_static_selectorELNS0_4arch9wavefront6targetE1EEEvT1_,comdat
	.protected	_ZN7rocprim17ROCPRIM_400000_NS6detail17trampoline_kernelINS0_14default_configENS1_27scan_by_key_config_selectorIitEEZZNS1_16scan_by_key_implILNS1_25lookback_scan_determinismE0ELb1ES3_N6thrust23THRUST_200600_302600_NS6detail15normal_iteratorINS9_10device_ptrIiEEEENSB_INSC_ItEEEESG_tNS9_4plusIvEENS9_8equal_toIvEEtEE10hipError_tPvRmT2_T3_T4_T5_mT6_T7_P12ihipStream_tbENKUlT_T0_E_clISt17integral_constantIbLb0EES11_EEDaSW_SX_EUlSW_E_NS1_11comp_targetILNS1_3genE3ELNS1_11target_archE908ELNS1_3gpuE7ELNS1_3repE0EEENS1_30default_config_static_selectorELNS0_4arch9wavefront6targetE1EEEvT1_ ; -- Begin function _ZN7rocprim17ROCPRIM_400000_NS6detail17trampoline_kernelINS0_14default_configENS1_27scan_by_key_config_selectorIitEEZZNS1_16scan_by_key_implILNS1_25lookback_scan_determinismE0ELb1ES3_N6thrust23THRUST_200600_302600_NS6detail15normal_iteratorINS9_10device_ptrIiEEEENSB_INSC_ItEEEESG_tNS9_4plusIvEENS9_8equal_toIvEEtEE10hipError_tPvRmT2_T3_T4_T5_mT6_T7_P12ihipStream_tbENKUlT_T0_E_clISt17integral_constantIbLb0EES11_EEDaSW_SX_EUlSW_E_NS1_11comp_targetILNS1_3genE3ELNS1_11target_archE908ELNS1_3gpuE7ELNS1_3repE0EEENS1_30default_config_static_selectorELNS0_4arch9wavefront6targetE1EEEvT1_
	.globl	_ZN7rocprim17ROCPRIM_400000_NS6detail17trampoline_kernelINS0_14default_configENS1_27scan_by_key_config_selectorIitEEZZNS1_16scan_by_key_implILNS1_25lookback_scan_determinismE0ELb1ES3_N6thrust23THRUST_200600_302600_NS6detail15normal_iteratorINS9_10device_ptrIiEEEENSB_INSC_ItEEEESG_tNS9_4plusIvEENS9_8equal_toIvEEtEE10hipError_tPvRmT2_T3_T4_T5_mT6_T7_P12ihipStream_tbENKUlT_T0_E_clISt17integral_constantIbLb0EES11_EEDaSW_SX_EUlSW_E_NS1_11comp_targetILNS1_3genE3ELNS1_11target_archE908ELNS1_3gpuE7ELNS1_3repE0EEENS1_30default_config_static_selectorELNS0_4arch9wavefront6targetE1EEEvT1_
	.p2align	8
	.type	_ZN7rocprim17ROCPRIM_400000_NS6detail17trampoline_kernelINS0_14default_configENS1_27scan_by_key_config_selectorIitEEZZNS1_16scan_by_key_implILNS1_25lookback_scan_determinismE0ELb1ES3_N6thrust23THRUST_200600_302600_NS6detail15normal_iteratorINS9_10device_ptrIiEEEENSB_INSC_ItEEEESG_tNS9_4plusIvEENS9_8equal_toIvEEtEE10hipError_tPvRmT2_T3_T4_T5_mT6_T7_P12ihipStream_tbENKUlT_T0_E_clISt17integral_constantIbLb0EES11_EEDaSW_SX_EUlSW_E_NS1_11comp_targetILNS1_3genE3ELNS1_11target_archE908ELNS1_3gpuE7ELNS1_3repE0EEENS1_30default_config_static_selectorELNS0_4arch9wavefront6targetE1EEEvT1_,@function
_ZN7rocprim17ROCPRIM_400000_NS6detail17trampoline_kernelINS0_14default_configENS1_27scan_by_key_config_selectorIitEEZZNS1_16scan_by_key_implILNS1_25lookback_scan_determinismE0ELb1ES3_N6thrust23THRUST_200600_302600_NS6detail15normal_iteratorINS9_10device_ptrIiEEEENSB_INSC_ItEEEESG_tNS9_4plusIvEENS9_8equal_toIvEEtEE10hipError_tPvRmT2_T3_T4_T5_mT6_T7_P12ihipStream_tbENKUlT_T0_E_clISt17integral_constantIbLb0EES11_EEDaSW_SX_EUlSW_E_NS1_11comp_targetILNS1_3genE3ELNS1_11target_archE908ELNS1_3gpuE7ELNS1_3repE0EEENS1_30default_config_static_selectorELNS0_4arch9wavefront6targetE1EEEvT1_: ; @_ZN7rocprim17ROCPRIM_400000_NS6detail17trampoline_kernelINS0_14default_configENS1_27scan_by_key_config_selectorIitEEZZNS1_16scan_by_key_implILNS1_25lookback_scan_determinismE0ELb1ES3_N6thrust23THRUST_200600_302600_NS6detail15normal_iteratorINS9_10device_ptrIiEEEENSB_INSC_ItEEEESG_tNS9_4plusIvEENS9_8equal_toIvEEtEE10hipError_tPvRmT2_T3_T4_T5_mT6_T7_P12ihipStream_tbENKUlT_T0_E_clISt17integral_constantIbLb0EES11_EEDaSW_SX_EUlSW_E_NS1_11comp_targetILNS1_3genE3ELNS1_11target_archE908ELNS1_3gpuE7ELNS1_3repE0EEENS1_30default_config_static_selectorELNS0_4arch9wavefront6targetE1EEEvT1_
; %bb.0:
	.section	.rodata,"a",@progbits
	.p2align	6, 0x0
	.amdhsa_kernel _ZN7rocprim17ROCPRIM_400000_NS6detail17trampoline_kernelINS0_14default_configENS1_27scan_by_key_config_selectorIitEEZZNS1_16scan_by_key_implILNS1_25lookback_scan_determinismE0ELb1ES3_N6thrust23THRUST_200600_302600_NS6detail15normal_iteratorINS9_10device_ptrIiEEEENSB_INSC_ItEEEESG_tNS9_4plusIvEENS9_8equal_toIvEEtEE10hipError_tPvRmT2_T3_T4_T5_mT6_T7_P12ihipStream_tbENKUlT_T0_E_clISt17integral_constantIbLb0EES11_EEDaSW_SX_EUlSW_E_NS1_11comp_targetILNS1_3genE3ELNS1_11target_archE908ELNS1_3gpuE7ELNS1_3repE0EEENS1_30default_config_static_selectorELNS0_4arch9wavefront6targetE1EEEvT1_
		.amdhsa_group_segment_fixed_size 0
		.amdhsa_private_segment_fixed_size 0
		.amdhsa_kernarg_size 112
		.amdhsa_user_sgpr_count 2
		.amdhsa_user_sgpr_dispatch_ptr 0
		.amdhsa_user_sgpr_queue_ptr 0
		.amdhsa_user_sgpr_kernarg_segment_ptr 1
		.amdhsa_user_sgpr_dispatch_id 0
		.amdhsa_user_sgpr_kernarg_preload_length 0
		.amdhsa_user_sgpr_kernarg_preload_offset 0
		.amdhsa_user_sgpr_private_segment_size 0
		.amdhsa_uses_dynamic_stack 0
		.amdhsa_enable_private_segment 0
		.amdhsa_system_sgpr_workgroup_id_x 1
		.amdhsa_system_sgpr_workgroup_id_y 0
		.amdhsa_system_sgpr_workgroup_id_z 0
		.amdhsa_system_sgpr_workgroup_info 0
		.amdhsa_system_vgpr_workitem_id 0
		.amdhsa_next_free_vgpr 1
		.amdhsa_next_free_sgpr 0
		.amdhsa_accum_offset 4
		.amdhsa_reserve_vcc 0
		.amdhsa_float_round_mode_32 0
		.amdhsa_float_round_mode_16_64 0
		.amdhsa_float_denorm_mode_32 3
		.amdhsa_float_denorm_mode_16_64 3
		.amdhsa_dx10_clamp 1
		.amdhsa_ieee_mode 1
		.amdhsa_fp16_overflow 0
		.amdhsa_tg_split 0
		.amdhsa_exception_fp_ieee_invalid_op 0
		.amdhsa_exception_fp_denorm_src 0
		.amdhsa_exception_fp_ieee_div_zero 0
		.amdhsa_exception_fp_ieee_overflow 0
		.amdhsa_exception_fp_ieee_underflow 0
		.amdhsa_exception_fp_ieee_inexact 0
		.amdhsa_exception_int_div_zero 0
	.end_amdhsa_kernel
	.section	.text._ZN7rocprim17ROCPRIM_400000_NS6detail17trampoline_kernelINS0_14default_configENS1_27scan_by_key_config_selectorIitEEZZNS1_16scan_by_key_implILNS1_25lookback_scan_determinismE0ELb1ES3_N6thrust23THRUST_200600_302600_NS6detail15normal_iteratorINS9_10device_ptrIiEEEENSB_INSC_ItEEEESG_tNS9_4plusIvEENS9_8equal_toIvEEtEE10hipError_tPvRmT2_T3_T4_T5_mT6_T7_P12ihipStream_tbENKUlT_T0_E_clISt17integral_constantIbLb0EES11_EEDaSW_SX_EUlSW_E_NS1_11comp_targetILNS1_3genE3ELNS1_11target_archE908ELNS1_3gpuE7ELNS1_3repE0EEENS1_30default_config_static_selectorELNS0_4arch9wavefront6targetE1EEEvT1_,"axG",@progbits,_ZN7rocprim17ROCPRIM_400000_NS6detail17trampoline_kernelINS0_14default_configENS1_27scan_by_key_config_selectorIitEEZZNS1_16scan_by_key_implILNS1_25lookback_scan_determinismE0ELb1ES3_N6thrust23THRUST_200600_302600_NS6detail15normal_iteratorINS9_10device_ptrIiEEEENSB_INSC_ItEEEESG_tNS9_4plusIvEENS9_8equal_toIvEEtEE10hipError_tPvRmT2_T3_T4_T5_mT6_T7_P12ihipStream_tbENKUlT_T0_E_clISt17integral_constantIbLb0EES11_EEDaSW_SX_EUlSW_E_NS1_11comp_targetILNS1_3genE3ELNS1_11target_archE908ELNS1_3gpuE7ELNS1_3repE0EEENS1_30default_config_static_selectorELNS0_4arch9wavefront6targetE1EEEvT1_,comdat
.Lfunc_end1539:
	.size	_ZN7rocprim17ROCPRIM_400000_NS6detail17trampoline_kernelINS0_14default_configENS1_27scan_by_key_config_selectorIitEEZZNS1_16scan_by_key_implILNS1_25lookback_scan_determinismE0ELb1ES3_N6thrust23THRUST_200600_302600_NS6detail15normal_iteratorINS9_10device_ptrIiEEEENSB_INSC_ItEEEESG_tNS9_4plusIvEENS9_8equal_toIvEEtEE10hipError_tPvRmT2_T3_T4_T5_mT6_T7_P12ihipStream_tbENKUlT_T0_E_clISt17integral_constantIbLb0EES11_EEDaSW_SX_EUlSW_E_NS1_11comp_targetILNS1_3genE3ELNS1_11target_archE908ELNS1_3gpuE7ELNS1_3repE0EEENS1_30default_config_static_selectorELNS0_4arch9wavefront6targetE1EEEvT1_, .Lfunc_end1539-_ZN7rocprim17ROCPRIM_400000_NS6detail17trampoline_kernelINS0_14default_configENS1_27scan_by_key_config_selectorIitEEZZNS1_16scan_by_key_implILNS1_25lookback_scan_determinismE0ELb1ES3_N6thrust23THRUST_200600_302600_NS6detail15normal_iteratorINS9_10device_ptrIiEEEENSB_INSC_ItEEEESG_tNS9_4plusIvEENS9_8equal_toIvEEtEE10hipError_tPvRmT2_T3_T4_T5_mT6_T7_P12ihipStream_tbENKUlT_T0_E_clISt17integral_constantIbLb0EES11_EEDaSW_SX_EUlSW_E_NS1_11comp_targetILNS1_3genE3ELNS1_11target_archE908ELNS1_3gpuE7ELNS1_3repE0EEENS1_30default_config_static_selectorELNS0_4arch9wavefront6targetE1EEEvT1_
                                        ; -- End function
	.section	.AMDGPU.csdata,"",@progbits
; Kernel info:
; codeLenInByte = 0
; NumSgprs: 6
; NumVgprs: 0
; NumAgprs: 0
; TotalNumVgprs: 0
; ScratchSize: 0
; MemoryBound: 0
; FloatMode: 240
; IeeeMode: 1
; LDSByteSize: 0 bytes/workgroup (compile time only)
; SGPRBlocks: 0
; VGPRBlocks: 0
; NumSGPRsForWavesPerEU: 6
; NumVGPRsForWavesPerEU: 1
; AccumOffset: 4
; Occupancy: 8
; WaveLimiterHint : 0
; COMPUTE_PGM_RSRC2:SCRATCH_EN: 0
; COMPUTE_PGM_RSRC2:USER_SGPR: 2
; COMPUTE_PGM_RSRC2:TRAP_HANDLER: 0
; COMPUTE_PGM_RSRC2:TGID_X_EN: 1
; COMPUTE_PGM_RSRC2:TGID_Y_EN: 0
; COMPUTE_PGM_RSRC2:TGID_Z_EN: 0
; COMPUTE_PGM_RSRC2:TIDIG_COMP_CNT: 0
; COMPUTE_PGM_RSRC3_GFX90A:ACCUM_OFFSET: 0
; COMPUTE_PGM_RSRC3_GFX90A:TG_SPLIT: 0
	.section	.text._ZN7rocprim17ROCPRIM_400000_NS6detail17trampoline_kernelINS0_14default_configENS1_27scan_by_key_config_selectorIitEEZZNS1_16scan_by_key_implILNS1_25lookback_scan_determinismE0ELb1ES3_N6thrust23THRUST_200600_302600_NS6detail15normal_iteratorINS9_10device_ptrIiEEEENSB_INSC_ItEEEESG_tNS9_4plusIvEENS9_8equal_toIvEEtEE10hipError_tPvRmT2_T3_T4_T5_mT6_T7_P12ihipStream_tbENKUlT_T0_E_clISt17integral_constantIbLb0EES11_EEDaSW_SX_EUlSW_E_NS1_11comp_targetILNS1_3genE2ELNS1_11target_archE906ELNS1_3gpuE6ELNS1_3repE0EEENS1_30default_config_static_selectorELNS0_4arch9wavefront6targetE1EEEvT1_,"axG",@progbits,_ZN7rocprim17ROCPRIM_400000_NS6detail17trampoline_kernelINS0_14default_configENS1_27scan_by_key_config_selectorIitEEZZNS1_16scan_by_key_implILNS1_25lookback_scan_determinismE0ELb1ES3_N6thrust23THRUST_200600_302600_NS6detail15normal_iteratorINS9_10device_ptrIiEEEENSB_INSC_ItEEEESG_tNS9_4plusIvEENS9_8equal_toIvEEtEE10hipError_tPvRmT2_T3_T4_T5_mT6_T7_P12ihipStream_tbENKUlT_T0_E_clISt17integral_constantIbLb0EES11_EEDaSW_SX_EUlSW_E_NS1_11comp_targetILNS1_3genE2ELNS1_11target_archE906ELNS1_3gpuE6ELNS1_3repE0EEENS1_30default_config_static_selectorELNS0_4arch9wavefront6targetE1EEEvT1_,comdat
	.protected	_ZN7rocprim17ROCPRIM_400000_NS6detail17trampoline_kernelINS0_14default_configENS1_27scan_by_key_config_selectorIitEEZZNS1_16scan_by_key_implILNS1_25lookback_scan_determinismE0ELb1ES3_N6thrust23THRUST_200600_302600_NS6detail15normal_iteratorINS9_10device_ptrIiEEEENSB_INSC_ItEEEESG_tNS9_4plusIvEENS9_8equal_toIvEEtEE10hipError_tPvRmT2_T3_T4_T5_mT6_T7_P12ihipStream_tbENKUlT_T0_E_clISt17integral_constantIbLb0EES11_EEDaSW_SX_EUlSW_E_NS1_11comp_targetILNS1_3genE2ELNS1_11target_archE906ELNS1_3gpuE6ELNS1_3repE0EEENS1_30default_config_static_selectorELNS0_4arch9wavefront6targetE1EEEvT1_ ; -- Begin function _ZN7rocprim17ROCPRIM_400000_NS6detail17trampoline_kernelINS0_14default_configENS1_27scan_by_key_config_selectorIitEEZZNS1_16scan_by_key_implILNS1_25lookback_scan_determinismE0ELb1ES3_N6thrust23THRUST_200600_302600_NS6detail15normal_iteratorINS9_10device_ptrIiEEEENSB_INSC_ItEEEESG_tNS9_4plusIvEENS9_8equal_toIvEEtEE10hipError_tPvRmT2_T3_T4_T5_mT6_T7_P12ihipStream_tbENKUlT_T0_E_clISt17integral_constantIbLb0EES11_EEDaSW_SX_EUlSW_E_NS1_11comp_targetILNS1_3genE2ELNS1_11target_archE906ELNS1_3gpuE6ELNS1_3repE0EEENS1_30default_config_static_selectorELNS0_4arch9wavefront6targetE1EEEvT1_
	.globl	_ZN7rocprim17ROCPRIM_400000_NS6detail17trampoline_kernelINS0_14default_configENS1_27scan_by_key_config_selectorIitEEZZNS1_16scan_by_key_implILNS1_25lookback_scan_determinismE0ELb1ES3_N6thrust23THRUST_200600_302600_NS6detail15normal_iteratorINS9_10device_ptrIiEEEENSB_INSC_ItEEEESG_tNS9_4plusIvEENS9_8equal_toIvEEtEE10hipError_tPvRmT2_T3_T4_T5_mT6_T7_P12ihipStream_tbENKUlT_T0_E_clISt17integral_constantIbLb0EES11_EEDaSW_SX_EUlSW_E_NS1_11comp_targetILNS1_3genE2ELNS1_11target_archE906ELNS1_3gpuE6ELNS1_3repE0EEENS1_30default_config_static_selectorELNS0_4arch9wavefront6targetE1EEEvT1_
	.p2align	8
	.type	_ZN7rocprim17ROCPRIM_400000_NS6detail17trampoline_kernelINS0_14default_configENS1_27scan_by_key_config_selectorIitEEZZNS1_16scan_by_key_implILNS1_25lookback_scan_determinismE0ELb1ES3_N6thrust23THRUST_200600_302600_NS6detail15normal_iteratorINS9_10device_ptrIiEEEENSB_INSC_ItEEEESG_tNS9_4plusIvEENS9_8equal_toIvEEtEE10hipError_tPvRmT2_T3_T4_T5_mT6_T7_P12ihipStream_tbENKUlT_T0_E_clISt17integral_constantIbLb0EES11_EEDaSW_SX_EUlSW_E_NS1_11comp_targetILNS1_3genE2ELNS1_11target_archE906ELNS1_3gpuE6ELNS1_3repE0EEENS1_30default_config_static_selectorELNS0_4arch9wavefront6targetE1EEEvT1_,@function
_ZN7rocprim17ROCPRIM_400000_NS6detail17trampoline_kernelINS0_14default_configENS1_27scan_by_key_config_selectorIitEEZZNS1_16scan_by_key_implILNS1_25lookback_scan_determinismE0ELb1ES3_N6thrust23THRUST_200600_302600_NS6detail15normal_iteratorINS9_10device_ptrIiEEEENSB_INSC_ItEEEESG_tNS9_4plusIvEENS9_8equal_toIvEEtEE10hipError_tPvRmT2_T3_T4_T5_mT6_T7_P12ihipStream_tbENKUlT_T0_E_clISt17integral_constantIbLb0EES11_EEDaSW_SX_EUlSW_E_NS1_11comp_targetILNS1_3genE2ELNS1_11target_archE906ELNS1_3gpuE6ELNS1_3repE0EEENS1_30default_config_static_selectorELNS0_4arch9wavefront6targetE1EEEvT1_: ; @_ZN7rocprim17ROCPRIM_400000_NS6detail17trampoline_kernelINS0_14default_configENS1_27scan_by_key_config_selectorIitEEZZNS1_16scan_by_key_implILNS1_25lookback_scan_determinismE0ELb1ES3_N6thrust23THRUST_200600_302600_NS6detail15normal_iteratorINS9_10device_ptrIiEEEENSB_INSC_ItEEEESG_tNS9_4plusIvEENS9_8equal_toIvEEtEE10hipError_tPvRmT2_T3_T4_T5_mT6_T7_P12ihipStream_tbENKUlT_T0_E_clISt17integral_constantIbLb0EES11_EEDaSW_SX_EUlSW_E_NS1_11comp_targetILNS1_3genE2ELNS1_11target_archE906ELNS1_3gpuE6ELNS1_3repE0EEENS1_30default_config_static_selectorELNS0_4arch9wavefront6targetE1EEEvT1_
; %bb.0:
	.section	.rodata,"a",@progbits
	.p2align	6, 0x0
	.amdhsa_kernel _ZN7rocprim17ROCPRIM_400000_NS6detail17trampoline_kernelINS0_14default_configENS1_27scan_by_key_config_selectorIitEEZZNS1_16scan_by_key_implILNS1_25lookback_scan_determinismE0ELb1ES3_N6thrust23THRUST_200600_302600_NS6detail15normal_iteratorINS9_10device_ptrIiEEEENSB_INSC_ItEEEESG_tNS9_4plusIvEENS9_8equal_toIvEEtEE10hipError_tPvRmT2_T3_T4_T5_mT6_T7_P12ihipStream_tbENKUlT_T0_E_clISt17integral_constantIbLb0EES11_EEDaSW_SX_EUlSW_E_NS1_11comp_targetILNS1_3genE2ELNS1_11target_archE906ELNS1_3gpuE6ELNS1_3repE0EEENS1_30default_config_static_selectorELNS0_4arch9wavefront6targetE1EEEvT1_
		.amdhsa_group_segment_fixed_size 0
		.amdhsa_private_segment_fixed_size 0
		.amdhsa_kernarg_size 112
		.amdhsa_user_sgpr_count 2
		.amdhsa_user_sgpr_dispatch_ptr 0
		.amdhsa_user_sgpr_queue_ptr 0
		.amdhsa_user_sgpr_kernarg_segment_ptr 1
		.amdhsa_user_sgpr_dispatch_id 0
		.amdhsa_user_sgpr_kernarg_preload_length 0
		.amdhsa_user_sgpr_kernarg_preload_offset 0
		.amdhsa_user_sgpr_private_segment_size 0
		.amdhsa_uses_dynamic_stack 0
		.amdhsa_enable_private_segment 0
		.amdhsa_system_sgpr_workgroup_id_x 1
		.amdhsa_system_sgpr_workgroup_id_y 0
		.amdhsa_system_sgpr_workgroup_id_z 0
		.amdhsa_system_sgpr_workgroup_info 0
		.amdhsa_system_vgpr_workitem_id 0
		.amdhsa_next_free_vgpr 1
		.amdhsa_next_free_sgpr 0
		.amdhsa_accum_offset 4
		.amdhsa_reserve_vcc 0
		.amdhsa_float_round_mode_32 0
		.amdhsa_float_round_mode_16_64 0
		.amdhsa_float_denorm_mode_32 3
		.amdhsa_float_denorm_mode_16_64 3
		.amdhsa_dx10_clamp 1
		.amdhsa_ieee_mode 1
		.amdhsa_fp16_overflow 0
		.amdhsa_tg_split 0
		.amdhsa_exception_fp_ieee_invalid_op 0
		.amdhsa_exception_fp_denorm_src 0
		.amdhsa_exception_fp_ieee_div_zero 0
		.amdhsa_exception_fp_ieee_overflow 0
		.amdhsa_exception_fp_ieee_underflow 0
		.amdhsa_exception_fp_ieee_inexact 0
		.amdhsa_exception_int_div_zero 0
	.end_amdhsa_kernel
	.section	.text._ZN7rocprim17ROCPRIM_400000_NS6detail17trampoline_kernelINS0_14default_configENS1_27scan_by_key_config_selectorIitEEZZNS1_16scan_by_key_implILNS1_25lookback_scan_determinismE0ELb1ES3_N6thrust23THRUST_200600_302600_NS6detail15normal_iteratorINS9_10device_ptrIiEEEENSB_INSC_ItEEEESG_tNS9_4plusIvEENS9_8equal_toIvEEtEE10hipError_tPvRmT2_T3_T4_T5_mT6_T7_P12ihipStream_tbENKUlT_T0_E_clISt17integral_constantIbLb0EES11_EEDaSW_SX_EUlSW_E_NS1_11comp_targetILNS1_3genE2ELNS1_11target_archE906ELNS1_3gpuE6ELNS1_3repE0EEENS1_30default_config_static_selectorELNS0_4arch9wavefront6targetE1EEEvT1_,"axG",@progbits,_ZN7rocprim17ROCPRIM_400000_NS6detail17trampoline_kernelINS0_14default_configENS1_27scan_by_key_config_selectorIitEEZZNS1_16scan_by_key_implILNS1_25lookback_scan_determinismE0ELb1ES3_N6thrust23THRUST_200600_302600_NS6detail15normal_iteratorINS9_10device_ptrIiEEEENSB_INSC_ItEEEESG_tNS9_4plusIvEENS9_8equal_toIvEEtEE10hipError_tPvRmT2_T3_T4_T5_mT6_T7_P12ihipStream_tbENKUlT_T0_E_clISt17integral_constantIbLb0EES11_EEDaSW_SX_EUlSW_E_NS1_11comp_targetILNS1_3genE2ELNS1_11target_archE906ELNS1_3gpuE6ELNS1_3repE0EEENS1_30default_config_static_selectorELNS0_4arch9wavefront6targetE1EEEvT1_,comdat
.Lfunc_end1540:
	.size	_ZN7rocprim17ROCPRIM_400000_NS6detail17trampoline_kernelINS0_14default_configENS1_27scan_by_key_config_selectorIitEEZZNS1_16scan_by_key_implILNS1_25lookback_scan_determinismE0ELb1ES3_N6thrust23THRUST_200600_302600_NS6detail15normal_iteratorINS9_10device_ptrIiEEEENSB_INSC_ItEEEESG_tNS9_4plusIvEENS9_8equal_toIvEEtEE10hipError_tPvRmT2_T3_T4_T5_mT6_T7_P12ihipStream_tbENKUlT_T0_E_clISt17integral_constantIbLb0EES11_EEDaSW_SX_EUlSW_E_NS1_11comp_targetILNS1_3genE2ELNS1_11target_archE906ELNS1_3gpuE6ELNS1_3repE0EEENS1_30default_config_static_selectorELNS0_4arch9wavefront6targetE1EEEvT1_, .Lfunc_end1540-_ZN7rocprim17ROCPRIM_400000_NS6detail17trampoline_kernelINS0_14default_configENS1_27scan_by_key_config_selectorIitEEZZNS1_16scan_by_key_implILNS1_25lookback_scan_determinismE0ELb1ES3_N6thrust23THRUST_200600_302600_NS6detail15normal_iteratorINS9_10device_ptrIiEEEENSB_INSC_ItEEEESG_tNS9_4plusIvEENS9_8equal_toIvEEtEE10hipError_tPvRmT2_T3_T4_T5_mT6_T7_P12ihipStream_tbENKUlT_T0_E_clISt17integral_constantIbLb0EES11_EEDaSW_SX_EUlSW_E_NS1_11comp_targetILNS1_3genE2ELNS1_11target_archE906ELNS1_3gpuE6ELNS1_3repE0EEENS1_30default_config_static_selectorELNS0_4arch9wavefront6targetE1EEEvT1_
                                        ; -- End function
	.section	.AMDGPU.csdata,"",@progbits
; Kernel info:
; codeLenInByte = 0
; NumSgprs: 6
; NumVgprs: 0
; NumAgprs: 0
; TotalNumVgprs: 0
; ScratchSize: 0
; MemoryBound: 0
; FloatMode: 240
; IeeeMode: 1
; LDSByteSize: 0 bytes/workgroup (compile time only)
; SGPRBlocks: 0
; VGPRBlocks: 0
; NumSGPRsForWavesPerEU: 6
; NumVGPRsForWavesPerEU: 1
; AccumOffset: 4
; Occupancy: 8
; WaveLimiterHint : 0
; COMPUTE_PGM_RSRC2:SCRATCH_EN: 0
; COMPUTE_PGM_RSRC2:USER_SGPR: 2
; COMPUTE_PGM_RSRC2:TRAP_HANDLER: 0
; COMPUTE_PGM_RSRC2:TGID_X_EN: 1
; COMPUTE_PGM_RSRC2:TGID_Y_EN: 0
; COMPUTE_PGM_RSRC2:TGID_Z_EN: 0
; COMPUTE_PGM_RSRC2:TIDIG_COMP_CNT: 0
; COMPUTE_PGM_RSRC3_GFX90A:ACCUM_OFFSET: 0
; COMPUTE_PGM_RSRC3_GFX90A:TG_SPLIT: 0
	.section	.text._ZN7rocprim17ROCPRIM_400000_NS6detail17trampoline_kernelINS0_14default_configENS1_27scan_by_key_config_selectorIitEEZZNS1_16scan_by_key_implILNS1_25lookback_scan_determinismE0ELb1ES3_N6thrust23THRUST_200600_302600_NS6detail15normal_iteratorINS9_10device_ptrIiEEEENSB_INSC_ItEEEESG_tNS9_4plusIvEENS9_8equal_toIvEEtEE10hipError_tPvRmT2_T3_T4_T5_mT6_T7_P12ihipStream_tbENKUlT_T0_E_clISt17integral_constantIbLb0EES11_EEDaSW_SX_EUlSW_E_NS1_11comp_targetILNS1_3genE10ELNS1_11target_archE1200ELNS1_3gpuE4ELNS1_3repE0EEENS1_30default_config_static_selectorELNS0_4arch9wavefront6targetE1EEEvT1_,"axG",@progbits,_ZN7rocprim17ROCPRIM_400000_NS6detail17trampoline_kernelINS0_14default_configENS1_27scan_by_key_config_selectorIitEEZZNS1_16scan_by_key_implILNS1_25lookback_scan_determinismE0ELb1ES3_N6thrust23THRUST_200600_302600_NS6detail15normal_iteratorINS9_10device_ptrIiEEEENSB_INSC_ItEEEESG_tNS9_4plusIvEENS9_8equal_toIvEEtEE10hipError_tPvRmT2_T3_T4_T5_mT6_T7_P12ihipStream_tbENKUlT_T0_E_clISt17integral_constantIbLb0EES11_EEDaSW_SX_EUlSW_E_NS1_11comp_targetILNS1_3genE10ELNS1_11target_archE1200ELNS1_3gpuE4ELNS1_3repE0EEENS1_30default_config_static_selectorELNS0_4arch9wavefront6targetE1EEEvT1_,comdat
	.protected	_ZN7rocprim17ROCPRIM_400000_NS6detail17trampoline_kernelINS0_14default_configENS1_27scan_by_key_config_selectorIitEEZZNS1_16scan_by_key_implILNS1_25lookback_scan_determinismE0ELb1ES3_N6thrust23THRUST_200600_302600_NS6detail15normal_iteratorINS9_10device_ptrIiEEEENSB_INSC_ItEEEESG_tNS9_4plusIvEENS9_8equal_toIvEEtEE10hipError_tPvRmT2_T3_T4_T5_mT6_T7_P12ihipStream_tbENKUlT_T0_E_clISt17integral_constantIbLb0EES11_EEDaSW_SX_EUlSW_E_NS1_11comp_targetILNS1_3genE10ELNS1_11target_archE1200ELNS1_3gpuE4ELNS1_3repE0EEENS1_30default_config_static_selectorELNS0_4arch9wavefront6targetE1EEEvT1_ ; -- Begin function _ZN7rocprim17ROCPRIM_400000_NS6detail17trampoline_kernelINS0_14default_configENS1_27scan_by_key_config_selectorIitEEZZNS1_16scan_by_key_implILNS1_25lookback_scan_determinismE0ELb1ES3_N6thrust23THRUST_200600_302600_NS6detail15normal_iteratorINS9_10device_ptrIiEEEENSB_INSC_ItEEEESG_tNS9_4plusIvEENS9_8equal_toIvEEtEE10hipError_tPvRmT2_T3_T4_T5_mT6_T7_P12ihipStream_tbENKUlT_T0_E_clISt17integral_constantIbLb0EES11_EEDaSW_SX_EUlSW_E_NS1_11comp_targetILNS1_3genE10ELNS1_11target_archE1200ELNS1_3gpuE4ELNS1_3repE0EEENS1_30default_config_static_selectorELNS0_4arch9wavefront6targetE1EEEvT1_
	.globl	_ZN7rocprim17ROCPRIM_400000_NS6detail17trampoline_kernelINS0_14default_configENS1_27scan_by_key_config_selectorIitEEZZNS1_16scan_by_key_implILNS1_25lookback_scan_determinismE0ELb1ES3_N6thrust23THRUST_200600_302600_NS6detail15normal_iteratorINS9_10device_ptrIiEEEENSB_INSC_ItEEEESG_tNS9_4plusIvEENS9_8equal_toIvEEtEE10hipError_tPvRmT2_T3_T4_T5_mT6_T7_P12ihipStream_tbENKUlT_T0_E_clISt17integral_constantIbLb0EES11_EEDaSW_SX_EUlSW_E_NS1_11comp_targetILNS1_3genE10ELNS1_11target_archE1200ELNS1_3gpuE4ELNS1_3repE0EEENS1_30default_config_static_selectorELNS0_4arch9wavefront6targetE1EEEvT1_
	.p2align	8
	.type	_ZN7rocprim17ROCPRIM_400000_NS6detail17trampoline_kernelINS0_14default_configENS1_27scan_by_key_config_selectorIitEEZZNS1_16scan_by_key_implILNS1_25lookback_scan_determinismE0ELb1ES3_N6thrust23THRUST_200600_302600_NS6detail15normal_iteratorINS9_10device_ptrIiEEEENSB_INSC_ItEEEESG_tNS9_4plusIvEENS9_8equal_toIvEEtEE10hipError_tPvRmT2_T3_T4_T5_mT6_T7_P12ihipStream_tbENKUlT_T0_E_clISt17integral_constantIbLb0EES11_EEDaSW_SX_EUlSW_E_NS1_11comp_targetILNS1_3genE10ELNS1_11target_archE1200ELNS1_3gpuE4ELNS1_3repE0EEENS1_30default_config_static_selectorELNS0_4arch9wavefront6targetE1EEEvT1_,@function
_ZN7rocprim17ROCPRIM_400000_NS6detail17trampoline_kernelINS0_14default_configENS1_27scan_by_key_config_selectorIitEEZZNS1_16scan_by_key_implILNS1_25lookback_scan_determinismE0ELb1ES3_N6thrust23THRUST_200600_302600_NS6detail15normal_iteratorINS9_10device_ptrIiEEEENSB_INSC_ItEEEESG_tNS9_4plusIvEENS9_8equal_toIvEEtEE10hipError_tPvRmT2_T3_T4_T5_mT6_T7_P12ihipStream_tbENKUlT_T0_E_clISt17integral_constantIbLb0EES11_EEDaSW_SX_EUlSW_E_NS1_11comp_targetILNS1_3genE10ELNS1_11target_archE1200ELNS1_3gpuE4ELNS1_3repE0EEENS1_30default_config_static_selectorELNS0_4arch9wavefront6targetE1EEEvT1_: ; @_ZN7rocprim17ROCPRIM_400000_NS6detail17trampoline_kernelINS0_14default_configENS1_27scan_by_key_config_selectorIitEEZZNS1_16scan_by_key_implILNS1_25lookback_scan_determinismE0ELb1ES3_N6thrust23THRUST_200600_302600_NS6detail15normal_iteratorINS9_10device_ptrIiEEEENSB_INSC_ItEEEESG_tNS9_4plusIvEENS9_8equal_toIvEEtEE10hipError_tPvRmT2_T3_T4_T5_mT6_T7_P12ihipStream_tbENKUlT_T0_E_clISt17integral_constantIbLb0EES11_EEDaSW_SX_EUlSW_E_NS1_11comp_targetILNS1_3genE10ELNS1_11target_archE1200ELNS1_3gpuE4ELNS1_3repE0EEENS1_30default_config_static_selectorELNS0_4arch9wavefront6targetE1EEEvT1_
; %bb.0:
	.section	.rodata,"a",@progbits
	.p2align	6, 0x0
	.amdhsa_kernel _ZN7rocprim17ROCPRIM_400000_NS6detail17trampoline_kernelINS0_14default_configENS1_27scan_by_key_config_selectorIitEEZZNS1_16scan_by_key_implILNS1_25lookback_scan_determinismE0ELb1ES3_N6thrust23THRUST_200600_302600_NS6detail15normal_iteratorINS9_10device_ptrIiEEEENSB_INSC_ItEEEESG_tNS9_4plusIvEENS9_8equal_toIvEEtEE10hipError_tPvRmT2_T3_T4_T5_mT6_T7_P12ihipStream_tbENKUlT_T0_E_clISt17integral_constantIbLb0EES11_EEDaSW_SX_EUlSW_E_NS1_11comp_targetILNS1_3genE10ELNS1_11target_archE1200ELNS1_3gpuE4ELNS1_3repE0EEENS1_30default_config_static_selectorELNS0_4arch9wavefront6targetE1EEEvT1_
		.amdhsa_group_segment_fixed_size 0
		.amdhsa_private_segment_fixed_size 0
		.amdhsa_kernarg_size 112
		.amdhsa_user_sgpr_count 2
		.amdhsa_user_sgpr_dispatch_ptr 0
		.amdhsa_user_sgpr_queue_ptr 0
		.amdhsa_user_sgpr_kernarg_segment_ptr 1
		.amdhsa_user_sgpr_dispatch_id 0
		.amdhsa_user_sgpr_kernarg_preload_length 0
		.amdhsa_user_sgpr_kernarg_preload_offset 0
		.amdhsa_user_sgpr_private_segment_size 0
		.amdhsa_uses_dynamic_stack 0
		.amdhsa_enable_private_segment 0
		.amdhsa_system_sgpr_workgroup_id_x 1
		.amdhsa_system_sgpr_workgroup_id_y 0
		.amdhsa_system_sgpr_workgroup_id_z 0
		.amdhsa_system_sgpr_workgroup_info 0
		.amdhsa_system_vgpr_workitem_id 0
		.amdhsa_next_free_vgpr 1
		.amdhsa_next_free_sgpr 0
		.amdhsa_accum_offset 4
		.amdhsa_reserve_vcc 0
		.amdhsa_float_round_mode_32 0
		.amdhsa_float_round_mode_16_64 0
		.amdhsa_float_denorm_mode_32 3
		.amdhsa_float_denorm_mode_16_64 3
		.amdhsa_dx10_clamp 1
		.amdhsa_ieee_mode 1
		.amdhsa_fp16_overflow 0
		.amdhsa_tg_split 0
		.amdhsa_exception_fp_ieee_invalid_op 0
		.amdhsa_exception_fp_denorm_src 0
		.amdhsa_exception_fp_ieee_div_zero 0
		.amdhsa_exception_fp_ieee_overflow 0
		.amdhsa_exception_fp_ieee_underflow 0
		.amdhsa_exception_fp_ieee_inexact 0
		.amdhsa_exception_int_div_zero 0
	.end_amdhsa_kernel
	.section	.text._ZN7rocprim17ROCPRIM_400000_NS6detail17trampoline_kernelINS0_14default_configENS1_27scan_by_key_config_selectorIitEEZZNS1_16scan_by_key_implILNS1_25lookback_scan_determinismE0ELb1ES3_N6thrust23THRUST_200600_302600_NS6detail15normal_iteratorINS9_10device_ptrIiEEEENSB_INSC_ItEEEESG_tNS9_4plusIvEENS9_8equal_toIvEEtEE10hipError_tPvRmT2_T3_T4_T5_mT6_T7_P12ihipStream_tbENKUlT_T0_E_clISt17integral_constantIbLb0EES11_EEDaSW_SX_EUlSW_E_NS1_11comp_targetILNS1_3genE10ELNS1_11target_archE1200ELNS1_3gpuE4ELNS1_3repE0EEENS1_30default_config_static_selectorELNS0_4arch9wavefront6targetE1EEEvT1_,"axG",@progbits,_ZN7rocprim17ROCPRIM_400000_NS6detail17trampoline_kernelINS0_14default_configENS1_27scan_by_key_config_selectorIitEEZZNS1_16scan_by_key_implILNS1_25lookback_scan_determinismE0ELb1ES3_N6thrust23THRUST_200600_302600_NS6detail15normal_iteratorINS9_10device_ptrIiEEEENSB_INSC_ItEEEESG_tNS9_4plusIvEENS9_8equal_toIvEEtEE10hipError_tPvRmT2_T3_T4_T5_mT6_T7_P12ihipStream_tbENKUlT_T0_E_clISt17integral_constantIbLb0EES11_EEDaSW_SX_EUlSW_E_NS1_11comp_targetILNS1_3genE10ELNS1_11target_archE1200ELNS1_3gpuE4ELNS1_3repE0EEENS1_30default_config_static_selectorELNS0_4arch9wavefront6targetE1EEEvT1_,comdat
.Lfunc_end1541:
	.size	_ZN7rocprim17ROCPRIM_400000_NS6detail17trampoline_kernelINS0_14default_configENS1_27scan_by_key_config_selectorIitEEZZNS1_16scan_by_key_implILNS1_25lookback_scan_determinismE0ELb1ES3_N6thrust23THRUST_200600_302600_NS6detail15normal_iteratorINS9_10device_ptrIiEEEENSB_INSC_ItEEEESG_tNS9_4plusIvEENS9_8equal_toIvEEtEE10hipError_tPvRmT2_T3_T4_T5_mT6_T7_P12ihipStream_tbENKUlT_T0_E_clISt17integral_constantIbLb0EES11_EEDaSW_SX_EUlSW_E_NS1_11comp_targetILNS1_3genE10ELNS1_11target_archE1200ELNS1_3gpuE4ELNS1_3repE0EEENS1_30default_config_static_selectorELNS0_4arch9wavefront6targetE1EEEvT1_, .Lfunc_end1541-_ZN7rocprim17ROCPRIM_400000_NS6detail17trampoline_kernelINS0_14default_configENS1_27scan_by_key_config_selectorIitEEZZNS1_16scan_by_key_implILNS1_25lookback_scan_determinismE0ELb1ES3_N6thrust23THRUST_200600_302600_NS6detail15normal_iteratorINS9_10device_ptrIiEEEENSB_INSC_ItEEEESG_tNS9_4plusIvEENS9_8equal_toIvEEtEE10hipError_tPvRmT2_T3_T4_T5_mT6_T7_P12ihipStream_tbENKUlT_T0_E_clISt17integral_constantIbLb0EES11_EEDaSW_SX_EUlSW_E_NS1_11comp_targetILNS1_3genE10ELNS1_11target_archE1200ELNS1_3gpuE4ELNS1_3repE0EEENS1_30default_config_static_selectorELNS0_4arch9wavefront6targetE1EEEvT1_
                                        ; -- End function
	.section	.AMDGPU.csdata,"",@progbits
; Kernel info:
; codeLenInByte = 0
; NumSgprs: 6
; NumVgprs: 0
; NumAgprs: 0
; TotalNumVgprs: 0
; ScratchSize: 0
; MemoryBound: 0
; FloatMode: 240
; IeeeMode: 1
; LDSByteSize: 0 bytes/workgroup (compile time only)
; SGPRBlocks: 0
; VGPRBlocks: 0
; NumSGPRsForWavesPerEU: 6
; NumVGPRsForWavesPerEU: 1
; AccumOffset: 4
; Occupancy: 8
; WaveLimiterHint : 0
; COMPUTE_PGM_RSRC2:SCRATCH_EN: 0
; COMPUTE_PGM_RSRC2:USER_SGPR: 2
; COMPUTE_PGM_RSRC2:TRAP_HANDLER: 0
; COMPUTE_PGM_RSRC2:TGID_X_EN: 1
; COMPUTE_PGM_RSRC2:TGID_Y_EN: 0
; COMPUTE_PGM_RSRC2:TGID_Z_EN: 0
; COMPUTE_PGM_RSRC2:TIDIG_COMP_CNT: 0
; COMPUTE_PGM_RSRC3_GFX90A:ACCUM_OFFSET: 0
; COMPUTE_PGM_RSRC3_GFX90A:TG_SPLIT: 0
	.section	.text._ZN7rocprim17ROCPRIM_400000_NS6detail17trampoline_kernelINS0_14default_configENS1_27scan_by_key_config_selectorIitEEZZNS1_16scan_by_key_implILNS1_25lookback_scan_determinismE0ELb1ES3_N6thrust23THRUST_200600_302600_NS6detail15normal_iteratorINS9_10device_ptrIiEEEENSB_INSC_ItEEEESG_tNS9_4plusIvEENS9_8equal_toIvEEtEE10hipError_tPvRmT2_T3_T4_T5_mT6_T7_P12ihipStream_tbENKUlT_T0_E_clISt17integral_constantIbLb0EES11_EEDaSW_SX_EUlSW_E_NS1_11comp_targetILNS1_3genE9ELNS1_11target_archE1100ELNS1_3gpuE3ELNS1_3repE0EEENS1_30default_config_static_selectorELNS0_4arch9wavefront6targetE1EEEvT1_,"axG",@progbits,_ZN7rocprim17ROCPRIM_400000_NS6detail17trampoline_kernelINS0_14default_configENS1_27scan_by_key_config_selectorIitEEZZNS1_16scan_by_key_implILNS1_25lookback_scan_determinismE0ELb1ES3_N6thrust23THRUST_200600_302600_NS6detail15normal_iteratorINS9_10device_ptrIiEEEENSB_INSC_ItEEEESG_tNS9_4plusIvEENS9_8equal_toIvEEtEE10hipError_tPvRmT2_T3_T4_T5_mT6_T7_P12ihipStream_tbENKUlT_T0_E_clISt17integral_constantIbLb0EES11_EEDaSW_SX_EUlSW_E_NS1_11comp_targetILNS1_3genE9ELNS1_11target_archE1100ELNS1_3gpuE3ELNS1_3repE0EEENS1_30default_config_static_selectorELNS0_4arch9wavefront6targetE1EEEvT1_,comdat
	.protected	_ZN7rocprim17ROCPRIM_400000_NS6detail17trampoline_kernelINS0_14default_configENS1_27scan_by_key_config_selectorIitEEZZNS1_16scan_by_key_implILNS1_25lookback_scan_determinismE0ELb1ES3_N6thrust23THRUST_200600_302600_NS6detail15normal_iteratorINS9_10device_ptrIiEEEENSB_INSC_ItEEEESG_tNS9_4plusIvEENS9_8equal_toIvEEtEE10hipError_tPvRmT2_T3_T4_T5_mT6_T7_P12ihipStream_tbENKUlT_T0_E_clISt17integral_constantIbLb0EES11_EEDaSW_SX_EUlSW_E_NS1_11comp_targetILNS1_3genE9ELNS1_11target_archE1100ELNS1_3gpuE3ELNS1_3repE0EEENS1_30default_config_static_selectorELNS0_4arch9wavefront6targetE1EEEvT1_ ; -- Begin function _ZN7rocprim17ROCPRIM_400000_NS6detail17trampoline_kernelINS0_14default_configENS1_27scan_by_key_config_selectorIitEEZZNS1_16scan_by_key_implILNS1_25lookback_scan_determinismE0ELb1ES3_N6thrust23THRUST_200600_302600_NS6detail15normal_iteratorINS9_10device_ptrIiEEEENSB_INSC_ItEEEESG_tNS9_4plusIvEENS9_8equal_toIvEEtEE10hipError_tPvRmT2_T3_T4_T5_mT6_T7_P12ihipStream_tbENKUlT_T0_E_clISt17integral_constantIbLb0EES11_EEDaSW_SX_EUlSW_E_NS1_11comp_targetILNS1_3genE9ELNS1_11target_archE1100ELNS1_3gpuE3ELNS1_3repE0EEENS1_30default_config_static_selectorELNS0_4arch9wavefront6targetE1EEEvT1_
	.globl	_ZN7rocprim17ROCPRIM_400000_NS6detail17trampoline_kernelINS0_14default_configENS1_27scan_by_key_config_selectorIitEEZZNS1_16scan_by_key_implILNS1_25lookback_scan_determinismE0ELb1ES3_N6thrust23THRUST_200600_302600_NS6detail15normal_iteratorINS9_10device_ptrIiEEEENSB_INSC_ItEEEESG_tNS9_4plusIvEENS9_8equal_toIvEEtEE10hipError_tPvRmT2_T3_T4_T5_mT6_T7_P12ihipStream_tbENKUlT_T0_E_clISt17integral_constantIbLb0EES11_EEDaSW_SX_EUlSW_E_NS1_11comp_targetILNS1_3genE9ELNS1_11target_archE1100ELNS1_3gpuE3ELNS1_3repE0EEENS1_30default_config_static_selectorELNS0_4arch9wavefront6targetE1EEEvT1_
	.p2align	8
	.type	_ZN7rocprim17ROCPRIM_400000_NS6detail17trampoline_kernelINS0_14default_configENS1_27scan_by_key_config_selectorIitEEZZNS1_16scan_by_key_implILNS1_25lookback_scan_determinismE0ELb1ES3_N6thrust23THRUST_200600_302600_NS6detail15normal_iteratorINS9_10device_ptrIiEEEENSB_INSC_ItEEEESG_tNS9_4plusIvEENS9_8equal_toIvEEtEE10hipError_tPvRmT2_T3_T4_T5_mT6_T7_P12ihipStream_tbENKUlT_T0_E_clISt17integral_constantIbLb0EES11_EEDaSW_SX_EUlSW_E_NS1_11comp_targetILNS1_3genE9ELNS1_11target_archE1100ELNS1_3gpuE3ELNS1_3repE0EEENS1_30default_config_static_selectorELNS0_4arch9wavefront6targetE1EEEvT1_,@function
_ZN7rocprim17ROCPRIM_400000_NS6detail17trampoline_kernelINS0_14default_configENS1_27scan_by_key_config_selectorIitEEZZNS1_16scan_by_key_implILNS1_25lookback_scan_determinismE0ELb1ES3_N6thrust23THRUST_200600_302600_NS6detail15normal_iteratorINS9_10device_ptrIiEEEENSB_INSC_ItEEEESG_tNS9_4plusIvEENS9_8equal_toIvEEtEE10hipError_tPvRmT2_T3_T4_T5_mT6_T7_P12ihipStream_tbENKUlT_T0_E_clISt17integral_constantIbLb0EES11_EEDaSW_SX_EUlSW_E_NS1_11comp_targetILNS1_3genE9ELNS1_11target_archE1100ELNS1_3gpuE3ELNS1_3repE0EEENS1_30default_config_static_selectorELNS0_4arch9wavefront6targetE1EEEvT1_: ; @_ZN7rocprim17ROCPRIM_400000_NS6detail17trampoline_kernelINS0_14default_configENS1_27scan_by_key_config_selectorIitEEZZNS1_16scan_by_key_implILNS1_25lookback_scan_determinismE0ELb1ES3_N6thrust23THRUST_200600_302600_NS6detail15normal_iteratorINS9_10device_ptrIiEEEENSB_INSC_ItEEEESG_tNS9_4plusIvEENS9_8equal_toIvEEtEE10hipError_tPvRmT2_T3_T4_T5_mT6_T7_P12ihipStream_tbENKUlT_T0_E_clISt17integral_constantIbLb0EES11_EEDaSW_SX_EUlSW_E_NS1_11comp_targetILNS1_3genE9ELNS1_11target_archE1100ELNS1_3gpuE3ELNS1_3repE0EEENS1_30default_config_static_selectorELNS0_4arch9wavefront6targetE1EEEvT1_
; %bb.0:
	.section	.rodata,"a",@progbits
	.p2align	6, 0x0
	.amdhsa_kernel _ZN7rocprim17ROCPRIM_400000_NS6detail17trampoline_kernelINS0_14default_configENS1_27scan_by_key_config_selectorIitEEZZNS1_16scan_by_key_implILNS1_25lookback_scan_determinismE0ELb1ES3_N6thrust23THRUST_200600_302600_NS6detail15normal_iteratorINS9_10device_ptrIiEEEENSB_INSC_ItEEEESG_tNS9_4plusIvEENS9_8equal_toIvEEtEE10hipError_tPvRmT2_T3_T4_T5_mT6_T7_P12ihipStream_tbENKUlT_T0_E_clISt17integral_constantIbLb0EES11_EEDaSW_SX_EUlSW_E_NS1_11comp_targetILNS1_3genE9ELNS1_11target_archE1100ELNS1_3gpuE3ELNS1_3repE0EEENS1_30default_config_static_selectorELNS0_4arch9wavefront6targetE1EEEvT1_
		.amdhsa_group_segment_fixed_size 0
		.amdhsa_private_segment_fixed_size 0
		.amdhsa_kernarg_size 112
		.amdhsa_user_sgpr_count 2
		.amdhsa_user_sgpr_dispatch_ptr 0
		.amdhsa_user_sgpr_queue_ptr 0
		.amdhsa_user_sgpr_kernarg_segment_ptr 1
		.amdhsa_user_sgpr_dispatch_id 0
		.amdhsa_user_sgpr_kernarg_preload_length 0
		.amdhsa_user_sgpr_kernarg_preload_offset 0
		.amdhsa_user_sgpr_private_segment_size 0
		.amdhsa_uses_dynamic_stack 0
		.amdhsa_enable_private_segment 0
		.amdhsa_system_sgpr_workgroup_id_x 1
		.amdhsa_system_sgpr_workgroup_id_y 0
		.amdhsa_system_sgpr_workgroup_id_z 0
		.amdhsa_system_sgpr_workgroup_info 0
		.amdhsa_system_vgpr_workitem_id 0
		.amdhsa_next_free_vgpr 1
		.amdhsa_next_free_sgpr 0
		.amdhsa_accum_offset 4
		.amdhsa_reserve_vcc 0
		.amdhsa_float_round_mode_32 0
		.amdhsa_float_round_mode_16_64 0
		.amdhsa_float_denorm_mode_32 3
		.amdhsa_float_denorm_mode_16_64 3
		.amdhsa_dx10_clamp 1
		.amdhsa_ieee_mode 1
		.amdhsa_fp16_overflow 0
		.amdhsa_tg_split 0
		.amdhsa_exception_fp_ieee_invalid_op 0
		.amdhsa_exception_fp_denorm_src 0
		.amdhsa_exception_fp_ieee_div_zero 0
		.amdhsa_exception_fp_ieee_overflow 0
		.amdhsa_exception_fp_ieee_underflow 0
		.amdhsa_exception_fp_ieee_inexact 0
		.amdhsa_exception_int_div_zero 0
	.end_amdhsa_kernel
	.section	.text._ZN7rocprim17ROCPRIM_400000_NS6detail17trampoline_kernelINS0_14default_configENS1_27scan_by_key_config_selectorIitEEZZNS1_16scan_by_key_implILNS1_25lookback_scan_determinismE0ELb1ES3_N6thrust23THRUST_200600_302600_NS6detail15normal_iteratorINS9_10device_ptrIiEEEENSB_INSC_ItEEEESG_tNS9_4plusIvEENS9_8equal_toIvEEtEE10hipError_tPvRmT2_T3_T4_T5_mT6_T7_P12ihipStream_tbENKUlT_T0_E_clISt17integral_constantIbLb0EES11_EEDaSW_SX_EUlSW_E_NS1_11comp_targetILNS1_3genE9ELNS1_11target_archE1100ELNS1_3gpuE3ELNS1_3repE0EEENS1_30default_config_static_selectorELNS0_4arch9wavefront6targetE1EEEvT1_,"axG",@progbits,_ZN7rocprim17ROCPRIM_400000_NS6detail17trampoline_kernelINS0_14default_configENS1_27scan_by_key_config_selectorIitEEZZNS1_16scan_by_key_implILNS1_25lookback_scan_determinismE0ELb1ES3_N6thrust23THRUST_200600_302600_NS6detail15normal_iteratorINS9_10device_ptrIiEEEENSB_INSC_ItEEEESG_tNS9_4plusIvEENS9_8equal_toIvEEtEE10hipError_tPvRmT2_T3_T4_T5_mT6_T7_P12ihipStream_tbENKUlT_T0_E_clISt17integral_constantIbLb0EES11_EEDaSW_SX_EUlSW_E_NS1_11comp_targetILNS1_3genE9ELNS1_11target_archE1100ELNS1_3gpuE3ELNS1_3repE0EEENS1_30default_config_static_selectorELNS0_4arch9wavefront6targetE1EEEvT1_,comdat
.Lfunc_end1542:
	.size	_ZN7rocprim17ROCPRIM_400000_NS6detail17trampoline_kernelINS0_14default_configENS1_27scan_by_key_config_selectorIitEEZZNS1_16scan_by_key_implILNS1_25lookback_scan_determinismE0ELb1ES3_N6thrust23THRUST_200600_302600_NS6detail15normal_iteratorINS9_10device_ptrIiEEEENSB_INSC_ItEEEESG_tNS9_4plusIvEENS9_8equal_toIvEEtEE10hipError_tPvRmT2_T3_T4_T5_mT6_T7_P12ihipStream_tbENKUlT_T0_E_clISt17integral_constantIbLb0EES11_EEDaSW_SX_EUlSW_E_NS1_11comp_targetILNS1_3genE9ELNS1_11target_archE1100ELNS1_3gpuE3ELNS1_3repE0EEENS1_30default_config_static_selectorELNS0_4arch9wavefront6targetE1EEEvT1_, .Lfunc_end1542-_ZN7rocprim17ROCPRIM_400000_NS6detail17trampoline_kernelINS0_14default_configENS1_27scan_by_key_config_selectorIitEEZZNS1_16scan_by_key_implILNS1_25lookback_scan_determinismE0ELb1ES3_N6thrust23THRUST_200600_302600_NS6detail15normal_iteratorINS9_10device_ptrIiEEEENSB_INSC_ItEEEESG_tNS9_4plusIvEENS9_8equal_toIvEEtEE10hipError_tPvRmT2_T3_T4_T5_mT6_T7_P12ihipStream_tbENKUlT_T0_E_clISt17integral_constantIbLb0EES11_EEDaSW_SX_EUlSW_E_NS1_11comp_targetILNS1_3genE9ELNS1_11target_archE1100ELNS1_3gpuE3ELNS1_3repE0EEENS1_30default_config_static_selectorELNS0_4arch9wavefront6targetE1EEEvT1_
                                        ; -- End function
	.section	.AMDGPU.csdata,"",@progbits
; Kernel info:
; codeLenInByte = 0
; NumSgprs: 6
; NumVgprs: 0
; NumAgprs: 0
; TotalNumVgprs: 0
; ScratchSize: 0
; MemoryBound: 0
; FloatMode: 240
; IeeeMode: 1
; LDSByteSize: 0 bytes/workgroup (compile time only)
; SGPRBlocks: 0
; VGPRBlocks: 0
; NumSGPRsForWavesPerEU: 6
; NumVGPRsForWavesPerEU: 1
; AccumOffset: 4
; Occupancy: 8
; WaveLimiterHint : 0
; COMPUTE_PGM_RSRC2:SCRATCH_EN: 0
; COMPUTE_PGM_RSRC2:USER_SGPR: 2
; COMPUTE_PGM_RSRC2:TRAP_HANDLER: 0
; COMPUTE_PGM_RSRC2:TGID_X_EN: 1
; COMPUTE_PGM_RSRC2:TGID_Y_EN: 0
; COMPUTE_PGM_RSRC2:TGID_Z_EN: 0
; COMPUTE_PGM_RSRC2:TIDIG_COMP_CNT: 0
; COMPUTE_PGM_RSRC3_GFX90A:ACCUM_OFFSET: 0
; COMPUTE_PGM_RSRC3_GFX90A:TG_SPLIT: 0
	.section	.text._ZN7rocprim17ROCPRIM_400000_NS6detail17trampoline_kernelINS0_14default_configENS1_27scan_by_key_config_selectorIitEEZZNS1_16scan_by_key_implILNS1_25lookback_scan_determinismE0ELb1ES3_N6thrust23THRUST_200600_302600_NS6detail15normal_iteratorINS9_10device_ptrIiEEEENSB_INSC_ItEEEESG_tNS9_4plusIvEENS9_8equal_toIvEEtEE10hipError_tPvRmT2_T3_T4_T5_mT6_T7_P12ihipStream_tbENKUlT_T0_E_clISt17integral_constantIbLb0EES11_EEDaSW_SX_EUlSW_E_NS1_11comp_targetILNS1_3genE8ELNS1_11target_archE1030ELNS1_3gpuE2ELNS1_3repE0EEENS1_30default_config_static_selectorELNS0_4arch9wavefront6targetE1EEEvT1_,"axG",@progbits,_ZN7rocprim17ROCPRIM_400000_NS6detail17trampoline_kernelINS0_14default_configENS1_27scan_by_key_config_selectorIitEEZZNS1_16scan_by_key_implILNS1_25lookback_scan_determinismE0ELb1ES3_N6thrust23THRUST_200600_302600_NS6detail15normal_iteratorINS9_10device_ptrIiEEEENSB_INSC_ItEEEESG_tNS9_4plusIvEENS9_8equal_toIvEEtEE10hipError_tPvRmT2_T3_T4_T5_mT6_T7_P12ihipStream_tbENKUlT_T0_E_clISt17integral_constantIbLb0EES11_EEDaSW_SX_EUlSW_E_NS1_11comp_targetILNS1_3genE8ELNS1_11target_archE1030ELNS1_3gpuE2ELNS1_3repE0EEENS1_30default_config_static_selectorELNS0_4arch9wavefront6targetE1EEEvT1_,comdat
	.protected	_ZN7rocprim17ROCPRIM_400000_NS6detail17trampoline_kernelINS0_14default_configENS1_27scan_by_key_config_selectorIitEEZZNS1_16scan_by_key_implILNS1_25lookback_scan_determinismE0ELb1ES3_N6thrust23THRUST_200600_302600_NS6detail15normal_iteratorINS9_10device_ptrIiEEEENSB_INSC_ItEEEESG_tNS9_4plusIvEENS9_8equal_toIvEEtEE10hipError_tPvRmT2_T3_T4_T5_mT6_T7_P12ihipStream_tbENKUlT_T0_E_clISt17integral_constantIbLb0EES11_EEDaSW_SX_EUlSW_E_NS1_11comp_targetILNS1_3genE8ELNS1_11target_archE1030ELNS1_3gpuE2ELNS1_3repE0EEENS1_30default_config_static_selectorELNS0_4arch9wavefront6targetE1EEEvT1_ ; -- Begin function _ZN7rocprim17ROCPRIM_400000_NS6detail17trampoline_kernelINS0_14default_configENS1_27scan_by_key_config_selectorIitEEZZNS1_16scan_by_key_implILNS1_25lookback_scan_determinismE0ELb1ES3_N6thrust23THRUST_200600_302600_NS6detail15normal_iteratorINS9_10device_ptrIiEEEENSB_INSC_ItEEEESG_tNS9_4plusIvEENS9_8equal_toIvEEtEE10hipError_tPvRmT2_T3_T4_T5_mT6_T7_P12ihipStream_tbENKUlT_T0_E_clISt17integral_constantIbLb0EES11_EEDaSW_SX_EUlSW_E_NS1_11comp_targetILNS1_3genE8ELNS1_11target_archE1030ELNS1_3gpuE2ELNS1_3repE0EEENS1_30default_config_static_selectorELNS0_4arch9wavefront6targetE1EEEvT1_
	.globl	_ZN7rocprim17ROCPRIM_400000_NS6detail17trampoline_kernelINS0_14default_configENS1_27scan_by_key_config_selectorIitEEZZNS1_16scan_by_key_implILNS1_25lookback_scan_determinismE0ELb1ES3_N6thrust23THRUST_200600_302600_NS6detail15normal_iteratorINS9_10device_ptrIiEEEENSB_INSC_ItEEEESG_tNS9_4plusIvEENS9_8equal_toIvEEtEE10hipError_tPvRmT2_T3_T4_T5_mT6_T7_P12ihipStream_tbENKUlT_T0_E_clISt17integral_constantIbLb0EES11_EEDaSW_SX_EUlSW_E_NS1_11comp_targetILNS1_3genE8ELNS1_11target_archE1030ELNS1_3gpuE2ELNS1_3repE0EEENS1_30default_config_static_selectorELNS0_4arch9wavefront6targetE1EEEvT1_
	.p2align	8
	.type	_ZN7rocprim17ROCPRIM_400000_NS6detail17trampoline_kernelINS0_14default_configENS1_27scan_by_key_config_selectorIitEEZZNS1_16scan_by_key_implILNS1_25lookback_scan_determinismE0ELb1ES3_N6thrust23THRUST_200600_302600_NS6detail15normal_iteratorINS9_10device_ptrIiEEEENSB_INSC_ItEEEESG_tNS9_4plusIvEENS9_8equal_toIvEEtEE10hipError_tPvRmT2_T3_T4_T5_mT6_T7_P12ihipStream_tbENKUlT_T0_E_clISt17integral_constantIbLb0EES11_EEDaSW_SX_EUlSW_E_NS1_11comp_targetILNS1_3genE8ELNS1_11target_archE1030ELNS1_3gpuE2ELNS1_3repE0EEENS1_30default_config_static_selectorELNS0_4arch9wavefront6targetE1EEEvT1_,@function
_ZN7rocprim17ROCPRIM_400000_NS6detail17trampoline_kernelINS0_14default_configENS1_27scan_by_key_config_selectorIitEEZZNS1_16scan_by_key_implILNS1_25lookback_scan_determinismE0ELb1ES3_N6thrust23THRUST_200600_302600_NS6detail15normal_iteratorINS9_10device_ptrIiEEEENSB_INSC_ItEEEESG_tNS9_4plusIvEENS9_8equal_toIvEEtEE10hipError_tPvRmT2_T3_T4_T5_mT6_T7_P12ihipStream_tbENKUlT_T0_E_clISt17integral_constantIbLb0EES11_EEDaSW_SX_EUlSW_E_NS1_11comp_targetILNS1_3genE8ELNS1_11target_archE1030ELNS1_3gpuE2ELNS1_3repE0EEENS1_30default_config_static_selectorELNS0_4arch9wavefront6targetE1EEEvT1_: ; @_ZN7rocprim17ROCPRIM_400000_NS6detail17trampoline_kernelINS0_14default_configENS1_27scan_by_key_config_selectorIitEEZZNS1_16scan_by_key_implILNS1_25lookback_scan_determinismE0ELb1ES3_N6thrust23THRUST_200600_302600_NS6detail15normal_iteratorINS9_10device_ptrIiEEEENSB_INSC_ItEEEESG_tNS9_4plusIvEENS9_8equal_toIvEEtEE10hipError_tPvRmT2_T3_T4_T5_mT6_T7_P12ihipStream_tbENKUlT_T0_E_clISt17integral_constantIbLb0EES11_EEDaSW_SX_EUlSW_E_NS1_11comp_targetILNS1_3genE8ELNS1_11target_archE1030ELNS1_3gpuE2ELNS1_3repE0EEENS1_30default_config_static_selectorELNS0_4arch9wavefront6targetE1EEEvT1_
; %bb.0:
	.section	.rodata,"a",@progbits
	.p2align	6, 0x0
	.amdhsa_kernel _ZN7rocprim17ROCPRIM_400000_NS6detail17trampoline_kernelINS0_14default_configENS1_27scan_by_key_config_selectorIitEEZZNS1_16scan_by_key_implILNS1_25lookback_scan_determinismE0ELb1ES3_N6thrust23THRUST_200600_302600_NS6detail15normal_iteratorINS9_10device_ptrIiEEEENSB_INSC_ItEEEESG_tNS9_4plusIvEENS9_8equal_toIvEEtEE10hipError_tPvRmT2_T3_T4_T5_mT6_T7_P12ihipStream_tbENKUlT_T0_E_clISt17integral_constantIbLb0EES11_EEDaSW_SX_EUlSW_E_NS1_11comp_targetILNS1_3genE8ELNS1_11target_archE1030ELNS1_3gpuE2ELNS1_3repE0EEENS1_30default_config_static_selectorELNS0_4arch9wavefront6targetE1EEEvT1_
		.amdhsa_group_segment_fixed_size 0
		.amdhsa_private_segment_fixed_size 0
		.amdhsa_kernarg_size 112
		.amdhsa_user_sgpr_count 2
		.amdhsa_user_sgpr_dispatch_ptr 0
		.amdhsa_user_sgpr_queue_ptr 0
		.amdhsa_user_sgpr_kernarg_segment_ptr 1
		.amdhsa_user_sgpr_dispatch_id 0
		.amdhsa_user_sgpr_kernarg_preload_length 0
		.amdhsa_user_sgpr_kernarg_preload_offset 0
		.amdhsa_user_sgpr_private_segment_size 0
		.amdhsa_uses_dynamic_stack 0
		.amdhsa_enable_private_segment 0
		.amdhsa_system_sgpr_workgroup_id_x 1
		.amdhsa_system_sgpr_workgroup_id_y 0
		.amdhsa_system_sgpr_workgroup_id_z 0
		.amdhsa_system_sgpr_workgroup_info 0
		.amdhsa_system_vgpr_workitem_id 0
		.amdhsa_next_free_vgpr 1
		.amdhsa_next_free_sgpr 0
		.amdhsa_accum_offset 4
		.amdhsa_reserve_vcc 0
		.amdhsa_float_round_mode_32 0
		.amdhsa_float_round_mode_16_64 0
		.amdhsa_float_denorm_mode_32 3
		.amdhsa_float_denorm_mode_16_64 3
		.amdhsa_dx10_clamp 1
		.amdhsa_ieee_mode 1
		.amdhsa_fp16_overflow 0
		.amdhsa_tg_split 0
		.amdhsa_exception_fp_ieee_invalid_op 0
		.amdhsa_exception_fp_denorm_src 0
		.amdhsa_exception_fp_ieee_div_zero 0
		.amdhsa_exception_fp_ieee_overflow 0
		.amdhsa_exception_fp_ieee_underflow 0
		.amdhsa_exception_fp_ieee_inexact 0
		.amdhsa_exception_int_div_zero 0
	.end_amdhsa_kernel
	.section	.text._ZN7rocprim17ROCPRIM_400000_NS6detail17trampoline_kernelINS0_14default_configENS1_27scan_by_key_config_selectorIitEEZZNS1_16scan_by_key_implILNS1_25lookback_scan_determinismE0ELb1ES3_N6thrust23THRUST_200600_302600_NS6detail15normal_iteratorINS9_10device_ptrIiEEEENSB_INSC_ItEEEESG_tNS9_4plusIvEENS9_8equal_toIvEEtEE10hipError_tPvRmT2_T3_T4_T5_mT6_T7_P12ihipStream_tbENKUlT_T0_E_clISt17integral_constantIbLb0EES11_EEDaSW_SX_EUlSW_E_NS1_11comp_targetILNS1_3genE8ELNS1_11target_archE1030ELNS1_3gpuE2ELNS1_3repE0EEENS1_30default_config_static_selectorELNS0_4arch9wavefront6targetE1EEEvT1_,"axG",@progbits,_ZN7rocprim17ROCPRIM_400000_NS6detail17trampoline_kernelINS0_14default_configENS1_27scan_by_key_config_selectorIitEEZZNS1_16scan_by_key_implILNS1_25lookback_scan_determinismE0ELb1ES3_N6thrust23THRUST_200600_302600_NS6detail15normal_iteratorINS9_10device_ptrIiEEEENSB_INSC_ItEEEESG_tNS9_4plusIvEENS9_8equal_toIvEEtEE10hipError_tPvRmT2_T3_T4_T5_mT6_T7_P12ihipStream_tbENKUlT_T0_E_clISt17integral_constantIbLb0EES11_EEDaSW_SX_EUlSW_E_NS1_11comp_targetILNS1_3genE8ELNS1_11target_archE1030ELNS1_3gpuE2ELNS1_3repE0EEENS1_30default_config_static_selectorELNS0_4arch9wavefront6targetE1EEEvT1_,comdat
.Lfunc_end1543:
	.size	_ZN7rocprim17ROCPRIM_400000_NS6detail17trampoline_kernelINS0_14default_configENS1_27scan_by_key_config_selectorIitEEZZNS1_16scan_by_key_implILNS1_25lookback_scan_determinismE0ELb1ES3_N6thrust23THRUST_200600_302600_NS6detail15normal_iteratorINS9_10device_ptrIiEEEENSB_INSC_ItEEEESG_tNS9_4plusIvEENS9_8equal_toIvEEtEE10hipError_tPvRmT2_T3_T4_T5_mT6_T7_P12ihipStream_tbENKUlT_T0_E_clISt17integral_constantIbLb0EES11_EEDaSW_SX_EUlSW_E_NS1_11comp_targetILNS1_3genE8ELNS1_11target_archE1030ELNS1_3gpuE2ELNS1_3repE0EEENS1_30default_config_static_selectorELNS0_4arch9wavefront6targetE1EEEvT1_, .Lfunc_end1543-_ZN7rocprim17ROCPRIM_400000_NS6detail17trampoline_kernelINS0_14default_configENS1_27scan_by_key_config_selectorIitEEZZNS1_16scan_by_key_implILNS1_25lookback_scan_determinismE0ELb1ES3_N6thrust23THRUST_200600_302600_NS6detail15normal_iteratorINS9_10device_ptrIiEEEENSB_INSC_ItEEEESG_tNS9_4plusIvEENS9_8equal_toIvEEtEE10hipError_tPvRmT2_T3_T4_T5_mT6_T7_P12ihipStream_tbENKUlT_T0_E_clISt17integral_constantIbLb0EES11_EEDaSW_SX_EUlSW_E_NS1_11comp_targetILNS1_3genE8ELNS1_11target_archE1030ELNS1_3gpuE2ELNS1_3repE0EEENS1_30default_config_static_selectorELNS0_4arch9wavefront6targetE1EEEvT1_
                                        ; -- End function
	.section	.AMDGPU.csdata,"",@progbits
; Kernel info:
; codeLenInByte = 0
; NumSgprs: 6
; NumVgprs: 0
; NumAgprs: 0
; TotalNumVgprs: 0
; ScratchSize: 0
; MemoryBound: 0
; FloatMode: 240
; IeeeMode: 1
; LDSByteSize: 0 bytes/workgroup (compile time only)
; SGPRBlocks: 0
; VGPRBlocks: 0
; NumSGPRsForWavesPerEU: 6
; NumVGPRsForWavesPerEU: 1
; AccumOffset: 4
; Occupancy: 8
; WaveLimiterHint : 0
; COMPUTE_PGM_RSRC2:SCRATCH_EN: 0
; COMPUTE_PGM_RSRC2:USER_SGPR: 2
; COMPUTE_PGM_RSRC2:TRAP_HANDLER: 0
; COMPUTE_PGM_RSRC2:TGID_X_EN: 1
; COMPUTE_PGM_RSRC2:TGID_Y_EN: 0
; COMPUTE_PGM_RSRC2:TGID_Z_EN: 0
; COMPUTE_PGM_RSRC2:TIDIG_COMP_CNT: 0
; COMPUTE_PGM_RSRC3_GFX90A:ACCUM_OFFSET: 0
; COMPUTE_PGM_RSRC3_GFX90A:TG_SPLIT: 0
	.section	.text._ZN7rocprim17ROCPRIM_400000_NS6detail17trampoline_kernelINS0_14default_configENS1_27scan_by_key_config_selectorIitEEZZNS1_16scan_by_key_implILNS1_25lookback_scan_determinismE0ELb1ES3_N6thrust23THRUST_200600_302600_NS6detail15normal_iteratorINS9_10device_ptrIiEEEENSB_INSC_ItEEEESG_tNS9_4plusIvEENS9_8equal_toIvEEtEE10hipError_tPvRmT2_T3_T4_T5_mT6_T7_P12ihipStream_tbENKUlT_T0_E_clISt17integral_constantIbLb1EES11_EEDaSW_SX_EUlSW_E_NS1_11comp_targetILNS1_3genE0ELNS1_11target_archE4294967295ELNS1_3gpuE0ELNS1_3repE0EEENS1_30default_config_static_selectorELNS0_4arch9wavefront6targetE1EEEvT1_,"axG",@progbits,_ZN7rocprim17ROCPRIM_400000_NS6detail17trampoline_kernelINS0_14default_configENS1_27scan_by_key_config_selectorIitEEZZNS1_16scan_by_key_implILNS1_25lookback_scan_determinismE0ELb1ES3_N6thrust23THRUST_200600_302600_NS6detail15normal_iteratorINS9_10device_ptrIiEEEENSB_INSC_ItEEEESG_tNS9_4plusIvEENS9_8equal_toIvEEtEE10hipError_tPvRmT2_T3_T4_T5_mT6_T7_P12ihipStream_tbENKUlT_T0_E_clISt17integral_constantIbLb1EES11_EEDaSW_SX_EUlSW_E_NS1_11comp_targetILNS1_3genE0ELNS1_11target_archE4294967295ELNS1_3gpuE0ELNS1_3repE0EEENS1_30default_config_static_selectorELNS0_4arch9wavefront6targetE1EEEvT1_,comdat
	.protected	_ZN7rocprim17ROCPRIM_400000_NS6detail17trampoline_kernelINS0_14default_configENS1_27scan_by_key_config_selectorIitEEZZNS1_16scan_by_key_implILNS1_25lookback_scan_determinismE0ELb1ES3_N6thrust23THRUST_200600_302600_NS6detail15normal_iteratorINS9_10device_ptrIiEEEENSB_INSC_ItEEEESG_tNS9_4plusIvEENS9_8equal_toIvEEtEE10hipError_tPvRmT2_T3_T4_T5_mT6_T7_P12ihipStream_tbENKUlT_T0_E_clISt17integral_constantIbLb1EES11_EEDaSW_SX_EUlSW_E_NS1_11comp_targetILNS1_3genE0ELNS1_11target_archE4294967295ELNS1_3gpuE0ELNS1_3repE0EEENS1_30default_config_static_selectorELNS0_4arch9wavefront6targetE1EEEvT1_ ; -- Begin function _ZN7rocprim17ROCPRIM_400000_NS6detail17trampoline_kernelINS0_14default_configENS1_27scan_by_key_config_selectorIitEEZZNS1_16scan_by_key_implILNS1_25lookback_scan_determinismE0ELb1ES3_N6thrust23THRUST_200600_302600_NS6detail15normal_iteratorINS9_10device_ptrIiEEEENSB_INSC_ItEEEESG_tNS9_4plusIvEENS9_8equal_toIvEEtEE10hipError_tPvRmT2_T3_T4_T5_mT6_T7_P12ihipStream_tbENKUlT_T0_E_clISt17integral_constantIbLb1EES11_EEDaSW_SX_EUlSW_E_NS1_11comp_targetILNS1_3genE0ELNS1_11target_archE4294967295ELNS1_3gpuE0ELNS1_3repE0EEENS1_30default_config_static_selectorELNS0_4arch9wavefront6targetE1EEEvT1_
	.globl	_ZN7rocprim17ROCPRIM_400000_NS6detail17trampoline_kernelINS0_14default_configENS1_27scan_by_key_config_selectorIitEEZZNS1_16scan_by_key_implILNS1_25lookback_scan_determinismE0ELb1ES3_N6thrust23THRUST_200600_302600_NS6detail15normal_iteratorINS9_10device_ptrIiEEEENSB_INSC_ItEEEESG_tNS9_4plusIvEENS9_8equal_toIvEEtEE10hipError_tPvRmT2_T3_T4_T5_mT6_T7_P12ihipStream_tbENKUlT_T0_E_clISt17integral_constantIbLb1EES11_EEDaSW_SX_EUlSW_E_NS1_11comp_targetILNS1_3genE0ELNS1_11target_archE4294967295ELNS1_3gpuE0ELNS1_3repE0EEENS1_30default_config_static_selectorELNS0_4arch9wavefront6targetE1EEEvT1_
	.p2align	8
	.type	_ZN7rocprim17ROCPRIM_400000_NS6detail17trampoline_kernelINS0_14default_configENS1_27scan_by_key_config_selectorIitEEZZNS1_16scan_by_key_implILNS1_25lookback_scan_determinismE0ELb1ES3_N6thrust23THRUST_200600_302600_NS6detail15normal_iteratorINS9_10device_ptrIiEEEENSB_INSC_ItEEEESG_tNS9_4plusIvEENS9_8equal_toIvEEtEE10hipError_tPvRmT2_T3_T4_T5_mT6_T7_P12ihipStream_tbENKUlT_T0_E_clISt17integral_constantIbLb1EES11_EEDaSW_SX_EUlSW_E_NS1_11comp_targetILNS1_3genE0ELNS1_11target_archE4294967295ELNS1_3gpuE0ELNS1_3repE0EEENS1_30default_config_static_selectorELNS0_4arch9wavefront6targetE1EEEvT1_,@function
_ZN7rocprim17ROCPRIM_400000_NS6detail17trampoline_kernelINS0_14default_configENS1_27scan_by_key_config_selectorIitEEZZNS1_16scan_by_key_implILNS1_25lookback_scan_determinismE0ELb1ES3_N6thrust23THRUST_200600_302600_NS6detail15normal_iteratorINS9_10device_ptrIiEEEENSB_INSC_ItEEEESG_tNS9_4plusIvEENS9_8equal_toIvEEtEE10hipError_tPvRmT2_T3_T4_T5_mT6_T7_P12ihipStream_tbENKUlT_T0_E_clISt17integral_constantIbLb1EES11_EEDaSW_SX_EUlSW_E_NS1_11comp_targetILNS1_3genE0ELNS1_11target_archE4294967295ELNS1_3gpuE0ELNS1_3repE0EEENS1_30default_config_static_selectorELNS0_4arch9wavefront6targetE1EEEvT1_: ; @_ZN7rocprim17ROCPRIM_400000_NS6detail17trampoline_kernelINS0_14default_configENS1_27scan_by_key_config_selectorIitEEZZNS1_16scan_by_key_implILNS1_25lookback_scan_determinismE0ELb1ES3_N6thrust23THRUST_200600_302600_NS6detail15normal_iteratorINS9_10device_ptrIiEEEENSB_INSC_ItEEEESG_tNS9_4plusIvEENS9_8equal_toIvEEtEE10hipError_tPvRmT2_T3_T4_T5_mT6_T7_P12ihipStream_tbENKUlT_T0_E_clISt17integral_constantIbLb1EES11_EEDaSW_SX_EUlSW_E_NS1_11comp_targetILNS1_3genE0ELNS1_11target_archE4294967295ELNS1_3gpuE0ELNS1_3repE0EEENS1_30default_config_static_selectorELNS0_4arch9wavefront6targetE1EEEvT1_
; %bb.0:
	.section	.rodata,"a",@progbits
	.p2align	6, 0x0
	.amdhsa_kernel _ZN7rocprim17ROCPRIM_400000_NS6detail17trampoline_kernelINS0_14default_configENS1_27scan_by_key_config_selectorIitEEZZNS1_16scan_by_key_implILNS1_25lookback_scan_determinismE0ELb1ES3_N6thrust23THRUST_200600_302600_NS6detail15normal_iteratorINS9_10device_ptrIiEEEENSB_INSC_ItEEEESG_tNS9_4plusIvEENS9_8equal_toIvEEtEE10hipError_tPvRmT2_T3_T4_T5_mT6_T7_P12ihipStream_tbENKUlT_T0_E_clISt17integral_constantIbLb1EES11_EEDaSW_SX_EUlSW_E_NS1_11comp_targetILNS1_3genE0ELNS1_11target_archE4294967295ELNS1_3gpuE0ELNS1_3repE0EEENS1_30default_config_static_selectorELNS0_4arch9wavefront6targetE1EEEvT1_
		.amdhsa_group_segment_fixed_size 0
		.amdhsa_private_segment_fixed_size 0
		.amdhsa_kernarg_size 112
		.amdhsa_user_sgpr_count 2
		.amdhsa_user_sgpr_dispatch_ptr 0
		.amdhsa_user_sgpr_queue_ptr 0
		.amdhsa_user_sgpr_kernarg_segment_ptr 1
		.amdhsa_user_sgpr_dispatch_id 0
		.amdhsa_user_sgpr_kernarg_preload_length 0
		.amdhsa_user_sgpr_kernarg_preload_offset 0
		.amdhsa_user_sgpr_private_segment_size 0
		.amdhsa_uses_dynamic_stack 0
		.amdhsa_enable_private_segment 0
		.amdhsa_system_sgpr_workgroup_id_x 1
		.amdhsa_system_sgpr_workgroup_id_y 0
		.amdhsa_system_sgpr_workgroup_id_z 0
		.amdhsa_system_sgpr_workgroup_info 0
		.amdhsa_system_vgpr_workitem_id 0
		.amdhsa_next_free_vgpr 1
		.amdhsa_next_free_sgpr 0
		.amdhsa_accum_offset 4
		.amdhsa_reserve_vcc 0
		.amdhsa_float_round_mode_32 0
		.amdhsa_float_round_mode_16_64 0
		.amdhsa_float_denorm_mode_32 3
		.amdhsa_float_denorm_mode_16_64 3
		.amdhsa_dx10_clamp 1
		.amdhsa_ieee_mode 1
		.amdhsa_fp16_overflow 0
		.amdhsa_tg_split 0
		.amdhsa_exception_fp_ieee_invalid_op 0
		.amdhsa_exception_fp_denorm_src 0
		.amdhsa_exception_fp_ieee_div_zero 0
		.amdhsa_exception_fp_ieee_overflow 0
		.amdhsa_exception_fp_ieee_underflow 0
		.amdhsa_exception_fp_ieee_inexact 0
		.amdhsa_exception_int_div_zero 0
	.end_amdhsa_kernel
	.section	.text._ZN7rocprim17ROCPRIM_400000_NS6detail17trampoline_kernelINS0_14default_configENS1_27scan_by_key_config_selectorIitEEZZNS1_16scan_by_key_implILNS1_25lookback_scan_determinismE0ELb1ES3_N6thrust23THRUST_200600_302600_NS6detail15normal_iteratorINS9_10device_ptrIiEEEENSB_INSC_ItEEEESG_tNS9_4plusIvEENS9_8equal_toIvEEtEE10hipError_tPvRmT2_T3_T4_T5_mT6_T7_P12ihipStream_tbENKUlT_T0_E_clISt17integral_constantIbLb1EES11_EEDaSW_SX_EUlSW_E_NS1_11comp_targetILNS1_3genE0ELNS1_11target_archE4294967295ELNS1_3gpuE0ELNS1_3repE0EEENS1_30default_config_static_selectorELNS0_4arch9wavefront6targetE1EEEvT1_,"axG",@progbits,_ZN7rocprim17ROCPRIM_400000_NS6detail17trampoline_kernelINS0_14default_configENS1_27scan_by_key_config_selectorIitEEZZNS1_16scan_by_key_implILNS1_25lookback_scan_determinismE0ELb1ES3_N6thrust23THRUST_200600_302600_NS6detail15normal_iteratorINS9_10device_ptrIiEEEENSB_INSC_ItEEEESG_tNS9_4plusIvEENS9_8equal_toIvEEtEE10hipError_tPvRmT2_T3_T4_T5_mT6_T7_P12ihipStream_tbENKUlT_T0_E_clISt17integral_constantIbLb1EES11_EEDaSW_SX_EUlSW_E_NS1_11comp_targetILNS1_3genE0ELNS1_11target_archE4294967295ELNS1_3gpuE0ELNS1_3repE0EEENS1_30default_config_static_selectorELNS0_4arch9wavefront6targetE1EEEvT1_,comdat
.Lfunc_end1544:
	.size	_ZN7rocprim17ROCPRIM_400000_NS6detail17trampoline_kernelINS0_14default_configENS1_27scan_by_key_config_selectorIitEEZZNS1_16scan_by_key_implILNS1_25lookback_scan_determinismE0ELb1ES3_N6thrust23THRUST_200600_302600_NS6detail15normal_iteratorINS9_10device_ptrIiEEEENSB_INSC_ItEEEESG_tNS9_4plusIvEENS9_8equal_toIvEEtEE10hipError_tPvRmT2_T3_T4_T5_mT6_T7_P12ihipStream_tbENKUlT_T0_E_clISt17integral_constantIbLb1EES11_EEDaSW_SX_EUlSW_E_NS1_11comp_targetILNS1_3genE0ELNS1_11target_archE4294967295ELNS1_3gpuE0ELNS1_3repE0EEENS1_30default_config_static_selectorELNS0_4arch9wavefront6targetE1EEEvT1_, .Lfunc_end1544-_ZN7rocprim17ROCPRIM_400000_NS6detail17trampoline_kernelINS0_14default_configENS1_27scan_by_key_config_selectorIitEEZZNS1_16scan_by_key_implILNS1_25lookback_scan_determinismE0ELb1ES3_N6thrust23THRUST_200600_302600_NS6detail15normal_iteratorINS9_10device_ptrIiEEEENSB_INSC_ItEEEESG_tNS9_4plusIvEENS9_8equal_toIvEEtEE10hipError_tPvRmT2_T3_T4_T5_mT6_T7_P12ihipStream_tbENKUlT_T0_E_clISt17integral_constantIbLb1EES11_EEDaSW_SX_EUlSW_E_NS1_11comp_targetILNS1_3genE0ELNS1_11target_archE4294967295ELNS1_3gpuE0ELNS1_3repE0EEENS1_30default_config_static_selectorELNS0_4arch9wavefront6targetE1EEEvT1_
                                        ; -- End function
	.section	.AMDGPU.csdata,"",@progbits
; Kernel info:
; codeLenInByte = 0
; NumSgprs: 6
; NumVgprs: 0
; NumAgprs: 0
; TotalNumVgprs: 0
; ScratchSize: 0
; MemoryBound: 0
; FloatMode: 240
; IeeeMode: 1
; LDSByteSize: 0 bytes/workgroup (compile time only)
; SGPRBlocks: 0
; VGPRBlocks: 0
; NumSGPRsForWavesPerEU: 6
; NumVGPRsForWavesPerEU: 1
; AccumOffset: 4
; Occupancy: 8
; WaveLimiterHint : 0
; COMPUTE_PGM_RSRC2:SCRATCH_EN: 0
; COMPUTE_PGM_RSRC2:USER_SGPR: 2
; COMPUTE_PGM_RSRC2:TRAP_HANDLER: 0
; COMPUTE_PGM_RSRC2:TGID_X_EN: 1
; COMPUTE_PGM_RSRC2:TGID_Y_EN: 0
; COMPUTE_PGM_RSRC2:TGID_Z_EN: 0
; COMPUTE_PGM_RSRC2:TIDIG_COMP_CNT: 0
; COMPUTE_PGM_RSRC3_GFX90A:ACCUM_OFFSET: 0
; COMPUTE_PGM_RSRC3_GFX90A:TG_SPLIT: 0
	.section	.text._ZN7rocprim17ROCPRIM_400000_NS6detail17trampoline_kernelINS0_14default_configENS1_27scan_by_key_config_selectorIitEEZZNS1_16scan_by_key_implILNS1_25lookback_scan_determinismE0ELb1ES3_N6thrust23THRUST_200600_302600_NS6detail15normal_iteratorINS9_10device_ptrIiEEEENSB_INSC_ItEEEESG_tNS9_4plusIvEENS9_8equal_toIvEEtEE10hipError_tPvRmT2_T3_T4_T5_mT6_T7_P12ihipStream_tbENKUlT_T0_E_clISt17integral_constantIbLb1EES11_EEDaSW_SX_EUlSW_E_NS1_11comp_targetILNS1_3genE10ELNS1_11target_archE1201ELNS1_3gpuE5ELNS1_3repE0EEENS1_30default_config_static_selectorELNS0_4arch9wavefront6targetE1EEEvT1_,"axG",@progbits,_ZN7rocprim17ROCPRIM_400000_NS6detail17trampoline_kernelINS0_14default_configENS1_27scan_by_key_config_selectorIitEEZZNS1_16scan_by_key_implILNS1_25lookback_scan_determinismE0ELb1ES3_N6thrust23THRUST_200600_302600_NS6detail15normal_iteratorINS9_10device_ptrIiEEEENSB_INSC_ItEEEESG_tNS9_4plusIvEENS9_8equal_toIvEEtEE10hipError_tPvRmT2_T3_T4_T5_mT6_T7_P12ihipStream_tbENKUlT_T0_E_clISt17integral_constantIbLb1EES11_EEDaSW_SX_EUlSW_E_NS1_11comp_targetILNS1_3genE10ELNS1_11target_archE1201ELNS1_3gpuE5ELNS1_3repE0EEENS1_30default_config_static_selectorELNS0_4arch9wavefront6targetE1EEEvT1_,comdat
	.protected	_ZN7rocprim17ROCPRIM_400000_NS6detail17trampoline_kernelINS0_14default_configENS1_27scan_by_key_config_selectorIitEEZZNS1_16scan_by_key_implILNS1_25lookback_scan_determinismE0ELb1ES3_N6thrust23THRUST_200600_302600_NS6detail15normal_iteratorINS9_10device_ptrIiEEEENSB_INSC_ItEEEESG_tNS9_4plusIvEENS9_8equal_toIvEEtEE10hipError_tPvRmT2_T3_T4_T5_mT6_T7_P12ihipStream_tbENKUlT_T0_E_clISt17integral_constantIbLb1EES11_EEDaSW_SX_EUlSW_E_NS1_11comp_targetILNS1_3genE10ELNS1_11target_archE1201ELNS1_3gpuE5ELNS1_3repE0EEENS1_30default_config_static_selectorELNS0_4arch9wavefront6targetE1EEEvT1_ ; -- Begin function _ZN7rocprim17ROCPRIM_400000_NS6detail17trampoline_kernelINS0_14default_configENS1_27scan_by_key_config_selectorIitEEZZNS1_16scan_by_key_implILNS1_25lookback_scan_determinismE0ELb1ES3_N6thrust23THRUST_200600_302600_NS6detail15normal_iteratorINS9_10device_ptrIiEEEENSB_INSC_ItEEEESG_tNS9_4plusIvEENS9_8equal_toIvEEtEE10hipError_tPvRmT2_T3_T4_T5_mT6_T7_P12ihipStream_tbENKUlT_T0_E_clISt17integral_constantIbLb1EES11_EEDaSW_SX_EUlSW_E_NS1_11comp_targetILNS1_3genE10ELNS1_11target_archE1201ELNS1_3gpuE5ELNS1_3repE0EEENS1_30default_config_static_selectorELNS0_4arch9wavefront6targetE1EEEvT1_
	.globl	_ZN7rocprim17ROCPRIM_400000_NS6detail17trampoline_kernelINS0_14default_configENS1_27scan_by_key_config_selectorIitEEZZNS1_16scan_by_key_implILNS1_25lookback_scan_determinismE0ELb1ES3_N6thrust23THRUST_200600_302600_NS6detail15normal_iteratorINS9_10device_ptrIiEEEENSB_INSC_ItEEEESG_tNS9_4plusIvEENS9_8equal_toIvEEtEE10hipError_tPvRmT2_T3_T4_T5_mT6_T7_P12ihipStream_tbENKUlT_T0_E_clISt17integral_constantIbLb1EES11_EEDaSW_SX_EUlSW_E_NS1_11comp_targetILNS1_3genE10ELNS1_11target_archE1201ELNS1_3gpuE5ELNS1_3repE0EEENS1_30default_config_static_selectorELNS0_4arch9wavefront6targetE1EEEvT1_
	.p2align	8
	.type	_ZN7rocprim17ROCPRIM_400000_NS6detail17trampoline_kernelINS0_14default_configENS1_27scan_by_key_config_selectorIitEEZZNS1_16scan_by_key_implILNS1_25lookback_scan_determinismE0ELb1ES3_N6thrust23THRUST_200600_302600_NS6detail15normal_iteratorINS9_10device_ptrIiEEEENSB_INSC_ItEEEESG_tNS9_4plusIvEENS9_8equal_toIvEEtEE10hipError_tPvRmT2_T3_T4_T5_mT6_T7_P12ihipStream_tbENKUlT_T0_E_clISt17integral_constantIbLb1EES11_EEDaSW_SX_EUlSW_E_NS1_11comp_targetILNS1_3genE10ELNS1_11target_archE1201ELNS1_3gpuE5ELNS1_3repE0EEENS1_30default_config_static_selectorELNS0_4arch9wavefront6targetE1EEEvT1_,@function
_ZN7rocprim17ROCPRIM_400000_NS6detail17trampoline_kernelINS0_14default_configENS1_27scan_by_key_config_selectorIitEEZZNS1_16scan_by_key_implILNS1_25lookback_scan_determinismE0ELb1ES3_N6thrust23THRUST_200600_302600_NS6detail15normal_iteratorINS9_10device_ptrIiEEEENSB_INSC_ItEEEESG_tNS9_4plusIvEENS9_8equal_toIvEEtEE10hipError_tPvRmT2_T3_T4_T5_mT6_T7_P12ihipStream_tbENKUlT_T0_E_clISt17integral_constantIbLb1EES11_EEDaSW_SX_EUlSW_E_NS1_11comp_targetILNS1_3genE10ELNS1_11target_archE1201ELNS1_3gpuE5ELNS1_3repE0EEENS1_30default_config_static_selectorELNS0_4arch9wavefront6targetE1EEEvT1_: ; @_ZN7rocprim17ROCPRIM_400000_NS6detail17trampoline_kernelINS0_14default_configENS1_27scan_by_key_config_selectorIitEEZZNS1_16scan_by_key_implILNS1_25lookback_scan_determinismE0ELb1ES3_N6thrust23THRUST_200600_302600_NS6detail15normal_iteratorINS9_10device_ptrIiEEEENSB_INSC_ItEEEESG_tNS9_4plusIvEENS9_8equal_toIvEEtEE10hipError_tPvRmT2_T3_T4_T5_mT6_T7_P12ihipStream_tbENKUlT_T0_E_clISt17integral_constantIbLb1EES11_EEDaSW_SX_EUlSW_E_NS1_11comp_targetILNS1_3genE10ELNS1_11target_archE1201ELNS1_3gpuE5ELNS1_3repE0EEENS1_30default_config_static_selectorELNS0_4arch9wavefront6targetE1EEEvT1_
; %bb.0:
	.section	.rodata,"a",@progbits
	.p2align	6, 0x0
	.amdhsa_kernel _ZN7rocprim17ROCPRIM_400000_NS6detail17trampoline_kernelINS0_14default_configENS1_27scan_by_key_config_selectorIitEEZZNS1_16scan_by_key_implILNS1_25lookback_scan_determinismE0ELb1ES3_N6thrust23THRUST_200600_302600_NS6detail15normal_iteratorINS9_10device_ptrIiEEEENSB_INSC_ItEEEESG_tNS9_4plusIvEENS9_8equal_toIvEEtEE10hipError_tPvRmT2_T3_T4_T5_mT6_T7_P12ihipStream_tbENKUlT_T0_E_clISt17integral_constantIbLb1EES11_EEDaSW_SX_EUlSW_E_NS1_11comp_targetILNS1_3genE10ELNS1_11target_archE1201ELNS1_3gpuE5ELNS1_3repE0EEENS1_30default_config_static_selectorELNS0_4arch9wavefront6targetE1EEEvT1_
		.amdhsa_group_segment_fixed_size 0
		.amdhsa_private_segment_fixed_size 0
		.amdhsa_kernarg_size 112
		.amdhsa_user_sgpr_count 2
		.amdhsa_user_sgpr_dispatch_ptr 0
		.amdhsa_user_sgpr_queue_ptr 0
		.amdhsa_user_sgpr_kernarg_segment_ptr 1
		.amdhsa_user_sgpr_dispatch_id 0
		.amdhsa_user_sgpr_kernarg_preload_length 0
		.amdhsa_user_sgpr_kernarg_preload_offset 0
		.amdhsa_user_sgpr_private_segment_size 0
		.amdhsa_uses_dynamic_stack 0
		.amdhsa_enable_private_segment 0
		.amdhsa_system_sgpr_workgroup_id_x 1
		.amdhsa_system_sgpr_workgroup_id_y 0
		.amdhsa_system_sgpr_workgroup_id_z 0
		.amdhsa_system_sgpr_workgroup_info 0
		.amdhsa_system_vgpr_workitem_id 0
		.amdhsa_next_free_vgpr 1
		.amdhsa_next_free_sgpr 0
		.amdhsa_accum_offset 4
		.amdhsa_reserve_vcc 0
		.amdhsa_float_round_mode_32 0
		.amdhsa_float_round_mode_16_64 0
		.amdhsa_float_denorm_mode_32 3
		.amdhsa_float_denorm_mode_16_64 3
		.amdhsa_dx10_clamp 1
		.amdhsa_ieee_mode 1
		.amdhsa_fp16_overflow 0
		.amdhsa_tg_split 0
		.amdhsa_exception_fp_ieee_invalid_op 0
		.amdhsa_exception_fp_denorm_src 0
		.amdhsa_exception_fp_ieee_div_zero 0
		.amdhsa_exception_fp_ieee_overflow 0
		.amdhsa_exception_fp_ieee_underflow 0
		.amdhsa_exception_fp_ieee_inexact 0
		.amdhsa_exception_int_div_zero 0
	.end_amdhsa_kernel
	.section	.text._ZN7rocprim17ROCPRIM_400000_NS6detail17trampoline_kernelINS0_14default_configENS1_27scan_by_key_config_selectorIitEEZZNS1_16scan_by_key_implILNS1_25lookback_scan_determinismE0ELb1ES3_N6thrust23THRUST_200600_302600_NS6detail15normal_iteratorINS9_10device_ptrIiEEEENSB_INSC_ItEEEESG_tNS9_4plusIvEENS9_8equal_toIvEEtEE10hipError_tPvRmT2_T3_T4_T5_mT6_T7_P12ihipStream_tbENKUlT_T0_E_clISt17integral_constantIbLb1EES11_EEDaSW_SX_EUlSW_E_NS1_11comp_targetILNS1_3genE10ELNS1_11target_archE1201ELNS1_3gpuE5ELNS1_3repE0EEENS1_30default_config_static_selectorELNS0_4arch9wavefront6targetE1EEEvT1_,"axG",@progbits,_ZN7rocprim17ROCPRIM_400000_NS6detail17trampoline_kernelINS0_14default_configENS1_27scan_by_key_config_selectorIitEEZZNS1_16scan_by_key_implILNS1_25lookback_scan_determinismE0ELb1ES3_N6thrust23THRUST_200600_302600_NS6detail15normal_iteratorINS9_10device_ptrIiEEEENSB_INSC_ItEEEESG_tNS9_4plusIvEENS9_8equal_toIvEEtEE10hipError_tPvRmT2_T3_T4_T5_mT6_T7_P12ihipStream_tbENKUlT_T0_E_clISt17integral_constantIbLb1EES11_EEDaSW_SX_EUlSW_E_NS1_11comp_targetILNS1_3genE10ELNS1_11target_archE1201ELNS1_3gpuE5ELNS1_3repE0EEENS1_30default_config_static_selectorELNS0_4arch9wavefront6targetE1EEEvT1_,comdat
.Lfunc_end1545:
	.size	_ZN7rocprim17ROCPRIM_400000_NS6detail17trampoline_kernelINS0_14default_configENS1_27scan_by_key_config_selectorIitEEZZNS1_16scan_by_key_implILNS1_25lookback_scan_determinismE0ELb1ES3_N6thrust23THRUST_200600_302600_NS6detail15normal_iteratorINS9_10device_ptrIiEEEENSB_INSC_ItEEEESG_tNS9_4plusIvEENS9_8equal_toIvEEtEE10hipError_tPvRmT2_T3_T4_T5_mT6_T7_P12ihipStream_tbENKUlT_T0_E_clISt17integral_constantIbLb1EES11_EEDaSW_SX_EUlSW_E_NS1_11comp_targetILNS1_3genE10ELNS1_11target_archE1201ELNS1_3gpuE5ELNS1_3repE0EEENS1_30default_config_static_selectorELNS0_4arch9wavefront6targetE1EEEvT1_, .Lfunc_end1545-_ZN7rocprim17ROCPRIM_400000_NS6detail17trampoline_kernelINS0_14default_configENS1_27scan_by_key_config_selectorIitEEZZNS1_16scan_by_key_implILNS1_25lookback_scan_determinismE0ELb1ES3_N6thrust23THRUST_200600_302600_NS6detail15normal_iteratorINS9_10device_ptrIiEEEENSB_INSC_ItEEEESG_tNS9_4plusIvEENS9_8equal_toIvEEtEE10hipError_tPvRmT2_T3_T4_T5_mT6_T7_P12ihipStream_tbENKUlT_T0_E_clISt17integral_constantIbLb1EES11_EEDaSW_SX_EUlSW_E_NS1_11comp_targetILNS1_3genE10ELNS1_11target_archE1201ELNS1_3gpuE5ELNS1_3repE0EEENS1_30default_config_static_selectorELNS0_4arch9wavefront6targetE1EEEvT1_
                                        ; -- End function
	.section	.AMDGPU.csdata,"",@progbits
; Kernel info:
; codeLenInByte = 0
; NumSgprs: 6
; NumVgprs: 0
; NumAgprs: 0
; TotalNumVgprs: 0
; ScratchSize: 0
; MemoryBound: 0
; FloatMode: 240
; IeeeMode: 1
; LDSByteSize: 0 bytes/workgroup (compile time only)
; SGPRBlocks: 0
; VGPRBlocks: 0
; NumSGPRsForWavesPerEU: 6
; NumVGPRsForWavesPerEU: 1
; AccumOffset: 4
; Occupancy: 8
; WaveLimiterHint : 0
; COMPUTE_PGM_RSRC2:SCRATCH_EN: 0
; COMPUTE_PGM_RSRC2:USER_SGPR: 2
; COMPUTE_PGM_RSRC2:TRAP_HANDLER: 0
; COMPUTE_PGM_RSRC2:TGID_X_EN: 1
; COMPUTE_PGM_RSRC2:TGID_Y_EN: 0
; COMPUTE_PGM_RSRC2:TGID_Z_EN: 0
; COMPUTE_PGM_RSRC2:TIDIG_COMP_CNT: 0
; COMPUTE_PGM_RSRC3_GFX90A:ACCUM_OFFSET: 0
; COMPUTE_PGM_RSRC3_GFX90A:TG_SPLIT: 0
	.section	.text._ZN7rocprim17ROCPRIM_400000_NS6detail17trampoline_kernelINS0_14default_configENS1_27scan_by_key_config_selectorIitEEZZNS1_16scan_by_key_implILNS1_25lookback_scan_determinismE0ELb1ES3_N6thrust23THRUST_200600_302600_NS6detail15normal_iteratorINS9_10device_ptrIiEEEENSB_INSC_ItEEEESG_tNS9_4plusIvEENS9_8equal_toIvEEtEE10hipError_tPvRmT2_T3_T4_T5_mT6_T7_P12ihipStream_tbENKUlT_T0_E_clISt17integral_constantIbLb1EES11_EEDaSW_SX_EUlSW_E_NS1_11comp_targetILNS1_3genE5ELNS1_11target_archE942ELNS1_3gpuE9ELNS1_3repE0EEENS1_30default_config_static_selectorELNS0_4arch9wavefront6targetE1EEEvT1_,"axG",@progbits,_ZN7rocprim17ROCPRIM_400000_NS6detail17trampoline_kernelINS0_14default_configENS1_27scan_by_key_config_selectorIitEEZZNS1_16scan_by_key_implILNS1_25lookback_scan_determinismE0ELb1ES3_N6thrust23THRUST_200600_302600_NS6detail15normal_iteratorINS9_10device_ptrIiEEEENSB_INSC_ItEEEESG_tNS9_4plusIvEENS9_8equal_toIvEEtEE10hipError_tPvRmT2_T3_T4_T5_mT6_T7_P12ihipStream_tbENKUlT_T0_E_clISt17integral_constantIbLb1EES11_EEDaSW_SX_EUlSW_E_NS1_11comp_targetILNS1_3genE5ELNS1_11target_archE942ELNS1_3gpuE9ELNS1_3repE0EEENS1_30default_config_static_selectorELNS0_4arch9wavefront6targetE1EEEvT1_,comdat
	.protected	_ZN7rocprim17ROCPRIM_400000_NS6detail17trampoline_kernelINS0_14default_configENS1_27scan_by_key_config_selectorIitEEZZNS1_16scan_by_key_implILNS1_25lookback_scan_determinismE0ELb1ES3_N6thrust23THRUST_200600_302600_NS6detail15normal_iteratorINS9_10device_ptrIiEEEENSB_INSC_ItEEEESG_tNS9_4plusIvEENS9_8equal_toIvEEtEE10hipError_tPvRmT2_T3_T4_T5_mT6_T7_P12ihipStream_tbENKUlT_T0_E_clISt17integral_constantIbLb1EES11_EEDaSW_SX_EUlSW_E_NS1_11comp_targetILNS1_3genE5ELNS1_11target_archE942ELNS1_3gpuE9ELNS1_3repE0EEENS1_30default_config_static_selectorELNS0_4arch9wavefront6targetE1EEEvT1_ ; -- Begin function _ZN7rocprim17ROCPRIM_400000_NS6detail17trampoline_kernelINS0_14default_configENS1_27scan_by_key_config_selectorIitEEZZNS1_16scan_by_key_implILNS1_25lookback_scan_determinismE0ELb1ES3_N6thrust23THRUST_200600_302600_NS6detail15normal_iteratorINS9_10device_ptrIiEEEENSB_INSC_ItEEEESG_tNS9_4plusIvEENS9_8equal_toIvEEtEE10hipError_tPvRmT2_T3_T4_T5_mT6_T7_P12ihipStream_tbENKUlT_T0_E_clISt17integral_constantIbLb1EES11_EEDaSW_SX_EUlSW_E_NS1_11comp_targetILNS1_3genE5ELNS1_11target_archE942ELNS1_3gpuE9ELNS1_3repE0EEENS1_30default_config_static_selectorELNS0_4arch9wavefront6targetE1EEEvT1_
	.globl	_ZN7rocprim17ROCPRIM_400000_NS6detail17trampoline_kernelINS0_14default_configENS1_27scan_by_key_config_selectorIitEEZZNS1_16scan_by_key_implILNS1_25lookback_scan_determinismE0ELb1ES3_N6thrust23THRUST_200600_302600_NS6detail15normal_iteratorINS9_10device_ptrIiEEEENSB_INSC_ItEEEESG_tNS9_4plusIvEENS9_8equal_toIvEEtEE10hipError_tPvRmT2_T3_T4_T5_mT6_T7_P12ihipStream_tbENKUlT_T0_E_clISt17integral_constantIbLb1EES11_EEDaSW_SX_EUlSW_E_NS1_11comp_targetILNS1_3genE5ELNS1_11target_archE942ELNS1_3gpuE9ELNS1_3repE0EEENS1_30default_config_static_selectorELNS0_4arch9wavefront6targetE1EEEvT1_
	.p2align	8
	.type	_ZN7rocprim17ROCPRIM_400000_NS6detail17trampoline_kernelINS0_14default_configENS1_27scan_by_key_config_selectorIitEEZZNS1_16scan_by_key_implILNS1_25lookback_scan_determinismE0ELb1ES3_N6thrust23THRUST_200600_302600_NS6detail15normal_iteratorINS9_10device_ptrIiEEEENSB_INSC_ItEEEESG_tNS9_4plusIvEENS9_8equal_toIvEEtEE10hipError_tPvRmT2_T3_T4_T5_mT6_T7_P12ihipStream_tbENKUlT_T0_E_clISt17integral_constantIbLb1EES11_EEDaSW_SX_EUlSW_E_NS1_11comp_targetILNS1_3genE5ELNS1_11target_archE942ELNS1_3gpuE9ELNS1_3repE0EEENS1_30default_config_static_selectorELNS0_4arch9wavefront6targetE1EEEvT1_,@function
_ZN7rocprim17ROCPRIM_400000_NS6detail17trampoline_kernelINS0_14default_configENS1_27scan_by_key_config_selectorIitEEZZNS1_16scan_by_key_implILNS1_25lookback_scan_determinismE0ELb1ES3_N6thrust23THRUST_200600_302600_NS6detail15normal_iteratorINS9_10device_ptrIiEEEENSB_INSC_ItEEEESG_tNS9_4plusIvEENS9_8equal_toIvEEtEE10hipError_tPvRmT2_T3_T4_T5_mT6_T7_P12ihipStream_tbENKUlT_T0_E_clISt17integral_constantIbLb1EES11_EEDaSW_SX_EUlSW_E_NS1_11comp_targetILNS1_3genE5ELNS1_11target_archE942ELNS1_3gpuE9ELNS1_3repE0EEENS1_30default_config_static_selectorELNS0_4arch9wavefront6targetE1EEEvT1_: ; @_ZN7rocprim17ROCPRIM_400000_NS6detail17trampoline_kernelINS0_14default_configENS1_27scan_by_key_config_selectorIitEEZZNS1_16scan_by_key_implILNS1_25lookback_scan_determinismE0ELb1ES3_N6thrust23THRUST_200600_302600_NS6detail15normal_iteratorINS9_10device_ptrIiEEEENSB_INSC_ItEEEESG_tNS9_4plusIvEENS9_8equal_toIvEEtEE10hipError_tPvRmT2_T3_T4_T5_mT6_T7_P12ihipStream_tbENKUlT_T0_E_clISt17integral_constantIbLb1EES11_EEDaSW_SX_EUlSW_E_NS1_11comp_targetILNS1_3genE5ELNS1_11target_archE942ELNS1_3gpuE9ELNS1_3repE0EEENS1_30default_config_static_selectorELNS0_4arch9wavefront6targetE1EEEvT1_
; %bb.0:
	s_load_dword s74, s[0:1], 0x20
	s_load_dwordx4 s[64:67], s[0:1], 0x28
	s_load_dwordx2 s[72:73], s[0:1], 0x38
	v_cmp_eq_u32_e64 s[52:53], 0, v0
	s_and_saveexec_b64 s[2:3], s[52:53]
	s_cbranch_execz .LBB1546_4
; %bb.1:
	s_mov_b64 s[6:7], exec
	v_mbcnt_lo_u32_b32 v1, s6, 0
	v_mbcnt_hi_u32_b32 v1, s7, v1
	v_cmp_eq_u32_e32 vcc, 0, v1
                                        ; implicit-def: $vgpr2
	s_and_saveexec_b64 s[4:5], vcc
	s_cbranch_execz .LBB1546_3
; %bb.2:
	s_load_dwordx2 s[8:9], s[0:1], 0x68
	s_bcnt1_i32_b64 s6, s[6:7]
	v_mov_b32_e32 v2, 0
	v_mov_b32_e32 v3, s6
	s_waitcnt lgkmcnt(0)
	global_atomic_add v2, v2, v3, s[8:9] sc0
.LBB1546_3:
	s_or_b64 exec, exec, s[4:5]
	s_waitcnt vmcnt(0)
	v_readfirstlane_b32 s4, v2
	v_mov_b32_e32 v2, 0
	s_nop 0
	v_add_u32_e32 v1, s4, v1
	ds_write_b32 v2, v1
.LBB1546_4:
	s_or_b64 exec, exec, s[2:3]
	s_load_dwordx8 s[56:63], s[0:1], 0x0
	s_load_dword s2, s[0:1], 0x40
	s_load_dwordx4 s[68:71], s[0:1], 0x48
	v_mov_b32_e32 v3, 0
	s_waitcnt lgkmcnt(0)
	s_lshl_b64 s[0:1], s[58:59], 2
	s_barrier
	ds_read_b32 v2, v3
	s_add_u32 s0, s56, s0
	s_addc_u32 s1, s57, s1
	s_lshl_b64 s[54:55], s[58:59], 1
	s_add_u32 s4, s60, s54
	s_mul_i32 s3, s73, s2
	s_mul_hi_u32 s6, s72, s2
	s_addc_u32 s5, s61, s55
	s_add_i32 s3, s6, s3
	s_movk_i32 s6, 0x1800
	s_waitcnt lgkmcnt(0)
	v_mul_lo_u32 v4, v2, s6
	v_mov_b32_e32 v5, v3
	v_lshlrev_b64 v[50:51], 1, v[4:5]
	s_mul_i32 s2, s72, s2
	v_lshl_add_u64 v[52:53], s[4:5], 0, v[50:51]
	s_add_u32 s4, s68, -1
	v_readfirstlane_b32 s67, v2
	v_lshl_add_u64 v[2:3], s[2:3], 0, v[2:3]
	s_addc_u32 s5, s69, -1
	v_lshlrev_b64 v[6:7], 2, v[4:5]
	v_cmp_le_u64_e64 s[2:3], s[4:5], v[2:3]
	v_lshl_add_u64 v[54:55], s[0:1], 0, v[6:7]
	s_mov_b64 s[0:1], -1
	s_and_b64 vcc, exec, s[2:3]
	s_mul_i32 s33, s4, 0xffffe800
	s_barrier
	s_barrier
	s_cbranch_vccz .LBB1546_130
; %bb.5:
	flat_load_dword v2, v[54:55]
	s_add_i32 s68, s33, s66
	v_cmp_gt_u32_e32 vcc, s68, v0
	s_waitcnt vmcnt(0) lgkmcnt(0)
	v_mov_b32_e32 v3, v2
	s_and_saveexec_b64 s[0:1], vcc
	s_cbranch_execz .LBB1546_7
; %bb.6:
	v_lshlrev_b32_e32 v4, 2, v0
	v_mov_b32_e32 v5, 0
	v_lshl_add_u64 v[4:5], v[54:55], 0, v[4:5]
	flat_load_dword v3, v[4:5]
.LBB1546_7:
	s_or_b64 exec, exec, s[0:1]
	v_or_b32_e32 v1, 0x100, v0
	v_cmp_gt_u32_e64 s[4:5], s68, v1
	v_mov_b32_e32 v19, v2
	s_and_saveexec_b64 s[0:1], s[4:5]
	s_cbranch_execz .LBB1546_9
; %bb.8:
	v_lshlrev_b32_e32 v4, 2, v0
	v_mov_b32_e32 v5, 0
	v_lshl_add_u64 v[4:5], v[54:55], 0, v[4:5]
	flat_load_dword v19, v[4:5] offset:1024
.LBB1546_9:
	s_or_b64 exec, exec, s[0:1]
	v_or_b32_e32 v1, 0x200, v0
	v_cmp_gt_u32_e64 s[6:7], s68, v1
	v_mov_b32_e32 v20, v2
	s_and_saveexec_b64 s[0:1], s[6:7]
	s_cbranch_execz .LBB1546_11
; %bb.10:
	v_lshlrev_b32_e32 v4, 2, v0
	v_mov_b32_e32 v5, 0
	v_lshl_add_u64 v[4:5], v[54:55], 0, v[4:5]
	flat_load_dword v20, v[4:5] offset:2048
.LBB1546_11:
	;; [unrolled: 12-line block ×3, first 2 shown]
	s_or_b64 exec, exec, s[0:1]
	v_or_b32_e32 v1, 0x400, v0
	v_cmp_gt_u32_e64 s[10:11], s68, v1
	v_mov_b32_e32 v22, v2
	s_and_saveexec_b64 s[0:1], s[10:11]
	s_cbranch_execz .LBB1546_15
; %bb.14:
	v_lshlrev_b32_e32 v4, 2, v1
	v_mov_b32_e32 v5, 0
	v_lshl_add_u64 v[4:5], v[54:55], 0, v[4:5]
	flat_load_dword v22, v[4:5]
.LBB1546_15:
	s_or_b64 exec, exec, s[0:1]
	v_or_b32_e32 v1, 0x500, v0
	v_cmp_gt_u32_e64 s[12:13], s68, v1
	v_mov_b32_e32 v23, v2
	s_and_saveexec_b64 s[0:1], s[12:13]
	s_cbranch_execz .LBB1546_17
; %bb.16:
	v_lshlrev_b32_e32 v4, 2, v1
	v_mov_b32_e32 v5, 0
	v_lshl_add_u64 v[4:5], v[54:55], 0, v[4:5]
	flat_load_dword v23, v[4:5]
.LBB1546_17:
	;; [unrolled: 12-line block ×19, first 2 shown]
	s_or_b64 exec, exec, s[0:1]
	v_or_b32_e32 v18, 0x1700, v0
	v_cmp_gt_u32_e64 s[50:51], s68, v18
	s_and_saveexec_b64 s[0:1], s[50:51]
	s_cbranch_execz .LBB1546_53
; %bb.52:
	v_lshlrev_b32_e32 v42, 2, v18
	v_mov_b32_e32 v43, 0
	v_lshl_add_u64 v[42:43], v[54:55], 0, v[42:43]
	flat_load_dword v2, v[42:43]
.LBB1546_53:
	s_or_b64 exec, exec, s[0:1]
	v_lshlrev_b32_e32 v46, 2, v0
	s_waitcnt vmcnt(0) lgkmcnt(0)
	ds_write2st64_b32 v46, v3, v19 offset1:4
	ds_write2st64_b32 v46, v20, v21 offset0:8 offset1:12
	ds_write2st64_b32 v46, v22, v23 offset0:16 offset1:20
	;; [unrolled: 1-line block ×11, first 2 shown]
	s_waitcnt lgkmcnt(0)
	s_barrier
	flat_load_dword v58, v[54:55]
	s_movk_i32 s0, 0x5c
	v_mad_u32_u24 v2, v0, s0, v46
	s_movk_i32 s0, 0xffa4
	v_mad_i32_i24 v19, v0, s0, v2
	s_movk_i32 s0, 0xff
	v_cmp_ne_u32_e64 s[0:1], s0, v0
	ds_read_b128 v[42:45], v2
	ds_read_b128 v[38:41], v2 offset:16
	ds_read_b128 v[34:37], v2 offset:32
	;; [unrolled: 1-line block ×5, first 2 shown]
	s_waitcnt lgkmcnt(0)
	ds_write_b32 v19, v42 offset:25600
	s_waitcnt lgkmcnt(0)
	s_barrier
	s_and_saveexec_b64 s[56:57], s[0:1]
	s_cbranch_execz .LBB1546_55
; %bb.54:
	s_waitcnt vmcnt(0)
	ds_read_b32 v58, v46 offset:25604
.LBB1546_55:
	s_or_b64 exec, exec, s[56:57]
	v_mov_b32_e32 v3, 0
	s_waitcnt lgkmcnt(0)
	s_barrier
	s_waitcnt lgkmcnt(0)
                                        ; implicit-def: $vgpr2
	s_and_saveexec_b64 s[0:1], vcc
	s_cbranch_execz .LBB1546_209
; %bb.56:
	v_lshlrev_b32_e32 v2, 1, v0
	v_lshl_add_u64 v[2:3], v[52:53], 0, v[2:3]
	flat_load_ushort v2, v[2:3]
	s_or_b64 exec, exec, s[0:1]
                                        ; implicit-def: $vgpr3
	s_and_saveexec_b64 s[0:1], s[4:5]
	s_cbranch_execnz .LBB1546_210
.LBB1546_57:
	s_or_b64 exec, exec, s[0:1]
                                        ; implicit-def: $vgpr20
	s_and_saveexec_b64 s[0:1], s[6:7]
	s_cbranch_execz .LBB1546_211
.LBB1546_58:
	v_lshlrev_b32_e32 v20, 1, v0
	v_mov_b32_e32 v21, 0
	v_lshl_add_u64 v[20:21], v[52:53], 0, v[20:21]
	flat_load_ushort v20, v[20:21] offset:1024
	s_or_b64 exec, exec, s[0:1]
                                        ; implicit-def: $vgpr21
	s_and_saveexec_b64 s[0:1], s[8:9]
	s_cbranch_execnz .LBB1546_212
.LBB1546_59:
	s_or_b64 exec, exec, s[0:1]
                                        ; implicit-def: $vgpr46
	s_and_saveexec_b64 s[0:1], s[10:11]
	s_cbranch_execz .LBB1546_213
.LBB1546_60:
	v_lshlrev_b32_e32 v46, 1, v0
	v_mov_b32_e32 v47, 0
	v_lshl_add_u64 v[46:47], v[52:53], 0, v[46:47]
	flat_load_ushort v46, v[46:47] offset:2048
	s_or_b64 exec, exec, s[0:1]
                                        ; implicit-def: $vgpr47
	s_and_saveexec_b64 s[0:1], s[12:13]
	s_cbranch_execnz .LBB1546_214
.LBB1546_61:
	s_or_b64 exec, exec, s[0:1]
                                        ; implicit-def: $vgpr48
	s_and_saveexec_b64 s[0:1], s[14:15]
	s_cbranch_execz .LBB1546_215
.LBB1546_62:
	v_lshlrev_b32_e32 v48, 1, v0
	v_mov_b32_e32 v49, 0
	v_lshl_add_u64 v[48:49], v[52:53], 0, v[48:49]
	flat_load_ushort v48, v[48:49] offset:3072
	s_or_b64 exec, exec, s[0:1]
                                        ; implicit-def: $vgpr49
	s_and_saveexec_b64 s[0:1], s[16:17]
	s_cbranch_execnz .LBB1546_216
.LBB1546_63:
	s_or_b64 exec, exec, s[0:1]
                                        ; implicit-def: $vgpr56
	s_and_saveexec_b64 s[0:1], s[18:19]
	s_cbranch_execz .LBB1546_217
.LBB1546_64:
	v_lshlrev_b32_e32 v56, 1, v1
	v_mov_b32_e32 v57, 0
	v_lshl_add_u64 v[56:57], v[52:53], 0, v[56:57]
	flat_load_ushort v56, v[56:57]
	s_or_b64 exec, exec, s[0:1]
                                        ; implicit-def: $vgpr1
	s_and_saveexec_b64 s[0:1], s[20:21]
	s_cbranch_execnz .LBB1546_218
.LBB1546_65:
	s_or_b64 exec, exec, s[0:1]
                                        ; implicit-def: $vgpr4
	s_and_saveexec_b64 s[0:1], s[22:23]
	s_cbranch_execz .LBB1546_219
.LBB1546_66:
	v_lshlrev_b32_e32 v4, 1, v5
	v_mov_b32_e32 v5, 0
	v_lshl_add_u64 v[4:5], v[52:53], 0, v[4:5]
	flat_load_ushort v4, v[4:5]
	s_or_b64 exec, exec, s[0:1]
                                        ; implicit-def: $vgpr5
	s_and_saveexec_b64 s[0:1], s[24:25]
	s_cbranch_execnz .LBB1546_220
.LBB1546_67:
	s_or_b64 exec, exec, s[0:1]
                                        ; implicit-def: $vgpr6
	s_and_saveexec_b64 s[0:1], s[26:27]
	s_cbranch_execz .LBB1546_221
.LBB1546_68:
	v_lshlrev_b32_e32 v6, 1, v7
	v_mov_b32_e32 v7, 0
	v_lshl_add_u64 v[6:7], v[52:53], 0, v[6:7]
	flat_load_ushort v6, v[6:7]
	s_or_b64 exec, exec, s[0:1]
                                        ; implicit-def: $vgpr7
	s_and_saveexec_b64 s[0:1], s[28:29]
	s_cbranch_execnz .LBB1546_222
.LBB1546_69:
	s_or_b64 exec, exec, s[0:1]
                                        ; implicit-def: $vgpr8
	s_and_saveexec_b64 s[0:1], s[30:31]
	s_cbranch_execz .LBB1546_223
.LBB1546_70:
	v_lshlrev_b32_e32 v8, 1, v9
	v_mov_b32_e32 v9, 0
	v_lshl_add_u64 v[8:9], v[52:53], 0, v[8:9]
	flat_load_ushort v8, v[8:9]
	s_or_b64 exec, exec, s[0:1]
                                        ; implicit-def: $vgpr9
	s_and_saveexec_b64 s[0:1], s[34:35]
	s_cbranch_execnz .LBB1546_224
.LBB1546_71:
	s_or_b64 exec, exec, s[0:1]
                                        ; implicit-def: $vgpr10
	s_and_saveexec_b64 s[0:1], s[36:37]
	s_cbranch_execz .LBB1546_225
.LBB1546_72:
	v_lshlrev_b32_e32 v10, 1, v11
	v_mov_b32_e32 v11, 0
	v_lshl_add_u64 v[10:11], v[52:53], 0, v[10:11]
	flat_load_ushort v10, v[10:11]
	s_or_b64 exec, exec, s[0:1]
                                        ; implicit-def: $vgpr11
	s_and_saveexec_b64 s[0:1], s[38:39]
	s_cbranch_execnz .LBB1546_226
.LBB1546_73:
	s_or_b64 exec, exec, s[0:1]
                                        ; implicit-def: $vgpr12
	s_and_saveexec_b64 s[0:1], s[40:41]
	s_cbranch_execz .LBB1546_227
.LBB1546_74:
	v_lshlrev_b32_e32 v12, 1, v13
	v_mov_b32_e32 v13, 0
	v_lshl_add_u64 v[12:13], v[52:53], 0, v[12:13]
	flat_load_ushort v12, v[12:13]
	s_or_b64 exec, exec, s[0:1]
                                        ; implicit-def: $vgpr13
	s_and_saveexec_b64 s[0:1], s[42:43]
	s_cbranch_execnz .LBB1546_228
.LBB1546_75:
	s_or_b64 exec, exec, s[0:1]
                                        ; implicit-def: $vgpr14
	s_and_saveexec_b64 s[0:1], s[44:45]
	s_cbranch_execz .LBB1546_229
.LBB1546_76:
	v_lshlrev_b32_e32 v14, 1, v15
	v_mov_b32_e32 v15, 0
	v_lshl_add_u64 v[14:15], v[52:53], 0, v[14:15]
	flat_load_ushort v14, v[14:15]
	s_or_b64 exec, exec, s[0:1]
                                        ; implicit-def: $vgpr15
	s_and_saveexec_b64 s[0:1], s[46:47]
	s_cbranch_execnz .LBB1546_230
.LBB1546_77:
	s_or_b64 exec, exec, s[0:1]
                                        ; implicit-def: $vgpr16
	s_and_saveexec_b64 s[0:1], s[48:49]
	s_cbranch_execz .LBB1546_79
.LBB1546_78:
	v_lshlrev_b32_e32 v16, 1, v17
	v_mov_b32_e32 v17, 0
	v_lshl_add_u64 v[16:17], v[52:53], 0, v[16:17]
	flat_load_ushort v16, v[16:17]
.LBB1546_79:
	s_or_b64 exec, exec, s[0:1]
	v_mul_u32_u24_e32 v60, 24, v0
                                        ; implicit-def: $vgpr17
	s_and_saveexec_b64 s[0:1], s[50:51]
	s_cbranch_execz .LBB1546_81
; %bb.80:
	v_lshlrev_b32_e32 v62, 1, v18
	v_mov_b32_e32 v63, 0
	v_lshl_add_u64 v[62:63], v[52:53], 0, v[62:63]
	flat_load_ushort v17, v[62:63]
.LBB1546_81:
	s_or_b64 exec, exec, s[0:1]
	v_lshlrev_b32_e32 v18, 1, v0
	s_mov_b32 s4, 0
	v_sub_u32_e32 v61, v19, v18
	s_mov_b32 s5, s4
	s_waitcnt vmcnt(0) lgkmcnt(0)
	ds_write_b16 v61, v2
	ds_write_b16 v61, v3 offset:512
	ds_write_b16 v61, v20 offset:1024
	;; [unrolled: 1-line block ×23, first 2 shown]
	s_mov_b32 s6, s4
	s_mov_b32 s7, s4
	;; [unrolled: 1-line block ×6, first 2 shown]
	v_mov_b64_e32 v[2:3], s[4:5]
	s_mov_b32 s14, s4
	s_mov_b32 s15, s4
	v_mov_b64_e32 v[8:9], s[10:11]
	s_mov_b32 s12, s4
	s_mov_b32 s13, s4
	v_mov_b64_e32 v[20:21], s[14:15]
	v_mov_b64_e32 v[4:5], s[6:7]
	;; [unrolled: 1-line block ×4, first 2 shown]
	v_cmp_gt_u32_e32 vcc, s68, v60
	s_mov_b64 s[0:1], 0
	v_mov_b64_e32 v[18:19], s[12:13]
	v_mov_b32_e32 v1, 0
	s_mov_b64 s[10:11], 0
	v_mov_b64_e32 v[14:15], v[6:7]
	v_mov_b64_e32 v[12:13], v[4:5]
	;; [unrolled: 1-line block ×3, first 2 shown]
	v_mov_b32_e32 v56, 0
	v_mov_b32_e32 v57, 0
	s_waitcnt lgkmcnt(0)
	s_barrier
	s_waitcnt lgkmcnt(0)
                                        ; implicit-def: $sgpr8_sgpr9
                                        ; implicit-def: $vgpr59
	s_and_saveexec_b64 s[6:7], vcc
	s_cbranch_execz .LBB1546_129
; %bb.82:
	v_mad_u32_u24 v1, v0, 46, v61
	ds_read_u16 v1, v1
	v_mov_b32_e32 v3, s74
	v_cmp_eq_u32_e32 vcc, v42, v43
	s_mov_b32 s8, 0
	v_or_b32_e32 v2, 1, v60
	s_waitcnt lgkmcnt(0)
	v_cndmask_b32_e32 v1, v3, v1, vcc
	v_cmp_ne_u32_e32 vcc, v42, v43
	v_and_b32_e32 v1, 0xffff, v1
	s_mov_b32 s9, s8
	v_cndmask_b32_e64 v3, 0, 1, vcc
	v_lshl_or_b32 v1, v3, 16, v1
	v_cmp_gt_u32_e32 vcc, s68, v2
	s_mov_b32 s10, s8
	s_mov_b32 s11, s8
	;; [unrolled: 1-line block ×6, first 2 shown]
	v_mov_b64_e32 v[2:3], s[8:9]
	s_mov_b32 s18, s8
	s_mov_b32 s19, s8
	v_mov_b64_e32 v[8:9], s[14:15]
	s_mov_b32 s16, s8
	s_mov_b32 s17, s8
	v_mov_b64_e32 v[20:21], s[18:19]
	v_mov_b64_e32 v[4:5], s[10:11]
	;; [unrolled: 1-line block ×4, first 2 shown]
	s_mov_b64 s[22:23], 0
	v_mov_b64_e32 v[18:19], s[16:17]
	v_mov_b32_e32 v56, 0
	v_mov_b64_e32 v[14:15], v[6:7]
	v_mov_b64_e32 v[12:13], v[4:5]
	;; [unrolled: 1-line block ×3, first 2 shown]
	v_mov_b32_e32 v57, 0
                                        ; implicit-def: $sgpr24_sgpr25
                                        ; implicit-def: $vgpr59
	s_and_saveexec_b64 s[20:21], vcc
	s_cbranch_execz .LBB1546_128
; %bb.83:
	v_mul_u32_u24_e32 v2, 46, v0
	v_add_u32_e32 v42, v61, v2
	ds_read_b128 v[46:49], v42 offset:2
	v_mov_b32_e32 v3, s74
	v_cmp_eq_u32_e32 vcc, v43, v44
	v_or_b32_e32 v2, 2, v60
	v_mov_b64_e32 v[20:21], s[18:19]
	s_waitcnt lgkmcnt(0)
	v_cndmask_b32_e32 v3, v3, v46, vcc
	v_cmp_ne_u32_e32 vcc, v43, v44
	v_and_b32_e32 v3, 0xffff, v3
	v_mov_b64_e32 v[18:19], s[16:17]
	v_cndmask_b32_e64 v4, 0, 1, vcc
	v_lshl_or_b32 v56, v4, 16, v3
	v_cmp_gt_u32_e32 vcc, s68, v2
	v_mov_b64_e32 v[2:3], s[8:9]
	v_mov_b64_e32 v[8:9], s[14:15]
	;; [unrolled: 1-line block ×5, first 2 shown]
	v_mov_b32_e32 v57, 0
	v_mov_b64_e32 v[14:15], v[6:7]
	v_mov_b64_e32 v[12:13], v[4:5]
	;; [unrolled: 1-line block ×3, first 2 shown]
                                        ; implicit-def: $sgpr8_sgpr9
                                        ; implicit-def: $vgpr59
	s_and_saveexec_b64 s[16:17], vcc
	s_cbranch_execz .LBB1546_127
; %bb.84:
	v_lshrrev_b32_e32 v2, 16, v46
	v_mov_b32_e32 v4, s74
	v_cmp_eq_u32_e32 vcc, v44, v45
	s_mov_b32 s8, 0
	v_or_b32_e32 v3, 3, v60
	v_cndmask_b32_e32 v2, v4, v2, vcc
	v_cmp_ne_u32_e32 vcc, v44, v45
	v_and_b32_e32 v2, 0xffff, v2
	s_mov_b32 s9, s8
	v_cndmask_b32_e64 v4, 0, 1, vcc
	v_lshl_or_b32 v21, v4, 16, v2
	v_cmp_gt_u32_e32 vcc, s68, v3
	s_mov_b32 s10, s8
	s_mov_b32 s11, s8
	s_mov_b32 s12, s8
	s_mov_b32 s13, s8
	s_mov_b32 s14, s8
	s_mov_b32 s15, s8
	v_mov_b64_e32 v[2:3], s[8:9]
	v_mov_b64_e32 v[8:9], s[14:15]
	v_mov_b32_e32 v18, 0
	v_mov_b64_e32 v[4:5], s[10:11]
	v_mov_b64_e32 v[6:7], s[12:13]
	;; [unrolled: 1-line block ×3, first 2 shown]
	v_mov_b32_e32 v19, v18
	v_mov_b32_e32 v20, v18
	v_mov_b64_e32 v[14:15], v[6:7]
	v_mov_b64_e32 v[12:13], v[4:5]
	;; [unrolled: 1-line block ×3, first 2 shown]
	v_mov_b32_e32 v57, v18
                                        ; implicit-def: $sgpr26_sgpr27
                                        ; implicit-def: $vgpr59
	s_and_saveexec_b64 s[18:19], vcc
	s_cbranch_execz .LBB1546_126
; %bb.85:
	v_mov_b32_e32 v3, s74
	v_cmp_eq_u32_e32 vcc, v45, v38
	v_or_b32_e32 v2, 4, v60
	v_mov_b32_e32 v18, 0
	v_cndmask_b32_e32 v3, v3, v47, vcc
	v_cmp_ne_u32_e32 vcc, v45, v38
	v_and_b32_e32 v3, 0xffff, v3
	v_mov_b32_e32 v19, v18
	v_cndmask_b32_e64 v4, 0, 1, vcc
	v_lshl_or_b32 v20, v4, 16, v3
	v_cmp_gt_u32_e32 vcc, s68, v2
	v_mov_b64_e32 v[2:3], s[8:9]
	v_mov_b64_e32 v[8:9], s[14:15]
	v_mov_b64_e32 v[4:5], s[10:11]
	v_mov_b64_e32 v[6:7], s[12:13]
	v_mov_b64_e32 v[16:17], v[8:9]
	s_mov_b64 s[24:25], 0
	v_mov_b64_e32 v[14:15], v[6:7]
	v_mov_b64_e32 v[12:13], v[4:5]
	;; [unrolled: 1-line block ×3, first 2 shown]
	v_mov_b32_e32 v57, v18
                                        ; implicit-def: $sgpr8_sgpr9
                                        ; implicit-def: $vgpr59
	s_and_saveexec_b64 s[22:23], vcc
	s_cbranch_execz .LBB1546_125
; %bb.86:
	v_lshrrev_b32_e32 v2, 16, v47
	v_mov_b32_e32 v4, s74
	v_cmp_eq_u32_e32 vcc, v38, v39
	s_mov_b32 s8, 0
	v_or_b32_e32 v3, 5, v60
	v_cndmask_b32_e32 v2, v4, v2, vcc
	v_cmp_ne_u32_e32 vcc, v38, v39
	v_and_b32_e32 v2, 0xffff, v2
	s_mov_b32 s9, s8
	v_cndmask_b32_e64 v4, 0, 1, vcc
	v_lshl_or_b32 v19, v4, 16, v2
	v_cmp_gt_u32_e32 vcc, s68, v3
	s_mov_b32 s10, s8
	s_mov_b32 s11, s8
	;; [unrolled: 1-line block ×6, first 2 shown]
	v_mov_b64_e32 v[2:3], s[8:9]
	v_mov_b64_e32 v[8:9], s[14:15]
	;; [unrolled: 1-line block ×5, first 2 shown]
	v_mov_b32_e32 v18, s8
	s_mov_b64 s[26:27], 0
	v_mov_b32_e32 v57, 0
	v_mov_b64_e32 v[14:15], v[6:7]
	v_mov_b64_e32 v[12:13], v[4:5]
	;; [unrolled: 1-line block ×3, first 2 shown]
                                        ; implicit-def: $sgpr30_sgpr31
                                        ; implicit-def: $vgpr59
	s_and_saveexec_b64 s[24:25], vcc
	s_cbranch_execz .LBB1546_124
; %bb.87:
	v_mov_b32_e32 v3, s74
	v_cmp_eq_u32_e32 vcc, v39, v40
	v_or_b32_e32 v2, 6, v60
	s_mov_b64 s[28:29], 0
	v_cndmask_b32_e32 v3, v3, v48, vcc
	v_cmp_ne_u32_e32 vcc, v39, v40
	v_and_b32_e32 v3, 0xffff, v3
	v_mov_b32_e32 v57, 0
	v_cndmask_b32_e64 v4, 0, 1, vcc
	v_lshl_or_b32 v18, v4, 16, v3
	v_cmp_gt_u32_e32 vcc, s68, v2
	v_mov_b64_e32 v[2:3], s[8:9]
	v_mov_b64_e32 v[8:9], s[14:15]
	;; [unrolled: 1-line block ×8, first 2 shown]
                                        ; implicit-def: $sgpr8_sgpr9
                                        ; implicit-def: $vgpr59
	s_and_saveexec_b64 s[26:27], vcc
	s_cbranch_execz .LBB1546_123
; %bb.88:
	v_lshrrev_b32_e32 v2, 16, v48
	v_mov_b32_e32 v4, s74
	v_cmp_eq_u32_e32 vcc, v40, v41
	s_mov_b32 s8, 0
	v_or_b32_e32 v3, 7, v60
	v_cndmask_b32_e32 v2, v4, v2, vcc
	v_cmp_ne_u32_e32 vcc, v40, v41
	v_and_b32_e32 v2, 0xffff, v2
	s_mov_b32 s9, s8
	v_cndmask_b32_e64 v4, 0, 1, vcc
	v_lshl_or_b32 v57, v4, 16, v2
	v_cmp_gt_u32_e32 vcc, s68, v3
	s_mov_b32 s10, s8
	s_mov_b32 s11, s8
	;; [unrolled: 1-line block ×6, first 2 shown]
	v_mov_b64_e32 v[2:3], s[8:9]
	v_mov_b64_e32 v[8:9], s[14:15]
	;; [unrolled: 1-line block ×5, first 2 shown]
	s_mov_b64 s[30:31], 0
	v_mov_b64_e32 v[14:15], v[6:7]
	v_mov_b64_e32 v[12:13], v[4:5]
	v_mov_b64_e32 v[10:11], v[2:3]
                                        ; implicit-def: $sgpr36_sgpr37
                                        ; implicit-def: $vgpr59
	s_and_saveexec_b64 s[28:29], vcc
	s_cbranch_execz .LBB1546_122
; %bb.89:
	v_mov_b32_e32 v3, s74
	v_cmp_eq_u32_e32 vcc, v41, v34
	v_add_u32_e32 v2, 8, v60
	v_mov_b64_e32 v[16:17], s[14:15]
	v_cndmask_b32_e32 v3, v3, v49, vcc
	v_cmp_ne_u32_e32 vcc, v41, v34
	v_and_b32_e32 v3, 0xffff, v3
	s_mov_b64 s[34:35], 0
	v_cndmask_b32_e64 v4, 0, 1, vcc
	v_cmp_gt_u32_e32 vcc, s68, v2
	v_mov_b32_e32 v2, 0
	v_lshl_or_b32 v9, v4, 16, v3
	v_mov_b32_e32 v3, v2
	v_mov_b32_e32 v4, v2
	;; [unrolled: 1-line block ×6, first 2 shown]
	v_mov_b64_e32 v[14:15], s[12:13]
	v_mov_b64_e32 v[12:13], s[10:11]
	;; [unrolled: 1-line block ×3, first 2 shown]
                                        ; implicit-def: $sgpr8_sgpr9
                                        ; implicit-def: $vgpr59
	s_and_saveexec_b64 s[30:31], vcc
	s_cbranch_execz .LBB1546_121
; %bb.90:
	v_lshrrev_b32_e32 v3, 16, v49
	v_mov_b32_e32 v5, s74
	v_cmp_eq_u32_e32 vcc, v34, v35
	s_mov_b32 s8, 0
	s_mov_b32 s14, s8
	v_cndmask_b32_e32 v3, v5, v3, vcc
	v_cmp_ne_u32_e32 vcc, v34, v35
	s_mov_b32 s15, s8
	v_add_u32_e32 v4, 9, v60
	v_and_b32_e32 v3, 0xffff, v3
	v_cndmask_b32_e64 v5, 0, 1, vcc
	s_mov_b32 s9, s8
	s_mov_b32 s10, s8
	;; [unrolled: 1-line block ×5, first 2 shown]
	v_mov_b64_e32 v[16:17], s[14:15]
	v_lshl_or_b32 v8, v5, 16, v3
	v_cmp_gt_u32_e32 vcc, s68, v4
	v_mov_b32_e32 v3, v2
	v_mov_b32_e32 v4, v2
	v_mov_b32_e32 v5, v2
	v_mov_b32_e32 v6, v2
	v_mov_b32_e32 v7, v2
	s_mov_b64 s[36:37], 0
	v_mov_b64_e32 v[14:15], s[12:13]
	v_mov_b64_e32 v[12:13], s[10:11]
	;; [unrolled: 1-line block ×3, first 2 shown]
                                        ; implicit-def: $sgpr40_sgpr41
                                        ; implicit-def: $vgpr59
	s_and_saveexec_b64 s[34:35], vcc
	s_cbranch_execz .LBB1546_120
; %bb.91:
	ds_read_b128 v[38:41], v42 offset:18
	v_mov_b32_e32 v3, s74
	v_cmp_eq_u32_e32 vcc, v35, v36
	v_add_u32_e32 v2, 10, v60
	v_mov_b64_e32 v[16:17], s[14:15]
	s_waitcnt lgkmcnt(0)
	v_cndmask_b32_e32 v3, v3, v38, vcc
	v_cmp_ne_u32_e32 vcc, v35, v36
	v_and_b32_e32 v3, 0xffff, v3
	s_mov_b64 s[38:39], 0
	v_cndmask_b32_e64 v4, 0, 1, vcc
	v_cmp_gt_u32_e32 vcc, s68, v2
	v_mov_b32_e32 v2, 0
	v_lshl_or_b32 v7, v4, 16, v3
	v_mov_b32_e32 v3, v2
	v_mov_b32_e32 v4, v2
	;; [unrolled: 1-line block ×4, first 2 shown]
	v_mov_b64_e32 v[14:15], s[12:13]
	v_mov_b64_e32 v[12:13], s[10:11]
	;; [unrolled: 1-line block ×3, first 2 shown]
                                        ; implicit-def: $sgpr8_sgpr9
                                        ; implicit-def: $vgpr59
	s_and_saveexec_b64 s[36:37], vcc
	s_cbranch_execz .LBB1546_119
; %bb.92:
	v_lshrrev_b32_e32 v3, 16, v38
	v_mov_b32_e32 v5, s74
	v_cmp_eq_u32_e32 vcc, v36, v37
	s_mov_b32 s8, 0
	s_mov_b32 s14, s8
	v_cndmask_b32_e32 v3, v5, v3, vcc
	v_cmp_ne_u32_e32 vcc, v36, v37
	s_mov_b32 s15, s8
	v_add_u32_e32 v4, 11, v60
	v_and_b32_e32 v3, 0xffff, v3
	v_cndmask_b32_e64 v5, 0, 1, vcc
	s_mov_b32 s9, s8
	s_mov_b32 s10, s8
	;; [unrolled: 1-line block ×5, first 2 shown]
	v_mov_b64_e32 v[16:17], s[14:15]
	v_lshl_or_b32 v6, v5, 16, v3
	v_cmp_gt_u32_e32 vcc, s68, v4
	v_mov_b32_e32 v3, v2
	v_mov_b32_e32 v4, v2
	;; [unrolled: 1-line block ×3, first 2 shown]
	s_mov_b64 s[40:41], 0
	v_mov_b64_e32 v[14:15], s[12:13]
	v_mov_b64_e32 v[12:13], s[10:11]
	;; [unrolled: 1-line block ×3, first 2 shown]
                                        ; implicit-def: $sgpr44_sgpr45
                                        ; implicit-def: $vgpr59
	s_and_saveexec_b64 s[38:39], vcc
	s_cbranch_execz .LBB1546_118
; %bb.93:
	v_mov_b32_e32 v3, s74
	v_cmp_eq_u32_e32 vcc, v37, v30
	v_add_u32_e32 v2, 12, v60
	v_mov_b64_e32 v[16:17], s[14:15]
	v_cndmask_b32_e32 v3, v3, v39, vcc
	v_cmp_ne_u32_e32 vcc, v37, v30
	v_and_b32_e32 v3, 0xffff, v3
	s_mov_b64 s[42:43], 0
	v_cndmask_b32_e64 v4, 0, 1, vcc
	v_cmp_gt_u32_e32 vcc, s68, v2
	v_mov_b32_e32 v2, 0
	v_lshl_or_b32 v5, v4, 16, v3
	v_mov_b32_e32 v3, v2
	v_mov_b32_e32 v4, v2
	v_mov_b64_e32 v[14:15], s[12:13]
	v_mov_b64_e32 v[12:13], s[10:11]
	;; [unrolled: 1-line block ×3, first 2 shown]
                                        ; implicit-def: $sgpr8_sgpr9
                                        ; implicit-def: $vgpr59
	s_and_saveexec_b64 s[40:41], vcc
	s_cbranch_execz .LBB1546_117
; %bb.94:
	v_lshrrev_b32_e32 v3, 16, v39
	v_mov_b32_e32 v4, s74
	v_cmp_eq_u32_e32 vcc, v30, v31
	s_mov_b32 s8, 0
	v_add_u32_e32 v10, 13, v60
	v_cndmask_b32_e32 v3, v4, v3, vcc
	v_cmp_ne_u32_e32 vcc, v30, v31
	s_mov_b32 s14, s8
	s_mov_b32 s15, s8
	v_and_b32_e32 v3, 0xffff, v3
	v_cndmask_b32_e64 v4, 0, 1, vcc
	v_cmp_gt_u32_e32 vcc, s68, v10
	s_mov_b32 s9, s8
	s_mov_b32 s10, s8
	;; [unrolled: 1-line block ×5, first 2 shown]
	v_mov_b64_e32 v[16:17], s[14:15]
	v_lshl_or_b32 v4, v4, 16, v3
	v_mov_b32_e32 v3, v2
	s_mov_b64 s[44:45], 0
	v_mov_b64_e32 v[14:15], s[12:13]
	v_mov_b64_e32 v[12:13], s[10:11]
	;; [unrolled: 1-line block ×3, first 2 shown]
                                        ; implicit-def: $sgpr46_sgpr47
                                        ; implicit-def: $vgpr59
	s_and_saveexec_b64 s[42:43], vcc
	s_cbranch_execz .LBB1546_116
; %bb.95:
	v_mov_b32_e32 v3, s74
	v_cmp_eq_u32_e32 vcc, v31, v32
	v_add_u32_e32 v2, 14, v60
                                        ; implicit-def: $vgpr59
	s_nop 0
	v_cndmask_b32_e32 v3, v3, v40, vcc
	v_cmp_ne_u32_e32 vcc, v31, v32
	v_and_b32_e32 v3, 0xffff, v3
	s_nop 0
	v_cndmask_b32_e64 v10, 0, 1, vcc
	v_lshl_or_b32 v3, v10, 16, v3
	v_mov_b64_e32 v[16:17], s[14:15]
	v_cmp_gt_u32_e32 vcc, s68, v2
	v_mov_b32_e32 v2, s8
	v_mov_b64_e32 v[14:15], s[12:13]
	v_mov_b64_e32 v[12:13], s[10:11]
	;; [unrolled: 1-line block ×3, first 2 shown]
                                        ; implicit-def: $sgpr10_sgpr11
	s_and_saveexec_b64 s[8:9], vcc
	s_cbranch_execz .LBB1546_115
; %bb.96:
	v_lshrrev_b32_e32 v2, 16, v40
	v_mov_b32_e32 v11, s74
	v_cmp_eq_u32_e32 vcc, v32, v33
	s_mov_b32 s44, 0
	v_add_u32_e32 v10, 15, v60
	v_cndmask_b32_e32 v2, v11, v2, vcc
	v_cmp_ne_u32_e32 vcc, v32, v33
	v_and_b32_e32 v2, 0xffff, v2
	s_mov_b32 s45, s44
	v_cndmask_b32_e64 v11, 0, 1, vcc
	v_lshl_or_b32 v2, v11, 16, v2
	v_cmp_gt_u32_e32 vcc, s68, v10
	s_mov_b32 s46, s44
	s_mov_b32 s47, s44
	;; [unrolled: 1-line block ×6, first 2 shown]
	v_mov_b64_e32 v[10:11], s[44:45]
	s_mov_b64 s[12:13], 0
	v_mov_b64_e32 v[12:13], s[46:47]
	v_mov_b64_e32 v[14:15], s[48:49]
	;; [unrolled: 1-line block ×3, first 2 shown]
                                        ; implicit-def: $sgpr44_sgpr45
                                        ; implicit-def: $vgpr59
	s_and_saveexec_b64 s[10:11], vcc
	s_cbranch_execz .LBB1546_114
; %bb.97:
	v_mov_b32_e32 v10, s74
	v_cmp_eq_u32_e32 vcc, v33, v26
	v_add_u32_e32 v11, 16, v60
	s_mov_b64 s[14:15], 0
	v_cndmask_b32_e32 v10, v10, v41, vcc
	v_cmp_ne_u32_e32 vcc, v33, v26
	v_and_b32_e32 v10, 0xffff, v10
                                        ; implicit-def: $sgpr46_sgpr47
                                        ; implicit-def: $vgpr59
	s_nop 0
	v_cndmask_b32_e64 v12, 0, 1, vcc
	v_lshl_or_b32 v10, v12, 16, v10
	v_mov_b32_e32 v12, 0
	v_cmp_gt_u32_e32 vcc, s68, v11
	v_mov_b32_e32 v11, v12
	v_mov_b32_e32 v13, v12
	;; [unrolled: 1-line block ×6, first 2 shown]
	s_and_saveexec_b64 s[12:13], vcc
	s_cbranch_execz .LBB1546_113
; %bb.98:
	v_lshrrev_b32_e32 v11, 16, v41
	v_mov_b32_e32 v14, s74
	v_cmp_eq_u32_e32 vcc, v26, v27
	v_add_u32_e32 v13, 17, v60
	v_mov_b32_e32 v15, v12
	v_cndmask_b32_e32 v11, v14, v11, vcc
	v_cmp_ne_u32_e32 vcc, v26, v27
	v_and_b32_e32 v11, 0xffff, v11
	v_mov_b32_e32 v16, v12
	v_cndmask_b32_e64 v14, 0, 1, vcc
	v_lshl_or_b32 v11, v14, 16, v11
	v_cmp_gt_u32_e32 vcc, s68, v13
	v_mov_b32_e32 v13, v12
	v_mov_b32_e32 v14, v12
	v_mov_b32_e32 v17, v12
	s_mov_b64 s[44:45], 0
                                        ; implicit-def: $sgpr48_sgpr49
                                        ; implicit-def: $vgpr59
	s_and_saveexec_b64 s[14:15], vcc
	s_cbranch_execz .LBB1546_112
; %bb.99:
	ds_read_b96 v[30:32], v42 offset:34
	v_mov_b32_e32 v12, s74
	v_cmp_eq_u32_e32 vcc, v27, v28
	v_add_u32_e32 v13, 18, v60
	s_mov_b64 s[46:47], 0
	s_waitcnt lgkmcnt(0)
	v_cndmask_b32_e32 v12, v12, v30, vcc
	v_cmp_ne_u32_e32 vcc, v27, v28
	v_and_b32_e32 v12, 0xffff, v12
                                        ; implicit-def: $sgpr50_sgpr51
                                        ; implicit-def: $vgpr59
	s_nop 0
	v_cndmask_b32_e64 v14, 0, 1, vcc
	v_lshl_or_b32 v12, v14, 16, v12
	v_mov_b32_e32 v14, 0
	v_cmp_gt_u32_e32 vcc, s68, v13
	v_mov_b32_e32 v13, v14
	v_mov_b32_e32 v15, v14
	;; [unrolled: 1-line block ×4, first 2 shown]
	s_and_saveexec_b64 s[44:45], vcc
	s_cbranch_execz .LBB1546_111
; %bb.100:
	v_lshrrev_b32_e32 v13, 16, v30
	v_mov_b32_e32 v16, s74
	v_cmp_eq_u32_e32 vcc, v28, v29
	v_add_u32_e32 v15, 19, v60
	v_mov_b32_e32 v17, v14
	v_cndmask_b32_e32 v13, v16, v13, vcc
	v_cmp_ne_u32_e32 vcc, v28, v29
	v_and_b32_e32 v13, 0xffff, v13
	s_mov_b64 s[48:49], 0
	v_cndmask_b32_e64 v16, 0, 1, vcc
	v_lshl_or_b32 v13, v16, 16, v13
	v_cmp_gt_u32_e32 vcc, s68, v15
	v_mov_b32_e32 v15, v14
	v_mov_b32_e32 v16, v14
                                        ; implicit-def: $sgpr56_sgpr57
                                        ; implicit-def: $vgpr59
	s_and_saveexec_b64 s[46:47], vcc
	s_cbranch_execz .LBB1546_110
; %bb.101:
	v_mov_b32_e32 v14, s74
	v_cmp_eq_u32_e32 vcc, v29, v22
	v_add_u32_e32 v15, 20, v60
	s_mov_b64 s[50:51], 0
	v_cndmask_b32_e32 v14, v14, v31, vcc
	v_cmp_ne_u32_e32 vcc, v29, v22
	v_and_b32_e32 v14, 0xffff, v14
                                        ; implicit-def: $sgpr58_sgpr59
                                        ; implicit-def: $vgpr59
	s_nop 0
	v_cndmask_b32_e64 v16, 0, 1, vcc
	v_lshl_or_b32 v14, v16, 16, v14
	v_mov_b32_e32 v16, 0
	v_cmp_gt_u32_e32 vcc, s68, v15
	v_mov_b32_e32 v15, v16
	v_mov_b32_e32 v17, v16
	s_and_saveexec_b64 s[48:49], vcc
	s_cbranch_execz .LBB1546_109
; %bb.102:
	v_lshrrev_b32_e32 v15, 16, v31
	v_mov_b32_e32 v26, s74
	v_cmp_eq_u32_e32 vcc, v22, v23
	v_add_u32_e32 v17, 21, v60
	s_mov_b32 s5, 0
	v_cndmask_b32_e32 v15, v26, v15, vcc
	v_cmp_ne_u32_e32 vcc, v22, v23
	v_and_b32_e32 v15, 0xffff, v15
	s_mov_b64 s[56:57], 0
	v_cndmask_b32_e64 v22, 0, 1, vcc
	v_lshl_or_b32 v15, v22, 16, v15
	v_cmp_gt_u32_e32 vcc, s68, v17
	v_mov_b32_e32 v17, v16
                                        ; implicit-def: $sgpr60_sgpr61
                                        ; implicit-def: $vgpr59
	s_and_saveexec_b64 s[50:51], vcc
	s_cbranch_execz .LBB1546_108
; %bb.103:
	v_mov_b32_e32 v16, s74
	v_cmp_eq_u32_e32 vcc, v23, v24
	v_add_u32_e32 v17, 22, v60
	s_mov_b64 s[58:59], 0
	v_cndmask_b32_e32 v16, v16, v32, vcc
	v_cmp_ne_u32_e32 vcc, v23, v24
	v_and_b32_e32 v16, 0xffff, v16
                                        ; implicit-def: $sgpr60_sgpr61
                                        ; implicit-def: $vgpr59
	s_nop 0
	v_cndmask_b32_e64 v22, 0, 1, vcc
	v_lshl_or_b32 v16, v22, 16, v16
	v_cmp_gt_u32_e32 vcc, s68, v17
	v_mov_b32_e32 v17, s5
	s_and_saveexec_b64 s[56:57], vcc
	s_cbranch_execz .LBB1546_107
; %bb.104:
	v_lshrrev_b32_e32 v17, 16, v32
	v_mov_b32_e32 v23, s74
	v_cmp_eq_u32_e32 vcc, v24, v25
	v_add_u32_e32 v22, 23, v60
                                        ; implicit-def: $sgpr60_sgpr61
                                        ; implicit-def: $vgpr59
	s_nop 0
	v_cndmask_b32_e32 v17, v23, v17, vcc
	v_cmp_ne_u32_e32 vcc, v24, v25
	v_and_b32_e32 v17, 0xffff, v17
	s_nop 0
	v_cndmask_b32_e64 v23, 0, 1, vcc
	v_lshl_or_b32 v17, v23, 16, v17
	v_cmp_gt_u32_e32 vcc, s68, v22
	s_and_saveexec_b64 s[68:69], vcc
	s_xor_b64 s[68:69], exec, s[68:69]
	s_cbranch_execz .LBB1546_106
; %bb.105:
	ds_read_u16 v22, v42 offset:46
	v_mov_b32_e32 v23, s74
	v_cmp_ne_u32_e32 vcc, v25, v58
	s_mov_b64 s[58:59], exec
	s_and_b64 s[60:61], vcc, exec
	s_waitcnt lgkmcnt(0)
	v_cndmask_b32_e32 v59, v22, v23, vcc
.LBB1546_106:
	s_or_b64 exec, exec, s[68:69]
	s_and_b64 s[60:61], s[60:61], exec
	s_and_b64 s[58:59], s[58:59], exec
.LBB1546_107:
	s_or_b64 exec, exec, s[56:57]
	s_and_b64 s[60:61], s[60:61], exec
	s_and_b64 s[56:57], s[58:59], exec
.LBB1546_108:
	s_or_b64 exec, exec, s[50:51]
	s_and_b64 s[58:59], s[60:61], exec
	s_and_b64 s[50:51], s[56:57], exec
.LBB1546_109:
	s_or_b64 exec, exec, s[48:49]
	s_and_b64 s[56:57], s[58:59], exec
	s_and_b64 s[48:49], s[50:51], exec
.LBB1546_110:
	s_or_b64 exec, exec, s[46:47]
	s_and_b64 s[50:51], s[56:57], exec
	s_and_b64 s[46:47], s[48:49], exec
.LBB1546_111:
	s_or_b64 exec, exec, s[44:45]
	s_and_b64 s[48:49], s[50:51], exec
	s_and_b64 s[44:45], s[46:47], exec
.LBB1546_112:
	s_or_b64 exec, exec, s[14:15]
	s_and_b64 s[46:47], s[48:49], exec
	s_and_b64 s[14:15], s[44:45], exec
.LBB1546_113:
	s_or_b64 exec, exec, s[12:13]
	s_and_b64 s[44:45], s[46:47], exec
	s_and_b64 s[12:13], s[14:15], exec
.LBB1546_114:
	s_or_b64 exec, exec, s[10:11]
	s_and_b64 s[10:11], s[44:45], exec
	s_and_b64 s[44:45], s[12:13], exec
.LBB1546_115:
	s_or_b64 exec, exec, s[8:9]
	s_and_b64 s[46:47], s[10:11], exec
	s_and_b64 s[44:45], s[44:45], exec
.LBB1546_116:
	s_or_b64 exec, exec, s[42:43]
	s_and_b64 s[8:9], s[46:47], exec
	s_and_b64 s[42:43], s[44:45], exec
.LBB1546_117:
	s_or_b64 exec, exec, s[40:41]
	s_and_b64 s[44:45], s[8:9], exec
	s_and_b64 s[40:41], s[42:43], exec
.LBB1546_118:
	s_or_b64 exec, exec, s[38:39]
	s_and_b64 s[8:9], s[44:45], exec
	s_and_b64 s[38:39], s[40:41], exec
.LBB1546_119:
	s_or_b64 exec, exec, s[36:37]
	s_and_b64 s[40:41], s[8:9], exec
	s_and_b64 s[36:37], s[38:39], exec
.LBB1546_120:
	s_or_b64 exec, exec, s[34:35]
	s_and_b64 s[8:9], s[40:41], exec
	s_and_b64 s[34:35], s[36:37], exec
.LBB1546_121:
	s_or_b64 exec, exec, s[30:31]
	s_and_b64 s[36:37], s[8:9], exec
	s_and_b64 s[30:31], s[34:35], exec
.LBB1546_122:
	s_or_b64 exec, exec, s[28:29]
	s_and_b64 s[8:9], s[36:37], exec
	s_and_b64 s[28:29], s[30:31], exec
.LBB1546_123:
	s_or_b64 exec, exec, s[26:27]
	s_and_b64 s[30:31], s[8:9], exec
	s_and_b64 s[26:27], s[28:29], exec
.LBB1546_124:
	s_or_b64 exec, exec, s[24:25]
	s_and_b64 s[8:9], s[30:31], exec
	s_and_b64 s[24:25], s[26:27], exec
.LBB1546_125:
	s_or_b64 exec, exec, s[22:23]
	s_and_b64 s[26:27], s[8:9], exec
	s_and_b64 s[22:23], s[24:25], exec
.LBB1546_126:
	s_or_b64 exec, exec, s[18:19]
	s_and_b64 s[8:9], s[26:27], exec
	s_and_b64 s[22:23], s[22:23], exec
.LBB1546_127:
	s_or_b64 exec, exec, s[16:17]
	s_and_b64 s[24:25], s[8:9], exec
	s_and_b64 s[22:23], s[22:23], exec
.LBB1546_128:
	s_or_b64 exec, exec, s[20:21]
	s_and_b64 s[8:9], s[24:25], exec
	s_and_b64 s[10:11], s[22:23], exec
.LBB1546_129:
	s_or_b64 exec, exec, s[6:7]
	s_and_b64 vcc, exec, s[0:1]
	s_cbranch_vccnz .LBB1546_131
	s_branch .LBB1546_136
.LBB1546_130:
	s_mov_b64 s[10:11], 0
                                        ; implicit-def: $sgpr8_sgpr9
                                        ; implicit-def: $vgpr18_vgpr19_vgpr20_vgpr21
                                        ; implicit-def: $vgpr2_vgpr3_vgpr4_vgpr5_vgpr6_vgpr7_vgpr8_vgpr9
                                        ; implicit-def: $vgpr10_vgpr11_vgpr12_vgpr13_vgpr14_vgpr15_vgpr16_vgpr17
                                        ; implicit-def: $vgpr59
                                        ; implicit-def: $vgpr1
                                        ; implicit-def: $vgpr56
                                        ; implicit-def: $vgpr57
                                        ; implicit-def: $sgpr4
	s_and_b64 vcc, exec, s[0:1]
	s_cbranch_vccz .LBB1546_136
.LBB1546_131:
	v_mov_b32_e32 v7, 0
	v_lshlrev_b32_e32 v6, 2, v0
	v_lshl_add_u64 v[2:3], v[54:55], 0, v[6:7]
	v_add_co_u32_e32 v4, vcc, 0x1000, v2
	s_movk_i32 s0, 0x5c
	s_nop 0
	v_addc_co_u32_e32 v5, vcc, 0, v3, vcc
	flat_load_dword v1, v[2:3]
	flat_load_dword v10, v[2:3] offset:1024
	flat_load_dword v11, v[2:3] offset:2048
	;; [unrolled: 1-line block ×3, first 2 shown]
	flat_load_dword v13, v[4:5]
	flat_load_dword v14, v[4:5] offset:1024
	flat_load_dword v15, v[4:5] offset:2048
	;; [unrolled: 1-line block ×3, first 2 shown]
	v_add_co_u32_e32 v4, vcc, 0x2000, v2
	s_movk_i32 s5, 0x1000
	s_nop 0
	v_addc_co_u32_e32 v5, vcc, 0, v3, vcc
	v_add_co_u32_e32 v8, vcc, 0x3000, v2
	s_movk_i32 s4, 0x2000
	s_nop 0
	v_addc_co_u32_e32 v9, vcc, 0, v3, vcc
	flat_load_dword v17, v[4:5]
	flat_load_dword v18, v[4:5] offset:1024
	flat_load_dword v19, v[4:5] offset:2048
	;; [unrolled: 1-line block ×3, first 2 shown]
	flat_load_dword v21, v[8:9]
	flat_load_dword v22, v[8:9] offset:1024
	flat_load_dword v23, v[8:9] offset:2048
	;; [unrolled: 1-line block ×3, first 2 shown]
	v_add_co_u32_e32 v4, vcc, 0x4000, v2
	s_nop 1
	v_addc_co_u32_e32 v5, vcc, 0, v3, vcc
	v_add_co_u32_e32 v2, vcc, 0x5000, v2
	s_nop 1
	v_addc_co_u32_e32 v3, vcc, 0, v3, vcc
	flat_load_dword v8, v[4:5]
	flat_load_dword v9, v[4:5] offset:1024
	flat_load_dword v25, v[4:5] offset:2048
	;; [unrolled: 1-line block ×3, first 2 shown]
	flat_load_dword v27, v[2:3]
	flat_load_dword v28, v[2:3] offset:1024
	flat_load_dword v29, v[2:3] offset:2048
	;; [unrolled: 1-line block ×3, first 2 shown]
	v_add_co_u32_e32 v2, vcc, 0x6000, v54
	s_waitcnt vmcnt(0) lgkmcnt(0)
	ds_write2st64_b32 v6, v1, v10 offset1:4
	ds_write2st64_b32 v6, v11, v12 offset0:8 offset1:12
	ds_write2st64_b32 v6, v13, v14 offset0:16 offset1:20
	;; [unrolled: 1-line block ×11, first 2 shown]
	v_addc_co_u32_e32 v3, vcc, 0, v55, vcc
	s_waitcnt lgkmcnt(0)
	s_barrier
	flat_load_dword v40, v[2:3]
	v_mad_u32_u24 v1, v0, s0, v6
	s_movk_i32 s0, 0xffa4
	ds_read2_b32 v[22:23], v1 offset0:6 offset1:23
	ds_read_b64 v[18:19], v1
	ds_read2_b64 v[2:5], v1 offset0:1 offset1:2
	ds_read2_b32 v[32:33], v1 offset0:13 offset1:14
	ds_read2_b32 v[34:35], v1 offset0:11 offset1:12
	;; [unrolled: 1-line block ×8, first 2 shown]
	v_mad_i32_i24 v1, v0, s0, v1
	s_movk_i32 s0, 0xff
	v_cmp_ne_u32_e32 vcc, s0, v0
	s_waitcnt lgkmcnt(0)
	ds_write_b32 v1, v18 offset:25600
	s_waitcnt lgkmcnt(0)
	s_barrier
	s_and_saveexec_b64 s[0:1], vcc
	s_cbranch_execz .LBB1546_133
; %bb.132:
	s_waitcnt vmcnt(0)
	ds_read_b32 v40, v6 offset:25604
.LBB1546_133:
	s_or_b64 exec, exec, s[0:1]
	v_lshlrev_b32_e32 v6, 1, v0
	v_lshl_add_u64 v[8:9], v[52:53], 0, v[6:7]
	v_add_co_u32_e32 v10, vcc, s5, v8
	s_waitcnt lgkmcnt(0)
	s_nop 0
	v_addc_co_u32_e32 v11, vcc, 0, v9, vcc
	s_barrier
	flat_load_ushort v7, v[8:9]
	flat_load_ushort v12, v[8:9] offset:512
	flat_load_ushort v13, v[8:9] offset:1024
	;; [unrolled: 1-line block ×7, first 2 shown]
	v_add_co_u32_e32 v8, vcc, s4, v8
	flat_load_ushort v21, v[10:11]
	flat_load_ushort v41, v[10:11] offset:512
	flat_load_ushort v42, v[10:11] offset:1024
	;; [unrolled: 1-line block ×7, first 2 shown]
	v_addc_co_u32_e32 v9, vcc, 0, v9, vcc
	flat_load_ushort v10, v[8:9]
	flat_load_ushort v11, v[8:9] offset:512
	flat_load_ushort v48, v[8:9] offset:1024
	;; [unrolled: 1-line block ×7, first 2 shown]
	v_sub_u32_e32 v1, v1, v6
	v_mad_u32_u24 v56, v0, 46, v1
	v_cmp_eq_u32_e32 vcc, v18, v19
	v_mov_b32_e32 v18, s74
	s_waitcnt vmcnt(0) lgkmcnt(0)
	ds_write_b16 v1, v7
	ds_write_b16 v1, v12 offset:512
	ds_write_b16 v1, v13 offset:1024
	ds_write_b16 v1, v14 offset:1536
	ds_write_b16 v1, v15 offset:2048
	ds_write_b16 v1, v16 offset:2560
	ds_write_b16 v1, v17 offset:3072
	ds_write_b16 v1, v20 offset:3584
	ds_write_b16 v1, v21 offset:4096
	ds_write_b16 v1, v41 offset:4608
	ds_write_b16 v1, v42 offset:5120
	ds_write_b16 v1, v43 offset:5632
	ds_write_b16 v1, v44 offset:6144
	ds_write_b16 v1, v45 offset:6656
	ds_write_b16 v1, v46 offset:7168
	ds_write_b16 v1, v47 offset:7680
	ds_write_b16 v1, v10 offset:8192
	ds_write_b16 v1, v11 offset:8704
	ds_write_b16 v1, v48 offset:9216
	ds_write_b16 v1, v49 offset:9728
	ds_write_b16 v1, v52 offset:10240
	ds_write_b16 v1, v53 offset:10752
	ds_write_b16 v1, v54 offset:11264
	ds_write_b16 v1, v55 offset:11776
	s_waitcnt lgkmcnt(0)
	s_barrier
	ds_read_b96 v[14:16], v56 offset:2
	ds_read_b128 v[6:9], v56 offset:14
	ds_read_b128 v[10:13], v56 offset:30
	ds_read_u16 v41, v56 offset:46
	v_mov_b32_e32 v17, 0x10000
	s_and_saveexec_b64 s[0:1], vcc
	s_cbranch_execz .LBB1546_135
; %bb.134:
	v_mul_u32_u24_e32 v17, 46, v0
	v_add_u32_e32 v1, v1, v17
	ds_read_u16 v18, v1
	v_mov_b32_e32 v17, 0
.LBB1546_135:
	s_or_b64 exec, exec, s[0:1]
	v_mov_b32_e32 v47, s74
	v_cmp_eq_u32_e32 vcc, v19, v2
	s_waitcnt lgkmcnt(3)
	v_lshrrev_b32_e32 v21, 16, v14
	s_waitcnt lgkmcnt(0)
	v_or_b32_sdwa v1, v17, v18 dst_sel:DWORD dst_unused:UNUSED_PAD src0_sel:DWORD src1_sel:WORD_0
	v_cndmask_b32_e32 v14, v47, v14, vcc
	v_cmp_ne_u32_e32 vcc, v19, v2
	v_and_b32_e32 v14, 0xffff, v14
	v_lshrrev_b32_e32 v20, 16, v15
	v_cndmask_b32_e64 v17, 0, 1, vcc
	v_cmp_eq_u32_e32 vcc, v2, v3
	v_lshl_or_b32 v56, v17, 16, v14
	v_lshrrev_b32_e32 v42, 16, v16
	v_cndmask_b32_e32 v14, v47, v21, vcc
	v_cmp_eq_u32_e32 vcc, v4, v5
	v_and_b32_e32 v14, 0xffff, v14
	v_lshrrev_b32_e32 v46, 16, v6
	v_cndmask_b32_e32 v17, v47, v20, vcc
	v_cmp_eq_u32_e32 vcc, v3, v4
	v_and_b32_e32 v17, 0xffff, v17
	;; [unrolled: 4-line block ×3, first 2 shown]
	v_lshrrev_b32_e32 v44, 16, v8
	v_cndmask_b32_e32 v16, v47, v16, vcc
	v_cmp_ne_u32_e32 vcc, v3, v4
	v_lshrrev_b32_e32 v43, 16, v9
	v_and_b32_e32 v16, 0xffff, v16
	v_cndmask_b32_e64 v18, 0, 1, vcc
	v_cmp_ne_u32_e32 vcc, v5, v22
	v_lshl_or_b32 v20, v18, 16, v15
	v_cmp_ne_u32_e64 s[8:9], v23, v40
	v_cndmask_b32_e64 v15, 0, 1, vcc
	v_cmp_ne_u32_e32 vcc, v2, v3
	v_lshl_or_b32 v18, v15, 16, v16
	v_lshrrev_b32_e32 v16, 16, v11
	v_cndmask_b32_e64 v2, 0, 1, vcc
	v_cmp_ne_u32_e32 vcc, v4, v5
	v_lshl_or_b32 v21, v2, 16, v14
	v_cndmask_b32_e64 v59, v41, v47, s[8:9]
	v_cndmask_b32_e64 v2, 0, 1, vcc
	v_cmp_eq_u32_e32 vcc, v22, v38
	v_lshl_or_b32 v19, v2, 16, v17
	v_lshrrev_b32_e32 v17, 16, v10
	v_cndmask_b32_e32 v2, v47, v42, vcc
	v_cmp_ne_u32_e32 vcc, v22, v38
	v_and_b32_e32 v2, 0xffff, v2
	s_mov_b64 s[10:11], -1
	v_cndmask_b32_e64 v3, 0, 1, vcc
	v_cmp_eq_u32_e32 vcc, v39, v36
	v_lshl_or_b32 v57, v3, 16, v2
                                        ; implicit-def: $sgpr4
	s_nop 0
	v_cndmask_b32_e32 v2, v47, v46, vcc
	v_cmp_eq_u32_e32 vcc, v37, v34
	v_and_b32_e32 v2, 0xffff, v2
	s_nop 0
	v_cndmask_b32_e32 v3, v47, v45, vcc
	v_cmp_eq_u32_e32 vcc, v35, v32
	v_and_b32_e32 v15, 0xffff, v3
	;; [unrolled: 4-line block ×7, first 2 shown]
	s_nop 0
	v_cndmask_b32_e32 v9, v47, v9, vcc
	v_cmp_ne_u32_e32 vcc, v38, v39
	v_and_b32_e32 v3, 0xffff, v9
	s_nop 0
	v_cndmask_b32_e64 v8, 0, 1, vcc
	v_cmp_ne_u32_e32 vcc, v36, v37
	v_lshl_or_b32 v9, v8, 16, v6
	s_nop 0
	v_cndmask_b32_e64 v6, 0, 1, vcc
	v_cmp_ne_u32_e32 vcc, v34, v35
	v_lshl_or_b32 v7, v6, 16, v7
	;; [unrolled: 4-line block ×6, first 2 shown]
	v_lshrrev_b32_e32 v15, 16, v12
	v_cndmask_b32_e64 v2, 0, 1, vcc
	v_cmp_ne_u32_e32 vcc, v33, v26
	v_lshl_or_b32 v4, v2, 16, v4
	s_nop 0
	v_cndmask_b32_e64 v2, 0, 1, vcc
	v_lshl_or_b32 v2, v2, 16, v14
	v_lshrrev_b32_e32 v14, 16, v13
	v_cmp_eq_u32_e32 vcc, v31, v23
	s_nop 1
	v_cndmask_b32_e32 v14, v47, v14, vcc
	v_cmp_eq_u32_e32 vcc, v29, v30
	s_nop 1
	v_cndmask_b32_e32 v15, v47, v15, vcc
	v_cmp_eq_u32_e32 vcc, v25, v28
	v_and_b32_e32 v15, 0xffff, v15
	s_nop 0
	v_cndmask_b32_e32 v16, v47, v16, vcc
	v_cmp_eq_u32_e32 vcc, v27, v24
	v_and_b32_e32 v32, 0xffff, v16
	s_nop 0
	v_cndmask_b32_e32 v17, v47, v17, vcc
	v_cmp_eq_u32_e32 vcc, v30, v31
	v_and_b32_e32 v22, 0xffff, v17
	v_and_b32_e32 v17, 0xffff, v14
	v_cndmask_b32_e32 v13, v47, v13, vcc
	v_cmp_eq_u32_e32 vcc, v28, v29
	v_and_b32_e32 v13, 0xffff, v13
	s_nop 0
	v_cndmask_b32_e32 v12, v47, v12, vcc
	v_cmp_eq_u32_e32 vcc, v24, v25
	v_and_b32_e32 v12, 0xffff, v12
	s_nop 0
	;; [unrolled: 4-line block ×3, first 2 shown]
	v_cndmask_b32_e32 v10, v47, v10, vcc
	v_cmp_ne_u32_e32 vcc, v30, v31
	v_and_b32_e32 v10, 0xffff, v10
	s_nop 0
	v_cndmask_b32_e64 v14, 0, 1, vcc
	v_cmp_ne_u32_e32 vcc, v28, v29
	v_lshl_or_b32 v16, v14, 16, v13
	s_nop 0
	v_cndmask_b32_e64 v13, 0, 1, vcc
	v_cmp_ne_u32_e32 vcc, v24, v25
	v_lshl_or_b32 v14, v13, 16, v12
	;; [unrolled: 4-line block ×7, first 2 shown]
	s_nop 0
	v_cndmask_b32_e64 v11, 0, 1, vcc
	v_lshl_or_b32 v11, v11, 16, v22
.LBB1546_136:
	v_mov_b32_e32 v32, s4
	s_and_saveexec_b64 s[0:1], s[10:11]
; %bb.137:
	v_mov_b32_e32 v22, 0x10000
	v_cndmask_b32_e64 v22, 0, v22, s[8:9]
	v_or_b32_sdwa v32, v22, v59 dst_sel:DWORD dst_unused:UNUSED_PAD src0_sel:DWORD src1_sel:WORD_0
; %bb.138:
	s_or_b64 exec, exec, s[0:1]
	s_cmp_lg_u32 s67, 0
	v_mbcnt_lo_u32_b32 v33, -1, 0
	s_barrier
	s_cbranch_scc0 .LBB1546_231
; %bb.139:
	s_mov_b32 s0, 0x10000
	v_cmp_gt_u32_e64 s[4:5], s0, v56
	v_cmp_gt_u32_e64 s[6:7], s0, v21
	v_cmp_gt_u32_e64 s[8:9], s0, v20
	v_cndmask_b32_e64 v22, 0, v1, s[4:5]
	v_add_u16_e32 v22, v22, v56
	v_cndmask_b32_e64 v22, 0, v22, s[6:7]
	v_add_u16_e32 v22, v22, v21
	v_cndmask_b32_e64 v22, 0, v22, s[8:9]
	v_add_u16_e32 v22, v22, v20
	v_cmp_gt_u32_e64 s[10:11], s0, v19
	v_cmp_gt_u32_e64 s[12:13], s0, v18
	v_cmp_gt_u32_e64 s[14:15], s0, v57
	v_cndmask_b32_e64 v22, 0, v22, s[10:11]
	v_add_u16_e32 v22, v22, v19
	v_cndmask_b32_e64 v22, 0, v22, s[12:13]
	v_add_u16_e32 v22, v22, v18
	v_cndmask_b32_e64 v22, 0, v22, s[14:15]
	v_add_u16_e32 v22, v22, v57
	;; [unrolled: 9-line block ×5, first 2 shown]
	v_cmp_gt_u32_e64 s[36:37], s0, v11
	v_cmp_gt_u32_e64 s[38:39], s0, v12
	v_or3_b32 v25, v32, v17, v16
	v_cndmask_b32_e64 v22, 0, v22, s[36:37]
	v_add_u16_e32 v22, v22, v11
	v_cndmask_b32_e64 v22, 0, v22, s[38:39]
	v_add_u16_e32 v22, v22, v12
	v_cmp_gt_u32_e64 s[40:41], s0, v13
	v_or3_b32 v25, v25, v15, v14
	v_or3_b32 v25, v25, v13, v12
	v_cndmask_b32_e64 v22, 0, v22, s[40:41]
	v_add_u16_e32 v22, v22, v13
	v_cmp_gt_u32_e64 s[42:43], s0, v14
	v_or3_b32 v25, v25, v11, v10
	v_or3_b32 v25, v25, v2, v3
	;; [unrolled: 5-line block ×5, first 2 shown]
	v_cndmask_b32_e64 v22, 0, v22, s[48:49]
	v_add_u16_e32 v22, v22, v17
	v_cmp_gt_u32_e32 vcc, s0, v32
	v_and_b32_e32 v25, 0x10000, v25
	v_and_b32_e32 v23, 0x10000, v1
	v_cndmask_b32_e32 v24, 0, v22, vcc
	v_mov_b32_e32 v26, 0x10000
	v_cmp_ne_u32_e32 vcc, 0, v25
	v_add_u16_e32 v22, v24, v32
	v_add_u16_e32 v24, v24, v32
	v_cndmask_b32_e32 v26, v23, v26, vcc
	v_mbcnt_hi_u32_b32 v25, -1, v33
	v_and_b32_e32 v27, 15, v25
	v_or_b32_e32 v24, v26, v24
	v_lshrrev_b32_e32 v23, 16, v26
	v_cmp_ne_u32_e32 vcc, 0, v27
	v_mov_b32_dpp v28, v24 row_shr:1 row_mask:0xf bank_mask:0xf
	s_and_saveexec_b64 s[0:1], vcc
	s_cbranch_execz .LBB1546_141
; %bb.140:
	v_cmp_eq_u32_e32 vcc, 0, v26
	v_and_b32_e32 v23, 0x10000, v26
	v_mov_b32_e32 v26, 1
	v_cndmask_b32_e32 v24, 0, v28, vcc
	v_and_b32_sdwa v26, v28, v26 dst_sel:DWORD dst_unused:UNUSED_PAD src0_sel:WORD_1 src1_sel:DWORD
	v_cmp_ne_u32_e32 vcc, 0, v23
	v_add_u16_e32 v29, v24, v22
	v_add_u16_e32 v22, v24, v22
	v_cndmask_b32_e64 v23, v26, 1, vcc
	v_lshlrev_b32_e32 v26, 16, v23
	v_or_b32_e32 v24, v26, v22
	v_mov_b32_e32 v22, v29
.LBB1546_141:
	s_or_b64 exec, exec, s[0:1]
	v_lshrrev_b32_e32 v26, 16, v24
	v_mov_b32_dpp v28, v24 row_shr:2 row_mask:0xf bank_mask:0xf
	v_cmp_lt_u32_e32 vcc, 1, v27
	s_and_saveexec_b64 s[0:1], vcc
	s_cbranch_execz .LBB1546_143
; %bb.142:
	s_mov_b32 s50, 0x10000
	v_cmp_gt_u32_e32 vcc, s50, v24
	v_and_b32_e32 v23, 0x10000, v24
	v_mov_b32_e32 v24, 1
	v_cndmask_b32_e32 v26, 0, v28, vcc
	v_and_b32_sdwa v24, v28, v24 dst_sel:DWORD dst_unused:UNUSED_PAD src0_sel:WORD_1 src1_sel:DWORD
	v_cmp_ne_u32_e32 vcc, 0, v23
	v_add_u16_e32 v29, v26, v22
	v_add_u16_e32 v22, v26, v22
	v_cndmask_b32_e64 v23, v24, 1, vcc
	v_lshlrev_b32_e32 v24, 16, v23
	v_or_b32_e32 v24, v24, v22
	v_mov_b32_e32 v26, v23
	v_mov_b32_e32 v22, v29
.LBB1546_143:
	s_or_b64 exec, exec, s[0:1]
	v_mov_b32_dpp v28, v24 row_shr:4 row_mask:0xf bank_mask:0xf
	v_cmp_lt_u32_e32 vcc, 3, v27
	s_and_saveexec_b64 s[0:1], vcc
	s_cbranch_execz .LBB1546_145
; %bb.144:
	v_cmp_eq_u16_e32 vcc, 0, v26
	v_and_b32_e32 v23, 1, v26
	v_mov_b32_e32 v26, 1
	v_cndmask_b32_e32 v24, 0, v28, vcc
	v_and_b32_sdwa v26, v28, v26 dst_sel:DWORD dst_unused:UNUSED_PAD src0_sel:WORD_1 src1_sel:DWORD
	v_cmp_eq_u32_e32 vcc, 1, v23
	v_add_u16_e32 v29, v24, v22
	v_add_u16_e32 v22, v24, v22
	v_cndmask_b32_e64 v23, v26, 1, vcc
	v_lshlrev_b32_e32 v26, 16, v23
	v_or_b32_e32 v24, v26, v22
	v_mov_b32_e32 v26, v23
	v_mov_b32_e32 v22, v29
.LBB1546_145:
	s_or_b64 exec, exec, s[0:1]
	v_mov_b32_dpp v28, v24 row_shr:8 row_mask:0xf bank_mask:0xf
	v_cmp_lt_u32_e32 vcc, 7, v27
	s_and_saveexec_b64 s[0:1], vcc
	s_cbranch_execz .LBB1546_147
; %bb.146:
	v_cmp_eq_u16_e32 vcc, 0, v26
	v_and_b32_e32 v23, 1, v26
	v_mov_b32_e32 v26, 1
	v_cndmask_b32_e32 v24, 0, v28, vcc
	v_and_b32_sdwa v26, v28, v26 dst_sel:DWORD dst_unused:UNUSED_PAD src0_sel:WORD_1 src1_sel:DWORD
	v_cmp_eq_u32_e32 vcc, 1, v23
	v_add_u16_e32 v27, v24, v22
	v_add_u16_e32 v22, v24, v22
	v_cndmask_b32_e64 v23, v26, 1, vcc
	v_lshlrev_b32_e32 v26, 16, v23
	v_or_b32_e32 v24, v26, v22
	v_mov_b32_e32 v26, v23
	v_mov_b32_e32 v22, v27
.LBB1546_147:
	s_or_b64 exec, exec, s[0:1]
	v_and_b32_e32 v28, 16, v25
	v_mov_b32_dpp v27, v24 row_bcast:15 row_mask:0xf bank_mask:0xf
	v_cmp_ne_u32_e32 vcc, 0, v28
	s_and_saveexec_b64 s[0:1], vcc
	s_cbranch_execz .LBB1546_149
; %bb.148:
	v_cmp_eq_u16_e32 vcc, 0, v26
	v_and_b32_e32 v23, 1, v26
	v_mov_b32_e32 v26, 1
	v_cndmask_b32_e32 v24, 0, v27, vcc
	v_and_b32_sdwa v26, v27, v26 dst_sel:DWORD dst_unused:UNUSED_PAD src0_sel:WORD_1 src1_sel:DWORD
	v_cmp_eq_u32_e32 vcc, 1, v23
	v_add_u16_e32 v28, v24, v22
	v_add_u16_e32 v22, v24, v22
	v_cndmask_b32_e64 v23, v26, 1, vcc
	v_lshlrev_b32_e32 v26, 16, v23
	v_or_b32_e32 v24, v26, v22
	v_mov_b32_e32 v26, v23
	v_mov_b32_e32 v22, v28
.LBB1546_149:
	s_or_b64 exec, exec, s[0:1]
	v_mov_b32_dpp v24, v24 row_bcast:31 row_mask:0xf bank_mask:0xf
	v_cmp_lt_u32_e32 vcc, 31, v25
	s_and_saveexec_b64 s[0:1], vcc
; %bb.150:
	v_cmp_eq_u16_e32 vcc, 0, v26
	s_nop 1
	v_cndmask_b32_e32 v23, 0, v24, vcc
	v_add_u16_e32 v22, v23, v22
	v_and_b32_e32 v23, 1, v26
	v_mov_b32_e32 v26, 1
	v_and_b32_sdwa v24, v24, v26 dst_sel:DWORD dst_unused:UNUSED_PAD src0_sel:WORD_1 src1_sel:DWORD
	v_cmp_eq_u32_e32 vcc, 1, v23
	s_nop 1
	v_cndmask_b32_e64 v23, v24, 1, vcc
; %bb.151:
	s_or_b64 exec, exec, s[0:1]
	v_or_b32_e32 v26, 63, v0
	v_lshrrev_b32_e32 v24, 6, v0
	v_cmp_eq_u32_e32 vcc, v26, v0
	s_and_saveexec_b64 s[0:1], vcc
	s_cbranch_execz .LBB1546_153
; %bb.152:
	v_lshlrev_b32_e32 v26, 2, v24
	ds_write_b16 v26, v22
	ds_write_b8 v26, v23 offset:2
.LBB1546_153:
	s_or_b64 exec, exec, s[0:1]
	v_cmp_gt_u32_e32 vcc, 4, v0
	s_waitcnt lgkmcnt(0)
	s_barrier
	s_and_saveexec_b64 s[0:1], vcc
	s_cbranch_execz .LBB1546_159
; %bb.154:
	v_lshlrev_b32_e32 v26, 2, v0
	ds_read_b32 v27, v26
	v_and_b32_e32 v30, 3, v25
	v_cmp_ne_u32_e32 vcc, 0, v30
	s_waitcnt lgkmcnt(0)
	v_lshrrev_b32_e32 v29, 16, v27
	v_mov_b32_dpp v31, v27 row_shr:1 row_mask:0xf bank_mask:0xf
	v_mov_b32_e32 v28, v27
	s_and_saveexec_b64 s[50:51], vcc
	s_cbranch_execz .LBB1546_156
; %bb.155:
	v_mov_b32_e32 v28, 0
	v_cmp_eq_u16_sdwa vcc, v29, v28 src0_sel:BYTE_0 src1_sel:DWORD
	v_and_b32_e32 v29, 0x10000, v27
	v_mov_b32_e32 v36, 1
	v_cndmask_b32_e32 v35, 0, v31, vcc
	v_and_b32_sdwa v31, v31, v36 dst_sel:DWORD dst_unused:UNUSED_PAD src0_sel:WORD_1 src1_sel:DWORD
	v_cmp_ne_u32_e32 vcc, 0, v29
	v_and_b32_e32 v34, 0xff000000, v27
	v_add_u16_e32 v28, v35, v27
	v_cndmask_b32_e64 v29, v31, 1, vcc
	v_lshlrev_b32_e32 v31, 16, v29
	v_add_u16_e32 v27, v35, v27
	v_or3_b32 v27, v31, v34, v27
.LBB1546_156:
	s_or_b64 exec, exec, s[50:51]
	s_nop 0
	v_mov_b32_dpp v31, v27 row_shr:2 row_mask:0xf bank_mask:0xf
	v_cmp_lt_u32_e32 vcc, 1, v30
	s_and_saveexec_b64 s[50:51], vcc
; %bb.157:
	v_and_b32_e32 v29, 0xff0000, v27
	v_cmp_eq_u32_e32 vcc, 0, v29
	v_and_b32_e32 v27, 0x10000, v27
	s_nop 0
	v_cndmask_b32_e32 v29, 0, v31, vcc
	v_add_u16_e32 v28, v29, v28
	v_mov_b32_e32 v29, 1
	v_and_b32_sdwa v29, v31, v29 dst_sel:DWORD dst_unused:UNUSED_PAD src0_sel:WORD_1 src1_sel:DWORD
	v_cmp_eq_u32_e32 vcc, 0, v27
	s_nop 1
	v_cndmask_b32_e32 v29, 1, v29, vcc
; %bb.158:
	s_or_b64 exec, exec, s[50:51]
	ds_write_b16 v26, v28
	ds_write_b8 v26, v29 offset:2
.LBB1546_159:
	s_or_b64 exec, exec, s[0:1]
	v_cmp_gt_u32_e32 vcc, 64, v0
	v_cmp_lt_u32_e64 s[0:1], 63, v0
	v_mov_b32_e32 v34, 0
	v_mov_b32_e32 v35, 0
	s_waitcnt lgkmcnt(0)
	s_barrier
	s_and_saveexec_b64 s[50:51], s[0:1]
	s_cbranch_execz .LBB1546_161
; %bb.160:
	v_lshl_add_u32 v24, v24, 2, -4
	ds_read_u16 v34, v24
	ds_read_u8 v35, v24 offset:2
	v_and_b32_e32 v26, 1, v23
	v_cmp_eq_u16_e64 s[0:1], 0, v23
	s_waitcnt lgkmcnt(1)
	s_nop 0
	v_cndmask_b32_e64 v23, 0, v34, s[0:1]
	v_cmp_eq_u32_e64 s[0:1], 1, v26
	v_add_u16_e32 v22, v23, v22
	s_waitcnt lgkmcnt(0)
	v_cndmask_b32_e64 v23, v35, 1, s[0:1]
.LBB1546_161:
	s_or_b64 exec, exec, s[50:51]
	v_and_b32_e32 v23, 0xff, v23
	v_and_b32_e32 v22, 0xffff, v22
	v_lshl_or_b32 v22, v23, 16, v22
	v_add_u32_e32 v23, -1, v25
	v_and_b32_e32 v24, 64, v25
	v_cmp_lt_i32_e64 s[0:1], v23, v24
	v_cmp_eq_u32_e64 s[50:51], 0, v25
	s_nop 0
	v_cndmask_b32_e64 v23, v23, v25, s[0:1]
	v_lshlrev_b32_e32 v23, 2, v23
	ds_bpermute_b32 v36, v23, v22
	s_and_saveexec_b64 s[0:1], vcc
	s_cbranch_execz .LBB1546_208
; %bb.162:
	v_mov_b32_e32 v31, 0
	ds_read_b32 v22, v31 offset:12
	s_and_saveexec_b64 s[56:57], s[50:51]
	s_cbranch_execz .LBB1546_164
; %bb.163:
	s_add_i32 s58, s67, 64
	s_mov_b32 s59, 0
	s_lshl_b64 s[58:59], s[58:59], 3
	s_add_u32 s58, s64, s58
	v_mov_b32_e32 v23, 1
	s_addc_u32 s59, s65, s59
	s_waitcnt lgkmcnt(0)
	global_store_dwordx2 v31, v[22:23], s[58:59] sc1
.LBB1546_164:
	s_or_b64 exec, exec, s[56:57]
	v_xad_u32 v24, v25, -1, s67
	v_add_u32_e32 v30, 64, v24
	v_lshl_add_u64 v[28:29], v[30:31], 3, s[64:65]
	global_load_dwordx2 v[26:27], v[28:29], off sc1
	s_waitcnt vmcnt(0)
	v_cmp_eq_u16_sdwa s[58:59], v27, v31 src0_sel:BYTE_0 src1_sel:DWORD
	s_and_saveexec_b64 s[56:57], s[58:59]
	s_cbranch_execz .LBB1546_170
; %bb.165:
	s_mov_b32 s60, 1
	s_mov_b64 s[58:59], 0
	v_mov_b32_e32 v23, 0
.LBB1546_166:                           ; =>This Loop Header: Depth=1
                                        ;     Child Loop BB1546_167 Depth 2
	s_max_u32 s61, s60, 1
.LBB1546_167:                           ;   Parent Loop BB1546_166 Depth=1
                                        ; =>  This Inner Loop Header: Depth=2
	s_add_i32 s61, s61, -1
	s_cmp_eq_u32 s61, 0
	s_sleep 1
	s_cbranch_scc0 .LBB1546_167
; %bb.168:                              ;   in Loop: Header=BB1546_166 Depth=1
	global_load_dwordx2 v[26:27], v[28:29], off sc1
	s_cmp_lt_u32 s60, 32
	s_cselect_b64 s[68:69], -1, 0
	s_cmp_lg_u64 s[68:69], 0
	s_addc_u32 s60, s60, 0
	s_waitcnt vmcnt(0)
	v_cmp_ne_u16_sdwa s[68:69], v27, v23 src0_sel:BYTE_0 src1_sel:DWORD
	s_or_b64 s[58:59], s[68:69], s[58:59]
	s_andn2_b64 exec, exec, s[58:59]
	s_cbranch_execnz .LBB1546_166
; %bb.169:
	s_or_b64 exec, exec, s[58:59]
.LBB1546_170:
	s_or_b64 exec, exec, s[56:57]
	v_mov_b32_e32 v23, 2
	v_cmp_eq_u16_sdwa s[56:57], v27, v23 src0_sel:BYTE_0 src1_sel:DWORD
	v_lshlrev_b64 v[28:29], v25, -1
	v_and_b32_e32 v48, 0xffffff, v26
	v_and_b32_e32 v23, s57, v29
	v_or_b32_e32 v23, 0x80000000, v23
	v_ffbl_b32_e32 v23, v23
	v_add_u32_e32 v31, 32, v23
	v_and_b32_e32 v23, 63, v25
	v_cmp_ne_u32_e32 vcc, 63, v23
	v_and_b32_e32 v30, s56, v28
	v_ffbl_b32_e32 v30, v30
	v_addc_co_u32_e32 v37, vcc, 0, v25, vcc
	v_lshlrev_b32_e32 v37, 2, v37
	ds_bpermute_b32 v38, v37, v48
	v_min_u32_e32 v31, v30, v31
	v_lshrrev_b32_e32 v30, 16, v26
	v_cmp_lt_u32_e32 vcc, v23, v31
	v_bfe_u32 v46, v26, 16, 8
	s_and_saveexec_b64 s[56:57], vcc
	s_cbranch_execz .LBB1546_172
; %bb.171:
	v_and_b32_e32 v30, 0xff0000, v26
	v_cmp_eq_u32_e32 vcc, 0, v30
	v_and_b32_e32 v30, 0x10000, v30
	v_mov_b32_e32 v41, 1
	s_waitcnt lgkmcnt(0)
	v_cndmask_b32_e32 v39, 0, v38, vcc
	v_and_b32_sdwa v38, v38, v41 dst_sel:DWORD dst_unused:UNUSED_PAD src0_sel:WORD_1 src1_sel:DWORD
	v_cmp_ne_u32_e32 vcc, 0, v30
	v_add_u16_e32 v40, v39, v26
	v_add_u16_e32 v26, v39, v26
	v_cndmask_b32_e64 v30, v38, 1, vcc
	v_lshlrev_b32_e32 v38, 16, v30
	v_or_b32_e32 v48, v38, v26
	v_mov_b32_e32 v26, v40
	v_mov_b32_e32 v46, v30
.LBB1546_172:
	s_or_b64 exec, exec, s[56:57]
	v_cmp_gt_u32_e32 vcc, 62, v23
	v_add_u32_e32 v39, 2, v23
	s_waitcnt lgkmcnt(0)
	v_cndmask_b32_e64 v38, 0, 1, vcc
	v_lshlrev_b32_e32 v38, 1, v38
	v_add_lshl_u32 v38, v38, v25, 2
	ds_bpermute_b32 v40, v38, v48
	v_cmp_le_u32_e32 vcc, v39, v31
	s_and_saveexec_b64 s[56:57], vcc
	s_cbranch_execz .LBB1546_174
; %bb.173:
	v_cmp_eq_u16_e32 vcc, 0, v46
	v_and_b32_e32 v30, 1, v46
	v_mov_b32_e32 v43, 1
	s_waitcnt lgkmcnt(0)
	v_cndmask_b32_e32 v41, 0, v40, vcc
	v_and_b32_sdwa v40, v40, v43 dst_sel:DWORD dst_unused:UNUSED_PAD src0_sel:WORD_1 src1_sel:DWORD
	v_cmp_eq_u32_e32 vcc, 1, v30
	v_add_u16_e32 v42, v41, v26
	v_add_u16_e32 v26, v41, v26
	v_cndmask_b32_e64 v30, v40, 1, vcc
	v_lshlrev_b32_e32 v40, 16, v30
	v_or_b32_e32 v48, v40, v26
	v_mov_b32_e32 v26, v42
	v_mov_b32_e32 v46, v30
.LBB1546_174:
	s_or_b64 exec, exec, s[56:57]
	v_cmp_gt_u32_e32 vcc, 60, v23
	v_add_u32_e32 v41, 4, v23
	s_waitcnt lgkmcnt(0)
	v_cndmask_b32_e64 v40, 0, 1, vcc
	v_lshlrev_b32_e32 v40, 2, v40
	v_add_lshl_u32 v40, v40, v25, 2
	ds_bpermute_b32 v42, v40, v48
	v_cmp_le_u32_e32 vcc, v41, v31
	s_and_saveexec_b64 s[56:57], vcc
	s_cbranch_execz .LBB1546_176
; %bb.175:
	v_cmp_eq_u16_e32 vcc, 0, v46
	v_and_b32_e32 v30, 1, v46
	v_mov_b32_e32 v45, 1
	s_waitcnt lgkmcnt(0)
	v_cndmask_b32_e32 v43, 0, v42, vcc
	v_and_b32_sdwa v42, v42, v45 dst_sel:DWORD dst_unused:UNUSED_PAD src0_sel:WORD_1 src1_sel:DWORD
	v_cmp_eq_u32_e32 vcc, 1, v30
	v_add_u16_e32 v44, v43, v26
	v_add_u16_e32 v26, v43, v26
	v_cndmask_b32_e64 v30, v42, 1, vcc
	v_lshlrev_b32_e32 v42, 16, v30
	v_or_b32_e32 v48, v42, v26
	v_mov_b32_e32 v26, v44
	v_mov_b32_e32 v46, v30
.LBB1546_176:
	;; [unrolled: 27-line block ×4, first 2 shown]
	s_or_b64 exec, exec, s[56:57]
	v_cmp_gt_u32_e32 vcc, 32, v23
	s_waitcnt lgkmcnt(0)
	s_nop 0
	v_cndmask_b32_e64 v47, 0, 1, vcc
	v_lshlrev_b32_e32 v47, 5, v47
	v_add_lshl_u32 v47, v47, v25, 2
	ds_bpermute_b32 v25, v47, v48
	v_add_u32_e32 v48, 32, v23
	v_cmp_le_u32_e32 vcc, v48, v31
	s_and_saveexec_b64 s[56:57], vcc
	s_cbranch_execz .LBB1546_182
; %bb.181:
	v_cmp_eq_u16_e32 vcc, 0, v46
	v_mov_b32_e32 v31, 1
	s_waitcnt lgkmcnt(0)
	v_cndmask_b32_e32 v30, 0, v25, vcc
	v_add_u16_e32 v26, v30, v26
	v_and_b32_e32 v30, 1, v46
	v_and_b32_sdwa v25, v25, v31 dst_sel:DWORD dst_unused:UNUSED_PAD src0_sel:WORD_1 src1_sel:DWORD
	v_cmp_eq_u32_e32 vcc, 1, v30
	s_nop 1
	v_cndmask_b32_e64 v30, v25, 1, vcc
.LBB1546_182:
	s_or_b64 exec, exec, s[56:57]
	s_waitcnt lgkmcnt(0)
	v_mov_b32_e32 v25, 0
	v_mov_b32_e32 v52, 2
	v_mov_b32_e32 v53, 1
	s_branch .LBB1546_184
.LBB1546_183:                           ;   in Loop: Header=BB1546_184 Depth=1
	s_or_b64 exec, exec, s[56:57]
	v_cmp_eq_u16_sdwa vcc, v46, v25 src0_sel:BYTE_0 src1_sel:DWORD
	v_and_b32_e32 v30, 1, v46
	v_and_b32_e32 v31, 1, v31
	v_cndmask_b32_e32 v26, 0, v26, vcc
	v_cmp_eq_u32_e32 vcc, 1, v30
	v_subrev_u32_e32 v24, 64, v24
	v_add_u16_e32 v26, v26, v49
	v_cndmask_b32_e64 v30, v31, 1, vcc
.LBB1546_184:                           ; =>This Loop Header: Depth=1
                                        ;     Child Loop BB1546_187 Depth 2
                                        ;       Child Loop BB1546_188 Depth 3
	v_cmp_ne_u16_sdwa s[56:57], v27, v52 src0_sel:BYTE_0 src1_sel:DWORD
	v_mov_b32_e32 v46, v30
	v_mov_b32_e32 v49, v26
	v_cndmask_b32_e64 v27, 0, 1, s[56:57]
	;;#ASMSTART
	;;#ASMEND
	s_nop 0
	v_cmp_ne_u32_e32 vcc, 0, v27
	s_cmp_lg_u64 vcc, exec
	s_cbranch_scc1 .LBB1546_203
; %bb.185:                              ;   in Loop: Header=BB1546_184 Depth=1
	v_lshl_add_u64 v[30:31], v[24:25], 3, s[64:65]
	global_load_dwordx2 v[26:27], v[30:31], off sc1
	s_waitcnt vmcnt(0)
	v_cmp_eq_u16_sdwa s[58:59], v27, v25 src0_sel:BYTE_0 src1_sel:DWORD
	s_and_saveexec_b64 s[56:57], s[58:59]
	s_cbranch_execz .LBB1546_191
; %bb.186:                              ;   in Loop: Header=BB1546_184 Depth=1
	s_mov_b32 s60, 1
	s_mov_b64 s[58:59], 0
.LBB1546_187:                           ;   Parent Loop BB1546_184 Depth=1
                                        ; =>  This Loop Header: Depth=2
                                        ;       Child Loop BB1546_188 Depth 3
	s_max_u32 s61, s60, 1
.LBB1546_188:                           ;   Parent Loop BB1546_184 Depth=1
                                        ;     Parent Loop BB1546_187 Depth=2
                                        ; =>    This Inner Loop Header: Depth=3
	s_add_i32 s61, s61, -1
	s_cmp_eq_u32 s61, 0
	s_sleep 1
	s_cbranch_scc0 .LBB1546_188
; %bb.189:                              ;   in Loop: Header=BB1546_187 Depth=2
	global_load_dwordx2 v[26:27], v[30:31], off sc1
	s_cmp_lt_u32 s60, 32
	s_cselect_b64 s[68:69], -1, 0
	s_cmp_lg_u64 s[68:69], 0
	s_addc_u32 s60, s60, 0
	s_waitcnt vmcnt(0)
	v_cmp_ne_u16_sdwa s[68:69], v27, v25 src0_sel:BYTE_0 src1_sel:DWORD
	s_or_b64 s[58:59], s[68:69], s[58:59]
	s_andn2_b64 exec, exec, s[58:59]
	s_cbranch_execnz .LBB1546_187
; %bb.190:                              ;   in Loop: Header=BB1546_184 Depth=1
	s_or_b64 exec, exec, s[58:59]
.LBB1546_191:                           ;   in Loop: Header=BB1546_184 Depth=1
	s_or_b64 exec, exec, s[56:57]
	v_cmp_eq_u16_sdwa s[56:57], v27, v52 src0_sel:BYTE_0 src1_sel:DWORD
	s_waitcnt lgkmcnt(0)
	v_and_b32_e32 v55, 0xffffff, v26
	ds_bpermute_b32 v58, v37, v55
	v_and_b32_e32 v30, s57, v29
	v_or_b32_e32 v30, 0x80000000, v30
	v_and_b32_e32 v31, s56, v28
	v_ffbl_b32_e32 v30, v30
	v_add_u32_e32 v30, 32, v30
	v_ffbl_b32_e32 v31, v31
	v_min_u32_e32 v30, v31, v30
	v_lshrrev_b32_e32 v31, 16, v26
	v_cmp_lt_u32_e32 vcc, v23, v30
	v_bfe_u32 v54, v26, 16, 8
	s_and_saveexec_b64 s[56:57], vcc
	s_cbranch_execz .LBB1546_193
; %bb.192:                              ;   in Loop: Header=BB1546_184 Depth=1
	v_and_b32_e32 v31, 0xff0000, v26
	v_cmp_eq_u32_e32 vcc, 0, v31
	v_and_b32_e32 v31, 0x10000, v31
	s_waitcnt lgkmcnt(0)
	v_and_b32_sdwa v55, v58, v53 dst_sel:DWORD dst_unused:UNUSED_PAD src0_sel:WORD_1 src1_sel:DWORD
	v_cndmask_b32_e32 v54, 0, v58, vcc
	v_cmp_ne_u32_e32 vcc, 0, v31
	v_add_u16_e32 v59, v54, v26
	v_add_u16_e32 v26, v54, v26
	v_cndmask_b32_e64 v31, v55, 1, vcc
	v_lshlrev_b32_e32 v55, 16, v31
	v_or_b32_e32 v55, v55, v26
	v_mov_b32_e32 v26, v59
	v_mov_b32_e32 v54, v31
.LBB1546_193:                           ;   in Loop: Header=BB1546_184 Depth=1
	s_or_b64 exec, exec, s[56:57]
	s_waitcnt lgkmcnt(0)
	ds_bpermute_b32 v58, v38, v55
	v_cmp_le_u32_e32 vcc, v39, v30
	s_and_saveexec_b64 s[56:57], vcc
	s_cbranch_execz .LBB1546_195
; %bb.194:                              ;   in Loop: Header=BB1546_184 Depth=1
	v_cmp_eq_u16_e32 vcc, 0, v54
	v_and_b32_e32 v31, 1, v54
	s_waitcnt lgkmcnt(0)
	v_and_b32_sdwa v54, v58, v53 dst_sel:DWORD dst_unused:UNUSED_PAD src0_sel:WORD_1 src1_sel:DWORD
	v_cndmask_b32_e32 v55, 0, v58, vcc
	v_cmp_eq_u32_e32 vcc, 1, v31
	v_add_u16_e32 v59, v55, v26
	v_add_u16_e32 v26, v55, v26
	v_cndmask_b32_e64 v31, v54, 1, vcc
	v_lshlrev_b32_e32 v54, 16, v31
	v_or_b32_e32 v55, v54, v26
	v_mov_b32_e32 v26, v59
	v_mov_b32_e32 v54, v31
.LBB1546_195:                           ;   in Loop: Header=BB1546_184 Depth=1
	s_or_b64 exec, exec, s[56:57]
	s_waitcnt lgkmcnt(0)
	ds_bpermute_b32 v58, v40, v55
	v_cmp_le_u32_e32 vcc, v41, v30
	s_and_saveexec_b64 s[56:57], vcc
	s_cbranch_execz .LBB1546_197
; %bb.196:                              ;   in Loop: Header=BB1546_184 Depth=1
	v_cmp_eq_u16_e32 vcc, 0, v54
	v_and_b32_e32 v31, 1, v54
	s_waitcnt lgkmcnt(0)
	v_and_b32_sdwa v54, v58, v53 dst_sel:DWORD dst_unused:UNUSED_PAD src0_sel:WORD_1 src1_sel:DWORD
	v_cndmask_b32_e32 v55, 0, v58, vcc
	v_cmp_eq_u32_e32 vcc, 1, v31
	v_add_u16_e32 v59, v55, v26
	v_add_u16_e32 v26, v55, v26
	v_cndmask_b32_e64 v31, v54, 1, vcc
	v_lshlrev_b32_e32 v54, 16, v31
	v_or_b32_e32 v55, v54, v26
	v_mov_b32_e32 v26, v59
	v_mov_b32_e32 v54, v31
.LBB1546_197:                           ;   in Loop: Header=BB1546_184 Depth=1
	;; [unrolled: 21-line block ×4, first 2 shown]
	s_or_b64 exec, exec, s[56:57]
	ds_bpermute_b32 v55, v47, v55
	v_cmp_le_u32_e32 vcc, v48, v30
	s_and_saveexec_b64 s[56:57], vcc
	s_cbranch_execz .LBB1546_183
; %bb.202:                              ;   in Loop: Header=BB1546_184 Depth=1
	v_cmp_eq_u16_e32 vcc, 0, v54
	s_waitcnt lgkmcnt(0)
	v_lshrrev_b32_e32 v31, 16, v55
	v_cndmask_b32_e32 v30, 0, v55, vcc
	v_add_u16_e32 v26, v30, v26
	v_and_b32_e32 v30, 1, v54
	v_cmp_eq_u32_e32 vcc, 1, v30
	s_nop 1
	v_cndmask_b32_e64 v31, v31, 1, vcc
	s_branch .LBB1546_183
.LBB1546_203:                           ;   in Loop: Header=BB1546_184 Depth=1
                                        ; implicit-def: $vgpr30
                                        ; implicit-def: $vgpr26
	s_cbranch_execz .LBB1546_184
; %bb.204:
	s_and_saveexec_b64 s[56:57], s[50:51]
	s_cbranch_execz .LBB1546_206
; %bb.205:
	v_and_b32_e32 v23, 0xff0000, v22
	s_mov_b32 s59, 0
	v_cmp_eq_u32_e32 vcc, 0, v23
	v_and_b32_e32 v24, 0x10000, v22
	v_mov_b32_e32 v25, 1
	s_add_i32 s58, s67, 64
	v_cndmask_b32_e32 v23, 0, v49, vcc
	v_and_b32_sdwa v25, v46, v25 dst_sel:WORD_1 dst_unused:UNUSED_PAD src0_sel:DWORD src1_sel:DWORD
	v_mov_b32_e32 v26, 0x10000
	v_cmp_eq_u32_e32 vcc, 0, v24
	s_lshl_b64 s[58:59], s[58:59], 3
	s_add_u32 s58, s64, s58
	v_cndmask_b32_e32 v24, v26, v25, vcc
	v_add_u16_e32 v22, v23, v22
	s_addc_u32 s59, s65, s59
	v_mov_b32_e32 v25, 0
	v_or_b32_e32 v22, v24, v22
	v_mov_b32_e32 v23, 2
	global_store_dwordx2 v25, v[22:23], s[58:59] sc1
.LBB1546_206:
	s_or_b64 exec, exec, s[56:57]
	s_and_b64 exec, exec, s[52:53]
	s_cbranch_execz .LBB1546_208
; %bb.207:
	v_mov_b32_e32 v22, 0
	ds_write_b16 v22, v49 offset:12
	ds_write_b8 v22, v46 offset:14
.LBB1546_208:
	s_or_b64 exec, exec, s[0:1]
	v_mov_b32_e32 v22, 0
	s_waitcnt lgkmcnt(0)
	s_barrier
	ds_read_b32 v23, v22 offset:12
	v_lshrrev_b32_e32 v24, 16, v36
	v_cndmask_b32_e64 v24, v24, v35, s[50:51]
	v_cmp_eq_u16_sdwa vcc, v24, v22 src0_sel:BYTE_0 src1_sel:DWORD
	v_cndmask_b32_e64 v25, v36, v34, s[50:51]
	s_waitcnt lgkmcnt(0)
	v_cndmask_b32_e32 v22, 0, v23, vcc
	v_add_u16_e32 v22, v22, v25
	v_cndmask_b32_e64 v24, v22, v23, s[52:53]
	v_and_b32_e32 v22, 0xff0000, v1
	v_cmp_eq_u32_e32 vcc, 0, v22
	s_nop 1
	v_cndmask_b32_e32 v22, 0, v24, vcc
	v_add_u16_e32 v22, v22, v1
	v_cndmask_b32_e64 v23, 0, v22, s[4:5]
	v_add_u16_e32 v23, v23, v56
	v_cndmask_b32_e64 v25, 0, v23, s[6:7]
	;; [unrolled: 2-line block ×22, first 2 shown]
	v_add_u16_e32 v47, v47, v17
	s_branch .LBB1546_259
.LBB1546_209:
	s_or_b64 exec, exec, s[0:1]
                                        ; implicit-def: $vgpr3
	s_and_saveexec_b64 s[0:1], s[4:5]
	s_cbranch_execz .LBB1546_57
.LBB1546_210:
	v_lshlrev_b32_e32 v20, 1, v0
	v_mov_b32_e32 v21, 0
	v_lshl_add_u64 v[20:21], v[52:53], 0, v[20:21]
	flat_load_ushort v3, v[20:21] offset:512
	s_or_b64 exec, exec, s[0:1]
                                        ; implicit-def: $vgpr20
	s_and_saveexec_b64 s[0:1], s[6:7]
	s_cbranch_execnz .LBB1546_58
.LBB1546_211:
	s_or_b64 exec, exec, s[0:1]
                                        ; implicit-def: $vgpr21
	s_and_saveexec_b64 s[0:1], s[8:9]
	s_cbranch_execz .LBB1546_59
.LBB1546_212:
	v_lshlrev_b32_e32 v46, 1, v0
	v_mov_b32_e32 v47, 0
	v_lshl_add_u64 v[46:47], v[52:53], 0, v[46:47]
	flat_load_ushort v21, v[46:47] offset:1536
	s_or_b64 exec, exec, s[0:1]
                                        ; implicit-def: $vgpr46
	s_and_saveexec_b64 s[0:1], s[10:11]
	s_cbranch_execnz .LBB1546_60
.LBB1546_213:
	s_or_b64 exec, exec, s[0:1]
                                        ; implicit-def: $vgpr47
	s_and_saveexec_b64 s[0:1], s[12:13]
	s_cbranch_execz .LBB1546_61
.LBB1546_214:
	v_lshlrev_b32_e32 v48, 1, v0
	v_mov_b32_e32 v49, 0
	v_lshl_add_u64 v[48:49], v[52:53], 0, v[48:49]
	flat_load_ushort v47, v[48:49] offset:2560
	s_or_b64 exec, exec, s[0:1]
                                        ; implicit-def: $vgpr48
	s_and_saveexec_b64 s[0:1], s[14:15]
	s_cbranch_execnz .LBB1546_62
.LBB1546_215:
	s_or_b64 exec, exec, s[0:1]
                                        ; implicit-def: $vgpr49
	s_and_saveexec_b64 s[0:1], s[16:17]
	s_cbranch_execz .LBB1546_63
.LBB1546_216:
	v_lshlrev_b32_e32 v56, 1, v0
	v_mov_b32_e32 v57, 0
	v_lshl_add_u64 v[56:57], v[52:53], 0, v[56:57]
	flat_load_ushort v49, v[56:57] offset:3584
	s_or_b64 exec, exec, s[0:1]
                                        ; implicit-def: $vgpr56
	s_and_saveexec_b64 s[0:1], s[18:19]
	s_cbranch_execnz .LBB1546_64
.LBB1546_217:
	s_or_b64 exec, exec, s[0:1]
                                        ; implicit-def: $vgpr1
	s_and_saveexec_b64 s[0:1], s[20:21]
	s_cbranch_execz .LBB1546_65
.LBB1546_218:
	v_lshlrev_b32_e32 v60, 1, v4
	v_mov_b32_e32 v61, 0
	v_lshl_add_u64 v[60:61], v[52:53], 0, v[60:61]
	flat_load_ushort v1, v[60:61]
	s_or_b64 exec, exec, s[0:1]
                                        ; implicit-def: $vgpr4
	s_and_saveexec_b64 s[0:1], s[22:23]
	s_cbranch_execnz .LBB1546_66
.LBB1546_219:
	s_or_b64 exec, exec, s[0:1]
                                        ; implicit-def: $vgpr5
	s_and_saveexec_b64 s[0:1], s[24:25]
	s_cbranch_execz .LBB1546_67
.LBB1546_220:
	v_lshlrev_b32_e32 v60, 1, v6
	v_mov_b32_e32 v61, 0
	v_lshl_add_u64 v[60:61], v[52:53], 0, v[60:61]
	flat_load_ushort v5, v[60:61]
	s_or_b64 exec, exec, s[0:1]
                                        ; implicit-def: $vgpr6
	s_and_saveexec_b64 s[0:1], s[26:27]
	s_cbranch_execnz .LBB1546_68
.LBB1546_221:
	s_or_b64 exec, exec, s[0:1]
                                        ; implicit-def: $vgpr7
	s_and_saveexec_b64 s[0:1], s[28:29]
	s_cbranch_execz .LBB1546_69
.LBB1546_222:
	v_lshlrev_b32_e32 v60, 1, v8
	v_mov_b32_e32 v61, 0
	v_lshl_add_u64 v[60:61], v[52:53], 0, v[60:61]
	flat_load_ushort v7, v[60:61]
	s_or_b64 exec, exec, s[0:1]
                                        ; implicit-def: $vgpr8
	s_and_saveexec_b64 s[0:1], s[30:31]
	s_cbranch_execnz .LBB1546_70
.LBB1546_223:
	s_or_b64 exec, exec, s[0:1]
                                        ; implicit-def: $vgpr9
	s_and_saveexec_b64 s[0:1], s[34:35]
	s_cbranch_execz .LBB1546_71
.LBB1546_224:
	v_lshlrev_b32_e32 v60, 1, v10
	v_mov_b32_e32 v61, 0
	v_lshl_add_u64 v[60:61], v[52:53], 0, v[60:61]
	flat_load_ushort v9, v[60:61]
	s_or_b64 exec, exec, s[0:1]
                                        ; implicit-def: $vgpr10
	s_and_saveexec_b64 s[0:1], s[36:37]
	s_cbranch_execnz .LBB1546_72
.LBB1546_225:
	s_or_b64 exec, exec, s[0:1]
                                        ; implicit-def: $vgpr11
	s_and_saveexec_b64 s[0:1], s[38:39]
	s_cbranch_execz .LBB1546_73
.LBB1546_226:
	v_lshlrev_b32_e32 v60, 1, v12
	v_mov_b32_e32 v61, 0
	v_lshl_add_u64 v[60:61], v[52:53], 0, v[60:61]
	flat_load_ushort v11, v[60:61]
	s_or_b64 exec, exec, s[0:1]
                                        ; implicit-def: $vgpr12
	s_and_saveexec_b64 s[0:1], s[40:41]
	s_cbranch_execnz .LBB1546_74
.LBB1546_227:
	s_or_b64 exec, exec, s[0:1]
                                        ; implicit-def: $vgpr13
	s_and_saveexec_b64 s[0:1], s[42:43]
	s_cbranch_execz .LBB1546_75
.LBB1546_228:
	v_lshlrev_b32_e32 v60, 1, v14
	v_mov_b32_e32 v61, 0
	v_lshl_add_u64 v[60:61], v[52:53], 0, v[60:61]
	flat_load_ushort v13, v[60:61]
	s_or_b64 exec, exec, s[0:1]
                                        ; implicit-def: $vgpr14
	s_and_saveexec_b64 s[0:1], s[44:45]
	s_cbranch_execnz .LBB1546_76
.LBB1546_229:
	s_or_b64 exec, exec, s[0:1]
                                        ; implicit-def: $vgpr15
	s_and_saveexec_b64 s[0:1], s[46:47]
	s_cbranch_execz .LBB1546_77
.LBB1546_230:
	v_lshlrev_b32_e32 v60, 1, v16
	v_mov_b32_e32 v61, 0
	v_lshl_add_u64 v[60:61], v[52:53], 0, v[60:61]
	flat_load_ushort v15, v[60:61]
	s_or_b64 exec, exec, s[0:1]
                                        ; implicit-def: $vgpr16
	s_and_saveexec_b64 s[0:1], s[48:49]
	s_cbranch_execz .LBB1546_79
	s_branch .LBB1546_78
.LBB1546_231:
                                        ; implicit-def: $vgpr24
                                        ; implicit-def: $vgpr22
                                        ; implicit-def: $vgpr23
                                        ; implicit-def: $vgpr25
                                        ; implicit-def: $vgpr26
                                        ; implicit-def: $vgpr27
                                        ; implicit-def: $vgpr29
                                        ; implicit-def: $vgpr31
                                        ; implicit-def: $vgpr28
                                        ; implicit-def: $vgpr30
                                        ; implicit-def: $vgpr34
                                        ; implicit-def: $vgpr35
                                        ; implicit-def: $vgpr36
                                        ; implicit-def: $vgpr37
                                        ; implicit-def: $vgpr39
                                        ; implicit-def: $vgpr41
                                        ; implicit-def: $vgpr38
                                        ; implicit-def: $vgpr40
                                        ; implicit-def: $vgpr42
                                        ; implicit-def: $vgpr43
                                        ; implicit-def: $vgpr44
                                        ; implicit-def: $vgpr45
                                        ; implicit-def: $vgpr46
                                        ; implicit-def: $vgpr47
	s_cbranch_execz .LBB1546_259
; %bb.232:
	s_cmp_lg_u64 s[72:73], 0
	s_cselect_b32 s1, s71, 0
	s_cselect_b32 s0, s70, 0
	s_cmp_eq_u64 s[0:1], 0
	v_mov_b32_e32 v47, s74
	s_cbranch_scc1 .LBB1546_234
; %bb.233:
	v_mov_b32_e32 v22, 0
	global_load_ushort v47, v22, s[0:1]
.LBB1546_234:
	s_mov_b32 s50, 0x10000
	v_cmp_gt_u32_e32 vcc, s50, v56
	v_cmp_gt_u32_e64 s[4:5], s50, v21
	v_cmp_gt_u32_e64 s[6:7], s50, v20
	v_cndmask_b32_e32 v22, 0, v1, vcc
	v_add_u16_e32 v22, v22, v56
	v_cndmask_b32_e64 v22, 0, v22, s[4:5]
	v_add_u16_e32 v22, v22, v21
	v_cndmask_b32_e64 v22, 0, v22, s[6:7]
	v_add_u16_e32 v22, v22, v20
	v_cmp_gt_u32_e64 s[8:9], s50, v19
	v_cmp_gt_u32_e64 s[10:11], s50, v18
	v_cmp_gt_u32_e64 s[12:13], s50, v57
	v_cndmask_b32_e64 v22, 0, v22, s[8:9]
	v_add_u16_e32 v22, v22, v19
	v_cndmask_b32_e64 v22, 0, v22, s[10:11]
	v_add_u16_e32 v22, v22, v18
	v_cndmask_b32_e64 v22, 0, v22, s[12:13]
	v_add_u16_e32 v22, v22, v57
	v_cmp_gt_u32_e64 s[14:15], s50, v9
	v_cmp_gt_u32_e64 s[16:17], s50, v8
	v_cmp_gt_u32_e64 s[18:19], s50, v7
	v_cndmask_b32_e64 v22, 0, v22, s[14:15]
	;; [unrolled: 9-line block ×5, first 2 shown]
	v_add_u16_e32 v22, v22, v11
	v_cndmask_b32_e64 v22, 0, v22, s[36:37]
	v_add_u16_e32 v22, v22, v12
	v_cndmask_b32_e64 v22, 0, v22, s[38:39]
	v_add_u16_e32 v22, v22, v13
	v_cmp_gt_u32_e64 s[40:41], s50, v14
	v_bfe_u32 v25, v19, 16, 1
	v_cmp_gt_u32_e64 s[42:43], s50, v15
	v_cndmask_b32_e64 v22, 0, v22, s[40:41]
	v_add_u16_e32 v22, v22, v14
	v_lshlrev_b16_e32 v26, 1, v25
	v_mov_b32_e32 v25, 1
	v_cndmask_b32_e64 v22, 0, v22, s[42:43]
	v_and_b32_sdwa v27, v18, v25 dst_sel:DWORD dst_unused:UNUSED_PAD src0_sel:WORD_1 src1_sel:DWORD
	v_add_u16_e32 v22, v22, v15
	v_cmp_gt_u32_e64 s[44:45], s50, v16
	v_or_b32_e32 v26, v27, v26
	v_bfe_u32 v27, v21, 16, 1
	v_and_b32_sdwa v28, v20, v25 dst_sel:DWORD dst_unused:UNUSED_PAD src0_sel:WORD_1 src1_sel:DWORD
	v_cndmask_b32_e64 v22, 0, v22, s[44:45]
	v_lshlrev_b16_e32 v27, 3, v27
	v_lshlrev_b16_e32 v28, 2, v28
	v_add_u16_e32 v22, v22, v16
	v_cmp_gt_u32_e64 s[46:47], s50, v17
	v_or_b32_e32 v27, v27, v28
	v_or_b32_e32 v26, v26, v27
	v_cndmask_b32_e64 v22, 0, v22, s[46:47]
	v_and_b32_e32 v27, 0x10000, v57
	v_add_u16_e32 v22, v22, v17
	v_cmp_gt_u32_e64 s[50:51], s50, v32
	v_and_b32_e32 v28, 0x10000, v32
	v_cmp_ne_u32_e64 s[0:1], 0, v27
	v_cndmask_b32_e64 v27, 0, v22, s[50:51]
	v_cmp_ne_u32_e64 s[50:51], 0, v28
	v_or_b32_e32 v28, v16, v8
	v_or_b32_e32 v29, v17, v9
	;; [unrolled: 1-line block ×7, first 2 shown]
	v_bfe_u32 v31, v31, 16, 1
	v_bfe_u32 v29, v29, 16, 1
	v_and_b32_sdwa v28, v28, v25 dst_sel:DWORD dst_unused:UNUSED_PAD src0_sel:WORD_1 src1_sel:DWORD
	v_or_b32_e32 v36, v10, v2
	v_bfe_u32 v37, v37, 16, 1
	v_bfe_u32 v35, v35, 16, 1
	v_and_b32_sdwa v34, v34, v25 dst_sel:DWORD dst_unused:UNUSED_PAD src0_sel:WORD_1 src1_sel:DWORD
	v_lshlrev_b16_e32 v31, 1, v31
	v_and_b32_sdwa v30, v30, v25 dst_sel:DWORD dst_unused:UNUSED_PAD src0_sel:WORD_1 src1_sel:DWORD
	v_lshlrev_b16_e32 v29, 3, v29
	v_lshlrev_b16_e32 v28, 2, v28
	;; [unrolled: 1-line block ×3, first 2 shown]
	v_and_b32_sdwa v36, v36, v25 dst_sel:DWORD dst_unused:UNUSED_PAD src0_sel:WORD_1 src1_sel:DWORD
	v_lshlrev_b16_e32 v35, 3, v35
	v_lshlrev_b16_e32 v34, 2, v34
	v_or_b32_e32 v30, v30, v31
	v_or_b32_e32 v28, v29, v28
	;; [unrolled: 1-line block ×6, first 2 shown]
	v_lshlrev_b16_e32 v28, 4, v28
	v_or_b32_e32 v28, v34, v28
	v_or_b32_e32 v26, v28, v26
	v_mov_b32_e32 v28, 0
	v_cmp_ne_u16_sdwa s[56:57], v26, v28 src0_sel:BYTE_0 src1_sel:DWORD
	v_and_b32_e32 v24, 0x10000, v56
	s_or_b64 s[50:51], s[50:51], s[56:57]
	v_cmp_ne_u32_e64 s[48:49], 0, v24
	s_or_b64 s[0:1], s[50:51], s[0:1]
	v_mov_b32_e32 v23, 0x10000
	v_and_b32_e32 v24, 0x10000, v1
	s_or_b64 s[0:1], s[0:1], s[48:49]
	v_cndmask_b32_e64 v28, v24, v23, s[0:1]
	v_add_u16_e32 v26, v27, v32
	v_mbcnt_hi_u32_b32 v23, -1, v33
	v_add_u16_e32 v22, v27, v32
	v_and_b32_e32 v27, 15, v23
	v_or_b32_e32 v26, v28, v26
	v_lshrrev_b32_e32 v24, 16, v28
	v_cmp_ne_u32_e64 s[0:1], 0, v27
	v_mov_b32_dpp v29, v26 row_shr:1 row_mask:0xf bank_mask:0xf
	s_and_saveexec_b64 s[48:49], s[0:1]
; %bb.235:
	v_cmp_eq_u32_e64 s[0:1], 0, v28
	v_and_b32_e32 v24, 0x10000, v28
	v_and_b32_sdwa v25, v29, v25 dst_sel:DWORD dst_unused:UNUSED_PAD src0_sel:WORD_1 src1_sel:DWORD
	v_cndmask_b32_e64 v26, 0, v29, s[0:1]
	v_cmp_ne_u32_e64 s[0:1], 0, v24
	v_add_u16_e32 v30, v26, v22
	v_add_u16_e32 v22, v26, v22
	v_cndmask_b32_e64 v24, v25, 1, s[0:1]
	v_lshlrev_b32_e32 v25, 16, v24
	v_or_b32_e32 v26, v25, v22
	v_mov_b32_e32 v22, v30
; %bb.236:
	s_or_b64 exec, exec, s[48:49]
	v_lshrrev_b32_e32 v25, 16, v26
	v_mov_b32_dpp v28, v26 row_shr:2 row_mask:0xf bank_mask:0xf
	v_cmp_lt_u32_e64 s[0:1], 1, v27
	s_and_saveexec_b64 s[48:49], s[0:1]
	s_cbranch_execz .LBB1546_238
; %bb.237:
	s_mov_b32 s0, 0x10000
	v_cmp_gt_u32_e64 s[0:1], s0, v26
	v_and_b32_e32 v24, 0x10000, v26
	v_mov_b32_e32 v26, 1
	v_cndmask_b32_e64 v25, 0, v28, s[0:1]
	v_and_b32_sdwa v26, v28, v26 dst_sel:DWORD dst_unused:UNUSED_PAD src0_sel:WORD_1 src1_sel:DWORD
	v_cmp_ne_u32_e64 s[0:1], 0, v24
	v_add_u16_e32 v29, v25, v22
	v_add_u16_e32 v22, v25, v22
	v_cndmask_b32_e64 v24, v26, 1, s[0:1]
	v_lshlrev_b32_e32 v26, 16, v24
	v_or_b32_e32 v26, v26, v22
	v_mov_b32_e32 v25, v24
	v_mov_b32_e32 v22, v29
.LBB1546_238:
	s_or_b64 exec, exec, s[48:49]
	v_mov_b32_dpp v28, v26 row_shr:4 row_mask:0xf bank_mask:0xf
	v_cmp_lt_u32_e64 s[0:1], 3, v27
	s_and_saveexec_b64 s[48:49], s[0:1]
	s_cbranch_execz .LBB1546_240
; %bb.239:
	v_cmp_eq_u16_e64 s[0:1], 0, v25
	v_and_b32_e32 v24, 1, v25
	v_mov_b32_e32 v25, 1
	v_cndmask_b32_e64 v26, 0, v28, s[0:1]
	v_and_b32_sdwa v25, v28, v25 dst_sel:DWORD dst_unused:UNUSED_PAD src0_sel:WORD_1 src1_sel:DWORD
	v_cmp_eq_u32_e64 s[0:1], 1, v24
	v_add_u16_e32 v29, v26, v22
	v_add_u16_e32 v22, v26, v22
	v_cndmask_b32_e64 v24, v25, 1, s[0:1]
	v_lshlrev_b32_e32 v25, 16, v24
	v_or_b32_e32 v26, v25, v22
	v_mov_b32_e32 v25, v24
	v_mov_b32_e32 v22, v29
.LBB1546_240:
	s_or_b64 exec, exec, s[48:49]
	v_mov_b32_dpp v28, v26 row_shr:8 row_mask:0xf bank_mask:0xf
	v_cmp_lt_u32_e64 s[0:1], 7, v27
	s_and_saveexec_b64 s[48:49], s[0:1]
	s_cbranch_execz .LBB1546_242
; %bb.241:
	v_cmp_eq_u16_e64 s[0:1], 0, v25
	v_and_b32_e32 v24, 1, v25
	v_mov_b32_e32 v25, 1
	v_cndmask_b32_e64 v26, 0, v28, s[0:1]
	v_and_b32_sdwa v25, v28, v25 dst_sel:DWORD dst_unused:UNUSED_PAD src0_sel:WORD_1 src1_sel:DWORD
	v_cmp_eq_u32_e64 s[0:1], 1, v24
	v_add_u16_e32 v27, v26, v22
	v_add_u16_e32 v22, v26, v22
	v_cndmask_b32_e64 v24, v25, 1, s[0:1]
	v_lshlrev_b32_e32 v25, 16, v24
	v_or_b32_e32 v26, v25, v22
	v_mov_b32_e32 v25, v24
	v_mov_b32_e32 v22, v27
.LBB1546_242:
	s_or_b64 exec, exec, s[48:49]
	v_and_b32_e32 v28, 16, v23
	v_mov_b32_dpp v27, v26 row_bcast:15 row_mask:0xf bank_mask:0xf
	v_cmp_ne_u32_e64 s[0:1], 0, v28
	s_and_saveexec_b64 s[48:49], s[0:1]
	s_cbranch_execz .LBB1546_244
; %bb.243:
	v_cmp_eq_u16_e64 s[0:1], 0, v25
	v_and_b32_e32 v24, 1, v25
	v_mov_b32_e32 v25, 1
	v_cndmask_b32_e64 v26, 0, v27, s[0:1]
	v_and_b32_sdwa v25, v27, v25 dst_sel:DWORD dst_unused:UNUSED_PAD src0_sel:WORD_1 src1_sel:DWORD
	v_cmp_eq_u32_e64 s[0:1], 1, v24
	v_add_u16_e32 v28, v26, v22
	v_add_u16_e32 v22, v26, v22
	v_cndmask_b32_e64 v24, v25, 1, s[0:1]
	v_lshlrev_b32_e32 v25, 16, v24
	v_or_b32_e32 v26, v25, v22
	v_mov_b32_e32 v25, v24
	v_mov_b32_e32 v22, v28
.LBB1546_244:
	s_or_b64 exec, exec, s[48:49]
	v_mov_b32_dpp v26, v26 row_bcast:31 row_mask:0xf bank_mask:0xf
	v_cmp_lt_u32_e64 s[0:1], 31, v23
	s_and_saveexec_b64 s[48:49], s[0:1]
; %bb.245:
	v_cmp_eq_u16_e64 s[0:1], 0, v25
	s_nop 1
	v_cndmask_b32_e64 v24, 0, v26, s[0:1]
	v_add_u16_e32 v22, v24, v22
	v_and_b32_e32 v24, 1, v25
	v_mov_b32_e32 v25, 1
	v_and_b32_sdwa v25, v26, v25 dst_sel:DWORD dst_unused:UNUSED_PAD src0_sel:WORD_1 src1_sel:DWORD
	v_cmp_eq_u32_e64 s[0:1], 1, v24
	s_nop 1
	v_cndmask_b32_e64 v24, v25, 1, s[0:1]
; %bb.246:
	s_or_b64 exec, exec, s[48:49]
	v_or_b32_e32 v26, 63, v0
	v_lshrrev_b32_e32 v25, 6, v0
	v_cmp_eq_u32_e64 s[0:1], v26, v0
	s_and_saveexec_b64 s[48:49], s[0:1]
	s_cbranch_execz .LBB1546_248
; %bb.247:
	v_lshlrev_b32_e32 v26, 2, v25
	ds_write_b16 v26, v22
	ds_write_b8 v26, v24 offset:2
.LBB1546_248:
	s_or_b64 exec, exec, s[48:49]
	v_cmp_gt_u32_e64 s[0:1], 4, v0
	s_waitcnt lgkmcnt(0)
	s_barrier
	s_and_saveexec_b64 s[48:49], s[0:1]
	s_cbranch_execz .LBB1546_254
; %bb.249:
	v_lshlrev_b32_e32 v26, 2, v0
	ds_read_b32 v27, v26
	v_and_b32_e32 v30, 3, v23
	v_cmp_ne_u32_e64 s[0:1], 0, v30
	s_waitcnt lgkmcnt(0)
	v_lshrrev_b32_e32 v29, 16, v27
	v_mov_b32_dpp v31, v27 row_shr:1 row_mask:0xf bank_mask:0xf
	v_mov_b32_e32 v28, v27
	s_and_saveexec_b64 s[50:51], s[0:1]
	s_cbranch_execz .LBB1546_251
; %bb.250:
	v_mov_b32_e32 v28, 0
	v_cmp_eq_u16_sdwa s[0:1], v29, v28 src0_sel:BYTE_0 src1_sel:DWORD
	v_and_b32_e32 v29, 0x10000, v27
	v_mov_b32_e32 v34, 1
	v_cndmask_b32_e64 v33, 0, v31, s[0:1]
	v_and_b32_sdwa v31, v31, v34 dst_sel:DWORD dst_unused:UNUSED_PAD src0_sel:WORD_1 src1_sel:DWORD
	v_cmp_ne_u32_e64 s[0:1], 0, v29
	v_and_b32_e32 v32, 0xff000000, v27
	v_add_u16_e32 v28, v33, v27
	v_cndmask_b32_e64 v29, v31, 1, s[0:1]
	v_lshlrev_b32_e32 v31, 16, v29
	v_add_u16_e32 v27, v33, v27
	v_or3_b32 v27, v31, v32, v27
.LBB1546_251:
	s_or_b64 exec, exec, s[50:51]
	s_nop 0
	v_mov_b32_dpp v31, v27 row_shr:2 row_mask:0xf bank_mask:0xf
	v_cmp_lt_u32_e64 s[0:1], 1, v30
	s_and_saveexec_b64 s[50:51], s[0:1]
; %bb.252:
	v_and_b32_e32 v29, 0xff0000, v27
	v_cmp_eq_u32_e64 s[0:1], 0, v29
	v_and_b32_e32 v27, 0x10000, v27
	s_nop 0
	v_cndmask_b32_e64 v29, 0, v31, s[0:1]
	v_add_u16_e32 v28, v29, v28
	v_mov_b32_e32 v29, 1
	v_and_b32_sdwa v29, v31, v29 dst_sel:DWORD dst_unused:UNUSED_PAD src0_sel:WORD_1 src1_sel:DWORD
	v_cmp_eq_u32_e64 s[0:1], 0, v27
	s_nop 1
	v_cndmask_b32_e64 v29, 1, v29, s[0:1]
; %bb.253:
	s_or_b64 exec, exec, s[50:51]
	ds_write_b16 v26, v28
	ds_write_b8 v26, v29 offset:2
.LBB1546_254:
	s_or_b64 exec, exec, s[48:49]
	v_cmp_lt_u32_e64 s[0:1], 63, v0
	v_mov_b32_e32 v27, 0
	s_waitcnt vmcnt(0)
	v_mov_b32_e32 v26, v47
	s_waitcnt lgkmcnt(0)
	s_barrier
	s_and_saveexec_b64 s[48:49], s[0:1]
	s_cbranch_execz .LBB1546_256
; %bb.255:
	v_lshl_add_u32 v25, v25, 2, -4
	ds_read_u8 v27, v25 offset:2
	ds_read_u16 v25, v25
	s_waitcnt lgkmcnt(1)
	v_cmp_eq_u16_e64 s[0:1], 0, v27
	s_nop 1
	v_cndmask_b32_e64 v26, 0, v47, s[0:1]
	s_waitcnt lgkmcnt(0)
	v_add_u16_e32 v26, v26, v25
.LBB1546_256:
	s_or_b64 exec, exec, s[48:49]
	v_cmp_eq_u16_e64 s[0:1], 0, v24
	v_and_b32_e32 v24, 1, v24
	v_lshlrev_b32_e32 v27, 16, v27
	v_cndmask_b32_e64 v25, 0, v26, s[0:1]
	v_mov_b32_e32 v28, 0x10000
	v_cmp_eq_u32_e64 s[0:1], 1, v24
	v_add_u16_e32 v22, v25, v22
	v_and_b32_e32 v25, 64, v23
	v_cndmask_b32_e64 v24, v27, v28, s[0:1]
	v_or_b32_e32 v22, v24, v22
	v_add_u32_e32 v24, -1, v23
	v_cmp_lt_i32_e64 s[0:1], v24, v25
	s_nop 1
	v_cndmask_b32_e64 v24, v24, v23, s[0:1]
	v_lshlrev_b32_e32 v24, 2, v24
	ds_bpermute_b32 v22, v24, v22
	v_cmp_eq_u32_e64 s[0:1], 0, v23
	v_and_b32_e32 v23, 0xff0000, v1
	s_waitcnt lgkmcnt(0)
	v_cndmask_b32_e64 v24, v22, v26, s[0:1]
	v_cndmask_b32_e64 v22, v24, v47, s[52:53]
	v_cmp_eq_u32_e64 s[0:1], 0, v23
	s_nop 1
	v_cndmask_b32_e64 v22, 0, v22, s[0:1]
	v_add_u16_e32 v22, v22, v1
	v_cndmask_b32_e32 v1, 0, v22, vcc
	v_add_u16_e32 v23, v1, v56
	v_cndmask_b32_e64 v1, 0, v23, s[4:5]
	v_add_u16_e32 v25, v1, v21
	v_cndmask_b32_e64 v1, 0, v25, s[6:7]
	;; [unrolled: 2-line block ×21, first 2 shown]
	s_and_saveexec_b64 s[0:1], s[52:53]
	s_cbranch_execz .LBB1546_258
; %bb.257:
	v_mov_b32_e32 v4, 0
	ds_read_u8 v2, v4 offset:14
	ds_read_u16 v5, v4 offset:12
	v_mov_b32_e32 v3, 2
	v_mov_b32_e32 v24, v47
	s_waitcnt lgkmcnt(1)
	v_cmp_eq_u32_e32 vcc, 0, v2
	v_lshlrev_b32_e32 v6, 16, v2
	s_nop 0
	v_cndmask_b32_e32 v2, 0, v47, vcc
	s_waitcnt lgkmcnt(0)
	v_add_u32_e32 v2, v2, v5
	v_or_b32_sdwa v2, v6, v2 dst_sel:DWORD dst_unused:UNUSED_PAD src0_sel:DWORD src1_sel:WORD_0
	global_store_dwordx2 v4, v[2:3], s[64:65] offset:512 sc1
.LBB1546_258:
	s_or_b64 exec, exec, s[0:1]
	v_add_u16_e32 v47, v1, v17
.LBB1546_259:
	s_add_u32 s0, s62, s54
	s_addc_u32 s1, s63, s55
	v_mul_u32_u24_e32 v1, 24, v0
	v_lshl_add_u64 v[2:3], s[0:1], 0, v[50:51]
	s_and_b64 vcc, exec, s[2:3]
	v_lshlrev_b32_e32 v8, 1, v1
	v_lshlrev_b32_e32 v4, 1, v0
	s_cbranch_vccz .LBB1546_307
; %bb.260:
	s_mov_b32 s0, 0x5040100
	v_perm_b32 v13, v31, v29, s0
	v_perm_b32 v12, v27, v26, s0
	;; [unrolled: 1-line block ×4, first 2 shown]
	s_barrier
	ds_write_b128 v8, v[10:13]
	v_perm_b32 v13, v41, v39, s0
	v_perm_b32 v12, v37, v36, s0
	;; [unrolled: 1-line block ×4, first 2 shown]
	ds_write_b128 v8, v[10:13] offset:16
	v_perm_b32 v13, v47, v46, s0
	v_perm_b32 v12, v45, v44, s0
	v_perm_b32 v11, v43, v42, s0
	v_perm_b32 v10, v40, v38, s0
	s_movk_i32 s0, 0xffd2
	v_mad_i32_i24 v5, v0, s0, v8
	ds_write_b128 v8, v[10:13] offset:32
	s_waitcnt lgkmcnt(0)
	s_barrier
	ds_read_u16 v54, v5 offset:512
	ds_read_u16 v53, v5 offset:1024
	;; [unrolled: 1-line block ×23, first 2 shown]
	s_add_i32 s33, s33, s66
	v_mov_b32_e32 v5, 0
	v_lshl_add_u64 v[6:7], v[2:3], 0, v[4:5]
	v_cmp_gt_u32_e32 vcc, s33, v0
	s_and_saveexec_b64 s[0:1], vcc
	s_cbranch_execz .LBB1546_262
; %bb.261:
	v_mul_i32_i24_e32 v55, 0xffffffd2, v0
	v_add_u32_e32 v55, v8, v55
	ds_read_u16 v55, v55
	s_waitcnt lgkmcnt(0)
	flat_store_short v[6:7], v55
.LBB1546_262:
	s_or_b64 exec, exec, s[0:1]
	v_or_b32_e32 v55, 0x100, v0
	v_cmp_gt_u32_e32 vcc, s33, v55
	s_and_saveexec_b64 s[0:1], vcc
	s_cbranch_execz .LBB1546_264
; %bb.263:
	s_waitcnt lgkmcnt(0)
	flat_store_short v[6:7], v54 offset:512
.LBB1546_264:
	s_or_b64 exec, exec, s[0:1]
	s_waitcnt lgkmcnt(0)
	v_or_b32_e32 v54, 0x200, v0
	v_cmp_gt_u32_e32 vcc, s33, v54
	s_and_saveexec_b64 s[0:1], vcc
	s_cbranch_execz .LBB1546_266
; %bb.265:
	flat_store_short v[6:7], v53 offset:1024
.LBB1546_266:
	s_or_b64 exec, exec, s[0:1]
	v_or_b32_e32 v53, 0x300, v0
	v_cmp_gt_u32_e32 vcc, s33, v53
	s_and_saveexec_b64 s[0:1], vcc
	s_cbranch_execz .LBB1546_268
; %bb.267:
	flat_store_short v[6:7], v52 offset:1536
.LBB1546_268:
	s_or_b64 exec, exec, s[0:1]
	;; [unrolled: 8-line block ×6, first 2 shown]
	v_or_b32_e32 v48, 0x800, v0
	v_cmp_gt_u32_e32 vcc, s33, v48
	s_and_saveexec_b64 s[0:1], vcc
	s_cbranch_execz .LBB1546_278
; %bb.277:
	v_add_co_u32_e32 v48, vcc, 0x1000, v6
	s_nop 1
	v_addc_co_u32_e32 v49, vcc, 0, v7, vcc
	flat_store_short v[48:49], v33
.LBB1546_278:
	s_or_b64 exec, exec, s[0:1]
	v_or_b32_e32 v33, 0x900, v0
	v_cmp_gt_u32_e32 vcc, s33, v33
	s_and_saveexec_b64 s[0:1], vcc
	s_cbranch_execz .LBB1546_280
; %bb.279:
	v_add_co_u32_e32 v48, vcc, 0x1000, v6
	s_nop 1
	v_addc_co_u32_e32 v49, vcc, 0, v7, vcc
	flat_store_short v[48:49], v32 offset:512
.LBB1546_280:
	s_or_b64 exec, exec, s[0:1]
	v_or_b32_e32 v32, 0xa00, v0
	v_cmp_gt_u32_e32 vcc, s33, v32
	s_and_saveexec_b64 s[0:1], vcc
	s_cbranch_execz .LBB1546_282
; %bb.281:
	v_add_co_u32_e32 v32, vcc, 0x1000, v6
	s_nop 1
	v_addc_co_u32_e32 v33, vcc, 0, v7, vcc
	flat_store_short v[32:33], v21 offset:1024
.LBB1546_282:
	;; [unrolled: 11-line block ×7, first 2 shown]
	s_or_b64 exec, exec, s[0:1]
	v_or_b32_e32 v16, 0x1000, v0
	v_cmp_gt_u32_e32 vcc, s33, v16
	s_and_saveexec_b64 s[0:1], vcc
	s_cbranch_execz .LBB1546_294
; %bb.293:
	v_add_co_u32_e32 v16, vcc, 0x2000, v6
	s_nop 1
	v_addc_co_u32_e32 v17, vcc, 0, v7, vcc
	flat_store_short v[16:17], v15
.LBB1546_294:
	s_or_b64 exec, exec, s[0:1]
	v_or_b32_e32 v15, 0x1100, v0
	v_cmp_gt_u32_e32 vcc, s33, v15
	s_and_saveexec_b64 s[0:1], vcc
	s_cbranch_execz .LBB1546_296
; %bb.295:
	v_add_co_u32_e32 v16, vcc, 0x2000, v6
	s_nop 1
	v_addc_co_u32_e32 v17, vcc, 0, v7, vcc
	flat_store_short v[16:17], v14 offset:512
.LBB1546_296:
	s_or_b64 exec, exec, s[0:1]
	v_or_b32_e32 v14, 0x1200, v0
	v_cmp_gt_u32_e32 vcc, s33, v14
	s_and_saveexec_b64 s[0:1], vcc
	s_cbranch_execz .LBB1546_298
; %bb.297:
	v_add_co_u32_e32 v14, vcc, 0x2000, v6
	s_nop 1
	v_addc_co_u32_e32 v15, vcc, 0, v7, vcc
	flat_store_short v[14:15], v13 offset:1024
.LBB1546_298:
	;; [unrolled: 11-line block ×6, first 2 shown]
	s_or_b64 exec, exec, s[0:1]
	v_mov_b32_e32 v1, v5
	v_or_b32_e32 v5, 0x1700, v0
	v_cmp_gt_u32_e64 s[0:1], s33, v5
	s_branch .LBB1546_309
.LBB1546_307:
	s_mov_b64 s[0:1], 0
                                        ; implicit-def: $vgpr9
	s_cbranch_execz .LBB1546_309
; %bb.308:
	s_mov_b32 s2, 0x5040100
	v_perm_b32 v13, v31, v29, s2
	v_perm_b32 v12, v27, v26, s2
	;; [unrolled: 1-line block ×4, first 2 shown]
	s_waitcnt lgkmcnt(0)
	s_barrier
	ds_write_b128 v8, v[10:13]
	v_perm_b32 v13, v41, v39, s2
	v_perm_b32 v12, v37, v36, s2
	;; [unrolled: 1-line block ×4, first 2 shown]
	ds_write_b128 v8, v[10:13] offset:16
	v_perm_b32 v13, v47, v46, s2
	v_perm_b32 v12, v45, v44, s2
	;; [unrolled: 1-line block ×4, first 2 shown]
	s_movk_i32 s2, 0xffd2
	v_mov_b32_e32 v1, 0
	v_mad_i32_i24 v5, v0, s2, v8
	ds_write_b128 v8, v[10:13] offset:32
	s_waitcnt lgkmcnt(0)
	s_barrier
	ds_read_u16 v6, v5
	ds_read_u16 v7, v5 offset:512
	ds_read_u16 v8, v5 offset:1024
	ds_read_u16 v10, v5 offset:1536
	ds_read_u16 v11, v5 offset:2048
	ds_read_u16 v12, v5 offset:2560
	ds_read_u16 v13, v5 offset:3072
	ds_read_u16 v14, v5 offset:3584
	ds_read_u16 v15, v5 offset:4096
	ds_read_u16 v16, v5 offset:4608
	ds_read_u16 v17, v5 offset:5120
	ds_read_u16 v18, v5 offset:5632
	ds_read_u16 v19, v5 offset:6144
	ds_read_u16 v20, v5 offset:6656
	ds_read_u16 v21, v5 offset:7168
	ds_read_u16 v22, v5 offset:7680
	ds_read_u16 v23, v5 offset:8192
	ds_read_u16 v24, v5 offset:8704
	ds_read_u16 v25, v5 offset:9216
	ds_read_u16 v26, v5 offset:9728
	ds_read_u16 v27, v5 offset:10240
	ds_read_u16 v28, v5 offset:10752
	ds_read_u16 v29, v5 offset:11264
	ds_read_u16 v9, v5 offset:11776
	v_mov_b32_e32 v5, v1
	v_lshl_add_u64 v[4:5], v[2:3], 0, v[4:5]
	s_movk_i32 s2, 0x1000
	s_waitcnt lgkmcnt(0)
	flat_store_short v[4:5], v6
	flat_store_short v[4:5], v7 offset:512
	flat_store_short v[4:5], v8 offset:1024
	;; [unrolled: 1-line block ×7, first 2 shown]
	v_add_co_u32_e32 v6, vcc, s2, v4
	s_or_b64 s[0:1], s[0:1], exec
	s_nop 0
	v_addc_co_u32_e32 v7, vcc, 0, v5, vcc
	v_add_co_u32_e32 v4, vcc, 0x2000, v4
	flat_store_short v[6:7], v15
	flat_store_short v[6:7], v16 offset:512
	flat_store_short v[6:7], v17 offset:1024
	flat_store_short v[6:7], v18 offset:1536
	flat_store_short v[6:7], v19 offset:2048
	flat_store_short v[6:7], v20 offset:2560
	flat_store_short v[6:7], v21 offset:3072
	flat_store_short v[6:7], v22 offset:3584
	v_addc_co_u32_e32 v5, vcc, 0, v5, vcc
	flat_store_short v[4:5], v23
	flat_store_short v[4:5], v24 offset:512
	flat_store_short v[4:5], v25 offset:1024
	;; [unrolled: 1-line block ×6, first 2 shown]
.LBB1546_309:
	s_and_saveexec_b64 s[2:3], s[0:1]
	s_cbranch_execz .LBB1546_311
; %bb.310:
	v_lshl_add_u64 v[0:1], v[0:1], 1, v[2:3]
	v_add_co_u32_e32 v0, vcc, 0x2000, v0
	s_nop 1
	v_addc_co_u32_e32 v1, vcc, 0, v1, vcc
	flat_store_short v[0:1], v9 offset:3584
	s_endpgm
.LBB1546_311:
	s_endpgm
	.section	.rodata,"a",@progbits
	.p2align	6, 0x0
	.amdhsa_kernel _ZN7rocprim17ROCPRIM_400000_NS6detail17trampoline_kernelINS0_14default_configENS1_27scan_by_key_config_selectorIitEEZZNS1_16scan_by_key_implILNS1_25lookback_scan_determinismE0ELb1ES3_N6thrust23THRUST_200600_302600_NS6detail15normal_iteratorINS9_10device_ptrIiEEEENSB_INSC_ItEEEESG_tNS9_4plusIvEENS9_8equal_toIvEEtEE10hipError_tPvRmT2_T3_T4_T5_mT6_T7_P12ihipStream_tbENKUlT_T0_E_clISt17integral_constantIbLb1EES11_EEDaSW_SX_EUlSW_E_NS1_11comp_targetILNS1_3genE5ELNS1_11target_archE942ELNS1_3gpuE9ELNS1_3repE0EEENS1_30default_config_static_selectorELNS0_4arch9wavefront6targetE1EEEvT1_
		.amdhsa_group_segment_fixed_size 26624
		.amdhsa_private_segment_fixed_size 0
		.amdhsa_kernarg_size 112
		.amdhsa_user_sgpr_count 2
		.amdhsa_user_sgpr_dispatch_ptr 0
		.amdhsa_user_sgpr_queue_ptr 0
		.amdhsa_user_sgpr_kernarg_segment_ptr 1
		.amdhsa_user_sgpr_dispatch_id 0
		.amdhsa_user_sgpr_kernarg_preload_length 0
		.amdhsa_user_sgpr_kernarg_preload_offset 0
		.amdhsa_user_sgpr_private_segment_size 0
		.amdhsa_uses_dynamic_stack 0
		.amdhsa_enable_private_segment 0
		.amdhsa_system_sgpr_workgroup_id_x 1
		.amdhsa_system_sgpr_workgroup_id_y 0
		.amdhsa_system_sgpr_workgroup_id_z 0
		.amdhsa_system_sgpr_workgroup_info 0
		.amdhsa_system_vgpr_workitem_id 0
		.amdhsa_next_free_vgpr 64
		.amdhsa_next_free_sgpr 75
		.amdhsa_accum_offset 64
		.amdhsa_reserve_vcc 1
		.amdhsa_float_round_mode_32 0
		.amdhsa_float_round_mode_16_64 0
		.amdhsa_float_denorm_mode_32 3
		.amdhsa_float_denorm_mode_16_64 3
		.amdhsa_dx10_clamp 1
		.amdhsa_ieee_mode 1
		.amdhsa_fp16_overflow 0
		.amdhsa_tg_split 0
		.amdhsa_exception_fp_ieee_invalid_op 0
		.amdhsa_exception_fp_denorm_src 0
		.amdhsa_exception_fp_ieee_div_zero 0
		.amdhsa_exception_fp_ieee_overflow 0
		.amdhsa_exception_fp_ieee_underflow 0
		.amdhsa_exception_fp_ieee_inexact 0
		.amdhsa_exception_int_div_zero 0
	.end_amdhsa_kernel
	.section	.text._ZN7rocprim17ROCPRIM_400000_NS6detail17trampoline_kernelINS0_14default_configENS1_27scan_by_key_config_selectorIitEEZZNS1_16scan_by_key_implILNS1_25lookback_scan_determinismE0ELb1ES3_N6thrust23THRUST_200600_302600_NS6detail15normal_iteratorINS9_10device_ptrIiEEEENSB_INSC_ItEEEESG_tNS9_4plusIvEENS9_8equal_toIvEEtEE10hipError_tPvRmT2_T3_T4_T5_mT6_T7_P12ihipStream_tbENKUlT_T0_E_clISt17integral_constantIbLb1EES11_EEDaSW_SX_EUlSW_E_NS1_11comp_targetILNS1_3genE5ELNS1_11target_archE942ELNS1_3gpuE9ELNS1_3repE0EEENS1_30default_config_static_selectorELNS0_4arch9wavefront6targetE1EEEvT1_,"axG",@progbits,_ZN7rocprim17ROCPRIM_400000_NS6detail17trampoline_kernelINS0_14default_configENS1_27scan_by_key_config_selectorIitEEZZNS1_16scan_by_key_implILNS1_25lookback_scan_determinismE0ELb1ES3_N6thrust23THRUST_200600_302600_NS6detail15normal_iteratorINS9_10device_ptrIiEEEENSB_INSC_ItEEEESG_tNS9_4plusIvEENS9_8equal_toIvEEtEE10hipError_tPvRmT2_T3_T4_T5_mT6_T7_P12ihipStream_tbENKUlT_T0_E_clISt17integral_constantIbLb1EES11_EEDaSW_SX_EUlSW_E_NS1_11comp_targetILNS1_3genE5ELNS1_11target_archE942ELNS1_3gpuE9ELNS1_3repE0EEENS1_30default_config_static_selectorELNS0_4arch9wavefront6targetE1EEEvT1_,comdat
.Lfunc_end1546:
	.size	_ZN7rocprim17ROCPRIM_400000_NS6detail17trampoline_kernelINS0_14default_configENS1_27scan_by_key_config_selectorIitEEZZNS1_16scan_by_key_implILNS1_25lookback_scan_determinismE0ELb1ES3_N6thrust23THRUST_200600_302600_NS6detail15normal_iteratorINS9_10device_ptrIiEEEENSB_INSC_ItEEEESG_tNS9_4plusIvEENS9_8equal_toIvEEtEE10hipError_tPvRmT2_T3_T4_T5_mT6_T7_P12ihipStream_tbENKUlT_T0_E_clISt17integral_constantIbLb1EES11_EEDaSW_SX_EUlSW_E_NS1_11comp_targetILNS1_3genE5ELNS1_11target_archE942ELNS1_3gpuE9ELNS1_3repE0EEENS1_30default_config_static_selectorELNS0_4arch9wavefront6targetE1EEEvT1_, .Lfunc_end1546-_ZN7rocprim17ROCPRIM_400000_NS6detail17trampoline_kernelINS0_14default_configENS1_27scan_by_key_config_selectorIitEEZZNS1_16scan_by_key_implILNS1_25lookback_scan_determinismE0ELb1ES3_N6thrust23THRUST_200600_302600_NS6detail15normal_iteratorINS9_10device_ptrIiEEEENSB_INSC_ItEEEESG_tNS9_4plusIvEENS9_8equal_toIvEEtEE10hipError_tPvRmT2_T3_T4_T5_mT6_T7_P12ihipStream_tbENKUlT_T0_E_clISt17integral_constantIbLb1EES11_EEDaSW_SX_EUlSW_E_NS1_11comp_targetILNS1_3genE5ELNS1_11target_archE942ELNS1_3gpuE9ELNS1_3repE0EEENS1_30default_config_static_selectorELNS0_4arch9wavefront6targetE1EEEvT1_
                                        ; -- End function
	.section	.AMDGPU.csdata,"",@progbits
; Kernel info:
; codeLenInByte = 16604
; NumSgprs: 81
; NumVgprs: 64
; NumAgprs: 0
; TotalNumVgprs: 64
; ScratchSize: 0
; MemoryBound: 0
; FloatMode: 240
; IeeeMode: 1
; LDSByteSize: 26624 bytes/workgroup (compile time only)
; SGPRBlocks: 10
; VGPRBlocks: 7
; NumSGPRsForWavesPerEU: 81
; NumVGPRsForWavesPerEU: 64
; AccumOffset: 64
; Occupancy: 2
; WaveLimiterHint : 1
; COMPUTE_PGM_RSRC2:SCRATCH_EN: 0
; COMPUTE_PGM_RSRC2:USER_SGPR: 2
; COMPUTE_PGM_RSRC2:TRAP_HANDLER: 0
; COMPUTE_PGM_RSRC2:TGID_X_EN: 1
; COMPUTE_PGM_RSRC2:TGID_Y_EN: 0
; COMPUTE_PGM_RSRC2:TGID_Z_EN: 0
; COMPUTE_PGM_RSRC2:TIDIG_COMP_CNT: 0
; COMPUTE_PGM_RSRC3_GFX90A:ACCUM_OFFSET: 15
; COMPUTE_PGM_RSRC3_GFX90A:TG_SPLIT: 0
	.section	.text._ZN7rocprim17ROCPRIM_400000_NS6detail17trampoline_kernelINS0_14default_configENS1_27scan_by_key_config_selectorIitEEZZNS1_16scan_by_key_implILNS1_25lookback_scan_determinismE0ELb1ES3_N6thrust23THRUST_200600_302600_NS6detail15normal_iteratorINS9_10device_ptrIiEEEENSB_INSC_ItEEEESG_tNS9_4plusIvEENS9_8equal_toIvEEtEE10hipError_tPvRmT2_T3_T4_T5_mT6_T7_P12ihipStream_tbENKUlT_T0_E_clISt17integral_constantIbLb1EES11_EEDaSW_SX_EUlSW_E_NS1_11comp_targetILNS1_3genE4ELNS1_11target_archE910ELNS1_3gpuE8ELNS1_3repE0EEENS1_30default_config_static_selectorELNS0_4arch9wavefront6targetE1EEEvT1_,"axG",@progbits,_ZN7rocprim17ROCPRIM_400000_NS6detail17trampoline_kernelINS0_14default_configENS1_27scan_by_key_config_selectorIitEEZZNS1_16scan_by_key_implILNS1_25lookback_scan_determinismE0ELb1ES3_N6thrust23THRUST_200600_302600_NS6detail15normal_iteratorINS9_10device_ptrIiEEEENSB_INSC_ItEEEESG_tNS9_4plusIvEENS9_8equal_toIvEEtEE10hipError_tPvRmT2_T3_T4_T5_mT6_T7_P12ihipStream_tbENKUlT_T0_E_clISt17integral_constantIbLb1EES11_EEDaSW_SX_EUlSW_E_NS1_11comp_targetILNS1_3genE4ELNS1_11target_archE910ELNS1_3gpuE8ELNS1_3repE0EEENS1_30default_config_static_selectorELNS0_4arch9wavefront6targetE1EEEvT1_,comdat
	.protected	_ZN7rocprim17ROCPRIM_400000_NS6detail17trampoline_kernelINS0_14default_configENS1_27scan_by_key_config_selectorIitEEZZNS1_16scan_by_key_implILNS1_25lookback_scan_determinismE0ELb1ES3_N6thrust23THRUST_200600_302600_NS6detail15normal_iteratorINS9_10device_ptrIiEEEENSB_INSC_ItEEEESG_tNS9_4plusIvEENS9_8equal_toIvEEtEE10hipError_tPvRmT2_T3_T4_T5_mT6_T7_P12ihipStream_tbENKUlT_T0_E_clISt17integral_constantIbLb1EES11_EEDaSW_SX_EUlSW_E_NS1_11comp_targetILNS1_3genE4ELNS1_11target_archE910ELNS1_3gpuE8ELNS1_3repE0EEENS1_30default_config_static_selectorELNS0_4arch9wavefront6targetE1EEEvT1_ ; -- Begin function _ZN7rocprim17ROCPRIM_400000_NS6detail17trampoline_kernelINS0_14default_configENS1_27scan_by_key_config_selectorIitEEZZNS1_16scan_by_key_implILNS1_25lookback_scan_determinismE0ELb1ES3_N6thrust23THRUST_200600_302600_NS6detail15normal_iteratorINS9_10device_ptrIiEEEENSB_INSC_ItEEEESG_tNS9_4plusIvEENS9_8equal_toIvEEtEE10hipError_tPvRmT2_T3_T4_T5_mT6_T7_P12ihipStream_tbENKUlT_T0_E_clISt17integral_constantIbLb1EES11_EEDaSW_SX_EUlSW_E_NS1_11comp_targetILNS1_3genE4ELNS1_11target_archE910ELNS1_3gpuE8ELNS1_3repE0EEENS1_30default_config_static_selectorELNS0_4arch9wavefront6targetE1EEEvT1_
	.globl	_ZN7rocprim17ROCPRIM_400000_NS6detail17trampoline_kernelINS0_14default_configENS1_27scan_by_key_config_selectorIitEEZZNS1_16scan_by_key_implILNS1_25lookback_scan_determinismE0ELb1ES3_N6thrust23THRUST_200600_302600_NS6detail15normal_iteratorINS9_10device_ptrIiEEEENSB_INSC_ItEEEESG_tNS9_4plusIvEENS9_8equal_toIvEEtEE10hipError_tPvRmT2_T3_T4_T5_mT6_T7_P12ihipStream_tbENKUlT_T0_E_clISt17integral_constantIbLb1EES11_EEDaSW_SX_EUlSW_E_NS1_11comp_targetILNS1_3genE4ELNS1_11target_archE910ELNS1_3gpuE8ELNS1_3repE0EEENS1_30default_config_static_selectorELNS0_4arch9wavefront6targetE1EEEvT1_
	.p2align	8
	.type	_ZN7rocprim17ROCPRIM_400000_NS6detail17trampoline_kernelINS0_14default_configENS1_27scan_by_key_config_selectorIitEEZZNS1_16scan_by_key_implILNS1_25lookback_scan_determinismE0ELb1ES3_N6thrust23THRUST_200600_302600_NS6detail15normal_iteratorINS9_10device_ptrIiEEEENSB_INSC_ItEEEESG_tNS9_4plusIvEENS9_8equal_toIvEEtEE10hipError_tPvRmT2_T3_T4_T5_mT6_T7_P12ihipStream_tbENKUlT_T0_E_clISt17integral_constantIbLb1EES11_EEDaSW_SX_EUlSW_E_NS1_11comp_targetILNS1_3genE4ELNS1_11target_archE910ELNS1_3gpuE8ELNS1_3repE0EEENS1_30default_config_static_selectorELNS0_4arch9wavefront6targetE1EEEvT1_,@function
_ZN7rocprim17ROCPRIM_400000_NS6detail17trampoline_kernelINS0_14default_configENS1_27scan_by_key_config_selectorIitEEZZNS1_16scan_by_key_implILNS1_25lookback_scan_determinismE0ELb1ES3_N6thrust23THRUST_200600_302600_NS6detail15normal_iteratorINS9_10device_ptrIiEEEENSB_INSC_ItEEEESG_tNS9_4plusIvEENS9_8equal_toIvEEtEE10hipError_tPvRmT2_T3_T4_T5_mT6_T7_P12ihipStream_tbENKUlT_T0_E_clISt17integral_constantIbLb1EES11_EEDaSW_SX_EUlSW_E_NS1_11comp_targetILNS1_3genE4ELNS1_11target_archE910ELNS1_3gpuE8ELNS1_3repE0EEENS1_30default_config_static_selectorELNS0_4arch9wavefront6targetE1EEEvT1_: ; @_ZN7rocprim17ROCPRIM_400000_NS6detail17trampoline_kernelINS0_14default_configENS1_27scan_by_key_config_selectorIitEEZZNS1_16scan_by_key_implILNS1_25lookback_scan_determinismE0ELb1ES3_N6thrust23THRUST_200600_302600_NS6detail15normal_iteratorINS9_10device_ptrIiEEEENSB_INSC_ItEEEESG_tNS9_4plusIvEENS9_8equal_toIvEEtEE10hipError_tPvRmT2_T3_T4_T5_mT6_T7_P12ihipStream_tbENKUlT_T0_E_clISt17integral_constantIbLb1EES11_EEDaSW_SX_EUlSW_E_NS1_11comp_targetILNS1_3genE4ELNS1_11target_archE910ELNS1_3gpuE8ELNS1_3repE0EEENS1_30default_config_static_selectorELNS0_4arch9wavefront6targetE1EEEvT1_
; %bb.0:
	.section	.rodata,"a",@progbits
	.p2align	6, 0x0
	.amdhsa_kernel _ZN7rocprim17ROCPRIM_400000_NS6detail17trampoline_kernelINS0_14default_configENS1_27scan_by_key_config_selectorIitEEZZNS1_16scan_by_key_implILNS1_25lookback_scan_determinismE0ELb1ES3_N6thrust23THRUST_200600_302600_NS6detail15normal_iteratorINS9_10device_ptrIiEEEENSB_INSC_ItEEEESG_tNS9_4plusIvEENS9_8equal_toIvEEtEE10hipError_tPvRmT2_T3_T4_T5_mT6_T7_P12ihipStream_tbENKUlT_T0_E_clISt17integral_constantIbLb1EES11_EEDaSW_SX_EUlSW_E_NS1_11comp_targetILNS1_3genE4ELNS1_11target_archE910ELNS1_3gpuE8ELNS1_3repE0EEENS1_30default_config_static_selectorELNS0_4arch9wavefront6targetE1EEEvT1_
		.amdhsa_group_segment_fixed_size 0
		.amdhsa_private_segment_fixed_size 0
		.amdhsa_kernarg_size 112
		.amdhsa_user_sgpr_count 2
		.amdhsa_user_sgpr_dispatch_ptr 0
		.amdhsa_user_sgpr_queue_ptr 0
		.amdhsa_user_sgpr_kernarg_segment_ptr 1
		.amdhsa_user_sgpr_dispatch_id 0
		.amdhsa_user_sgpr_kernarg_preload_length 0
		.amdhsa_user_sgpr_kernarg_preload_offset 0
		.amdhsa_user_sgpr_private_segment_size 0
		.amdhsa_uses_dynamic_stack 0
		.amdhsa_enable_private_segment 0
		.amdhsa_system_sgpr_workgroup_id_x 1
		.amdhsa_system_sgpr_workgroup_id_y 0
		.amdhsa_system_sgpr_workgroup_id_z 0
		.amdhsa_system_sgpr_workgroup_info 0
		.amdhsa_system_vgpr_workitem_id 0
		.amdhsa_next_free_vgpr 1
		.amdhsa_next_free_sgpr 0
		.amdhsa_accum_offset 4
		.amdhsa_reserve_vcc 0
		.amdhsa_float_round_mode_32 0
		.amdhsa_float_round_mode_16_64 0
		.amdhsa_float_denorm_mode_32 3
		.amdhsa_float_denorm_mode_16_64 3
		.amdhsa_dx10_clamp 1
		.amdhsa_ieee_mode 1
		.amdhsa_fp16_overflow 0
		.amdhsa_tg_split 0
		.amdhsa_exception_fp_ieee_invalid_op 0
		.amdhsa_exception_fp_denorm_src 0
		.amdhsa_exception_fp_ieee_div_zero 0
		.amdhsa_exception_fp_ieee_overflow 0
		.amdhsa_exception_fp_ieee_underflow 0
		.amdhsa_exception_fp_ieee_inexact 0
		.amdhsa_exception_int_div_zero 0
	.end_amdhsa_kernel
	.section	.text._ZN7rocprim17ROCPRIM_400000_NS6detail17trampoline_kernelINS0_14default_configENS1_27scan_by_key_config_selectorIitEEZZNS1_16scan_by_key_implILNS1_25lookback_scan_determinismE0ELb1ES3_N6thrust23THRUST_200600_302600_NS6detail15normal_iteratorINS9_10device_ptrIiEEEENSB_INSC_ItEEEESG_tNS9_4plusIvEENS9_8equal_toIvEEtEE10hipError_tPvRmT2_T3_T4_T5_mT6_T7_P12ihipStream_tbENKUlT_T0_E_clISt17integral_constantIbLb1EES11_EEDaSW_SX_EUlSW_E_NS1_11comp_targetILNS1_3genE4ELNS1_11target_archE910ELNS1_3gpuE8ELNS1_3repE0EEENS1_30default_config_static_selectorELNS0_4arch9wavefront6targetE1EEEvT1_,"axG",@progbits,_ZN7rocprim17ROCPRIM_400000_NS6detail17trampoline_kernelINS0_14default_configENS1_27scan_by_key_config_selectorIitEEZZNS1_16scan_by_key_implILNS1_25lookback_scan_determinismE0ELb1ES3_N6thrust23THRUST_200600_302600_NS6detail15normal_iteratorINS9_10device_ptrIiEEEENSB_INSC_ItEEEESG_tNS9_4plusIvEENS9_8equal_toIvEEtEE10hipError_tPvRmT2_T3_T4_T5_mT6_T7_P12ihipStream_tbENKUlT_T0_E_clISt17integral_constantIbLb1EES11_EEDaSW_SX_EUlSW_E_NS1_11comp_targetILNS1_3genE4ELNS1_11target_archE910ELNS1_3gpuE8ELNS1_3repE0EEENS1_30default_config_static_selectorELNS0_4arch9wavefront6targetE1EEEvT1_,comdat
.Lfunc_end1547:
	.size	_ZN7rocprim17ROCPRIM_400000_NS6detail17trampoline_kernelINS0_14default_configENS1_27scan_by_key_config_selectorIitEEZZNS1_16scan_by_key_implILNS1_25lookback_scan_determinismE0ELb1ES3_N6thrust23THRUST_200600_302600_NS6detail15normal_iteratorINS9_10device_ptrIiEEEENSB_INSC_ItEEEESG_tNS9_4plusIvEENS9_8equal_toIvEEtEE10hipError_tPvRmT2_T3_T4_T5_mT6_T7_P12ihipStream_tbENKUlT_T0_E_clISt17integral_constantIbLb1EES11_EEDaSW_SX_EUlSW_E_NS1_11comp_targetILNS1_3genE4ELNS1_11target_archE910ELNS1_3gpuE8ELNS1_3repE0EEENS1_30default_config_static_selectorELNS0_4arch9wavefront6targetE1EEEvT1_, .Lfunc_end1547-_ZN7rocprim17ROCPRIM_400000_NS6detail17trampoline_kernelINS0_14default_configENS1_27scan_by_key_config_selectorIitEEZZNS1_16scan_by_key_implILNS1_25lookback_scan_determinismE0ELb1ES3_N6thrust23THRUST_200600_302600_NS6detail15normal_iteratorINS9_10device_ptrIiEEEENSB_INSC_ItEEEESG_tNS9_4plusIvEENS9_8equal_toIvEEtEE10hipError_tPvRmT2_T3_T4_T5_mT6_T7_P12ihipStream_tbENKUlT_T0_E_clISt17integral_constantIbLb1EES11_EEDaSW_SX_EUlSW_E_NS1_11comp_targetILNS1_3genE4ELNS1_11target_archE910ELNS1_3gpuE8ELNS1_3repE0EEENS1_30default_config_static_selectorELNS0_4arch9wavefront6targetE1EEEvT1_
                                        ; -- End function
	.section	.AMDGPU.csdata,"",@progbits
; Kernel info:
; codeLenInByte = 0
; NumSgprs: 6
; NumVgprs: 0
; NumAgprs: 0
; TotalNumVgprs: 0
; ScratchSize: 0
; MemoryBound: 0
; FloatMode: 240
; IeeeMode: 1
; LDSByteSize: 0 bytes/workgroup (compile time only)
; SGPRBlocks: 0
; VGPRBlocks: 0
; NumSGPRsForWavesPerEU: 6
; NumVGPRsForWavesPerEU: 1
; AccumOffset: 4
; Occupancy: 8
; WaveLimiterHint : 0
; COMPUTE_PGM_RSRC2:SCRATCH_EN: 0
; COMPUTE_PGM_RSRC2:USER_SGPR: 2
; COMPUTE_PGM_RSRC2:TRAP_HANDLER: 0
; COMPUTE_PGM_RSRC2:TGID_X_EN: 1
; COMPUTE_PGM_RSRC2:TGID_Y_EN: 0
; COMPUTE_PGM_RSRC2:TGID_Z_EN: 0
; COMPUTE_PGM_RSRC2:TIDIG_COMP_CNT: 0
; COMPUTE_PGM_RSRC3_GFX90A:ACCUM_OFFSET: 0
; COMPUTE_PGM_RSRC3_GFX90A:TG_SPLIT: 0
	.section	.text._ZN7rocprim17ROCPRIM_400000_NS6detail17trampoline_kernelINS0_14default_configENS1_27scan_by_key_config_selectorIitEEZZNS1_16scan_by_key_implILNS1_25lookback_scan_determinismE0ELb1ES3_N6thrust23THRUST_200600_302600_NS6detail15normal_iteratorINS9_10device_ptrIiEEEENSB_INSC_ItEEEESG_tNS9_4plusIvEENS9_8equal_toIvEEtEE10hipError_tPvRmT2_T3_T4_T5_mT6_T7_P12ihipStream_tbENKUlT_T0_E_clISt17integral_constantIbLb1EES11_EEDaSW_SX_EUlSW_E_NS1_11comp_targetILNS1_3genE3ELNS1_11target_archE908ELNS1_3gpuE7ELNS1_3repE0EEENS1_30default_config_static_selectorELNS0_4arch9wavefront6targetE1EEEvT1_,"axG",@progbits,_ZN7rocprim17ROCPRIM_400000_NS6detail17trampoline_kernelINS0_14default_configENS1_27scan_by_key_config_selectorIitEEZZNS1_16scan_by_key_implILNS1_25lookback_scan_determinismE0ELb1ES3_N6thrust23THRUST_200600_302600_NS6detail15normal_iteratorINS9_10device_ptrIiEEEENSB_INSC_ItEEEESG_tNS9_4plusIvEENS9_8equal_toIvEEtEE10hipError_tPvRmT2_T3_T4_T5_mT6_T7_P12ihipStream_tbENKUlT_T0_E_clISt17integral_constantIbLb1EES11_EEDaSW_SX_EUlSW_E_NS1_11comp_targetILNS1_3genE3ELNS1_11target_archE908ELNS1_3gpuE7ELNS1_3repE0EEENS1_30default_config_static_selectorELNS0_4arch9wavefront6targetE1EEEvT1_,comdat
	.protected	_ZN7rocprim17ROCPRIM_400000_NS6detail17trampoline_kernelINS0_14default_configENS1_27scan_by_key_config_selectorIitEEZZNS1_16scan_by_key_implILNS1_25lookback_scan_determinismE0ELb1ES3_N6thrust23THRUST_200600_302600_NS6detail15normal_iteratorINS9_10device_ptrIiEEEENSB_INSC_ItEEEESG_tNS9_4plusIvEENS9_8equal_toIvEEtEE10hipError_tPvRmT2_T3_T4_T5_mT6_T7_P12ihipStream_tbENKUlT_T0_E_clISt17integral_constantIbLb1EES11_EEDaSW_SX_EUlSW_E_NS1_11comp_targetILNS1_3genE3ELNS1_11target_archE908ELNS1_3gpuE7ELNS1_3repE0EEENS1_30default_config_static_selectorELNS0_4arch9wavefront6targetE1EEEvT1_ ; -- Begin function _ZN7rocprim17ROCPRIM_400000_NS6detail17trampoline_kernelINS0_14default_configENS1_27scan_by_key_config_selectorIitEEZZNS1_16scan_by_key_implILNS1_25lookback_scan_determinismE0ELb1ES3_N6thrust23THRUST_200600_302600_NS6detail15normal_iteratorINS9_10device_ptrIiEEEENSB_INSC_ItEEEESG_tNS9_4plusIvEENS9_8equal_toIvEEtEE10hipError_tPvRmT2_T3_T4_T5_mT6_T7_P12ihipStream_tbENKUlT_T0_E_clISt17integral_constantIbLb1EES11_EEDaSW_SX_EUlSW_E_NS1_11comp_targetILNS1_3genE3ELNS1_11target_archE908ELNS1_3gpuE7ELNS1_3repE0EEENS1_30default_config_static_selectorELNS0_4arch9wavefront6targetE1EEEvT1_
	.globl	_ZN7rocprim17ROCPRIM_400000_NS6detail17trampoline_kernelINS0_14default_configENS1_27scan_by_key_config_selectorIitEEZZNS1_16scan_by_key_implILNS1_25lookback_scan_determinismE0ELb1ES3_N6thrust23THRUST_200600_302600_NS6detail15normal_iteratorINS9_10device_ptrIiEEEENSB_INSC_ItEEEESG_tNS9_4plusIvEENS9_8equal_toIvEEtEE10hipError_tPvRmT2_T3_T4_T5_mT6_T7_P12ihipStream_tbENKUlT_T0_E_clISt17integral_constantIbLb1EES11_EEDaSW_SX_EUlSW_E_NS1_11comp_targetILNS1_3genE3ELNS1_11target_archE908ELNS1_3gpuE7ELNS1_3repE0EEENS1_30default_config_static_selectorELNS0_4arch9wavefront6targetE1EEEvT1_
	.p2align	8
	.type	_ZN7rocprim17ROCPRIM_400000_NS6detail17trampoline_kernelINS0_14default_configENS1_27scan_by_key_config_selectorIitEEZZNS1_16scan_by_key_implILNS1_25lookback_scan_determinismE0ELb1ES3_N6thrust23THRUST_200600_302600_NS6detail15normal_iteratorINS9_10device_ptrIiEEEENSB_INSC_ItEEEESG_tNS9_4plusIvEENS9_8equal_toIvEEtEE10hipError_tPvRmT2_T3_T4_T5_mT6_T7_P12ihipStream_tbENKUlT_T0_E_clISt17integral_constantIbLb1EES11_EEDaSW_SX_EUlSW_E_NS1_11comp_targetILNS1_3genE3ELNS1_11target_archE908ELNS1_3gpuE7ELNS1_3repE0EEENS1_30default_config_static_selectorELNS0_4arch9wavefront6targetE1EEEvT1_,@function
_ZN7rocprim17ROCPRIM_400000_NS6detail17trampoline_kernelINS0_14default_configENS1_27scan_by_key_config_selectorIitEEZZNS1_16scan_by_key_implILNS1_25lookback_scan_determinismE0ELb1ES3_N6thrust23THRUST_200600_302600_NS6detail15normal_iteratorINS9_10device_ptrIiEEEENSB_INSC_ItEEEESG_tNS9_4plusIvEENS9_8equal_toIvEEtEE10hipError_tPvRmT2_T3_T4_T5_mT6_T7_P12ihipStream_tbENKUlT_T0_E_clISt17integral_constantIbLb1EES11_EEDaSW_SX_EUlSW_E_NS1_11comp_targetILNS1_3genE3ELNS1_11target_archE908ELNS1_3gpuE7ELNS1_3repE0EEENS1_30default_config_static_selectorELNS0_4arch9wavefront6targetE1EEEvT1_: ; @_ZN7rocprim17ROCPRIM_400000_NS6detail17trampoline_kernelINS0_14default_configENS1_27scan_by_key_config_selectorIitEEZZNS1_16scan_by_key_implILNS1_25lookback_scan_determinismE0ELb1ES3_N6thrust23THRUST_200600_302600_NS6detail15normal_iteratorINS9_10device_ptrIiEEEENSB_INSC_ItEEEESG_tNS9_4plusIvEENS9_8equal_toIvEEtEE10hipError_tPvRmT2_T3_T4_T5_mT6_T7_P12ihipStream_tbENKUlT_T0_E_clISt17integral_constantIbLb1EES11_EEDaSW_SX_EUlSW_E_NS1_11comp_targetILNS1_3genE3ELNS1_11target_archE908ELNS1_3gpuE7ELNS1_3repE0EEENS1_30default_config_static_selectorELNS0_4arch9wavefront6targetE1EEEvT1_
; %bb.0:
	.section	.rodata,"a",@progbits
	.p2align	6, 0x0
	.amdhsa_kernel _ZN7rocprim17ROCPRIM_400000_NS6detail17trampoline_kernelINS0_14default_configENS1_27scan_by_key_config_selectorIitEEZZNS1_16scan_by_key_implILNS1_25lookback_scan_determinismE0ELb1ES3_N6thrust23THRUST_200600_302600_NS6detail15normal_iteratorINS9_10device_ptrIiEEEENSB_INSC_ItEEEESG_tNS9_4plusIvEENS9_8equal_toIvEEtEE10hipError_tPvRmT2_T3_T4_T5_mT6_T7_P12ihipStream_tbENKUlT_T0_E_clISt17integral_constantIbLb1EES11_EEDaSW_SX_EUlSW_E_NS1_11comp_targetILNS1_3genE3ELNS1_11target_archE908ELNS1_3gpuE7ELNS1_3repE0EEENS1_30default_config_static_selectorELNS0_4arch9wavefront6targetE1EEEvT1_
		.amdhsa_group_segment_fixed_size 0
		.amdhsa_private_segment_fixed_size 0
		.amdhsa_kernarg_size 112
		.amdhsa_user_sgpr_count 2
		.amdhsa_user_sgpr_dispatch_ptr 0
		.amdhsa_user_sgpr_queue_ptr 0
		.amdhsa_user_sgpr_kernarg_segment_ptr 1
		.amdhsa_user_sgpr_dispatch_id 0
		.amdhsa_user_sgpr_kernarg_preload_length 0
		.amdhsa_user_sgpr_kernarg_preload_offset 0
		.amdhsa_user_sgpr_private_segment_size 0
		.amdhsa_uses_dynamic_stack 0
		.amdhsa_enable_private_segment 0
		.amdhsa_system_sgpr_workgroup_id_x 1
		.amdhsa_system_sgpr_workgroup_id_y 0
		.amdhsa_system_sgpr_workgroup_id_z 0
		.amdhsa_system_sgpr_workgroup_info 0
		.amdhsa_system_vgpr_workitem_id 0
		.amdhsa_next_free_vgpr 1
		.amdhsa_next_free_sgpr 0
		.amdhsa_accum_offset 4
		.amdhsa_reserve_vcc 0
		.amdhsa_float_round_mode_32 0
		.amdhsa_float_round_mode_16_64 0
		.amdhsa_float_denorm_mode_32 3
		.amdhsa_float_denorm_mode_16_64 3
		.amdhsa_dx10_clamp 1
		.amdhsa_ieee_mode 1
		.amdhsa_fp16_overflow 0
		.amdhsa_tg_split 0
		.amdhsa_exception_fp_ieee_invalid_op 0
		.amdhsa_exception_fp_denorm_src 0
		.amdhsa_exception_fp_ieee_div_zero 0
		.amdhsa_exception_fp_ieee_overflow 0
		.amdhsa_exception_fp_ieee_underflow 0
		.amdhsa_exception_fp_ieee_inexact 0
		.amdhsa_exception_int_div_zero 0
	.end_amdhsa_kernel
	.section	.text._ZN7rocprim17ROCPRIM_400000_NS6detail17trampoline_kernelINS0_14default_configENS1_27scan_by_key_config_selectorIitEEZZNS1_16scan_by_key_implILNS1_25lookback_scan_determinismE0ELb1ES3_N6thrust23THRUST_200600_302600_NS6detail15normal_iteratorINS9_10device_ptrIiEEEENSB_INSC_ItEEEESG_tNS9_4plusIvEENS9_8equal_toIvEEtEE10hipError_tPvRmT2_T3_T4_T5_mT6_T7_P12ihipStream_tbENKUlT_T0_E_clISt17integral_constantIbLb1EES11_EEDaSW_SX_EUlSW_E_NS1_11comp_targetILNS1_3genE3ELNS1_11target_archE908ELNS1_3gpuE7ELNS1_3repE0EEENS1_30default_config_static_selectorELNS0_4arch9wavefront6targetE1EEEvT1_,"axG",@progbits,_ZN7rocprim17ROCPRIM_400000_NS6detail17trampoline_kernelINS0_14default_configENS1_27scan_by_key_config_selectorIitEEZZNS1_16scan_by_key_implILNS1_25lookback_scan_determinismE0ELb1ES3_N6thrust23THRUST_200600_302600_NS6detail15normal_iteratorINS9_10device_ptrIiEEEENSB_INSC_ItEEEESG_tNS9_4plusIvEENS9_8equal_toIvEEtEE10hipError_tPvRmT2_T3_T4_T5_mT6_T7_P12ihipStream_tbENKUlT_T0_E_clISt17integral_constantIbLb1EES11_EEDaSW_SX_EUlSW_E_NS1_11comp_targetILNS1_3genE3ELNS1_11target_archE908ELNS1_3gpuE7ELNS1_3repE0EEENS1_30default_config_static_selectorELNS0_4arch9wavefront6targetE1EEEvT1_,comdat
.Lfunc_end1548:
	.size	_ZN7rocprim17ROCPRIM_400000_NS6detail17trampoline_kernelINS0_14default_configENS1_27scan_by_key_config_selectorIitEEZZNS1_16scan_by_key_implILNS1_25lookback_scan_determinismE0ELb1ES3_N6thrust23THRUST_200600_302600_NS6detail15normal_iteratorINS9_10device_ptrIiEEEENSB_INSC_ItEEEESG_tNS9_4plusIvEENS9_8equal_toIvEEtEE10hipError_tPvRmT2_T3_T4_T5_mT6_T7_P12ihipStream_tbENKUlT_T0_E_clISt17integral_constantIbLb1EES11_EEDaSW_SX_EUlSW_E_NS1_11comp_targetILNS1_3genE3ELNS1_11target_archE908ELNS1_3gpuE7ELNS1_3repE0EEENS1_30default_config_static_selectorELNS0_4arch9wavefront6targetE1EEEvT1_, .Lfunc_end1548-_ZN7rocprim17ROCPRIM_400000_NS6detail17trampoline_kernelINS0_14default_configENS1_27scan_by_key_config_selectorIitEEZZNS1_16scan_by_key_implILNS1_25lookback_scan_determinismE0ELb1ES3_N6thrust23THRUST_200600_302600_NS6detail15normal_iteratorINS9_10device_ptrIiEEEENSB_INSC_ItEEEESG_tNS9_4plusIvEENS9_8equal_toIvEEtEE10hipError_tPvRmT2_T3_T4_T5_mT6_T7_P12ihipStream_tbENKUlT_T0_E_clISt17integral_constantIbLb1EES11_EEDaSW_SX_EUlSW_E_NS1_11comp_targetILNS1_3genE3ELNS1_11target_archE908ELNS1_3gpuE7ELNS1_3repE0EEENS1_30default_config_static_selectorELNS0_4arch9wavefront6targetE1EEEvT1_
                                        ; -- End function
	.section	.AMDGPU.csdata,"",@progbits
; Kernel info:
; codeLenInByte = 0
; NumSgprs: 6
; NumVgprs: 0
; NumAgprs: 0
; TotalNumVgprs: 0
; ScratchSize: 0
; MemoryBound: 0
; FloatMode: 240
; IeeeMode: 1
; LDSByteSize: 0 bytes/workgroup (compile time only)
; SGPRBlocks: 0
; VGPRBlocks: 0
; NumSGPRsForWavesPerEU: 6
; NumVGPRsForWavesPerEU: 1
; AccumOffset: 4
; Occupancy: 8
; WaveLimiterHint : 0
; COMPUTE_PGM_RSRC2:SCRATCH_EN: 0
; COMPUTE_PGM_RSRC2:USER_SGPR: 2
; COMPUTE_PGM_RSRC2:TRAP_HANDLER: 0
; COMPUTE_PGM_RSRC2:TGID_X_EN: 1
; COMPUTE_PGM_RSRC2:TGID_Y_EN: 0
; COMPUTE_PGM_RSRC2:TGID_Z_EN: 0
; COMPUTE_PGM_RSRC2:TIDIG_COMP_CNT: 0
; COMPUTE_PGM_RSRC3_GFX90A:ACCUM_OFFSET: 0
; COMPUTE_PGM_RSRC3_GFX90A:TG_SPLIT: 0
	.section	.text._ZN7rocprim17ROCPRIM_400000_NS6detail17trampoline_kernelINS0_14default_configENS1_27scan_by_key_config_selectorIitEEZZNS1_16scan_by_key_implILNS1_25lookback_scan_determinismE0ELb1ES3_N6thrust23THRUST_200600_302600_NS6detail15normal_iteratorINS9_10device_ptrIiEEEENSB_INSC_ItEEEESG_tNS9_4plusIvEENS9_8equal_toIvEEtEE10hipError_tPvRmT2_T3_T4_T5_mT6_T7_P12ihipStream_tbENKUlT_T0_E_clISt17integral_constantIbLb1EES11_EEDaSW_SX_EUlSW_E_NS1_11comp_targetILNS1_3genE2ELNS1_11target_archE906ELNS1_3gpuE6ELNS1_3repE0EEENS1_30default_config_static_selectorELNS0_4arch9wavefront6targetE1EEEvT1_,"axG",@progbits,_ZN7rocprim17ROCPRIM_400000_NS6detail17trampoline_kernelINS0_14default_configENS1_27scan_by_key_config_selectorIitEEZZNS1_16scan_by_key_implILNS1_25lookback_scan_determinismE0ELb1ES3_N6thrust23THRUST_200600_302600_NS6detail15normal_iteratorINS9_10device_ptrIiEEEENSB_INSC_ItEEEESG_tNS9_4plusIvEENS9_8equal_toIvEEtEE10hipError_tPvRmT2_T3_T4_T5_mT6_T7_P12ihipStream_tbENKUlT_T0_E_clISt17integral_constantIbLb1EES11_EEDaSW_SX_EUlSW_E_NS1_11comp_targetILNS1_3genE2ELNS1_11target_archE906ELNS1_3gpuE6ELNS1_3repE0EEENS1_30default_config_static_selectorELNS0_4arch9wavefront6targetE1EEEvT1_,comdat
	.protected	_ZN7rocprim17ROCPRIM_400000_NS6detail17trampoline_kernelINS0_14default_configENS1_27scan_by_key_config_selectorIitEEZZNS1_16scan_by_key_implILNS1_25lookback_scan_determinismE0ELb1ES3_N6thrust23THRUST_200600_302600_NS6detail15normal_iteratorINS9_10device_ptrIiEEEENSB_INSC_ItEEEESG_tNS9_4plusIvEENS9_8equal_toIvEEtEE10hipError_tPvRmT2_T3_T4_T5_mT6_T7_P12ihipStream_tbENKUlT_T0_E_clISt17integral_constantIbLb1EES11_EEDaSW_SX_EUlSW_E_NS1_11comp_targetILNS1_3genE2ELNS1_11target_archE906ELNS1_3gpuE6ELNS1_3repE0EEENS1_30default_config_static_selectorELNS0_4arch9wavefront6targetE1EEEvT1_ ; -- Begin function _ZN7rocprim17ROCPRIM_400000_NS6detail17trampoline_kernelINS0_14default_configENS1_27scan_by_key_config_selectorIitEEZZNS1_16scan_by_key_implILNS1_25lookback_scan_determinismE0ELb1ES3_N6thrust23THRUST_200600_302600_NS6detail15normal_iteratorINS9_10device_ptrIiEEEENSB_INSC_ItEEEESG_tNS9_4plusIvEENS9_8equal_toIvEEtEE10hipError_tPvRmT2_T3_T4_T5_mT6_T7_P12ihipStream_tbENKUlT_T0_E_clISt17integral_constantIbLb1EES11_EEDaSW_SX_EUlSW_E_NS1_11comp_targetILNS1_3genE2ELNS1_11target_archE906ELNS1_3gpuE6ELNS1_3repE0EEENS1_30default_config_static_selectorELNS0_4arch9wavefront6targetE1EEEvT1_
	.globl	_ZN7rocprim17ROCPRIM_400000_NS6detail17trampoline_kernelINS0_14default_configENS1_27scan_by_key_config_selectorIitEEZZNS1_16scan_by_key_implILNS1_25lookback_scan_determinismE0ELb1ES3_N6thrust23THRUST_200600_302600_NS6detail15normal_iteratorINS9_10device_ptrIiEEEENSB_INSC_ItEEEESG_tNS9_4plusIvEENS9_8equal_toIvEEtEE10hipError_tPvRmT2_T3_T4_T5_mT6_T7_P12ihipStream_tbENKUlT_T0_E_clISt17integral_constantIbLb1EES11_EEDaSW_SX_EUlSW_E_NS1_11comp_targetILNS1_3genE2ELNS1_11target_archE906ELNS1_3gpuE6ELNS1_3repE0EEENS1_30default_config_static_selectorELNS0_4arch9wavefront6targetE1EEEvT1_
	.p2align	8
	.type	_ZN7rocprim17ROCPRIM_400000_NS6detail17trampoline_kernelINS0_14default_configENS1_27scan_by_key_config_selectorIitEEZZNS1_16scan_by_key_implILNS1_25lookback_scan_determinismE0ELb1ES3_N6thrust23THRUST_200600_302600_NS6detail15normal_iteratorINS9_10device_ptrIiEEEENSB_INSC_ItEEEESG_tNS9_4plusIvEENS9_8equal_toIvEEtEE10hipError_tPvRmT2_T3_T4_T5_mT6_T7_P12ihipStream_tbENKUlT_T0_E_clISt17integral_constantIbLb1EES11_EEDaSW_SX_EUlSW_E_NS1_11comp_targetILNS1_3genE2ELNS1_11target_archE906ELNS1_3gpuE6ELNS1_3repE0EEENS1_30default_config_static_selectorELNS0_4arch9wavefront6targetE1EEEvT1_,@function
_ZN7rocprim17ROCPRIM_400000_NS6detail17trampoline_kernelINS0_14default_configENS1_27scan_by_key_config_selectorIitEEZZNS1_16scan_by_key_implILNS1_25lookback_scan_determinismE0ELb1ES3_N6thrust23THRUST_200600_302600_NS6detail15normal_iteratorINS9_10device_ptrIiEEEENSB_INSC_ItEEEESG_tNS9_4plusIvEENS9_8equal_toIvEEtEE10hipError_tPvRmT2_T3_T4_T5_mT6_T7_P12ihipStream_tbENKUlT_T0_E_clISt17integral_constantIbLb1EES11_EEDaSW_SX_EUlSW_E_NS1_11comp_targetILNS1_3genE2ELNS1_11target_archE906ELNS1_3gpuE6ELNS1_3repE0EEENS1_30default_config_static_selectorELNS0_4arch9wavefront6targetE1EEEvT1_: ; @_ZN7rocprim17ROCPRIM_400000_NS6detail17trampoline_kernelINS0_14default_configENS1_27scan_by_key_config_selectorIitEEZZNS1_16scan_by_key_implILNS1_25lookback_scan_determinismE0ELb1ES3_N6thrust23THRUST_200600_302600_NS6detail15normal_iteratorINS9_10device_ptrIiEEEENSB_INSC_ItEEEESG_tNS9_4plusIvEENS9_8equal_toIvEEtEE10hipError_tPvRmT2_T3_T4_T5_mT6_T7_P12ihipStream_tbENKUlT_T0_E_clISt17integral_constantIbLb1EES11_EEDaSW_SX_EUlSW_E_NS1_11comp_targetILNS1_3genE2ELNS1_11target_archE906ELNS1_3gpuE6ELNS1_3repE0EEENS1_30default_config_static_selectorELNS0_4arch9wavefront6targetE1EEEvT1_
; %bb.0:
	.section	.rodata,"a",@progbits
	.p2align	6, 0x0
	.amdhsa_kernel _ZN7rocprim17ROCPRIM_400000_NS6detail17trampoline_kernelINS0_14default_configENS1_27scan_by_key_config_selectorIitEEZZNS1_16scan_by_key_implILNS1_25lookback_scan_determinismE0ELb1ES3_N6thrust23THRUST_200600_302600_NS6detail15normal_iteratorINS9_10device_ptrIiEEEENSB_INSC_ItEEEESG_tNS9_4plusIvEENS9_8equal_toIvEEtEE10hipError_tPvRmT2_T3_T4_T5_mT6_T7_P12ihipStream_tbENKUlT_T0_E_clISt17integral_constantIbLb1EES11_EEDaSW_SX_EUlSW_E_NS1_11comp_targetILNS1_3genE2ELNS1_11target_archE906ELNS1_3gpuE6ELNS1_3repE0EEENS1_30default_config_static_selectorELNS0_4arch9wavefront6targetE1EEEvT1_
		.amdhsa_group_segment_fixed_size 0
		.amdhsa_private_segment_fixed_size 0
		.amdhsa_kernarg_size 112
		.amdhsa_user_sgpr_count 2
		.amdhsa_user_sgpr_dispatch_ptr 0
		.amdhsa_user_sgpr_queue_ptr 0
		.amdhsa_user_sgpr_kernarg_segment_ptr 1
		.amdhsa_user_sgpr_dispatch_id 0
		.amdhsa_user_sgpr_kernarg_preload_length 0
		.amdhsa_user_sgpr_kernarg_preload_offset 0
		.amdhsa_user_sgpr_private_segment_size 0
		.amdhsa_uses_dynamic_stack 0
		.amdhsa_enable_private_segment 0
		.amdhsa_system_sgpr_workgroup_id_x 1
		.amdhsa_system_sgpr_workgroup_id_y 0
		.amdhsa_system_sgpr_workgroup_id_z 0
		.amdhsa_system_sgpr_workgroup_info 0
		.amdhsa_system_vgpr_workitem_id 0
		.amdhsa_next_free_vgpr 1
		.amdhsa_next_free_sgpr 0
		.amdhsa_accum_offset 4
		.amdhsa_reserve_vcc 0
		.amdhsa_float_round_mode_32 0
		.amdhsa_float_round_mode_16_64 0
		.amdhsa_float_denorm_mode_32 3
		.amdhsa_float_denorm_mode_16_64 3
		.amdhsa_dx10_clamp 1
		.amdhsa_ieee_mode 1
		.amdhsa_fp16_overflow 0
		.amdhsa_tg_split 0
		.amdhsa_exception_fp_ieee_invalid_op 0
		.amdhsa_exception_fp_denorm_src 0
		.amdhsa_exception_fp_ieee_div_zero 0
		.amdhsa_exception_fp_ieee_overflow 0
		.amdhsa_exception_fp_ieee_underflow 0
		.amdhsa_exception_fp_ieee_inexact 0
		.amdhsa_exception_int_div_zero 0
	.end_amdhsa_kernel
	.section	.text._ZN7rocprim17ROCPRIM_400000_NS6detail17trampoline_kernelINS0_14default_configENS1_27scan_by_key_config_selectorIitEEZZNS1_16scan_by_key_implILNS1_25lookback_scan_determinismE0ELb1ES3_N6thrust23THRUST_200600_302600_NS6detail15normal_iteratorINS9_10device_ptrIiEEEENSB_INSC_ItEEEESG_tNS9_4plusIvEENS9_8equal_toIvEEtEE10hipError_tPvRmT2_T3_T4_T5_mT6_T7_P12ihipStream_tbENKUlT_T0_E_clISt17integral_constantIbLb1EES11_EEDaSW_SX_EUlSW_E_NS1_11comp_targetILNS1_3genE2ELNS1_11target_archE906ELNS1_3gpuE6ELNS1_3repE0EEENS1_30default_config_static_selectorELNS0_4arch9wavefront6targetE1EEEvT1_,"axG",@progbits,_ZN7rocprim17ROCPRIM_400000_NS6detail17trampoline_kernelINS0_14default_configENS1_27scan_by_key_config_selectorIitEEZZNS1_16scan_by_key_implILNS1_25lookback_scan_determinismE0ELb1ES3_N6thrust23THRUST_200600_302600_NS6detail15normal_iteratorINS9_10device_ptrIiEEEENSB_INSC_ItEEEESG_tNS9_4plusIvEENS9_8equal_toIvEEtEE10hipError_tPvRmT2_T3_T4_T5_mT6_T7_P12ihipStream_tbENKUlT_T0_E_clISt17integral_constantIbLb1EES11_EEDaSW_SX_EUlSW_E_NS1_11comp_targetILNS1_3genE2ELNS1_11target_archE906ELNS1_3gpuE6ELNS1_3repE0EEENS1_30default_config_static_selectorELNS0_4arch9wavefront6targetE1EEEvT1_,comdat
.Lfunc_end1549:
	.size	_ZN7rocprim17ROCPRIM_400000_NS6detail17trampoline_kernelINS0_14default_configENS1_27scan_by_key_config_selectorIitEEZZNS1_16scan_by_key_implILNS1_25lookback_scan_determinismE0ELb1ES3_N6thrust23THRUST_200600_302600_NS6detail15normal_iteratorINS9_10device_ptrIiEEEENSB_INSC_ItEEEESG_tNS9_4plusIvEENS9_8equal_toIvEEtEE10hipError_tPvRmT2_T3_T4_T5_mT6_T7_P12ihipStream_tbENKUlT_T0_E_clISt17integral_constantIbLb1EES11_EEDaSW_SX_EUlSW_E_NS1_11comp_targetILNS1_3genE2ELNS1_11target_archE906ELNS1_3gpuE6ELNS1_3repE0EEENS1_30default_config_static_selectorELNS0_4arch9wavefront6targetE1EEEvT1_, .Lfunc_end1549-_ZN7rocprim17ROCPRIM_400000_NS6detail17trampoline_kernelINS0_14default_configENS1_27scan_by_key_config_selectorIitEEZZNS1_16scan_by_key_implILNS1_25lookback_scan_determinismE0ELb1ES3_N6thrust23THRUST_200600_302600_NS6detail15normal_iteratorINS9_10device_ptrIiEEEENSB_INSC_ItEEEESG_tNS9_4plusIvEENS9_8equal_toIvEEtEE10hipError_tPvRmT2_T3_T4_T5_mT6_T7_P12ihipStream_tbENKUlT_T0_E_clISt17integral_constantIbLb1EES11_EEDaSW_SX_EUlSW_E_NS1_11comp_targetILNS1_3genE2ELNS1_11target_archE906ELNS1_3gpuE6ELNS1_3repE0EEENS1_30default_config_static_selectorELNS0_4arch9wavefront6targetE1EEEvT1_
                                        ; -- End function
	.section	.AMDGPU.csdata,"",@progbits
; Kernel info:
; codeLenInByte = 0
; NumSgprs: 6
; NumVgprs: 0
; NumAgprs: 0
; TotalNumVgprs: 0
; ScratchSize: 0
; MemoryBound: 0
; FloatMode: 240
; IeeeMode: 1
; LDSByteSize: 0 bytes/workgroup (compile time only)
; SGPRBlocks: 0
; VGPRBlocks: 0
; NumSGPRsForWavesPerEU: 6
; NumVGPRsForWavesPerEU: 1
; AccumOffset: 4
; Occupancy: 8
; WaveLimiterHint : 0
; COMPUTE_PGM_RSRC2:SCRATCH_EN: 0
; COMPUTE_PGM_RSRC2:USER_SGPR: 2
; COMPUTE_PGM_RSRC2:TRAP_HANDLER: 0
; COMPUTE_PGM_RSRC2:TGID_X_EN: 1
; COMPUTE_PGM_RSRC2:TGID_Y_EN: 0
; COMPUTE_PGM_RSRC2:TGID_Z_EN: 0
; COMPUTE_PGM_RSRC2:TIDIG_COMP_CNT: 0
; COMPUTE_PGM_RSRC3_GFX90A:ACCUM_OFFSET: 0
; COMPUTE_PGM_RSRC3_GFX90A:TG_SPLIT: 0
	.section	.text._ZN7rocprim17ROCPRIM_400000_NS6detail17trampoline_kernelINS0_14default_configENS1_27scan_by_key_config_selectorIitEEZZNS1_16scan_by_key_implILNS1_25lookback_scan_determinismE0ELb1ES3_N6thrust23THRUST_200600_302600_NS6detail15normal_iteratorINS9_10device_ptrIiEEEENSB_INSC_ItEEEESG_tNS9_4plusIvEENS9_8equal_toIvEEtEE10hipError_tPvRmT2_T3_T4_T5_mT6_T7_P12ihipStream_tbENKUlT_T0_E_clISt17integral_constantIbLb1EES11_EEDaSW_SX_EUlSW_E_NS1_11comp_targetILNS1_3genE10ELNS1_11target_archE1200ELNS1_3gpuE4ELNS1_3repE0EEENS1_30default_config_static_selectorELNS0_4arch9wavefront6targetE1EEEvT1_,"axG",@progbits,_ZN7rocprim17ROCPRIM_400000_NS6detail17trampoline_kernelINS0_14default_configENS1_27scan_by_key_config_selectorIitEEZZNS1_16scan_by_key_implILNS1_25lookback_scan_determinismE0ELb1ES3_N6thrust23THRUST_200600_302600_NS6detail15normal_iteratorINS9_10device_ptrIiEEEENSB_INSC_ItEEEESG_tNS9_4plusIvEENS9_8equal_toIvEEtEE10hipError_tPvRmT2_T3_T4_T5_mT6_T7_P12ihipStream_tbENKUlT_T0_E_clISt17integral_constantIbLb1EES11_EEDaSW_SX_EUlSW_E_NS1_11comp_targetILNS1_3genE10ELNS1_11target_archE1200ELNS1_3gpuE4ELNS1_3repE0EEENS1_30default_config_static_selectorELNS0_4arch9wavefront6targetE1EEEvT1_,comdat
	.protected	_ZN7rocprim17ROCPRIM_400000_NS6detail17trampoline_kernelINS0_14default_configENS1_27scan_by_key_config_selectorIitEEZZNS1_16scan_by_key_implILNS1_25lookback_scan_determinismE0ELb1ES3_N6thrust23THRUST_200600_302600_NS6detail15normal_iteratorINS9_10device_ptrIiEEEENSB_INSC_ItEEEESG_tNS9_4plusIvEENS9_8equal_toIvEEtEE10hipError_tPvRmT2_T3_T4_T5_mT6_T7_P12ihipStream_tbENKUlT_T0_E_clISt17integral_constantIbLb1EES11_EEDaSW_SX_EUlSW_E_NS1_11comp_targetILNS1_3genE10ELNS1_11target_archE1200ELNS1_3gpuE4ELNS1_3repE0EEENS1_30default_config_static_selectorELNS0_4arch9wavefront6targetE1EEEvT1_ ; -- Begin function _ZN7rocprim17ROCPRIM_400000_NS6detail17trampoline_kernelINS0_14default_configENS1_27scan_by_key_config_selectorIitEEZZNS1_16scan_by_key_implILNS1_25lookback_scan_determinismE0ELb1ES3_N6thrust23THRUST_200600_302600_NS6detail15normal_iteratorINS9_10device_ptrIiEEEENSB_INSC_ItEEEESG_tNS9_4plusIvEENS9_8equal_toIvEEtEE10hipError_tPvRmT2_T3_T4_T5_mT6_T7_P12ihipStream_tbENKUlT_T0_E_clISt17integral_constantIbLb1EES11_EEDaSW_SX_EUlSW_E_NS1_11comp_targetILNS1_3genE10ELNS1_11target_archE1200ELNS1_3gpuE4ELNS1_3repE0EEENS1_30default_config_static_selectorELNS0_4arch9wavefront6targetE1EEEvT1_
	.globl	_ZN7rocprim17ROCPRIM_400000_NS6detail17trampoline_kernelINS0_14default_configENS1_27scan_by_key_config_selectorIitEEZZNS1_16scan_by_key_implILNS1_25lookback_scan_determinismE0ELb1ES3_N6thrust23THRUST_200600_302600_NS6detail15normal_iteratorINS9_10device_ptrIiEEEENSB_INSC_ItEEEESG_tNS9_4plusIvEENS9_8equal_toIvEEtEE10hipError_tPvRmT2_T3_T4_T5_mT6_T7_P12ihipStream_tbENKUlT_T0_E_clISt17integral_constantIbLb1EES11_EEDaSW_SX_EUlSW_E_NS1_11comp_targetILNS1_3genE10ELNS1_11target_archE1200ELNS1_3gpuE4ELNS1_3repE0EEENS1_30default_config_static_selectorELNS0_4arch9wavefront6targetE1EEEvT1_
	.p2align	8
	.type	_ZN7rocprim17ROCPRIM_400000_NS6detail17trampoline_kernelINS0_14default_configENS1_27scan_by_key_config_selectorIitEEZZNS1_16scan_by_key_implILNS1_25lookback_scan_determinismE0ELb1ES3_N6thrust23THRUST_200600_302600_NS6detail15normal_iteratorINS9_10device_ptrIiEEEENSB_INSC_ItEEEESG_tNS9_4plusIvEENS9_8equal_toIvEEtEE10hipError_tPvRmT2_T3_T4_T5_mT6_T7_P12ihipStream_tbENKUlT_T0_E_clISt17integral_constantIbLb1EES11_EEDaSW_SX_EUlSW_E_NS1_11comp_targetILNS1_3genE10ELNS1_11target_archE1200ELNS1_3gpuE4ELNS1_3repE0EEENS1_30default_config_static_selectorELNS0_4arch9wavefront6targetE1EEEvT1_,@function
_ZN7rocprim17ROCPRIM_400000_NS6detail17trampoline_kernelINS0_14default_configENS1_27scan_by_key_config_selectorIitEEZZNS1_16scan_by_key_implILNS1_25lookback_scan_determinismE0ELb1ES3_N6thrust23THRUST_200600_302600_NS6detail15normal_iteratorINS9_10device_ptrIiEEEENSB_INSC_ItEEEESG_tNS9_4plusIvEENS9_8equal_toIvEEtEE10hipError_tPvRmT2_T3_T4_T5_mT6_T7_P12ihipStream_tbENKUlT_T0_E_clISt17integral_constantIbLb1EES11_EEDaSW_SX_EUlSW_E_NS1_11comp_targetILNS1_3genE10ELNS1_11target_archE1200ELNS1_3gpuE4ELNS1_3repE0EEENS1_30default_config_static_selectorELNS0_4arch9wavefront6targetE1EEEvT1_: ; @_ZN7rocprim17ROCPRIM_400000_NS6detail17trampoline_kernelINS0_14default_configENS1_27scan_by_key_config_selectorIitEEZZNS1_16scan_by_key_implILNS1_25lookback_scan_determinismE0ELb1ES3_N6thrust23THRUST_200600_302600_NS6detail15normal_iteratorINS9_10device_ptrIiEEEENSB_INSC_ItEEEESG_tNS9_4plusIvEENS9_8equal_toIvEEtEE10hipError_tPvRmT2_T3_T4_T5_mT6_T7_P12ihipStream_tbENKUlT_T0_E_clISt17integral_constantIbLb1EES11_EEDaSW_SX_EUlSW_E_NS1_11comp_targetILNS1_3genE10ELNS1_11target_archE1200ELNS1_3gpuE4ELNS1_3repE0EEENS1_30default_config_static_selectorELNS0_4arch9wavefront6targetE1EEEvT1_
; %bb.0:
	.section	.rodata,"a",@progbits
	.p2align	6, 0x0
	.amdhsa_kernel _ZN7rocprim17ROCPRIM_400000_NS6detail17trampoline_kernelINS0_14default_configENS1_27scan_by_key_config_selectorIitEEZZNS1_16scan_by_key_implILNS1_25lookback_scan_determinismE0ELb1ES3_N6thrust23THRUST_200600_302600_NS6detail15normal_iteratorINS9_10device_ptrIiEEEENSB_INSC_ItEEEESG_tNS9_4plusIvEENS9_8equal_toIvEEtEE10hipError_tPvRmT2_T3_T4_T5_mT6_T7_P12ihipStream_tbENKUlT_T0_E_clISt17integral_constantIbLb1EES11_EEDaSW_SX_EUlSW_E_NS1_11comp_targetILNS1_3genE10ELNS1_11target_archE1200ELNS1_3gpuE4ELNS1_3repE0EEENS1_30default_config_static_selectorELNS0_4arch9wavefront6targetE1EEEvT1_
		.amdhsa_group_segment_fixed_size 0
		.amdhsa_private_segment_fixed_size 0
		.amdhsa_kernarg_size 112
		.amdhsa_user_sgpr_count 2
		.amdhsa_user_sgpr_dispatch_ptr 0
		.amdhsa_user_sgpr_queue_ptr 0
		.amdhsa_user_sgpr_kernarg_segment_ptr 1
		.amdhsa_user_sgpr_dispatch_id 0
		.amdhsa_user_sgpr_kernarg_preload_length 0
		.amdhsa_user_sgpr_kernarg_preload_offset 0
		.amdhsa_user_sgpr_private_segment_size 0
		.amdhsa_uses_dynamic_stack 0
		.amdhsa_enable_private_segment 0
		.amdhsa_system_sgpr_workgroup_id_x 1
		.amdhsa_system_sgpr_workgroup_id_y 0
		.amdhsa_system_sgpr_workgroup_id_z 0
		.amdhsa_system_sgpr_workgroup_info 0
		.amdhsa_system_vgpr_workitem_id 0
		.amdhsa_next_free_vgpr 1
		.amdhsa_next_free_sgpr 0
		.amdhsa_accum_offset 4
		.amdhsa_reserve_vcc 0
		.amdhsa_float_round_mode_32 0
		.amdhsa_float_round_mode_16_64 0
		.amdhsa_float_denorm_mode_32 3
		.amdhsa_float_denorm_mode_16_64 3
		.amdhsa_dx10_clamp 1
		.amdhsa_ieee_mode 1
		.amdhsa_fp16_overflow 0
		.amdhsa_tg_split 0
		.amdhsa_exception_fp_ieee_invalid_op 0
		.amdhsa_exception_fp_denorm_src 0
		.amdhsa_exception_fp_ieee_div_zero 0
		.amdhsa_exception_fp_ieee_overflow 0
		.amdhsa_exception_fp_ieee_underflow 0
		.amdhsa_exception_fp_ieee_inexact 0
		.amdhsa_exception_int_div_zero 0
	.end_amdhsa_kernel
	.section	.text._ZN7rocprim17ROCPRIM_400000_NS6detail17trampoline_kernelINS0_14default_configENS1_27scan_by_key_config_selectorIitEEZZNS1_16scan_by_key_implILNS1_25lookback_scan_determinismE0ELb1ES3_N6thrust23THRUST_200600_302600_NS6detail15normal_iteratorINS9_10device_ptrIiEEEENSB_INSC_ItEEEESG_tNS9_4plusIvEENS9_8equal_toIvEEtEE10hipError_tPvRmT2_T3_T4_T5_mT6_T7_P12ihipStream_tbENKUlT_T0_E_clISt17integral_constantIbLb1EES11_EEDaSW_SX_EUlSW_E_NS1_11comp_targetILNS1_3genE10ELNS1_11target_archE1200ELNS1_3gpuE4ELNS1_3repE0EEENS1_30default_config_static_selectorELNS0_4arch9wavefront6targetE1EEEvT1_,"axG",@progbits,_ZN7rocprim17ROCPRIM_400000_NS6detail17trampoline_kernelINS0_14default_configENS1_27scan_by_key_config_selectorIitEEZZNS1_16scan_by_key_implILNS1_25lookback_scan_determinismE0ELb1ES3_N6thrust23THRUST_200600_302600_NS6detail15normal_iteratorINS9_10device_ptrIiEEEENSB_INSC_ItEEEESG_tNS9_4plusIvEENS9_8equal_toIvEEtEE10hipError_tPvRmT2_T3_T4_T5_mT6_T7_P12ihipStream_tbENKUlT_T0_E_clISt17integral_constantIbLb1EES11_EEDaSW_SX_EUlSW_E_NS1_11comp_targetILNS1_3genE10ELNS1_11target_archE1200ELNS1_3gpuE4ELNS1_3repE0EEENS1_30default_config_static_selectorELNS0_4arch9wavefront6targetE1EEEvT1_,comdat
.Lfunc_end1550:
	.size	_ZN7rocprim17ROCPRIM_400000_NS6detail17trampoline_kernelINS0_14default_configENS1_27scan_by_key_config_selectorIitEEZZNS1_16scan_by_key_implILNS1_25lookback_scan_determinismE0ELb1ES3_N6thrust23THRUST_200600_302600_NS6detail15normal_iteratorINS9_10device_ptrIiEEEENSB_INSC_ItEEEESG_tNS9_4plusIvEENS9_8equal_toIvEEtEE10hipError_tPvRmT2_T3_T4_T5_mT6_T7_P12ihipStream_tbENKUlT_T0_E_clISt17integral_constantIbLb1EES11_EEDaSW_SX_EUlSW_E_NS1_11comp_targetILNS1_3genE10ELNS1_11target_archE1200ELNS1_3gpuE4ELNS1_3repE0EEENS1_30default_config_static_selectorELNS0_4arch9wavefront6targetE1EEEvT1_, .Lfunc_end1550-_ZN7rocprim17ROCPRIM_400000_NS6detail17trampoline_kernelINS0_14default_configENS1_27scan_by_key_config_selectorIitEEZZNS1_16scan_by_key_implILNS1_25lookback_scan_determinismE0ELb1ES3_N6thrust23THRUST_200600_302600_NS6detail15normal_iteratorINS9_10device_ptrIiEEEENSB_INSC_ItEEEESG_tNS9_4plusIvEENS9_8equal_toIvEEtEE10hipError_tPvRmT2_T3_T4_T5_mT6_T7_P12ihipStream_tbENKUlT_T0_E_clISt17integral_constantIbLb1EES11_EEDaSW_SX_EUlSW_E_NS1_11comp_targetILNS1_3genE10ELNS1_11target_archE1200ELNS1_3gpuE4ELNS1_3repE0EEENS1_30default_config_static_selectorELNS0_4arch9wavefront6targetE1EEEvT1_
                                        ; -- End function
	.section	.AMDGPU.csdata,"",@progbits
; Kernel info:
; codeLenInByte = 0
; NumSgprs: 6
; NumVgprs: 0
; NumAgprs: 0
; TotalNumVgprs: 0
; ScratchSize: 0
; MemoryBound: 0
; FloatMode: 240
; IeeeMode: 1
; LDSByteSize: 0 bytes/workgroup (compile time only)
; SGPRBlocks: 0
; VGPRBlocks: 0
; NumSGPRsForWavesPerEU: 6
; NumVGPRsForWavesPerEU: 1
; AccumOffset: 4
; Occupancy: 8
; WaveLimiterHint : 0
; COMPUTE_PGM_RSRC2:SCRATCH_EN: 0
; COMPUTE_PGM_RSRC2:USER_SGPR: 2
; COMPUTE_PGM_RSRC2:TRAP_HANDLER: 0
; COMPUTE_PGM_RSRC2:TGID_X_EN: 1
; COMPUTE_PGM_RSRC2:TGID_Y_EN: 0
; COMPUTE_PGM_RSRC2:TGID_Z_EN: 0
; COMPUTE_PGM_RSRC2:TIDIG_COMP_CNT: 0
; COMPUTE_PGM_RSRC3_GFX90A:ACCUM_OFFSET: 0
; COMPUTE_PGM_RSRC3_GFX90A:TG_SPLIT: 0
	.section	.text._ZN7rocprim17ROCPRIM_400000_NS6detail17trampoline_kernelINS0_14default_configENS1_27scan_by_key_config_selectorIitEEZZNS1_16scan_by_key_implILNS1_25lookback_scan_determinismE0ELb1ES3_N6thrust23THRUST_200600_302600_NS6detail15normal_iteratorINS9_10device_ptrIiEEEENSB_INSC_ItEEEESG_tNS9_4plusIvEENS9_8equal_toIvEEtEE10hipError_tPvRmT2_T3_T4_T5_mT6_T7_P12ihipStream_tbENKUlT_T0_E_clISt17integral_constantIbLb1EES11_EEDaSW_SX_EUlSW_E_NS1_11comp_targetILNS1_3genE9ELNS1_11target_archE1100ELNS1_3gpuE3ELNS1_3repE0EEENS1_30default_config_static_selectorELNS0_4arch9wavefront6targetE1EEEvT1_,"axG",@progbits,_ZN7rocprim17ROCPRIM_400000_NS6detail17trampoline_kernelINS0_14default_configENS1_27scan_by_key_config_selectorIitEEZZNS1_16scan_by_key_implILNS1_25lookback_scan_determinismE0ELb1ES3_N6thrust23THRUST_200600_302600_NS6detail15normal_iteratorINS9_10device_ptrIiEEEENSB_INSC_ItEEEESG_tNS9_4plusIvEENS9_8equal_toIvEEtEE10hipError_tPvRmT2_T3_T4_T5_mT6_T7_P12ihipStream_tbENKUlT_T0_E_clISt17integral_constantIbLb1EES11_EEDaSW_SX_EUlSW_E_NS1_11comp_targetILNS1_3genE9ELNS1_11target_archE1100ELNS1_3gpuE3ELNS1_3repE0EEENS1_30default_config_static_selectorELNS0_4arch9wavefront6targetE1EEEvT1_,comdat
	.protected	_ZN7rocprim17ROCPRIM_400000_NS6detail17trampoline_kernelINS0_14default_configENS1_27scan_by_key_config_selectorIitEEZZNS1_16scan_by_key_implILNS1_25lookback_scan_determinismE0ELb1ES3_N6thrust23THRUST_200600_302600_NS6detail15normal_iteratorINS9_10device_ptrIiEEEENSB_INSC_ItEEEESG_tNS9_4plusIvEENS9_8equal_toIvEEtEE10hipError_tPvRmT2_T3_T4_T5_mT6_T7_P12ihipStream_tbENKUlT_T0_E_clISt17integral_constantIbLb1EES11_EEDaSW_SX_EUlSW_E_NS1_11comp_targetILNS1_3genE9ELNS1_11target_archE1100ELNS1_3gpuE3ELNS1_3repE0EEENS1_30default_config_static_selectorELNS0_4arch9wavefront6targetE1EEEvT1_ ; -- Begin function _ZN7rocprim17ROCPRIM_400000_NS6detail17trampoline_kernelINS0_14default_configENS1_27scan_by_key_config_selectorIitEEZZNS1_16scan_by_key_implILNS1_25lookback_scan_determinismE0ELb1ES3_N6thrust23THRUST_200600_302600_NS6detail15normal_iteratorINS9_10device_ptrIiEEEENSB_INSC_ItEEEESG_tNS9_4plusIvEENS9_8equal_toIvEEtEE10hipError_tPvRmT2_T3_T4_T5_mT6_T7_P12ihipStream_tbENKUlT_T0_E_clISt17integral_constantIbLb1EES11_EEDaSW_SX_EUlSW_E_NS1_11comp_targetILNS1_3genE9ELNS1_11target_archE1100ELNS1_3gpuE3ELNS1_3repE0EEENS1_30default_config_static_selectorELNS0_4arch9wavefront6targetE1EEEvT1_
	.globl	_ZN7rocprim17ROCPRIM_400000_NS6detail17trampoline_kernelINS0_14default_configENS1_27scan_by_key_config_selectorIitEEZZNS1_16scan_by_key_implILNS1_25lookback_scan_determinismE0ELb1ES3_N6thrust23THRUST_200600_302600_NS6detail15normal_iteratorINS9_10device_ptrIiEEEENSB_INSC_ItEEEESG_tNS9_4plusIvEENS9_8equal_toIvEEtEE10hipError_tPvRmT2_T3_T4_T5_mT6_T7_P12ihipStream_tbENKUlT_T0_E_clISt17integral_constantIbLb1EES11_EEDaSW_SX_EUlSW_E_NS1_11comp_targetILNS1_3genE9ELNS1_11target_archE1100ELNS1_3gpuE3ELNS1_3repE0EEENS1_30default_config_static_selectorELNS0_4arch9wavefront6targetE1EEEvT1_
	.p2align	8
	.type	_ZN7rocprim17ROCPRIM_400000_NS6detail17trampoline_kernelINS0_14default_configENS1_27scan_by_key_config_selectorIitEEZZNS1_16scan_by_key_implILNS1_25lookback_scan_determinismE0ELb1ES3_N6thrust23THRUST_200600_302600_NS6detail15normal_iteratorINS9_10device_ptrIiEEEENSB_INSC_ItEEEESG_tNS9_4plusIvEENS9_8equal_toIvEEtEE10hipError_tPvRmT2_T3_T4_T5_mT6_T7_P12ihipStream_tbENKUlT_T0_E_clISt17integral_constantIbLb1EES11_EEDaSW_SX_EUlSW_E_NS1_11comp_targetILNS1_3genE9ELNS1_11target_archE1100ELNS1_3gpuE3ELNS1_3repE0EEENS1_30default_config_static_selectorELNS0_4arch9wavefront6targetE1EEEvT1_,@function
_ZN7rocprim17ROCPRIM_400000_NS6detail17trampoline_kernelINS0_14default_configENS1_27scan_by_key_config_selectorIitEEZZNS1_16scan_by_key_implILNS1_25lookback_scan_determinismE0ELb1ES3_N6thrust23THRUST_200600_302600_NS6detail15normal_iteratorINS9_10device_ptrIiEEEENSB_INSC_ItEEEESG_tNS9_4plusIvEENS9_8equal_toIvEEtEE10hipError_tPvRmT2_T3_T4_T5_mT6_T7_P12ihipStream_tbENKUlT_T0_E_clISt17integral_constantIbLb1EES11_EEDaSW_SX_EUlSW_E_NS1_11comp_targetILNS1_3genE9ELNS1_11target_archE1100ELNS1_3gpuE3ELNS1_3repE0EEENS1_30default_config_static_selectorELNS0_4arch9wavefront6targetE1EEEvT1_: ; @_ZN7rocprim17ROCPRIM_400000_NS6detail17trampoline_kernelINS0_14default_configENS1_27scan_by_key_config_selectorIitEEZZNS1_16scan_by_key_implILNS1_25lookback_scan_determinismE0ELb1ES3_N6thrust23THRUST_200600_302600_NS6detail15normal_iteratorINS9_10device_ptrIiEEEENSB_INSC_ItEEEESG_tNS9_4plusIvEENS9_8equal_toIvEEtEE10hipError_tPvRmT2_T3_T4_T5_mT6_T7_P12ihipStream_tbENKUlT_T0_E_clISt17integral_constantIbLb1EES11_EEDaSW_SX_EUlSW_E_NS1_11comp_targetILNS1_3genE9ELNS1_11target_archE1100ELNS1_3gpuE3ELNS1_3repE0EEENS1_30default_config_static_selectorELNS0_4arch9wavefront6targetE1EEEvT1_
; %bb.0:
	.section	.rodata,"a",@progbits
	.p2align	6, 0x0
	.amdhsa_kernel _ZN7rocprim17ROCPRIM_400000_NS6detail17trampoline_kernelINS0_14default_configENS1_27scan_by_key_config_selectorIitEEZZNS1_16scan_by_key_implILNS1_25lookback_scan_determinismE0ELb1ES3_N6thrust23THRUST_200600_302600_NS6detail15normal_iteratorINS9_10device_ptrIiEEEENSB_INSC_ItEEEESG_tNS9_4plusIvEENS9_8equal_toIvEEtEE10hipError_tPvRmT2_T3_T4_T5_mT6_T7_P12ihipStream_tbENKUlT_T0_E_clISt17integral_constantIbLb1EES11_EEDaSW_SX_EUlSW_E_NS1_11comp_targetILNS1_3genE9ELNS1_11target_archE1100ELNS1_3gpuE3ELNS1_3repE0EEENS1_30default_config_static_selectorELNS0_4arch9wavefront6targetE1EEEvT1_
		.amdhsa_group_segment_fixed_size 0
		.amdhsa_private_segment_fixed_size 0
		.amdhsa_kernarg_size 112
		.amdhsa_user_sgpr_count 2
		.amdhsa_user_sgpr_dispatch_ptr 0
		.amdhsa_user_sgpr_queue_ptr 0
		.amdhsa_user_sgpr_kernarg_segment_ptr 1
		.amdhsa_user_sgpr_dispatch_id 0
		.amdhsa_user_sgpr_kernarg_preload_length 0
		.amdhsa_user_sgpr_kernarg_preload_offset 0
		.amdhsa_user_sgpr_private_segment_size 0
		.amdhsa_uses_dynamic_stack 0
		.amdhsa_enable_private_segment 0
		.amdhsa_system_sgpr_workgroup_id_x 1
		.amdhsa_system_sgpr_workgroup_id_y 0
		.amdhsa_system_sgpr_workgroup_id_z 0
		.amdhsa_system_sgpr_workgroup_info 0
		.amdhsa_system_vgpr_workitem_id 0
		.amdhsa_next_free_vgpr 1
		.amdhsa_next_free_sgpr 0
		.amdhsa_accum_offset 4
		.amdhsa_reserve_vcc 0
		.amdhsa_float_round_mode_32 0
		.amdhsa_float_round_mode_16_64 0
		.amdhsa_float_denorm_mode_32 3
		.amdhsa_float_denorm_mode_16_64 3
		.amdhsa_dx10_clamp 1
		.amdhsa_ieee_mode 1
		.amdhsa_fp16_overflow 0
		.amdhsa_tg_split 0
		.amdhsa_exception_fp_ieee_invalid_op 0
		.amdhsa_exception_fp_denorm_src 0
		.amdhsa_exception_fp_ieee_div_zero 0
		.amdhsa_exception_fp_ieee_overflow 0
		.amdhsa_exception_fp_ieee_underflow 0
		.amdhsa_exception_fp_ieee_inexact 0
		.amdhsa_exception_int_div_zero 0
	.end_amdhsa_kernel
	.section	.text._ZN7rocprim17ROCPRIM_400000_NS6detail17trampoline_kernelINS0_14default_configENS1_27scan_by_key_config_selectorIitEEZZNS1_16scan_by_key_implILNS1_25lookback_scan_determinismE0ELb1ES3_N6thrust23THRUST_200600_302600_NS6detail15normal_iteratorINS9_10device_ptrIiEEEENSB_INSC_ItEEEESG_tNS9_4plusIvEENS9_8equal_toIvEEtEE10hipError_tPvRmT2_T3_T4_T5_mT6_T7_P12ihipStream_tbENKUlT_T0_E_clISt17integral_constantIbLb1EES11_EEDaSW_SX_EUlSW_E_NS1_11comp_targetILNS1_3genE9ELNS1_11target_archE1100ELNS1_3gpuE3ELNS1_3repE0EEENS1_30default_config_static_selectorELNS0_4arch9wavefront6targetE1EEEvT1_,"axG",@progbits,_ZN7rocprim17ROCPRIM_400000_NS6detail17trampoline_kernelINS0_14default_configENS1_27scan_by_key_config_selectorIitEEZZNS1_16scan_by_key_implILNS1_25lookback_scan_determinismE0ELb1ES3_N6thrust23THRUST_200600_302600_NS6detail15normal_iteratorINS9_10device_ptrIiEEEENSB_INSC_ItEEEESG_tNS9_4plusIvEENS9_8equal_toIvEEtEE10hipError_tPvRmT2_T3_T4_T5_mT6_T7_P12ihipStream_tbENKUlT_T0_E_clISt17integral_constantIbLb1EES11_EEDaSW_SX_EUlSW_E_NS1_11comp_targetILNS1_3genE9ELNS1_11target_archE1100ELNS1_3gpuE3ELNS1_3repE0EEENS1_30default_config_static_selectorELNS0_4arch9wavefront6targetE1EEEvT1_,comdat
.Lfunc_end1551:
	.size	_ZN7rocprim17ROCPRIM_400000_NS6detail17trampoline_kernelINS0_14default_configENS1_27scan_by_key_config_selectorIitEEZZNS1_16scan_by_key_implILNS1_25lookback_scan_determinismE0ELb1ES3_N6thrust23THRUST_200600_302600_NS6detail15normal_iteratorINS9_10device_ptrIiEEEENSB_INSC_ItEEEESG_tNS9_4plusIvEENS9_8equal_toIvEEtEE10hipError_tPvRmT2_T3_T4_T5_mT6_T7_P12ihipStream_tbENKUlT_T0_E_clISt17integral_constantIbLb1EES11_EEDaSW_SX_EUlSW_E_NS1_11comp_targetILNS1_3genE9ELNS1_11target_archE1100ELNS1_3gpuE3ELNS1_3repE0EEENS1_30default_config_static_selectorELNS0_4arch9wavefront6targetE1EEEvT1_, .Lfunc_end1551-_ZN7rocprim17ROCPRIM_400000_NS6detail17trampoline_kernelINS0_14default_configENS1_27scan_by_key_config_selectorIitEEZZNS1_16scan_by_key_implILNS1_25lookback_scan_determinismE0ELb1ES3_N6thrust23THRUST_200600_302600_NS6detail15normal_iteratorINS9_10device_ptrIiEEEENSB_INSC_ItEEEESG_tNS9_4plusIvEENS9_8equal_toIvEEtEE10hipError_tPvRmT2_T3_T4_T5_mT6_T7_P12ihipStream_tbENKUlT_T0_E_clISt17integral_constantIbLb1EES11_EEDaSW_SX_EUlSW_E_NS1_11comp_targetILNS1_3genE9ELNS1_11target_archE1100ELNS1_3gpuE3ELNS1_3repE0EEENS1_30default_config_static_selectorELNS0_4arch9wavefront6targetE1EEEvT1_
                                        ; -- End function
	.section	.AMDGPU.csdata,"",@progbits
; Kernel info:
; codeLenInByte = 0
; NumSgprs: 6
; NumVgprs: 0
; NumAgprs: 0
; TotalNumVgprs: 0
; ScratchSize: 0
; MemoryBound: 0
; FloatMode: 240
; IeeeMode: 1
; LDSByteSize: 0 bytes/workgroup (compile time only)
; SGPRBlocks: 0
; VGPRBlocks: 0
; NumSGPRsForWavesPerEU: 6
; NumVGPRsForWavesPerEU: 1
; AccumOffset: 4
; Occupancy: 8
; WaveLimiterHint : 0
; COMPUTE_PGM_RSRC2:SCRATCH_EN: 0
; COMPUTE_PGM_RSRC2:USER_SGPR: 2
; COMPUTE_PGM_RSRC2:TRAP_HANDLER: 0
; COMPUTE_PGM_RSRC2:TGID_X_EN: 1
; COMPUTE_PGM_RSRC2:TGID_Y_EN: 0
; COMPUTE_PGM_RSRC2:TGID_Z_EN: 0
; COMPUTE_PGM_RSRC2:TIDIG_COMP_CNT: 0
; COMPUTE_PGM_RSRC3_GFX90A:ACCUM_OFFSET: 0
; COMPUTE_PGM_RSRC3_GFX90A:TG_SPLIT: 0
	.section	.text._ZN7rocprim17ROCPRIM_400000_NS6detail17trampoline_kernelINS0_14default_configENS1_27scan_by_key_config_selectorIitEEZZNS1_16scan_by_key_implILNS1_25lookback_scan_determinismE0ELb1ES3_N6thrust23THRUST_200600_302600_NS6detail15normal_iteratorINS9_10device_ptrIiEEEENSB_INSC_ItEEEESG_tNS9_4plusIvEENS9_8equal_toIvEEtEE10hipError_tPvRmT2_T3_T4_T5_mT6_T7_P12ihipStream_tbENKUlT_T0_E_clISt17integral_constantIbLb1EES11_EEDaSW_SX_EUlSW_E_NS1_11comp_targetILNS1_3genE8ELNS1_11target_archE1030ELNS1_3gpuE2ELNS1_3repE0EEENS1_30default_config_static_selectorELNS0_4arch9wavefront6targetE1EEEvT1_,"axG",@progbits,_ZN7rocprim17ROCPRIM_400000_NS6detail17trampoline_kernelINS0_14default_configENS1_27scan_by_key_config_selectorIitEEZZNS1_16scan_by_key_implILNS1_25lookback_scan_determinismE0ELb1ES3_N6thrust23THRUST_200600_302600_NS6detail15normal_iteratorINS9_10device_ptrIiEEEENSB_INSC_ItEEEESG_tNS9_4plusIvEENS9_8equal_toIvEEtEE10hipError_tPvRmT2_T3_T4_T5_mT6_T7_P12ihipStream_tbENKUlT_T0_E_clISt17integral_constantIbLb1EES11_EEDaSW_SX_EUlSW_E_NS1_11comp_targetILNS1_3genE8ELNS1_11target_archE1030ELNS1_3gpuE2ELNS1_3repE0EEENS1_30default_config_static_selectorELNS0_4arch9wavefront6targetE1EEEvT1_,comdat
	.protected	_ZN7rocprim17ROCPRIM_400000_NS6detail17trampoline_kernelINS0_14default_configENS1_27scan_by_key_config_selectorIitEEZZNS1_16scan_by_key_implILNS1_25lookback_scan_determinismE0ELb1ES3_N6thrust23THRUST_200600_302600_NS6detail15normal_iteratorINS9_10device_ptrIiEEEENSB_INSC_ItEEEESG_tNS9_4plusIvEENS9_8equal_toIvEEtEE10hipError_tPvRmT2_T3_T4_T5_mT6_T7_P12ihipStream_tbENKUlT_T0_E_clISt17integral_constantIbLb1EES11_EEDaSW_SX_EUlSW_E_NS1_11comp_targetILNS1_3genE8ELNS1_11target_archE1030ELNS1_3gpuE2ELNS1_3repE0EEENS1_30default_config_static_selectorELNS0_4arch9wavefront6targetE1EEEvT1_ ; -- Begin function _ZN7rocprim17ROCPRIM_400000_NS6detail17trampoline_kernelINS0_14default_configENS1_27scan_by_key_config_selectorIitEEZZNS1_16scan_by_key_implILNS1_25lookback_scan_determinismE0ELb1ES3_N6thrust23THRUST_200600_302600_NS6detail15normal_iteratorINS9_10device_ptrIiEEEENSB_INSC_ItEEEESG_tNS9_4plusIvEENS9_8equal_toIvEEtEE10hipError_tPvRmT2_T3_T4_T5_mT6_T7_P12ihipStream_tbENKUlT_T0_E_clISt17integral_constantIbLb1EES11_EEDaSW_SX_EUlSW_E_NS1_11comp_targetILNS1_3genE8ELNS1_11target_archE1030ELNS1_3gpuE2ELNS1_3repE0EEENS1_30default_config_static_selectorELNS0_4arch9wavefront6targetE1EEEvT1_
	.globl	_ZN7rocprim17ROCPRIM_400000_NS6detail17trampoline_kernelINS0_14default_configENS1_27scan_by_key_config_selectorIitEEZZNS1_16scan_by_key_implILNS1_25lookback_scan_determinismE0ELb1ES3_N6thrust23THRUST_200600_302600_NS6detail15normal_iteratorINS9_10device_ptrIiEEEENSB_INSC_ItEEEESG_tNS9_4plusIvEENS9_8equal_toIvEEtEE10hipError_tPvRmT2_T3_T4_T5_mT6_T7_P12ihipStream_tbENKUlT_T0_E_clISt17integral_constantIbLb1EES11_EEDaSW_SX_EUlSW_E_NS1_11comp_targetILNS1_3genE8ELNS1_11target_archE1030ELNS1_3gpuE2ELNS1_3repE0EEENS1_30default_config_static_selectorELNS0_4arch9wavefront6targetE1EEEvT1_
	.p2align	8
	.type	_ZN7rocprim17ROCPRIM_400000_NS6detail17trampoline_kernelINS0_14default_configENS1_27scan_by_key_config_selectorIitEEZZNS1_16scan_by_key_implILNS1_25lookback_scan_determinismE0ELb1ES3_N6thrust23THRUST_200600_302600_NS6detail15normal_iteratorINS9_10device_ptrIiEEEENSB_INSC_ItEEEESG_tNS9_4plusIvEENS9_8equal_toIvEEtEE10hipError_tPvRmT2_T3_T4_T5_mT6_T7_P12ihipStream_tbENKUlT_T0_E_clISt17integral_constantIbLb1EES11_EEDaSW_SX_EUlSW_E_NS1_11comp_targetILNS1_3genE8ELNS1_11target_archE1030ELNS1_3gpuE2ELNS1_3repE0EEENS1_30default_config_static_selectorELNS0_4arch9wavefront6targetE1EEEvT1_,@function
_ZN7rocprim17ROCPRIM_400000_NS6detail17trampoline_kernelINS0_14default_configENS1_27scan_by_key_config_selectorIitEEZZNS1_16scan_by_key_implILNS1_25lookback_scan_determinismE0ELb1ES3_N6thrust23THRUST_200600_302600_NS6detail15normal_iteratorINS9_10device_ptrIiEEEENSB_INSC_ItEEEESG_tNS9_4plusIvEENS9_8equal_toIvEEtEE10hipError_tPvRmT2_T3_T4_T5_mT6_T7_P12ihipStream_tbENKUlT_T0_E_clISt17integral_constantIbLb1EES11_EEDaSW_SX_EUlSW_E_NS1_11comp_targetILNS1_3genE8ELNS1_11target_archE1030ELNS1_3gpuE2ELNS1_3repE0EEENS1_30default_config_static_selectorELNS0_4arch9wavefront6targetE1EEEvT1_: ; @_ZN7rocprim17ROCPRIM_400000_NS6detail17trampoline_kernelINS0_14default_configENS1_27scan_by_key_config_selectorIitEEZZNS1_16scan_by_key_implILNS1_25lookback_scan_determinismE0ELb1ES3_N6thrust23THRUST_200600_302600_NS6detail15normal_iteratorINS9_10device_ptrIiEEEENSB_INSC_ItEEEESG_tNS9_4plusIvEENS9_8equal_toIvEEtEE10hipError_tPvRmT2_T3_T4_T5_mT6_T7_P12ihipStream_tbENKUlT_T0_E_clISt17integral_constantIbLb1EES11_EEDaSW_SX_EUlSW_E_NS1_11comp_targetILNS1_3genE8ELNS1_11target_archE1030ELNS1_3gpuE2ELNS1_3repE0EEENS1_30default_config_static_selectorELNS0_4arch9wavefront6targetE1EEEvT1_
; %bb.0:
	.section	.rodata,"a",@progbits
	.p2align	6, 0x0
	.amdhsa_kernel _ZN7rocprim17ROCPRIM_400000_NS6detail17trampoline_kernelINS0_14default_configENS1_27scan_by_key_config_selectorIitEEZZNS1_16scan_by_key_implILNS1_25lookback_scan_determinismE0ELb1ES3_N6thrust23THRUST_200600_302600_NS6detail15normal_iteratorINS9_10device_ptrIiEEEENSB_INSC_ItEEEESG_tNS9_4plusIvEENS9_8equal_toIvEEtEE10hipError_tPvRmT2_T3_T4_T5_mT6_T7_P12ihipStream_tbENKUlT_T0_E_clISt17integral_constantIbLb1EES11_EEDaSW_SX_EUlSW_E_NS1_11comp_targetILNS1_3genE8ELNS1_11target_archE1030ELNS1_3gpuE2ELNS1_3repE0EEENS1_30default_config_static_selectorELNS0_4arch9wavefront6targetE1EEEvT1_
		.amdhsa_group_segment_fixed_size 0
		.amdhsa_private_segment_fixed_size 0
		.amdhsa_kernarg_size 112
		.amdhsa_user_sgpr_count 2
		.amdhsa_user_sgpr_dispatch_ptr 0
		.amdhsa_user_sgpr_queue_ptr 0
		.amdhsa_user_sgpr_kernarg_segment_ptr 1
		.amdhsa_user_sgpr_dispatch_id 0
		.amdhsa_user_sgpr_kernarg_preload_length 0
		.amdhsa_user_sgpr_kernarg_preload_offset 0
		.amdhsa_user_sgpr_private_segment_size 0
		.amdhsa_uses_dynamic_stack 0
		.amdhsa_enable_private_segment 0
		.amdhsa_system_sgpr_workgroup_id_x 1
		.amdhsa_system_sgpr_workgroup_id_y 0
		.amdhsa_system_sgpr_workgroup_id_z 0
		.amdhsa_system_sgpr_workgroup_info 0
		.amdhsa_system_vgpr_workitem_id 0
		.amdhsa_next_free_vgpr 1
		.amdhsa_next_free_sgpr 0
		.amdhsa_accum_offset 4
		.amdhsa_reserve_vcc 0
		.amdhsa_float_round_mode_32 0
		.amdhsa_float_round_mode_16_64 0
		.amdhsa_float_denorm_mode_32 3
		.amdhsa_float_denorm_mode_16_64 3
		.amdhsa_dx10_clamp 1
		.amdhsa_ieee_mode 1
		.amdhsa_fp16_overflow 0
		.amdhsa_tg_split 0
		.amdhsa_exception_fp_ieee_invalid_op 0
		.amdhsa_exception_fp_denorm_src 0
		.amdhsa_exception_fp_ieee_div_zero 0
		.amdhsa_exception_fp_ieee_overflow 0
		.amdhsa_exception_fp_ieee_underflow 0
		.amdhsa_exception_fp_ieee_inexact 0
		.amdhsa_exception_int_div_zero 0
	.end_amdhsa_kernel
	.section	.text._ZN7rocprim17ROCPRIM_400000_NS6detail17trampoline_kernelINS0_14default_configENS1_27scan_by_key_config_selectorIitEEZZNS1_16scan_by_key_implILNS1_25lookback_scan_determinismE0ELb1ES3_N6thrust23THRUST_200600_302600_NS6detail15normal_iteratorINS9_10device_ptrIiEEEENSB_INSC_ItEEEESG_tNS9_4plusIvEENS9_8equal_toIvEEtEE10hipError_tPvRmT2_T3_T4_T5_mT6_T7_P12ihipStream_tbENKUlT_T0_E_clISt17integral_constantIbLb1EES11_EEDaSW_SX_EUlSW_E_NS1_11comp_targetILNS1_3genE8ELNS1_11target_archE1030ELNS1_3gpuE2ELNS1_3repE0EEENS1_30default_config_static_selectorELNS0_4arch9wavefront6targetE1EEEvT1_,"axG",@progbits,_ZN7rocprim17ROCPRIM_400000_NS6detail17trampoline_kernelINS0_14default_configENS1_27scan_by_key_config_selectorIitEEZZNS1_16scan_by_key_implILNS1_25lookback_scan_determinismE0ELb1ES3_N6thrust23THRUST_200600_302600_NS6detail15normal_iteratorINS9_10device_ptrIiEEEENSB_INSC_ItEEEESG_tNS9_4plusIvEENS9_8equal_toIvEEtEE10hipError_tPvRmT2_T3_T4_T5_mT6_T7_P12ihipStream_tbENKUlT_T0_E_clISt17integral_constantIbLb1EES11_EEDaSW_SX_EUlSW_E_NS1_11comp_targetILNS1_3genE8ELNS1_11target_archE1030ELNS1_3gpuE2ELNS1_3repE0EEENS1_30default_config_static_selectorELNS0_4arch9wavefront6targetE1EEEvT1_,comdat
.Lfunc_end1552:
	.size	_ZN7rocprim17ROCPRIM_400000_NS6detail17trampoline_kernelINS0_14default_configENS1_27scan_by_key_config_selectorIitEEZZNS1_16scan_by_key_implILNS1_25lookback_scan_determinismE0ELb1ES3_N6thrust23THRUST_200600_302600_NS6detail15normal_iteratorINS9_10device_ptrIiEEEENSB_INSC_ItEEEESG_tNS9_4plusIvEENS9_8equal_toIvEEtEE10hipError_tPvRmT2_T3_T4_T5_mT6_T7_P12ihipStream_tbENKUlT_T0_E_clISt17integral_constantIbLb1EES11_EEDaSW_SX_EUlSW_E_NS1_11comp_targetILNS1_3genE8ELNS1_11target_archE1030ELNS1_3gpuE2ELNS1_3repE0EEENS1_30default_config_static_selectorELNS0_4arch9wavefront6targetE1EEEvT1_, .Lfunc_end1552-_ZN7rocprim17ROCPRIM_400000_NS6detail17trampoline_kernelINS0_14default_configENS1_27scan_by_key_config_selectorIitEEZZNS1_16scan_by_key_implILNS1_25lookback_scan_determinismE0ELb1ES3_N6thrust23THRUST_200600_302600_NS6detail15normal_iteratorINS9_10device_ptrIiEEEENSB_INSC_ItEEEESG_tNS9_4plusIvEENS9_8equal_toIvEEtEE10hipError_tPvRmT2_T3_T4_T5_mT6_T7_P12ihipStream_tbENKUlT_T0_E_clISt17integral_constantIbLb1EES11_EEDaSW_SX_EUlSW_E_NS1_11comp_targetILNS1_3genE8ELNS1_11target_archE1030ELNS1_3gpuE2ELNS1_3repE0EEENS1_30default_config_static_selectorELNS0_4arch9wavefront6targetE1EEEvT1_
                                        ; -- End function
	.section	.AMDGPU.csdata,"",@progbits
; Kernel info:
; codeLenInByte = 0
; NumSgprs: 6
; NumVgprs: 0
; NumAgprs: 0
; TotalNumVgprs: 0
; ScratchSize: 0
; MemoryBound: 0
; FloatMode: 240
; IeeeMode: 1
; LDSByteSize: 0 bytes/workgroup (compile time only)
; SGPRBlocks: 0
; VGPRBlocks: 0
; NumSGPRsForWavesPerEU: 6
; NumVGPRsForWavesPerEU: 1
; AccumOffset: 4
; Occupancy: 8
; WaveLimiterHint : 0
; COMPUTE_PGM_RSRC2:SCRATCH_EN: 0
; COMPUTE_PGM_RSRC2:USER_SGPR: 2
; COMPUTE_PGM_RSRC2:TRAP_HANDLER: 0
; COMPUTE_PGM_RSRC2:TGID_X_EN: 1
; COMPUTE_PGM_RSRC2:TGID_Y_EN: 0
; COMPUTE_PGM_RSRC2:TGID_Z_EN: 0
; COMPUTE_PGM_RSRC2:TIDIG_COMP_CNT: 0
; COMPUTE_PGM_RSRC3_GFX90A:ACCUM_OFFSET: 0
; COMPUTE_PGM_RSRC3_GFX90A:TG_SPLIT: 0
	.section	.text._ZN7rocprim17ROCPRIM_400000_NS6detail17trampoline_kernelINS0_14default_configENS1_27scan_by_key_config_selectorIitEEZZNS1_16scan_by_key_implILNS1_25lookback_scan_determinismE0ELb1ES3_N6thrust23THRUST_200600_302600_NS6detail15normal_iteratorINS9_10device_ptrIiEEEENSB_INSC_ItEEEESG_tNS9_4plusIvEENS9_8equal_toIvEEtEE10hipError_tPvRmT2_T3_T4_T5_mT6_T7_P12ihipStream_tbENKUlT_T0_E_clISt17integral_constantIbLb1EES10_IbLb0EEEEDaSW_SX_EUlSW_E_NS1_11comp_targetILNS1_3genE0ELNS1_11target_archE4294967295ELNS1_3gpuE0ELNS1_3repE0EEENS1_30default_config_static_selectorELNS0_4arch9wavefront6targetE1EEEvT1_,"axG",@progbits,_ZN7rocprim17ROCPRIM_400000_NS6detail17trampoline_kernelINS0_14default_configENS1_27scan_by_key_config_selectorIitEEZZNS1_16scan_by_key_implILNS1_25lookback_scan_determinismE0ELb1ES3_N6thrust23THRUST_200600_302600_NS6detail15normal_iteratorINS9_10device_ptrIiEEEENSB_INSC_ItEEEESG_tNS9_4plusIvEENS9_8equal_toIvEEtEE10hipError_tPvRmT2_T3_T4_T5_mT6_T7_P12ihipStream_tbENKUlT_T0_E_clISt17integral_constantIbLb1EES10_IbLb0EEEEDaSW_SX_EUlSW_E_NS1_11comp_targetILNS1_3genE0ELNS1_11target_archE4294967295ELNS1_3gpuE0ELNS1_3repE0EEENS1_30default_config_static_selectorELNS0_4arch9wavefront6targetE1EEEvT1_,comdat
	.protected	_ZN7rocprim17ROCPRIM_400000_NS6detail17trampoline_kernelINS0_14default_configENS1_27scan_by_key_config_selectorIitEEZZNS1_16scan_by_key_implILNS1_25lookback_scan_determinismE0ELb1ES3_N6thrust23THRUST_200600_302600_NS6detail15normal_iteratorINS9_10device_ptrIiEEEENSB_INSC_ItEEEESG_tNS9_4plusIvEENS9_8equal_toIvEEtEE10hipError_tPvRmT2_T3_T4_T5_mT6_T7_P12ihipStream_tbENKUlT_T0_E_clISt17integral_constantIbLb1EES10_IbLb0EEEEDaSW_SX_EUlSW_E_NS1_11comp_targetILNS1_3genE0ELNS1_11target_archE4294967295ELNS1_3gpuE0ELNS1_3repE0EEENS1_30default_config_static_selectorELNS0_4arch9wavefront6targetE1EEEvT1_ ; -- Begin function _ZN7rocprim17ROCPRIM_400000_NS6detail17trampoline_kernelINS0_14default_configENS1_27scan_by_key_config_selectorIitEEZZNS1_16scan_by_key_implILNS1_25lookback_scan_determinismE0ELb1ES3_N6thrust23THRUST_200600_302600_NS6detail15normal_iteratorINS9_10device_ptrIiEEEENSB_INSC_ItEEEESG_tNS9_4plusIvEENS9_8equal_toIvEEtEE10hipError_tPvRmT2_T3_T4_T5_mT6_T7_P12ihipStream_tbENKUlT_T0_E_clISt17integral_constantIbLb1EES10_IbLb0EEEEDaSW_SX_EUlSW_E_NS1_11comp_targetILNS1_3genE0ELNS1_11target_archE4294967295ELNS1_3gpuE0ELNS1_3repE0EEENS1_30default_config_static_selectorELNS0_4arch9wavefront6targetE1EEEvT1_
	.globl	_ZN7rocprim17ROCPRIM_400000_NS6detail17trampoline_kernelINS0_14default_configENS1_27scan_by_key_config_selectorIitEEZZNS1_16scan_by_key_implILNS1_25lookback_scan_determinismE0ELb1ES3_N6thrust23THRUST_200600_302600_NS6detail15normal_iteratorINS9_10device_ptrIiEEEENSB_INSC_ItEEEESG_tNS9_4plusIvEENS9_8equal_toIvEEtEE10hipError_tPvRmT2_T3_T4_T5_mT6_T7_P12ihipStream_tbENKUlT_T0_E_clISt17integral_constantIbLb1EES10_IbLb0EEEEDaSW_SX_EUlSW_E_NS1_11comp_targetILNS1_3genE0ELNS1_11target_archE4294967295ELNS1_3gpuE0ELNS1_3repE0EEENS1_30default_config_static_selectorELNS0_4arch9wavefront6targetE1EEEvT1_
	.p2align	8
	.type	_ZN7rocprim17ROCPRIM_400000_NS6detail17trampoline_kernelINS0_14default_configENS1_27scan_by_key_config_selectorIitEEZZNS1_16scan_by_key_implILNS1_25lookback_scan_determinismE0ELb1ES3_N6thrust23THRUST_200600_302600_NS6detail15normal_iteratorINS9_10device_ptrIiEEEENSB_INSC_ItEEEESG_tNS9_4plusIvEENS9_8equal_toIvEEtEE10hipError_tPvRmT2_T3_T4_T5_mT6_T7_P12ihipStream_tbENKUlT_T0_E_clISt17integral_constantIbLb1EES10_IbLb0EEEEDaSW_SX_EUlSW_E_NS1_11comp_targetILNS1_3genE0ELNS1_11target_archE4294967295ELNS1_3gpuE0ELNS1_3repE0EEENS1_30default_config_static_selectorELNS0_4arch9wavefront6targetE1EEEvT1_,@function
_ZN7rocprim17ROCPRIM_400000_NS6detail17trampoline_kernelINS0_14default_configENS1_27scan_by_key_config_selectorIitEEZZNS1_16scan_by_key_implILNS1_25lookback_scan_determinismE0ELb1ES3_N6thrust23THRUST_200600_302600_NS6detail15normal_iteratorINS9_10device_ptrIiEEEENSB_INSC_ItEEEESG_tNS9_4plusIvEENS9_8equal_toIvEEtEE10hipError_tPvRmT2_T3_T4_T5_mT6_T7_P12ihipStream_tbENKUlT_T0_E_clISt17integral_constantIbLb1EES10_IbLb0EEEEDaSW_SX_EUlSW_E_NS1_11comp_targetILNS1_3genE0ELNS1_11target_archE4294967295ELNS1_3gpuE0ELNS1_3repE0EEENS1_30default_config_static_selectorELNS0_4arch9wavefront6targetE1EEEvT1_: ; @_ZN7rocprim17ROCPRIM_400000_NS6detail17trampoline_kernelINS0_14default_configENS1_27scan_by_key_config_selectorIitEEZZNS1_16scan_by_key_implILNS1_25lookback_scan_determinismE0ELb1ES3_N6thrust23THRUST_200600_302600_NS6detail15normal_iteratorINS9_10device_ptrIiEEEENSB_INSC_ItEEEESG_tNS9_4plusIvEENS9_8equal_toIvEEtEE10hipError_tPvRmT2_T3_T4_T5_mT6_T7_P12ihipStream_tbENKUlT_T0_E_clISt17integral_constantIbLb1EES10_IbLb0EEEEDaSW_SX_EUlSW_E_NS1_11comp_targetILNS1_3genE0ELNS1_11target_archE4294967295ELNS1_3gpuE0ELNS1_3repE0EEENS1_30default_config_static_selectorELNS0_4arch9wavefront6targetE1EEEvT1_
; %bb.0:
	.section	.rodata,"a",@progbits
	.p2align	6, 0x0
	.amdhsa_kernel _ZN7rocprim17ROCPRIM_400000_NS6detail17trampoline_kernelINS0_14default_configENS1_27scan_by_key_config_selectorIitEEZZNS1_16scan_by_key_implILNS1_25lookback_scan_determinismE0ELb1ES3_N6thrust23THRUST_200600_302600_NS6detail15normal_iteratorINS9_10device_ptrIiEEEENSB_INSC_ItEEEESG_tNS9_4plusIvEENS9_8equal_toIvEEtEE10hipError_tPvRmT2_T3_T4_T5_mT6_T7_P12ihipStream_tbENKUlT_T0_E_clISt17integral_constantIbLb1EES10_IbLb0EEEEDaSW_SX_EUlSW_E_NS1_11comp_targetILNS1_3genE0ELNS1_11target_archE4294967295ELNS1_3gpuE0ELNS1_3repE0EEENS1_30default_config_static_selectorELNS0_4arch9wavefront6targetE1EEEvT1_
		.amdhsa_group_segment_fixed_size 0
		.amdhsa_private_segment_fixed_size 0
		.amdhsa_kernarg_size 112
		.amdhsa_user_sgpr_count 2
		.amdhsa_user_sgpr_dispatch_ptr 0
		.amdhsa_user_sgpr_queue_ptr 0
		.amdhsa_user_sgpr_kernarg_segment_ptr 1
		.amdhsa_user_sgpr_dispatch_id 0
		.amdhsa_user_sgpr_kernarg_preload_length 0
		.amdhsa_user_sgpr_kernarg_preload_offset 0
		.amdhsa_user_sgpr_private_segment_size 0
		.amdhsa_uses_dynamic_stack 0
		.amdhsa_enable_private_segment 0
		.amdhsa_system_sgpr_workgroup_id_x 1
		.amdhsa_system_sgpr_workgroup_id_y 0
		.amdhsa_system_sgpr_workgroup_id_z 0
		.amdhsa_system_sgpr_workgroup_info 0
		.amdhsa_system_vgpr_workitem_id 0
		.amdhsa_next_free_vgpr 1
		.amdhsa_next_free_sgpr 0
		.amdhsa_accum_offset 4
		.amdhsa_reserve_vcc 0
		.amdhsa_float_round_mode_32 0
		.amdhsa_float_round_mode_16_64 0
		.amdhsa_float_denorm_mode_32 3
		.amdhsa_float_denorm_mode_16_64 3
		.amdhsa_dx10_clamp 1
		.amdhsa_ieee_mode 1
		.amdhsa_fp16_overflow 0
		.amdhsa_tg_split 0
		.amdhsa_exception_fp_ieee_invalid_op 0
		.amdhsa_exception_fp_denorm_src 0
		.amdhsa_exception_fp_ieee_div_zero 0
		.amdhsa_exception_fp_ieee_overflow 0
		.amdhsa_exception_fp_ieee_underflow 0
		.amdhsa_exception_fp_ieee_inexact 0
		.amdhsa_exception_int_div_zero 0
	.end_amdhsa_kernel
	.section	.text._ZN7rocprim17ROCPRIM_400000_NS6detail17trampoline_kernelINS0_14default_configENS1_27scan_by_key_config_selectorIitEEZZNS1_16scan_by_key_implILNS1_25lookback_scan_determinismE0ELb1ES3_N6thrust23THRUST_200600_302600_NS6detail15normal_iteratorINS9_10device_ptrIiEEEENSB_INSC_ItEEEESG_tNS9_4plusIvEENS9_8equal_toIvEEtEE10hipError_tPvRmT2_T3_T4_T5_mT6_T7_P12ihipStream_tbENKUlT_T0_E_clISt17integral_constantIbLb1EES10_IbLb0EEEEDaSW_SX_EUlSW_E_NS1_11comp_targetILNS1_3genE0ELNS1_11target_archE4294967295ELNS1_3gpuE0ELNS1_3repE0EEENS1_30default_config_static_selectorELNS0_4arch9wavefront6targetE1EEEvT1_,"axG",@progbits,_ZN7rocprim17ROCPRIM_400000_NS6detail17trampoline_kernelINS0_14default_configENS1_27scan_by_key_config_selectorIitEEZZNS1_16scan_by_key_implILNS1_25lookback_scan_determinismE0ELb1ES3_N6thrust23THRUST_200600_302600_NS6detail15normal_iteratorINS9_10device_ptrIiEEEENSB_INSC_ItEEEESG_tNS9_4plusIvEENS9_8equal_toIvEEtEE10hipError_tPvRmT2_T3_T4_T5_mT6_T7_P12ihipStream_tbENKUlT_T0_E_clISt17integral_constantIbLb1EES10_IbLb0EEEEDaSW_SX_EUlSW_E_NS1_11comp_targetILNS1_3genE0ELNS1_11target_archE4294967295ELNS1_3gpuE0ELNS1_3repE0EEENS1_30default_config_static_selectorELNS0_4arch9wavefront6targetE1EEEvT1_,comdat
.Lfunc_end1553:
	.size	_ZN7rocprim17ROCPRIM_400000_NS6detail17trampoline_kernelINS0_14default_configENS1_27scan_by_key_config_selectorIitEEZZNS1_16scan_by_key_implILNS1_25lookback_scan_determinismE0ELb1ES3_N6thrust23THRUST_200600_302600_NS6detail15normal_iteratorINS9_10device_ptrIiEEEENSB_INSC_ItEEEESG_tNS9_4plusIvEENS9_8equal_toIvEEtEE10hipError_tPvRmT2_T3_T4_T5_mT6_T7_P12ihipStream_tbENKUlT_T0_E_clISt17integral_constantIbLb1EES10_IbLb0EEEEDaSW_SX_EUlSW_E_NS1_11comp_targetILNS1_3genE0ELNS1_11target_archE4294967295ELNS1_3gpuE0ELNS1_3repE0EEENS1_30default_config_static_selectorELNS0_4arch9wavefront6targetE1EEEvT1_, .Lfunc_end1553-_ZN7rocprim17ROCPRIM_400000_NS6detail17trampoline_kernelINS0_14default_configENS1_27scan_by_key_config_selectorIitEEZZNS1_16scan_by_key_implILNS1_25lookback_scan_determinismE0ELb1ES3_N6thrust23THRUST_200600_302600_NS6detail15normal_iteratorINS9_10device_ptrIiEEEENSB_INSC_ItEEEESG_tNS9_4plusIvEENS9_8equal_toIvEEtEE10hipError_tPvRmT2_T3_T4_T5_mT6_T7_P12ihipStream_tbENKUlT_T0_E_clISt17integral_constantIbLb1EES10_IbLb0EEEEDaSW_SX_EUlSW_E_NS1_11comp_targetILNS1_3genE0ELNS1_11target_archE4294967295ELNS1_3gpuE0ELNS1_3repE0EEENS1_30default_config_static_selectorELNS0_4arch9wavefront6targetE1EEEvT1_
                                        ; -- End function
	.section	.AMDGPU.csdata,"",@progbits
; Kernel info:
; codeLenInByte = 0
; NumSgprs: 6
; NumVgprs: 0
; NumAgprs: 0
; TotalNumVgprs: 0
; ScratchSize: 0
; MemoryBound: 0
; FloatMode: 240
; IeeeMode: 1
; LDSByteSize: 0 bytes/workgroup (compile time only)
; SGPRBlocks: 0
; VGPRBlocks: 0
; NumSGPRsForWavesPerEU: 6
; NumVGPRsForWavesPerEU: 1
; AccumOffset: 4
; Occupancy: 8
; WaveLimiterHint : 0
; COMPUTE_PGM_RSRC2:SCRATCH_EN: 0
; COMPUTE_PGM_RSRC2:USER_SGPR: 2
; COMPUTE_PGM_RSRC2:TRAP_HANDLER: 0
; COMPUTE_PGM_RSRC2:TGID_X_EN: 1
; COMPUTE_PGM_RSRC2:TGID_Y_EN: 0
; COMPUTE_PGM_RSRC2:TGID_Z_EN: 0
; COMPUTE_PGM_RSRC2:TIDIG_COMP_CNT: 0
; COMPUTE_PGM_RSRC3_GFX90A:ACCUM_OFFSET: 0
; COMPUTE_PGM_RSRC3_GFX90A:TG_SPLIT: 0
	.section	.text._ZN7rocprim17ROCPRIM_400000_NS6detail17trampoline_kernelINS0_14default_configENS1_27scan_by_key_config_selectorIitEEZZNS1_16scan_by_key_implILNS1_25lookback_scan_determinismE0ELb1ES3_N6thrust23THRUST_200600_302600_NS6detail15normal_iteratorINS9_10device_ptrIiEEEENSB_INSC_ItEEEESG_tNS9_4plusIvEENS9_8equal_toIvEEtEE10hipError_tPvRmT2_T3_T4_T5_mT6_T7_P12ihipStream_tbENKUlT_T0_E_clISt17integral_constantIbLb1EES10_IbLb0EEEEDaSW_SX_EUlSW_E_NS1_11comp_targetILNS1_3genE10ELNS1_11target_archE1201ELNS1_3gpuE5ELNS1_3repE0EEENS1_30default_config_static_selectorELNS0_4arch9wavefront6targetE1EEEvT1_,"axG",@progbits,_ZN7rocprim17ROCPRIM_400000_NS6detail17trampoline_kernelINS0_14default_configENS1_27scan_by_key_config_selectorIitEEZZNS1_16scan_by_key_implILNS1_25lookback_scan_determinismE0ELb1ES3_N6thrust23THRUST_200600_302600_NS6detail15normal_iteratorINS9_10device_ptrIiEEEENSB_INSC_ItEEEESG_tNS9_4plusIvEENS9_8equal_toIvEEtEE10hipError_tPvRmT2_T3_T4_T5_mT6_T7_P12ihipStream_tbENKUlT_T0_E_clISt17integral_constantIbLb1EES10_IbLb0EEEEDaSW_SX_EUlSW_E_NS1_11comp_targetILNS1_3genE10ELNS1_11target_archE1201ELNS1_3gpuE5ELNS1_3repE0EEENS1_30default_config_static_selectorELNS0_4arch9wavefront6targetE1EEEvT1_,comdat
	.protected	_ZN7rocprim17ROCPRIM_400000_NS6detail17trampoline_kernelINS0_14default_configENS1_27scan_by_key_config_selectorIitEEZZNS1_16scan_by_key_implILNS1_25lookback_scan_determinismE0ELb1ES3_N6thrust23THRUST_200600_302600_NS6detail15normal_iteratorINS9_10device_ptrIiEEEENSB_INSC_ItEEEESG_tNS9_4plusIvEENS9_8equal_toIvEEtEE10hipError_tPvRmT2_T3_T4_T5_mT6_T7_P12ihipStream_tbENKUlT_T0_E_clISt17integral_constantIbLb1EES10_IbLb0EEEEDaSW_SX_EUlSW_E_NS1_11comp_targetILNS1_3genE10ELNS1_11target_archE1201ELNS1_3gpuE5ELNS1_3repE0EEENS1_30default_config_static_selectorELNS0_4arch9wavefront6targetE1EEEvT1_ ; -- Begin function _ZN7rocprim17ROCPRIM_400000_NS6detail17trampoline_kernelINS0_14default_configENS1_27scan_by_key_config_selectorIitEEZZNS1_16scan_by_key_implILNS1_25lookback_scan_determinismE0ELb1ES3_N6thrust23THRUST_200600_302600_NS6detail15normal_iteratorINS9_10device_ptrIiEEEENSB_INSC_ItEEEESG_tNS9_4plusIvEENS9_8equal_toIvEEtEE10hipError_tPvRmT2_T3_T4_T5_mT6_T7_P12ihipStream_tbENKUlT_T0_E_clISt17integral_constantIbLb1EES10_IbLb0EEEEDaSW_SX_EUlSW_E_NS1_11comp_targetILNS1_3genE10ELNS1_11target_archE1201ELNS1_3gpuE5ELNS1_3repE0EEENS1_30default_config_static_selectorELNS0_4arch9wavefront6targetE1EEEvT1_
	.globl	_ZN7rocprim17ROCPRIM_400000_NS6detail17trampoline_kernelINS0_14default_configENS1_27scan_by_key_config_selectorIitEEZZNS1_16scan_by_key_implILNS1_25lookback_scan_determinismE0ELb1ES3_N6thrust23THRUST_200600_302600_NS6detail15normal_iteratorINS9_10device_ptrIiEEEENSB_INSC_ItEEEESG_tNS9_4plusIvEENS9_8equal_toIvEEtEE10hipError_tPvRmT2_T3_T4_T5_mT6_T7_P12ihipStream_tbENKUlT_T0_E_clISt17integral_constantIbLb1EES10_IbLb0EEEEDaSW_SX_EUlSW_E_NS1_11comp_targetILNS1_3genE10ELNS1_11target_archE1201ELNS1_3gpuE5ELNS1_3repE0EEENS1_30default_config_static_selectorELNS0_4arch9wavefront6targetE1EEEvT1_
	.p2align	8
	.type	_ZN7rocprim17ROCPRIM_400000_NS6detail17trampoline_kernelINS0_14default_configENS1_27scan_by_key_config_selectorIitEEZZNS1_16scan_by_key_implILNS1_25lookback_scan_determinismE0ELb1ES3_N6thrust23THRUST_200600_302600_NS6detail15normal_iteratorINS9_10device_ptrIiEEEENSB_INSC_ItEEEESG_tNS9_4plusIvEENS9_8equal_toIvEEtEE10hipError_tPvRmT2_T3_T4_T5_mT6_T7_P12ihipStream_tbENKUlT_T0_E_clISt17integral_constantIbLb1EES10_IbLb0EEEEDaSW_SX_EUlSW_E_NS1_11comp_targetILNS1_3genE10ELNS1_11target_archE1201ELNS1_3gpuE5ELNS1_3repE0EEENS1_30default_config_static_selectorELNS0_4arch9wavefront6targetE1EEEvT1_,@function
_ZN7rocprim17ROCPRIM_400000_NS6detail17trampoline_kernelINS0_14default_configENS1_27scan_by_key_config_selectorIitEEZZNS1_16scan_by_key_implILNS1_25lookback_scan_determinismE0ELb1ES3_N6thrust23THRUST_200600_302600_NS6detail15normal_iteratorINS9_10device_ptrIiEEEENSB_INSC_ItEEEESG_tNS9_4plusIvEENS9_8equal_toIvEEtEE10hipError_tPvRmT2_T3_T4_T5_mT6_T7_P12ihipStream_tbENKUlT_T0_E_clISt17integral_constantIbLb1EES10_IbLb0EEEEDaSW_SX_EUlSW_E_NS1_11comp_targetILNS1_3genE10ELNS1_11target_archE1201ELNS1_3gpuE5ELNS1_3repE0EEENS1_30default_config_static_selectorELNS0_4arch9wavefront6targetE1EEEvT1_: ; @_ZN7rocprim17ROCPRIM_400000_NS6detail17trampoline_kernelINS0_14default_configENS1_27scan_by_key_config_selectorIitEEZZNS1_16scan_by_key_implILNS1_25lookback_scan_determinismE0ELb1ES3_N6thrust23THRUST_200600_302600_NS6detail15normal_iteratorINS9_10device_ptrIiEEEENSB_INSC_ItEEEESG_tNS9_4plusIvEENS9_8equal_toIvEEtEE10hipError_tPvRmT2_T3_T4_T5_mT6_T7_P12ihipStream_tbENKUlT_T0_E_clISt17integral_constantIbLb1EES10_IbLb0EEEEDaSW_SX_EUlSW_E_NS1_11comp_targetILNS1_3genE10ELNS1_11target_archE1201ELNS1_3gpuE5ELNS1_3repE0EEENS1_30default_config_static_selectorELNS0_4arch9wavefront6targetE1EEEvT1_
; %bb.0:
	.section	.rodata,"a",@progbits
	.p2align	6, 0x0
	.amdhsa_kernel _ZN7rocprim17ROCPRIM_400000_NS6detail17trampoline_kernelINS0_14default_configENS1_27scan_by_key_config_selectorIitEEZZNS1_16scan_by_key_implILNS1_25lookback_scan_determinismE0ELb1ES3_N6thrust23THRUST_200600_302600_NS6detail15normal_iteratorINS9_10device_ptrIiEEEENSB_INSC_ItEEEESG_tNS9_4plusIvEENS9_8equal_toIvEEtEE10hipError_tPvRmT2_T3_T4_T5_mT6_T7_P12ihipStream_tbENKUlT_T0_E_clISt17integral_constantIbLb1EES10_IbLb0EEEEDaSW_SX_EUlSW_E_NS1_11comp_targetILNS1_3genE10ELNS1_11target_archE1201ELNS1_3gpuE5ELNS1_3repE0EEENS1_30default_config_static_selectorELNS0_4arch9wavefront6targetE1EEEvT1_
		.amdhsa_group_segment_fixed_size 0
		.amdhsa_private_segment_fixed_size 0
		.amdhsa_kernarg_size 112
		.amdhsa_user_sgpr_count 2
		.amdhsa_user_sgpr_dispatch_ptr 0
		.amdhsa_user_sgpr_queue_ptr 0
		.amdhsa_user_sgpr_kernarg_segment_ptr 1
		.amdhsa_user_sgpr_dispatch_id 0
		.amdhsa_user_sgpr_kernarg_preload_length 0
		.amdhsa_user_sgpr_kernarg_preload_offset 0
		.amdhsa_user_sgpr_private_segment_size 0
		.amdhsa_uses_dynamic_stack 0
		.amdhsa_enable_private_segment 0
		.amdhsa_system_sgpr_workgroup_id_x 1
		.amdhsa_system_sgpr_workgroup_id_y 0
		.amdhsa_system_sgpr_workgroup_id_z 0
		.amdhsa_system_sgpr_workgroup_info 0
		.amdhsa_system_vgpr_workitem_id 0
		.amdhsa_next_free_vgpr 1
		.amdhsa_next_free_sgpr 0
		.amdhsa_accum_offset 4
		.amdhsa_reserve_vcc 0
		.amdhsa_float_round_mode_32 0
		.amdhsa_float_round_mode_16_64 0
		.amdhsa_float_denorm_mode_32 3
		.amdhsa_float_denorm_mode_16_64 3
		.amdhsa_dx10_clamp 1
		.amdhsa_ieee_mode 1
		.amdhsa_fp16_overflow 0
		.amdhsa_tg_split 0
		.amdhsa_exception_fp_ieee_invalid_op 0
		.amdhsa_exception_fp_denorm_src 0
		.amdhsa_exception_fp_ieee_div_zero 0
		.amdhsa_exception_fp_ieee_overflow 0
		.amdhsa_exception_fp_ieee_underflow 0
		.amdhsa_exception_fp_ieee_inexact 0
		.amdhsa_exception_int_div_zero 0
	.end_amdhsa_kernel
	.section	.text._ZN7rocprim17ROCPRIM_400000_NS6detail17trampoline_kernelINS0_14default_configENS1_27scan_by_key_config_selectorIitEEZZNS1_16scan_by_key_implILNS1_25lookback_scan_determinismE0ELb1ES3_N6thrust23THRUST_200600_302600_NS6detail15normal_iteratorINS9_10device_ptrIiEEEENSB_INSC_ItEEEESG_tNS9_4plusIvEENS9_8equal_toIvEEtEE10hipError_tPvRmT2_T3_T4_T5_mT6_T7_P12ihipStream_tbENKUlT_T0_E_clISt17integral_constantIbLb1EES10_IbLb0EEEEDaSW_SX_EUlSW_E_NS1_11comp_targetILNS1_3genE10ELNS1_11target_archE1201ELNS1_3gpuE5ELNS1_3repE0EEENS1_30default_config_static_selectorELNS0_4arch9wavefront6targetE1EEEvT1_,"axG",@progbits,_ZN7rocprim17ROCPRIM_400000_NS6detail17trampoline_kernelINS0_14default_configENS1_27scan_by_key_config_selectorIitEEZZNS1_16scan_by_key_implILNS1_25lookback_scan_determinismE0ELb1ES3_N6thrust23THRUST_200600_302600_NS6detail15normal_iteratorINS9_10device_ptrIiEEEENSB_INSC_ItEEEESG_tNS9_4plusIvEENS9_8equal_toIvEEtEE10hipError_tPvRmT2_T3_T4_T5_mT6_T7_P12ihipStream_tbENKUlT_T0_E_clISt17integral_constantIbLb1EES10_IbLb0EEEEDaSW_SX_EUlSW_E_NS1_11comp_targetILNS1_3genE10ELNS1_11target_archE1201ELNS1_3gpuE5ELNS1_3repE0EEENS1_30default_config_static_selectorELNS0_4arch9wavefront6targetE1EEEvT1_,comdat
.Lfunc_end1554:
	.size	_ZN7rocprim17ROCPRIM_400000_NS6detail17trampoline_kernelINS0_14default_configENS1_27scan_by_key_config_selectorIitEEZZNS1_16scan_by_key_implILNS1_25lookback_scan_determinismE0ELb1ES3_N6thrust23THRUST_200600_302600_NS6detail15normal_iteratorINS9_10device_ptrIiEEEENSB_INSC_ItEEEESG_tNS9_4plusIvEENS9_8equal_toIvEEtEE10hipError_tPvRmT2_T3_T4_T5_mT6_T7_P12ihipStream_tbENKUlT_T0_E_clISt17integral_constantIbLb1EES10_IbLb0EEEEDaSW_SX_EUlSW_E_NS1_11comp_targetILNS1_3genE10ELNS1_11target_archE1201ELNS1_3gpuE5ELNS1_3repE0EEENS1_30default_config_static_selectorELNS0_4arch9wavefront6targetE1EEEvT1_, .Lfunc_end1554-_ZN7rocprim17ROCPRIM_400000_NS6detail17trampoline_kernelINS0_14default_configENS1_27scan_by_key_config_selectorIitEEZZNS1_16scan_by_key_implILNS1_25lookback_scan_determinismE0ELb1ES3_N6thrust23THRUST_200600_302600_NS6detail15normal_iteratorINS9_10device_ptrIiEEEENSB_INSC_ItEEEESG_tNS9_4plusIvEENS9_8equal_toIvEEtEE10hipError_tPvRmT2_T3_T4_T5_mT6_T7_P12ihipStream_tbENKUlT_T0_E_clISt17integral_constantIbLb1EES10_IbLb0EEEEDaSW_SX_EUlSW_E_NS1_11comp_targetILNS1_3genE10ELNS1_11target_archE1201ELNS1_3gpuE5ELNS1_3repE0EEENS1_30default_config_static_selectorELNS0_4arch9wavefront6targetE1EEEvT1_
                                        ; -- End function
	.section	.AMDGPU.csdata,"",@progbits
; Kernel info:
; codeLenInByte = 0
; NumSgprs: 6
; NumVgprs: 0
; NumAgprs: 0
; TotalNumVgprs: 0
; ScratchSize: 0
; MemoryBound: 0
; FloatMode: 240
; IeeeMode: 1
; LDSByteSize: 0 bytes/workgroup (compile time only)
; SGPRBlocks: 0
; VGPRBlocks: 0
; NumSGPRsForWavesPerEU: 6
; NumVGPRsForWavesPerEU: 1
; AccumOffset: 4
; Occupancy: 8
; WaveLimiterHint : 0
; COMPUTE_PGM_RSRC2:SCRATCH_EN: 0
; COMPUTE_PGM_RSRC2:USER_SGPR: 2
; COMPUTE_PGM_RSRC2:TRAP_HANDLER: 0
; COMPUTE_PGM_RSRC2:TGID_X_EN: 1
; COMPUTE_PGM_RSRC2:TGID_Y_EN: 0
; COMPUTE_PGM_RSRC2:TGID_Z_EN: 0
; COMPUTE_PGM_RSRC2:TIDIG_COMP_CNT: 0
; COMPUTE_PGM_RSRC3_GFX90A:ACCUM_OFFSET: 0
; COMPUTE_PGM_RSRC3_GFX90A:TG_SPLIT: 0
	.section	.text._ZN7rocprim17ROCPRIM_400000_NS6detail17trampoline_kernelINS0_14default_configENS1_27scan_by_key_config_selectorIitEEZZNS1_16scan_by_key_implILNS1_25lookback_scan_determinismE0ELb1ES3_N6thrust23THRUST_200600_302600_NS6detail15normal_iteratorINS9_10device_ptrIiEEEENSB_INSC_ItEEEESG_tNS9_4plusIvEENS9_8equal_toIvEEtEE10hipError_tPvRmT2_T3_T4_T5_mT6_T7_P12ihipStream_tbENKUlT_T0_E_clISt17integral_constantIbLb1EES10_IbLb0EEEEDaSW_SX_EUlSW_E_NS1_11comp_targetILNS1_3genE5ELNS1_11target_archE942ELNS1_3gpuE9ELNS1_3repE0EEENS1_30default_config_static_selectorELNS0_4arch9wavefront6targetE1EEEvT1_,"axG",@progbits,_ZN7rocprim17ROCPRIM_400000_NS6detail17trampoline_kernelINS0_14default_configENS1_27scan_by_key_config_selectorIitEEZZNS1_16scan_by_key_implILNS1_25lookback_scan_determinismE0ELb1ES3_N6thrust23THRUST_200600_302600_NS6detail15normal_iteratorINS9_10device_ptrIiEEEENSB_INSC_ItEEEESG_tNS9_4plusIvEENS9_8equal_toIvEEtEE10hipError_tPvRmT2_T3_T4_T5_mT6_T7_P12ihipStream_tbENKUlT_T0_E_clISt17integral_constantIbLb1EES10_IbLb0EEEEDaSW_SX_EUlSW_E_NS1_11comp_targetILNS1_3genE5ELNS1_11target_archE942ELNS1_3gpuE9ELNS1_3repE0EEENS1_30default_config_static_selectorELNS0_4arch9wavefront6targetE1EEEvT1_,comdat
	.protected	_ZN7rocprim17ROCPRIM_400000_NS6detail17trampoline_kernelINS0_14default_configENS1_27scan_by_key_config_selectorIitEEZZNS1_16scan_by_key_implILNS1_25lookback_scan_determinismE0ELb1ES3_N6thrust23THRUST_200600_302600_NS6detail15normal_iteratorINS9_10device_ptrIiEEEENSB_INSC_ItEEEESG_tNS9_4plusIvEENS9_8equal_toIvEEtEE10hipError_tPvRmT2_T3_T4_T5_mT6_T7_P12ihipStream_tbENKUlT_T0_E_clISt17integral_constantIbLb1EES10_IbLb0EEEEDaSW_SX_EUlSW_E_NS1_11comp_targetILNS1_3genE5ELNS1_11target_archE942ELNS1_3gpuE9ELNS1_3repE0EEENS1_30default_config_static_selectorELNS0_4arch9wavefront6targetE1EEEvT1_ ; -- Begin function _ZN7rocprim17ROCPRIM_400000_NS6detail17trampoline_kernelINS0_14default_configENS1_27scan_by_key_config_selectorIitEEZZNS1_16scan_by_key_implILNS1_25lookback_scan_determinismE0ELb1ES3_N6thrust23THRUST_200600_302600_NS6detail15normal_iteratorINS9_10device_ptrIiEEEENSB_INSC_ItEEEESG_tNS9_4plusIvEENS9_8equal_toIvEEtEE10hipError_tPvRmT2_T3_T4_T5_mT6_T7_P12ihipStream_tbENKUlT_T0_E_clISt17integral_constantIbLb1EES10_IbLb0EEEEDaSW_SX_EUlSW_E_NS1_11comp_targetILNS1_3genE5ELNS1_11target_archE942ELNS1_3gpuE9ELNS1_3repE0EEENS1_30default_config_static_selectorELNS0_4arch9wavefront6targetE1EEEvT1_
	.globl	_ZN7rocprim17ROCPRIM_400000_NS6detail17trampoline_kernelINS0_14default_configENS1_27scan_by_key_config_selectorIitEEZZNS1_16scan_by_key_implILNS1_25lookback_scan_determinismE0ELb1ES3_N6thrust23THRUST_200600_302600_NS6detail15normal_iteratorINS9_10device_ptrIiEEEENSB_INSC_ItEEEESG_tNS9_4plusIvEENS9_8equal_toIvEEtEE10hipError_tPvRmT2_T3_T4_T5_mT6_T7_P12ihipStream_tbENKUlT_T0_E_clISt17integral_constantIbLb1EES10_IbLb0EEEEDaSW_SX_EUlSW_E_NS1_11comp_targetILNS1_3genE5ELNS1_11target_archE942ELNS1_3gpuE9ELNS1_3repE0EEENS1_30default_config_static_selectorELNS0_4arch9wavefront6targetE1EEEvT1_
	.p2align	8
	.type	_ZN7rocprim17ROCPRIM_400000_NS6detail17trampoline_kernelINS0_14default_configENS1_27scan_by_key_config_selectorIitEEZZNS1_16scan_by_key_implILNS1_25lookback_scan_determinismE0ELb1ES3_N6thrust23THRUST_200600_302600_NS6detail15normal_iteratorINS9_10device_ptrIiEEEENSB_INSC_ItEEEESG_tNS9_4plusIvEENS9_8equal_toIvEEtEE10hipError_tPvRmT2_T3_T4_T5_mT6_T7_P12ihipStream_tbENKUlT_T0_E_clISt17integral_constantIbLb1EES10_IbLb0EEEEDaSW_SX_EUlSW_E_NS1_11comp_targetILNS1_3genE5ELNS1_11target_archE942ELNS1_3gpuE9ELNS1_3repE0EEENS1_30default_config_static_selectorELNS0_4arch9wavefront6targetE1EEEvT1_,@function
_ZN7rocprim17ROCPRIM_400000_NS6detail17trampoline_kernelINS0_14default_configENS1_27scan_by_key_config_selectorIitEEZZNS1_16scan_by_key_implILNS1_25lookback_scan_determinismE0ELb1ES3_N6thrust23THRUST_200600_302600_NS6detail15normal_iteratorINS9_10device_ptrIiEEEENSB_INSC_ItEEEESG_tNS9_4plusIvEENS9_8equal_toIvEEtEE10hipError_tPvRmT2_T3_T4_T5_mT6_T7_P12ihipStream_tbENKUlT_T0_E_clISt17integral_constantIbLb1EES10_IbLb0EEEEDaSW_SX_EUlSW_E_NS1_11comp_targetILNS1_3genE5ELNS1_11target_archE942ELNS1_3gpuE9ELNS1_3repE0EEENS1_30default_config_static_selectorELNS0_4arch9wavefront6targetE1EEEvT1_: ; @_ZN7rocprim17ROCPRIM_400000_NS6detail17trampoline_kernelINS0_14default_configENS1_27scan_by_key_config_selectorIitEEZZNS1_16scan_by_key_implILNS1_25lookback_scan_determinismE0ELb1ES3_N6thrust23THRUST_200600_302600_NS6detail15normal_iteratorINS9_10device_ptrIiEEEENSB_INSC_ItEEEESG_tNS9_4plusIvEENS9_8equal_toIvEEtEE10hipError_tPvRmT2_T3_T4_T5_mT6_T7_P12ihipStream_tbENKUlT_T0_E_clISt17integral_constantIbLb1EES10_IbLb0EEEEDaSW_SX_EUlSW_E_NS1_11comp_targetILNS1_3genE5ELNS1_11target_archE942ELNS1_3gpuE9ELNS1_3repE0EEENS1_30default_config_static_selectorELNS0_4arch9wavefront6targetE1EEEvT1_
; %bb.0:
	s_load_dwordx8 s[48:55], s[0:1], 0x0
	s_load_dword s80, s[0:1], 0x20
	s_load_dwordx4 s[56:59], s[0:1], 0x28
	s_load_dwordx2 s[68:69], s[0:1], 0x38
	s_load_dword s3, s[0:1], 0x40
	s_load_dwordx4 s[60:63], s[0:1], 0x48
	s_waitcnt lgkmcnt(0)
	s_lshl_b64 s[0:1], s[50:51], 2
	s_add_u32 s6, s48, s0
	s_addc_u32 s7, s49, s1
	s_lshl_b64 s[64:65], s[50:51], 1
	s_add_u32 s8, s52, s64
	s_mul_i32 s0, s69, s3
	s_mul_hi_u32 s1, s68, s3
	s_addc_u32 s9, s53, s65
	s_add_i32 s10, s1, s0
	s_mul_i32 s0, s2, 0x1800
	s_mov_b32 s1, 0
	s_lshl_b64 s[4:5], s[0:1], 2
	s_add_u32 s72, s6, s4
	s_addc_u32 s73, s7, s5
	s_lshl_b64 s[66:67], s[0:1], 1
	s_add_u32 s70, s8, s66
	s_mul_i32 s3, s68, s3
	s_addc_u32 s71, s9, s67
	s_add_u32 s0, s3, s2
	s_addc_u32 s1, s10, 0
	s_add_u32 s4, s60, -1
	s_addc_u32 s5, s61, -1
	v_mov_b64_e32 v[2:3], s[4:5]
	v_cmp_ge_u64_e64 s[0:1], s[0:1], v[2:3]
	s_mov_b64 s[20:21], -1
	s_and_b64 vcc, exec, s[0:1]
	s_mul_i32 s33, s4, 0xffffe800
	s_barrier
	s_cbranch_vccz .LBB1555_126
; %bb.1:
	v_mov_b64_e32 v[2:3], s[72:73]
	flat_load_dword v2, v[2:3]
	s_add_i32 s3, s33, s58
	v_cmp_gt_u32_e32 vcc, s3, v0
	s_waitcnt vmcnt(0) lgkmcnt(0)
	v_mov_b32_e32 v3, v2
	s_and_saveexec_b64 s[4:5], vcc
	s_cbranch_execz .LBB1555_3
; %bb.2:
	v_lshlrev_b32_e32 v4, 2, v0
	v_mov_b32_e32 v5, 0
	v_lshl_add_u64 v[4:5], s[72:73], 0, v[4:5]
	flat_load_dword v3, v[4:5]
.LBB1555_3:
	s_or_b64 exec, exec, s[4:5]
	v_or_b32_e32 v1, 0x100, v0
	v_cmp_gt_u32_e64 s[50:51], s3, v1
	v_mov_b32_e32 v19, v2
	s_and_saveexec_b64 s[4:5], s[50:51]
	s_cbranch_execz .LBB1555_5
; %bb.4:
	v_lshlrev_b32_e32 v4, 2, v0
	v_mov_b32_e32 v5, 0
	v_lshl_add_u64 v[4:5], s[72:73], 0, v[4:5]
	flat_load_dword v19, v[4:5] offset:1024
.LBB1555_5:
	s_or_b64 exec, exec, s[4:5]
	v_or_b32_e32 v1, 0x200, v0
	v_cmp_gt_u32_e64 s[4:5], s3, v1
	v_mov_b32_e32 v20, v2
	s_and_saveexec_b64 s[6:7], s[4:5]
	s_cbranch_execz .LBB1555_7
; %bb.6:
	v_lshlrev_b32_e32 v4, 2, v0
	v_mov_b32_e32 v5, 0
	v_lshl_add_u64 v[4:5], s[72:73], 0, v[4:5]
	flat_load_dword v20, v[4:5] offset:2048
.LBB1555_7:
	;; [unrolled: 12-line block ×3, first 2 shown]
	s_or_b64 exec, exec, s[8:9]
	v_or_b32_e32 v1, 0x400, v0
	v_cmp_gt_u32_e64 s[8:9], s3, v1
	v_mov_b32_e32 v22, v2
	s_and_saveexec_b64 s[10:11], s[8:9]
	s_cbranch_execz .LBB1555_11
; %bb.10:
	v_lshlrev_b32_e32 v4, 2, v1
	v_mov_b32_e32 v5, 0
	v_lshl_add_u64 v[4:5], s[72:73], 0, v[4:5]
	flat_load_dword v22, v[4:5]
.LBB1555_11:
	s_or_b64 exec, exec, s[10:11]
	v_or_b32_e32 v1, 0x500, v0
	v_cmp_gt_u32_e64 s[10:11], s3, v1
	v_mov_b32_e32 v23, v2
	s_and_saveexec_b64 s[12:13], s[10:11]
	s_cbranch_execz .LBB1555_13
; %bb.12:
	v_lshlrev_b32_e32 v4, 2, v1
	v_mov_b32_e32 v5, 0
	v_lshl_add_u64 v[4:5], s[72:73], 0, v[4:5]
	flat_load_dword v23, v[4:5]
.LBB1555_13:
	;; [unrolled: 12-line block ×19, first 2 shown]
	s_or_b64 exec, exec, s[48:49]
	v_or_b32_e32 v18, 0x1700, v0
	v_cmp_gt_u32_e64 s[48:49], s3, v18
	s_and_saveexec_b64 s[52:53], s[48:49]
	s_cbranch_execz .LBB1555_49
; %bb.48:
	v_lshlrev_b32_e32 v42, 2, v18
	v_mov_b32_e32 v43, 0
	v_lshl_add_u64 v[42:43], s[72:73], 0, v[42:43]
	flat_load_dword v2, v[42:43]
.LBB1555_49:
	s_or_b64 exec, exec, s[52:53]
	v_lshlrev_b32_e32 v46, 2, v0
	s_waitcnt vmcnt(0) lgkmcnt(0)
	ds_write2st64_b32 v46, v3, v19 offset1:4
	ds_write2st64_b32 v46, v20, v21 offset0:8 offset1:12
	ds_write2st64_b32 v46, v22, v23 offset0:16 offset1:20
	;; [unrolled: 1-line block ×11, first 2 shown]
	v_mov_b64_e32 v[2:3], s[72:73]
	s_waitcnt lgkmcnt(0)
	s_barrier
	flat_load_dword v52, v[2:3]
	s_movk_i32 s52, 0x5c
	v_mad_u32_u24 v2, v0, s52, v46
	s_movk_i32 s52, 0xffa4
	v_mad_i32_i24 v19, v0, s52, v2
	s_movk_i32 s52, 0xff
	v_cmp_ne_u32_e64 s[52:53], s52, v0
	ds_read_b128 v[42:45], v2
	ds_read_b128 v[38:41], v2 offset:16
	ds_read_b128 v[34:37], v2 offset:32
	;; [unrolled: 1-line block ×5, first 2 shown]
	s_waitcnt lgkmcnt(0)
	ds_write_b32 v19, v42 offset:25600
	s_waitcnt lgkmcnt(0)
	s_barrier
	s_and_saveexec_b64 s[60:61], s[52:53]
	s_cbranch_execz .LBB1555_51
; %bb.50:
	s_waitcnt vmcnt(0)
	ds_read_b32 v52, v46 offset:25604
.LBB1555_51:
	s_or_b64 exec, exec, s[60:61]
	v_mov_b32_e32 v3, 0
	s_waitcnt lgkmcnt(0)
	s_barrier
	s_waitcnt lgkmcnt(0)
                                        ; implicit-def: $vgpr2
	s_and_saveexec_b64 s[52:53], vcc
	s_cbranch_execz .LBB1555_205
; %bb.52:
	v_lshlrev_b32_e32 v2, 1, v0
	v_lshl_add_u64 v[2:3], s[70:71], 0, v[2:3]
	flat_load_ushort v2, v[2:3]
	s_or_b64 exec, exec, s[52:53]
                                        ; implicit-def: $vgpr3
	s_and_saveexec_b64 s[52:53], s[50:51]
	s_cbranch_execnz .LBB1555_206
.LBB1555_53:
	s_or_b64 exec, exec, s[52:53]
                                        ; implicit-def: $vgpr20
	s_and_saveexec_b64 s[50:51], s[4:5]
	s_cbranch_execz .LBB1555_207
.LBB1555_54:
	v_lshlrev_b32_e32 v20, 1, v0
	v_mov_b32_e32 v21, 0
	v_lshl_add_u64 v[20:21], s[70:71], 0, v[20:21]
	flat_load_ushort v20, v[20:21] offset:1024
	s_or_b64 exec, exec, s[50:51]
                                        ; implicit-def: $vgpr21
	s_and_saveexec_b64 s[4:5], s[6:7]
	s_cbranch_execnz .LBB1555_208
.LBB1555_55:
	s_or_b64 exec, exec, s[4:5]
                                        ; implicit-def: $vgpr46
	s_and_saveexec_b64 s[4:5], s[8:9]
	s_cbranch_execz .LBB1555_209
.LBB1555_56:
	v_lshlrev_b32_e32 v46, 1, v0
	v_mov_b32_e32 v47, 0
	v_lshl_add_u64 v[46:47], s[70:71], 0, v[46:47]
	flat_load_ushort v46, v[46:47] offset:2048
	s_or_b64 exec, exec, s[4:5]
                                        ; implicit-def: $vgpr47
	s_and_saveexec_b64 s[4:5], s[10:11]
	s_cbranch_execnz .LBB1555_210
.LBB1555_57:
	s_or_b64 exec, exec, s[4:5]
                                        ; implicit-def: $vgpr48
	s_and_saveexec_b64 s[4:5], s[12:13]
	s_cbranch_execz .LBB1555_211
.LBB1555_58:
	v_lshlrev_b32_e32 v48, 1, v0
	v_mov_b32_e32 v49, 0
	v_lshl_add_u64 v[48:49], s[70:71], 0, v[48:49]
	flat_load_ushort v48, v[48:49] offset:3072
	s_or_b64 exec, exec, s[4:5]
                                        ; implicit-def: $vgpr49
	s_and_saveexec_b64 s[4:5], s[14:15]
	s_cbranch_execnz .LBB1555_212
.LBB1555_59:
	s_or_b64 exec, exec, s[4:5]
                                        ; implicit-def: $vgpr50
	s_and_saveexec_b64 s[4:5], s[16:17]
	s_cbranch_execz .LBB1555_213
.LBB1555_60:
	v_lshlrev_b32_e32 v50, 1, v1
	v_mov_b32_e32 v51, 0
	v_lshl_add_u64 v[50:51], s[70:71], 0, v[50:51]
	flat_load_ushort v50, v[50:51]
	s_or_b64 exec, exec, s[4:5]
                                        ; implicit-def: $vgpr1
	s_and_saveexec_b64 s[4:5], s[18:19]
	s_cbranch_execnz .LBB1555_214
.LBB1555_61:
	s_or_b64 exec, exec, s[4:5]
                                        ; implicit-def: $vgpr4
	s_and_saveexec_b64 s[4:5], s[20:21]
	s_cbranch_execz .LBB1555_215
.LBB1555_62:
	v_lshlrev_b32_e32 v4, 1, v5
	v_mov_b32_e32 v5, 0
	v_lshl_add_u64 v[4:5], s[70:71], 0, v[4:5]
	flat_load_ushort v4, v[4:5]
	s_or_b64 exec, exec, s[4:5]
                                        ; implicit-def: $vgpr5
	s_and_saveexec_b64 s[4:5], s[22:23]
	s_cbranch_execnz .LBB1555_216
.LBB1555_63:
	s_or_b64 exec, exec, s[4:5]
                                        ; implicit-def: $vgpr6
	s_and_saveexec_b64 s[4:5], s[24:25]
	s_cbranch_execz .LBB1555_217
.LBB1555_64:
	v_lshlrev_b32_e32 v6, 1, v7
	v_mov_b32_e32 v7, 0
	v_lshl_add_u64 v[6:7], s[70:71], 0, v[6:7]
	flat_load_ushort v6, v[6:7]
	s_or_b64 exec, exec, s[4:5]
                                        ; implicit-def: $vgpr7
	s_and_saveexec_b64 s[4:5], s[26:27]
	s_cbranch_execnz .LBB1555_218
.LBB1555_65:
	s_or_b64 exec, exec, s[4:5]
                                        ; implicit-def: $vgpr8
	s_and_saveexec_b64 s[4:5], s[28:29]
	s_cbranch_execz .LBB1555_219
.LBB1555_66:
	v_lshlrev_b32_e32 v8, 1, v9
	v_mov_b32_e32 v9, 0
	v_lshl_add_u64 v[8:9], s[70:71], 0, v[8:9]
	flat_load_ushort v8, v[8:9]
	s_or_b64 exec, exec, s[4:5]
                                        ; implicit-def: $vgpr9
	s_and_saveexec_b64 s[4:5], s[30:31]
	s_cbranch_execnz .LBB1555_220
.LBB1555_67:
	s_or_b64 exec, exec, s[4:5]
                                        ; implicit-def: $vgpr10
	s_and_saveexec_b64 s[4:5], s[34:35]
	s_cbranch_execz .LBB1555_221
.LBB1555_68:
	v_lshlrev_b32_e32 v10, 1, v11
	v_mov_b32_e32 v11, 0
	v_lshl_add_u64 v[10:11], s[70:71], 0, v[10:11]
	flat_load_ushort v10, v[10:11]
	s_or_b64 exec, exec, s[4:5]
                                        ; implicit-def: $vgpr11
	s_and_saveexec_b64 s[4:5], s[36:37]
	s_cbranch_execnz .LBB1555_222
.LBB1555_69:
	s_or_b64 exec, exec, s[4:5]
                                        ; implicit-def: $vgpr12
	s_and_saveexec_b64 s[4:5], s[38:39]
	s_cbranch_execz .LBB1555_223
.LBB1555_70:
	v_lshlrev_b32_e32 v12, 1, v13
	v_mov_b32_e32 v13, 0
	v_lshl_add_u64 v[12:13], s[70:71], 0, v[12:13]
	flat_load_ushort v12, v[12:13]
	s_or_b64 exec, exec, s[4:5]
                                        ; implicit-def: $vgpr13
	s_and_saveexec_b64 s[4:5], s[40:41]
	s_cbranch_execnz .LBB1555_224
.LBB1555_71:
	s_or_b64 exec, exec, s[4:5]
                                        ; implicit-def: $vgpr14
	s_and_saveexec_b64 s[4:5], s[42:43]
	s_cbranch_execz .LBB1555_225
.LBB1555_72:
	v_lshlrev_b32_e32 v14, 1, v15
	v_mov_b32_e32 v15, 0
	v_lshl_add_u64 v[14:15], s[70:71], 0, v[14:15]
	flat_load_ushort v14, v[14:15]
	s_or_b64 exec, exec, s[4:5]
                                        ; implicit-def: $vgpr15
	s_and_saveexec_b64 s[4:5], s[44:45]
	s_cbranch_execnz .LBB1555_226
.LBB1555_73:
	s_or_b64 exec, exec, s[4:5]
                                        ; implicit-def: $vgpr16
	s_and_saveexec_b64 s[4:5], s[46:47]
	s_cbranch_execz .LBB1555_75
.LBB1555_74:
	v_lshlrev_b32_e32 v16, 1, v17
	v_mov_b32_e32 v17, 0
	v_lshl_add_u64 v[16:17], s[70:71], 0, v[16:17]
	flat_load_ushort v16, v[16:17]
.LBB1555_75:
	s_or_b64 exec, exec, s[4:5]
	v_mul_u32_u24_e32 v54, 24, v0
                                        ; implicit-def: $vgpr17
	s_and_saveexec_b64 s[4:5], s[48:49]
	s_cbranch_execz .LBB1555_77
; %bb.76:
	v_lshlrev_b32_e32 v56, 1, v18
	v_mov_b32_e32 v57, 0
	v_lshl_add_u64 v[56:57], s[70:71], 0, v[56:57]
	flat_load_ushort v17, v[56:57]
.LBB1555_77:
	s_or_b64 exec, exec, s[4:5]
	v_lshlrev_b32_e32 v18, 1, v0
	s_mov_b32 s4, 0
	v_sub_u32_e32 v55, v19, v18
	s_mov_b32 s5, s4
	s_waitcnt vmcnt(0) lgkmcnt(0)
	ds_write_b16 v55, v2
	ds_write_b16 v55, v3 offset:512
	ds_write_b16 v55, v20 offset:1024
	;; [unrolled: 1-line block ×23, first 2 shown]
	s_mov_b32 s6, s4
	s_mov_b32 s7, s4
	;; [unrolled: 1-line block ×6, first 2 shown]
	v_mov_b64_e32 v[2:3], s[4:5]
	s_mov_b32 s14, s4
	s_mov_b32 s15, s4
	v_mov_b64_e32 v[8:9], s[10:11]
	s_mov_b32 s12, s4
	s_mov_b32 s13, s4
	v_mov_b64_e32 v[20:21], s[14:15]
	v_mov_b64_e32 v[4:5], s[6:7]
	;; [unrolled: 1-line block ×4, first 2 shown]
	v_cmp_gt_u32_e32 vcc, s3, v54
	s_mov_b64 s[20:21], 0
	v_mov_b64_e32 v[18:19], s[12:13]
	v_mov_b32_e32 v1, 0
	s_mov_b64 s[10:11], 0
	v_mov_b64_e32 v[14:15], v[6:7]
	v_mov_b64_e32 v[12:13], v[4:5]
	;; [unrolled: 1-line block ×3, first 2 shown]
	v_mov_b32_e32 v50, 0
	v_mov_b32_e32 v51, 0
	s_waitcnt lgkmcnt(0)
	s_barrier
	s_waitcnt lgkmcnt(0)
                                        ; implicit-def: $sgpr8_sgpr9
                                        ; implicit-def: $vgpr53
	s_and_saveexec_b64 s[6:7], vcc
	s_cbranch_execz .LBB1555_125
; %bb.78:
	v_mad_u32_u24 v1, v0, 46, v55
	ds_read_u16 v1, v1
	v_mov_b32_e32 v3, s80
	v_cmp_eq_u32_e32 vcc, v42, v43
	s_mov_b32 s8, 0
	v_or_b32_e32 v2, 1, v54
	s_waitcnt lgkmcnt(0)
	v_cndmask_b32_e32 v1, v3, v1, vcc
	v_cmp_ne_u32_e32 vcc, v42, v43
	v_and_b32_e32 v1, 0xffff, v1
	s_mov_b32 s9, s8
	v_cndmask_b32_e64 v3, 0, 1, vcc
	v_lshl_or_b32 v1, v3, 16, v1
	v_cmp_gt_u32_e32 vcc, s3, v2
	s_mov_b32 s10, s8
	s_mov_b32 s11, s8
	;; [unrolled: 1-line block ×6, first 2 shown]
	v_mov_b64_e32 v[2:3], s[8:9]
	s_mov_b32 s18, s8
	s_mov_b32 s19, s8
	v_mov_b64_e32 v[8:9], s[14:15]
	s_mov_b32 s16, s8
	s_mov_b32 s17, s8
	v_mov_b64_e32 v[20:21], s[18:19]
	v_mov_b64_e32 v[4:5], s[10:11]
	;; [unrolled: 1-line block ×4, first 2 shown]
	s_mov_b64 s[24:25], 0
	v_mov_b64_e32 v[18:19], s[16:17]
	v_mov_b32_e32 v50, 0
	v_mov_b64_e32 v[14:15], v[6:7]
	v_mov_b64_e32 v[12:13], v[4:5]
	;; [unrolled: 1-line block ×3, first 2 shown]
	v_mov_b32_e32 v51, 0
                                        ; implicit-def: $sgpr26_sgpr27
                                        ; implicit-def: $vgpr53
	s_and_saveexec_b64 s[22:23], vcc
	s_cbranch_execz .LBB1555_124
; %bb.79:
	v_mul_u32_u24_e32 v2, 46, v0
	v_add_u32_e32 v42, v55, v2
	ds_read_b128 v[46:49], v42 offset:2
	v_mov_b32_e32 v3, s80
	v_cmp_eq_u32_e32 vcc, v43, v44
	v_or_b32_e32 v2, 2, v54
	v_mov_b64_e32 v[20:21], s[18:19]
	s_waitcnt lgkmcnt(0)
	v_cndmask_b32_e32 v3, v3, v46, vcc
	v_cmp_ne_u32_e32 vcc, v43, v44
	v_and_b32_e32 v3, 0xffff, v3
	v_mov_b64_e32 v[18:19], s[16:17]
	v_cndmask_b32_e64 v4, 0, 1, vcc
	v_lshl_or_b32 v50, v4, 16, v3
	v_cmp_gt_u32_e32 vcc, s3, v2
	v_mov_b64_e32 v[2:3], s[8:9]
	v_mov_b64_e32 v[8:9], s[14:15]
	;; [unrolled: 1-line block ×5, first 2 shown]
	v_mov_b32_e32 v51, 0
	v_mov_b64_e32 v[14:15], v[6:7]
	v_mov_b64_e32 v[12:13], v[4:5]
	;; [unrolled: 1-line block ×3, first 2 shown]
                                        ; implicit-def: $sgpr8_sgpr9
                                        ; implicit-def: $vgpr53
	s_and_saveexec_b64 s[16:17], vcc
	s_cbranch_execz .LBB1555_123
; %bb.80:
	v_lshrrev_b32_e32 v2, 16, v46
	v_mov_b32_e32 v4, s80
	v_cmp_eq_u32_e32 vcc, v44, v45
	s_mov_b32 s8, 0
	v_or_b32_e32 v3, 3, v54
	v_cndmask_b32_e32 v2, v4, v2, vcc
	v_cmp_ne_u32_e32 vcc, v44, v45
	v_and_b32_e32 v2, 0xffff, v2
	s_mov_b32 s9, s8
	v_cndmask_b32_e64 v4, 0, 1, vcc
	v_lshl_or_b32 v21, v4, 16, v2
	v_cmp_gt_u32_e32 vcc, s3, v3
	s_mov_b32 s10, s8
	s_mov_b32 s11, s8
	;; [unrolled: 1-line block ×6, first 2 shown]
	v_mov_b64_e32 v[2:3], s[8:9]
	v_mov_b64_e32 v[8:9], s[14:15]
	v_mov_b32_e32 v18, 0
	v_mov_b64_e32 v[4:5], s[10:11]
	v_mov_b64_e32 v[6:7], s[12:13]
	;; [unrolled: 1-line block ×3, first 2 shown]
	v_mov_b32_e32 v19, v18
	v_mov_b32_e32 v20, v18
	v_mov_b64_e32 v[14:15], v[6:7]
	v_mov_b64_e32 v[12:13], v[4:5]
	;; [unrolled: 1-line block ×3, first 2 shown]
	v_mov_b32_e32 v51, v18
                                        ; implicit-def: $sgpr28_sgpr29
                                        ; implicit-def: $vgpr53
	s_and_saveexec_b64 s[18:19], vcc
	s_cbranch_execz .LBB1555_122
; %bb.81:
	v_mov_b32_e32 v3, s80
	v_cmp_eq_u32_e32 vcc, v45, v38
	v_or_b32_e32 v2, 4, v54
	v_mov_b32_e32 v18, 0
	v_cndmask_b32_e32 v3, v3, v47, vcc
	v_cmp_ne_u32_e32 vcc, v45, v38
	v_and_b32_e32 v3, 0xffff, v3
	v_mov_b32_e32 v19, v18
	v_cndmask_b32_e64 v4, 0, 1, vcc
	v_lshl_or_b32 v20, v4, 16, v3
	v_cmp_gt_u32_e32 vcc, s3, v2
	v_mov_b64_e32 v[2:3], s[8:9]
	v_mov_b64_e32 v[8:9], s[14:15]
	v_mov_b64_e32 v[4:5], s[10:11]
	v_mov_b64_e32 v[6:7], s[12:13]
	v_mov_b64_e32 v[16:17], v[8:9]
	s_mov_b64 s[26:27], 0
	v_mov_b64_e32 v[14:15], v[6:7]
	v_mov_b64_e32 v[12:13], v[4:5]
	;; [unrolled: 1-line block ×3, first 2 shown]
	v_mov_b32_e32 v51, v18
                                        ; implicit-def: $sgpr8_sgpr9
                                        ; implicit-def: $vgpr53
	s_and_saveexec_b64 s[24:25], vcc
	s_cbranch_execz .LBB1555_121
; %bb.82:
	v_lshrrev_b32_e32 v2, 16, v47
	v_mov_b32_e32 v4, s80
	v_cmp_eq_u32_e32 vcc, v38, v39
	s_mov_b32 s8, 0
	v_or_b32_e32 v3, 5, v54
	v_cndmask_b32_e32 v2, v4, v2, vcc
	v_cmp_ne_u32_e32 vcc, v38, v39
	v_and_b32_e32 v2, 0xffff, v2
	s_mov_b32 s9, s8
	v_cndmask_b32_e64 v4, 0, 1, vcc
	v_lshl_or_b32 v19, v4, 16, v2
	v_cmp_gt_u32_e32 vcc, s3, v3
	s_mov_b32 s10, s8
	s_mov_b32 s11, s8
	;; [unrolled: 1-line block ×6, first 2 shown]
	v_mov_b64_e32 v[2:3], s[8:9]
	v_mov_b64_e32 v[8:9], s[14:15]
	;; [unrolled: 1-line block ×5, first 2 shown]
	v_mov_b32_e32 v18, s8
	s_mov_b64 s[28:29], 0
	v_mov_b32_e32 v51, 0
	v_mov_b64_e32 v[14:15], v[6:7]
	v_mov_b64_e32 v[12:13], v[4:5]
	;; [unrolled: 1-line block ×3, first 2 shown]
                                        ; implicit-def: $sgpr34_sgpr35
                                        ; implicit-def: $vgpr53
	s_and_saveexec_b64 s[26:27], vcc
	s_cbranch_execz .LBB1555_120
; %bb.83:
	v_mov_b32_e32 v3, s80
	v_cmp_eq_u32_e32 vcc, v39, v40
	v_or_b32_e32 v2, 6, v54
	s_mov_b64 s[30:31], 0
	v_cndmask_b32_e32 v3, v3, v48, vcc
	v_cmp_ne_u32_e32 vcc, v39, v40
	v_and_b32_e32 v3, 0xffff, v3
	v_mov_b32_e32 v51, 0
	v_cndmask_b32_e64 v4, 0, 1, vcc
	v_lshl_or_b32 v18, v4, 16, v3
	v_cmp_gt_u32_e32 vcc, s3, v2
	v_mov_b64_e32 v[2:3], s[8:9]
	v_mov_b64_e32 v[8:9], s[14:15]
	;; [unrolled: 1-line block ×8, first 2 shown]
                                        ; implicit-def: $sgpr8_sgpr9
                                        ; implicit-def: $vgpr53
	s_and_saveexec_b64 s[28:29], vcc
	s_cbranch_execz .LBB1555_119
; %bb.84:
	v_lshrrev_b32_e32 v2, 16, v48
	v_mov_b32_e32 v4, s80
	v_cmp_eq_u32_e32 vcc, v40, v41
	s_mov_b32 s8, 0
	v_or_b32_e32 v3, 7, v54
	v_cndmask_b32_e32 v2, v4, v2, vcc
	v_cmp_ne_u32_e32 vcc, v40, v41
	v_and_b32_e32 v2, 0xffff, v2
	s_mov_b32 s9, s8
	v_cndmask_b32_e64 v4, 0, 1, vcc
	v_lshl_or_b32 v51, v4, 16, v2
	v_cmp_gt_u32_e32 vcc, s3, v3
	s_mov_b32 s10, s8
	s_mov_b32 s11, s8
	;; [unrolled: 1-line block ×6, first 2 shown]
	v_mov_b64_e32 v[2:3], s[8:9]
	v_mov_b64_e32 v[8:9], s[14:15]
	;; [unrolled: 1-line block ×5, first 2 shown]
	s_mov_b64 s[34:35], 0
	v_mov_b64_e32 v[14:15], v[6:7]
	v_mov_b64_e32 v[12:13], v[4:5]
	;; [unrolled: 1-line block ×3, first 2 shown]
                                        ; implicit-def: $sgpr38_sgpr39
                                        ; implicit-def: $vgpr53
	s_and_saveexec_b64 s[30:31], vcc
	s_cbranch_execz .LBB1555_118
; %bb.85:
	v_mov_b32_e32 v3, s80
	v_cmp_eq_u32_e32 vcc, v41, v34
	v_add_u32_e32 v2, 8, v54
	v_mov_b64_e32 v[16:17], s[14:15]
	v_cndmask_b32_e32 v3, v3, v49, vcc
	v_cmp_ne_u32_e32 vcc, v41, v34
	v_and_b32_e32 v3, 0xffff, v3
	s_mov_b64 s[36:37], 0
	v_cndmask_b32_e64 v4, 0, 1, vcc
	v_cmp_gt_u32_e32 vcc, s3, v2
	v_mov_b32_e32 v2, 0
	v_lshl_or_b32 v9, v4, 16, v3
	v_mov_b32_e32 v3, v2
	v_mov_b32_e32 v4, v2
	;; [unrolled: 1-line block ×6, first 2 shown]
	v_mov_b64_e32 v[14:15], s[12:13]
	v_mov_b64_e32 v[12:13], s[10:11]
	;; [unrolled: 1-line block ×3, first 2 shown]
                                        ; implicit-def: $sgpr8_sgpr9
                                        ; implicit-def: $vgpr53
	s_and_saveexec_b64 s[34:35], vcc
	s_cbranch_execz .LBB1555_117
; %bb.86:
	v_lshrrev_b32_e32 v3, 16, v49
	v_mov_b32_e32 v5, s80
	v_cmp_eq_u32_e32 vcc, v34, v35
	s_mov_b32 s8, 0
	s_mov_b32 s14, s8
	v_cndmask_b32_e32 v3, v5, v3, vcc
	v_cmp_ne_u32_e32 vcc, v34, v35
	s_mov_b32 s15, s8
	v_add_u32_e32 v4, 9, v54
	v_and_b32_e32 v3, 0xffff, v3
	v_cndmask_b32_e64 v5, 0, 1, vcc
	s_mov_b32 s9, s8
	s_mov_b32 s10, s8
	;; [unrolled: 1-line block ×5, first 2 shown]
	v_mov_b64_e32 v[16:17], s[14:15]
	v_lshl_or_b32 v8, v5, 16, v3
	v_cmp_gt_u32_e32 vcc, s3, v4
	v_mov_b32_e32 v3, v2
	v_mov_b32_e32 v4, v2
	;; [unrolled: 1-line block ×5, first 2 shown]
	s_mov_b64 s[38:39], 0
	v_mov_b64_e32 v[14:15], s[12:13]
	v_mov_b64_e32 v[12:13], s[10:11]
	;; [unrolled: 1-line block ×3, first 2 shown]
                                        ; implicit-def: $sgpr42_sgpr43
                                        ; implicit-def: $vgpr53
	s_and_saveexec_b64 s[36:37], vcc
	s_cbranch_execz .LBB1555_116
; %bb.87:
	ds_read_b128 v[38:41], v42 offset:18
	v_mov_b32_e32 v3, s80
	v_cmp_eq_u32_e32 vcc, v35, v36
	v_add_u32_e32 v2, 10, v54
	v_mov_b64_e32 v[16:17], s[14:15]
	s_waitcnt lgkmcnt(0)
	v_cndmask_b32_e32 v3, v3, v38, vcc
	v_cmp_ne_u32_e32 vcc, v35, v36
	v_and_b32_e32 v3, 0xffff, v3
	s_mov_b64 s[40:41], 0
	v_cndmask_b32_e64 v4, 0, 1, vcc
	v_cmp_gt_u32_e32 vcc, s3, v2
	v_mov_b32_e32 v2, 0
	v_lshl_or_b32 v7, v4, 16, v3
	v_mov_b32_e32 v3, v2
	v_mov_b32_e32 v4, v2
	;; [unrolled: 1-line block ×4, first 2 shown]
	v_mov_b64_e32 v[14:15], s[12:13]
	v_mov_b64_e32 v[12:13], s[10:11]
	v_mov_b64_e32 v[10:11], s[8:9]
                                        ; implicit-def: $sgpr8_sgpr9
                                        ; implicit-def: $vgpr53
	s_and_saveexec_b64 s[38:39], vcc
	s_cbranch_execz .LBB1555_115
; %bb.88:
	v_lshrrev_b32_e32 v3, 16, v38
	v_mov_b32_e32 v5, s80
	v_cmp_eq_u32_e32 vcc, v36, v37
	s_mov_b32 s8, 0
	s_mov_b32 s14, s8
	v_cndmask_b32_e32 v3, v5, v3, vcc
	v_cmp_ne_u32_e32 vcc, v36, v37
	s_mov_b32 s15, s8
	v_add_u32_e32 v4, 11, v54
	v_and_b32_e32 v3, 0xffff, v3
	v_cndmask_b32_e64 v5, 0, 1, vcc
	s_mov_b32 s9, s8
	s_mov_b32 s10, s8
	;; [unrolled: 1-line block ×5, first 2 shown]
	v_mov_b64_e32 v[16:17], s[14:15]
	v_lshl_or_b32 v6, v5, 16, v3
	v_cmp_gt_u32_e32 vcc, s3, v4
	v_mov_b32_e32 v3, v2
	v_mov_b32_e32 v4, v2
	;; [unrolled: 1-line block ×3, first 2 shown]
	s_mov_b64 s[42:43], 0
	v_mov_b64_e32 v[14:15], s[12:13]
	v_mov_b64_e32 v[12:13], s[10:11]
	;; [unrolled: 1-line block ×3, first 2 shown]
                                        ; implicit-def: $sgpr46_sgpr47
                                        ; implicit-def: $vgpr53
	s_and_saveexec_b64 s[40:41], vcc
	s_cbranch_execz .LBB1555_114
; %bb.89:
	v_mov_b32_e32 v3, s80
	v_cmp_eq_u32_e32 vcc, v37, v30
	v_add_u32_e32 v2, 12, v54
	v_mov_b64_e32 v[16:17], s[14:15]
	v_cndmask_b32_e32 v3, v3, v39, vcc
	v_cmp_ne_u32_e32 vcc, v37, v30
	v_and_b32_e32 v3, 0xffff, v3
	s_mov_b64 s[44:45], 0
	v_cndmask_b32_e64 v4, 0, 1, vcc
	v_cmp_gt_u32_e32 vcc, s3, v2
	v_mov_b32_e32 v2, 0
	v_lshl_or_b32 v5, v4, 16, v3
	v_mov_b32_e32 v3, v2
	v_mov_b32_e32 v4, v2
	v_mov_b64_e32 v[14:15], s[12:13]
	v_mov_b64_e32 v[12:13], s[10:11]
	;; [unrolled: 1-line block ×3, first 2 shown]
                                        ; implicit-def: $sgpr8_sgpr9
                                        ; implicit-def: $vgpr53
	s_and_saveexec_b64 s[42:43], vcc
	s_cbranch_execz .LBB1555_113
; %bb.90:
	v_lshrrev_b32_e32 v3, 16, v39
	v_mov_b32_e32 v4, s80
	v_cmp_eq_u32_e32 vcc, v30, v31
	s_mov_b32 s8, 0
	v_add_u32_e32 v10, 13, v54
	v_cndmask_b32_e32 v3, v4, v3, vcc
	v_cmp_ne_u32_e32 vcc, v30, v31
	s_mov_b32 s14, s8
	s_mov_b32 s15, s8
	v_and_b32_e32 v3, 0xffff, v3
	v_cndmask_b32_e64 v4, 0, 1, vcc
	v_cmp_gt_u32_e32 vcc, s3, v10
	s_mov_b32 s9, s8
	s_mov_b32 s10, s8
	;; [unrolled: 1-line block ×5, first 2 shown]
	v_mov_b64_e32 v[16:17], s[14:15]
	v_lshl_or_b32 v4, v4, 16, v3
	v_mov_b32_e32 v3, v2
	s_mov_b64 s[46:47], 0
	v_mov_b64_e32 v[14:15], s[12:13]
	v_mov_b64_e32 v[12:13], s[10:11]
	;; [unrolled: 1-line block ×3, first 2 shown]
                                        ; implicit-def: $sgpr48_sgpr49
                                        ; implicit-def: $vgpr53
	s_and_saveexec_b64 s[44:45], vcc
	s_cbranch_execz .LBB1555_112
; %bb.91:
	v_mov_b32_e32 v3, s80
	v_cmp_eq_u32_e32 vcc, v31, v32
	v_add_u32_e32 v2, 14, v54
                                        ; implicit-def: $vgpr53
	s_nop 0
	v_cndmask_b32_e32 v3, v3, v40, vcc
	v_cmp_ne_u32_e32 vcc, v31, v32
	v_and_b32_e32 v3, 0xffff, v3
	s_nop 0
	v_cndmask_b32_e64 v10, 0, 1, vcc
	v_lshl_or_b32 v3, v10, 16, v3
	v_mov_b64_e32 v[16:17], s[14:15]
	v_cmp_gt_u32_e32 vcc, s3, v2
	v_mov_b32_e32 v2, s8
	v_mov_b64_e32 v[14:15], s[12:13]
	v_mov_b64_e32 v[12:13], s[10:11]
	;; [unrolled: 1-line block ×3, first 2 shown]
                                        ; implicit-def: $sgpr10_sgpr11
	s_and_saveexec_b64 s[8:9], vcc
	s_cbranch_execz .LBB1555_111
; %bb.92:
	v_lshrrev_b32_e32 v2, 16, v40
	v_mov_b32_e32 v11, s80
	v_cmp_eq_u32_e32 vcc, v32, v33
	s_mov_b32 s84, 0
	v_add_u32_e32 v10, 15, v54
	v_cndmask_b32_e32 v2, v11, v2, vcc
	v_cmp_ne_u32_e32 vcc, v32, v33
	v_and_b32_e32 v2, 0xffff, v2
	s_mov_b32 s85, s84
	v_cndmask_b32_e64 v11, 0, 1, vcc
	v_lshl_or_b32 v2, v11, 16, v2
	v_cmp_gt_u32_e32 vcc, s3, v10
	s_mov_b32 s86, s84
	s_mov_b32 s87, s84
	s_mov_b32 s88, s84
	s_mov_b32 s89, s84
	s_mov_b32 s90, s84
	s_mov_b32 s91, s84
	v_mov_b64_e32 v[10:11], s[84:85]
	s_mov_b64 s[12:13], 0
	v_mov_b64_e32 v[12:13], s[86:87]
	v_mov_b64_e32 v[14:15], s[88:89]
	;; [unrolled: 1-line block ×3, first 2 shown]
                                        ; implicit-def: $sgpr46_sgpr47
                                        ; implicit-def: $vgpr53
	s_and_saveexec_b64 s[10:11], vcc
	s_cbranch_execz .LBB1555_110
; %bb.93:
	v_mov_b32_e32 v10, s80
	v_cmp_eq_u32_e32 vcc, v33, v26
	v_add_u32_e32 v11, 16, v54
	s_mov_b64 s[14:15], 0
	v_cndmask_b32_e32 v10, v10, v41, vcc
	v_cmp_ne_u32_e32 vcc, v33, v26
	v_and_b32_e32 v10, 0xffff, v10
                                        ; implicit-def: $sgpr48_sgpr49
                                        ; implicit-def: $vgpr53
	s_nop 0
	v_cndmask_b32_e64 v12, 0, 1, vcc
	v_lshl_or_b32 v10, v12, 16, v10
	v_mov_b32_e32 v12, 0
	v_cmp_gt_u32_e32 vcc, s3, v11
	v_mov_b32_e32 v11, v12
	v_mov_b32_e32 v13, v12
	;; [unrolled: 1-line block ×6, first 2 shown]
	s_and_saveexec_b64 s[12:13], vcc
	s_cbranch_execz .LBB1555_109
; %bb.94:
	v_lshrrev_b32_e32 v11, 16, v41
	v_mov_b32_e32 v14, s80
	v_cmp_eq_u32_e32 vcc, v26, v27
	v_add_u32_e32 v13, 17, v54
	v_mov_b32_e32 v15, v12
	v_cndmask_b32_e32 v11, v14, v11, vcc
	v_cmp_ne_u32_e32 vcc, v26, v27
	v_and_b32_e32 v11, 0xffff, v11
	v_mov_b32_e32 v16, v12
	v_cndmask_b32_e64 v14, 0, 1, vcc
	v_lshl_or_b32 v11, v14, 16, v11
	v_cmp_gt_u32_e32 vcc, s3, v13
	v_mov_b32_e32 v13, v12
	v_mov_b32_e32 v14, v12
	;; [unrolled: 1-line block ×3, first 2 shown]
	s_mov_b64 s[46:47], 0
                                        ; implicit-def: $sgpr50_sgpr51
                                        ; implicit-def: $vgpr53
	s_and_saveexec_b64 s[14:15], vcc
	s_cbranch_execz .LBB1555_108
; %bb.95:
	ds_read_b96 v[30:32], v42 offset:34
	v_mov_b32_e32 v12, s80
	v_cmp_eq_u32_e32 vcc, v27, v28
	v_add_u32_e32 v13, 18, v54
	s_mov_b64 s[48:49], 0
	s_waitcnt lgkmcnt(0)
	v_cndmask_b32_e32 v12, v12, v30, vcc
	v_cmp_ne_u32_e32 vcc, v27, v28
	v_and_b32_e32 v12, 0xffff, v12
                                        ; implicit-def: $sgpr52_sgpr53
                                        ; implicit-def: $vgpr53
	s_nop 0
	v_cndmask_b32_e64 v14, 0, 1, vcc
	v_lshl_or_b32 v12, v14, 16, v12
	v_mov_b32_e32 v14, 0
	v_cmp_gt_u32_e32 vcc, s3, v13
	v_mov_b32_e32 v13, v14
	v_mov_b32_e32 v15, v14
	;; [unrolled: 1-line block ×4, first 2 shown]
	s_and_saveexec_b64 s[46:47], vcc
	s_cbranch_execz .LBB1555_107
; %bb.96:
	v_lshrrev_b32_e32 v13, 16, v30
	v_mov_b32_e32 v16, s80
	v_cmp_eq_u32_e32 vcc, v28, v29
	v_add_u32_e32 v15, 19, v54
	v_mov_b32_e32 v17, v14
	v_cndmask_b32_e32 v13, v16, v13, vcc
	v_cmp_ne_u32_e32 vcc, v28, v29
	v_and_b32_e32 v13, 0xffff, v13
	s_mov_b64 s[50:51], 0
	v_cndmask_b32_e64 v16, 0, 1, vcc
	v_lshl_or_b32 v13, v16, 16, v13
	v_cmp_gt_u32_e32 vcc, s3, v15
	v_mov_b32_e32 v15, v14
	v_mov_b32_e32 v16, v14
                                        ; implicit-def: $sgpr60_sgpr61
                                        ; implicit-def: $vgpr53
	s_and_saveexec_b64 s[48:49], vcc
	s_cbranch_execz .LBB1555_106
; %bb.97:
	v_mov_b32_e32 v14, s80
	v_cmp_eq_u32_e32 vcc, v29, v22
	v_add_u32_e32 v15, 20, v54
	s_mov_b64 s[52:53], 0
	v_cndmask_b32_e32 v14, v14, v31, vcc
	v_cmp_ne_u32_e32 vcc, v29, v22
	v_and_b32_e32 v14, 0xffff, v14
                                        ; implicit-def: $sgpr74_sgpr75
                                        ; implicit-def: $vgpr53
	s_nop 0
	v_cndmask_b32_e64 v16, 0, 1, vcc
	v_lshl_or_b32 v14, v16, 16, v14
	v_mov_b32_e32 v16, 0
	v_cmp_gt_u32_e32 vcc, s3, v15
	v_mov_b32_e32 v15, v16
	v_mov_b32_e32 v17, v16
	s_and_saveexec_b64 s[50:51], vcc
	s_cbranch_execz .LBB1555_105
; %bb.98:
	v_lshrrev_b32_e32 v15, 16, v31
	v_mov_b32_e32 v26, s80
	v_cmp_eq_u32_e32 vcc, v22, v23
	v_add_u32_e32 v17, 21, v54
	s_mov_b32 s5, 0
	v_cndmask_b32_e32 v15, v26, v15, vcc
	v_cmp_ne_u32_e32 vcc, v22, v23
	v_and_b32_e32 v15, 0xffff, v15
	s_mov_b64 s[60:61], 0
	v_cndmask_b32_e64 v22, 0, 1, vcc
	v_lshl_or_b32 v15, v22, 16, v15
	v_cmp_gt_u32_e32 vcc, s3, v17
	v_mov_b32_e32 v17, v16
                                        ; implicit-def: $sgpr76_sgpr77
                                        ; implicit-def: $vgpr53
	s_and_saveexec_b64 s[52:53], vcc
	s_cbranch_execz .LBB1555_104
; %bb.99:
	v_mov_b32_e32 v16, s80
	v_cmp_eq_u32_e32 vcc, v23, v24
	v_add_u32_e32 v17, 22, v54
	s_mov_b64 s[74:75], 0
	v_cndmask_b32_e32 v16, v16, v32, vcc
	v_cmp_ne_u32_e32 vcc, v23, v24
	v_and_b32_e32 v16, 0xffff, v16
                                        ; implicit-def: $sgpr76_sgpr77
                                        ; implicit-def: $vgpr53
	s_nop 0
	v_cndmask_b32_e64 v22, 0, 1, vcc
	v_lshl_or_b32 v16, v22, 16, v16
	v_cmp_gt_u32_e32 vcc, s3, v17
	v_mov_b32_e32 v17, s5
	s_and_saveexec_b64 s[60:61], vcc
	s_cbranch_execz .LBB1555_103
; %bb.100:
	v_lshrrev_b32_e32 v17, 16, v32
	v_mov_b32_e32 v23, s80
	v_cmp_eq_u32_e32 vcc, v24, v25
	v_add_u32_e32 v22, 23, v54
                                        ; implicit-def: $sgpr76_sgpr77
                                        ; implicit-def: $vgpr53
	s_nop 0
	v_cndmask_b32_e32 v17, v23, v17, vcc
	v_cmp_ne_u32_e32 vcc, v24, v25
	v_and_b32_e32 v17, 0xffff, v17
	s_nop 0
	v_cndmask_b32_e64 v23, 0, 1, vcc
	v_lshl_or_b32 v17, v23, 16, v17
	v_cmp_gt_u32_e32 vcc, s3, v22
	s_and_saveexec_b64 s[78:79], vcc
	s_xor_b64 s[78:79], exec, s[78:79]
	s_cbranch_execz .LBB1555_102
; %bb.101:
	ds_read_u16 v22, v42 offset:46
	v_mov_b32_e32 v23, s80
	v_cmp_ne_u32_e32 vcc, v25, v52
	s_mov_b64 s[74:75], exec
	s_and_b64 s[76:77], vcc, exec
	s_waitcnt lgkmcnt(0)
	v_cndmask_b32_e32 v53, v22, v23, vcc
.LBB1555_102:
	s_or_b64 exec, exec, s[78:79]
	s_and_b64 s[76:77], s[76:77], exec
	s_and_b64 s[74:75], s[74:75], exec
.LBB1555_103:
	s_or_b64 exec, exec, s[60:61]
	s_and_b64 s[76:77], s[76:77], exec
	s_and_b64 s[60:61], s[74:75], exec
.LBB1555_104:
	s_or_b64 exec, exec, s[52:53]
	s_and_b64 s[74:75], s[76:77], exec
	s_and_b64 s[52:53], s[60:61], exec
.LBB1555_105:
	s_or_b64 exec, exec, s[50:51]
	s_and_b64 s[60:61], s[74:75], exec
	s_and_b64 s[50:51], s[52:53], exec
.LBB1555_106:
	s_or_b64 exec, exec, s[48:49]
	s_and_b64 s[52:53], s[60:61], exec
	s_and_b64 s[48:49], s[50:51], exec
.LBB1555_107:
	s_or_b64 exec, exec, s[46:47]
	s_and_b64 s[50:51], s[52:53], exec
	s_and_b64 s[46:47], s[48:49], exec
.LBB1555_108:
	s_or_b64 exec, exec, s[14:15]
	s_and_b64 s[48:49], s[50:51], exec
	s_and_b64 s[14:15], s[46:47], exec
.LBB1555_109:
	s_or_b64 exec, exec, s[12:13]
	s_and_b64 s[46:47], s[48:49], exec
	s_and_b64 s[12:13], s[14:15], exec
.LBB1555_110:
	s_or_b64 exec, exec, s[10:11]
	s_and_b64 s[10:11], s[46:47], exec
	s_and_b64 s[46:47], s[12:13], exec
.LBB1555_111:
	s_or_b64 exec, exec, s[8:9]
	s_and_b64 s[48:49], s[10:11], exec
	s_and_b64 s[46:47], s[46:47], exec
.LBB1555_112:
	s_or_b64 exec, exec, s[44:45]
	s_and_b64 s[8:9], s[48:49], exec
	s_and_b64 s[44:45], s[46:47], exec
.LBB1555_113:
	s_or_b64 exec, exec, s[42:43]
	s_and_b64 s[46:47], s[8:9], exec
	s_and_b64 s[42:43], s[44:45], exec
.LBB1555_114:
	s_or_b64 exec, exec, s[40:41]
	s_and_b64 s[8:9], s[46:47], exec
	s_and_b64 s[40:41], s[42:43], exec
.LBB1555_115:
	s_or_b64 exec, exec, s[38:39]
	s_and_b64 s[42:43], s[8:9], exec
	s_and_b64 s[38:39], s[40:41], exec
.LBB1555_116:
	s_or_b64 exec, exec, s[36:37]
	s_and_b64 s[8:9], s[42:43], exec
	s_and_b64 s[36:37], s[38:39], exec
.LBB1555_117:
	s_or_b64 exec, exec, s[34:35]
	s_and_b64 s[38:39], s[8:9], exec
	s_and_b64 s[34:35], s[36:37], exec
.LBB1555_118:
	s_or_b64 exec, exec, s[30:31]
	s_and_b64 s[8:9], s[38:39], exec
	s_and_b64 s[30:31], s[34:35], exec
.LBB1555_119:
	s_or_b64 exec, exec, s[28:29]
	s_and_b64 s[34:35], s[8:9], exec
	s_and_b64 s[28:29], s[30:31], exec
.LBB1555_120:
	s_or_b64 exec, exec, s[26:27]
	s_and_b64 s[8:9], s[34:35], exec
	s_and_b64 s[26:27], s[28:29], exec
.LBB1555_121:
	s_or_b64 exec, exec, s[24:25]
	s_and_b64 s[28:29], s[8:9], exec
	s_and_b64 s[24:25], s[26:27], exec
.LBB1555_122:
	s_or_b64 exec, exec, s[18:19]
	s_and_b64 s[8:9], s[28:29], exec
	s_and_b64 s[24:25], s[24:25], exec
.LBB1555_123:
	s_or_b64 exec, exec, s[16:17]
	s_and_b64 s[26:27], s[8:9], exec
	s_and_b64 s[24:25], s[24:25], exec
.LBB1555_124:
	s_or_b64 exec, exec, s[22:23]
	s_and_b64 s[8:9], s[26:27], exec
	s_and_b64 s[10:11], s[24:25], exec
.LBB1555_125:
	s_or_b64 exec, exec, s[6:7]
	s_and_b64 vcc, exec, s[20:21]
	s_cbranch_vccnz .LBB1555_127
	s_branch .LBB1555_132
.LBB1555_126:
	s_mov_b64 s[10:11], 0
                                        ; implicit-def: $sgpr8_sgpr9
                                        ; implicit-def: $vgpr18_vgpr19_vgpr20_vgpr21
                                        ; implicit-def: $vgpr2_vgpr3_vgpr4_vgpr5_vgpr6_vgpr7_vgpr8_vgpr9
                                        ; implicit-def: $vgpr10_vgpr11_vgpr12_vgpr13_vgpr14_vgpr15_vgpr16_vgpr17
                                        ; implicit-def: $vgpr53
                                        ; implicit-def: $vgpr1
                                        ; implicit-def: $vgpr50
                                        ; implicit-def: $vgpr51
                                        ; implicit-def: $sgpr4
	s_and_b64 vcc, exec, s[20:21]
	s_cbranch_vccz .LBB1555_132
.LBB1555_127:
	v_mov_b32_e32 v7, 0
	v_lshlrev_b32_e32 v6, 2, v0
	v_lshl_add_u64 v[2:3], s[72:73], 0, v[6:7]
	v_add_co_u32_e32 v4, vcc, 0x1000, v2
	s_movk_i32 s3, 0x6000
	s_nop 0
	v_addc_co_u32_e32 v5, vcc, 0, v3, vcc
	flat_load_dword v1, v[2:3]
	flat_load_dword v10, v[2:3] offset:1024
	flat_load_dword v11, v[2:3] offset:2048
	flat_load_dword v12, v[2:3] offset:3072
	flat_load_dword v13, v[4:5]
	flat_load_dword v14, v[4:5] offset:1024
	flat_load_dword v15, v[4:5] offset:2048
	;; [unrolled: 1-line block ×3, first 2 shown]
	v_add_co_u32_e32 v4, vcc, 0x2000, v2
	s_movk_i32 s4, 0x5c
	s_nop 0
	v_addc_co_u32_e32 v5, vcc, 0, v3, vcc
	v_add_co_u32_e32 v8, vcc, 0x3000, v2
	s_movk_i32 s6, 0x1000
	s_nop 0
	v_addc_co_u32_e32 v9, vcc, 0, v3, vcc
	flat_load_dword v17, v[4:5]
	flat_load_dword v18, v[4:5] offset:1024
	flat_load_dword v19, v[4:5] offset:2048
	;; [unrolled: 1-line block ×3, first 2 shown]
	flat_load_dword v21, v[8:9]
	flat_load_dword v22, v[8:9] offset:1024
	flat_load_dword v23, v[8:9] offset:2048
	;; [unrolled: 1-line block ×3, first 2 shown]
	v_add_co_u32_e32 v4, vcc, 0x4000, v2
	s_nop 1
	v_addc_co_u32_e32 v5, vcc, 0, v3, vcc
	v_add_co_u32_e32 v2, vcc, 0x5000, v2
	s_nop 1
	v_addc_co_u32_e32 v3, vcc, 0, v3, vcc
	flat_load_dword v8, v[4:5]
	flat_load_dword v9, v[4:5] offset:1024
	flat_load_dword v25, v[4:5] offset:2048
	;; [unrolled: 1-line block ×3, first 2 shown]
	flat_load_dword v27, v[2:3]
	flat_load_dword v28, v[2:3] offset:1024
	flat_load_dword v29, v[2:3] offset:2048
	;; [unrolled: 1-line block ×3, first 2 shown]
	v_mov_b32_e32 v2, s72
	v_mov_b32_e32 v3, s73
	v_add_co_u32_e32 v2, vcc, s3, v2
	s_movk_i32 s3, 0x2000
	s_nop 0
	v_addc_co_u32_e32 v3, vcc, 0, v3, vcc
	s_waitcnt vmcnt(0) lgkmcnt(0)
	ds_write2st64_b32 v6, v1, v10 offset1:4
	ds_write2st64_b32 v6, v11, v12 offset0:8 offset1:12
	ds_write2st64_b32 v6, v13, v14 offset0:16 offset1:20
	ds_write2st64_b32 v6, v15, v16 offset0:24 offset1:28
	ds_write2st64_b32 v6, v17, v18 offset0:32 offset1:36
	ds_write2st64_b32 v6, v19, v20 offset0:40 offset1:44
	ds_write2st64_b32 v6, v21, v22 offset0:48 offset1:52
	ds_write2st64_b32 v6, v23, v24 offset0:56 offset1:60
	ds_write2st64_b32 v6, v8, v9 offset0:64 offset1:68
	ds_write2st64_b32 v6, v25, v26 offset0:72 offset1:76
	ds_write2st64_b32 v6, v27, v28 offset0:80 offset1:84
	ds_write2st64_b32 v6, v29, v30 offset0:88 offset1:92
	s_waitcnt lgkmcnt(0)
	s_barrier
	flat_load_dword v40, v[2:3]
	v_mad_u32_u24 v1, v0, s4, v6
	s_movk_i32 s4, 0xffa4
	ds_read2_b32 v[22:23], v1 offset0:6 offset1:23
	ds_read_b64 v[18:19], v1
	ds_read2_b64 v[2:5], v1 offset0:1 offset1:2
	ds_read2_b32 v[32:33], v1 offset0:13 offset1:14
	ds_read2_b32 v[34:35], v1 offset0:11 offset1:12
	;; [unrolled: 1-line block ×8, first 2 shown]
	v_mad_i32_i24 v1, v0, s4, v1
	s_movk_i32 s4, 0xff
	v_cmp_ne_u32_e32 vcc, s4, v0
	s_waitcnt lgkmcnt(0)
	ds_write_b32 v1, v18 offset:25600
	s_waitcnt lgkmcnt(0)
	s_barrier
	s_and_saveexec_b64 s[4:5], vcc
	s_cbranch_execz .LBB1555_129
; %bb.128:
	s_waitcnt vmcnt(0)
	ds_read_b32 v40, v6 offset:25604
.LBB1555_129:
	s_or_b64 exec, exec, s[4:5]
	v_lshlrev_b32_e32 v6, 1, v0
	v_lshl_add_u64 v[8:9], s[70:71], 0, v[6:7]
	v_add_co_u32_e32 v10, vcc, s6, v8
	s_waitcnt lgkmcnt(0)
	s_nop 0
	v_addc_co_u32_e32 v11, vcc, 0, v9, vcc
	s_barrier
	flat_load_ushort v7, v[8:9]
	flat_load_ushort v12, v[8:9] offset:512
	flat_load_ushort v13, v[8:9] offset:1024
	;; [unrolled: 1-line block ×7, first 2 shown]
	v_add_co_u32_e32 v8, vcc, s3, v8
	flat_load_ushort v21, v[10:11]
	flat_load_ushort v41, v[10:11] offset:512
	flat_load_ushort v42, v[10:11] offset:1024
	;; [unrolled: 1-line block ×7, first 2 shown]
	v_addc_co_u32_e32 v9, vcc, 0, v9, vcc
	flat_load_ushort v10, v[8:9]
	flat_load_ushort v11, v[8:9] offset:512
	flat_load_ushort v48, v[8:9] offset:1024
	flat_load_ushort v49, v[8:9] offset:1536
	flat_load_ushort v50, v[8:9] offset:2048
	flat_load_ushort v51, v[8:9] offset:2560
	flat_load_ushort v52, v[8:9] offset:3072
	flat_load_ushort v53, v[8:9] offset:3584
	v_sub_u32_e32 v1, v1, v6
	v_mad_u32_u24 v54, v0, 46, v1
	v_cmp_eq_u32_e32 vcc, v18, v19
	v_mov_b32_e32 v18, s80
	s_waitcnt vmcnt(0) lgkmcnt(0)
	ds_write_b16 v1, v7
	ds_write_b16 v1, v12 offset:512
	ds_write_b16 v1, v13 offset:1024
	;; [unrolled: 1-line block ×23, first 2 shown]
	s_waitcnt lgkmcnt(0)
	s_barrier
	ds_read_b96 v[14:16], v54 offset:2
	ds_read_b128 v[6:9], v54 offset:14
	ds_read_b128 v[10:13], v54 offset:30
	ds_read_u16 v41, v54 offset:46
	v_mov_b32_e32 v17, 0x10000
	s_and_saveexec_b64 s[4:5], vcc
	s_cbranch_execz .LBB1555_131
; %bb.130:
	v_mul_u32_u24_e32 v17, 46, v0
	v_add_u32_e32 v1, v1, v17
	ds_read_u16 v18, v1
	v_mov_b32_e32 v17, 0
.LBB1555_131:
	s_or_b64 exec, exec, s[4:5]
	v_mov_b32_e32 v47, s80
	v_cmp_eq_u32_e32 vcc, v19, v2
	s_waitcnt lgkmcnt(3)
	v_lshrrev_b32_e32 v21, 16, v14
	s_waitcnt lgkmcnt(0)
	v_or_b32_sdwa v1, v17, v18 dst_sel:DWORD dst_unused:UNUSED_PAD src0_sel:DWORD src1_sel:WORD_0
	v_cndmask_b32_e32 v14, v47, v14, vcc
	v_cmp_ne_u32_e32 vcc, v19, v2
	v_and_b32_e32 v14, 0xffff, v14
	v_lshrrev_b32_e32 v20, 16, v15
	v_cndmask_b32_e64 v17, 0, 1, vcc
	v_cmp_eq_u32_e32 vcc, v2, v3
	v_lshl_or_b32 v50, v17, 16, v14
	v_lshrrev_b32_e32 v42, 16, v16
	v_cndmask_b32_e32 v14, v47, v21, vcc
	v_cmp_eq_u32_e32 vcc, v4, v5
	v_and_b32_e32 v14, 0xffff, v14
	v_lshrrev_b32_e32 v46, 16, v6
	v_cndmask_b32_e32 v17, v47, v20, vcc
	v_cmp_eq_u32_e32 vcc, v3, v4
	v_and_b32_e32 v17, 0xffff, v17
	;; [unrolled: 4-line block ×3, first 2 shown]
	v_lshrrev_b32_e32 v44, 16, v8
	v_cndmask_b32_e32 v16, v47, v16, vcc
	v_cmp_ne_u32_e32 vcc, v3, v4
	v_lshrrev_b32_e32 v43, 16, v9
	v_and_b32_e32 v16, 0xffff, v16
	v_cndmask_b32_e64 v18, 0, 1, vcc
	v_cmp_ne_u32_e32 vcc, v5, v22
	v_lshl_or_b32 v20, v18, 16, v15
	v_cmp_ne_u32_e64 s[8:9], v23, v40
	v_cndmask_b32_e64 v15, 0, 1, vcc
	v_cmp_ne_u32_e32 vcc, v2, v3
	v_lshl_or_b32 v18, v15, 16, v16
	v_lshrrev_b32_e32 v16, 16, v11
	v_cndmask_b32_e64 v2, 0, 1, vcc
	v_cmp_ne_u32_e32 vcc, v4, v5
	v_lshl_or_b32 v21, v2, 16, v14
	v_cndmask_b32_e64 v53, v41, v47, s[8:9]
	v_cndmask_b32_e64 v2, 0, 1, vcc
	v_cmp_eq_u32_e32 vcc, v22, v38
	v_lshl_or_b32 v19, v2, 16, v17
	v_lshrrev_b32_e32 v17, 16, v10
	v_cndmask_b32_e32 v2, v47, v42, vcc
	v_cmp_ne_u32_e32 vcc, v22, v38
	v_and_b32_e32 v2, 0xffff, v2
	s_mov_b64 s[10:11], -1
	v_cndmask_b32_e64 v3, 0, 1, vcc
	v_cmp_eq_u32_e32 vcc, v39, v36
	v_lshl_or_b32 v51, v3, 16, v2
                                        ; implicit-def: $sgpr4
	s_nop 0
	v_cndmask_b32_e32 v2, v47, v46, vcc
	v_cmp_eq_u32_e32 vcc, v37, v34
	v_and_b32_e32 v2, 0xffff, v2
	s_nop 0
	v_cndmask_b32_e32 v3, v47, v45, vcc
	v_cmp_eq_u32_e32 vcc, v35, v32
	v_and_b32_e32 v15, 0xffff, v3
	;; [unrolled: 4-line block ×7, first 2 shown]
	s_nop 0
	v_cndmask_b32_e32 v9, v47, v9, vcc
	v_cmp_ne_u32_e32 vcc, v38, v39
	v_and_b32_e32 v3, 0xffff, v9
	s_nop 0
	v_cndmask_b32_e64 v8, 0, 1, vcc
	v_cmp_ne_u32_e32 vcc, v36, v37
	v_lshl_or_b32 v9, v8, 16, v6
	s_nop 0
	v_cndmask_b32_e64 v6, 0, 1, vcc
	v_cmp_ne_u32_e32 vcc, v34, v35
	v_lshl_or_b32 v7, v6, 16, v7
	s_nop 0
	v_cndmask_b32_e64 v6, 0, 1, vcc
	v_cmp_ne_u32_e32 vcc, v32, v33
	v_lshl_or_b32 v5, v6, 16, v5
	s_nop 0
	v_cndmask_b32_e64 v6, 0, 1, vcc
	v_cmp_ne_u32_e32 vcc, v39, v36
	v_lshl_or_b32 v3, v6, 16, v3
	s_nop 0
	v_cndmask_b32_e64 v6, 0, 1, vcc
	v_cmp_ne_u32_e32 vcc, v37, v34
	v_lshl_or_b32 v8, v6, 16, v2
	s_nop 0
	v_cndmask_b32_e64 v2, 0, 1, vcc
	v_cmp_ne_u32_e32 vcc, v35, v32
	v_lshl_or_b32 v6, v2, 16, v15
	v_lshrrev_b32_e32 v15, 16, v12
	v_cndmask_b32_e64 v2, 0, 1, vcc
	v_cmp_ne_u32_e32 vcc, v33, v26
	v_lshl_or_b32 v4, v2, 16, v4
	s_nop 0
	v_cndmask_b32_e64 v2, 0, 1, vcc
	v_lshl_or_b32 v2, v2, 16, v14
	v_lshrrev_b32_e32 v14, 16, v13
	v_cmp_eq_u32_e32 vcc, v31, v23
	s_nop 1
	v_cndmask_b32_e32 v14, v47, v14, vcc
	v_cmp_eq_u32_e32 vcc, v29, v30
	s_nop 1
	v_cndmask_b32_e32 v15, v47, v15, vcc
	v_cmp_eq_u32_e32 vcc, v25, v28
	v_and_b32_e32 v15, 0xffff, v15
	s_nop 0
	v_cndmask_b32_e32 v16, v47, v16, vcc
	v_cmp_eq_u32_e32 vcc, v27, v24
	v_and_b32_e32 v32, 0xffff, v16
	;; [unrolled: 4-line block ×3, first 2 shown]
	v_and_b32_e32 v17, 0xffff, v14
	v_cndmask_b32_e32 v13, v47, v13, vcc
	v_cmp_eq_u32_e32 vcc, v28, v29
	v_and_b32_e32 v13, 0xffff, v13
	s_nop 0
	v_cndmask_b32_e32 v12, v47, v12, vcc
	v_cmp_eq_u32_e32 vcc, v24, v25
	v_and_b32_e32 v12, 0xffff, v12
	s_nop 0
	;; [unrolled: 4-line block ×3, first 2 shown]
	v_cndmask_b32_e32 v10, v47, v10, vcc
	v_cmp_ne_u32_e32 vcc, v30, v31
	v_and_b32_e32 v10, 0xffff, v10
	s_nop 0
	v_cndmask_b32_e64 v14, 0, 1, vcc
	v_cmp_ne_u32_e32 vcc, v28, v29
	v_lshl_or_b32 v16, v14, 16, v13
	s_nop 0
	v_cndmask_b32_e64 v13, 0, 1, vcc
	v_cmp_ne_u32_e32 vcc, v24, v25
	v_lshl_or_b32 v14, v13, 16, v12
	;; [unrolled: 4-line block ×7, first 2 shown]
	s_nop 0
	v_cndmask_b32_e64 v11, 0, 1, vcc
	v_lshl_or_b32 v11, v11, 16, v22
.LBB1555_132:
	v_mov_b32_e32 v32, s4
	s_and_saveexec_b64 s[4:5], s[10:11]
; %bb.133:
	v_mov_b32_e32 v22, 0x10000
	v_cndmask_b32_e64 v22, 0, v22, s[8:9]
	v_or_b32_sdwa v32, v22, v53 dst_sel:DWORD dst_unused:UNUSED_PAD src0_sel:DWORD src1_sel:WORD_0
; %bb.134:
	s_or_b64 exec, exec, s[4:5]
	s_cmp_lg_u32 s2, 0
	v_mbcnt_lo_u32_b32 v33, -1, 0
	s_barrier
	s_cbranch_scc0 .LBB1555_227
; %bb.135:
	s_mov_b32 s3, 0x10000
	v_cmp_gt_u32_e64 s[50:51], s3, v50
	v_cmp_gt_u32_e64 s[4:5], s3, v21
	v_cmp_gt_u32_e64 s[6:7], s3, v20
	v_cndmask_b32_e64 v22, 0, v1, s[50:51]
	v_add_u16_e32 v22, v22, v50
	v_cndmask_b32_e64 v22, 0, v22, s[4:5]
	v_add_u16_e32 v22, v22, v21
	v_cndmask_b32_e64 v22, 0, v22, s[6:7]
	v_add_u16_e32 v22, v22, v20
	v_cmp_gt_u32_e64 s[8:9], s3, v19
	v_cmp_gt_u32_e64 s[10:11], s3, v18
	v_cmp_gt_u32_e64 s[12:13], s3, v51
	v_cndmask_b32_e64 v22, 0, v22, s[8:9]
	v_add_u16_e32 v22, v22, v19
	v_cndmask_b32_e64 v22, 0, v22, s[10:11]
	v_add_u16_e32 v22, v22, v18
	v_cndmask_b32_e64 v22, 0, v22, s[12:13]
	v_add_u16_e32 v22, v22, v51
	;; [unrolled: 9-line block ×5, first 2 shown]
	v_cmp_gt_u32_e64 s[34:35], s3, v11
	v_cmp_gt_u32_e64 s[36:37], s3, v12
	v_or3_b32 v25, v32, v17, v16
	v_cndmask_b32_e64 v22, 0, v22, s[34:35]
	v_add_u16_e32 v22, v22, v11
	v_cndmask_b32_e64 v22, 0, v22, s[36:37]
	v_add_u16_e32 v22, v22, v12
	v_cmp_gt_u32_e64 s[38:39], s3, v13
	v_or3_b32 v25, v25, v15, v14
	v_or3_b32 v25, v25, v13, v12
	v_cndmask_b32_e64 v22, 0, v22, s[38:39]
	v_add_u16_e32 v22, v22, v13
	v_cmp_gt_u32_e64 s[40:41], s3, v14
	v_or3_b32 v25, v25, v11, v10
	v_or3_b32 v25, v25, v2, v3
	v_cndmask_b32_e64 v22, 0, v22, s[40:41]
	v_add_u16_e32 v22, v22, v14
	v_cmp_gt_u32_e64 s[42:43], s3, v15
	v_or3_b32 v25, v25, v4, v5
	v_or3_b32 v25, v25, v6, v7
	v_cndmask_b32_e64 v22, 0, v22, s[42:43]
	v_add_u16_e32 v22, v22, v15
	v_cmp_gt_u32_e64 s[44:45], s3, v16
	v_or3_b32 v25, v25, v8, v9
	v_or3_b32 v25, v25, v51, v18
	v_cndmask_b32_e64 v22, 0, v22, s[44:45]
	v_add_u16_e32 v22, v22, v16
	v_cmp_gt_u32_e64 s[46:47], s3, v17
	v_or3_b32 v25, v25, v19, v20
	v_or3_b32 v25, v25, v21, v50
	v_cndmask_b32_e64 v22, 0, v22, s[46:47]
	v_add_u16_e32 v22, v22, v17
	v_cmp_gt_u32_e32 vcc, s3, v32
	v_and_b32_e32 v25, 0x10000, v25
	v_and_b32_e32 v23, 0x10000, v1
	v_cndmask_b32_e32 v24, 0, v22, vcc
	v_mov_b32_e32 v26, 0x10000
	v_cmp_ne_u32_e32 vcc, 0, v25
	v_add_u16_e32 v22, v24, v32
	v_add_u16_e32 v24, v24, v32
	v_cndmask_b32_e32 v26, v23, v26, vcc
	v_mbcnt_hi_u32_b32 v25, -1, v33
	v_and_b32_e32 v27, 15, v25
	v_or_b32_e32 v24, v26, v24
	v_lshrrev_b32_e32 v23, 16, v26
	v_cmp_ne_u32_e32 vcc, 0, v27
	v_mov_b32_dpp v28, v24 row_shr:1 row_mask:0xf bank_mask:0xf
	s_and_saveexec_b64 s[48:49], vcc
	s_cbranch_execz .LBB1555_137
; %bb.136:
	v_cmp_eq_u32_e32 vcc, 0, v26
	v_and_b32_e32 v23, 0x10000, v26
	v_mov_b32_e32 v26, 1
	v_cndmask_b32_e32 v24, 0, v28, vcc
	v_and_b32_sdwa v26, v28, v26 dst_sel:DWORD dst_unused:UNUSED_PAD src0_sel:WORD_1 src1_sel:DWORD
	v_cmp_ne_u32_e32 vcc, 0, v23
	v_add_u16_e32 v29, v24, v22
	v_add_u16_e32 v22, v24, v22
	v_cndmask_b32_e64 v23, v26, 1, vcc
	v_lshlrev_b32_e32 v26, 16, v23
	v_or_b32_e32 v24, v26, v22
	v_mov_b32_e32 v22, v29
.LBB1555_137:
	s_or_b64 exec, exec, s[48:49]
	v_lshrrev_b32_e32 v26, 16, v24
	v_mov_b32_dpp v28, v24 row_shr:2 row_mask:0xf bank_mask:0xf
	v_cmp_lt_u32_e32 vcc, 1, v27
	s_and_saveexec_b64 s[48:49], vcc
	s_cbranch_execz .LBB1555_139
; %bb.138:
	v_cmp_gt_u32_e32 vcc, s3, v24
	v_and_b32_e32 v23, 0x10000, v24
	v_mov_b32_e32 v24, 1
	v_cndmask_b32_e32 v26, 0, v28, vcc
	v_and_b32_sdwa v24, v28, v24 dst_sel:DWORD dst_unused:UNUSED_PAD src0_sel:WORD_1 src1_sel:DWORD
	v_cmp_ne_u32_e32 vcc, 0, v23
	v_add_u16_e32 v29, v26, v22
	v_add_u16_e32 v22, v26, v22
	v_cndmask_b32_e64 v23, v24, 1, vcc
	v_lshlrev_b32_e32 v24, 16, v23
	v_or_b32_e32 v24, v24, v22
	v_mov_b32_e32 v26, v23
	v_mov_b32_e32 v22, v29
.LBB1555_139:
	s_or_b64 exec, exec, s[48:49]
	v_mov_b32_dpp v28, v24 row_shr:4 row_mask:0xf bank_mask:0xf
	v_cmp_lt_u32_e32 vcc, 3, v27
	s_and_saveexec_b64 s[48:49], vcc
	s_cbranch_execz .LBB1555_141
; %bb.140:
	v_cmp_eq_u16_e32 vcc, 0, v26
	v_and_b32_e32 v23, 1, v26
	v_mov_b32_e32 v26, 1
	v_cndmask_b32_e32 v24, 0, v28, vcc
	v_and_b32_sdwa v26, v28, v26 dst_sel:DWORD dst_unused:UNUSED_PAD src0_sel:WORD_1 src1_sel:DWORD
	v_cmp_eq_u32_e32 vcc, 1, v23
	v_add_u16_e32 v29, v24, v22
	v_add_u16_e32 v22, v24, v22
	v_cndmask_b32_e64 v23, v26, 1, vcc
	v_lshlrev_b32_e32 v26, 16, v23
	v_or_b32_e32 v24, v26, v22
	v_mov_b32_e32 v26, v23
	v_mov_b32_e32 v22, v29
.LBB1555_141:
	s_or_b64 exec, exec, s[48:49]
	v_mov_b32_dpp v28, v24 row_shr:8 row_mask:0xf bank_mask:0xf
	v_cmp_lt_u32_e32 vcc, 7, v27
	s_and_saveexec_b64 s[48:49], vcc
	s_cbranch_execz .LBB1555_143
; %bb.142:
	v_cmp_eq_u16_e32 vcc, 0, v26
	v_and_b32_e32 v23, 1, v26
	v_mov_b32_e32 v26, 1
	v_cndmask_b32_e32 v24, 0, v28, vcc
	v_and_b32_sdwa v26, v28, v26 dst_sel:DWORD dst_unused:UNUSED_PAD src0_sel:WORD_1 src1_sel:DWORD
	v_cmp_eq_u32_e32 vcc, 1, v23
	v_add_u16_e32 v27, v24, v22
	v_add_u16_e32 v22, v24, v22
	v_cndmask_b32_e64 v23, v26, 1, vcc
	v_lshlrev_b32_e32 v26, 16, v23
	v_or_b32_e32 v24, v26, v22
	v_mov_b32_e32 v26, v23
	v_mov_b32_e32 v22, v27
.LBB1555_143:
	s_or_b64 exec, exec, s[48:49]
	v_and_b32_e32 v28, 16, v25
	v_mov_b32_dpp v27, v24 row_bcast:15 row_mask:0xf bank_mask:0xf
	v_cmp_ne_u32_e32 vcc, 0, v28
	s_and_saveexec_b64 s[48:49], vcc
	s_cbranch_execz .LBB1555_145
; %bb.144:
	v_cmp_eq_u16_e32 vcc, 0, v26
	v_and_b32_e32 v23, 1, v26
	v_mov_b32_e32 v26, 1
	v_cndmask_b32_e32 v24, 0, v27, vcc
	v_and_b32_sdwa v26, v27, v26 dst_sel:DWORD dst_unused:UNUSED_PAD src0_sel:WORD_1 src1_sel:DWORD
	v_cmp_eq_u32_e32 vcc, 1, v23
	v_add_u16_e32 v28, v24, v22
	v_add_u16_e32 v22, v24, v22
	v_cndmask_b32_e64 v23, v26, 1, vcc
	v_lshlrev_b32_e32 v26, 16, v23
	v_or_b32_e32 v24, v26, v22
	v_mov_b32_e32 v26, v23
	v_mov_b32_e32 v22, v28
.LBB1555_145:
	s_or_b64 exec, exec, s[48:49]
	v_mov_b32_dpp v24, v24 row_bcast:31 row_mask:0xf bank_mask:0xf
	v_cmp_lt_u32_e32 vcc, 31, v25
	s_and_saveexec_b64 s[48:49], vcc
; %bb.146:
	v_cmp_eq_u16_e32 vcc, 0, v26
	s_nop 1
	v_cndmask_b32_e32 v23, 0, v24, vcc
	v_add_u16_e32 v22, v23, v22
	v_and_b32_e32 v23, 1, v26
	v_mov_b32_e32 v26, 1
	v_and_b32_sdwa v24, v24, v26 dst_sel:DWORD dst_unused:UNUSED_PAD src0_sel:WORD_1 src1_sel:DWORD
	v_cmp_eq_u32_e32 vcc, 1, v23
	s_nop 1
	v_cndmask_b32_e64 v23, v24, 1, vcc
; %bb.147:
	s_or_b64 exec, exec, s[48:49]
	v_or_b32_e32 v26, 63, v0
	v_lshrrev_b32_e32 v24, 6, v0
	v_cmp_eq_u32_e32 vcc, v26, v0
	s_and_saveexec_b64 s[48:49], vcc
	s_cbranch_execz .LBB1555_149
; %bb.148:
	v_lshlrev_b32_e32 v26, 2, v24
	ds_write_b16 v26, v22
	ds_write_b8 v26, v23 offset:2
.LBB1555_149:
	s_or_b64 exec, exec, s[48:49]
	v_cmp_gt_u32_e32 vcc, 4, v0
	s_waitcnt lgkmcnt(0)
	s_barrier
	s_and_saveexec_b64 s[48:49], vcc
	s_cbranch_execz .LBB1555_155
; %bb.150:
	v_lshlrev_b32_e32 v26, 2, v0
	ds_read_b32 v27, v26
	v_and_b32_e32 v30, 3, v25
	v_cmp_ne_u32_e32 vcc, 0, v30
	s_waitcnt lgkmcnt(0)
	v_lshrrev_b32_e32 v29, 16, v27
	v_mov_b32_dpp v31, v27 row_shr:1 row_mask:0xf bank_mask:0xf
	v_mov_b32_e32 v28, v27
	s_and_saveexec_b64 s[52:53], vcc
	s_cbranch_execz .LBB1555_152
; %bb.151:
	v_mov_b32_e32 v28, 0
	v_cmp_eq_u16_sdwa vcc, v29, v28 src0_sel:BYTE_0 src1_sel:DWORD
	v_and_b32_e32 v29, 0x10000, v27
	v_mov_b32_e32 v36, 1
	v_cndmask_b32_e32 v35, 0, v31, vcc
	v_and_b32_sdwa v31, v31, v36 dst_sel:DWORD dst_unused:UNUSED_PAD src0_sel:WORD_1 src1_sel:DWORD
	v_cmp_ne_u32_e32 vcc, 0, v29
	v_and_b32_e32 v34, 0xff000000, v27
	v_add_u16_e32 v28, v35, v27
	v_cndmask_b32_e64 v29, v31, 1, vcc
	v_lshlrev_b32_e32 v31, 16, v29
	v_add_u16_e32 v27, v35, v27
	v_or3_b32 v27, v31, v34, v27
.LBB1555_152:
	s_or_b64 exec, exec, s[52:53]
	s_nop 0
	v_mov_b32_dpp v31, v27 row_shr:2 row_mask:0xf bank_mask:0xf
	v_cmp_lt_u32_e32 vcc, 1, v30
	s_and_saveexec_b64 s[52:53], vcc
; %bb.153:
	v_and_b32_e32 v29, 0xff0000, v27
	v_cmp_eq_u32_e32 vcc, 0, v29
	v_and_b32_e32 v27, 0x10000, v27
	s_nop 0
	v_cndmask_b32_e32 v29, 0, v31, vcc
	v_add_u16_e32 v28, v29, v28
	v_mov_b32_e32 v29, 1
	v_and_b32_sdwa v29, v31, v29 dst_sel:DWORD dst_unused:UNUSED_PAD src0_sel:WORD_1 src1_sel:DWORD
	v_cmp_eq_u32_e32 vcc, 0, v27
	s_nop 1
	v_cndmask_b32_e32 v29, 1, v29, vcc
; %bb.154:
	s_or_b64 exec, exec, s[52:53]
	ds_write_b16 v26, v28
	ds_write_b8 v26, v29 offset:2
.LBB1555_155:
	s_or_b64 exec, exec, s[48:49]
	v_cmp_gt_u32_e32 vcc, 64, v0
	v_cmp_lt_u32_e64 s[48:49], 63, v0
	v_mov_b32_e32 v34, 0
	v_mov_b32_e32 v35, 0
	s_waitcnt lgkmcnt(0)
	s_barrier
	s_and_saveexec_b64 s[52:53], s[48:49]
	s_cbranch_execz .LBB1555_157
; %bb.156:
	v_lshl_add_u32 v24, v24, 2, -4
	ds_read_u16 v34, v24
	ds_read_u8 v35, v24 offset:2
	v_and_b32_e32 v26, 1, v23
	v_cmp_eq_u16_e64 s[48:49], 0, v23
	s_waitcnt lgkmcnt(1)
	s_nop 0
	v_cndmask_b32_e64 v23, 0, v34, s[48:49]
	v_cmp_eq_u32_e64 s[48:49], 1, v26
	v_add_u16_e32 v22, v23, v22
	s_waitcnt lgkmcnt(0)
	v_cndmask_b32_e64 v23, v35, 1, s[48:49]
.LBB1555_157:
	s_or_b64 exec, exec, s[52:53]
	v_and_b32_e32 v23, 0xff, v23
	v_and_b32_e32 v22, 0xffff, v22
	v_lshl_or_b32 v22, v23, 16, v22
	v_add_u32_e32 v23, -1, v25
	v_and_b32_e32 v24, 64, v25
	v_cmp_lt_i32_e64 s[48:49], v23, v24
	s_nop 1
	v_cndmask_b32_e64 v23, v23, v25, s[48:49]
	v_lshlrev_b32_e32 v23, 2, v23
	ds_bpermute_b32 v36, v23, v22
	v_cmp_eq_u32_e64 s[48:49], 0, v25
	s_and_saveexec_b64 s[52:53], vcc
	s_cbranch_execz .LBB1555_204
; %bb.158:
	v_mov_b32_e32 v31, 0
	ds_read_b32 v22, v31 offset:12
	s_and_saveexec_b64 s[60:61], s[48:49]
	s_cbranch_execz .LBB1555_160
; %bb.159:
	s_add_i32 s70, s2, 64
	s_mov_b32 s71, 0
	s_lshl_b64 s[70:71], s[70:71], 3
	s_add_u32 s70, s56, s70
	v_mov_b32_e32 v23, 1
	s_addc_u32 s71, s57, s71
	s_waitcnt lgkmcnt(0)
	global_store_dwordx2 v31, v[22:23], s[70:71] sc1
.LBB1555_160:
	s_or_b64 exec, exec, s[60:61]
	v_xad_u32 v24, v25, -1, s2
	v_add_u32_e32 v30, 64, v24
	v_lshl_add_u64 v[28:29], v[30:31], 3, s[56:57]
	global_load_dwordx2 v[26:27], v[28:29], off sc1
	s_waitcnt vmcnt(0)
	v_cmp_eq_u16_sdwa s[70:71], v27, v31 src0_sel:BYTE_0 src1_sel:DWORD
	s_and_saveexec_b64 s[60:61], s[70:71]
	s_cbranch_execz .LBB1555_166
; %bb.161:
	s_mov_b32 s3, 1
	s_mov_b64 s[70:71], 0
	v_mov_b32_e32 v23, 0
.LBB1555_162:                           ; =>This Loop Header: Depth=1
                                        ;     Child Loop BB1555_163 Depth 2
	s_max_u32 s59, s3, 1
.LBB1555_163:                           ;   Parent Loop BB1555_162 Depth=1
                                        ; =>  This Inner Loop Header: Depth=2
	s_add_i32 s59, s59, -1
	s_cmp_eq_u32 s59, 0
	s_sleep 1
	s_cbranch_scc0 .LBB1555_163
; %bb.164:                              ;   in Loop: Header=BB1555_162 Depth=1
	global_load_dwordx2 v[26:27], v[28:29], off sc1
	s_cmp_lt_u32 s3, 32
	s_cselect_b64 s[72:73], -1, 0
	s_cmp_lg_u64 s[72:73], 0
	s_addc_u32 s3, s3, 0
	s_waitcnt vmcnt(0)
	v_cmp_ne_u16_sdwa s[72:73], v27, v23 src0_sel:BYTE_0 src1_sel:DWORD
	s_or_b64 s[70:71], s[72:73], s[70:71]
	s_andn2_b64 exec, exec, s[70:71]
	s_cbranch_execnz .LBB1555_162
; %bb.165:
	s_or_b64 exec, exec, s[70:71]
.LBB1555_166:
	s_or_b64 exec, exec, s[60:61]
	v_mov_b32_e32 v23, 2
	v_cmp_eq_u16_sdwa s[60:61], v27, v23 src0_sel:BYTE_0 src1_sel:DWORD
	v_lshlrev_b64 v[28:29], v25, -1
	v_and_b32_e32 v48, 0xffffff, v26
	v_and_b32_e32 v23, s61, v29
	v_or_b32_e32 v23, 0x80000000, v23
	v_ffbl_b32_e32 v23, v23
	v_add_u32_e32 v31, 32, v23
	v_and_b32_e32 v23, 63, v25
	v_cmp_ne_u32_e32 vcc, 63, v23
	v_and_b32_e32 v30, s60, v28
	v_ffbl_b32_e32 v30, v30
	v_addc_co_u32_e32 v37, vcc, 0, v25, vcc
	v_lshlrev_b32_e32 v37, 2, v37
	ds_bpermute_b32 v38, v37, v48
	v_min_u32_e32 v31, v30, v31
	v_lshrrev_b32_e32 v30, 16, v26
	v_cmp_lt_u32_e32 vcc, v23, v31
	v_bfe_u32 v46, v26, 16, 8
	s_and_saveexec_b64 s[60:61], vcc
	s_cbranch_execz .LBB1555_168
; %bb.167:
	v_and_b32_e32 v30, 0xff0000, v26
	v_cmp_eq_u32_e32 vcc, 0, v30
	v_and_b32_e32 v30, 0x10000, v30
	v_mov_b32_e32 v41, 1
	s_waitcnt lgkmcnt(0)
	v_cndmask_b32_e32 v39, 0, v38, vcc
	v_and_b32_sdwa v38, v38, v41 dst_sel:DWORD dst_unused:UNUSED_PAD src0_sel:WORD_1 src1_sel:DWORD
	v_cmp_ne_u32_e32 vcc, 0, v30
	v_add_u16_e32 v40, v39, v26
	v_add_u16_e32 v26, v39, v26
	v_cndmask_b32_e64 v30, v38, 1, vcc
	v_lshlrev_b32_e32 v38, 16, v30
	v_or_b32_e32 v48, v38, v26
	v_mov_b32_e32 v26, v40
	v_mov_b32_e32 v46, v30
.LBB1555_168:
	s_or_b64 exec, exec, s[60:61]
	v_cmp_gt_u32_e32 vcc, 62, v23
	v_add_u32_e32 v39, 2, v23
	s_waitcnt lgkmcnt(0)
	v_cndmask_b32_e64 v38, 0, 1, vcc
	v_lshlrev_b32_e32 v38, 1, v38
	v_add_lshl_u32 v38, v38, v25, 2
	ds_bpermute_b32 v40, v38, v48
	v_cmp_le_u32_e32 vcc, v39, v31
	s_and_saveexec_b64 s[60:61], vcc
	s_cbranch_execz .LBB1555_170
; %bb.169:
	v_cmp_eq_u16_e32 vcc, 0, v46
	v_and_b32_e32 v30, 1, v46
	v_mov_b32_e32 v43, 1
	s_waitcnt lgkmcnt(0)
	v_cndmask_b32_e32 v41, 0, v40, vcc
	v_and_b32_sdwa v40, v40, v43 dst_sel:DWORD dst_unused:UNUSED_PAD src0_sel:WORD_1 src1_sel:DWORD
	v_cmp_eq_u32_e32 vcc, 1, v30
	v_add_u16_e32 v42, v41, v26
	v_add_u16_e32 v26, v41, v26
	v_cndmask_b32_e64 v30, v40, 1, vcc
	v_lshlrev_b32_e32 v40, 16, v30
	v_or_b32_e32 v48, v40, v26
	v_mov_b32_e32 v26, v42
	v_mov_b32_e32 v46, v30
.LBB1555_170:
	s_or_b64 exec, exec, s[60:61]
	v_cmp_gt_u32_e32 vcc, 60, v23
	v_add_u32_e32 v41, 4, v23
	s_waitcnt lgkmcnt(0)
	v_cndmask_b32_e64 v40, 0, 1, vcc
	v_lshlrev_b32_e32 v40, 2, v40
	v_add_lshl_u32 v40, v40, v25, 2
	ds_bpermute_b32 v42, v40, v48
	v_cmp_le_u32_e32 vcc, v41, v31
	s_and_saveexec_b64 s[60:61], vcc
	s_cbranch_execz .LBB1555_172
; %bb.171:
	v_cmp_eq_u16_e32 vcc, 0, v46
	v_and_b32_e32 v30, 1, v46
	v_mov_b32_e32 v45, 1
	s_waitcnt lgkmcnt(0)
	v_cndmask_b32_e32 v43, 0, v42, vcc
	v_and_b32_sdwa v42, v42, v45 dst_sel:DWORD dst_unused:UNUSED_PAD src0_sel:WORD_1 src1_sel:DWORD
	v_cmp_eq_u32_e32 vcc, 1, v30
	v_add_u16_e32 v44, v43, v26
	v_add_u16_e32 v26, v43, v26
	v_cndmask_b32_e64 v30, v42, 1, vcc
	v_lshlrev_b32_e32 v42, 16, v30
	v_or_b32_e32 v48, v42, v26
	v_mov_b32_e32 v26, v44
	v_mov_b32_e32 v46, v30
.LBB1555_172:
	;; [unrolled: 27-line block ×4, first 2 shown]
	s_or_b64 exec, exec, s[60:61]
	v_cmp_gt_u32_e32 vcc, 32, v23
	v_add_u32_e32 v49, 32, v23
	s_waitcnt lgkmcnt(0)
	v_cndmask_b32_e64 v47, 0, 1, vcc
	v_lshlrev_b32_e32 v47, 5, v47
	v_add_lshl_u32 v47, v47, v25, 2
	ds_bpermute_b32 v25, v47, v48
	v_cmp_le_u32_e32 vcc, v49, v31
	s_and_saveexec_b64 s[60:61], vcc
	s_cbranch_execz .LBB1555_178
; %bb.177:
	v_cmp_eq_u16_e32 vcc, 0, v46
	v_mov_b32_e32 v31, 1
	s_waitcnt lgkmcnt(0)
	v_cndmask_b32_e32 v30, 0, v25, vcc
	v_add_u16_e32 v26, v30, v26
	v_and_b32_e32 v30, 1, v46
	v_and_b32_sdwa v25, v25, v31 dst_sel:DWORD dst_unused:UNUSED_PAD src0_sel:WORD_1 src1_sel:DWORD
	v_cmp_eq_u32_e32 vcc, 1, v30
	s_nop 1
	v_cndmask_b32_e64 v30, v25, 1, vcc
.LBB1555_178:
	s_or_b64 exec, exec, s[60:61]
	s_waitcnt lgkmcnt(0)
	v_mov_b32_e32 v25, 0
	v_mov_b32_e32 v52, 2
	;; [unrolled: 1-line block ×3, first 2 shown]
	s_branch .LBB1555_180
.LBB1555_179:                           ;   in Loop: Header=BB1555_180 Depth=1
	s_or_b64 exec, exec, s[60:61]
	v_cmp_eq_u16_sdwa vcc, v46, v25 src0_sel:BYTE_0 src1_sel:DWORD
	v_and_b32_e32 v30, 1, v46
	v_and_b32_e32 v31, 1, v31
	v_cndmask_b32_e32 v26, 0, v26, vcc
	v_cmp_eq_u32_e32 vcc, 1, v30
	v_subrev_u32_e32 v24, 64, v24
	v_add_u16_e32 v26, v26, v48
	v_cndmask_b32_e64 v30, v31, 1, vcc
.LBB1555_180:                           ; =>This Loop Header: Depth=1
                                        ;     Child Loop BB1555_183 Depth 2
                                        ;       Child Loop BB1555_184 Depth 3
	v_cmp_ne_u16_sdwa s[60:61], v27, v52 src0_sel:BYTE_0 src1_sel:DWORD
	v_mov_b32_e32 v46, v30
	v_mov_b32_e32 v48, v26
	v_cndmask_b32_e64 v27, 0, 1, s[60:61]
	;;#ASMSTART
	;;#ASMEND
	s_nop 0
	v_cmp_ne_u32_e32 vcc, 0, v27
	s_cmp_lg_u64 vcc, exec
	s_cbranch_scc1 .LBB1555_199
; %bb.181:                              ;   in Loop: Header=BB1555_180 Depth=1
	v_lshl_add_u64 v[30:31], v[24:25], 3, s[56:57]
	global_load_dwordx2 v[26:27], v[30:31], off sc1
	s_waitcnt vmcnt(0)
	v_cmp_eq_u16_sdwa s[70:71], v27, v25 src0_sel:BYTE_0 src1_sel:DWORD
	s_and_saveexec_b64 s[60:61], s[70:71]
	s_cbranch_execz .LBB1555_187
; %bb.182:                              ;   in Loop: Header=BB1555_180 Depth=1
	s_mov_b32 s3, 1
	s_mov_b64 s[70:71], 0
.LBB1555_183:                           ;   Parent Loop BB1555_180 Depth=1
                                        ; =>  This Loop Header: Depth=2
                                        ;       Child Loop BB1555_184 Depth 3
	s_max_u32 s59, s3, 1
.LBB1555_184:                           ;   Parent Loop BB1555_180 Depth=1
                                        ;     Parent Loop BB1555_183 Depth=2
                                        ; =>    This Inner Loop Header: Depth=3
	s_add_i32 s59, s59, -1
	s_cmp_eq_u32 s59, 0
	s_sleep 1
	s_cbranch_scc0 .LBB1555_184
; %bb.185:                              ;   in Loop: Header=BB1555_183 Depth=2
	global_load_dwordx2 v[26:27], v[30:31], off sc1
	s_cmp_lt_u32 s3, 32
	s_cselect_b64 s[72:73], -1, 0
	s_cmp_lg_u64 s[72:73], 0
	s_addc_u32 s3, s3, 0
	s_waitcnt vmcnt(0)
	v_cmp_ne_u16_sdwa s[72:73], v27, v25 src0_sel:BYTE_0 src1_sel:DWORD
	s_or_b64 s[70:71], s[72:73], s[70:71]
	s_andn2_b64 exec, exec, s[70:71]
	s_cbranch_execnz .LBB1555_183
; %bb.186:                              ;   in Loop: Header=BB1555_180 Depth=1
	s_or_b64 exec, exec, s[70:71]
.LBB1555_187:                           ;   in Loop: Header=BB1555_180 Depth=1
	s_or_b64 exec, exec, s[60:61]
	v_cmp_eq_u16_sdwa s[60:61], v27, v52 src0_sel:BYTE_0 src1_sel:DWORD
	s_waitcnt lgkmcnt(0)
	v_and_b32_e32 v55, 0xffffff, v26
	ds_bpermute_b32 v56, v37, v55
	v_and_b32_e32 v30, s61, v29
	v_or_b32_e32 v30, 0x80000000, v30
	v_and_b32_e32 v31, s60, v28
	v_ffbl_b32_e32 v30, v30
	v_add_u32_e32 v30, 32, v30
	v_ffbl_b32_e32 v31, v31
	v_min_u32_e32 v30, v31, v30
	v_lshrrev_b32_e32 v31, 16, v26
	v_cmp_lt_u32_e32 vcc, v23, v30
	v_bfe_u32 v54, v26, 16, 8
	s_and_saveexec_b64 s[60:61], vcc
	s_cbranch_execz .LBB1555_189
; %bb.188:                              ;   in Loop: Header=BB1555_180 Depth=1
	v_and_b32_e32 v31, 0xff0000, v26
	v_cmp_eq_u32_e32 vcc, 0, v31
	v_and_b32_e32 v31, 0x10000, v31
	s_waitcnt lgkmcnt(0)
	v_and_b32_sdwa v55, v56, v53 dst_sel:DWORD dst_unused:UNUSED_PAD src0_sel:WORD_1 src1_sel:DWORD
	v_cndmask_b32_e32 v54, 0, v56, vcc
	v_cmp_ne_u32_e32 vcc, 0, v31
	v_add_u16_e32 v57, v54, v26
	v_add_u16_e32 v26, v54, v26
	v_cndmask_b32_e64 v31, v55, 1, vcc
	v_lshlrev_b32_e32 v55, 16, v31
	v_or_b32_e32 v55, v55, v26
	v_mov_b32_e32 v26, v57
	v_mov_b32_e32 v54, v31
.LBB1555_189:                           ;   in Loop: Header=BB1555_180 Depth=1
	s_or_b64 exec, exec, s[60:61]
	s_waitcnt lgkmcnt(0)
	ds_bpermute_b32 v56, v38, v55
	v_cmp_le_u32_e32 vcc, v39, v30
	s_and_saveexec_b64 s[60:61], vcc
	s_cbranch_execz .LBB1555_191
; %bb.190:                              ;   in Loop: Header=BB1555_180 Depth=1
	v_cmp_eq_u16_e32 vcc, 0, v54
	v_and_b32_e32 v31, 1, v54
	s_waitcnt lgkmcnt(0)
	v_and_b32_sdwa v54, v56, v53 dst_sel:DWORD dst_unused:UNUSED_PAD src0_sel:WORD_1 src1_sel:DWORD
	v_cndmask_b32_e32 v55, 0, v56, vcc
	v_cmp_eq_u32_e32 vcc, 1, v31
	v_add_u16_e32 v57, v55, v26
	v_add_u16_e32 v26, v55, v26
	v_cndmask_b32_e64 v31, v54, 1, vcc
	v_lshlrev_b32_e32 v54, 16, v31
	v_or_b32_e32 v55, v54, v26
	v_mov_b32_e32 v26, v57
	v_mov_b32_e32 v54, v31
.LBB1555_191:                           ;   in Loop: Header=BB1555_180 Depth=1
	s_or_b64 exec, exec, s[60:61]
	s_waitcnt lgkmcnt(0)
	ds_bpermute_b32 v56, v40, v55
	v_cmp_le_u32_e32 vcc, v41, v30
	s_and_saveexec_b64 s[60:61], vcc
	s_cbranch_execz .LBB1555_193
; %bb.192:                              ;   in Loop: Header=BB1555_180 Depth=1
	v_cmp_eq_u16_e32 vcc, 0, v54
	v_and_b32_e32 v31, 1, v54
	s_waitcnt lgkmcnt(0)
	v_and_b32_sdwa v54, v56, v53 dst_sel:DWORD dst_unused:UNUSED_PAD src0_sel:WORD_1 src1_sel:DWORD
	v_cndmask_b32_e32 v55, 0, v56, vcc
	v_cmp_eq_u32_e32 vcc, 1, v31
	v_add_u16_e32 v57, v55, v26
	v_add_u16_e32 v26, v55, v26
	v_cndmask_b32_e64 v31, v54, 1, vcc
	v_lshlrev_b32_e32 v54, 16, v31
	v_or_b32_e32 v55, v54, v26
	v_mov_b32_e32 v26, v57
	v_mov_b32_e32 v54, v31
.LBB1555_193:                           ;   in Loop: Header=BB1555_180 Depth=1
	;; [unrolled: 21-line block ×4, first 2 shown]
	s_or_b64 exec, exec, s[60:61]
	ds_bpermute_b32 v55, v47, v55
	v_cmp_le_u32_e32 vcc, v49, v30
	s_and_saveexec_b64 s[60:61], vcc
	s_cbranch_execz .LBB1555_179
; %bb.198:                              ;   in Loop: Header=BB1555_180 Depth=1
	v_cmp_eq_u16_e32 vcc, 0, v54
	s_waitcnt lgkmcnt(0)
	v_lshrrev_b32_e32 v31, 16, v55
	v_cndmask_b32_e32 v30, 0, v55, vcc
	v_add_u16_e32 v26, v30, v26
	v_and_b32_e32 v30, 1, v54
	v_cmp_eq_u32_e32 vcc, 1, v30
	s_nop 1
	v_cndmask_b32_e64 v31, v31, 1, vcc
	s_branch .LBB1555_179
.LBB1555_199:                           ;   in Loop: Header=BB1555_180 Depth=1
                                        ; implicit-def: $vgpr30
                                        ; implicit-def: $vgpr26
	s_cbranch_execz .LBB1555_180
; %bb.200:
	s_and_saveexec_b64 s[60:61], s[48:49]
	s_cbranch_execz .LBB1555_202
; %bb.201:
	v_and_b32_e32 v23, 0xff0000, v22
	s_mov_b32 s3, 0
	v_cmp_eq_u32_e32 vcc, 0, v23
	v_and_b32_e32 v24, 0x10000, v22
	v_mov_b32_e32 v25, 1
	s_add_i32 s2, s2, 64
	v_cndmask_b32_e32 v23, 0, v48, vcc
	v_and_b32_sdwa v25, v46, v25 dst_sel:WORD_1 dst_unused:UNUSED_PAD src0_sel:DWORD src1_sel:DWORD
	v_mov_b32_e32 v26, 0x10000
	v_cmp_eq_u32_e32 vcc, 0, v24
	s_lshl_b64 s[2:3], s[2:3], 3
	s_add_u32 s2, s56, s2
	v_cndmask_b32_e32 v24, v26, v25, vcc
	v_add_u16_e32 v22, v23, v22
	s_addc_u32 s3, s57, s3
	v_mov_b32_e32 v25, 0
	v_or_b32_e32 v22, v24, v22
	v_mov_b32_e32 v23, 2
	global_store_dwordx2 v25, v[22:23], s[2:3] sc1
.LBB1555_202:
	s_or_b64 exec, exec, s[60:61]
	v_cmp_eq_u32_e32 vcc, 0, v0
	s_and_b64 exec, exec, vcc
	s_cbranch_execz .LBB1555_204
; %bb.203:
	v_mov_b32_e32 v22, 0
	ds_write_b16 v22, v48 offset:12
	ds_write_b8 v22, v46 offset:14
.LBB1555_204:
	s_or_b64 exec, exec, s[52:53]
	v_mov_b32_e32 v22, 0
	s_waitcnt lgkmcnt(0)
	s_barrier
	ds_read_b32 v23, v22 offset:12
	v_lshrrev_b32_e32 v24, 16, v36
	v_cndmask_b32_e64 v24, v24, v35, s[48:49]
	v_cmp_eq_u16_sdwa vcc, v24, v22 src0_sel:BYTE_0 src1_sel:DWORD
	v_cndmask_b32_e64 v25, v36, v34, s[48:49]
	s_waitcnt lgkmcnt(0)
	v_cndmask_b32_e32 v22, 0, v23, vcc
	v_add_u16_e32 v22, v22, v25
	v_cmp_eq_u32_e32 vcc, 0, v0
	s_nop 1
	v_cndmask_b32_e32 v24, v22, v23, vcc
	v_and_b32_e32 v22, 0xff0000, v1
	v_cmp_eq_u32_e32 vcc, 0, v22
	s_nop 1
	v_cndmask_b32_e32 v22, 0, v24, vcc
	v_add_u16_e32 v22, v22, v1
	v_cndmask_b32_e64 v23, 0, v22, s[50:51]
	v_add_u16_e32 v23, v23, v50
	v_cndmask_b32_e64 v25, 0, v23, s[4:5]
	v_add_u16_e32 v25, v25, v21
	v_cndmask_b32_e64 v26, 0, v25, s[6:7]
	v_add_u16_e32 v26, v26, v20
	v_cndmask_b32_e64 v27, 0, v26, s[8:9]
	v_add_u16_e32 v27, v27, v19
	v_cndmask_b32_e64 v28, 0, v27, s[10:11]
	v_add_u16_e32 v29, v28, v18
	v_cndmask_b32_e64 v28, 0, v29, s[12:13]
	v_add_u16_e32 v31, v28, v51
	v_cndmask_b32_e64 v28, 0, v31, s[14:15]
	v_add_u16_e32 v28, v28, v9
	v_cndmask_b32_e64 v30, 0, v28, s[16:17]
	v_add_u16_e32 v30, v30, v8
	v_cndmask_b32_e64 v34, 0, v30, s[18:19]
	v_add_u16_e32 v34, v34, v7
	v_cndmask_b32_e64 v35, 0, v34, s[20:21]
	v_add_u16_e32 v35, v35, v6
	v_cndmask_b32_e64 v36, 0, v35, s[22:23]
	v_add_u16_e32 v36, v36, v5
	v_cndmask_b32_e64 v37, 0, v36, s[24:25]
	v_add_u16_e32 v37, v37, v4
	v_cndmask_b32_e64 v38, 0, v37, s[26:27]
	v_add_u16_e32 v39, v38, v3
	v_cndmask_b32_e64 v38, 0, v39, s[28:29]
	v_add_u16_e32 v41, v38, v2
	v_cndmask_b32_e64 v38, 0, v41, s[30:31]
	v_add_u16_e32 v38, v38, v10
	v_cndmask_b32_e64 v40, 0, v38, s[34:35]
	v_add_u16_e32 v40, v40, v11
	v_cndmask_b32_e64 v42, 0, v40, s[36:37]
	v_add_u16_e32 v42, v42, v12
	v_cndmask_b32_e64 v43, 0, v42, s[38:39]
	v_add_u16_e32 v43, v43, v13
	v_cndmask_b32_e64 v44, 0, v43, s[40:41]
	v_add_u16_e32 v44, v44, v14
	v_cndmask_b32_e64 v45, 0, v44, s[42:43]
	v_add_u16_e32 v45, v45, v15
	v_cndmask_b32_e64 v46, 0, v45, s[44:45]
	v_add_u16_e32 v46, v46, v16
	v_cndmask_b32_e64 v47, 0, v46, s[46:47]
	v_add_u16_e32 v47, v47, v17
	s_branch .LBB1555_255
.LBB1555_205:
	s_or_b64 exec, exec, s[52:53]
                                        ; implicit-def: $vgpr3
	s_and_saveexec_b64 s[52:53], s[50:51]
	s_cbranch_execz .LBB1555_53
.LBB1555_206:
	v_lshlrev_b32_e32 v20, 1, v0
	v_mov_b32_e32 v21, 0
	v_lshl_add_u64 v[20:21], s[70:71], 0, v[20:21]
	flat_load_ushort v3, v[20:21] offset:512
	s_or_b64 exec, exec, s[52:53]
                                        ; implicit-def: $vgpr20
	s_and_saveexec_b64 s[50:51], s[4:5]
	s_cbranch_execnz .LBB1555_54
.LBB1555_207:
	s_or_b64 exec, exec, s[50:51]
                                        ; implicit-def: $vgpr21
	s_and_saveexec_b64 s[4:5], s[6:7]
	s_cbranch_execz .LBB1555_55
.LBB1555_208:
	v_lshlrev_b32_e32 v46, 1, v0
	v_mov_b32_e32 v47, 0
	v_lshl_add_u64 v[46:47], s[70:71], 0, v[46:47]
	flat_load_ushort v21, v[46:47] offset:1536
	s_or_b64 exec, exec, s[4:5]
                                        ; implicit-def: $vgpr46
	s_and_saveexec_b64 s[4:5], s[8:9]
	s_cbranch_execnz .LBB1555_56
.LBB1555_209:
	s_or_b64 exec, exec, s[4:5]
                                        ; implicit-def: $vgpr47
	s_and_saveexec_b64 s[4:5], s[10:11]
	s_cbranch_execz .LBB1555_57
.LBB1555_210:
	v_lshlrev_b32_e32 v48, 1, v0
	v_mov_b32_e32 v49, 0
	v_lshl_add_u64 v[48:49], s[70:71], 0, v[48:49]
	flat_load_ushort v47, v[48:49] offset:2560
	s_or_b64 exec, exec, s[4:5]
                                        ; implicit-def: $vgpr48
	s_and_saveexec_b64 s[4:5], s[12:13]
	s_cbranch_execnz .LBB1555_58
.LBB1555_211:
	s_or_b64 exec, exec, s[4:5]
                                        ; implicit-def: $vgpr49
	s_and_saveexec_b64 s[4:5], s[14:15]
	s_cbranch_execz .LBB1555_59
.LBB1555_212:
	v_lshlrev_b32_e32 v50, 1, v0
	v_mov_b32_e32 v51, 0
	v_lshl_add_u64 v[50:51], s[70:71], 0, v[50:51]
	flat_load_ushort v49, v[50:51] offset:3584
	s_or_b64 exec, exec, s[4:5]
                                        ; implicit-def: $vgpr50
	s_and_saveexec_b64 s[4:5], s[16:17]
	s_cbranch_execnz .LBB1555_60
.LBB1555_213:
	s_or_b64 exec, exec, s[4:5]
                                        ; implicit-def: $vgpr1
	s_and_saveexec_b64 s[4:5], s[18:19]
	s_cbranch_execz .LBB1555_61
.LBB1555_214:
	v_lshlrev_b32_e32 v54, 1, v4
	v_mov_b32_e32 v55, 0
	v_lshl_add_u64 v[54:55], s[70:71], 0, v[54:55]
	flat_load_ushort v1, v[54:55]
	s_or_b64 exec, exec, s[4:5]
                                        ; implicit-def: $vgpr4
	s_and_saveexec_b64 s[4:5], s[20:21]
	s_cbranch_execnz .LBB1555_62
.LBB1555_215:
	s_or_b64 exec, exec, s[4:5]
                                        ; implicit-def: $vgpr5
	s_and_saveexec_b64 s[4:5], s[22:23]
	s_cbranch_execz .LBB1555_63
.LBB1555_216:
	v_lshlrev_b32_e32 v54, 1, v6
	v_mov_b32_e32 v55, 0
	v_lshl_add_u64 v[54:55], s[70:71], 0, v[54:55]
	flat_load_ushort v5, v[54:55]
	s_or_b64 exec, exec, s[4:5]
                                        ; implicit-def: $vgpr6
	s_and_saveexec_b64 s[4:5], s[24:25]
	s_cbranch_execnz .LBB1555_64
.LBB1555_217:
	s_or_b64 exec, exec, s[4:5]
                                        ; implicit-def: $vgpr7
	s_and_saveexec_b64 s[4:5], s[26:27]
	s_cbranch_execz .LBB1555_65
.LBB1555_218:
	v_lshlrev_b32_e32 v54, 1, v8
	v_mov_b32_e32 v55, 0
	v_lshl_add_u64 v[54:55], s[70:71], 0, v[54:55]
	flat_load_ushort v7, v[54:55]
	s_or_b64 exec, exec, s[4:5]
                                        ; implicit-def: $vgpr8
	s_and_saveexec_b64 s[4:5], s[28:29]
	s_cbranch_execnz .LBB1555_66
.LBB1555_219:
	s_or_b64 exec, exec, s[4:5]
                                        ; implicit-def: $vgpr9
	s_and_saveexec_b64 s[4:5], s[30:31]
	s_cbranch_execz .LBB1555_67
.LBB1555_220:
	v_lshlrev_b32_e32 v54, 1, v10
	v_mov_b32_e32 v55, 0
	v_lshl_add_u64 v[54:55], s[70:71], 0, v[54:55]
	flat_load_ushort v9, v[54:55]
	s_or_b64 exec, exec, s[4:5]
                                        ; implicit-def: $vgpr10
	s_and_saveexec_b64 s[4:5], s[34:35]
	s_cbranch_execnz .LBB1555_68
.LBB1555_221:
	s_or_b64 exec, exec, s[4:5]
                                        ; implicit-def: $vgpr11
	s_and_saveexec_b64 s[4:5], s[36:37]
	s_cbranch_execz .LBB1555_69
.LBB1555_222:
	v_lshlrev_b32_e32 v54, 1, v12
	v_mov_b32_e32 v55, 0
	v_lshl_add_u64 v[54:55], s[70:71], 0, v[54:55]
	flat_load_ushort v11, v[54:55]
	s_or_b64 exec, exec, s[4:5]
                                        ; implicit-def: $vgpr12
	s_and_saveexec_b64 s[4:5], s[38:39]
	s_cbranch_execnz .LBB1555_70
.LBB1555_223:
	s_or_b64 exec, exec, s[4:5]
                                        ; implicit-def: $vgpr13
	s_and_saveexec_b64 s[4:5], s[40:41]
	s_cbranch_execz .LBB1555_71
.LBB1555_224:
	v_lshlrev_b32_e32 v54, 1, v14
	v_mov_b32_e32 v55, 0
	v_lshl_add_u64 v[54:55], s[70:71], 0, v[54:55]
	flat_load_ushort v13, v[54:55]
	s_or_b64 exec, exec, s[4:5]
                                        ; implicit-def: $vgpr14
	s_and_saveexec_b64 s[4:5], s[42:43]
	s_cbranch_execnz .LBB1555_72
.LBB1555_225:
	s_or_b64 exec, exec, s[4:5]
                                        ; implicit-def: $vgpr15
	s_and_saveexec_b64 s[4:5], s[44:45]
	s_cbranch_execz .LBB1555_73
.LBB1555_226:
	v_lshlrev_b32_e32 v54, 1, v16
	v_mov_b32_e32 v55, 0
	v_lshl_add_u64 v[54:55], s[70:71], 0, v[54:55]
	flat_load_ushort v15, v[54:55]
	s_or_b64 exec, exec, s[4:5]
                                        ; implicit-def: $vgpr16
	s_and_saveexec_b64 s[4:5], s[46:47]
	s_cbranch_execz .LBB1555_75
	s_branch .LBB1555_74
.LBB1555_227:
                                        ; implicit-def: $vgpr24
                                        ; implicit-def: $vgpr22
                                        ; implicit-def: $vgpr23
                                        ; implicit-def: $vgpr25
                                        ; implicit-def: $vgpr26
                                        ; implicit-def: $vgpr27
                                        ; implicit-def: $vgpr29
                                        ; implicit-def: $vgpr31
                                        ; implicit-def: $vgpr28
                                        ; implicit-def: $vgpr30
                                        ; implicit-def: $vgpr34
                                        ; implicit-def: $vgpr35
                                        ; implicit-def: $vgpr36
                                        ; implicit-def: $vgpr37
                                        ; implicit-def: $vgpr39
                                        ; implicit-def: $vgpr41
                                        ; implicit-def: $vgpr38
                                        ; implicit-def: $vgpr40
                                        ; implicit-def: $vgpr42
                                        ; implicit-def: $vgpr43
                                        ; implicit-def: $vgpr44
                                        ; implicit-def: $vgpr45
                                        ; implicit-def: $vgpr46
                                        ; implicit-def: $vgpr47
	s_cbranch_execz .LBB1555_255
; %bb.228:
	s_cmp_lg_u64 s[68:69], 0
	s_cselect_b32 s3, s63, 0
	s_cselect_b32 s2, s62, 0
	s_cmp_eq_u64 s[2:3], 0
	v_mov_b32_e32 v47, s80
	s_cbranch_scc1 .LBB1555_230
; %bb.229:
	v_mov_b32_e32 v22, 0
	global_load_ushort v47, v22, s[2:3]
.LBB1555_230:
	s_mov_b32 s50, 0x10000
	v_cmp_gt_u32_e32 vcc, s50, v50
	v_cmp_gt_u32_e64 s[2:3], s50, v21
	v_cmp_gt_u32_e64 s[4:5], s50, v20
	v_cndmask_b32_e32 v22, 0, v1, vcc
	v_add_u16_e32 v22, v22, v50
	v_cndmask_b32_e64 v22, 0, v22, s[2:3]
	v_add_u16_e32 v22, v22, v21
	v_cndmask_b32_e64 v22, 0, v22, s[4:5]
	v_add_u16_e32 v22, v22, v20
	v_cmp_gt_u32_e64 s[6:7], s50, v19
	v_cmp_gt_u32_e64 s[8:9], s50, v18
	v_cmp_gt_u32_e64 s[10:11], s50, v51
	v_cndmask_b32_e64 v22, 0, v22, s[6:7]
	v_add_u16_e32 v22, v22, v19
	v_cndmask_b32_e64 v22, 0, v22, s[8:9]
	v_add_u16_e32 v22, v22, v18
	v_cndmask_b32_e64 v22, 0, v22, s[10:11]
	v_add_u16_e32 v22, v22, v51
	v_cmp_gt_u32_e64 s[12:13], s50, v9
	v_cmp_gt_u32_e64 s[14:15], s50, v8
	v_cmp_gt_u32_e64 s[16:17], s50, v7
	v_cndmask_b32_e64 v22, 0, v22, s[12:13]
	;; [unrolled: 9-line block ×5, first 2 shown]
	v_add_u16_e32 v22, v22, v11
	v_cndmask_b32_e64 v22, 0, v22, s[34:35]
	v_add_u16_e32 v22, v22, v12
	v_cndmask_b32_e64 v22, 0, v22, s[36:37]
	v_add_u16_e32 v22, v22, v13
	v_cmp_gt_u32_e64 s[38:39], s50, v14
	v_bfe_u32 v25, v19, 16, 1
	v_cmp_gt_u32_e64 s[40:41], s50, v15
	v_cndmask_b32_e64 v22, 0, v22, s[38:39]
	v_add_u16_e32 v22, v22, v14
	v_lshlrev_b16_e32 v26, 1, v25
	v_mov_b32_e32 v25, 1
	v_cndmask_b32_e64 v22, 0, v22, s[40:41]
	v_and_b32_sdwa v27, v18, v25 dst_sel:DWORD dst_unused:UNUSED_PAD src0_sel:WORD_1 src1_sel:DWORD
	v_add_u16_e32 v22, v22, v15
	v_cmp_gt_u32_e64 s[42:43], s50, v16
	v_or_b32_e32 v26, v27, v26
	v_bfe_u32 v27, v21, 16, 1
	v_and_b32_sdwa v28, v20, v25 dst_sel:DWORD dst_unused:UNUSED_PAD src0_sel:WORD_1 src1_sel:DWORD
	v_cndmask_b32_e64 v22, 0, v22, s[42:43]
	v_lshlrev_b16_e32 v27, 3, v27
	v_lshlrev_b16_e32 v28, 2, v28
	v_add_u16_e32 v22, v22, v16
	v_cmp_gt_u32_e64 s[44:45], s50, v17
	v_or_b32_e32 v27, v27, v28
	v_or_b32_e32 v26, v26, v27
	v_cndmask_b32_e64 v22, 0, v22, s[44:45]
	v_and_b32_e32 v27, 0x10000, v51
	v_add_u16_e32 v22, v22, v17
	v_cmp_gt_u32_e64 s[50:51], s50, v32
	v_and_b32_e32 v28, 0x10000, v32
	v_cmp_ne_u32_e64 s[48:49], 0, v27
	v_cndmask_b32_e64 v27, 0, v22, s[50:51]
	v_cmp_ne_u32_e64 s[50:51], 0, v28
	v_or_b32_e32 v28, v16, v8
	v_or_b32_e32 v29, v17, v9
	;; [unrolled: 1-line block ×7, first 2 shown]
	v_bfe_u32 v31, v31, 16, 1
	v_bfe_u32 v29, v29, 16, 1
	v_and_b32_sdwa v28, v28, v25 dst_sel:DWORD dst_unused:UNUSED_PAD src0_sel:WORD_1 src1_sel:DWORD
	v_or_b32_e32 v36, v10, v2
	v_bfe_u32 v37, v37, 16, 1
	v_bfe_u32 v35, v35, 16, 1
	v_and_b32_sdwa v34, v34, v25 dst_sel:DWORD dst_unused:UNUSED_PAD src0_sel:WORD_1 src1_sel:DWORD
	v_lshlrev_b16_e32 v31, 1, v31
	v_and_b32_sdwa v30, v30, v25 dst_sel:DWORD dst_unused:UNUSED_PAD src0_sel:WORD_1 src1_sel:DWORD
	v_lshlrev_b16_e32 v29, 3, v29
	v_lshlrev_b16_e32 v28, 2, v28
	;; [unrolled: 1-line block ×3, first 2 shown]
	v_and_b32_sdwa v36, v36, v25 dst_sel:DWORD dst_unused:UNUSED_PAD src0_sel:WORD_1 src1_sel:DWORD
	v_lshlrev_b16_e32 v35, 3, v35
	v_lshlrev_b16_e32 v34, 2, v34
	v_or_b32_e32 v30, v30, v31
	v_or_b32_e32 v28, v29, v28
	;; [unrolled: 1-line block ×6, first 2 shown]
	v_lshlrev_b16_e32 v28, 4, v28
	v_or_b32_e32 v28, v34, v28
	v_or_b32_e32 v26, v28, v26
	v_mov_b32_e32 v28, 0
	v_cmp_ne_u16_sdwa s[52:53], v26, v28 src0_sel:BYTE_0 src1_sel:DWORD
	v_and_b32_e32 v24, 0x10000, v50
	s_or_b64 s[50:51], s[50:51], s[52:53]
	v_cmp_ne_u32_e64 s[46:47], 0, v24
	s_or_b64 s[48:49], s[50:51], s[48:49]
	v_mov_b32_e32 v23, 0x10000
	v_and_b32_e32 v24, 0x10000, v1
	s_or_b64 s[46:47], s[48:49], s[46:47]
	v_cndmask_b32_e64 v28, v24, v23, s[46:47]
	v_add_u16_e32 v26, v27, v32
	v_mbcnt_hi_u32_b32 v23, -1, v33
	v_add_u16_e32 v22, v27, v32
	v_and_b32_e32 v27, 15, v23
	v_or_b32_e32 v26, v28, v26
	v_lshrrev_b32_e32 v24, 16, v28
	v_cmp_ne_u32_e64 s[46:47], 0, v27
	v_mov_b32_dpp v29, v26 row_shr:1 row_mask:0xf bank_mask:0xf
	s_and_saveexec_b64 s[48:49], s[46:47]
; %bb.231:
	v_cmp_eq_u32_e64 s[46:47], 0, v28
	v_and_b32_e32 v24, 0x10000, v28
	v_and_b32_sdwa v25, v29, v25 dst_sel:DWORD dst_unused:UNUSED_PAD src0_sel:WORD_1 src1_sel:DWORD
	v_cndmask_b32_e64 v26, 0, v29, s[46:47]
	v_cmp_ne_u32_e64 s[46:47], 0, v24
	v_add_u16_e32 v30, v26, v22
	v_add_u16_e32 v22, v26, v22
	v_cndmask_b32_e64 v24, v25, 1, s[46:47]
	v_lshlrev_b32_e32 v25, 16, v24
	v_or_b32_e32 v26, v25, v22
	v_mov_b32_e32 v22, v30
; %bb.232:
	s_or_b64 exec, exec, s[48:49]
	v_lshrrev_b32_e32 v25, 16, v26
	v_mov_b32_dpp v28, v26 row_shr:2 row_mask:0xf bank_mask:0xf
	v_cmp_lt_u32_e64 s[46:47], 1, v27
	s_and_saveexec_b64 s[48:49], s[46:47]
	s_cbranch_execz .LBB1555_234
; %bb.233:
	s_mov_b32 s46, 0x10000
	v_cmp_gt_u32_e64 s[46:47], s46, v26
	v_and_b32_e32 v24, 0x10000, v26
	v_mov_b32_e32 v26, 1
	v_cndmask_b32_e64 v25, 0, v28, s[46:47]
	v_and_b32_sdwa v26, v28, v26 dst_sel:DWORD dst_unused:UNUSED_PAD src0_sel:WORD_1 src1_sel:DWORD
	v_cmp_ne_u32_e64 s[46:47], 0, v24
	v_add_u16_e32 v29, v25, v22
	v_add_u16_e32 v22, v25, v22
	v_cndmask_b32_e64 v24, v26, 1, s[46:47]
	v_lshlrev_b32_e32 v26, 16, v24
	v_or_b32_e32 v26, v26, v22
	v_mov_b32_e32 v25, v24
	v_mov_b32_e32 v22, v29
.LBB1555_234:
	s_or_b64 exec, exec, s[48:49]
	v_mov_b32_dpp v28, v26 row_shr:4 row_mask:0xf bank_mask:0xf
	v_cmp_lt_u32_e64 s[46:47], 3, v27
	s_and_saveexec_b64 s[48:49], s[46:47]
	s_cbranch_execz .LBB1555_236
; %bb.235:
	v_cmp_eq_u16_e64 s[46:47], 0, v25
	v_and_b32_e32 v24, 1, v25
	v_mov_b32_e32 v25, 1
	v_cndmask_b32_e64 v26, 0, v28, s[46:47]
	v_and_b32_sdwa v25, v28, v25 dst_sel:DWORD dst_unused:UNUSED_PAD src0_sel:WORD_1 src1_sel:DWORD
	v_cmp_eq_u32_e64 s[46:47], 1, v24
	v_add_u16_e32 v29, v26, v22
	v_add_u16_e32 v22, v26, v22
	v_cndmask_b32_e64 v24, v25, 1, s[46:47]
	v_lshlrev_b32_e32 v25, 16, v24
	v_or_b32_e32 v26, v25, v22
	v_mov_b32_e32 v25, v24
	v_mov_b32_e32 v22, v29
.LBB1555_236:
	s_or_b64 exec, exec, s[48:49]
	v_mov_b32_dpp v28, v26 row_shr:8 row_mask:0xf bank_mask:0xf
	v_cmp_lt_u32_e64 s[46:47], 7, v27
	s_and_saveexec_b64 s[48:49], s[46:47]
	s_cbranch_execz .LBB1555_238
; %bb.237:
	v_cmp_eq_u16_e64 s[46:47], 0, v25
	v_and_b32_e32 v24, 1, v25
	v_mov_b32_e32 v25, 1
	v_cndmask_b32_e64 v26, 0, v28, s[46:47]
	v_and_b32_sdwa v25, v28, v25 dst_sel:DWORD dst_unused:UNUSED_PAD src0_sel:WORD_1 src1_sel:DWORD
	v_cmp_eq_u32_e64 s[46:47], 1, v24
	v_add_u16_e32 v27, v26, v22
	v_add_u16_e32 v22, v26, v22
	v_cndmask_b32_e64 v24, v25, 1, s[46:47]
	v_lshlrev_b32_e32 v25, 16, v24
	v_or_b32_e32 v26, v25, v22
	v_mov_b32_e32 v25, v24
	v_mov_b32_e32 v22, v27
.LBB1555_238:
	s_or_b64 exec, exec, s[48:49]
	v_and_b32_e32 v28, 16, v23
	v_mov_b32_dpp v27, v26 row_bcast:15 row_mask:0xf bank_mask:0xf
	v_cmp_ne_u32_e64 s[46:47], 0, v28
	s_and_saveexec_b64 s[48:49], s[46:47]
	s_cbranch_execz .LBB1555_240
; %bb.239:
	v_cmp_eq_u16_e64 s[46:47], 0, v25
	v_and_b32_e32 v24, 1, v25
	v_mov_b32_e32 v25, 1
	v_cndmask_b32_e64 v26, 0, v27, s[46:47]
	v_and_b32_sdwa v25, v27, v25 dst_sel:DWORD dst_unused:UNUSED_PAD src0_sel:WORD_1 src1_sel:DWORD
	v_cmp_eq_u32_e64 s[46:47], 1, v24
	v_add_u16_e32 v28, v26, v22
	v_add_u16_e32 v22, v26, v22
	v_cndmask_b32_e64 v24, v25, 1, s[46:47]
	v_lshlrev_b32_e32 v25, 16, v24
	v_or_b32_e32 v26, v25, v22
	v_mov_b32_e32 v25, v24
	v_mov_b32_e32 v22, v28
.LBB1555_240:
	s_or_b64 exec, exec, s[48:49]
	v_mov_b32_dpp v26, v26 row_bcast:31 row_mask:0xf bank_mask:0xf
	v_cmp_lt_u32_e64 s[46:47], 31, v23
	s_and_saveexec_b64 s[48:49], s[46:47]
; %bb.241:
	v_cmp_eq_u16_e64 s[46:47], 0, v25
	s_nop 1
	v_cndmask_b32_e64 v24, 0, v26, s[46:47]
	v_add_u16_e32 v22, v24, v22
	v_and_b32_e32 v24, 1, v25
	v_mov_b32_e32 v25, 1
	v_and_b32_sdwa v25, v26, v25 dst_sel:DWORD dst_unused:UNUSED_PAD src0_sel:WORD_1 src1_sel:DWORD
	v_cmp_eq_u32_e64 s[46:47], 1, v24
	s_nop 1
	v_cndmask_b32_e64 v24, v25, 1, s[46:47]
; %bb.242:
	s_or_b64 exec, exec, s[48:49]
	v_or_b32_e32 v26, 63, v0
	v_lshrrev_b32_e32 v25, 6, v0
	v_cmp_eq_u32_e64 s[46:47], v26, v0
	s_and_saveexec_b64 s[48:49], s[46:47]
	s_cbranch_execz .LBB1555_244
; %bb.243:
	v_lshlrev_b32_e32 v26, 2, v25
	ds_write_b16 v26, v22
	ds_write_b8 v26, v24 offset:2
.LBB1555_244:
	s_or_b64 exec, exec, s[48:49]
	v_cmp_gt_u32_e64 s[46:47], 4, v0
	s_waitcnt lgkmcnt(0)
	s_barrier
	s_and_saveexec_b64 s[48:49], s[46:47]
	s_cbranch_execz .LBB1555_250
; %bb.245:
	v_lshlrev_b32_e32 v26, 2, v0
	ds_read_b32 v27, v26
	v_and_b32_e32 v30, 3, v23
	v_cmp_ne_u32_e64 s[46:47], 0, v30
	s_waitcnt lgkmcnt(0)
	v_lshrrev_b32_e32 v29, 16, v27
	v_mov_b32_dpp v31, v27 row_shr:1 row_mask:0xf bank_mask:0xf
	v_mov_b32_e32 v28, v27
	s_and_saveexec_b64 s[50:51], s[46:47]
	s_cbranch_execz .LBB1555_247
; %bb.246:
	v_mov_b32_e32 v28, 0
	v_cmp_eq_u16_sdwa s[46:47], v29, v28 src0_sel:BYTE_0 src1_sel:DWORD
	v_and_b32_e32 v29, 0x10000, v27
	v_mov_b32_e32 v34, 1
	v_cndmask_b32_e64 v33, 0, v31, s[46:47]
	v_and_b32_sdwa v31, v31, v34 dst_sel:DWORD dst_unused:UNUSED_PAD src0_sel:WORD_1 src1_sel:DWORD
	v_cmp_ne_u32_e64 s[46:47], 0, v29
	v_and_b32_e32 v32, 0xff000000, v27
	v_add_u16_e32 v28, v33, v27
	v_cndmask_b32_e64 v29, v31, 1, s[46:47]
	v_lshlrev_b32_e32 v31, 16, v29
	v_add_u16_e32 v27, v33, v27
	v_or3_b32 v27, v31, v32, v27
.LBB1555_247:
	s_or_b64 exec, exec, s[50:51]
	s_nop 0
	v_mov_b32_dpp v31, v27 row_shr:2 row_mask:0xf bank_mask:0xf
	v_cmp_lt_u32_e64 s[46:47], 1, v30
	s_and_saveexec_b64 s[50:51], s[46:47]
; %bb.248:
	v_and_b32_e32 v29, 0xff0000, v27
	v_cmp_eq_u32_e64 s[46:47], 0, v29
	v_and_b32_e32 v27, 0x10000, v27
	s_nop 0
	v_cndmask_b32_e64 v29, 0, v31, s[46:47]
	v_add_u16_e32 v28, v29, v28
	v_mov_b32_e32 v29, 1
	v_and_b32_sdwa v29, v31, v29 dst_sel:DWORD dst_unused:UNUSED_PAD src0_sel:WORD_1 src1_sel:DWORD
	v_cmp_eq_u32_e64 s[46:47], 0, v27
	s_nop 1
	v_cndmask_b32_e64 v29, 1, v29, s[46:47]
; %bb.249:
	s_or_b64 exec, exec, s[50:51]
	ds_write_b16 v26, v28
	ds_write_b8 v26, v29 offset:2
.LBB1555_250:
	s_or_b64 exec, exec, s[48:49]
	v_cmp_lt_u32_e64 s[46:47], 63, v0
	v_mov_b32_e32 v27, 0
	s_waitcnt vmcnt(0)
	v_mov_b32_e32 v26, v47
	s_waitcnt lgkmcnt(0)
	s_barrier
	s_and_saveexec_b64 s[48:49], s[46:47]
	s_cbranch_execz .LBB1555_252
; %bb.251:
	v_lshl_add_u32 v25, v25, 2, -4
	ds_read_u8 v27, v25 offset:2
	ds_read_u16 v25, v25
	s_waitcnt lgkmcnt(1)
	v_cmp_eq_u16_e64 s[46:47], 0, v27
	s_nop 1
	v_cndmask_b32_e64 v26, 0, v47, s[46:47]
	s_waitcnt lgkmcnt(0)
	v_add_u16_e32 v26, v26, v25
.LBB1555_252:
	s_or_b64 exec, exec, s[48:49]
	v_cmp_eq_u16_e64 s[46:47], 0, v24
	v_and_b32_e32 v24, 1, v24
	v_lshlrev_b32_e32 v27, 16, v27
	v_cndmask_b32_e64 v25, 0, v26, s[46:47]
	v_mov_b32_e32 v28, 0x10000
	v_cmp_eq_u32_e64 s[46:47], 1, v24
	v_add_u16_e32 v22, v25, v22
	v_and_b32_e32 v25, 64, v23
	v_cndmask_b32_e64 v24, v27, v28, s[46:47]
	v_or_b32_e32 v22, v24, v22
	v_add_u32_e32 v24, -1, v23
	v_cmp_lt_i32_e64 s[46:47], v24, v25
	s_nop 1
	v_cndmask_b32_e64 v24, v24, v23, s[46:47]
	v_lshlrev_b32_e32 v24, 2, v24
	ds_bpermute_b32 v22, v24, v22
	v_cmp_eq_u32_e64 s[46:47], 0, v23
	v_and_b32_e32 v23, 0xff0000, v1
	v_cmp_eq_u32_e64 s[48:49], 0, v23
	s_waitcnt lgkmcnt(0)
	v_cndmask_b32_e64 v24, v22, v26, s[46:47]
	v_cmp_eq_u32_e64 s[46:47], 0, v0
	s_nop 1
	v_cndmask_b32_e64 v22, v24, v47, s[46:47]
	v_cndmask_b32_e64 v22, 0, v22, s[48:49]
	v_add_u16_e32 v22, v22, v1
	v_cndmask_b32_e32 v1, 0, v22, vcc
	v_add_u16_e32 v23, v1, v50
	v_cndmask_b32_e64 v1, 0, v23, s[2:3]
	v_add_u16_e32 v25, v1, v21
	v_cndmask_b32_e64 v1, 0, v25, s[4:5]
	;; [unrolled: 2-line block ×21, first 2 shown]
	s_and_saveexec_b64 s[2:3], s[46:47]
	s_cbranch_execz .LBB1555_254
; %bb.253:
	v_mov_b32_e32 v4, 0
	ds_read_u8 v2, v4 offset:14
	ds_read_u16 v5, v4 offset:12
	v_mov_b32_e32 v3, 2
	v_mov_b32_e32 v24, v47
	s_waitcnt lgkmcnt(1)
	v_cmp_eq_u32_e32 vcc, 0, v2
	v_lshlrev_b32_e32 v6, 16, v2
	s_nop 0
	v_cndmask_b32_e32 v2, 0, v47, vcc
	s_waitcnt lgkmcnt(0)
	v_add_u32_e32 v2, v2, v5
	v_or_b32_sdwa v2, v6, v2 dst_sel:DWORD dst_unused:UNUSED_PAD src0_sel:DWORD src1_sel:WORD_0
	global_store_dwordx2 v4, v[2:3], s[56:57] offset:512 sc1
.LBB1555_254:
	s_or_b64 exec, exec, s[2:3]
	v_add_u16_e32 v47, v1, v17
.LBB1555_255:
	s_add_u32 s2, s54, s64
	s_addc_u32 s3, s55, s65
	s_add_u32 s2, s2, s66
	v_mul_u32_u24_e32 v1, 24, v0
	s_addc_u32 s3, s3, s67
	s_and_b64 vcc, exec, s[0:1]
	v_lshlrev_b32_e32 v6, 1, v1
	v_lshlrev_b32_e32 v2, 1, v0
	s_cbranch_vccz .LBB1555_303
; %bb.256:
	s_mov_b32 s0, 0x5040100
	v_perm_b32 v11, v31, v29, s0
	v_perm_b32 v10, v27, v26, s0
	;; [unrolled: 1-line block ×4, first 2 shown]
	s_barrier
	ds_write_b128 v6, v[8:11]
	v_perm_b32 v11, v41, v39, s0
	v_perm_b32 v10, v37, v36, s0
	;; [unrolled: 1-line block ×4, first 2 shown]
	ds_write_b128 v6, v[8:11] offset:16
	v_perm_b32 v11, v47, v46, s0
	v_perm_b32 v10, v45, v44, s0
	v_perm_b32 v9, v43, v42, s0
	v_perm_b32 v8, v40, v38, s0
	s_movk_i32 s0, 0xffd2
	v_mad_i32_i24 v3, v0, s0, v6
	ds_write_b128 v6, v[8:11] offset:32
	s_waitcnt lgkmcnt(0)
	s_barrier
	ds_read_u16 v52, v3 offset:512
	ds_read_u16 v51, v3 offset:1024
	;; [unrolled: 1-line block ×23, first 2 shown]
	s_add_i32 s33, s33, s58
	v_mov_b32_e32 v3, 0
	v_lshl_add_u64 v[4:5], s[2:3], 0, v[2:3]
	v_cmp_gt_u32_e32 vcc, s33, v0
	s_and_saveexec_b64 s[0:1], vcc
	s_cbranch_execz .LBB1555_258
; %bb.257:
	v_mul_i32_i24_e32 v53, 0xffffffd2, v0
	v_add_u32_e32 v53, v6, v53
	ds_read_u16 v53, v53
	s_waitcnt lgkmcnt(0)
	flat_store_short v[4:5], v53
.LBB1555_258:
	s_or_b64 exec, exec, s[0:1]
	v_or_b32_e32 v53, 0x100, v0
	v_cmp_gt_u32_e32 vcc, s33, v53
	s_and_saveexec_b64 s[0:1], vcc
	s_cbranch_execz .LBB1555_260
; %bb.259:
	s_waitcnt lgkmcnt(0)
	flat_store_short v[4:5], v52 offset:512
.LBB1555_260:
	s_or_b64 exec, exec, s[0:1]
	s_waitcnt lgkmcnt(0)
	v_or_b32_e32 v52, 0x200, v0
	v_cmp_gt_u32_e32 vcc, s33, v52
	s_and_saveexec_b64 s[0:1], vcc
	s_cbranch_execz .LBB1555_262
; %bb.261:
	flat_store_short v[4:5], v51 offset:1024
.LBB1555_262:
	s_or_b64 exec, exec, s[0:1]
	v_or_b32_e32 v51, 0x300, v0
	v_cmp_gt_u32_e32 vcc, s33, v51
	s_and_saveexec_b64 s[0:1], vcc
	s_cbranch_execz .LBB1555_264
; %bb.263:
	flat_store_short v[4:5], v50 offset:1536
.LBB1555_264:
	s_or_b64 exec, exec, s[0:1]
	;; [unrolled: 8-line block ×6, first 2 shown]
	v_or_b32_e32 v32, 0x800, v0
	v_cmp_gt_u32_e32 vcc, s33, v32
	s_and_saveexec_b64 s[0:1], vcc
	s_cbranch_execz .LBB1555_274
; %bb.273:
	v_add_co_u32_e32 v32, vcc, 0x1000, v4
	s_nop 1
	v_addc_co_u32_e32 v33, vcc, 0, v5, vcc
	flat_store_short v[32:33], v21
.LBB1555_274:
	s_or_b64 exec, exec, s[0:1]
	v_or_b32_e32 v21, 0x900, v0
	v_cmp_gt_u32_e32 vcc, s33, v21
	s_and_saveexec_b64 s[0:1], vcc
	s_cbranch_execz .LBB1555_276
; %bb.275:
	v_add_co_u32_e32 v32, vcc, 0x1000, v4
	s_nop 1
	v_addc_co_u32_e32 v33, vcc, 0, v5, vcc
	flat_store_short v[32:33], v20 offset:512
.LBB1555_276:
	s_or_b64 exec, exec, s[0:1]
	v_or_b32_e32 v20, 0xa00, v0
	v_cmp_gt_u32_e32 vcc, s33, v20
	s_and_saveexec_b64 s[0:1], vcc
	s_cbranch_execz .LBB1555_278
; %bb.277:
	v_add_co_u32_e32 v20, vcc, 0x1000, v4
	s_nop 1
	v_addc_co_u32_e32 v21, vcc, 0, v5, vcc
	flat_store_short v[20:21], v19 offset:1024
.LBB1555_278:
	s_or_b64 exec, exec, s[0:1]
	v_or_b32_e32 v19, 0xb00, v0
	v_cmp_gt_u32_e32 vcc, s33, v19
	s_and_saveexec_b64 s[0:1], vcc
	s_cbranch_execz .LBB1555_280
; %bb.279:
	v_add_co_u32_e32 v20, vcc, 0x1000, v4
	s_nop 1
	v_addc_co_u32_e32 v21, vcc, 0, v5, vcc
	flat_store_short v[20:21], v18 offset:1536
.LBB1555_280:
	s_or_b64 exec, exec, s[0:1]
	v_or_b32_e32 v18, 0xc00, v0
	v_cmp_gt_u32_e32 vcc, s33, v18
	s_and_saveexec_b64 s[0:1], vcc
	s_cbranch_execz .LBB1555_282
; %bb.281:
	v_add_co_u32_e32 v18, vcc, 0x1000, v4
	s_nop 1
	v_addc_co_u32_e32 v19, vcc, 0, v5, vcc
	flat_store_short v[18:19], v17 offset:2048
.LBB1555_282:
	s_or_b64 exec, exec, s[0:1]
	v_or_b32_e32 v17, 0xd00, v0
	v_cmp_gt_u32_e32 vcc, s33, v17
	s_and_saveexec_b64 s[0:1], vcc
	s_cbranch_execz .LBB1555_284
; %bb.283:
	v_add_co_u32_e32 v18, vcc, 0x1000, v4
	s_nop 1
	v_addc_co_u32_e32 v19, vcc, 0, v5, vcc
	flat_store_short v[18:19], v16 offset:2560
.LBB1555_284:
	s_or_b64 exec, exec, s[0:1]
	v_or_b32_e32 v16, 0xe00, v0
	v_cmp_gt_u32_e32 vcc, s33, v16
	s_and_saveexec_b64 s[0:1], vcc
	s_cbranch_execz .LBB1555_286
; %bb.285:
	v_add_co_u32_e32 v16, vcc, 0x1000, v4
	s_nop 1
	v_addc_co_u32_e32 v17, vcc, 0, v5, vcc
	flat_store_short v[16:17], v15 offset:3072
.LBB1555_286:
	s_or_b64 exec, exec, s[0:1]
	v_or_b32_e32 v15, 0xf00, v0
	v_cmp_gt_u32_e32 vcc, s33, v15
	s_and_saveexec_b64 s[0:1], vcc
	s_cbranch_execz .LBB1555_288
; %bb.287:
	v_add_co_u32_e32 v16, vcc, 0x1000, v4
	s_nop 1
	v_addc_co_u32_e32 v17, vcc, 0, v5, vcc
	flat_store_short v[16:17], v14 offset:3584
.LBB1555_288:
	s_or_b64 exec, exec, s[0:1]
	v_or_b32_e32 v14, 0x1000, v0
	v_cmp_gt_u32_e32 vcc, s33, v14
	s_and_saveexec_b64 s[0:1], vcc
	s_cbranch_execz .LBB1555_290
; %bb.289:
	v_add_co_u32_e32 v14, vcc, 0x2000, v4
	s_nop 1
	v_addc_co_u32_e32 v15, vcc, 0, v5, vcc
	flat_store_short v[14:15], v13
.LBB1555_290:
	s_or_b64 exec, exec, s[0:1]
	v_or_b32_e32 v13, 0x1100, v0
	v_cmp_gt_u32_e32 vcc, s33, v13
	s_and_saveexec_b64 s[0:1], vcc
	s_cbranch_execz .LBB1555_292
; %bb.291:
	v_add_co_u32_e32 v14, vcc, 0x2000, v4
	s_nop 1
	v_addc_co_u32_e32 v15, vcc, 0, v5, vcc
	flat_store_short v[14:15], v12 offset:512
.LBB1555_292:
	s_or_b64 exec, exec, s[0:1]
	v_or_b32_e32 v12, 0x1200, v0
	v_cmp_gt_u32_e32 vcc, s33, v12
	s_and_saveexec_b64 s[0:1], vcc
	s_cbranch_execz .LBB1555_294
; %bb.293:
	v_add_co_u32_e32 v12, vcc, 0x2000, v4
	s_nop 1
	v_addc_co_u32_e32 v13, vcc, 0, v5, vcc
	flat_store_short v[12:13], v11 offset:1024
.LBB1555_294:
	;; [unrolled: 11-line block ×6, first 2 shown]
	s_or_b64 exec, exec, s[0:1]
	v_mov_b32_e32 v1, v3
	v_or_b32_e32 v3, 0x1700, v0
	v_cmp_gt_u32_e64 s[0:1], s33, v3
	s_branch .LBB1555_305
.LBB1555_303:
	s_mov_b64 s[0:1], 0
                                        ; implicit-def: $vgpr7
	s_cbranch_execz .LBB1555_305
; %bb.304:
	s_mov_b32 s4, 0x5040100
	v_perm_b32 v11, v31, v29, s4
	v_perm_b32 v10, v27, v26, s4
	;; [unrolled: 1-line block ×4, first 2 shown]
	s_waitcnt lgkmcnt(0)
	s_barrier
	ds_write_b128 v6, v[8:11]
	v_perm_b32 v11, v41, v39, s4
	v_perm_b32 v10, v37, v36, s4
	;; [unrolled: 1-line block ×4, first 2 shown]
	ds_write_b128 v6, v[8:11] offset:16
	v_perm_b32 v11, v47, v46, s4
	v_perm_b32 v10, v45, v44, s4
	v_perm_b32 v9, v43, v42, s4
	v_perm_b32 v8, v40, v38, s4
	s_movk_i32 s4, 0xffd2
	v_mov_b32_e32 v1, 0
	v_mad_i32_i24 v3, v0, s4, v6
	ds_write_b128 v6, v[8:11] offset:32
	s_waitcnt lgkmcnt(0)
	s_barrier
	ds_read_u16 v4, v3
	ds_read_u16 v5, v3 offset:512
	ds_read_u16 v6, v3 offset:1024
	ds_read_u16 v8, v3 offset:1536
	ds_read_u16 v9, v3 offset:2048
	ds_read_u16 v10, v3 offset:2560
	ds_read_u16 v11, v3 offset:3072
	ds_read_u16 v12, v3 offset:3584
	ds_read_u16 v13, v3 offset:4096
	ds_read_u16 v14, v3 offset:4608
	ds_read_u16 v15, v3 offset:5120
	ds_read_u16 v16, v3 offset:5632
	ds_read_u16 v17, v3 offset:6144
	ds_read_u16 v18, v3 offset:6656
	ds_read_u16 v19, v3 offset:7168
	ds_read_u16 v20, v3 offset:7680
	ds_read_u16 v21, v3 offset:8192
	ds_read_u16 v22, v3 offset:8704
	ds_read_u16 v23, v3 offset:9216
	ds_read_u16 v24, v3 offset:9728
	ds_read_u16 v25, v3 offset:10240
	ds_read_u16 v26, v3 offset:10752
	ds_read_u16 v27, v3 offset:11264
	ds_read_u16 v7, v3 offset:11776
	v_mov_b32_e32 v3, v1
	v_lshl_add_u64 v[2:3], s[2:3], 0, v[2:3]
	s_movk_i32 s4, 0x1000
	s_waitcnt lgkmcnt(0)
	flat_store_short v[2:3], v4
	flat_store_short v[2:3], v5 offset:512
	flat_store_short v[2:3], v6 offset:1024
	;; [unrolled: 1-line block ×7, first 2 shown]
	v_add_co_u32_e32 v4, vcc, s4, v2
	s_or_b64 s[0:1], s[0:1], exec
	s_nop 0
	v_addc_co_u32_e32 v5, vcc, 0, v3, vcc
	v_add_co_u32_e32 v2, vcc, 0x2000, v2
	flat_store_short v[4:5], v13
	flat_store_short v[4:5], v14 offset:512
	flat_store_short v[4:5], v15 offset:1024
	flat_store_short v[4:5], v16 offset:1536
	flat_store_short v[4:5], v17 offset:2048
	flat_store_short v[4:5], v18 offset:2560
	flat_store_short v[4:5], v19 offset:3072
	flat_store_short v[4:5], v20 offset:3584
	v_addc_co_u32_e32 v3, vcc, 0, v3, vcc
	flat_store_short v[2:3], v21
	flat_store_short v[2:3], v22 offset:512
	flat_store_short v[2:3], v23 offset:1024
	;; [unrolled: 1-line block ×6, first 2 shown]
.LBB1555_305:
	s_and_saveexec_b64 s[4:5], s[0:1]
	s_cbranch_execz .LBB1555_307
; %bb.306:
	v_lshl_add_u64 v[0:1], v[0:1], 1, s[2:3]
	v_add_co_u32_e32 v0, vcc, 0x2000, v0
	s_nop 1
	v_addc_co_u32_e32 v1, vcc, 0, v1, vcc
	flat_store_short v[0:1], v7 offset:3584
	s_endpgm
.LBB1555_307:
	s_endpgm
	.section	.rodata,"a",@progbits
	.p2align	6, 0x0
	.amdhsa_kernel _ZN7rocprim17ROCPRIM_400000_NS6detail17trampoline_kernelINS0_14default_configENS1_27scan_by_key_config_selectorIitEEZZNS1_16scan_by_key_implILNS1_25lookback_scan_determinismE0ELb1ES3_N6thrust23THRUST_200600_302600_NS6detail15normal_iteratorINS9_10device_ptrIiEEEENSB_INSC_ItEEEESG_tNS9_4plusIvEENS9_8equal_toIvEEtEE10hipError_tPvRmT2_T3_T4_T5_mT6_T7_P12ihipStream_tbENKUlT_T0_E_clISt17integral_constantIbLb1EES10_IbLb0EEEEDaSW_SX_EUlSW_E_NS1_11comp_targetILNS1_3genE5ELNS1_11target_archE942ELNS1_3gpuE9ELNS1_3repE0EEENS1_30default_config_static_selectorELNS0_4arch9wavefront6targetE1EEEvT1_
		.amdhsa_group_segment_fixed_size 26624
		.amdhsa_private_segment_fixed_size 0
		.amdhsa_kernarg_size 112
		.amdhsa_user_sgpr_count 2
		.amdhsa_user_sgpr_dispatch_ptr 0
		.amdhsa_user_sgpr_queue_ptr 0
		.amdhsa_user_sgpr_kernarg_segment_ptr 1
		.amdhsa_user_sgpr_dispatch_id 0
		.amdhsa_user_sgpr_kernarg_preload_length 0
		.amdhsa_user_sgpr_kernarg_preload_offset 0
		.amdhsa_user_sgpr_private_segment_size 0
		.amdhsa_uses_dynamic_stack 0
		.amdhsa_enable_private_segment 0
		.amdhsa_system_sgpr_workgroup_id_x 1
		.amdhsa_system_sgpr_workgroup_id_y 0
		.amdhsa_system_sgpr_workgroup_id_z 0
		.amdhsa_system_sgpr_workgroup_info 0
		.amdhsa_system_vgpr_workitem_id 0
		.amdhsa_next_free_vgpr 58
		.amdhsa_next_free_sgpr 92
		.amdhsa_accum_offset 60
		.amdhsa_reserve_vcc 1
		.amdhsa_float_round_mode_32 0
		.amdhsa_float_round_mode_16_64 0
		.amdhsa_float_denorm_mode_32 3
		.amdhsa_float_denorm_mode_16_64 3
		.amdhsa_dx10_clamp 1
		.amdhsa_ieee_mode 1
		.amdhsa_fp16_overflow 0
		.amdhsa_tg_split 0
		.amdhsa_exception_fp_ieee_invalid_op 0
		.amdhsa_exception_fp_denorm_src 0
		.amdhsa_exception_fp_ieee_div_zero 0
		.amdhsa_exception_fp_ieee_overflow 0
		.amdhsa_exception_fp_ieee_underflow 0
		.amdhsa_exception_fp_ieee_inexact 0
		.amdhsa_exception_int_div_zero 0
	.end_amdhsa_kernel
	.section	.text._ZN7rocprim17ROCPRIM_400000_NS6detail17trampoline_kernelINS0_14default_configENS1_27scan_by_key_config_selectorIitEEZZNS1_16scan_by_key_implILNS1_25lookback_scan_determinismE0ELb1ES3_N6thrust23THRUST_200600_302600_NS6detail15normal_iteratorINS9_10device_ptrIiEEEENSB_INSC_ItEEEESG_tNS9_4plusIvEENS9_8equal_toIvEEtEE10hipError_tPvRmT2_T3_T4_T5_mT6_T7_P12ihipStream_tbENKUlT_T0_E_clISt17integral_constantIbLb1EES10_IbLb0EEEEDaSW_SX_EUlSW_E_NS1_11comp_targetILNS1_3genE5ELNS1_11target_archE942ELNS1_3gpuE9ELNS1_3repE0EEENS1_30default_config_static_selectorELNS0_4arch9wavefront6targetE1EEEvT1_,"axG",@progbits,_ZN7rocprim17ROCPRIM_400000_NS6detail17trampoline_kernelINS0_14default_configENS1_27scan_by_key_config_selectorIitEEZZNS1_16scan_by_key_implILNS1_25lookback_scan_determinismE0ELb1ES3_N6thrust23THRUST_200600_302600_NS6detail15normal_iteratorINS9_10device_ptrIiEEEENSB_INSC_ItEEEESG_tNS9_4plusIvEENS9_8equal_toIvEEtEE10hipError_tPvRmT2_T3_T4_T5_mT6_T7_P12ihipStream_tbENKUlT_T0_E_clISt17integral_constantIbLb1EES10_IbLb0EEEEDaSW_SX_EUlSW_E_NS1_11comp_targetILNS1_3genE5ELNS1_11target_archE942ELNS1_3gpuE9ELNS1_3repE0EEENS1_30default_config_static_selectorELNS0_4arch9wavefront6targetE1EEEvT1_,comdat
.Lfunc_end1555:
	.size	_ZN7rocprim17ROCPRIM_400000_NS6detail17trampoline_kernelINS0_14default_configENS1_27scan_by_key_config_selectorIitEEZZNS1_16scan_by_key_implILNS1_25lookback_scan_determinismE0ELb1ES3_N6thrust23THRUST_200600_302600_NS6detail15normal_iteratorINS9_10device_ptrIiEEEENSB_INSC_ItEEEESG_tNS9_4plusIvEENS9_8equal_toIvEEtEE10hipError_tPvRmT2_T3_T4_T5_mT6_T7_P12ihipStream_tbENKUlT_T0_E_clISt17integral_constantIbLb1EES10_IbLb0EEEEDaSW_SX_EUlSW_E_NS1_11comp_targetILNS1_3genE5ELNS1_11target_archE942ELNS1_3gpuE9ELNS1_3repE0EEENS1_30default_config_static_selectorELNS0_4arch9wavefront6targetE1EEEvT1_, .Lfunc_end1555-_ZN7rocprim17ROCPRIM_400000_NS6detail17trampoline_kernelINS0_14default_configENS1_27scan_by_key_config_selectorIitEEZZNS1_16scan_by_key_implILNS1_25lookback_scan_determinismE0ELb1ES3_N6thrust23THRUST_200600_302600_NS6detail15normal_iteratorINS9_10device_ptrIiEEEENSB_INSC_ItEEEESG_tNS9_4plusIvEENS9_8equal_toIvEEtEE10hipError_tPvRmT2_T3_T4_T5_mT6_T7_P12ihipStream_tbENKUlT_T0_E_clISt17integral_constantIbLb1EES10_IbLb0EEEEDaSW_SX_EUlSW_E_NS1_11comp_targetILNS1_3genE5ELNS1_11target_archE942ELNS1_3gpuE9ELNS1_3repE0EEENS1_30default_config_static_selectorELNS0_4arch9wavefront6targetE1EEEvT1_
                                        ; -- End function
	.section	.AMDGPU.csdata,"",@progbits
; Kernel info:
; codeLenInByte = 16476
; NumSgprs: 98
; NumVgprs: 58
; NumAgprs: 0
; TotalNumVgprs: 58
; ScratchSize: 0
; MemoryBound: 0
; FloatMode: 240
; IeeeMode: 1
; LDSByteSize: 26624 bytes/workgroup (compile time only)
; SGPRBlocks: 12
; VGPRBlocks: 7
; NumSGPRsForWavesPerEU: 98
; NumVGPRsForWavesPerEU: 58
; AccumOffset: 60
; Occupancy: 2
; WaveLimiterHint : 1
; COMPUTE_PGM_RSRC2:SCRATCH_EN: 0
; COMPUTE_PGM_RSRC2:USER_SGPR: 2
; COMPUTE_PGM_RSRC2:TRAP_HANDLER: 0
; COMPUTE_PGM_RSRC2:TGID_X_EN: 1
; COMPUTE_PGM_RSRC2:TGID_Y_EN: 0
; COMPUTE_PGM_RSRC2:TGID_Z_EN: 0
; COMPUTE_PGM_RSRC2:TIDIG_COMP_CNT: 0
; COMPUTE_PGM_RSRC3_GFX90A:ACCUM_OFFSET: 14
; COMPUTE_PGM_RSRC3_GFX90A:TG_SPLIT: 0
	.section	.text._ZN7rocprim17ROCPRIM_400000_NS6detail17trampoline_kernelINS0_14default_configENS1_27scan_by_key_config_selectorIitEEZZNS1_16scan_by_key_implILNS1_25lookback_scan_determinismE0ELb1ES3_N6thrust23THRUST_200600_302600_NS6detail15normal_iteratorINS9_10device_ptrIiEEEENSB_INSC_ItEEEESG_tNS9_4plusIvEENS9_8equal_toIvEEtEE10hipError_tPvRmT2_T3_T4_T5_mT6_T7_P12ihipStream_tbENKUlT_T0_E_clISt17integral_constantIbLb1EES10_IbLb0EEEEDaSW_SX_EUlSW_E_NS1_11comp_targetILNS1_3genE4ELNS1_11target_archE910ELNS1_3gpuE8ELNS1_3repE0EEENS1_30default_config_static_selectorELNS0_4arch9wavefront6targetE1EEEvT1_,"axG",@progbits,_ZN7rocprim17ROCPRIM_400000_NS6detail17trampoline_kernelINS0_14default_configENS1_27scan_by_key_config_selectorIitEEZZNS1_16scan_by_key_implILNS1_25lookback_scan_determinismE0ELb1ES3_N6thrust23THRUST_200600_302600_NS6detail15normal_iteratorINS9_10device_ptrIiEEEENSB_INSC_ItEEEESG_tNS9_4plusIvEENS9_8equal_toIvEEtEE10hipError_tPvRmT2_T3_T4_T5_mT6_T7_P12ihipStream_tbENKUlT_T0_E_clISt17integral_constantIbLb1EES10_IbLb0EEEEDaSW_SX_EUlSW_E_NS1_11comp_targetILNS1_3genE4ELNS1_11target_archE910ELNS1_3gpuE8ELNS1_3repE0EEENS1_30default_config_static_selectorELNS0_4arch9wavefront6targetE1EEEvT1_,comdat
	.protected	_ZN7rocprim17ROCPRIM_400000_NS6detail17trampoline_kernelINS0_14default_configENS1_27scan_by_key_config_selectorIitEEZZNS1_16scan_by_key_implILNS1_25lookback_scan_determinismE0ELb1ES3_N6thrust23THRUST_200600_302600_NS6detail15normal_iteratorINS9_10device_ptrIiEEEENSB_INSC_ItEEEESG_tNS9_4plusIvEENS9_8equal_toIvEEtEE10hipError_tPvRmT2_T3_T4_T5_mT6_T7_P12ihipStream_tbENKUlT_T0_E_clISt17integral_constantIbLb1EES10_IbLb0EEEEDaSW_SX_EUlSW_E_NS1_11comp_targetILNS1_3genE4ELNS1_11target_archE910ELNS1_3gpuE8ELNS1_3repE0EEENS1_30default_config_static_selectorELNS0_4arch9wavefront6targetE1EEEvT1_ ; -- Begin function _ZN7rocprim17ROCPRIM_400000_NS6detail17trampoline_kernelINS0_14default_configENS1_27scan_by_key_config_selectorIitEEZZNS1_16scan_by_key_implILNS1_25lookback_scan_determinismE0ELb1ES3_N6thrust23THRUST_200600_302600_NS6detail15normal_iteratorINS9_10device_ptrIiEEEENSB_INSC_ItEEEESG_tNS9_4plusIvEENS9_8equal_toIvEEtEE10hipError_tPvRmT2_T3_T4_T5_mT6_T7_P12ihipStream_tbENKUlT_T0_E_clISt17integral_constantIbLb1EES10_IbLb0EEEEDaSW_SX_EUlSW_E_NS1_11comp_targetILNS1_3genE4ELNS1_11target_archE910ELNS1_3gpuE8ELNS1_3repE0EEENS1_30default_config_static_selectorELNS0_4arch9wavefront6targetE1EEEvT1_
	.globl	_ZN7rocprim17ROCPRIM_400000_NS6detail17trampoline_kernelINS0_14default_configENS1_27scan_by_key_config_selectorIitEEZZNS1_16scan_by_key_implILNS1_25lookback_scan_determinismE0ELb1ES3_N6thrust23THRUST_200600_302600_NS6detail15normal_iteratorINS9_10device_ptrIiEEEENSB_INSC_ItEEEESG_tNS9_4plusIvEENS9_8equal_toIvEEtEE10hipError_tPvRmT2_T3_T4_T5_mT6_T7_P12ihipStream_tbENKUlT_T0_E_clISt17integral_constantIbLb1EES10_IbLb0EEEEDaSW_SX_EUlSW_E_NS1_11comp_targetILNS1_3genE4ELNS1_11target_archE910ELNS1_3gpuE8ELNS1_3repE0EEENS1_30default_config_static_selectorELNS0_4arch9wavefront6targetE1EEEvT1_
	.p2align	8
	.type	_ZN7rocprim17ROCPRIM_400000_NS6detail17trampoline_kernelINS0_14default_configENS1_27scan_by_key_config_selectorIitEEZZNS1_16scan_by_key_implILNS1_25lookback_scan_determinismE0ELb1ES3_N6thrust23THRUST_200600_302600_NS6detail15normal_iteratorINS9_10device_ptrIiEEEENSB_INSC_ItEEEESG_tNS9_4plusIvEENS9_8equal_toIvEEtEE10hipError_tPvRmT2_T3_T4_T5_mT6_T7_P12ihipStream_tbENKUlT_T0_E_clISt17integral_constantIbLb1EES10_IbLb0EEEEDaSW_SX_EUlSW_E_NS1_11comp_targetILNS1_3genE4ELNS1_11target_archE910ELNS1_3gpuE8ELNS1_3repE0EEENS1_30default_config_static_selectorELNS0_4arch9wavefront6targetE1EEEvT1_,@function
_ZN7rocprim17ROCPRIM_400000_NS6detail17trampoline_kernelINS0_14default_configENS1_27scan_by_key_config_selectorIitEEZZNS1_16scan_by_key_implILNS1_25lookback_scan_determinismE0ELb1ES3_N6thrust23THRUST_200600_302600_NS6detail15normal_iteratorINS9_10device_ptrIiEEEENSB_INSC_ItEEEESG_tNS9_4plusIvEENS9_8equal_toIvEEtEE10hipError_tPvRmT2_T3_T4_T5_mT6_T7_P12ihipStream_tbENKUlT_T0_E_clISt17integral_constantIbLb1EES10_IbLb0EEEEDaSW_SX_EUlSW_E_NS1_11comp_targetILNS1_3genE4ELNS1_11target_archE910ELNS1_3gpuE8ELNS1_3repE0EEENS1_30default_config_static_selectorELNS0_4arch9wavefront6targetE1EEEvT1_: ; @_ZN7rocprim17ROCPRIM_400000_NS6detail17trampoline_kernelINS0_14default_configENS1_27scan_by_key_config_selectorIitEEZZNS1_16scan_by_key_implILNS1_25lookback_scan_determinismE0ELb1ES3_N6thrust23THRUST_200600_302600_NS6detail15normal_iteratorINS9_10device_ptrIiEEEENSB_INSC_ItEEEESG_tNS9_4plusIvEENS9_8equal_toIvEEtEE10hipError_tPvRmT2_T3_T4_T5_mT6_T7_P12ihipStream_tbENKUlT_T0_E_clISt17integral_constantIbLb1EES10_IbLb0EEEEDaSW_SX_EUlSW_E_NS1_11comp_targetILNS1_3genE4ELNS1_11target_archE910ELNS1_3gpuE8ELNS1_3repE0EEENS1_30default_config_static_selectorELNS0_4arch9wavefront6targetE1EEEvT1_
; %bb.0:
	.section	.rodata,"a",@progbits
	.p2align	6, 0x0
	.amdhsa_kernel _ZN7rocprim17ROCPRIM_400000_NS6detail17trampoline_kernelINS0_14default_configENS1_27scan_by_key_config_selectorIitEEZZNS1_16scan_by_key_implILNS1_25lookback_scan_determinismE0ELb1ES3_N6thrust23THRUST_200600_302600_NS6detail15normal_iteratorINS9_10device_ptrIiEEEENSB_INSC_ItEEEESG_tNS9_4plusIvEENS9_8equal_toIvEEtEE10hipError_tPvRmT2_T3_T4_T5_mT6_T7_P12ihipStream_tbENKUlT_T0_E_clISt17integral_constantIbLb1EES10_IbLb0EEEEDaSW_SX_EUlSW_E_NS1_11comp_targetILNS1_3genE4ELNS1_11target_archE910ELNS1_3gpuE8ELNS1_3repE0EEENS1_30default_config_static_selectorELNS0_4arch9wavefront6targetE1EEEvT1_
		.amdhsa_group_segment_fixed_size 0
		.amdhsa_private_segment_fixed_size 0
		.amdhsa_kernarg_size 112
		.amdhsa_user_sgpr_count 2
		.amdhsa_user_sgpr_dispatch_ptr 0
		.amdhsa_user_sgpr_queue_ptr 0
		.amdhsa_user_sgpr_kernarg_segment_ptr 1
		.amdhsa_user_sgpr_dispatch_id 0
		.amdhsa_user_sgpr_kernarg_preload_length 0
		.amdhsa_user_sgpr_kernarg_preload_offset 0
		.amdhsa_user_sgpr_private_segment_size 0
		.amdhsa_uses_dynamic_stack 0
		.amdhsa_enable_private_segment 0
		.amdhsa_system_sgpr_workgroup_id_x 1
		.amdhsa_system_sgpr_workgroup_id_y 0
		.amdhsa_system_sgpr_workgroup_id_z 0
		.amdhsa_system_sgpr_workgroup_info 0
		.amdhsa_system_vgpr_workitem_id 0
		.amdhsa_next_free_vgpr 1
		.amdhsa_next_free_sgpr 0
		.amdhsa_accum_offset 4
		.amdhsa_reserve_vcc 0
		.amdhsa_float_round_mode_32 0
		.amdhsa_float_round_mode_16_64 0
		.amdhsa_float_denorm_mode_32 3
		.amdhsa_float_denorm_mode_16_64 3
		.amdhsa_dx10_clamp 1
		.amdhsa_ieee_mode 1
		.amdhsa_fp16_overflow 0
		.amdhsa_tg_split 0
		.amdhsa_exception_fp_ieee_invalid_op 0
		.amdhsa_exception_fp_denorm_src 0
		.amdhsa_exception_fp_ieee_div_zero 0
		.amdhsa_exception_fp_ieee_overflow 0
		.amdhsa_exception_fp_ieee_underflow 0
		.amdhsa_exception_fp_ieee_inexact 0
		.amdhsa_exception_int_div_zero 0
	.end_amdhsa_kernel
	.section	.text._ZN7rocprim17ROCPRIM_400000_NS6detail17trampoline_kernelINS0_14default_configENS1_27scan_by_key_config_selectorIitEEZZNS1_16scan_by_key_implILNS1_25lookback_scan_determinismE0ELb1ES3_N6thrust23THRUST_200600_302600_NS6detail15normal_iteratorINS9_10device_ptrIiEEEENSB_INSC_ItEEEESG_tNS9_4plusIvEENS9_8equal_toIvEEtEE10hipError_tPvRmT2_T3_T4_T5_mT6_T7_P12ihipStream_tbENKUlT_T0_E_clISt17integral_constantIbLb1EES10_IbLb0EEEEDaSW_SX_EUlSW_E_NS1_11comp_targetILNS1_3genE4ELNS1_11target_archE910ELNS1_3gpuE8ELNS1_3repE0EEENS1_30default_config_static_selectorELNS0_4arch9wavefront6targetE1EEEvT1_,"axG",@progbits,_ZN7rocprim17ROCPRIM_400000_NS6detail17trampoline_kernelINS0_14default_configENS1_27scan_by_key_config_selectorIitEEZZNS1_16scan_by_key_implILNS1_25lookback_scan_determinismE0ELb1ES3_N6thrust23THRUST_200600_302600_NS6detail15normal_iteratorINS9_10device_ptrIiEEEENSB_INSC_ItEEEESG_tNS9_4plusIvEENS9_8equal_toIvEEtEE10hipError_tPvRmT2_T3_T4_T5_mT6_T7_P12ihipStream_tbENKUlT_T0_E_clISt17integral_constantIbLb1EES10_IbLb0EEEEDaSW_SX_EUlSW_E_NS1_11comp_targetILNS1_3genE4ELNS1_11target_archE910ELNS1_3gpuE8ELNS1_3repE0EEENS1_30default_config_static_selectorELNS0_4arch9wavefront6targetE1EEEvT1_,comdat
.Lfunc_end1556:
	.size	_ZN7rocprim17ROCPRIM_400000_NS6detail17trampoline_kernelINS0_14default_configENS1_27scan_by_key_config_selectorIitEEZZNS1_16scan_by_key_implILNS1_25lookback_scan_determinismE0ELb1ES3_N6thrust23THRUST_200600_302600_NS6detail15normal_iteratorINS9_10device_ptrIiEEEENSB_INSC_ItEEEESG_tNS9_4plusIvEENS9_8equal_toIvEEtEE10hipError_tPvRmT2_T3_T4_T5_mT6_T7_P12ihipStream_tbENKUlT_T0_E_clISt17integral_constantIbLb1EES10_IbLb0EEEEDaSW_SX_EUlSW_E_NS1_11comp_targetILNS1_3genE4ELNS1_11target_archE910ELNS1_3gpuE8ELNS1_3repE0EEENS1_30default_config_static_selectorELNS0_4arch9wavefront6targetE1EEEvT1_, .Lfunc_end1556-_ZN7rocprim17ROCPRIM_400000_NS6detail17trampoline_kernelINS0_14default_configENS1_27scan_by_key_config_selectorIitEEZZNS1_16scan_by_key_implILNS1_25lookback_scan_determinismE0ELb1ES3_N6thrust23THRUST_200600_302600_NS6detail15normal_iteratorINS9_10device_ptrIiEEEENSB_INSC_ItEEEESG_tNS9_4plusIvEENS9_8equal_toIvEEtEE10hipError_tPvRmT2_T3_T4_T5_mT6_T7_P12ihipStream_tbENKUlT_T0_E_clISt17integral_constantIbLb1EES10_IbLb0EEEEDaSW_SX_EUlSW_E_NS1_11comp_targetILNS1_3genE4ELNS1_11target_archE910ELNS1_3gpuE8ELNS1_3repE0EEENS1_30default_config_static_selectorELNS0_4arch9wavefront6targetE1EEEvT1_
                                        ; -- End function
	.section	.AMDGPU.csdata,"",@progbits
; Kernel info:
; codeLenInByte = 0
; NumSgprs: 6
; NumVgprs: 0
; NumAgprs: 0
; TotalNumVgprs: 0
; ScratchSize: 0
; MemoryBound: 0
; FloatMode: 240
; IeeeMode: 1
; LDSByteSize: 0 bytes/workgroup (compile time only)
; SGPRBlocks: 0
; VGPRBlocks: 0
; NumSGPRsForWavesPerEU: 6
; NumVGPRsForWavesPerEU: 1
; AccumOffset: 4
; Occupancy: 8
; WaveLimiterHint : 0
; COMPUTE_PGM_RSRC2:SCRATCH_EN: 0
; COMPUTE_PGM_RSRC2:USER_SGPR: 2
; COMPUTE_PGM_RSRC2:TRAP_HANDLER: 0
; COMPUTE_PGM_RSRC2:TGID_X_EN: 1
; COMPUTE_PGM_RSRC2:TGID_Y_EN: 0
; COMPUTE_PGM_RSRC2:TGID_Z_EN: 0
; COMPUTE_PGM_RSRC2:TIDIG_COMP_CNT: 0
; COMPUTE_PGM_RSRC3_GFX90A:ACCUM_OFFSET: 0
; COMPUTE_PGM_RSRC3_GFX90A:TG_SPLIT: 0
	.section	.text._ZN7rocprim17ROCPRIM_400000_NS6detail17trampoline_kernelINS0_14default_configENS1_27scan_by_key_config_selectorIitEEZZNS1_16scan_by_key_implILNS1_25lookback_scan_determinismE0ELb1ES3_N6thrust23THRUST_200600_302600_NS6detail15normal_iteratorINS9_10device_ptrIiEEEENSB_INSC_ItEEEESG_tNS9_4plusIvEENS9_8equal_toIvEEtEE10hipError_tPvRmT2_T3_T4_T5_mT6_T7_P12ihipStream_tbENKUlT_T0_E_clISt17integral_constantIbLb1EES10_IbLb0EEEEDaSW_SX_EUlSW_E_NS1_11comp_targetILNS1_3genE3ELNS1_11target_archE908ELNS1_3gpuE7ELNS1_3repE0EEENS1_30default_config_static_selectorELNS0_4arch9wavefront6targetE1EEEvT1_,"axG",@progbits,_ZN7rocprim17ROCPRIM_400000_NS6detail17trampoline_kernelINS0_14default_configENS1_27scan_by_key_config_selectorIitEEZZNS1_16scan_by_key_implILNS1_25lookback_scan_determinismE0ELb1ES3_N6thrust23THRUST_200600_302600_NS6detail15normal_iteratorINS9_10device_ptrIiEEEENSB_INSC_ItEEEESG_tNS9_4plusIvEENS9_8equal_toIvEEtEE10hipError_tPvRmT2_T3_T4_T5_mT6_T7_P12ihipStream_tbENKUlT_T0_E_clISt17integral_constantIbLb1EES10_IbLb0EEEEDaSW_SX_EUlSW_E_NS1_11comp_targetILNS1_3genE3ELNS1_11target_archE908ELNS1_3gpuE7ELNS1_3repE0EEENS1_30default_config_static_selectorELNS0_4arch9wavefront6targetE1EEEvT1_,comdat
	.protected	_ZN7rocprim17ROCPRIM_400000_NS6detail17trampoline_kernelINS0_14default_configENS1_27scan_by_key_config_selectorIitEEZZNS1_16scan_by_key_implILNS1_25lookback_scan_determinismE0ELb1ES3_N6thrust23THRUST_200600_302600_NS6detail15normal_iteratorINS9_10device_ptrIiEEEENSB_INSC_ItEEEESG_tNS9_4plusIvEENS9_8equal_toIvEEtEE10hipError_tPvRmT2_T3_T4_T5_mT6_T7_P12ihipStream_tbENKUlT_T0_E_clISt17integral_constantIbLb1EES10_IbLb0EEEEDaSW_SX_EUlSW_E_NS1_11comp_targetILNS1_3genE3ELNS1_11target_archE908ELNS1_3gpuE7ELNS1_3repE0EEENS1_30default_config_static_selectorELNS0_4arch9wavefront6targetE1EEEvT1_ ; -- Begin function _ZN7rocprim17ROCPRIM_400000_NS6detail17trampoline_kernelINS0_14default_configENS1_27scan_by_key_config_selectorIitEEZZNS1_16scan_by_key_implILNS1_25lookback_scan_determinismE0ELb1ES3_N6thrust23THRUST_200600_302600_NS6detail15normal_iteratorINS9_10device_ptrIiEEEENSB_INSC_ItEEEESG_tNS9_4plusIvEENS9_8equal_toIvEEtEE10hipError_tPvRmT2_T3_T4_T5_mT6_T7_P12ihipStream_tbENKUlT_T0_E_clISt17integral_constantIbLb1EES10_IbLb0EEEEDaSW_SX_EUlSW_E_NS1_11comp_targetILNS1_3genE3ELNS1_11target_archE908ELNS1_3gpuE7ELNS1_3repE0EEENS1_30default_config_static_selectorELNS0_4arch9wavefront6targetE1EEEvT1_
	.globl	_ZN7rocprim17ROCPRIM_400000_NS6detail17trampoline_kernelINS0_14default_configENS1_27scan_by_key_config_selectorIitEEZZNS1_16scan_by_key_implILNS1_25lookback_scan_determinismE0ELb1ES3_N6thrust23THRUST_200600_302600_NS6detail15normal_iteratorINS9_10device_ptrIiEEEENSB_INSC_ItEEEESG_tNS9_4plusIvEENS9_8equal_toIvEEtEE10hipError_tPvRmT2_T3_T4_T5_mT6_T7_P12ihipStream_tbENKUlT_T0_E_clISt17integral_constantIbLb1EES10_IbLb0EEEEDaSW_SX_EUlSW_E_NS1_11comp_targetILNS1_3genE3ELNS1_11target_archE908ELNS1_3gpuE7ELNS1_3repE0EEENS1_30default_config_static_selectorELNS0_4arch9wavefront6targetE1EEEvT1_
	.p2align	8
	.type	_ZN7rocprim17ROCPRIM_400000_NS6detail17trampoline_kernelINS0_14default_configENS1_27scan_by_key_config_selectorIitEEZZNS1_16scan_by_key_implILNS1_25lookback_scan_determinismE0ELb1ES3_N6thrust23THRUST_200600_302600_NS6detail15normal_iteratorINS9_10device_ptrIiEEEENSB_INSC_ItEEEESG_tNS9_4plusIvEENS9_8equal_toIvEEtEE10hipError_tPvRmT2_T3_T4_T5_mT6_T7_P12ihipStream_tbENKUlT_T0_E_clISt17integral_constantIbLb1EES10_IbLb0EEEEDaSW_SX_EUlSW_E_NS1_11comp_targetILNS1_3genE3ELNS1_11target_archE908ELNS1_3gpuE7ELNS1_3repE0EEENS1_30default_config_static_selectorELNS0_4arch9wavefront6targetE1EEEvT1_,@function
_ZN7rocprim17ROCPRIM_400000_NS6detail17trampoline_kernelINS0_14default_configENS1_27scan_by_key_config_selectorIitEEZZNS1_16scan_by_key_implILNS1_25lookback_scan_determinismE0ELb1ES3_N6thrust23THRUST_200600_302600_NS6detail15normal_iteratorINS9_10device_ptrIiEEEENSB_INSC_ItEEEESG_tNS9_4plusIvEENS9_8equal_toIvEEtEE10hipError_tPvRmT2_T3_T4_T5_mT6_T7_P12ihipStream_tbENKUlT_T0_E_clISt17integral_constantIbLb1EES10_IbLb0EEEEDaSW_SX_EUlSW_E_NS1_11comp_targetILNS1_3genE3ELNS1_11target_archE908ELNS1_3gpuE7ELNS1_3repE0EEENS1_30default_config_static_selectorELNS0_4arch9wavefront6targetE1EEEvT1_: ; @_ZN7rocprim17ROCPRIM_400000_NS6detail17trampoline_kernelINS0_14default_configENS1_27scan_by_key_config_selectorIitEEZZNS1_16scan_by_key_implILNS1_25lookback_scan_determinismE0ELb1ES3_N6thrust23THRUST_200600_302600_NS6detail15normal_iteratorINS9_10device_ptrIiEEEENSB_INSC_ItEEEESG_tNS9_4plusIvEENS9_8equal_toIvEEtEE10hipError_tPvRmT2_T3_T4_T5_mT6_T7_P12ihipStream_tbENKUlT_T0_E_clISt17integral_constantIbLb1EES10_IbLb0EEEEDaSW_SX_EUlSW_E_NS1_11comp_targetILNS1_3genE3ELNS1_11target_archE908ELNS1_3gpuE7ELNS1_3repE0EEENS1_30default_config_static_selectorELNS0_4arch9wavefront6targetE1EEEvT1_
; %bb.0:
	.section	.rodata,"a",@progbits
	.p2align	6, 0x0
	.amdhsa_kernel _ZN7rocprim17ROCPRIM_400000_NS6detail17trampoline_kernelINS0_14default_configENS1_27scan_by_key_config_selectorIitEEZZNS1_16scan_by_key_implILNS1_25lookback_scan_determinismE0ELb1ES3_N6thrust23THRUST_200600_302600_NS6detail15normal_iteratorINS9_10device_ptrIiEEEENSB_INSC_ItEEEESG_tNS9_4plusIvEENS9_8equal_toIvEEtEE10hipError_tPvRmT2_T3_T4_T5_mT6_T7_P12ihipStream_tbENKUlT_T0_E_clISt17integral_constantIbLb1EES10_IbLb0EEEEDaSW_SX_EUlSW_E_NS1_11comp_targetILNS1_3genE3ELNS1_11target_archE908ELNS1_3gpuE7ELNS1_3repE0EEENS1_30default_config_static_selectorELNS0_4arch9wavefront6targetE1EEEvT1_
		.amdhsa_group_segment_fixed_size 0
		.amdhsa_private_segment_fixed_size 0
		.amdhsa_kernarg_size 112
		.amdhsa_user_sgpr_count 2
		.amdhsa_user_sgpr_dispatch_ptr 0
		.amdhsa_user_sgpr_queue_ptr 0
		.amdhsa_user_sgpr_kernarg_segment_ptr 1
		.amdhsa_user_sgpr_dispatch_id 0
		.amdhsa_user_sgpr_kernarg_preload_length 0
		.amdhsa_user_sgpr_kernarg_preload_offset 0
		.amdhsa_user_sgpr_private_segment_size 0
		.amdhsa_uses_dynamic_stack 0
		.amdhsa_enable_private_segment 0
		.amdhsa_system_sgpr_workgroup_id_x 1
		.amdhsa_system_sgpr_workgroup_id_y 0
		.amdhsa_system_sgpr_workgroup_id_z 0
		.amdhsa_system_sgpr_workgroup_info 0
		.amdhsa_system_vgpr_workitem_id 0
		.amdhsa_next_free_vgpr 1
		.amdhsa_next_free_sgpr 0
		.amdhsa_accum_offset 4
		.amdhsa_reserve_vcc 0
		.amdhsa_float_round_mode_32 0
		.amdhsa_float_round_mode_16_64 0
		.amdhsa_float_denorm_mode_32 3
		.amdhsa_float_denorm_mode_16_64 3
		.amdhsa_dx10_clamp 1
		.amdhsa_ieee_mode 1
		.amdhsa_fp16_overflow 0
		.amdhsa_tg_split 0
		.amdhsa_exception_fp_ieee_invalid_op 0
		.amdhsa_exception_fp_denorm_src 0
		.amdhsa_exception_fp_ieee_div_zero 0
		.amdhsa_exception_fp_ieee_overflow 0
		.amdhsa_exception_fp_ieee_underflow 0
		.amdhsa_exception_fp_ieee_inexact 0
		.amdhsa_exception_int_div_zero 0
	.end_amdhsa_kernel
	.section	.text._ZN7rocprim17ROCPRIM_400000_NS6detail17trampoline_kernelINS0_14default_configENS1_27scan_by_key_config_selectorIitEEZZNS1_16scan_by_key_implILNS1_25lookback_scan_determinismE0ELb1ES3_N6thrust23THRUST_200600_302600_NS6detail15normal_iteratorINS9_10device_ptrIiEEEENSB_INSC_ItEEEESG_tNS9_4plusIvEENS9_8equal_toIvEEtEE10hipError_tPvRmT2_T3_T4_T5_mT6_T7_P12ihipStream_tbENKUlT_T0_E_clISt17integral_constantIbLb1EES10_IbLb0EEEEDaSW_SX_EUlSW_E_NS1_11comp_targetILNS1_3genE3ELNS1_11target_archE908ELNS1_3gpuE7ELNS1_3repE0EEENS1_30default_config_static_selectorELNS0_4arch9wavefront6targetE1EEEvT1_,"axG",@progbits,_ZN7rocprim17ROCPRIM_400000_NS6detail17trampoline_kernelINS0_14default_configENS1_27scan_by_key_config_selectorIitEEZZNS1_16scan_by_key_implILNS1_25lookback_scan_determinismE0ELb1ES3_N6thrust23THRUST_200600_302600_NS6detail15normal_iteratorINS9_10device_ptrIiEEEENSB_INSC_ItEEEESG_tNS9_4plusIvEENS9_8equal_toIvEEtEE10hipError_tPvRmT2_T3_T4_T5_mT6_T7_P12ihipStream_tbENKUlT_T0_E_clISt17integral_constantIbLb1EES10_IbLb0EEEEDaSW_SX_EUlSW_E_NS1_11comp_targetILNS1_3genE3ELNS1_11target_archE908ELNS1_3gpuE7ELNS1_3repE0EEENS1_30default_config_static_selectorELNS0_4arch9wavefront6targetE1EEEvT1_,comdat
.Lfunc_end1557:
	.size	_ZN7rocprim17ROCPRIM_400000_NS6detail17trampoline_kernelINS0_14default_configENS1_27scan_by_key_config_selectorIitEEZZNS1_16scan_by_key_implILNS1_25lookback_scan_determinismE0ELb1ES3_N6thrust23THRUST_200600_302600_NS6detail15normal_iteratorINS9_10device_ptrIiEEEENSB_INSC_ItEEEESG_tNS9_4plusIvEENS9_8equal_toIvEEtEE10hipError_tPvRmT2_T3_T4_T5_mT6_T7_P12ihipStream_tbENKUlT_T0_E_clISt17integral_constantIbLb1EES10_IbLb0EEEEDaSW_SX_EUlSW_E_NS1_11comp_targetILNS1_3genE3ELNS1_11target_archE908ELNS1_3gpuE7ELNS1_3repE0EEENS1_30default_config_static_selectorELNS0_4arch9wavefront6targetE1EEEvT1_, .Lfunc_end1557-_ZN7rocprim17ROCPRIM_400000_NS6detail17trampoline_kernelINS0_14default_configENS1_27scan_by_key_config_selectorIitEEZZNS1_16scan_by_key_implILNS1_25lookback_scan_determinismE0ELb1ES3_N6thrust23THRUST_200600_302600_NS6detail15normal_iteratorINS9_10device_ptrIiEEEENSB_INSC_ItEEEESG_tNS9_4plusIvEENS9_8equal_toIvEEtEE10hipError_tPvRmT2_T3_T4_T5_mT6_T7_P12ihipStream_tbENKUlT_T0_E_clISt17integral_constantIbLb1EES10_IbLb0EEEEDaSW_SX_EUlSW_E_NS1_11comp_targetILNS1_3genE3ELNS1_11target_archE908ELNS1_3gpuE7ELNS1_3repE0EEENS1_30default_config_static_selectorELNS0_4arch9wavefront6targetE1EEEvT1_
                                        ; -- End function
	.section	.AMDGPU.csdata,"",@progbits
; Kernel info:
; codeLenInByte = 0
; NumSgprs: 6
; NumVgprs: 0
; NumAgprs: 0
; TotalNumVgprs: 0
; ScratchSize: 0
; MemoryBound: 0
; FloatMode: 240
; IeeeMode: 1
; LDSByteSize: 0 bytes/workgroup (compile time only)
; SGPRBlocks: 0
; VGPRBlocks: 0
; NumSGPRsForWavesPerEU: 6
; NumVGPRsForWavesPerEU: 1
; AccumOffset: 4
; Occupancy: 8
; WaveLimiterHint : 0
; COMPUTE_PGM_RSRC2:SCRATCH_EN: 0
; COMPUTE_PGM_RSRC2:USER_SGPR: 2
; COMPUTE_PGM_RSRC2:TRAP_HANDLER: 0
; COMPUTE_PGM_RSRC2:TGID_X_EN: 1
; COMPUTE_PGM_RSRC2:TGID_Y_EN: 0
; COMPUTE_PGM_RSRC2:TGID_Z_EN: 0
; COMPUTE_PGM_RSRC2:TIDIG_COMP_CNT: 0
; COMPUTE_PGM_RSRC3_GFX90A:ACCUM_OFFSET: 0
; COMPUTE_PGM_RSRC3_GFX90A:TG_SPLIT: 0
	.section	.text._ZN7rocprim17ROCPRIM_400000_NS6detail17trampoline_kernelINS0_14default_configENS1_27scan_by_key_config_selectorIitEEZZNS1_16scan_by_key_implILNS1_25lookback_scan_determinismE0ELb1ES3_N6thrust23THRUST_200600_302600_NS6detail15normal_iteratorINS9_10device_ptrIiEEEENSB_INSC_ItEEEESG_tNS9_4plusIvEENS9_8equal_toIvEEtEE10hipError_tPvRmT2_T3_T4_T5_mT6_T7_P12ihipStream_tbENKUlT_T0_E_clISt17integral_constantIbLb1EES10_IbLb0EEEEDaSW_SX_EUlSW_E_NS1_11comp_targetILNS1_3genE2ELNS1_11target_archE906ELNS1_3gpuE6ELNS1_3repE0EEENS1_30default_config_static_selectorELNS0_4arch9wavefront6targetE1EEEvT1_,"axG",@progbits,_ZN7rocprim17ROCPRIM_400000_NS6detail17trampoline_kernelINS0_14default_configENS1_27scan_by_key_config_selectorIitEEZZNS1_16scan_by_key_implILNS1_25lookback_scan_determinismE0ELb1ES3_N6thrust23THRUST_200600_302600_NS6detail15normal_iteratorINS9_10device_ptrIiEEEENSB_INSC_ItEEEESG_tNS9_4plusIvEENS9_8equal_toIvEEtEE10hipError_tPvRmT2_T3_T4_T5_mT6_T7_P12ihipStream_tbENKUlT_T0_E_clISt17integral_constantIbLb1EES10_IbLb0EEEEDaSW_SX_EUlSW_E_NS1_11comp_targetILNS1_3genE2ELNS1_11target_archE906ELNS1_3gpuE6ELNS1_3repE0EEENS1_30default_config_static_selectorELNS0_4arch9wavefront6targetE1EEEvT1_,comdat
	.protected	_ZN7rocprim17ROCPRIM_400000_NS6detail17trampoline_kernelINS0_14default_configENS1_27scan_by_key_config_selectorIitEEZZNS1_16scan_by_key_implILNS1_25lookback_scan_determinismE0ELb1ES3_N6thrust23THRUST_200600_302600_NS6detail15normal_iteratorINS9_10device_ptrIiEEEENSB_INSC_ItEEEESG_tNS9_4plusIvEENS9_8equal_toIvEEtEE10hipError_tPvRmT2_T3_T4_T5_mT6_T7_P12ihipStream_tbENKUlT_T0_E_clISt17integral_constantIbLb1EES10_IbLb0EEEEDaSW_SX_EUlSW_E_NS1_11comp_targetILNS1_3genE2ELNS1_11target_archE906ELNS1_3gpuE6ELNS1_3repE0EEENS1_30default_config_static_selectorELNS0_4arch9wavefront6targetE1EEEvT1_ ; -- Begin function _ZN7rocprim17ROCPRIM_400000_NS6detail17trampoline_kernelINS0_14default_configENS1_27scan_by_key_config_selectorIitEEZZNS1_16scan_by_key_implILNS1_25lookback_scan_determinismE0ELb1ES3_N6thrust23THRUST_200600_302600_NS6detail15normal_iteratorINS9_10device_ptrIiEEEENSB_INSC_ItEEEESG_tNS9_4plusIvEENS9_8equal_toIvEEtEE10hipError_tPvRmT2_T3_T4_T5_mT6_T7_P12ihipStream_tbENKUlT_T0_E_clISt17integral_constantIbLb1EES10_IbLb0EEEEDaSW_SX_EUlSW_E_NS1_11comp_targetILNS1_3genE2ELNS1_11target_archE906ELNS1_3gpuE6ELNS1_3repE0EEENS1_30default_config_static_selectorELNS0_4arch9wavefront6targetE1EEEvT1_
	.globl	_ZN7rocprim17ROCPRIM_400000_NS6detail17trampoline_kernelINS0_14default_configENS1_27scan_by_key_config_selectorIitEEZZNS1_16scan_by_key_implILNS1_25lookback_scan_determinismE0ELb1ES3_N6thrust23THRUST_200600_302600_NS6detail15normal_iteratorINS9_10device_ptrIiEEEENSB_INSC_ItEEEESG_tNS9_4plusIvEENS9_8equal_toIvEEtEE10hipError_tPvRmT2_T3_T4_T5_mT6_T7_P12ihipStream_tbENKUlT_T0_E_clISt17integral_constantIbLb1EES10_IbLb0EEEEDaSW_SX_EUlSW_E_NS1_11comp_targetILNS1_3genE2ELNS1_11target_archE906ELNS1_3gpuE6ELNS1_3repE0EEENS1_30default_config_static_selectorELNS0_4arch9wavefront6targetE1EEEvT1_
	.p2align	8
	.type	_ZN7rocprim17ROCPRIM_400000_NS6detail17trampoline_kernelINS0_14default_configENS1_27scan_by_key_config_selectorIitEEZZNS1_16scan_by_key_implILNS1_25lookback_scan_determinismE0ELb1ES3_N6thrust23THRUST_200600_302600_NS6detail15normal_iteratorINS9_10device_ptrIiEEEENSB_INSC_ItEEEESG_tNS9_4plusIvEENS9_8equal_toIvEEtEE10hipError_tPvRmT2_T3_T4_T5_mT6_T7_P12ihipStream_tbENKUlT_T0_E_clISt17integral_constantIbLb1EES10_IbLb0EEEEDaSW_SX_EUlSW_E_NS1_11comp_targetILNS1_3genE2ELNS1_11target_archE906ELNS1_3gpuE6ELNS1_3repE0EEENS1_30default_config_static_selectorELNS0_4arch9wavefront6targetE1EEEvT1_,@function
_ZN7rocprim17ROCPRIM_400000_NS6detail17trampoline_kernelINS0_14default_configENS1_27scan_by_key_config_selectorIitEEZZNS1_16scan_by_key_implILNS1_25lookback_scan_determinismE0ELb1ES3_N6thrust23THRUST_200600_302600_NS6detail15normal_iteratorINS9_10device_ptrIiEEEENSB_INSC_ItEEEESG_tNS9_4plusIvEENS9_8equal_toIvEEtEE10hipError_tPvRmT2_T3_T4_T5_mT6_T7_P12ihipStream_tbENKUlT_T0_E_clISt17integral_constantIbLb1EES10_IbLb0EEEEDaSW_SX_EUlSW_E_NS1_11comp_targetILNS1_3genE2ELNS1_11target_archE906ELNS1_3gpuE6ELNS1_3repE0EEENS1_30default_config_static_selectorELNS0_4arch9wavefront6targetE1EEEvT1_: ; @_ZN7rocprim17ROCPRIM_400000_NS6detail17trampoline_kernelINS0_14default_configENS1_27scan_by_key_config_selectorIitEEZZNS1_16scan_by_key_implILNS1_25lookback_scan_determinismE0ELb1ES3_N6thrust23THRUST_200600_302600_NS6detail15normal_iteratorINS9_10device_ptrIiEEEENSB_INSC_ItEEEESG_tNS9_4plusIvEENS9_8equal_toIvEEtEE10hipError_tPvRmT2_T3_T4_T5_mT6_T7_P12ihipStream_tbENKUlT_T0_E_clISt17integral_constantIbLb1EES10_IbLb0EEEEDaSW_SX_EUlSW_E_NS1_11comp_targetILNS1_3genE2ELNS1_11target_archE906ELNS1_3gpuE6ELNS1_3repE0EEENS1_30default_config_static_selectorELNS0_4arch9wavefront6targetE1EEEvT1_
; %bb.0:
	.section	.rodata,"a",@progbits
	.p2align	6, 0x0
	.amdhsa_kernel _ZN7rocprim17ROCPRIM_400000_NS6detail17trampoline_kernelINS0_14default_configENS1_27scan_by_key_config_selectorIitEEZZNS1_16scan_by_key_implILNS1_25lookback_scan_determinismE0ELb1ES3_N6thrust23THRUST_200600_302600_NS6detail15normal_iteratorINS9_10device_ptrIiEEEENSB_INSC_ItEEEESG_tNS9_4plusIvEENS9_8equal_toIvEEtEE10hipError_tPvRmT2_T3_T4_T5_mT6_T7_P12ihipStream_tbENKUlT_T0_E_clISt17integral_constantIbLb1EES10_IbLb0EEEEDaSW_SX_EUlSW_E_NS1_11comp_targetILNS1_3genE2ELNS1_11target_archE906ELNS1_3gpuE6ELNS1_3repE0EEENS1_30default_config_static_selectorELNS0_4arch9wavefront6targetE1EEEvT1_
		.amdhsa_group_segment_fixed_size 0
		.amdhsa_private_segment_fixed_size 0
		.amdhsa_kernarg_size 112
		.amdhsa_user_sgpr_count 2
		.amdhsa_user_sgpr_dispatch_ptr 0
		.amdhsa_user_sgpr_queue_ptr 0
		.amdhsa_user_sgpr_kernarg_segment_ptr 1
		.amdhsa_user_sgpr_dispatch_id 0
		.amdhsa_user_sgpr_kernarg_preload_length 0
		.amdhsa_user_sgpr_kernarg_preload_offset 0
		.amdhsa_user_sgpr_private_segment_size 0
		.amdhsa_uses_dynamic_stack 0
		.amdhsa_enable_private_segment 0
		.amdhsa_system_sgpr_workgroup_id_x 1
		.amdhsa_system_sgpr_workgroup_id_y 0
		.amdhsa_system_sgpr_workgroup_id_z 0
		.amdhsa_system_sgpr_workgroup_info 0
		.amdhsa_system_vgpr_workitem_id 0
		.amdhsa_next_free_vgpr 1
		.amdhsa_next_free_sgpr 0
		.amdhsa_accum_offset 4
		.amdhsa_reserve_vcc 0
		.amdhsa_float_round_mode_32 0
		.amdhsa_float_round_mode_16_64 0
		.amdhsa_float_denorm_mode_32 3
		.amdhsa_float_denorm_mode_16_64 3
		.amdhsa_dx10_clamp 1
		.amdhsa_ieee_mode 1
		.amdhsa_fp16_overflow 0
		.amdhsa_tg_split 0
		.amdhsa_exception_fp_ieee_invalid_op 0
		.amdhsa_exception_fp_denorm_src 0
		.amdhsa_exception_fp_ieee_div_zero 0
		.amdhsa_exception_fp_ieee_overflow 0
		.amdhsa_exception_fp_ieee_underflow 0
		.amdhsa_exception_fp_ieee_inexact 0
		.amdhsa_exception_int_div_zero 0
	.end_amdhsa_kernel
	.section	.text._ZN7rocprim17ROCPRIM_400000_NS6detail17trampoline_kernelINS0_14default_configENS1_27scan_by_key_config_selectorIitEEZZNS1_16scan_by_key_implILNS1_25lookback_scan_determinismE0ELb1ES3_N6thrust23THRUST_200600_302600_NS6detail15normal_iteratorINS9_10device_ptrIiEEEENSB_INSC_ItEEEESG_tNS9_4plusIvEENS9_8equal_toIvEEtEE10hipError_tPvRmT2_T3_T4_T5_mT6_T7_P12ihipStream_tbENKUlT_T0_E_clISt17integral_constantIbLb1EES10_IbLb0EEEEDaSW_SX_EUlSW_E_NS1_11comp_targetILNS1_3genE2ELNS1_11target_archE906ELNS1_3gpuE6ELNS1_3repE0EEENS1_30default_config_static_selectorELNS0_4arch9wavefront6targetE1EEEvT1_,"axG",@progbits,_ZN7rocprim17ROCPRIM_400000_NS6detail17trampoline_kernelINS0_14default_configENS1_27scan_by_key_config_selectorIitEEZZNS1_16scan_by_key_implILNS1_25lookback_scan_determinismE0ELb1ES3_N6thrust23THRUST_200600_302600_NS6detail15normal_iteratorINS9_10device_ptrIiEEEENSB_INSC_ItEEEESG_tNS9_4plusIvEENS9_8equal_toIvEEtEE10hipError_tPvRmT2_T3_T4_T5_mT6_T7_P12ihipStream_tbENKUlT_T0_E_clISt17integral_constantIbLb1EES10_IbLb0EEEEDaSW_SX_EUlSW_E_NS1_11comp_targetILNS1_3genE2ELNS1_11target_archE906ELNS1_3gpuE6ELNS1_3repE0EEENS1_30default_config_static_selectorELNS0_4arch9wavefront6targetE1EEEvT1_,comdat
.Lfunc_end1558:
	.size	_ZN7rocprim17ROCPRIM_400000_NS6detail17trampoline_kernelINS0_14default_configENS1_27scan_by_key_config_selectorIitEEZZNS1_16scan_by_key_implILNS1_25lookback_scan_determinismE0ELb1ES3_N6thrust23THRUST_200600_302600_NS6detail15normal_iteratorINS9_10device_ptrIiEEEENSB_INSC_ItEEEESG_tNS9_4plusIvEENS9_8equal_toIvEEtEE10hipError_tPvRmT2_T3_T4_T5_mT6_T7_P12ihipStream_tbENKUlT_T0_E_clISt17integral_constantIbLb1EES10_IbLb0EEEEDaSW_SX_EUlSW_E_NS1_11comp_targetILNS1_3genE2ELNS1_11target_archE906ELNS1_3gpuE6ELNS1_3repE0EEENS1_30default_config_static_selectorELNS0_4arch9wavefront6targetE1EEEvT1_, .Lfunc_end1558-_ZN7rocprim17ROCPRIM_400000_NS6detail17trampoline_kernelINS0_14default_configENS1_27scan_by_key_config_selectorIitEEZZNS1_16scan_by_key_implILNS1_25lookback_scan_determinismE0ELb1ES3_N6thrust23THRUST_200600_302600_NS6detail15normal_iteratorINS9_10device_ptrIiEEEENSB_INSC_ItEEEESG_tNS9_4plusIvEENS9_8equal_toIvEEtEE10hipError_tPvRmT2_T3_T4_T5_mT6_T7_P12ihipStream_tbENKUlT_T0_E_clISt17integral_constantIbLb1EES10_IbLb0EEEEDaSW_SX_EUlSW_E_NS1_11comp_targetILNS1_3genE2ELNS1_11target_archE906ELNS1_3gpuE6ELNS1_3repE0EEENS1_30default_config_static_selectorELNS0_4arch9wavefront6targetE1EEEvT1_
                                        ; -- End function
	.section	.AMDGPU.csdata,"",@progbits
; Kernel info:
; codeLenInByte = 0
; NumSgprs: 6
; NumVgprs: 0
; NumAgprs: 0
; TotalNumVgprs: 0
; ScratchSize: 0
; MemoryBound: 0
; FloatMode: 240
; IeeeMode: 1
; LDSByteSize: 0 bytes/workgroup (compile time only)
; SGPRBlocks: 0
; VGPRBlocks: 0
; NumSGPRsForWavesPerEU: 6
; NumVGPRsForWavesPerEU: 1
; AccumOffset: 4
; Occupancy: 8
; WaveLimiterHint : 0
; COMPUTE_PGM_RSRC2:SCRATCH_EN: 0
; COMPUTE_PGM_RSRC2:USER_SGPR: 2
; COMPUTE_PGM_RSRC2:TRAP_HANDLER: 0
; COMPUTE_PGM_RSRC2:TGID_X_EN: 1
; COMPUTE_PGM_RSRC2:TGID_Y_EN: 0
; COMPUTE_PGM_RSRC2:TGID_Z_EN: 0
; COMPUTE_PGM_RSRC2:TIDIG_COMP_CNT: 0
; COMPUTE_PGM_RSRC3_GFX90A:ACCUM_OFFSET: 0
; COMPUTE_PGM_RSRC3_GFX90A:TG_SPLIT: 0
	.section	.text._ZN7rocprim17ROCPRIM_400000_NS6detail17trampoline_kernelINS0_14default_configENS1_27scan_by_key_config_selectorIitEEZZNS1_16scan_by_key_implILNS1_25lookback_scan_determinismE0ELb1ES3_N6thrust23THRUST_200600_302600_NS6detail15normal_iteratorINS9_10device_ptrIiEEEENSB_INSC_ItEEEESG_tNS9_4plusIvEENS9_8equal_toIvEEtEE10hipError_tPvRmT2_T3_T4_T5_mT6_T7_P12ihipStream_tbENKUlT_T0_E_clISt17integral_constantIbLb1EES10_IbLb0EEEEDaSW_SX_EUlSW_E_NS1_11comp_targetILNS1_3genE10ELNS1_11target_archE1200ELNS1_3gpuE4ELNS1_3repE0EEENS1_30default_config_static_selectorELNS0_4arch9wavefront6targetE1EEEvT1_,"axG",@progbits,_ZN7rocprim17ROCPRIM_400000_NS6detail17trampoline_kernelINS0_14default_configENS1_27scan_by_key_config_selectorIitEEZZNS1_16scan_by_key_implILNS1_25lookback_scan_determinismE0ELb1ES3_N6thrust23THRUST_200600_302600_NS6detail15normal_iteratorINS9_10device_ptrIiEEEENSB_INSC_ItEEEESG_tNS9_4plusIvEENS9_8equal_toIvEEtEE10hipError_tPvRmT2_T3_T4_T5_mT6_T7_P12ihipStream_tbENKUlT_T0_E_clISt17integral_constantIbLb1EES10_IbLb0EEEEDaSW_SX_EUlSW_E_NS1_11comp_targetILNS1_3genE10ELNS1_11target_archE1200ELNS1_3gpuE4ELNS1_3repE0EEENS1_30default_config_static_selectorELNS0_4arch9wavefront6targetE1EEEvT1_,comdat
	.protected	_ZN7rocprim17ROCPRIM_400000_NS6detail17trampoline_kernelINS0_14default_configENS1_27scan_by_key_config_selectorIitEEZZNS1_16scan_by_key_implILNS1_25lookback_scan_determinismE0ELb1ES3_N6thrust23THRUST_200600_302600_NS6detail15normal_iteratorINS9_10device_ptrIiEEEENSB_INSC_ItEEEESG_tNS9_4plusIvEENS9_8equal_toIvEEtEE10hipError_tPvRmT2_T3_T4_T5_mT6_T7_P12ihipStream_tbENKUlT_T0_E_clISt17integral_constantIbLb1EES10_IbLb0EEEEDaSW_SX_EUlSW_E_NS1_11comp_targetILNS1_3genE10ELNS1_11target_archE1200ELNS1_3gpuE4ELNS1_3repE0EEENS1_30default_config_static_selectorELNS0_4arch9wavefront6targetE1EEEvT1_ ; -- Begin function _ZN7rocprim17ROCPRIM_400000_NS6detail17trampoline_kernelINS0_14default_configENS1_27scan_by_key_config_selectorIitEEZZNS1_16scan_by_key_implILNS1_25lookback_scan_determinismE0ELb1ES3_N6thrust23THRUST_200600_302600_NS6detail15normal_iteratorINS9_10device_ptrIiEEEENSB_INSC_ItEEEESG_tNS9_4plusIvEENS9_8equal_toIvEEtEE10hipError_tPvRmT2_T3_T4_T5_mT6_T7_P12ihipStream_tbENKUlT_T0_E_clISt17integral_constantIbLb1EES10_IbLb0EEEEDaSW_SX_EUlSW_E_NS1_11comp_targetILNS1_3genE10ELNS1_11target_archE1200ELNS1_3gpuE4ELNS1_3repE0EEENS1_30default_config_static_selectorELNS0_4arch9wavefront6targetE1EEEvT1_
	.globl	_ZN7rocprim17ROCPRIM_400000_NS6detail17trampoline_kernelINS0_14default_configENS1_27scan_by_key_config_selectorIitEEZZNS1_16scan_by_key_implILNS1_25lookback_scan_determinismE0ELb1ES3_N6thrust23THRUST_200600_302600_NS6detail15normal_iteratorINS9_10device_ptrIiEEEENSB_INSC_ItEEEESG_tNS9_4plusIvEENS9_8equal_toIvEEtEE10hipError_tPvRmT2_T3_T4_T5_mT6_T7_P12ihipStream_tbENKUlT_T0_E_clISt17integral_constantIbLb1EES10_IbLb0EEEEDaSW_SX_EUlSW_E_NS1_11comp_targetILNS1_3genE10ELNS1_11target_archE1200ELNS1_3gpuE4ELNS1_3repE0EEENS1_30default_config_static_selectorELNS0_4arch9wavefront6targetE1EEEvT1_
	.p2align	8
	.type	_ZN7rocprim17ROCPRIM_400000_NS6detail17trampoline_kernelINS0_14default_configENS1_27scan_by_key_config_selectorIitEEZZNS1_16scan_by_key_implILNS1_25lookback_scan_determinismE0ELb1ES3_N6thrust23THRUST_200600_302600_NS6detail15normal_iteratorINS9_10device_ptrIiEEEENSB_INSC_ItEEEESG_tNS9_4plusIvEENS9_8equal_toIvEEtEE10hipError_tPvRmT2_T3_T4_T5_mT6_T7_P12ihipStream_tbENKUlT_T0_E_clISt17integral_constantIbLb1EES10_IbLb0EEEEDaSW_SX_EUlSW_E_NS1_11comp_targetILNS1_3genE10ELNS1_11target_archE1200ELNS1_3gpuE4ELNS1_3repE0EEENS1_30default_config_static_selectorELNS0_4arch9wavefront6targetE1EEEvT1_,@function
_ZN7rocprim17ROCPRIM_400000_NS6detail17trampoline_kernelINS0_14default_configENS1_27scan_by_key_config_selectorIitEEZZNS1_16scan_by_key_implILNS1_25lookback_scan_determinismE0ELb1ES3_N6thrust23THRUST_200600_302600_NS6detail15normal_iteratorINS9_10device_ptrIiEEEENSB_INSC_ItEEEESG_tNS9_4plusIvEENS9_8equal_toIvEEtEE10hipError_tPvRmT2_T3_T4_T5_mT6_T7_P12ihipStream_tbENKUlT_T0_E_clISt17integral_constantIbLb1EES10_IbLb0EEEEDaSW_SX_EUlSW_E_NS1_11comp_targetILNS1_3genE10ELNS1_11target_archE1200ELNS1_3gpuE4ELNS1_3repE0EEENS1_30default_config_static_selectorELNS0_4arch9wavefront6targetE1EEEvT1_: ; @_ZN7rocprim17ROCPRIM_400000_NS6detail17trampoline_kernelINS0_14default_configENS1_27scan_by_key_config_selectorIitEEZZNS1_16scan_by_key_implILNS1_25lookback_scan_determinismE0ELb1ES3_N6thrust23THRUST_200600_302600_NS6detail15normal_iteratorINS9_10device_ptrIiEEEENSB_INSC_ItEEEESG_tNS9_4plusIvEENS9_8equal_toIvEEtEE10hipError_tPvRmT2_T3_T4_T5_mT6_T7_P12ihipStream_tbENKUlT_T0_E_clISt17integral_constantIbLb1EES10_IbLb0EEEEDaSW_SX_EUlSW_E_NS1_11comp_targetILNS1_3genE10ELNS1_11target_archE1200ELNS1_3gpuE4ELNS1_3repE0EEENS1_30default_config_static_selectorELNS0_4arch9wavefront6targetE1EEEvT1_
; %bb.0:
	.section	.rodata,"a",@progbits
	.p2align	6, 0x0
	.amdhsa_kernel _ZN7rocprim17ROCPRIM_400000_NS6detail17trampoline_kernelINS0_14default_configENS1_27scan_by_key_config_selectorIitEEZZNS1_16scan_by_key_implILNS1_25lookback_scan_determinismE0ELb1ES3_N6thrust23THRUST_200600_302600_NS6detail15normal_iteratorINS9_10device_ptrIiEEEENSB_INSC_ItEEEESG_tNS9_4plusIvEENS9_8equal_toIvEEtEE10hipError_tPvRmT2_T3_T4_T5_mT6_T7_P12ihipStream_tbENKUlT_T0_E_clISt17integral_constantIbLb1EES10_IbLb0EEEEDaSW_SX_EUlSW_E_NS1_11comp_targetILNS1_3genE10ELNS1_11target_archE1200ELNS1_3gpuE4ELNS1_3repE0EEENS1_30default_config_static_selectorELNS0_4arch9wavefront6targetE1EEEvT1_
		.amdhsa_group_segment_fixed_size 0
		.amdhsa_private_segment_fixed_size 0
		.amdhsa_kernarg_size 112
		.amdhsa_user_sgpr_count 2
		.amdhsa_user_sgpr_dispatch_ptr 0
		.amdhsa_user_sgpr_queue_ptr 0
		.amdhsa_user_sgpr_kernarg_segment_ptr 1
		.amdhsa_user_sgpr_dispatch_id 0
		.amdhsa_user_sgpr_kernarg_preload_length 0
		.amdhsa_user_sgpr_kernarg_preload_offset 0
		.amdhsa_user_sgpr_private_segment_size 0
		.amdhsa_uses_dynamic_stack 0
		.amdhsa_enable_private_segment 0
		.amdhsa_system_sgpr_workgroup_id_x 1
		.amdhsa_system_sgpr_workgroup_id_y 0
		.amdhsa_system_sgpr_workgroup_id_z 0
		.amdhsa_system_sgpr_workgroup_info 0
		.amdhsa_system_vgpr_workitem_id 0
		.amdhsa_next_free_vgpr 1
		.amdhsa_next_free_sgpr 0
		.amdhsa_accum_offset 4
		.amdhsa_reserve_vcc 0
		.amdhsa_float_round_mode_32 0
		.amdhsa_float_round_mode_16_64 0
		.amdhsa_float_denorm_mode_32 3
		.amdhsa_float_denorm_mode_16_64 3
		.amdhsa_dx10_clamp 1
		.amdhsa_ieee_mode 1
		.amdhsa_fp16_overflow 0
		.amdhsa_tg_split 0
		.amdhsa_exception_fp_ieee_invalid_op 0
		.amdhsa_exception_fp_denorm_src 0
		.amdhsa_exception_fp_ieee_div_zero 0
		.amdhsa_exception_fp_ieee_overflow 0
		.amdhsa_exception_fp_ieee_underflow 0
		.amdhsa_exception_fp_ieee_inexact 0
		.amdhsa_exception_int_div_zero 0
	.end_amdhsa_kernel
	.section	.text._ZN7rocprim17ROCPRIM_400000_NS6detail17trampoline_kernelINS0_14default_configENS1_27scan_by_key_config_selectorIitEEZZNS1_16scan_by_key_implILNS1_25lookback_scan_determinismE0ELb1ES3_N6thrust23THRUST_200600_302600_NS6detail15normal_iteratorINS9_10device_ptrIiEEEENSB_INSC_ItEEEESG_tNS9_4plusIvEENS9_8equal_toIvEEtEE10hipError_tPvRmT2_T3_T4_T5_mT6_T7_P12ihipStream_tbENKUlT_T0_E_clISt17integral_constantIbLb1EES10_IbLb0EEEEDaSW_SX_EUlSW_E_NS1_11comp_targetILNS1_3genE10ELNS1_11target_archE1200ELNS1_3gpuE4ELNS1_3repE0EEENS1_30default_config_static_selectorELNS0_4arch9wavefront6targetE1EEEvT1_,"axG",@progbits,_ZN7rocprim17ROCPRIM_400000_NS6detail17trampoline_kernelINS0_14default_configENS1_27scan_by_key_config_selectorIitEEZZNS1_16scan_by_key_implILNS1_25lookback_scan_determinismE0ELb1ES3_N6thrust23THRUST_200600_302600_NS6detail15normal_iteratorINS9_10device_ptrIiEEEENSB_INSC_ItEEEESG_tNS9_4plusIvEENS9_8equal_toIvEEtEE10hipError_tPvRmT2_T3_T4_T5_mT6_T7_P12ihipStream_tbENKUlT_T0_E_clISt17integral_constantIbLb1EES10_IbLb0EEEEDaSW_SX_EUlSW_E_NS1_11comp_targetILNS1_3genE10ELNS1_11target_archE1200ELNS1_3gpuE4ELNS1_3repE0EEENS1_30default_config_static_selectorELNS0_4arch9wavefront6targetE1EEEvT1_,comdat
.Lfunc_end1559:
	.size	_ZN7rocprim17ROCPRIM_400000_NS6detail17trampoline_kernelINS0_14default_configENS1_27scan_by_key_config_selectorIitEEZZNS1_16scan_by_key_implILNS1_25lookback_scan_determinismE0ELb1ES3_N6thrust23THRUST_200600_302600_NS6detail15normal_iteratorINS9_10device_ptrIiEEEENSB_INSC_ItEEEESG_tNS9_4plusIvEENS9_8equal_toIvEEtEE10hipError_tPvRmT2_T3_T4_T5_mT6_T7_P12ihipStream_tbENKUlT_T0_E_clISt17integral_constantIbLb1EES10_IbLb0EEEEDaSW_SX_EUlSW_E_NS1_11comp_targetILNS1_3genE10ELNS1_11target_archE1200ELNS1_3gpuE4ELNS1_3repE0EEENS1_30default_config_static_selectorELNS0_4arch9wavefront6targetE1EEEvT1_, .Lfunc_end1559-_ZN7rocprim17ROCPRIM_400000_NS6detail17trampoline_kernelINS0_14default_configENS1_27scan_by_key_config_selectorIitEEZZNS1_16scan_by_key_implILNS1_25lookback_scan_determinismE0ELb1ES3_N6thrust23THRUST_200600_302600_NS6detail15normal_iteratorINS9_10device_ptrIiEEEENSB_INSC_ItEEEESG_tNS9_4plusIvEENS9_8equal_toIvEEtEE10hipError_tPvRmT2_T3_T4_T5_mT6_T7_P12ihipStream_tbENKUlT_T0_E_clISt17integral_constantIbLb1EES10_IbLb0EEEEDaSW_SX_EUlSW_E_NS1_11comp_targetILNS1_3genE10ELNS1_11target_archE1200ELNS1_3gpuE4ELNS1_3repE0EEENS1_30default_config_static_selectorELNS0_4arch9wavefront6targetE1EEEvT1_
                                        ; -- End function
	.section	.AMDGPU.csdata,"",@progbits
; Kernel info:
; codeLenInByte = 0
; NumSgprs: 6
; NumVgprs: 0
; NumAgprs: 0
; TotalNumVgprs: 0
; ScratchSize: 0
; MemoryBound: 0
; FloatMode: 240
; IeeeMode: 1
; LDSByteSize: 0 bytes/workgroup (compile time only)
; SGPRBlocks: 0
; VGPRBlocks: 0
; NumSGPRsForWavesPerEU: 6
; NumVGPRsForWavesPerEU: 1
; AccumOffset: 4
; Occupancy: 8
; WaveLimiterHint : 0
; COMPUTE_PGM_RSRC2:SCRATCH_EN: 0
; COMPUTE_PGM_RSRC2:USER_SGPR: 2
; COMPUTE_PGM_RSRC2:TRAP_HANDLER: 0
; COMPUTE_PGM_RSRC2:TGID_X_EN: 1
; COMPUTE_PGM_RSRC2:TGID_Y_EN: 0
; COMPUTE_PGM_RSRC2:TGID_Z_EN: 0
; COMPUTE_PGM_RSRC2:TIDIG_COMP_CNT: 0
; COMPUTE_PGM_RSRC3_GFX90A:ACCUM_OFFSET: 0
; COMPUTE_PGM_RSRC3_GFX90A:TG_SPLIT: 0
	.section	.text._ZN7rocprim17ROCPRIM_400000_NS6detail17trampoline_kernelINS0_14default_configENS1_27scan_by_key_config_selectorIitEEZZNS1_16scan_by_key_implILNS1_25lookback_scan_determinismE0ELb1ES3_N6thrust23THRUST_200600_302600_NS6detail15normal_iteratorINS9_10device_ptrIiEEEENSB_INSC_ItEEEESG_tNS9_4plusIvEENS9_8equal_toIvEEtEE10hipError_tPvRmT2_T3_T4_T5_mT6_T7_P12ihipStream_tbENKUlT_T0_E_clISt17integral_constantIbLb1EES10_IbLb0EEEEDaSW_SX_EUlSW_E_NS1_11comp_targetILNS1_3genE9ELNS1_11target_archE1100ELNS1_3gpuE3ELNS1_3repE0EEENS1_30default_config_static_selectorELNS0_4arch9wavefront6targetE1EEEvT1_,"axG",@progbits,_ZN7rocprim17ROCPRIM_400000_NS6detail17trampoline_kernelINS0_14default_configENS1_27scan_by_key_config_selectorIitEEZZNS1_16scan_by_key_implILNS1_25lookback_scan_determinismE0ELb1ES3_N6thrust23THRUST_200600_302600_NS6detail15normal_iteratorINS9_10device_ptrIiEEEENSB_INSC_ItEEEESG_tNS9_4plusIvEENS9_8equal_toIvEEtEE10hipError_tPvRmT2_T3_T4_T5_mT6_T7_P12ihipStream_tbENKUlT_T0_E_clISt17integral_constantIbLb1EES10_IbLb0EEEEDaSW_SX_EUlSW_E_NS1_11comp_targetILNS1_3genE9ELNS1_11target_archE1100ELNS1_3gpuE3ELNS1_3repE0EEENS1_30default_config_static_selectorELNS0_4arch9wavefront6targetE1EEEvT1_,comdat
	.protected	_ZN7rocprim17ROCPRIM_400000_NS6detail17trampoline_kernelINS0_14default_configENS1_27scan_by_key_config_selectorIitEEZZNS1_16scan_by_key_implILNS1_25lookback_scan_determinismE0ELb1ES3_N6thrust23THRUST_200600_302600_NS6detail15normal_iteratorINS9_10device_ptrIiEEEENSB_INSC_ItEEEESG_tNS9_4plusIvEENS9_8equal_toIvEEtEE10hipError_tPvRmT2_T3_T4_T5_mT6_T7_P12ihipStream_tbENKUlT_T0_E_clISt17integral_constantIbLb1EES10_IbLb0EEEEDaSW_SX_EUlSW_E_NS1_11comp_targetILNS1_3genE9ELNS1_11target_archE1100ELNS1_3gpuE3ELNS1_3repE0EEENS1_30default_config_static_selectorELNS0_4arch9wavefront6targetE1EEEvT1_ ; -- Begin function _ZN7rocprim17ROCPRIM_400000_NS6detail17trampoline_kernelINS0_14default_configENS1_27scan_by_key_config_selectorIitEEZZNS1_16scan_by_key_implILNS1_25lookback_scan_determinismE0ELb1ES3_N6thrust23THRUST_200600_302600_NS6detail15normal_iteratorINS9_10device_ptrIiEEEENSB_INSC_ItEEEESG_tNS9_4plusIvEENS9_8equal_toIvEEtEE10hipError_tPvRmT2_T3_T4_T5_mT6_T7_P12ihipStream_tbENKUlT_T0_E_clISt17integral_constantIbLb1EES10_IbLb0EEEEDaSW_SX_EUlSW_E_NS1_11comp_targetILNS1_3genE9ELNS1_11target_archE1100ELNS1_3gpuE3ELNS1_3repE0EEENS1_30default_config_static_selectorELNS0_4arch9wavefront6targetE1EEEvT1_
	.globl	_ZN7rocprim17ROCPRIM_400000_NS6detail17trampoline_kernelINS0_14default_configENS1_27scan_by_key_config_selectorIitEEZZNS1_16scan_by_key_implILNS1_25lookback_scan_determinismE0ELb1ES3_N6thrust23THRUST_200600_302600_NS6detail15normal_iteratorINS9_10device_ptrIiEEEENSB_INSC_ItEEEESG_tNS9_4plusIvEENS9_8equal_toIvEEtEE10hipError_tPvRmT2_T3_T4_T5_mT6_T7_P12ihipStream_tbENKUlT_T0_E_clISt17integral_constantIbLb1EES10_IbLb0EEEEDaSW_SX_EUlSW_E_NS1_11comp_targetILNS1_3genE9ELNS1_11target_archE1100ELNS1_3gpuE3ELNS1_3repE0EEENS1_30default_config_static_selectorELNS0_4arch9wavefront6targetE1EEEvT1_
	.p2align	8
	.type	_ZN7rocprim17ROCPRIM_400000_NS6detail17trampoline_kernelINS0_14default_configENS1_27scan_by_key_config_selectorIitEEZZNS1_16scan_by_key_implILNS1_25lookback_scan_determinismE0ELb1ES3_N6thrust23THRUST_200600_302600_NS6detail15normal_iteratorINS9_10device_ptrIiEEEENSB_INSC_ItEEEESG_tNS9_4plusIvEENS9_8equal_toIvEEtEE10hipError_tPvRmT2_T3_T4_T5_mT6_T7_P12ihipStream_tbENKUlT_T0_E_clISt17integral_constantIbLb1EES10_IbLb0EEEEDaSW_SX_EUlSW_E_NS1_11comp_targetILNS1_3genE9ELNS1_11target_archE1100ELNS1_3gpuE3ELNS1_3repE0EEENS1_30default_config_static_selectorELNS0_4arch9wavefront6targetE1EEEvT1_,@function
_ZN7rocprim17ROCPRIM_400000_NS6detail17trampoline_kernelINS0_14default_configENS1_27scan_by_key_config_selectorIitEEZZNS1_16scan_by_key_implILNS1_25lookback_scan_determinismE0ELb1ES3_N6thrust23THRUST_200600_302600_NS6detail15normal_iteratorINS9_10device_ptrIiEEEENSB_INSC_ItEEEESG_tNS9_4plusIvEENS9_8equal_toIvEEtEE10hipError_tPvRmT2_T3_T4_T5_mT6_T7_P12ihipStream_tbENKUlT_T0_E_clISt17integral_constantIbLb1EES10_IbLb0EEEEDaSW_SX_EUlSW_E_NS1_11comp_targetILNS1_3genE9ELNS1_11target_archE1100ELNS1_3gpuE3ELNS1_3repE0EEENS1_30default_config_static_selectorELNS0_4arch9wavefront6targetE1EEEvT1_: ; @_ZN7rocprim17ROCPRIM_400000_NS6detail17trampoline_kernelINS0_14default_configENS1_27scan_by_key_config_selectorIitEEZZNS1_16scan_by_key_implILNS1_25lookback_scan_determinismE0ELb1ES3_N6thrust23THRUST_200600_302600_NS6detail15normal_iteratorINS9_10device_ptrIiEEEENSB_INSC_ItEEEESG_tNS9_4plusIvEENS9_8equal_toIvEEtEE10hipError_tPvRmT2_T3_T4_T5_mT6_T7_P12ihipStream_tbENKUlT_T0_E_clISt17integral_constantIbLb1EES10_IbLb0EEEEDaSW_SX_EUlSW_E_NS1_11comp_targetILNS1_3genE9ELNS1_11target_archE1100ELNS1_3gpuE3ELNS1_3repE0EEENS1_30default_config_static_selectorELNS0_4arch9wavefront6targetE1EEEvT1_
; %bb.0:
	.section	.rodata,"a",@progbits
	.p2align	6, 0x0
	.amdhsa_kernel _ZN7rocprim17ROCPRIM_400000_NS6detail17trampoline_kernelINS0_14default_configENS1_27scan_by_key_config_selectorIitEEZZNS1_16scan_by_key_implILNS1_25lookback_scan_determinismE0ELb1ES3_N6thrust23THRUST_200600_302600_NS6detail15normal_iteratorINS9_10device_ptrIiEEEENSB_INSC_ItEEEESG_tNS9_4plusIvEENS9_8equal_toIvEEtEE10hipError_tPvRmT2_T3_T4_T5_mT6_T7_P12ihipStream_tbENKUlT_T0_E_clISt17integral_constantIbLb1EES10_IbLb0EEEEDaSW_SX_EUlSW_E_NS1_11comp_targetILNS1_3genE9ELNS1_11target_archE1100ELNS1_3gpuE3ELNS1_3repE0EEENS1_30default_config_static_selectorELNS0_4arch9wavefront6targetE1EEEvT1_
		.amdhsa_group_segment_fixed_size 0
		.amdhsa_private_segment_fixed_size 0
		.amdhsa_kernarg_size 112
		.amdhsa_user_sgpr_count 2
		.amdhsa_user_sgpr_dispatch_ptr 0
		.amdhsa_user_sgpr_queue_ptr 0
		.amdhsa_user_sgpr_kernarg_segment_ptr 1
		.amdhsa_user_sgpr_dispatch_id 0
		.amdhsa_user_sgpr_kernarg_preload_length 0
		.amdhsa_user_sgpr_kernarg_preload_offset 0
		.amdhsa_user_sgpr_private_segment_size 0
		.amdhsa_uses_dynamic_stack 0
		.amdhsa_enable_private_segment 0
		.amdhsa_system_sgpr_workgroup_id_x 1
		.amdhsa_system_sgpr_workgroup_id_y 0
		.amdhsa_system_sgpr_workgroup_id_z 0
		.amdhsa_system_sgpr_workgroup_info 0
		.amdhsa_system_vgpr_workitem_id 0
		.amdhsa_next_free_vgpr 1
		.amdhsa_next_free_sgpr 0
		.amdhsa_accum_offset 4
		.amdhsa_reserve_vcc 0
		.amdhsa_float_round_mode_32 0
		.amdhsa_float_round_mode_16_64 0
		.amdhsa_float_denorm_mode_32 3
		.amdhsa_float_denorm_mode_16_64 3
		.amdhsa_dx10_clamp 1
		.amdhsa_ieee_mode 1
		.amdhsa_fp16_overflow 0
		.amdhsa_tg_split 0
		.amdhsa_exception_fp_ieee_invalid_op 0
		.amdhsa_exception_fp_denorm_src 0
		.amdhsa_exception_fp_ieee_div_zero 0
		.amdhsa_exception_fp_ieee_overflow 0
		.amdhsa_exception_fp_ieee_underflow 0
		.amdhsa_exception_fp_ieee_inexact 0
		.amdhsa_exception_int_div_zero 0
	.end_amdhsa_kernel
	.section	.text._ZN7rocprim17ROCPRIM_400000_NS6detail17trampoline_kernelINS0_14default_configENS1_27scan_by_key_config_selectorIitEEZZNS1_16scan_by_key_implILNS1_25lookback_scan_determinismE0ELb1ES3_N6thrust23THRUST_200600_302600_NS6detail15normal_iteratorINS9_10device_ptrIiEEEENSB_INSC_ItEEEESG_tNS9_4plusIvEENS9_8equal_toIvEEtEE10hipError_tPvRmT2_T3_T4_T5_mT6_T7_P12ihipStream_tbENKUlT_T0_E_clISt17integral_constantIbLb1EES10_IbLb0EEEEDaSW_SX_EUlSW_E_NS1_11comp_targetILNS1_3genE9ELNS1_11target_archE1100ELNS1_3gpuE3ELNS1_3repE0EEENS1_30default_config_static_selectorELNS0_4arch9wavefront6targetE1EEEvT1_,"axG",@progbits,_ZN7rocprim17ROCPRIM_400000_NS6detail17trampoline_kernelINS0_14default_configENS1_27scan_by_key_config_selectorIitEEZZNS1_16scan_by_key_implILNS1_25lookback_scan_determinismE0ELb1ES3_N6thrust23THRUST_200600_302600_NS6detail15normal_iteratorINS9_10device_ptrIiEEEENSB_INSC_ItEEEESG_tNS9_4plusIvEENS9_8equal_toIvEEtEE10hipError_tPvRmT2_T3_T4_T5_mT6_T7_P12ihipStream_tbENKUlT_T0_E_clISt17integral_constantIbLb1EES10_IbLb0EEEEDaSW_SX_EUlSW_E_NS1_11comp_targetILNS1_3genE9ELNS1_11target_archE1100ELNS1_3gpuE3ELNS1_3repE0EEENS1_30default_config_static_selectorELNS0_4arch9wavefront6targetE1EEEvT1_,comdat
.Lfunc_end1560:
	.size	_ZN7rocprim17ROCPRIM_400000_NS6detail17trampoline_kernelINS0_14default_configENS1_27scan_by_key_config_selectorIitEEZZNS1_16scan_by_key_implILNS1_25lookback_scan_determinismE0ELb1ES3_N6thrust23THRUST_200600_302600_NS6detail15normal_iteratorINS9_10device_ptrIiEEEENSB_INSC_ItEEEESG_tNS9_4plusIvEENS9_8equal_toIvEEtEE10hipError_tPvRmT2_T3_T4_T5_mT6_T7_P12ihipStream_tbENKUlT_T0_E_clISt17integral_constantIbLb1EES10_IbLb0EEEEDaSW_SX_EUlSW_E_NS1_11comp_targetILNS1_3genE9ELNS1_11target_archE1100ELNS1_3gpuE3ELNS1_3repE0EEENS1_30default_config_static_selectorELNS0_4arch9wavefront6targetE1EEEvT1_, .Lfunc_end1560-_ZN7rocprim17ROCPRIM_400000_NS6detail17trampoline_kernelINS0_14default_configENS1_27scan_by_key_config_selectorIitEEZZNS1_16scan_by_key_implILNS1_25lookback_scan_determinismE0ELb1ES3_N6thrust23THRUST_200600_302600_NS6detail15normal_iteratorINS9_10device_ptrIiEEEENSB_INSC_ItEEEESG_tNS9_4plusIvEENS9_8equal_toIvEEtEE10hipError_tPvRmT2_T3_T4_T5_mT6_T7_P12ihipStream_tbENKUlT_T0_E_clISt17integral_constantIbLb1EES10_IbLb0EEEEDaSW_SX_EUlSW_E_NS1_11comp_targetILNS1_3genE9ELNS1_11target_archE1100ELNS1_3gpuE3ELNS1_3repE0EEENS1_30default_config_static_selectorELNS0_4arch9wavefront6targetE1EEEvT1_
                                        ; -- End function
	.section	.AMDGPU.csdata,"",@progbits
; Kernel info:
; codeLenInByte = 0
; NumSgprs: 6
; NumVgprs: 0
; NumAgprs: 0
; TotalNumVgprs: 0
; ScratchSize: 0
; MemoryBound: 0
; FloatMode: 240
; IeeeMode: 1
; LDSByteSize: 0 bytes/workgroup (compile time only)
; SGPRBlocks: 0
; VGPRBlocks: 0
; NumSGPRsForWavesPerEU: 6
; NumVGPRsForWavesPerEU: 1
; AccumOffset: 4
; Occupancy: 8
; WaveLimiterHint : 0
; COMPUTE_PGM_RSRC2:SCRATCH_EN: 0
; COMPUTE_PGM_RSRC2:USER_SGPR: 2
; COMPUTE_PGM_RSRC2:TRAP_HANDLER: 0
; COMPUTE_PGM_RSRC2:TGID_X_EN: 1
; COMPUTE_PGM_RSRC2:TGID_Y_EN: 0
; COMPUTE_PGM_RSRC2:TGID_Z_EN: 0
; COMPUTE_PGM_RSRC2:TIDIG_COMP_CNT: 0
; COMPUTE_PGM_RSRC3_GFX90A:ACCUM_OFFSET: 0
; COMPUTE_PGM_RSRC3_GFX90A:TG_SPLIT: 0
	.section	.text._ZN7rocprim17ROCPRIM_400000_NS6detail17trampoline_kernelINS0_14default_configENS1_27scan_by_key_config_selectorIitEEZZNS1_16scan_by_key_implILNS1_25lookback_scan_determinismE0ELb1ES3_N6thrust23THRUST_200600_302600_NS6detail15normal_iteratorINS9_10device_ptrIiEEEENSB_INSC_ItEEEESG_tNS9_4plusIvEENS9_8equal_toIvEEtEE10hipError_tPvRmT2_T3_T4_T5_mT6_T7_P12ihipStream_tbENKUlT_T0_E_clISt17integral_constantIbLb1EES10_IbLb0EEEEDaSW_SX_EUlSW_E_NS1_11comp_targetILNS1_3genE8ELNS1_11target_archE1030ELNS1_3gpuE2ELNS1_3repE0EEENS1_30default_config_static_selectorELNS0_4arch9wavefront6targetE1EEEvT1_,"axG",@progbits,_ZN7rocprim17ROCPRIM_400000_NS6detail17trampoline_kernelINS0_14default_configENS1_27scan_by_key_config_selectorIitEEZZNS1_16scan_by_key_implILNS1_25lookback_scan_determinismE0ELb1ES3_N6thrust23THRUST_200600_302600_NS6detail15normal_iteratorINS9_10device_ptrIiEEEENSB_INSC_ItEEEESG_tNS9_4plusIvEENS9_8equal_toIvEEtEE10hipError_tPvRmT2_T3_T4_T5_mT6_T7_P12ihipStream_tbENKUlT_T0_E_clISt17integral_constantIbLb1EES10_IbLb0EEEEDaSW_SX_EUlSW_E_NS1_11comp_targetILNS1_3genE8ELNS1_11target_archE1030ELNS1_3gpuE2ELNS1_3repE0EEENS1_30default_config_static_selectorELNS0_4arch9wavefront6targetE1EEEvT1_,comdat
	.protected	_ZN7rocprim17ROCPRIM_400000_NS6detail17trampoline_kernelINS0_14default_configENS1_27scan_by_key_config_selectorIitEEZZNS1_16scan_by_key_implILNS1_25lookback_scan_determinismE0ELb1ES3_N6thrust23THRUST_200600_302600_NS6detail15normal_iteratorINS9_10device_ptrIiEEEENSB_INSC_ItEEEESG_tNS9_4plusIvEENS9_8equal_toIvEEtEE10hipError_tPvRmT2_T3_T4_T5_mT6_T7_P12ihipStream_tbENKUlT_T0_E_clISt17integral_constantIbLb1EES10_IbLb0EEEEDaSW_SX_EUlSW_E_NS1_11comp_targetILNS1_3genE8ELNS1_11target_archE1030ELNS1_3gpuE2ELNS1_3repE0EEENS1_30default_config_static_selectorELNS0_4arch9wavefront6targetE1EEEvT1_ ; -- Begin function _ZN7rocprim17ROCPRIM_400000_NS6detail17trampoline_kernelINS0_14default_configENS1_27scan_by_key_config_selectorIitEEZZNS1_16scan_by_key_implILNS1_25lookback_scan_determinismE0ELb1ES3_N6thrust23THRUST_200600_302600_NS6detail15normal_iteratorINS9_10device_ptrIiEEEENSB_INSC_ItEEEESG_tNS9_4plusIvEENS9_8equal_toIvEEtEE10hipError_tPvRmT2_T3_T4_T5_mT6_T7_P12ihipStream_tbENKUlT_T0_E_clISt17integral_constantIbLb1EES10_IbLb0EEEEDaSW_SX_EUlSW_E_NS1_11comp_targetILNS1_3genE8ELNS1_11target_archE1030ELNS1_3gpuE2ELNS1_3repE0EEENS1_30default_config_static_selectorELNS0_4arch9wavefront6targetE1EEEvT1_
	.globl	_ZN7rocprim17ROCPRIM_400000_NS6detail17trampoline_kernelINS0_14default_configENS1_27scan_by_key_config_selectorIitEEZZNS1_16scan_by_key_implILNS1_25lookback_scan_determinismE0ELb1ES3_N6thrust23THRUST_200600_302600_NS6detail15normal_iteratorINS9_10device_ptrIiEEEENSB_INSC_ItEEEESG_tNS9_4plusIvEENS9_8equal_toIvEEtEE10hipError_tPvRmT2_T3_T4_T5_mT6_T7_P12ihipStream_tbENKUlT_T0_E_clISt17integral_constantIbLb1EES10_IbLb0EEEEDaSW_SX_EUlSW_E_NS1_11comp_targetILNS1_3genE8ELNS1_11target_archE1030ELNS1_3gpuE2ELNS1_3repE0EEENS1_30default_config_static_selectorELNS0_4arch9wavefront6targetE1EEEvT1_
	.p2align	8
	.type	_ZN7rocprim17ROCPRIM_400000_NS6detail17trampoline_kernelINS0_14default_configENS1_27scan_by_key_config_selectorIitEEZZNS1_16scan_by_key_implILNS1_25lookback_scan_determinismE0ELb1ES3_N6thrust23THRUST_200600_302600_NS6detail15normal_iteratorINS9_10device_ptrIiEEEENSB_INSC_ItEEEESG_tNS9_4plusIvEENS9_8equal_toIvEEtEE10hipError_tPvRmT2_T3_T4_T5_mT6_T7_P12ihipStream_tbENKUlT_T0_E_clISt17integral_constantIbLb1EES10_IbLb0EEEEDaSW_SX_EUlSW_E_NS1_11comp_targetILNS1_3genE8ELNS1_11target_archE1030ELNS1_3gpuE2ELNS1_3repE0EEENS1_30default_config_static_selectorELNS0_4arch9wavefront6targetE1EEEvT1_,@function
_ZN7rocprim17ROCPRIM_400000_NS6detail17trampoline_kernelINS0_14default_configENS1_27scan_by_key_config_selectorIitEEZZNS1_16scan_by_key_implILNS1_25lookback_scan_determinismE0ELb1ES3_N6thrust23THRUST_200600_302600_NS6detail15normal_iteratorINS9_10device_ptrIiEEEENSB_INSC_ItEEEESG_tNS9_4plusIvEENS9_8equal_toIvEEtEE10hipError_tPvRmT2_T3_T4_T5_mT6_T7_P12ihipStream_tbENKUlT_T0_E_clISt17integral_constantIbLb1EES10_IbLb0EEEEDaSW_SX_EUlSW_E_NS1_11comp_targetILNS1_3genE8ELNS1_11target_archE1030ELNS1_3gpuE2ELNS1_3repE0EEENS1_30default_config_static_selectorELNS0_4arch9wavefront6targetE1EEEvT1_: ; @_ZN7rocprim17ROCPRIM_400000_NS6detail17trampoline_kernelINS0_14default_configENS1_27scan_by_key_config_selectorIitEEZZNS1_16scan_by_key_implILNS1_25lookback_scan_determinismE0ELb1ES3_N6thrust23THRUST_200600_302600_NS6detail15normal_iteratorINS9_10device_ptrIiEEEENSB_INSC_ItEEEESG_tNS9_4plusIvEENS9_8equal_toIvEEtEE10hipError_tPvRmT2_T3_T4_T5_mT6_T7_P12ihipStream_tbENKUlT_T0_E_clISt17integral_constantIbLb1EES10_IbLb0EEEEDaSW_SX_EUlSW_E_NS1_11comp_targetILNS1_3genE8ELNS1_11target_archE1030ELNS1_3gpuE2ELNS1_3repE0EEENS1_30default_config_static_selectorELNS0_4arch9wavefront6targetE1EEEvT1_
; %bb.0:
	.section	.rodata,"a",@progbits
	.p2align	6, 0x0
	.amdhsa_kernel _ZN7rocprim17ROCPRIM_400000_NS6detail17trampoline_kernelINS0_14default_configENS1_27scan_by_key_config_selectorIitEEZZNS1_16scan_by_key_implILNS1_25lookback_scan_determinismE0ELb1ES3_N6thrust23THRUST_200600_302600_NS6detail15normal_iteratorINS9_10device_ptrIiEEEENSB_INSC_ItEEEESG_tNS9_4plusIvEENS9_8equal_toIvEEtEE10hipError_tPvRmT2_T3_T4_T5_mT6_T7_P12ihipStream_tbENKUlT_T0_E_clISt17integral_constantIbLb1EES10_IbLb0EEEEDaSW_SX_EUlSW_E_NS1_11comp_targetILNS1_3genE8ELNS1_11target_archE1030ELNS1_3gpuE2ELNS1_3repE0EEENS1_30default_config_static_selectorELNS0_4arch9wavefront6targetE1EEEvT1_
		.amdhsa_group_segment_fixed_size 0
		.amdhsa_private_segment_fixed_size 0
		.amdhsa_kernarg_size 112
		.amdhsa_user_sgpr_count 2
		.amdhsa_user_sgpr_dispatch_ptr 0
		.amdhsa_user_sgpr_queue_ptr 0
		.amdhsa_user_sgpr_kernarg_segment_ptr 1
		.amdhsa_user_sgpr_dispatch_id 0
		.amdhsa_user_sgpr_kernarg_preload_length 0
		.amdhsa_user_sgpr_kernarg_preload_offset 0
		.amdhsa_user_sgpr_private_segment_size 0
		.amdhsa_uses_dynamic_stack 0
		.amdhsa_enable_private_segment 0
		.amdhsa_system_sgpr_workgroup_id_x 1
		.amdhsa_system_sgpr_workgroup_id_y 0
		.amdhsa_system_sgpr_workgroup_id_z 0
		.amdhsa_system_sgpr_workgroup_info 0
		.amdhsa_system_vgpr_workitem_id 0
		.amdhsa_next_free_vgpr 1
		.amdhsa_next_free_sgpr 0
		.amdhsa_accum_offset 4
		.amdhsa_reserve_vcc 0
		.amdhsa_float_round_mode_32 0
		.amdhsa_float_round_mode_16_64 0
		.amdhsa_float_denorm_mode_32 3
		.amdhsa_float_denorm_mode_16_64 3
		.amdhsa_dx10_clamp 1
		.amdhsa_ieee_mode 1
		.amdhsa_fp16_overflow 0
		.amdhsa_tg_split 0
		.amdhsa_exception_fp_ieee_invalid_op 0
		.amdhsa_exception_fp_denorm_src 0
		.amdhsa_exception_fp_ieee_div_zero 0
		.amdhsa_exception_fp_ieee_overflow 0
		.amdhsa_exception_fp_ieee_underflow 0
		.amdhsa_exception_fp_ieee_inexact 0
		.amdhsa_exception_int_div_zero 0
	.end_amdhsa_kernel
	.section	.text._ZN7rocprim17ROCPRIM_400000_NS6detail17trampoline_kernelINS0_14default_configENS1_27scan_by_key_config_selectorIitEEZZNS1_16scan_by_key_implILNS1_25lookback_scan_determinismE0ELb1ES3_N6thrust23THRUST_200600_302600_NS6detail15normal_iteratorINS9_10device_ptrIiEEEENSB_INSC_ItEEEESG_tNS9_4plusIvEENS9_8equal_toIvEEtEE10hipError_tPvRmT2_T3_T4_T5_mT6_T7_P12ihipStream_tbENKUlT_T0_E_clISt17integral_constantIbLb1EES10_IbLb0EEEEDaSW_SX_EUlSW_E_NS1_11comp_targetILNS1_3genE8ELNS1_11target_archE1030ELNS1_3gpuE2ELNS1_3repE0EEENS1_30default_config_static_selectorELNS0_4arch9wavefront6targetE1EEEvT1_,"axG",@progbits,_ZN7rocprim17ROCPRIM_400000_NS6detail17trampoline_kernelINS0_14default_configENS1_27scan_by_key_config_selectorIitEEZZNS1_16scan_by_key_implILNS1_25lookback_scan_determinismE0ELb1ES3_N6thrust23THRUST_200600_302600_NS6detail15normal_iteratorINS9_10device_ptrIiEEEENSB_INSC_ItEEEESG_tNS9_4plusIvEENS9_8equal_toIvEEtEE10hipError_tPvRmT2_T3_T4_T5_mT6_T7_P12ihipStream_tbENKUlT_T0_E_clISt17integral_constantIbLb1EES10_IbLb0EEEEDaSW_SX_EUlSW_E_NS1_11comp_targetILNS1_3genE8ELNS1_11target_archE1030ELNS1_3gpuE2ELNS1_3repE0EEENS1_30default_config_static_selectorELNS0_4arch9wavefront6targetE1EEEvT1_,comdat
.Lfunc_end1561:
	.size	_ZN7rocprim17ROCPRIM_400000_NS6detail17trampoline_kernelINS0_14default_configENS1_27scan_by_key_config_selectorIitEEZZNS1_16scan_by_key_implILNS1_25lookback_scan_determinismE0ELb1ES3_N6thrust23THRUST_200600_302600_NS6detail15normal_iteratorINS9_10device_ptrIiEEEENSB_INSC_ItEEEESG_tNS9_4plusIvEENS9_8equal_toIvEEtEE10hipError_tPvRmT2_T3_T4_T5_mT6_T7_P12ihipStream_tbENKUlT_T0_E_clISt17integral_constantIbLb1EES10_IbLb0EEEEDaSW_SX_EUlSW_E_NS1_11comp_targetILNS1_3genE8ELNS1_11target_archE1030ELNS1_3gpuE2ELNS1_3repE0EEENS1_30default_config_static_selectorELNS0_4arch9wavefront6targetE1EEEvT1_, .Lfunc_end1561-_ZN7rocprim17ROCPRIM_400000_NS6detail17trampoline_kernelINS0_14default_configENS1_27scan_by_key_config_selectorIitEEZZNS1_16scan_by_key_implILNS1_25lookback_scan_determinismE0ELb1ES3_N6thrust23THRUST_200600_302600_NS6detail15normal_iteratorINS9_10device_ptrIiEEEENSB_INSC_ItEEEESG_tNS9_4plusIvEENS9_8equal_toIvEEtEE10hipError_tPvRmT2_T3_T4_T5_mT6_T7_P12ihipStream_tbENKUlT_T0_E_clISt17integral_constantIbLb1EES10_IbLb0EEEEDaSW_SX_EUlSW_E_NS1_11comp_targetILNS1_3genE8ELNS1_11target_archE1030ELNS1_3gpuE2ELNS1_3repE0EEENS1_30default_config_static_selectorELNS0_4arch9wavefront6targetE1EEEvT1_
                                        ; -- End function
	.section	.AMDGPU.csdata,"",@progbits
; Kernel info:
; codeLenInByte = 0
; NumSgprs: 6
; NumVgprs: 0
; NumAgprs: 0
; TotalNumVgprs: 0
; ScratchSize: 0
; MemoryBound: 0
; FloatMode: 240
; IeeeMode: 1
; LDSByteSize: 0 bytes/workgroup (compile time only)
; SGPRBlocks: 0
; VGPRBlocks: 0
; NumSGPRsForWavesPerEU: 6
; NumVGPRsForWavesPerEU: 1
; AccumOffset: 4
; Occupancy: 8
; WaveLimiterHint : 0
; COMPUTE_PGM_RSRC2:SCRATCH_EN: 0
; COMPUTE_PGM_RSRC2:USER_SGPR: 2
; COMPUTE_PGM_RSRC2:TRAP_HANDLER: 0
; COMPUTE_PGM_RSRC2:TGID_X_EN: 1
; COMPUTE_PGM_RSRC2:TGID_Y_EN: 0
; COMPUTE_PGM_RSRC2:TGID_Z_EN: 0
; COMPUTE_PGM_RSRC2:TIDIG_COMP_CNT: 0
; COMPUTE_PGM_RSRC3_GFX90A:ACCUM_OFFSET: 0
; COMPUTE_PGM_RSRC3_GFX90A:TG_SPLIT: 0
	.section	.text._ZN7rocprim17ROCPRIM_400000_NS6detail17trampoline_kernelINS0_14default_configENS1_27scan_by_key_config_selectorIitEEZZNS1_16scan_by_key_implILNS1_25lookback_scan_determinismE0ELb1ES3_N6thrust23THRUST_200600_302600_NS6detail15normal_iteratorINS9_10device_ptrIiEEEENSB_INSC_ItEEEESG_tNS9_4plusIvEENS9_8equal_toIvEEtEE10hipError_tPvRmT2_T3_T4_T5_mT6_T7_P12ihipStream_tbENKUlT_T0_E_clISt17integral_constantIbLb0EES10_IbLb1EEEEDaSW_SX_EUlSW_E_NS1_11comp_targetILNS1_3genE0ELNS1_11target_archE4294967295ELNS1_3gpuE0ELNS1_3repE0EEENS1_30default_config_static_selectorELNS0_4arch9wavefront6targetE1EEEvT1_,"axG",@progbits,_ZN7rocprim17ROCPRIM_400000_NS6detail17trampoline_kernelINS0_14default_configENS1_27scan_by_key_config_selectorIitEEZZNS1_16scan_by_key_implILNS1_25lookback_scan_determinismE0ELb1ES3_N6thrust23THRUST_200600_302600_NS6detail15normal_iteratorINS9_10device_ptrIiEEEENSB_INSC_ItEEEESG_tNS9_4plusIvEENS9_8equal_toIvEEtEE10hipError_tPvRmT2_T3_T4_T5_mT6_T7_P12ihipStream_tbENKUlT_T0_E_clISt17integral_constantIbLb0EES10_IbLb1EEEEDaSW_SX_EUlSW_E_NS1_11comp_targetILNS1_3genE0ELNS1_11target_archE4294967295ELNS1_3gpuE0ELNS1_3repE0EEENS1_30default_config_static_selectorELNS0_4arch9wavefront6targetE1EEEvT1_,comdat
	.protected	_ZN7rocprim17ROCPRIM_400000_NS6detail17trampoline_kernelINS0_14default_configENS1_27scan_by_key_config_selectorIitEEZZNS1_16scan_by_key_implILNS1_25lookback_scan_determinismE0ELb1ES3_N6thrust23THRUST_200600_302600_NS6detail15normal_iteratorINS9_10device_ptrIiEEEENSB_INSC_ItEEEESG_tNS9_4plusIvEENS9_8equal_toIvEEtEE10hipError_tPvRmT2_T3_T4_T5_mT6_T7_P12ihipStream_tbENKUlT_T0_E_clISt17integral_constantIbLb0EES10_IbLb1EEEEDaSW_SX_EUlSW_E_NS1_11comp_targetILNS1_3genE0ELNS1_11target_archE4294967295ELNS1_3gpuE0ELNS1_3repE0EEENS1_30default_config_static_selectorELNS0_4arch9wavefront6targetE1EEEvT1_ ; -- Begin function _ZN7rocprim17ROCPRIM_400000_NS6detail17trampoline_kernelINS0_14default_configENS1_27scan_by_key_config_selectorIitEEZZNS1_16scan_by_key_implILNS1_25lookback_scan_determinismE0ELb1ES3_N6thrust23THRUST_200600_302600_NS6detail15normal_iteratorINS9_10device_ptrIiEEEENSB_INSC_ItEEEESG_tNS9_4plusIvEENS9_8equal_toIvEEtEE10hipError_tPvRmT2_T3_T4_T5_mT6_T7_P12ihipStream_tbENKUlT_T0_E_clISt17integral_constantIbLb0EES10_IbLb1EEEEDaSW_SX_EUlSW_E_NS1_11comp_targetILNS1_3genE0ELNS1_11target_archE4294967295ELNS1_3gpuE0ELNS1_3repE0EEENS1_30default_config_static_selectorELNS0_4arch9wavefront6targetE1EEEvT1_
	.globl	_ZN7rocprim17ROCPRIM_400000_NS6detail17trampoline_kernelINS0_14default_configENS1_27scan_by_key_config_selectorIitEEZZNS1_16scan_by_key_implILNS1_25lookback_scan_determinismE0ELb1ES3_N6thrust23THRUST_200600_302600_NS6detail15normal_iteratorINS9_10device_ptrIiEEEENSB_INSC_ItEEEESG_tNS9_4plusIvEENS9_8equal_toIvEEtEE10hipError_tPvRmT2_T3_T4_T5_mT6_T7_P12ihipStream_tbENKUlT_T0_E_clISt17integral_constantIbLb0EES10_IbLb1EEEEDaSW_SX_EUlSW_E_NS1_11comp_targetILNS1_3genE0ELNS1_11target_archE4294967295ELNS1_3gpuE0ELNS1_3repE0EEENS1_30default_config_static_selectorELNS0_4arch9wavefront6targetE1EEEvT1_
	.p2align	8
	.type	_ZN7rocprim17ROCPRIM_400000_NS6detail17trampoline_kernelINS0_14default_configENS1_27scan_by_key_config_selectorIitEEZZNS1_16scan_by_key_implILNS1_25lookback_scan_determinismE0ELb1ES3_N6thrust23THRUST_200600_302600_NS6detail15normal_iteratorINS9_10device_ptrIiEEEENSB_INSC_ItEEEESG_tNS9_4plusIvEENS9_8equal_toIvEEtEE10hipError_tPvRmT2_T3_T4_T5_mT6_T7_P12ihipStream_tbENKUlT_T0_E_clISt17integral_constantIbLb0EES10_IbLb1EEEEDaSW_SX_EUlSW_E_NS1_11comp_targetILNS1_3genE0ELNS1_11target_archE4294967295ELNS1_3gpuE0ELNS1_3repE0EEENS1_30default_config_static_selectorELNS0_4arch9wavefront6targetE1EEEvT1_,@function
_ZN7rocprim17ROCPRIM_400000_NS6detail17trampoline_kernelINS0_14default_configENS1_27scan_by_key_config_selectorIitEEZZNS1_16scan_by_key_implILNS1_25lookback_scan_determinismE0ELb1ES3_N6thrust23THRUST_200600_302600_NS6detail15normal_iteratorINS9_10device_ptrIiEEEENSB_INSC_ItEEEESG_tNS9_4plusIvEENS9_8equal_toIvEEtEE10hipError_tPvRmT2_T3_T4_T5_mT6_T7_P12ihipStream_tbENKUlT_T0_E_clISt17integral_constantIbLb0EES10_IbLb1EEEEDaSW_SX_EUlSW_E_NS1_11comp_targetILNS1_3genE0ELNS1_11target_archE4294967295ELNS1_3gpuE0ELNS1_3repE0EEENS1_30default_config_static_selectorELNS0_4arch9wavefront6targetE1EEEvT1_: ; @_ZN7rocprim17ROCPRIM_400000_NS6detail17trampoline_kernelINS0_14default_configENS1_27scan_by_key_config_selectorIitEEZZNS1_16scan_by_key_implILNS1_25lookback_scan_determinismE0ELb1ES3_N6thrust23THRUST_200600_302600_NS6detail15normal_iteratorINS9_10device_ptrIiEEEENSB_INSC_ItEEEESG_tNS9_4plusIvEENS9_8equal_toIvEEtEE10hipError_tPvRmT2_T3_T4_T5_mT6_T7_P12ihipStream_tbENKUlT_T0_E_clISt17integral_constantIbLb0EES10_IbLb1EEEEDaSW_SX_EUlSW_E_NS1_11comp_targetILNS1_3genE0ELNS1_11target_archE4294967295ELNS1_3gpuE0ELNS1_3repE0EEENS1_30default_config_static_selectorELNS0_4arch9wavefront6targetE1EEEvT1_
; %bb.0:
	.section	.rodata,"a",@progbits
	.p2align	6, 0x0
	.amdhsa_kernel _ZN7rocprim17ROCPRIM_400000_NS6detail17trampoline_kernelINS0_14default_configENS1_27scan_by_key_config_selectorIitEEZZNS1_16scan_by_key_implILNS1_25lookback_scan_determinismE0ELb1ES3_N6thrust23THRUST_200600_302600_NS6detail15normal_iteratorINS9_10device_ptrIiEEEENSB_INSC_ItEEEESG_tNS9_4plusIvEENS9_8equal_toIvEEtEE10hipError_tPvRmT2_T3_T4_T5_mT6_T7_P12ihipStream_tbENKUlT_T0_E_clISt17integral_constantIbLb0EES10_IbLb1EEEEDaSW_SX_EUlSW_E_NS1_11comp_targetILNS1_3genE0ELNS1_11target_archE4294967295ELNS1_3gpuE0ELNS1_3repE0EEENS1_30default_config_static_selectorELNS0_4arch9wavefront6targetE1EEEvT1_
		.amdhsa_group_segment_fixed_size 0
		.amdhsa_private_segment_fixed_size 0
		.amdhsa_kernarg_size 112
		.amdhsa_user_sgpr_count 2
		.amdhsa_user_sgpr_dispatch_ptr 0
		.amdhsa_user_sgpr_queue_ptr 0
		.amdhsa_user_sgpr_kernarg_segment_ptr 1
		.amdhsa_user_sgpr_dispatch_id 0
		.amdhsa_user_sgpr_kernarg_preload_length 0
		.amdhsa_user_sgpr_kernarg_preload_offset 0
		.amdhsa_user_sgpr_private_segment_size 0
		.amdhsa_uses_dynamic_stack 0
		.amdhsa_enable_private_segment 0
		.amdhsa_system_sgpr_workgroup_id_x 1
		.amdhsa_system_sgpr_workgroup_id_y 0
		.amdhsa_system_sgpr_workgroup_id_z 0
		.amdhsa_system_sgpr_workgroup_info 0
		.amdhsa_system_vgpr_workitem_id 0
		.amdhsa_next_free_vgpr 1
		.amdhsa_next_free_sgpr 0
		.amdhsa_accum_offset 4
		.amdhsa_reserve_vcc 0
		.amdhsa_float_round_mode_32 0
		.amdhsa_float_round_mode_16_64 0
		.amdhsa_float_denorm_mode_32 3
		.amdhsa_float_denorm_mode_16_64 3
		.amdhsa_dx10_clamp 1
		.amdhsa_ieee_mode 1
		.amdhsa_fp16_overflow 0
		.amdhsa_tg_split 0
		.amdhsa_exception_fp_ieee_invalid_op 0
		.amdhsa_exception_fp_denorm_src 0
		.amdhsa_exception_fp_ieee_div_zero 0
		.amdhsa_exception_fp_ieee_overflow 0
		.amdhsa_exception_fp_ieee_underflow 0
		.amdhsa_exception_fp_ieee_inexact 0
		.amdhsa_exception_int_div_zero 0
	.end_amdhsa_kernel
	.section	.text._ZN7rocprim17ROCPRIM_400000_NS6detail17trampoline_kernelINS0_14default_configENS1_27scan_by_key_config_selectorIitEEZZNS1_16scan_by_key_implILNS1_25lookback_scan_determinismE0ELb1ES3_N6thrust23THRUST_200600_302600_NS6detail15normal_iteratorINS9_10device_ptrIiEEEENSB_INSC_ItEEEESG_tNS9_4plusIvEENS9_8equal_toIvEEtEE10hipError_tPvRmT2_T3_T4_T5_mT6_T7_P12ihipStream_tbENKUlT_T0_E_clISt17integral_constantIbLb0EES10_IbLb1EEEEDaSW_SX_EUlSW_E_NS1_11comp_targetILNS1_3genE0ELNS1_11target_archE4294967295ELNS1_3gpuE0ELNS1_3repE0EEENS1_30default_config_static_selectorELNS0_4arch9wavefront6targetE1EEEvT1_,"axG",@progbits,_ZN7rocprim17ROCPRIM_400000_NS6detail17trampoline_kernelINS0_14default_configENS1_27scan_by_key_config_selectorIitEEZZNS1_16scan_by_key_implILNS1_25lookback_scan_determinismE0ELb1ES3_N6thrust23THRUST_200600_302600_NS6detail15normal_iteratorINS9_10device_ptrIiEEEENSB_INSC_ItEEEESG_tNS9_4plusIvEENS9_8equal_toIvEEtEE10hipError_tPvRmT2_T3_T4_T5_mT6_T7_P12ihipStream_tbENKUlT_T0_E_clISt17integral_constantIbLb0EES10_IbLb1EEEEDaSW_SX_EUlSW_E_NS1_11comp_targetILNS1_3genE0ELNS1_11target_archE4294967295ELNS1_3gpuE0ELNS1_3repE0EEENS1_30default_config_static_selectorELNS0_4arch9wavefront6targetE1EEEvT1_,comdat
.Lfunc_end1562:
	.size	_ZN7rocprim17ROCPRIM_400000_NS6detail17trampoline_kernelINS0_14default_configENS1_27scan_by_key_config_selectorIitEEZZNS1_16scan_by_key_implILNS1_25lookback_scan_determinismE0ELb1ES3_N6thrust23THRUST_200600_302600_NS6detail15normal_iteratorINS9_10device_ptrIiEEEENSB_INSC_ItEEEESG_tNS9_4plusIvEENS9_8equal_toIvEEtEE10hipError_tPvRmT2_T3_T4_T5_mT6_T7_P12ihipStream_tbENKUlT_T0_E_clISt17integral_constantIbLb0EES10_IbLb1EEEEDaSW_SX_EUlSW_E_NS1_11comp_targetILNS1_3genE0ELNS1_11target_archE4294967295ELNS1_3gpuE0ELNS1_3repE0EEENS1_30default_config_static_selectorELNS0_4arch9wavefront6targetE1EEEvT1_, .Lfunc_end1562-_ZN7rocprim17ROCPRIM_400000_NS6detail17trampoline_kernelINS0_14default_configENS1_27scan_by_key_config_selectorIitEEZZNS1_16scan_by_key_implILNS1_25lookback_scan_determinismE0ELb1ES3_N6thrust23THRUST_200600_302600_NS6detail15normal_iteratorINS9_10device_ptrIiEEEENSB_INSC_ItEEEESG_tNS9_4plusIvEENS9_8equal_toIvEEtEE10hipError_tPvRmT2_T3_T4_T5_mT6_T7_P12ihipStream_tbENKUlT_T0_E_clISt17integral_constantIbLb0EES10_IbLb1EEEEDaSW_SX_EUlSW_E_NS1_11comp_targetILNS1_3genE0ELNS1_11target_archE4294967295ELNS1_3gpuE0ELNS1_3repE0EEENS1_30default_config_static_selectorELNS0_4arch9wavefront6targetE1EEEvT1_
                                        ; -- End function
	.section	.AMDGPU.csdata,"",@progbits
; Kernel info:
; codeLenInByte = 0
; NumSgprs: 6
; NumVgprs: 0
; NumAgprs: 0
; TotalNumVgprs: 0
; ScratchSize: 0
; MemoryBound: 0
; FloatMode: 240
; IeeeMode: 1
; LDSByteSize: 0 bytes/workgroup (compile time only)
; SGPRBlocks: 0
; VGPRBlocks: 0
; NumSGPRsForWavesPerEU: 6
; NumVGPRsForWavesPerEU: 1
; AccumOffset: 4
; Occupancy: 8
; WaveLimiterHint : 0
; COMPUTE_PGM_RSRC2:SCRATCH_EN: 0
; COMPUTE_PGM_RSRC2:USER_SGPR: 2
; COMPUTE_PGM_RSRC2:TRAP_HANDLER: 0
; COMPUTE_PGM_RSRC2:TGID_X_EN: 1
; COMPUTE_PGM_RSRC2:TGID_Y_EN: 0
; COMPUTE_PGM_RSRC2:TGID_Z_EN: 0
; COMPUTE_PGM_RSRC2:TIDIG_COMP_CNT: 0
; COMPUTE_PGM_RSRC3_GFX90A:ACCUM_OFFSET: 0
; COMPUTE_PGM_RSRC3_GFX90A:TG_SPLIT: 0
	.section	.text._ZN7rocprim17ROCPRIM_400000_NS6detail17trampoline_kernelINS0_14default_configENS1_27scan_by_key_config_selectorIitEEZZNS1_16scan_by_key_implILNS1_25lookback_scan_determinismE0ELb1ES3_N6thrust23THRUST_200600_302600_NS6detail15normal_iteratorINS9_10device_ptrIiEEEENSB_INSC_ItEEEESG_tNS9_4plusIvEENS9_8equal_toIvEEtEE10hipError_tPvRmT2_T3_T4_T5_mT6_T7_P12ihipStream_tbENKUlT_T0_E_clISt17integral_constantIbLb0EES10_IbLb1EEEEDaSW_SX_EUlSW_E_NS1_11comp_targetILNS1_3genE10ELNS1_11target_archE1201ELNS1_3gpuE5ELNS1_3repE0EEENS1_30default_config_static_selectorELNS0_4arch9wavefront6targetE1EEEvT1_,"axG",@progbits,_ZN7rocprim17ROCPRIM_400000_NS6detail17trampoline_kernelINS0_14default_configENS1_27scan_by_key_config_selectorIitEEZZNS1_16scan_by_key_implILNS1_25lookback_scan_determinismE0ELb1ES3_N6thrust23THRUST_200600_302600_NS6detail15normal_iteratorINS9_10device_ptrIiEEEENSB_INSC_ItEEEESG_tNS9_4plusIvEENS9_8equal_toIvEEtEE10hipError_tPvRmT2_T3_T4_T5_mT6_T7_P12ihipStream_tbENKUlT_T0_E_clISt17integral_constantIbLb0EES10_IbLb1EEEEDaSW_SX_EUlSW_E_NS1_11comp_targetILNS1_3genE10ELNS1_11target_archE1201ELNS1_3gpuE5ELNS1_3repE0EEENS1_30default_config_static_selectorELNS0_4arch9wavefront6targetE1EEEvT1_,comdat
	.protected	_ZN7rocprim17ROCPRIM_400000_NS6detail17trampoline_kernelINS0_14default_configENS1_27scan_by_key_config_selectorIitEEZZNS1_16scan_by_key_implILNS1_25lookback_scan_determinismE0ELb1ES3_N6thrust23THRUST_200600_302600_NS6detail15normal_iteratorINS9_10device_ptrIiEEEENSB_INSC_ItEEEESG_tNS9_4plusIvEENS9_8equal_toIvEEtEE10hipError_tPvRmT2_T3_T4_T5_mT6_T7_P12ihipStream_tbENKUlT_T0_E_clISt17integral_constantIbLb0EES10_IbLb1EEEEDaSW_SX_EUlSW_E_NS1_11comp_targetILNS1_3genE10ELNS1_11target_archE1201ELNS1_3gpuE5ELNS1_3repE0EEENS1_30default_config_static_selectorELNS0_4arch9wavefront6targetE1EEEvT1_ ; -- Begin function _ZN7rocprim17ROCPRIM_400000_NS6detail17trampoline_kernelINS0_14default_configENS1_27scan_by_key_config_selectorIitEEZZNS1_16scan_by_key_implILNS1_25lookback_scan_determinismE0ELb1ES3_N6thrust23THRUST_200600_302600_NS6detail15normal_iteratorINS9_10device_ptrIiEEEENSB_INSC_ItEEEESG_tNS9_4plusIvEENS9_8equal_toIvEEtEE10hipError_tPvRmT2_T3_T4_T5_mT6_T7_P12ihipStream_tbENKUlT_T0_E_clISt17integral_constantIbLb0EES10_IbLb1EEEEDaSW_SX_EUlSW_E_NS1_11comp_targetILNS1_3genE10ELNS1_11target_archE1201ELNS1_3gpuE5ELNS1_3repE0EEENS1_30default_config_static_selectorELNS0_4arch9wavefront6targetE1EEEvT1_
	.globl	_ZN7rocprim17ROCPRIM_400000_NS6detail17trampoline_kernelINS0_14default_configENS1_27scan_by_key_config_selectorIitEEZZNS1_16scan_by_key_implILNS1_25lookback_scan_determinismE0ELb1ES3_N6thrust23THRUST_200600_302600_NS6detail15normal_iteratorINS9_10device_ptrIiEEEENSB_INSC_ItEEEESG_tNS9_4plusIvEENS9_8equal_toIvEEtEE10hipError_tPvRmT2_T3_T4_T5_mT6_T7_P12ihipStream_tbENKUlT_T0_E_clISt17integral_constantIbLb0EES10_IbLb1EEEEDaSW_SX_EUlSW_E_NS1_11comp_targetILNS1_3genE10ELNS1_11target_archE1201ELNS1_3gpuE5ELNS1_3repE0EEENS1_30default_config_static_selectorELNS0_4arch9wavefront6targetE1EEEvT1_
	.p2align	8
	.type	_ZN7rocprim17ROCPRIM_400000_NS6detail17trampoline_kernelINS0_14default_configENS1_27scan_by_key_config_selectorIitEEZZNS1_16scan_by_key_implILNS1_25lookback_scan_determinismE0ELb1ES3_N6thrust23THRUST_200600_302600_NS6detail15normal_iteratorINS9_10device_ptrIiEEEENSB_INSC_ItEEEESG_tNS9_4plusIvEENS9_8equal_toIvEEtEE10hipError_tPvRmT2_T3_T4_T5_mT6_T7_P12ihipStream_tbENKUlT_T0_E_clISt17integral_constantIbLb0EES10_IbLb1EEEEDaSW_SX_EUlSW_E_NS1_11comp_targetILNS1_3genE10ELNS1_11target_archE1201ELNS1_3gpuE5ELNS1_3repE0EEENS1_30default_config_static_selectorELNS0_4arch9wavefront6targetE1EEEvT1_,@function
_ZN7rocprim17ROCPRIM_400000_NS6detail17trampoline_kernelINS0_14default_configENS1_27scan_by_key_config_selectorIitEEZZNS1_16scan_by_key_implILNS1_25lookback_scan_determinismE0ELb1ES3_N6thrust23THRUST_200600_302600_NS6detail15normal_iteratorINS9_10device_ptrIiEEEENSB_INSC_ItEEEESG_tNS9_4plusIvEENS9_8equal_toIvEEtEE10hipError_tPvRmT2_T3_T4_T5_mT6_T7_P12ihipStream_tbENKUlT_T0_E_clISt17integral_constantIbLb0EES10_IbLb1EEEEDaSW_SX_EUlSW_E_NS1_11comp_targetILNS1_3genE10ELNS1_11target_archE1201ELNS1_3gpuE5ELNS1_3repE0EEENS1_30default_config_static_selectorELNS0_4arch9wavefront6targetE1EEEvT1_: ; @_ZN7rocprim17ROCPRIM_400000_NS6detail17trampoline_kernelINS0_14default_configENS1_27scan_by_key_config_selectorIitEEZZNS1_16scan_by_key_implILNS1_25lookback_scan_determinismE0ELb1ES3_N6thrust23THRUST_200600_302600_NS6detail15normal_iteratorINS9_10device_ptrIiEEEENSB_INSC_ItEEEESG_tNS9_4plusIvEENS9_8equal_toIvEEtEE10hipError_tPvRmT2_T3_T4_T5_mT6_T7_P12ihipStream_tbENKUlT_T0_E_clISt17integral_constantIbLb0EES10_IbLb1EEEEDaSW_SX_EUlSW_E_NS1_11comp_targetILNS1_3genE10ELNS1_11target_archE1201ELNS1_3gpuE5ELNS1_3repE0EEENS1_30default_config_static_selectorELNS0_4arch9wavefront6targetE1EEEvT1_
; %bb.0:
	.section	.rodata,"a",@progbits
	.p2align	6, 0x0
	.amdhsa_kernel _ZN7rocprim17ROCPRIM_400000_NS6detail17trampoline_kernelINS0_14default_configENS1_27scan_by_key_config_selectorIitEEZZNS1_16scan_by_key_implILNS1_25lookback_scan_determinismE0ELb1ES3_N6thrust23THRUST_200600_302600_NS6detail15normal_iteratorINS9_10device_ptrIiEEEENSB_INSC_ItEEEESG_tNS9_4plusIvEENS9_8equal_toIvEEtEE10hipError_tPvRmT2_T3_T4_T5_mT6_T7_P12ihipStream_tbENKUlT_T0_E_clISt17integral_constantIbLb0EES10_IbLb1EEEEDaSW_SX_EUlSW_E_NS1_11comp_targetILNS1_3genE10ELNS1_11target_archE1201ELNS1_3gpuE5ELNS1_3repE0EEENS1_30default_config_static_selectorELNS0_4arch9wavefront6targetE1EEEvT1_
		.amdhsa_group_segment_fixed_size 0
		.amdhsa_private_segment_fixed_size 0
		.amdhsa_kernarg_size 112
		.amdhsa_user_sgpr_count 2
		.amdhsa_user_sgpr_dispatch_ptr 0
		.amdhsa_user_sgpr_queue_ptr 0
		.amdhsa_user_sgpr_kernarg_segment_ptr 1
		.amdhsa_user_sgpr_dispatch_id 0
		.amdhsa_user_sgpr_kernarg_preload_length 0
		.amdhsa_user_sgpr_kernarg_preload_offset 0
		.amdhsa_user_sgpr_private_segment_size 0
		.amdhsa_uses_dynamic_stack 0
		.amdhsa_enable_private_segment 0
		.amdhsa_system_sgpr_workgroup_id_x 1
		.amdhsa_system_sgpr_workgroup_id_y 0
		.amdhsa_system_sgpr_workgroup_id_z 0
		.amdhsa_system_sgpr_workgroup_info 0
		.amdhsa_system_vgpr_workitem_id 0
		.amdhsa_next_free_vgpr 1
		.amdhsa_next_free_sgpr 0
		.amdhsa_accum_offset 4
		.amdhsa_reserve_vcc 0
		.amdhsa_float_round_mode_32 0
		.amdhsa_float_round_mode_16_64 0
		.amdhsa_float_denorm_mode_32 3
		.amdhsa_float_denorm_mode_16_64 3
		.amdhsa_dx10_clamp 1
		.amdhsa_ieee_mode 1
		.amdhsa_fp16_overflow 0
		.amdhsa_tg_split 0
		.amdhsa_exception_fp_ieee_invalid_op 0
		.amdhsa_exception_fp_denorm_src 0
		.amdhsa_exception_fp_ieee_div_zero 0
		.amdhsa_exception_fp_ieee_overflow 0
		.amdhsa_exception_fp_ieee_underflow 0
		.amdhsa_exception_fp_ieee_inexact 0
		.amdhsa_exception_int_div_zero 0
	.end_amdhsa_kernel
	.section	.text._ZN7rocprim17ROCPRIM_400000_NS6detail17trampoline_kernelINS0_14default_configENS1_27scan_by_key_config_selectorIitEEZZNS1_16scan_by_key_implILNS1_25lookback_scan_determinismE0ELb1ES3_N6thrust23THRUST_200600_302600_NS6detail15normal_iteratorINS9_10device_ptrIiEEEENSB_INSC_ItEEEESG_tNS9_4plusIvEENS9_8equal_toIvEEtEE10hipError_tPvRmT2_T3_T4_T5_mT6_T7_P12ihipStream_tbENKUlT_T0_E_clISt17integral_constantIbLb0EES10_IbLb1EEEEDaSW_SX_EUlSW_E_NS1_11comp_targetILNS1_3genE10ELNS1_11target_archE1201ELNS1_3gpuE5ELNS1_3repE0EEENS1_30default_config_static_selectorELNS0_4arch9wavefront6targetE1EEEvT1_,"axG",@progbits,_ZN7rocprim17ROCPRIM_400000_NS6detail17trampoline_kernelINS0_14default_configENS1_27scan_by_key_config_selectorIitEEZZNS1_16scan_by_key_implILNS1_25lookback_scan_determinismE0ELb1ES3_N6thrust23THRUST_200600_302600_NS6detail15normal_iteratorINS9_10device_ptrIiEEEENSB_INSC_ItEEEESG_tNS9_4plusIvEENS9_8equal_toIvEEtEE10hipError_tPvRmT2_T3_T4_T5_mT6_T7_P12ihipStream_tbENKUlT_T0_E_clISt17integral_constantIbLb0EES10_IbLb1EEEEDaSW_SX_EUlSW_E_NS1_11comp_targetILNS1_3genE10ELNS1_11target_archE1201ELNS1_3gpuE5ELNS1_3repE0EEENS1_30default_config_static_selectorELNS0_4arch9wavefront6targetE1EEEvT1_,comdat
.Lfunc_end1563:
	.size	_ZN7rocprim17ROCPRIM_400000_NS6detail17trampoline_kernelINS0_14default_configENS1_27scan_by_key_config_selectorIitEEZZNS1_16scan_by_key_implILNS1_25lookback_scan_determinismE0ELb1ES3_N6thrust23THRUST_200600_302600_NS6detail15normal_iteratorINS9_10device_ptrIiEEEENSB_INSC_ItEEEESG_tNS9_4plusIvEENS9_8equal_toIvEEtEE10hipError_tPvRmT2_T3_T4_T5_mT6_T7_P12ihipStream_tbENKUlT_T0_E_clISt17integral_constantIbLb0EES10_IbLb1EEEEDaSW_SX_EUlSW_E_NS1_11comp_targetILNS1_3genE10ELNS1_11target_archE1201ELNS1_3gpuE5ELNS1_3repE0EEENS1_30default_config_static_selectorELNS0_4arch9wavefront6targetE1EEEvT1_, .Lfunc_end1563-_ZN7rocprim17ROCPRIM_400000_NS6detail17trampoline_kernelINS0_14default_configENS1_27scan_by_key_config_selectorIitEEZZNS1_16scan_by_key_implILNS1_25lookback_scan_determinismE0ELb1ES3_N6thrust23THRUST_200600_302600_NS6detail15normal_iteratorINS9_10device_ptrIiEEEENSB_INSC_ItEEEESG_tNS9_4plusIvEENS9_8equal_toIvEEtEE10hipError_tPvRmT2_T3_T4_T5_mT6_T7_P12ihipStream_tbENKUlT_T0_E_clISt17integral_constantIbLb0EES10_IbLb1EEEEDaSW_SX_EUlSW_E_NS1_11comp_targetILNS1_3genE10ELNS1_11target_archE1201ELNS1_3gpuE5ELNS1_3repE0EEENS1_30default_config_static_selectorELNS0_4arch9wavefront6targetE1EEEvT1_
                                        ; -- End function
	.section	.AMDGPU.csdata,"",@progbits
; Kernel info:
; codeLenInByte = 0
; NumSgprs: 6
; NumVgprs: 0
; NumAgprs: 0
; TotalNumVgprs: 0
; ScratchSize: 0
; MemoryBound: 0
; FloatMode: 240
; IeeeMode: 1
; LDSByteSize: 0 bytes/workgroup (compile time only)
; SGPRBlocks: 0
; VGPRBlocks: 0
; NumSGPRsForWavesPerEU: 6
; NumVGPRsForWavesPerEU: 1
; AccumOffset: 4
; Occupancy: 8
; WaveLimiterHint : 0
; COMPUTE_PGM_RSRC2:SCRATCH_EN: 0
; COMPUTE_PGM_RSRC2:USER_SGPR: 2
; COMPUTE_PGM_RSRC2:TRAP_HANDLER: 0
; COMPUTE_PGM_RSRC2:TGID_X_EN: 1
; COMPUTE_PGM_RSRC2:TGID_Y_EN: 0
; COMPUTE_PGM_RSRC2:TGID_Z_EN: 0
; COMPUTE_PGM_RSRC2:TIDIG_COMP_CNT: 0
; COMPUTE_PGM_RSRC3_GFX90A:ACCUM_OFFSET: 0
; COMPUTE_PGM_RSRC3_GFX90A:TG_SPLIT: 0
	.section	.text._ZN7rocprim17ROCPRIM_400000_NS6detail17trampoline_kernelINS0_14default_configENS1_27scan_by_key_config_selectorIitEEZZNS1_16scan_by_key_implILNS1_25lookback_scan_determinismE0ELb1ES3_N6thrust23THRUST_200600_302600_NS6detail15normal_iteratorINS9_10device_ptrIiEEEENSB_INSC_ItEEEESG_tNS9_4plusIvEENS9_8equal_toIvEEtEE10hipError_tPvRmT2_T3_T4_T5_mT6_T7_P12ihipStream_tbENKUlT_T0_E_clISt17integral_constantIbLb0EES10_IbLb1EEEEDaSW_SX_EUlSW_E_NS1_11comp_targetILNS1_3genE5ELNS1_11target_archE942ELNS1_3gpuE9ELNS1_3repE0EEENS1_30default_config_static_selectorELNS0_4arch9wavefront6targetE1EEEvT1_,"axG",@progbits,_ZN7rocprim17ROCPRIM_400000_NS6detail17trampoline_kernelINS0_14default_configENS1_27scan_by_key_config_selectorIitEEZZNS1_16scan_by_key_implILNS1_25lookback_scan_determinismE0ELb1ES3_N6thrust23THRUST_200600_302600_NS6detail15normal_iteratorINS9_10device_ptrIiEEEENSB_INSC_ItEEEESG_tNS9_4plusIvEENS9_8equal_toIvEEtEE10hipError_tPvRmT2_T3_T4_T5_mT6_T7_P12ihipStream_tbENKUlT_T0_E_clISt17integral_constantIbLb0EES10_IbLb1EEEEDaSW_SX_EUlSW_E_NS1_11comp_targetILNS1_3genE5ELNS1_11target_archE942ELNS1_3gpuE9ELNS1_3repE0EEENS1_30default_config_static_selectorELNS0_4arch9wavefront6targetE1EEEvT1_,comdat
	.protected	_ZN7rocprim17ROCPRIM_400000_NS6detail17trampoline_kernelINS0_14default_configENS1_27scan_by_key_config_selectorIitEEZZNS1_16scan_by_key_implILNS1_25lookback_scan_determinismE0ELb1ES3_N6thrust23THRUST_200600_302600_NS6detail15normal_iteratorINS9_10device_ptrIiEEEENSB_INSC_ItEEEESG_tNS9_4plusIvEENS9_8equal_toIvEEtEE10hipError_tPvRmT2_T3_T4_T5_mT6_T7_P12ihipStream_tbENKUlT_T0_E_clISt17integral_constantIbLb0EES10_IbLb1EEEEDaSW_SX_EUlSW_E_NS1_11comp_targetILNS1_3genE5ELNS1_11target_archE942ELNS1_3gpuE9ELNS1_3repE0EEENS1_30default_config_static_selectorELNS0_4arch9wavefront6targetE1EEEvT1_ ; -- Begin function _ZN7rocprim17ROCPRIM_400000_NS6detail17trampoline_kernelINS0_14default_configENS1_27scan_by_key_config_selectorIitEEZZNS1_16scan_by_key_implILNS1_25lookback_scan_determinismE0ELb1ES3_N6thrust23THRUST_200600_302600_NS6detail15normal_iteratorINS9_10device_ptrIiEEEENSB_INSC_ItEEEESG_tNS9_4plusIvEENS9_8equal_toIvEEtEE10hipError_tPvRmT2_T3_T4_T5_mT6_T7_P12ihipStream_tbENKUlT_T0_E_clISt17integral_constantIbLb0EES10_IbLb1EEEEDaSW_SX_EUlSW_E_NS1_11comp_targetILNS1_3genE5ELNS1_11target_archE942ELNS1_3gpuE9ELNS1_3repE0EEENS1_30default_config_static_selectorELNS0_4arch9wavefront6targetE1EEEvT1_
	.globl	_ZN7rocprim17ROCPRIM_400000_NS6detail17trampoline_kernelINS0_14default_configENS1_27scan_by_key_config_selectorIitEEZZNS1_16scan_by_key_implILNS1_25lookback_scan_determinismE0ELb1ES3_N6thrust23THRUST_200600_302600_NS6detail15normal_iteratorINS9_10device_ptrIiEEEENSB_INSC_ItEEEESG_tNS9_4plusIvEENS9_8equal_toIvEEtEE10hipError_tPvRmT2_T3_T4_T5_mT6_T7_P12ihipStream_tbENKUlT_T0_E_clISt17integral_constantIbLb0EES10_IbLb1EEEEDaSW_SX_EUlSW_E_NS1_11comp_targetILNS1_3genE5ELNS1_11target_archE942ELNS1_3gpuE9ELNS1_3repE0EEENS1_30default_config_static_selectorELNS0_4arch9wavefront6targetE1EEEvT1_
	.p2align	8
	.type	_ZN7rocprim17ROCPRIM_400000_NS6detail17trampoline_kernelINS0_14default_configENS1_27scan_by_key_config_selectorIitEEZZNS1_16scan_by_key_implILNS1_25lookback_scan_determinismE0ELb1ES3_N6thrust23THRUST_200600_302600_NS6detail15normal_iteratorINS9_10device_ptrIiEEEENSB_INSC_ItEEEESG_tNS9_4plusIvEENS9_8equal_toIvEEtEE10hipError_tPvRmT2_T3_T4_T5_mT6_T7_P12ihipStream_tbENKUlT_T0_E_clISt17integral_constantIbLb0EES10_IbLb1EEEEDaSW_SX_EUlSW_E_NS1_11comp_targetILNS1_3genE5ELNS1_11target_archE942ELNS1_3gpuE9ELNS1_3repE0EEENS1_30default_config_static_selectorELNS0_4arch9wavefront6targetE1EEEvT1_,@function
_ZN7rocprim17ROCPRIM_400000_NS6detail17trampoline_kernelINS0_14default_configENS1_27scan_by_key_config_selectorIitEEZZNS1_16scan_by_key_implILNS1_25lookback_scan_determinismE0ELb1ES3_N6thrust23THRUST_200600_302600_NS6detail15normal_iteratorINS9_10device_ptrIiEEEENSB_INSC_ItEEEESG_tNS9_4plusIvEENS9_8equal_toIvEEtEE10hipError_tPvRmT2_T3_T4_T5_mT6_T7_P12ihipStream_tbENKUlT_T0_E_clISt17integral_constantIbLb0EES10_IbLb1EEEEDaSW_SX_EUlSW_E_NS1_11comp_targetILNS1_3genE5ELNS1_11target_archE942ELNS1_3gpuE9ELNS1_3repE0EEENS1_30default_config_static_selectorELNS0_4arch9wavefront6targetE1EEEvT1_: ; @_ZN7rocprim17ROCPRIM_400000_NS6detail17trampoline_kernelINS0_14default_configENS1_27scan_by_key_config_selectorIitEEZZNS1_16scan_by_key_implILNS1_25lookback_scan_determinismE0ELb1ES3_N6thrust23THRUST_200600_302600_NS6detail15normal_iteratorINS9_10device_ptrIiEEEENSB_INSC_ItEEEESG_tNS9_4plusIvEENS9_8equal_toIvEEtEE10hipError_tPvRmT2_T3_T4_T5_mT6_T7_P12ihipStream_tbENKUlT_T0_E_clISt17integral_constantIbLb0EES10_IbLb1EEEEDaSW_SX_EUlSW_E_NS1_11comp_targetILNS1_3genE5ELNS1_11target_archE942ELNS1_3gpuE9ELNS1_3repE0EEENS1_30default_config_static_selectorELNS0_4arch9wavefront6targetE1EEEvT1_
; %bb.0:
	s_load_dword s74, s[0:1], 0x20
	s_load_dwordx4 s[64:67], s[0:1], 0x28
	s_load_dwordx2 s[72:73], s[0:1], 0x38
	v_cmp_eq_u32_e64 s[52:53], 0, v0
	s_and_saveexec_b64 s[2:3], s[52:53]
	s_cbranch_execz .LBB1564_4
; %bb.1:
	s_mov_b64 s[6:7], exec
	v_mbcnt_lo_u32_b32 v1, s6, 0
	v_mbcnt_hi_u32_b32 v1, s7, v1
	v_cmp_eq_u32_e32 vcc, 0, v1
                                        ; implicit-def: $vgpr2
	s_and_saveexec_b64 s[4:5], vcc
	s_cbranch_execz .LBB1564_3
; %bb.2:
	s_load_dwordx2 s[8:9], s[0:1], 0x68
	s_bcnt1_i32_b64 s6, s[6:7]
	v_mov_b32_e32 v2, 0
	v_mov_b32_e32 v3, s6
	s_waitcnt lgkmcnt(0)
	global_atomic_add v2, v2, v3, s[8:9] sc0
.LBB1564_3:
	s_or_b64 exec, exec, s[4:5]
	s_waitcnt vmcnt(0)
	v_readfirstlane_b32 s4, v2
	v_mov_b32_e32 v2, 0
	s_nop 0
	v_add_u32_e32 v1, s4, v1
	ds_write_b32 v2, v1
.LBB1564_4:
	s_or_b64 exec, exec, s[2:3]
	s_load_dwordx8 s[56:63], s[0:1], 0x0
	s_load_dword s2, s[0:1], 0x40
	s_load_dwordx4 s[68:71], s[0:1], 0x48
	v_mov_b32_e32 v3, 0
	s_waitcnt lgkmcnt(0)
	s_lshl_b64 s[0:1], s[58:59], 2
	s_barrier
	ds_read_b32 v2, v3
	s_add_u32 s0, s56, s0
	s_addc_u32 s1, s57, s1
	s_lshl_b64 s[54:55], s[58:59], 1
	s_add_u32 s4, s60, s54
	s_mul_i32 s3, s73, s2
	s_mul_hi_u32 s6, s72, s2
	s_addc_u32 s5, s61, s55
	s_add_i32 s3, s6, s3
	s_movk_i32 s6, 0x1800
	s_waitcnt lgkmcnt(0)
	v_mul_lo_u32 v4, v2, s6
	v_mov_b32_e32 v5, v3
	v_lshlrev_b64 v[50:51], 1, v[4:5]
	s_mul_i32 s2, s72, s2
	v_lshl_add_u64 v[52:53], s[4:5], 0, v[50:51]
	s_add_u32 s4, s68, -1
	v_readfirstlane_b32 s67, v2
	v_lshl_add_u64 v[2:3], s[2:3], 0, v[2:3]
	s_addc_u32 s5, s69, -1
	v_lshlrev_b64 v[6:7], 2, v[4:5]
	v_cmp_le_u64_e64 s[2:3], s[4:5], v[2:3]
	v_lshl_add_u64 v[54:55], s[0:1], 0, v[6:7]
	s_mov_b64 s[0:1], -1
	s_and_b64 vcc, exec, s[2:3]
	s_mul_i32 s33, s4, 0xffffe800
	s_barrier
	s_barrier
	s_cbranch_vccz .LBB1564_130
; %bb.5:
	flat_load_dword v2, v[54:55]
	s_add_i32 s68, s33, s66
	v_cmp_gt_u32_e32 vcc, s68, v0
	s_waitcnt vmcnt(0) lgkmcnt(0)
	v_mov_b32_e32 v3, v2
	s_and_saveexec_b64 s[0:1], vcc
	s_cbranch_execz .LBB1564_7
; %bb.6:
	v_lshlrev_b32_e32 v4, 2, v0
	v_mov_b32_e32 v5, 0
	v_lshl_add_u64 v[4:5], v[54:55], 0, v[4:5]
	flat_load_dword v3, v[4:5]
.LBB1564_7:
	s_or_b64 exec, exec, s[0:1]
	v_or_b32_e32 v1, 0x100, v0
	v_cmp_gt_u32_e64 s[4:5], s68, v1
	v_mov_b32_e32 v19, v2
	s_and_saveexec_b64 s[0:1], s[4:5]
	s_cbranch_execz .LBB1564_9
; %bb.8:
	v_lshlrev_b32_e32 v4, 2, v0
	v_mov_b32_e32 v5, 0
	v_lshl_add_u64 v[4:5], v[54:55], 0, v[4:5]
	flat_load_dword v19, v[4:5] offset:1024
.LBB1564_9:
	s_or_b64 exec, exec, s[0:1]
	v_or_b32_e32 v1, 0x200, v0
	v_cmp_gt_u32_e64 s[6:7], s68, v1
	v_mov_b32_e32 v20, v2
	s_and_saveexec_b64 s[0:1], s[6:7]
	s_cbranch_execz .LBB1564_11
; %bb.10:
	v_lshlrev_b32_e32 v4, 2, v0
	v_mov_b32_e32 v5, 0
	v_lshl_add_u64 v[4:5], v[54:55], 0, v[4:5]
	flat_load_dword v20, v[4:5] offset:2048
.LBB1564_11:
	;; [unrolled: 12-line block ×3, first 2 shown]
	s_or_b64 exec, exec, s[0:1]
	v_or_b32_e32 v1, 0x400, v0
	v_cmp_gt_u32_e64 s[10:11], s68, v1
	v_mov_b32_e32 v22, v2
	s_and_saveexec_b64 s[0:1], s[10:11]
	s_cbranch_execz .LBB1564_15
; %bb.14:
	v_lshlrev_b32_e32 v4, 2, v1
	v_mov_b32_e32 v5, 0
	v_lshl_add_u64 v[4:5], v[54:55], 0, v[4:5]
	flat_load_dword v22, v[4:5]
.LBB1564_15:
	s_or_b64 exec, exec, s[0:1]
	v_or_b32_e32 v1, 0x500, v0
	v_cmp_gt_u32_e64 s[12:13], s68, v1
	v_mov_b32_e32 v23, v2
	s_and_saveexec_b64 s[0:1], s[12:13]
	s_cbranch_execz .LBB1564_17
; %bb.16:
	v_lshlrev_b32_e32 v4, 2, v1
	v_mov_b32_e32 v5, 0
	v_lshl_add_u64 v[4:5], v[54:55], 0, v[4:5]
	flat_load_dword v23, v[4:5]
.LBB1564_17:
	s_or_b64 exec, exec, s[0:1]
	v_or_b32_e32 v1, 0x600, v0
	v_cmp_gt_u32_e64 s[14:15], s68, v1
	v_mov_b32_e32 v24, v2
	s_and_saveexec_b64 s[0:1], s[14:15]
	s_cbranch_execz .LBB1564_19
; %bb.18:
	v_lshlrev_b32_e32 v4, 2, v1
	v_mov_b32_e32 v5, 0
	v_lshl_add_u64 v[4:5], v[54:55], 0, v[4:5]
	flat_load_dword v24, v[4:5]
.LBB1564_19:
	s_or_b64 exec, exec, s[0:1]
	v_or_b32_e32 v1, 0x700, v0
	v_cmp_gt_u32_e64 s[16:17], s68, v1
	v_mov_b32_e32 v25, v2
	s_and_saveexec_b64 s[0:1], s[16:17]
	s_cbranch_execz .LBB1564_21
; %bb.20:
	v_lshlrev_b32_e32 v4, 2, v1
	v_mov_b32_e32 v5, 0
	v_lshl_add_u64 v[4:5], v[54:55], 0, v[4:5]
	flat_load_dword v25, v[4:5]
.LBB1564_21:
	s_or_b64 exec, exec, s[0:1]
	v_or_b32_e32 v1, 0x800, v0
	v_cmp_gt_u32_e64 s[18:19], s68, v1
	v_mov_b32_e32 v26, v2
	s_and_saveexec_b64 s[0:1], s[18:19]
	s_cbranch_execz .LBB1564_23
; %bb.22:
	v_lshlrev_b32_e32 v4, 2, v1
	v_mov_b32_e32 v5, 0
	v_lshl_add_u64 v[4:5], v[54:55], 0, v[4:5]
	flat_load_dword v26, v[4:5]
.LBB1564_23:
	s_or_b64 exec, exec, s[0:1]
	v_or_b32_e32 v4, 0x900, v0
	v_cmp_gt_u32_e64 s[20:21], s68, v4
	v_mov_b32_e32 v27, v2
	s_and_saveexec_b64 s[0:1], s[20:21]
	s_cbranch_execz .LBB1564_25
; %bb.24:
	v_lshlrev_b32_e32 v6, 2, v4
	v_mov_b32_e32 v7, 0
	v_lshl_add_u64 v[6:7], v[54:55], 0, v[6:7]
	flat_load_dword v27, v[6:7]
.LBB1564_25:
	s_or_b64 exec, exec, s[0:1]
	v_or_b32_e32 v5, 0xa00, v0
	v_cmp_gt_u32_e64 s[22:23], s68, v5
	v_mov_b32_e32 v28, v2
	s_and_saveexec_b64 s[0:1], s[22:23]
	s_cbranch_execz .LBB1564_27
; %bb.26:
	v_lshlrev_b32_e32 v6, 2, v5
	v_mov_b32_e32 v7, 0
	v_lshl_add_u64 v[6:7], v[54:55], 0, v[6:7]
	flat_load_dword v28, v[6:7]
.LBB1564_27:
	s_or_b64 exec, exec, s[0:1]
	v_or_b32_e32 v6, 0xb00, v0
	v_cmp_gt_u32_e64 s[24:25], s68, v6
	v_mov_b32_e32 v29, v2
	s_and_saveexec_b64 s[0:1], s[24:25]
	s_cbranch_execz .LBB1564_29
; %bb.28:
	v_lshlrev_b32_e32 v8, 2, v6
	v_mov_b32_e32 v9, 0
	v_lshl_add_u64 v[8:9], v[54:55], 0, v[8:9]
	flat_load_dword v29, v[8:9]
.LBB1564_29:
	s_or_b64 exec, exec, s[0:1]
	v_or_b32_e32 v7, 0xc00, v0
	v_cmp_gt_u32_e64 s[26:27], s68, v7
	v_mov_b32_e32 v30, v2
	s_and_saveexec_b64 s[0:1], s[26:27]
	s_cbranch_execz .LBB1564_31
; %bb.30:
	v_lshlrev_b32_e32 v8, 2, v7
	v_mov_b32_e32 v9, 0
	v_lshl_add_u64 v[8:9], v[54:55], 0, v[8:9]
	flat_load_dword v30, v[8:9]
.LBB1564_31:
	s_or_b64 exec, exec, s[0:1]
	v_or_b32_e32 v8, 0xd00, v0
	v_cmp_gt_u32_e64 s[28:29], s68, v8
	v_mov_b32_e32 v31, v2
	s_and_saveexec_b64 s[0:1], s[28:29]
	s_cbranch_execz .LBB1564_33
; %bb.32:
	v_lshlrev_b32_e32 v10, 2, v8
	v_mov_b32_e32 v11, 0
	v_lshl_add_u64 v[10:11], v[54:55], 0, v[10:11]
	flat_load_dword v31, v[10:11]
.LBB1564_33:
	s_or_b64 exec, exec, s[0:1]
	v_or_b32_e32 v9, 0xe00, v0
	v_cmp_gt_u32_e64 s[30:31], s68, v9
	v_mov_b32_e32 v32, v2
	s_and_saveexec_b64 s[0:1], s[30:31]
	s_cbranch_execz .LBB1564_35
; %bb.34:
	v_lshlrev_b32_e32 v10, 2, v9
	v_mov_b32_e32 v11, 0
	v_lshl_add_u64 v[10:11], v[54:55], 0, v[10:11]
	flat_load_dword v32, v[10:11]
.LBB1564_35:
	s_or_b64 exec, exec, s[0:1]
	v_or_b32_e32 v10, 0xf00, v0
	v_cmp_gt_u32_e64 s[34:35], s68, v10
	v_mov_b32_e32 v33, v2
	s_and_saveexec_b64 s[0:1], s[34:35]
	s_cbranch_execz .LBB1564_37
; %bb.36:
	v_lshlrev_b32_e32 v12, 2, v10
	v_mov_b32_e32 v13, 0
	v_lshl_add_u64 v[12:13], v[54:55], 0, v[12:13]
	flat_load_dword v33, v[12:13]
.LBB1564_37:
	s_or_b64 exec, exec, s[0:1]
	v_or_b32_e32 v11, 0x1000, v0
	v_cmp_gt_u32_e64 s[36:37], s68, v11
	v_mov_b32_e32 v34, v2
	s_and_saveexec_b64 s[0:1], s[36:37]
	s_cbranch_execz .LBB1564_39
; %bb.38:
	v_lshlrev_b32_e32 v12, 2, v11
	v_mov_b32_e32 v13, 0
	v_lshl_add_u64 v[12:13], v[54:55], 0, v[12:13]
	flat_load_dword v34, v[12:13]
.LBB1564_39:
	s_or_b64 exec, exec, s[0:1]
	v_or_b32_e32 v12, 0x1100, v0
	v_cmp_gt_u32_e64 s[38:39], s68, v12
	v_mov_b32_e32 v35, v2
	s_and_saveexec_b64 s[0:1], s[38:39]
	s_cbranch_execz .LBB1564_41
; %bb.40:
	v_lshlrev_b32_e32 v14, 2, v12
	v_mov_b32_e32 v15, 0
	v_lshl_add_u64 v[14:15], v[54:55], 0, v[14:15]
	flat_load_dword v35, v[14:15]
.LBB1564_41:
	s_or_b64 exec, exec, s[0:1]
	v_or_b32_e32 v13, 0x1200, v0
	v_cmp_gt_u32_e64 s[40:41], s68, v13
	v_mov_b32_e32 v36, v2
	s_and_saveexec_b64 s[0:1], s[40:41]
	s_cbranch_execz .LBB1564_43
; %bb.42:
	v_lshlrev_b32_e32 v14, 2, v13
	v_mov_b32_e32 v15, 0
	v_lshl_add_u64 v[14:15], v[54:55], 0, v[14:15]
	flat_load_dword v36, v[14:15]
.LBB1564_43:
	s_or_b64 exec, exec, s[0:1]
	v_or_b32_e32 v14, 0x1300, v0
	v_cmp_gt_u32_e64 s[42:43], s68, v14
	v_mov_b32_e32 v37, v2
	s_and_saveexec_b64 s[0:1], s[42:43]
	s_cbranch_execz .LBB1564_45
; %bb.44:
	v_lshlrev_b32_e32 v16, 2, v14
	v_mov_b32_e32 v17, 0
	v_lshl_add_u64 v[16:17], v[54:55], 0, v[16:17]
	flat_load_dword v37, v[16:17]
.LBB1564_45:
	s_or_b64 exec, exec, s[0:1]
	v_or_b32_e32 v15, 0x1400, v0
	v_cmp_gt_u32_e64 s[44:45], s68, v15
	v_mov_b32_e32 v38, v2
	s_and_saveexec_b64 s[0:1], s[44:45]
	s_cbranch_execz .LBB1564_47
; %bb.46:
	v_lshlrev_b32_e32 v16, 2, v15
	v_mov_b32_e32 v17, 0
	v_lshl_add_u64 v[16:17], v[54:55], 0, v[16:17]
	flat_load_dword v38, v[16:17]
.LBB1564_47:
	s_or_b64 exec, exec, s[0:1]
	v_or_b32_e32 v16, 0x1500, v0
	v_cmp_gt_u32_e64 s[46:47], s68, v16
	v_mov_b32_e32 v39, v2
	s_and_saveexec_b64 s[0:1], s[46:47]
	s_cbranch_execz .LBB1564_49
; %bb.48:
	v_lshlrev_b32_e32 v40, 2, v16
	v_mov_b32_e32 v41, 0
	v_lshl_add_u64 v[40:41], v[54:55], 0, v[40:41]
	flat_load_dword v39, v[40:41]
.LBB1564_49:
	s_or_b64 exec, exec, s[0:1]
	v_or_b32_e32 v17, 0x1600, v0
	v_cmp_gt_u32_e64 s[48:49], s68, v17
	v_mov_b32_e32 v40, v2
	s_and_saveexec_b64 s[0:1], s[48:49]
	s_cbranch_execz .LBB1564_51
; %bb.50:
	v_lshlrev_b32_e32 v40, 2, v17
	v_mov_b32_e32 v41, 0
	v_lshl_add_u64 v[40:41], v[54:55], 0, v[40:41]
	flat_load_dword v40, v[40:41]
.LBB1564_51:
	s_or_b64 exec, exec, s[0:1]
	v_or_b32_e32 v18, 0x1700, v0
	v_cmp_gt_u32_e64 s[50:51], s68, v18
	s_and_saveexec_b64 s[0:1], s[50:51]
	s_cbranch_execz .LBB1564_53
; %bb.52:
	v_lshlrev_b32_e32 v42, 2, v18
	v_mov_b32_e32 v43, 0
	v_lshl_add_u64 v[42:43], v[54:55], 0, v[42:43]
	flat_load_dword v2, v[42:43]
.LBB1564_53:
	s_or_b64 exec, exec, s[0:1]
	v_lshlrev_b32_e32 v46, 2, v0
	s_waitcnt vmcnt(0) lgkmcnt(0)
	ds_write2st64_b32 v46, v3, v19 offset1:4
	ds_write2st64_b32 v46, v20, v21 offset0:8 offset1:12
	ds_write2st64_b32 v46, v22, v23 offset0:16 offset1:20
	ds_write2st64_b32 v46, v24, v25 offset0:24 offset1:28
	ds_write2st64_b32 v46, v26, v27 offset0:32 offset1:36
	ds_write2st64_b32 v46, v28, v29 offset0:40 offset1:44
	ds_write2st64_b32 v46, v30, v31 offset0:48 offset1:52
	ds_write2st64_b32 v46, v32, v33 offset0:56 offset1:60
	ds_write2st64_b32 v46, v34, v35 offset0:64 offset1:68
	ds_write2st64_b32 v46, v36, v37 offset0:72 offset1:76
	ds_write2st64_b32 v46, v38, v39 offset0:80 offset1:84
	ds_write2st64_b32 v46, v40, v2 offset0:88 offset1:92
	s_waitcnt lgkmcnt(0)
	s_barrier
	flat_load_dword v58, v[54:55]
	s_movk_i32 s0, 0x5c
	v_mad_u32_u24 v2, v0, s0, v46
	s_movk_i32 s0, 0xffa4
	v_mad_i32_i24 v19, v0, s0, v2
	s_movk_i32 s0, 0xff
	v_cmp_ne_u32_e64 s[0:1], s0, v0
	ds_read_b128 v[42:45], v2
	ds_read_b128 v[38:41], v2 offset:16
	ds_read_b128 v[34:37], v2 offset:32
	ds_read_b128 v[30:33], v2 offset:48
	ds_read_b128 v[26:29], v2 offset:64
	ds_read_b128 v[22:25], v2 offset:80
	s_waitcnt lgkmcnt(0)
	ds_write_b32 v19, v42 offset:25600
	s_waitcnt lgkmcnt(0)
	s_barrier
	s_and_saveexec_b64 s[56:57], s[0:1]
	s_cbranch_execz .LBB1564_55
; %bb.54:
	s_waitcnt vmcnt(0)
	ds_read_b32 v58, v46 offset:25604
.LBB1564_55:
	s_or_b64 exec, exec, s[56:57]
	v_mov_b32_e32 v3, 0
	s_waitcnt lgkmcnt(0)
	s_barrier
	s_waitcnt lgkmcnt(0)
                                        ; implicit-def: $vgpr2
	s_and_saveexec_b64 s[0:1], vcc
	s_cbranch_execz .LBB1564_205
; %bb.56:
	v_lshlrev_b32_e32 v2, 1, v0
	v_lshl_add_u64 v[2:3], v[52:53], 0, v[2:3]
	flat_load_ushort v2, v[2:3]
	s_or_b64 exec, exec, s[0:1]
                                        ; implicit-def: $vgpr3
	s_and_saveexec_b64 s[0:1], s[4:5]
	s_cbranch_execnz .LBB1564_206
.LBB1564_57:
	s_or_b64 exec, exec, s[0:1]
                                        ; implicit-def: $vgpr20
	s_and_saveexec_b64 s[0:1], s[6:7]
	s_cbranch_execz .LBB1564_207
.LBB1564_58:
	v_lshlrev_b32_e32 v20, 1, v0
	v_mov_b32_e32 v21, 0
	v_lshl_add_u64 v[20:21], v[52:53], 0, v[20:21]
	flat_load_ushort v20, v[20:21] offset:1024
	s_or_b64 exec, exec, s[0:1]
                                        ; implicit-def: $vgpr21
	s_and_saveexec_b64 s[0:1], s[8:9]
	s_cbranch_execnz .LBB1564_208
.LBB1564_59:
	s_or_b64 exec, exec, s[0:1]
                                        ; implicit-def: $vgpr46
	s_and_saveexec_b64 s[0:1], s[10:11]
	s_cbranch_execz .LBB1564_209
.LBB1564_60:
	v_lshlrev_b32_e32 v46, 1, v0
	v_mov_b32_e32 v47, 0
	v_lshl_add_u64 v[46:47], v[52:53], 0, v[46:47]
	flat_load_ushort v46, v[46:47] offset:2048
	s_or_b64 exec, exec, s[0:1]
                                        ; implicit-def: $vgpr47
	s_and_saveexec_b64 s[0:1], s[12:13]
	s_cbranch_execnz .LBB1564_210
.LBB1564_61:
	s_or_b64 exec, exec, s[0:1]
                                        ; implicit-def: $vgpr48
	s_and_saveexec_b64 s[0:1], s[14:15]
	s_cbranch_execz .LBB1564_211
.LBB1564_62:
	v_lshlrev_b32_e32 v48, 1, v0
	v_mov_b32_e32 v49, 0
	v_lshl_add_u64 v[48:49], v[52:53], 0, v[48:49]
	flat_load_ushort v48, v[48:49] offset:3072
	s_or_b64 exec, exec, s[0:1]
                                        ; implicit-def: $vgpr49
	s_and_saveexec_b64 s[0:1], s[16:17]
	s_cbranch_execnz .LBB1564_212
.LBB1564_63:
	s_or_b64 exec, exec, s[0:1]
                                        ; implicit-def: $vgpr56
	s_and_saveexec_b64 s[0:1], s[18:19]
	s_cbranch_execz .LBB1564_213
.LBB1564_64:
	v_lshlrev_b32_e32 v56, 1, v1
	v_mov_b32_e32 v57, 0
	v_lshl_add_u64 v[56:57], v[52:53], 0, v[56:57]
	flat_load_ushort v56, v[56:57]
	s_or_b64 exec, exec, s[0:1]
                                        ; implicit-def: $vgpr1
	s_and_saveexec_b64 s[0:1], s[20:21]
	s_cbranch_execnz .LBB1564_214
.LBB1564_65:
	s_or_b64 exec, exec, s[0:1]
                                        ; implicit-def: $vgpr4
	s_and_saveexec_b64 s[0:1], s[22:23]
	s_cbranch_execz .LBB1564_215
.LBB1564_66:
	v_lshlrev_b32_e32 v4, 1, v5
	v_mov_b32_e32 v5, 0
	v_lshl_add_u64 v[4:5], v[52:53], 0, v[4:5]
	flat_load_ushort v4, v[4:5]
	s_or_b64 exec, exec, s[0:1]
                                        ; implicit-def: $vgpr5
	s_and_saveexec_b64 s[0:1], s[24:25]
	s_cbranch_execnz .LBB1564_216
.LBB1564_67:
	s_or_b64 exec, exec, s[0:1]
                                        ; implicit-def: $vgpr6
	s_and_saveexec_b64 s[0:1], s[26:27]
	s_cbranch_execz .LBB1564_217
.LBB1564_68:
	v_lshlrev_b32_e32 v6, 1, v7
	v_mov_b32_e32 v7, 0
	v_lshl_add_u64 v[6:7], v[52:53], 0, v[6:7]
	flat_load_ushort v6, v[6:7]
	s_or_b64 exec, exec, s[0:1]
                                        ; implicit-def: $vgpr7
	s_and_saveexec_b64 s[0:1], s[28:29]
	s_cbranch_execnz .LBB1564_218
.LBB1564_69:
	s_or_b64 exec, exec, s[0:1]
                                        ; implicit-def: $vgpr8
	s_and_saveexec_b64 s[0:1], s[30:31]
	s_cbranch_execz .LBB1564_219
.LBB1564_70:
	v_lshlrev_b32_e32 v8, 1, v9
	v_mov_b32_e32 v9, 0
	v_lshl_add_u64 v[8:9], v[52:53], 0, v[8:9]
	flat_load_ushort v8, v[8:9]
	s_or_b64 exec, exec, s[0:1]
                                        ; implicit-def: $vgpr9
	s_and_saveexec_b64 s[0:1], s[34:35]
	s_cbranch_execnz .LBB1564_220
.LBB1564_71:
	s_or_b64 exec, exec, s[0:1]
                                        ; implicit-def: $vgpr10
	s_and_saveexec_b64 s[0:1], s[36:37]
	s_cbranch_execz .LBB1564_221
.LBB1564_72:
	v_lshlrev_b32_e32 v10, 1, v11
	v_mov_b32_e32 v11, 0
	v_lshl_add_u64 v[10:11], v[52:53], 0, v[10:11]
	flat_load_ushort v10, v[10:11]
	s_or_b64 exec, exec, s[0:1]
                                        ; implicit-def: $vgpr11
	s_and_saveexec_b64 s[0:1], s[38:39]
	s_cbranch_execnz .LBB1564_222
.LBB1564_73:
	s_or_b64 exec, exec, s[0:1]
                                        ; implicit-def: $vgpr12
	s_and_saveexec_b64 s[0:1], s[40:41]
	s_cbranch_execz .LBB1564_223
.LBB1564_74:
	v_lshlrev_b32_e32 v12, 1, v13
	v_mov_b32_e32 v13, 0
	v_lshl_add_u64 v[12:13], v[52:53], 0, v[12:13]
	flat_load_ushort v12, v[12:13]
	s_or_b64 exec, exec, s[0:1]
                                        ; implicit-def: $vgpr13
	s_and_saveexec_b64 s[0:1], s[42:43]
	s_cbranch_execnz .LBB1564_224
.LBB1564_75:
	s_or_b64 exec, exec, s[0:1]
                                        ; implicit-def: $vgpr14
	s_and_saveexec_b64 s[0:1], s[44:45]
	s_cbranch_execz .LBB1564_225
.LBB1564_76:
	v_lshlrev_b32_e32 v14, 1, v15
	v_mov_b32_e32 v15, 0
	v_lshl_add_u64 v[14:15], v[52:53], 0, v[14:15]
	flat_load_ushort v14, v[14:15]
	s_or_b64 exec, exec, s[0:1]
                                        ; implicit-def: $vgpr15
	s_and_saveexec_b64 s[0:1], s[46:47]
	s_cbranch_execnz .LBB1564_226
.LBB1564_77:
	s_or_b64 exec, exec, s[0:1]
                                        ; implicit-def: $vgpr16
	s_and_saveexec_b64 s[0:1], s[48:49]
	s_cbranch_execz .LBB1564_79
.LBB1564_78:
	v_lshlrev_b32_e32 v16, 1, v17
	v_mov_b32_e32 v17, 0
	v_lshl_add_u64 v[16:17], v[52:53], 0, v[16:17]
	flat_load_ushort v16, v[16:17]
.LBB1564_79:
	s_or_b64 exec, exec, s[0:1]
	v_mul_u32_u24_e32 v60, 24, v0
                                        ; implicit-def: $vgpr17
	s_and_saveexec_b64 s[0:1], s[50:51]
	s_cbranch_execz .LBB1564_81
; %bb.80:
	v_lshlrev_b32_e32 v62, 1, v18
	v_mov_b32_e32 v63, 0
	v_lshl_add_u64 v[62:63], v[52:53], 0, v[62:63]
	flat_load_ushort v17, v[62:63]
.LBB1564_81:
	s_or_b64 exec, exec, s[0:1]
	v_lshlrev_b32_e32 v18, 1, v0
	s_mov_b32 s4, 0
	v_sub_u32_e32 v61, v19, v18
	s_mov_b32 s5, s4
	s_waitcnt vmcnt(0) lgkmcnt(0)
	ds_write_b16 v61, v2
	ds_write_b16 v61, v3 offset:512
	ds_write_b16 v61, v20 offset:1024
	;; [unrolled: 1-line block ×23, first 2 shown]
	s_mov_b32 s6, s4
	s_mov_b32 s7, s4
	;; [unrolled: 1-line block ×6, first 2 shown]
	v_mov_b64_e32 v[2:3], s[4:5]
	s_mov_b32 s14, s4
	s_mov_b32 s15, s4
	v_mov_b64_e32 v[8:9], s[10:11]
	s_mov_b32 s12, s4
	s_mov_b32 s13, s4
	v_mov_b64_e32 v[20:21], s[14:15]
	v_mov_b64_e32 v[4:5], s[6:7]
	;; [unrolled: 1-line block ×4, first 2 shown]
	v_cmp_gt_u32_e32 vcc, s68, v60
	s_mov_b64 s[0:1], 0
	v_mov_b64_e32 v[18:19], s[12:13]
	v_mov_b32_e32 v1, 0
	s_mov_b64 s[10:11], 0
	v_mov_b64_e32 v[14:15], v[6:7]
	v_mov_b64_e32 v[12:13], v[4:5]
	;; [unrolled: 1-line block ×3, first 2 shown]
	v_mov_b32_e32 v56, 0
	v_mov_b32_e32 v57, 0
	s_waitcnt lgkmcnt(0)
	s_barrier
	s_waitcnt lgkmcnt(0)
                                        ; implicit-def: $sgpr8_sgpr9
                                        ; implicit-def: $vgpr59
	s_and_saveexec_b64 s[6:7], vcc
	s_cbranch_execz .LBB1564_129
; %bb.82:
	v_mad_u32_u24 v1, v0, 46, v61
	ds_read_u16 v1, v1
	v_mov_b32_e32 v3, s74
	v_cmp_eq_u32_e32 vcc, v42, v43
	s_mov_b32 s8, 0
	v_or_b32_e32 v2, 1, v60
	s_waitcnt lgkmcnt(0)
	v_cndmask_b32_e32 v1, v3, v1, vcc
	v_cmp_ne_u32_e32 vcc, v42, v43
	v_and_b32_e32 v1, 0xffff, v1
	s_mov_b32 s9, s8
	v_cndmask_b32_e64 v3, 0, 1, vcc
	v_lshl_or_b32 v1, v3, 16, v1
	v_cmp_gt_u32_e32 vcc, s68, v2
	s_mov_b32 s10, s8
	s_mov_b32 s11, s8
	;; [unrolled: 1-line block ×6, first 2 shown]
	v_mov_b64_e32 v[2:3], s[8:9]
	s_mov_b32 s18, s8
	s_mov_b32 s19, s8
	v_mov_b64_e32 v[8:9], s[14:15]
	s_mov_b32 s16, s8
	s_mov_b32 s17, s8
	v_mov_b64_e32 v[20:21], s[18:19]
	v_mov_b64_e32 v[4:5], s[10:11]
	;; [unrolled: 1-line block ×4, first 2 shown]
	s_mov_b64 s[22:23], 0
	v_mov_b64_e32 v[18:19], s[16:17]
	v_mov_b32_e32 v56, 0
	v_mov_b64_e32 v[14:15], v[6:7]
	v_mov_b64_e32 v[12:13], v[4:5]
	;; [unrolled: 1-line block ×3, first 2 shown]
	v_mov_b32_e32 v57, 0
                                        ; implicit-def: $sgpr24_sgpr25
                                        ; implicit-def: $vgpr59
	s_and_saveexec_b64 s[20:21], vcc
	s_cbranch_execz .LBB1564_128
; %bb.83:
	v_mul_u32_u24_e32 v2, 46, v0
	v_add_u32_e32 v42, v61, v2
	ds_read_b128 v[46:49], v42 offset:2
	v_mov_b32_e32 v3, s74
	v_cmp_eq_u32_e32 vcc, v43, v44
	v_or_b32_e32 v2, 2, v60
	v_mov_b64_e32 v[20:21], s[18:19]
	s_waitcnt lgkmcnt(0)
	v_cndmask_b32_e32 v3, v3, v46, vcc
	v_cmp_ne_u32_e32 vcc, v43, v44
	v_and_b32_e32 v3, 0xffff, v3
	v_mov_b64_e32 v[18:19], s[16:17]
	v_cndmask_b32_e64 v4, 0, 1, vcc
	v_lshl_or_b32 v56, v4, 16, v3
	v_cmp_gt_u32_e32 vcc, s68, v2
	v_mov_b64_e32 v[2:3], s[8:9]
	v_mov_b64_e32 v[8:9], s[14:15]
	;; [unrolled: 1-line block ×5, first 2 shown]
	v_mov_b32_e32 v57, 0
	v_mov_b64_e32 v[14:15], v[6:7]
	v_mov_b64_e32 v[12:13], v[4:5]
	;; [unrolled: 1-line block ×3, first 2 shown]
                                        ; implicit-def: $sgpr8_sgpr9
                                        ; implicit-def: $vgpr59
	s_and_saveexec_b64 s[16:17], vcc
	s_cbranch_execz .LBB1564_127
; %bb.84:
	v_lshrrev_b32_e32 v2, 16, v46
	v_mov_b32_e32 v4, s74
	v_cmp_eq_u32_e32 vcc, v44, v45
	s_mov_b32 s8, 0
	v_or_b32_e32 v3, 3, v60
	v_cndmask_b32_e32 v2, v4, v2, vcc
	v_cmp_ne_u32_e32 vcc, v44, v45
	v_and_b32_e32 v2, 0xffff, v2
	s_mov_b32 s9, s8
	v_cndmask_b32_e64 v4, 0, 1, vcc
	v_lshl_or_b32 v21, v4, 16, v2
	v_cmp_gt_u32_e32 vcc, s68, v3
	s_mov_b32 s10, s8
	s_mov_b32 s11, s8
	;; [unrolled: 1-line block ×6, first 2 shown]
	v_mov_b64_e32 v[2:3], s[8:9]
	v_mov_b64_e32 v[8:9], s[14:15]
	v_mov_b32_e32 v18, 0
	v_mov_b64_e32 v[4:5], s[10:11]
	v_mov_b64_e32 v[6:7], s[12:13]
	;; [unrolled: 1-line block ×3, first 2 shown]
	v_mov_b32_e32 v19, v18
	v_mov_b32_e32 v20, v18
	v_mov_b64_e32 v[14:15], v[6:7]
	v_mov_b64_e32 v[12:13], v[4:5]
	;; [unrolled: 1-line block ×3, first 2 shown]
	v_mov_b32_e32 v57, v18
                                        ; implicit-def: $sgpr26_sgpr27
                                        ; implicit-def: $vgpr59
	s_and_saveexec_b64 s[18:19], vcc
	s_cbranch_execz .LBB1564_126
; %bb.85:
	v_mov_b32_e32 v3, s74
	v_cmp_eq_u32_e32 vcc, v45, v38
	v_or_b32_e32 v2, 4, v60
	v_mov_b32_e32 v18, 0
	v_cndmask_b32_e32 v3, v3, v47, vcc
	v_cmp_ne_u32_e32 vcc, v45, v38
	v_and_b32_e32 v3, 0xffff, v3
	v_mov_b32_e32 v19, v18
	v_cndmask_b32_e64 v4, 0, 1, vcc
	v_lshl_or_b32 v20, v4, 16, v3
	v_cmp_gt_u32_e32 vcc, s68, v2
	v_mov_b64_e32 v[2:3], s[8:9]
	v_mov_b64_e32 v[8:9], s[14:15]
	;; [unrolled: 1-line block ×5, first 2 shown]
	s_mov_b64 s[24:25], 0
	v_mov_b64_e32 v[14:15], v[6:7]
	v_mov_b64_e32 v[12:13], v[4:5]
	;; [unrolled: 1-line block ×3, first 2 shown]
	v_mov_b32_e32 v57, v18
                                        ; implicit-def: $sgpr8_sgpr9
                                        ; implicit-def: $vgpr59
	s_and_saveexec_b64 s[22:23], vcc
	s_cbranch_execz .LBB1564_125
; %bb.86:
	v_lshrrev_b32_e32 v2, 16, v47
	v_mov_b32_e32 v4, s74
	v_cmp_eq_u32_e32 vcc, v38, v39
	s_mov_b32 s8, 0
	v_or_b32_e32 v3, 5, v60
	v_cndmask_b32_e32 v2, v4, v2, vcc
	v_cmp_ne_u32_e32 vcc, v38, v39
	v_and_b32_e32 v2, 0xffff, v2
	s_mov_b32 s9, s8
	v_cndmask_b32_e64 v4, 0, 1, vcc
	v_lshl_or_b32 v19, v4, 16, v2
	v_cmp_gt_u32_e32 vcc, s68, v3
	s_mov_b32 s10, s8
	s_mov_b32 s11, s8
	;; [unrolled: 1-line block ×6, first 2 shown]
	v_mov_b64_e32 v[2:3], s[8:9]
	v_mov_b64_e32 v[8:9], s[14:15]
	;; [unrolled: 1-line block ×5, first 2 shown]
	v_mov_b32_e32 v18, s8
	s_mov_b64 s[26:27], 0
	v_mov_b32_e32 v57, 0
	v_mov_b64_e32 v[14:15], v[6:7]
	v_mov_b64_e32 v[12:13], v[4:5]
	;; [unrolled: 1-line block ×3, first 2 shown]
                                        ; implicit-def: $sgpr30_sgpr31
                                        ; implicit-def: $vgpr59
	s_and_saveexec_b64 s[24:25], vcc
	s_cbranch_execz .LBB1564_124
; %bb.87:
	v_mov_b32_e32 v3, s74
	v_cmp_eq_u32_e32 vcc, v39, v40
	v_or_b32_e32 v2, 6, v60
	s_mov_b64 s[28:29], 0
	v_cndmask_b32_e32 v3, v3, v48, vcc
	v_cmp_ne_u32_e32 vcc, v39, v40
	v_and_b32_e32 v3, 0xffff, v3
	v_mov_b32_e32 v57, 0
	v_cndmask_b32_e64 v4, 0, 1, vcc
	v_lshl_or_b32 v18, v4, 16, v3
	v_cmp_gt_u32_e32 vcc, s68, v2
	v_mov_b64_e32 v[2:3], s[8:9]
	v_mov_b64_e32 v[8:9], s[14:15]
	v_mov_b64_e32 v[4:5], s[10:11]
	v_mov_b64_e32 v[6:7], s[12:13]
	v_mov_b64_e32 v[16:17], v[8:9]
	v_mov_b64_e32 v[14:15], v[6:7]
	v_mov_b64_e32 v[12:13], v[4:5]
	v_mov_b64_e32 v[10:11], v[2:3]
                                        ; implicit-def: $sgpr8_sgpr9
                                        ; implicit-def: $vgpr59
	s_and_saveexec_b64 s[26:27], vcc
	s_cbranch_execz .LBB1564_123
; %bb.88:
	v_lshrrev_b32_e32 v2, 16, v48
	v_mov_b32_e32 v4, s74
	v_cmp_eq_u32_e32 vcc, v40, v41
	s_mov_b32 s8, 0
	v_or_b32_e32 v3, 7, v60
	v_cndmask_b32_e32 v2, v4, v2, vcc
	v_cmp_ne_u32_e32 vcc, v40, v41
	v_and_b32_e32 v2, 0xffff, v2
	s_mov_b32 s9, s8
	v_cndmask_b32_e64 v4, 0, 1, vcc
	v_lshl_or_b32 v57, v4, 16, v2
	v_cmp_gt_u32_e32 vcc, s68, v3
	s_mov_b32 s10, s8
	s_mov_b32 s11, s8
	;; [unrolled: 1-line block ×6, first 2 shown]
	v_mov_b64_e32 v[2:3], s[8:9]
	v_mov_b64_e32 v[8:9], s[14:15]
	;; [unrolled: 1-line block ×5, first 2 shown]
	s_mov_b64 s[30:31], 0
	v_mov_b64_e32 v[14:15], v[6:7]
	v_mov_b64_e32 v[12:13], v[4:5]
	;; [unrolled: 1-line block ×3, first 2 shown]
                                        ; implicit-def: $sgpr36_sgpr37
                                        ; implicit-def: $vgpr59
	s_and_saveexec_b64 s[28:29], vcc
	s_cbranch_execz .LBB1564_122
; %bb.89:
	v_mov_b32_e32 v3, s74
	v_cmp_eq_u32_e32 vcc, v41, v34
	v_add_u32_e32 v2, 8, v60
	v_mov_b64_e32 v[16:17], s[14:15]
	v_cndmask_b32_e32 v3, v3, v49, vcc
	v_cmp_ne_u32_e32 vcc, v41, v34
	v_and_b32_e32 v3, 0xffff, v3
	s_mov_b64 s[34:35], 0
	v_cndmask_b32_e64 v4, 0, 1, vcc
	v_cmp_gt_u32_e32 vcc, s68, v2
	v_mov_b32_e32 v2, 0
	v_lshl_or_b32 v9, v4, 16, v3
	v_mov_b32_e32 v3, v2
	v_mov_b32_e32 v4, v2
	v_mov_b32_e32 v5, v2
	v_mov_b32_e32 v6, v2
	v_mov_b32_e32 v7, v2
	v_mov_b32_e32 v8, v2
	v_mov_b64_e32 v[14:15], s[12:13]
	v_mov_b64_e32 v[12:13], s[10:11]
	;; [unrolled: 1-line block ×3, first 2 shown]
                                        ; implicit-def: $sgpr8_sgpr9
                                        ; implicit-def: $vgpr59
	s_and_saveexec_b64 s[30:31], vcc
	s_cbranch_execz .LBB1564_121
; %bb.90:
	v_lshrrev_b32_e32 v3, 16, v49
	v_mov_b32_e32 v5, s74
	v_cmp_eq_u32_e32 vcc, v34, v35
	s_mov_b32 s8, 0
	s_mov_b32 s14, s8
	v_cndmask_b32_e32 v3, v5, v3, vcc
	v_cmp_ne_u32_e32 vcc, v34, v35
	s_mov_b32 s15, s8
	v_add_u32_e32 v4, 9, v60
	v_and_b32_e32 v3, 0xffff, v3
	v_cndmask_b32_e64 v5, 0, 1, vcc
	s_mov_b32 s9, s8
	s_mov_b32 s10, s8
	s_mov_b32 s11, s8
	s_mov_b32 s12, s8
	s_mov_b32 s13, s8
	v_mov_b64_e32 v[16:17], s[14:15]
	v_lshl_or_b32 v8, v5, 16, v3
	v_cmp_gt_u32_e32 vcc, s68, v4
	v_mov_b32_e32 v3, v2
	v_mov_b32_e32 v4, v2
	;; [unrolled: 1-line block ×5, first 2 shown]
	s_mov_b64 s[36:37], 0
	v_mov_b64_e32 v[14:15], s[12:13]
	v_mov_b64_e32 v[12:13], s[10:11]
	;; [unrolled: 1-line block ×3, first 2 shown]
                                        ; implicit-def: $sgpr40_sgpr41
                                        ; implicit-def: $vgpr59
	s_and_saveexec_b64 s[34:35], vcc
	s_cbranch_execz .LBB1564_120
; %bb.91:
	ds_read_b128 v[38:41], v42 offset:18
	v_mov_b32_e32 v3, s74
	v_cmp_eq_u32_e32 vcc, v35, v36
	v_add_u32_e32 v2, 10, v60
	v_mov_b64_e32 v[16:17], s[14:15]
	s_waitcnt lgkmcnt(0)
	v_cndmask_b32_e32 v3, v3, v38, vcc
	v_cmp_ne_u32_e32 vcc, v35, v36
	v_and_b32_e32 v3, 0xffff, v3
	s_mov_b64 s[38:39], 0
	v_cndmask_b32_e64 v4, 0, 1, vcc
	v_cmp_gt_u32_e32 vcc, s68, v2
	v_mov_b32_e32 v2, 0
	v_lshl_or_b32 v7, v4, 16, v3
	v_mov_b32_e32 v3, v2
	v_mov_b32_e32 v4, v2
	;; [unrolled: 1-line block ×4, first 2 shown]
	v_mov_b64_e32 v[14:15], s[12:13]
	v_mov_b64_e32 v[12:13], s[10:11]
	;; [unrolled: 1-line block ×3, first 2 shown]
                                        ; implicit-def: $sgpr8_sgpr9
                                        ; implicit-def: $vgpr59
	s_and_saveexec_b64 s[36:37], vcc
	s_cbranch_execz .LBB1564_119
; %bb.92:
	v_lshrrev_b32_e32 v3, 16, v38
	v_mov_b32_e32 v5, s74
	v_cmp_eq_u32_e32 vcc, v36, v37
	s_mov_b32 s8, 0
	s_mov_b32 s14, s8
	v_cndmask_b32_e32 v3, v5, v3, vcc
	v_cmp_ne_u32_e32 vcc, v36, v37
	s_mov_b32 s15, s8
	v_add_u32_e32 v4, 11, v60
	v_and_b32_e32 v3, 0xffff, v3
	v_cndmask_b32_e64 v5, 0, 1, vcc
	s_mov_b32 s9, s8
	s_mov_b32 s10, s8
	;; [unrolled: 1-line block ×5, first 2 shown]
	v_mov_b64_e32 v[16:17], s[14:15]
	v_lshl_or_b32 v6, v5, 16, v3
	v_cmp_gt_u32_e32 vcc, s68, v4
	v_mov_b32_e32 v3, v2
	v_mov_b32_e32 v4, v2
	;; [unrolled: 1-line block ×3, first 2 shown]
	s_mov_b64 s[40:41], 0
	v_mov_b64_e32 v[14:15], s[12:13]
	v_mov_b64_e32 v[12:13], s[10:11]
	;; [unrolled: 1-line block ×3, first 2 shown]
                                        ; implicit-def: $sgpr44_sgpr45
                                        ; implicit-def: $vgpr59
	s_and_saveexec_b64 s[38:39], vcc
	s_cbranch_execz .LBB1564_118
; %bb.93:
	v_mov_b32_e32 v3, s74
	v_cmp_eq_u32_e32 vcc, v37, v30
	v_add_u32_e32 v2, 12, v60
	v_mov_b64_e32 v[16:17], s[14:15]
	v_cndmask_b32_e32 v3, v3, v39, vcc
	v_cmp_ne_u32_e32 vcc, v37, v30
	v_and_b32_e32 v3, 0xffff, v3
	s_mov_b64 s[42:43], 0
	v_cndmask_b32_e64 v4, 0, 1, vcc
	v_cmp_gt_u32_e32 vcc, s68, v2
	v_mov_b32_e32 v2, 0
	v_lshl_or_b32 v5, v4, 16, v3
	v_mov_b32_e32 v3, v2
	v_mov_b32_e32 v4, v2
	v_mov_b64_e32 v[14:15], s[12:13]
	v_mov_b64_e32 v[12:13], s[10:11]
	;; [unrolled: 1-line block ×3, first 2 shown]
                                        ; implicit-def: $sgpr8_sgpr9
                                        ; implicit-def: $vgpr59
	s_and_saveexec_b64 s[40:41], vcc
	s_cbranch_execz .LBB1564_117
; %bb.94:
	v_lshrrev_b32_e32 v3, 16, v39
	v_mov_b32_e32 v4, s74
	v_cmp_eq_u32_e32 vcc, v30, v31
	s_mov_b32 s8, 0
	v_add_u32_e32 v10, 13, v60
	v_cndmask_b32_e32 v3, v4, v3, vcc
	v_cmp_ne_u32_e32 vcc, v30, v31
	s_mov_b32 s14, s8
	s_mov_b32 s15, s8
	v_and_b32_e32 v3, 0xffff, v3
	v_cndmask_b32_e64 v4, 0, 1, vcc
	v_cmp_gt_u32_e32 vcc, s68, v10
	s_mov_b32 s9, s8
	s_mov_b32 s10, s8
	;; [unrolled: 1-line block ×5, first 2 shown]
	v_mov_b64_e32 v[16:17], s[14:15]
	v_lshl_or_b32 v4, v4, 16, v3
	v_mov_b32_e32 v3, v2
	s_mov_b64 s[44:45], 0
	v_mov_b64_e32 v[14:15], s[12:13]
	v_mov_b64_e32 v[12:13], s[10:11]
	;; [unrolled: 1-line block ×3, first 2 shown]
                                        ; implicit-def: $sgpr46_sgpr47
                                        ; implicit-def: $vgpr59
	s_and_saveexec_b64 s[42:43], vcc
	s_cbranch_execz .LBB1564_116
; %bb.95:
	v_mov_b32_e32 v3, s74
	v_cmp_eq_u32_e32 vcc, v31, v32
	v_add_u32_e32 v2, 14, v60
                                        ; implicit-def: $vgpr59
	s_nop 0
	v_cndmask_b32_e32 v3, v3, v40, vcc
	v_cmp_ne_u32_e32 vcc, v31, v32
	v_and_b32_e32 v3, 0xffff, v3
	s_nop 0
	v_cndmask_b32_e64 v10, 0, 1, vcc
	v_lshl_or_b32 v3, v10, 16, v3
	v_mov_b64_e32 v[16:17], s[14:15]
	v_cmp_gt_u32_e32 vcc, s68, v2
	v_mov_b32_e32 v2, s8
	v_mov_b64_e32 v[14:15], s[12:13]
	v_mov_b64_e32 v[12:13], s[10:11]
	;; [unrolled: 1-line block ×3, first 2 shown]
                                        ; implicit-def: $sgpr10_sgpr11
	s_and_saveexec_b64 s[8:9], vcc
	s_cbranch_execz .LBB1564_115
; %bb.96:
	v_lshrrev_b32_e32 v2, 16, v40
	v_mov_b32_e32 v11, s74
	v_cmp_eq_u32_e32 vcc, v32, v33
	s_mov_b32 s44, 0
	v_add_u32_e32 v10, 15, v60
	v_cndmask_b32_e32 v2, v11, v2, vcc
	v_cmp_ne_u32_e32 vcc, v32, v33
	v_and_b32_e32 v2, 0xffff, v2
	s_mov_b32 s45, s44
	v_cndmask_b32_e64 v11, 0, 1, vcc
	v_lshl_or_b32 v2, v11, 16, v2
	v_cmp_gt_u32_e32 vcc, s68, v10
	s_mov_b32 s46, s44
	s_mov_b32 s47, s44
	;; [unrolled: 1-line block ×6, first 2 shown]
	v_mov_b64_e32 v[10:11], s[44:45]
	s_mov_b64 s[12:13], 0
	v_mov_b64_e32 v[12:13], s[46:47]
	v_mov_b64_e32 v[14:15], s[48:49]
	;; [unrolled: 1-line block ×3, first 2 shown]
                                        ; implicit-def: $sgpr44_sgpr45
                                        ; implicit-def: $vgpr59
	s_and_saveexec_b64 s[10:11], vcc
	s_cbranch_execz .LBB1564_114
; %bb.97:
	v_mov_b32_e32 v10, s74
	v_cmp_eq_u32_e32 vcc, v33, v26
	v_add_u32_e32 v11, 16, v60
	s_mov_b64 s[14:15], 0
	v_cndmask_b32_e32 v10, v10, v41, vcc
	v_cmp_ne_u32_e32 vcc, v33, v26
	v_and_b32_e32 v10, 0xffff, v10
                                        ; implicit-def: $sgpr46_sgpr47
                                        ; implicit-def: $vgpr59
	s_nop 0
	v_cndmask_b32_e64 v12, 0, 1, vcc
	v_lshl_or_b32 v10, v12, 16, v10
	v_mov_b32_e32 v12, 0
	v_cmp_gt_u32_e32 vcc, s68, v11
	v_mov_b32_e32 v11, v12
	v_mov_b32_e32 v13, v12
	;; [unrolled: 1-line block ×6, first 2 shown]
	s_and_saveexec_b64 s[12:13], vcc
	s_cbranch_execz .LBB1564_113
; %bb.98:
	v_lshrrev_b32_e32 v11, 16, v41
	v_mov_b32_e32 v14, s74
	v_cmp_eq_u32_e32 vcc, v26, v27
	v_add_u32_e32 v13, 17, v60
	v_mov_b32_e32 v15, v12
	v_cndmask_b32_e32 v11, v14, v11, vcc
	v_cmp_ne_u32_e32 vcc, v26, v27
	v_and_b32_e32 v11, 0xffff, v11
	v_mov_b32_e32 v16, v12
	v_cndmask_b32_e64 v14, 0, 1, vcc
	v_lshl_or_b32 v11, v14, 16, v11
	v_cmp_gt_u32_e32 vcc, s68, v13
	v_mov_b32_e32 v13, v12
	v_mov_b32_e32 v14, v12
	;; [unrolled: 1-line block ×3, first 2 shown]
	s_mov_b64 s[44:45], 0
                                        ; implicit-def: $sgpr48_sgpr49
                                        ; implicit-def: $vgpr59
	s_and_saveexec_b64 s[14:15], vcc
	s_cbranch_execz .LBB1564_112
; %bb.99:
	ds_read_b96 v[30:32], v42 offset:34
	v_mov_b32_e32 v12, s74
	v_cmp_eq_u32_e32 vcc, v27, v28
	v_add_u32_e32 v13, 18, v60
	s_mov_b64 s[46:47], 0
	s_waitcnt lgkmcnt(0)
	v_cndmask_b32_e32 v12, v12, v30, vcc
	v_cmp_ne_u32_e32 vcc, v27, v28
	v_and_b32_e32 v12, 0xffff, v12
                                        ; implicit-def: $sgpr50_sgpr51
                                        ; implicit-def: $vgpr59
	s_nop 0
	v_cndmask_b32_e64 v14, 0, 1, vcc
	v_lshl_or_b32 v12, v14, 16, v12
	v_mov_b32_e32 v14, 0
	v_cmp_gt_u32_e32 vcc, s68, v13
	v_mov_b32_e32 v13, v14
	v_mov_b32_e32 v15, v14
	;; [unrolled: 1-line block ×4, first 2 shown]
	s_and_saveexec_b64 s[44:45], vcc
	s_cbranch_execz .LBB1564_111
; %bb.100:
	v_lshrrev_b32_e32 v13, 16, v30
	v_mov_b32_e32 v16, s74
	v_cmp_eq_u32_e32 vcc, v28, v29
	v_add_u32_e32 v15, 19, v60
	v_mov_b32_e32 v17, v14
	v_cndmask_b32_e32 v13, v16, v13, vcc
	v_cmp_ne_u32_e32 vcc, v28, v29
	v_and_b32_e32 v13, 0xffff, v13
	s_mov_b64 s[48:49], 0
	v_cndmask_b32_e64 v16, 0, 1, vcc
	v_lshl_or_b32 v13, v16, 16, v13
	v_cmp_gt_u32_e32 vcc, s68, v15
	v_mov_b32_e32 v15, v14
	v_mov_b32_e32 v16, v14
                                        ; implicit-def: $sgpr56_sgpr57
                                        ; implicit-def: $vgpr59
	s_and_saveexec_b64 s[46:47], vcc
	s_cbranch_execz .LBB1564_110
; %bb.101:
	v_mov_b32_e32 v14, s74
	v_cmp_eq_u32_e32 vcc, v29, v22
	v_add_u32_e32 v15, 20, v60
	s_mov_b64 s[50:51], 0
	v_cndmask_b32_e32 v14, v14, v31, vcc
	v_cmp_ne_u32_e32 vcc, v29, v22
	v_and_b32_e32 v14, 0xffff, v14
                                        ; implicit-def: $sgpr58_sgpr59
                                        ; implicit-def: $vgpr59
	s_nop 0
	v_cndmask_b32_e64 v16, 0, 1, vcc
	v_lshl_or_b32 v14, v16, 16, v14
	v_mov_b32_e32 v16, 0
	v_cmp_gt_u32_e32 vcc, s68, v15
	v_mov_b32_e32 v15, v16
	v_mov_b32_e32 v17, v16
	s_and_saveexec_b64 s[48:49], vcc
	s_cbranch_execz .LBB1564_109
; %bb.102:
	v_lshrrev_b32_e32 v15, 16, v31
	v_mov_b32_e32 v26, s74
	v_cmp_eq_u32_e32 vcc, v22, v23
	v_add_u32_e32 v17, 21, v60
	s_mov_b32 s5, 0
	v_cndmask_b32_e32 v15, v26, v15, vcc
	v_cmp_ne_u32_e32 vcc, v22, v23
	v_and_b32_e32 v15, 0xffff, v15
	s_mov_b64 s[56:57], 0
	v_cndmask_b32_e64 v22, 0, 1, vcc
	v_lshl_or_b32 v15, v22, 16, v15
	v_cmp_gt_u32_e32 vcc, s68, v17
	v_mov_b32_e32 v17, v16
                                        ; implicit-def: $sgpr60_sgpr61
                                        ; implicit-def: $vgpr59
	s_and_saveexec_b64 s[50:51], vcc
	s_cbranch_execz .LBB1564_108
; %bb.103:
	v_mov_b32_e32 v16, s74
	v_cmp_eq_u32_e32 vcc, v23, v24
	v_add_u32_e32 v17, 22, v60
	s_mov_b64 s[58:59], 0
	v_cndmask_b32_e32 v16, v16, v32, vcc
	v_cmp_ne_u32_e32 vcc, v23, v24
	v_and_b32_e32 v16, 0xffff, v16
                                        ; implicit-def: $sgpr60_sgpr61
                                        ; implicit-def: $vgpr59
	s_nop 0
	v_cndmask_b32_e64 v22, 0, 1, vcc
	v_lshl_or_b32 v16, v22, 16, v16
	v_cmp_gt_u32_e32 vcc, s68, v17
	v_mov_b32_e32 v17, s5
	s_and_saveexec_b64 s[56:57], vcc
	s_cbranch_execz .LBB1564_107
; %bb.104:
	v_lshrrev_b32_e32 v17, 16, v32
	v_mov_b32_e32 v23, s74
	v_cmp_eq_u32_e32 vcc, v24, v25
	v_add_u32_e32 v22, 23, v60
                                        ; implicit-def: $sgpr60_sgpr61
                                        ; implicit-def: $vgpr59
	s_nop 0
	v_cndmask_b32_e32 v17, v23, v17, vcc
	v_cmp_ne_u32_e32 vcc, v24, v25
	v_and_b32_e32 v17, 0xffff, v17
	s_nop 0
	v_cndmask_b32_e64 v23, 0, 1, vcc
	v_lshl_or_b32 v17, v23, 16, v17
	v_cmp_gt_u32_e32 vcc, s68, v22
	s_and_saveexec_b64 s[68:69], vcc
	s_xor_b64 s[68:69], exec, s[68:69]
	s_cbranch_execz .LBB1564_106
; %bb.105:
	ds_read_u16 v22, v42 offset:46
	v_mov_b32_e32 v23, s74
	v_cmp_ne_u32_e32 vcc, v25, v58
	s_mov_b64 s[58:59], exec
	s_and_b64 s[60:61], vcc, exec
	s_waitcnt lgkmcnt(0)
	v_cndmask_b32_e32 v59, v22, v23, vcc
.LBB1564_106:
	s_or_b64 exec, exec, s[68:69]
	s_and_b64 s[60:61], s[60:61], exec
	s_and_b64 s[58:59], s[58:59], exec
.LBB1564_107:
	s_or_b64 exec, exec, s[56:57]
	s_and_b64 s[60:61], s[60:61], exec
	s_and_b64 s[56:57], s[58:59], exec
.LBB1564_108:
	s_or_b64 exec, exec, s[50:51]
	s_and_b64 s[58:59], s[60:61], exec
	s_and_b64 s[50:51], s[56:57], exec
.LBB1564_109:
	s_or_b64 exec, exec, s[48:49]
	s_and_b64 s[56:57], s[58:59], exec
	s_and_b64 s[48:49], s[50:51], exec
.LBB1564_110:
	s_or_b64 exec, exec, s[46:47]
	s_and_b64 s[50:51], s[56:57], exec
	s_and_b64 s[46:47], s[48:49], exec
.LBB1564_111:
	s_or_b64 exec, exec, s[44:45]
	s_and_b64 s[48:49], s[50:51], exec
	s_and_b64 s[44:45], s[46:47], exec
.LBB1564_112:
	s_or_b64 exec, exec, s[14:15]
	s_and_b64 s[46:47], s[48:49], exec
	s_and_b64 s[14:15], s[44:45], exec
.LBB1564_113:
	s_or_b64 exec, exec, s[12:13]
	s_and_b64 s[44:45], s[46:47], exec
	s_and_b64 s[12:13], s[14:15], exec
.LBB1564_114:
	s_or_b64 exec, exec, s[10:11]
	s_and_b64 s[10:11], s[44:45], exec
	s_and_b64 s[44:45], s[12:13], exec
.LBB1564_115:
	s_or_b64 exec, exec, s[8:9]
	s_and_b64 s[46:47], s[10:11], exec
	s_and_b64 s[44:45], s[44:45], exec
.LBB1564_116:
	s_or_b64 exec, exec, s[42:43]
	s_and_b64 s[8:9], s[46:47], exec
	s_and_b64 s[42:43], s[44:45], exec
.LBB1564_117:
	s_or_b64 exec, exec, s[40:41]
	s_and_b64 s[44:45], s[8:9], exec
	s_and_b64 s[40:41], s[42:43], exec
.LBB1564_118:
	s_or_b64 exec, exec, s[38:39]
	s_and_b64 s[8:9], s[44:45], exec
	s_and_b64 s[38:39], s[40:41], exec
.LBB1564_119:
	s_or_b64 exec, exec, s[36:37]
	s_and_b64 s[40:41], s[8:9], exec
	s_and_b64 s[36:37], s[38:39], exec
.LBB1564_120:
	s_or_b64 exec, exec, s[34:35]
	s_and_b64 s[8:9], s[40:41], exec
	s_and_b64 s[34:35], s[36:37], exec
.LBB1564_121:
	s_or_b64 exec, exec, s[30:31]
	s_and_b64 s[36:37], s[8:9], exec
	s_and_b64 s[30:31], s[34:35], exec
.LBB1564_122:
	s_or_b64 exec, exec, s[28:29]
	s_and_b64 s[8:9], s[36:37], exec
	s_and_b64 s[28:29], s[30:31], exec
.LBB1564_123:
	s_or_b64 exec, exec, s[26:27]
	s_and_b64 s[30:31], s[8:9], exec
	s_and_b64 s[26:27], s[28:29], exec
.LBB1564_124:
	s_or_b64 exec, exec, s[24:25]
	s_and_b64 s[8:9], s[30:31], exec
	s_and_b64 s[24:25], s[26:27], exec
.LBB1564_125:
	s_or_b64 exec, exec, s[22:23]
	s_and_b64 s[26:27], s[8:9], exec
	s_and_b64 s[22:23], s[24:25], exec
.LBB1564_126:
	s_or_b64 exec, exec, s[18:19]
	s_and_b64 s[8:9], s[26:27], exec
	s_and_b64 s[22:23], s[22:23], exec
.LBB1564_127:
	s_or_b64 exec, exec, s[16:17]
	s_and_b64 s[24:25], s[8:9], exec
	s_and_b64 s[22:23], s[22:23], exec
.LBB1564_128:
	s_or_b64 exec, exec, s[20:21]
	s_and_b64 s[8:9], s[24:25], exec
	s_and_b64 s[10:11], s[22:23], exec
.LBB1564_129:
	s_or_b64 exec, exec, s[6:7]
	s_and_b64 vcc, exec, s[0:1]
	s_cbranch_vccnz .LBB1564_131
	s_branch .LBB1564_136
.LBB1564_130:
	s_mov_b64 s[10:11], 0
                                        ; implicit-def: $sgpr8_sgpr9
                                        ; implicit-def: $vgpr18_vgpr19_vgpr20_vgpr21
                                        ; implicit-def: $vgpr2_vgpr3_vgpr4_vgpr5_vgpr6_vgpr7_vgpr8_vgpr9
                                        ; implicit-def: $vgpr10_vgpr11_vgpr12_vgpr13_vgpr14_vgpr15_vgpr16_vgpr17
                                        ; implicit-def: $vgpr59
                                        ; implicit-def: $vgpr1
                                        ; implicit-def: $vgpr56
                                        ; implicit-def: $vgpr57
                                        ; implicit-def: $sgpr4
	s_and_b64 vcc, exec, s[0:1]
	s_cbranch_vccz .LBB1564_136
.LBB1564_131:
	v_mov_b32_e32 v7, 0
	v_lshlrev_b32_e32 v6, 2, v0
	v_lshl_add_u64 v[2:3], v[54:55], 0, v[6:7]
	v_add_co_u32_e32 v4, vcc, 0x1000, v2
	s_movk_i32 s0, 0x5c
	s_nop 0
	v_addc_co_u32_e32 v5, vcc, 0, v3, vcc
	flat_load_dword v1, v[2:3]
	flat_load_dword v10, v[2:3] offset:1024
	flat_load_dword v11, v[2:3] offset:2048
	;; [unrolled: 1-line block ×3, first 2 shown]
	flat_load_dword v13, v[4:5]
	flat_load_dword v14, v[4:5] offset:1024
	flat_load_dword v15, v[4:5] offset:2048
	flat_load_dword v16, v[4:5] offset:3072
	v_add_co_u32_e32 v4, vcc, 0x2000, v2
	s_movk_i32 s5, 0x1000
	s_nop 0
	v_addc_co_u32_e32 v5, vcc, 0, v3, vcc
	v_add_co_u32_e32 v8, vcc, 0x3000, v2
	s_movk_i32 s4, 0x2000
	s_nop 0
	v_addc_co_u32_e32 v9, vcc, 0, v3, vcc
	flat_load_dword v17, v[4:5]
	flat_load_dword v18, v[4:5] offset:1024
	flat_load_dword v19, v[4:5] offset:2048
	;; [unrolled: 1-line block ×3, first 2 shown]
	flat_load_dword v21, v[8:9]
	flat_load_dword v22, v[8:9] offset:1024
	flat_load_dword v23, v[8:9] offset:2048
	;; [unrolled: 1-line block ×3, first 2 shown]
	v_add_co_u32_e32 v4, vcc, 0x4000, v2
	s_nop 1
	v_addc_co_u32_e32 v5, vcc, 0, v3, vcc
	v_add_co_u32_e32 v2, vcc, 0x5000, v2
	s_nop 1
	v_addc_co_u32_e32 v3, vcc, 0, v3, vcc
	flat_load_dword v8, v[4:5]
	flat_load_dword v9, v[4:5] offset:1024
	flat_load_dword v25, v[4:5] offset:2048
	;; [unrolled: 1-line block ×3, first 2 shown]
	flat_load_dword v27, v[2:3]
	flat_load_dword v28, v[2:3] offset:1024
	flat_load_dword v29, v[2:3] offset:2048
	;; [unrolled: 1-line block ×3, first 2 shown]
	v_add_co_u32_e32 v2, vcc, 0x6000, v54
	s_waitcnt vmcnt(0) lgkmcnt(0)
	ds_write2st64_b32 v6, v1, v10 offset1:4
	ds_write2st64_b32 v6, v11, v12 offset0:8 offset1:12
	ds_write2st64_b32 v6, v13, v14 offset0:16 offset1:20
	ds_write2st64_b32 v6, v15, v16 offset0:24 offset1:28
	ds_write2st64_b32 v6, v17, v18 offset0:32 offset1:36
	ds_write2st64_b32 v6, v19, v20 offset0:40 offset1:44
	ds_write2st64_b32 v6, v21, v22 offset0:48 offset1:52
	ds_write2st64_b32 v6, v23, v24 offset0:56 offset1:60
	ds_write2st64_b32 v6, v8, v9 offset0:64 offset1:68
	ds_write2st64_b32 v6, v25, v26 offset0:72 offset1:76
	ds_write2st64_b32 v6, v27, v28 offset0:80 offset1:84
	ds_write2st64_b32 v6, v29, v30 offset0:88 offset1:92
	v_addc_co_u32_e32 v3, vcc, 0, v55, vcc
	s_waitcnt lgkmcnt(0)
	s_barrier
	flat_load_dword v40, v[2:3]
	v_mad_u32_u24 v1, v0, s0, v6
	s_movk_i32 s0, 0xffa4
	ds_read2_b32 v[22:23], v1 offset0:6 offset1:23
	ds_read_b64 v[18:19], v1
	ds_read2_b64 v[2:5], v1 offset0:1 offset1:2
	ds_read2_b32 v[32:33], v1 offset0:13 offset1:14
	ds_read2_b32 v[34:35], v1 offset0:11 offset1:12
	;; [unrolled: 1-line block ×8, first 2 shown]
	v_mad_i32_i24 v1, v0, s0, v1
	s_movk_i32 s0, 0xff
	v_cmp_ne_u32_e32 vcc, s0, v0
	s_waitcnt lgkmcnt(0)
	ds_write_b32 v1, v18 offset:25600
	s_waitcnt lgkmcnt(0)
	s_barrier
	s_and_saveexec_b64 s[0:1], vcc
	s_cbranch_execz .LBB1564_133
; %bb.132:
	s_waitcnt vmcnt(0)
	ds_read_b32 v40, v6 offset:25604
.LBB1564_133:
	s_or_b64 exec, exec, s[0:1]
	v_lshlrev_b32_e32 v6, 1, v0
	v_lshl_add_u64 v[8:9], v[52:53], 0, v[6:7]
	v_add_co_u32_e32 v10, vcc, s5, v8
	s_waitcnt lgkmcnt(0)
	s_nop 0
	v_addc_co_u32_e32 v11, vcc, 0, v9, vcc
	s_barrier
	flat_load_ushort v7, v[8:9]
	flat_load_ushort v12, v[8:9] offset:512
	flat_load_ushort v13, v[8:9] offset:1024
	;; [unrolled: 1-line block ×7, first 2 shown]
	v_add_co_u32_e32 v8, vcc, s4, v8
	flat_load_ushort v21, v[10:11]
	flat_load_ushort v41, v[10:11] offset:512
	flat_load_ushort v42, v[10:11] offset:1024
	;; [unrolled: 1-line block ×7, first 2 shown]
	v_addc_co_u32_e32 v9, vcc, 0, v9, vcc
	flat_load_ushort v10, v[8:9]
	flat_load_ushort v11, v[8:9] offset:512
	flat_load_ushort v48, v[8:9] offset:1024
	;; [unrolled: 1-line block ×7, first 2 shown]
	v_sub_u32_e32 v1, v1, v6
	v_mad_u32_u24 v56, v0, 46, v1
	v_cmp_eq_u32_e32 vcc, v18, v19
	v_mov_b32_e32 v18, s74
	s_waitcnt vmcnt(0) lgkmcnt(0)
	ds_write_b16 v1, v7
	ds_write_b16 v1, v12 offset:512
	ds_write_b16 v1, v13 offset:1024
	;; [unrolled: 1-line block ×23, first 2 shown]
	s_waitcnt lgkmcnt(0)
	s_barrier
	ds_read_b96 v[14:16], v56 offset:2
	ds_read_b128 v[6:9], v56 offset:14
	ds_read_b128 v[10:13], v56 offset:30
	ds_read_u16 v41, v56 offset:46
	v_mov_b32_e32 v17, 0x10000
	s_and_saveexec_b64 s[0:1], vcc
	s_cbranch_execz .LBB1564_135
; %bb.134:
	v_mul_u32_u24_e32 v17, 46, v0
	v_add_u32_e32 v1, v1, v17
	ds_read_u16 v18, v1
	v_mov_b32_e32 v17, 0
.LBB1564_135:
	s_or_b64 exec, exec, s[0:1]
	v_mov_b32_e32 v47, s74
	v_cmp_eq_u32_e32 vcc, v19, v2
	s_waitcnt lgkmcnt(3)
	v_lshrrev_b32_e32 v21, 16, v14
	s_waitcnt lgkmcnt(0)
	v_or_b32_sdwa v1, v17, v18 dst_sel:DWORD dst_unused:UNUSED_PAD src0_sel:DWORD src1_sel:WORD_0
	v_cndmask_b32_e32 v14, v47, v14, vcc
	v_cmp_ne_u32_e32 vcc, v19, v2
	v_and_b32_e32 v14, 0xffff, v14
	v_lshrrev_b32_e32 v20, 16, v15
	v_cndmask_b32_e64 v17, 0, 1, vcc
	v_cmp_eq_u32_e32 vcc, v2, v3
	v_lshl_or_b32 v56, v17, 16, v14
	v_lshrrev_b32_e32 v42, 16, v16
	v_cndmask_b32_e32 v14, v47, v21, vcc
	v_cmp_eq_u32_e32 vcc, v4, v5
	v_and_b32_e32 v14, 0xffff, v14
	v_lshrrev_b32_e32 v46, 16, v6
	v_cndmask_b32_e32 v17, v47, v20, vcc
	v_cmp_eq_u32_e32 vcc, v3, v4
	v_and_b32_e32 v17, 0xffff, v17
	;; [unrolled: 4-line block ×3, first 2 shown]
	v_lshrrev_b32_e32 v44, 16, v8
	v_cndmask_b32_e32 v16, v47, v16, vcc
	v_cmp_ne_u32_e32 vcc, v3, v4
	v_lshrrev_b32_e32 v43, 16, v9
	v_and_b32_e32 v16, 0xffff, v16
	v_cndmask_b32_e64 v18, 0, 1, vcc
	v_cmp_ne_u32_e32 vcc, v5, v22
	v_lshl_or_b32 v20, v18, 16, v15
	v_cmp_ne_u32_e64 s[8:9], v23, v40
	v_cndmask_b32_e64 v15, 0, 1, vcc
	v_cmp_ne_u32_e32 vcc, v2, v3
	v_lshl_or_b32 v18, v15, 16, v16
	v_lshrrev_b32_e32 v16, 16, v11
	v_cndmask_b32_e64 v2, 0, 1, vcc
	v_cmp_ne_u32_e32 vcc, v4, v5
	v_lshl_or_b32 v21, v2, 16, v14
	v_cndmask_b32_e64 v59, v41, v47, s[8:9]
	v_cndmask_b32_e64 v2, 0, 1, vcc
	v_cmp_eq_u32_e32 vcc, v22, v38
	v_lshl_or_b32 v19, v2, 16, v17
	v_lshrrev_b32_e32 v17, 16, v10
	v_cndmask_b32_e32 v2, v47, v42, vcc
	v_cmp_ne_u32_e32 vcc, v22, v38
	v_and_b32_e32 v2, 0xffff, v2
	s_mov_b64 s[10:11], -1
	v_cndmask_b32_e64 v3, 0, 1, vcc
	v_cmp_eq_u32_e32 vcc, v39, v36
	v_lshl_or_b32 v57, v3, 16, v2
                                        ; implicit-def: $sgpr4
	s_nop 0
	v_cndmask_b32_e32 v2, v47, v46, vcc
	v_cmp_eq_u32_e32 vcc, v37, v34
	v_and_b32_e32 v2, 0xffff, v2
	s_nop 0
	v_cndmask_b32_e32 v3, v47, v45, vcc
	v_cmp_eq_u32_e32 vcc, v35, v32
	v_and_b32_e32 v15, 0xffff, v3
	;; [unrolled: 4-line block ×7, first 2 shown]
	s_nop 0
	v_cndmask_b32_e32 v9, v47, v9, vcc
	v_cmp_ne_u32_e32 vcc, v38, v39
	v_and_b32_e32 v3, 0xffff, v9
	s_nop 0
	v_cndmask_b32_e64 v8, 0, 1, vcc
	v_cmp_ne_u32_e32 vcc, v36, v37
	v_lshl_or_b32 v9, v8, 16, v6
	s_nop 0
	v_cndmask_b32_e64 v6, 0, 1, vcc
	v_cmp_ne_u32_e32 vcc, v34, v35
	v_lshl_or_b32 v7, v6, 16, v7
	;; [unrolled: 4-line block ×6, first 2 shown]
	v_lshrrev_b32_e32 v15, 16, v12
	v_cndmask_b32_e64 v2, 0, 1, vcc
	v_cmp_ne_u32_e32 vcc, v33, v26
	v_lshl_or_b32 v4, v2, 16, v4
	s_nop 0
	v_cndmask_b32_e64 v2, 0, 1, vcc
	v_lshl_or_b32 v2, v2, 16, v14
	v_lshrrev_b32_e32 v14, 16, v13
	v_cmp_eq_u32_e32 vcc, v31, v23
	s_nop 1
	v_cndmask_b32_e32 v14, v47, v14, vcc
	v_cmp_eq_u32_e32 vcc, v29, v30
	s_nop 1
	v_cndmask_b32_e32 v15, v47, v15, vcc
	v_cmp_eq_u32_e32 vcc, v25, v28
	v_and_b32_e32 v15, 0xffff, v15
	s_nop 0
	v_cndmask_b32_e32 v16, v47, v16, vcc
	v_cmp_eq_u32_e32 vcc, v27, v24
	v_and_b32_e32 v32, 0xffff, v16
	;; [unrolled: 4-line block ×3, first 2 shown]
	v_and_b32_e32 v17, 0xffff, v14
	v_cndmask_b32_e32 v13, v47, v13, vcc
	v_cmp_eq_u32_e32 vcc, v28, v29
	v_and_b32_e32 v13, 0xffff, v13
	s_nop 0
	v_cndmask_b32_e32 v12, v47, v12, vcc
	v_cmp_eq_u32_e32 vcc, v24, v25
	v_and_b32_e32 v12, 0xffff, v12
	s_nop 0
	;; [unrolled: 4-line block ×3, first 2 shown]
	v_cndmask_b32_e32 v10, v47, v10, vcc
	v_cmp_ne_u32_e32 vcc, v30, v31
	v_and_b32_e32 v10, 0xffff, v10
	s_nop 0
	v_cndmask_b32_e64 v14, 0, 1, vcc
	v_cmp_ne_u32_e32 vcc, v28, v29
	v_lshl_or_b32 v16, v14, 16, v13
	s_nop 0
	v_cndmask_b32_e64 v13, 0, 1, vcc
	v_cmp_ne_u32_e32 vcc, v24, v25
	v_lshl_or_b32 v14, v13, 16, v12
	;; [unrolled: 4-line block ×7, first 2 shown]
	s_nop 0
	v_cndmask_b32_e64 v11, 0, 1, vcc
	v_lshl_or_b32 v11, v11, 16, v22
.LBB1564_136:
	v_mov_b32_e32 v32, s4
	s_and_saveexec_b64 s[0:1], s[10:11]
; %bb.137:
	v_mov_b32_e32 v22, 0x10000
	v_cndmask_b32_e64 v22, 0, v22, s[8:9]
	v_or_b32_sdwa v32, v22, v59 dst_sel:DWORD dst_unused:UNUSED_PAD src0_sel:DWORD src1_sel:WORD_0
; %bb.138:
	s_or_b64 exec, exec, s[0:1]
	s_cmp_lg_u32 s67, 0
	v_mbcnt_lo_u32_b32 v33, -1, 0
	s_barrier
	s_cbranch_scc0 .LBB1564_227
; %bb.139:
	s_mov_b32 s0, 0x10000
	v_cmp_gt_u32_e64 s[4:5], s0, v56
	v_cmp_gt_u32_e64 s[6:7], s0, v21
	v_cmp_gt_u32_e64 s[8:9], s0, v20
	v_cndmask_b32_e64 v22, 0, v1, s[4:5]
	v_add_u16_e32 v22, v22, v56
	v_cndmask_b32_e64 v22, 0, v22, s[6:7]
	v_add_u16_e32 v22, v22, v21
	v_cndmask_b32_e64 v22, 0, v22, s[8:9]
	v_add_u16_e32 v22, v22, v20
	v_cmp_gt_u32_e64 s[10:11], s0, v19
	v_cmp_gt_u32_e64 s[12:13], s0, v18
	v_cmp_gt_u32_e64 s[14:15], s0, v57
	v_cndmask_b32_e64 v22, 0, v22, s[10:11]
	v_add_u16_e32 v22, v22, v19
	v_cndmask_b32_e64 v22, 0, v22, s[12:13]
	v_add_u16_e32 v22, v22, v18
	v_cndmask_b32_e64 v22, 0, v22, s[14:15]
	v_add_u16_e32 v22, v22, v57
	;; [unrolled: 9-line block ×5, first 2 shown]
	v_cmp_gt_u32_e64 s[36:37], s0, v11
	v_cmp_gt_u32_e64 s[38:39], s0, v12
	v_or3_b32 v25, v32, v17, v16
	v_cndmask_b32_e64 v22, 0, v22, s[36:37]
	v_add_u16_e32 v22, v22, v11
	v_cndmask_b32_e64 v22, 0, v22, s[38:39]
	v_add_u16_e32 v22, v22, v12
	v_cmp_gt_u32_e64 s[40:41], s0, v13
	v_or3_b32 v25, v25, v15, v14
	v_or3_b32 v25, v25, v13, v12
	v_cndmask_b32_e64 v22, 0, v22, s[40:41]
	v_add_u16_e32 v22, v22, v13
	v_cmp_gt_u32_e64 s[42:43], s0, v14
	v_or3_b32 v25, v25, v11, v10
	v_or3_b32 v25, v25, v2, v3
	;; [unrolled: 5-line block ×5, first 2 shown]
	v_cndmask_b32_e64 v22, 0, v22, s[48:49]
	v_add_u16_e32 v22, v22, v17
	v_cmp_gt_u32_e32 vcc, s0, v32
	v_and_b32_e32 v25, 0x10000, v25
	v_and_b32_e32 v23, 0x10000, v1
	v_cndmask_b32_e32 v24, 0, v22, vcc
	v_mov_b32_e32 v26, 0x10000
	v_cmp_ne_u32_e32 vcc, 0, v25
	v_add_u16_e32 v22, v24, v32
	v_add_u16_e32 v24, v24, v32
	v_cndmask_b32_e32 v26, v23, v26, vcc
	v_mbcnt_hi_u32_b32 v25, -1, v33
	v_and_b32_e32 v27, 15, v25
	v_or_b32_e32 v24, v26, v24
	v_lshrrev_b32_e32 v23, 16, v26
	v_cmp_ne_u32_e32 vcc, 0, v27
	v_mov_b32_dpp v28, v24 row_shr:1 row_mask:0xf bank_mask:0xf
	s_and_saveexec_b64 s[0:1], vcc
	s_cbranch_execz .LBB1564_141
; %bb.140:
	v_cmp_eq_u32_e32 vcc, 0, v26
	v_and_b32_e32 v23, 0x10000, v26
	v_mov_b32_e32 v26, 1
	v_cndmask_b32_e32 v24, 0, v28, vcc
	v_and_b32_sdwa v26, v28, v26 dst_sel:DWORD dst_unused:UNUSED_PAD src0_sel:WORD_1 src1_sel:DWORD
	v_cmp_ne_u32_e32 vcc, 0, v23
	v_add_u16_e32 v29, v24, v22
	v_add_u16_e32 v22, v24, v22
	v_cndmask_b32_e64 v23, v26, 1, vcc
	v_lshlrev_b32_e32 v26, 16, v23
	v_or_b32_e32 v24, v26, v22
	v_mov_b32_e32 v22, v29
.LBB1564_141:
	s_or_b64 exec, exec, s[0:1]
	v_lshrrev_b32_e32 v26, 16, v24
	v_mov_b32_dpp v28, v24 row_shr:2 row_mask:0xf bank_mask:0xf
	v_cmp_lt_u32_e32 vcc, 1, v27
	s_and_saveexec_b64 s[0:1], vcc
	s_cbranch_execz .LBB1564_143
; %bb.142:
	s_mov_b32 s50, 0x10000
	v_cmp_gt_u32_e32 vcc, s50, v24
	v_and_b32_e32 v23, 0x10000, v24
	v_mov_b32_e32 v24, 1
	v_cndmask_b32_e32 v26, 0, v28, vcc
	v_and_b32_sdwa v24, v28, v24 dst_sel:DWORD dst_unused:UNUSED_PAD src0_sel:WORD_1 src1_sel:DWORD
	v_cmp_ne_u32_e32 vcc, 0, v23
	v_add_u16_e32 v29, v26, v22
	v_add_u16_e32 v22, v26, v22
	v_cndmask_b32_e64 v23, v24, 1, vcc
	v_lshlrev_b32_e32 v24, 16, v23
	v_or_b32_e32 v24, v24, v22
	v_mov_b32_e32 v26, v23
	v_mov_b32_e32 v22, v29
.LBB1564_143:
	s_or_b64 exec, exec, s[0:1]
	v_mov_b32_dpp v28, v24 row_shr:4 row_mask:0xf bank_mask:0xf
	v_cmp_lt_u32_e32 vcc, 3, v27
	s_and_saveexec_b64 s[0:1], vcc
	s_cbranch_execz .LBB1564_145
; %bb.144:
	v_cmp_eq_u16_e32 vcc, 0, v26
	v_and_b32_e32 v23, 1, v26
	v_mov_b32_e32 v26, 1
	v_cndmask_b32_e32 v24, 0, v28, vcc
	v_and_b32_sdwa v26, v28, v26 dst_sel:DWORD dst_unused:UNUSED_PAD src0_sel:WORD_1 src1_sel:DWORD
	v_cmp_eq_u32_e32 vcc, 1, v23
	v_add_u16_e32 v29, v24, v22
	v_add_u16_e32 v22, v24, v22
	v_cndmask_b32_e64 v23, v26, 1, vcc
	v_lshlrev_b32_e32 v26, 16, v23
	v_or_b32_e32 v24, v26, v22
	v_mov_b32_e32 v26, v23
	v_mov_b32_e32 v22, v29
.LBB1564_145:
	s_or_b64 exec, exec, s[0:1]
	v_mov_b32_dpp v28, v24 row_shr:8 row_mask:0xf bank_mask:0xf
	v_cmp_lt_u32_e32 vcc, 7, v27
	s_and_saveexec_b64 s[0:1], vcc
	s_cbranch_execz .LBB1564_147
; %bb.146:
	v_cmp_eq_u16_e32 vcc, 0, v26
	v_and_b32_e32 v23, 1, v26
	v_mov_b32_e32 v26, 1
	v_cndmask_b32_e32 v24, 0, v28, vcc
	v_and_b32_sdwa v26, v28, v26 dst_sel:DWORD dst_unused:UNUSED_PAD src0_sel:WORD_1 src1_sel:DWORD
	v_cmp_eq_u32_e32 vcc, 1, v23
	v_add_u16_e32 v27, v24, v22
	v_add_u16_e32 v22, v24, v22
	v_cndmask_b32_e64 v23, v26, 1, vcc
	v_lshlrev_b32_e32 v26, 16, v23
	v_or_b32_e32 v24, v26, v22
	v_mov_b32_e32 v26, v23
	v_mov_b32_e32 v22, v27
.LBB1564_147:
	s_or_b64 exec, exec, s[0:1]
	v_and_b32_e32 v28, 16, v25
	v_mov_b32_dpp v27, v24 row_bcast:15 row_mask:0xf bank_mask:0xf
	v_cmp_ne_u32_e32 vcc, 0, v28
	s_and_saveexec_b64 s[0:1], vcc
	s_cbranch_execz .LBB1564_149
; %bb.148:
	v_cmp_eq_u16_e32 vcc, 0, v26
	v_and_b32_e32 v23, 1, v26
	v_mov_b32_e32 v26, 1
	v_cndmask_b32_e32 v24, 0, v27, vcc
	v_and_b32_sdwa v26, v27, v26 dst_sel:DWORD dst_unused:UNUSED_PAD src0_sel:WORD_1 src1_sel:DWORD
	v_cmp_eq_u32_e32 vcc, 1, v23
	v_add_u16_e32 v28, v24, v22
	v_add_u16_e32 v22, v24, v22
	v_cndmask_b32_e64 v23, v26, 1, vcc
	v_lshlrev_b32_e32 v26, 16, v23
	v_or_b32_e32 v24, v26, v22
	v_mov_b32_e32 v26, v23
	v_mov_b32_e32 v22, v28
.LBB1564_149:
	s_or_b64 exec, exec, s[0:1]
	v_mov_b32_dpp v24, v24 row_bcast:31 row_mask:0xf bank_mask:0xf
	v_cmp_lt_u32_e32 vcc, 31, v25
	s_and_saveexec_b64 s[0:1], vcc
; %bb.150:
	v_cmp_eq_u16_e32 vcc, 0, v26
	s_nop 1
	v_cndmask_b32_e32 v23, 0, v24, vcc
	v_add_u16_e32 v22, v23, v22
	v_and_b32_e32 v23, 1, v26
	v_mov_b32_e32 v26, 1
	v_and_b32_sdwa v24, v24, v26 dst_sel:DWORD dst_unused:UNUSED_PAD src0_sel:WORD_1 src1_sel:DWORD
	v_cmp_eq_u32_e32 vcc, 1, v23
	s_nop 1
	v_cndmask_b32_e64 v23, v24, 1, vcc
; %bb.151:
	s_or_b64 exec, exec, s[0:1]
	v_or_b32_e32 v26, 63, v0
	v_lshrrev_b32_e32 v24, 6, v0
	v_cmp_eq_u32_e32 vcc, v26, v0
	s_and_saveexec_b64 s[0:1], vcc
	s_cbranch_execz .LBB1564_153
; %bb.152:
	v_lshlrev_b32_e32 v26, 2, v24
	ds_write_b16 v26, v22
	ds_write_b8 v26, v23 offset:2
.LBB1564_153:
	s_or_b64 exec, exec, s[0:1]
	v_cmp_gt_u32_e32 vcc, 4, v0
	s_waitcnt lgkmcnt(0)
	s_barrier
	s_and_saveexec_b64 s[0:1], vcc
	s_cbranch_execz .LBB1564_159
; %bb.154:
	v_lshlrev_b32_e32 v26, 2, v0
	ds_read_b32 v27, v26
	v_and_b32_e32 v30, 3, v25
	v_cmp_ne_u32_e32 vcc, 0, v30
	s_waitcnt lgkmcnt(0)
	v_lshrrev_b32_e32 v29, 16, v27
	v_mov_b32_dpp v31, v27 row_shr:1 row_mask:0xf bank_mask:0xf
	v_mov_b32_e32 v28, v27
	s_and_saveexec_b64 s[50:51], vcc
	s_cbranch_execz .LBB1564_156
; %bb.155:
	v_mov_b32_e32 v28, 0
	v_cmp_eq_u16_sdwa vcc, v29, v28 src0_sel:BYTE_0 src1_sel:DWORD
	v_and_b32_e32 v29, 0x10000, v27
	v_mov_b32_e32 v36, 1
	v_cndmask_b32_e32 v35, 0, v31, vcc
	v_and_b32_sdwa v31, v31, v36 dst_sel:DWORD dst_unused:UNUSED_PAD src0_sel:WORD_1 src1_sel:DWORD
	v_cmp_ne_u32_e32 vcc, 0, v29
	v_and_b32_e32 v34, 0xff000000, v27
	v_add_u16_e32 v28, v35, v27
	v_cndmask_b32_e64 v29, v31, 1, vcc
	v_lshlrev_b32_e32 v31, 16, v29
	v_add_u16_e32 v27, v35, v27
	v_or3_b32 v27, v31, v34, v27
.LBB1564_156:
	s_or_b64 exec, exec, s[50:51]
	s_nop 0
	v_mov_b32_dpp v31, v27 row_shr:2 row_mask:0xf bank_mask:0xf
	v_cmp_lt_u32_e32 vcc, 1, v30
	s_and_saveexec_b64 s[50:51], vcc
; %bb.157:
	v_and_b32_e32 v29, 0xff0000, v27
	v_cmp_eq_u32_e32 vcc, 0, v29
	v_and_b32_e32 v27, 0x10000, v27
	s_nop 0
	v_cndmask_b32_e32 v29, 0, v31, vcc
	v_add_u16_e32 v28, v29, v28
	v_mov_b32_e32 v29, 1
	v_and_b32_sdwa v29, v31, v29 dst_sel:DWORD dst_unused:UNUSED_PAD src0_sel:WORD_1 src1_sel:DWORD
	v_cmp_eq_u32_e32 vcc, 0, v27
	s_nop 1
	v_cndmask_b32_e32 v29, 1, v29, vcc
; %bb.158:
	s_or_b64 exec, exec, s[50:51]
	ds_write_b16 v26, v28
	ds_write_b8 v26, v29 offset:2
.LBB1564_159:
	s_or_b64 exec, exec, s[0:1]
	v_cmp_gt_u32_e32 vcc, 64, v0
	v_cmp_lt_u32_e64 s[0:1], 63, v0
	v_mov_b32_e32 v34, 0
	v_mov_b32_e32 v35, 0
	s_waitcnt lgkmcnt(0)
	s_barrier
	s_and_saveexec_b64 s[50:51], s[0:1]
	s_cbranch_execz .LBB1564_161
; %bb.160:
	v_lshl_add_u32 v24, v24, 2, -4
	ds_read_u16 v34, v24
	ds_read_u8 v35, v24 offset:2
	v_and_b32_e32 v26, 1, v23
	v_cmp_eq_u16_e64 s[0:1], 0, v23
	s_waitcnt lgkmcnt(1)
	s_nop 0
	v_cndmask_b32_e64 v23, 0, v34, s[0:1]
	v_cmp_eq_u32_e64 s[0:1], 1, v26
	v_add_u16_e32 v22, v23, v22
	s_waitcnt lgkmcnt(0)
	v_cndmask_b32_e64 v23, v35, 1, s[0:1]
.LBB1564_161:
	s_or_b64 exec, exec, s[50:51]
	v_and_b32_e32 v23, 0xff, v23
	v_and_b32_e32 v22, 0xffff, v22
	v_lshl_or_b32 v22, v23, 16, v22
	v_add_u32_e32 v23, -1, v25
	v_and_b32_e32 v24, 64, v25
	v_cmp_lt_i32_e64 s[0:1], v23, v24
	v_cmp_eq_u32_e64 s[50:51], 0, v25
	s_nop 0
	v_cndmask_b32_e64 v23, v23, v25, s[0:1]
	v_lshlrev_b32_e32 v23, 2, v23
	ds_bpermute_b32 v36, v23, v22
	s_and_saveexec_b64 s[0:1], vcc
	s_cbranch_execz .LBB1564_204
; %bb.162:
	v_mov_b32_e32 v29, 0
	ds_read_b32 v22, v29 offset:12
	s_and_saveexec_b64 s[56:57], s[50:51]
	s_cbranch_execz .LBB1564_164
; %bb.163:
	s_add_i32 s58, s67, 64
	s_mov_b32 s59, 0
	s_lshl_b64 s[58:59], s[58:59], 3
	s_add_u32 s58, s64, s58
	v_mov_b32_e32 v23, 1
	s_addc_u32 s59, s65, s59
	s_waitcnt lgkmcnt(0)
	global_store_dwordx2 v29, v[22:23], s[58:59] sc1
.LBB1564_164:
	s_or_b64 exec, exec, s[56:57]
	v_xad_u32 v24, v25, -1, s67
	v_add_u32_e32 v28, 64, v24
	v_lshl_add_u64 v[30:31], v[28:29], 3, s[64:65]
	global_load_dwordx2 v[26:27], v[30:31], off sc1
	s_waitcnt vmcnt(0)
	v_cmp_eq_u16_sdwa s[58:59], v27, v29 src0_sel:BYTE_0 src1_sel:DWORD
	s_and_saveexec_b64 s[56:57], s[58:59]
	s_cbranch_execz .LBB1564_168
; %bb.165:
	s_mov_b64 s[58:59], 0
	v_mov_b32_e32 v23, 0
.LBB1564_166:                           ; =>This Inner Loop Header: Depth=1
	global_load_dwordx2 v[26:27], v[30:31], off sc1
	s_waitcnt vmcnt(0)
	v_cmp_ne_u16_sdwa s[60:61], v27, v23 src0_sel:BYTE_0 src1_sel:DWORD
	s_or_b64 s[58:59], s[60:61], s[58:59]
	s_andn2_b64 exec, exec, s[58:59]
	s_cbranch_execnz .LBB1564_166
; %bb.167:
	s_or_b64 exec, exec, s[58:59]
.LBB1564_168:
	s_or_b64 exec, exec, s[56:57]
	v_mov_b32_e32 v23, 2
	v_cmp_eq_u16_sdwa s[56:57], v27, v23 src0_sel:BYTE_0 src1_sel:DWORD
	v_lshlrev_b64 v[28:29], v25, -1
	v_and_b32_e32 v48, 0xffffff, v26
	v_and_b32_e32 v23, s57, v29
	v_or_b32_e32 v23, 0x80000000, v23
	v_ffbl_b32_e32 v23, v23
	v_add_u32_e32 v31, 32, v23
	v_and_b32_e32 v23, 63, v25
	v_cmp_ne_u32_e32 vcc, 63, v23
	v_and_b32_e32 v30, s56, v28
	v_ffbl_b32_e32 v30, v30
	v_addc_co_u32_e32 v37, vcc, 0, v25, vcc
	v_lshlrev_b32_e32 v37, 2, v37
	ds_bpermute_b32 v38, v37, v48
	v_min_u32_e32 v31, v30, v31
	v_lshrrev_b32_e32 v30, 16, v26
	v_cmp_lt_u32_e32 vcc, v23, v31
	v_bfe_u32 v46, v26, 16, 8
	s_and_saveexec_b64 s[56:57], vcc
	s_cbranch_execz .LBB1564_170
; %bb.169:
	v_and_b32_e32 v30, 0xff0000, v26
	v_cmp_eq_u32_e32 vcc, 0, v30
	v_and_b32_e32 v30, 0x10000, v30
	v_mov_b32_e32 v41, 1
	s_waitcnt lgkmcnt(0)
	v_cndmask_b32_e32 v39, 0, v38, vcc
	v_and_b32_sdwa v38, v38, v41 dst_sel:DWORD dst_unused:UNUSED_PAD src0_sel:WORD_1 src1_sel:DWORD
	v_cmp_ne_u32_e32 vcc, 0, v30
	v_add_u16_e32 v40, v39, v26
	v_add_u16_e32 v26, v39, v26
	v_cndmask_b32_e64 v30, v38, 1, vcc
	v_lshlrev_b32_e32 v38, 16, v30
	v_or_b32_e32 v48, v38, v26
	v_mov_b32_e32 v26, v40
	v_mov_b32_e32 v46, v30
.LBB1564_170:
	s_or_b64 exec, exec, s[56:57]
	v_cmp_gt_u32_e32 vcc, 62, v23
	v_add_u32_e32 v39, 2, v23
	s_waitcnt lgkmcnt(0)
	v_cndmask_b32_e64 v38, 0, 1, vcc
	v_lshlrev_b32_e32 v38, 1, v38
	v_add_lshl_u32 v38, v38, v25, 2
	ds_bpermute_b32 v40, v38, v48
	v_cmp_le_u32_e32 vcc, v39, v31
	s_and_saveexec_b64 s[56:57], vcc
	s_cbranch_execz .LBB1564_172
; %bb.171:
	v_cmp_eq_u16_e32 vcc, 0, v46
	v_and_b32_e32 v30, 1, v46
	v_mov_b32_e32 v43, 1
	s_waitcnt lgkmcnt(0)
	v_cndmask_b32_e32 v41, 0, v40, vcc
	v_and_b32_sdwa v40, v40, v43 dst_sel:DWORD dst_unused:UNUSED_PAD src0_sel:WORD_1 src1_sel:DWORD
	v_cmp_eq_u32_e32 vcc, 1, v30
	v_add_u16_e32 v42, v41, v26
	v_add_u16_e32 v26, v41, v26
	v_cndmask_b32_e64 v30, v40, 1, vcc
	v_lshlrev_b32_e32 v40, 16, v30
	v_or_b32_e32 v48, v40, v26
	v_mov_b32_e32 v26, v42
	v_mov_b32_e32 v46, v30
.LBB1564_172:
	s_or_b64 exec, exec, s[56:57]
	v_cmp_gt_u32_e32 vcc, 60, v23
	v_add_u32_e32 v41, 4, v23
	s_waitcnt lgkmcnt(0)
	v_cndmask_b32_e64 v40, 0, 1, vcc
	v_lshlrev_b32_e32 v40, 2, v40
	v_add_lshl_u32 v40, v40, v25, 2
	ds_bpermute_b32 v42, v40, v48
	v_cmp_le_u32_e32 vcc, v41, v31
	s_and_saveexec_b64 s[56:57], vcc
	s_cbranch_execz .LBB1564_174
; %bb.173:
	v_cmp_eq_u16_e32 vcc, 0, v46
	v_and_b32_e32 v30, 1, v46
	v_mov_b32_e32 v45, 1
	s_waitcnt lgkmcnt(0)
	v_cndmask_b32_e32 v43, 0, v42, vcc
	v_and_b32_sdwa v42, v42, v45 dst_sel:DWORD dst_unused:UNUSED_PAD src0_sel:WORD_1 src1_sel:DWORD
	v_cmp_eq_u32_e32 vcc, 1, v30
	v_add_u16_e32 v44, v43, v26
	v_add_u16_e32 v26, v43, v26
	v_cndmask_b32_e64 v30, v42, 1, vcc
	v_lshlrev_b32_e32 v42, 16, v30
	v_or_b32_e32 v48, v42, v26
	v_mov_b32_e32 v26, v44
	v_mov_b32_e32 v46, v30
.LBB1564_174:
	;; [unrolled: 27-line block ×4, first 2 shown]
	s_or_b64 exec, exec, s[56:57]
	v_cmp_gt_u32_e32 vcc, 32, v23
	s_waitcnt lgkmcnt(0)
	s_nop 0
	v_cndmask_b32_e64 v47, 0, 1, vcc
	v_lshlrev_b32_e32 v47, 5, v47
	v_add_lshl_u32 v47, v47, v25, 2
	ds_bpermute_b32 v25, v47, v48
	v_add_u32_e32 v48, 32, v23
	v_cmp_le_u32_e32 vcc, v48, v31
	s_and_saveexec_b64 s[56:57], vcc
	s_cbranch_execz .LBB1564_180
; %bb.179:
	v_cmp_eq_u16_e32 vcc, 0, v46
	v_mov_b32_e32 v31, 1
	s_waitcnt lgkmcnt(0)
	v_cndmask_b32_e32 v30, 0, v25, vcc
	v_add_u16_e32 v26, v30, v26
	v_and_b32_e32 v30, 1, v46
	v_and_b32_sdwa v25, v25, v31 dst_sel:DWORD dst_unused:UNUSED_PAD src0_sel:WORD_1 src1_sel:DWORD
	v_cmp_eq_u32_e32 vcc, 1, v30
	s_nop 1
	v_cndmask_b32_e64 v30, v25, 1, vcc
.LBB1564_180:
	s_or_b64 exec, exec, s[56:57]
	s_waitcnt lgkmcnt(0)
	v_mov_b32_e32 v25, 0
	v_mov_b32_e32 v52, 2
	;; [unrolled: 1-line block ×3, first 2 shown]
	s_branch .LBB1564_182
.LBB1564_181:                           ;   in Loop: Header=BB1564_182 Depth=1
	s_or_b64 exec, exec, s[56:57]
	v_cmp_eq_u16_sdwa vcc, v46, v25 src0_sel:BYTE_0 src1_sel:DWORD
	v_and_b32_e32 v30, 1, v46
	v_and_b32_e32 v31, 1, v31
	v_cndmask_b32_e32 v26, 0, v26, vcc
	v_cmp_eq_u32_e32 vcc, 1, v30
	v_subrev_u32_e32 v24, 64, v24
	v_add_u16_e32 v26, v26, v49
	v_cndmask_b32_e64 v30, v31, 1, vcc
.LBB1564_182:                           ; =>This Loop Header: Depth=1
                                        ;     Child Loop BB1564_185 Depth 2
	v_cmp_ne_u16_sdwa s[56:57], v27, v52 src0_sel:BYTE_0 src1_sel:DWORD
	v_mov_b32_e32 v46, v30
	v_mov_b32_e32 v49, v26
	v_cndmask_b32_e64 v27, 0, 1, s[56:57]
	;;#ASMSTART
	;;#ASMEND
	s_nop 0
	v_cmp_ne_u32_e32 vcc, 0, v27
	s_cmp_lg_u64 vcc, exec
	s_cbranch_scc1 .LBB1564_199
; %bb.183:                              ;   in Loop: Header=BB1564_182 Depth=1
	v_lshl_add_u64 v[30:31], v[24:25], 3, s[64:65]
	global_load_dwordx2 v[26:27], v[30:31], off sc1
	s_waitcnt vmcnt(0)
	v_cmp_eq_u16_sdwa s[58:59], v27, v25 src0_sel:BYTE_0 src1_sel:DWORD
	s_and_saveexec_b64 s[56:57], s[58:59]
	s_cbranch_execz .LBB1564_187
; %bb.184:                              ;   in Loop: Header=BB1564_182 Depth=1
	s_mov_b64 s[58:59], 0
.LBB1564_185:                           ;   Parent Loop BB1564_182 Depth=1
                                        ; =>  This Inner Loop Header: Depth=2
	global_load_dwordx2 v[26:27], v[30:31], off sc1
	s_waitcnt vmcnt(0)
	v_cmp_ne_u16_sdwa s[60:61], v27, v25 src0_sel:BYTE_0 src1_sel:DWORD
	s_or_b64 s[58:59], s[60:61], s[58:59]
	s_andn2_b64 exec, exec, s[58:59]
	s_cbranch_execnz .LBB1564_185
; %bb.186:                              ;   in Loop: Header=BB1564_182 Depth=1
	s_or_b64 exec, exec, s[58:59]
.LBB1564_187:                           ;   in Loop: Header=BB1564_182 Depth=1
	s_or_b64 exec, exec, s[56:57]
	v_cmp_eq_u16_sdwa s[56:57], v27, v52 src0_sel:BYTE_0 src1_sel:DWORD
	s_waitcnt lgkmcnt(0)
	v_and_b32_e32 v55, 0xffffff, v26
	ds_bpermute_b32 v58, v37, v55
	v_and_b32_e32 v30, s57, v29
	v_or_b32_e32 v30, 0x80000000, v30
	v_and_b32_e32 v31, s56, v28
	v_ffbl_b32_e32 v30, v30
	v_add_u32_e32 v30, 32, v30
	v_ffbl_b32_e32 v31, v31
	v_min_u32_e32 v30, v31, v30
	v_lshrrev_b32_e32 v31, 16, v26
	v_cmp_lt_u32_e32 vcc, v23, v30
	v_bfe_u32 v54, v26, 16, 8
	s_and_saveexec_b64 s[56:57], vcc
	s_cbranch_execz .LBB1564_189
; %bb.188:                              ;   in Loop: Header=BB1564_182 Depth=1
	v_and_b32_e32 v31, 0xff0000, v26
	v_cmp_eq_u32_e32 vcc, 0, v31
	v_and_b32_e32 v31, 0x10000, v31
	s_waitcnt lgkmcnt(0)
	v_and_b32_sdwa v55, v58, v53 dst_sel:DWORD dst_unused:UNUSED_PAD src0_sel:WORD_1 src1_sel:DWORD
	v_cndmask_b32_e32 v54, 0, v58, vcc
	v_cmp_ne_u32_e32 vcc, 0, v31
	v_add_u16_e32 v59, v54, v26
	v_add_u16_e32 v26, v54, v26
	v_cndmask_b32_e64 v31, v55, 1, vcc
	v_lshlrev_b32_e32 v55, 16, v31
	v_or_b32_e32 v55, v55, v26
	v_mov_b32_e32 v26, v59
	v_mov_b32_e32 v54, v31
.LBB1564_189:                           ;   in Loop: Header=BB1564_182 Depth=1
	s_or_b64 exec, exec, s[56:57]
	s_waitcnt lgkmcnt(0)
	ds_bpermute_b32 v58, v38, v55
	v_cmp_le_u32_e32 vcc, v39, v30
	s_and_saveexec_b64 s[56:57], vcc
	s_cbranch_execz .LBB1564_191
; %bb.190:                              ;   in Loop: Header=BB1564_182 Depth=1
	v_cmp_eq_u16_e32 vcc, 0, v54
	v_and_b32_e32 v31, 1, v54
	s_waitcnt lgkmcnt(0)
	v_and_b32_sdwa v54, v58, v53 dst_sel:DWORD dst_unused:UNUSED_PAD src0_sel:WORD_1 src1_sel:DWORD
	v_cndmask_b32_e32 v55, 0, v58, vcc
	v_cmp_eq_u32_e32 vcc, 1, v31
	v_add_u16_e32 v59, v55, v26
	v_add_u16_e32 v26, v55, v26
	v_cndmask_b32_e64 v31, v54, 1, vcc
	v_lshlrev_b32_e32 v54, 16, v31
	v_or_b32_e32 v55, v54, v26
	v_mov_b32_e32 v26, v59
	v_mov_b32_e32 v54, v31
.LBB1564_191:                           ;   in Loop: Header=BB1564_182 Depth=1
	s_or_b64 exec, exec, s[56:57]
	s_waitcnt lgkmcnt(0)
	ds_bpermute_b32 v58, v40, v55
	v_cmp_le_u32_e32 vcc, v41, v30
	s_and_saveexec_b64 s[56:57], vcc
	s_cbranch_execz .LBB1564_193
; %bb.192:                              ;   in Loop: Header=BB1564_182 Depth=1
	v_cmp_eq_u16_e32 vcc, 0, v54
	v_and_b32_e32 v31, 1, v54
	s_waitcnt lgkmcnt(0)
	v_and_b32_sdwa v54, v58, v53 dst_sel:DWORD dst_unused:UNUSED_PAD src0_sel:WORD_1 src1_sel:DWORD
	v_cndmask_b32_e32 v55, 0, v58, vcc
	v_cmp_eq_u32_e32 vcc, 1, v31
	v_add_u16_e32 v59, v55, v26
	v_add_u16_e32 v26, v55, v26
	v_cndmask_b32_e64 v31, v54, 1, vcc
	v_lshlrev_b32_e32 v54, 16, v31
	v_or_b32_e32 v55, v54, v26
	v_mov_b32_e32 v26, v59
	v_mov_b32_e32 v54, v31
.LBB1564_193:                           ;   in Loop: Header=BB1564_182 Depth=1
	;; [unrolled: 21-line block ×4, first 2 shown]
	s_or_b64 exec, exec, s[56:57]
	ds_bpermute_b32 v55, v47, v55
	v_cmp_le_u32_e32 vcc, v48, v30
	s_and_saveexec_b64 s[56:57], vcc
	s_cbranch_execz .LBB1564_181
; %bb.198:                              ;   in Loop: Header=BB1564_182 Depth=1
	v_cmp_eq_u16_e32 vcc, 0, v54
	s_waitcnt lgkmcnt(0)
	v_lshrrev_b32_e32 v31, 16, v55
	v_cndmask_b32_e32 v30, 0, v55, vcc
	v_add_u16_e32 v26, v30, v26
	v_and_b32_e32 v30, 1, v54
	v_cmp_eq_u32_e32 vcc, 1, v30
	s_nop 1
	v_cndmask_b32_e64 v31, v31, 1, vcc
	s_branch .LBB1564_181
.LBB1564_199:                           ;   in Loop: Header=BB1564_182 Depth=1
                                        ; implicit-def: $vgpr30
                                        ; implicit-def: $vgpr26
	s_cbranch_execz .LBB1564_182
; %bb.200:
	s_and_saveexec_b64 s[56:57], s[50:51]
	s_cbranch_execz .LBB1564_202
; %bb.201:
	v_and_b32_e32 v23, 0xff0000, v22
	s_mov_b32 s59, 0
	v_cmp_eq_u32_e32 vcc, 0, v23
	v_and_b32_e32 v24, 0x10000, v22
	v_mov_b32_e32 v25, 1
	s_add_i32 s58, s67, 64
	v_cndmask_b32_e32 v23, 0, v49, vcc
	v_and_b32_sdwa v25, v46, v25 dst_sel:WORD_1 dst_unused:UNUSED_PAD src0_sel:DWORD src1_sel:DWORD
	v_mov_b32_e32 v26, 0x10000
	v_cmp_eq_u32_e32 vcc, 0, v24
	s_lshl_b64 s[58:59], s[58:59], 3
	s_add_u32 s58, s64, s58
	v_cndmask_b32_e32 v24, v26, v25, vcc
	v_add_u16_e32 v22, v23, v22
	s_addc_u32 s59, s65, s59
	v_mov_b32_e32 v25, 0
	v_or_b32_e32 v22, v24, v22
	v_mov_b32_e32 v23, 2
	global_store_dwordx2 v25, v[22:23], s[58:59] sc1
.LBB1564_202:
	s_or_b64 exec, exec, s[56:57]
	s_and_b64 exec, exec, s[52:53]
	s_cbranch_execz .LBB1564_204
; %bb.203:
	v_mov_b32_e32 v22, 0
	ds_write_b16 v22, v49 offset:12
	ds_write_b8 v22, v46 offset:14
.LBB1564_204:
	s_or_b64 exec, exec, s[0:1]
	v_mov_b32_e32 v22, 0
	s_waitcnt lgkmcnt(0)
	s_barrier
	ds_read_b32 v23, v22 offset:12
	v_lshrrev_b32_e32 v24, 16, v36
	v_cndmask_b32_e64 v24, v24, v35, s[50:51]
	v_cmp_eq_u16_sdwa vcc, v24, v22 src0_sel:BYTE_0 src1_sel:DWORD
	v_cndmask_b32_e64 v25, v36, v34, s[50:51]
	s_waitcnt lgkmcnt(0)
	v_cndmask_b32_e32 v22, 0, v23, vcc
	v_add_u16_e32 v22, v22, v25
	v_cndmask_b32_e64 v24, v22, v23, s[52:53]
	v_and_b32_e32 v22, 0xff0000, v1
	v_cmp_eq_u32_e32 vcc, 0, v22
	s_nop 1
	v_cndmask_b32_e32 v22, 0, v24, vcc
	v_add_u16_e32 v22, v22, v1
	v_cndmask_b32_e64 v23, 0, v22, s[4:5]
	v_add_u16_e32 v23, v23, v56
	v_cndmask_b32_e64 v25, 0, v23, s[6:7]
	;; [unrolled: 2-line block ×22, first 2 shown]
	v_add_u16_e32 v47, v47, v17
	s_branch .LBB1564_255
.LBB1564_205:
	s_or_b64 exec, exec, s[0:1]
                                        ; implicit-def: $vgpr3
	s_and_saveexec_b64 s[0:1], s[4:5]
	s_cbranch_execz .LBB1564_57
.LBB1564_206:
	v_lshlrev_b32_e32 v20, 1, v0
	v_mov_b32_e32 v21, 0
	v_lshl_add_u64 v[20:21], v[52:53], 0, v[20:21]
	flat_load_ushort v3, v[20:21] offset:512
	s_or_b64 exec, exec, s[0:1]
                                        ; implicit-def: $vgpr20
	s_and_saveexec_b64 s[0:1], s[6:7]
	s_cbranch_execnz .LBB1564_58
.LBB1564_207:
	s_or_b64 exec, exec, s[0:1]
                                        ; implicit-def: $vgpr21
	s_and_saveexec_b64 s[0:1], s[8:9]
	s_cbranch_execz .LBB1564_59
.LBB1564_208:
	v_lshlrev_b32_e32 v46, 1, v0
	v_mov_b32_e32 v47, 0
	v_lshl_add_u64 v[46:47], v[52:53], 0, v[46:47]
	flat_load_ushort v21, v[46:47] offset:1536
	s_or_b64 exec, exec, s[0:1]
                                        ; implicit-def: $vgpr46
	s_and_saveexec_b64 s[0:1], s[10:11]
	s_cbranch_execnz .LBB1564_60
.LBB1564_209:
	s_or_b64 exec, exec, s[0:1]
                                        ; implicit-def: $vgpr47
	s_and_saveexec_b64 s[0:1], s[12:13]
	s_cbranch_execz .LBB1564_61
.LBB1564_210:
	v_lshlrev_b32_e32 v48, 1, v0
	v_mov_b32_e32 v49, 0
	v_lshl_add_u64 v[48:49], v[52:53], 0, v[48:49]
	flat_load_ushort v47, v[48:49] offset:2560
	s_or_b64 exec, exec, s[0:1]
                                        ; implicit-def: $vgpr48
	s_and_saveexec_b64 s[0:1], s[14:15]
	s_cbranch_execnz .LBB1564_62
.LBB1564_211:
	s_or_b64 exec, exec, s[0:1]
                                        ; implicit-def: $vgpr49
	s_and_saveexec_b64 s[0:1], s[16:17]
	s_cbranch_execz .LBB1564_63
.LBB1564_212:
	v_lshlrev_b32_e32 v56, 1, v0
	v_mov_b32_e32 v57, 0
	v_lshl_add_u64 v[56:57], v[52:53], 0, v[56:57]
	flat_load_ushort v49, v[56:57] offset:3584
	s_or_b64 exec, exec, s[0:1]
                                        ; implicit-def: $vgpr56
	s_and_saveexec_b64 s[0:1], s[18:19]
	s_cbranch_execnz .LBB1564_64
.LBB1564_213:
	s_or_b64 exec, exec, s[0:1]
                                        ; implicit-def: $vgpr1
	s_and_saveexec_b64 s[0:1], s[20:21]
	s_cbranch_execz .LBB1564_65
.LBB1564_214:
	v_lshlrev_b32_e32 v60, 1, v4
	v_mov_b32_e32 v61, 0
	v_lshl_add_u64 v[60:61], v[52:53], 0, v[60:61]
	flat_load_ushort v1, v[60:61]
	s_or_b64 exec, exec, s[0:1]
                                        ; implicit-def: $vgpr4
	s_and_saveexec_b64 s[0:1], s[22:23]
	s_cbranch_execnz .LBB1564_66
.LBB1564_215:
	s_or_b64 exec, exec, s[0:1]
                                        ; implicit-def: $vgpr5
	s_and_saveexec_b64 s[0:1], s[24:25]
	s_cbranch_execz .LBB1564_67
.LBB1564_216:
	v_lshlrev_b32_e32 v60, 1, v6
	v_mov_b32_e32 v61, 0
	v_lshl_add_u64 v[60:61], v[52:53], 0, v[60:61]
	flat_load_ushort v5, v[60:61]
	s_or_b64 exec, exec, s[0:1]
                                        ; implicit-def: $vgpr6
	s_and_saveexec_b64 s[0:1], s[26:27]
	s_cbranch_execnz .LBB1564_68
.LBB1564_217:
	s_or_b64 exec, exec, s[0:1]
                                        ; implicit-def: $vgpr7
	s_and_saveexec_b64 s[0:1], s[28:29]
	s_cbranch_execz .LBB1564_69
.LBB1564_218:
	v_lshlrev_b32_e32 v60, 1, v8
	v_mov_b32_e32 v61, 0
	v_lshl_add_u64 v[60:61], v[52:53], 0, v[60:61]
	flat_load_ushort v7, v[60:61]
	s_or_b64 exec, exec, s[0:1]
                                        ; implicit-def: $vgpr8
	s_and_saveexec_b64 s[0:1], s[30:31]
	s_cbranch_execnz .LBB1564_70
.LBB1564_219:
	s_or_b64 exec, exec, s[0:1]
                                        ; implicit-def: $vgpr9
	s_and_saveexec_b64 s[0:1], s[34:35]
	s_cbranch_execz .LBB1564_71
.LBB1564_220:
	v_lshlrev_b32_e32 v60, 1, v10
	v_mov_b32_e32 v61, 0
	v_lshl_add_u64 v[60:61], v[52:53], 0, v[60:61]
	flat_load_ushort v9, v[60:61]
	s_or_b64 exec, exec, s[0:1]
                                        ; implicit-def: $vgpr10
	s_and_saveexec_b64 s[0:1], s[36:37]
	s_cbranch_execnz .LBB1564_72
.LBB1564_221:
	s_or_b64 exec, exec, s[0:1]
                                        ; implicit-def: $vgpr11
	s_and_saveexec_b64 s[0:1], s[38:39]
	s_cbranch_execz .LBB1564_73
.LBB1564_222:
	v_lshlrev_b32_e32 v60, 1, v12
	v_mov_b32_e32 v61, 0
	v_lshl_add_u64 v[60:61], v[52:53], 0, v[60:61]
	flat_load_ushort v11, v[60:61]
	s_or_b64 exec, exec, s[0:1]
                                        ; implicit-def: $vgpr12
	s_and_saveexec_b64 s[0:1], s[40:41]
	s_cbranch_execnz .LBB1564_74
.LBB1564_223:
	s_or_b64 exec, exec, s[0:1]
                                        ; implicit-def: $vgpr13
	s_and_saveexec_b64 s[0:1], s[42:43]
	s_cbranch_execz .LBB1564_75
.LBB1564_224:
	v_lshlrev_b32_e32 v60, 1, v14
	v_mov_b32_e32 v61, 0
	v_lshl_add_u64 v[60:61], v[52:53], 0, v[60:61]
	flat_load_ushort v13, v[60:61]
	s_or_b64 exec, exec, s[0:1]
                                        ; implicit-def: $vgpr14
	s_and_saveexec_b64 s[0:1], s[44:45]
	s_cbranch_execnz .LBB1564_76
.LBB1564_225:
	s_or_b64 exec, exec, s[0:1]
                                        ; implicit-def: $vgpr15
	s_and_saveexec_b64 s[0:1], s[46:47]
	s_cbranch_execz .LBB1564_77
.LBB1564_226:
	v_lshlrev_b32_e32 v60, 1, v16
	v_mov_b32_e32 v61, 0
	v_lshl_add_u64 v[60:61], v[52:53], 0, v[60:61]
	flat_load_ushort v15, v[60:61]
	s_or_b64 exec, exec, s[0:1]
                                        ; implicit-def: $vgpr16
	s_and_saveexec_b64 s[0:1], s[48:49]
	s_cbranch_execz .LBB1564_79
	s_branch .LBB1564_78
.LBB1564_227:
                                        ; implicit-def: $vgpr24
                                        ; implicit-def: $vgpr22
                                        ; implicit-def: $vgpr23
                                        ; implicit-def: $vgpr25
                                        ; implicit-def: $vgpr26
                                        ; implicit-def: $vgpr27
                                        ; implicit-def: $vgpr29
                                        ; implicit-def: $vgpr31
                                        ; implicit-def: $vgpr28
                                        ; implicit-def: $vgpr30
                                        ; implicit-def: $vgpr34
                                        ; implicit-def: $vgpr35
                                        ; implicit-def: $vgpr36
                                        ; implicit-def: $vgpr37
                                        ; implicit-def: $vgpr39
                                        ; implicit-def: $vgpr41
                                        ; implicit-def: $vgpr38
                                        ; implicit-def: $vgpr40
                                        ; implicit-def: $vgpr42
                                        ; implicit-def: $vgpr43
                                        ; implicit-def: $vgpr44
                                        ; implicit-def: $vgpr45
                                        ; implicit-def: $vgpr46
                                        ; implicit-def: $vgpr47
	s_cbranch_execz .LBB1564_255
; %bb.228:
	s_cmp_lg_u64 s[72:73], 0
	s_cselect_b32 s1, s71, 0
	s_cselect_b32 s0, s70, 0
	s_cmp_eq_u64 s[0:1], 0
	v_mov_b32_e32 v47, s74
	s_cbranch_scc1 .LBB1564_230
; %bb.229:
	v_mov_b32_e32 v22, 0
	global_load_ushort v47, v22, s[0:1]
.LBB1564_230:
	s_mov_b32 s50, 0x10000
	v_cmp_gt_u32_e32 vcc, s50, v56
	v_cmp_gt_u32_e64 s[4:5], s50, v21
	v_cmp_gt_u32_e64 s[6:7], s50, v20
	v_cndmask_b32_e32 v22, 0, v1, vcc
	v_add_u16_e32 v22, v22, v56
	v_cndmask_b32_e64 v22, 0, v22, s[4:5]
	v_add_u16_e32 v22, v22, v21
	v_cndmask_b32_e64 v22, 0, v22, s[6:7]
	v_add_u16_e32 v22, v22, v20
	v_cmp_gt_u32_e64 s[8:9], s50, v19
	v_cmp_gt_u32_e64 s[10:11], s50, v18
	v_cmp_gt_u32_e64 s[12:13], s50, v57
	v_cndmask_b32_e64 v22, 0, v22, s[8:9]
	v_add_u16_e32 v22, v22, v19
	v_cndmask_b32_e64 v22, 0, v22, s[10:11]
	v_add_u16_e32 v22, v22, v18
	v_cndmask_b32_e64 v22, 0, v22, s[12:13]
	v_add_u16_e32 v22, v22, v57
	v_cmp_gt_u32_e64 s[14:15], s50, v9
	v_cmp_gt_u32_e64 s[16:17], s50, v8
	v_cmp_gt_u32_e64 s[18:19], s50, v7
	v_cndmask_b32_e64 v22, 0, v22, s[14:15]
	v_add_u16_e32 v22, v22, v9
	v_cndmask_b32_e64 v22, 0, v22, s[16:17]
	v_add_u16_e32 v22, v22, v8
	v_cndmask_b32_e64 v22, 0, v22, s[18:19]
	v_add_u16_e32 v22, v22, v7
	v_cmp_gt_u32_e64 s[20:21], s50, v6
	v_cmp_gt_u32_e64 s[22:23], s50, v5
	v_cmp_gt_u32_e64 s[24:25], s50, v4
	v_cndmask_b32_e64 v22, 0, v22, s[20:21]
	v_add_u16_e32 v22, v22, v6
	v_cndmask_b32_e64 v22, 0, v22, s[22:23]
	v_add_u16_e32 v22, v22, v5
	v_cndmask_b32_e64 v22, 0, v22, s[24:25]
	v_add_u16_e32 v22, v22, v4
	v_cmp_gt_u32_e64 s[26:27], s50, v3
	v_cmp_gt_u32_e64 s[28:29], s50, v2
	v_cmp_gt_u32_e64 s[30:31], s50, v10
	v_cndmask_b32_e64 v22, 0, v22, s[26:27]
	v_add_u16_e32 v22, v22, v3
	v_cndmask_b32_e64 v22, 0, v22, s[28:29]
	v_add_u16_e32 v22, v22, v2
	v_cndmask_b32_e64 v22, 0, v22, s[30:31]
	v_add_u16_e32 v22, v22, v10
	v_cmp_gt_u32_e64 s[34:35], s50, v11
	v_cmp_gt_u32_e64 s[36:37], s50, v12
	v_cmp_gt_u32_e64 s[38:39], s50, v13
	v_cndmask_b32_e64 v22, 0, v22, s[34:35]
	v_add_u16_e32 v22, v22, v11
	v_cndmask_b32_e64 v22, 0, v22, s[36:37]
	v_add_u16_e32 v22, v22, v12
	v_cndmask_b32_e64 v22, 0, v22, s[38:39]
	v_add_u16_e32 v22, v22, v13
	v_cmp_gt_u32_e64 s[40:41], s50, v14
	v_bfe_u32 v25, v19, 16, 1
	v_cmp_gt_u32_e64 s[42:43], s50, v15
	v_cndmask_b32_e64 v22, 0, v22, s[40:41]
	v_add_u16_e32 v22, v22, v14
	v_lshlrev_b16_e32 v26, 1, v25
	v_mov_b32_e32 v25, 1
	v_cndmask_b32_e64 v22, 0, v22, s[42:43]
	v_and_b32_sdwa v27, v18, v25 dst_sel:DWORD dst_unused:UNUSED_PAD src0_sel:WORD_1 src1_sel:DWORD
	v_add_u16_e32 v22, v22, v15
	v_cmp_gt_u32_e64 s[44:45], s50, v16
	v_or_b32_e32 v26, v27, v26
	v_bfe_u32 v27, v21, 16, 1
	v_and_b32_sdwa v28, v20, v25 dst_sel:DWORD dst_unused:UNUSED_PAD src0_sel:WORD_1 src1_sel:DWORD
	v_cndmask_b32_e64 v22, 0, v22, s[44:45]
	v_lshlrev_b16_e32 v27, 3, v27
	v_lshlrev_b16_e32 v28, 2, v28
	v_add_u16_e32 v22, v22, v16
	v_cmp_gt_u32_e64 s[46:47], s50, v17
	v_or_b32_e32 v27, v27, v28
	v_or_b32_e32 v26, v26, v27
	v_cndmask_b32_e64 v22, 0, v22, s[46:47]
	v_and_b32_e32 v27, 0x10000, v57
	v_add_u16_e32 v22, v22, v17
	v_cmp_gt_u32_e64 s[50:51], s50, v32
	v_and_b32_e32 v28, 0x10000, v32
	v_cmp_ne_u32_e64 s[0:1], 0, v27
	v_cndmask_b32_e64 v27, 0, v22, s[50:51]
	v_cmp_ne_u32_e64 s[50:51], 0, v28
	v_or_b32_e32 v28, v16, v8
	v_or_b32_e32 v29, v17, v9
	;; [unrolled: 1-line block ×7, first 2 shown]
	v_bfe_u32 v31, v31, 16, 1
	v_bfe_u32 v29, v29, 16, 1
	v_and_b32_sdwa v28, v28, v25 dst_sel:DWORD dst_unused:UNUSED_PAD src0_sel:WORD_1 src1_sel:DWORD
	v_or_b32_e32 v36, v10, v2
	v_bfe_u32 v37, v37, 16, 1
	v_bfe_u32 v35, v35, 16, 1
	v_and_b32_sdwa v34, v34, v25 dst_sel:DWORD dst_unused:UNUSED_PAD src0_sel:WORD_1 src1_sel:DWORD
	v_lshlrev_b16_e32 v31, 1, v31
	v_and_b32_sdwa v30, v30, v25 dst_sel:DWORD dst_unused:UNUSED_PAD src0_sel:WORD_1 src1_sel:DWORD
	v_lshlrev_b16_e32 v29, 3, v29
	v_lshlrev_b16_e32 v28, 2, v28
	;; [unrolled: 1-line block ×3, first 2 shown]
	v_and_b32_sdwa v36, v36, v25 dst_sel:DWORD dst_unused:UNUSED_PAD src0_sel:WORD_1 src1_sel:DWORD
	v_lshlrev_b16_e32 v35, 3, v35
	v_lshlrev_b16_e32 v34, 2, v34
	v_or_b32_e32 v30, v30, v31
	v_or_b32_e32 v28, v29, v28
	v_or_b32_e32 v36, v36, v37
	v_or_b32_e32 v34, v35, v34
	v_or_b32_e32 v28, v30, v28
	v_or_b32_e32 v34, v36, v34
	v_lshlrev_b16_e32 v28, 4, v28
	v_or_b32_e32 v28, v34, v28
	v_or_b32_e32 v26, v28, v26
	v_mov_b32_e32 v28, 0
	v_cmp_ne_u16_sdwa s[56:57], v26, v28 src0_sel:BYTE_0 src1_sel:DWORD
	v_and_b32_e32 v24, 0x10000, v56
	s_or_b64 s[50:51], s[50:51], s[56:57]
	v_cmp_ne_u32_e64 s[48:49], 0, v24
	s_or_b64 s[0:1], s[50:51], s[0:1]
	v_mov_b32_e32 v23, 0x10000
	v_and_b32_e32 v24, 0x10000, v1
	s_or_b64 s[0:1], s[0:1], s[48:49]
	v_cndmask_b32_e64 v28, v24, v23, s[0:1]
	v_add_u16_e32 v26, v27, v32
	v_mbcnt_hi_u32_b32 v23, -1, v33
	v_add_u16_e32 v22, v27, v32
	v_and_b32_e32 v27, 15, v23
	v_or_b32_e32 v26, v28, v26
	v_lshrrev_b32_e32 v24, 16, v28
	v_cmp_ne_u32_e64 s[0:1], 0, v27
	v_mov_b32_dpp v29, v26 row_shr:1 row_mask:0xf bank_mask:0xf
	s_and_saveexec_b64 s[48:49], s[0:1]
; %bb.231:
	v_cmp_eq_u32_e64 s[0:1], 0, v28
	v_and_b32_e32 v24, 0x10000, v28
	v_and_b32_sdwa v25, v29, v25 dst_sel:DWORD dst_unused:UNUSED_PAD src0_sel:WORD_1 src1_sel:DWORD
	v_cndmask_b32_e64 v26, 0, v29, s[0:1]
	v_cmp_ne_u32_e64 s[0:1], 0, v24
	v_add_u16_e32 v30, v26, v22
	v_add_u16_e32 v22, v26, v22
	v_cndmask_b32_e64 v24, v25, 1, s[0:1]
	v_lshlrev_b32_e32 v25, 16, v24
	v_or_b32_e32 v26, v25, v22
	v_mov_b32_e32 v22, v30
; %bb.232:
	s_or_b64 exec, exec, s[48:49]
	v_lshrrev_b32_e32 v25, 16, v26
	v_mov_b32_dpp v28, v26 row_shr:2 row_mask:0xf bank_mask:0xf
	v_cmp_lt_u32_e64 s[0:1], 1, v27
	s_and_saveexec_b64 s[48:49], s[0:1]
	s_cbranch_execz .LBB1564_234
; %bb.233:
	s_mov_b32 s0, 0x10000
	v_cmp_gt_u32_e64 s[0:1], s0, v26
	v_and_b32_e32 v24, 0x10000, v26
	v_mov_b32_e32 v26, 1
	v_cndmask_b32_e64 v25, 0, v28, s[0:1]
	v_and_b32_sdwa v26, v28, v26 dst_sel:DWORD dst_unused:UNUSED_PAD src0_sel:WORD_1 src1_sel:DWORD
	v_cmp_ne_u32_e64 s[0:1], 0, v24
	v_add_u16_e32 v29, v25, v22
	v_add_u16_e32 v22, v25, v22
	v_cndmask_b32_e64 v24, v26, 1, s[0:1]
	v_lshlrev_b32_e32 v26, 16, v24
	v_or_b32_e32 v26, v26, v22
	v_mov_b32_e32 v25, v24
	v_mov_b32_e32 v22, v29
.LBB1564_234:
	s_or_b64 exec, exec, s[48:49]
	v_mov_b32_dpp v28, v26 row_shr:4 row_mask:0xf bank_mask:0xf
	v_cmp_lt_u32_e64 s[0:1], 3, v27
	s_and_saveexec_b64 s[48:49], s[0:1]
	s_cbranch_execz .LBB1564_236
; %bb.235:
	v_cmp_eq_u16_e64 s[0:1], 0, v25
	v_and_b32_e32 v24, 1, v25
	v_mov_b32_e32 v25, 1
	v_cndmask_b32_e64 v26, 0, v28, s[0:1]
	v_and_b32_sdwa v25, v28, v25 dst_sel:DWORD dst_unused:UNUSED_PAD src0_sel:WORD_1 src1_sel:DWORD
	v_cmp_eq_u32_e64 s[0:1], 1, v24
	v_add_u16_e32 v29, v26, v22
	v_add_u16_e32 v22, v26, v22
	v_cndmask_b32_e64 v24, v25, 1, s[0:1]
	v_lshlrev_b32_e32 v25, 16, v24
	v_or_b32_e32 v26, v25, v22
	v_mov_b32_e32 v25, v24
	v_mov_b32_e32 v22, v29
.LBB1564_236:
	s_or_b64 exec, exec, s[48:49]
	v_mov_b32_dpp v28, v26 row_shr:8 row_mask:0xf bank_mask:0xf
	v_cmp_lt_u32_e64 s[0:1], 7, v27
	s_and_saveexec_b64 s[48:49], s[0:1]
	s_cbranch_execz .LBB1564_238
; %bb.237:
	v_cmp_eq_u16_e64 s[0:1], 0, v25
	v_and_b32_e32 v24, 1, v25
	v_mov_b32_e32 v25, 1
	v_cndmask_b32_e64 v26, 0, v28, s[0:1]
	v_and_b32_sdwa v25, v28, v25 dst_sel:DWORD dst_unused:UNUSED_PAD src0_sel:WORD_1 src1_sel:DWORD
	v_cmp_eq_u32_e64 s[0:1], 1, v24
	v_add_u16_e32 v27, v26, v22
	v_add_u16_e32 v22, v26, v22
	v_cndmask_b32_e64 v24, v25, 1, s[0:1]
	v_lshlrev_b32_e32 v25, 16, v24
	v_or_b32_e32 v26, v25, v22
	v_mov_b32_e32 v25, v24
	v_mov_b32_e32 v22, v27
.LBB1564_238:
	s_or_b64 exec, exec, s[48:49]
	v_and_b32_e32 v28, 16, v23
	v_mov_b32_dpp v27, v26 row_bcast:15 row_mask:0xf bank_mask:0xf
	v_cmp_ne_u32_e64 s[0:1], 0, v28
	s_and_saveexec_b64 s[48:49], s[0:1]
	s_cbranch_execz .LBB1564_240
; %bb.239:
	v_cmp_eq_u16_e64 s[0:1], 0, v25
	v_and_b32_e32 v24, 1, v25
	v_mov_b32_e32 v25, 1
	v_cndmask_b32_e64 v26, 0, v27, s[0:1]
	v_and_b32_sdwa v25, v27, v25 dst_sel:DWORD dst_unused:UNUSED_PAD src0_sel:WORD_1 src1_sel:DWORD
	v_cmp_eq_u32_e64 s[0:1], 1, v24
	v_add_u16_e32 v28, v26, v22
	v_add_u16_e32 v22, v26, v22
	v_cndmask_b32_e64 v24, v25, 1, s[0:1]
	v_lshlrev_b32_e32 v25, 16, v24
	v_or_b32_e32 v26, v25, v22
	v_mov_b32_e32 v25, v24
	v_mov_b32_e32 v22, v28
.LBB1564_240:
	s_or_b64 exec, exec, s[48:49]
	v_mov_b32_dpp v26, v26 row_bcast:31 row_mask:0xf bank_mask:0xf
	v_cmp_lt_u32_e64 s[0:1], 31, v23
	s_and_saveexec_b64 s[48:49], s[0:1]
; %bb.241:
	v_cmp_eq_u16_e64 s[0:1], 0, v25
	s_nop 1
	v_cndmask_b32_e64 v24, 0, v26, s[0:1]
	v_add_u16_e32 v22, v24, v22
	v_and_b32_e32 v24, 1, v25
	v_mov_b32_e32 v25, 1
	v_and_b32_sdwa v25, v26, v25 dst_sel:DWORD dst_unused:UNUSED_PAD src0_sel:WORD_1 src1_sel:DWORD
	v_cmp_eq_u32_e64 s[0:1], 1, v24
	s_nop 1
	v_cndmask_b32_e64 v24, v25, 1, s[0:1]
; %bb.242:
	s_or_b64 exec, exec, s[48:49]
	v_or_b32_e32 v26, 63, v0
	v_lshrrev_b32_e32 v25, 6, v0
	v_cmp_eq_u32_e64 s[0:1], v26, v0
	s_and_saveexec_b64 s[48:49], s[0:1]
	s_cbranch_execz .LBB1564_244
; %bb.243:
	v_lshlrev_b32_e32 v26, 2, v25
	ds_write_b16 v26, v22
	ds_write_b8 v26, v24 offset:2
.LBB1564_244:
	s_or_b64 exec, exec, s[48:49]
	v_cmp_gt_u32_e64 s[0:1], 4, v0
	s_waitcnt lgkmcnt(0)
	s_barrier
	s_and_saveexec_b64 s[48:49], s[0:1]
	s_cbranch_execz .LBB1564_250
; %bb.245:
	v_lshlrev_b32_e32 v26, 2, v0
	ds_read_b32 v27, v26
	v_and_b32_e32 v30, 3, v23
	v_cmp_ne_u32_e64 s[0:1], 0, v30
	s_waitcnt lgkmcnt(0)
	v_lshrrev_b32_e32 v29, 16, v27
	v_mov_b32_dpp v31, v27 row_shr:1 row_mask:0xf bank_mask:0xf
	v_mov_b32_e32 v28, v27
	s_and_saveexec_b64 s[50:51], s[0:1]
	s_cbranch_execz .LBB1564_247
; %bb.246:
	v_mov_b32_e32 v28, 0
	v_cmp_eq_u16_sdwa s[0:1], v29, v28 src0_sel:BYTE_0 src1_sel:DWORD
	v_and_b32_e32 v29, 0x10000, v27
	v_mov_b32_e32 v34, 1
	v_cndmask_b32_e64 v33, 0, v31, s[0:1]
	v_and_b32_sdwa v31, v31, v34 dst_sel:DWORD dst_unused:UNUSED_PAD src0_sel:WORD_1 src1_sel:DWORD
	v_cmp_ne_u32_e64 s[0:1], 0, v29
	v_and_b32_e32 v32, 0xff000000, v27
	v_add_u16_e32 v28, v33, v27
	v_cndmask_b32_e64 v29, v31, 1, s[0:1]
	v_lshlrev_b32_e32 v31, 16, v29
	v_add_u16_e32 v27, v33, v27
	v_or3_b32 v27, v31, v32, v27
.LBB1564_247:
	s_or_b64 exec, exec, s[50:51]
	s_nop 0
	v_mov_b32_dpp v31, v27 row_shr:2 row_mask:0xf bank_mask:0xf
	v_cmp_lt_u32_e64 s[0:1], 1, v30
	s_and_saveexec_b64 s[50:51], s[0:1]
; %bb.248:
	v_and_b32_e32 v29, 0xff0000, v27
	v_cmp_eq_u32_e64 s[0:1], 0, v29
	v_and_b32_e32 v27, 0x10000, v27
	s_nop 0
	v_cndmask_b32_e64 v29, 0, v31, s[0:1]
	v_add_u16_e32 v28, v29, v28
	v_mov_b32_e32 v29, 1
	v_and_b32_sdwa v29, v31, v29 dst_sel:DWORD dst_unused:UNUSED_PAD src0_sel:WORD_1 src1_sel:DWORD
	v_cmp_eq_u32_e64 s[0:1], 0, v27
	s_nop 1
	v_cndmask_b32_e64 v29, 1, v29, s[0:1]
; %bb.249:
	s_or_b64 exec, exec, s[50:51]
	ds_write_b16 v26, v28
	ds_write_b8 v26, v29 offset:2
.LBB1564_250:
	s_or_b64 exec, exec, s[48:49]
	v_cmp_lt_u32_e64 s[0:1], 63, v0
	v_mov_b32_e32 v27, 0
	s_waitcnt vmcnt(0)
	v_mov_b32_e32 v26, v47
	s_waitcnt lgkmcnt(0)
	s_barrier
	s_and_saveexec_b64 s[48:49], s[0:1]
	s_cbranch_execz .LBB1564_252
; %bb.251:
	v_lshl_add_u32 v25, v25, 2, -4
	ds_read_u8 v27, v25 offset:2
	ds_read_u16 v25, v25
	s_waitcnt lgkmcnt(1)
	v_cmp_eq_u16_e64 s[0:1], 0, v27
	s_nop 1
	v_cndmask_b32_e64 v26, 0, v47, s[0:1]
	s_waitcnt lgkmcnt(0)
	v_add_u16_e32 v26, v26, v25
.LBB1564_252:
	s_or_b64 exec, exec, s[48:49]
	v_cmp_eq_u16_e64 s[0:1], 0, v24
	v_and_b32_e32 v24, 1, v24
	v_lshlrev_b32_e32 v27, 16, v27
	v_cndmask_b32_e64 v25, 0, v26, s[0:1]
	v_mov_b32_e32 v28, 0x10000
	v_cmp_eq_u32_e64 s[0:1], 1, v24
	v_add_u16_e32 v22, v25, v22
	v_and_b32_e32 v25, 64, v23
	v_cndmask_b32_e64 v24, v27, v28, s[0:1]
	v_or_b32_e32 v22, v24, v22
	v_add_u32_e32 v24, -1, v23
	v_cmp_lt_i32_e64 s[0:1], v24, v25
	s_nop 1
	v_cndmask_b32_e64 v24, v24, v23, s[0:1]
	v_lshlrev_b32_e32 v24, 2, v24
	ds_bpermute_b32 v22, v24, v22
	v_cmp_eq_u32_e64 s[0:1], 0, v23
	v_and_b32_e32 v23, 0xff0000, v1
	s_waitcnt lgkmcnt(0)
	v_cndmask_b32_e64 v24, v22, v26, s[0:1]
	v_cndmask_b32_e64 v22, v24, v47, s[52:53]
	v_cmp_eq_u32_e64 s[0:1], 0, v23
	s_nop 1
	v_cndmask_b32_e64 v22, 0, v22, s[0:1]
	v_add_u16_e32 v22, v22, v1
	v_cndmask_b32_e32 v1, 0, v22, vcc
	v_add_u16_e32 v23, v1, v56
	v_cndmask_b32_e64 v1, 0, v23, s[4:5]
	v_add_u16_e32 v25, v1, v21
	v_cndmask_b32_e64 v1, 0, v25, s[6:7]
	;; [unrolled: 2-line block ×21, first 2 shown]
	s_and_saveexec_b64 s[0:1], s[52:53]
	s_cbranch_execz .LBB1564_254
; %bb.253:
	v_mov_b32_e32 v4, 0
	ds_read_u8 v2, v4 offset:14
	ds_read_u16 v5, v4 offset:12
	v_mov_b32_e32 v3, 2
	v_mov_b32_e32 v24, v47
	s_waitcnt lgkmcnt(1)
	v_cmp_eq_u32_e32 vcc, 0, v2
	v_lshlrev_b32_e32 v6, 16, v2
	s_nop 0
	v_cndmask_b32_e32 v2, 0, v47, vcc
	s_waitcnt lgkmcnt(0)
	v_add_u32_e32 v2, v2, v5
	v_or_b32_sdwa v2, v6, v2 dst_sel:DWORD dst_unused:UNUSED_PAD src0_sel:DWORD src1_sel:WORD_0
	global_store_dwordx2 v4, v[2:3], s[64:65] offset:512 sc1
.LBB1564_254:
	s_or_b64 exec, exec, s[0:1]
	v_add_u16_e32 v47, v1, v17
.LBB1564_255:
	s_add_u32 s0, s62, s54
	s_addc_u32 s1, s63, s55
	v_mul_u32_u24_e32 v1, 24, v0
	v_lshl_add_u64 v[2:3], s[0:1], 0, v[50:51]
	s_and_b64 vcc, exec, s[2:3]
	v_lshlrev_b32_e32 v8, 1, v1
	v_lshlrev_b32_e32 v4, 1, v0
	s_cbranch_vccz .LBB1564_303
; %bb.256:
	s_mov_b32 s0, 0x5040100
	v_perm_b32 v13, v31, v29, s0
	v_perm_b32 v12, v27, v26, s0
	;; [unrolled: 1-line block ×4, first 2 shown]
	s_barrier
	ds_write_b128 v8, v[10:13]
	v_perm_b32 v13, v41, v39, s0
	v_perm_b32 v12, v37, v36, s0
	;; [unrolled: 1-line block ×4, first 2 shown]
	ds_write_b128 v8, v[10:13] offset:16
	v_perm_b32 v13, v47, v46, s0
	v_perm_b32 v12, v45, v44, s0
	;; [unrolled: 1-line block ×4, first 2 shown]
	s_movk_i32 s0, 0xffd2
	v_mad_i32_i24 v5, v0, s0, v8
	ds_write_b128 v8, v[10:13] offset:32
	s_waitcnt lgkmcnt(0)
	s_barrier
	ds_read_u16 v54, v5 offset:512
	ds_read_u16 v53, v5 offset:1024
	;; [unrolled: 1-line block ×23, first 2 shown]
	s_add_i32 s33, s33, s66
	v_mov_b32_e32 v5, 0
	v_lshl_add_u64 v[6:7], v[2:3], 0, v[4:5]
	v_cmp_gt_u32_e32 vcc, s33, v0
	s_and_saveexec_b64 s[0:1], vcc
	s_cbranch_execz .LBB1564_258
; %bb.257:
	v_mul_i32_i24_e32 v55, 0xffffffd2, v0
	v_add_u32_e32 v55, v8, v55
	ds_read_u16 v55, v55
	s_waitcnt lgkmcnt(0)
	flat_store_short v[6:7], v55
.LBB1564_258:
	s_or_b64 exec, exec, s[0:1]
	v_or_b32_e32 v55, 0x100, v0
	v_cmp_gt_u32_e32 vcc, s33, v55
	s_and_saveexec_b64 s[0:1], vcc
	s_cbranch_execz .LBB1564_260
; %bb.259:
	s_waitcnt lgkmcnt(0)
	flat_store_short v[6:7], v54 offset:512
.LBB1564_260:
	s_or_b64 exec, exec, s[0:1]
	s_waitcnt lgkmcnt(0)
	v_or_b32_e32 v54, 0x200, v0
	v_cmp_gt_u32_e32 vcc, s33, v54
	s_and_saveexec_b64 s[0:1], vcc
	s_cbranch_execz .LBB1564_262
; %bb.261:
	flat_store_short v[6:7], v53 offset:1024
.LBB1564_262:
	s_or_b64 exec, exec, s[0:1]
	v_or_b32_e32 v53, 0x300, v0
	v_cmp_gt_u32_e32 vcc, s33, v53
	s_and_saveexec_b64 s[0:1], vcc
	s_cbranch_execz .LBB1564_264
; %bb.263:
	flat_store_short v[6:7], v52 offset:1536
.LBB1564_264:
	s_or_b64 exec, exec, s[0:1]
	;; [unrolled: 8-line block ×6, first 2 shown]
	v_or_b32_e32 v48, 0x800, v0
	v_cmp_gt_u32_e32 vcc, s33, v48
	s_and_saveexec_b64 s[0:1], vcc
	s_cbranch_execz .LBB1564_274
; %bb.273:
	v_add_co_u32_e32 v48, vcc, 0x1000, v6
	s_nop 1
	v_addc_co_u32_e32 v49, vcc, 0, v7, vcc
	flat_store_short v[48:49], v33
.LBB1564_274:
	s_or_b64 exec, exec, s[0:1]
	v_or_b32_e32 v33, 0x900, v0
	v_cmp_gt_u32_e32 vcc, s33, v33
	s_and_saveexec_b64 s[0:1], vcc
	s_cbranch_execz .LBB1564_276
; %bb.275:
	v_add_co_u32_e32 v48, vcc, 0x1000, v6
	s_nop 1
	v_addc_co_u32_e32 v49, vcc, 0, v7, vcc
	flat_store_short v[48:49], v32 offset:512
.LBB1564_276:
	s_or_b64 exec, exec, s[0:1]
	v_or_b32_e32 v32, 0xa00, v0
	v_cmp_gt_u32_e32 vcc, s33, v32
	s_and_saveexec_b64 s[0:1], vcc
	s_cbranch_execz .LBB1564_278
; %bb.277:
	v_add_co_u32_e32 v32, vcc, 0x1000, v6
	s_nop 1
	v_addc_co_u32_e32 v33, vcc, 0, v7, vcc
	flat_store_short v[32:33], v21 offset:1024
.LBB1564_278:
	s_or_b64 exec, exec, s[0:1]
	v_or_b32_e32 v21, 0xb00, v0
	v_cmp_gt_u32_e32 vcc, s33, v21
	s_and_saveexec_b64 s[0:1], vcc
	s_cbranch_execz .LBB1564_280
; %bb.279:
	v_add_co_u32_e32 v32, vcc, 0x1000, v6
	s_nop 1
	v_addc_co_u32_e32 v33, vcc, 0, v7, vcc
	flat_store_short v[32:33], v20 offset:1536
.LBB1564_280:
	s_or_b64 exec, exec, s[0:1]
	v_or_b32_e32 v20, 0xc00, v0
	v_cmp_gt_u32_e32 vcc, s33, v20
	s_and_saveexec_b64 s[0:1], vcc
	s_cbranch_execz .LBB1564_282
; %bb.281:
	v_add_co_u32_e32 v20, vcc, 0x1000, v6
	s_nop 1
	v_addc_co_u32_e32 v21, vcc, 0, v7, vcc
	flat_store_short v[20:21], v19 offset:2048
.LBB1564_282:
	s_or_b64 exec, exec, s[0:1]
	v_or_b32_e32 v19, 0xd00, v0
	v_cmp_gt_u32_e32 vcc, s33, v19
	s_and_saveexec_b64 s[0:1], vcc
	s_cbranch_execz .LBB1564_284
; %bb.283:
	v_add_co_u32_e32 v20, vcc, 0x1000, v6
	s_nop 1
	v_addc_co_u32_e32 v21, vcc, 0, v7, vcc
	flat_store_short v[20:21], v18 offset:2560
.LBB1564_284:
	s_or_b64 exec, exec, s[0:1]
	v_or_b32_e32 v18, 0xe00, v0
	v_cmp_gt_u32_e32 vcc, s33, v18
	s_and_saveexec_b64 s[0:1], vcc
	s_cbranch_execz .LBB1564_286
; %bb.285:
	v_add_co_u32_e32 v18, vcc, 0x1000, v6
	s_nop 1
	v_addc_co_u32_e32 v19, vcc, 0, v7, vcc
	flat_store_short v[18:19], v17 offset:3072
.LBB1564_286:
	s_or_b64 exec, exec, s[0:1]
	v_or_b32_e32 v17, 0xf00, v0
	v_cmp_gt_u32_e32 vcc, s33, v17
	s_and_saveexec_b64 s[0:1], vcc
	s_cbranch_execz .LBB1564_288
; %bb.287:
	v_add_co_u32_e32 v18, vcc, 0x1000, v6
	s_nop 1
	v_addc_co_u32_e32 v19, vcc, 0, v7, vcc
	flat_store_short v[18:19], v16 offset:3584
.LBB1564_288:
	s_or_b64 exec, exec, s[0:1]
	v_or_b32_e32 v16, 0x1000, v0
	v_cmp_gt_u32_e32 vcc, s33, v16
	s_and_saveexec_b64 s[0:1], vcc
	s_cbranch_execz .LBB1564_290
; %bb.289:
	v_add_co_u32_e32 v16, vcc, 0x2000, v6
	s_nop 1
	v_addc_co_u32_e32 v17, vcc, 0, v7, vcc
	flat_store_short v[16:17], v15
.LBB1564_290:
	s_or_b64 exec, exec, s[0:1]
	v_or_b32_e32 v15, 0x1100, v0
	v_cmp_gt_u32_e32 vcc, s33, v15
	s_and_saveexec_b64 s[0:1], vcc
	s_cbranch_execz .LBB1564_292
; %bb.291:
	v_add_co_u32_e32 v16, vcc, 0x2000, v6
	s_nop 1
	v_addc_co_u32_e32 v17, vcc, 0, v7, vcc
	flat_store_short v[16:17], v14 offset:512
.LBB1564_292:
	s_or_b64 exec, exec, s[0:1]
	v_or_b32_e32 v14, 0x1200, v0
	v_cmp_gt_u32_e32 vcc, s33, v14
	s_and_saveexec_b64 s[0:1], vcc
	s_cbranch_execz .LBB1564_294
; %bb.293:
	v_add_co_u32_e32 v14, vcc, 0x2000, v6
	s_nop 1
	v_addc_co_u32_e32 v15, vcc, 0, v7, vcc
	flat_store_short v[14:15], v13 offset:1024
.LBB1564_294:
	s_or_b64 exec, exec, s[0:1]
	v_or_b32_e32 v13, 0x1300, v0
	v_cmp_gt_u32_e32 vcc, s33, v13
	s_and_saveexec_b64 s[0:1], vcc
	s_cbranch_execz .LBB1564_296
; %bb.295:
	v_add_co_u32_e32 v14, vcc, 0x2000, v6
	s_nop 1
	v_addc_co_u32_e32 v15, vcc, 0, v7, vcc
	flat_store_short v[14:15], v12 offset:1536
.LBB1564_296:
	s_or_b64 exec, exec, s[0:1]
	v_or_b32_e32 v12, 0x1400, v0
	v_cmp_gt_u32_e32 vcc, s33, v12
	s_and_saveexec_b64 s[0:1], vcc
	s_cbranch_execz .LBB1564_298
; %bb.297:
	v_add_co_u32_e32 v12, vcc, 0x2000, v6
	s_nop 1
	v_addc_co_u32_e32 v13, vcc, 0, v7, vcc
	flat_store_short v[12:13], v11 offset:2048
.LBB1564_298:
	s_or_b64 exec, exec, s[0:1]
	v_or_b32_e32 v11, 0x1500, v0
	v_cmp_gt_u32_e32 vcc, s33, v11
	s_and_saveexec_b64 s[0:1], vcc
	s_cbranch_execz .LBB1564_300
; %bb.299:
	v_add_co_u32_e32 v12, vcc, 0x2000, v6
	s_nop 1
	v_addc_co_u32_e32 v13, vcc, 0, v7, vcc
	flat_store_short v[12:13], v10 offset:2560
.LBB1564_300:
	s_or_b64 exec, exec, s[0:1]
	v_or_b32_e32 v10, 0x1600, v0
	v_cmp_gt_u32_e32 vcc, s33, v10
	s_and_saveexec_b64 s[0:1], vcc
	s_cbranch_execz .LBB1564_302
; %bb.301:
	v_add_co_u32_e32 v6, vcc, 0x2000, v6
	s_nop 1
	v_addc_co_u32_e32 v7, vcc, 0, v7, vcc
	flat_store_short v[6:7], v1 offset:3072
.LBB1564_302:
	s_or_b64 exec, exec, s[0:1]
	v_mov_b32_e32 v1, v5
	v_or_b32_e32 v5, 0x1700, v0
	v_cmp_gt_u32_e64 s[0:1], s33, v5
	s_branch .LBB1564_305
.LBB1564_303:
	s_mov_b64 s[0:1], 0
                                        ; implicit-def: $vgpr9
	s_cbranch_execz .LBB1564_305
; %bb.304:
	s_mov_b32 s2, 0x5040100
	v_perm_b32 v13, v31, v29, s2
	v_perm_b32 v12, v27, v26, s2
	;; [unrolled: 1-line block ×4, first 2 shown]
	s_waitcnt lgkmcnt(0)
	s_barrier
	ds_write_b128 v8, v[10:13]
	v_perm_b32 v13, v41, v39, s2
	v_perm_b32 v12, v37, v36, s2
	v_perm_b32 v11, v35, v34, s2
	v_perm_b32 v10, v30, v28, s2
	ds_write_b128 v8, v[10:13] offset:16
	v_perm_b32 v13, v47, v46, s2
	v_perm_b32 v12, v45, v44, s2
	;; [unrolled: 1-line block ×4, first 2 shown]
	s_movk_i32 s2, 0xffd2
	v_mov_b32_e32 v1, 0
	v_mad_i32_i24 v5, v0, s2, v8
	ds_write_b128 v8, v[10:13] offset:32
	s_waitcnt lgkmcnt(0)
	s_barrier
	ds_read_u16 v6, v5
	ds_read_u16 v7, v5 offset:512
	ds_read_u16 v8, v5 offset:1024
	;; [unrolled: 1-line block ×23, first 2 shown]
	v_mov_b32_e32 v5, v1
	v_lshl_add_u64 v[4:5], v[2:3], 0, v[4:5]
	s_movk_i32 s2, 0x1000
	s_waitcnt lgkmcnt(0)
	flat_store_short v[4:5], v6
	flat_store_short v[4:5], v7 offset:512
	flat_store_short v[4:5], v8 offset:1024
	;; [unrolled: 1-line block ×7, first 2 shown]
	v_add_co_u32_e32 v6, vcc, s2, v4
	s_or_b64 s[0:1], s[0:1], exec
	s_nop 0
	v_addc_co_u32_e32 v7, vcc, 0, v5, vcc
	v_add_co_u32_e32 v4, vcc, 0x2000, v4
	flat_store_short v[6:7], v15
	flat_store_short v[6:7], v16 offset:512
	flat_store_short v[6:7], v17 offset:1024
	;; [unrolled: 1-line block ×7, first 2 shown]
	v_addc_co_u32_e32 v5, vcc, 0, v5, vcc
	flat_store_short v[4:5], v23
	flat_store_short v[4:5], v24 offset:512
	flat_store_short v[4:5], v25 offset:1024
	;; [unrolled: 1-line block ×6, first 2 shown]
.LBB1564_305:
	s_and_saveexec_b64 s[2:3], s[0:1]
	s_cbranch_execz .LBB1564_307
; %bb.306:
	v_lshl_add_u64 v[0:1], v[0:1], 1, v[2:3]
	v_add_co_u32_e32 v0, vcc, 0x2000, v0
	s_nop 1
	v_addc_co_u32_e32 v1, vcc, 0, v1, vcc
	flat_store_short v[0:1], v9 offset:3584
	s_endpgm
.LBB1564_307:
	s_endpgm
	.section	.rodata,"a",@progbits
	.p2align	6, 0x0
	.amdhsa_kernel _ZN7rocprim17ROCPRIM_400000_NS6detail17trampoline_kernelINS0_14default_configENS1_27scan_by_key_config_selectorIitEEZZNS1_16scan_by_key_implILNS1_25lookback_scan_determinismE0ELb1ES3_N6thrust23THRUST_200600_302600_NS6detail15normal_iteratorINS9_10device_ptrIiEEEENSB_INSC_ItEEEESG_tNS9_4plusIvEENS9_8equal_toIvEEtEE10hipError_tPvRmT2_T3_T4_T5_mT6_T7_P12ihipStream_tbENKUlT_T0_E_clISt17integral_constantIbLb0EES10_IbLb1EEEEDaSW_SX_EUlSW_E_NS1_11comp_targetILNS1_3genE5ELNS1_11target_archE942ELNS1_3gpuE9ELNS1_3repE0EEENS1_30default_config_static_selectorELNS0_4arch9wavefront6targetE1EEEvT1_
		.amdhsa_group_segment_fixed_size 26624
		.amdhsa_private_segment_fixed_size 0
		.amdhsa_kernarg_size 112
		.amdhsa_user_sgpr_count 2
		.amdhsa_user_sgpr_dispatch_ptr 0
		.amdhsa_user_sgpr_queue_ptr 0
		.amdhsa_user_sgpr_kernarg_segment_ptr 1
		.amdhsa_user_sgpr_dispatch_id 0
		.amdhsa_user_sgpr_kernarg_preload_length 0
		.amdhsa_user_sgpr_kernarg_preload_offset 0
		.amdhsa_user_sgpr_private_segment_size 0
		.amdhsa_uses_dynamic_stack 0
		.amdhsa_enable_private_segment 0
		.amdhsa_system_sgpr_workgroup_id_x 1
		.amdhsa_system_sgpr_workgroup_id_y 0
		.amdhsa_system_sgpr_workgroup_id_z 0
		.amdhsa_system_sgpr_workgroup_info 0
		.amdhsa_system_vgpr_workitem_id 0
		.amdhsa_next_free_vgpr 64
		.amdhsa_next_free_sgpr 75
		.amdhsa_accum_offset 64
		.amdhsa_reserve_vcc 1
		.amdhsa_float_round_mode_32 0
		.amdhsa_float_round_mode_16_64 0
		.amdhsa_float_denorm_mode_32 3
		.amdhsa_float_denorm_mode_16_64 3
		.amdhsa_dx10_clamp 1
		.amdhsa_ieee_mode 1
		.amdhsa_fp16_overflow 0
		.amdhsa_tg_split 0
		.amdhsa_exception_fp_ieee_invalid_op 0
		.amdhsa_exception_fp_denorm_src 0
		.amdhsa_exception_fp_ieee_div_zero 0
		.amdhsa_exception_fp_ieee_overflow 0
		.amdhsa_exception_fp_ieee_underflow 0
		.amdhsa_exception_fp_ieee_inexact 0
		.amdhsa_exception_int_div_zero 0
	.end_amdhsa_kernel
	.section	.text._ZN7rocprim17ROCPRIM_400000_NS6detail17trampoline_kernelINS0_14default_configENS1_27scan_by_key_config_selectorIitEEZZNS1_16scan_by_key_implILNS1_25lookback_scan_determinismE0ELb1ES3_N6thrust23THRUST_200600_302600_NS6detail15normal_iteratorINS9_10device_ptrIiEEEENSB_INSC_ItEEEESG_tNS9_4plusIvEENS9_8equal_toIvEEtEE10hipError_tPvRmT2_T3_T4_T5_mT6_T7_P12ihipStream_tbENKUlT_T0_E_clISt17integral_constantIbLb0EES10_IbLb1EEEEDaSW_SX_EUlSW_E_NS1_11comp_targetILNS1_3genE5ELNS1_11target_archE942ELNS1_3gpuE9ELNS1_3repE0EEENS1_30default_config_static_selectorELNS0_4arch9wavefront6targetE1EEEvT1_,"axG",@progbits,_ZN7rocprim17ROCPRIM_400000_NS6detail17trampoline_kernelINS0_14default_configENS1_27scan_by_key_config_selectorIitEEZZNS1_16scan_by_key_implILNS1_25lookback_scan_determinismE0ELb1ES3_N6thrust23THRUST_200600_302600_NS6detail15normal_iteratorINS9_10device_ptrIiEEEENSB_INSC_ItEEEESG_tNS9_4plusIvEENS9_8equal_toIvEEtEE10hipError_tPvRmT2_T3_T4_T5_mT6_T7_P12ihipStream_tbENKUlT_T0_E_clISt17integral_constantIbLb0EES10_IbLb1EEEEDaSW_SX_EUlSW_E_NS1_11comp_targetILNS1_3genE5ELNS1_11target_archE942ELNS1_3gpuE9ELNS1_3repE0EEENS1_30default_config_static_selectorELNS0_4arch9wavefront6targetE1EEEvT1_,comdat
.Lfunc_end1564:
	.size	_ZN7rocprim17ROCPRIM_400000_NS6detail17trampoline_kernelINS0_14default_configENS1_27scan_by_key_config_selectorIitEEZZNS1_16scan_by_key_implILNS1_25lookback_scan_determinismE0ELb1ES3_N6thrust23THRUST_200600_302600_NS6detail15normal_iteratorINS9_10device_ptrIiEEEENSB_INSC_ItEEEESG_tNS9_4plusIvEENS9_8equal_toIvEEtEE10hipError_tPvRmT2_T3_T4_T5_mT6_T7_P12ihipStream_tbENKUlT_T0_E_clISt17integral_constantIbLb0EES10_IbLb1EEEEDaSW_SX_EUlSW_E_NS1_11comp_targetILNS1_3genE5ELNS1_11target_archE942ELNS1_3gpuE9ELNS1_3repE0EEENS1_30default_config_static_selectorELNS0_4arch9wavefront6targetE1EEEvT1_, .Lfunc_end1564-_ZN7rocprim17ROCPRIM_400000_NS6detail17trampoline_kernelINS0_14default_configENS1_27scan_by_key_config_selectorIitEEZZNS1_16scan_by_key_implILNS1_25lookback_scan_determinismE0ELb1ES3_N6thrust23THRUST_200600_302600_NS6detail15normal_iteratorINS9_10device_ptrIiEEEENSB_INSC_ItEEEESG_tNS9_4plusIvEENS9_8equal_toIvEEtEE10hipError_tPvRmT2_T3_T4_T5_mT6_T7_P12ihipStream_tbENKUlT_T0_E_clISt17integral_constantIbLb0EES10_IbLb1EEEEDaSW_SX_EUlSW_E_NS1_11comp_targetILNS1_3genE5ELNS1_11target_archE942ELNS1_3gpuE9ELNS1_3repE0EEENS1_30default_config_static_selectorELNS0_4arch9wavefront6targetE1EEEvT1_
                                        ; -- End function
	.section	.AMDGPU.csdata,"",@progbits
; Kernel info:
; codeLenInByte = 16524
; NumSgprs: 81
; NumVgprs: 64
; NumAgprs: 0
; TotalNumVgprs: 64
; ScratchSize: 0
; MemoryBound: 0
; FloatMode: 240
; IeeeMode: 1
; LDSByteSize: 26624 bytes/workgroup (compile time only)
; SGPRBlocks: 10
; VGPRBlocks: 7
; NumSGPRsForWavesPerEU: 81
; NumVGPRsForWavesPerEU: 64
; AccumOffset: 64
; Occupancy: 2
; WaveLimiterHint : 1
; COMPUTE_PGM_RSRC2:SCRATCH_EN: 0
; COMPUTE_PGM_RSRC2:USER_SGPR: 2
; COMPUTE_PGM_RSRC2:TRAP_HANDLER: 0
; COMPUTE_PGM_RSRC2:TGID_X_EN: 1
; COMPUTE_PGM_RSRC2:TGID_Y_EN: 0
; COMPUTE_PGM_RSRC2:TGID_Z_EN: 0
; COMPUTE_PGM_RSRC2:TIDIG_COMP_CNT: 0
; COMPUTE_PGM_RSRC3_GFX90A:ACCUM_OFFSET: 15
; COMPUTE_PGM_RSRC3_GFX90A:TG_SPLIT: 0
	.section	.text._ZN7rocprim17ROCPRIM_400000_NS6detail17trampoline_kernelINS0_14default_configENS1_27scan_by_key_config_selectorIitEEZZNS1_16scan_by_key_implILNS1_25lookback_scan_determinismE0ELb1ES3_N6thrust23THRUST_200600_302600_NS6detail15normal_iteratorINS9_10device_ptrIiEEEENSB_INSC_ItEEEESG_tNS9_4plusIvEENS9_8equal_toIvEEtEE10hipError_tPvRmT2_T3_T4_T5_mT6_T7_P12ihipStream_tbENKUlT_T0_E_clISt17integral_constantIbLb0EES10_IbLb1EEEEDaSW_SX_EUlSW_E_NS1_11comp_targetILNS1_3genE4ELNS1_11target_archE910ELNS1_3gpuE8ELNS1_3repE0EEENS1_30default_config_static_selectorELNS0_4arch9wavefront6targetE1EEEvT1_,"axG",@progbits,_ZN7rocprim17ROCPRIM_400000_NS6detail17trampoline_kernelINS0_14default_configENS1_27scan_by_key_config_selectorIitEEZZNS1_16scan_by_key_implILNS1_25lookback_scan_determinismE0ELb1ES3_N6thrust23THRUST_200600_302600_NS6detail15normal_iteratorINS9_10device_ptrIiEEEENSB_INSC_ItEEEESG_tNS9_4plusIvEENS9_8equal_toIvEEtEE10hipError_tPvRmT2_T3_T4_T5_mT6_T7_P12ihipStream_tbENKUlT_T0_E_clISt17integral_constantIbLb0EES10_IbLb1EEEEDaSW_SX_EUlSW_E_NS1_11comp_targetILNS1_3genE4ELNS1_11target_archE910ELNS1_3gpuE8ELNS1_3repE0EEENS1_30default_config_static_selectorELNS0_4arch9wavefront6targetE1EEEvT1_,comdat
	.protected	_ZN7rocprim17ROCPRIM_400000_NS6detail17trampoline_kernelINS0_14default_configENS1_27scan_by_key_config_selectorIitEEZZNS1_16scan_by_key_implILNS1_25lookback_scan_determinismE0ELb1ES3_N6thrust23THRUST_200600_302600_NS6detail15normal_iteratorINS9_10device_ptrIiEEEENSB_INSC_ItEEEESG_tNS9_4plusIvEENS9_8equal_toIvEEtEE10hipError_tPvRmT2_T3_T4_T5_mT6_T7_P12ihipStream_tbENKUlT_T0_E_clISt17integral_constantIbLb0EES10_IbLb1EEEEDaSW_SX_EUlSW_E_NS1_11comp_targetILNS1_3genE4ELNS1_11target_archE910ELNS1_3gpuE8ELNS1_3repE0EEENS1_30default_config_static_selectorELNS0_4arch9wavefront6targetE1EEEvT1_ ; -- Begin function _ZN7rocprim17ROCPRIM_400000_NS6detail17trampoline_kernelINS0_14default_configENS1_27scan_by_key_config_selectorIitEEZZNS1_16scan_by_key_implILNS1_25lookback_scan_determinismE0ELb1ES3_N6thrust23THRUST_200600_302600_NS6detail15normal_iteratorINS9_10device_ptrIiEEEENSB_INSC_ItEEEESG_tNS9_4plusIvEENS9_8equal_toIvEEtEE10hipError_tPvRmT2_T3_T4_T5_mT6_T7_P12ihipStream_tbENKUlT_T0_E_clISt17integral_constantIbLb0EES10_IbLb1EEEEDaSW_SX_EUlSW_E_NS1_11comp_targetILNS1_3genE4ELNS1_11target_archE910ELNS1_3gpuE8ELNS1_3repE0EEENS1_30default_config_static_selectorELNS0_4arch9wavefront6targetE1EEEvT1_
	.globl	_ZN7rocprim17ROCPRIM_400000_NS6detail17trampoline_kernelINS0_14default_configENS1_27scan_by_key_config_selectorIitEEZZNS1_16scan_by_key_implILNS1_25lookback_scan_determinismE0ELb1ES3_N6thrust23THRUST_200600_302600_NS6detail15normal_iteratorINS9_10device_ptrIiEEEENSB_INSC_ItEEEESG_tNS9_4plusIvEENS9_8equal_toIvEEtEE10hipError_tPvRmT2_T3_T4_T5_mT6_T7_P12ihipStream_tbENKUlT_T0_E_clISt17integral_constantIbLb0EES10_IbLb1EEEEDaSW_SX_EUlSW_E_NS1_11comp_targetILNS1_3genE4ELNS1_11target_archE910ELNS1_3gpuE8ELNS1_3repE0EEENS1_30default_config_static_selectorELNS0_4arch9wavefront6targetE1EEEvT1_
	.p2align	8
	.type	_ZN7rocprim17ROCPRIM_400000_NS6detail17trampoline_kernelINS0_14default_configENS1_27scan_by_key_config_selectorIitEEZZNS1_16scan_by_key_implILNS1_25lookback_scan_determinismE0ELb1ES3_N6thrust23THRUST_200600_302600_NS6detail15normal_iteratorINS9_10device_ptrIiEEEENSB_INSC_ItEEEESG_tNS9_4plusIvEENS9_8equal_toIvEEtEE10hipError_tPvRmT2_T3_T4_T5_mT6_T7_P12ihipStream_tbENKUlT_T0_E_clISt17integral_constantIbLb0EES10_IbLb1EEEEDaSW_SX_EUlSW_E_NS1_11comp_targetILNS1_3genE4ELNS1_11target_archE910ELNS1_3gpuE8ELNS1_3repE0EEENS1_30default_config_static_selectorELNS0_4arch9wavefront6targetE1EEEvT1_,@function
_ZN7rocprim17ROCPRIM_400000_NS6detail17trampoline_kernelINS0_14default_configENS1_27scan_by_key_config_selectorIitEEZZNS1_16scan_by_key_implILNS1_25lookback_scan_determinismE0ELb1ES3_N6thrust23THRUST_200600_302600_NS6detail15normal_iteratorINS9_10device_ptrIiEEEENSB_INSC_ItEEEESG_tNS9_4plusIvEENS9_8equal_toIvEEtEE10hipError_tPvRmT2_T3_T4_T5_mT6_T7_P12ihipStream_tbENKUlT_T0_E_clISt17integral_constantIbLb0EES10_IbLb1EEEEDaSW_SX_EUlSW_E_NS1_11comp_targetILNS1_3genE4ELNS1_11target_archE910ELNS1_3gpuE8ELNS1_3repE0EEENS1_30default_config_static_selectorELNS0_4arch9wavefront6targetE1EEEvT1_: ; @_ZN7rocprim17ROCPRIM_400000_NS6detail17trampoline_kernelINS0_14default_configENS1_27scan_by_key_config_selectorIitEEZZNS1_16scan_by_key_implILNS1_25lookback_scan_determinismE0ELb1ES3_N6thrust23THRUST_200600_302600_NS6detail15normal_iteratorINS9_10device_ptrIiEEEENSB_INSC_ItEEEESG_tNS9_4plusIvEENS9_8equal_toIvEEtEE10hipError_tPvRmT2_T3_T4_T5_mT6_T7_P12ihipStream_tbENKUlT_T0_E_clISt17integral_constantIbLb0EES10_IbLb1EEEEDaSW_SX_EUlSW_E_NS1_11comp_targetILNS1_3genE4ELNS1_11target_archE910ELNS1_3gpuE8ELNS1_3repE0EEENS1_30default_config_static_selectorELNS0_4arch9wavefront6targetE1EEEvT1_
; %bb.0:
	.section	.rodata,"a",@progbits
	.p2align	6, 0x0
	.amdhsa_kernel _ZN7rocprim17ROCPRIM_400000_NS6detail17trampoline_kernelINS0_14default_configENS1_27scan_by_key_config_selectorIitEEZZNS1_16scan_by_key_implILNS1_25lookback_scan_determinismE0ELb1ES3_N6thrust23THRUST_200600_302600_NS6detail15normal_iteratorINS9_10device_ptrIiEEEENSB_INSC_ItEEEESG_tNS9_4plusIvEENS9_8equal_toIvEEtEE10hipError_tPvRmT2_T3_T4_T5_mT6_T7_P12ihipStream_tbENKUlT_T0_E_clISt17integral_constantIbLb0EES10_IbLb1EEEEDaSW_SX_EUlSW_E_NS1_11comp_targetILNS1_3genE4ELNS1_11target_archE910ELNS1_3gpuE8ELNS1_3repE0EEENS1_30default_config_static_selectorELNS0_4arch9wavefront6targetE1EEEvT1_
		.amdhsa_group_segment_fixed_size 0
		.amdhsa_private_segment_fixed_size 0
		.amdhsa_kernarg_size 112
		.amdhsa_user_sgpr_count 2
		.amdhsa_user_sgpr_dispatch_ptr 0
		.amdhsa_user_sgpr_queue_ptr 0
		.amdhsa_user_sgpr_kernarg_segment_ptr 1
		.amdhsa_user_sgpr_dispatch_id 0
		.amdhsa_user_sgpr_kernarg_preload_length 0
		.amdhsa_user_sgpr_kernarg_preload_offset 0
		.amdhsa_user_sgpr_private_segment_size 0
		.amdhsa_uses_dynamic_stack 0
		.amdhsa_enable_private_segment 0
		.amdhsa_system_sgpr_workgroup_id_x 1
		.amdhsa_system_sgpr_workgroup_id_y 0
		.amdhsa_system_sgpr_workgroup_id_z 0
		.amdhsa_system_sgpr_workgroup_info 0
		.amdhsa_system_vgpr_workitem_id 0
		.amdhsa_next_free_vgpr 1
		.amdhsa_next_free_sgpr 0
		.amdhsa_accum_offset 4
		.amdhsa_reserve_vcc 0
		.amdhsa_float_round_mode_32 0
		.amdhsa_float_round_mode_16_64 0
		.amdhsa_float_denorm_mode_32 3
		.amdhsa_float_denorm_mode_16_64 3
		.amdhsa_dx10_clamp 1
		.amdhsa_ieee_mode 1
		.amdhsa_fp16_overflow 0
		.amdhsa_tg_split 0
		.amdhsa_exception_fp_ieee_invalid_op 0
		.amdhsa_exception_fp_denorm_src 0
		.amdhsa_exception_fp_ieee_div_zero 0
		.amdhsa_exception_fp_ieee_overflow 0
		.amdhsa_exception_fp_ieee_underflow 0
		.amdhsa_exception_fp_ieee_inexact 0
		.amdhsa_exception_int_div_zero 0
	.end_amdhsa_kernel
	.section	.text._ZN7rocprim17ROCPRIM_400000_NS6detail17trampoline_kernelINS0_14default_configENS1_27scan_by_key_config_selectorIitEEZZNS1_16scan_by_key_implILNS1_25lookback_scan_determinismE0ELb1ES3_N6thrust23THRUST_200600_302600_NS6detail15normal_iteratorINS9_10device_ptrIiEEEENSB_INSC_ItEEEESG_tNS9_4plusIvEENS9_8equal_toIvEEtEE10hipError_tPvRmT2_T3_T4_T5_mT6_T7_P12ihipStream_tbENKUlT_T0_E_clISt17integral_constantIbLb0EES10_IbLb1EEEEDaSW_SX_EUlSW_E_NS1_11comp_targetILNS1_3genE4ELNS1_11target_archE910ELNS1_3gpuE8ELNS1_3repE0EEENS1_30default_config_static_selectorELNS0_4arch9wavefront6targetE1EEEvT1_,"axG",@progbits,_ZN7rocprim17ROCPRIM_400000_NS6detail17trampoline_kernelINS0_14default_configENS1_27scan_by_key_config_selectorIitEEZZNS1_16scan_by_key_implILNS1_25lookback_scan_determinismE0ELb1ES3_N6thrust23THRUST_200600_302600_NS6detail15normal_iteratorINS9_10device_ptrIiEEEENSB_INSC_ItEEEESG_tNS9_4plusIvEENS9_8equal_toIvEEtEE10hipError_tPvRmT2_T3_T4_T5_mT6_T7_P12ihipStream_tbENKUlT_T0_E_clISt17integral_constantIbLb0EES10_IbLb1EEEEDaSW_SX_EUlSW_E_NS1_11comp_targetILNS1_3genE4ELNS1_11target_archE910ELNS1_3gpuE8ELNS1_3repE0EEENS1_30default_config_static_selectorELNS0_4arch9wavefront6targetE1EEEvT1_,comdat
.Lfunc_end1565:
	.size	_ZN7rocprim17ROCPRIM_400000_NS6detail17trampoline_kernelINS0_14default_configENS1_27scan_by_key_config_selectorIitEEZZNS1_16scan_by_key_implILNS1_25lookback_scan_determinismE0ELb1ES3_N6thrust23THRUST_200600_302600_NS6detail15normal_iteratorINS9_10device_ptrIiEEEENSB_INSC_ItEEEESG_tNS9_4plusIvEENS9_8equal_toIvEEtEE10hipError_tPvRmT2_T3_T4_T5_mT6_T7_P12ihipStream_tbENKUlT_T0_E_clISt17integral_constantIbLb0EES10_IbLb1EEEEDaSW_SX_EUlSW_E_NS1_11comp_targetILNS1_3genE4ELNS1_11target_archE910ELNS1_3gpuE8ELNS1_3repE0EEENS1_30default_config_static_selectorELNS0_4arch9wavefront6targetE1EEEvT1_, .Lfunc_end1565-_ZN7rocprim17ROCPRIM_400000_NS6detail17trampoline_kernelINS0_14default_configENS1_27scan_by_key_config_selectorIitEEZZNS1_16scan_by_key_implILNS1_25lookback_scan_determinismE0ELb1ES3_N6thrust23THRUST_200600_302600_NS6detail15normal_iteratorINS9_10device_ptrIiEEEENSB_INSC_ItEEEESG_tNS9_4plusIvEENS9_8equal_toIvEEtEE10hipError_tPvRmT2_T3_T4_T5_mT6_T7_P12ihipStream_tbENKUlT_T0_E_clISt17integral_constantIbLb0EES10_IbLb1EEEEDaSW_SX_EUlSW_E_NS1_11comp_targetILNS1_3genE4ELNS1_11target_archE910ELNS1_3gpuE8ELNS1_3repE0EEENS1_30default_config_static_selectorELNS0_4arch9wavefront6targetE1EEEvT1_
                                        ; -- End function
	.section	.AMDGPU.csdata,"",@progbits
; Kernel info:
; codeLenInByte = 0
; NumSgprs: 6
; NumVgprs: 0
; NumAgprs: 0
; TotalNumVgprs: 0
; ScratchSize: 0
; MemoryBound: 0
; FloatMode: 240
; IeeeMode: 1
; LDSByteSize: 0 bytes/workgroup (compile time only)
; SGPRBlocks: 0
; VGPRBlocks: 0
; NumSGPRsForWavesPerEU: 6
; NumVGPRsForWavesPerEU: 1
; AccumOffset: 4
; Occupancy: 8
; WaveLimiterHint : 0
; COMPUTE_PGM_RSRC2:SCRATCH_EN: 0
; COMPUTE_PGM_RSRC2:USER_SGPR: 2
; COMPUTE_PGM_RSRC2:TRAP_HANDLER: 0
; COMPUTE_PGM_RSRC2:TGID_X_EN: 1
; COMPUTE_PGM_RSRC2:TGID_Y_EN: 0
; COMPUTE_PGM_RSRC2:TGID_Z_EN: 0
; COMPUTE_PGM_RSRC2:TIDIG_COMP_CNT: 0
; COMPUTE_PGM_RSRC3_GFX90A:ACCUM_OFFSET: 0
; COMPUTE_PGM_RSRC3_GFX90A:TG_SPLIT: 0
	.section	.text._ZN7rocprim17ROCPRIM_400000_NS6detail17trampoline_kernelINS0_14default_configENS1_27scan_by_key_config_selectorIitEEZZNS1_16scan_by_key_implILNS1_25lookback_scan_determinismE0ELb1ES3_N6thrust23THRUST_200600_302600_NS6detail15normal_iteratorINS9_10device_ptrIiEEEENSB_INSC_ItEEEESG_tNS9_4plusIvEENS9_8equal_toIvEEtEE10hipError_tPvRmT2_T3_T4_T5_mT6_T7_P12ihipStream_tbENKUlT_T0_E_clISt17integral_constantIbLb0EES10_IbLb1EEEEDaSW_SX_EUlSW_E_NS1_11comp_targetILNS1_3genE3ELNS1_11target_archE908ELNS1_3gpuE7ELNS1_3repE0EEENS1_30default_config_static_selectorELNS0_4arch9wavefront6targetE1EEEvT1_,"axG",@progbits,_ZN7rocprim17ROCPRIM_400000_NS6detail17trampoline_kernelINS0_14default_configENS1_27scan_by_key_config_selectorIitEEZZNS1_16scan_by_key_implILNS1_25lookback_scan_determinismE0ELb1ES3_N6thrust23THRUST_200600_302600_NS6detail15normal_iteratorINS9_10device_ptrIiEEEENSB_INSC_ItEEEESG_tNS9_4plusIvEENS9_8equal_toIvEEtEE10hipError_tPvRmT2_T3_T4_T5_mT6_T7_P12ihipStream_tbENKUlT_T0_E_clISt17integral_constantIbLb0EES10_IbLb1EEEEDaSW_SX_EUlSW_E_NS1_11comp_targetILNS1_3genE3ELNS1_11target_archE908ELNS1_3gpuE7ELNS1_3repE0EEENS1_30default_config_static_selectorELNS0_4arch9wavefront6targetE1EEEvT1_,comdat
	.protected	_ZN7rocprim17ROCPRIM_400000_NS6detail17trampoline_kernelINS0_14default_configENS1_27scan_by_key_config_selectorIitEEZZNS1_16scan_by_key_implILNS1_25lookback_scan_determinismE0ELb1ES3_N6thrust23THRUST_200600_302600_NS6detail15normal_iteratorINS9_10device_ptrIiEEEENSB_INSC_ItEEEESG_tNS9_4plusIvEENS9_8equal_toIvEEtEE10hipError_tPvRmT2_T3_T4_T5_mT6_T7_P12ihipStream_tbENKUlT_T0_E_clISt17integral_constantIbLb0EES10_IbLb1EEEEDaSW_SX_EUlSW_E_NS1_11comp_targetILNS1_3genE3ELNS1_11target_archE908ELNS1_3gpuE7ELNS1_3repE0EEENS1_30default_config_static_selectorELNS0_4arch9wavefront6targetE1EEEvT1_ ; -- Begin function _ZN7rocprim17ROCPRIM_400000_NS6detail17trampoline_kernelINS0_14default_configENS1_27scan_by_key_config_selectorIitEEZZNS1_16scan_by_key_implILNS1_25lookback_scan_determinismE0ELb1ES3_N6thrust23THRUST_200600_302600_NS6detail15normal_iteratorINS9_10device_ptrIiEEEENSB_INSC_ItEEEESG_tNS9_4plusIvEENS9_8equal_toIvEEtEE10hipError_tPvRmT2_T3_T4_T5_mT6_T7_P12ihipStream_tbENKUlT_T0_E_clISt17integral_constantIbLb0EES10_IbLb1EEEEDaSW_SX_EUlSW_E_NS1_11comp_targetILNS1_3genE3ELNS1_11target_archE908ELNS1_3gpuE7ELNS1_3repE0EEENS1_30default_config_static_selectorELNS0_4arch9wavefront6targetE1EEEvT1_
	.globl	_ZN7rocprim17ROCPRIM_400000_NS6detail17trampoline_kernelINS0_14default_configENS1_27scan_by_key_config_selectorIitEEZZNS1_16scan_by_key_implILNS1_25lookback_scan_determinismE0ELb1ES3_N6thrust23THRUST_200600_302600_NS6detail15normal_iteratorINS9_10device_ptrIiEEEENSB_INSC_ItEEEESG_tNS9_4plusIvEENS9_8equal_toIvEEtEE10hipError_tPvRmT2_T3_T4_T5_mT6_T7_P12ihipStream_tbENKUlT_T0_E_clISt17integral_constantIbLb0EES10_IbLb1EEEEDaSW_SX_EUlSW_E_NS1_11comp_targetILNS1_3genE3ELNS1_11target_archE908ELNS1_3gpuE7ELNS1_3repE0EEENS1_30default_config_static_selectorELNS0_4arch9wavefront6targetE1EEEvT1_
	.p2align	8
	.type	_ZN7rocprim17ROCPRIM_400000_NS6detail17trampoline_kernelINS0_14default_configENS1_27scan_by_key_config_selectorIitEEZZNS1_16scan_by_key_implILNS1_25lookback_scan_determinismE0ELb1ES3_N6thrust23THRUST_200600_302600_NS6detail15normal_iteratorINS9_10device_ptrIiEEEENSB_INSC_ItEEEESG_tNS9_4plusIvEENS9_8equal_toIvEEtEE10hipError_tPvRmT2_T3_T4_T5_mT6_T7_P12ihipStream_tbENKUlT_T0_E_clISt17integral_constantIbLb0EES10_IbLb1EEEEDaSW_SX_EUlSW_E_NS1_11comp_targetILNS1_3genE3ELNS1_11target_archE908ELNS1_3gpuE7ELNS1_3repE0EEENS1_30default_config_static_selectorELNS0_4arch9wavefront6targetE1EEEvT1_,@function
_ZN7rocprim17ROCPRIM_400000_NS6detail17trampoline_kernelINS0_14default_configENS1_27scan_by_key_config_selectorIitEEZZNS1_16scan_by_key_implILNS1_25lookback_scan_determinismE0ELb1ES3_N6thrust23THRUST_200600_302600_NS6detail15normal_iteratorINS9_10device_ptrIiEEEENSB_INSC_ItEEEESG_tNS9_4plusIvEENS9_8equal_toIvEEtEE10hipError_tPvRmT2_T3_T4_T5_mT6_T7_P12ihipStream_tbENKUlT_T0_E_clISt17integral_constantIbLb0EES10_IbLb1EEEEDaSW_SX_EUlSW_E_NS1_11comp_targetILNS1_3genE3ELNS1_11target_archE908ELNS1_3gpuE7ELNS1_3repE0EEENS1_30default_config_static_selectorELNS0_4arch9wavefront6targetE1EEEvT1_: ; @_ZN7rocprim17ROCPRIM_400000_NS6detail17trampoline_kernelINS0_14default_configENS1_27scan_by_key_config_selectorIitEEZZNS1_16scan_by_key_implILNS1_25lookback_scan_determinismE0ELb1ES3_N6thrust23THRUST_200600_302600_NS6detail15normal_iteratorINS9_10device_ptrIiEEEENSB_INSC_ItEEEESG_tNS9_4plusIvEENS9_8equal_toIvEEtEE10hipError_tPvRmT2_T3_T4_T5_mT6_T7_P12ihipStream_tbENKUlT_T0_E_clISt17integral_constantIbLb0EES10_IbLb1EEEEDaSW_SX_EUlSW_E_NS1_11comp_targetILNS1_3genE3ELNS1_11target_archE908ELNS1_3gpuE7ELNS1_3repE0EEENS1_30default_config_static_selectorELNS0_4arch9wavefront6targetE1EEEvT1_
; %bb.0:
	.section	.rodata,"a",@progbits
	.p2align	6, 0x0
	.amdhsa_kernel _ZN7rocprim17ROCPRIM_400000_NS6detail17trampoline_kernelINS0_14default_configENS1_27scan_by_key_config_selectorIitEEZZNS1_16scan_by_key_implILNS1_25lookback_scan_determinismE0ELb1ES3_N6thrust23THRUST_200600_302600_NS6detail15normal_iteratorINS9_10device_ptrIiEEEENSB_INSC_ItEEEESG_tNS9_4plusIvEENS9_8equal_toIvEEtEE10hipError_tPvRmT2_T3_T4_T5_mT6_T7_P12ihipStream_tbENKUlT_T0_E_clISt17integral_constantIbLb0EES10_IbLb1EEEEDaSW_SX_EUlSW_E_NS1_11comp_targetILNS1_3genE3ELNS1_11target_archE908ELNS1_3gpuE7ELNS1_3repE0EEENS1_30default_config_static_selectorELNS0_4arch9wavefront6targetE1EEEvT1_
		.amdhsa_group_segment_fixed_size 0
		.amdhsa_private_segment_fixed_size 0
		.amdhsa_kernarg_size 112
		.amdhsa_user_sgpr_count 2
		.amdhsa_user_sgpr_dispatch_ptr 0
		.amdhsa_user_sgpr_queue_ptr 0
		.amdhsa_user_sgpr_kernarg_segment_ptr 1
		.amdhsa_user_sgpr_dispatch_id 0
		.amdhsa_user_sgpr_kernarg_preload_length 0
		.amdhsa_user_sgpr_kernarg_preload_offset 0
		.amdhsa_user_sgpr_private_segment_size 0
		.amdhsa_uses_dynamic_stack 0
		.amdhsa_enable_private_segment 0
		.amdhsa_system_sgpr_workgroup_id_x 1
		.amdhsa_system_sgpr_workgroup_id_y 0
		.amdhsa_system_sgpr_workgroup_id_z 0
		.amdhsa_system_sgpr_workgroup_info 0
		.amdhsa_system_vgpr_workitem_id 0
		.amdhsa_next_free_vgpr 1
		.amdhsa_next_free_sgpr 0
		.amdhsa_accum_offset 4
		.amdhsa_reserve_vcc 0
		.amdhsa_float_round_mode_32 0
		.amdhsa_float_round_mode_16_64 0
		.amdhsa_float_denorm_mode_32 3
		.amdhsa_float_denorm_mode_16_64 3
		.amdhsa_dx10_clamp 1
		.amdhsa_ieee_mode 1
		.amdhsa_fp16_overflow 0
		.amdhsa_tg_split 0
		.amdhsa_exception_fp_ieee_invalid_op 0
		.amdhsa_exception_fp_denorm_src 0
		.amdhsa_exception_fp_ieee_div_zero 0
		.amdhsa_exception_fp_ieee_overflow 0
		.amdhsa_exception_fp_ieee_underflow 0
		.amdhsa_exception_fp_ieee_inexact 0
		.amdhsa_exception_int_div_zero 0
	.end_amdhsa_kernel
	.section	.text._ZN7rocprim17ROCPRIM_400000_NS6detail17trampoline_kernelINS0_14default_configENS1_27scan_by_key_config_selectorIitEEZZNS1_16scan_by_key_implILNS1_25lookback_scan_determinismE0ELb1ES3_N6thrust23THRUST_200600_302600_NS6detail15normal_iteratorINS9_10device_ptrIiEEEENSB_INSC_ItEEEESG_tNS9_4plusIvEENS9_8equal_toIvEEtEE10hipError_tPvRmT2_T3_T4_T5_mT6_T7_P12ihipStream_tbENKUlT_T0_E_clISt17integral_constantIbLb0EES10_IbLb1EEEEDaSW_SX_EUlSW_E_NS1_11comp_targetILNS1_3genE3ELNS1_11target_archE908ELNS1_3gpuE7ELNS1_3repE0EEENS1_30default_config_static_selectorELNS0_4arch9wavefront6targetE1EEEvT1_,"axG",@progbits,_ZN7rocprim17ROCPRIM_400000_NS6detail17trampoline_kernelINS0_14default_configENS1_27scan_by_key_config_selectorIitEEZZNS1_16scan_by_key_implILNS1_25lookback_scan_determinismE0ELb1ES3_N6thrust23THRUST_200600_302600_NS6detail15normal_iteratorINS9_10device_ptrIiEEEENSB_INSC_ItEEEESG_tNS9_4plusIvEENS9_8equal_toIvEEtEE10hipError_tPvRmT2_T3_T4_T5_mT6_T7_P12ihipStream_tbENKUlT_T0_E_clISt17integral_constantIbLb0EES10_IbLb1EEEEDaSW_SX_EUlSW_E_NS1_11comp_targetILNS1_3genE3ELNS1_11target_archE908ELNS1_3gpuE7ELNS1_3repE0EEENS1_30default_config_static_selectorELNS0_4arch9wavefront6targetE1EEEvT1_,comdat
.Lfunc_end1566:
	.size	_ZN7rocprim17ROCPRIM_400000_NS6detail17trampoline_kernelINS0_14default_configENS1_27scan_by_key_config_selectorIitEEZZNS1_16scan_by_key_implILNS1_25lookback_scan_determinismE0ELb1ES3_N6thrust23THRUST_200600_302600_NS6detail15normal_iteratorINS9_10device_ptrIiEEEENSB_INSC_ItEEEESG_tNS9_4plusIvEENS9_8equal_toIvEEtEE10hipError_tPvRmT2_T3_T4_T5_mT6_T7_P12ihipStream_tbENKUlT_T0_E_clISt17integral_constantIbLb0EES10_IbLb1EEEEDaSW_SX_EUlSW_E_NS1_11comp_targetILNS1_3genE3ELNS1_11target_archE908ELNS1_3gpuE7ELNS1_3repE0EEENS1_30default_config_static_selectorELNS0_4arch9wavefront6targetE1EEEvT1_, .Lfunc_end1566-_ZN7rocprim17ROCPRIM_400000_NS6detail17trampoline_kernelINS0_14default_configENS1_27scan_by_key_config_selectorIitEEZZNS1_16scan_by_key_implILNS1_25lookback_scan_determinismE0ELb1ES3_N6thrust23THRUST_200600_302600_NS6detail15normal_iteratorINS9_10device_ptrIiEEEENSB_INSC_ItEEEESG_tNS9_4plusIvEENS9_8equal_toIvEEtEE10hipError_tPvRmT2_T3_T4_T5_mT6_T7_P12ihipStream_tbENKUlT_T0_E_clISt17integral_constantIbLb0EES10_IbLb1EEEEDaSW_SX_EUlSW_E_NS1_11comp_targetILNS1_3genE3ELNS1_11target_archE908ELNS1_3gpuE7ELNS1_3repE0EEENS1_30default_config_static_selectorELNS0_4arch9wavefront6targetE1EEEvT1_
                                        ; -- End function
	.section	.AMDGPU.csdata,"",@progbits
; Kernel info:
; codeLenInByte = 0
; NumSgprs: 6
; NumVgprs: 0
; NumAgprs: 0
; TotalNumVgprs: 0
; ScratchSize: 0
; MemoryBound: 0
; FloatMode: 240
; IeeeMode: 1
; LDSByteSize: 0 bytes/workgroup (compile time only)
; SGPRBlocks: 0
; VGPRBlocks: 0
; NumSGPRsForWavesPerEU: 6
; NumVGPRsForWavesPerEU: 1
; AccumOffset: 4
; Occupancy: 8
; WaveLimiterHint : 0
; COMPUTE_PGM_RSRC2:SCRATCH_EN: 0
; COMPUTE_PGM_RSRC2:USER_SGPR: 2
; COMPUTE_PGM_RSRC2:TRAP_HANDLER: 0
; COMPUTE_PGM_RSRC2:TGID_X_EN: 1
; COMPUTE_PGM_RSRC2:TGID_Y_EN: 0
; COMPUTE_PGM_RSRC2:TGID_Z_EN: 0
; COMPUTE_PGM_RSRC2:TIDIG_COMP_CNT: 0
; COMPUTE_PGM_RSRC3_GFX90A:ACCUM_OFFSET: 0
; COMPUTE_PGM_RSRC3_GFX90A:TG_SPLIT: 0
	.section	.text._ZN7rocprim17ROCPRIM_400000_NS6detail17trampoline_kernelINS0_14default_configENS1_27scan_by_key_config_selectorIitEEZZNS1_16scan_by_key_implILNS1_25lookback_scan_determinismE0ELb1ES3_N6thrust23THRUST_200600_302600_NS6detail15normal_iteratorINS9_10device_ptrIiEEEENSB_INSC_ItEEEESG_tNS9_4plusIvEENS9_8equal_toIvEEtEE10hipError_tPvRmT2_T3_T4_T5_mT6_T7_P12ihipStream_tbENKUlT_T0_E_clISt17integral_constantIbLb0EES10_IbLb1EEEEDaSW_SX_EUlSW_E_NS1_11comp_targetILNS1_3genE2ELNS1_11target_archE906ELNS1_3gpuE6ELNS1_3repE0EEENS1_30default_config_static_selectorELNS0_4arch9wavefront6targetE1EEEvT1_,"axG",@progbits,_ZN7rocprim17ROCPRIM_400000_NS6detail17trampoline_kernelINS0_14default_configENS1_27scan_by_key_config_selectorIitEEZZNS1_16scan_by_key_implILNS1_25lookback_scan_determinismE0ELb1ES3_N6thrust23THRUST_200600_302600_NS6detail15normal_iteratorINS9_10device_ptrIiEEEENSB_INSC_ItEEEESG_tNS9_4plusIvEENS9_8equal_toIvEEtEE10hipError_tPvRmT2_T3_T4_T5_mT6_T7_P12ihipStream_tbENKUlT_T0_E_clISt17integral_constantIbLb0EES10_IbLb1EEEEDaSW_SX_EUlSW_E_NS1_11comp_targetILNS1_3genE2ELNS1_11target_archE906ELNS1_3gpuE6ELNS1_3repE0EEENS1_30default_config_static_selectorELNS0_4arch9wavefront6targetE1EEEvT1_,comdat
	.protected	_ZN7rocprim17ROCPRIM_400000_NS6detail17trampoline_kernelINS0_14default_configENS1_27scan_by_key_config_selectorIitEEZZNS1_16scan_by_key_implILNS1_25lookback_scan_determinismE0ELb1ES3_N6thrust23THRUST_200600_302600_NS6detail15normal_iteratorINS9_10device_ptrIiEEEENSB_INSC_ItEEEESG_tNS9_4plusIvEENS9_8equal_toIvEEtEE10hipError_tPvRmT2_T3_T4_T5_mT6_T7_P12ihipStream_tbENKUlT_T0_E_clISt17integral_constantIbLb0EES10_IbLb1EEEEDaSW_SX_EUlSW_E_NS1_11comp_targetILNS1_3genE2ELNS1_11target_archE906ELNS1_3gpuE6ELNS1_3repE0EEENS1_30default_config_static_selectorELNS0_4arch9wavefront6targetE1EEEvT1_ ; -- Begin function _ZN7rocprim17ROCPRIM_400000_NS6detail17trampoline_kernelINS0_14default_configENS1_27scan_by_key_config_selectorIitEEZZNS1_16scan_by_key_implILNS1_25lookback_scan_determinismE0ELb1ES3_N6thrust23THRUST_200600_302600_NS6detail15normal_iteratorINS9_10device_ptrIiEEEENSB_INSC_ItEEEESG_tNS9_4plusIvEENS9_8equal_toIvEEtEE10hipError_tPvRmT2_T3_T4_T5_mT6_T7_P12ihipStream_tbENKUlT_T0_E_clISt17integral_constantIbLb0EES10_IbLb1EEEEDaSW_SX_EUlSW_E_NS1_11comp_targetILNS1_3genE2ELNS1_11target_archE906ELNS1_3gpuE6ELNS1_3repE0EEENS1_30default_config_static_selectorELNS0_4arch9wavefront6targetE1EEEvT1_
	.globl	_ZN7rocprim17ROCPRIM_400000_NS6detail17trampoline_kernelINS0_14default_configENS1_27scan_by_key_config_selectorIitEEZZNS1_16scan_by_key_implILNS1_25lookback_scan_determinismE0ELb1ES3_N6thrust23THRUST_200600_302600_NS6detail15normal_iteratorINS9_10device_ptrIiEEEENSB_INSC_ItEEEESG_tNS9_4plusIvEENS9_8equal_toIvEEtEE10hipError_tPvRmT2_T3_T4_T5_mT6_T7_P12ihipStream_tbENKUlT_T0_E_clISt17integral_constantIbLb0EES10_IbLb1EEEEDaSW_SX_EUlSW_E_NS1_11comp_targetILNS1_3genE2ELNS1_11target_archE906ELNS1_3gpuE6ELNS1_3repE0EEENS1_30default_config_static_selectorELNS0_4arch9wavefront6targetE1EEEvT1_
	.p2align	8
	.type	_ZN7rocprim17ROCPRIM_400000_NS6detail17trampoline_kernelINS0_14default_configENS1_27scan_by_key_config_selectorIitEEZZNS1_16scan_by_key_implILNS1_25lookback_scan_determinismE0ELb1ES3_N6thrust23THRUST_200600_302600_NS6detail15normal_iteratorINS9_10device_ptrIiEEEENSB_INSC_ItEEEESG_tNS9_4plusIvEENS9_8equal_toIvEEtEE10hipError_tPvRmT2_T3_T4_T5_mT6_T7_P12ihipStream_tbENKUlT_T0_E_clISt17integral_constantIbLb0EES10_IbLb1EEEEDaSW_SX_EUlSW_E_NS1_11comp_targetILNS1_3genE2ELNS1_11target_archE906ELNS1_3gpuE6ELNS1_3repE0EEENS1_30default_config_static_selectorELNS0_4arch9wavefront6targetE1EEEvT1_,@function
_ZN7rocprim17ROCPRIM_400000_NS6detail17trampoline_kernelINS0_14default_configENS1_27scan_by_key_config_selectorIitEEZZNS1_16scan_by_key_implILNS1_25lookback_scan_determinismE0ELb1ES3_N6thrust23THRUST_200600_302600_NS6detail15normal_iteratorINS9_10device_ptrIiEEEENSB_INSC_ItEEEESG_tNS9_4plusIvEENS9_8equal_toIvEEtEE10hipError_tPvRmT2_T3_T4_T5_mT6_T7_P12ihipStream_tbENKUlT_T0_E_clISt17integral_constantIbLb0EES10_IbLb1EEEEDaSW_SX_EUlSW_E_NS1_11comp_targetILNS1_3genE2ELNS1_11target_archE906ELNS1_3gpuE6ELNS1_3repE0EEENS1_30default_config_static_selectorELNS0_4arch9wavefront6targetE1EEEvT1_: ; @_ZN7rocprim17ROCPRIM_400000_NS6detail17trampoline_kernelINS0_14default_configENS1_27scan_by_key_config_selectorIitEEZZNS1_16scan_by_key_implILNS1_25lookback_scan_determinismE0ELb1ES3_N6thrust23THRUST_200600_302600_NS6detail15normal_iteratorINS9_10device_ptrIiEEEENSB_INSC_ItEEEESG_tNS9_4plusIvEENS9_8equal_toIvEEtEE10hipError_tPvRmT2_T3_T4_T5_mT6_T7_P12ihipStream_tbENKUlT_T0_E_clISt17integral_constantIbLb0EES10_IbLb1EEEEDaSW_SX_EUlSW_E_NS1_11comp_targetILNS1_3genE2ELNS1_11target_archE906ELNS1_3gpuE6ELNS1_3repE0EEENS1_30default_config_static_selectorELNS0_4arch9wavefront6targetE1EEEvT1_
; %bb.0:
	.section	.rodata,"a",@progbits
	.p2align	6, 0x0
	.amdhsa_kernel _ZN7rocprim17ROCPRIM_400000_NS6detail17trampoline_kernelINS0_14default_configENS1_27scan_by_key_config_selectorIitEEZZNS1_16scan_by_key_implILNS1_25lookback_scan_determinismE0ELb1ES3_N6thrust23THRUST_200600_302600_NS6detail15normal_iteratorINS9_10device_ptrIiEEEENSB_INSC_ItEEEESG_tNS9_4plusIvEENS9_8equal_toIvEEtEE10hipError_tPvRmT2_T3_T4_T5_mT6_T7_P12ihipStream_tbENKUlT_T0_E_clISt17integral_constantIbLb0EES10_IbLb1EEEEDaSW_SX_EUlSW_E_NS1_11comp_targetILNS1_3genE2ELNS1_11target_archE906ELNS1_3gpuE6ELNS1_3repE0EEENS1_30default_config_static_selectorELNS0_4arch9wavefront6targetE1EEEvT1_
		.amdhsa_group_segment_fixed_size 0
		.amdhsa_private_segment_fixed_size 0
		.amdhsa_kernarg_size 112
		.amdhsa_user_sgpr_count 2
		.amdhsa_user_sgpr_dispatch_ptr 0
		.amdhsa_user_sgpr_queue_ptr 0
		.amdhsa_user_sgpr_kernarg_segment_ptr 1
		.amdhsa_user_sgpr_dispatch_id 0
		.amdhsa_user_sgpr_kernarg_preload_length 0
		.amdhsa_user_sgpr_kernarg_preload_offset 0
		.amdhsa_user_sgpr_private_segment_size 0
		.amdhsa_uses_dynamic_stack 0
		.amdhsa_enable_private_segment 0
		.amdhsa_system_sgpr_workgroup_id_x 1
		.amdhsa_system_sgpr_workgroup_id_y 0
		.amdhsa_system_sgpr_workgroup_id_z 0
		.amdhsa_system_sgpr_workgroup_info 0
		.amdhsa_system_vgpr_workitem_id 0
		.amdhsa_next_free_vgpr 1
		.amdhsa_next_free_sgpr 0
		.amdhsa_accum_offset 4
		.amdhsa_reserve_vcc 0
		.amdhsa_float_round_mode_32 0
		.amdhsa_float_round_mode_16_64 0
		.amdhsa_float_denorm_mode_32 3
		.amdhsa_float_denorm_mode_16_64 3
		.amdhsa_dx10_clamp 1
		.amdhsa_ieee_mode 1
		.amdhsa_fp16_overflow 0
		.amdhsa_tg_split 0
		.amdhsa_exception_fp_ieee_invalid_op 0
		.amdhsa_exception_fp_denorm_src 0
		.amdhsa_exception_fp_ieee_div_zero 0
		.amdhsa_exception_fp_ieee_overflow 0
		.amdhsa_exception_fp_ieee_underflow 0
		.amdhsa_exception_fp_ieee_inexact 0
		.amdhsa_exception_int_div_zero 0
	.end_amdhsa_kernel
	.section	.text._ZN7rocprim17ROCPRIM_400000_NS6detail17trampoline_kernelINS0_14default_configENS1_27scan_by_key_config_selectorIitEEZZNS1_16scan_by_key_implILNS1_25lookback_scan_determinismE0ELb1ES3_N6thrust23THRUST_200600_302600_NS6detail15normal_iteratorINS9_10device_ptrIiEEEENSB_INSC_ItEEEESG_tNS9_4plusIvEENS9_8equal_toIvEEtEE10hipError_tPvRmT2_T3_T4_T5_mT6_T7_P12ihipStream_tbENKUlT_T0_E_clISt17integral_constantIbLb0EES10_IbLb1EEEEDaSW_SX_EUlSW_E_NS1_11comp_targetILNS1_3genE2ELNS1_11target_archE906ELNS1_3gpuE6ELNS1_3repE0EEENS1_30default_config_static_selectorELNS0_4arch9wavefront6targetE1EEEvT1_,"axG",@progbits,_ZN7rocprim17ROCPRIM_400000_NS6detail17trampoline_kernelINS0_14default_configENS1_27scan_by_key_config_selectorIitEEZZNS1_16scan_by_key_implILNS1_25lookback_scan_determinismE0ELb1ES3_N6thrust23THRUST_200600_302600_NS6detail15normal_iteratorINS9_10device_ptrIiEEEENSB_INSC_ItEEEESG_tNS9_4plusIvEENS9_8equal_toIvEEtEE10hipError_tPvRmT2_T3_T4_T5_mT6_T7_P12ihipStream_tbENKUlT_T0_E_clISt17integral_constantIbLb0EES10_IbLb1EEEEDaSW_SX_EUlSW_E_NS1_11comp_targetILNS1_3genE2ELNS1_11target_archE906ELNS1_3gpuE6ELNS1_3repE0EEENS1_30default_config_static_selectorELNS0_4arch9wavefront6targetE1EEEvT1_,comdat
.Lfunc_end1567:
	.size	_ZN7rocprim17ROCPRIM_400000_NS6detail17trampoline_kernelINS0_14default_configENS1_27scan_by_key_config_selectorIitEEZZNS1_16scan_by_key_implILNS1_25lookback_scan_determinismE0ELb1ES3_N6thrust23THRUST_200600_302600_NS6detail15normal_iteratorINS9_10device_ptrIiEEEENSB_INSC_ItEEEESG_tNS9_4plusIvEENS9_8equal_toIvEEtEE10hipError_tPvRmT2_T3_T4_T5_mT6_T7_P12ihipStream_tbENKUlT_T0_E_clISt17integral_constantIbLb0EES10_IbLb1EEEEDaSW_SX_EUlSW_E_NS1_11comp_targetILNS1_3genE2ELNS1_11target_archE906ELNS1_3gpuE6ELNS1_3repE0EEENS1_30default_config_static_selectorELNS0_4arch9wavefront6targetE1EEEvT1_, .Lfunc_end1567-_ZN7rocprim17ROCPRIM_400000_NS6detail17trampoline_kernelINS0_14default_configENS1_27scan_by_key_config_selectorIitEEZZNS1_16scan_by_key_implILNS1_25lookback_scan_determinismE0ELb1ES3_N6thrust23THRUST_200600_302600_NS6detail15normal_iteratorINS9_10device_ptrIiEEEENSB_INSC_ItEEEESG_tNS9_4plusIvEENS9_8equal_toIvEEtEE10hipError_tPvRmT2_T3_T4_T5_mT6_T7_P12ihipStream_tbENKUlT_T0_E_clISt17integral_constantIbLb0EES10_IbLb1EEEEDaSW_SX_EUlSW_E_NS1_11comp_targetILNS1_3genE2ELNS1_11target_archE906ELNS1_3gpuE6ELNS1_3repE0EEENS1_30default_config_static_selectorELNS0_4arch9wavefront6targetE1EEEvT1_
                                        ; -- End function
	.section	.AMDGPU.csdata,"",@progbits
; Kernel info:
; codeLenInByte = 0
; NumSgprs: 6
; NumVgprs: 0
; NumAgprs: 0
; TotalNumVgprs: 0
; ScratchSize: 0
; MemoryBound: 0
; FloatMode: 240
; IeeeMode: 1
; LDSByteSize: 0 bytes/workgroup (compile time only)
; SGPRBlocks: 0
; VGPRBlocks: 0
; NumSGPRsForWavesPerEU: 6
; NumVGPRsForWavesPerEU: 1
; AccumOffset: 4
; Occupancy: 8
; WaveLimiterHint : 0
; COMPUTE_PGM_RSRC2:SCRATCH_EN: 0
; COMPUTE_PGM_RSRC2:USER_SGPR: 2
; COMPUTE_PGM_RSRC2:TRAP_HANDLER: 0
; COMPUTE_PGM_RSRC2:TGID_X_EN: 1
; COMPUTE_PGM_RSRC2:TGID_Y_EN: 0
; COMPUTE_PGM_RSRC2:TGID_Z_EN: 0
; COMPUTE_PGM_RSRC2:TIDIG_COMP_CNT: 0
; COMPUTE_PGM_RSRC3_GFX90A:ACCUM_OFFSET: 0
; COMPUTE_PGM_RSRC3_GFX90A:TG_SPLIT: 0
	.section	.text._ZN7rocprim17ROCPRIM_400000_NS6detail17trampoline_kernelINS0_14default_configENS1_27scan_by_key_config_selectorIitEEZZNS1_16scan_by_key_implILNS1_25lookback_scan_determinismE0ELb1ES3_N6thrust23THRUST_200600_302600_NS6detail15normal_iteratorINS9_10device_ptrIiEEEENSB_INSC_ItEEEESG_tNS9_4plusIvEENS9_8equal_toIvEEtEE10hipError_tPvRmT2_T3_T4_T5_mT6_T7_P12ihipStream_tbENKUlT_T0_E_clISt17integral_constantIbLb0EES10_IbLb1EEEEDaSW_SX_EUlSW_E_NS1_11comp_targetILNS1_3genE10ELNS1_11target_archE1200ELNS1_3gpuE4ELNS1_3repE0EEENS1_30default_config_static_selectorELNS0_4arch9wavefront6targetE1EEEvT1_,"axG",@progbits,_ZN7rocprim17ROCPRIM_400000_NS6detail17trampoline_kernelINS0_14default_configENS1_27scan_by_key_config_selectorIitEEZZNS1_16scan_by_key_implILNS1_25lookback_scan_determinismE0ELb1ES3_N6thrust23THRUST_200600_302600_NS6detail15normal_iteratorINS9_10device_ptrIiEEEENSB_INSC_ItEEEESG_tNS9_4plusIvEENS9_8equal_toIvEEtEE10hipError_tPvRmT2_T3_T4_T5_mT6_T7_P12ihipStream_tbENKUlT_T0_E_clISt17integral_constantIbLb0EES10_IbLb1EEEEDaSW_SX_EUlSW_E_NS1_11comp_targetILNS1_3genE10ELNS1_11target_archE1200ELNS1_3gpuE4ELNS1_3repE0EEENS1_30default_config_static_selectorELNS0_4arch9wavefront6targetE1EEEvT1_,comdat
	.protected	_ZN7rocprim17ROCPRIM_400000_NS6detail17trampoline_kernelINS0_14default_configENS1_27scan_by_key_config_selectorIitEEZZNS1_16scan_by_key_implILNS1_25lookback_scan_determinismE0ELb1ES3_N6thrust23THRUST_200600_302600_NS6detail15normal_iteratorINS9_10device_ptrIiEEEENSB_INSC_ItEEEESG_tNS9_4plusIvEENS9_8equal_toIvEEtEE10hipError_tPvRmT2_T3_T4_T5_mT6_T7_P12ihipStream_tbENKUlT_T0_E_clISt17integral_constantIbLb0EES10_IbLb1EEEEDaSW_SX_EUlSW_E_NS1_11comp_targetILNS1_3genE10ELNS1_11target_archE1200ELNS1_3gpuE4ELNS1_3repE0EEENS1_30default_config_static_selectorELNS0_4arch9wavefront6targetE1EEEvT1_ ; -- Begin function _ZN7rocprim17ROCPRIM_400000_NS6detail17trampoline_kernelINS0_14default_configENS1_27scan_by_key_config_selectorIitEEZZNS1_16scan_by_key_implILNS1_25lookback_scan_determinismE0ELb1ES3_N6thrust23THRUST_200600_302600_NS6detail15normal_iteratorINS9_10device_ptrIiEEEENSB_INSC_ItEEEESG_tNS9_4plusIvEENS9_8equal_toIvEEtEE10hipError_tPvRmT2_T3_T4_T5_mT6_T7_P12ihipStream_tbENKUlT_T0_E_clISt17integral_constantIbLb0EES10_IbLb1EEEEDaSW_SX_EUlSW_E_NS1_11comp_targetILNS1_3genE10ELNS1_11target_archE1200ELNS1_3gpuE4ELNS1_3repE0EEENS1_30default_config_static_selectorELNS0_4arch9wavefront6targetE1EEEvT1_
	.globl	_ZN7rocprim17ROCPRIM_400000_NS6detail17trampoline_kernelINS0_14default_configENS1_27scan_by_key_config_selectorIitEEZZNS1_16scan_by_key_implILNS1_25lookback_scan_determinismE0ELb1ES3_N6thrust23THRUST_200600_302600_NS6detail15normal_iteratorINS9_10device_ptrIiEEEENSB_INSC_ItEEEESG_tNS9_4plusIvEENS9_8equal_toIvEEtEE10hipError_tPvRmT2_T3_T4_T5_mT6_T7_P12ihipStream_tbENKUlT_T0_E_clISt17integral_constantIbLb0EES10_IbLb1EEEEDaSW_SX_EUlSW_E_NS1_11comp_targetILNS1_3genE10ELNS1_11target_archE1200ELNS1_3gpuE4ELNS1_3repE0EEENS1_30default_config_static_selectorELNS0_4arch9wavefront6targetE1EEEvT1_
	.p2align	8
	.type	_ZN7rocprim17ROCPRIM_400000_NS6detail17trampoline_kernelINS0_14default_configENS1_27scan_by_key_config_selectorIitEEZZNS1_16scan_by_key_implILNS1_25lookback_scan_determinismE0ELb1ES3_N6thrust23THRUST_200600_302600_NS6detail15normal_iteratorINS9_10device_ptrIiEEEENSB_INSC_ItEEEESG_tNS9_4plusIvEENS9_8equal_toIvEEtEE10hipError_tPvRmT2_T3_T4_T5_mT6_T7_P12ihipStream_tbENKUlT_T0_E_clISt17integral_constantIbLb0EES10_IbLb1EEEEDaSW_SX_EUlSW_E_NS1_11comp_targetILNS1_3genE10ELNS1_11target_archE1200ELNS1_3gpuE4ELNS1_3repE0EEENS1_30default_config_static_selectorELNS0_4arch9wavefront6targetE1EEEvT1_,@function
_ZN7rocprim17ROCPRIM_400000_NS6detail17trampoline_kernelINS0_14default_configENS1_27scan_by_key_config_selectorIitEEZZNS1_16scan_by_key_implILNS1_25lookback_scan_determinismE0ELb1ES3_N6thrust23THRUST_200600_302600_NS6detail15normal_iteratorINS9_10device_ptrIiEEEENSB_INSC_ItEEEESG_tNS9_4plusIvEENS9_8equal_toIvEEtEE10hipError_tPvRmT2_T3_T4_T5_mT6_T7_P12ihipStream_tbENKUlT_T0_E_clISt17integral_constantIbLb0EES10_IbLb1EEEEDaSW_SX_EUlSW_E_NS1_11comp_targetILNS1_3genE10ELNS1_11target_archE1200ELNS1_3gpuE4ELNS1_3repE0EEENS1_30default_config_static_selectorELNS0_4arch9wavefront6targetE1EEEvT1_: ; @_ZN7rocprim17ROCPRIM_400000_NS6detail17trampoline_kernelINS0_14default_configENS1_27scan_by_key_config_selectorIitEEZZNS1_16scan_by_key_implILNS1_25lookback_scan_determinismE0ELb1ES3_N6thrust23THRUST_200600_302600_NS6detail15normal_iteratorINS9_10device_ptrIiEEEENSB_INSC_ItEEEESG_tNS9_4plusIvEENS9_8equal_toIvEEtEE10hipError_tPvRmT2_T3_T4_T5_mT6_T7_P12ihipStream_tbENKUlT_T0_E_clISt17integral_constantIbLb0EES10_IbLb1EEEEDaSW_SX_EUlSW_E_NS1_11comp_targetILNS1_3genE10ELNS1_11target_archE1200ELNS1_3gpuE4ELNS1_3repE0EEENS1_30default_config_static_selectorELNS0_4arch9wavefront6targetE1EEEvT1_
; %bb.0:
	.section	.rodata,"a",@progbits
	.p2align	6, 0x0
	.amdhsa_kernel _ZN7rocprim17ROCPRIM_400000_NS6detail17trampoline_kernelINS0_14default_configENS1_27scan_by_key_config_selectorIitEEZZNS1_16scan_by_key_implILNS1_25lookback_scan_determinismE0ELb1ES3_N6thrust23THRUST_200600_302600_NS6detail15normal_iteratorINS9_10device_ptrIiEEEENSB_INSC_ItEEEESG_tNS9_4plusIvEENS9_8equal_toIvEEtEE10hipError_tPvRmT2_T3_T4_T5_mT6_T7_P12ihipStream_tbENKUlT_T0_E_clISt17integral_constantIbLb0EES10_IbLb1EEEEDaSW_SX_EUlSW_E_NS1_11comp_targetILNS1_3genE10ELNS1_11target_archE1200ELNS1_3gpuE4ELNS1_3repE0EEENS1_30default_config_static_selectorELNS0_4arch9wavefront6targetE1EEEvT1_
		.amdhsa_group_segment_fixed_size 0
		.amdhsa_private_segment_fixed_size 0
		.amdhsa_kernarg_size 112
		.amdhsa_user_sgpr_count 2
		.amdhsa_user_sgpr_dispatch_ptr 0
		.amdhsa_user_sgpr_queue_ptr 0
		.amdhsa_user_sgpr_kernarg_segment_ptr 1
		.amdhsa_user_sgpr_dispatch_id 0
		.amdhsa_user_sgpr_kernarg_preload_length 0
		.amdhsa_user_sgpr_kernarg_preload_offset 0
		.amdhsa_user_sgpr_private_segment_size 0
		.amdhsa_uses_dynamic_stack 0
		.amdhsa_enable_private_segment 0
		.amdhsa_system_sgpr_workgroup_id_x 1
		.amdhsa_system_sgpr_workgroup_id_y 0
		.amdhsa_system_sgpr_workgroup_id_z 0
		.amdhsa_system_sgpr_workgroup_info 0
		.amdhsa_system_vgpr_workitem_id 0
		.amdhsa_next_free_vgpr 1
		.amdhsa_next_free_sgpr 0
		.amdhsa_accum_offset 4
		.amdhsa_reserve_vcc 0
		.amdhsa_float_round_mode_32 0
		.amdhsa_float_round_mode_16_64 0
		.amdhsa_float_denorm_mode_32 3
		.amdhsa_float_denorm_mode_16_64 3
		.amdhsa_dx10_clamp 1
		.amdhsa_ieee_mode 1
		.amdhsa_fp16_overflow 0
		.amdhsa_tg_split 0
		.amdhsa_exception_fp_ieee_invalid_op 0
		.amdhsa_exception_fp_denorm_src 0
		.amdhsa_exception_fp_ieee_div_zero 0
		.amdhsa_exception_fp_ieee_overflow 0
		.amdhsa_exception_fp_ieee_underflow 0
		.amdhsa_exception_fp_ieee_inexact 0
		.amdhsa_exception_int_div_zero 0
	.end_amdhsa_kernel
	.section	.text._ZN7rocprim17ROCPRIM_400000_NS6detail17trampoline_kernelINS0_14default_configENS1_27scan_by_key_config_selectorIitEEZZNS1_16scan_by_key_implILNS1_25lookback_scan_determinismE0ELb1ES3_N6thrust23THRUST_200600_302600_NS6detail15normal_iteratorINS9_10device_ptrIiEEEENSB_INSC_ItEEEESG_tNS9_4plusIvEENS9_8equal_toIvEEtEE10hipError_tPvRmT2_T3_T4_T5_mT6_T7_P12ihipStream_tbENKUlT_T0_E_clISt17integral_constantIbLb0EES10_IbLb1EEEEDaSW_SX_EUlSW_E_NS1_11comp_targetILNS1_3genE10ELNS1_11target_archE1200ELNS1_3gpuE4ELNS1_3repE0EEENS1_30default_config_static_selectorELNS0_4arch9wavefront6targetE1EEEvT1_,"axG",@progbits,_ZN7rocprim17ROCPRIM_400000_NS6detail17trampoline_kernelINS0_14default_configENS1_27scan_by_key_config_selectorIitEEZZNS1_16scan_by_key_implILNS1_25lookback_scan_determinismE0ELb1ES3_N6thrust23THRUST_200600_302600_NS6detail15normal_iteratorINS9_10device_ptrIiEEEENSB_INSC_ItEEEESG_tNS9_4plusIvEENS9_8equal_toIvEEtEE10hipError_tPvRmT2_T3_T4_T5_mT6_T7_P12ihipStream_tbENKUlT_T0_E_clISt17integral_constantIbLb0EES10_IbLb1EEEEDaSW_SX_EUlSW_E_NS1_11comp_targetILNS1_3genE10ELNS1_11target_archE1200ELNS1_3gpuE4ELNS1_3repE0EEENS1_30default_config_static_selectorELNS0_4arch9wavefront6targetE1EEEvT1_,comdat
.Lfunc_end1568:
	.size	_ZN7rocprim17ROCPRIM_400000_NS6detail17trampoline_kernelINS0_14default_configENS1_27scan_by_key_config_selectorIitEEZZNS1_16scan_by_key_implILNS1_25lookback_scan_determinismE0ELb1ES3_N6thrust23THRUST_200600_302600_NS6detail15normal_iteratorINS9_10device_ptrIiEEEENSB_INSC_ItEEEESG_tNS9_4plusIvEENS9_8equal_toIvEEtEE10hipError_tPvRmT2_T3_T4_T5_mT6_T7_P12ihipStream_tbENKUlT_T0_E_clISt17integral_constantIbLb0EES10_IbLb1EEEEDaSW_SX_EUlSW_E_NS1_11comp_targetILNS1_3genE10ELNS1_11target_archE1200ELNS1_3gpuE4ELNS1_3repE0EEENS1_30default_config_static_selectorELNS0_4arch9wavefront6targetE1EEEvT1_, .Lfunc_end1568-_ZN7rocprim17ROCPRIM_400000_NS6detail17trampoline_kernelINS0_14default_configENS1_27scan_by_key_config_selectorIitEEZZNS1_16scan_by_key_implILNS1_25lookback_scan_determinismE0ELb1ES3_N6thrust23THRUST_200600_302600_NS6detail15normal_iteratorINS9_10device_ptrIiEEEENSB_INSC_ItEEEESG_tNS9_4plusIvEENS9_8equal_toIvEEtEE10hipError_tPvRmT2_T3_T4_T5_mT6_T7_P12ihipStream_tbENKUlT_T0_E_clISt17integral_constantIbLb0EES10_IbLb1EEEEDaSW_SX_EUlSW_E_NS1_11comp_targetILNS1_3genE10ELNS1_11target_archE1200ELNS1_3gpuE4ELNS1_3repE0EEENS1_30default_config_static_selectorELNS0_4arch9wavefront6targetE1EEEvT1_
                                        ; -- End function
	.section	.AMDGPU.csdata,"",@progbits
; Kernel info:
; codeLenInByte = 0
; NumSgprs: 6
; NumVgprs: 0
; NumAgprs: 0
; TotalNumVgprs: 0
; ScratchSize: 0
; MemoryBound: 0
; FloatMode: 240
; IeeeMode: 1
; LDSByteSize: 0 bytes/workgroup (compile time only)
; SGPRBlocks: 0
; VGPRBlocks: 0
; NumSGPRsForWavesPerEU: 6
; NumVGPRsForWavesPerEU: 1
; AccumOffset: 4
; Occupancy: 8
; WaveLimiterHint : 0
; COMPUTE_PGM_RSRC2:SCRATCH_EN: 0
; COMPUTE_PGM_RSRC2:USER_SGPR: 2
; COMPUTE_PGM_RSRC2:TRAP_HANDLER: 0
; COMPUTE_PGM_RSRC2:TGID_X_EN: 1
; COMPUTE_PGM_RSRC2:TGID_Y_EN: 0
; COMPUTE_PGM_RSRC2:TGID_Z_EN: 0
; COMPUTE_PGM_RSRC2:TIDIG_COMP_CNT: 0
; COMPUTE_PGM_RSRC3_GFX90A:ACCUM_OFFSET: 0
; COMPUTE_PGM_RSRC3_GFX90A:TG_SPLIT: 0
	.section	.text._ZN7rocprim17ROCPRIM_400000_NS6detail17trampoline_kernelINS0_14default_configENS1_27scan_by_key_config_selectorIitEEZZNS1_16scan_by_key_implILNS1_25lookback_scan_determinismE0ELb1ES3_N6thrust23THRUST_200600_302600_NS6detail15normal_iteratorINS9_10device_ptrIiEEEENSB_INSC_ItEEEESG_tNS9_4plusIvEENS9_8equal_toIvEEtEE10hipError_tPvRmT2_T3_T4_T5_mT6_T7_P12ihipStream_tbENKUlT_T0_E_clISt17integral_constantIbLb0EES10_IbLb1EEEEDaSW_SX_EUlSW_E_NS1_11comp_targetILNS1_3genE9ELNS1_11target_archE1100ELNS1_3gpuE3ELNS1_3repE0EEENS1_30default_config_static_selectorELNS0_4arch9wavefront6targetE1EEEvT1_,"axG",@progbits,_ZN7rocprim17ROCPRIM_400000_NS6detail17trampoline_kernelINS0_14default_configENS1_27scan_by_key_config_selectorIitEEZZNS1_16scan_by_key_implILNS1_25lookback_scan_determinismE0ELb1ES3_N6thrust23THRUST_200600_302600_NS6detail15normal_iteratorINS9_10device_ptrIiEEEENSB_INSC_ItEEEESG_tNS9_4plusIvEENS9_8equal_toIvEEtEE10hipError_tPvRmT2_T3_T4_T5_mT6_T7_P12ihipStream_tbENKUlT_T0_E_clISt17integral_constantIbLb0EES10_IbLb1EEEEDaSW_SX_EUlSW_E_NS1_11comp_targetILNS1_3genE9ELNS1_11target_archE1100ELNS1_3gpuE3ELNS1_3repE0EEENS1_30default_config_static_selectorELNS0_4arch9wavefront6targetE1EEEvT1_,comdat
	.protected	_ZN7rocprim17ROCPRIM_400000_NS6detail17trampoline_kernelINS0_14default_configENS1_27scan_by_key_config_selectorIitEEZZNS1_16scan_by_key_implILNS1_25lookback_scan_determinismE0ELb1ES3_N6thrust23THRUST_200600_302600_NS6detail15normal_iteratorINS9_10device_ptrIiEEEENSB_INSC_ItEEEESG_tNS9_4plusIvEENS9_8equal_toIvEEtEE10hipError_tPvRmT2_T3_T4_T5_mT6_T7_P12ihipStream_tbENKUlT_T0_E_clISt17integral_constantIbLb0EES10_IbLb1EEEEDaSW_SX_EUlSW_E_NS1_11comp_targetILNS1_3genE9ELNS1_11target_archE1100ELNS1_3gpuE3ELNS1_3repE0EEENS1_30default_config_static_selectorELNS0_4arch9wavefront6targetE1EEEvT1_ ; -- Begin function _ZN7rocprim17ROCPRIM_400000_NS6detail17trampoline_kernelINS0_14default_configENS1_27scan_by_key_config_selectorIitEEZZNS1_16scan_by_key_implILNS1_25lookback_scan_determinismE0ELb1ES3_N6thrust23THRUST_200600_302600_NS6detail15normal_iteratorINS9_10device_ptrIiEEEENSB_INSC_ItEEEESG_tNS9_4plusIvEENS9_8equal_toIvEEtEE10hipError_tPvRmT2_T3_T4_T5_mT6_T7_P12ihipStream_tbENKUlT_T0_E_clISt17integral_constantIbLb0EES10_IbLb1EEEEDaSW_SX_EUlSW_E_NS1_11comp_targetILNS1_3genE9ELNS1_11target_archE1100ELNS1_3gpuE3ELNS1_3repE0EEENS1_30default_config_static_selectorELNS0_4arch9wavefront6targetE1EEEvT1_
	.globl	_ZN7rocprim17ROCPRIM_400000_NS6detail17trampoline_kernelINS0_14default_configENS1_27scan_by_key_config_selectorIitEEZZNS1_16scan_by_key_implILNS1_25lookback_scan_determinismE0ELb1ES3_N6thrust23THRUST_200600_302600_NS6detail15normal_iteratorINS9_10device_ptrIiEEEENSB_INSC_ItEEEESG_tNS9_4plusIvEENS9_8equal_toIvEEtEE10hipError_tPvRmT2_T3_T4_T5_mT6_T7_P12ihipStream_tbENKUlT_T0_E_clISt17integral_constantIbLb0EES10_IbLb1EEEEDaSW_SX_EUlSW_E_NS1_11comp_targetILNS1_3genE9ELNS1_11target_archE1100ELNS1_3gpuE3ELNS1_3repE0EEENS1_30default_config_static_selectorELNS0_4arch9wavefront6targetE1EEEvT1_
	.p2align	8
	.type	_ZN7rocprim17ROCPRIM_400000_NS6detail17trampoline_kernelINS0_14default_configENS1_27scan_by_key_config_selectorIitEEZZNS1_16scan_by_key_implILNS1_25lookback_scan_determinismE0ELb1ES3_N6thrust23THRUST_200600_302600_NS6detail15normal_iteratorINS9_10device_ptrIiEEEENSB_INSC_ItEEEESG_tNS9_4plusIvEENS9_8equal_toIvEEtEE10hipError_tPvRmT2_T3_T4_T5_mT6_T7_P12ihipStream_tbENKUlT_T0_E_clISt17integral_constantIbLb0EES10_IbLb1EEEEDaSW_SX_EUlSW_E_NS1_11comp_targetILNS1_3genE9ELNS1_11target_archE1100ELNS1_3gpuE3ELNS1_3repE0EEENS1_30default_config_static_selectorELNS0_4arch9wavefront6targetE1EEEvT1_,@function
_ZN7rocprim17ROCPRIM_400000_NS6detail17trampoline_kernelINS0_14default_configENS1_27scan_by_key_config_selectorIitEEZZNS1_16scan_by_key_implILNS1_25lookback_scan_determinismE0ELb1ES3_N6thrust23THRUST_200600_302600_NS6detail15normal_iteratorINS9_10device_ptrIiEEEENSB_INSC_ItEEEESG_tNS9_4plusIvEENS9_8equal_toIvEEtEE10hipError_tPvRmT2_T3_T4_T5_mT6_T7_P12ihipStream_tbENKUlT_T0_E_clISt17integral_constantIbLb0EES10_IbLb1EEEEDaSW_SX_EUlSW_E_NS1_11comp_targetILNS1_3genE9ELNS1_11target_archE1100ELNS1_3gpuE3ELNS1_3repE0EEENS1_30default_config_static_selectorELNS0_4arch9wavefront6targetE1EEEvT1_: ; @_ZN7rocprim17ROCPRIM_400000_NS6detail17trampoline_kernelINS0_14default_configENS1_27scan_by_key_config_selectorIitEEZZNS1_16scan_by_key_implILNS1_25lookback_scan_determinismE0ELb1ES3_N6thrust23THRUST_200600_302600_NS6detail15normal_iteratorINS9_10device_ptrIiEEEENSB_INSC_ItEEEESG_tNS9_4plusIvEENS9_8equal_toIvEEtEE10hipError_tPvRmT2_T3_T4_T5_mT6_T7_P12ihipStream_tbENKUlT_T0_E_clISt17integral_constantIbLb0EES10_IbLb1EEEEDaSW_SX_EUlSW_E_NS1_11comp_targetILNS1_3genE9ELNS1_11target_archE1100ELNS1_3gpuE3ELNS1_3repE0EEENS1_30default_config_static_selectorELNS0_4arch9wavefront6targetE1EEEvT1_
; %bb.0:
	.section	.rodata,"a",@progbits
	.p2align	6, 0x0
	.amdhsa_kernel _ZN7rocprim17ROCPRIM_400000_NS6detail17trampoline_kernelINS0_14default_configENS1_27scan_by_key_config_selectorIitEEZZNS1_16scan_by_key_implILNS1_25lookback_scan_determinismE0ELb1ES3_N6thrust23THRUST_200600_302600_NS6detail15normal_iteratorINS9_10device_ptrIiEEEENSB_INSC_ItEEEESG_tNS9_4plusIvEENS9_8equal_toIvEEtEE10hipError_tPvRmT2_T3_T4_T5_mT6_T7_P12ihipStream_tbENKUlT_T0_E_clISt17integral_constantIbLb0EES10_IbLb1EEEEDaSW_SX_EUlSW_E_NS1_11comp_targetILNS1_3genE9ELNS1_11target_archE1100ELNS1_3gpuE3ELNS1_3repE0EEENS1_30default_config_static_selectorELNS0_4arch9wavefront6targetE1EEEvT1_
		.amdhsa_group_segment_fixed_size 0
		.amdhsa_private_segment_fixed_size 0
		.amdhsa_kernarg_size 112
		.amdhsa_user_sgpr_count 2
		.amdhsa_user_sgpr_dispatch_ptr 0
		.amdhsa_user_sgpr_queue_ptr 0
		.amdhsa_user_sgpr_kernarg_segment_ptr 1
		.amdhsa_user_sgpr_dispatch_id 0
		.amdhsa_user_sgpr_kernarg_preload_length 0
		.amdhsa_user_sgpr_kernarg_preload_offset 0
		.amdhsa_user_sgpr_private_segment_size 0
		.amdhsa_uses_dynamic_stack 0
		.amdhsa_enable_private_segment 0
		.amdhsa_system_sgpr_workgroup_id_x 1
		.amdhsa_system_sgpr_workgroup_id_y 0
		.amdhsa_system_sgpr_workgroup_id_z 0
		.amdhsa_system_sgpr_workgroup_info 0
		.amdhsa_system_vgpr_workitem_id 0
		.amdhsa_next_free_vgpr 1
		.amdhsa_next_free_sgpr 0
		.amdhsa_accum_offset 4
		.amdhsa_reserve_vcc 0
		.amdhsa_float_round_mode_32 0
		.amdhsa_float_round_mode_16_64 0
		.amdhsa_float_denorm_mode_32 3
		.amdhsa_float_denorm_mode_16_64 3
		.amdhsa_dx10_clamp 1
		.amdhsa_ieee_mode 1
		.amdhsa_fp16_overflow 0
		.amdhsa_tg_split 0
		.amdhsa_exception_fp_ieee_invalid_op 0
		.amdhsa_exception_fp_denorm_src 0
		.amdhsa_exception_fp_ieee_div_zero 0
		.amdhsa_exception_fp_ieee_overflow 0
		.amdhsa_exception_fp_ieee_underflow 0
		.amdhsa_exception_fp_ieee_inexact 0
		.amdhsa_exception_int_div_zero 0
	.end_amdhsa_kernel
	.section	.text._ZN7rocprim17ROCPRIM_400000_NS6detail17trampoline_kernelINS0_14default_configENS1_27scan_by_key_config_selectorIitEEZZNS1_16scan_by_key_implILNS1_25lookback_scan_determinismE0ELb1ES3_N6thrust23THRUST_200600_302600_NS6detail15normal_iteratorINS9_10device_ptrIiEEEENSB_INSC_ItEEEESG_tNS9_4plusIvEENS9_8equal_toIvEEtEE10hipError_tPvRmT2_T3_T4_T5_mT6_T7_P12ihipStream_tbENKUlT_T0_E_clISt17integral_constantIbLb0EES10_IbLb1EEEEDaSW_SX_EUlSW_E_NS1_11comp_targetILNS1_3genE9ELNS1_11target_archE1100ELNS1_3gpuE3ELNS1_3repE0EEENS1_30default_config_static_selectorELNS0_4arch9wavefront6targetE1EEEvT1_,"axG",@progbits,_ZN7rocprim17ROCPRIM_400000_NS6detail17trampoline_kernelINS0_14default_configENS1_27scan_by_key_config_selectorIitEEZZNS1_16scan_by_key_implILNS1_25lookback_scan_determinismE0ELb1ES3_N6thrust23THRUST_200600_302600_NS6detail15normal_iteratorINS9_10device_ptrIiEEEENSB_INSC_ItEEEESG_tNS9_4plusIvEENS9_8equal_toIvEEtEE10hipError_tPvRmT2_T3_T4_T5_mT6_T7_P12ihipStream_tbENKUlT_T0_E_clISt17integral_constantIbLb0EES10_IbLb1EEEEDaSW_SX_EUlSW_E_NS1_11comp_targetILNS1_3genE9ELNS1_11target_archE1100ELNS1_3gpuE3ELNS1_3repE0EEENS1_30default_config_static_selectorELNS0_4arch9wavefront6targetE1EEEvT1_,comdat
.Lfunc_end1569:
	.size	_ZN7rocprim17ROCPRIM_400000_NS6detail17trampoline_kernelINS0_14default_configENS1_27scan_by_key_config_selectorIitEEZZNS1_16scan_by_key_implILNS1_25lookback_scan_determinismE0ELb1ES3_N6thrust23THRUST_200600_302600_NS6detail15normal_iteratorINS9_10device_ptrIiEEEENSB_INSC_ItEEEESG_tNS9_4plusIvEENS9_8equal_toIvEEtEE10hipError_tPvRmT2_T3_T4_T5_mT6_T7_P12ihipStream_tbENKUlT_T0_E_clISt17integral_constantIbLb0EES10_IbLb1EEEEDaSW_SX_EUlSW_E_NS1_11comp_targetILNS1_3genE9ELNS1_11target_archE1100ELNS1_3gpuE3ELNS1_3repE0EEENS1_30default_config_static_selectorELNS0_4arch9wavefront6targetE1EEEvT1_, .Lfunc_end1569-_ZN7rocprim17ROCPRIM_400000_NS6detail17trampoline_kernelINS0_14default_configENS1_27scan_by_key_config_selectorIitEEZZNS1_16scan_by_key_implILNS1_25lookback_scan_determinismE0ELb1ES3_N6thrust23THRUST_200600_302600_NS6detail15normal_iteratorINS9_10device_ptrIiEEEENSB_INSC_ItEEEESG_tNS9_4plusIvEENS9_8equal_toIvEEtEE10hipError_tPvRmT2_T3_T4_T5_mT6_T7_P12ihipStream_tbENKUlT_T0_E_clISt17integral_constantIbLb0EES10_IbLb1EEEEDaSW_SX_EUlSW_E_NS1_11comp_targetILNS1_3genE9ELNS1_11target_archE1100ELNS1_3gpuE3ELNS1_3repE0EEENS1_30default_config_static_selectorELNS0_4arch9wavefront6targetE1EEEvT1_
                                        ; -- End function
	.section	.AMDGPU.csdata,"",@progbits
; Kernel info:
; codeLenInByte = 0
; NumSgprs: 6
; NumVgprs: 0
; NumAgprs: 0
; TotalNumVgprs: 0
; ScratchSize: 0
; MemoryBound: 0
; FloatMode: 240
; IeeeMode: 1
; LDSByteSize: 0 bytes/workgroup (compile time only)
; SGPRBlocks: 0
; VGPRBlocks: 0
; NumSGPRsForWavesPerEU: 6
; NumVGPRsForWavesPerEU: 1
; AccumOffset: 4
; Occupancy: 8
; WaveLimiterHint : 0
; COMPUTE_PGM_RSRC2:SCRATCH_EN: 0
; COMPUTE_PGM_RSRC2:USER_SGPR: 2
; COMPUTE_PGM_RSRC2:TRAP_HANDLER: 0
; COMPUTE_PGM_RSRC2:TGID_X_EN: 1
; COMPUTE_PGM_RSRC2:TGID_Y_EN: 0
; COMPUTE_PGM_RSRC2:TGID_Z_EN: 0
; COMPUTE_PGM_RSRC2:TIDIG_COMP_CNT: 0
; COMPUTE_PGM_RSRC3_GFX90A:ACCUM_OFFSET: 0
; COMPUTE_PGM_RSRC3_GFX90A:TG_SPLIT: 0
	.section	.text._ZN7rocprim17ROCPRIM_400000_NS6detail17trampoline_kernelINS0_14default_configENS1_27scan_by_key_config_selectorIitEEZZNS1_16scan_by_key_implILNS1_25lookback_scan_determinismE0ELb1ES3_N6thrust23THRUST_200600_302600_NS6detail15normal_iteratorINS9_10device_ptrIiEEEENSB_INSC_ItEEEESG_tNS9_4plusIvEENS9_8equal_toIvEEtEE10hipError_tPvRmT2_T3_T4_T5_mT6_T7_P12ihipStream_tbENKUlT_T0_E_clISt17integral_constantIbLb0EES10_IbLb1EEEEDaSW_SX_EUlSW_E_NS1_11comp_targetILNS1_3genE8ELNS1_11target_archE1030ELNS1_3gpuE2ELNS1_3repE0EEENS1_30default_config_static_selectorELNS0_4arch9wavefront6targetE1EEEvT1_,"axG",@progbits,_ZN7rocprim17ROCPRIM_400000_NS6detail17trampoline_kernelINS0_14default_configENS1_27scan_by_key_config_selectorIitEEZZNS1_16scan_by_key_implILNS1_25lookback_scan_determinismE0ELb1ES3_N6thrust23THRUST_200600_302600_NS6detail15normal_iteratorINS9_10device_ptrIiEEEENSB_INSC_ItEEEESG_tNS9_4plusIvEENS9_8equal_toIvEEtEE10hipError_tPvRmT2_T3_T4_T5_mT6_T7_P12ihipStream_tbENKUlT_T0_E_clISt17integral_constantIbLb0EES10_IbLb1EEEEDaSW_SX_EUlSW_E_NS1_11comp_targetILNS1_3genE8ELNS1_11target_archE1030ELNS1_3gpuE2ELNS1_3repE0EEENS1_30default_config_static_selectorELNS0_4arch9wavefront6targetE1EEEvT1_,comdat
	.protected	_ZN7rocprim17ROCPRIM_400000_NS6detail17trampoline_kernelINS0_14default_configENS1_27scan_by_key_config_selectorIitEEZZNS1_16scan_by_key_implILNS1_25lookback_scan_determinismE0ELb1ES3_N6thrust23THRUST_200600_302600_NS6detail15normal_iteratorINS9_10device_ptrIiEEEENSB_INSC_ItEEEESG_tNS9_4plusIvEENS9_8equal_toIvEEtEE10hipError_tPvRmT2_T3_T4_T5_mT6_T7_P12ihipStream_tbENKUlT_T0_E_clISt17integral_constantIbLb0EES10_IbLb1EEEEDaSW_SX_EUlSW_E_NS1_11comp_targetILNS1_3genE8ELNS1_11target_archE1030ELNS1_3gpuE2ELNS1_3repE0EEENS1_30default_config_static_selectorELNS0_4arch9wavefront6targetE1EEEvT1_ ; -- Begin function _ZN7rocprim17ROCPRIM_400000_NS6detail17trampoline_kernelINS0_14default_configENS1_27scan_by_key_config_selectorIitEEZZNS1_16scan_by_key_implILNS1_25lookback_scan_determinismE0ELb1ES3_N6thrust23THRUST_200600_302600_NS6detail15normal_iteratorINS9_10device_ptrIiEEEENSB_INSC_ItEEEESG_tNS9_4plusIvEENS9_8equal_toIvEEtEE10hipError_tPvRmT2_T3_T4_T5_mT6_T7_P12ihipStream_tbENKUlT_T0_E_clISt17integral_constantIbLb0EES10_IbLb1EEEEDaSW_SX_EUlSW_E_NS1_11comp_targetILNS1_3genE8ELNS1_11target_archE1030ELNS1_3gpuE2ELNS1_3repE0EEENS1_30default_config_static_selectorELNS0_4arch9wavefront6targetE1EEEvT1_
	.globl	_ZN7rocprim17ROCPRIM_400000_NS6detail17trampoline_kernelINS0_14default_configENS1_27scan_by_key_config_selectorIitEEZZNS1_16scan_by_key_implILNS1_25lookback_scan_determinismE0ELb1ES3_N6thrust23THRUST_200600_302600_NS6detail15normal_iteratorINS9_10device_ptrIiEEEENSB_INSC_ItEEEESG_tNS9_4plusIvEENS9_8equal_toIvEEtEE10hipError_tPvRmT2_T3_T4_T5_mT6_T7_P12ihipStream_tbENKUlT_T0_E_clISt17integral_constantIbLb0EES10_IbLb1EEEEDaSW_SX_EUlSW_E_NS1_11comp_targetILNS1_3genE8ELNS1_11target_archE1030ELNS1_3gpuE2ELNS1_3repE0EEENS1_30default_config_static_selectorELNS0_4arch9wavefront6targetE1EEEvT1_
	.p2align	8
	.type	_ZN7rocprim17ROCPRIM_400000_NS6detail17trampoline_kernelINS0_14default_configENS1_27scan_by_key_config_selectorIitEEZZNS1_16scan_by_key_implILNS1_25lookback_scan_determinismE0ELb1ES3_N6thrust23THRUST_200600_302600_NS6detail15normal_iteratorINS9_10device_ptrIiEEEENSB_INSC_ItEEEESG_tNS9_4plusIvEENS9_8equal_toIvEEtEE10hipError_tPvRmT2_T3_T4_T5_mT6_T7_P12ihipStream_tbENKUlT_T0_E_clISt17integral_constantIbLb0EES10_IbLb1EEEEDaSW_SX_EUlSW_E_NS1_11comp_targetILNS1_3genE8ELNS1_11target_archE1030ELNS1_3gpuE2ELNS1_3repE0EEENS1_30default_config_static_selectorELNS0_4arch9wavefront6targetE1EEEvT1_,@function
_ZN7rocprim17ROCPRIM_400000_NS6detail17trampoline_kernelINS0_14default_configENS1_27scan_by_key_config_selectorIitEEZZNS1_16scan_by_key_implILNS1_25lookback_scan_determinismE0ELb1ES3_N6thrust23THRUST_200600_302600_NS6detail15normal_iteratorINS9_10device_ptrIiEEEENSB_INSC_ItEEEESG_tNS9_4plusIvEENS9_8equal_toIvEEtEE10hipError_tPvRmT2_T3_T4_T5_mT6_T7_P12ihipStream_tbENKUlT_T0_E_clISt17integral_constantIbLb0EES10_IbLb1EEEEDaSW_SX_EUlSW_E_NS1_11comp_targetILNS1_3genE8ELNS1_11target_archE1030ELNS1_3gpuE2ELNS1_3repE0EEENS1_30default_config_static_selectorELNS0_4arch9wavefront6targetE1EEEvT1_: ; @_ZN7rocprim17ROCPRIM_400000_NS6detail17trampoline_kernelINS0_14default_configENS1_27scan_by_key_config_selectorIitEEZZNS1_16scan_by_key_implILNS1_25lookback_scan_determinismE0ELb1ES3_N6thrust23THRUST_200600_302600_NS6detail15normal_iteratorINS9_10device_ptrIiEEEENSB_INSC_ItEEEESG_tNS9_4plusIvEENS9_8equal_toIvEEtEE10hipError_tPvRmT2_T3_T4_T5_mT6_T7_P12ihipStream_tbENKUlT_T0_E_clISt17integral_constantIbLb0EES10_IbLb1EEEEDaSW_SX_EUlSW_E_NS1_11comp_targetILNS1_3genE8ELNS1_11target_archE1030ELNS1_3gpuE2ELNS1_3repE0EEENS1_30default_config_static_selectorELNS0_4arch9wavefront6targetE1EEEvT1_
; %bb.0:
	.section	.rodata,"a",@progbits
	.p2align	6, 0x0
	.amdhsa_kernel _ZN7rocprim17ROCPRIM_400000_NS6detail17trampoline_kernelINS0_14default_configENS1_27scan_by_key_config_selectorIitEEZZNS1_16scan_by_key_implILNS1_25lookback_scan_determinismE0ELb1ES3_N6thrust23THRUST_200600_302600_NS6detail15normal_iteratorINS9_10device_ptrIiEEEENSB_INSC_ItEEEESG_tNS9_4plusIvEENS9_8equal_toIvEEtEE10hipError_tPvRmT2_T3_T4_T5_mT6_T7_P12ihipStream_tbENKUlT_T0_E_clISt17integral_constantIbLb0EES10_IbLb1EEEEDaSW_SX_EUlSW_E_NS1_11comp_targetILNS1_3genE8ELNS1_11target_archE1030ELNS1_3gpuE2ELNS1_3repE0EEENS1_30default_config_static_selectorELNS0_4arch9wavefront6targetE1EEEvT1_
		.amdhsa_group_segment_fixed_size 0
		.amdhsa_private_segment_fixed_size 0
		.amdhsa_kernarg_size 112
		.amdhsa_user_sgpr_count 2
		.amdhsa_user_sgpr_dispatch_ptr 0
		.amdhsa_user_sgpr_queue_ptr 0
		.amdhsa_user_sgpr_kernarg_segment_ptr 1
		.amdhsa_user_sgpr_dispatch_id 0
		.amdhsa_user_sgpr_kernarg_preload_length 0
		.amdhsa_user_sgpr_kernarg_preload_offset 0
		.amdhsa_user_sgpr_private_segment_size 0
		.amdhsa_uses_dynamic_stack 0
		.amdhsa_enable_private_segment 0
		.amdhsa_system_sgpr_workgroup_id_x 1
		.amdhsa_system_sgpr_workgroup_id_y 0
		.amdhsa_system_sgpr_workgroup_id_z 0
		.amdhsa_system_sgpr_workgroup_info 0
		.amdhsa_system_vgpr_workitem_id 0
		.amdhsa_next_free_vgpr 1
		.amdhsa_next_free_sgpr 0
		.amdhsa_accum_offset 4
		.amdhsa_reserve_vcc 0
		.amdhsa_float_round_mode_32 0
		.amdhsa_float_round_mode_16_64 0
		.amdhsa_float_denorm_mode_32 3
		.amdhsa_float_denorm_mode_16_64 3
		.amdhsa_dx10_clamp 1
		.amdhsa_ieee_mode 1
		.amdhsa_fp16_overflow 0
		.amdhsa_tg_split 0
		.amdhsa_exception_fp_ieee_invalid_op 0
		.amdhsa_exception_fp_denorm_src 0
		.amdhsa_exception_fp_ieee_div_zero 0
		.amdhsa_exception_fp_ieee_overflow 0
		.amdhsa_exception_fp_ieee_underflow 0
		.amdhsa_exception_fp_ieee_inexact 0
		.amdhsa_exception_int_div_zero 0
	.end_amdhsa_kernel
	.section	.text._ZN7rocprim17ROCPRIM_400000_NS6detail17trampoline_kernelINS0_14default_configENS1_27scan_by_key_config_selectorIitEEZZNS1_16scan_by_key_implILNS1_25lookback_scan_determinismE0ELb1ES3_N6thrust23THRUST_200600_302600_NS6detail15normal_iteratorINS9_10device_ptrIiEEEENSB_INSC_ItEEEESG_tNS9_4plusIvEENS9_8equal_toIvEEtEE10hipError_tPvRmT2_T3_T4_T5_mT6_T7_P12ihipStream_tbENKUlT_T0_E_clISt17integral_constantIbLb0EES10_IbLb1EEEEDaSW_SX_EUlSW_E_NS1_11comp_targetILNS1_3genE8ELNS1_11target_archE1030ELNS1_3gpuE2ELNS1_3repE0EEENS1_30default_config_static_selectorELNS0_4arch9wavefront6targetE1EEEvT1_,"axG",@progbits,_ZN7rocprim17ROCPRIM_400000_NS6detail17trampoline_kernelINS0_14default_configENS1_27scan_by_key_config_selectorIitEEZZNS1_16scan_by_key_implILNS1_25lookback_scan_determinismE0ELb1ES3_N6thrust23THRUST_200600_302600_NS6detail15normal_iteratorINS9_10device_ptrIiEEEENSB_INSC_ItEEEESG_tNS9_4plusIvEENS9_8equal_toIvEEtEE10hipError_tPvRmT2_T3_T4_T5_mT6_T7_P12ihipStream_tbENKUlT_T0_E_clISt17integral_constantIbLb0EES10_IbLb1EEEEDaSW_SX_EUlSW_E_NS1_11comp_targetILNS1_3genE8ELNS1_11target_archE1030ELNS1_3gpuE2ELNS1_3repE0EEENS1_30default_config_static_selectorELNS0_4arch9wavefront6targetE1EEEvT1_,comdat
.Lfunc_end1570:
	.size	_ZN7rocprim17ROCPRIM_400000_NS6detail17trampoline_kernelINS0_14default_configENS1_27scan_by_key_config_selectorIitEEZZNS1_16scan_by_key_implILNS1_25lookback_scan_determinismE0ELb1ES3_N6thrust23THRUST_200600_302600_NS6detail15normal_iteratorINS9_10device_ptrIiEEEENSB_INSC_ItEEEESG_tNS9_4plusIvEENS9_8equal_toIvEEtEE10hipError_tPvRmT2_T3_T4_T5_mT6_T7_P12ihipStream_tbENKUlT_T0_E_clISt17integral_constantIbLb0EES10_IbLb1EEEEDaSW_SX_EUlSW_E_NS1_11comp_targetILNS1_3genE8ELNS1_11target_archE1030ELNS1_3gpuE2ELNS1_3repE0EEENS1_30default_config_static_selectorELNS0_4arch9wavefront6targetE1EEEvT1_, .Lfunc_end1570-_ZN7rocprim17ROCPRIM_400000_NS6detail17trampoline_kernelINS0_14default_configENS1_27scan_by_key_config_selectorIitEEZZNS1_16scan_by_key_implILNS1_25lookback_scan_determinismE0ELb1ES3_N6thrust23THRUST_200600_302600_NS6detail15normal_iteratorINS9_10device_ptrIiEEEENSB_INSC_ItEEEESG_tNS9_4plusIvEENS9_8equal_toIvEEtEE10hipError_tPvRmT2_T3_T4_T5_mT6_T7_P12ihipStream_tbENKUlT_T0_E_clISt17integral_constantIbLb0EES10_IbLb1EEEEDaSW_SX_EUlSW_E_NS1_11comp_targetILNS1_3genE8ELNS1_11target_archE1030ELNS1_3gpuE2ELNS1_3repE0EEENS1_30default_config_static_selectorELNS0_4arch9wavefront6targetE1EEEvT1_
                                        ; -- End function
	.section	.AMDGPU.csdata,"",@progbits
; Kernel info:
; codeLenInByte = 0
; NumSgprs: 6
; NumVgprs: 0
; NumAgprs: 0
; TotalNumVgprs: 0
; ScratchSize: 0
; MemoryBound: 0
; FloatMode: 240
; IeeeMode: 1
; LDSByteSize: 0 bytes/workgroup (compile time only)
; SGPRBlocks: 0
; VGPRBlocks: 0
; NumSGPRsForWavesPerEU: 6
; NumVGPRsForWavesPerEU: 1
; AccumOffset: 4
; Occupancy: 8
; WaveLimiterHint : 0
; COMPUTE_PGM_RSRC2:SCRATCH_EN: 0
; COMPUTE_PGM_RSRC2:USER_SGPR: 2
; COMPUTE_PGM_RSRC2:TRAP_HANDLER: 0
; COMPUTE_PGM_RSRC2:TGID_X_EN: 1
; COMPUTE_PGM_RSRC2:TGID_Y_EN: 0
; COMPUTE_PGM_RSRC2:TGID_Z_EN: 0
; COMPUTE_PGM_RSRC2:TIDIG_COMP_CNT: 0
; COMPUTE_PGM_RSRC3_GFX90A:ACCUM_OFFSET: 0
; COMPUTE_PGM_RSRC3_GFX90A:TG_SPLIT: 0
	.section	.text._ZN7rocprim17ROCPRIM_400000_NS6detail17trampoline_kernelINS0_14default_configENS1_27scan_by_key_config_selectorIixEEZZNS1_16scan_by_key_implILNS1_25lookback_scan_determinismE0ELb1ES3_N6thrust23THRUST_200600_302600_NS6detail15normal_iteratorINS9_10device_ptrIiEEEENSB_INSC_IxEEEESG_xNS9_4plusIvEENS9_8equal_toIvEExEE10hipError_tPvRmT2_T3_T4_T5_mT6_T7_P12ihipStream_tbENKUlT_T0_E_clISt17integral_constantIbLb0EES11_EEDaSW_SX_EUlSW_E_NS1_11comp_targetILNS1_3genE0ELNS1_11target_archE4294967295ELNS1_3gpuE0ELNS1_3repE0EEENS1_30default_config_static_selectorELNS0_4arch9wavefront6targetE1EEEvT1_,"axG",@progbits,_ZN7rocprim17ROCPRIM_400000_NS6detail17trampoline_kernelINS0_14default_configENS1_27scan_by_key_config_selectorIixEEZZNS1_16scan_by_key_implILNS1_25lookback_scan_determinismE0ELb1ES3_N6thrust23THRUST_200600_302600_NS6detail15normal_iteratorINS9_10device_ptrIiEEEENSB_INSC_IxEEEESG_xNS9_4plusIvEENS9_8equal_toIvEExEE10hipError_tPvRmT2_T3_T4_T5_mT6_T7_P12ihipStream_tbENKUlT_T0_E_clISt17integral_constantIbLb0EES11_EEDaSW_SX_EUlSW_E_NS1_11comp_targetILNS1_3genE0ELNS1_11target_archE4294967295ELNS1_3gpuE0ELNS1_3repE0EEENS1_30default_config_static_selectorELNS0_4arch9wavefront6targetE1EEEvT1_,comdat
	.protected	_ZN7rocprim17ROCPRIM_400000_NS6detail17trampoline_kernelINS0_14default_configENS1_27scan_by_key_config_selectorIixEEZZNS1_16scan_by_key_implILNS1_25lookback_scan_determinismE0ELb1ES3_N6thrust23THRUST_200600_302600_NS6detail15normal_iteratorINS9_10device_ptrIiEEEENSB_INSC_IxEEEESG_xNS9_4plusIvEENS9_8equal_toIvEExEE10hipError_tPvRmT2_T3_T4_T5_mT6_T7_P12ihipStream_tbENKUlT_T0_E_clISt17integral_constantIbLb0EES11_EEDaSW_SX_EUlSW_E_NS1_11comp_targetILNS1_3genE0ELNS1_11target_archE4294967295ELNS1_3gpuE0ELNS1_3repE0EEENS1_30default_config_static_selectorELNS0_4arch9wavefront6targetE1EEEvT1_ ; -- Begin function _ZN7rocprim17ROCPRIM_400000_NS6detail17trampoline_kernelINS0_14default_configENS1_27scan_by_key_config_selectorIixEEZZNS1_16scan_by_key_implILNS1_25lookback_scan_determinismE0ELb1ES3_N6thrust23THRUST_200600_302600_NS6detail15normal_iteratorINS9_10device_ptrIiEEEENSB_INSC_IxEEEESG_xNS9_4plusIvEENS9_8equal_toIvEExEE10hipError_tPvRmT2_T3_T4_T5_mT6_T7_P12ihipStream_tbENKUlT_T0_E_clISt17integral_constantIbLb0EES11_EEDaSW_SX_EUlSW_E_NS1_11comp_targetILNS1_3genE0ELNS1_11target_archE4294967295ELNS1_3gpuE0ELNS1_3repE0EEENS1_30default_config_static_selectorELNS0_4arch9wavefront6targetE1EEEvT1_
	.globl	_ZN7rocprim17ROCPRIM_400000_NS6detail17trampoline_kernelINS0_14default_configENS1_27scan_by_key_config_selectorIixEEZZNS1_16scan_by_key_implILNS1_25lookback_scan_determinismE0ELb1ES3_N6thrust23THRUST_200600_302600_NS6detail15normal_iteratorINS9_10device_ptrIiEEEENSB_INSC_IxEEEESG_xNS9_4plusIvEENS9_8equal_toIvEExEE10hipError_tPvRmT2_T3_T4_T5_mT6_T7_P12ihipStream_tbENKUlT_T0_E_clISt17integral_constantIbLb0EES11_EEDaSW_SX_EUlSW_E_NS1_11comp_targetILNS1_3genE0ELNS1_11target_archE4294967295ELNS1_3gpuE0ELNS1_3repE0EEENS1_30default_config_static_selectorELNS0_4arch9wavefront6targetE1EEEvT1_
	.p2align	8
	.type	_ZN7rocprim17ROCPRIM_400000_NS6detail17trampoline_kernelINS0_14default_configENS1_27scan_by_key_config_selectorIixEEZZNS1_16scan_by_key_implILNS1_25lookback_scan_determinismE0ELb1ES3_N6thrust23THRUST_200600_302600_NS6detail15normal_iteratorINS9_10device_ptrIiEEEENSB_INSC_IxEEEESG_xNS9_4plusIvEENS9_8equal_toIvEExEE10hipError_tPvRmT2_T3_T4_T5_mT6_T7_P12ihipStream_tbENKUlT_T0_E_clISt17integral_constantIbLb0EES11_EEDaSW_SX_EUlSW_E_NS1_11comp_targetILNS1_3genE0ELNS1_11target_archE4294967295ELNS1_3gpuE0ELNS1_3repE0EEENS1_30default_config_static_selectorELNS0_4arch9wavefront6targetE1EEEvT1_,@function
_ZN7rocprim17ROCPRIM_400000_NS6detail17trampoline_kernelINS0_14default_configENS1_27scan_by_key_config_selectorIixEEZZNS1_16scan_by_key_implILNS1_25lookback_scan_determinismE0ELb1ES3_N6thrust23THRUST_200600_302600_NS6detail15normal_iteratorINS9_10device_ptrIiEEEENSB_INSC_IxEEEESG_xNS9_4plusIvEENS9_8equal_toIvEExEE10hipError_tPvRmT2_T3_T4_T5_mT6_T7_P12ihipStream_tbENKUlT_T0_E_clISt17integral_constantIbLb0EES11_EEDaSW_SX_EUlSW_E_NS1_11comp_targetILNS1_3genE0ELNS1_11target_archE4294967295ELNS1_3gpuE0ELNS1_3repE0EEENS1_30default_config_static_selectorELNS0_4arch9wavefront6targetE1EEEvT1_: ; @_ZN7rocprim17ROCPRIM_400000_NS6detail17trampoline_kernelINS0_14default_configENS1_27scan_by_key_config_selectorIixEEZZNS1_16scan_by_key_implILNS1_25lookback_scan_determinismE0ELb1ES3_N6thrust23THRUST_200600_302600_NS6detail15normal_iteratorINS9_10device_ptrIiEEEENSB_INSC_IxEEEESG_xNS9_4plusIvEENS9_8equal_toIvEExEE10hipError_tPvRmT2_T3_T4_T5_mT6_T7_P12ihipStream_tbENKUlT_T0_E_clISt17integral_constantIbLb0EES11_EEDaSW_SX_EUlSW_E_NS1_11comp_targetILNS1_3genE0ELNS1_11target_archE4294967295ELNS1_3gpuE0ELNS1_3repE0EEENS1_30default_config_static_selectorELNS0_4arch9wavefront6targetE1EEEvT1_
; %bb.0:
	.section	.rodata,"a",@progbits
	.p2align	6, 0x0
	.amdhsa_kernel _ZN7rocprim17ROCPRIM_400000_NS6detail17trampoline_kernelINS0_14default_configENS1_27scan_by_key_config_selectorIixEEZZNS1_16scan_by_key_implILNS1_25lookback_scan_determinismE0ELb1ES3_N6thrust23THRUST_200600_302600_NS6detail15normal_iteratorINS9_10device_ptrIiEEEENSB_INSC_IxEEEESG_xNS9_4plusIvEENS9_8equal_toIvEExEE10hipError_tPvRmT2_T3_T4_T5_mT6_T7_P12ihipStream_tbENKUlT_T0_E_clISt17integral_constantIbLb0EES11_EEDaSW_SX_EUlSW_E_NS1_11comp_targetILNS1_3genE0ELNS1_11target_archE4294967295ELNS1_3gpuE0ELNS1_3repE0EEENS1_30default_config_static_selectorELNS0_4arch9wavefront6targetE1EEEvT1_
		.amdhsa_group_segment_fixed_size 0
		.amdhsa_private_segment_fixed_size 0
		.amdhsa_kernarg_size 136
		.amdhsa_user_sgpr_count 2
		.amdhsa_user_sgpr_dispatch_ptr 0
		.amdhsa_user_sgpr_queue_ptr 0
		.amdhsa_user_sgpr_kernarg_segment_ptr 1
		.amdhsa_user_sgpr_dispatch_id 0
		.amdhsa_user_sgpr_kernarg_preload_length 0
		.amdhsa_user_sgpr_kernarg_preload_offset 0
		.amdhsa_user_sgpr_private_segment_size 0
		.amdhsa_uses_dynamic_stack 0
		.amdhsa_enable_private_segment 0
		.amdhsa_system_sgpr_workgroup_id_x 1
		.amdhsa_system_sgpr_workgroup_id_y 0
		.amdhsa_system_sgpr_workgroup_id_z 0
		.amdhsa_system_sgpr_workgroup_info 0
		.amdhsa_system_vgpr_workitem_id 0
		.amdhsa_next_free_vgpr 1
		.amdhsa_next_free_sgpr 0
		.amdhsa_accum_offset 4
		.amdhsa_reserve_vcc 0
		.amdhsa_float_round_mode_32 0
		.amdhsa_float_round_mode_16_64 0
		.amdhsa_float_denorm_mode_32 3
		.amdhsa_float_denorm_mode_16_64 3
		.amdhsa_dx10_clamp 1
		.amdhsa_ieee_mode 1
		.amdhsa_fp16_overflow 0
		.amdhsa_tg_split 0
		.amdhsa_exception_fp_ieee_invalid_op 0
		.amdhsa_exception_fp_denorm_src 0
		.amdhsa_exception_fp_ieee_div_zero 0
		.amdhsa_exception_fp_ieee_overflow 0
		.amdhsa_exception_fp_ieee_underflow 0
		.amdhsa_exception_fp_ieee_inexact 0
		.amdhsa_exception_int_div_zero 0
	.end_amdhsa_kernel
	.section	.text._ZN7rocprim17ROCPRIM_400000_NS6detail17trampoline_kernelINS0_14default_configENS1_27scan_by_key_config_selectorIixEEZZNS1_16scan_by_key_implILNS1_25lookback_scan_determinismE0ELb1ES3_N6thrust23THRUST_200600_302600_NS6detail15normal_iteratorINS9_10device_ptrIiEEEENSB_INSC_IxEEEESG_xNS9_4plusIvEENS9_8equal_toIvEExEE10hipError_tPvRmT2_T3_T4_T5_mT6_T7_P12ihipStream_tbENKUlT_T0_E_clISt17integral_constantIbLb0EES11_EEDaSW_SX_EUlSW_E_NS1_11comp_targetILNS1_3genE0ELNS1_11target_archE4294967295ELNS1_3gpuE0ELNS1_3repE0EEENS1_30default_config_static_selectorELNS0_4arch9wavefront6targetE1EEEvT1_,"axG",@progbits,_ZN7rocprim17ROCPRIM_400000_NS6detail17trampoline_kernelINS0_14default_configENS1_27scan_by_key_config_selectorIixEEZZNS1_16scan_by_key_implILNS1_25lookback_scan_determinismE0ELb1ES3_N6thrust23THRUST_200600_302600_NS6detail15normal_iteratorINS9_10device_ptrIiEEEENSB_INSC_IxEEEESG_xNS9_4plusIvEENS9_8equal_toIvEExEE10hipError_tPvRmT2_T3_T4_T5_mT6_T7_P12ihipStream_tbENKUlT_T0_E_clISt17integral_constantIbLb0EES11_EEDaSW_SX_EUlSW_E_NS1_11comp_targetILNS1_3genE0ELNS1_11target_archE4294967295ELNS1_3gpuE0ELNS1_3repE0EEENS1_30default_config_static_selectorELNS0_4arch9wavefront6targetE1EEEvT1_,comdat
.Lfunc_end1571:
	.size	_ZN7rocprim17ROCPRIM_400000_NS6detail17trampoline_kernelINS0_14default_configENS1_27scan_by_key_config_selectorIixEEZZNS1_16scan_by_key_implILNS1_25lookback_scan_determinismE0ELb1ES3_N6thrust23THRUST_200600_302600_NS6detail15normal_iteratorINS9_10device_ptrIiEEEENSB_INSC_IxEEEESG_xNS9_4plusIvEENS9_8equal_toIvEExEE10hipError_tPvRmT2_T3_T4_T5_mT6_T7_P12ihipStream_tbENKUlT_T0_E_clISt17integral_constantIbLb0EES11_EEDaSW_SX_EUlSW_E_NS1_11comp_targetILNS1_3genE0ELNS1_11target_archE4294967295ELNS1_3gpuE0ELNS1_3repE0EEENS1_30default_config_static_selectorELNS0_4arch9wavefront6targetE1EEEvT1_, .Lfunc_end1571-_ZN7rocprim17ROCPRIM_400000_NS6detail17trampoline_kernelINS0_14default_configENS1_27scan_by_key_config_selectorIixEEZZNS1_16scan_by_key_implILNS1_25lookback_scan_determinismE0ELb1ES3_N6thrust23THRUST_200600_302600_NS6detail15normal_iteratorINS9_10device_ptrIiEEEENSB_INSC_IxEEEESG_xNS9_4plusIvEENS9_8equal_toIvEExEE10hipError_tPvRmT2_T3_T4_T5_mT6_T7_P12ihipStream_tbENKUlT_T0_E_clISt17integral_constantIbLb0EES11_EEDaSW_SX_EUlSW_E_NS1_11comp_targetILNS1_3genE0ELNS1_11target_archE4294967295ELNS1_3gpuE0ELNS1_3repE0EEENS1_30default_config_static_selectorELNS0_4arch9wavefront6targetE1EEEvT1_
                                        ; -- End function
	.section	.AMDGPU.csdata,"",@progbits
; Kernel info:
; codeLenInByte = 0
; NumSgprs: 6
; NumVgprs: 0
; NumAgprs: 0
; TotalNumVgprs: 0
; ScratchSize: 0
; MemoryBound: 0
; FloatMode: 240
; IeeeMode: 1
; LDSByteSize: 0 bytes/workgroup (compile time only)
; SGPRBlocks: 0
; VGPRBlocks: 0
; NumSGPRsForWavesPerEU: 6
; NumVGPRsForWavesPerEU: 1
; AccumOffset: 4
; Occupancy: 8
; WaveLimiterHint : 0
; COMPUTE_PGM_RSRC2:SCRATCH_EN: 0
; COMPUTE_PGM_RSRC2:USER_SGPR: 2
; COMPUTE_PGM_RSRC2:TRAP_HANDLER: 0
; COMPUTE_PGM_RSRC2:TGID_X_EN: 1
; COMPUTE_PGM_RSRC2:TGID_Y_EN: 0
; COMPUTE_PGM_RSRC2:TGID_Z_EN: 0
; COMPUTE_PGM_RSRC2:TIDIG_COMP_CNT: 0
; COMPUTE_PGM_RSRC3_GFX90A:ACCUM_OFFSET: 0
; COMPUTE_PGM_RSRC3_GFX90A:TG_SPLIT: 0
	.section	.text._ZN7rocprim17ROCPRIM_400000_NS6detail17trampoline_kernelINS0_14default_configENS1_27scan_by_key_config_selectorIixEEZZNS1_16scan_by_key_implILNS1_25lookback_scan_determinismE0ELb1ES3_N6thrust23THRUST_200600_302600_NS6detail15normal_iteratorINS9_10device_ptrIiEEEENSB_INSC_IxEEEESG_xNS9_4plusIvEENS9_8equal_toIvEExEE10hipError_tPvRmT2_T3_T4_T5_mT6_T7_P12ihipStream_tbENKUlT_T0_E_clISt17integral_constantIbLb0EES11_EEDaSW_SX_EUlSW_E_NS1_11comp_targetILNS1_3genE10ELNS1_11target_archE1201ELNS1_3gpuE5ELNS1_3repE0EEENS1_30default_config_static_selectorELNS0_4arch9wavefront6targetE1EEEvT1_,"axG",@progbits,_ZN7rocprim17ROCPRIM_400000_NS6detail17trampoline_kernelINS0_14default_configENS1_27scan_by_key_config_selectorIixEEZZNS1_16scan_by_key_implILNS1_25lookback_scan_determinismE0ELb1ES3_N6thrust23THRUST_200600_302600_NS6detail15normal_iteratorINS9_10device_ptrIiEEEENSB_INSC_IxEEEESG_xNS9_4plusIvEENS9_8equal_toIvEExEE10hipError_tPvRmT2_T3_T4_T5_mT6_T7_P12ihipStream_tbENKUlT_T0_E_clISt17integral_constantIbLb0EES11_EEDaSW_SX_EUlSW_E_NS1_11comp_targetILNS1_3genE10ELNS1_11target_archE1201ELNS1_3gpuE5ELNS1_3repE0EEENS1_30default_config_static_selectorELNS0_4arch9wavefront6targetE1EEEvT1_,comdat
	.protected	_ZN7rocprim17ROCPRIM_400000_NS6detail17trampoline_kernelINS0_14default_configENS1_27scan_by_key_config_selectorIixEEZZNS1_16scan_by_key_implILNS1_25lookback_scan_determinismE0ELb1ES3_N6thrust23THRUST_200600_302600_NS6detail15normal_iteratorINS9_10device_ptrIiEEEENSB_INSC_IxEEEESG_xNS9_4plusIvEENS9_8equal_toIvEExEE10hipError_tPvRmT2_T3_T4_T5_mT6_T7_P12ihipStream_tbENKUlT_T0_E_clISt17integral_constantIbLb0EES11_EEDaSW_SX_EUlSW_E_NS1_11comp_targetILNS1_3genE10ELNS1_11target_archE1201ELNS1_3gpuE5ELNS1_3repE0EEENS1_30default_config_static_selectorELNS0_4arch9wavefront6targetE1EEEvT1_ ; -- Begin function _ZN7rocprim17ROCPRIM_400000_NS6detail17trampoline_kernelINS0_14default_configENS1_27scan_by_key_config_selectorIixEEZZNS1_16scan_by_key_implILNS1_25lookback_scan_determinismE0ELb1ES3_N6thrust23THRUST_200600_302600_NS6detail15normal_iteratorINS9_10device_ptrIiEEEENSB_INSC_IxEEEESG_xNS9_4plusIvEENS9_8equal_toIvEExEE10hipError_tPvRmT2_T3_T4_T5_mT6_T7_P12ihipStream_tbENKUlT_T0_E_clISt17integral_constantIbLb0EES11_EEDaSW_SX_EUlSW_E_NS1_11comp_targetILNS1_3genE10ELNS1_11target_archE1201ELNS1_3gpuE5ELNS1_3repE0EEENS1_30default_config_static_selectorELNS0_4arch9wavefront6targetE1EEEvT1_
	.globl	_ZN7rocprim17ROCPRIM_400000_NS6detail17trampoline_kernelINS0_14default_configENS1_27scan_by_key_config_selectorIixEEZZNS1_16scan_by_key_implILNS1_25lookback_scan_determinismE0ELb1ES3_N6thrust23THRUST_200600_302600_NS6detail15normal_iteratorINS9_10device_ptrIiEEEENSB_INSC_IxEEEESG_xNS9_4plusIvEENS9_8equal_toIvEExEE10hipError_tPvRmT2_T3_T4_T5_mT6_T7_P12ihipStream_tbENKUlT_T0_E_clISt17integral_constantIbLb0EES11_EEDaSW_SX_EUlSW_E_NS1_11comp_targetILNS1_3genE10ELNS1_11target_archE1201ELNS1_3gpuE5ELNS1_3repE0EEENS1_30default_config_static_selectorELNS0_4arch9wavefront6targetE1EEEvT1_
	.p2align	8
	.type	_ZN7rocprim17ROCPRIM_400000_NS6detail17trampoline_kernelINS0_14default_configENS1_27scan_by_key_config_selectorIixEEZZNS1_16scan_by_key_implILNS1_25lookback_scan_determinismE0ELb1ES3_N6thrust23THRUST_200600_302600_NS6detail15normal_iteratorINS9_10device_ptrIiEEEENSB_INSC_IxEEEESG_xNS9_4plusIvEENS9_8equal_toIvEExEE10hipError_tPvRmT2_T3_T4_T5_mT6_T7_P12ihipStream_tbENKUlT_T0_E_clISt17integral_constantIbLb0EES11_EEDaSW_SX_EUlSW_E_NS1_11comp_targetILNS1_3genE10ELNS1_11target_archE1201ELNS1_3gpuE5ELNS1_3repE0EEENS1_30default_config_static_selectorELNS0_4arch9wavefront6targetE1EEEvT1_,@function
_ZN7rocprim17ROCPRIM_400000_NS6detail17trampoline_kernelINS0_14default_configENS1_27scan_by_key_config_selectorIixEEZZNS1_16scan_by_key_implILNS1_25lookback_scan_determinismE0ELb1ES3_N6thrust23THRUST_200600_302600_NS6detail15normal_iteratorINS9_10device_ptrIiEEEENSB_INSC_IxEEEESG_xNS9_4plusIvEENS9_8equal_toIvEExEE10hipError_tPvRmT2_T3_T4_T5_mT6_T7_P12ihipStream_tbENKUlT_T0_E_clISt17integral_constantIbLb0EES11_EEDaSW_SX_EUlSW_E_NS1_11comp_targetILNS1_3genE10ELNS1_11target_archE1201ELNS1_3gpuE5ELNS1_3repE0EEENS1_30default_config_static_selectorELNS0_4arch9wavefront6targetE1EEEvT1_: ; @_ZN7rocprim17ROCPRIM_400000_NS6detail17trampoline_kernelINS0_14default_configENS1_27scan_by_key_config_selectorIixEEZZNS1_16scan_by_key_implILNS1_25lookback_scan_determinismE0ELb1ES3_N6thrust23THRUST_200600_302600_NS6detail15normal_iteratorINS9_10device_ptrIiEEEENSB_INSC_IxEEEESG_xNS9_4plusIvEENS9_8equal_toIvEExEE10hipError_tPvRmT2_T3_T4_T5_mT6_T7_P12ihipStream_tbENKUlT_T0_E_clISt17integral_constantIbLb0EES11_EEDaSW_SX_EUlSW_E_NS1_11comp_targetILNS1_3genE10ELNS1_11target_archE1201ELNS1_3gpuE5ELNS1_3repE0EEENS1_30default_config_static_selectorELNS0_4arch9wavefront6targetE1EEEvT1_
; %bb.0:
	.section	.rodata,"a",@progbits
	.p2align	6, 0x0
	.amdhsa_kernel _ZN7rocprim17ROCPRIM_400000_NS6detail17trampoline_kernelINS0_14default_configENS1_27scan_by_key_config_selectorIixEEZZNS1_16scan_by_key_implILNS1_25lookback_scan_determinismE0ELb1ES3_N6thrust23THRUST_200600_302600_NS6detail15normal_iteratorINS9_10device_ptrIiEEEENSB_INSC_IxEEEESG_xNS9_4plusIvEENS9_8equal_toIvEExEE10hipError_tPvRmT2_T3_T4_T5_mT6_T7_P12ihipStream_tbENKUlT_T0_E_clISt17integral_constantIbLb0EES11_EEDaSW_SX_EUlSW_E_NS1_11comp_targetILNS1_3genE10ELNS1_11target_archE1201ELNS1_3gpuE5ELNS1_3repE0EEENS1_30default_config_static_selectorELNS0_4arch9wavefront6targetE1EEEvT1_
		.amdhsa_group_segment_fixed_size 0
		.amdhsa_private_segment_fixed_size 0
		.amdhsa_kernarg_size 136
		.amdhsa_user_sgpr_count 2
		.amdhsa_user_sgpr_dispatch_ptr 0
		.amdhsa_user_sgpr_queue_ptr 0
		.amdhsa_user_sgpr_kernarg_segment_ptr 1
		.amdhsa_user_sgpr_dispatch_id 0
		.amdhsa_user_sgpr_kernarg_preload_length 0
		.amdhsa_user_sgpr_kernarg_preload_offset 0
		.amdhsa_user_sgpr_private_segment_size 0
		.amdhsa_uses_dynamic_stack 0
		.amdhsa_enable_private_segment 0
		.amdhsa_system_sgpr_workgroup_id_x 1
		.amdhsa_system_sgpr_workgroup_id_y 0
		.amdhsa_system_sgpr_workgroup_id_z 0
		.amdhsa_system_sgpr_workgroup_info 0
		.amdhsa_system_vgpr_workitem_id 0
		.amdhsa_next_free_vgpr 1
		.amdhsa_next_free_sgpr 0
		.amdhsa_accum_offset 4
		.amdhsa_reserve_vcc 0
		.amdhsa_float_round_mode_32 0
		.amdhsa_float_round_mode_16_64 0
		.amdhsa_float_denorm_mode_32 3
		.amdhsa_float_denorm_mode_16_64 3
		.amdhsa_dx10_clamp 1
		.amdhsa_ieee_mode 1
		.amdhsa_fp16_overflow 0
		.amdhsa_tg_split 0
		.amdhsa_exception_fp_ieee_invalid_op 0
		.amdhsa_exception_fp_denorm_src 0
		.amdhsa_exception_fp_ieee_div_zero 0
		.amdhsa_exception_fp_ieee_overflow 0
		.amdhsa_exception_fp_ieee_underflow 0
		.amdhsa_exception_fp_ieee_inexact 0
		.amdhsa_exception_int_div_zero 0
	.end_amdhsa_kernel
	.section	.text._ZN7rocprim17ROCPRIM_400000_NS6detail17trampoline_kernelINS0_14default_configENS1_27scan_by_key_config_selectorIixEEZZNS1_16scan_by_key_implILNS1_25lookback_scan_determinismE0ELb1ES3_N6thrust23THRUST_200600_302600_NS6detail15normal_iteratorINS9_10device_ptrIiEEEENSB_INSC_IxEEEESG_xNS9_4plusIvEENS9_8equal_toIvEExEE10hipError_tPvRmT2_T3_T4_T5_mT6_T7_P12ihipStream_tbENKUlT_T0_E_clISt17integral_constantIbLb0EES11_EEDaSW_SX_EUlSW_E_NS1_11comp_targetILNS1_3genE10ELNS1_11target_archE1201ELNS1_3gpuE5ELNS1_3repE0EEENS1_30default_config_static_selectorELNS0_4arch9wavefront6targetE1EEEvT1_,"axG",@progbits,_ZN7rocprim17ROCPRIM_400000_NS6detail17trampoline_kernelINS0_14default_configENS1_27scan_by_key_config_selectorIixEEZZNS1_16scan_by_key_implILNS1_25lookback_scan_determinismE0ELb1ES3_N6thrust23THRUST_200600_302600_NS6detail15normal_iteratorINS9_10device_ptrIiEEEENSB_INSC_IxEEEESG_xNS9_4plusIvEENS9_8equal_toIvEExEE10hipError_tPvRmT2_T3_T4_T5_mT6_T7_P12ihipStream_tbENKUlT_T0_E_clISt17integral_constantIbLb0EES11_EEDaSW_SX_EUlSW_E_NS1_11comp_targetILNS1_3genE10ELNS1_11target_archE1201ELNS1_3gpuE5ELNS1_3repE0EEENS1_30default_config_static_selectorELNS0_4arch9wavefront6targetE1EEEvT1_,comdat
.Lfunc_end1572:
	.size	_ZN7rocprim17ROCPRIM_400000_NS6detail17trampoline_kernelINS0_14default_configENS1_27scan_by_key_config_selectorIixEEZZNS1_16scan_by_key_implILNS1_25lookback_scan_determinismE0ELb1ES3_N6thrust23THRUST_200600_302600_NS6detail15normal_iteratorINS9_10device_ptrIiEEEENSB_INSC_IxEEEESG_xNS9_4plusIvEENS9_8equal_toIvEExEE10hipError_tPvRmT2_T3_T4_T5_mT6_T7_P12ihipStream_tbENKUlT_T0_E_clISt17integral_constantIbLb0EES11_EEDaSW_SX_EUlSW_E_NS1_11comp_targetILNS1_3genE10ELNS1_11target_archE1201ELNS1_3gpuE5ELNS1_3repE0EEENS1_30default_config_static_selectorELNS0_4arch9wavefront6targetE1EEEvT1_, .Lfunc_end1572-_ZN7rocprim17ROCPRIM_400000_NS6detail17trampoline_kernelINS0_14default_configENS1_27scan_by_key_config_selectorIixEEZZNS1_16scan_by_key_implILNS1_25lookback_scan_determinismE0ELb1ES3_N6thrust23THRUST_200600_302600_NS6detail15normal_iteratorINS9_10device_ptrIiEEEENSB_INSC_IxEEEESG_xNS9_4plusIvEENS9_8equal_toIvEExEE10hipError_tPvRmT2_T3_T4_T5_mT6_T7_P12ihipStream_tbENKUlT_T0_E_clISt17integral_constantIbLb0EES11_EEDaSW_SX_EUlSW_E_NS1_11comp_targetILNS1_3genE10ELNS1_11target_archE1201ELNS1_3gpuE5ELNS1_3repE0EEENS1_30default_config_static_selectorELNS0_4arch9wavefront6targetE1EEEvT1_
                                        ; -- End function
	.section	.AMDGPU.csdata,"",@progbits
; Kernel info:
; codeLenInByte = 0
; NumSgprs: 6
; NumVgprs: 0
; NumAgprs: 0
; TotalNumVgprs: 0
; ScratchSize: 0
; MemoryBound: 0
; FloatMode: 240
; IeeeMode: 1
; LDSByteSize: 0 bytes/workgroup (compile time only)
; SGPRBlocks: 0
; VGPRBlocks: 0
; NumSGPRsForWavesPerEU: 6
; NumVGPRsForWavesPerEU: 1
; AccumOffset: 4
; Occupancy: 8
; WaveLimiterHint : 0
; COMPUTE_PGM_RSRC2:SCRATCH_EN: 0
; COMPUTE_PGM_RSRC2:USER_SGPR: 2
; COMPUTE_PGM_RSRC2:TRAP_HANDLER: 0
; COMPUTE_PGM_RSRC2:TGID_X_EN: 1
; COMPUTE_PGM_RSRC2:TGID_Y_EN: 0
; COMPUTE_PGM_RSRC2:TGID_Z_EN: 0
; COMPUTE_PGM_RSRC2:TIDIG_COMP_CNT: 0
; COMPUTE_PGM_RSRC3_GFX90A:ACCUM_OFFSET: 0
; COMPUTE_PGM_RSRC3_GFX90A:TG_SPLIT: 0
	.section	.text._ZN7rocprim17ROCPRIM_400000_NS6detail17trampoline_kernelINS0_14default_configENS1_27scan_by_key_config_selectorIixEEZZNS1_16scan_by_key_implILNS1_25lookback_scan_determinismE0ELb1ES3_N6thrust23THRUST_200600_302600_NS6detail15normal_iteratorINS9_10device_ptrIiEEEENSB_INSC_IxEEEESG_xNS9_4plusIvEENS9_8equal_toIvEExEE10hipError_tPvRmT2_T3_T4_T5_mT6_T7_P12ihipStream_tbENKUlT_T0_E_clISt17integral_constantIbLb0EES11_EEDaSW_SX_EUlSW_E_NS1_11comp_targetILNS1_3genE5ELNS1_11target_archE942ELNS1_3gpuE9ELNS1_3repE0EEENS1_30default_config_static_selectorELNS0_4arch9wavefront6targetE1EEEvT1_,"axG",@progbits,_ZN7rocprim17ROCPRIM_400000_NS6detail17trampoline_kernelINS0_14default_configENS1_27scan_by_key_config_selectorIixEEZZNS1_16scan_by_key_implILNS1_25lookback_scan_determinismE0ELb1ES3_N6thrust23THRUST_200600_302600_NS6detail15normal_iteratorINS9_10device_ptrIiEEEENSB_INSC_IxEEEESG_xNS9_4plusIvEENS9_8equal_toIvEExEE10hipError_tPvRmT2_T3_T4_T5_mT6_T7_P12ihipStream_tbENKUlT_T0_E_clISt17integral_constantIbLb0EES11_EEDaSW_SX_EUlSW_E_NS1_11comp_targetILNS1_3genE5ELNS1_11target_archE942ELNS1_3gpuE9ELNS1_3repE0EEENS1_30default_config_static_selectorELNS0_4arch9wavefront6targetE1EEEvT1_,comdat
	.protected	_ZN7rocprim17ROCPRIM_400000_NS6detail17trampoline_kernelINS0_14default_configENS1_27scan_by_key_config_selectorIixEEZZNS1_16scan_by_key_implILNS1_25lookback_scan_determinismE0ELb1ES3_N6thrust23THRUST_200600_302600_NS6detail15normal_iteratorINS9_10device_ptrIiEEEENSB_INSC_IxEEEESG_xNS9_4plusIvEENS9_8equal_toIvEExEE10hipError_tPvRmT2_T3_T4_T5_mT6_T7_P12ihipStream_tbENKUlT_T0_E_clISt17integral_constantIbLb0EES11_EEDaSW_SX_EUlSW_E_NS1_11comp_targetILNS1_3genE5ELNS1_11target_archE942ELNS1_3gpuE9ELNS1_3repE0EEENS1_30default_config_static_selectorELNS0_4arch9wavefront6targetE1EEEvT1_ ; -- Begin function _ZN7rocprim17ROCPRIM_400000_NS6detail17trampoline_kernelINS0_14default_configENS1_27scan_by_key_config_selectorIixEEZZNS1_16scan_by_key_implILNS1_25lookback_scan_determinismE0ELb1ES3_N6thrust23THRUST_200600_302600_NS6detail15normal_iteratorINS9_10device_ptrIiEEEENSB_INSC_IxEEEESG_xNS9_4plusIvEENS9_8equal_toIvEExEE10hipError_tPvRmT2_T3_T4_T5_mT6_T7_P12ihipStream_tbENKUlT_T0_E_clISt17integral_constantIbLb0EES11_EEDaSW_SX_EUlSW_E_NS1_11comp_targetILNS1_3genE5ELNS1_11target_archE942ELNS1_3gpuE9ELNS1_3repE0EEENS1_30default_config_static_selectorELNS0_4arch9wavefront6targetE1EEEvT1_
	.globl	_ZN7rocprim17ROCPRIM_400000_NS6detail17trampoline_kernelINS0_14default_configENS1_27scan_by_key_config_selectorIixEEZZNS1_16scan_by_key_implILNS1_25lookback_scan_determinismE0ELb1ES3_N6thrust23THRUST_200600_302600_NS6detail15normal_iteratorINS9_10device_ptrIiEEEENSB_INSC_IxEEEESG_xNS9_4plusIvEENS9_8equal_toIvEExEE10hipError_tPvRmT2_T3_T4_T5_mT6_T7_P12ihipStream_tbENKUlT_T0_E_clISt17integral_constantIbLb0EES11_EEDaSW_SX_EUlSW_E_NS1_11comp_targetILNS1_3genE5ELNS1_11target_archE942ELNS1_3gpuE9ELNS1_3repE0EEENS1_30default_config_static_selectorELNS0_4arch9wavefront6targetE1EEEvT1_
	.p2align	8
	.type	_ZN7rocprim17ROCPRIM_400000_NS6detail17trampoline_kernelINS0_14default_configENS1_27scan_by_key_config_selectorIixEEZZNS1_16scan_by_key_implILNS1_25lookback_scan_determinismE0ELb1ES3_N6thrust23THRUST_200600_302600_NS6detail15normal_iteratorINS9_10device_ptrIiEEEENSB_INSC_IxEEEESG_xNS9_4plusIvEENS9_8equal_toIvEExEE10hipError_tPvRmT2_T3_T4_T5_mT6_T7_P12ihipStream_tbENKUlT_T0_E_clISt17integral_constantIbLb0EES11_EEDaSW_SX_EUlSW_E_NS1_11comp_targetILNS1_3genE5ELNS1_11target_archE942ELNS1_3gpuE9ELNS1_3repE0EEENS1_30default_config_static_selectorELNS0_4arch9wavefront6targetE1EEEvT1_,@function
_ZN7rocprim17ROCPRIM_400000_NS6detail17trampoline_kernelINS0_14default_configENS1_27scan_by_key_config_selectorIixEEZZNS1_16scan_by_key_implILNS1_25lookback_scan_determinismE0ELb1ES3_N6thrust23THRUST_200600_302600_NS6detail15normal_iteratorINS9_10device_ptrIiEEEENSB_INSC_IxEEEESG_xNS9_4plusIvEENS9_8equal_toIvEExEE10hipError_tPvRmT2_T3_T4_T5_mT6_T7_P12ihipStream_tbENKUlT_T0_E_clISt17integral_constantIbLb0EES11_EEDaSW_SX_EUlSW_E_NS1_11comp_targetILNS1_3genE5ELNS1_11target_archE942ELNS1_3gpuE9ELNS1_3repE0EEENS1_30default_config_static_selectorELNS0_4arch9wavefront6targetE1EEEvT1_: ; @_ZN7rocprim17ROCPRIM_400000_NS6detail17trampoline_kernelINS0_14default_configENS1_27scan_by_key_config_selectorIixEEZZNS1_16scan_by_key_implILNS1_25lookback_scan_determinismE0ELb1ES3_N6thrust23THRUST_200600_302600_NS6detail15normal_iteratorINS9_10device_ptrIiEEEENSB_INSC_IxEEEESG_xNS9_4plusIvEENS9_8equal_toIvEExEE10hipError_tPvRmT2_T3_T4_T5_mT6_T7_P12ihipStream_tbENKUlT_T0_E_clISt17integral_constantIbLb0EES11_EEDaSW_SX_EUlSW_E_NS1_11comp_targetILNS1_3genE5ELNS1_11target_archE942ELNS1_3gpuE9ELNS1_3repE0EEENS1_30default_config_static_selectorELNS0_4arch9wavefront6targetE1EEEvT1_
; %bb.0:
	s_load_dwordx8 s[56:63], s[0:1], 0x0
	s_load_dwordx2 s[68:69], s[0:1], 0x20
	s_load_dwordx8 s[48:55], s[0:1], 0x30
	s_load_dwordx2 s[70:71], s[0:1], 0x50
	s_load_dword s3, s[0:1], 0x58
	s_load_dwordx4 s[64:67], s[0:1], 0x60
	s_waitcnt lgkmcnt(0)
	s_lshl_b64 s[0:1], s[58:59], 2
	s_add_u32 s6, s56, s0
	s_addc_u32 s7, s57, s1
	s_lshl_b64 s[56:57], s[58:59], 3
	s_add_u32 s8, s60, s56
	s_mul_i32 s0, s71, s3
	s_mul_hi_u32 s1, s70, s3
	s_addc_u32 s9, s61, s57
	s_add_i32 s10, s1, s0
	s_mul_i32 s0, s2, 0x1500
	s_mov_b32 s1, 0
	s_lshl_b64 s[4:5], s[0:1], 2
	s_add_u32 s72, s6, s4
	s_addc_u32 s73, s7, s5
	s_lshl_b64 s[58:59], s[0:1], 3
	s_add_u32 s60, s8, s58
	s_mul_i32 s3, s70, s3
	s_addc_u32 s61, s9, s59
	s_add_u32 s0, s3, s2
	s_addc_u32 s1, s10, 0
	s_add_u32 s6, s64, -1
	s_addc_u32 s7, s65, -1
	v_mov_b64_e32 v[2:3], s[6:7]
	v_cmp_ge_u64_e64 s[0:1], s[0:1], v[2:3]
	s_mov_b64 s[4:5], -1
	s_and_b64 vcc, exec, s[0:1]
	s_mul_i32 s33, s6, 0xffffeb00
	s_barrier
	s_cbranch_vccz .LBB1573_65
; %bb.1:
	v_mov_b64_e32 v[2:3], s[72:73]
	flat_load_dword v2, v[2:3]
	s_add_i32 s55, s33, s54
	v_cmp_gt_u32_e32 vcc, s55, v0
	s_waitcnt vmcnt(0) lgkmcnt(0)
	v_mov_b32_e32 v4, v2
	s_and_saveexec_b64 s[4:5], vcc
	s_cbranch_execz .LBB1573_3
; %bb.2:
	v_lshlrev_b32_e32 v4, 2, v0
	v_mov_b32_e32 v5, 0
	v_lshl_add_u64 v[4:5], s[72:73], 0, v[4:5]
	flat_load_dword v4, v[4:5]
.LBB1573_3:
	s_or_b64 exec, exec, s[4:5]
	v_or_b32_e32 v1, 0x100, v0
	v_cmp_gt_u32_e64 s[44:45], s55, v1
	v_mov_b32_e32 v5, v2
	s_and_saveexec_b64 s[4:5], s[44:45]
	s_cbranch_execz .LBB1573_5
; %bb.4:
	v_lshlrev_b32_e32 v6, 2, v0
	v_mov_b32_e32 v7, 0
	v_lshl_add_u64 v[6:7], s[72:73], 0, v[6:7]
	flat_load_dword v5, v[6:7] offset:1024
.LBB1573_5:
	s_or_b64 exec, exec, s[4:5]
	v_or_b32_e32 v1, 0x200, v0
	v_cmp_gt_u32_e64 s[4:5], s55, v1
	v_mov_b32_e32 v6, v2
	s_and_saveexec_b64 s[6:7], s[4:5]
	s_cbranch_execz .LBB1573_7
; %bb.6:
	v_lshlrev_b32_e32 v6, 2, v0
	v_mov_b32_e32 v7, 0
	v_lshl_add_u64 v[6:7], s[72:73], 0, v[6:7]
	flat_load_dword v6, v[6:7] offset:2048
.LBB1573_7:
	;; [unrolled: 12-line block ×3, first 2 shown]
	s_or_b64 exec, exec, s[8:9]
	v_or_b32_e32 v32, 0x400, v0
	v_cmp_gt_u32_e64 s[8:9], s55, v32
	v_mov_b32_e32 v8, v2
	s_and_saveexec_b64 s[10:11], s[8:9]
	s_cbranch_execz .LBB1573_11
; %bb.10:
	v_lshlrev_b32_e32 v8, 2, v32
	v_mov_b32_e32 v9, 0
	v_lshl_add_u64 v[8:9], s[72:73], 0, v[8:9]
	flat_load_dword v8, v[8:9]
.LBB1573_11:
	s_or_b64 exec, exec, s[10:11]
	v_or_b32_e32 v34, 0x500, v0
	v_cmp_gt_u32_e64 s[10:11], s55, v34
	v_mov_b32_e32 v9, v2
	s_and_saveexec_b64 s[12:13], s[10:11]
	s_cbranch_execz .LBB1573_13
; %bb.12:
	v_lshlrev_b32_e32 v10, 2, v34
	v_mov_b32_e32 v11, 0
	v_lshl_add_u64 v[10:11], s[72:73], 0, v[10:11]
	flat_load_dword v9, v[10:11]
.LBB1573_13:
	;; [unrolled: 12-line block ×16, first 2 shown]
	s_or_b64 exec, exec, s[42:43]
	v_or_b32_e32 v64, 0x1400, v0
	v_cmp_gt_u32_e64 s[42:43], s55, v64
	v_mov_b32_e32 v3, 0
	s_and_saveexec_b64 s[46:47], s[42:43]
	s_cbranch_execz .LBB1573_43
; %bb.42:
	v_lshlrev_b32_e32 v2, 2, v64
	v_lshl_add_u64 v[2:3], s[72:73], 0, v[2:3]
	flat_load_dword v2, v[2:3]
.LBB1573_43:
	s_or_b64 exec, exec, s[46:47]
	v_lshlrev_b32_e32 v3, 2, v0
	s_waitcnt vmcnt(0) lgkmcnt(0)
	ds_write2st64_b32 v3, v4, v5 offset1:4
	ds_write2st64_b32 v3, v6, v7 offset0:8 offset1:12
	ds_write2st64_b32 v3, v8, v9 offset0:16 offset1:20
	;; [unrolled: 1-line block ×9, first 2 shown]
	ds_write_b32 v3, v2 offset:20480
	v_mov_b64_e32 v[4:5], s[72:73]
	s_waitcnt lgkmcnt(0)
	s_barrier
	flat_load_dword v80, v[4:5]
	s_movk_i32 s3, 0x50
	v_mad_u32_u24 v2, v0, s3, v3
	s_movk_i32 s3, 0xffb0
	v_mad_i32_i24 v65, v0, s3, v2
	s_movk_i32 s3, 0xff
	v_cmp_ne_u32_e64 s[46:47], s3, v0
	ds_read_b32 v82, v2
	ds_read2_b32 v[24:25], v2 offset0:1 offset1:2
	ds_read2_b32 v[22:23], v2 offset0:3 offset1:4
	;; [unrolled: 1-line block ×10, first 2 shown]
	s_waitcnt lgkmcnt(0)
	ds_write_b32 v65, v82 offset:22528
	s_waitcnt lgkmcnt(0)
	s_barrier
	s_and_saveexec_b64 s[64:65], s[46:47]
	s_cbranch_execz .LBB1573_45
; %bb.44:
	s_waitcnt vmcnt(0)
	ds_read_b32 v80, v3 offset:22532
.LBB1573_45:
	s_or_b64 exec, exec, s[64:65]
	v_mov_b32_e32 v5, 0
	s_waitcnt lgkmcnt(0)
	s_barrier
	s_waitcnt lgkmcnt(0)
                                        ; implicit-def: $vgpr2_vgpr3
	s_and_saveexec_b64 s[46:47], vcc
	s_cbranch_execz .LBB1573_66
; %bb.46:
	v_lshlrev_b32_e32 v4, 3, v0
	v_lshl_add_u64 v[2:3], s[60:61], 0, v[4:5]
	flat_load_dwordx2 v[2:3], v[2:3]
	s_or_b64 exec, exec, s[46:47]
                                        ; implicit-def: $vgpr4_vgpr5
	s_and_saveexec_b64 s[46:47], s[44:45]
	s_cbranch_execnz .LBB1573_67
.LBB1573_47:
	s_or_b64 exec, exec, s[46:47]
                                        ; implicit-def: $vgpr26_vgpr27
	s_and_saveexec_b64 s[44:45], s[4:5]
	s_cbranch_execz .LBB1573_68
.LBB1573_48:
	v_lshlrev_b32_e32 v26, 3, v1
	v_mov_b32_e32 v27, 0
	v_lshl_add_u64 v[26:27], s[60:61], 0, v[26:27]
	flat_load_dwordx2 v[26:27], v[26:27]
	s_or_b64 exec, exec, s[44:45]
                                        ; implicit-def: $vgpr28_vgpr29
	s_and_saveexec_b64 s[4:5], s[6:7]
	s_cbranch_execnz .LBB1573_69
.LBB1573_49:
	s_or_b64 exec, exec, s[4:5]
                                        ; implicit-def: $vgpr30_vgpr31
	s_and_saveexec_b64 s[4:5], s[8:9]
	s_cbranch_execz .LBB1573_70
.LBB1573_50:
	v_lshlrev_b32_e32 v30, 3, v32
	v_mov_b32_e32 v31, 0
	v_lshl_add_u64 v[30:31], s[60:61], 0, v[30:31]
	flat_load_dwordx2 v[30:31], v[30:31]
	s_or_b64 exec, exec, s[4:5]
                                        ; implicit-def: $vgpr32_vgpr33
	s_and_saveexec_b64 s[4:5], s[10:11]
	s_cbranch_execnz .LBB1573_71
.LBB1573_51:
	s_or_b64 exec, exec, s[4:5]
                                        ; implicit-def: $vgpr34_vgpr35
	s_and_saveexec_b64 s[4:5], s[12:13]
	s_cbranch_execz .LBB1573_72
.LBB1573_52:
	v_lshlrev_b32_e32 v34, 3, v36
	v_mov_b32_e32 v35, 0
	v_lshl_add_u64 v[34:35], s[60:61], 0, v[34:35]
	flat_load_dwordx2 v[34:35], v[34:35]
	s_or_b64 exec, exec, s[4:5]
                                        ; implicit-def: $vgpr36_vgpr37
	s_and_saveexec_b64 s[4:5], s[14:15]
	s_cbranch_execnz .LBB1573_73
.LBB1573_53:
	s_or_b64 exec, exec, s[4:5]
                                        ; implicit-def: $vgpr38_vgpr39
	s_and_saveexec_b64 s[4:5], s[16:17]
	s_cbranch_execz .LBB1573_74
.LBB1573_54:
	v_lshlrev_b32_e32 v38, 3, v40
	v_mov_b32_e32 v39, 0
	v_lshl_add_u64 v[38:39], s[60:61], 0, v[38:39]
	flat_load_dwordx2 v[38:39], v[38:39]
	s_or_b64 exec, exec, s[4:5]
                                        ; implicit-def: $vgpr40_vgpr41
	s_and_saveexec_b64 s[4:5], s[18:19]
	s_cbranch_execnz .LBB1573_75
.LBB1573_55:
	s_or_b64 exec, exec, s[4:5]
                                        ; implicit-def: $vgpr42_vgpr43
	s_and_saveexec_b64 s[4:5], s[20:21]
	s_cbranch_execz .LBB1573_76
.LBB1573_56:
	v_lshlrev_b32_e32 v42, 3, v44
	v_mov_b32_e32 v43, 0
	v_lshl_add_u64 v[42:43], s[60:61], 0, v[42:43]
	flat_load_dwordx2 v[42:43], v[42:43]
	s_or_b64 exec, exec, s[4:5]
                                        ; implicit-def: $vgpr44_vgpr45
	s_and_saveexec_b64 s[4:5], s[22:23]
	s_cbranch_execnz .LBB1573_77
.LBB1573_57:
	s_or_b64 exec, exec, s[4:5]
                                        ; implicit-def: $vgpr46_vgpr47
	s_and_saveexec_b64 s[4:5], s[24:25]
	s_cbranch_execz .LBB1573_78
.LBB1573_58:
	v_lshlrev_b32_e32 v46, 3, v48
	v_mov_b32_e32 v47, 0
	v_lshl_add_u64 v[46:47], s[60:61], 0, v[46:47]
	flat_load_dwordx2 v[46:47], v[46:47]
	s_or_b64 exec, exec, s[4:5]
                                        ; implicit-def: $vgpr48_vgpr49
	s_and_saveexec_b64 s[4:5], s[26:27]
	s_cbranch_execnz .LBB1573_79
.LBB1573_59:
	s_or_b64 exec, exec, s[4:5]
                                        ; implicit-def: $vgpr50_vgpr51
	s_and_saveexec_b64 s[4:5], s[28:29]
	s_cbranch_execz .LBB1573_80
.LBB1573_60:
	v_lshlrev_b32_e32 v50, 3, v52
	v_mov_b32_e32 v51, 0
	v_lshl_add_u64 v[50:51], s[60:61], 0, v[50:51]
	flat_load_dwordx2 v[50:51], v[50:51]
	s_or_b64 exec, exec, s[4:5]
                                        ; implicit-def: $vgpr52_vgpr53
	s_and_saveexec_b64 s[4:5], s[30:31]
	s_cbranch_execnz .LBB1573_81
.LBB1573_61:
	s_or_b64 exec, exec, s[4:5]
                                        ; implicit-def: $vgpr54_vgpr55
	s_and_saveexec_b64 s[4:5], s[34:35]
	s_cbranch_execz .LBB1573_82
.LBB1573_62:
	v_lshlrev_b32_e32 v54, 3, v56
	v_mov_b32_e32 v55, 0
	v_lshl_add_u64 v[54:55], s[60:61], 0, v[54:55]
	flat_load_dwordx2 v[54:55], v[54:55]
	s_or_b64 exec, exec, s[4:5]
                                        ; implicit-def: $vgpr56_vgpr57
	s_and_saveexec_b64 s[4:5], s[36:37]
	s_cbranch_execnz .LBB1573_83
.LBB1573_63:
	s_or_b64 exec, exec, s[4:5]
                                        ; implicit-def: $vgpr58_vgpr59
	s_and_saveexec_b64 s[4:5], s[38:39]
	s_cbranch_execz .LBB1573_84
.LBB1573_64:
	v_lshlrev_b32_e32 v58, 3, v60
	v_mov_b32_e32 v59, 0
	v_lshl_add_u64 v[58:59], s[60:61], 0, v[58:59]
	flat_load_dwordx2 v[58:59], v[58:59]
	s_or_b64 exec, exec, s[4:5]
                                        ; implicit-def: $vgpr60_vgpr61
	s_and_saveexec_b64 s[4:5], s[40:41]
	s_cbranch_execz .LBB1573_86
	s_branch .LBB1573_85
.LBB1573_65:
	s_mov_b64 s[10:11], 0
                                        ; implicit-def: $sgpr8_sgpr9
                                        ; implicit-def: $vgpr2_vgpr3
                                        ; implicit-def: $vgpr42_vgpr43
                                        ; implicit-def: $vgpr106
                                        ; implicit-def: $vgpr40_vgpr41
                                        ; implicit-def: $vgpr122
                                        ; implicit-def: $vgpr78_vgpr79
                                        ; implicit-def: $vgpr121
                                        ; implicit-def: $vgpr76_vgpr77
                                        ; implicit-def: $vgpr120
                                        ; implicit-def: $vgpr74_vgpr75
                                        ; implicit-def: $vgpr119
                                        ; implicit-def: $vgpr72_vgpr73
                                        ; implicit-def: $vgpr118
                                        ; implicit-def: $vgpr70_vgpr71
                                        ; implicit-def: $vgpr117
                                        ; implicit-def: $vgpr68_vgpr69
                                        ; implicit-def: $vgpr116
                                        ; implicit-def: $vgpr66_vgpr67
                                        ; implicit-def: $vgpr115
                                        ; implicit-def: $vgpr64_vgpr65
                                        ; implicit-def: $vgpr114
                                        ; implicit-def: $vgpr62_vgpr63
                                        ; implicit-def: $vgpr113
                                        ; implicit-def: $vgpr60_vgpr61
                                        ; implicit-def: $vgpr112
                                        ; implicit-def: $vgpr58_vgpr59
                                        ; implicit-def: $vgpr111
                                        ; implicit-def: $vgpr56_vgpr57
                                        ; implicit-def: $vgpr110
                                        ; implicit-def: $vgpr54_vgpr55
                                        ; implicit-def: $vgpr109
                                        ; implicit-def: $vgpr52_vgpr53
                                        ; implicit-def: $vgpr108
                                        ; implicit-def: $vgpr50_vgpr51
                                        ; implicit-def: $vgpr107
                                        ; implicit-def: $vgpr48_vgpr49
                                        ; implicit-def: $vgpr105
                                        ; implicit-def: $vgpr46_vgpr47
                                        ; implicit-def: $vgpr104
                                        ; implicit-def: $vgpr44_vgpr45
                                        ; implicit-def: $vgpr1
                                        ; implicit-def: $sgpr3
                                        ; implicit-def: $sgpr6_sgpr7
	s_and_b64 vcc, exec, s[4:5]
	s_cbranch_vccz .LBB1573_136
	s_branch .LBB1573_131
.LBB1573_66:
	s_or_b64 exec, exec, s[46:47]
                                        ; implicit-def: $vgpr4_vgpr5
	s_and_saveexec_b64 s[46:47], s[44:45]
	s_cbranch_execz .LBB1573_47
.LBB1573_67:
	v_lshlrev_b32_e32 v4, 3, v0
	v_mov_b32_e32 v5, 0
	v_lshl_add_u64 v[4:5], s[60:61], 0, v[4:5]
	flat_load_dwordx2 v[4:5], v[4:5] offset:2048
	s_or_b64 exec, exec, s[46:47]
                                        ; implicit-def: $vgpr26_vgpr27
	s_and_saveexec_b64 s[44:45], s[4:5]
	s_cbranch_execnz .LBB1573_48
.LBB1573_68:
	s_or_b64 exec, exec, s[44:45]
                                        ; implicit-def: $vgpr28_vgpr29
	s_and_saveexec_b64 s[4:5], s[6:7]
	s_cbranch_execz .LBB1573_49
.LBB1573_69:
	v_lshlrev_b32_e32 v28, 3, v30
	v_mov_b32_e32 v29, 0
	v_lshl_add_u64 v[28:29], s[60:61], 0, v[28:29]
	flat_load_dwordx2 v[28:29], v[28:29]
	s_or_b64 exec, exec, s[4:5]
                                        ; implicit-def: $vgpr30_vgpr31
	s_and_saveexec_b64 s[4:5], s[8:9]
	s_cbranch_execnz .LBB1573_50
.LBB1573_70:
	s_or_b64 exec, exec, s[4:5]
                                        ; implicit-def: $vgpr32_vgpr33
	s_and_saveexec_b64 s[4:5], s[10:11]
	s_cbranch_execz .LBB1573_51
.LBB1573_71:
	v_lshlrev_b32_e32 v32, 3, v34
	v_mov_b32_e32 v33, 0
	v_lshl_add_u64 v[32:33], s[60:61], 0, v[32:33]
	flat_load_dwordx2 v[32:33], v[32:33]
	s_or_b64 exec, exec, s[4:5]
                                        ; implicit-def: $vgpr34_vgpr35
	s_and_saveexec_b64 s[4:5], s[12:13]
	s_cbranch_execnz .LBB1573_52
.LBB1573_72:
	s_or_b64 exec, exec, s[4:5]
                                        ; implicit-def: $vgpr36_vgpr37
	s_and_saveexec_b64 s[4:5], s[14:15]
	s_cbranch_execz .LBB1573_53
.LBB1573_73:
	v_lshlrev_b32_e32 v36, 3, v38
	v_mov_b32_e32 v37, 0
	v_lshl_add_u64 v[36:37], s[60:61], 0, v[36:37]
	flat_load_dwordx2 v[36:37], v[36:37]
	s_or_b64 exec, exec, s[4:5]
                                        ; implicit-def: $vgpr38_vgpr39
	s_and_saveexec_b64 s[4:5], s[16:17]
	s_cbranch_execnz .LBB1573_54
.LBB1573_74:
	s_or_b64 exec, exec, s[4:5]
                                        ; implicit-def: $vgpr40_vgpr41
	s_and_saveexec_b64 s[4:5], s[18:19]
	s_cbranch_execz .LBB1573_55
.LBB1573_75:
	v_lshlrev_b32_e32 v40, 3, v42
	v_mov_b32_e32 v41, 0
	v_lshl_add_u64 v[40:41], s[60:61], 0, v[40:41]
	flat_load_dwordx2 v[40:41], v[40:41]
	s_or_b64 exec, exec, s[4:5]
                                        ; implicit-def: $vgpr42_vgpr43
	s_and_saveexec_b64 s[4:5], s[20:21]
	s_cbranch_execnz .LBB1573_56
.LBB1573_76:
	s_or_b64 exec, exec, s[4:5]
                                        ; implicit-def: $vgpr44_vgpr45
	s_and_saveexec_b64 s[4:5], s[22:23]
	s_cbranch_execz .LBB1573_57
.LBB1573_77:
	v_lshlrev_b32_e32 v44, 3, v46
	v_mov_b32_e32 v45, 0
	v_lshl_add_u64 v[44:45], s[60:61], 0, v[44:45]
	flat_load_dwordx2 v[44:45], v[44:45]
	s_or_b64 exec, exec, s[4:5]
                                        ; implicit-def: $vgpr46_vgpr47
	s_and_saveexec_b64 s[4:5], s[24:25]
	s_cbranch_execnz .LBB1573_58
.LBB1573_78:
	s_or_b64 exec, exec, s[4:5]
                                        ; implicit-def: $vgpr48_vgpr49
	s_and_saveexec_b64 s[4:5], s[26:27]
	s_cbranch_execz .LBB1573_59
.LBB1573_79:
	v_lshlrev_b32_e32 v48, 3, v50
	v_mov_b32_e32 v49, 0
	v_lshl_add_u64 v[48:49], s[60:61], 0, v[48:49]
	flat_load_dwordx2 v[48:49], v[48:49]
	s_or_b64 exec, exec, s[4:5]
                                        ; implicit-def: $vgpr50_vgpr51
	s_and_saveexec_b64 s[4:5], s[28:29]
	s_cbranch_execnz .LBB1573_60
.LBB1573_80:
	s_or_b64 exec, exec, s[4:5]
                                        ; implicit-def: $vgpr52_vgpr53
	s_and_saveexec_b64 s[4:5], s[30:31]
	s_cbranch_execz .LBB1573_61
.LBB1573_81:
	v_lshlrev_b32_e32 v52, 3, v54
	v_mov_b32_e32 v53, 0
	v_lshl_add_u64 v[52:53], s[60:61], 0, v[52:53]
	flat_load_dwordx2 v[52:53], v[52:53]
	s_or_b64 exec, exec, s[4:5]
                                        ; implicit-def: $vgpr54_vgpr55
	s_and_saveexec_b64 s[4:5], s[34:35]
	s_cbranch_execnz .LBB1573_62
.LBB1573_82:
	s_or_b64 exec, exec, s[4:5]
                                        ; implicit-def: $vgpr56_vgpr57
	s_and_saveexec_b64 s[4:5], s[36:37]
	s_cbranch_execz .LBB1573_63
.LBB1573_83:
	v_lshlrev_b32_e32 v56, 3, v58
	v_mov_b32_e32 v57, 0
	v_lshl_add_u64 v[56:57], s[60:61], 0, v[56:57]
	flat_load_dwordx2 v[56:57], v[56:57]
	s_or_b64 exec, exec, s[4:5]
                                        ; implicit-def: $vgpr58_vgpr59
	s_and_saveexec_b64 s[4:5], s[38:39]
	s_cbranch_execnz .LBB1573_64
.LBB1573_84:
	s_or_b64 exec, exec, s[4:5]
                                        ; implicit-def: $vgpr60_vgpr61
	s_and_saveexec_b64 s[4:5], s[40:41]
	s_cbranch_execz .LBB1573_86
.LBB1573_85:
	v_lshlrev_b32_e32 v60, 3, v62
	v_mov_b32_e32 v61, 0
	v_lshl_add_u64 v[60:61], s[60:61], 0, v[60:61]
	flat_load_dwordx2 v[60:61], v[60:61]
.LBB1573_86:
	s_or_b64 exec, exec, s[4:5]
	v_mul_u32_u24_e32 v81, 21, v0
                                        ; implicit-def: $vgpr62_vgpr63
	s_and_saveexec_b64 s[4:5], s[42:43]
	s_cbranch_execz .LBB1573_88
; %bb.87:
	v_lshlrev_b32_e32 v62, 3, v64
	v_mov_b32_e32 v63, 0
	v_lshl_add_u64 v[62:63], s[60:61], 0, v[62:63]
	flat_load_dwordx2 v[62:63], v[62:63]
.LBB1573_88:
	s_or_b64 exec, exec, s[4:5]
	v_lshl_add_u32 v83, v0, 2, v65
	s_waitcnt vmcnt(0) lgkmcnt(0)
	ds_write2st64_b64 v83, v[2:3], v[4:5] offset1:4
	ds_write2st64_b64 v83, v[26:27], v[28:29] offset0:8 offset1:12
	ds_write2st64_b64 v83, v[30:31], v[32:33] offset0:16 offset1:20
	;; [unrolled: 1-line block ×9, first 2 shown]
	ds_write_b64 v83, v[62:63] offset:40960
	v_mov_b64_e32 v[42:43], 0
	v_cmp_gt_u32_e32 vcc, s55, v81
	s_mov_b64 s[10:11], 0
	s_mov_b32 s3, 0
	s_mov_b64 s[4:5], 0
	v_mov_b32_e32 v106, 0
	v_mov_b64_e32 v[40:41], v[42:43]
	v_mov_b32_e32 v122, 0
	v_mov_b64_e32 v[78:79], v[42:43]
	;; [unrolled: 2-line block ×19, first 2 shown]
	v_mov_b32_e32 v1, 0
	s_waitcnt lgkmcnt(0)
	s_barrier
	s_waitcnt lgkmcnt(0)
                                        ; implicit-def: $sgpr8_sgpr9
                                        ; implicit-def: $vgpr2_vgpr3
	s_and_saveexec_b64 s[6:7], vcc
	s_cbranch_execz .LBB1573_130
; %bb.89:
	s_movk_i32 s8, 0xa0
	v_mad_u32_u24 v1, v0, s8, v83
	ds_read_b64 v[2:3], v1
	v_cmp_ne_u32_e32 vcc, v82, v24
	v_mov_b32_e32 v5, s69
	v_add_u32_e32 v4, 1, v81
	v_mov_b64_e32 v[40:41], 0
	s_waitcnt lgkmcnt(0)
	v_cndmask_b32_e32 v43, v3, v5, vcc
	v_mov_b32_e32 v3, s68
	v_cndmask_b32_e64 v1, 0, 1, vcc
	v_cndmask_b32_e32 v42, v2, v3, vcc
	v_cmp_gt_u32_e32 vcc, s55, v4
	s_mov_b64 s[12:13], 0
	v_mov_b32_e32 v106, 0
	v_mov_b32_e32 v122, 0
	v_mov_b64_e32 v[78:79], v[40:41]
	v_mov_b32_e32 v121, 0
	v_mov_b64_e32 v[76:77], v[40:41]
	;; [unrolled: 2-line block ×18, first 2 shown]
                                        ; implicit-def: $sgpr14_sgpr15
                                        ; implicit-def: $vgpr2_vgpr3
	s_and_saveexec_b64 s[8:9], vcc
	s_cbranch_execz .LBB1573_129
; %bb.90:
	v_mul_u32_u24_e32 v2, 0xa0, v0
	v_add_u32_e32 v26, v83, v2
	ds_read2_b64 v[2:5], v26 offset0:1 offset1:2
	v_cmp_ne_u32_e32 vcc, v24, v25
	v_mov_b32_e32 v24, s69
	v_add_u32_e32 v27, 2, v81
	v_mov_b64_e32 v[40:41], 0
	s_waitcnt lgkmcnt(0)
	v_cndmask_b32_e32 v45, v3, v24, vcc
	v_mov_b32_e32 v3, s68
	v_cndmask_b32_e64 v104, 0, 1, vcc
	v_cndmask_b32_e32 v44, v2, v3, vcc
	v_cmp_gt_u32_e32 vcc, s55, v27
	s_mov_b64 s[14:15], 0
	v_mov_b32_e32 v106, 0
	v_mov_b32_e32 v122, 0
	v_mov_b64_e32 v[78:79], v[40:41]
	v_mov_b32_e32 v121, 0
	v_mov_b64_e32 v[76:77], v[40:41]
	;; [unrolled: 2-line block ×17, first 2 shown]
                                        ; implicit-def: $sgpr16_sgpr17
                                        ; implicit-def: $vgpr2_vgpr3
	s_and_saveexec_b64 s[10:11], vcc
	s_cbranch_execz .LBB1573_128
; %bb.91:
	v_cmp_ne_u32_e32 vcc, v25, v22
	v_mov_b32_e32 v3, s69
	v_add_u32_e32 v2, 3, v81
	v_cndmask_b32_e32 v47, v5, v3, vcc
	v_mov_b32_e32 v3, s68
	v_mov_b64_e32 v[40:41], 0
	v_cndmask_b32_e64 v105, 0, 1, vcc
	v_cndmask_b32_e32 v46, v4, v3, vcc
	v_cmp_gt_u32_e32 vcc, s55, v2
	s_mov_b64 s[16:17], 0
	v_mov_b32_e32 v106, 0
	v_mov_b32_e32 v122, 0
	v_mov_b64_e32 v[78:79], v[40:41]
	v_mov_b32_e32 v121, 0
	v_mov_b64_e32 v[76:77], v[40:41]
	;; [unrolled: 2-line block ×16, first 2 shown]
                                        ; implicit-def: $sgpr18_sgpr19
                                        ; implicit-def: $vgpr2_vgpr3
	s_and_saveexec_b64 s[12:13], vcc
	s_cbranch_execz .LBB1573_127
; %bb.92:
	ds_read2_b64 v[2:5], v26 offset0:3 offset1:4
	v_cmp_ne_u32_e32 vcc, v22, v23
	v_mov_b32_e32 v22, s69
	v_add_u32_e32 v24, 4, v81
	v_mov_b64_e32 v[40:41], 0
	s_waitcnt lgkmcnt(0)
	v_cndmask_b32_e32 v49, v3, v22, vcc
	v_mov_b32_e32 v3, s68
	v_cndmask_b32_e64 v107, 0, 1, vcc
	v_cndmask_b32_e32 v48, v2, v3, vcc
	v_cmp_gt_u32_e32 vcc, s55, v24
	s_mov_b64 s[18:19], 0
	v_mov_b32_e32 v106, 0
	v_mov_b32_e32 v122, 0
	v_mov_b64_e32 v[78:79], v[40:41]
	v_mov_b32_e32 v121, 0
	v_mov_b64_e32 v[76:77], v[40:41]
	;; [unrolled: 2-line block ×15, first 2 shown]
                                        ; implicit-def: $sgpr20_sgpr21
                                        ; implicit-def: $vgpr2_vgpr3
	s_and_saveexec_b64 s[14:15], vcc
	s_cbranch_execz .LBB1573_126
; %bb.93:
	v_cmp_ne_u32_e32 vcc, v23, v20
	v_mov_b32_e32 v3, s69
	v_add_u32_e32 v2, 5, v81
	v_cndmask_b32_e32 v51, v5, v3, vcc
	v_mov_b32_e32 v3, s68
	v_mov_b64_e32 v[40:41], 0
	v_cndmask_b32_e64 v108, 0, 1, vcc
	v_cndmask_b32_e32 v50, v4, v3, vcc
	v_cmp_gt_u32_e32 vcc, s55, v2
	s_mov_b64 s[20:21], 0
	v_mov_b32_e32 v106, 0
	v_mov_b32_e32 v122, 0
	v_mov_b64_e32 v[78:79], v[40:41]
	v_mov_b32_e32 v121, 0
	v_mov_b64_e32 v[76:77], v[40:41]
	;; [unrolled: 2-line block ×14, first 2 shown]
                                        ; implicit-def: $sgpr22_sgpr23
                                        ; implicit-def: $vgpr2_vgpr3
	s_and_saveexec_b64 s[16:17], vcc
	s_cbranch_execz .LBB1573_125
; %bb.94:
	ds_read2_b64 v[2:5], v26 offset0:5 offset1:6
	v_cmp_ne_u32_e32 vcc, v20, v21
	v_mov_b32_e32 v20, s69
	v_add_u32_e32 v22, 6, v81
	v_mov_b64_e32 v[40:41], 0
	s_waitcnt lgkmcnt(0)
	v_cndmask_b32_e32 v53, v3, v20, vcc
	v_mov_b32_e32 v3, s68
	v_cndmask_b32_e64 v109, 0, 1, vcc
	v_cndmask_b32_e32 v52, v2, v3, vcc
	v_cmp_gt_u32_e32 vcc, s55, v22
	s_mov_b64 s[22:23], 0
	v_mov_b32_e32 v106, 0
	v_mov_b32_e32 v122, 0
	v_mov_b64_e32 v[78:79], v[40:41]
	v_mov_b32_e32 v121, 0
	v_mov_b64_e32 v[76:77], v[40:41]
	;; [unrolled: 2-line block ×13, first 2 shown]
                                        ; implicit-def: $sgpr24_sgpr25
                                        ; implicit-def: $vgpr2_vgpr3
	s_and_saveexec_b64 s[18:19], vcc
	s_cbranch_execz .LBB1573_124
; %bb.95:
	v_cmp_ne_u32_e32 vcc, v21, v18
	v_mov_b32_e32 v3, s69
	v_add_u32_e32 v2, 7, v81
	v_cndmask_b32_e32 v55, v5, v3, vcc
	v_mov_b32_e32 v3, s68
	v_mov_b64_e32 v[40:41], 0
	v_cndmask_b32_e64 v110, 0, 1, vcc
	v_cndmask_b32_e32 v54, v4, v3, vcc
	v_cmp_gt_u32_e32 vcc, s55, v2
	s_mov_b64 s[24:25], 0
	v_mov_b32_e32 v106, 0
	v_mov_b32_e32 v122, 0
	v_mov_b64_e32 v[78:79], v[40:41]
	v_mov_b32_e32 v121, 0
	v_mov_b64_e32 v[76:77], v[40:41]
	;; [unrolled: 2-line block ×12, first 2 shown]
                                        ; implicit-def: $sgpr26_sgpr27
                                        ; implicit-def: $vgpr2_vgpr3
	s_and_saveexec_b64 s[20:21], vcc
	s_cbranch_execz .LBB1573_123
; %bb.96:
	ds_read2_b64 v[2:5], v26 offset0:7 offset1:8
	v_cmp_ne_u32_e32 vcc, v18, v19
	v_mov_b32_e32 v18, s69
	v_add_u32_e32 v20, 8, v81
	v_mov_b64_e32 v[40:41], 0
	s_waitcnt lgkmcnt(0)
	v_cndmask_b32_e32 v57, v3, v18, vcc
	v_mov_b32_e32 v3, s68
	v_cndmask_b32_e64 v111, 0, 1, vcc
	v_cndmask_b32_e32 v56, v2, v3, vcc
	v_cmp_gt_u32_e32 vcc, s55, v20
	s_mov_b64 s[26:27], 0
	v_mov_b32_e32 v106, 0
	v_mov_b32_e32 v122, 0
	v_mov_b64_e32 v[78:79], v[40:41]
	v_mov_b32_e32 v121, 0
	v_mov_b64_e32 v[76:77], v[40:41]
	;; [unrolled: 2-line block ×11, first 2 shown]
                                        ; implicit-def: $sgpr28_sgpr29
                                        ; implicit-def: $vgpr2_vgpr3
	s_and_saveexec_b64 s[22:23], vcc
	s_cbranch_execz .LBB1573_122
; %bb.97:
	v_cmp_ne_u32_e32 vcc, v19, v16
	v_mov_b32_e32 v3, s69
	v_add_u32_e32 v2, 9, v81
	v_cndmask_b32_e32 v59, v5, v3, vcc
	v_mov_b32_e32 v3, s68
	v_mov_b64_e32 v[40:41], 0
	v_cndmask_b32_e64 v112, 0, 1, vcc
	v_cndmask_b32_e32 v58, v4, v3, vcc
	v_cmp_gt_u32_e32 vcc, s55, v2
	s_mov_b64 s[28:29], 0
	v_mov_b32_e32 v106, 0
	v_mov_b32_e32 v122, 0
	v_mov_b64_e32 v[78:79], v[40:41]
	v_mov_b32_e32 v121, 0
	v_mov_b64_e32 v[76:77], v[40:41]
	;; [unrolled: 2-line block ×10, first 2 shown]
                                        ; implicit-def: $sgpr30_sgpr31
                                        ; implicit-def: $vgpr2_vgpr3
	s_and_saveexec_b64 s[24:25], vcc
	s_cbranch_execz .LBB1573_121
; %bb.98:
	ds_read2_b64 v[2:5], v26 offset0:9 offset1:10
	v_cmp_ne_u32_e32 vcc, v16, v17
	v_mov_b32_e32 v16, s69
	v_add_u32_e32 v18, 10, v81
	v_mov_b64_e32 v[40:41], 0
	s_waitcnt lgkmcnt(0)
	v_cndmask_b32_e32 v61, v3, v16, vcc
	v_mov_b32_e32 v3, s68
	v_cndmask_b32_e64 v113, 0, 1, vcc
	v_cndmask_b32_e32 v60, v2, v3, vcc
	v_cmp_gt_u32_e32 vcc, s55, v18
	s_mov_b64 s[30:31], 0
	v_mov_b32_e32 v106, 0
	v_mov_b32_e32 v122, 0
	v_mov_b64_e32 v[78:79], v[40:41]
	v_mov_b32_e32 v121, 0
	v_mov_b64_e32 v[76:77], v[40:41]
	;; [unrolled: 2-line block ×9, first 2 shown]
                                        ; implicit-def: $sgpr34_sgpr35
                                        ; implicit-def: $vgpr2_vgpr3
	s_and_saveexec_b64 s[26:27], vcc
	s_cbranch_execz .LBB1573_120
; %bb.99:
	v_cmp_ne_u32_e32 vcc, v17, v14
	v_mov_b32_e32 v3, s69
	v_add_u32_e32 v2, 11, v81
	v_cndmask_b32_e32 v63, v5, v3, vcc
	v_mov_b32_e32 v3, s68
	v_mov_b64_e32 v[40:41], 0
	v_cndmask_b32_e64 v114, 0, 1, vcc
	v_cndmask_b32_e32 v62, v4, v3, vcc
	v_cmp_gt_u32_e32 vcc, s55, v2
	s_mov_b64 s[34:35], 0
	v_mov_b32_e32 v106, 0
	v_mov_b32_e32 v122, 0
	v_mov_b64_e32 v[78:79], v[40:41]
	v_mov_b32_e32 v121, 0
	v_mov_b64_e32 v[76:77], v[40:41]
	;; [unrolled: 2-line block ×8, first 2 shown]
                                        ; implicit-def: $sgpr36_sgpr37
                                        ; implicit-def: $vgpr2_vgpr3
	s_and_saveexec_b64 s[28:29], vcc
	s_cbranch_execz .LBB1573_119
; %bb.100:
	ds_read2_b64 v[2:5], v26 offset0:11 offset1:12
	v_cmp_ne_u32_e32 vcc, v14, v15
	v_mov_b32_e32 v14, s69
	v_add_u32_e32 v16, 12, v81
	v_mov_b64_e32 v[40:41], 0
	s_waitcnt lgkmcnt(0)
	v_cndmask_b32_e32 v65, v3, v14, vcc
	v_mov_b32_e32 v3, s68
	v_cndmask_b32_e64 v115, 0, 1, vcc
	v_cndmask_b32_e32 v64, v2, v3, vcc
	v_cmp_gt_u32_e32 vcc, s55, v16
	s_mov_b64 s[36:37], 0
	v_mov_b32_e32 v106, 0
	v_mov_b32_e32 v122, 0
	v_mov_b64_e32 v[78:79], v[40:41]
	v_mov_b32_e32 v121, 0
	v_mov_b64_e32 v[76:77], v[40:41]
	;; [unrolled: 2-line block ×7, first 2 shown]
                                        ; implicit-def: $sgpr38_sgpr39
                                        ; implicit-def: $vgpr2_vgpr3
	s_and_saveexec_b64 s[30:31], vcc
	s_cbranch_execz .LBB1573_118
; %bb.101:
	v_cmp_ne_u32_e32 vcc, v15, v12
	v_mov_b32_e32 v3, s69
	v_add_u32_e32 v2, 13, v81
	v_cndmask_b32_e32 v67, v5, v3, vcc
	v_mov_b32_e32 v3, s68
	v_mov_b64_e32 v[40:41], 0
	v_cndmask_b32_e64 v116, 0, 1, vcc
	v_cndmask_b32_e32 v66, v4, v3, vcc
	v_cmp_gt_u32_e32 vcc, s55, v2
	s_mov_b64 s[38:39], 0
	v_mov_b32_e32 v106, 0
	v_mov_b32_e32 v122, 0
	v_mov_b64_e32 v[78:79], v[40:41]
	v_mov_b32_e32 v121, 0
	v_mov_b64_e32 v[76:77], v[40:41]
	;; [unrolled: 2-line block ×6, first 2 shown]
                                        ; implicit-def: $sgpr40_sgpr41
                                        ; implicit-def: $vgpr2_vgpr3
	s_and_saveexec_b64 s[34:35], vcc
	s_cbranch_execz .LBB1573_117
; %bb.102:
	ds_read2_b64 v[2:5], v26 offset0:13 offset1:14
	v_cmp_ne_u32_e32 vcc, v12, v13
	v_mov_b32_e32 v12, s69
	v_add_u32_e32 v14, 14, v81
	v_mov_b64_e32 v[40:41], 0
	s_waitcnt lgkmcnt(0)
	v_cndmask_b32_e32 v69, v3, v12, vcc
	v_mov_b32_e32 v3, s68
	v_cndmask_b32_e64 v117, 0, 1, vcc
	v_cndmask_b32_e32 v68, v2, v3, vcc
	v_cmp_gt_u32_e32 vcc, s55, v14
	s_mov_b64 s[40:41], 0
	v_mov_b32_e32 v106, 0
	v_mov_b32_e32 v122, 0
	v_mov_b64_e32 v[78:79], v[40:41]
	v_mov_b32_e32 v121, 0
	v_mov_b64_e32 v[76:77], v[40:41]
	;; [unrolled: 2-line block ×5, first 2 shown]
                                        ; implicit-def: $sgpr42_sgpr43
                                        ; implicit-def: $vgpr2_vgpr3
	s_and_saveexec_b64 s[36:37], vcc
	s_cbranch_execz .LBB1573_116
; %bb.103:
	v_cmp_ne_u32_e32 vcc, v13, v10
	v_mov_b32_e32 v3, s69
	v_add_u32_e32 v2, 15, v81
	v_cndmask_b32_e32 v71, v5, v3, vcc
	v_mov_b32_e32 v3, s68
	v_mov_b64_e32 v[40:41], 0
	v_cndmask_b32_e64 v118, 0, 1, vcc
	v_cndmask_b32_e32 v70, v4, v3, vcc
	v_cmp_gt_u32_e32 vcc, s55, v2
	s_mov_b64 s[42:43], 0
	v_mov_b32_e32 v106, 0
	v_mov_b32_e32 v122, 0
	v_mov_b64_e32 v[78:79], v[40:41]
	v_mov_b32_e32 v121, 0
	v_mov_b64_e32 v[76:77], v[40:41]
	;; [unrolled: 2-line block ×4, first 2 shown]
                                        ; implicit-def: $sgpr44_sgpr45
                                        ; implicit-def: $vgpr2_vgpr3
	s_and_saveexec_b64 s[38:39], vcc
	s_cbranch_execz .LBB1573_115
; %bb.104:
	ds_read2_b64 v[2:5], v26 offset0:15 offset1:16
	v_cmp_ne_u32_e32 vcc, v10, v11
	v_mov_b32_e32 v10, s69
	v_add_u32_e32 v12, 16, v81
	v_mov_b64_e32 v[40:41], 0
	s_waitcnt lgkmcnt(0)
	v_cndmask_b32_e32 v73, v3, v10, vcc
	v_mov_b32_e32 v3, s68
	v_cndmask_b32_e64 v119, 0, 1, vcc
	v_cndmask_b32_e32 v72, v2, v3, vcc
	v_cmp_gt_u32_e32 vcc, s55, v12
	s_mov_b64 s[44:45], 0
	v_mov_b32_e32 v106, 0
	v_mov_b32_e32 v122, 0
	v_mov_b64_e32 v[78:79], v[40:41]
	v_mov_b32_e32 v121, 0
	v_mov_b64_e32 v[76:77], v[40:41]
	;; [unrolled: 2-line block ×3, first 2 shown]
                                        ; implicit-def: $sgpr46_sgpr47
                                        ; implicit-def: $vgpr2_vgpr3
	s_and_saveexec_b64 s[40:41], vcc
	s_cbranch_execz .LBB1573_114
; %bb.105:
	v_cmp_ne_u32_e32 vcc, v11, v8
	v_mov_b32_e32 v3, s69
	v_add_u32_e32 v2, 17, v81
	v_cndmask_b32_e32 v75, v5, v3, vcc
	v_mov_b32_e32 v3, s68
	v_mov_b64_e32 v[40:41], 0
	v_cndmask_b32_e64 v120, 0, 1, vcc
	v_cndmask_b32_e32 v74, v4, v3, vcc
	v_cmp_gt_u32_e32 vcc, s55, v2
	s_mov_b64 s[46:47], 0
	v_mov_b32_e32 v106, 0
	v_mov_b32_e32 v122, 0
	v_mov_b64_e32 v[78:79], v[40:41]
	v_mov_b32_e32 v121, 0
	v_mov_b64_e32 v[76:77], v[40:41]
                                        ; implicit-def: $sgpr64_sgpr65
                                        ; implicit-def: $vgpr2_vgpr3
	s_and_saveexec_b64 s[42:43], vcc
	s_cbranch_execz .LBB1573_113
; %bb.106:
	ds_read2_b64 v[2:5], v26 offset0:17 offset1:18
	v_cmp_ne_u32_e32 vcc, v8, v9
	v_mov_b32_e32 v8, s69
	v_add_u32_e32 v10, 18, v81
	v_mov_b64_e32 v[40:41], 0
	s_waitcnt lgkmcnt(0)
	v_cndmask_b32_e32 v77, v3, v8, vcc
	v_mov_b32_e32 v3, s68
	v_cndmask_b32_e64 v121, 0, 1, vcc
	v_cndmask_b32_e32 v76, v2, v3, vcc
	v_cmp_gt_u32_e32 vcc, s55, v10
	s_mov_b64 s[64:65], 0
	v_mov_b32_e32 v106, 0
	v_mov_b32_e32 v122, 0
	v_mov_b64_e32 v[78:79], v[40:41]
                                        ; implicit-def: $sgpr74_sgpr75
                                        ; implicit-def: $vgpr2_vgpr3
	s_and_saveexec_b64 s[44:45], vcc
	s_cbranch_execz .LBB1573_112
; %bb.107:
	v_cmp_ne_u32_e32 vcc, v9, v6
	v_mov_b32_e32 v3, s69
	v_add_u32_e32 v2, 19, v81
	v_cndmask_b32_e32 v79, v5, v3, vcc
	v_mov_b32_e32 v3, s68
	v_cndmask_b32_e64 v122, 0, 1, vcc
	v_cndmask_b32_e32 v78, v4, v3, vcc
	v_cmp_gt_u32_e32 vcc, s55, v2
	v_mov_b32_e32 v106, 0
	v_mov_b64_e32 v[40:41], 0
                                        ; implicit-def: $sgpr74_sgpr75
                                        ; implicit-def: $vgpr2_vgpr3
	s_and_saveexec_b64 s[46:47], vcc
	s_cbranch_execz .LBB1573_111
; %bb.108:
	ds_read2_b64 v[2:5], v26 offset0:19 offset1:20
	v_cmp_ne_u32_e32 vcc, v6, v7
	v_mov_b32_e32 v6, s69
	v_add_u32_e32 v8, 20, v81
	v_cndmask_b32_e64 v106, 0, 1, vcc
	s_waitcnt lgkmcnt(0)
	v_cndmask_b32_e32 v41, v3, v6, vcc
	v_mov_b32_e32 v3, s68
	v_cndmask_b32_e32 v40, v2, v3, vcc
	v_cmp_gt_u32_e32 vcc, s55, v8
                                        ; implicit-def: $sgpr74_sgpr75
                                        ; implicit-def: $vgpr2_vgpr3
	s_and_saveexec_b64 s[76:77], vcc
	s_xor_b64 s[76:77], exec, s[76:77]
; %bb.109:
	v_mov_b32_e32 v2, s69
	v_cmp_ne_u32_e32 vcc, v7, v80
	s_mov_b64 s[64:65], exec
	s_and_b64 s[74:75], vcc, exec
	v_cndmask_b32_e32 v3, v5, v2, vcc
	v_mov_b32_e32 v2, s68
	v_cndmask_b32_e32 v2, v4, v2, vcc
; %bb.110:
	s_or_b64 exec, exec, s[76:77]
	s_and_b64 s[74:75], s[74:75], exec
	s_and_b64 s[64:65], s[64:65], exec
.LBB1573_111:
	s_or_b64 exec, exec, s[46:47]
	s_and_b64 s[74:75], s[74:75], exec
	s_and_b64 s[46:47], s[64:65], exec
.LBB1573_112:
	s_or_b64 exec, exec, s[44:45]
	s_and_b64 s[64:65], s[74:75], exec
	s_and_b64 s[44:45], s[46:47], exec
.LBB1573_113:
	s_or_b64 exec, exec, s[42:43]
	s_and_b64 s[46:47], s[64:65], exec
	s_and_b64 s[42:43], s[44:45], exec
.LBB1573_114:
	s_or_b64 exec, exec, s[40:41]
	s_and_b64 s[44:45], s[46:47], exec
	s_and_b64 s[40:41], s[42:43], exec
.LBB1573_115:
	s_or_b64 exec, exec, s[38:39]
	s_and_b64 s[42:43], s[44:45], exec
	s_and_b64 s[38:39], s[40:41], exec
.LBB1573_116:
	s_or_b64 exec, exec, s[36:37]
	s_and_b64 s[40:41], s[42:43], exec
	s_and_b64 s[36:37], s[38:39], exec
.LBB1573_117:
	s_or_b64 exec, exec, s[34:35]
	s_and_b64 s[38:39], s[40:41], exec
	s_and_b64 s[34:35], s[36:37], exec
.LBB1573_118:
	s_or_b64 exec, exec, s[30:31]
	s_and_b64 s[36:37], s[38:39], exec
	s_and_b64 s[30:31], s[34:35], exec
.LBB1573_119:
	s_or_b64 exec, exec, s[28:29]
	s_and_b64 s[34:35], s[36:37], exec
	s_and_b64 s[28:29], s[30:31], exec
.LBB1573_120:
	s_or_b64 exec, exec, s[26:27]
	s_and_b64 s[30:31], s[34:35], exec
	s_and_b64 s[26:27], s[28:29], exec
.LBB1573_121:
	s_or_b64 exec, exec, s[24:25]
	s_and_b64 s[28:29], s[30:31], exec
	s_and_b64 s[24:25], s[26:27], exec
.LBB1573_122:
	s_or_b64 exec, exec, s[22:23]
	s_and_b64 s[26:27], s[28:29], exec
	s_and_b64 s[22:23], s[24:25], exec
.LBB1573_123:
	s_or_b64 exec, exec, s[20:21]
	s_and_b64 s[24:25], s[26:27], exec
	s_and_b64 s[20:21], s[22:23], exec
.LBB1573_124:
	s_or_b64 exec, exec, s[18:19]
	s_and_b64 s[22:23], s[24:25], exec
	s_and_b64 s[18:19], s[20:21], exec
.LBB1573_125:
	s_or_b64 exec, exec, s[16:17]
	s_and_b64 s[20:21], s[22:23], exec
	s_and_b64 s[16:17], s[18:19], exec
.LBB1573_126:
	s_or_b64 exec, exec, s[14:15]
	s_and_b64 s[18:19], s[20:21], exec
	s_and_b64 s[14:15], s[16:17], exec
.LBB1573_127:
	s_or_b64 exec, exec, s[12:13]
	s_and_b64 s[16:17], s[18:19], exec
	s_and_b64 s[12:13], s[14:15], exec
.LBB1573_128:
	s_or_b64 exec, exec, s[10:11]
	s_and_b64 s[14:15], s[16:17], exec
	s_and_b64 s[10:11], s[12:13], exec
.LBB1573_129:
	s_or_b64 exec, exec, s[8:9]
	s_and_b64 s[8:9], s[14:15], exec
	s_and_b64 s[10:11], s[10:11], exec
.LBB1573_130:
	s_or_b64 exec, exec, s[6:7]
	s_mov_b64 s[6:7], 0
	s_and_b64 vcc, exec, s[4:5]
	s_cbranch_vccz .LBB1573_136
.LBB1573_131:
	v_mov_b32_e32 v3, 0
	v_lshlrev_b32_e32 v2, 2, v0
	v_lshl_add_u64 v[4:5], s[72:73], 0, v[2:3]
	v_add_co_u32_e32 v6, vcc, 0x1000, v4
	s_movk_i32 s4, 0x50
	s_nop 0
	v_addc_co_u32_e32 v7, vcc, 0, v5, vcc
	flat_load_dword v1, v[4:5]
	flat_load_dword v10, v[4:5] offset:1024
	flat_load_dword v11, v[4:5] offset:2048
	;; [unrolled: 1-line block ×3, first 2 shown]
	flat_load_dword v13, v[6:7]
	flat_load_dword v14, v[6:7] offset:1024
	flat_load_dword v15, v[6:7] offset:2048
	;; [unrolled: 1-line block ×3, first 2 shown]
	v_add_co_u32_e32 v6, vcc, 0x2000, v4
	s_movk_i32 s9, 0x1000
	s_nop 0
	v_addc_co_u32_e32 v7, vcc, 0, v5, vcc
	v_add_co_u32_e32 v8, vcc, 0x3000, v4
	s_movk_i32 s8, 0x2000
	s_nop 0
	v_addc_co_u32_e32 v9, vcc, 0, v5, vcc
	flat_load_dword v17, v[6:7]
	flat_load_dword v18, v[6:7] offset:1024
	flat_load_dword v19, v[6:7] offset:2048
	;; [unrolled: 1-line block ×3, first 2 shown]
	flat_load_dword v21, v[8:9]
	flat_load_dword v22, v[8:9] offset:1024
	flat_load_dword v23, v[8:9] offset:2048
	;; [unrolled: 1-line block ×3, first 2 shown]
	v_add_co_u32_e32 v6, vcc, 0x4000, v4
	s_movk_i32 s7, 0x3000
	s_nop 0
	v_addc_co_u32_e32 v7, vcc, 0, v5, vcc
	v_add_co_u32_e32 v4, vcc, 0x5000, v4
	s_movk_i32 s6, 0x4000
	s_nop 0
	v_addc_co_u32_e32 v5, vcc, 0, v5, vcc
	flat_load_dword v8, v[6:7]
	flat_load_dword v9, v[6:7] offset:1024
	flat_load_dword v25, v[6:7] offset:2048
	;; [unrolled: 1-line block ×3, first 2 shown]
	flat_load_dword v27, v[4:5]
	v_mov_b32_e32 v4, s72
	v_mov_b32_e32 v5, s73
	v_add_co_u32_e32 v4, vcc, 0x5000, v4
	s_movk_i32 s3, 0x5000
	s_nop 0
	v_addc_co_u32_e32 v5, vcc, 0, v5, vcc
	s_waitcnt vmcnt(0) lgkmcnt(0)
	ds_write2st64_b32 v2, v1, v10 offset1:4
	ds_write2st64_b32 v2, v11, v12 offset0:8 offset1:12
	ds_write2st64_b32 v2, v13, v14 offset0:16 offset1:20
	;; [unrolled: 1-line block ×9, first 2 shown]
	ds_write_b32 v2, v27 offset:20480
	s_waitcnt lgkmcnt(0)
	s_barrier
	flat_load_dword v82, v[4:5] offset:1024
	v_mad_u32_u24 v4, v0, s4, v2
	s_movk_i32 s4, 0xffb0
	ds_read_b32 v1, v4
	ds_read2_b32 v[60:61], v4 offset0:1 offset1:2
	ds_read2_b32 v[58:59], v4 offset0:3 offset1:4
	;; [unrolled: 1-line block ×10, first 2 shown]
	v_mad_i32_i24 v4, v0, s4, v4
	s_movk_i32 s4, 0xff
	v_cmp_ne_u32_e32 vcc, s4, v0
	s_waitcnt lgkmcnt(0)
	ds_write_b32 v4, v1 offset:22528
	s_waitcnt lgkmcnt(0)
	s_barrier
	s_and_saveexec_b64 s[4:5], vcc
	s_cbranch_execz .LBB1573_133
; %bb.132:
	s_waitcnt vmcnt(0)
	ds_read_b32 v82, v2 offset:22532
.LBB1573_133:
	s_or_b64 exec, exec, s[4:5]
	v_lshlrev_b32_e32 v2, 3, v0
	v_lshl_add_u64 v[2:3], s[60:61], 0, v[2:3]
	v_add_co_u32_e32 v6, vcc, s9, v2
	s_waitcnt lgkmcnt(0)
	s_nop 0
	v_addc_co_u32_e32 v7, vcc, 0, v3, vcc
	s_barrier
	flat_load_dwordx2 v[8:9], v[2:3]
	flat_load_dwordx2 v[10:11], v[2:3] offset:2048
	flat_load_dwordx2 v[12:13], v[6:7]
	flat_load_dwordx2 v[14:15], v[6:7] offset:2048
	v_add_co_u32_e32 v6, vcc, s8, v2
	v_lshl_add_u32 v62, v0, 2, v4
	s_nop 0
	v_addc_co_u32_e32 v7, vcc, 0, v3, vcc
	v_add_co_u32_e32 v16, vcc, s7, v2
	v_cmp_eq_u32_e64 s[4:5], v1, v60
	s_nop 0
	v_addc_co_u32_e32 v17, vcc, 0, v3, vcc
	flat_load_dwordx2 v[18:19], v[6:7]
	flat_load_dwordx2 v[20:21], v[6:7] offset:2048
	flat_load_dwordx2 v[22:23], v[16:17]
	flat_load_dwordx2 v[24:25], v[16:17] offset:2048
	v_add_co_u32_e32 v6, vcc, s6, v2
	s_nop 1
	v_addc_co_u32_e32 v7, vcc, 0, v3, vcc
	v_add_co_u32_e32 v16, vcc, s3, v2
	s_movk_i32 s3, 0x6000
	s_nop 0
	v_addc_co_u32_e32 v17, vcc, 0, v3, vcc
	flat_load_dwordx2 v[26:27], v[6:7]
	flat_load_dwordx2 v[28:29], v[6:7] offset:2048
	flat_load_dwordx2 v[30:31], v[16:17]
	flat_load_dwordx2 v[32:33], v[16:17] offset:2048
	v_add_co_u32_e32 v6, vcc, s3, v2
	s_movk_i32 s3, 0x7000
	s_nop 0
	v_addc_co_u32_e32 v7, vcc, 0, v3, vcc
	v_add_co_u32_e32 v16, vcc, s3, v2
	s_mov_b32 s3, 0x8000
	s_nop 0
	v_addc_co_u32_e32 v17, vcc, 0, v3, vcc
	flat_load_dwordx2 v[34:35], v[6:7]
	flat_load_dwordx2 v[36:37], v[6:7] offset:2048
	flat_load_dwordx2 v[38:39], v[16:17]
	flat_load_dwordx2 v[40:41], v[16:17] offset:2048
	v_add_co_u32_e32 v6, vcc, s3, v2
	s_mov_b32 s3, 0x9000
	s_nop 0
	v_addc_co_u32_e32 v7, vcc, 0, v3, vcc
	v_add_co_u32_e32 v16, vcc, s3, v2
	s_mov_b32 s3, 0xa000
	s_nop 0
	v_addc_co_u32_e32 v17, vcc, 0, v3, vcc
	flat_load_dwordx2 v[42:43], v[6:7]
	flat_load_dwordx2 v[64:65], v[6:7] offset:2048
	flat_load_dwordx2 v[66:67], v[16:17]
	flat_load_dwordx2 v[68:69], v[16:17] offset:2048
	v_add_co_u32_e32 v2, vcc, s3, v2
	s_movk_i32 s3, 0xa0
	s_nop 0
	v_addc_co_u32_e32 v3, vcc, 0, v3, vcc
	flat_load_dwordx2 v[2:3], v[2:3]
	v_cmp_ne_u32_e32 vcc, v1, v60
	s_waitcnt vmcnt(0) lgkmcnt(0)
	ds_write2st64_b64 v62, v[8:9], v[10:11] offset1:4
	ds_write2st64_b64 v62, v[12:13], v[14:15] offset0:8 offset1:12
	ds_write2st64_b64 v62, v[18:19], v[20:21] offset0:16 offset1:20
	;; [unrolled: 1-line block ×9, first 2 shown]
	ds_write_b64 v62, v[2:3] offset:40960
	v_mad_u32_u24 v2, v0, s3, v62
	s_waitcnt lgkmcnt(0)
	s_barrier
	ds_read2_b64 v[38:41], v2 offset0:1 offset1:2
	ds_read2_b64 v[34:37], v2 offset0:3 offset1:4
	;; [unrolled: 1-line block ×10, first 2 shown]
	v_mov_b64_e32 v[42:43], s[68:69]
	s_and_saveexec_b64 s[6:7], s[4:5]
	s_cbranch_execz .LBB1573_135
; %bb.134:
	v_mul_u32_u24_e32 v1, 0xa0, v0
	v_add_u32_e32 v1, v62, v1
	ds_read_b64 v[42:43], v1
.LBB1573_135:
	s_or_b64 exec, exec, s[6:7]
	v_cndmask_b32_e64 v1, 0, 1, vcc
	v_cmp_ne_u32_e32 vcc, v60, v61
	v_cmp_ne_u32_e64 s[38:39], v45, v80
	v_cmp_ne_u32_e64 s[40:41], v80, v81
	v_mov_b32_e32 v80, s69
	v_cmp_ne_u32_e64 s[8:9], v59, v56
	v_cmp_ne_u32_e64 s[36:37], v44, v45
	s_waitcnt lgkmcnt(9)
	v_cndmask_b32_e32 v45, v39, v80, vcc
	v_mov_b32_e32 v39, s68
	v_cmp_ne_u32_e64 s[4:5], v61, v58
	v_cmp_ne_u32_e64 s[6:7], v58, v59
	v_cndmask_b32_e64 v108, 0, 1, s[8:9]
	v_cmp_ne_u32_e64 s[10:11], v56, v57
	v_cmp_ne_u32_e64 s[12:13], v57, v54
	;; [unrolled: 1-line block ×12, first 2 shown]
	s_waitcnt lgkmcnt(8)
	v_cndmask_b32_e64 v51, v37, v80, s[8:9]
	v_cndmask_b32_e64 v50, v36, v39, s[8:9]
	v_cmp_ne_u32_e64 s[8:9], v81, v82
	v_cndmask_b32_e64 v104, 0, 1, vcc
	v_cndmask_b32_e64 v105, 0, 1, s[4:5]
	v_cndmask_b32_e64 v107, 0, 1, s[6:7]
	;; [unrolled: 1-line block ×17, first 2 shown]
	v_cndmask_b32_e32 v44, v38, v39, vcc
	v_cndmask_b32_e64 v47, v41, v80, s[4:5]
	v_cndmask_b32_e64 v46, v40, v39, s[4:5]
	v_cndmask_b32_e64 v49, v35, v80, s[6:7]
	v_cndmask_b32_e64 v48, v34, v39, s[6:7]
	s_waitcnt lgkmcnt(7)
	v_cndmask_b32_e64 v53, v31, v80, s[10:11]
	v_cndmask_b32_e64 v52, v30, v39, s[10:11]
	v_cndmask_b32_e64 v55, v33, v80, s[12:13]
	v_cndmask_b32_e64 v54, v32, v39, s[12:13]
	s_waitcnt lgkmcnt(6)
	v_cndmask_b32_e64 v57, v27, v80, s[14:15]
	v_cndmask_b32_e64 v56, v26, v39, s[14:15]
	v_cndmask_b32_e64 v59, v29, v80, s[16:17]
	v_cndmask_b32_e64 v58, v28, v39, s[16:17]
	s_waitcnt lgkmcnt(5)
	v_cndmask_b32_e64 v61, v23, v80, s[18:19]
	v_cndmask_b32_e64 v60, v22, v39, s[18:19]
	v_cndmask_b32_e64 v63, v25, v80, s[20:21]
	v_cndmask_b32_e64 v62, v24, v39, s[20:21]
	s_waitcnt lgkmcnt(4)
	v_cndmask_b32_e64 v65, v19, v80, s[22:23]
	v_cndmask_b32_e64 v64, v18, v39, s[22:23]
	v_cndmask_b32_e64 v67, v21, v80, s[24:25]
	v_cndmask_b32_e64 v66, v20, v39, s[24:25]
	s_waitcnt lgkmcnt(3)
	v_cndmask_b32_e64 v69, v15, v80, s[26:27]
	v_cndmask_b32_e64 v68, v14, v39, s[26:27]
	v_cndmask_b32_e64 v71, v17, v80, s[28:29]
	v_cndmask_b32_e64 v70, v16, v39, s[28:29]
	s_waitcnt lgkmcnt(2)
	v_cndmask_b32_e64 v73, v11, v80, s[30:31]
	v_cndmask_b32_e64 v72, v10, v39, s[30:31]
	v_cndmask_b32_e64 v75, v13, v80, s[34:35]
	v_cndmask_b32_e64 v74, v12, v39, s[34:35]
	s_waitcnt lgkmcnt(1)
	v_cndmask_b32_e64 v77, v7, v80, s[36:37]
	v_cndmask_b32_e64 v76, v6, v39, s[36:37]
	v_cndmask_b32_e64 v79, v9, v80, s[38:39]
	v_cndmask_b32_e64 v78, v8, v39, s[38:39]
	s_waitcnt lgkmcnt(0)
	v_cndmask_b32_e64 v41, v3, v80, s[40:41]
	v_cndmask_b32_e64 v40, v2, v39, s[40:41]
	;; [unrolled: 1-line block ×4, first 2 shown]
	s_mov_b64 s[10:11], -1
                                        ; implicit-def: $sgpr3
                                        ; implicit-def: $sgpr6_sgpr7
.LBB1573_136:
	v_mov_b64_e32 v[80:81], s[6:7]
	v_mov_b32_e32 v123, s3
	s_and_saveexec_b64 s[4:5], s[10:11]
; %bb.137:
	v_cndmask_b32_e64 v123, 0, 1, s[8:9]
	v_mov_b64_e32 v[80:81], v[2:3]
; %bb.138:
	s_or_b64 exec, exec, s[4:5]
	v_or_b32_e32 v2, v123, v106
	s_cmp_lg_u32 s2, 0
	v_or_b32_e32 v125, v2, v122
	v_mbcnt_lo_u32_b32 v124, -1, 0
	s_barrier
	s_cbranch_scc0 .LBB1573_205
; %bb.139:
	v_mov_b32_e32 v4, 0
	v_cmp_eq_u16_sdwa s[44:45], v104, v4 src0_sel:BYTE_0 src1_sel:DWORD
	v_cmp_eq_u16_sdwa s[4:5], v105, v4 src0_sel:BYTE_0 src1_sel:DWORD
	v_cmp_eq_u16_sdwa s[6:7], v107, v4 src0_sel:BYTE_0 src1_sel:DWORD
	v_cndmask_b32_e64 v3, 0, v43, s[44:45]
	v_cndmask_b32_e64 v2, 0, v42, s[44:45]
	v_lshl_add_u64 v[2:3], v[2:3], 0, v[44:45]
	v_cndmask_b32_e64 v3, 0, v3, s[4:5]
	v_cndmask_b32_e64 v2, 0, v2, s[4:5]
	v_lshl_add_u64 v[2:3], v[2:3], 0, v[46:47]
	v_cndmask_b32_e64 v3, 0, v3, s[6:7]
	v_cndmask_b32_e64 v2, 0, v2, s[6:7]
	v_lshl_add_u64 v[2:3], v[2:3], 0, v[48:49]
	v_cmp_eq_u16_sdwa s[8:9], v108, v4 src0_sel:BYTE_0 src1_sel:DWORD
	v_cmp_eq_u16_sdwa s[10:11], v109, v4 src0_sel:BYTE_0 src1_sel:DWORD
	v_cmp_eq_u16_sdwa s[12:13], v110, v4 src0_sel:BYTE_0 src1_sel:DWORD
	v_cndmask_b32_e64 v3, 0, v3, s[8:9]
	v_cndmask_b32_e64 v2, 0, v2, s[8:9]
	v_lshl_add_u64 v[2:3], v[2:3], 0, v[50:51]
	v_cndmask_b32_e64 v3, 0, v3, s[10:11]
	v_cndmask_b32_e64 v2, 0, v2, s[10:11]
	v_lshl_add_u64 v[2:3], v[2:3], 0, v[52:53]
	v_cndmask_b32_e64 v3, 0, v3, s[12:13]
	v_cndmask_b32_e64 v2, 0, v2, s[12:13]
	v_lshl_add_u64 v[2:3], v[2:3], 0, v[54:55]
	;; [unrolled: 12-line block ×3, first 2 shown]
	v_cmp_eq_u16_sdwa s[20:21], v114, v4 src0_sel:BYTE_0 src1_sel:DWORD
	v_cmp_eq_u16_sdwa s[22:23], v115, v4 src0_sel:BYTE_0 src1_sel:DWORD
	;; [unrolled: 1-line block ×3, first 2 shown]
	v_cndmask_b32_e64 v3, 0, v3, s[20:21]
	v_cndmask_b32_e64 v2, 0, v2, s[20:21]
	v_lshl_add_u64 v[2:3], v[2:3], 0, v[62:63]
	v_cndmask_b32_e64 v3, 0, v3, s[22:23]
	v_cndmask_b32_e64 v2, 0, v2, s[22:23]
	v_lshl_add_u64 v[2:3], v[2:3], 0, v[64:65]
	v_cmp_eq_u16_sdwa s[26:27], v117, v4 src0_sel:BYTE_0 src1_sel:DWORD
	v_cmp_eq_u16_sdwa s[28:29], v118, v4 src0_sel:BYTE_0 src1_sel:DWORD
	;; [unrolled: 1-line block ×7, first 2 shown]
	v_cmp_eq_u16_sdwa vcc, v123, v4 src0_sel:BYTE_0 src1_sel:DWORD
	v_or_b32_e32 v4, v125, v121
	v_cndmask_b32_e64 v3, 0, v3, s[24:25]
	v_cndmask_b32_e64 v2, 0, v2, s[24:25]
	v_or_b32_e32 v4, v4, v120
	v_lshl_add_u64 v[2:3], v[2:3], 0, v[66:67]
	v_or_b32_e32 v4, v4, v119
	v_cndmask_b32_e64 v3, 0, v3, s[26:27]
	v_cndmask_b32_e64 v2, 0, v2, s[26:27]
	v_or_b32_e32 v4, v4, v118
	v_lshl_add_u64 v[2:3], v[2:3], 0, v[68:69]
	;; [unrolled: 5-line block ×8, first 2 shown]
	v_or_b32_e32 v4, v4, v104
	v_cndmask_b32_e32 v3, 0, v3, vcc
	v_cndmask_b32_e32 v2, 0, v2, vcc
	v_or_b32_e32 v4, v4, v1
	v_mbcnt_hi_u32_b32 v9, -1, v124
	v_lshl_add_u64 v[2:3], v[2:3], 0, v[80:81]
	v_and_b32_e32 v8, 1, v4
	v_and_b32_e32 v5, 15, v9
	v_cmp_eq_u32_e32 vcc, 1, v8
	v_mov_b32_dpp v7, v2 row_shr:1 row_mask:0xf bank_mask:0xf
	v_mov_b32_dpp v10, v3 row_shr:1 row_mask:0xf bank_mask:0xf
	;; [unrolled: 1-line block ×3, first 2 shown]
	v_cmp_ne_u32_e64 s[42:43], 0, v5
	v_mov_b32_e32 v4, v8
	s_and_saveexec_b64 s[46:47], s[42:43]
; %bb.140:
	v_and_b32_e32 v4, 1, v6
	v_cndmask_b32_e64 v11, v10, 0, vcc
	v_cndmask_b32_e64 v10, v7, 0, vcc
	v_or_b32_e32 v8, v4, v8
	v_lshl_add_u64 v[2:3], v[10:11], 0, v[2:3]
	v_and_b32_e32 v4, 0xffff, v8
; %bb.141:
	s_or_b64 exec, exec, s[46:47]
	v_mov_b32_dpp v7, v2 row_shr:2 row_mask:0xf bank_mask:0xf
	v_mov_b32_dpp v10, v3 row_shr:2 row_mask:0xf bank_mask:0xf
	;; [unrolled: 1-line block ×3, first 2 shown]
	v_cmp_lt_u32_e32 vcc, 1, v5
	s_and_saveexec_b64 s[46:47], vcc
; %bb.142:
	v_cmp_eq_u16_e32 vcc, 0, v8
	v_and_b32_e32 v4, 1, v8
	s_nop 0
	v_cndmask_b32_e32 v11, 0, v10, vcc
	v_cndmask_b32_e32 v10, 0, v7, vcc
	v_cmp_eq_u32_e32 vcc, 1, v4
	v_and_b32_e32 v4, 1, v6
	v_cmp_eq_u32_e64 s[42:43], 1, v4
	s_or_b64 s[42:43], vcc, s[42:43]
	v_lshl_add_u64 v[2:3], v[10:11], 0, v[2:3]
	v_cndmask_b32_e64 v8, 0, 1, s[42:43]
	v_cndmask_b32_e64 v4, 0, 1, s[42:43]
; %bb.143:
	s_or_b64 exec, exec, s[46:47]
	v_mov_b32_dpp v7, v2 row_shr:4 row_mask:0xf bank_mask:0xf
	v_mov_b32_dpp v10, v3 row_shr:4 row_mask:0xf bank_mask:0xf
	;; [unrolled: 1-line block ×3, first 2 shown]
	v_cmp_lt_u32_e32 vcc, 3, v5
	s_and_saveexec_b64 s[46:47], vcc
; %bb.144:
	v_cmp_eq_u16_e32 vcc, 0, v8
	v_and_b32_e32 v4, 1, v8
	s_nop 0
	v_cndmask_b32_e32 v11, 0, v10, vcc
	v_cndmask_b32_e32 v10, 0, v7, vcc
	v_cmp_eq_u32_e32 vcc, 1, v4
	v_and_b32_e32 v4, 1, v6
	v_cmp_eq_u32_e64 s[42:43], 1, v4
	s_or_b64 s[42:43], vcc, s[42:43]
	v_lshl_add_u64 v[2:3], v[10:11], 0, v[2:3]
	v_cndmask_b32_e64 v8, 0, 1, s[42:43]
	v_cndmask_b32_e64 v4, 0, 1, s[42:43]
; %bb.145:
	s_or_b64 exec, exec, s[46:47]
	v_mov_b32_dpp v7, v2 row_shr:8 row_mask:0xf bank_mask:0xf
	v_mov_b32_dpp v10, v3 row_shr:8 row_mask:0xf bank_mask:0xf
	;; [unrolled: 1-line block ×3, first 2 shown]
	v_cmp_lt_u32_e32 vcc, 7, v5
	s_and_saveexec_b64 s[46:47], vcc
; %bb.146:
	v_cmp_eq_u16_e32 vcc, 0, v8
	s_nop 1
	v_cndmask_b32_e32 v5, 0, v10, vcc
	v_cndmask_b32_e32 v4, 0, v7, vcc
	v_lshl_add_u64 v[2:3], v[4:5], 0, v[2:3]
	v_and_b32_e32 v4, 1, v8
	v_cmp_eq_u32_e32 vcc, 1, v4
	v_and_b32_e32 v4, 1, v6
	v_cmp_eq_u32_e64 s[42:43], 1, v4
	s_or_b64 s[42:43], vcc, s[42:43]
	s_nop 0
	v_cndmask_b32_e64 v8, 0, 1, s[42:43]
	v_cndmask_b32_e64 v4, 0, 1, s[42:43]
; %bb.147:
	s_or_b64 exec, exec, s[46:47]
	v_and_b32_e32 v10, 16, v9
	v_mov_b32_dpp v6, v2 row_bcast:15 row_mask:0xf bank_mask:0xf
	v_mov_b32_dpp v7, v3 row_bcast:15 row_mask:0xf bank_mask:0xf
	;; [unrolled: 1-line block ×3, first 2 shown]
	v_cmp_ne_u32_e32 vcc, 0, v10
	s_and_saveexec_b64 s[46:47], vcc
; %bb.148:
	v_cmp_eq_u16_e32 vcc, 0, v8
	v_and_b32_e32 v4, 1, v8
	s_nop 0
	v_cndmask_b32_e32 v7, 0, v7, vcc
	v_cndmask_b32_e32 v6, 0, v6, vcc
	v_cmp_eq_u32_e32 vcc, 1, v4
	v_and_b32_e32 v4, 1, v5
	v_cmp_eq_u32_e64 s[42:43], 1, v4
	s_or_b64 s[42:43], vcc, s[42:43]
	v_lshl_add_u64 v[2:3], v[6:7], 0, v[2:3]
	v_cndmask_b32_e64 v8, 0, 1, s[42:43]
	v_cndmask_b32_e64 v4, 0, 1, s[42:43]
; %bb.149:
	s_or_b64 exec, exec, s[46:47]
	v_mov_b32_dpp v5, v2 row_bcast:31 row_mask:0xf bank_mask:0xf
	v_mov_b32_dpp v6, v3 row_bcast:31 row_mask:0xf bank_mask:0xf
	;; [unrolled: 1-line block ×3, first 2 shown]
	v_cmp_lt_u32_e32 vcc, 31, v9
	s_and_saveexec_b64 s[46:47], vcc
; %bb.150:
	v_cmp_eq_u16_e32 vcc, 0, v8
	v_and_b32_e32 v4, 1, v4
	v_cmp_eq_u32_e64 s[42:43], 1, v4
	v_cndmask_b32_e32 v7, 0, v6, vcc
	v_cndmask_b32_e32 v6, 0, v5, vcc
	v_and_b32_e32 v5, 1, v8
	v_cmp_eq_u32_e32 vcc, 1, v5
	s_or_b64 s[42:43], vcc, s[42:43]
	v_lshl_add_u64 v[2:3], v[6:7], 0, v[2:3]
	v_cndmask_b32_e64 v8, 0, 1, s[42:43]
; %bb.151:
	s_or_b64 exec, exec, s[46:47]
	v_or_b32_e32 v4, 63, v0
	v_lshrrev_b32_e32 v10, 6, v0
	v_cmp_eq_u32_e32 vcc, v4, v0
	s_and_saveexec_b64 s[42:43], vcc
	s_cbranch_execz .LBB1573_153
; %bb.152:
	v_lshlrev_b32_e32 v4, 4, v10
	ds_write_b64 v4, v[2:3]
	ds_write_b8 v4, v8 offset:8
.LBB1573_153:
	s_or_b64 exec, exec, s[42:43]
	v_cmp_gt_u32_e32 vcc, 4, v0
	s_waitcnt lgkmcnt(0)
	s_barrier
	s_and_saveexec_b64 s[46:47], vcc
	s_cbranch_execz .LBB1573_159
; %bb.154:
	v_lshlrev_b32_e32 v6, 4, v0
	ds_read_b64 v[4:5], v6
	ds_read_b32 v7, v6 offset:8
	v_and_b32_e32 v11, 3, v9
	v_cmp_ne_u32_e32 vcc, 0, v11
	s_waitcnt lgkmcnt(1)
	v_mov_b32_dpp v15, v4 row_shr:1 row_mask:0xf bank_mask:0xf
	v_mov_b32_dpp v16, v5 row_shr:1 row_mask:0xf bank_mask:0xf
	s_waitcnt lgkmcnt(0)
	v_mov_b32_dpp v14, v7 row_shr:1 row_mask:0xf bank_mask:0xf
	v_mov_b32_e32 v12, v7
	v_mov_b32_e32 v13, v7
	s_and_saveexec_b64 s[42:43], vcc
; %bb.155:
	v_mov_b32_e32 v12, 0
	v_cmp_eq_u16_sdwa vcc, v7, v12 src0_sel:BYTE_0 src1_sel:DWORD
	s_movk_i32 s3, 0xff00
	s_nop 0
	v_cndmask_b32_e32 v13, 0, v16, vcc
	v_cndmask_b32_e32 v12, 0, v15, vcc
	v_lshl_add_u64 v[4:5], v[12:13], 0, v[4:5]
	v_or_b32_e32 v13, v14, v7
	v_and_b32_e32 v12, 1, v13
	v_and_b32_e32 v13, 1, v13
	v_and_or_b32 v7, v7, s3, v13
; %bb.156:
	s_or_b64 exec, exec, s[42:43]
	v_mov_b32_dpp v14, v4 row_shr:2 row_mask:0xf bank_mask:0xf
	v_mov_b32_dpp v15, v5 row_shr:2 row_mask:0xf bank_mask:0xf
	;; [unrolled: 1-line block ×3, first 2 shown]
	v_cmp_lt_u32_e32 vcc, 1, v11
	s_and_saveexec_b64 s[60:61], vcc
; %bb.157:
	v_mov_b32_e32 v11, 0
	v_cmp_eq_u16_sdwa vcc, v13, v11 src0_sel:BYTE_0 src1_sel:DWORD
	v_and_b32_e32 v11, 1, v13
	v_and_b32_e32 v7, 1, v7
	v_cndmask_b32_e32 v15, 0, v15, vcc
	v_cndmask_b32_e32 v14, 0, v14, vcc
	v_cmp_eq_u32_e32 vcc, 1, v11
	v_cmp_eq_u32_e64 s[42:43], 1, v7
	s_or_b64 s[42:43], vcc, s[42:43]
	v_lshl_add_u64 v[4:5], v[14:15], 0, v[4:5]
	v_cndmask_b32_e64 v12, 0, 1, s[42:43]
; %bb.158:
	s_or_b64 exec, exec, s[60:61]
	ds_write_b64 v6, v[4:5]
	ds_write_b8 v6, v12 offset:8
.LBB1573_159:
	s_or_b64 exec, exec, s[46:47]
	v_cmp_gt_u32_e32 vcc, 64, v0
	v_cmp_lt_u32_e64 s[42:43], 63, v0
	v_mov_b32_e32 v16, 0
	v_mov_b64_e32 v[6:7], 0
	s_waitcnt lgkmcnt(0)
	s_barrier
	s_and_saveexec_b64 s[46:47], s[42:43]
	s_cbranch_execz .LBB1573_161
; %bb.160:
	v_lshl_add_u32 v4, v10, 4, -16
	ds_read_b64 v[6:7], v4
	ds_read_u8 v16, v4 offset:8
	v_cmp_eq_u16_e64 s[42:43], 0, v8
	s_waitcnt lgkmcnt(0)
	v_or_b32_e32 v8, v8, v16
	v_cndmask_b32_e64 v5, 0, v7, s[42:43]
	v_cndmask_b32_e64 v4, 0, v6, s[42:43]
	v_lshl_add_u64 v[2:3], v[2:3], 0, v[4:5]
	v_and_b32_e32 v8, 1, v8
.LBB1573_161:
	s_or_b64 exec, exec, s[46:47]
	v_add_u32_e32 v4, -1, v9
	v_and_b32_e32 v5, 64, v9
	v_cmp_lt_i32_e64 s[42:43], v4, v5
	s_nop 1
	v_cndmask_b32_e64 v4, v4, v9, s[42:43]
	v_lshlrev_b32_e32 v4, 2, v4
	ds_bpermute_b32 v17, v4, v2
	v_and_b32_e32 v2, 0xffff, v8
	ds_bpermute_b32 v18, v4, v3
	ds_bpermute_b32 v19, v4, v2
	v_cmp_eq_u32_e64 s[42:43], 0, v9
	s_and_saveexec_b64 s[60:61], vcc
	s_cbranch_execz .LBB1573_204
; %bb.162:
	v_mov_b32_e32 v11, 0
	ds_read2_b64 v[2:5], v11 offset0:6 offset1:7
	s_and_saveexec_b64 s[46:47], s[42:43]
	s_cbranch_execz .LBB1573_164
; %bb.163:
	s_add_i32 s64, s2, 64
	s_mov_b32 s65, 0
	s_lshl_b64 s[72:73], s[64:65], 4
	s_add_u32 s72, s48, s72
	s_addc_u32 s73, s49, s73
	s_waitcnt lgkmcnt(0)
	global_store_dword v11, v2, s[72:73] sc1
	global_store_dword v11, v3, s[72:73] offset:4 sc1
	global_store_dword v11, v4, s[72:73] offset:8 sc1
	;; [unrolled: 1-line block ×3, first 2 shown]
	v_mov_b32_e32 v5, s64
	v_mov_b32_e32 v8, 1
	s_waitcnt vmcnt(0)
	global_store_byte v5, v8, s[52:53] sc1
.LBB1573_164:
	s_or_b64 exec, exec, s[46:47]
	v_xad_u32 v8, v9, -1, s2
	v_add_u32_e32 v10, 64, v8
	s_waitcnt lgkmcnt(0)
	global_load_ubyte v5, v10, s[52:53] sc1
	s_waitcnt vmcnt(0)
	v_cmp_eq_u16_e32 vcc, 0, v5
	s_and_saveexec_b64 s[46:47], vcc
	s_cbranch_execz .LBB1573_168
; %bb.165:
	v_lshl_add_u64 v[12:13], s[52:53], 0, v[10:11]
	s_mov_b64 s[64:65], 0
.LBB1573_166:                           ; =>This Inner Loop Header: Depth=1
	global_load_ubyte v5, v[12:13], off sc1
	s_waitcnt vmcnt(0)
	v_cmp_ne_u16_e32 vcc, 0, v5
	s_or_b64 s[64:65], vcc, s[64:65]
	s_andn2_b64 exec, exec, s[64:65]
	s_cbranch_execnz .LBB1573_166
; %bb.167:
	s_or_b64 exec, exec, s[64:65]
.LBB1573_168:
	s_or_b64 exec, exec, s[46:47]
	v_mov_b32_e32 v12, s51
	v_mov_b32_e32 v13, s49
	v_cmp_eq_u16_e32 vcc, 1, v5
	v_mov_b32_e32 v14, s48
	s_waitcnt vmcnt(0)
	v_cndmask_b32_e32 v13, v12, v13, vcc
	v_mov_b32_e32 v12, s50
	v_cndmask_b32_e32 v12, v12, v14, vcc
	v_lshl_add_u64 v[10:11], v[10:11], 4, v[12:13]
	global_load_dword v14, v[10:11], off sc1
	global_load_dword v15, v[10:11], off offset:4 sc1
	global_load_dword v34, v[10:11], off offset:8 sc1
	s_nop 0
	global_load_dword v10, v[10:11], off offset:12 sc1
	v_cmp_eq_u16_e32 vcc, 2, v5
	s_waitcnt vmcnt(0)
	v_lshlrev_b64 v[10:11], v9, -1
	v_and_b32_e32 v20, 63, v9
	v_and_b32_e32 v12, vcc_hi, v11
	v_and_b32_e32 v25, vcc_lo, v10
	v_cmp_ne_u32_e32 vcc, 63, v20
	v_or_b32_e32 v12, 0x80000000, v12
	v_ffbl_b32_e32 v12, v12
	v_addc_co_u32_e32 v13, vcc, 0, v9, vcc
	v_lshlrev_b32_e32 v21, 2, v13
	v_add_u32_e32 v12, 32, v12
	v_ffbl_b32_e32 v25, v25
	v_min_u32_e32 v12, v25, v12
	v_cmp_lt_u32_e32 vcc, v20, v12
	ds_bpermute_b32 v23, v21, v14
	ds_bpermute_b32 v24, v21, v15
	v_and_b32_e32 v13, 0xff, v34
	ds_bpermute_b32 v22, v21, v13
	s_and_saveexec_b64 s[46:47], vcc
	s_cbranch_execz .LBB1573_170
; %bb.169:
	v_mov_b32_e32 v13, 0
	v_cmp_eq_u16_sdwa vcc, v34, v13 src0_sel:BYTE_0 src1_sel:DWORD
	s_waitcnt lgkmcnt(0)
	v_or_b32_e32 v13, v22, v34
	v_and_b32_e32 v34, 1, v13
	v_cndmask_b32_e32 v25, 0, v24, vcc
	v_cndmask_b32_e32 v24, 0, v23, vcc
	v_lshl_add_u64 v[14:15], v[24:25], 0, v[14:15]
	v_and_b32_e32 v13, 1, v13
.LBB1573_170:
	s_or_b64 exec, exec, s[46:47]
	v_cmp_gt_u32_e32 vcc, 62, v20
	s_waitcnt lgkmcnt(2)
	v_add_u32_e32 v23, 2, v20
	s_waitcnt lgkmcnt(0)
	v_cndmask_b32_e64 v22, 0, 1, vcc
	v_lshlrev_b32_e32 v22, 1, v22
	v_add_lshl_u32 v22, v22, v9, 2
	ds_bpermute_b32 v25, v22, v14
	ds_bpermute_b32 v26, v22, v15
	ds_bpermute_b32 v24, v22, v13
	v_cmp_le_u32_e32 vcc, v23, v12
	s_and_saveexec_b64 s[64:65], vcc
	s_cbranch_execz .LBB1573_172
; %bb.171:
	v_mov_b32_e32 v13, 0
	v_cmp_eq_u16_sdwa vcc, v34, v13 src0_sel:BYTE_0 src1_sel:DWORD
	v_and_b32_e32 v13, 1, v34
	s_waitcnt lgkmcnt(1)
	v_cndmask_b32_e32 v27, 0, v26, vcc
	v_cndmask_b32_e32 v26, 0, v25, vcc
	v_cmp_eq_u32_e32 vcc, 1, v13
	s_waitcnt lgkmcnt(0)
	v_and_b32_e32 v13, 1, v24
	v_cmp_eq_u32_e64 s[46:47], 1, v13
	s_or_b64 s[46:47], vcc, s[46:47]
	v_lshl_add_u64 v[14:15], v[26:27], 0, v[14:15]
	v_cndmask_b32_e64 v34, 0, 1, s[46:47]
	v_cndmask_b32_e64 v13, 0, 1, s[46:47]
.LBB1573_172:
	s_or_b64 exec, exec, s[64:65]
	v_cmp_gt_u32_e32 vcc, 60, v20
	s_waitcnt lgkmcnt(2)
	v_add_u32_e32 v25, 4, v20
	s_waitcnt lgkmcnt(0)
	v_cndmask_b32_e64 v24, 0, 1, vcc
	v_lshlrev_b32_e32 v24, 2, v24
	v_add_lshl_u32 v24, v24, v9, 2
	ds_bpermute_b32 v27, v24, v14
	ds_bpermute_b32 v28, v24, v15
	ds_bpermute_b32 v26, v24, v13
	v_cmp_le_u32_e32 vcc, v25, v12
	s_and_saveexec_b64 s[64:65], vcc
	s_cbranch_execz .LBB1573_174
; %bb.173:
	v_mov_b32_e32 v13, 0
	v_cmp_eq_u16_sdwa vcc, v34, v13 src0_sel:BYTE_0 src1_sel:DWORD
	v_and_b32_e32 v13, 1, v34
	s_waitcnt lgkmcnt(1)
	v_cndmask_b32_e32 v29, 0, v28, vcc
	v_cndmask_b32_e32 v28, 0, v27, vcc
	v_cmp_eq_u32_e32 vcc, 1, v13
	s_waitcnt lgkmcnt(0)
	v_and_b32_e32 v13, 1, v26
	v_cmp_eq_u32_e64 s[46:47], 1, v13
	s_or_b64 s[46:47], vcc, s[46:47]
	v_lshl_add_u64 v[14:15], v[28:29], 0, v[14:15]
	v_cndmask_b32_e64 v34, 0, 1, s[46:47]
	v_cndmask_b32_e64 v13, 0, 1, s[46:47]
.LBB1573_174:
	;; [unrolled: 30-line block ×4, first 2 shown]
	s_or_b64 exec, exec, s[64:65]
	v_cmp_gt_u32_e32 vcc, 32, v20
	s_waitcnt lgkmcnt(1)
	v_add_u32_e32 v32, 32, v20
	s_waitcnt lgkmcnt(0)
	v_cndmask_b32_e64 v30, 0, 1, vcc
	v_lshlrev_b32_e32 v30, 5, v30
	v_add_lshl_u32 v31, v30, v9, 2
	ds_bpermute_b32 v30, v31, v14
	ds_bpermute_b32 v33, v31, v15
	;; [unrolled: 1-line block ×3, first 2 shown]
	v_cmp_le_u32_e32 vcc, v32, v12
	s_and_saveexec_b64 s[64:65], vcc
	s_cbranch_execz .LBB1573_180
; %bb.179:
	v_mov_b32_e32 v12, 0
	v_cmp_eq_u16_sdwa vcc, v34, v12 src0_sel:BYTE_0 src1_sel:DWORD
	s_waitcnt lgkmcnt(0)
	v_and_b32_e32 v9, 1, v9
	v_cmp_eq_u32_e64 s[46:47], 1, v9
	v_cndmask_b32_e32 v13, 0, v33, vcc
	v_cndmask_b32_e32 v12, 0, v30, vcc
	v_lshl_add_u64 v[14:15], v[12:13], 0, v[14:15]
	v_and_b32_e32 v12, 1, v34
	v_cmp_eq_u32_e32 vcc, 1, v12
	s_or_b64 s[46:47], vcc, s[46:47]
	v_cndmask_b32_e64 v34, 0, 1, s[46:47]
.LBB1573_180:
	s_or_b64 exec, exec, s[64:65]
	s_waitcnt lgkmcnt(0)
	v_mov_b32_e32 v9, 0
	v_mov_b32_e32 v33, 2
	s_branch .LBB1573_182
.LBB1573_181:                           ;   in Loop: Header=BB1573_182 Depth=1
	s_or_b64 exec, exec, s[72:73]
	v_cmp_eq_u16_sdwa vcc, v30, v9 src0_sel:BYTE_0 src1_sel:DWORD
	v_and_b32_e32 v34, 1, v30
	v_subrev_u32_e32 v8, 64, v8
	v_cndmask_b32_e32 v15, 0, v15, vcc
	v_cndmask_b32_e32 v14, 0, v14, vcc
	v_cmp_eq_u32_e32 vcc, 1, v34
	s_or_b64 s[46:47], vcc, s[64:65]
	v_lshl_add_u64 v[14:15], v[14:15], 0, v[12:13]
	v_cndmask_b32_e64 v34, 0, 1, s[46:47]
.LBB1573_182:                           ; =>This Loop Header: Depth=1
                                        ;     Child Loop BB1573_185 Depth 2
	v_cmp_ne_u16_sdwa s[46:47], v5, v33 src0_sel:BYTE_0 src1_sel:DWORD
	v_mov_b32_e32 v30, v34
	v_mov_b64_e32 v[12:13], v[14:15]
	v_cndmask_b32_e64 v5, 0, 1, s[46:47]
	;;#ASMSTART
	;;#ASMEND
	s_nop 0
	v_cmp_ne_u32_e32 vcc, 0, v5
	s_cmp_lg_u64 vcc, exec
	s_cbranch_scc1 .LBB1573_199
; %bb.183:                              ;   in Loop: Header=BB1573_182 Depth=1
	global_load_ubyte v5, v8, s[52:53] sc1
	s_waitcnt vmcnt(0)
	v_cmp_eq_u16_e32 vcc, 0, v5
	s_and_saveexec_b64 s[46:47], vcc
	s_cbranch_execz .LBB1573_187
; %bb.184:                              ;   in Loop: Header=BB1573_182 Depth=1
	v_lshl_add_u64 v[14:15], s[52:53], 0, v[8:9]
	s_mov_b64 s[64:65], 0
.LBB1573_185:                           ;   Parent Loop BB1573_182 Depth=1
                                        ; =>  This Inner Loop Header: Depth=2
	global_load_ubyte v5, v[14:15], off sc1
	s_waitcnt vmcnt(0)
	v_cmp_ne_u16_e32 vcc, 0, v5
	s_or_b64 s[64:65], vcc, s[64:65]
	s_andn2_b64 exec, exec, s[64:65]
	s_cbranch_execnz .LBB1573_185
; %bb.186:                              ;   in Loop: Header=BB1573_182 Depth=1
	s_or_b64 exec, exec, s[64:65]
.LBB1573_187:                           ;   in Loop: Header=BB1573_182 Depth=1
	s_or_b64 exec, exec, s[46:47]
	v_mov_b32_e32 v14, s51
	v_mov_b32_e32 v15, s49
	v_cmp_eq_u16_e32 vcc, 1, v5
	v_mov_b32_e32 v34, s48
	s_waitcnt vmcnt(0)
	v_cndmask_b32_e32 v15, v14, v15, vcc
	v_mov_b32_e32 v14, s50
	v_cndmask_b32_e32 v14, v14, v34, vcc
	s_waitcnt lgkmcnt(0)
	v_lshl_add_u64 v[36:37], v[8:9], 4, v[14:15]
	global_load_dword v14, v[36:37], off sc1
	global_load_dword v15, v[36:37], off offset:4 sc1
	global_load_dword v34, v[36:37], off offset:8 sc1
	;; [unrolled: 1-line block ×3, first 2 shown]
	v_cmp_eq_u16_e32 vcc, 2, v5
	s_waitcnt vmcnt(3)
	ds_bpermute_b32 v38, v21, v14
	s_waitcnt vmcnt(0)
	v_and_b32_e32 v35, vcc_hi, v11
	v_and_b32_e32 v36, 0xff, v34
	v_or_b32_e32 v35, 0x80000000, v35
	ds_bpermute_b32 v39, v21, v15
	ds_bpermute_b32 v37, v21, v36
	v_and_b32_e32 v82, vcc_lo, v10
	v_ffbl_b32_e32 v35, v35
	v_add_u32_e32 v35, 32, v35
	v_ffbl_b32_e32 v82, v82
	v_min_u32_e32 v35, v82, v35
	v_cmp_lt_u32_e32 vcc, v20, v35
	s_and_saveexec_b64 s[46:47], vcc
	s_cbranch_execz .LBB1573_189
; %bb.188:                              ;   in Loop: Header=BB1573_182 Depth=1
	v_cmp_eq_u16_sdwa vcc, v34, v9 src0_sel:BYTE_0 src1_sel:DWORD
	s_waitcnt lgkmcnt(0)
	v_or_b32_e32 v36, v37, v34
	v_and_b32_e32 v34, 1, v36
	v_cndmask_b32_e32 v39, 0, v39, vcc
	v_cndmask_b32_e32 v38, 0, v38, vcc
	v_lshl_add_u64 v[14:15], v[38:39], 0, v[14:15]
	v_and_b32_e32 v36, 1, v36
.LBB1573_189:                           ;   in Loop: Header=BB1573_182 Depth=1
	s_or_b64 exec, exec, s[46:47]
	s_waitcnt lgkmcnt(2)
	ds_bpermute_b32 v38, v22, v14
	s_waitcnt lgkmcnt(2)
	ds_bpermute_b32 v39, v22, v15
	;; [unrolled: 2-line block ×3, first 2 shown]
	v_and_b32_e32 v82, 1, v34
	v_cmp_le_u32_e32 vcc, v23, v35
	v_cmp_eq_u32_e64 s[64:65], 1, v82
	s_and_saveexec_b64 s[46:47], vcc
	s_cbranch_execz .LBB1573_191
; %bb.190:                              ;   in Loop: Header=BB1573_182 Depth=1
	v_cmp_eq_u16_sdwa vcc, v34, v9 src0_sel:BYTE_0 src1_sel:DWORD
	s_waitcnt lgkmcnt(0)
	v_and_b32_e32 v34, 1, v37
	v_cndmask_b32_e32 v39, 0, v39, vcc
	v_cndmask_b32_e32 v38, 0, v38, vcc
	v_cmp_eq_u32_e32 vcc, 1, v34
	s_or_b64 s[72:73], s[64:65], vcc
	v_cndmask_b32_e64 v34, 0, 1, s[72:73]
	v_cndmask_b32_e64 v36, 0, 1, s[72:73]
	s_andn2_b64 s[64:65], s[64:65], exec
	s_and_b64 s[72:73], s[72:73], exec
	v_lshl_add_u64 v[14:15], v[38:39], 0, v[14:15]
	s_or_b64 s[64:65], s[64:65], s[72:73]
.LBB1573_191:                           ;   in Loop: Header=BB1573_182 Depth=1
	s_or_b64 exec, exec, s[46:47]
	s_waitcnt lgkmcnt(2)
	ds_bpermute_b32 v38, v24, v14
	s_waitcnt lgkmcnt(2)
	ds_bpermute_b32 v39, v24, v15
	s_waitcnt lgkmcnt(2)
	ds_bpermute_b32 v37, v24, v36
	v_cmp_le_u32_e32 vcc, v25, v35
	s_and_saveexec_b64 s[72:73], vcc
	s_cbranch_execz .LBB1573_193
; %bb.192:                              ;   in Loop: Header=BB1573_182 Depth=1
	v_cmp_eq_u16_sdwa vcc, v34, v9 src0_sel:BYTE_0 src1_sel:DWORD
	v_and_b32_e32 v34, 1, v34
	s_andn2_b64 s[64:65], s[64:65], exec
	s_waitcnt lgkmcnt(1)
	v_cndmask_b32_e32 v39, 0, v39, vcc
	v_cndmask_b32_e32 v38, 0, v38, vcc
	v_cmp_eq_u32_e32 vcc, 1, v34
	s_waitcnt lgkmcnt(0)
	v_and_b32_e32 v34, 1, v37
	v_cmp_eq_u32_e64 s[46:47], 1, v34
	s_or_b64 s[46:47], vcc, s[46:47]
	v_lshl_add_u64 v[14:15], v[38:39], 0, v[14:15]
	v_cndmask_b32_e64 v34, 0, 1, s[46:47]
	v_cndmask_b32_e64 v36, 0, 1, s[46:47]
	s_and_b64 s[46:47], s[46:47], exec
	s_or_b64 s[64:65], s[64:65], s[46:47]
.LBB1573_193:                           ;   in Loop: Header=BB1573_182 Depth=1
	s_or_b64 exec, exec, s[72:73]
	s_waitcnt lgkmcnt(2)
	ds_bpermute_b32 v38, v26, v14
	s_waitcnt lgkmcnt(2)
	ds_bpermute_b32 v39, v26, v15
	s_waitcnt lgkmcnt(2)
	ds_bpermute_b32 v37, v26, v36
	v_cmp_le_u32_e32 vcc, v27, v35
	s_and_saveexec_b64 s[72:73], vcc
	s_cbranch_execz .LBB1573_195
; %bb.194:                              ;   in Loop: Header=BB1573_182 Depth=1
	v_cmp_eq_u16_sdwa vcc, v34, v9 src0_sel:BYTE_0 src1_sel:DWORD
	v_and_b32_e32 v34, 1, v34
	s_andn2_b64 s[64:65], s[64:65], exec
	s_waitcnt lgkmcnt(1)
	v_cndmask_b32_e32 v39, 0, v39, vcc
	v_cndmask_b32_e32 v38, 0, v38, vcc
	v_cmp_eq_u32_e32 vcc, 1, v34
	s_waitcnt lgkmcnt(0)
	v_and_b32_e32 v34, 1, v37
	v_cmp_eq_u32_e64 s[46:47], 1, v34
	s_or_b64 s[46:47], vcc, s[46:47]
	v_lshl_add_u64 v[14:15], v[38:39], 0, v[14:15]
	v_cndmask_b32_e64 v34, 0, 1, s[46:47]
	v_cndmask_b32_e64 v36, 0, 1, s[46:47]
	s_and_b64 s[46:47], s[46:47], exec
	s_or_b64 s[64:65], s[64:65], s[46:47]
.LBB1573_195:                           ;   in Loop: Header=BB1573_182 Depth=1
	;; [unrolled: 28-line block ×3, first 2 shown]
	s_or_b64 exec, exec, s[72:73]
	s_waitcnt lgkmcnt(0)
	ds_bpermute_b32 v37, v31, v14
	ds_bpermute_b32 v38, v31, v15
	;; [unrolled: 1-line block ×3, first 2 shown]
	v_cmp_le_u32_e32 vcc, v32, v35
	s_and_saveexec_b64 s[72:73], vcc
	s_cbranch_execz .LBB1573_181
; %bb.198:                              ;   in Loop: Header=BB1573_182 Depth=1
	v_cmp_eq_u16_sdwa vcc, v34, v9 src0_sel:BYTE_0 src1_sel:DWORD
	v_and_b32_e32 v34, 1, v34
	s_andn2_b64 s[64:65], s[64:65], exec
	s_waitcnt lgkmcnt(1)
	v_cndmask_b32_e32 v39, 0, v38, vcc
	v_cndmask_b32_e32 v38, 0, v37, vcc
	v_cmp_eq_u32_e32 vcc, 1, v34
	s_waitcnt lgkmcnt(0)
	v_and_b32_e32 v34, 1, v36
	v_cmp_eq_u32_e64 s[46:47], 1, v34
	s_or_b64 s[46:47], vcc, s[46:47]
	s_and_b64 s[46:47], s[46:47], exec
	v_lshl_add_u64 v[14:15], v[38:39], 0, v[14:15]
	s_or_b64 s[64:65], s[64:65], s[46:47]
	s_branch .LBB1573_181
.LBB1573_199:                           ;   in Loop: Header=BB1573_182 Depth=1
                                        ; implicit-def: $vgpr34
                                        ; implicit-def: $vgpr14_vgpr15
                                        ; implicit-def: $vgpr5
	s_cbranch_execz .LBB1573_182
; %bb.200:
	s_and_saveexec_b64 s[46:47], s[42:43]
	s_cbranch_execz .LBB1573_202
; %bb.201:
	s_mov_b32 s3, 0
	v_mov_b32_e32 v5, 0
	s_add_i32 s2, s2, 64
	v_cmp_eq_u32_sdwa vcc, v4, v5 src0_sel:BYTE_0 src1_sel:DWORD
	s_lshl_b64 s[48:49], s[2:3], 4
	v_and_b32_e32 v4, 1, v4
	v_cndmask_b32_e32 v9, 0, v13, vcc
	v_cndmask_b32_e32 v8, 0, v12, vcc
	s_add_u32 s48, s50, s48
	v_lshl_add_u64 v[2:3], v[8:9], 0, v[2:3]
	v_and_b32_e32 v8, 1, v30
	v_cmp_eq_u32_e32 vcc, 1, v4
	s_addc_u32 s49, s51, s49
	s_nop 0
	v_cndmask_b32_e64 v4, v8, 1, vcc
	global_store_dword v5, v2, s[48:49] sc1
	global_store_dword v5, v3, s[48:49] offset:4 sc1
	global_store_dword v5, v4, s[48:49] offset:8 sc1
	;; [unrolled: 1-line block ×3, first 2 shown]
	v_mov_b32_e32 v2, s2
	v_mov_b32_e32 v3, 2
	s_waitcnt vmcnt(0) lgkmcnt(0)
	global_store_byte v2, v3, s[52:53] sc1
.LBB1573_202:
	s_or_b64 exec, exec, s[46:47]
	v_cmp_eq_u32_e32 vcc, 0, v0
	s_and_b64 exec, exec, vcc
	s_cbranch_execz .LBB1573_204
; %bb.203:
	v_mov_b32_e32 v2, 0
	ds_write_b64 v2, v[12:13] offset:48
	ds_write_b8 v2, v30 offset:56
.LBB1573_204:
	s_or_b64 exec, exec, s[60:61]
	v_mov_b32_e32 v8, 0
	s_waitcnt lgkmcnt(0)
	s_barrier
	ds_read_b64 v[2:3], v8 offset:48
	v_cndmask_b32_e64 v9, v19, v16, s[42:43]
	v_cmp_eq_u16_sdwa vcc, v9, v8 src0_sel:BYTE_0 src1_sel:DWORD
	v_cndmask_b32_e64 v4, v17, v6, s[42:43]
	v_cndmask_b32_e64 v5, v18, v7, s[42:43]
	s_waitcnt lgkmcnt(0)
	v_cndmask_b32_e32 v7, 0, v3, vcc
	v_cndmask_b32_e32 v6, 0, v2, vcc
	v_lshl_add_u64 v[4:5], v[4:5], 0, v[6:7]
	v_cmp_eq_u32_e32 vcc, 0, v0
	s_nop 1
	v_cndmask_b32_e32 v83, v5, v3, vcc
	v_cndmask_b32_e32 v82, v4, v2, vcc
	v_cmp_eq_u16_sdwa vcc, v1, v8 src0_sel:BYTE_0 src1_sel:DWORD
	s_nop 1
	v_cndmask_b32_e32 v3, 0, v83, vcc
	v_cndmask_b32_e32 v2, 0, v82, vcc
	v_lshl_add_u64 v[6:7], v[2:3], 0, v[42:43]
	v_cndmask_b32_e64 v3, 0, v7, s[44:45]
	v_cndmask_b32_e64 v2, 0, v6, s[44:45]
	v_lshl_add_u64 v[2:3], v[2:3], 0, v[44:45]
	v_cndmask_b32_e64 v5, 0, v3, s[4:5]
	v_cndmask_b32_e64 v4, 0, v2, s[4:5]
	v_lshl_add_u64 v[84:85], v[4:5], 0, v[46:47]
	v_cndmask_b32_e64 v5, 0, v85, s[6:7]
	v_cndmask_b32_e64 v4, 0, v84, s[6:7]
	v_lshl_add_u64 v[8:9], v[4:5], 0, v[48:49]
	v_cndmask_b32_e64 v5, 0, v9, s[8:9]
	v_cndmask_b32_e64 v4, 0, v8, s[8:9]
	v_lshl_add_u64 v[86:87], v[4:5], 0, v[50:51]
	v_cndmask_b32_e64 v5, 0, v87, s[10:11]
	v_cndmask_b32_e64 v4, 0, v86, s[10:11]
	v_lshl_add_u64 v[12:13], v[4:5], 0, v[52:53]
	v_cndmask_b32_e64 v5, 0, v13, s[12:13]
	v_cndmask_b32_e64 v4, 0, v12, s[12:13]
	v_lshl_add_u64 v[88:89], v[4:5], 0, v[54:55]
	v_cndmask_b32_e64 v5, 0, v89, s[14:15]
	v_cndmask_b32_e64 v4, 0, v88, s[14:15]
	v_lshl_add_u64 v[16:17], v[4:5], 0, v[56:57]
	v_cndmask_b32_e64 v5, 0, v17, s[16:17]
	v_cndmask_b32_e64 v4, 0, v16, s[16:17]
	v_lshl_add_u64 v[90:91], v[4:5], 0, v[58:59]
	v_cndmask_b32_e64 v5, 0, v91, s[18:19]
	v_cndmask_b32_e64 v4, 0, v90, s[18:19]
	v_lshl_add_u64 v[20:21], v[4:5], 0, v[60:61]
	v_cndmask_b32_e64 v5, 0, v21, s[20:21]
	v_cndmask_b32_e64 v4, 0, v20, s[20:21]
	v_lshl_add_u64 v[92:93], v[4:5], 0, v[62:63]
	v_cndmask_b32_e64 v5, 0, v93, s[22:23]
	v_cndmask_b32_e64 v4, 0, v92, s[22:23]
	v_lshl_add_u64 v[24:25], v[4:5], 0, v[64:65]
	v_cndmask_b32_e64 v5, 0, v25, s[24:25]
	v_cndmask_b32_e64 v4, 0, v24, s[24:25]
	v_lshl_add_u64 v[94:95], v[4:5], 0, v[66:67]
	v_cndmask_b32_e64 v5, 0, v95, s[26:27]
	v_cndmask_b32_e64 v4, 0, v94, s[26:27]
	v_lshl_add_u64 v[28:29], v[4:5], 0, v[68:69]
	v_cndmask_b32_e64 v5, 0, v29, s[28:29]
	v_cndmask_b32_e64 v4, 0, v28, s[28:29]
	v_lshl_add_u64 v[96:97], v[4:5], 0, v[70:71]
	v_cndmask_b32_e64 v5, 0, v97, s[30:31]
	v_cndmask_b32_e64 v4, 0, v96, s[30:31]
	v_lshl_add_u64 v[32:33], v[4:5], 0, v[72:73]
	v_cndmask_b32_e64 v5, 0, v33, s[34:35]
	v_cndmask_b32_e64 v4, 0, v32, s[34:35]
	v_lshl_add_u64 v[98:99], v[4:5], 0, v[74:75]
	v_cndmask_b32_e64 v5, 0, v99, s[36:37]
	v_cndmask_b32_e64 v4, 0, v98, s[36:37]
	v_lshl_add_u64 v[36:37], v[4:5], 0, v[76:77]
	v_cndmask_b32_e64 v5, 0, v37, s[38:39]
	v_cndmask_b32_e64 v4, 0, v36, s[38:39]
	v_lshl_add_u64 v[100:101], v[4:5], 0, v[78:79]
	v_cndmask_b32_e64 v103, 0, v101, s[40:41]
	v_cndmask_b32_e64 v102, 0, v100, s[40:41]
	s_branch .LBB1573_233
.LBB1573_205:
                                        ; implicit-def: $vgpr2_vgpr3_vgpr4_vgpr5
                                        ; implicit-def: $vgpr82_vgpr83
                                        ; implicit-def: $vgpr102_vgpr103
                                        ; implicit-def: $vgpr100_vgpr101
                                        ; implicit-def: $vgpr98_vgpr99
                                        ; implicit-def: $vgpr96_vgpr97
                                        ; implicit-def: $vgpr94_vgpr95
                                        ; implicit-def: $vgpr92_vgpr93
                                        ; implicit-def: $vgpr90_vgpr91
                                        ; implicit-def: $vgpr88_vgpr89
                                        ; implicit-def: $vgpr86_vgpr87
                                        ; implicit-def: $vgpr84_vgpr85
                                        ; implicit-def: $vgpr36_vgpr37_vgpr38_vgpr39
                                        ; implicit-def: $vgpr32_vgpr33_vgpr34_vgpr35
                                        ; implicit-def: $vgpr28_vgpr29_vgpr30_vgpr31
                                        ; implicit-def: $vgpr24_vgpr25_vgpr26_vgpr27
                                        ; implicit-def: $vgpr20_vgpr21_vgpr22_vgpr23
                                        ; implicit-def: $vgpr16_vgpr17_vgpr18_vgpr19
                                        ; implicit-def: $vgpr12_vgpr13_vgpr14_vgpr15
                                        ; implicit-def: $vgpr8_vgpr9_vgpr10_vgpr11
                                        ; implicit-def: $vgpr4_vgpr5_vgpr6_vgpr7
	s_cbranch_execz .LBB1573_233
; %bb.206:
	s_cmp_lg_u64 s[70:71], 0
	s_cselect_b32 s3, s67, 0
	s_cselect_b32 s2, s66, 0
	s_cmp_eq_u64 s[2:3], 0
	v_mov_b64_e32 v[4:5], s[68:69]
	s_cbranch_scc1 .LBB1573_208
; %bb.207:
	v_mov_b32_e32 v2, 0
	global_load_dwordx2 v[4:5], v2, s[2:3]
.LBB1573_208:
	v_mov_b32_e32 v6, 0
	v_cmp_eq_u16_sdwa vcc, v104, v6 src0_sel:BYTE_0 src1_sel:DWORD
	v_cmp_eq_u16_sdwa s[2:3], v105, v6 src0_sel:BYTE_0 src1_sel:DWORD
	v_cmp_eq_u16_sdwa s[4:5], v107, v6 src0_sel:BYTE_0 src1_sel:DWORD
	v_cndmask_b32_e32 v3, 0, v43, vcc
	v_cndmask_b32_e32 v2, 0, v42, vcc
	v_lshl_add_u64 v[2:3], v[2:3], 0, v[44:45]
	v_cndmask_b32_e64 v3, 0, v3, s[2:3]
	v_cndmask_b32_e64 v2, 0, v2, s[2:3]
	v_lshl_add_u64 v[2:3], v[2:3], 0, v[46:47]
	v_cndmask_b32_e64 v3, 0, v3, s[4:5]
	v_cndmask_b32_e64 v2, 0, v2, s[4:5]
	v_lshl_add_u64 v[2:3], v[2:3], 0, v[48:49]
	v_cmp_eq_u16_sdwa s[6:7], v108, v6 src0_sel:BYTE_0 src1_sel:DWORD
	v_cmp_eq_u16_sdwa s[8:9], v109, v6 src0_sel:BYTE_0 src1_sel:DWORD
	v_cmp_eq_u16_sdwa s[10:11], v110, v6 src0_sel:BYTE_0 src1_sel:DWORD
	v_cndmask_b32_e64 v3, 0, v3, s[6:7]
	v_cndmask_b32_e64 v2, 0, v2, s[6:7]
	v_lshl_add_u64 v[2:3], v[2:3], 0, v[50:51]
	v_cndmask_b32_e64 v3, 0, v3, s[8:9]
	v_cndmask_b32_e64 v2, 0, v2, s[8:9]
	v_lshl_add_u64 v[2:3], v[2:3], 0, v[52:53]
	v_cndmask_b32_e64 v3, 0, v3, s[10:11]
	v_cndmask_b32_e64 v2, 0, v2, s[10:11]
	v_lshl_add_u64 v[2:3], v[2:3], 0, v[54:55]
	v_cmp_eq_u16_sdwa s[12:13], v111, v6 src0_sel:BYTE_0 src1_sel:DWORD
	v_cmp_eq_u16_sdwa s[14:15], v112, v6 src0_sel:BYTE_0 src1_sel:DWORD
	v_cmp_eq_u16_sdwa s[16:17], v113, v6 src0_sel:BYTE_0 src1_sel:DWORD
	v_cndmask_b32_e64 v3, 0, v3, s[12:13]
	v_cndmask_b32_e64 v2, 0, v2, s[12:13]
	;; [unrolled: 12-line block ×3, first 2 shown]
	v_lshl_add_u64 v[2:3], v[2:3], 0, v[62:63]
	v_cndmask_b32_e64 v3, 0, v3, s[20:21]
	v_cndmask_b32_e64 v2, 0, v2, s[20:21]
	v_lshl_add_u64 v[2:3], v[2:3], 0, v[64:65]
	v_cmp_eq_u16_sdwa s[24:25], v117, v6 src0_sel:BYTE_0 src1_sel:DWORD
	v_cmp_eq_u16_sdwa s[26:27], v118, v6 src0_sel:BYTE_0 src1_sel:DWORD
	;; [unrolled: 1-line block ×8, first 2 shown]
	v_or_b32_e32 v6, v125, v121
	v_cndmask_b32_e64 v3, 0, v3, s[22:23]
	v_cndmask_b32_e64 v2, 0, v2, s[22:23]
	v_or_b32_e32 v6, v6, v120
	v_lshl_add_u64 v[2:3], v[2:3], 0, v[66:67]
	v_or_b32_e32 v6, v6, v119
	v_cndmask_b32_e64 v3, 0, v3, s[24:25]
	v_cndmask_b32_e64 v2, 0, v2, s[24:25]
	v_or_b32_e32 v6, v6, v118
	v_lshl_add_u64 v[2:3], v[2:3], 0, v[68:69]
	;; [unrolled: 5-line block ×8, first 2 shown]
	v_or_b32_e32 v6, v6, v104
	v_cndmask_b32_e64 v3, 0, v3, s[40:41]
	v_cndmask_b32_e64 v2, 0, v2, s[40:41]
	v_or_b32_e32 v6, v6, v1
	v_mbcnt_hi_u32_b32 v8, -1, v124
	v_lshl_add_u64 v[2:3], v[2:3], 0, v[80:81]
	v_and_b32_e32 v9, 1, v6
	v_and_b32_e32 v7, 15, v8
	v_cmp_eq_u32_e64 s[40:41], 1, v9
	v_mov_b32_dpp v11, v2 row_shr:1 row_mask:0xf bank_mask:0xf
	v_mov_b32_dpp v12, v3 row_shr:1 row_mask:0xf bank_mask:0xf
	;; [unrolled: 1-line block ×3, first 2 shown]
	v_cmp_ne_u32_e64 s[42:43], 0, v7
	v_mov_b32_e32 v6, v9
	s_and_saveexec_b64 s[44:45], s[42:43]
; %bb.209:
	v_and_b32_e32 v6, 1, v10
	v_cndmask_b32_e64 v13, v12, 0, s[40:41]
	v_cndmask_b32_e64 v12, v11, 0, s[40:41]
	v_or_b32_e32 v9, v6, v9
	v_lshl_add_u64 v[2:3], v[12:13], 0, v[2:3]
	v_and_b32_e32 v6, 0xffff, v9
; %bb.210:
	s_or_b64 exec, exec, s[44:45]
	v_mov_b32_dpp v11, v2 row_shr:2 row_mask:0xf bank_mask:0xf
	v_mov_b32_dpp v12, v3 row_shr:2 row_mask:0xf bank_mask:0xf
	;; [unrolled: 1-line block ×3, first 2 shown]
	v_cmp_lt_u32_e64 s[40:41], 1, v7
	s_and_saveexec_b64 s[44:45], s[40:41]
; %bb.211:
	v_cmp_eq_u16_e64 s[40:41], 0, v9
	v_and_b32_e32 v6, 1, v9
	s_nop 0
	v_cndmask_b32_e64 v13, 0, v12, s[40:41]
	v_cndmask_b32_e64 v12, 0, v11, s[40:41]
	v_cmp_eq_u32_e64 s[40:41], 1, v6
	v_and_b32_e32 v6, 1, v10
	v_cmp_eq_u32_e64 s[42:43], 1, v6
	s_or_b64 s[40:41], s[40:41], s[42:43]
	v_lshl_add_u64 v[2:3], v[12:13], 0, v[2:3]
	v_cndmask_b32_e64 v9, 0, 1, s[40:41]
	v_cndmask_b32_e64 v6, 0, 1, s[40:41]
; %bb.212:
	s_or_b64 exec, exec, s[44:45]
	v_mov_b32_dpp v11, v2 row_shr:4 row_mask:0xf bank_mask:0xf
	v_mov_b32_dpp v12, v3 row_shr:4 row_mask:0xf bank_mask:0xf
	v_mov_b32_dpp v10, v6 row_shr:4 row_mask:0xf bank_mask:0xf
	v_cmp_lt_u32_e64 s[40:41], 3, v7
	s_and_saveexec_b64 s[44:45], s[40:41]
; %bb.213:
	v_cmp_eq_u16_e64 s[40:41], 0, v9
	v_and_b32_e32 v6, 1, v9
	s_nop 0
	v_cndmask_b32_e64 v13, 0, v12, s[40:41]
	v_cndmask_b32_e64 v12, 0, v11, s[40:41]
	v_cmp_eq_u32_e64 s[40:41], 1, v6
	v_and_b32_e32 v6, 1, v10
	v_cmp_eq_u32_e64 s[42:43], 1, v6
	s_or_b64 s[40:41], s[40:41], s[42:43]
	v_lshl_add_u64 v[2:3], v[12:13], 0, v[2:3]
	v_cndmask_b32_e64 v9, 0, 1, s[40:41]
	v_cndmask_b32_e64 v6, 0, 1, s[40:41]
; %bb.214:
	s_or_b64 exec, exec, s[44:45]
	v_mov_b32_dpp v11, v2 row_shr:8 row_mask:0xf bank_mask:0xf
	v_mov_b32_dpp v12, v3 row_shr:8 row_mask:0xf bank_mask:0xf
	;; [unrolled: 1-line block ×3, first 2 shown]
	v_cmp_lt_u32_e64 s[40:41], 7, v7
	s_and_saveexec_b64 s[44:45], s[40:41]
; %bb.215:
	v_cmp_eq_u16_e64 s[40:41], 0, v9
	s_nop 1
	v_cndmask_b32_e64 v7, 0, v12, s[40:41]
	v_cndmask_b32_e64 v6, 0, v11, s[40:41]
	v_lshl_add_u64 v[2:3], v[6:7], 0, v[2:3]
	v_and_b32_e32 v6, 1, v9
	v_cmp_eq_u32_e64 s[40:41], 1, v6
	v_and_b32_e32 v6, 1, v10
	v_cmp_eq_u32_e64 s[42:43], 1, v6
	s_or_b64 s[40:41], s[40:41], s[42:43]
	v_cndmask_b32_e64 v9, 0, 1, s[40:41]
	v_cndmask_b32_e64 v6, 0, 1, s[40:41]
; %bb.216:
	s_or_b64 exec, exec, s[44:45]
	v_and_b32_e32 v12, 16, v8
	v_mov_b32_dpp v10, v2 row_bcast:15 row_mask:0xf bank_mask:0xf
	v_mov_b32_dpp v11, v3 row_bcast:15 row_mask:0xf bank_mask:0xf
	;; [unrolled: 1-line block ×3, first 2 shown]
	v_cmp_ne_u32_e64 s[40:41], 0, v12
	s_and_saveexec_b64 s[44:45], s[40:41]
; %bb.217:
	v_cmp_eq_u16_e64 s[40:41], 0, v9
	v_and_b32_e32 v6, 1, v9
	s_nop 0
	v_cndmask_b32_e64 v11, 0, v11, s[40:41]
	v_cndmask_b32_e64 v10, 0, v10, s[40:41]
	v_cmp_eq_u32_e64 s[40:41], 1, v6
	v_and_b32_e32 v6, 1, v7
	v_cmp_eq_u32_e64 s[42:43], 1, v6
	s_or_b64 s[40:41], s[40:41], s[42:43]
	v_lshl_add_u64 v[2:3], v[10:11], 0, v[2:3]
	v_cndmask_b32_e64 v9, 0, 1, s[40:41]
	v_cndmask_b32_e64 v6, 0, 1, s[40:41]
; %bb.218:
	s_or_b64 exec, exec, s[44:45]
	v_mov_b32_dpp v7, v2 row_bcast:31 row_mask:0xf bank_mask:0xf
	v_mov_b32_dpp v10, v3 row_bcast:31 row_mask:0xf bank_mask:0xf
	;; [unrolled: 1-line block ×3, first 2 shown]
	v_cmp_lt_u32_e64 s[40:41], 31, v8
	s_and_saveexec_b64 s[44:45], s[40:41]
; %bb.219:
	v_cmp_eq_u16_e64 s[40:41], 0, v9
	v_and_b32_e32 v6, 1, v6
	v_cmp_eq_u32_e64 s[42:43], 1, v6
	v_cndmask_b32_e64 v11, 0, v10, s[40:41]
	v_cndmask_b32_e64 v10, 0, v7, s[40:41]
	v_and_b32_e32 v7, 1, v9
	v_cmp_eq_u32_e64 s[40:41], 1, v7
	s_or_b64 s[40:41], s[40:41], s[42:43]
	v_lshl_add_u64 v[2:3], v[10:11], 0, v[2:3]
	v_cndmask_b32_e64 v9, 0, 1, s[40:41]
; %bb.220:
	s_or_b64 exec, exec, s[44:45]
	v_or_b32_e32 v6, 63, v0
	v_lshrrev_b32_e32 v10, 6, v0
	v_cmp_eq_u32_e64 s[40:41], v6, v0
	s_and_saveexec_b64 s[42:43], s[40:41]
	s_cbranch_execz .LBB1573_222
; %bb.221:
	v_lshlrev_b32_e32 v6, 4, v10
	ds_write_b64 v6, v[2:3]
	ds_write_b8 v6, v9 offset:8
.LBB1573_222:
	s_or_b64 exec, exec, s[42:43]
	v_cmp_gt_u32_e64 s[40:41], 4, v0
	s_waitcnt lgkmcnt(0)
	s_barrier
	s_and_saveexec_b64 s[44:45], s[40:41]
	s_cbranch_execz .LBB1573_228
; %bb.223:
	v_lshlrev_b32_e32 v11, 4, v0
	ds_read_b64 v[6:7], v11
	ds_read_b32 v12, v11 offset:8
	v_and_b32_e32 v13, 3, v8
	v_cmp_ne_u32_e64 s[40:41], 0, v13
	s_waitcnt lgkmcnt(1)
	v_mov_b32_dpp v17, v6 row_shr:1 row_mask:0xf bank_mask:0xf
	v_mov_b32_dpp v18, v7 row_shr:1 row_mask:0xf bank_mask:0xf
	s_waitcnt lgkmcnt(0)
	v_mov_b32_dpp v16, v12 row_shr:1 row_mask:0xf bank_mask:0xf
	v_mov_b32_e32 v14, v12
	v_mov_b32_e32 v15, v12
	s_and_saveexec_b64 s[42:43], s[40:41]
; %bb.224:
	v_mov_b32_e32 v14, 0
	v_cmp_eq_u16_sdwa s[40:41], v12, v14 src0_sel:BYTE_0 src1_sel:DWORD
	s_nop 1
	v_cndmask_b32_e64 v15, 0, v18, s[40:41]
	v_cndmask_b32_e64 v14, 0, v17, s[40:41]
	v_lshl_add_u64 v[6:7], v[14:15], 0, v[6:7]
	v_or_b32_e32 v15, v16, v12
	v_and_b32_e32 v14, 1, v15
	v_and_b32_e32 v15, 1, v15
	s_movk_i32 s40, 0xff00
	v_and_or_b32 v12, v12, s40, v15
; %bb.225:
	s_or_b64 exec, exec, s[42:43]
	v_mov_b32_dpp v16, v6 row_shr:2 row_mask:0xf bank_mask:0xf
	v_mov_b32_dpp v17, v7 row_shr:2 row_mask:0xf bank_mask:0xf
	;; [unrolled: 1-line block ×3, first 2 shown]
	v_cmp_lt_u32_e64 s[40:41], 1, v13
	s_and_saveexec_b64 s[46:47], s[40:41]
; %bb.226:
	v_mov_b32_e32 v13, 0
	v_cmp_eq_u16_sdwa s[40:41], v15, v13 src0_sel:BYTE_0 src1_sel:DWORD
	v_and_b32_e32 v13, 1, v15
	v_and_b32_e32 v12, 1, v12
	v_cndmask_b32_e64 v17, 0, v17, s[40:41]
	v_cndmask_b32_e64 v16, 0, v16, s[40:41]
	v_cmp_eq_u32_e64 s[40:41], 1, v13
	v_cmp_eq_u32_e64 s[42:43], 1, v12
	s_or_b64 s[40:41], s[40:41], s[42:43]
	v_lshl_add_u64 v[6:7], v[16:17], 0, v[6:7]
	v_cndmask_b32_e64 v14, 0, 1, s[40:41]
; %bb.227:
	s_or_b64 exec, exec, s[46:47]
	ds_write_b64 v11, v[6:7]
	ds_write_b8 v11, v14 offset:8
.LBB1573_228:
	s_or_b64 exec, exec, s[44:45]
	v_cmp_lt_u32_e64 s[40:41], 63, v0
	s_waitcnt vmcnt(0)
	v_mov_b64_e32 v[6:7], v[4:5]
	s_waitcnt lgkmcnt(0)
	s_barrier
	s_and_saveexec_b64 s[42:43], s[40:41]
	s_cbranch_execz .LBB1573_230
; %bb.229:
	v_lshl_add_u32 v6, v10, 4, -16
	ds_read_u8 v10, v6 offset:8
	ds_read_b64 v[6:7], v6
	s_waitcnt lgkmcnt(1)
	v_cmp_eq_u16_e64 s[40:41], 0, v10
	s_nop 1
	v_cndmask_b32_e64 v11, 0, v5, s[40:41]
	v_cndmask_b32_e64 v10, 0, v4, s[40:41]
	s_waitcnt lgkmcnt(0)
	v_lshl_add_u64 v[6:7], v[10:11], 0, v[6:7]
.LBB1573_230:
	s_or_b64 exec, exec, s[42:43]
	v_cmp_eq_u16_e64 s[40:41], 0, v9
	v_add_u32_e32 v9, -1, v8
	s_nop 0
	v_cndmask_b32_e64 v11, 0, v7, s[40:41]
	v_cndmask_b32_e64 v10, 0, v6, s[40:41]
	v_lshl_add_u64 v[2:3], v[10:11], 0, v[2:3]
	v_and_b32_e32 v10, 64, v8
	v_cmp_lt_i32_e64 s[40:41], v9, v10
	v_mov_b32_e32 v10, 0
	v_cmp_eq_u16_sdwa s[42:43], v1, v10 src0_sel:BYTE_0 src1_sel:DWORD
	v_cndmask_b32_e64 v9, v9, v8, s[40:41]
	v_lshlrev_b32_e32 v9, 2, v9
	ds_bpermute_b32 v3, v9, v3
	ds_bpermute_b32 v2, v9, v2
	v_cmp_eq_u32_e64 s[40:41], 0, v8
	s_waitcnt lgkmcnt(1)
	s_nop 0
	v_cndmask_b32_e64 v83, v3, v7, s[40:41]
	s_waitcnt lgkmcnt(0)
	v_cndmask_b32_e64 v82, v2, v6, s[40:41]
	v_cmp_eq_u32_e64 s[40:41], 0, v0
	s_nop 1
	v_cndmask_b32_e64 v2, v82, v4, s[40:41]
	v_cndmask_b32_e64 v3, v83, v5, s[40:41]
	v_cndmask_b32_e64 v3, 0, v3, s[42:43]
	v_cndmask_b32_e64 v2, 0, v2, s[42:43]
	v_lshl_add_u64 v[6:7], v[2:3], 0, v[42:43]
	v_cndmask_b32_e32 v3, 0, v7, vcc
	v_cndmask_b32_e32 v2, 0, v6, vcc
	v_lshl_add_u64 v[2:3], v[2:3], 0, v[44:45]
	v_cndmask_b32_e64 v9, 0, v3, s[2:3]
	v_cndmask_b32_e64 v8, 0, v2, s[2:3]
	v_lshl_add_u64 v[84:85], v[8:9], 0, v[46:47]
	v_cndmask_b32_e64 v9, 0, v85, s[4:5]
	v_cndmask_b32_e64 v8, 0, v84, s[4:5]
	;; [unrolled: 3-line block ×18, first 2 shown]
	s_and_saveexec_b64 s[2:3], s[40:41]
	s_cbranch_execz .LBB1573_232
; %bb.231:
	ds_read_u8 v1, v10 offset:56
	ds_read_b64 v[14:15], v10 offset:48
	v_mov_b64_e32 v[82:83], v[4:5]
	s_waitcnt lgkmcnt(1)
	v_cmp_eq_u32_e32 vcc, 0, v1
	s_nop 1
	v_cndmask_b32_e32 v19, 0, v5, vcc
	v_cndmask_b32_e32 v18, 0, v4, vcc
	s_waitcnt lgkmcnt(0)
	v_lshl_add_u64 v[14:15], v[18:19], 0, v[14:15]
	global_store_dword v10, v14, s[50:51] offset:1024 sc1
	global_store_dword v10, v15, s[50:51] offset:1028 sc1
	;; [unrolled: 1-line block ×4, first 2 shown]
	v_mov_b32_e32 v1, 2
	s_waitcnt vmcnt(0)
	global_store_byte v10, v1, s[52:53] offset:64 sc1
.LBB1573_232:
	s_or_b64 exec, exec, s[2:3]
.LBB1573_233:
	s_add_u32 s2, s62, s56
	s_addc_u32 s3, s63, s57
	s_add_u32 s2, s2, s58
	v_lshl_add_u64 v[10:11], v[102:103], 0, v[40:41]
	s_addc_u32 s3, s3, s59
	s_and_b64 vcc, exec, s[0:1]
	v_lshlrev_b32_e32 v4, 3, v0
	s_cbranch_vccz .LBB1573_275
; %bb.234:
	s_movk_i32 s0, 0xa8
	v_mul_i32_i24_e32 v18, 0xffffff60, v0
	v_mul_u32_u24_e32 v1, 0xa8, v0
	v_mad_u32_u24 v5, v0, s0, v18
	s_barrier
	ds_write2_b64 v1, v[82:83], v[6:7] offset1:1
	ds_write2_b64 v1, v[2:3], v[84:85] offset0:2 offset1:3
	ds_write2_b64 v1, v[8:9], v[86:87] offset0:4 offset1:5
	;; [unrolled: 1-line block ×9, first 2 shown]
	ds_write_b64 v1, v[10:11] offset:160
	s_waitcnt lgkmcnt(0)
	s_barrier
	ds_read2st64_b64 v[74:77], v5 offset0:4 offset1:8
	ds_read2st64_b64 v[70:73], v5 offset0:12 offset1:16
	;; [unrolled: 1-line block ×10, first 2 shown]
	s_add_i32 s33, s33, s54
	v_mov_b32_e32 v5, 0
	v_lshl_add_u64 v[14:15], s[2:3], 0, v[4:5]
	v_cmp_gt_u32_e32 vcc, s33, v0
	s_and_saveexec_b64 s[0:1], vcc
	s_cbranch_execz .LBB1573_236
; %bb.235:
	v_add_u32_e32 v1, v1, v18
	ds_read_b64 v[18:19], v1
	s_waitcnt lgkmcnt(0)
	flat_store_dwordx2 v[14:15], v[18:19]
.LBB1573_236:
	s_or_b64 exec, exec, s[0:1]
	v_or_b32_e32 v1, 0x100, v0
	v_cmp_gt_u32_e32 vcc, s33, v1
	s_and_saveexec_b64 s[0:1], vcc
	s_cbranch_execz .LBB1573_238
; %bb.237:
	s_waitcnt lgkmcnt(0)
	flat_store_dwordx2 v[14:15], v[74:75] offset:2048
.LBB1573_238:
	s_or_b64 exec, exec, s[0:1]
	v_or_b32_e32 v1, 0x200, v0
	v_cmp_gt_u32_e32 vcc, s33, v1
	s_and_saveexec_b64 s[0:1], vcc
	s_cbranch_execz .LBB1573_240
; %bb.239:
	v_add_co_u32_e32 v18, vcc, 0x1000, v14
	s_nop 1
	v_addc_co_u32_e32 v19, vcc, 0, v15, vcc
	s_waitcnt lgkmcnt(0)
	flat_store_dwordx2 v[18:19], v[76:77]
.LBB1573_240:
	s_or_b64 exec, exec, s[0:1]
	v_or_b32_e32 v1, 0x300, v0
	v_cmp_gt_u32_e32 vcc, s33, v1
	s_and_saveexec_b64 s[0:1], vcc
	s_cbranch_execz .LBB1573_242
; %bb.241:
	v_add_co_u32_e32 v18, vcc, 0x1000, v14
	s_nop 1
	v_addc_co_u32_e32 v19, vcc, 0, v15, vcc
	s_waitcnt lgkmcnt(0)
	flat_store_dwordx2 v[18:19], v[70:71] offset:2048
.LBB1573_242:
	s_or_b64 exec, exec, s[0:1]
	v_or_b32_e32 v1, 0x400, v0
	v_cmp_gt_u32_e32 vcc, s33, v1
	s_and_saveexec_b64 s[0:1], vcc
	s_cbranch_execz .LBB1573_244
; %bb.243:
	v_add_co_u32_e32 v18, vcc, 0x2000, v14
	s_nop 1
	v_addc_co_u32_e32 v19, vcc, 0, v15, vcc
	s_waitcnt lgkmcnt(0)
	flat_store_dwordx2 v[18:19], v[72:73]
.LBB1573_244:
	s_or_b64 exec, exec, s[0:1]
	v_or_b32_e32 v1, 0x500, v0
	v_cmp_gt_u32_e32 vcc, s33, v1
	s_and_saveexec_b64 s[0:1], vcc
	s_cbranch_execz .LBB1573_246
; %bb.245:
	v_add_co_u32_e32 v18, vcc, 0x2000, v14
	s_nop 1
	v_addc_co_u32_e32 v19, vcc, 0, v15, vcc
	s_waitcnt lgkmcnt(0)
	flat_store_dwordx2 v[18:19], v[66:67] offset:2048
.LBB1573_246:
	;; [unrolled: 24-line block ×9, first 2 shown]
	s_or_b64 exec, exec, s[0:1]
	v_mov_b32_e32 v1, v5
	v_or_b32_e32 v5, 0x1400, v0
	v_cmp_gt_u32_e64 s[0:1], s33, v5
	s_branch .LBB1573_277
.LBB1573_275:
	s_mov_b64 s[0:1], 0
                                        ; implicit-def: $vgpr40_vgpr41
	s_cbranch_execz .LBB1573_277
; %bb.276:
	v_mul_u32_u24_e32 v1, 0xa8, v0
	s_waitcnt lgkmcnt(0)
	s_barrier
	s_movk_i32 s4, 0xa8
	ds_write2_b64 v1, v[82:83], v[6:7] offset1:1
	ds_write2_b64 v1, v[2:3], v[84:85] offset0:2 offset1:3
	ds_write2_b64 v1, v[8:9], v[86:87] offset0:4 offset1:5
	;; [unrolled: 1-line block ×9, first 2 shown]
	ds_write_b64 v1, v[10:11] offset:160
	v_mov_b32_e32 v1, 0
	v_mul_i32_i24_e32 v2, 0xffffff60, v0
	v_mad_u32_u24 v2, v0, s4, v2
	v_mov_b32_e32 v5, v1
	s_waitcnt lgkmcnt(0)
	s_barrier
	ds_read2st64_b64 v[6:9], v2 offset1:4
	ds_read2st64_b64 v[10:13], v2 offset0:8 offset1:12
	ds_read2st64_b64 v[14:17], v2 offset0:16 offset1:20
	;; [unrolled: 1-line block ×9, first 2 shown]
	ds_read_b64 v[40:41], v2 offset:40960
	v_lshl_add_u64 v[2:3], s[2:3], 0, v[4:5]
	s_movk_i32 s4, 0x1000
	v_add_co_u32_e32 v4, vcc, s4, v2
	s_movk_i32 s4, 0x2000
	s_nop 0
	v_addc_co_u32_e32 v5, vcc, 0, v3, vcc
	s_waitcnt lgkmcnt(0)
	flat_store_dwordx2 v[2:3], v[6:7]
	flat_store_dwordx2 v[2:3], v[8:9] offset:2048
	flat_store_dwordx2 v[4:5], v[10:11]
	flat_store_dwordx2 v[4:5], v[12:13] offset:2048
	v_add_co_u32_e32 v4, vcc, s4, v2
	s_movk_i32 s4, 0x3000
	s_nop 0
	v_addc_co_u32_e32 v5, vcc, 0, v3, vcc
	flat_store_dwordx2 v[4:5], v[14:15]
	flat_store_dwordx2 v[4:5], v[16:17] offset:2048
	v_add_co_u32_e32 v4, vcc, s4, v2
	s_movk_i32 s4, 0x4000
	s_nop 0
	v_addc_co_u32_e32 v5, vcc, 0, v3, vcc
	;; [unrolled: 6-line block ×5, first 2 shown]
	flat_store_dwordx2 v[4:5], v[30:31]
	flat_store_dwordx2 v[4:5], v[32:33] offset:2048
	v_add_co_u32_e32 v4, vcc, s4, v2
	s_or_b64 s[0:1], s[0:1], exec
	s_nop 0
	v_addc_co_u32_e32 v5, vcc, 0, v3, vcc
	flat_store_dwordx2 v[4:5], v[34:35]
	flat_store_dwordx2 v[4:5], v[36:37] offset:2048
	v_add_co_u32_e32 v4, vcc, 0x8000, v2
	s_nop 1
	v_addc_co_u32_e32 v5, vcc, 0, v3, vcc
	v_add_co_u32_e32 v2, vcc, 0x9000, v2
	flat_store_dwordx2 v[4:5], v[42:43]
	flat_store_dwordx2 v[4:5], v[44:45] offset:2048
	v_addc_co_u32_e32 v3, vcc, 0, v3, vcc
	flat_store_dwordx2 v[2:3], v[46:47]
	flat_store_dwordx2 v[2:3], v[48:49] offset:2048
.LBB1573_277:
	s_and_saveexec_b64 s[4:5], s[0:1]
	s_cbranch_execz .LBB1573_279
; %bb.278:
	v_lshl_add_u64 v[0:1], v[0:1], 3, s[2:3]
	v_add_co_u32_e32 v0, vcc, 0xa000, v0
	s_nop 1
	v_addc_co_u32_e32 v1, vcc, 0, v1, vcc
	s_waitcnt lgkmcnt(0)
	flat_store_dwordx2 v[0:1], v[40:41]
	s_endpgm
.LBB1573_279:
	s_endpgm
	.section	.rodata,"a",@progbits
	.p2align	6, 0x0
	.amdhsa_kernel _ZN7rocprim17ROCPRIM_400000_NS6detail17trampoline_kernelINS0_14default_configENS1_27scan_by_key_config_selectorIixEEZZNS1_16scan_by_key_implILNS1_25lookback_scan_determinismE0ELb1ES3_N6thrust23THRUST_200600_302600_NS6detail15normal_iteratorINS9_10device_ptrIiEEEENSB_INSC_IxEEEESG_xNS9_4plusIvEENS9_8equal_toIvEExEE10hipError_tPvRmT2_T3_T4_T5_mT6_T7_P12ihipStream_tbENKUlT_T0_E_clISt17integral_constantIbLb0EES11_EEDaSW_SX_EUlSW_E_NS1_11comp_targetILNS1_3genE5ELNS1_11target_archE942ELNS1_3gpuE9ELNS1_3repE0EEENS1_30default_config_static_selectorELNS0_4arch9wavefront6targetE1EEEvT1_
		.amdhsa_group_segment_fixed_size 43008
		.amdhsa_private_segment_fixed_size 0
		.amdhsa_kernarg_size 136
		.amdhsa_user_sgpr_count 2
		.amdhsa_user_sgpr_dispatch_ptr 0
		.amdhsa_user_sgpr_queue_ptr 0
		.amdhsa_user_sgpr_kernarg_segment_ptr 1
		.amdhsa_user_sgpr_dispatch_id 0
		.amdhsa_user_sgpr_kernarg_preload_length 0
		.amdhsa_user_sgpr_kernarg_preload_offset 0
		.amdhsa_user_sgpr_private_segment_size 0
		.amdhsa_uses_dynamic_stack 0
		.amdhsa_enable_private_segment 0
		.amdhsa_system_sgpr_workgroup_id_x 1
		.amdhsa_system_sgpr_workgroup_id_y 0
		.amdhsa_system_sgpr_workgroup_id_z 0
		.amdhsa_system_sgpr_workgroup_info 0
		.amdhsa_system_vgpr_workitem_id 0
		.amdhsa_next_free_vgpr 126
		.amdhsa_next_free_sgpr 78
		.amdhsa_accum_offset 128
		.amdhsa_reserve_vcc 1
		.amdhsa_float_round_mode_32 0
		.amdhsa_float_round_mode_16_64 0
		.amdhsa_float_denorm_mode_32 3
		.amdhsa_float_denorm_mode_16_64 3
		.amdhsa_dx10_clamp 1
		.amdhsa_ieee_mode 1
		.amdhsa_fp16_overflow 0
		.amdhsa_tg_split 0
		.amdhsa_exception_fp_ieee_invalid_op 0
		.amdhsa_exception_fp_denorm_src 0
		.amdhsa_exception_fp_ieee_div_zero 0
		.amdhsa_exception_fp_ieee_overflow 0
		.amdhsa_exception_fp_ieee_underflow 0
		.amdhsa_exception_fp_ieee_inexact 0
		.amdhsa_exception_int_div_zero 0
	.end_amdhsa_kernel
	.section	.text._ZN7rocprim17ROCPRIM_400000_NS6detail17trampoline_kernelINS0_14default_configENS1_27scan_by_key_config_selectorIixEEZZNS1_16scan_by_key_implILNS1_25lookback_scan_determinismE0ELb1ES3_N6thrust23THRUST_200600_302600_NS6detail15normal_iteratorINS9_10device_ptrIiEEEENSB_INSC_IxEEEESG_xNS9_4plusIvEENS9_8equal_toIvEExEE10hipError_tPvRmT2_T3_T4_T5_mT6_T7_P12ihipStream_tbENKUlT_T0_E_clISt17integral_constantIbLb0EES11_EEDaSW_SX_EUlSW_E_NS1_11comp_targetILNS1_3genE5ELNS1_11target_archE942ELNS1_3gpuE9ELNS1_3repE0EEENS1_30default_config_static_selectorELNS0_4arch9wavefront6targetE1EEEvT1_,"axG",@progbits,_ZN7rocprim17ROCPRIM_400000_NS6detail17trampoline_kernelINS0_14default_configENS1_27scan_by_key_config_selectorIixEEZZNS1_16scan_by_key_implILNS1_25lookback_scan_determinismE0ELb1ES3_N6thrust23THRUST_200600_302600_NS6detail15normal_iteratorINS9_10device_ptrIiEEEENSB_INSC_IxEEEESG_xNS9_4plusIvEENS9_8equal_toIvEExEE10hipError_tPvRmT2_T3_T4_T5_mT6_T7_P12ihipStream_tbENKUlT_T0_E_clISt17integral_constantIbLb0EES11_EEDaSW_SX_EUlSW_E_NS1_11comp_targetILNS1_3genE5ELNS1_11target_archE942ELNS1_3gpuE9ELNS1_3repE0EEENS1_30default_config_static_selectorELNS0_4arch9wavefront6targetE1EEEvT1_,comdat
.Lfunc_end1573:
	.size	_ZN7rocprim17ROCPRIM_400000_NS6detail17trampoline_kernelINS0_14default_configENS1_27scan_by_key_config_selectorIixEEZZNS1_16scan_by_key_implILNS1_25lookback_scan_determinismE0ELb1ES3_N6thrust23THRUST_200600_302600_NS6detail15normal_iteratorINS9_10device_ptrIiEEEENSB_INSC_IxEEEESG_xNS9_4plusIvEENS9_8equal_toIvEExEE10hipError_tPvRmT2_T3_T4_T5_mT6_T7_P12ihipStream_tbENKUlT_T0_E_clISt17integral_constantIbLb0EES11_EEDaSW_SX_EUlSW_E_NS1_11comp_targetILNS1_3genE5ELNS1_11target_archE942ELNS1_3gpuE9ELNS1_3repE0EEENS1_30default_config_static_selectorELNS0_4arch9wavefront6targetE1EEEvT1_, .Lfunc_end1573-_ZN7rocprim17ROCPRIM_400000_NS6detail17trampoline_kernelINS0_14default_configENS1_27scan_by_key_config_selectorIixEEZZNS1_16scan_by_key_implILNS1_25lookback_scan_determinismE0ELb1ES3_N6thrust23THRUST_200600_302600_NS6detail15normal_iteratorINS9_10device_ptrIiEEEENSB_INSC_IxEEEESG_xNS9_4plusIvEENS9_8equal_toIvEExEE10hipError_tPvRmT2_T3_T4_T5_mT6_T7_P12ihipStream_tbENKUlT_T0_E_clISt17integral_constantIbLb0EES11_EEDaSW_SX_EUlSW_E_NS1_11comp_targetILNS1_3genE5ELNS1_11target_archE942ELNS1_3gpuE9ELNS1_3repE0EEENS1_30default_config_static_selectorELNS0_4arch9wavefront6targetE1EEEvT1_
                                        ; -- End function
	.section	.AMDGPU.csdata,"",@progbits
; Kernel info:
; codeLenInByte = 17068
; NumSgprs: 84
; NumVgprs: 126
; NumAgprs: 0
; TotalNumVgprs: 126
; ScratchSize: 0
; MemoryBound: 0
; FloatMode: 240
; IeeeMode: 1
; LDSByteSize: 43008 bytes/workgroup (compile time only)
; SGPRBlocks: 10
; VGPRBlocks: 15
; NumSGPRsForWavesPerEU: 84
; NumVGPRsForWavesPerEU: 126
; AccumOffset: 128
; Occupancy: 1
; WaveLimiterHint : 1
; COMPUTE_PGM_RSRC2:SCRATCH_EN: 0
; COMPUTE_PGM_RSRC2:USER_SGPR: 2
; COMPUTE_PGM_RSRC2:TRAP_HANDLER: 0
; COMPUTE_PGM_RSRC2:TGID_X_EN: 1
; COMPUTE_PGM_RSRC2:TGID_Y_EN: 0
; COMPUTE_PGM_RSRC2:TGID_Z_EN: 0
; COMPUTE_PGM_RSRC2:TIDIG_COMP_CNT: 0
; COMPUTE_PGM_RSRC3_GFX90A:ACCUM_OFFSET: 31
; COMPUTE_PGM_RSRC3_GFX90A:TG_SPLIT: 0
	.section	.text._ZN7rocprim17ROCPRIM_400000_NS6detail17trampoline_kernelINS0_14default_configENS1_27scan_by_key_config_selectorIixEEZZNS1_16scan_by_key_implILNS1_25lookback_scan_determinismE0ELb1ES3_N6thrust23THRUST_200600_302600_NS6detail15normal_iteratorINS9_10device_ptrIiEEEENSB_INSC_IxEEEESG_xNS9_4plusIvEENS9_8equal_toIvEExEE10hipError_tPvRmT2_T3_T4_T5_mT6_T7_P12ihipStream_tbENKUlT_T0_E_clISt17integral_constantIbLb0EES11_EEDaSW_SX_EUlSW_E_NS1_11comp_targetILNS1_3genE4ELNS1_11target_archE910ELNS1_3gpuE8ELNS1_3repE0EEENS1_30default_config_static_selectorELNS0_4arch9wavefront6targetE1EEEvT1_,"axG",@progbits,_ZN7rocprim17ROCPRIM_400000_NS6detail17trampoline_kernelINS0_14default_configENS1_27scan_by_key_config_selectorIixEEZZNS1_16scan_by_key_implILNS1_25lookback_scan_determinismE0ELb1ES3_N6thrust23THRUST_200600_302600_NS6detail15normal_iteratorINS9_10device_ptrIiEEEENSB_INSC_IxEEEESG_xNS9_4plusIvEENS9_8equal_toIvEExEE10hipError_tPvRmT2_T3_T4_T5_mT6_T7_P12ihipStream_tbENKUlT_T0_E_clISt17integral_constantIbLb0EES11_EEDaSW_SX_EUlSW_E_NS1_11comp_targetILNS1_3genE4ELNS1_11target_archE910ELNS1_3gpuE8ELNS1_3repE0EEENS1_30default_config_static_selectorELNS0_4arch9wavefront6targetE1EEEvT1_,comdat
	.protected	_ZN7rocprim17ROCPRIM_400000_NS6detail17trampoline_kernelINS0_14default_configENS1_27scan_by_key_config_selectorIixEEZZNS1_16scan_by_key_implILNS1_25lookback_scan_determinismE0ELb1ES3_N6thrust23THRUST_200600_302600_NS6detail15normal_iteratorINS9_10device_ptrIiEEEENSB_INSC_IxEEEESG_xNS9_4plusIvEENS9_8equal_toIvEExEE10hipError_tPvRmT2_T3_T4_T5_mT6_T7_P12ihipStream_tbENKUlT_T0_E_clISt17integral_constantIbLb0EES11_EEDaSW_SX_EUlSW_E_NS1_11comp_targetILNS1_3genE4ELNS1_11target_archE910ELNS1_3gpuE8ELNS1_3repE0EEENS1_30default_config_static_selectorELNS0_4arch9wavefront6targetE1EEEvT1_ ; -- Begin function _ZN7rocprim17ROCPRIM_400000_NS6detail17trampoline_kernelINS0_14default_configENS1_27scan_by_key_config_selectorIixEEZZNS1_16scan_by_key_implILNS1_25lookback_scan_determinismE0ELb1ES3_N6thrust23THRUST_200600_302600_NS6detail15normal_iteratorINS9_10device_ptrIiEEEENSB_INSC_IxEEEESG_xNS9_4plusIvEENS9_8equal_toIvEExEE10hipError_tPvRmT2_T3_T4_T5_mT6_T7_P12ihipStream_tbENKUlT_T0_E_clISt17integral_constantIbLb0EES11_EEDaSW_SX_EUlSW_E_NS1_11comp_targetILNS1_3genE4ELNS1_11target_archE910ELNS1_3gpuE8ELNS1_3repE0EEENS1_30default_config_static_selectorELNS0_4arch9wavefront6targetE1EEEvT1_
	.globl	_ZN7rocprim17ROCPRIM_400000_NS6detail17trampoline_kernelINS0_14default_configENS1_27scan_by_key_config_selectorIixEEZZNS1_16scan_by_key_implILNS1_25lookback_scan_determinismE0ELb1ES3_N6thrust23THRUST_200600_302600_NS6detail15normal_iteratorINS9_10device_ptrIiEEEENSB_INSC_IxEEEESG_xNS9_4plusIvEENS9_8equal_toIvEExEE10hipError_tPvRmT2_T3_T4_T5_mT6_T7_P12ihipStream_tbENKUlT_T0_E_clISt17integral_constantIbLb0EES11_EEDaSW_SX_EUlSW_E_NS1_11comp_targetILNS1_3genE4ELNS1_11target_archE910ELNS1_3gpuE8ELNS1_3repE0EEENS1_30default_config_static_selectorELNS0_4arch9wavefront6targetE1EEEvT1_
	.p2align	8
	.type	_ZN7rocprim17ROCPRIM_400000_NS6detail17trampoline_kernelINS0_14default_configENS1_27scan_by_key_config_selectorIixEEZZNS1_16scan_by_key_implILNS1_25lookback_scan_determinismE0ELb1ES3_N6thrust23THRUST_200600_302600_NS6detail15normal_iteratorINS9_10device_ptrIiEEEENSB_INSC_IxEEEESG_xNS9_4plusIvEENS9_8equal_toIvEExEE10hipError_tPvRmT2_T3_T4_T5_mT6_T7_P12ihipStream_tbENKUlT_T0_E_clISt17integral_constantIbLb0EES11_EEDaSW_SX_EUlSW_E_NS1_11comp_targetILNS1_3genE4ELNS1_11target_archE910ELNS1_3gpuE8ELNS1_3repE0EEENS1_30default_config_static_selectorELNS0_4arch9wavefront6targetE1EEEvT1_,@function
_ZN7rocprim17ROCPRIM_400000_NS6detail17trampoline_kernelINS0_14default_configENS1_27scan_by_key_config_selectorIixEEZZNS1_16scan_by_key_implILNS1_25lookback_scan_determinismE0ELb1ES3_N6thrust23THRUST_200600_302600_NS6detail15normal_iteratorINS9_10device_ptrIiEEEENSB_INSC_IxEEEESG_xNS9_4plusIvEENS9_8equal_toIvEExEE10hipError_tPvRmT2_T3_T4_T5_mT6_T7_P12ihipStream_tbENKUlT_T0_E_clISt17integral_constantIbLb0EES11_EEDaSW_SX_EUlSW_E_NS1_11comp_targetILNS1_3genE4ELNS1_11target_archE910ELNS1_3gpuE8ELNS1_3repE0EEENS1_30default_config_static_selectorELNS0_4arch9wavefront6targetE1EEEvT1_: ; @_ZN7rocprim17ROCPRIM_400000_NS6detail17trampoline_kernelINS0_14default_configENS1_27scan_by_key_config_selectorIixEEZZNS1_16scan_by_key_implILNS1_25lookback_scan_determinismE0ELb1ES3_N6thrust23THRUST_200600_302600_NS6detail15normal_iteratorINS9_10device_ptrIiEEEENSB_INSC_IxEEEESG_xNS9_4plusIvEENS9_8equal_toIvEExEE10hipError_tPvRmT2_T3_T4_T5_mT6_T7_P12ihipStream_tbENKUlT_T0_E_clISt17integral_constantIbLb0EES11_EEDaSW_SX_EUlSW_E_NS1_11comp_targetILNS1_3genE4ELNS1_11target_archE910ELNS1_3gpuE8ELNS1_3repE0EEENS1_30default_config_static_selectorELNS0_4arch9wavefront6targetE1EEEvT1_
; %bb.0:
	.section	.rodata,"a",@progbits
	.p2align	6, 0x0
	.amdhsa_kernel _ZN7rocprim17ROCPRIM_400000_NS6detail17trampoline_kernelINS0_14default_configENS1_27scan_by_key_config_selectorIixEEZZNS1_16scan_by_key_implILNS1_25lookback_scan_determinismE0ELb1ES3_N6thrust23THRUST_200600_302600_NS6detail15normal_iteratorINS9_10device_ptrIiEEEENSB_INSC_IxEEEESG_xNS9_4plusIvEENS9_8equal_toIvEExEE10hipError_tPvRmT2_T3_T4_T5_mT6_T7_P12ihipStream_tbENKUlT_T0_E_clISt17integral_constantIbLb0EES11_EEDaSW_SX_EUlSW_E_NS1_11comp_targetILNS1_3genE4ELNS1_11target_archE910ELNS1_3gpuE8ELNS1_3repE0EEENS1_30default_config_static_selectorELNS0_4arch9wavefront6targetE1EEEvT1_
		.amdhsa_group_segment_fixed_size 0
		.amdhsa_private_segment_fixed_size 0
		.amdhsa_kernarg_size 136
		.amdhsa_user_sgpr_count 2
		.amdhsa_user_sgpr_dispatch_ptr 0
		.amdhsa_user_sgpr_queue_ptr 0
		.amdhsa_user_sgpr_kernarg_segment_ptr 1
		.amdhsa_user_sgpr_dispatch_id 0
		.amdhsa_user_sgpr_kernarg_preload_length 0
		.amdhsa_user_sgpr_kernarg_preload_offset 0
		.amdhsa_user_sgpr_private_segment_size 0
		.amdhsa_uses_dynamic_stack 0
		.amdhsa_enable_private_segment 0
		.amdhsa_system_sgpr_workgroup_id_x 1
		.amdhsa_system_sgpr_workgroup_id_y 0
		.amdhsa_system_sgpr_workgroup_id_z 0
		.amdhsa_system_sgpr_workgroup_info 0
		.amdhsa_system_vgpr_workitem_id 0
		.amdhsa_next_free_vgpr 1
		.amdhsa_next_free_sgpr 0
		.amdhsa_accum_offset 4
		.amdhsa_reserve_vcc 0
		.amdhsa_float_round_mode_32 0
		.amdhsa_float_round_mode_16_64 0
		.amdhsa_float_denorm_mode_32 3
		.amdhsa_float_denorm_mode_16_64 3
		.amdhsa_dx10_clamp 1
		.amdhsa_ieee_mode 1
		.amdhsa_fp16_overflow 0
		.amdhsa_tg_split 0
		.amdhsa_exception_fp_ieee_invalid_op 0
		.amdhsa_exception_fp_denorm_src 0
		.amdhsa_exception_fp_ieee_div_zero 0
		.amdhsa_exception_fp_ieee_overflow 0
		.amdhsa_exception_fp_ieee_underflow 0
		.amdhsa_exception_fp_ieee_inexact 0
		.amdhsa_exception_int_div_zero 0
	.end_amdhsa_kernel
	.section	.text._ZN7rocprim17ROCPRIM_400000_NS6detail17trampoline_kernelINS0_14default_configENS1_27scan_by_key_config_selectorIixEEZZNS1_16scan_by_key_implILNS1_25lookback_scan_determinismE0ELb1ES3_N6thrust23THRUST_200600_302600_NS6detail15normal_iteratorINS9_10device_ptrIiEEEENSB_INSC_IxEEEESG_xNS9_4plusIvEENS9_8equal_toIvEExEE10hipError_tPvRmT2_T3_T4_T5_mT6_T7_P12ihipStream_tbENKUlT_T0_E_clISt17integral_constantIbLb0EES11_EEDaSW_SX_EUlSW_E_NS1_11comp_targetILNS1_3genE4ELNS1_11target_archE910ELNS1_3gpuE8ELNS1_3repE0EEENS1_30default_config_static_selectorELNS0_4arch9wavefront6targetE1EEEvT1_,"axG",@progbits,_ZN7rocprim17ROCPRIM_400000_NS6detail17trampoline_kernelINS0_14default_configENS1_27scan_by_key_config_selectorIixEEZZNS1_16scan_by_key_implILNS1_25lookback_scan_determinismE0ELb1ES3_N6thrust23THRUST_200600_302600_NS6detail15normal_iteratorINS9_10device_ptrIiEEEENSB_INSC_IxEEEESG_xNS9_4plusIvEENS9_8equal_toIvEExEE10hipError_tPvRmT2_T3_T4_T5_mT6_T7_P12ihipStream_tbENKUlT_T0_E_clISt17integral_constantIbLb0EES11_EEDaSW_SX_EUlSW_E_NS1_11comp_targetILNS1_3genE4ELNS1_11target_archE910ELNS1_3gpuE8ELNS1_3repE0EEENS1_30default_config_static_selectorELNS0_4arch9wavefront6targetE1EEEvT1_,comdat
.Lfunc_end1574:
	.size	_ZN7rocprim17ROCPRIM_400000_NS6detail17trampoline_kernelINS0_14default_configENS1_27scan_by_key_config_selectorIixEEZZNS1_16scan_by_key_implILNS1_25lookback_scan_determinismE0ELb1ES3_N6thrust23THRUST_200600_302600_NS6detail15normal_iteratorINS9_10device_ptrIiEEEENSB_INSC_IxEEEESG_xNS9_4plusIvEENS9_8equal_toIvEExEE10hipError_tPvRmT2_T3_T4_T5_mT6_T7_P12ihipStream_tbENKUlT_T0_E_clISt17integral_constantIbLb0EES11_EEDaSW_SX_EUlSW_E_NS1_11comp_targetILNS1_3genE4ELNS1_11target_archE910ELNS1_3gpuE8ELNS1_3repE0EEENS1_30default_config_static_selectorELNS0_4arch9wavefront6targetE1EEEvT1_, .Lfunc_end1574-_ZN7rocprim17ROCPRIM_400000_NS6detail17trampoline_kernelINS0_14default_configENS1_27scan_by_key_config_selectorIixEEZZNS1_16scan_by_key_implILNS1_25lookback_scan_determinismE0ELb1ES3_N6thrust23THRUST_200600_302600_NS6detail15normal_iteratorINS9_10device_ptrIiEEEENSB_INSC_IxEEEESG_xNS9_4plusIvEENS9_8equal_toIvEExEE10hipError_tPvRmT2_T3_T4_T5_mT6_T7_P12ihipStream_tbENKUlT_T0_E_clISt17integral_constantIbLb0EES11_EEDaSW_SX_EUlSW_E_NS1_11comp_targetILNS1_3genE4ELNS1_11target_archE910ELNS1_3gpuE8ELNS1_3repE0EEENS1_30default_config_static_selectorELNS0_4arch9wavefront6targetE1EEEvT1_
                                        ; -- End function
	.section	.AMDGPU.csdata,"",@progbits
; Kernel info:
; codeLenInByte = 0
; NumSgprs: 6
; NumVgprs: 0
; NumAgprs: 0
; TotalNumVgprs: 0
; ScratchSize: 0
; MemoryBound: 0
; FloatMode: 240
; IeeeMode: 1
; LDSByteSize: 0 bytes/workgroup (compile time only)
; SGPRBlocks: 0
; VGPRBlocks: 0
; NumSGPRsForWavesPerEU: 6
; NumVGPRsForWavesPerEU: 1
; AccumOffset: 4
; Occupancy: 8
; WaveLimiterHint : 0
; COMPUTE_PGM_RSRC2:SCRATCH_EN: 0
; COMPUTE_PGM_RSRC2:USER_SGPR: 2
; COMPUTE_PGM_RSRC2:TRAP_HANDLER: 0
; COMPUTE_PGM_RSRC2:TGID_X_EN: 1
; COMPUTE_PGM_RSRC2:TGID_Y_EN: 0
; COMPUTE_PGM_RSRC2:TGID_Z_EN: 0
; COMPUTE_PGM_RSRC2:TIDIG_COMP_CNT: 0
; COMPUTE_PGM_RSRC3_GFX90A:ACCUM_OFFSET: 0
; COMPUTE_PGM_RSRC3_GFX90A:TG_SPLIT: 0
	.section	.text._ZN7rocprim17ROCPRIM_400000_NS6detail17trampoline_kernelINS0_14default_configENS1_27scan_by_key_config_selectorIixEEZZNS1_16scan_by_key_implILNS1_25lookback_scan_determinismE0ELb1ES3_N6thrust23THRUST_200600_302600_NS6detail15normal_iteratorINS9_10device_ptrIiEEEENSB_INSC_IxEEEESG_xNS9_4plusIvEENS9_8equal_toIvEExEE10hipError_tPvRmT2_T3_T4_T5_mT6_T7_P12ihipStream_tbENKUlT_T0_E_clISt17integral_constantIbLb0EES11_EEDaSW_SX_EUlSW_E_NS1_11comp_targetILNS1_3genE3ELNS1_11target_archE908ELNS1_3gpuE7ELNS1_3repE0EEENS1_30default_config_static_selectorELNS0_4arch9wavefront6targetE1EEEvT1_,"axG",@progbits,_ZN7rocprim17ROCPRIM_400000_NS6detail17trampoline_kernelINS0_14default_configENS1_27scan_by_key_config_selectorIixEEZZNS1_16scan_by_key_implILNS1_25lookback_scan_determinismE0ELb1ES3_N6thrust23THRUST_200600_302600_NS6detail15normal_iteratorINS9_10device_ptrIiEEEENSB_INSC_IxEEEESG_xNS9_4plusIvEENS9_8equal_toIvEExEE10hipError_tPvRmT2_T3_T4_T5_mT6_T7_P12ihipStream_tbENKUlT_T0_E_clISt17integral_constantIbLb0EES11_EEDaSW_SX_EUlSW_E_NS1_11comp_targetILNS1_3genE3ELNS1_11target_archE908ELNS1_3gpuE7ELNS1_3repE0EEENS1_30default_config_static_selectorELNS0_4arch9wavefront6targetE1EEEvT1_,comdat
	.protected	_ZN7rocprim17ROCPRIM_400000_NS6detail17trampoline_kernelINS0_14default_configENS1_27scan_by_key_config_selectorIixEEZZNS1_16scan_by_key_implILNS1_25lookback_scan_determinismE0ELb1ES3_N6thrust23THRUST_200600_302600_NS6detail15normal_iteratorINS9_10device_ptrIiEEEENSB_INSC_IxEEEESG_xNS9_4plusIvEENS9_8equal_toIvEExEE10hipError_tPvRmT2_T3_T4_T5_mT6_T7_P12ihipStream_tbENKUlT_T0_E_clISt17integral_constantIbLb0EES11_EEDaSW_SX_EUlSW_E_NS1_11comp_targetILNS1_3genE3ELNS1_11target_archE908ELNS1_3gpuE7ELNS1_3repE0EEENS1_30default_config_static_selectorELNS0_4arch9wavefront6targetE1EEEvT1_ ; -- Begin function _ZN7rocprim17ROCPRIM_400000_NS6detail17trampoline_kernelINS0_14default_configENS1_27scan_by_key_config_selectorIixEEZZNS1_16scan_by_key_implILNS1_25lookback_scan_determinismE0ELb1ES3_N6thrust23THRUST_200600_302600_NS6detail15normal_iteratorINS9_10device_ptrIiEEEENSB_INSC_IxEEEESG_xNS9_4plusIvEENS9_8equal_toIvEExEE10hipError_tPvRmT2_T3_T4_T5_mT6_T7_P12ihipStream_tbENKUlT_T0_E_clISt17integral_constantIbLb0EES11_EEDaSW_SX_EUlSW_E_NS1_11comp_targetILNS1_3genE3ELNS1_11target_archE908ELNS1_3gpuE7ELNS1_3repE0EEENS1_30default_config_static_selectorELNS0_4arch9wavefront6targetE1EEEvT1_
	.globl	_ZN7rocprim17ROCPRIM_400000_NS6detail17trampoline_kernelINS0_14default_configENS1_27scan_by_key_config_selectorIixEEZZNS1_16scan_by_key_implILNS1_25lookback_scan_determinismE0ELb1ES3_N6thrust23THRUST_200600_302600_NS6detail15normal_iteratorINS9_10device_ptrIiEEEENSB_INSC_IxEEEESG_xNS9_4plusIvEENS9_8equal_toIvEExEE10hipError_tPvRmT2_T3_T4_T5_mT6_T7_P12ihipStream_tbENKUlT_T0_E_clISt17integral_constantIbLb0EES11_EEDaSW_SX_EUlSW_E_NS1_11comp_targetILNS1_3genE3ELNS1_11target_archE908ELNS1_3gpuE7ELNS1_3repE0EEENS1_30default_config_static_selectorELNS0_4arch9wavefront6targetE1EEEvT1_
	.p2align	8
	.type	_ZN7rocprim17ROCPRIM_400000_NS6detail17trampoline_kernelINS0_14default_configENS1_27scan_by_key_config_selectorIixEEZZNS1_16scan_by_key_implILNS1_25lookback_scan_determinismE0ELb1ES3_N6thrust23THRUST_200600_302600_NS6detail15normal_iteratorINS9_10device_ptrIiEEEENSB_INSC_IxEEEESG_xNS9_4plusIvEENS9_8equal_toIvEExEE10hipError_tPvRmT2_T3_T4_T5_mT6_T7_P12ihipStream_tbENKUlT_T0_E_clISt17integral_constantIbLb0EES11_EEDaSW_SX_EUlSW_E_NS1_11comp_targetILNS1_3genE3ELNS1_11target_archE908ELNS1_3gpuE7ELNS1_3repE0EEENS1_30default_config_static_selectorELNS0_4arch9wavefront6targetE1EEEvT1_,@function
_ZN7rocprim17ROCPRIM_400000_NS6detail17trampoline_kernelINS0_14default_configENS1_27scan_by_key_config_selectorIixEEZZNS1_16scan_by_key_implILNS1_25lookback_scan_determinismE0ELb1ES3_N6thrust23THRUST_200600_302600_NS6detail15normal_iteratorINS9_10device_ptrIiEEEENSB_INSC_IxEEEESG_xNS9_4plusIvEENS9_8equal_toIvEExEE10hipError_tPvRmT2_T3_T4_T5_mT6_T7_P12ihipStream_tbENKUlT_T0_E_clISt17integral_constantIbLb0EES11_EEDaSW_SX_EUlSW_E_NS1_11comp_targetILNS1_3genE3ELNS1_11target_archE908ELNS1_3gpuE7ELNS1_3repE0EEENS1_30default_config_static_selectorELNS0_4arch9wavefront6targetE1EEEvT1_: ; @_ZN7rocprim17ROCPRIM_400000_NS6detail17trampoline_kernelINS0_14default_configENS1_27scan_by_key_config_selectorIixEEZZNS1_16scan_by_key_implILNS1_25lookback_scan_determinismE0ELb1ES3_N6thrust23THRUST_200600_302600_NS6detail15normal_iteratorINS9_10device_ptrIiEEEENSB_INSC_IxEEEESG_xNS9_4plusIvEENS9_8equal_toIvEExEE10hipError_tPvRmT2_T3_T4_T5_mT6_T7_P12ihipStream_tbENKUlT_T0_E_clISt17integral_constantIbLb0EES11_EEDaSW_SX_EUlSW_E_NS1_11comp_targetILNS1_3genE3ELNS1_11target_archE908ELNS1_3gpuE7ELNS1_3repE0EEENS1_30default_config_static_selectorELNS0_4arch9wavefront6targetE1EEEvT1_
; %bb.0:
	.section	.rodata,"a",@progbits
	.p2align	6, 0x0
	.amdhsa_kernel _ZN7rocprim17ROCPRIM_400000_NS6detail17trampoline_kernelINS0_14default_configENS1_27scan_by_key_config_selectorIixEEZZNS1_16scan_by_key_implILNS1_25lookback_scan_determinismE0ELb1ES3_N6thrust23THRUST_200600_302600_NS6detail15normal_iteratorINS9_10device_ptrIiEEEENSB_INSC_IxEEEESG_xNS9_4plusIvEENS9_8equal_toIvEExEE10hipError_tPvRmT2_T3_T4_T5_mT6_T7_P12ihipStream_tbENKUlT_T0_E_clISt17integral_constantIbLb0EES11_EEDaSW_SX_EUlSW_E_NS1_11comp_targetILNS1_3genE3ELNS1_11target_archE908ELNS1_3gpuE7ELNS1_3repE0EEENS1_30default_config_static_selectorELNS0_4arch9wavefront6targetE1EEEvT1_
		.amdhsa_group_segment_fixed_size 0
		.amdhsa_private_segment_fixed_size 0
		.amdhsa_kernarg_size 136
		.amdhsa_user_sgpr_count 2
		.amdhsa_user_sgpr_dispatch_ptr 0
		.amdhsa_user_sgpr_queue_ptr 0
		.amdhsa_user_sgpr_kernarg_segment_ptr 1
		.amdhsa_user_sgpr_dispatch_id 0
		.amdhsa_user_sgpr_kernarg_preload_length 0
		.amdhsa_user_sgpr_kernarg_preload_offset 0
		.amdhsa_user_sgpr_private_segment_size 0
		.amdhsa_uses_dynamic_stack 0
		.amdhsa_enable_private_segment 0
		.amdhsa_system_sgpr_workgroup_id_x 1
		.amdhsa_system_sgpr_workgroup_id_y 0
		.amdhsa_system_sgpr_workgroup_id_z 0
		.amdhsa_system_sgpr_workgroup_info 0
		.amdhsa_system_vgpr_workitem_id 0
		.amdhsa_next_free_vgpr 1
		.amdhsa_next_free_sgpr 0
		.amdhsa_accum_offset 4
		.amdhsa_reserve_vcc 0
		.amdhsa_float_round_mode_32 0
		.amdhsa_float_round_mode_16_64 0
		.amdhsa_float_denorm_mode_32 3
		.amdhsa_float_denorm_mode_16_64 3
		.amdhsa_dx10_clamp 1
		.amdhsa_ieee_mode 1
		.amdhsa_fp16_overflow 0
		.amdhsa_tg_split 0
		.amdhsa_exception_fp_ieee_invalid_op 0
		.amdhsa_exception_fp_denorm_src 0
		.amdhsa_exception_fp_ieee_div_zero 0
		.amdhsa_exception_fp_ieee_overflow 0
		.amdhsa_exception_fp_ieee_underflow 0
		.amdhsa_exception_fp_ieee_inexact 0
		.amdhsa_exception_int_div_zero 0
	.end_amdhsa_kernel
	.section	.text._ZN7rocprim17ROCPRIM_400000_NS6detail17trampoline_kernelINS0_14default_configENS1_27scan_by_key_config_selectorIixEEZZNS1_16scan_by_key_implILNS1_25lookback_scan_determinismE0ELb1ES3_N6thrust23THRUST_200600_302600_NS6detail15normal_iteratorINS9_10device_ptrIiEEEENSB_INSC_IxEEEESG_xNS9_4plusIvEENS9_8equal_toIvEExEE10hipError_tPvRmT2_T3_T4_T5_mT6_T7_P12ihipStream_tbENKUlT_T0_E_clISt17integral_constantIbLb0EES11_EEDaSW_SX_EUlSW_E_NS1_11comp_targetILNS1_3genE3ELNS1_11target_archE908ELNS1_3gpuE7ELNS1_3repE0EEENS1_30default_config_static_selectorELNS0_4arch9wavefront6targetE1EEEvT1_,"axG",@progbits,_ZN7rocprim17ROCPRIM_400000_NS6detail17trampoline_kernelINS0_14default_configENS1_27scan_by_key_config_selectorIixEEZZNS1_16scan_by_key_implILNS1_25lookback_scan_determinismE0ELb1ES3_N6thrust23THRUST_200600_302600_NS6detail15normal_iteratorINS9_10device_ptrIiEEEENSB_INSC_IxEEEESG_xNS9_4plusIvEENS9_8equal_toIvEExEE10hipError_tPvRmT2_T3_T4_T5_mT6_T7_P12ihipStream_tbENKUlT_T0_E_clISt17integral_constantIbLb0EES11_EEDaSW_SX_EUlSW_E_NS1_11comp_targetILNS1_3genE3ELNS1_11target_archE908ELNS1_3gpuE7ELNS1_3repE0EEENS1_30default_config_static_selectorELNS0_4arch9wavefront6targetE1EEEvT1_,comdat
.Lfunc_end1575:
	.size	_ZN7rocprim17ROCPRIM_400000_NS6detail17trampoline_kernelINS0_14default_configENS1_27scan_by_key_config_selectorIixEEZZNS1_16scan_by_key_implILNS1_25lookback_scan_determinismE0ELb1ES3_N6thrust23THRUST_200600_302600_NS6detail15normal_iteratorINS9_10device_ptrIiEEEENSB_INSC_IxEEEESG_xNS9_4plusIvEENS9_8equal_toIvEExEE10hipError_tPvRmT2_T3_T4_T5_mT6_T7_P12ihipStream_tbENKUlT_T0_E_clISt17integral_constantIbLb0EES11_EEDaSW_SX_EUlSW_E_NS1_11comp_targetILNS1_3genE3ELNS1_11target_archE908ELNS1_3gpuE7ELNS1_3repE0EEENS1_30default_config_static_selectorELNS0_4arch9wavefront6targetE1EEEvT1_, .Lfunc_end1575-_ZN7rocprim17ROCPRIM_400000_NS6detail17trampoline_kernelINS0_14default_configENS1_27scan_by_key_config_selectorIixEEZZNS1_16scan_by_key_implILNS1_25lookback_scan_determinismE0ELb1ES3_N6thrust23THRUST_200600_302600_NS6detail15normal_iteratorINS9_10device_ptrIiEEEENSB_INSC_IxEEEESG_xNS9_4plusIvEENS9_8equal_toIvEExEE10hipError_tPvRmT2_T3_T4_T5_mT6_T7_P12ihipStream_tbENKUlT_T0_E_clISt17integral_constantIbLb0EES11_EEDaSW_SX_EUlSW_E_NS1_11comp_targetILNS1_3genE3ELNS1_11target_archE908ELNS1_3gpuE7ELNS1_3repE0EEENS1_30default_config_static_selectorELNS0_4arch9wavefront6targetE1EEEvT1_
                                        ; -- End function
	.section	.AMDGPU.csdata,"",@progbits
; Kernel info:
; codeLenInByte = 0
; NumSgprs: 6
; NumVgprs: 0
; NumAgprs: 0
; TotalNumVgprs: 0
; ScratchSize: 0
; MemoryBound: 0
; FloatMode: 240
; IeeeMode: 1
; LDSByteSize: 0 bytes/workgroup (compile time only)
; SGPRBlocks: 0
; VGPRBlocks: 0
; NumSGPRsForWavesPerEU: 6
; NumVGPRsForWavesPerEU: 1
; AccumOffset: 4
; Occupancy: 8
; WaveLimiterHint : 0
; COMPUTE_PGM_RSRC2:SCRATCH_EN: 0
; COMPUTE_PGM_RSRC2:USER_SGPR: 2
; COMPUTE_PGM_RSRC2:TRAP_HANDLER: 0
; COMPUTE_PGM_RSRC2:TGID_X_EN: 1
; COMPUTE_PGM_RSRC2:TGID_Y_EN: 0
; COMPUTE_PGM_RSRC2:TGID_Z_EN: 0
; COMPUTE_PGM_RSRC2:TIDIG_COMP_CNT: 0
; COMPUTE_PGM_RSRC3_GFX90A:ACCUM_OFFSET: 0
; COMPUTE_PGM_RSRC3_GFX90A:TG_SPLIT: 0
	.section	.text._ZN7rocprim17ROCPRIM_400000_NS6detail17trampoline_kernelINS0_14default_configENS1_27scan_by_key_config_selectorIixEEZZNS1_16scan_by_key_implILNS1_25lookback_scan_determinismE0ELb1ES3_N6thrust23THRUST_200600_302600_NS6detail15normal_iteratorINS9_10device_ptrIiEEEENSB_INSC_IxEEEESG_xNS9_4plusIvEENS9_8equal_toIvEExEE10hipError_tPvRmT2_T3_T4_T5_mT6_T7_P12ihipStream_tbENKUlT_T0_E_clISt17integral_constantIbLb0EES11_EEDaSW_SX_EUlSW_E_NS1_11comp_targetILNS1_3genE2ELNS1_11target_archE906ELNS1_3gpuE6ELNS1_3repE0EEENS1_30default_config_static_selectorELNS0_4arch9wavefront6targetE1EEEvT1_,"axG",@progbits,_ZN7rocprim17ROCPRIM_400000_NS6detail17trampoline_kernelINS0_14default_configENS1_27scan_by_key_config_selectorIixEEZZNS1_16scan_by_key_implILNS1_25lookback_scan_determinismE0ELb1ES3_N6thrust23THRUST_200600_302600_NS6detail15normal_iteratorINS9_10device_ptrIiEEEENSB_INSC_IxEEEESG_xNS9_4plusIvEENS9_8equal_toIvEExEE10hipError_tPvRmT2_T3_T4_T5_mT6_T7_P12ihipStream_tbENKUlT_T0_E_clISt17integral_constantIbLb0EES11_EEDaSW_SX_EUlSW_E_NS1_11comp_targetILNS1_3genE2ELNS1_11target_archE906ELNS1_3gpuE6ELNS1_3repE0EEENS1_30default_config_static_selectorELNS0_4arch9wavefront6targetE1EEEvT1_,comdat
	.protected	_ZN7rocprim17ROCPRIM_400000_NS6detail17trampoline_kernelINS0_14default_configENS1_27scan_by_key_config_selectorIixEEZZNS1_16scan_by_key_implILNS1_25lookback_scan_determinismE0ELb1ES3_N6thrust23THRUST_200600_302600_NS6detail15normal_iteratorINS9_10device_ptrIiEEEENSB_INSC_IxEEEESG_xNS9_4plusIvEENS9_8equal_toIvEExEE10hipError_tPvRmT2_T3_T4_T5_mT6_T7_P12ihipStream_tbENKUlT_T0_E_clISt17integral_constantIbLb0EES11_EEDaSW_SX_EUlSW_E_NS1_11comp_targetILNS1_3genE2ELNS1_11target_archE906ELNS1_3gpuE6ELNS1_3repE0EEENS1_30default_config_static_selectorELNS0_4arch9wavefront6targetE1EEEvT1_ ; -- Begin function _ZN7rocprim17ROCPRIM_400000_NS6detail17trampoline_kernelINS0_14default_configENS1_27scan_by_key_config_selectorIixEEZZNS1_16scan_by_key_implILNS1_25lookback_scan_determinismE0ELb1ES3_N6thrust23THRUST_200600_302600_NS6detail15normal_iteratorINS9_10device_ptrIiEEEENSB_INSC_IxEEEESG_xNS9_4plusIvEENS9_8equal_toIvEExEE10hipError_tPvRmT2_T3_T4_T5_mT6_T7_P12ihipStream_tbENKUlT_T0_E_clISt17integral_constantIbLb0EES11_EEDaSW_SX_EUlSW_E_NS1_11comp_targetILNS1_3genE2ELNS1_11target_archE906ELNS1_3gpuE6ELNS1_3repE0EEENS1_30default_config_static_selectorELNS0_4arch9wavefront6targetE1EEEvT1_
	.globl	_ZN7rocprim17ROCPRIM_400000_NS6detail17trampoline_kernelINS0_14default_configENS1_27scan_by_key_config_selectorIixEEZZNS1_16scan_by_key_implILNS1_25lookback_scan_determinismE0ELb1ES3_N6thrust23THRUST_200600_302600_NS6detail15normal_iteratorINS9_10device_ptrIiEEEENSB_INSC_IxEEEESG_xNS9_4plusIvEENS9_8equal_toIvEExEE10hipError_tPvRmT2_T3_T4_T5_mT6_T7_P12ihipStream_tbENKUlT_T0_E_clISt17integral_constantIbLb0EES11_EEDaSW_SX_EUlSW_E_NS1_11comp_targetILNS1_3genE2ELNS1_11target_archE906ELNS1_3gpuE6ELNS1_3repE0EEENS1_30default_config_static_selectorELNS0_4arch9wavefront6targetE1EEEvT1_
	.p2align	8
	.type	_ZN7rocprim17ROCPRIM_400000_NS6detail17trampoline_kernelINS0_14default_configENS1_27scan_by_key_config_selectorIixEEZZNS1_16scan_by_key_implILNS1_25lookback_scan_determinismE0ELb1ES3_N6thrust23THRUST_200600_302600_NS6detail15normal_iteratorINS9_10device_ptrIiEEEENSB_INSC_IxEEEESG_xNS9_4plusIvEENS9_8equal_toIvEExEE10hipError_tPvRmT2_T3_T4_T5_mT6_T7_P12ihipStream_tbENKUlT_T0_E_clISt17integral_constantIbLb0EES11_EEDaSW_SX_EUlSW_E_NS1_11comp_targetILNS1_3genE2ELNS1_11target_archE906ELNS1_3gpuE6ELNS1_3repE0EEENS1_30default_config_static_selectorELNS0_4arch9wavefront6targetE1EEEvT1_,@function
_ZN7rocprim17ROCPRIM_400000_NS6detail17trampoline_kernelINS0_14default_configENS1_27scan_by_key_config_selectorIixEEZZNS1_16scan_by_key_implILNS1_25lookback_scan_determinismE0ELb1ES3_N6thrust23THRUST_200600_302600_NS6detail15normal_iteratorINS9_10device_ptrIiEEEENSB_INSC_IxEEEESG_xNS9_4plusIvEENS9_8equal_toIvEExEE10hipError_tPvRmT2_T3_T4_T5_mT6_T7_P12ihipStream_tbENKUlT_T0_E_clISt17integral_constantIbLb0EES11_EEDaSW_SX_EUlSW_E_NS1_11comp_targetILNS1_3genE2ELNS1_11target_archE906ELNS1_3gpuE6ELNS1_3repE0EEENS1_30default_config_static_selectorELNS0_4arch9wavefront6targetE1EEEvT1_: ; @_ZN7rocprim17ROCPRIM_400000_NS6detail17trampoline_kernelINS0_14default_configENS1_27scan_by_key_config_selectorIixEEZZNS1_16scan_by_key_implILNS1_25lookback_scan_determinismE0ELb1ES3_N6thrust23THRUST_200600_302600_NS6detail15normal_iteratorINS9_10device_ptrIiEEEENSB_INSC_IxEEEESG_xNS9_4plusIvEENS9_8equal_toIvEExEE10hipError_tPvRmT2_T3_T4_T5_mT6_T7_P12ihipStream_tbENKUlT_T0_E_clISt17integral_constantIbLb0EES11_EEDaSW_SX_EUlSW_E_NS1_11comp_targetILNS1_3genE2ELNS1_11target_archE906ELNS1_3gpuE6ELNS1_3repE0EEENS1_30default_config_static_selectorELNS0_4arch9wavefront6targetE1EEEvT1_
; %bb.0:
	.section	.rodata,"a",@progbits
	.p2align	6, 0x0
	.amdhsa_kernel _ZN7rocprim17ROCPRIM_400000_NS6detail17trampoline_kernelINS0_14default_configENS1_27scan_by_key_config_selectorIixEEZZNS1_16scan_by_key_implILNS1_25lookback_scan_determinismE0ELb1ES3_N6thrust23THRUST_200600_302600_NS6detail15normal_iteratorINS9_10device_ptrIiEEEENSB_INSC_IxEEEESG_xNS9_4plusIvEENS9_8equal_toIvEExEE10hipError_tPvRmT2_T3_T4_T5_mT6_T7_P12ihipStream_tbENKUlT_T0_E_clISt17integral_constantIbLb0EES11_EEDaSW_SX_EUlSW_E_NS1_11comp_targetILNS1_3genE2ELNS1_11target_archE906ELNS1_3gpuE6ELNS1_3repE0EEENS1_30default_config_static_selectorELNS0_4arch9wavefront6targetE1EEEvT1_
		.amdhsa_group_segment_fixed_size 0
		.amdhsa_private_segment_fixed_size 0
		.amdhsa_kernarg_size 136
		.amdhsa_user_sgpr_count 2
		.amdhsa_user_sgpr_dispatch_ptr 0
		.amdhsa_user_sgpr_queue_ptr 0
		.amdhsa_user_sgpr_kernarg_segment_ptr 1
		.amdhsa_user_sgpr_dispatch_id 0
		.amdhsa_user_sgpr_kernarg_preload_length 0
		.amdhsa_user_sgpr_kernarg_preload_offset 0
		.amdhsa_user_sgpr_private_segment_size 0
		.amdhsa_uses_dynamic_stack 0
		.amdhsa_enable_private_segment 0
		.amdhsa_system_sgpr_workgroup_id_x 1
		.amdhsa_system_sgpr_workgroup_id_y 0
		.amdhsa_system_sgpr_workgroup_id_z 0
		.amdhsa_system_sgpr_workgroup_info 0
		.amdhsa_system_vgpr_workitem_id 0
		.amdhsa_next_free_vgpr 1
		.amdhsa_next_free_sgpr 0
		.amdhsa_accum_offset 4
		.amdhsa_reserve_vcc 0
		.amdhsa_float_round_mode_32 0
		.amdhsa_float_round_mode_16_64 0
		.amdhsa_float_denorm_mode_32 3
		.amdhsa_float_denorm_mode_16_64 3
		.amdhsa_dx10_clamp 1
		.amdhsa_ieee_mode 1
		.amdhsa_fp16_overflow 0
		.amdhsa_tg_split 0
		.amdhsa_exception_fp_ieee_invalid_op 0
		.amdhsa_exception_fp_denorm_src 0
		.amdhsa_exception_fp_ieee_div_zero 0
		.amdhsa_exception_fp_ieee_overflow 0
		.amdhsa_exception_fp_ieee_underflow 0
		.amdhsa_exception_fp_ieee_inexact 0
		.amdhsa_exception_int_div_zero 0
	.end_amdhsa_kernel
	.section	.text._ZN7rocprim17ROCPRIM_400000_NS6detail17trampoline_kernelINS0_14default_configENS1_27scan_by_key_config_selectorIixEEZZNS1_16scan_by_key_implILNS1_25lookback_scan_determinismE0ELb1ES3_N6thrust23THRUST_200600_302600_NS6detail15normal_iteratorINS9_10device_ptrIiEEEENSB_INSC_IxEEEESG_xNS9_4plusIvEENS9_8equal_toIvEExEE10hipError_tPvRmT2_T3_T4_T5_mT6_T7_P12ihipStream_tbENKUlT_T0_E_clISt17integral_constantIbLb0EES11_EEDaSW_SX_EUlSW_E_NS1_11comp_targetILNS1_3genE2ELNS1_11target_archE906ELNS1_3gpuE6ELNS1_3repE0EEENS1_30default_config_static_selectorELNS0_4arch9wavefront6targetE1EEEvT1_,"axG",@progbits,_ZN7rocprim17ROCPRIM_400000_NS6detail17trampoline_kernelINS0_14default_configENS1_27scan_by_key_config_selectorIixEEZZNS1_16scan_by_key_implILNS1_25lookback_scan_determinismE0ELb1ES3_N6thrust23THRUST_200600_302600_NS6detail15normal_iteratorINS9_10device_ptrIiEEEENSB_INSC_IxEEEESG_xNS9_4plusIvEENS9_8equal_toIvEExEE10hipError_tPvRmT2_T3_T4_T5_mT6_T7_P12ihipStream_tbENKUlT_T0_E_clISt17integral_constantIbLb0EES11_EEDaSW_SX_EUlSW_E_NS1_11comp_targetILNS1_3genE2ELNS1_11target_archE906ELNS1_3gpuE6ELNS1_3repE0EEENS1_30default_config_static_selectorELNS0_4arch9wavefront6targetE1EEEvT1_,comdat
.Lfunc_end1576:
	.size	_ZN7rocprim17ROCPRIM_400000_NS6detail17trampoline_kernelINS0_14default_configENS1_27scan_by_key_config_selectorIixEEZZNS1_16scan_by_key_implILNS1_25lookback_scan_determinismE0ELb1ES3_N6thrust23THRUST_200600_302600_NS6detail15normal_iteratorINS9_10device_ptrIiEEEENSB_INSC_IxEEEESG_xNS9_4plusIvEENS9_8equal_toIvEExEE10hipError_tPvRmT2_T3_T4_T5_mT6_T7_P12ihipStream_tbENKUlT_T0_E_clISt17integral_constantIbLb0EES11_EEDaSW_SX_EUlSW_E_NS1_11comp_targetILNS1_3genE2ELNS1_11target_archE906ELNS1_3gpuE6ELNS1_3repE0EEENS1_30default_config_static_selectorELNS0_4arch9wavefront6targetE1EEEvT1_, .Lfunc_end1576-_ZN7rocprim17ROCPRIM_400000_NS6detail17trampoline_kernelINS0_14default_configENS1_27scan_by_key_config_selectorIixEEZZNS1_16scan_by_key_implILNS1_25lookback_scan_determinismE0ELb1ES3_N6thrust23THRUST_200600_302600_NS6detail15normal_iteratorINS9_10device_ptrIiEEEENSB_INSC_IxEEEESG_xNS9_4plusIvEENS9_8equal_toIvEExEE10hipError_tPvRmT2_T3_T4_T5_mT6_T7_P12ihipStream_tbENKUlT_T0_E_clISt17integral_constantIbLb0EES11_EEDaSW_SX_EUlSW_E_NS1_11comp_targetILNS1_3genE2ELNS1_11target_archE906ELNS1_3gpuE6ELNS1_3repE0EEENS1_30default_config_static_selectorELNS0_4arch9wavefront6targetE1EEEvT1_
                                        ; -- End function
	.section	.AMDGPU.csdata,"",@progbits
; Kernel info:
; codeLenInByte = 0
; NumSgprs: 6
; NumVgprs: 0
; NumAgprs: 0
; TotalNumVgprs: 0
; ScratchSize: 0
; MemoryBound: 0
; FloatMode: 240
; IeeeMode: 1
; LDSByteSize: 0 bytes/workgroup (compile time only)
; SGPRBlocks: 0
; VGPRBlocks: 0
; NumSGPRsForWavesPerEU: 6
; NumVGPRsForWavesPerEU: 1
; AccumOffset: 4
; Occupancy: 8
; WaveLimiterHint : 0
; COMPUTE_PGM_RSRC2:SCRATCH_EN: 0
; COMPUTE_PGM_RSRC2:USER_SGPR: 2
; COMPUTE_PGM_RSRC2:TRAP_HANDLER: 0
; COMPUTE_PGM_RSRC2:TGID_X_EN: 1
; COMPUTE_PGM_RSRC2:TGID_Y_EN: 0
; COMPUTE_PGM_RSRC2:TGID_Z_EN: 0
; COMPUTE_PGM_RSRC2:TIDIG_COMP_CNT: 0
; COMPUTE_PGM_RSRC3_GFX90A:ACCUM_OFFSET: 0
; COMPUTE_PGM_RSRC3_GFX90A:TG_SPLIT: 0
	.section	.text._ZN7rocprim17ROCPRIM_400000_NS6detail17trampoline_kernelINS0_14default_configENS1_27scan_by_key_config_selectorIixEEZZNS1_16scan_by_key_implILNS1_25lookback_scan_determinismE0ELb1ES3_N6thrust23THRUST_200600_302600_NS6detail15normal_iteratorINS9_10device_ptrIiEEEENSB_INSC_IxEEEESG_xNS9_4plusIvEENS9_8equal_toIvEExEE10hipError_tPvRmT2_T3_T4_T5_mT6_T7_P12ihipStream_tbENKUlT_T0_E_clISt17integral_constantIbLb0EES11_EEDaSW_SX_EUlSW_E_NS1_11comp_targetILNS1_3genE10ELNS1_11target_archE1200ELNS1_3gpuE4ELNS1_3repE0EEENS1_30default_config_static_selectorELNS0_4arch9wavefront6targetE1EEEvT1_,"axG",@progbits,_ZN7rocprim17ROCPRIM_400000_NS6detail17trampoline_kernelINS0_14default_configENS1_27scan_by_key_config_selectorIixEEZZNS1_16scan_by_key_implILNS1_25lookback_scan_determinismE0ELb1ES3_N6thrust23THRUST_200600_302600_NS6detail15normal_iteratorINS9_10device_ptrIiEEEENSB_INSC_IxEEEESG_xNS9_4plusIvEENS9_8equal_toIvEExEE10hipError_tPvRmT2_T3_T4_T5_mT6_T7_P12ihipStream_tbENKUlT_T0_E_clISt17integral_constantIbLb0EES11_EEDaSW_SX_EUlSW_E_NS1_11comp_targetILNS1_3genE10ELNS1_11target_archE1200ELNS1_3gpuE4ELNS1_3repE0EEENS1_30default_config_static_selectorELNS0_4arch9wavefront6targetE1EEEvT1_,comdat
	.protected	_ZN7rocprim17ROCPRIM_400000_NS6detail17trampoline_kernelINS0_14default_configENS1_27scan_by_key_config_selectorIixEEZZNS1_16scan_by_key_implILNS1_25lookback_scan_determinismE0ELb1ES3_N6thrust23THRUST_200600_302600_NS6detail15normal_iteratorINS9_10device_ptrIiEEEENSB_INSC_IxEEEESG_xNS9_4plusIvEENS9_8equal_toIvEExEE10hipError_tPvRmT2_T3_T4_T5_mT6_T7_P12ihipStream_tbENKUlT_T0_E_clISt17integral_constantIbLb0EES11_EEDaSW_SX_EUlSW_E_NS1_11comp_targetILNS1_3genE10ELNS1_11target_archE1200ELNS1_3gpuE4ELNS1_3repE0EEENS1_30default_config_static_selectorELNS0_4arch9wavefront6targetE1EEEvT1_ ; -- Begin function _ZN7rocprim17ROCPRIM_400000_NS6detail17trampoline_kernelINS0_14default_configENS1_27scan_by_key_config_selectorIixEEZZNS1_16scan_by_key_implILNS1_25lookback_scan_determinismE0ELb1ES3_N6thrust23THRUST_200600_302600_NS6detail15normal_iteratorINS9_10device_ptrIiEEEENSB_INSC_IxEEEESG_xNS9_4plusIvEENS9_8equal_toIvEExEE10hipError_tPvRmT2_T3_T4_T5_mT6_T7_P12ihipStream_tbENKUlT_T0_E_clISt17integral_constantIbLb0EES11_EEDaSW_SX_EUlSW_E_NS1_11comp_targetILNS1_3genE10ELNS1_11target_archE1200ELNS1_3gpuE4ELNS1_3repE0EEENS1_30default_config_static_selectorELNS0_4arch9wavefront6targetE1EEEvT1_
	.globl	_ZN7rocprim17ROCPRIM_400000_NS6detail17trampoline_kernelINS0_14default_configENS1_27scan_by_key_config_selectorIixEEZZNS1_16scan_by_key_implILNS1_25lookback_scan_determinismE0ELb1ES3_N6thrust23THRUST_200600_302600_NS6detail15normal_iteratorINS9_10device_ptrIiEEEENSB_INSC_IxEEEESG_xNS9_4plusIvEENS9_8equal_toIvEExEE10hipError_tPvRmT2_T3_T4_T5_mT6_T7_P12ihipStream_tbENKUlT_T0_E_clISt17integral_constantIbLb0EES11_EEDaSW_SX_EUlSW_E_NS1_11comp_targetILNS1_3genE10ELNS1_11target_archE1200ELNS1_3gpuE4ELNS1_3repE0EEENS1_30default_config_static_selectorELNS0_4arch9wavefront6targetE1EEEvT1_
	.p2align	8
	.type	_ZN7rocprim17ROCPRIM_400000_NS6detail17trampoline_kernelINS0_14default_configENS1_27scan_by_key_config_selectorIixEEZZNS1_16scan_by_key_implILNS1_25lookback_scan_determinismE0ELb1ES3_N6thrust23THRUST_200600_302600_NS6detail15normal_iteratorINS9_10device_ptrIiEEEENSB_INSC_IxEEEESG_xNS9_4plusIvEENS9_8equal_toIvEExEE10hipError_tPvRmT2_T3_T4_T5_mT6_T7_P12ihipStream_tbENKUlT_T0_E_clISt17integral_constantIbLb0EES11_EEDaSW_SX_EUlSW_E_NS1_11comp_targetILNS1_3genE10ELNS1_11target_archE1200ELNS1_3gpuE4ELNS1_3repE0EEENS1_30default_config_static_selectorELNS0_4arch9wavefront6targetE1EEEvT1_,@function
_ZN7rocprim17ROCPRIM_400000_NS6detail17trampoline_kernelINS0_14default_configENS1_27scan_by_key_config_selectorIixEEZZNS1_16scan_by_key_implILNS1_25lookback_scan_determinismE0ELb1ES3_N6thrust23THRUST_200600_302600_NS6detail15normal_iteratorINS9_10device_ptrIiEEEENSB_INSC_IxEEEESG_xNS9_4plusIvEENS9_8equal_toIvEExEE10hipError_tPvRmT2_T3_T4_T5_mT6_T7_P12ihipStream_tbENKUlT_T0_E_clISt17integral_constantIbLb0EES11_EEDaSW_SX_EUlSW_E_NS1_11comp_targetILNS1_3genE10ELNS1_11target_archE1200ELNS1_3gpuE4ELNS1_3repE0EEENS1_30default_config_static_selectorELNS0_4arch9wavefront6targetE1EEEvT1_: ; @_ZN7rocprim17ROCPRIM_400000_NS6detail17trampoline_kernelINS0_14default_configENS1_27scan_by_key_config_selectorIixEEZZNS1_16scan_by_key_implILNS1_25lookback_scan_determinismE0ELb1ES3_N6thrust23THRUST_200600_302600_NS6detail15normal_iteratorINS9_10device_ptrIiEEEENSB_INSC_IxEEEESG_xNS9_4plusIvEENS9_8equal_toIvEExEE10hipError_tPvRmT2_T3_T4_T5_mT6_T7_P12ihipStream_tbENKUlT_T0_E_clISt17integral_constantIbLb0EES11_EEDaSW_SX_EUlSW_E_NS1_11comp_targetILNS1_3genE10ELNS1_11target_archE1200ELNS1_3gpuE4ELNS1_3repE0EEENS1_30default_config_static_selectorELNS0_4arch9wavefront6targetE1EEEvT1_
; %bb.0:
	.section	.rodata,"a",@progbits
	.p2align	6, 0x0
	.amdhsa_kernel _ZN7rocprim17ROCPRIM_400000_NS6detail17trampoline_kernelINS0_14default_configENS1_27scan_by_key_config_selectorIixEEZZNS1_16scan_by_key_implILNS1_25lookback_scan_determinismE0ELb1ES3_N6thrust23THRUST_200600_302600_NS6detail15normal_iteratorINS9_10device_ptrIiEEEENSB_INSC_IxEEEESG_xNS9_4plusIvEENS9_8equal_toIvEExEE10hipError_tPvRmT2_T3_T4_T5_mT6_T7_P12ihipStream_tbENKUlT_T0_E_clISt17integral_constantIbLb0EES11_EEDaSW_SX_EUlSW_E_NS1_11comp_targetILNS1_3genE10ELNS1_11target_archE1200ELNS1_3gpuE4ELNS1_3repE0EEENS1_30default_config_static_selectorELNS0_4arch9wavefront6targetE1EEEvT1_
		.amdhsa_group_segment_fixed_size 0
		.amdhsa_private_segment_fixed_size 0
		.amdhsa_kernarg_size 136
		.amdhsa_user_sgpr_count 2
		.amdhsa_user_sgpr_dispatch_ptr 0
		.amdhsa_user_sgpr_queue_ptr 0
		.amdhsa_user_sgpr_kernarg_segment_ptr 1
		.amdhsa_user_sgpr_dispatch_id 0
		.amdhsa_user_sgpr_kernarg_preload_length 0
		.amdhsa_user_sgpr_kernarg_preload_offset 0
		.amdhsa_user_sgpr_private_segment_size 0
		.amdhsa_uses_dynamic_stack 0
		.amdhsa_enable_private_segment 0
		.amdhsa_system_sgpr_workgroup_id_x 1
		.amdhsa_system_sgpr_workgroup_id_y 0
		.amdhsa_system_sgpr_workgroup_id_z 0
		.amdhsa_system_sgpr_workgroup_info 0
		.amdhsa_system_vgpr_workitem_id 0
		.amdhsa_next_free_vgpr 1
		.amdhsa_next_free_sgpr 0
		.amdhsa_accum_offset 4
		.amdhsa_reserve_vcc 0
		.amdhsa_float_round_mode_32 0
		.amdhsa_float_round_mode_16_64 0
		.amdhsa_float_denorm_mode_32 3
		.amdhsa_float_denorm_mode_16_64 3
		.amdhsa_dx10_clamp 1
		.amdhsa_ieee_mode 1
		.amdhsa_fp16_overflow 0
		.amdhsa_tg_split 0
		.amdhsa_exception_fp_ieee_invalid_op 0
		.amdhsa_exception_fp_denorm_src 0
		.amdhsa_exception_fp_ieee_div_zero 0
		.amdhsa_exception_fp_ieee_overflow 0
		.amdhsa_exception_fp_ieee_underflow 0
		.amdhsa_exception_fp_ieee_inexact 0
		.amdhsa_exception_int_div_zero 0
	.end_amdhsa_kernel
	.section	.text._ZN7rocprim17ROCPRIM_400000_NS6detail17trampoline_kernelINS0_14default_configENS1_27scan_by_key_config_selectorIixEEZZNS1_16scan_by_key_implILNS1_25lookback_scan_determinismE0ELb1ES3_N6thrust23THRUST_200600_302600_NS6detail15normal_iteratorINS9_10device_ptrIiEEEENSB_INSC_IxEEEESG_xNS9_4plusIvEENS9_8equal_toIvEExEE10hipError_tPvRmT2_T3_T4_T5_mT6_T7_P12ihipStream_tbENKUlT_T0_E_clISt17integral_constantIbLb0EES11_EEDaSW_SX_EUlSW_E_NS1_11comp_targetILNS1_3genE10ELNS1_11target_archE1200ELNS1_3gpuE4ELNS1_3repE0EEENS1_30default_config_static_selectorELNS0_4arch9wavefront6targetE1EEEvT1_,"axG",@progbits,_ZN7rocprim17ROCPRIM_400000_NS6detail17trampoline_kernelINS0_14default_configENS1_27scan_by_key_config_selectorIixEEZZNS1_16scan_by_key_implILNS1_25lookback_scan_determinismE0ELb1ES3_N6thrust23THRUST_200600_302600_NS6detail15normal_iteratorINS9_10device_ptrIiEEEENSB_INSC_IxEEEESG_xNS9_4plusIvEENS9_8equal_toIvEExEE10hipError_tPvRmT2_T3_T4_T5_mT6_T7_P12ihipStream_tbENKUlT_T0_E_clISt17integral_constantIbLb0EES11_EEDaSW_SX_EUlSW_E_NS1_11comp_targetILNS1_3genE10ELNS1_11target_archE1200ELNS1_3gpuE4ELNS1_3repE0EEENS1_30default_config_static_selectorELNS0_4arch9wavefront6targetE1EEEvT1_,comdat
.Lfunc_end1577:
	.size	_ZN7rocprim17ROCPRIM_400000_NS6detail17trampoline_kernelINS0_14default_configENS1_27scan_by_key_config_selectorIixEEZZNS1_16scan_by_key_implILNS1_25lookback_scan_determinismE0ELb1ES3_N6thrust23THRUST_200600_302600_NS6detail15normal_iteratorINS9_10device_ptrIiEEEENSB_INSC_IxEEEESG_xNS9_4plusIvEENS9_8equal_toIvEExEE10hipError_tPvRmT2_T3_T4_T5_mT6_T7_P12ihipStream_tbENKUlT_T0_E_clISt17integral_constantIbLb0EES11_EEDaSW_SX_EUlSW_E_NS1_11comp_targetILNS1_3genE10ELNS1_11target_archE1200ELNS1_3gpuE4ELNS1_3repE0EEENS1_30default_config_static_selectorELNS0_4arch9wavefront6targetE1EEEvT1_, .Lfunc_end1577-_ZN7rocprim17ROCPRIM_400000_NS6detail17trampoline_kernelINS0_14default_configENS1_27scan_by_key_config_selectorIixEEZZNS1_16scan_by_key_implILNS1_25lookback_scan_determinismE0ELb1ES3_N6thrust23THRUST_200600_302600_NS6detail15normal_iteratorINS9_10device_ptrIiEEEENSB_INSC_IxEEEESG_xNS9_4plusIvEENS9_8equal_toIvEExEE10hipError_tPvRmT2_T3_T4_T5_mT6_T7_P12ihipStream_tbENKUlT_T0_E_clISt17integral_constantIbLb0EES11_EEDaSW_SX_EUlSW_E_NS1_11comp_targetILNS1_3genE10ELNS1_11target_archE1200ELNS1_3gpuE4ELNS1_3repE0EEENS1_30default_config_static_selectorELNS0_4arch9wavefront6targetE1EEEvT1_
                                        ; -- End function
	.section	.AMDGPU.csdata,"",@progbits
; Kernel info:
; codeLenInByte = 0
; NumSgprs: 6
; NumVgprs: 0
; NumAgprs: 0
; TotalNumVgprs: 0
; ScratchSize: 0
; MemoryBound: 0
; FloatMode: 240
; IeeeMode: 1
; LDSByteSize: 0 bytes/workgroup (compile time only)
; SGPRBlocks: 0
; VGPRBlocks: 0
; NumSGPRsForWavesPerEU: 6
; NumVGPRsForWavesPerEU: 1
; AccumOffset: 4
; Occupancy: 8
; WaveLimiterHint : 0
; COMPUTE_PGM_RSRC2:SCRATCH_EN: 0
; COMPUTE_PGM_RSRC2:USER_SGPR: 2
; COMPUTE_PGM_RSRC2:TRAP_HANDLER: 0
; COMPUTE_PGM_RSRC2:TGID_X_EN: 1
; COMPUTE_PGM_RSRC2:TGID_Y_EN: 0
; COMPUTE_PGM_RSRC2:TGID_Z_EN: 0
; COMPUTE_PGM_RSRC2:TIDIG_COMP_CNT: 0
; COMPUTE_PGM_RSRC3_GFX90A:ACCUM_OFFSET: 0
; COMPUTE_PGM_RSRC3_GFX90A:TG_SPLIT: 0
	.section	.text._ZN7rocprim17ROCPRIM_400000_NS6detail17trampoline_kernelINS0_14default_configENS1_27scan_by_key_config_selectorIixEEZZNS1_16scan_by_key_implILNS1_25lookback_scan_determinismE0ELb1ES3_N6thrust23THRUST_200600_302600_NS6detail15normal_iteratorINS9_10device_ptrIiEEEENSB_INSC_IxEEEESG_xNS9_4plusIvEENS9_8equal_toIvEExEE10hipError_tPvRmT2_T3_T4_T5_mT6_T7_P12ihipStream_tbENKUlT_T0_E_clISt17integral_constantIbLb0EES11_EEDaSW_SX_EUlSW_E_NS1_11comp_targetILNS1_3genE9ELNS1_11target_archE1100ELNS1_3gpuE3ELNS1_3repE0EEENS1_30default_config_static_selectorELNS0_4arch9wavefront6targetE1EEEvT1_,"axG",@progbits,_ZN7rocprim17ROCPRIM_400000_NS6detail17trampoline_kernelINS0_14default_configENS1_27scan_by_key_config_selectorIixEEZZNS1_16scan_by_key_implILNS1_25lookback_scan_determinismE0ELb1ES3_N6thrust23THRUST_200600_302600_NS6detail15normal_iteratorINS9_10device_ptrIiEEEENSB_INSC_IxEEEESG_xNS9_4plusIvEENS9_8equal_toIvEExEE10hipError_tPvRmT2_T3_T4_T5_mT6_T7_P12ihipStream_tbENKUlT_T0_E_clISt17integral_constantIbLb0EES11_EEDaSW_SX_EUlSW_E_NS1_11comp_targetILNS1_3genE9ELNS1_11target_archE1100ELNS1_3gpuE3ELNS1_3repE0EEENS1_30default_config_static_selectorELNS0_4arch9wavefront6targetE1EEEvT1_,comdat
	.protected	_ZN7rocprim17ROCPRIM_400000_NS6detail17trampoline_kernelINS0_14default_configENS1_27scan_by_key_config_selectorIixEEZZNS1_16scan_by_key_implILNS1_25lookback_scan_determinismE0ELb1ES3_N6thrust23THRUST_200600_302600_NS6detail15normal_iteratorINS9_10device_ptrIiEEEENSB_INSC_IxEEEESG_xNS9_4plusIvEENS9_8equal_toIvEExEE10hipError_tPvRmT2_T3_T4_T5_mT6_T7_P12ihipStream_tbENKUlT_T0_E_clISt17integral_constantIbLb0EES11_EEDaSW_SX_EUlSW_E_NS1_11comp_targetILNS1_3genE9ELNS1_11target_archE1100ELNS1_3gpuE3ELNS1_3repE0EEENS1_30default_config_static_selectorELNS0_4arch9wavefront6targetE1EEEvT1_ ; -- Begin function _ZN7rocprim17ROCPRIM_400000_NS6detail17trampoline_kernelINS0_14default_configENS1_27scan_by_key_config_selectorIixEEZZNS1_16scan_by_key_implILNS1_25lookback_scan_determinismE0ELb1ES3_N6thrust23THRUST_200600_302600_NS6detail15normal_iteratorINS9_10device_ptrIiEEEENSB_INSC_IxEEEESG_xNS9_4plusIvEENS9_8equal_toIvEExEE10hipError_tPvRmT2_T3_T4_T5_mT6_T7_P12ihipStream_tbENKUlT_T0_E_clISt17integral_constantIbLb0EES11_EEDaSW_SX_EUlSW_E_NS1_11comp_targetILNS1_3genE9ELNS1_11target_archE1100ELNS1_3gpuE3ELNS1_3repE0EEENS1_30default_config_static_selectorELNS0_4arch9wavefront6targetE1EEEvT1_
	.globl	_ZN7rocprim17ROCPRIM_400000_NS6detail17trampoline_kernelINS0_14default_configENS1_27scan_by_key_config_selectorIixEEZZNS1_16scan_by_key_implILNS1_25lookback_scan_determinismE0ELb1ES3_N6thrust23THRUST_200600_302600_NS6detail15normal_iteratorINS9_10device_ptrIiEEEENSB_INSC_IxEEEESG_xNS9_4plusIvEENS9_8equal_toIvEExEE10hipError_tPvRmT2_T3_T4_T5_mT6_T7_P12ihipStream_tbENKUlT_T0_E_clISt17integral_constantIbLb0EES11_EEDaSW_SX_EUlSW_E_NS1_11comp_targetILNS1_3genE9ELNS1_11target_archE1100ELNS1_3gpuE3ELNS1_3repE0EEENS1_30default_config_static_selectorELNS0_4arch9wavefront6targetE1EEEvT1_
	.p2align	8
	.type	_ZN7rocprim17ROCPRIM_400000_NS6detail17trampoline_kernelINS0_14default_configENS1_27scan_by_key_config_selectorIixEEZZNS1_16scan_by_key_implILNS1_25lookback_scan_determinismE0ELb1ES3_N6thrust23THRUST_200600_302600_NS6detail15normal_iteratorINS9_10device_ptrIiEEEENSB_INSC_IxEEEESG_xNS9_4plusIvEENS9_8equal_toIvEExEE10hipError_tPvRmT2_T3_T4_T5_mT6_T7_P12ihipStream_tbENKUlT_T0_E_clISt17integral_constantIbLb0EES11_EEDaSW_SX_EUlSW_E_NS1_11comp_targetILNS1_3genE9ELNS1_11target_archE1100ELNS1_3gpuE3ELNS1_3repE0EEENS1_30default_config_static_selectorELNS0_4arch9wavefront6targetE1EEEvT1_,@function
_ZN7rocprim17ROCPRIM_400000_NS6detail17trampoline_kernelINS0_14default_configENS1_27scan_by_key_config_selectorIixEEZZNS1_16scan_by_key_implILNS1_25lookback_scan_determinismE0ELb1ES3_N6thrust23THRUST_200600_302600_NS6detail15normal_iteratorINS9_10device_ptrIiEEEENSB_INSC_IxEEEESG_xNS9_4plusIvEENS9_8equal_toIvEExEE10hipError_tPvRmT2_T3_T4_T5_mT6_T7_P12ihipStream_tbENKUlT_T0_E_clISt17integral_constantIbLb0EES11_EEDaSW_SX_EUlSW_E_NS1_11comp_targetILNS1_3genE9ELNS1_11target_archE1100ELNS1_3gpuE3ELNS1_3repE0EEENS1_30default_config_static_selectorELNS0_4arch9wavefront6targetE1EEEvT1_: ; @_ZN7rocprim17ROCPRIM_400000_NS6detail17trampoline_kernelINS0_14default_configENS1_27scan_by_key_config_selectorIixEEZZNS1_16scan_by_key_implILNS1_25lookback_scan_determinismE0ELb1ES3_N6thrust23THRUST_200600_302600_NS6detail15normal_iteratorINS9_10device_ptrIiEEEENSB_INSC_IxEEEESG_xNS9_4plusIvEENS9_8equal_toIvEExEE10hipError_tPvRmT2_T3_T4_T5_mT6_T7_P12ihipStream_tbENKUlT_T0_E_clISt17integral_constantIbLb0EES11_EEDaSW_SX_EUlSW_E_NS1_11comp_targetILNS1_3genE9ELNS1_11target_archE1100ELNS1_3gpuE3ELNS1_3repE0EEENS1_30default_config_static_selectorELNS0_4arch9wavefront6targetE1EEEvT1_
; %bb.0:
	.section	.rodata,"a",@progbits
	.p2align	6, 0x0
	.amdhsa_kernel _ZN7rocprim17ROCPRIM_400000_NS6detail17trampoline_kernelINS0_14default_configENS1_27scan_by_key_config_selectorIixEEZZNS1_16scan_by_key_implILNS1_25lookback_scan_determinismE0ELb1ES3_N6thrust23THRUST_200600_302600_NS6detail15normal_iteratorINS9_10device_ptrIiEEEENSB_INSC_IxEEEESG_xNS9_4plusIvEENS9_8equal_toIvEExEE10hipError_tPvRmT2_T3_T4_T5_mT6_T7_P12ihipStream_tbENKUlT_T0_E_clISt17integral_constantIbLb0EES11_EEDaSW_SX_EUlSW_E_NS1_11comp_targetILNS1_3genE9ELNS1_11target_archE1100ELNS1_3gpuE3ELNS1_3repE0EEENS1_30default_config_static_selectorELNS0_4arch9wavefront6targetE1EEEvT1_
		.amdhsa_group_segment_fixed_size 0
		.amdhsa_private_segment_fixed_size 0
		.amdhsa_kernarg_size 136
		.amdhsa_user_sgpr_count 2
		.amdhsa_user_sgpr_dispatch_ptr 0
		.amdhsa_user_sgpr_queue_ptr 0
		.amdhsa_user_sgpr_kernarg_segment_ptr 1
		.amdhsa_user_sgpr_dispatch_id 0
		.amdhsa_user_sgpr_kernarg_preload_length 0
		.amdhsa_user_sgpr_kernarg_preload_offset 0
		.amdhsa_user_sgpr_private_segment_size 0
		.amdhsa_uses_dynamic_stack 0
		.amdhsa_enable_private_segment 0
		.amdhsa_system_sgpr_workgroup_id_x 1
		.amdhsa_system_sgpr_workgroup_id_y 0
		.amdhsa_system_sgpr_workgroup_id_z 0
		.amdhsa_system_sgpr_workgroup_info 0
		.amdhsa_system_vgpr_workitem_id 0
		.amdhsa_next_free_vgpr 1
		.amdhsa_next_free_sgpr 0
		.amdhsa_accum_offset 4
		.amdhsa_reserve_vcc 0
		.amdhsa_float_round_mode_32 0
		.amdhsa_float_round_mode_16_64 0
		.amdhsa_float_denorm_mode_32 3
		.amdhsa_float_denorm_mode_16_64 3
		.amdhsa_dx10_clamp 1
		.amdhsa_ieee_mode 1
		.amdhsa_fp16_overflow 0
		.amdhsa_tg_split 0
		.amdhsa_exception_fp_ieee_invalid_op 0
		.amdhsa_exception_fp_denorm_src 0
		.amdhsa_exception_fp_ieee_div_zero 0
		.amdhsa_exception_fp_ieee_overflow 0
		.amdhsa_exception_fp_ieee_underflow 0
		.amdhsa_exception_fp_ieee_inexact 0
		.amdhsa_exception_int_div_zero 0
	.end_amdhsa_kernel
	.section	.text._ZN7rocprim17ROCPRIM_400000_NS6detail17trampoline_kernelINS0_14default_configENS1_27scan_by_key_config_selectorIixEEZZNS1_16scan_by_key_implILNS1_25lookback_scan_determinismE0ELb1ES3_N6thrust23THRUST_200600_302600_NS6detail15normal_iteratorINS9_10device_ptrIiEEEENSB_INSC_IxEEEESG_xNS9_4plusIvEENS9_8equal_toIvEExEE10hipError_tPvRmT2_T3_T4_T5_mT6_T7_P12ihipStream_tbENKUlT_T0_E_clISt17integral_constantIbLb0EES11_EEDaSW_SX_EUlSW_E_NS1_11comp_targetILNS1_3genE9ELNS1_11target_archE1100ELNS1_3gpuE3ELNS1_3repE0EEENS1_30default_config_static_selectorELNS0_4arch9wavefront6targetE1EEEvT1_,"axG",@progbits,_ZN7rocprim17ROCPRIM_400000_NS6detail17trampoline_kernelINS0_14default_configENS1_27scan_by_key_config_selectorIixEEZZNS1_16scan_by_key_implILNS1_25lookback_scan_determinismE0ELb1ES3_N6thrust23THRUST_200600_302600_NS6detail15normal_iteratorINS9_10device_ptrIiEEEENSB_INSC_IxEEEESG_xNS9_4plusIvEENS9_8equal_toIvEExEE10hipError_tPvRmT2_T3_T4_T5_mT6_T7_P12ihipStream_tbENKUlT_T0_E_clISt17integral_constantIbLb0EES11_EEDaSW_SX_EUlSW_E_NS1_11comp_targetILNS1_3genE9ELNS1_11target_archE1100ELNS1_3gpuE3ELNS1_3repE0EEENS1_30default_config_static_selectorELNS0_4arch9wavefront6targetE1EEEvT1_,comdat
.Lfunc_end1578:
	.size	_ZN7rocprim17ROCPRIM_400000_NS6detail17trampoline_kernelINS0_14default_configENS1_27scan_by_key_config_selectorIixEEZZNS1_16scan_by_key_implILNS1_25lookback_scan_determinismE0ELb1ES3_N6thrust23THRUST_200600_302600_NS6detail15normal_iteratorINS9_10device_ptrIiEEEENSB_INSC_IxEEEESG_xNS9_4plusIvEENS9_8equal_toIvEExEE10hipError_tPvRmT2_T3_T4_T5_mT6_T7_P12ihipStream_tbENKUlT_T0_E_clISt17integral_constantIbLb0EES11_EEDaSW_SX_EUlSW_E_NS1_11comp_targetILNS1_3genE9ELNS1_11target_archE1100ELNS1_3gpuE3ELNS1_3repE0EEENS1_30default_config_static_selectorELNS0_4arch9wavefront6targetE1EEEvT1_, .Lfunc_end1578-_ZN7rocprim17ROCPRIM_400000_NS6detail17trampoline_kernelINS0_14default_configENS1_27scan_by_key_config_selectorIixEEZZNS1_16scan_by_key_implILNS1_25lookback_scan_determinismE0ELb1ES3_N6thrust23THRUST_200600_302600_NS6detail15normal_iteratorINS9_10device_ptrIiEEEENSB_INSC_IxEEEESG_xNS9_4plusIvEENS9_8equal_toIvEExEE10hipError_tPvRmT2_T3_T4_T5_mT6_T7_P12ihipStream_tbENKUlT_T0_E_clISt17integral_constantIbLb0EES11_EEDaSW_SX_EUlSW_E_NS1_11comp_targetILNS1_3genE9ELNS1_11target_archE1100ELNS1_3gpuE3ELNS1_3repE0EEENS1_30default_config_static_selectorELNS0_4arch9wavefront6targetE1EEEvT1_
                                        ; -- End function
	.section	.AMDGPU.csdata,"",@progbits
; Kernel info:
; codeLenInByte = 0
; NumSgprs: 6
; NumVgprs: 0
; NumAgprs: 0
; TotalNumVgprs: 0
; ScratchSize: 0
; MemoryBound: 0
; FloatMode: 240
; IeeeMode: 1
; LDSByteSize: 0 bytes/workgroup (compile time only)
; SGPRBlocks: 0
; VGPRBlocks: 0
; NumSGPRsForWavesPerEU: 6
; NumVGPRsForWavesPerEU: 1
; AccumOffset: 4
; Occupancy: 8
; WaveLimiterHint : 0
; COMPUTE_PGM_RSRC2:SCRATCH_EN: 0
; COMPUTE_PGM_RSRC2:USER_SGPR: 2
; COMPUTE_PGM_RSRC2:TRAP_HANDLER: 0
; COMPUTE_PGM_RSRC2:TGID_X_EN: 1
; COMPUTE_PGM_RSRC2:TGID_Y_EN: 0
; COMPUTE_PGM_RSRC2:TGID_Z_EN: 0
; COMPUTE_PGM_RSRC2:TIDIG_COMP_CNT: 0
; COMPUTE_PGM_RSRC3_GFX90A:ACCUM_OFFSET: 0
; COMPUTE_PGM_RSRC3_GFX90A:TG_SPLIT: 0
	.section	.text._ZN7rocprim17ROCPRIM_400000_NS6detail17trampoline_kernelINS0_14default_configENS1_27scan_by_key_config_selectorIixEEZZNS1_16scan_by_key_implILNS1_25lookback_scan_determinismE0ELb1ES3_N6thrust23THRUST_200600_302600_NS6detail15normal_iteratorINS9_10device_ptrIiEEEENSB_INSC_IxEEEESG_xNS9_4plusIvEENS9_8equal_toIvEExEE10hipError_tPvRmT2_T3_T4_T5_mT6_T7_P12ihipStream_tbENKUlT_T0_E_clISt17integral_constantIbLb0EES11_EEDaSW_SX_EUlSW_E_NS1_11comp_targetILNS1_3genE8ELNS1_11target_archE1030ELNS1_3gpuE2ELNS1_3repE0EEENS1_30default_config_static_selectorELNS0_4arch9wavefront6targetE1EEEvT1_,"axG",@progbits,_ZN7rocprim17ROCPRIM_400000_NS6detail17trampoline_kernelINS0_14default_configENS1_27scan_by_key_config_selectorIixEEZZNS1_16scan_by_key_implILNS1_25lookback_scan_determinismE0ELb1ES3_N6thrust23THRUST_200600_302600_NS6detail15normal_iteratorINS9_10device_ptrIiEEEENSB_INSC_IxEEEESG_xNS9_4plusIvEENS9_8equal_toIvEExEE10hipError_tPvRmT2_T3_T4_T5_mT6_T7_P12ihipStream_tbENKUlT_T0_E_clISt17integral_constantIbLb0EES11_EEDaSW_SX_EUlSW_E_NS1_11comp_targetILNS1_3genE8ELNS1_11target_archE1030ELNS1_3gpuE2ELNS1_3repE0EEENS1_30default_config_static_selectorELNS0_4arch9wavefront6targetE1EEEvT1_,comdat
	.protected	_ZN7rocprim17ROCPRIM_400000_NS6detail17trampoline_kernelINS0_14default_configENS1_27scan_by_key_config_selectorIixEEZZNS1_16scan_by_key_implILNS1_25lookback_scan_determinismE0ELb1ES3_N6thrust23THRUST_200600_302600_NS6detail15normal_iteratorINS9_10device_ptrIiEEEENSB_INSC_IxEEEESG_xNS9_4plusIvEENS9_8equal_toIvEExEE10hipError_tPvRmT2_T3_T4_T5_mT6_T7_P12ihipStream_tbENKUlT_T0_E_clISt17integral_constantIbLb0EES11_EEDaSW_SX_EUlSW_E_NS1_11comp_targetILNS1_3genE8ELNS1_11target_archE1030ELNS1_3gpuE2ELNS1_3repE0EEENS1_30default_config_static_selectorELNS0_4arch9wavefront6targetE1EEEvT1_ ; -- Begin function _ZN7rocprim17ROCPRIM_400000_NS6detail17trampoline_kernelINS0_14default_configENS1_27scan_by_key_config_selectorIixEEZZNS1_16scan_by_key_implILNS1_25lookback_scan_determinismE0ELb1ES3_N6thrust23THRUST_200600_302600_NS6detail15normal_iteratorINS9_10device_ptrIiEEEENSB_INSC_IxEEEESG_xNS9_4plusIvEENS9_8equal_toIvEExEE10hipError_tPvRmT2_T3_T4_T5_mT6_T7_P12ihipStream_tbENKUlT_T0_E_clISt17integral_constantIbLb0EES11_EEDaSW_SX_EUlSW_E_NS1_11comp_targetILNS1_3genE8ELNS1_11target_archE1030ELNS1_3gpuE2ELNS1_3repE0EEENS1_30default_config_static_selectorELNS0_4arch9wavefront6targetE1EEEvT1_
	.globl	_ZN7rocprim17ROCPRIM_400000_NS6detail17trampoline_kernelINS0_14default_configENS1_27scan_by_key_config_selectorIixEEZZNS1_16scan_by_key_implILNS1_25lookback_scan_determinismE0ELb1ES3_N6thrust23THRUST_200600_302600_NS6detail15normal_iteratorINS9_10device_ptrIiEEEENSB_INSC_IxEEEESG_xNS9_4plusIvEENS9_8equal_toIvEExEE10hipError_tPvRmT2_T3_T4_T5_mT6_T7_P12ihipStream_tbENKUlT_T0_E_clISt17integral_constantIbLb0EES11_EEDaSW_SX_EUlSW_E_NS1_11comp_targetILNS1_3genE8ELNS1_11target_archE1030ELNS1_3gpuE2ELNS1_3repE0EEENS1_30default_config_static_selectorELNS0_4arch9wavefront6targetE1EEEvT1_
	.p2align	8
	.type	_ZN7rocprim17ROCPRIM_400000_NS6detail17trampoline_kernelINS0_14default_configENS1_27scan_by_key_config_selectorIixEEZZNS1_16scan_by_key_implILNS1_25lookback_scan_determinismE0ELb1ES3_N6thrust23THRUST_200600_302600_NS6detail15normal_iteratorINS9_10device_ptrIiEEEENSB_INSC_IxEEEESG_xNS9_4plusIvEENS9_8equal_toIvEExEE10hipError_tPvRmT2_T3_T4_T5_mT6_T7_P12ihipStream_tbENKUlT_T0_E_clISt17integral_constantIbLb0EES11_EEDaSW_SX_EUlSW_E_NS1_11comp_targetILNS1_3genE8ELNS1_11target_archE1030ELNS1_3gpuE2ELNS1_3repE0EEENS1_30default_config_static_selectorELNS0_4arch9wavefront6targetE1EEEvT1_,@function
_ZN7rocprim17ROCPRIM_400000_NS6detail17trampoline_kernelINS0_14default_configENS1_27scan_by_key_config_selectorIixEEZZNS1_16scan_by_key_implILNS1_25lookback_scan_determinismE0ELb1ES3_N6thrust23THRUST_200600_302600_NS6detail15normal_iteratorINS9_10device_ptrIiEEEENSB_INSC_IxEEEESG_xNS9_4plusIvEENS9_8equal_toIvEExEE10hipError_tPvRmT2_T3_T4_T5_mT6_T7_P12ihipStream_tbENKUlT_T0_E_clISt17integral_constantIbLb0EES11_EEDaSW_SX_EUlSW_E_NS1_11comp_targetILNS1_3genE8ELNS1_11target_archE1030ELNS1_3gpuE2ELNS1_3repE0EEENS1_30default_config_static_selectorELNS0_4arch9wavefront6targetE1EEEvT1_: ; @_ZN7rocprim17ROCPRIM_400000_NS6detail17trampoline_kernelINS0_14default_configENS1_27scan_by_key_config_selectorIixEEZZNS1_16scan_by_key_implILNS1_25lookback_scan_determinismE0ELb1ES3_N6thrust23THRUST_200600_302600_NS6detail15normal_iteratorINS9_10device_ptrIiEEEENSB_INSC_IxEEEESG_xNS9_4plusIvEENS9_8equal_toIvEExEE10hipError_tPvRmT2_T3_T4_T5_mT6_T7_P12ihipStream_tbENKUlT_T0_E_clISt17integral_constantIbLb0EES11_EEDaSW_SX_EUlSW_E_NS1_11comp_targetILNS1_3genE8ELNS1_11target_archE1030ELNS1_3gpuE2ELNS1_3repE0EEENS1_30default_config_static_selectorELNS0_4arch9wavefront6targetE1EEEvT1_
; %bb.0:
	.section	.rodata,"a",@progbits
	.p2align	6, 0x0
	.amdhsa_kernel _ZN7rocprim17ROCPRIM_400000_NS6detail17trampoline_kernelINS0_14default_configENS1_27scan_by_key_config_selectorIixEEZZNS1_16scan_by_key_implILNS1_25lookback_scan_determinismE0ELb1ES3_N6thrust23THRUST_200600_302600_NS6detail15normal_iteratorINS9_10device_ptrIiEEEENSB_INSC_IxEEEESG_xNS9_4plusIvEENS9_8equal_toIvEExEE10hipError_tPvRmT2_T3_T4_T5_mT6_T7_P12ihipStream_tbENKUlT_T0_E_clISt17integral_constantIbLb0EES11_EEDaSW_SX_EUlSW_E_NS1_11comp_targetILNS1_3genE8ELNS1_11target_archE1030ELNS1_3gpuE2ELNS1_3repE0EEENS1_30default_config_static_selectorELNS0_4arch9wavefront6targetE1EEEvT1_
		.amdhsa_group_segment_fixed_size 0
		.amdhsa_private_segment_fixed_size 0
		.amdhsa_kernarg_size 136
		.amdhsa_user_sgpr_count 2
		.amdhsa_user_sgpr_dispatch_ptr 0
		.amdhsa_user_sgpr_queue_ptr 0
		.amdhsa_user_sgpr_kernarg_segment_ptr 1
		.amdhsa_user_sgpr_dispatch_id 0
		.amdhsa_user_sgpr_kernarg_preload_length 0
		.amdhsa_user_sgpr_kernarg_preload_offset 0
		.amdhsa_user_sgpr_private_segment_size 0
		.amdhsa_uses_dynamic_stack 0
		.amdhsa_enable_private_segment 0
		.amdhsa_system_sgpr_workgroup_id_x 1
		.amdhsa_system_sgpr_workgroup_id_y 0
		.amdhsa_system_sgpr_workgroup_id_z 0
		.amdhsa_system_sgpr_workgroup_info 0
		.amdhsa_system_vgpr_workitem_id 0
		.amdhsa_next_free_vgpr 1
		.amdhsa_next_free_sgpr 0
		.amdhsa_accum_offset 4
		.amdhsa_reserve_vcc 0
		.amdhsa_float_round_mode_32 0
		.amdhsa_float_round_mode_16_64 0
		.amdhsa_float_denorm_mode_32 3
		.amdhsa_float_denorm_mode_16_64 3
		.amdhsa_dx10_clamp 1
		.amdhsa_ieee_mode 1
		.amdhsa_fp16_overflow 0
		.amdhsa_tg_split 0
		.amdhsa_exception_fp_ieee_invalid_op 0
		.amdhsa_exception_fp_denorm_src 0
		.amdhsa_exception_fp_ieee_div_zero 0
		.amdhsa_exception_fp_ieee_overflow 0
		.amdhsa_exception_fp_ieee_underflow 0
		.amdhsa_exception_fp_ieee_inexact 0
		.amdhsa_exception_int_div_zero 0
	.end_amdhsa_kernel
	.section	.text._ZN7rocprim17ROCPRIM_400000_NS6detail17trampoline_kernelINS0_14default_configENS1_27scan_by_key_config_selectorIixEEZZNS1_16scan_by_key_implILNS1_25lookback_scan_determinismE0ELb1ES3_N6thrust23THRUST_200600_302600_NS6detail15normal_iteratorINS9_10device_ptrIiEEEENSB_INSC_IxEEEESG_xNS9_4plusIvEENS9_8equal_toIvEExEE10hipError_tPvRmT2_T3_T4_T5_mT6_T7_P12ihipStream_tbENKUlT_T0_E_clISt17integral_constantIbLb0EES11_EEDaSW_SX_EUlSW_E_NS1_11comp_targetILNS1_3genE8ELNS1_11target_archE1030ELNS1_3gpuE2ELNS1_3repE0EEENS1_30default_config_static_selectorELNS0_4arch9wavefront6targetE1EEEvT1_,"axG",@progbits,_ZN7rocprim17ROCPRIM_400000_NS6detail17trampoline_kernelINS0_14default_configENS1_27scan_by_key_config_selectorIixEEZZNS1_16scan_by_key_implILNS1_25lookback_scan_determinismE0ELb1ES3_N6thrust23THRUST_200600_302600_NS6detail15normal_iteratorINS9_10device_ptrIiEEEENSB_INSC_IxEEEESG_xNS9_4plusIvEENS9_8equal_toIvEExEE10hipError_tPvRmT2_T3_T4_T5_mT6_T7_P12ihipStream_tbENKUlT_T0_E_clISt17integral_constantIbLb0EES11_EEDaSW_SX_EUlSW_E_NS1_11comp_targetILNS1_3genE8ELNS1_11target_archE1030ELNS1_3gpuE2ELNS1_3repE0EEENS1_30default_config_static_selectorELNS0_4arch9wavefront6targetE1EEEvT1_,comdat
.Lfunc_end1579:
	.size	_ZN7rocprim17ROCPRIM_400000_NS6detail17trampoline_kernelINS0_14default_configENS1_27scan_by_key_config_selectorIixEEZZNS1_16scan_by_key_implILNS1_25lookback_scan_determinismE0ELb1ES3_N6thrust23THRUST_200600_302600_NS6detail15normal_iteratorINS9_10device_ptrIiEEEENSB_INSC_IxEEEESG_xNS9_4plusIvEENS9_8equal_toIvEExEE10hipError_tPvRmT2_T3_T4_T5_mT6_T7_P12ihipStream_tbENKUlT_T0_E_clISt17integral_constantIbLb0EES11_EEDaSW_SX_EUlSW_E_NS1_11comp_targetILNS1_3genE8ELNS1_11target_archE1030ELNS1_3gpuE2ELNS1_3repE0EEENS1_30default_config_static_selectorELNS0_4arch9wavefront6targetE1EEEvT1_, .Lfunc_end1579-_ZN7rocprim17ROCPRIM_400000_NS6detail17trampoline_kernelINS0_14default_configENS1_27scan_by_key_config_selectorIixEEZZNS1_16scan_by_key_implILNS1_25lookback_scan_determinismE0ELb1ES3_N6thrust23THRUST_200600_302600_NS6detail15normal_iteratorINS9_10device_ptrIiEEEENSB_INSC_IxEEEESG_xNS9_4plusIvEENS9_8equal_toIvEExEE10hipError_tPvRmT2_T3_T4_T5_mT6_T7_P12ihipStream_tbENKUlT_T0_E_clISt17integral_constantIbLb0EES11_EEDaSW_SX_EUlSW_E_NS1_11comp_targetILNS1_3genE8ELNS1_11target_archE1030ELNS1_3gpuE2ELNS1_3repE0EEENS1_30default_config_static_selectorELNS0_4arch9wavefront6targetE1EEEvT1_
                                        ; -- End function
	.section	.AMDGPU.csdata,"",@progbits
; Kernel info:
; codeLenInByte = 0
; NumSgprs: 6
; NumVgprs: 0
; NumAgprs: 0
; TotalNumVgprs: 0
; ScratchSize: 0
; MemoryBound: 0
; FloatMode: 240
; IeeeMode: 1
; LDSByteSize: 0 bytes/workgroup (compile time only)
; SGPRBlocks: 0
; VGPRBlocks: 0
; NumSGPRsForWavesPerEU: 6
; NumVGPRsForWavesPerEU: 1
; AccumOffset: 4
; Occupancy: 8
; WaveLimiterHint : 0
; COMPUTE_PGM_RSRC2:SCRATCH_EN: 0
; COMPUTE_PGM_RSRC2:USER_SGPR: 2
; COMPUTE_PGM_RSRC2:TRAP_HANDLER: 0
; COMPUTE_PGM_RSRC2:TGID_X_EN: 1
; COMPUTE_PGM_RSRC2:TGID_Y_EN: 0
; COMPUTE_PGM_RSRC2:TGID_Z_EN: 0
; COMPUTE_PGM_RSRC2:TIDIG_COMP_CNT: 0
; COMPUTE_PGM_RSRC3_GFX90A:ACCUM_OFFSET: 0
; COMPUTE_PGM_RSRC3_GFX90A:TG_SPLIT: 0
	.section	.text._ZN7rocprim17ROCPRIM_400000_NS6detail17trampoline_kernelINS0_14default_configENS1_27scan_by_key_config_selectorIixEEZZNS1_16scan_by_key_implILNS1_25lookback_scan_determinismE0ELb1ES3_N6thrust23THRUST_200600_302600_NS6detail15normal_iteratorINS9_10device_ptrIiEEEENSB_INSC_IxEEEESG_xNS9_4plusIvEENS9_8equal_toIvEExEE10hipError_tPvRmT2_T3_T4_T5_mT6_T7_P12ihipStream_tbENKUlT_T0_E_clISt17integral_constantIbLb1EES11_EEDaSW_SX_EUlSW_E_NS1_11comp_targetILNS1_3genE0ELNS1_11target_archE4294967295ELNS1_3gpuE0ELNS1_3repE0EEENS1_30default_config_static_selectorELNS0_4arch9wavefront6targetE1EEEvT1_,"axG",@progbits,_ZN7rocprim17ROCPRIM_400000_NS6detail17trampoline_kernelINS0_14default_configENS1_27scan_by_key_config_selectorIixEEZZNS1_16scan_by_key_implILNS1_25lookback_scan_determinismE0ELb1ES3_N6thrust23THRUST_200600_302600_NS6detail15normal_iteratorINS9_10device_ptrIiEEEENSB_INSC_IxEEEESG_xNS9_4plusIvEENS9_8equal_toIvEExEE10hipError_tPvRmT2_T3_T4_T5_mT6_T7_P12ihipStream_tbENKUlT_T0_E_clISt17integral_constantIbLb1EES11_EEDaSW_SX_EUlSW_E_NS1_11comp_targetILNS1_3genE0ELNS1_11target_archE4294967295ELNS1_3gpuE0ELNS1_3repE0EEENS1_30default_config_static_selectorELNS0_4arch9wavefront6targetE1EEEvT1_,comdat
	.protected	_ZN7rocprim17ROCPRIM_400000_NS6detail17trampoline_kernelINS0_14default_configENS1_27scan_by_key_config_selectorIixEEZZNS1_16scan_by_key_implILNS1_25lookback_scan_determinismE0ELb1ES3_N6thrust23THRUST_200600_302600_NS6detail15normal_iteratorINS9_10device_ptrIiEEEENSB_INSC_IxEEEESG_xNS9_4plusIvEENS9_8equal_toIvEExEE10hipError_tPvRmT2_T3_T4_T5_mT6_T7_P12ihipStream_tbENKUlT_T0_E_clISt17integral_constantIbLb1EES11_EEDaSW_SX_EUlSW_E_NS1_11comp_targetILNS1_3genE0ELNS1_11target_archE4294967295ELNS1_3gpuE0ELNS1_3repE0EEENS1_30default_config_static_selectorELNS0_4arch9wavefront6targetE1EEEvT1_ ; -- Begin function _ZN7rocprim17ROCPRIM_400000_NS6detail17trampoline_kernelINS0_14default_configENS1_27scan_by_key_config_selectorIixEEZZNS1_16scan_by_key_implILNS1_25lookback_scan_determinismE0ELb1ES3_N6thrust23THRUST_200600_302600_NS6detail15normal_iteratorINS9_10device_ptrIiEEEENSB_INSC_IxEEEESG_xNS9_4plusIvEENS9_8equal_toIvEExEE10hipError_tPvRmT2_T3_T4_T5_mT6_T7_P12ihipStream_tbENKUlT_T0_E_clISt17integral_constantIbLb1EES11_EEDaSW_SX_EUlSW_E_NS1_11comp_targetILNS1_3genE0ELNS1_11target_archE4294967295ELNS1_3gpuE0ELNS1_3repE0EEENS1_30default_config_static_selectorELNS0_4arch9wavefront6targetE1EEEvT1_
	.globl	_ZN7rocprim17ROCPRIM_400000_NS6detail17trampoline_kernelINS0_14default_configENS1_27scan_by_key_config_selectorIixEEZZNS1_16scan_by_key_implILNS1_25lookback_scan_determinismE0ELb1ES3_N6thrust23THRUST_200600_302600_NS6detail15normal_iteratorINS9_10device_ptrIiEEEENSB_INSC_IxEEEESG_xNS9_4plusIvEENS9_8equal_toIvEExEE10hipError_tPvRmT2_T3_T4_T5_mT6_T7_P12ihipStream_tbENKUlT_T0_E_clISt17integral_constantIbLb1EES11_EEDaSW_SX_EUlSW_E_NS1_11comp_targetILNS1_3genE0ELNS1_11target_archE4294967295ELNS1_3gpuE0ELNS1_3repE0EEENS1_30default_config_static_selectorELNS0_4arch9wavefront6targetE1EEEvT1_
	.p2align	8
	.type	_ZN7rocprim17ROCPRIM_400000_NS6detail17trampoline_kernelINS0_14default_configENS1_27scan_by_key_config_selectorIixEEZZNS1_16scan_by_key_implILNS1_25lookback_scan_determinismE0ELb1ES3_N6thrust23THRUST_200600_302600_NS6detail15normal_iteratorINS9_10device_ptrIiEEEENSB_INSC_IxEEEESG_xNS9_4plusIvEENS9_8equal_toIvEExEE10hipError_tPvRmT2_T3_T4_T5_mT6_T7_P12ihipStream_tbENKUlT_T0_E_clISt17integral_constantIbLb1EES11_EEDaSW_SX_EUlSW_E_NS1_11comp_targetILNS1_3genE0ELNS1_11target_archE4294967295ELNS1_3gpuE0ELNS1_3repE0EEENS1_30default_config_static_selectorELNS0_4arch9wavefront6targetE1EEEvT1_,@function
_ZN7rocprim17ROCPRIM_400000_NS6detail17trampoline_kernelINS0_14default_configENS1_27scan_by_key_config_selectorIixEEZZNS1_16scan_by_key_implILNS1_25lookback_scan_determinismE0ELb1ES3_N6thrust23THRUST_200600_302600_NS6detail15normal_iteratorINS9_10device_ptrIiEEEENSB_INSC_IxEEEESG_xNS9_4plusIvEENS9_8equal_toIvEExEE10hipError_tPvRmT2_T3_T4_T5_mT6_T7_P12ihipStream_tbENKUlT_T0_E_clISt17integral_constantIbLb1EES11_EEDaSW_SX_EUlSW_E_NS1_11comp_targetILNS1_3genE0ELNS1_11target_archE4294967295ELNS1_3gpuE0ELNS1_3repE0EEENS1_30default_config_static_selectorELNS0_4arch9wavefront6targetE1EEEvT1_: ; @_ZN7rocprim17ROCPRIM_400000_NS6detail17trampoline_kernelINS0_14default_configENS1_27scan_by_key_config_selectorIixEEZZNS1_16scan_by_key_implILNS1_25lookback_scan_determinismE0ELb1ES3_N6thrust23THRUST_200600_302600_NS6detail15normal_iteratorINS9_10device_ptrIiEEEENSB_INSC_IxEEEESG_xNS9_4plusIvEENS9_8equal_toIvEExEE10hipError_tPvRmT2_T3_T4_T5_mT6_T7_P12ihipStream_tbENKUlT_T0_E_clISt17integral_constantIbLb1EES11_EEDaSW_SX_EUlSW_E_NS1_11comp_targetILNS1_3genE0ELNS1_11target_archE4294967295ELNS1_3gpuE0ELNS1_3repE0EEENS1_30default_config_static_selectorELNS0_4arch9wavefront6targetE1EEEvT1_
; %bb.0:
	.section	.rodata,"a",@progbits
	.p2align	6, 0x0
	.amdhsa_kernel _ZN7rocprim17ROCPRIM_400000_NS6detail17trampoline_kernelINS0_14default_configENS1_27scan_by_key_config_selectorIixEEZZNS1_16scan_by_key_implILNS1_25lookback_scan_determinismE0ELb1ES3_N6thrust23THRUST_200600_302600_NS6detail15normal_iteratorINS9_10device_ptrIiEEEENSB_INSC_IxEEEESG_xNS9_4plusIvEENS9_8equal_toIvEExEE10hipError_tPvRmT2_T3_T4_T5_mT6_T7_P12ihipStream_tbENKUlT_T0_E_clISt17integral_constantIbLb1EES11_EEDaSW_SX_EUlSW_E_NS1_11comp_targetILNS1_3genE0ELNS1_11target_archE4294967295ELNS1_3gpuE0ELNS1_3repE0EEENS1_30default_config_static_selectorELNS0_4arch9wavefront6targetE1EEEvT1_
		.amdhsa_group_segment_fixed_size 0
		.amdhsa_private_segment_fixed_size 0
		.amdhsa_kernarg_size 136
		.amdhsa_user_sgpr_count 2
		.amdhsa_user_sgpr_dispatch_ptr 0
		.amdhsa_user_sgpr_queue_ptr 0
		.amdhsa_user_sgpr_kernarg_segment_ptr 1
		.amdhsa_user_sgpr_dispatch_id 0
		.amdhsa_user_sgpr_kernarg_preload_length 0
		.amdhsa_user_sgpr_kernarg_preload_offset 0
		.amdhsa_user_sgpr_private_segment_size 0
		.amdhsa_uses_dynamic_stack 0
		.amdhsa_enable_private_segment 0
		.amdhsa_system_sgpr_workgroup_id_x 1
		.amdhsa_system_sgpr_workgroup_id_y 0
		.amdhsa_system_sgpr_workgroup_id_z 0
		.amdhsa_system_sgpr_workgroup_info 0
		.amdhsa_system_vgpr_workitem_id 0
		.amdhsa_next_free_vgpr 1
		.amdhsa_next_free_sgpr 0
		.amdhsa_accum_offset 4
		.amdhsa_reserve_vcc 0
		.amdhsa_float_round_mode_32 0
		.amdhsa_float_round_mode_16_64 0
		.amdhsa_float_denorm_mode_32 3
		.amdhsa_float_denorm_mode_16_64 3
		.amdhsa_dx10_clamp 1
		.amdhsa_ieee_mode 1
		.amdhsa_fp16_overflow 0
		.amdhsa_tg_split 0
		.amdhsa_exception_fp_ieee_invalid_op 0
		.amdhsa_exception_fp_denorm_src 0
		.amdhsa_exception_fp_ieee_div_zero 0
		.amdhsa_exception_fp_ieee_overflow 0
		.amdhsa_exception_fp_ieee_underflow 0
		.amdhsa_exception_fp_ieee_inexact 0
		.amdhsa_exception_int_div_zero 0
	.end_amdhsa_kernel
	.section	.text._ZN7rocprim17ROCPRIM_400000_NS6detail17trampoline_kernelINS0_14default_configENS1_27scan_by_key_config_selectorIixEEZZNS1_16scan_by_key_implILNS1_25lookback_scan_determinismE0ELb1ES3_N6thrust23THRUST_200600_302600_NS6detail15normal_iteratorINS9_10device_ptrIiEEEENSB_INSC_IxEEEESG_xNS9_4plusIvEENS9_8equal_toIvEExEE10hipError_tPvRmT2_T3_T4_T5_mT6_T7_P12ihipStream_tbENKUlT_T0_E_clISt17integral_constantIbLb1EES11_EEDaSW_SX_EUlSW_E_NS1_11comp_targetILNS1_3genE0ELNS1_11target_archE4294967295ELNS1_3gpuE0ELNS1_3repE0EEENS1_30default_config_static_selectorELNS0_4arch9wavefront6targetE1EEEvT1_,"axG",@progbits,_ZN7rocprim17ROCPRIM_400000_NS6detail17trampoline_kernelINS0_14default_configENS1_27scan_by_key_config_selectorIixEEZZNS1_16scan_by_key_implILNS1_25lookback_scan_determinismE0ELb1ES3_N6thrust23THRUST_200600_302600_NS6detail15normal_iteratorINS9_10device_ptrIiEEEENSB_INSC_IxEEEESG_xNS9_4plusIvEENS9_8equal_toIvEExEE10hipError_tPvRmT2_T3_T4_T5_mT6_T7_P12ihipStream_tbENKUlT_T0_E_clISt17integral_constantIbLb1EES11_EEDaSW_SX_EUlSW_E_NS1_11comp_targetILNS1_3genE0ELNS1_11target_archE4294967295ELNS1_3gpuE0ELNS1_3repE0EEENS1_30default_config_static_selectorELNS0_4arch9wavefront6targetE1EEEvT1_,comdat
.Lfunc_end1580:
	.size	_ZN7rocprim17ROCPRIM_400000_NS6detail17trampoline_kernelINS0_14default_configENS1_27scan_by_key_config_selectorIixEEZZNS1_16scan_by_key_implILNS1_25lookback_scan_determinismE0ELb1ES3_N6thrust23THRUST_200600_302600_NS6detail15normal_iteratorINS9_10device_ptrIiEEEENSB_INSC_IxEEEESG_xNS9_4plusIvEENS9_8equal_toIvEExEE10hipError_tPvRmT2_T3_T4_T5_mT6_T7_P12ihipStream_tbENKUlT_T0_E_clISt17integral_constantIbLb1EES11_EEDaSW_SX_EUlSW_E_NS1_11comp_targetILNS1_3genE0ELNS1_11target_archE4294967295ELNS1_3gpuE0ELNS1_3repE0EEENS1_30default_config_static_selectorELNS0_4arch9wavefront6targetE1EEEvT1_, .Lfunc_end1580-_ZN7rocprim17ROCPRIM_400000_NS6detail17trampoline_kernelINS0_14default_configENS1_27scan_by_key_config_selectorIixEEZZNS1_16scan_by_key_implILNS1_25lookback_scan_determinismE0ELb1ES3_N6thrust23THRUST_200600_302600_NS6detail15normal_iteratorINS9_10device_ptrIiEEEENSB_INSC_IxEEEESG_xNS9_4plusIvEENS9_8equal_toIvEExEE10hipError_tPvRmT2_T3_T4_T5_mT6_T7_P12ihipStream_tbENKUlT_T0_E_clISt17integral_constantIbLb1EES11_EEDaSW_SX_EUlSW_E_NS1_11comp_targetILNS1_3genE0ELNS1_11target_archE4294967295ELNS1_3gpuE0ELNS1_3repE0EEENS1_30default_config_static_selectorELNS0_4arch9wavefront6targetE1EEEvT1_
                                        ; -- End function
	.section	.AMDGPU.csdata,"",@progbits
; Kernel info:
; codeLenInByte = 0
; NumSgprs: 6
; NumVgprs: 0
; NumAgprs: 0
; TotalNumVgprs: 0
; ScratchSize: 0
; MemoryBound: 0
; FloatMode: 240
; IeeeMode: 1
; LDSByteSize: 0 bytes/workgroup (compile time only)
; SGPRBlocks: 0
; VGPRBlocks: 0
; NumSGPRsForWavesPerEU: 6
; NumVGPRsForWavesPerEU: 1
; AccumOffset: 4
; Occupancy: 8
; WaveLimiterHint : 0
; COMPUTE_PGM_RSRC2:SCRATCH_EN: 0
; COMPUTE_PGM_RSRC2:USER_SGPR: 2
; COMPUTE_PGM_RSRC2:TRAP_HANDLER: 0
; COMPUTE_PGM_RSRC2:TGID_X_EN: 1
; COMPUTE_PGM_RSRC2:TGID_Y_EN: 0
; COMPUTE_PGM_RSRC2:TGID_Z_EN: 0
; COMPUTE_PGM_RSRC2:TIDIG_COMP_CNT: 0
; COMPUTE_PGM_RSRC3_GFX90A:ACCUM_OFFSET: 0
; COMPUTE_PGM_RSRC3_GFX90A:TG_SPLIT: 0
	.section	.text._ZN7rocprim17ROCPRIM_400000_NS6detail17trampoline_kernelINS0_14default_configENS1_27scan_by_key_config_selectorIixEEZZNS1_16scan_by_key_implILNS1_25lookback_scan_determinismE0ELb1ES3_N6thrust23THRUST_200600_302600_NS6detail15normal_iteratorINS9_10device_ptrIiEEEENSB_INSC_IxEEEESG_xNS9_4plusIvEENS9_8equal_toIvEExEE10hipError_tPvRmT2_T3_T4_T5_mT6_T7_P12ihipStream_tbENKUlT_T0_E_clISt17integral_constantIbLb1EES11_EEDaSW_SX_EUlSW_E_NS1_11comp_targetILNS1_3genE10ELNS1_11target_archE1201ELNS1_3gpuE5ELNS1_3repE0EEENS1_30default_config_static_selectorELNS0_4arch9wavefront6targetE1EEEvT1_,"axG",@progbits,_ZN7rocprim17ROCPRIM_400000_NS6detail17trampoline_kernelINS0_14default_configENS1_27scan_by_key_config_selectorIixEEZZNS1_16scan_by_key_implILNS1_25lookback_scan_determinismE0ELb1ES3_N6thrust23THRUST_200600_302600_NS6detail15normal_iteratorINS9_10device_ptrIiEEEENSB_INSC_IxEEEESG_xNS9_4plusIvEENS9_8equal_toIvEExEE10hipError_tPvRmT2_T3_T4_T5_mT6_T7_P12ihipStream_tbENKUlT_T0_E_clISt17integral_constantIbLb1EES11_EEDaSW_SX_EUlSW_E_NS1_11comp_targetILNS1_3genE10ELNS1_11target_archE1201ELNS1_3gpuE5ELNS1_3repE0EEENS1_30default_config_static_selectorELNS0_4arch9wavefront6targetE1EEEvT1_,comdat
	.protected	_ZN7rocprim17ROCPRIM_400000_NS6detail17trampoline_kernelINS0_14default_configENS1_27scan_by_key_config_selectorIixEEZZNS1_16scan_by_key_implILNS1_25lookback_scan_determinismE0ELb1ES3_N6thrust23THRUST_200600_302600_NS6detail15normal_iteratorINS9_10device_ptrIiEEEENSB_INSC_IxEEEESG_xNS9_4plusIvEENS9_8equal_toIvEExEE10hipError_tPvRmT2_T3_T4_T5_mT6_T7_P12ihipStream_tbENKUlT_T0_E_clISt17integral_constantIbLb1EES11_EEDaSW_SX_EUlSW_E_NS1_11comp_targetILNS1_3genE10ELNS1_11target_archE1201ELNS1_3gpuE5ELNS1_3repE0EEENS1_30default_config_static_selectorELNS0_4arch9wavefront6targetE1EEEvT1_ ; -- Begin function _ZN7rocprim17ROCPRIM_400000_NS6detail17trampoline_kernelINS0_14default_configENS1_27scan_by_key_config_selectorIixEEZZNS1_16scan_by_key_implILNS1_25lookback_scan_determinismE0ELb1ES3_N6thrust23THRUST_200600_302600_NS6detail15normal_iteratorINS9_10device_ptrIiEEEENSB_INSC_IxEEEESG_xNS9_4plusIvEENS9_8equal_toIvEExEE10hipError_tPvRmT2_T3_T4_T5_mT6_T7_P12ihipStream_tbENKUlT_T0_E_clISt17integral_constantIbLb1EES11_EEDaSW_SX_EUlSW_E_NS1_11comp_targetILNS1_3genE10ELNS1_11target_archE1201ELNS1_3gpuE5ELNS1_3repE0EEENS1_30default_config_static_selectorELNS0_4arch9wavefront6targetE1EEEvT1_
	.globl	_ZN7rocprim17ROCPRIM_400000_NS6detail17trampoline_kernelINS0_14default_configENS1_27scan_by_key_config_selectorIixEEZZNS1_16scan_by_key_implILNS1_25lookback_scan_determinismE0ELb1ES3_N6thrust23THRUST_200600_302600_NS6detail15normal_iteratorINS9_10device_ptrIiEEEENSB_INSC_IxEEEESG_xNS9_4plusIvEENS9_8equal_toIvEExEE10hipError_tPvRmT2_T3_T4_T5_mT6_T7_P12ihipStream_tbENKUlT_T0_E_clISt17integral_constantIbLb1EES11_EEDaSW_SX_EUlSW_E_NS1_11comp_targetILNS1_3genE10ELNS1_11target_archE1201ELNS1_3gpuE5ELNS1_3repE0EEENS1_30default_config_static_selectorELNS0_4arch9wavefront6targetE1EEEvT1_
	.p2align	8
	.type	_ZN7rocprim17ROCPRIM_400000_NS6detail17trampoline_kernelINS0_14default_configENS1_27scan_by_key_config_selectorIixEEZZNS1_16scan_by_key_implILNS1_25lookback_scan_determinismE0ELb1ES3_N6thrust23THRUST_200600_302600_NS6detail15normal_iteratorINS9_10device_ptrIiEEEENSB_INSC_IxEEEESG_xNS9_4plusIvEENS9_8equal_toIvEExEE10hipError_tPvRmT2_T3_T4_T5_mT6_T7_P12ihipStream_tbENKUlT_T0_E_clISt17integral_constantIbLb1EES11_EEDaSW_SX_EUlSW_E_NS1_11comp_targetILNS1_3genE10ELNS1_11target_archE1201ELNS1_3gpuE5ELNS1_3repE0EEENS1_30default_config_static_selectorELNS0_4arch9wavefront6targetE1EEEvT1_,@function
_ZN7rocprim17ROCPRIM_400000_NS6detail17trampoline_kernelINS0_14default_configENS1_27scan_by_key_config_selectorIixEEZZNS1_16scan_by_key_implILNS1_25lookback_scan_determinismE0ELb1ES3_N6thrust23THRUST_200600_302600_NS6detail15normal_iteratorINS9_10device_ptrIiEEEENSB_INSC_IxEEEESG_xNS9_4plusIvEENS9_8equal_toIvEExEE10hipError_tPvRmT2_T3_T4_T5_mT6_T7_P12ihipStream_tbENKUlT_T0_E_clISt17integral_constantIbLb1EES11_EEDaSW_SX_EUlSW_E_NS1_11comp_targetILNS1_3genE10ELNS1_11target_archE1201ELNS1_3gpuE5ELNS1_3repE0EEENS1_30default_config_static_selectorELNS0_4arch9wavefront6targetE1EEEvT1_: ; @_ZN7rocprim17ROCPRIM_400000_NS6detail17trampoline_kernelINS0_14default_configENS1_27scan_by_key_config_selectorIixEEZZNS1_16scan_by_key_implILNS1_25lookback_scan_determinismE0ELb1ES3_N6thrust23THRUST_200600_302600_NS6detail15normal_iteratorINS9_10device_ptrIiEEEENSB_INSC_IxEEEESG_xNS9_4plusIvEENS9_8equal_toIvEExEE10hipError_tPvRmT2_T3_T4_T5_mT6_T7_P12ihipStream_tbENKUlT_T0_E_clISt17integral_constantIbLb1EES11_EEDaSW_SX_EUlSW_E_NS1_11comp_targetILNS1_3genE10ELNS1_11target_archE1201ELNS1_3gpuE5ELNS1_3repE0EEENS1_30default_config_static_selectorELNS0_4arch9wavefront6targetE1EEEvT1_
; %bb.0:
	.section	.rodata,"a",@progbits
	.p2align	6, 0x0
	.amdhsa_kernel _ZN7rocprim17ROCPRIM_400000_NS6detail17trampoline_kernelINS0_14default_configENS1_27scan_by_key_config_selectorIixEEZZNS1_16scan_by_key_implILNS1_25lookback_scan_determinismE0ELb1ES3_N6thrust23THRUST_200600_302600_NS6detail15normal_iteratorINS9_10device_ptrIiEEEENSB_INSC_IxEEEESG_xNS9_4plusIvEENS9_8equal_toIvEExEE10hipError_tPvRmT2_T3_T4_T5_mT6_T7_P12ihipStream_tbENKUlT_T0_E_clISt17integral_constantIbLb1EES11_EEDaSW_SX_EUlSW_E_NS1_11comp_targetILNS1_3genE10ELNS1_11target_archE1201ELNS1_3gpuE5ELNS1_3repE0EEENS1_30default_config_static_selectorELNS0_4arch9wavefront6targetE1EEEvT1_
		.amdhsa_group_segment_fixed_size 0
		.amdhsa_private_segment_fixed_size 0
		.amdhsa_kernarg_size 136
		.amdhsa_user_sgpr_count 2
		.amdhsa_user_sgpr_dispatch_ptr 0
		.amdhsa_user_sgpr_queue_ptr 0
		.amdhsa_user_sgpr_kernarg_segment_ptr 1
		.amdhsa_user_sgpr_dispatch_id 0
		.amdhsa_user_sgpr_kernarg_preload_length 0
		.amdhsa_user_sgpr_kernarg_preload_offset 0
		.amdhsa_user_sgpr_private_segment_size 0
		.amdhsa_uses_dynamic_stack 0
		.amdhsa_enable_private_segment 0
		.amdhsa_system_sgpr_workgroup_id_x 1
		.amdhsa_system_sgpr_workgroup_id_y 0
		.amdhsa_system_sgpr_workgroup_id_z 0
		.amdhsa_system_sgpr_workgroup_info 0
		.amdhsa_system_vgpr_workitem_id 0
		.amdhsa_next_free_vgpr 1
		.amdhsa_next_free_sgpr 0
		.amdhsa_accum_offset 4
		.amdhsa_reserve_vcc 0
		.amdhsa_float_round_mode_32 0
		.amdhsa_float_round_mode_16_64 0
		.amdhsa_float_denorm_mode_32 3
		.amdhsa_float_denorm_mode_16_64 3
		.amdhsa_dx10_clamp 1
		.amdhsa_ieee_mode 1
		.amdhsa_fp16_overflow 0
		.amdhsa_tg_split 0
		.amdhsa_exception_fp_ieee_invalid_op 0
		.amdhsa_exception_fp_denorm_src 0
		.amdhsa_exception_fp_ieee_div_zero 0
		.amdhsa_exception_fp_ieee_overflow 0
		.amdhsa_exception_fp_ieee_underflow 0
		.amdhsa_exception_fp_ieee_inexact 0
		.amdhsa_exception_int_div_zero 0
	.end_amdhsa_kernel
	.section	.text._ZN7rocprim17ROCPRIM_400000_NS6detail17trampoline_kernelINS0_14default_configENS1_27scan_by_key_config_selectorIixEEZZNS1_16scan_by_key_implILNS1_25lookback_scan_determinismE0ELb1ES3_N6thrust23THRUST_200600_302600_NS6detail15normal_iteratorINS9_10device_ptrIiEEEENSB_INSC_IxEEEESG_xNS9_4plusIvEENS9_8equal_toIvEExEE10hipError_tPvRmT2_T3_T4_T5_mT6_T7_P12ihipStream_tbENKUlT_T0_E_clISt17integral_constantIbLb1EES11_EEDaSW_SX_EUlSW_E_NS1_11comp_targetILNS1_3genE10ELNS1_11target_archE1201ELNS1_3gpuE5ELNS1_3repE0EEENS1_30default_config_static_selectorELNS0_4arch9wavefront6targetE1EEEvT1_,"axG",@progbits,_ZN7rocprim17ROCPRIM_400000_NS6detail17trampoline_kernelINS0_14default_configENS1_27scan_by_key_config_selectorIixEEZZNS1_16scan_by_key_implILNS1_25lookback_scan_determinismE0ELb1ES3_N6thrust23THRUST_200600_302600_NS6detail15normal_iteratorINS9_10device_ptrIiEEEENSB_INSC_IxEEEESG_xNS9_4plusIvEENS9_8equal_toIvEExEE10hipError_tPvRmT2_T3_T4_T5_mT6_T7_P12ihipStream_tbENKUlT_T0_E_clISt17integral_constantIbLb1EES11_EEDaSW_SX_EUlSW_E_NS1_11comp_targetILNS1_3genE10ELNS1_11target_archE1201ELNS1_3gpuE5ELNS1_3repE0EEENS1_30default_config_static_selectorELNS0_4arch9wavefront6targetE1EEEvT1_,comdat
.Lfunc_end1581:
	.size	_ZN7rocprim17ROCPRIM_400000_NS6detail17trampoline_kernelINS0_14default_configENS1_27scan_by_key_config_selectorIixEEZZNS1_16scan_by_key_implILNS1_25lookback_scan_determinismE0ELb1ES3_N6thrust23THRUST_200600_302600_NS6detail15normal_iteratorINS9_10device_ptrIiEEEENSB_INSC_IxEEEESG_xNS9_4plusIvEENS9_8equal_toIvEExEE10hipError_tPvRmT2_T3_T4_T5_mT6_T7_P12ihipStream_tbENKUlT_T0_E_clISt17integral_constantIbLb1EES11_EEDaSW_SX_EUlSW_E_NS1_11comp_targetILNS1_3genE10ELNS1_11target_archE1201ELNS1_3gpuE5ELNS1_3repE0EEENS1_30default_config_static_selectorELNS0_4arch9wavefront6targetE1EEEvT1_, .Lfunc_end1581-_ZN7rocprim17ROCPRIM_400000_NS6detail17trampoline_kernelINS0_14default_configENS1_27scan_by_key_config_selectorIixEEZZNS1_16scan_by_key_implILNS1_25lookback_scan_determinismE0ELb1ES3_N6thrust23THRUST_200600_302600_NS6detail15normal_iteratorINS9_10device_ptrIiEEEENSB_INSC_IxEEEESG_xNS9_4plusIvEENS9_8equal_toIvEExEE10hipError_tPvRmT2_T3_T4_T5_mT6_T7_P12ihipStream_tbENKUlT_T0_E_clISt17integral_constantIbLb1EES11_EEDaSW_SX_EUlSW_E_NS1_11comp_targetILNS1_3genE10ELNS1_11target_archE1201ELNS1_3gpuE5ELNS1_3repE0EEENS1_30default_config_static_selectorELNS0_4arch9wavefront6targetE1EEEvT1_
                                        ; -- End function
	.section	.AMDGPU.csdata,"",@progbits
; Kernel info:
; codeLenInByte = 0
; NumSgprs: 6
; NumVgprs: 0
; NumAgprs: 0
; TotalNumVgprs: 0
; ScratchSize: 0
; MemoryBound: 0
; FloatMode: 240
; IeeeMode: 1
; LDSByteSize: 0 bytes/workgroup (compile time only)
; SGPRBlocks: 0
; VGPRBlocks: 0
; NumSGPRsForWavesPerEU: 6
; NumVGPRsForWavesPerEU: 1
; AccumOffset: 4
; Occupancy: 8
; WaveLimiterHint : 0
; COMPUTE_PGM_RSRC2:SCRATCH_EN: 0
; COMPUTE_PGM_RSRC2:USER_SGPR: 2
; COMPUTE_PGM_RSRC2:TRAP_HANDLER: 0
; COMPUTE_PGM_RSRC2:TGID_X_EN: 1
; COMPUTE_PGM_RSRC2:TGID_Y_EN: 0
; COMPUTE_PGM_RSRC2:TGID_Z_EN: 0
; COMPUTE_PGM_RSRC2:TIDIG_COMP_CNT: 0
; COMPUTE_PGM_RSRC3_GFX90A:ACCUM_OFFSET: 0
; COMPUTE_PGM_RSRC3_GFX90A:TG_SPLIT: 0
	.section	.text._ZN7rocprim17ROCPRIM_400000_NS6detail17trampoline_kernelINS0_14default_configENS1_27scan_by_key_config_selectorIixEEZZNS1_16scan_by_key_implILNS1_25lookback_scan_determinismE0ELb1ES3_N6thrust23THRUST_200600_302600_NS6detail15normal_iteratorINS9_10device_ptrIiEEEENSB_INSC_IxEEEESG_xNS9_4plusIvEENS9_8equal_toIvEExEE10hipError_tPvRmT2_T3_T4_T5_mT6_T7_P12ihipStream_tbENKUlT_T0_E_clISt17integral_constantIbLb1EES11_EEDaSW_SX_EUlSW_E_NS1_11comp_targetILNS1_3genE5ELNS1_11target_archE942ELNS1_3gpuE9ELNS1_3repE0EEENS1_30default_config_static_selectorELNS0_4arch9wavefront6targetE1EEEvT1_,"axG",@progbits,_ZN7rocprim17ROCPRIM_400000_NS6detail17trampoline_kernelINS0_14default_configENS1_27scan_by_key_config_selectorIixEEZZNS1_16scan_by_key_implILNS1_25lookback_scan_determinismE0ELb1ES3_N6thrust23THRUST_200600_302600_NS6detail15normal_iteratorINS9_10device_ptrIiEEEENSB_INSC_IxEEEESG_xNS9_4plusIvEENS9_8equal_toIvEExEE10hipError_tPvRmT2_T3_T4_T5_mT6_T7_P12ihipStream_tbENKUlT_T0_E_clISt17integral_constantIbLb1EES11_EEDaSW_SX_EUlSW_E_NS1_11comp_targetILNS1_3genE5ELNS1_11target_archE942ELNS1_3gpuE9ELNS1_3repE0EEENS1_30default_config_static_selectorELNS0_4arch9wavefront6targetE1EEEvT1_,comdat
	.protected	_ZN7rocprim17ROCPRIM_400000_NS6detail17trampoline_kernelINS0_14default_configENS1_27scan_by_key_config_selectorIixEEZZNS1_16scan_by_key_implILNS1_25lookback_scan_determinismE0ELb1ES3_N6thrust23THRUST_200600_302600_NS6detail15normal_iteratorINS9_10device_ptrIiEEEENSB_INSC_IxEEEESG_xNS9_4plusIvEENS9_8equal_toIvEExEE10hipError_tPvRmT2_T3_T4_T5_mT6_T7_P12ihipStream_tbENKUlT_T0_E_clISt17integral_constantIbLb1EES11_EEDaSW_SX_EUlSW_E_NS1_11comp_targetILNS1_3genE5ELNS1_11target_archE942ELNS1_3gpuE9ELNS1_3repE0EEENS1_30default_config_static_selectorELNS0_4arch9wavefront6targetE1EEEvT1_ ; -- Begin function _ZN7rocprim17ROCPRIM_400000_NS6detail17trampoline_kernelINS0_14default_configENS1_27scan_by_key_config_selectorIixEEZZNS1_16scan_by_key_implILNS1_25lookback_scan_determinismE0ELb1ES3_N6thrust23THRUST_200600_302600_NS6detail15normal_iteratorINS9_10device_ptrIiEEEENSB_INSC_IxEEEESG_xNS9_4plusIvEENS9_8equal_toIvEExEE10hipError_tPvRmT2_T3_T4_T5_mT6_T7_P12ihipStream_tbENKUlT_T0_E_clISt17integral_constantIbLb1EES11_EEDaSW_SX_EUlSW_E_NS1_11comp_targetILNS1_3genE5ELNS1_11target_archE942ELNS1_3gpuE9ELNS1_3repE0EEENS1_30default_config_static_selectorELNS0_4arch9wavefront6targetE1EEEvT1_
	.globl	_ZN7rocprim17ROCPRIM_400000_NS6detail17trampoline_kernelINS0_14default_configENS1_27scan_by_key_config_selectorIixEEZZNS1_16scan_by_key_implILNS1_25lookback_scan_determinismE0ELb1ES3_N6thrust23THRUST_200600_302600_NS6detail15normal_iteratorINS9_10device_ptrIiEEEENSB_INSC_IxEEEESG_xNS9_4plusIvEENS9_8equal_toIvEExEE10hipError_tPvRmT2_T3_T4_T5_mT6_T7_P12ihipStream_tbENKUlT_T0_E_clISt17integral_constantIbLb1EES11_EEDaSW_SX_EUlSW_E_NS1_11comp_targetILNS1_3genE5ELNS1_11target_archE942ELNS1_3gpuE9ELNS1_3repE0EEENS1_30default_config_static_selectorELNS0_4arch9wavefront6targetE1EEEvT1_
	.p2align	8
	.type	_ZN7rocprim17ROCPRIM_400000_NS6detail17trampoline_kernelINS0_14default_configENS1_27scan_by_key_config_selectorIixEEZZNS1_16scan_by_key_implILNS1_25lookback_scan_determinismE0ELb1ES3_N6thrust23THRUST_200600_302600_NS6detail15normal_iteratorINS9_10device_ptrIiEEEENSB_INSC_IxEEEESG_xNS9_4plusIvEENS9_8equal_toIvEExEE10hipError_tPvRmT2_T3_T4_T5_mT6_T7_P12ihipStream_tbENKUlT_T0_E_clISt17integral_constantIbLb1EES11_EEDaSW_SX_EUlSW_E_NS1_11comp_targetILNS1_3genE5ELNS1_11target_archE942ELNS1_3gpuE9ELNS1_3repE0EEENS1_30default_config_static_selectorELNS0_4arch9wavefront6targetE1EEEvT1_,@function
_ZN7rocprim17ROCPRIM_400000_NS6detail17trampoline_kernelINS0_14default_configENS1_27scan_by_key_config_selectorIixEEZZNS1_16scan_by_key_implILNS1_25lookback_scan_determinismE0ELb1ES3_N6thrust23THRUST_200600_302600_NS6detail15normal_iteratorINS9_10device_ptrIiEEEENSB_INSC_IxEEEESG_xNS9_4plusIvEENS9_8equal_toIvEExEE10hipError_tPvRmT2_T3_T4_T5_mT6_T7_P12ihipStream_tbENKUlT_T0_E_clISt17integral_constantIbLb1EES11_EEDaSW_SX_EUlSW_E_NS1_11comp_targetILNS1_3genE5ELNS1_11target_archE942ELNS1_3gpuE9ELNS1_3repE0EEENS1_30default_config_static_selectorELNS0_4arch9wavefront6targetE1EEEvT1_: ; @_ZN7rocprim17ROCPRIM_400000_NS6detail17trampoline_kernelINS0_14default_configENS1_27scan_by_key_config_selectorIixEEZZNS1_16scan_by_key_implILNS1_25lookback_scan_determinismE0ELb1ES3_N6thrust23THRUST_200600_302600_NS6detail15normal_iteratorINS9_10device_ptrIiEEEENSB_INSC_IxEEEESG_xNS9_4plusIvEENS9_8equal_toIvEExEE10hipError_tPvRmT2_T3_T4_T5_mT6_T7_P12ihipStream_tbENKUlT_T0_E_clISt17integral_constantIbLb1EES11_EEDaSW_SX_EUlSW_E_NS1_11comp_targetILNS1_3genE5ELNS1_11target_archE942ELNS1_3gpuE9ELNS1_3repE0EEENS1_30default_config_static_selectorELNS0_4arch9wavefront6targetE1EEEvT1_
; %bb.0:
	s_load_dwordx8 s[56:63], s[0:1], 0x0
	s_load_dwordx2 s[68:69], s[0:1], 0x20
	s_load_dwordx8 s[48:55], s[0:1], 0x30
	s_load_dwordx2 s[70:71], s[0:1], 0x50
	v_cmp_eq_u32_e64 s[46:47], 0, v0
	s_and_saveexec_b64 s[2:3], s[46:47]
	s_cbranch_execz .LBB1582_4
; %bb.1:
	s_mov_b64 s[6:7], exec
	v_mbcnt_lo_u32_b32 v1, s6, 0
	v_mbcnt_hi_u32_b32 v1, s7, v1
	v_cmp_eq_u32_e32 vcc, 0, v1
                                        ; implicit-def: $vgpr2
	s_and_saveexec_b64 s[4:5], vcc
	s_cbranch_execz .LBB1582_3
; %bb.2:
	s_load_dwordx2 s[8:9], s[0:1], 0x80
	s_bcnt1_i32_b64 s6, s[6:7]
	v_mov_b32_e32 v2, 0
	v_mov_b32_e32 v3, s6
	s_waitcnt lgkmcnt(0)
	global_atomic_add v2, v2, v3, s[8:9] sc0
.LBB1582_3:
	s_or_b64 exec, exec, s[4:5]
	s_waitcnt vmcnt(0)
	v_readfirstlane_b32 s4, v2
	v_mov_b32_e32 v2, 0
	s_nop 0
	v_add_u32_e32 v1, s4, v1
	ds_write_b32 v2, v1
.LBB1582_4:
	s_or_b64 exec, exec, s[2:3]
	s_load_dword s2, s[0:1], 0x58
	s_load_dwordx4 s[64:67], s[0:1], 0x60
	v_mov_b32_e32 v3, 0
	s_waitcnt lgkmcnt(0)
	s_lshl_b64 s[0:1], s[58:59], 2
	s_barrier
	ds_read_b32 v2, v3
	s_add_u32 s0, s56, s0
	s_addc_u32 s1, s57, s1
	s_lshl_b64 s[56:57], s[58:59], 3
	s_add_u32 s4, s60, s56
	s_mul_i32 s3, s71, s2
	s_mul_hi_u32 s6, s70, s2
	s_addc_u32 s5, s61, s57
	s_add_i32 s3, s6, s3
	s_movk_i32 s6, 0x1500
	s_waitcnt lgkmcnt(0)
	v_mul_lo_u32 v4, v2, s6
	v_mov_b32_e32 v5, v3
	v_lshlrev_b64 v[6:7], 2, v[4:5]
	v_lshlrev_b64 v[42:43], 3, v[4:5]
	s_mul_i32 s2, s70, s2
	v_lshl_add_u64 v[8:9], s[0:1], 0, v[6:7]
	v_lshl_add_u64 v[6:7], s[4:5], 0, v[42:43]
	s_add_u32 s4, s64, -1
	v_readfirstlane_b32 s55, v2
	v_lshl_add_u64 v[2:3], s[2:3], 0, v[2:3]
	s_addc_u32 s5, s65, -1
	v_cmp_le_u64_e64 s[2:3], s[4:5], v[2:3]
	s_mov_b64 s[0:1], -1
	s_and_b64 vcc, exec, s[2:3]
	s_mul_i32 s33, s4, 0xffffeb00
	s_barrier
	s_barrier
	s_cbranch_vccz .LBB1582_69
; %bb.5:
	flat_load_dword v2, v[8:9]
	s_add_i32 s64, s33, s54
	v_cmp_gt_u32_e32 vcc, s64, v0
	s_waitcnt vmcnt(0) lgkmcnt(0)
	v_mov_b32_e32 v4, v2
	s_and_saveexec_b64 s[0:1], vcc
	s_cbranch_execz .LBB1582_7
; %bb.6:
	v_lshlrev_b32_e32 v4, 2, v0
	v_mov_b32_e32 v5, 0
	v_lshl_add_u64 v[4:5], v[8:9], 0, v[4:5]
	flat_load_dword v4, v[4:5]
.LBB1582_7:
	s_or_b64 exec, exec, s[0:1]
	v_or_b32_e32 v1, 0x100, v0
	v_cmp_gt_u32_e64 s[4:5], s64, v1
	v_mov_b32_e32 v5, v2
	s_and_saveexec_b64 s[0:1], s[4:5]
	s_cbranch_execz .LBB1582_9
; %bb.8:
	v_lshlrev_b32_e32 v10, 2, v0
	v_mov_b32_e32 v11, 0
	v_lshl_add_u64 v[10:11], v[8:9], 0, v[10:11]
	flat_load_dword v5, v[10:11] offset:1024
.LBB1582_9:
	s_or_b64 exec, exec, s[0:1]
	v_or_b32_e32 v1, 0x200, v0
	v_cmp_gt_u32_e64 s[6:7], s64, v1
	v_mov_b32_e32 v10, v2
	s_and_saveexec_b64 s[0:1], s[6:7]
	s_cbranch_execz .LBB1582_11
; %bb.10:
	v_lshlrev_b32_e32 v10, 2, v0
	v_mov_b32_e32 v11, 0
	v_lshl_add_u64 v[10:11], v[8:9], 0, v[10:11]
	flat_load_dword v10, v[10:11] offset:2048
.LBB1582_11:
	;; [unrolled: 12-line block ×3, first 2 shown]
	s_or_b64 exec, exec, s[0:1]
	v_or_b32_e32 v36, 0x400, v0
	v_cmp_gt_u32_e64 s[10:11], s64, v36
	v_mov_b32_e32 v12, v2
	s_and_saveexec_b64 s[0:1], s[10:11]
	s_cbranch_execz .LBB1582_15
; %bb.14:
	v_lshlrev_b32_e32 v12, 2, v36
	v_mov_b32_e32 v13, 0
	v_lshl_add_u64 v[12:13], v[8:9], 0, v[12:13]
	flat_load_dword v12, v[12:13]
.LBB1582_15:
	s_or_b64 exec, exec, s[0:1]
	v_or_b32_e32 v38, 0x500, v0
	v_cmp_gt_u32_e64 s[12:13], s64, v38
	v_mov_b32_e32 v13, v2
	s_and_saveexec_b64 s[0:1], s[12:13]
	s_cbranch_execz .LBB1582_17
; %bb.16:
	v_lshlrev_b32_e32 v14, 2, v38
	v_mov_b32_e32 v15, 0
	v_lshl_add_u64 v[14:15], v[8:9], 0, v[14:15]
	flat_load_dword v13, v[14:15]
.LBB1582_17:
	;; [unrolled: 12-line block ×16, first 2 shown]
	s_or_b64 exec, exec, s[0:1]
	v_or_b32_e32 v70, 0x1400, v0
	v_cmp_gt_u32_e64 s[44:45], s64, v70
	v_mov_b32_e32 v3, 0
	s_and_saveexec_b64 s[0:1], s[44:45]
	s_cbranch_execz .LBB1582_47
; %bb.46:
	v_lshlrev_b32_e32 v2, 2, v70
	v_lshl_add_u64 v[2:3], v[8:9], 0, v[2:3]
	flat_load_dword v2, v[2:3]
.LBB1582_47:
	s_or_b64 exec, exec, s[0:1]
	v_lshlrev_b32_e32 v3, 2, v0
	s_waitcnt vmcnt(0) lgkmcnt(0)
	ds_write2st64_b32 v3, v4, v5 offset1:4
	ds_write2st64_b32 v3, v10, v11 offset0:8 offset1:12
	ds_write2st64_b32 v3, v12, v13 offset0:16 offset1:20
	;; [unrolled: 1-line block ×9, first 2 shown]
	ds_write_b32 v3, v2 offset:20480
	s_waitcnt lgkmcnt(0)
	s_barrier
	flat_load_dword v82, v[8:9]
	s_movk_i32 s0, 0x50
	v_mad_u32_u24 v2, v0, s0, v3
	s_movk_i32 s0, 0xffb0
	v_mad_i32_i24 v71, v0, s0, v2
	s_movk_i32 s0, 0xff
	v_cmp_ne_u32_e64 s[0:1], s0, v0
	ds_read_b32 v84, v2
	ds_read2_b32 v[28:29], v2 offset0:1 offset1:2
	ds_read2_b32 v[26:27], v2 offset0:3 offset1:4
	;; [unrolled: 1-line block ×10, first 2 shown]
	s_waitcnt lgkmcnt(0)
	ds_write_b32 v71, v84 offset:22528
	s_waitcnt lgkmcnt(0)
	s_barrier
	s_and_saveexec_b64 s[58:59], s[0:1]
	s_cbranch_execz .LBB1582_49
; %bb.48:
	s_waitcnt vmcnt(0)
	ds_read_b32 v82, v3 offset:22532
.LBB1582_49:
	s_or_b64 exec, exec, s[58:59]
	v_mov_b32_e32 v5, 0
	s_waitcnt lgkmcnt(0)
	s_barrier
	s_waitcnt lgkmcnt(0)
                                        ; implicit-def: $vgpr2_vgpr3
	s_and_saveexec_b64 s[0:1], vcc
	s_cbranch_execz .LBB1582_70
; %bb.50:
	v_lshlrev_b32_e32 v4, 3, v0
	v_lshl_add_u64 v[2:3], v[6:7], 0, v[4:5]
	flat_load_dwordx2 v[2:3], v[2:3]
	s_or_b64 exec, exec, s[0:1]
                                        ; implicit-def: $vgpr4_vgpr5
	s_and_saveexec_b64 s[0:1], s[4:5]
	s_cbranch_execnz .LBB1582_71
.LBB1582_51:
	s_or_b64 exec, exec, s[0:1]
                                        ; implicit-def: $vgpr30_vgpr31
	s_and_saveexec_b64 s[0:1], s[6:7]
	s_cbranch_execz .LBB1582_72
.LBB1582_52:
	v_lshlrev_b32_e32 v30, 3, v1
	v_mov_b32_e32 v31, 0
	v_lshl_add_u64 v[30:31], v[6:7], 0, v[30:31]
	flat_load_dwordx2 v[30:31], v[30:31]
	s_or_b64 exec, exec, s[0:1]
                                        ; implicit-def: $vgpr32_vgpr33
	s_and_saveexec_b64 s[0:1], s[8:9]
	s_cbranch_execnz .LBB1582_73
.LBB1582_53:
	s_or_b64 exec, exec, s[0:1]
                                        ; implicit-def: $vgpr34_vgpr35
	s_and_saveexec_b64 s[0:1], s[10:11]
	s_cbranch_execz .LBB1582_74
.LBB1582_54:
	v_lshlrev_b32_e32 v34, 3, v36
	v_mov_b32_e32 v35, 0
	v_lshl_add_u64 v[34:35], v[6:7], 0, v[34:35]
	flat_load_dwordx2 v[34:35], v[34:35]
	s_or_b64 exec, exec, s[0:1]
                                        ; implicit-def: $vgpr36_vgpr37
	s_and_saveexec_b64 s[0:1], s[12:13]
	s_cbranch_execnz .LBB1582_75
.LBB1582_55:
	s_or_b64 exec, exec, s[0:1]
                                        ; implicit-def: $vgpr38_vgpr39
	s_and_saveexec_b64 s[0:1], s[14:15]
	s_cbranch_execz .LBB1582_76
.LBB1582_56:
	v_lshlrev_b32_e32 v38, 3, v40
	v_mov_b32_e32 v39, 0
	v_lshl_add_u64 v[38:39], v[6:7], 0, v[38:39]
	flat_load_dwordx2 v[38:39], v[38:39]
	s_or_b64 exec, exec, s[0:1]
                                        ; implicit-def: $vgpr40_vgpr41
	s_and_saveexec_b64 s[0:1], s[16:17]
	s_cbranch_execnz .LBB1582_77
.LBB1582_57:
	s_or_b64 exec, exec, s[0:1]
                                        ; implicit-def: $vgpr44_vgpr45
	s_and_saveexec_b64 s[0:1], s[18:19]
	s_cbranch_execz .LBB1582_78
.LBB1582_58:
	v_lshlrev_b32_e32 v44, 3, v46
	v_mov_b32_e32 v45, 0
	v_lshl_add_u64 v[44:45], v[6:7], 0, v[44:45]
	flat_load_dwordx2 v[44:45], v[44:45]
	s_or_b64 exec, exec, s[0:1]
                                        ; implicit-def: $vgpr46_vgpr47
	s_and_saveexec_b64 s[0:1], s[20:21]
	s_cbranch_execnz .LBB1582_79
.LBB1582_59:
	s_or_b64 exec, exec, s[0:1]
                                        ; implicit-def: $vgpr48_vgpr49
	s_and_saveexec_b64 s[0:1], s[22:23]
	s_cbranch_execz .LBB1582_80
.LBB1582_60:
	v_lshlrev_b32_e32 v48, 3, v50
	v_mov_b32_e32 v49, 0
	v_lshl_add_u64 v[48:49], v[6:7], 0, v[48:49]
	flat_load_dwordx2 v[48:49], v[48:49]
	s_or_b64 exec, exec, s[0:1]
                                        ; implicit-def: $vgpr50_vgpr51
	s_and_saveexec_b64 s[0:1], s[24:25]
	s_cbranch_execnz .LBB1582_81
.LBB1582_61:
	s_or_b64 exec, exec, s[0:1]
                                        ; implicit-def: $vgpr52_vgpr53
	s_and_saveexec_b64 s[0:1], s[26:27]
	s_cbranch_execz .LBB1582_82
.LBB1582_62:
	v_lshlrev_b32_e32 v52, 3, v54
	v_mov_b32_e32 v53, 0
	v_lshl_add_u64 v[52:53], v[6:7], 0, v[52:53]
	flat_load_dwordx2 v[52:53], v[52:53]
	s_or_b64 exec, exec, s[0:1]
                                        ; implicit-def: $vgpr54_vgpr55
	s_and_saveexec_b64 s[0:1], s[28:29]
	s_cbranch_execnz .LBB1582_83
.LBB1582_63:
	s_or_b64 exec, exec, s[0:1]
                                        ; implicit-def: $vgpr56_vgpr57
	s_and_saveexec_b64 s[0:1], s[30:31]
	s_cbranch_execz .LBB1582_84
.LBB1582_64:
	v_lshlrev_b32_e32 v56, 3, v58
	v_mov_b32_e32 v57, 0
	v_lshl_add_u64 v[56:57], v[6:7], 0, v[56:57]
	flat_load_dwordx2 v[56:57], v[56:57]
	s_or_b64 exec, exec, s[0:1]
                                        ; implicit-def: $vgpr58_vgpr59
	s_and_saveexec_b64 s[0:1], s[34:35]
	s_cbranch_execnz .LBB1582_85
.LBB1582_65:
	s_or_b64 exec, exec, s[0:1]
                                        ; implicit-def: $vgpr60_vgpr61
	s_and_saveexec_b64 s[0:1], s[36:37]
	s_cbranch_execz .LBB1582_86
.LBB1582_66:
	v_lshlrev_b32_e32 v60, 3, v62
	v_mov_b32_e32 v61, 0
	v_lshl_add_u64 v[60:61], v[6:7], 0, v[60:61]
	flat_load_dwordx2 v[60:61], v[60:61]
	s_or_b64 exec, exec, s[0:1]
                                        ; implicit-def: $vgpr62_vgpr63
	s_and_saveexec_b64 s[0:1], s[38:39]
	s_cbranch_execnz .LBB1582_87
.LBB1582_67:
	s_or_b64 exec, exec, s[0:1]
                                        ; implicit-def: $vgpr64_vgpr65
	s_and_saveexec_b64 s[0:1], s[40:41]
	s_cbranch_execz .LBB1582_88
.LBB1582_68:
	v_lshlrev_b32_e32 v64, 3, v66
	v_mov_b32_e32 v65, 0
	v_lshl_add_u64 v[64:65], v[6:7], 0, v[64:65]
	flat_load_dwordx2 v[64:65], v[64:65]
	s_or_b64 exec, exec, s[0:1]
                                        ; implicit-def: $vgpr66_vgpr67
	s_and_saveexec_b64 s[0:1], s[42:43]
	s_cbranch_execz .LBB1582_90
	s_branch .LBB1582_89
.LBB1582_69:
	s_mov_b64 s[8:9], 0
                                        ; implicit-def: $sgpr6_sgpr7
                                        ; implicit-def: $vgpr2_vgpr3
                                        ; implicit-def: $vgpr44_vgpr45
                                        ; implicit-def: $vgpr108
                                        ; implicit-def: $vgpr40_vgpr41
                                        ; implicit-def: $vgpr124
                                        ; implicit-def: $vgpr80_vgpr81
                                        ; implicit-def: $vgpr123
                                        ; implicit-def: $vgpr78_vgpr79
                                        ; implicit-def: $vgpr122
                                        ; implicit-def: $vgpr76_vgpr77
                                        ; implicit-def: $vgpr121
                                        ; implicit-def: $vgpr74_vgpr75
                                        ; implicit-def: $vgpr120
                                        ; implicit-def: $vgpr72_vgpr73
                                        ; implicit-def: $vgpr119
                                        ; implicit-def: $vgpr70_vgpr71
                                        ; implicit-def: $vgpr118
                                        ; implicit-def: $vgpr68_vgpr69
                                        ; implicit-def: $vgpr117
                                        ; implicit-def: $vgpr66_vgpr67
                                        ; implicit-def: $vgpr116
                                        ; implicit-def: $vgpr64_vgpr65
                                        ; implicit-def: $vgpr115
                                        ; implicit-def: $vgpr62_vgpr63
                                        ; implicit-def: $vgpr114
                                        ; implicit-def: $vgpr60_vgpr61
                                        ; implicit-def: $vgpr113
                                        ; implicit-def: $vgpr58_vgpr59
                                        ; implicit-def: $vgpr112
                                        ; implicit-def: $vgpr56_vgpr57
                                        ; implicit-def: $vgpr111
                                        ; implicit-def: $vgpr54_vgpr55
                                        ; implicit-def: $vgpr110
                                        ; implicit-def: $vgpr52_vgpr53
                                        ; implicit-def: $vgpr109
                                        ; implicit-def: $vgpr50_vgpr51
                                        ; implicit-def: $vgpr107
                                        ; implicit-def: $vgpr48_vgpr49
                                        ; implicit-def: $vgpr106
                                        ; implicit-def: $vgpr46_vgpr47
                                        ; implicit-def: $vgpr1
                                        ; implicit-def: $sgpr72
                                        ; implicit-def: $sgpr4_sgpr5
	s_and_b64 vcc, exec, s[0:1]
	s_cbranch_vccz .LBB1582_140
	s_branch .LBB1582_135
.LBB1582_70:
	s_or_b64 exec, exec, s[0:1]
                                        ; implicit-def: $vgpr4_vgpr5
	s_and_saveexec_b64 s[0:1], s[4:5]
	s_cbranch_execz .LBB1582_51
.LBB1582_71:
	v_lshlrev_b32_e32 v4, 3, v0
	v_mov_b32_e32 v5, 0
	v_lshl_add_u64 v[4:5], v[6:7], 0, v[4:5]
	flat_load_dwordx2 v[4:5], v[4:5] offset:2048
	s_or_b64 exec, exec, s[0:1]
                                        ; implicit-def: $vgpr30_vgpr31
	s_and_saveexec_b64 s[0:1], s[6:7]
	s_cbranch_execnz .LBB1582_52
.LBB1582_72:
	s_or_b64 exec, exec, s[0:1]
                                        ; implicit-def: $vgpr32_vgpr33
	s_and_saveexec_b64 s[0:1], s[8:9]
	s_cbranch_execz .LBB1582_53
.LBB1582_73:
	v_lshlrev_b32_e32 v32, 3, v34
	v_mov_b32_e32 v33, 0
	v_lshl_add_u64 v[32:33], v[6:7], 0, v[32:33]
	flat_load_dwordx2 v[32:33], v[32:33]
	s_or_b64 exec, exec, s[0:1]
                                        ; implicit-def: $vgpr34_vgpr35
	s_and_saveexec_b64 s[0:1], s[10:11]
	s_cbranch_execnz .LBB1582_54
.LBB1582_74:
	s_or_b64 exec, exec, s[0:1]
                                        ; implicit-def: $vgpr36_vgpr37
	s_and_saveexec_b64 s[0:1], s[12:13]
	s_cbranch_execz .LBB1582_55
.LBB1582_75:
	v_lshlrev_b32_e32 v36, 3, v38
	v_mov_b32_e32 v37, 0
	v_lshl_add_u64 v[36:37], v[6:7], 0, v[36:37]
	flat_load_dwordx2 v[36:37], v[36:37]
	s_or_b64 exec, exec, s[0:1]
                                        ; implicit-def: $vgpr38_vgpr39
	s_and_saveexec_b64 s[0:1], s[14:15]
	s_cbranch_execnz .LBB1582_56
.LBB1582_76:
	s_or_b64 exec, exec, s[0:1]
                                        ; implicit-def: $vgpr40_vgpr41
	s_and_saveexec_b64 s[0:1], s[16:17]
	s_cbranch_execz .LBB1582_57
.LBB1582_77:
	v_lshlrev_b32_e32 v40, 3, v44
	v_mov_b32_e32 v41, 0
	v_lshl_add_u64 v[40:41], v[6:7], 0, v[40:41]
	flat_load_dwordx2 v[40:41], v[40:41]
	s_or_b64 exec, exec, s[0:1]
                                        ; implicit-def: $vgpr44_vgpr45
	s_and_saveexec_b64 s[0:1], s[18:19]
	s_cbranch_execnz .LBB1582_58
.LBB1582_78:
	s_or_b64 exec, exec, s[0:1]
                                        ; implicit-def: $vgpr46_vgpr47
	s_and_saveexec_b64 s[0:1], s[20:21]
	s_cbranch_execz .LBB1582_59
.LBB1582_79:
	v_lshlrev_b32_e32 v46, 3, v48
	v_mov_b32_e32 v47, 0
	v_lshl_add_u64 v[46:47], v[6:7], 0, v[46:47]
	flat_load_dwordx2 v[46:47], v[46:47]
	s_or_b64 exec, exec, s[0:1]
                                        ; implicit-def: $vgpr48_vgpr49
	s_and_saveexec_b64 s[0:1], s[22:23]
	s_cbranch_execnz .LBB1582_60
.LBB1582_80:
	s_or_b64 exec, exec, s[0:1]
                                        ; implicit-def: $vgpr50_vgpr51
	s_and_saveexec_b64 s[0:1], s[24:25]
	s_cbranch_execz .LBB1582_61
.LBB1582_81:
	v_lshlrev_b32_e32 v50, 3, v52
	v_mov_b32_e32 v51, 0
	v_lshl_add_u64 v[50:51], v[6:7], 0, v[50:51]
	flat_load_dwordx2 v[50:51], v[50:51]
	s_or_b64 exec, exec, s[0:1]
                                        ; implicit-def: $vgpr52_vgpr53
	s_and_saveexec_b64 s[0:1], s[26:27]
	s_cbranch_execnz .LBB1582_62
.LBB1582_82:
	s_or_b64 exec, exec, s[0:1]
                                        ; implicit-def: $vgpr54_vgpr55
	s_and_saveexec_b64 s[0:1], s[28:29]
	s_cbranch_execz .LBB1582_63
.LBB1582_83:
	v_lshlrev_b32_e32 v54, 3, v56
	v_mov_b32_e32 v55, 0
	v_lshl_add_u64 v[54:55], v[6:7], 0, v[54:55]
	flat_load_dwordx2 v[54:55], v[54:55]
	s_or_b64 exec, exec, s[0:1]
                                        ; implicit-def: $vgpr56_vgpr57
	s_and_saveexec_b64 s[0:1], s[30:31]
	s_cbranch_execnz .LBB1582_64
.LBB1582_84:
	s_or_b64 exec, exec, s[0:1]
                                        ; implicit-def: $vgpr58_vgpr59
	s_and_saveexec_b64 s[0:1], s[34:35]
	s_cbranch_execz .LBB1582_65
.LBB1582_85:
	v_lshlrev_b32_e32 v58, 3, v60
	v_mov_b32_e32 v59, 0
	v_lshl_add_u64 v[58:59], v[6:7], 0, v[58:59]
	flat_load_dwordx2 v[58:59], v[58:59]
	s_or_b64 exec, exec, s[0:1]
                                        ; implicit-def: $vgpr60_vgpr61
	s_and_saveexec_b64 s[0:1], s[36:37]
	s_cbranch_execnz .LBB1582_66
.LBB1582_86:
	s_or_b64 exec, exec, s[0:1]
                                        ; implicit-def: $vgpr62_vgpr63
	s_and_saveexec_b64 s[0:1], s[38:39]
	s_cbranch_execz .LBB1582_67
.LBB1582_87:
	v_lshlrev_b32_e32 v62, 3, v64
	v_mov_b32_e32 v63, 0
	v_lshl_add_u64 v[62:63], v[6:7], 0, v[62:63]
	flat_load_dwordx2 v[62:63], v[62:63]
	s_or_b64 exec, exec, s[0:1]
                                        ; implicit-def: $vgpr64_vgpr65
	s_and_saveexec_b64 s[0:1], s[40:41]
	s_cbranch_execnz .LBB1582_68
.LBB1582_88:
	s_or_b64 exec, exec, s[0:1]
                                        ; implicit-def: $vgpr66_vgpr67
	s_and_saveexec_b64 s[0:1], s[42:43]
	s_cbranch_execz .LBB1582_90
.LBB1582_89:
	v_lshlrev_b32_e32 v66, 3, v68
	v_mov_b32_e32 v67, 0
	v_lshl_add_u64 v[66:67], v[6:7], 0, v[66:67]
	flat_load_dwordx2 v[66:67], v[66:67]
.LBB1582_90:
	s_or_b64 exec, exec, s[0:1]
	v_mul_u32_u24_e32 v83, 21, v0
                                        ; implicit-def: $vgpr68_vgpr69
	s_and_saveexec_b64 s[0:1], s[44:45]
	s_cbranch_execz .LBB1582_92
; %bb.91:
	v_lshlrev_b32_e32 v68, 3, v70
	v_mov_b32_e32 v69, 0
	v_lshl_add_u64 v[68:69], v[6:7], 0, v[68:69]
	flat_load_dwordx2 v[68:69], v[68:69]
.LBB1582_92:
	s_or_b64 exec, exec, s[0:1]
	v_lshl_add_u32 v85, v0, 2, v71
	s_waitcnt vmcnt(0) lgkmcnt(0)
	ds_write2st64_b64 v85, v[2:3], v[4:5] offset1:4
	ds_write2st64_b64 v85, v[30:31], v[32:33] offset0:8 offset1:12
	ds_write2st64_b64 v85, v[34:35], v[36:37] offset0:16 offset1:20
	ds_write2st64_b64 v85, v[38:39], v[40:41] offset0:24 offset1:28
	ds_write2st64_b64 v85, v[44:45], v[46:47] offset0:32 offset1:36
	ds_write2st64_b64 v85, v[48:49], v[50:51] offset0:40 offset1:44
	ds_write2st64_b64 v85, v[52:53], v[54:55] offset0:48 offset1:52
	ds_write2st64_b64 v85, v[56:57], v[58:59] offset0:56 offset1:60
	ds_write2st64_b64 v85, v[60:61], v[62:63] offset0:64 offset1:68
	ds_write2st64_b64 v85, v[64:65], v[66:67] offset0:72 offset1:76
	ds_write_b64 v85, v[68:69] offset:40960
	v_mov_b64_e32 v[44:45], 0
	v_cmp_gt_u32_e32 vcc, s64, v83
	s_mov_b64 s[8:9], 0
	s_mov_b32 s72, 0
	s_mov_b64 s[0:1], 0
	v_mov_b32_e32 v108, 0
	v_mov_b64_e32 v[40:41], v[44:45]
	v_mov_b32_e32 v124, 0
	v_mov_b64_e32 v[80:81], v[44:45]
	;; [unrolled: 2-line block ×19, first 2 shown]
	v_mov_b32_e32 v1, 0
	s_waitcnt lgkmcnt(0)
	s_barrier
	s_waitcnt lgkmcnt(0)
                                        ; implicit-def: $sgpr6_sgpr7
                                        ; implicit-def: $vgpr2_vgpr3
	s_and_saveexec_b64 s[4:5], vcc
	s_cbranch_execz .LBB1582_134
; %bb.93:
	s_movk_i32 s6, 0xa0
	v_mad_u32_u24 v1, v0, s6, v85
	ds_read_b64 v[2:3], v1
	v_cmp_ne_u32_e32 vcc, v84, v28
	v_mov_b32_e32 v5, s69
	v_add_u32_e32 v4, 1, v83
	v_mov_b64_e32 v[40:41], 0
	s_waitcnt lgkmcnt(0)
	v_cndmask_b32_e32 v45, v3, v5, vcc
	v_mov_b32_e32 v3, s68
	v_cndmask_b32_e64 v1, 0, 1, vcc
	v_cndmask_b32_e32 v44, v2, v3, vcc
	v_cmp_gt_u32_e32 vcc, s64, v4
	s_mov_b64 s[10:11], 0
	v_mov_b32_e32 v108, 0
	v_mov_b32_e32 v124, 0
	v_mov_b64_e32 v[80:81], v[40:41]
	v_mov_b32_e32 v123, 0
	v_mov_b64_e32 v[78:79], v[40:41]
	;; [unrolled: 2-line block ×18, first 2 shown]
                                        ; implicit-def: $sgpr12_sgpr13
                                        ; implicit-def: $vgpr2_vgpr3
	s_and_saveexec_b64 s[6:7], vcc
	s_cbranch_execz .LBB1582_133
; %bb.94:
	v_mul_u32_u24_e32 v2, 0xa0, v0
	v_add_u32_e32 v30, v85, v2
	ds_read2_b64 v[2:5], v30 offset0:1 offset1:2
	v_cmp_ne_u32_e32 vcc, v28, v29
	v_mov_b32_e32 v28, s69
	v_add_u32_e32 v31, 2, v83
	v_mov_b64_e32 v[40:41], 0
	s_waitcnt lgkmcnt(0)
	v_cndmask_b32_e32 v47, v3, v28, vcc
	v_mov_b32_e32 v3, s68
	v_cndmask_b32_e64 v106, 0, 1, vcc
	v_cndmask_b32_e32 v46, v2, v3, vcc
	v_cmp_gt_u32_e32 vcc, s64, v31
	s_mov_b64 s[12:13], 0
	v_mov_b32_e32 v108, 0
	v_mov_b32_e32 v124, 0
	v_mov_b64_e32 v[80:81], v[40:41]
	v_mov_b32_e32 v123, 0
	v_mov_b64_e32 v[78:79], v[40:41]
	;; [unrolled: 2-line block ×17, first 2 shown]
                                        ; implicit-def: $sgpr14_sgpr15
                                        ; implicit-def: $vgpr2_vgpr3
	s_and_saveexec_b64 s[8:9], vcc
	s_cbranch_execz .LBB1582_132
; %bb.95:
	v_cmp_ne_u32_e32 vcc, v29, v26
	v_mov_b32_e32 v3, s69
	v_add_u32_e32 v2, 3, v83
	v_cndmask_b32_e32 v49, v5, v3, vcc
	v_mov_b32_e32 v3, s68
	v_mov_b64_e32 v[40:41], 0
	v_cndmask_b32_e64 v107, 0, 1, vcc
	v_cndmask_b32_e32 v48, v4, v3, vcc
	v_cmp_gt_u32_e32 vcc, s64, v2
	s_mov_b64 s[14:15], 0
	v_mov_b32_e32 v108, 0
	v_mov_b32_e32 v124, 0
	v_mov_b64_e32 v[80:81], v[40:41]
	v_mov_b32_e32 v123, 0
	v_mov_b64_e32 v[78:79], v[40:41]
	;; [unrolled: 2-line block ×16, first 2 shown]
                                        ; implicit-def: $sgpr16_sgpr17
                                        ; implicit-def: $vgpr2_vgpr3
	s_and_saveexec_b64 s[10:11], vcc
	s_cbranch_execz .LBB1582_131
; %bb.96:
	ds_read2_b64 v[2:5], v30 offset0:3 offset1:4
	v_cmp_ne_u32_e32 vcc, v26, v27
	v_mov_b32_e32 v26, s69
	v_add_u32_e32 v28, 4, v83
	v_mov_b64_e32 v[40:41], 0
	s_waitcnt lgkmcnt(0)
	v_cndmask_b32_e32 v51, v3, v26, vcc
	v_mov_b32_e32 v3, s68
	v_cndmask_b32_e64 v109, 0, 1, vcc
	v_cndmask_b32_e32 v50, v2, v3, vcc
	v_cmp_gt_u32_e32 vcc, s64, v28
	s_mov_b64 s[16:17], 0
	v_mov_b32_e32 v108, 0
	v_mov_b32_e32 v124, 0
	v_mov_b64_e32 v[80:81], v[40:41]
	v_mov_b32_e32 v123, 0
	v_mov_b64_e32 v[78:79], v[40:41]
	;; [unrolled: 2-line block ×15, first 2 shown]
                                        ; implicit-def: $sgpr18_sgpr19
                                        ; implicit-def: $vgpr2_vgpr3
	s_and_saveexec_b64 s[12:13], vcc
	s_cbranch_execz .LBB1582_130
; %bb.97:
	v_cmp_ne_u32_e32 vcc, v27, v24
	v_mov_b32_e32 v3, s69
	v_add_u32_e32 v2, 5, v83
	v_cndmask_b32_e32 v53, v5, v3, vcc
	v_mov_b32_e32 v3, s68
	v_mov_b64_e32 v[40:41], 0
	v_cndmask_b32_e64 v110, 0, 1, vcc
	v_cndmask_b32_e32 v52, v4, v3, vcc
	v_cmp_gt_u32_e32 vcc, s64, v2
	s_mov_b64 s[18:19], 0
	v_mov_b32_e32 v108, 0
	v_mov_b32_e32 v124, 0
	v_mov_b64_e32 v[80:81], v[40:41]
	v_mov_b32_e32 v123, 0
	v_mov_b64_e32 v[78:79], v[40:41]
	;; [unrolled: 2-line block ×14, first 2 shown]
                                        ; implicit-def: $sgpr20_sgpr21
                                        ; implicit-def: $vgpr2_vgpr3
	s_and_saveexec_b64 s[14:15], vcc
	s_cbranch_execz .LBB1582_129
; %bb.98:
	ds_read2_b64 v[2:5], v30 offset0:5 offset1:6
	v_cmp_ne_u32_e32 vcc, v24, v25
	v_mov_b32_e32 v24, s69
	v_add_u32_e32 v26, 6, v83
	v_mov_b64_e32 v[40:41], 0
	s_waitcnt lgkmcnt(0)
	v_cndmask_b32_e32 v55, v3, v24, vcc
	v_mov_b32_e32 v3, s68
	v_cndmask_b32_e64 v111, 0, 1, vcc
	v_cndmask_b32_e32 v54, v2, v3, vcc
	v_cmp_gt_u32_e32 vcc, s64, v26
	s_mov_b64 s[20:21], 0
	v_mov_b32_e32 v108, 0
	v_mov_b32_e32 v124, 0
	v_mov_b64_e32 v[80:81], v[40:41]
	v_mov_b32_e32 v123, 0
	v_mov_b64_e32 v[78:79], v[40:41]
	;; [unrolled: 2-line block ×13, first 2 shown]
                                        ; implicit-def: $sgpr22_sgpr23
                                        ; implicit-def: $vgpr2_vgpr3
	s_and_saveexec_b64 s[16:17], vcc
	s_cbranch_execz .LBB1582_128
; %bb.99:
	v_cmp_ne_u32_e32 vcc, v25, v22
	v_mov_b32_e32 v3, s69
	v_add_u32_e32 v2, 7, v83
	v_cndmask_b32_e32 v57, v5, v3, vcc
	v_mov_b32_e32 v3, s68
	v_mov_b64_e32 v[40:41], 0
	v_cndmask_b32_e64 v112, 0, 1, vcc
	v_cndmask_b32_e32 v56, v4, v3, vcc
	v_cmp_gt_u32_e32 vcc, s64, v2
	s_mov_b64 s[22:23], 0
	v_mov_b32_e32 v108, 0
	v_mov_b32_e32 v124, 0
	v_mov_b64_e32 v[80:81], v[40:41]
	v_mov_b32_e32 v123, 0
	v_mov_b64_e32 v[78:79], v[40:41]
	;; [unrolled: 2-line block ×12, first 2 shown]
                                        ; implicit-def: $sgpr24_sgpr25
                                        ; implicit-def: $vgpr2_vgpr3
	s_and_saveexec_b64 s[18:19], vcc
	s_cbranch_execz .LBB1582_127
; %bb.100:
	ds_read2_b64 v[2:5], v30 offset0:7 offset1:8
	v_cmp_ne_u32_e32 vcc, v22, v23
	v_mov_b32_e32 v22, s69
	v_add_u32_e32 v24, 8, v83
	v_mov_b64_e32 v[40:41], 0
	s_waitcnt lgkmcnt(0)
	v_cndmask_b32_e32 v59, v3, v22, vcc
	v_mov_b32_e32 v3, s68
	v_cndmask_b32_e64 v113, 0, 1, vcc
	v_cndmask_b32_e32 v58, v2, v3, vcc
	v_cmp_gt_u32_e32 vcc, s64, v24
	s_mov_b64 s[24:25], 0
	v_mov_b32_e32 v108, 0
	v_mov_b32_e32 v124, 0
	v_mov_b64_e32 v[80:81], v[40:41]
	v_mov_b32_e32 v123, 0
	v_mov_b64_e32 v[78:79], v[40:41]
	;; [unrolled: 2-line block ×11, first 2 shown]
                                        ; implicit-def: $sgpr26_sgpr27
                                        ; implicit-def: $vgpr2_vgpr3
	s_and_saveexec_b64 s[20:21], vcc
	s_cbranch_execz .LBB1582_126
; %bb.101:
	v_cmp_ne_u32_e32 vcc, v23, v20
	v_mov_b32_e32 v3, s69
	v_add_u32_e32 v2, 9, v83
	v_cndmask_b32_e32 v61, v5, v3, vcc
	v_mov_b32_e32 v3, s68
	v_mov_b64_e32 v[40:41], 0
	v_cndmask_b32_e64 v114, 0, 1, vcc
	v_cndmask_b32_e32 v60, v4, v3, vcc
	v_cmp_gt_u32_e32 vcc, s64, v2
	s_mov_b64 s[26:27], 0
	v_mov_b32_e32 v108, 0
	v_mov_b32_e32 v124, 0
	v_mov_b64_e32 v[80:81], v[40:41]
	v_mov_b32_e32 v123, 0
	v_mov_b64_e32 v[78:79], v[40:41]
	v_mov_b32_e32 v122, 0
	v_mov_b64_e32 v[76:77], v[40:41]
	v_mov_b32_e32 v121, 0
	v_mov_b64_e32 v[74:75], v[40:41]
	v_mov_b32_e32 v120, 0
	v_mov_b64_e32 v[72:73], v[40:41]
	v_mov_b32_e32 v119, 0
	v_mov_b64_e32 v[70:71], v[40:41]
	v_mov_b32_e32 v118, 0
	v_mov_b64_e32 v[68:69], v[40:41]
	v_mov_b32_e32 v117, 0
	v_mov_b64_e32 v[66:67], v[40:41]
	v_mov_b32_e32 v116, 0
	v_mov_b64_e32 v[64:65], v[40:41]
	v_mov_b32_e32 v115, 0
	v_mov_b64_e32 v[62:63], v[40:41]
                                        ; implicit-def: $sgpr28_sgpr29
                                        ; implicit-def: $vgpr2_vgpr3
	s_and_saveexec_b64 s[22:23], vcc
	s_cbranch_execz .LBB1582_125
; %bb.102:
	ds_read2_b64 v[2:5], v30 offset0:9 offset1:10
	v_cmp_ne_u32_e32 vcc, v20, v21
	v_mov_b32_e32 v20, s69
	v_add_u32_e32 v22, 10, v83
	v_mov_b64_e32 v[40:41], 0
	s_waitcnt lgkmcnt(0)
	v_cndmask_b32_e32 v63, v3, v20, vcc
	v_mov_b32_e32 v3, s68
	v_cndmask_b32_e64 v115, 0, 1, vcc
	v_cndmask_b32_e32 v62, v2, v3, vcc
	v_cmp_gt_u32_e32 vcc, s64, v22
	s_mov_b64 s[28:29], 0
	v_mov_b32_e32 v108, 0
	v_mov_b32_e32 v124, 0
	v_mov_b64_e32 v[80:81], v[40:41]
	v_mov_b32_e32 v123, 0
	v_mov_b64_e32 v[78:79], v[40:41]
	;; [unrolled: 2-line block ×9, first 2 shown]
                                        ; implicit-def: $sgpr30_sgpr31
                                        ; implicit-def: $vgpr2_vgpr3
	s_and_saveexec_b64 s[24:25], vcc
	s_cbranch_execz .LBB1582_124
; %bb.103:
	v_cmp_ne_u32_e32 vcc, v21, v18
	v_mov_b32_e32 v3, s69
	v_add_u32_e32 v2, 11, v83
	v_cndmask_b32_e32 v65, v5, v3, vcc
	v_mov_b32_e32 v3, s68
	v_mov_b64_e32 v[40:41], 0
	v_cndmask_b32_e64 v116, 0, 1, vcc
	v_cndmask_b32_e32 v64, v4, v3, vcc
	v_cmp_gt_u32_e32 vcc, s64, v2
	s_mov_b64 s[30:31], 0
	v_mov_b32_e32 v108, 0
	v_mov_b32_e32 v124, 0
	v_mov_b64_e32 v[80:81], v[40:41]
	v_mov_b32_e32 v123, 0
	v_mov_b64_e32 v[78:79], v[40:41]
	;; [unrolled: 2-line block ×8, first 2 shown]
                                        ; implicit-def: $sgpr34_sgpr35
                                        ; implicit-def: $vgpr2_vgpr3
	s_and_saveexec_b64 s[26:27], vcc
	s_cbranch_execz .LBB1582_123
; %bb.104:
	ds_read2_b64 v[2:5], v30 offset0:11 offset1:12
	v_cmp_ne_u32_e32 vcc, v18, v19
	v_mov_b32_e32 v18, s69
	v_add_u32_e32 v20, 12, v83
	v_mov_b64_e32 v[40:41], 0
	s_waitcnt lgkmcnt(0)
	v_cndmask_b32_e32 v67, v3, v18, vcc
	v_mov_b32_e32 v3, s68
	v_cndmask_b32_e64 v117, 0, 1, vcc
	v_cndmask_b32_e32 v66, v2, v3, vcc
	v_cmp_gt_u32_e32 vcc, s64, v20
	s_mov_b64 s[34:35], 0
	v_mov_b32_e32 v108, 0
	v_mov_b32_e32 v124, 0
	v_mov_b64_e32 v[80:81], v[40:41]
	v_mov_b32_e32 v123, 0
	v_mov_b64_e32 v[78:79], v[40:41]
	;; [unrolled: 2-line block ×7, first 2 shown]
                                        ; implicit-def: $sgpr36_sgpr37
                                        ; implicit-def: $vgpr2_vgpr3
	s_and_saveexec_b64 s[28:29], vcc
	s_cbranch_execz .LBB1582_122
; %bb.105:
	v_cmp_ne_u32_e32 vcc, v19, v16
	v_mov_b32_e32 v3, s69
	v_add_u32_e32 v2, 13, v83
	v_cndmask_b32_e32 v69, v5, v3, vcc
	v_mov_b32_e32 v3, s68
	v_mov_b64_e32 v[40:41], 0
	v_cndmask_b32_e64 v118, 0, 1, vcc
	v_cndmask_b32_e32 v68, v4, v3, vcc
	v_cmp_gt_u32_e32 vcc, s64, v2
	s_mov_b64 s[36:37], 0
	v_mov_b32_e32 v108, 0
	v_mov_b32_e32 v124, 0
	v_mov_b64_e32 v[80:81], v[40:41]
	v_mov_b32_e32 v123, 0
	v_mov_b64_e32 v[78:79], v[40:41]
	;; [unrolled: 2-line block ×6, first 2 shown]
                                        ; implicit-def: $sgpr38_sgpr39
                                        ; implicit-def: $vgpr2_vgpr3
	s_and_saveexec_b64 s[30:31], vcc
	s_cbranch_execz .LBB1582_121
; %bb.106:
	ds_read2_b64 v[2:5], v30 offset0:13 offset1:14
	v_cmp_ne_u32_e32 vcc, v16, v17
	v_mov_b32_e32 v16, s69
	v_add_u32_e32 v18, 14, v83
	v_mov_b64_e32 v[40:41], 0
	s_waitcnt lgkmcnt(0)
	v_cndmask_b32_e32 v71, v3, v16, vcc
	v_mov_b32_e32 v3, s68
	v_cndmask_b32_e64 v119, 0, 1, vcc
	v_cndmask_b32_e32 v70, v2, v3, vcc
	v_cmp_gt_u32_e32 vcc, s64, v18
	s_mov_b64 s[38:39], 0
	v_mov_b32_e32 v108, 0
	v_mov_b32_e32 v124, 0
	v_mov_b64_e32 v[80:81], v[40:41]
	v_mov_b32_e32 v123, 0
	v_mov_b64_e32 v[78:79], v[40:41]
	;; [unrolled: 2-line block ×5, first 2 shown]
                                        ; implicit-def: $sgpr40_sgpr41
                                        ; implicit-def: $vgpr2_vgpr3
	s_and_saveexec_b64 s[34:35], vcc
	s_cbranch_execz .LBB1582_120
; %bb.107:
	v_cmp_ne_u32_e32 vcc, v17, v14
	v_mov_b32_e32 v3, s69
	v_add_u32_e32 v2, 15, v83
	v_cndmask_b32_e32 v73, v5, v3, vcc
	v_mov_b32_e32 v3, s68
	v_mov_b64_e32 v[40:41], 0
	v_cndmask_b32_e64 v120, 0, 1, vcc
	v_cndmask_b32_e32 v72, v4, v3, vcc
	v_cmp_gt_u32_e32 vcc, s64, v2
	s_mov_b64 s[40:41], 0
	v_mov_b32_e32 v108, 0
	v_mov_b32_e32 v124, 0
	v_mov_b64_e32 v[80:81], v[40:41]
	v_mov_b32_e32 v123, 0
	v_mov_b64_e32 v[78:79], v[40:41]
	;; [unrolled: 2-line block ×4, first 2 shown]
                                        ; implicit-def: $sgpr42_sgpr43
                                        ; implicit-def: $vgpr2_vgpr3
	s_and_saveexec_b64 s[36:37], vcc
	s_cbranch_execz .LBB1582_119
; %bb.108:
	ds_read2_b64 v[2:5], v30 offset0:15 offset1:16
	v_cmp_ne_u32_e32 vcc, v14, v15
	v_mov_b32_e32 v14, s69
	v_add_u32_e32 v16, 16, v83
	v_mov_b64_e32 v[40:41], 0
	s_waitcnt lgkmcnt(0)
	v_cndmask_b32_e32 v75, v3, v14, vcc
	v_mov_b32_e32 v3, s68
	v_cndmask_b32_e64 v121, 0, 1, vcc
	v_cndmask_b32_e32 v74, v2, v3, vcc
	v_cmp_gt_u32_e32 vcc, s64, v16
	s_mov_b64 s[42:43], 0
	v_mov_b32_e32 v108, 0
	v_mov_b32_e32 v124, 0
	v_mov_b64_e32 v[80:81], v[40:41]
	v_mov_b32_e32 v123, 0
	v_mov_b64_e32 v[78:79], v[40:41]
	;; [unrolled: 2-line block ×3, first 2 shown]
                                        ; implicit-def: $sgpr44_sgpr45
                                        ; implicit-def: $vgpr2_vgpr3
	s_and_saveexec_b64 s[38:39], vcc
	s_cbranch_execz .LBB1582_118
; %bb.109:
	v_cmp_ne_u32_e32 vcc, v15, v12
	v_mov_b32_e32 v3, s69
	v_add_u32_e32 v2, 17, v83
	v_cndmask_b32_e32 v77, v5, v3, vcc
	v_mov_b32_e32 v3, s68
	v_mov_b64_e32 v[40:41], 0
	v_cndmask_b32_e64 v122, 0, 1, vcc
	v_cndmask_b32_e32 v76, v4, v3, vcc
	v_cmp_gt_u32_e32 vcc, s64, v2
	s_mov_b64 s[44:45], 0
	v_mov_b32_e32 v108, 0
	v_mov_b32_e32 v124, 0
	v_mov_b64_e32 v[80:81], v[40:41]
	v_mov_b32_e32 v123, 0
	v_mov_b64_e32 v[78:79], v[40:41]
                                        ; implicit-def: $sgpr58_sgpr59
                                        ; implicit-def: $vgpr2_vgpr3
	s_and_saveexec_b64 s[40:41], vcc
	s_cbranch_execz .LBB1582_117
; %bb.110:
	ds_read2_b64 v[2:5], v30 offset0:17 offset1:18
	v_cmp_ne_u32_e32 vcc, v12, v13
	v_mov_b32_e32 v12, s69
	v_add_u32_e32 v14, 18, v83
	v_mov_b64_e32 v[40:41], 0
	s_waitcnt lgkmcnt(0)
	v_cndmask_b32_e32 v79, v3, v12, vcc
	v_mov_b32_e32 v3, s68
	v_cndmask_b32_e64 v123, 0, 1, vcc
	v_cndmask_b32_e32 v78, v2, v3, vcc
	v_cmp_gt_u32_e32 vcc, s64, v14
	s_mov_b64 s[58:59], 0
	v_mov_b32_e32 v108, 0
	v_mov_b32_e32 v124, 0
	v_mov_b64_e32 v[80:81], v[40:41]
                                        ; implicit-def: $sgpr60_sgpr61
                                        ; implicit-def: $vgpr2_vgpr3
	s_and_saveexec_b64 s[42:43], vcc
	s_cbranch_execz .LBB1582_116
; %bb.111:
	v_cmp_ne_u32_e32 vcc, v13, v10
	v_mov_b32_e32 v3, s69
	v_add_u32_e32 v2, 19, v83
	v_cndmask_b32_e32 v81, v5, v3, vcc
	v_mov_b32_e32 v3, s68
	v_cndmask_b32_e64 v124, 0, 1, vcc
	v_cndmask_b32_e32 v80, v4, v3, vcc
	v_cmp_gt_u32_e32 vcc, s64, v2
	v_mov_b32_e32 v108, 0
	v_mov_b64_e32 v[40:41], 0
                                        ; implicit-def: $sgpr60_sgpr61
                                        ; implicit-def: $vgpr2_vgpr3
	s_and_saveexec_b64 s[44:45], vcc
	s_cbranch_execz .LBB1582_115
; %bb.112:
	ds_read2_b64 v[2:5], v30 offset0:19 offset1:20
	v_cmp_ne_u32_e32 vcc, v10, v11
	v_mov_b32_e32 v10, s69
	v_add_u32_e32 v12, 20, v83
	v_cndmask_b32_e64 v108, 0, 1, vcc
	s_waitcnt lgkmcnt(0)
	v_cndmask_b32_e32 v41, v3, v10, vcc
	v_mov_b32_e32 v3, s68
	v_cndmask_b32_e32 v40, v2, v3, vcc
	v_cmp_gt_u32_e32 vcc, s64, v12
                                        ; implicit-def: $sgpr60_sgpr61
                                        ; implicit-def: $vgpr2_vgpr3
	s_and_saveexec_b64 s[64:65], vcc
	s_xor_b64 s[64:65], exec, s[64:65]
; %bb.113:
	v_mov_b32_e32 v2, s69
	v_cmp_ne_u32_e32 vcc, v11, v82
	s_mov_b64 s[58:59], exec
	s_and_b64 s[60:61], vcc, exec
	v_cndmask_b32_e32 v3, v5, v2, vcc
	v_mov_b32_e32 v2, s68
	v_cndmask_b32_e32 v2, v4, v2, vcc
; %bb.114:
	s_or_b64 exec, exec, s[64:65]
	s_and_b64 s[60:61], s[60:61], exec
	s_and_b64 s[58:59], s[58:59], exec
.LBB1582_115:
	s_or_b64 exec, exec, s[44:45]
	s_and_b64 s[60:61], s[60:61], exec
	s_and_b64 s[44:45], s[58:59], exec
.LBB1582_116:
	s_or_b64 exec, exec, s[42:43]
	s_and_b64 s[58:59], s[60:61], exec
	s_and_b64 s[42:43], s[44:45], exec
.LBB1582_117:
	s_or_b64 exec, exec, s[40:41]
	s_and_b64 s[44:45], s[58:59], exec
	s_and_b64 s[40:41], s[42:43], exec
.LBB1582_118:
	s_or_b64 exec, exec, s[38:39]
	s_and_b64 s[42:43], s[44:45], exec
	s_and_b64 s[38:39], s[40:41], exec
.LBB1582_119:
	s_or_b64 exec, exec, s[36:37]
	s_and_b64 s[40:41], s[42:43], exec
	s_and_b64 s[36:37], s[38:39], exec
.LBB1582_120:
	s_or_b64 exec, exec, s[34:35]
	s_and_b64 s[38:39], s[40:41], exec
	s_and_b64 s[34:35], s[36:37], exec
.LBB1582_121:
	s_or_b64 exec, exec, s[30:31]
	s_and_b64 s[36:37], s[38:39], exec
	s_and_b64 s[30:31], s[34:35], exec
.LBB1582_122:
	s_or_b64 exec, exec, s[28:29]
	s_and_b64 s[34:35], s[36:37], exec
	s_and_b64 s[28:29], s[30:31], exec
.LBB1582_123:
	s_or_b64 exec, exec, s[26:27]
	s_and_b64 s[30:31], s[34:35], exec
	s_and_b64 s[26:27], s[28:29], exec
.LBB1582_124:
	s_or_b64 exec, exec, s[24:25]
	s_and_b64 s[28:29], s[30:31], exec
	s_and_b64 s[24:25], s[26:27], exec
.LBB1582_125:
	s_or_b64 exec, exec, s[22:23]
	s_and_b64 s[26:27], s[28:29], exec
	s_and_b64 s[22:23], s[24:25], exec
.LBB1582_126:
	s_or_b64 exec, exec, s[20:21]
	s_and_b64 s[24:25], s[26:27], exec
	s_and_b64 s[20:21], s[22:23], exec
.LBB1582_127:
	s_or_b64 exec, exec, s[18:19]
	s_and_b64 s[22:23], s[24:25], exec
	s_and_b64 s[18:19], s[20:21], exec
.LBB1582_128:
	s_or_b64 exec, exec, s[16:17]
	s_and_b64 s[20:21], s[22:23], exec
	s_and_b64 s[16:17], s[18:19], exec
.LBB1582_129:
	s_or_b64 exec, exec, s[14:15]
	s_and_b64 s[18:19], s[20:21], exec
	s_and_b64 s[14:15], s[16:17], exec
.LBB1582_130:
	s_or_b64 exec, exec, s[12:13]
	s_and_b64 s[16:17], s[18:19], exec
	s_and_b64 s[12:13], s[14:15], exec
.LBB1582_131:
	s_or_b64 exec, exec, s[10:11]
	s_and_b64 s[14:15], s[16:17], exec
	s_and_b64 s[10:11], s[12:13], exec
.LBB1582_132:
	s_or_b64 exec, exec, s[8:9]
	s_and_b64 s[12:13], s[14:15], exec
	s_and_b64 s[8:9], s[10:11], exec
.LBB1582_133:
	s_or_b64 exec, exec, s[6:7]
	s_and_b64 s[6:7], s[12:13], exec
	s_and_b64 s[8:9], s[8:9], exec
.LBB1582_134:
	s_or_b64 exec, exec, s[4:5]
	s_mov_b64 s[4:5], 0
	s_and_b64 vcc, exec, s[0:1]
	s_cbranch_vccz .LBB1582_140
.LBB1582_135:
	v_mov_b32_e32 v3, 0
	v_lshlrev_b32_e32 v2, 2, v0
	v_lshl_add_u64 v[4:5], v[8:9], 0, v[2:3]
	v_add_co_u32_e32 v10, vcc, 0x1000, v4
	s_movk_i32 s0, 0x50
	s_nop 0
	v_addc_co_u32_e32 v11, vcc, 0, v5, vcc
	flat_load_dword v1, v[4:5]
	flat_load_dword v14, v[4:5] offset:1024
	flat_load_dword v15, v[4:5] offset:2048
	;; [unrolled: 1-line block ×3, first 2 shown]
	flat_load_dword v17, v[10:11]
	flat_load_dword v18, v[10:11] offset:1024
	flat_load_dword v19, v[10:11] offset:2048
	;; [unrolled: 1-line block ×3, first 2 shown]
	v_add_co_u32_e32 v10, vcc, 0x2000, v4
	s_movk_i32 s8, 0x1000
	s_nop 0
	v_addc_co_u32_e32 v11, vcc, 0, v5, vcc
	v_add_co_u32_e32 v12, vcc, 0x3000, v4
	s_movk_i32 s7, 0x2000
	s_nop 0
	v_addc_co_u32_e32 v13, vcc, 0, v5, vcc
	flat_load_dword v21, v[10:11]
	flat_load_dword v22, v[10:11] offset:1024
	flat_load_dword v23, v[10:11] offset:2048
	;; [unrolled: 1-line block ×3, first 2 shown]
	flat_load_dword v25, v[12:13]
	flat_load_dword v26, v[12:13] offset:1024
	flat_load_dword v27, v[12:13] offset:2048
	;; [unrolled: 1-line block ×3, first 2 shown]
	v_add_co_u32_e32 v10, vcc, 0x4000, v4
	s_movk_i32 s6, 0x3000
	s_nop 0
	v_addc_co_u32_e32 v11, vcc, 0, v5, vcc
	v_add_co_u32_e32 v4, vcc, 0x5000, v4
	s_movk_i32 s5, 0x4000
	s_nop 0
	v_addc_co_u32_e32 v5, vcc, 0, v5, vcc
	flat_load_dword v12, v[10:11]
	flat_load_dword v13, v[10:11] offset:1024
	flat_load_dword v29, v[10:11] offset:2048
	;; [unrolled: 1-line block ×3, first 2 shown]
	flat_load_dword v31, v[4:5]
	v_add_co_u32_e32 v4, vcc, 0x5000, v8
	s_movk_i32 s4, 0x5000
	s_nop 0
	v_addc_co_u32_e32 v5, vcc, 0, v9, vcc
	s_waitcnt vmcnt(0) lgkmcnt(0)
	ds_write2st64_b32 v2, v1, v14 offset1:4
	ds_write2st64_b32 v2, v15, v16 offset0:8 offset1:12
	ds_write2st64_b32 v2, v17, v18 offset0:16 offset1:20
	;; [unrolled: 1-line block ×9, first 2 shown]
	ds_write_b32 v2, v31 offset:20480
	s_waitcnt lgkmcnt(0)
	s_barrier
	flat_load_dword v84, v[4:5] offset:1024
	v_mad_u32_u24 v4, v0, s0, v2
	s_movk_i32 s0, 0xffb0
	ds_read_b32 v1, v4
	ds_read2_b32 v[62:63], v4 offset0:1 offset1:2
	ds_read2_b32 v[60:61], v4 offset0:3 offset1:4
	;; [unrolled: 1-line block ×10, first 2 shown]
	v_mad_i32_i24 v4, v0, s0, v4
	s_movk_i32 s0, 0xff
	v_cmp_ne_u32_e32 vcc, s0, v0
	s_waitcnt lgkmcnt(0)
	ds_write_b32 v4, v1 offset:22528
	s_waitcnt lgkmcnt(0)
	s_barrier
	s_and_saveexec_b64 s[0:1], vcc
	s_cbranch_execz .LBB1582_137
; %bb.136:
	s_waitcnt vmcnt(0)
	ds_read_b32 v84, v2 offset:22532
.LBB1582_137:
	s_or_b64 exec, exec, s[0:1]
	v_lshlrev_b32_e32 v2, 3, v0
	v_lshl_add_u64 v[2:3], v[6:7], 0, v[2:3]
	v_add_co_u32_e32 v6, vcc, s8, v2
	s_waitcnt lgkmcnt(0)
	s_nop 0
	v_addc_co_u32_e32 v7, vcc, 0, v3, vcc
	s_barrier
	flat_load_dwordx2 v[8:9], v[2:3]
	flat_load_dwordx2 v[10:11], v[2:3] offset:2048
	flat_load_dwordx2 v[12:13], v[6:7]
	flat_load_dwordx2 v[14:15], v[6:7] offset:2048
	v_add_co_u32_e32 v6, vcc, s7, v2
	s_movk_i32 s0, 0x6000
	s_nop 0
	v_addc_co_u32_e32 v7, vcc, 0, v3, vcc
	v_add_co_u32_e32 v16, vcc, s6, v2
	v_lshl_add_u32 v64, v0, 2, v4
	s_nop 0
	v_addc_co_u32_e32 v17, vcc, 0, v3, vcc
	flat_load_dwordx2 v[18:19], v[6:7]
	flat_load_dwordx2 v[20:21], v[6:7] offset:2048
	flat_load_dwordx2 v[22:23], v[16:17]
	flat_load_dwordx2 v[24:25], v[16:17] offset:2048
	v_add_co_u32_e32 v6, vcc, s5, v2
	s_nop 1
	v_addc_co_u32_e32 v7, vcc, 0, v3, vcc
	v_add_co_u32_e32 v16, vcc, s4, v2
	s_nop 1
	v_addc_co_u32_e32 v17, vcc, 0, v3, vcc
	flat_load_dwordx2 v[26:27], v[6:7]
	flat_load_dwordx2 v[28:29], v[6:7] offset:2048
	flat_load_dwordx2 v[30:31], v[16:17]
	flat_load_dwordx2 v[32:33], v[16:17] offset:2048
	v_add_co_u32_e32 v6, vcc, s0, v2
	s_movk_i32 s0, 0x7000
	s_nop 0
	v_addc_co_u32_e32 v7, vcc, 0, v3, vcc
	v_add_co_u32_e32 v16, vcc, s0, v2
	s_mov_b32 s0, 0x8000
	s_nop 0
	v_addc_co_u32_e32 v17, vcc, 0, v3, vcc
	flat_load_dwordx2 v[34:35], v[6:7]
	flat_load_dwordx2 v[36:37], v[6:7] offset:2048
	flat_load_dwordx2 v[38:39], v[16:17]
	flat_load_dwordx2 v[40:41], v[16:17] offset:2048
	v_add_co_u32_e32 v6, vcc, s0, v2
	s_mov_b32 s0, 0x9000
	s_nop 0
	v_addc_co_u32_e32 v7, vcc, 0, v3, vcc
	v_add_co_u32_e32 v16, vcc, s0, v2
	s_mov_b32 s0, 0xa000
	s_nop 0
	v_addc_co_u32_e32 v17, vcc, 0, v3, vcc
	flat_load_dwordx2 v[44:45], v[6:7]
	flat_load_dwordx2 v[66:67], v[6:7] offset:2048
	flat_load_dwordx2 v[68:69], v[16:17]
	flat_load_dwordx2 v[70:71], v[16:17] offset:2048
	v_add_co_u32_e32 v2, vcc, s0, v2
	s_movk_i32 s0, 0xa0
	s_nop 0
	v_addc_co_u32_e32 v3, vcc, 0, v3, vcc
	flat_load_dwordx2 v[2:3], v[2:3]
	v_cmp_ne_u32_e32 vcc, v1, v62
	s_waitcnt vmcnt(0) lgkmcnt(0)
	ds_write2st64_b64 v64, v[8:9], v[10:11] offset1:4
	ds_write2st64_b64 v64, v[12:13], v[14:15] offset0:8 offset1:12
	ds_write2st64_b64 v64, v[18:19], v[20:21] offset0:16 offset1:20
	;; [unrolled: 1-line block ×9, first 2 shown]
	ds_write_b64 v64, v[2:3] offset:40960
	v_mad_u32_u24 v2, v0, s0, v64
	s_waitcnt lgkmcnt(0)
	s_barrier
	ds_read2_b64 v[38:41], v2 offset0:1 offset1:2
	ds_read2_b64 v[34:37], v2 offset0:3 offset1:4
	;; [unrolled: 1-line block ×10, first 2 shown]
	v_cmp_eq_u32_e64 s[0:1], v1, v62
	v_mov_b64_e32 v[44:45], s[68:69]
	s_and_saveexec_b64 s[4:5], s[0:1]
	s_cbranch_execz .LBB1582_139
; %bb.138:
	v_mul_u32_u24_e32 v1, 0xa0, v0
	v_add_u32_e32 v1, v64, v1
	ds_read_b64 v[44:45], v1
.LBB1582_139:
	s_or_b64 exec, exec, s[4:5]
	v_cndmask_b32_e64 v1, 0, 1, vcc
	v_cmp_ne_u32_e32 vcc, v62, v63
	v_cmp_ne_u32_e64 s[36:37], v47, v82
	v_cmp_ne_u32_e64 s[38:39], v82, v83
	v_mov_b32_e32 v82, s69
	v_cmp_ne_u32_e64 s[6:7], v61, v58
	v_cmp_ne_u32_e64 s[34:35], v46, v47
	s_waitcnt lgkmcnt(9)
	v_cndmask_b32_e32 v47, v39, v82, vcc
	v_mov_b32_e32 v39, s68
	v_cmp_ne_u32_e64 s[0:1], v63, v60
	v_cmp_ne_u32_e64 s[4:5], v60, v61
	v_cndmask_b32_e64 v110, 0, 1, s[6:7]
	v_cmp_ne_u32_e64 s[8:9], v58, v59
	v_cmp_ne_u32_e64 s[10:11], v59, v56
	;; [unrolled: 1-line block ×12, first 2 shown]
	s_waitcnt lgkmcnt(8)
	v_cndmask_b32_e64 v53, v37, v82, s[6:7]
	v_cndmask_b32_e64 v52, v36, v39, s[6:7]
	v_cmp_ne_u32_e64 s[6:7], v83, v84
	v_cndmask_b32_e64 v106, 0, 1, vcc
	v_cndmask_b32_e64 v107, 0, 1, s[0:1]
	v_cndmask_b32_e64 v109, 0, 1, s[4:5]
	;; [unrolled: 1-line block ×17, first 2 shown]
	v_cndmask_b32_e32 v46, v38, v39, vcc
	v_cndmask_b32_e64 v49, v41, v82, s[0:1]
	v_cndmask_b32_e64 v48, v40, v39, s[0:1]
	v_cndmask_b32_e64 v51, v35, v82, s[4:5]
	v_cndmask_b32_e64 v50, v34, v39, s[4:5]
	s_waitcnt lgkmcnt(7)
	v_cndmask_b32_e64 v55, v31, v82, s[8:9]
	v_cndmask_b32_e64 v54, v30, v39, s[8:9]
	v_cndmask_b32_e64 v57, v33, v82, s[10:11]
	v_cndmask_b32_e64 v56, v32, v39, s[10:11]
	s_waitcnt lgkmcnt(6)
	v_cndmask_b32_e64 v59, v27, v82, s[12:13]
	v_cndmask_b32_e64 v58, v26, v39, s[12:13]
	v_cndmask_b32_e64 v61, v29, v82, s[14:15]
	v_cndmask_b32_e64 v60, v28, v39, s[14:15]
	s_waitcnt lgkmcnt(5)
	v_cndmask_b32_e64 v63, v23, v82, s[16:17]
	v_cndmask_b32_e64 v62, v22, v39, s[16:17]
	v_cndmask_b32_e64 v65, v25, v82, s[18:19]
	v_cndmask_b32_e64 v64, v24, v39, s[18:19]
	s_waitcnt lgkmcnt(4)
	v_cndmask_b32_e64 v67, v19, v82, s[20:21]
	v_cndmask_b32_e64 v66, v18, v39, s[20:21]
	v_cndmask_b32_e64 v69, v21, v82, s[22:23]
	v_cndmask_b32_e64 v68, v20, v39, s[22:23]
	s_waitcnt lgkmcnt(3)
	v_cndmask_b32_e64 v71, v15, v82, s[24:25]
	v_cndmask_b32_e64 v70, v14, v39, s[24:25]
	v_cndmask_b32_e64 v73, v17, v82, s[26:27]
	v_cndmask_b32_e64 v72, v16, v39, s[26:27]
	s_waitcnt lgkmcnt(2)
	v_cndmask_b32_e64 v75, v11, v82, s[28:29]
	v_cndmask_b32_e64 v74, v10, v39, s[28:29]
	v_cndmask_b32_e64 v77, v13, v82, s[30:31]
	v_cndmask_b32_e64 v76, v12, v39, s[30:31]
	s_waitcnt lgkmcnt(1)
	v_cndmask_b32_e64 v79, v7, v82, s[34:35]
	v_cndmask_b32_e64 v78, v6, v39, s[34:35]
	v_cndmask_b32_e64 v81, v9, v82, s[36:37]
	v_cndmask_b32_e64 v80, v8, v39, s[36:37]
	s_waitcnt lgkmcnt(0)
	v_cndmask_b32_e64 v41, v3, v82, s[38:39]
	v_cndmask_b32_e64 v40, v2, v39, s[38:39]
	;; [unrolled: 1-line block ×4, first 2 shown]
	s_mov_b64 s[8:9], -1
                                        ; implicit-def: $sgpr72
                                        ; implicit-def: $sgpr4_sgpr5
.LBB1582_140:
	v_mov_b64_e32 v[82:83], s[4:5]
	v_mov_b32_e32 v125, s72
	s_and_saveexec_b64 s[0:1], s[8:9]
; %bb.141:
	v_cndmask_b32_e64 v125, 0, 1, s[6:7]
	v_mov_b64_e32 v[82:83], v[2:3]
; %bb.142:
	s_or_b64 exec, exec, s[0:1]
	v_or_b32_e32 v2, v125, v108
	s_cmp_lg_u32 s55, 0
	v_or_b32_e32 v127, v2, v124
	v_mbcnt_lo_u32_b32 v126, -1, 0
	s_barrier
	s_cbranch_scc0 .LBB1582_213
; %bb.143:
	v_mov_b32_e32 v4, 0
	v_cmp_eq_u16_sdwa s[4:5], v106, v4 src0_sel:BYTE_0 src1_sel:DWORD
	v_cmp_eq_u16_sdwa s[6:7], v107, v4 src0_sel:BYTE_0 src1_sel:DWORD
	v_cmp_eq_u16_sdwa s[8:9], v109, v4 src0_sel:BYTE_0 src1_sel:DWORD
	v_cndmask_b32_e64 v3, 0, v45, s[4:5]
	v_cndmask_b32_e64 v2, 0, v44, s[4:5]
	v_lshl_add_u64 v[2:3], v[2:3], 0, v[46:47]
	v_cndmask_b32_e64 v3, 0, v3, s[6:7]
	v_cndmask_b32_e64 v2, 0, v2, s[6:7]
	v_lshl_add_u64 v[2:3], v[2:3], 0, v[48:49]
	v_cndmask_b32_e64 v3, 0, v3, s[8:9]
	v_cndmask_b32_e64 v2, 0, v2, s[8:9]
	v_lshl_add_u64 v[2:3], v[2:3], 0, v[50:51]
	v_cmp_eq_u16_sdwa s[10:11], v110, v4 src0_sel:BYTE_0 src1_sel:DWORD
	v_cmp_eq_u16_sdwa s[12:13], v111, v4 src0_sel:BYTE_0 src1_sel:DWORD
	v_cmp_eq_u16_sdwa s[14:15], v112, v4 src0_sel:BYTE_0 src1_sel:DWORD
	v_cndmask_b32_e64 v3, 0, v3, s[10:11]
	v_cndmask_b32_e64 v2, 0, v2, s[10:11]
	v_lshl_add_u64 v[2:3], v[2:3], 0, v[52:53]
	v_cndmask_b32_e64 v3, 0, v3, s[12:13]
	v_cndmask_b32_e64 v2, 0, v2, s[12:13]
	v_lshl_add_u64 v[2:3], v[2:3], 0, v[54:55]
	v_cndmask_b32_e64 v3, 0, v3, s[14:15]
	v_cndmask_b32_e64 v2, 0, v2, s[14:15]
	v_lshl_add_u64 v[2:3], v[2:3], 0, v[56:57]
	;; [unrolled: 12-line block ×3, first 2 shown]
	v_cmp_eq_u16_sdwa s[22:23], v116, v4 src0_sel:BYTE_0 src1_sel:DWORD
	v_cmp_eq_u16_sdwa s[24:25], v117, v4 src0_sel:BYTE_0 src1_sel:DWORD
	v_cmp_eq_u16_sdwa s[26:27], v118, v4 src0_sel:BYTE_0 src1_sel:DWORD
	v_cndmask_b32_e64 v3, 0, v3, s[22:23]
	v_cndmask_b32_e64 v2, 0, v2, s[22:23]
	v_lshl_add_u64 v[2:3], v[2:3], 0, v[64:65]
	v_cndmask_b32_e64 v3, 0, v3, s[24:25]
	v_cndmask_b32_e64 v2, 0, v2, s[24:25]
	v_lshl_add_u64 v[2:3], v[2:3], 0, v[66:67]
	v_cmp_eq_u16_sdwa s[28:29], v119, v4 src0_sel:BYTE_0 src1_sel:DWORD
	v_cmp_eq_u16_sdwa s[30:31], v120, v4 src0_sel:BYTE_0 src1_sel:DWORD
	;; [unrolled: 1-line block ×7, first 2 shown]
	v_cmp_eq_u16_sdwa vcc, v125, v4 src0_sel:BYTE_0 src1_sel:DWORD
	v_or_b32_e32 v4, v127, v123
	v_cndmask_b32_e64 v3, 0, v3, s[26:27]
	v_cndmask_b32_e64 v2, 0, v2, s[26:27]
	v_or_b32_e32 v4, v4, v122
	v_lshl_add_u64 v[2:3], v[2:3], 0, v[68:69]
	v_or_b32_e32 v4, v4, v121
	v_cndmask_b32_e64 v3, 0, v3, s[28:29]
	v_cndmask_b32_e64 v2, 0, v2, s[28:29]
	v_or_b32_e32 v4, v4, v120
	v_lshl_add_u64 v[2:3], v[2:3], 0, v[70:71]
	;; [unrolled: 5-line block ×8, first 2 shown]
	v_or_b32_e32 v4, v4, v106
	v_cndmask_b32_e32 v3, 0, v3, vcc
	v_cndmask_b32_e32 v2, 0, v2, vcc
	v_or_b32_e32 v4, v4, v1
	v_mbcnt_hi_u32_b32 v9, -1, v126
	v_lshl_add_u64 v[2:3], v[2:3], 0, v[82:83]
	v_and_b32_e32 v8, 1, v4
	v_and_b32_e32 v5, 15, v9
	v_cmp_eq_u32_e32 vcc, 1, v8
	v_mov_b32_dpp v7, v2 row_shr:1 row_mask:0xf bank_mask:0xf
	v_mov_b32_dpp v10, v3 row_shr:1 row_mask:0xf bank_mask:0xf
	;; [unrolled: 1-line block ×3, first 2 shown]
	v_cmp_ne_u32_e64 s[0:1], 0, v5
	v_mov_b32_e32 v4, v8
	s_and_saveexec_b64 s[44:45], s[0:1]
; %bb.144:
	v_and_b32_e32 v4, 1, v6
	v_cndmask_b32_e64 v11, v10, 0, vcc
	v_cndmask_b32_e64 v10, v7, 0, vcc
	v_or_b32_e32 v8, v4, v8
	v_lshl_add_u64 v[2:3], v[10:11], 0, v[2:3]
	v_and_b32_e32 v4, 0xffff, v8
; %bb.145:
	s_or_b64 exec, exec, s[44:45]
	v_mov_b32_dpp v7, v2 row_shr:2 row_mask:0xf bank_mask:0xf
	v_mov_b32_dpp v10, v3 row_shr:2 row_mask:0xf bank_mask:0xf
	;; [unrolled: 1-line block ×3, first 2 shown]
	v_cmp_lt_u32_e32 vcc, 1, v5
	s_and_saveexec_b64 s[44:45], vcc
; %bb.146:
	v_cmp_eq_u16_e32 vcc, 0, v8
	v_and_b32_e32 v4, 1, v8
	s_nop 0
	v_cndmask_b32_e32 v11, 0, v10, vcc
	v_cndmask_b32_e32 v10, 0, v7, vcc
	v_cmp_eq_u32_e32 vcc, 1, v4
	v_and_b32_e32 v4, 1, v6
	v_cmp_eq_u32_e64 s[0:1], 1, v4
	s_or_b64 s[0:1], vcc, s[0:1]
	v_lshl_add_u64 v[2:3], v[10:11], 0, v[2:3]
	v_cndmask_b32_e64 v8, 0, 1, s[0:1]
	v_cndmask_b32_e64 v4, 0, 1, s[0:1]
; %bb.147:
	s_or_b64 exec, exec, s[44:45]
	v_mov_b32_dpp v7, v2 row_shr:4 row_mask:0xf bank_mask:0xf
	v_mov_b32_dpp v10, v3 row_shr:4 row_mask:0xf bank_mask:0xf
	;; [unrolled: 1-line block ×3, first 2 shown]
	v_cmp_lt_u32_e32 vcc, 3, v5
	s_and_saveexec_b64 s[44:45], vcc
; %bb.148:
	v_cmp_eq_u16_e32 vcc, 0, v8
	v_and_b32_e32 v4, 1, v8
	s_nop 0
	v_cndmask_b32_e32 v11, 0, v10, vcc
	v_cndmask_b32_e32 v10, 0, v7, vcc
	v_cmp_eq_u32_e32 vcc, 1, v4
	v_and_b32_e32 v4, 1, v6
	v_cmp_eq_u32_e64 s[0:1], 1, v4
	s_or_b64 s[0:1], vcc, s[0:1]
	v_lshl_add_u64 v[2:3], v[10:11], 0, v[2:3]
	v_cndmask_b32_e64 v8, 0, 1, s[0:1]
	v_cndmask_b32_e64 v4, 0, 1, s[0:1]
; %bb.149:
	s_or_b64 exec, exec, s[44:45]
	v_mov_b32_dpp v7, v2 row_shr:8 row_mask:0xf bank_mask:0xf
	v_mov_b32_dpp v10, v3 row_shr:8 row_mask:0xf bank_mask:0xf
	;; [unrolled: 1-line block ×3, first 2 shown]
	v_cmp_lt_u32_e32 vcc, 7, v5
	s_and_saveexec_b64 s[44:45], vcc
; %bb.150:
	v_cmp_eq_u16_e32 vcc, 0, v8
	s_nop 1
	v_cndmask_b32_e32 v5, 0, v10, vcc
	v_cndmask_b32_e32 v4, 0, v7, vcc
	v_lshl_add_u64 v[2:3], v[4:5], 0, v[2:3]
	v_and_b32_e32 v4, 1, v8
	v_cmp_eq_u32_e32 vcc, 1, v4
	v_and_b32_e32 v4, 1, v6
	v_cmp_eq_u32_e64 s[0:1], 1, v4
	s_or_b64 s[0:1], vcc, s[0:1]
	s_nop 0
	v_cndmask_b32_e64 v8, 0, 1, s[0:1]
	v_cndmask_b32_e64 v4, 0, 1, s[0:1]
; %bb.151:
	s_or_b64 exec, exec, s[44:45]
	v_and_b32_e32 v10, 16, v9
	v_mov_b32_dpp v6, v2 row_bcast:15 row_mask:0xf bank_mask:0xf
	v_mov_b32_dpp v7, v3 row_bcast:15 row_mask:0xf bank_mask:0xf
	;; [unrolled: 1-line block ×3, first 2 shown]
	v_cmp_ne_u32_e32 vcc, 0, v10
	s_and_saveexec_b64 s[44:45], vcc
; %bb.152:
	v_cmp_eq_u16_e32 vcc, 0, v8
	v_and_b32_e32 v4, 1, v8
	s_nop 0
	v_cndmask_b32_e32 v7, 0, v7, vcc
	v_cndmask_b32_e32 v6, 0, v6, vcc
	v_cmp_eq_u32_e32 vcc, 1, v4
	v_and_b32_e32 v4, 1, v5
	v_cmp_eq_u32_e64 s[0:1], 1, v4
	s_or_b64 s[0:1], vcc, s[0:1]
	v_lshl_add_u64 v[2:3], v[6:7], 0, v[2:3]
	v_cndmask_b32_e64 v8, 0, 1, s[0:1]
	v_cndmask_b32_e64 v4, 0, 1, s[0:1]
; %bb.153:
	s_or_b64 exec, exec, s[44:45]
	v_mov_b32_dpp v5, v2 row_bcast:31 row_mask:0xf bank_mask:0xf
	v_mov_b32_dpp v6, v3 row_bcast:31 row_mask:0xf bank_mask:0xf
	;; [unrolled: 1-line block ×3, first 2 shown]
	v_cmp_lt_u32_e32 vcc, 31, v9
	s_and_saveexec_b64 s[44:45], vcc
; %bb.154:
	v_cmp_eq_u16_e32 vcc, 0, v8
	v_and_b32_e32 v4, 1, v4
	v_cmp_eq_u32_e64 s[0:1], 1, v4
	v_cndmask_b32_e32 v7, 0, v6, vcc
	v_cndmask_b32_e32 v6, 0, v5, vcc
	v_and_b32_e32 v5, 1, v8
	v_cmp_eq_u32_e32 vcc, 1, v5
	s_or_b64 s[0:1], vcc, s[0:1]
	v_lshl_add_u64 v[2:3], v[6:7], 0, v[2:3]
	v_cndmask_b32_e64 v8, 0, 1, s[0:1]
; %bb.155:
	s_or_b64 exec, exec, s[44:45]
	v_or_b32_e32 v4, 63, v0
	v_lshrrev_b32_e32 v10, 6, v0
	v_cmp_eq_u32_e32 vcc, v4, v0
	s_and_saveexec_b64 s[0:1], vcc
	s_cbranch_execz .LBB1582_157
; %bb.156:
	v_lshlrev_b32_e32 v4, 4, v10
	ds_write_b64 v4, v[2:3]
	ds_write_b8 v4, v8 offset:8
.LBB1582_157:
	s_or_b64 exec, exec, s[0:1]
	v_cmp_gt_u32_e32 vcc, 4, v0
	s_waitcnt lgkmcnt(0)
	s_barrier
	s_and_saveexec_b64 s[44:45], vcc
	s_cbranch_execz .LBB1582_163
; %bb.158:
	v_lshlrev_b32_e32 v6, 4, v0
	ds_read_b64 v[4:5], v6
	ds_read_b32 v7, v6 offset:8
	v_and_b32_e32 v11, 3, v9
	v_cmp_ne_u32_e32 vcc, 0, v11
	s_waitcnt lgkmcnt(1)
	v_mov_b32_dpp v15, v4 row_shr:1 row_mask:0xf bank_mask:0xf
	v_mov_b32_dpp v16, v5 row_shr:1 row_mask:0xf bank_mask:0xf
	s_waitcnt lgkmcnt(0)
	v_mov_b32_dpp v14, v7 row_shr:1 row_mask:0xf bank_mask:0xf
	v_mov_b32_e32 v12, v7
	v_mov_b32_e32 v13, v7
	s_and_saveexec_b64 s[0:1], vcc
; %bb.159:
	v_mov_b32_e32 v12, 0
	v_cmp_eq_u16_sdwa vcc, v7, v12 src0_sel:BYTE_0 src1_sel:DWORD
	s_movk_i32 s58, 0xff00
	s_nop 0
	v_cndmask_b32_e32 v13, 0, v16, vcc
	v_cndmask_b32_e32 v12, 0, v15, vcc
	v_lshl_add_u64 v[4:5], v[12:13], 0, v[4:5]
	v_or_b32_e32 v13, v14, v7
	v_and_b32_e32 v12, 1, v13
	v_and_b32_e32 v13, 1, v13
	v_and_or_b32 v7, v7, s58, v13
; %bb.160:
	s_or_b64 exec, exec, s[0:1]
	v_mov_b32_dpp v14, v4 row_shr:2 row_mask:0xf bank_mask:0xf
	v_mov_b32_dpp v15, v5 row_shr:2 row_mask:0xf bank_mask:0xf
	;; [unrolled: 1-line block ×3, first 2 shown]
	v_cmp_lt_u32_e32 vcc, 1, v11
	s_and_saveexec_b64 s[58:59], vcc
; %bb.161:
	v_mov_b32_e32 v11, 0
	v_cmp_eq_u16_sdwa vcc, v13, v11 src0_sel:BYTE_0 src1_sel:DWORD
	v_and_b32_e32 v11, 1, v13
	v_and_b32_e32 v7, 1, v7
	v_cndmask_b32_e32 v15, 0, v15, vcc
	v_cndmask_b32_e32 v14, 0, v14, vcc
	v_cmp_eq_u32_e32 vcc, 1, v11
	v_cmp_eq_u32_e64 s[0:1], 1, v7
	s_or_b64 s[0:1], vcc, s[0:1]
	v_lshl_add_u64 v[4:5], v[14:15], 0, v[4:5]
	v_cndmask_b32_e64 v12, 0, 1, s[0:1]
; %bb.162:
	s_or_b64 exec, exec, s[58:59]
	ds_write_b64 v6, v[4:5]
	ds_write_b8 v6, v12 offset:8
.LBB1582_163:
	s_or_b64 exec, exec, s[44:45]
	v_cmp_gt_u32_e32 vcc, 64, v0
	v_cmp_lt_u32_e64 s[0:1], 63, v0
	v_mov_b32_e32 v16, 0
	v_mov_b64_e32 v[6:7], 0
	s_waitcnt lgkmcnt(0)
	s_barrier
	s_and_saveexec_b64 s[44:45], s[0:1]
	s_cbranch_execz .LBB1582_165
; %bb.164:
	v_lshl_add_u32 v4, v10, 4, -16
	ds_read_b64 v[6:7], v4
	ds_read_u8 v16, v4 offset:8
	v_cmp_eq_u16_e64 s[0:1], 0, v8
	s_waitcnt lgkmcnt(0)
	v_or_b32_e32 v8, v8, v16
	v_cndmask_b32_e64 v5, 0, v7, s[0:1]
	v_cndmask_b32_e64 v4, 0, v6, s[0:1]
	v_lshl_add_u64 v[2:3], v[2:3], 0, v[4:5]
	v_and_b32_e32 v8, 1, v8
.LBB1582_165:
	s_or_b64 exec, exec, s[44:45]
	v_add_u32_e32 v4, -1, v9
	v_and_b32_e32 v5, 64, v9
	v_cmp_lt_i32_e64 s[0:1], v4, v5
	v_cmp_eq_u32_e64 s[44:45], 0, v9
	s_nop 0
	v_cndmask_b32_e64 v4, v4, v9, s[0:1]
	v_lshlrev_b32_e32 v4, 2, v4
	ds_bpermute_b32 v17, v4, v2
	v_and_b32_e32 v2, 0xffff, v8
	ds_bpermute_b32 v18, v4, v3
	ds_bpermute_b32 v19, v4, v2
	s_and_saveexec_b64 s[58:59], vcc
	s_cbranch_execz .LBB1582_212
; %bb.166:
	v_mov_b32_e32 v11, 0
	ds_read2_b64 v[2:5], v11 offset0:6 offset1:7
	s_and_saveexec_b64 s[0:1], s[44:45]
	s_cbranch_execz .LBB1582_168
; %bb.167:
	s_add_i32 s60, s55, 64
	s_mov_b32 s61, 0
	s_lshl_b64 s[64:65], s[60:61], 4
	s_add_u32 s64, s48, s64
	s_addc_u32 s65, s49, s65
	s_waitcnt lgkmcnt(0)
	global_store_dword v11, v2, s[64:65] sc1
	global_store_dword v11, v3, s[64:65] offset:4 sc1
	global_store_dword v11, v4, s[64:65] offset:8 sc1
	;; [unrolled: 1-line block ×3, first 2 shown]
	v_mov_b32_e32 v5, s60
	v_mov_b32_e32 v8, 1
	s_waitcnt vmcnt(0)
	global_store_byte v5, v8, s[52:53] sc1
.LBB1582_168:
	s_or_b64 exec, exec, s[0:1]
	v_xad_u32 v8, v9, -1, s55
	v_add_u32_e32 v10, 64, v8
	s_waitcnt lgkmcnt(0)
	global_load_ubyte v5, v10, s[52:53] sc1
	s_waitcnt vmcnt(0)
	v_cmp_eq_u16_e32 vcc, 0, v5
	s_and_saveexec_b64 s[0:1], vcc
	s_cbranch_execz .LBB1582_174
; %bb.169:
	v_lshl_add_u64 v[12:13], s[52:53], 0, v[10:11]
	s_mov_b32 s64, 1
	s_mov_b64 s[60:61], 0
.LBB1582_170:                           ; =>This Loop Header: Depth=1
                                        ;     Child Loop BB1582_171 Depth 2
	s_max_u32 s65, s64, 1
.LBB1582_171:                           ;   Parent Loop BB1582_170 Depth=1
                                        ; =>  This Inner Loop Header: Depth=2
	s_add_i32 s65, s65, -1
	s_cmp_eq_u32 s65, 0
	s_sleep 1
	s_cbranch_scc0 .LBB1582_171
; %bb.172:                              ;   in Loop: Header=BB1582_170 Depth=1
	global_load_ubyte v5, v[12:13], off sc1
	s_cmp_lt_u32 s64, 32
	s_cselect_b64 s[72:73], -1, 0
	s_cmp_lg_u64 s[72:73], 0
	s_addc_u32 s64, s64, 0
	s_waitcnt vmcnt(0)
	v_cmp_ne_u16_e32 vcc, 0, v5
	s_or_b64 s[60:61], vcc, s[60:61]
	s_andn2_b64 exec, exec, s[60:61]
	s_cbranch_execnz .LBB1582_170
; %bb.173:
	s_or_b64 exec, exec, s[60:61]
.LBB1582_174:
	s_or_b64 exec, exec, s[0:1]
	v_mov_b32_e32 v12, s51
	v_mov_b32_e32 v13, s49
	v_cmp_eq_u16_e32 vcc, 1, v5
	v_mov_b32_e32 v14, s48
	s_waitcnt vmcnt(0)
	v_cndmask_b32_e32 v13, v12, v13, vcc
	v_mov_b32_e32 v12, s50
	v_cndmask_b32_e32 v12, v12, v14, vcc
	v_lshl_add_u64 v[10:11], v[10:11], 4, v[12:13]
	global_load_dword v14, v[10:11], off sc1
	global_load_dword v15, v[10:11], off offset:4 sc1
	global_load_dword v34, v[10:11], off offset:8 sc1
	s_nop 0
	global_load_dword v10, v[10:11], off offset:12 sc1
	v_cmp_eq_u16_e32 vcc, 2, v5
	s_waitcnt vmcnt(0)
	v_lshlrev_b64 v[10:11], v9, -1
	v_and_b32_e32 v20, 63, v9
	v_and_b32_e32 v12, vcc_hi, v11
	v_and_b32_e32 v25, vcc_lo, v10
	v_cmp_ne_u32_e32 vcc, 63, v20
	v_or_b32_e32 v12, 0x80000000, v12
	v_ffbl_b32_e32 v12, v12
	v_addc_co_u32_e32 v13, vcc, 0, v9, vcc
	v_lshlrev_b32_e32 v21, 2, v13
	v_add_u32_e32 v12, 32, v12
	v_ffbl_b32_e32 v25, v25
	v_min_u32_e32 v12, v25, v12
	v_cmp_lt_u32_e32 vcc, v20, v12
	ds_bpermute_b32 v23, v21, v14
	ds_bpermute_b32 v24, v21, v15
	v_and_b32_e32 v13, 0xff, v34
	ds_bpermute_b32 v22, v21, v13
	s_and_saveexec_b64 s[0:1], vcc
	s_cbranch_execz .LBB1582_176
; %bb.175:
	v_mov_b32_e32 v13, 0
	v_cmp_eq_u16_sdwa vcc, v34, v13 src0_sel:BYTE_0 src1_sel:DWORD
	s_waitcnt lgkmcnt(0)
	v_or_b32_e32 v13, v22, v34
	v_and_b32_e32 v34, 1, v13
	v_cndmask_b32_e32 v25, 0, v24, vcc
	v_cndmask_b32_e32 v24, 0, v23, vcc
	v_lshl_add_u64 v[14:15], v[24:25], 0, v[14:15]
	v_and_b32_e32 v13, 1, v13
.LBB1582_176:
	s_or_b64 exec, exec, s[0:1]
	v_cmp_gt_u32_e32 vcc, 62, v20
	s_waitcnt lgkmcnt(2)
	v_add_u32_e32 v23, 2, v20
	s_waitcnt lgkmcnt(0)
	v_cndmask_b32_e64 v22, 0, 1, vcc
	v_lshlrev_b32_e32 v22, 1, v22
	v_add_lshl_u32 v22, v22, v9, 2
	ds_bpermute_b32 v25, v22, v14
	ds_bpermute_b32 v26, v22, v15
	ds_bpermute_b32 v24, v22, v13
	v_cmp_le_u32_e32 vcc, v23, v12
	s_and_saveexec_b64 s[60:61], vcc
	s_cbranch_execz .LBB1582_178
; %bb.177:
	v_mov_b32_e32 v13, 0
	v_cmp_eq_u16_sdwa vcc, v34, v13 src0_sel:BYTE_0 src1_sel:DWORD
	v_and_b32_e32 v13, 1, v34
	s_waitcnt lgkmcnt(1)
	v_cndmask_b32_e32 v27, 0, v26, vcc
	v_cndmask_b32_e32 v26, 0, v25, vcc
	v_cmp_eq_u32_e32 vcc, 1, v13
	s_waitcnt lgkmcnt(0)
	v_and_b32_e32 v13, 1, v24
	v_cmp_eq_u32_e64 s[0:1], 1, v13
	s_or_b64 s[0:1], vcc, s[0:1]
	v_lshl_add_u64 v[14:15], v[26:27], 0, v[14:15]
	v_cndmask_b32_e64 v34, 0, 1, s[0:1]
	v_cndmask_b32_e64 v13, 0, 1, s[0:1]
.LBB1582_178:
	s_or_b64 exec, exec, s[60:61]
	v_cmp_gt_u32_e32 vcc, 60, v20
	s_waitcnt lgkmcnt(2)
	v_add_u32_e32 v25, 4, v20
	s_waitcnt lgkmcnt(0)
	v_cndmask_b32_e64 v24, 0, 1, vcc
	v_lshlrev_b32_e32 v24, 2, v24
	v_add_lshl_u32 v24, v24, v9, 2
	ds_bpermute_b32 v27, v24, v14
	ds_bpermute_b32 v28, v24, v15
	ds_bpermute_b32 v26, v24, v13
	v_cmp_le_u32_e32 vcc, v25, v12
	s_and_saveexec_b64 s[60:61], vcc
	s_cbranch_execz .LBB1582_180
; %bb.179:
	v_mov_b32_e32 v13, 0
	v_cmp_eq_u16_sdwa vcc, v34, v13 src0_sel:BYTE_0 src1_sel:DWORD
	v_and_b32_e32 v13, 1, v34
	s_waitcnt lgkmcnt(1)
	v_cndmask_b32_e32 v29, 0, v28, vcc
	v_cndmask_b32_e32 v28, 0, v27, vcc
	v_cmp_eq_u32_e32 vcc, 1, v13
	s_waitcnt lgkmcnt(0)
	v_and_b32_e32 v13, 1, v26
	v_cmp_eq_u32_e64 s[0:1], 1, v13
	s_or_b64 s[0:1], vcc, s[0:1]
	v_lshl_add_u64 v[14:15], v[28:29], 0, v[14:15]
	v_cndmask_b32_e64 v34, 0, 1, s[0:1]
	v_cndmask_b32_e64 v13, 0, 1, s[0:1]
.LBB1582_180:
	;; [unrolled: 30-line block ×4, first 2 shown]
	s_or_b64 exec, exec, s[60:61]
	v_cmp_gt_u32_e32 vcc, 32, v20
	s_waitcnt lgkmcnt(1)
	v_add_u32_e32 v32, 32, v20
	s_waitcnt lgkmcnt(0)
	v_cndmask_b32_e64 v30, 0, 1, vcc
	v_lshlrev_b32_e32 v30, 5, v30
	v_add_lshl_u32 v31, v30, v9, 2
	ds_bpermute_b32 v30, v31, v14
	ds_bpermute_b32 v33, v31, v15
	;; [unrolled: 1-line block ×3, first 2 shown]
	v_cmp_le_u32_e32 vcc, v32, v12
	s_and_saveexec_b64 s[60:61], vcc
	s_cbranch_execz .LBB1582_186
; %bb.185:
	v_mov_b32_e32 v12, 0
	v_cmp_eq_u16_sdwa vcc, v34, v12 src0_sel:BYTE_0 src1_sel:DWORD
	s_waitcnt lgkmcnt(0)
	v_and_b32_e32 v9, 1, v9
	v_cmp_eq_u32_e64 s[0:1], 1, v9
	v_cndmask_b32_e32 v13, 0, v33, vcc
	v_cndmask_b32_e32 v12, 0, v30, vcc
	v_lshl_add_u64 v[14:15], v[12:13], 0, v[14:15]
	v_and_b32_e32 v12, 1, v34
	v_cmp_eq_u32_e32 vcc, 1, v12
	s_or_b64 s[0:1], vcc, s[0:1]
	v_cndmask_b32_e64 v34, 0, 1, s[0:1]
.LBB1582_186:
	s_or_b64 exec, exec, s[60:61]
	s_waitcnt lgkmcnt(0)
	v_mov_b32_e32 v9, 0
	v_mov_b32_e32 v33, 2
	s_branch .LBB1582_188
.LBB1582_187:                           ;   in Loop: Header=BB1582_188 Depth=1
	s_or_b64 exec, exec, s[64:65]
	v_cmp_eq_u16_sdwa vcc, v30, v9 src0_sel:BYTE_0 src1_sel:DWORD
	v_and_b32_e32 v34, 1, v30
	v_subrev_u32_e32 v8, 64, v8
	v_cndmask_b32_e32 v15, 0, v15, vcc
	v_cndmask_b32_e32 v14, 0, v14, vcc
	v_cmp_eq_u32_e32 vcc, 1, v34
	s_or_b64 s[0:1], vcc, s[60:61]
	v_lshl_add_u64 v[14:15], v[14:15], 0, v[12:13]
	v_cndmask_b32_e64 v34, 0, 1, s[0:1]
.LBB1582_188:                           ; =>This Loop Header: Depth=1
                                        ;     Child Loop BB1582_191 Depth 2
                                        ;       Child Loop BB1582_192 Depth 3
	v_cmp_ne_u16_sdwa s[0:1], v5, v33 src0_sel:BYTE_0 src1_sel:DWORD
	v_mov_b32_e32 v30, v34
	v_mov_b64_e32 v[12:13], v[14:15]
	v_cndmask_b32_e64 v5, 0, 1, s[0:1]
	;;#ASMSTART
	;;#ASMEND
	s_nop 0
	v_cmp_ne_u32_e32 vcc, 0, v5
	s_cmp_lg_u64 vcc, exec
	s_cbranch_scc1 .LBB1582_207
; %bb.189:                              ;   in Loop: Header=BB1582_188 Depth=1
	global_load_ubyte v5, v8, s[52:53] sc1
	s_waitcnt vmcnt(0)
	v_cmp_eq_u16_e32 vcc, 0, v5
	s_and_saveexec_b64 s[0:1], vcc
	s_cbranch_execz .LBB1582_195
; %bb.190:                              ;   in Loop: Header=BB1582_188 Depth=1
	v_lshl_add_u64 v[14:15], s[52:53], 0, v[8:9]
	s_mov_b32 s64, 1
	s_mov_b64 s[60:61], 0
.LBB1582_191:                           ;   Parent Loop BB1582_188 Depth=1
                                        ; =>  This Loop Header: Depth=2
                                        ;       Child Loop BB1582_192 Depth 3
	s_max_u32 s65, s64, 1
.LBB1582_192:                           ;   Parent Loop BB1582_188 Depth=1
                                        ;     Parent Loop BB1582_191 Depth=2
                                        ; =>    This Inner Loop Header: Depth=3
	s_add_i32 s65, s65, -1
	s_cmp_eq_u32 s65, 0
	s_sleep 1
	s_cbranch_scc0 .LBB1582_192
; %bb.193:                              ;   in Loop: Header=BB1582_191 Depth=2
	global_load_ubyte v5, v[14:15], off sc1
	s_cmp_lt_u32 s64, 32
	s_cselect_b64 s[72:73], -1, 0
	s_cmp_lg_u64 s[72:73], 0
	s_addc_u32 s64, s64, 0
	s_waitcnt vmcnt(0)
	v_cmp_ne_u16_e32 vcc, 0, v5
	s_or_b64 s[60:61], vcc, s[60:61]
	s_andn2_b64 exec, exec, s[60:61]
	s_cbranch_execnz .LBB1582_191
; %bb.194:                              ;   in Loop: Header=BB1582_188 Depth=1
	s_or_b64 exec, exec, s[60:61]
.LBB1582_195:                           ;   in Loop: Header=BB1582_188 Depth=1
	s_or_b64 exec, exec, s[0:1]
	v_mov_b32_e32 v14, s51
	v_mov_b32_e32 v15, s49
	v_cmp_eq_u16_e32 vcc, 1, v5
	v_mov_b32_e32 v34, s48
	s_waitcnt vmcnt(0)
	v_cndmask_b32_e32 v15, v14, v15, vcc
	v_mov_b32_e32 v14, s50
	v_cndmask_b32_e32 v14, v14, v34, vcc
	s_waitcnt lgkmcnt(0)
	v_lshl_add_u64 v[36:37], v[8:9], 4, v[14:15]
	global_load_dword v14, v[36:37], off sc1
	global_load_dword v15, v[36:37], off offset:4 sc1
	global_load_dword v34, v[36:37], off offset:8 sc1
	;; [unrolled: 1-line block ×3, first 2 shown]
	v_cmp_eq_u16_e32 vcc, 2, v5
	s_waitcnt vmcnt(3)
	ds_bpermute_b32 v38, v21, v14
	s_waitcnt vmcnt(0)
	v_and_b32_e32 v35, vcc_hi, v11
	v_and_b32_e32 v36, 0xff, v34
	v_or_b32_e32 v35, 0x80000000, v35
	ds_bpermute_b32 v39, v21, v15
	ds_bpermute_b32 v37, v21, v36
	v_and_b32_e32 v84, vcc_lo, v10
	v_ffbl_b32_e32 v35, v35
	v_add_u32_e32 v35, 32, v35
	v_ffbl_b32_e32 v84, v84
	v_min_u32_e32 v35, v84, v35
	v_cmp_lt_u32_e32 vcc, v20, v35
	s_and_saveexec_b64 s[0:1], vcc
	s_cbranch_execz .LBB1582_197
; %bb.196:                              ;   in Loop: Header=BB1582_188 Depth=1
	v_cmp_eq_u16_sdwa vcc, v34, v9 src0_sel:BYTE_0 src1_sel:DWORD
	s_waitcnt lgkmcnt(0)
	v_or_b32_e32 v36, v37, v34
	v_and_b32_e32 v34, 1, v36
	v_cndmask_b32_e32 v39, 0, v39, vcc
	v_cndmask_b32_e32 v38, 0, v38, vcc
	v_lshl_add_u64 v[14:15], v[38:39], 0, v[14:15]
	v_and_b32_e32 v36, 1, v36
.LBB1582_197:                           ;   in Loop: Header=BB1582_188 Depth=1
	s_or_b64 exec, exec, s[0:1]
	s_waitcnt lgkmcnt(2)
	ds_bpermute_b32 v38, v22, v14
	s_waitcnt lgkmcnt(2)
	ds_bpermute_b32 v39, v22, v15
	;; [unrolled: 2-line block ×3, first 2 shown]
	v_and_b32_e32 v84, 1, v34
	v_cmp_le_u32_e32 vcc, v23, v35
	v_cmp_eq_u32_e64 s[60:61], 1, v84
	s_and_saveexec_b64 s[0:1], vcc
	s_cbranch_execz .LBB1582_199
; %bb.198:                              ;   in Loop: Header=BB1582_188 Depth=1
	v_cmp_eq_u16_sdwa vcc, v34, v9 src0_sel:BYTE_0 src1_sel:DWORD
	s_waitcnt lgkmcnt(0)
	v_and_b32_e32 v34, 1, v37
	v_cndmask_b32_e32 v39, 0, v39, vcc
	v_cndmask_b32_e32 v38, 0, v38, vcc
	v_cmp_eq_u32_e32 vcc, 1, v34
	s_or_b64 s[64:65], s[60:61], vcc
	v_cndmask_b32_e64 v34, 0, 1, s[64:65]
	v_cndmask_b32_e64 v36, 0, 1, s[64:65]
	s_andn2_b64 s[60:61], s[60:61], exec
	s_and_b64 s[64:65], s[64:65], exec
	v_lshl_add_u64 v[14:15], v[38:39], 0, v[14:15]
	s_or_b64 s[60:61], s[60:61], s[64:65]
.LBB1582_199:                           ;   in Loop: Header=BB1582_188 Depth=1
	s_or_b64 exec, exec, s[0:1]
	s_waitcnt lgkmcnt(2)
	ds_bpermute_b32 v38, v24, v14
	s_waitcnt lgkmcnt(2)
	ds_bpermute_b32 v39, v24, v15
	s_waitcnt lgkmcnt(2)
	ds_bpermute_b32 v37, v24, v36
	v_cmp_le_u32_e32 vcc, v25, v35
	s_and_saveexec_b64 s[64:65], vcc
	s_cbranch_execz .LBB1582_201
; %bb.200:                              ;   in Loop: Header=BB1582_188 Depth=1
	v_cmp_eq_u16_sdwa vcc, v34, v9 src0_sel:BYTE_0 src1_sel:DWORD
	v_and_b32_e32 v34, 1, v34
	s_andn2_b64 s[60:61], s[60:61], exec
	s_waitcnt lgkmcnt(1)
	v_cndmask_b32_e32 v39, 0, v39, vcc
	v_cndmask_b32_e32 v38, 0, v38, vcc
	v_cmp_eq_u32_e32 vcc, 1, v34
	s_waitcnt lgkmcnt(0)
	v_and_b32_e32 v34, 1, v37
	v_cmp_eq_u32_e64 s[0:1], 1, v34
	s_or_b64 s[0:1], vcc, s[0:1]
	v_lshl_add_u64 v[14:15], v[38:39], 0, v[14:15]
	v_cndmask_b32_e64 v34, 0, 1, s[0:1]
	v_cndmask_b32_e64 v36, 0, 1, s[0:1]
	s_and_b64 s[0:1], s[0:1], exec
	s_or_b64 s[60:61], s[60:61], s[0:1]
.LBB1582_201:                           ;   in Loop: Header=BB1582_188 Depth=1
	s_or_b64 exec, exec, s[64:65]
	s_waitcnt lgkmcnt(2)
	ds_bpermute_b32 v38, v26, v14
	s_waitcnt lgkmcnt(2)
	ds_bpermute_b32 v39, v26, v15
	s_waitcnt lgkmcnt(2)
	ds_bpermute_b32 v37, v26, v36
	v_cmp_le_u32_e32 vcc, v27, v35
	s_and_saveexec_b64 s[64:65], vcc
	s_cbranch_execz .LBB1582_203
; %bb.202:                              ;   in Loop: Header=BB1582_188 Depth=1
	v_cmp_eq_u16_sdwa vcc, v34, v9 src0_sel:BYTE_0 src1_sel:DWORD
	v_and_b32_e32 v34, 1, v34
	s_andn2_b64 s[60:61], s[60:61], exec
	s_waitcnt lgkmcnt(1)
	v_cndmask_b32_e32 v39, 0, v39, vcc
	v_cndmask_b32_e32 v38, 0, v38, vcc
	v_cmp_eq_u32_e32 vcc, 1, v34
	s_waitcnt lgkmcnt(0)
	v_and_b32_e32 v34, 1, v37
	v_cmp_eq_u32_e64 s[0:1], 1, v34
	s_or_b64 s[0:1], vcc, s[0:1]
	v_lshl_add_u64 v[14:15], v[38:39], 0, v[14:15]
	v_cndmask_b32_e64 v34, 0, 1, s[0:1]
	v_cndmask_b32_e64 v36, 0, 1, s[0:1]
	s_and_b64 s[0:1], s[0:1], exec
	s_or_b64 s[60:61], s[60:61], s[0:1]
.LBB1582_203:                           ;   in Loop: Header=BB1582_188 Depth=1
	;; [unrolled: 28-line block ×3, first 2 shown]
	s_or_b64 exec, exec, s[64:65]
	s_waitcnt lgkmcnt(0)
	ds_bpermute_b32 v37, v31, v14
	ds_bpermute_b32 v38, v31, v15
	;; [unrolled: 1-line block ×3, first 2 shown]
	v_cmp_le_u32_e32 vcc, v32, v35
	s_and_saveexec_b64 s[64:65], vcc
	s_cbranch_execz .LBB1582_187
; %bb.206:                              ;   in Loop: Header=BB1582_188 Depth=1
	v_cmp_eq_u16_sdwa vcc, v34, v9 src0_sel:BYTE_0 src1_sel:DWORD
	v_and_b32_e32 v34, 1, v34
	s_andn2_b64 s[60:61], s[60:61], exec
	s_waitcnt lgkmcnt(1)
	v_cndmask_b32_e32 v39, 0, v38, vcc
	v_cndmask_b32_e32 v38, 0, v37, vcc
	v_cmp_eq_u32_e32 vcc, 1, v34
	s_waitcnt lgkmcnt(0)
	v_and_b32_e32 v34, 1, v36
	v_cmp_eq_u32_e64 s[0:1], 1, v34
	s_or_b64 s[0:1], vcc, s[0:1]
	s_and_b64 s[0:1], s[0:1], exec
	v_lshl_add_u64 v[14:15], v[38:39], 0, v[14:15]
	s_or_b64 s[60:61], s[60:61], s[0:1]
	s_branch .LBB1582_187
.LBB1582_207:                           ;   in Loop: Header=BB1582_188 Depth=1
                                        ; implicit-def: $vgpr34
                                        ; implicit-def: $vgpr14_vgpr15
                                        ; implicit-def: $vgpr5
	s_cbranch_execz .LBB1582_188
; %bb.208:
	s_and_saveexec_b64 s[0:1], s[44:45]
	s_cbranch_execz .LBB1582_210
; %bb.209:
	s_mov_b32 s49, 0
	v_mov_b32_e32 v5, 0
	s_add_i32 s48, s55, 64
	v_cmp_eq_u32_sdwa vcc, v4, v5 src0_sel:BYTE_0 src1_sel:DWORD
	s_lshl_b64 s[60:61], s[48:49], 4
	v_and_b32_e32 v4, 1, v4
	v_cndmask_b32_e32 v9, 0, v13, vcc
	v_cndmask_b32_e32 v8, 0, v12, vcc
	s_add_u32 s60, s50, s60
	v_lshl_add_u64 v[2:3], v[8:9], 0, v[2:3]
	v_and_b32_e32 v8, 1, v30
	v_cmp_eq_u32_e32 vcc, 1, v4
	s_addc_u32 s61, s51, s61
	s_nop 0
	v_cndmask_b32_e64 v4, v8, 1, vcc
	global_store_dword v5, v2, s[60:61] sc1
	global_store_dword v5, v3, s[60:61] offset:4 sc1
	global_store_dword v5, v4, s[60:61] offset:8 sc1
	;; [unrolled: 1-line block ×3, first 2 shown]
	v_mov_b32_e32 v2, s48
	v_mov_b32_e32 v3, 2
	s_waitcnt vmcnt(0) lgkmcnt(0)
	global_store_byte v2, v3, s[52:53] sc1
.LBB1582_210:
	s_or_b64 exec, exec, s[0:1]
	s_and_b64 exec, exec, s[46:47]
	s_cbranch_execz .LBB1582_212
; %bb.211:
	v_mov_b32_e32 v2, 0
	ds_write_b64 v2, v[12:13] offset:48
	ds_write_b8 v2, v30 offset:56
.LBB1582_212:
	s_or_b64 exec, exec, s[58:59]
	v_mov_b32_e32 v8, 0
	s_waitcnt lgkmcnt(0)
	s_barrier
	ds_read_b64 v[2:3], v8 offset:48
	v_cndmask_b32_e64 v9, v19, v16, s[44:45]
	v_cmp_eq_u16_sdwa vcc, v9, v8 src0_sel:BYTE_0 src1_sel:DWORD
	v_cndmask_b32_e64 v4, v17, v6, s[44:45]
	v_cndmask_b32_e64 v5, v18, v7, s[44:45]
	s_waitcnt lgkmcnt(0)
	v_cndmask_b32_e32 v7, 0, v3, vcc
	v_cndmask_b32_e32 v6, 0, v2, vcc
	v_lshl_add_u64 v[4:5], v[4:5], 0, v[6:7]
	v_cndmask_b32_e64 v85, v5, v3, s[46:47]
	v_cndmask_b32_e64 v84, v4, v2, s[46:47]
	v_cmp_eq_u16_sdwa vcc, v1, v8 src0_sel:BYTE_0 src1_sel:DWORD
	s_nop 1
	v_cndmask_b32_e32 v3, 0, v85, vcc
	v_cndmask_b32_e32 v2, 0, v84, vcc
	v_lshl_add_u64 v[6:7], v[2:3], 0, v[44:45]
	v_cndmask_b32_e64 v3, 0, v7, s[4:5]
	v_cndmask_b32_e64 v2, 0, v6, s[4:5]
	v_lshl_add_u64 v[2:3], v[2:3], 0, v[46:47]
	v_cndmask_b32_e64 v5, 0, v3, s[6:7]
	v_cndmask_b32_e64 v4, 0, v2, s[6:7]
	;; [unrolled: 3-line block ×19, first 2 shown]
	s_branch .LBB1582_241
.LBB1582_213:
                                        ; implicit-def: $vgpr2_vgpr3_vgpr4_vgpr5
                                        ; implicit-def: $vgpr84_vgpr85
                                        ; implicit-def: $vgpr104_vgpr105
                                        ; implicit-def: $vgpr102_vgpr103
                                        ; implicit-def: $vgpr100_vgpr101
                                        ; implicit-def: $vgpr98_vgpr99
                                        ; implicit-def: $vgpr96_vgpr97
                                        ; implicit-def: $vgpr94_vgpr95
                                        ; implicit-def: $vgpr92_vgpr93
                                        ; implicit-def: $vgpr90_vgpr91
                                        ; implicit-def: $vgpr88_vgpr89
                                        ; implicit-def: $vgpr86_vgpr87
                                        ; implicit-def: $vgpr36_vgpr37_vgpr38_vgpr39
                                        ; implicit-def: $vgpr32_vgpr33_vgpr34_vgpr35
                                        ; implicit-def: $vgpr28_vgpr29_vgpr30_vgpr31
                                        ; implicit-def: $vgpr24_vgpr25_vgpr26_vgpr27
                                        ; implicit-def: $vgpr20_vgpr21_vgpr22_vgpr23
                                        ; implicit-def: $vgpr16_vgpr17_vgpr18_vgpr19
                                        ; implicit-def: $vgpr12_vgpr13_vgpr14_vgpr15
                                        ; implicit-def: $vgpr8_vgpr9_vgpr10_vgpr11
                                        ; implicit-def: $vgpr4_vgpr5_vgpr6_vgpr7
	s_cbranch_execz .LBB1582_241
; %bb.214:
	s_cmp_lg_u64 s[70:71], 0
	s_cselect_b32 s1, s67, 0
	s_cselect_b32 s0, s66, 0
	s_cmp_eq_u64 s[0:1], 0
	v_mov_b64_e32 v[4:5], s[68:69]
	s_cbranch_scc1 .LBB1582_216
; %bb.215:
	v_mov_b32_e32 v2, 0
	global_load_dwordx2 v[4:5], v2, s[0:1]
.LBB1582_216:
	v_mov_b32_e32 v6, 0
	v_cmp_eq_u16_sdwa vcc, v106, v6 src0_sel:BYTE_0 src1_sel:DWORD
	v_cmp_eq_u16_sdwa s[4:5], v107, v6 src0_sel:BYTE_0 src1_sel:DWORD
	v_cmp_eq_u16_sdwa s[6:7], v109, v6 src0_sel:BYTE_0 src1_sel:DWORD
	v_cndmask_b32_e32 v3, 0, v45, vcc
	v_cndmask_b32_e32 v2, 0, v44, vcc
	v_lshl_add_u64 v[2:3], v[2:3], 0, v[46:47]
	v_cndmask_b32_e64 v3, 0, v3, s[4:5]
	v_cndmask_b32_e64 v2, 0, v2, s[4:5]
	v_lshl_add_u64 v[2:3], v[2:3], 0, v[48:49]
	v_cndmask_b32_e64 v3, 0, v3, s[6:7]
	v_cndmask_b32_e64 v2, 0, v2, s[6:7]
	v_lshl_add_u64 v[2:3], v[2:3], 0, v[50:51]
	v_cmp_eq_u16_sdwa s[8:9], v110, v6 src0_sel:BYTE_0 src1_sel:DWORD
	v_cmp_eq_u16_sdwa s[10:11], v111, v6 src0_sel:BYTE_0 src1_sel:DWORD
	v_cmp_eq_u16_sdwa s[12:13], v112, v6 src0_sel:BYTE_0 src1_sel:DWORD
	v_cndmask_b32_e64 v3, 0, v3, s[8:9]
	v_cndmask_b32_e64 v2, 0, v2, s[8:9]
	v_lshl_add_u64 v[2:3], v[2:3], 0, v[52:53]
	v_cndmask_b32_e64 v3, 0, v3, s[10:11]
	v_cndmask_b32_e64 v2, 0, v2, s[10:11]
	v_lshl_add_u64 v[2:3], v[2:3], 0, v[54:55]
	v_cndmask_b32_e64 v3, 0, v3, s[12:13]
	v_cndmask_b32_e64 v2, 0, v2, s[12:13]
	v_lshl_add_u64 v[2:3], v[2:3], 0, v[56:57]
	v_cmp_eq_u16_sdwa s[14:15], v113, v6 src0_sel:BYTE_0 src1_sel:DWORD
	v_cmp_eq_u16_sdwa s[16:17], v114, v6 src0_sel:BYTE_0 src1_sel:DWORD
	v_cmp_eq_u16_sdwa s[18:19], v115, v6 src0_sel:BYTE_0 src1_sel:DWORD
	v_cndmask_b32_e64 v3, 0, v3, s[14:15]
	v_cndmask_b32_e64 v2, 0, v2, s[14:15]
	v_lshl_add_u64 v[2:3], v[2:3], 0, v[58:59]
	v_cndmask_b32_e64 v3, 0, v3, s[16:17]
	v_cndmask_b32_e64 v2, 0, v2, s[16:17]
	v_lshl_add_u64 v[2:3], v[2:3], 0, v[60:61]
	v_cndmask_b32_e64 v3, 0, v3, s[18:19]
	v_cndmask_b32_e64 v2, 0, v2, s[18:19]
	v_lshl_add_u64 v[2:3], v[2:3], 0, v[62:63]
	v_cmp_eq_u16_sdwa s[20:21], v116, v6 src0_sel:BYTE_0 src1_sel:DWORD
	v_cmp_eq_u16_sdwa s[22:23], v117, v6 src0_sel:BYTE_0 src1_sel:DWORD
	v_cmp_eq_u16_sdwa s[24:25], v118, v6 src0_sel:BYTE_0 src1_sel:DWORD
	v_cndmask_b32_e64 v3, 0, v3, s[20:21]
	v_cndmask_b32_e64 v2, 0, v2, s[20:21]
	v_lshl_add_u64 v[2:3], v[2:3], 0, v[64:65]
	v_cndmask_b32_e64 v3, 0, v3, s[22:23]
	v_cndmask_b32_e64 v2, 0, v2, s[22:23]
	v_lshl_add_u64 v[2:3], v[2:3], 0, v[66:67]
	v_cmp_eq_u16_sdwa s[26:27], v119, v6 src0_sel:BYTE_0 src1_sel:DWORD
	v_cmp_eq_u16_sdwa s[28:29], v120, v6 src0_sel:BYTE_0 src1_sel:DWORD
	;; [unrolled: 1-line block ×8, first 2 shown]
	v_or_b32_e32 v6, v127, v123
	v_cndmask_b32_e64 v3, 0, v3, s[24:25]
	v_cndmask_b32_e64 v2, 0, v2, s[24:25]
	v_or_b32_e32 v6, v6, v122
	v_lshl_add_u64 v[2:3], v[2:3], 0, v[68:69]
	v_or_b32_e32 v6, v6, v121
	v_cndmask_b32_e64 v3, 0, v3, s[26:27]
	v_cndmask_b32_e64 v2, 0, v2, s[26:27]
	v_or_b32_e32 v6, v6, v120
	v_lshl_add_u64 v[2:3], v[2:3], 0, v[70:71]
	;; [unrolled: 5-line block ×8, first 2 shown]
	v_or_b32_e32 v6, v6, v106
	v_cndmask_b32_e64 v3, 0, v3, s[0:1]
	v_cndmask_b32_e64 v2, 0, v2, s[0:1]
	v_or_b32_e32 v6, v6, v1
	v_mbcnt_hi_u32_b32 v8, -1, v126
	v_lshl_add_u64 v[2:3], v[2:3], 0, v[82:83]
	v_and_b32_e32 v9, 1, v6
	v_and_b32_e32 v7, 15, v8
	v_cmp_eq_u32_e64 s[0:1], 1, v9
	v_mov_b32_dpp v11, v2 row_shr:1 row_mask:0xf bank_mask:0xf
	v_mov_b32_dpp v12, v3 row_shr:1 row_mask:0xf bank_mask:0xf
	;; [unrolled: 1-line block ×3, first 2 shown]
	v_cmp_ne_u32_e64 s[42:43], 0, v7
	v_mov_b32_e32 v6, v9
	s_and_saveexec_b64 s[44:45], s[42:43]
; %bb.217:
	v_and_b32_e32 v6, 1, v10
	v_cndmask_b32_e64 v13, v12, 0, s[0:1]
	v_cndmask_b32_e64 v12, v11, 0, s[0:1]
	v_or_b32_e32 v9, v6, v9
	v_lshl_add_u64 v[2:3], v[12:13], 0, v[2:3]
	v_and_b32_e32 v6, 0xffff, v9
; %bb.218:
	s_or_b64 exec, exec, s[44:45]
	v_mov_b32_dpp v11, v2 row_shr:2 row_mask:0xf bank_mask:0xf
	v_mov_b32_dpp v12, v3 row_shr:2 row_mask:0xf bank_mask:0xf
	;; [unrolled: 1-line block ×3, first 2 shown]
	v_cmp_lt_u32_e64 s[0:1], 1, v7
	s_and_saveexec_b64 s[44:45], s[0:1]
; %bb.219:
	v_cmp_eq_u16_e64 s[0:1], 0, v9
	v_and_b32_e32 v6, 1, v9
	s_nop 0
	v_cndmask_b32_e64 v13, 0, v12, s[0:1]
	v_cndmask_b32_e64 v12, 0, v11, s[0:1]
	v_cmp_eq_u32_e64 s[0:1], 1, v6
	v_and_b32_e32 v6, 1, v10
	v_cmp_eq_u32_e64 s[42:43], 1, v6
	s_or_b64 s[0:1], s[0:1], s[42:43]
	v_lshl_add_u64 v[2:3], v[12:13], 0, v[2:3]
	v_cndmask_b32_e64 v9, 0, 1, s[0:1]
	v_cndmask_b32_e64 v6, 0, 1, s[0:1]
; %bb.220:
	s_or_b64 exec, exec, s[44:45]
	v_mov_b32_dpp v11, v2 row_shr:4 row_mask:0xf bank_mask:0xf
	v_mov_b32_dpp v12, v3 row_shr:4 row_mask:0xf bank_mask:0xf
	;; [unrolled: 1-line block ×3, first 2 shown]
	v_cmp_lt_u32_e64 s[0:1], 3, v7
	s_and_saveexec_b64 s[44:45], s[0:1]
; %bb.221:
	v_cmp_eq_u16_e64 s[0:1], 0, v9
	v_and_b32_e32 v6, 1, v9
	s_nop 0
	v_cndmask_b32_e64 v13, 0, v12, s[0:1]
	v_cndmask_b32_e64 v12, 0, v11, s[0:1]
	v_cmp_eq_u32_e64 s[0:1], 1, v6
	v_and_b32_e32 v6, 1, v10
	v_cmp_eq_u32_e64 s[42:43], 1, v6
	s_or_b64 s[0:1], s[0:1], s[42:43]
	v_lshl_add_u64 v[2:3], v[12:13], 0, v[2:3]
	v_cndmask_b32_e64 v9, 0, 1, s[0:1]
	v_cndmask_b32_e64 v6, 0, 1, s[0:1]
; %bb.222:
	s_or_b64 exec, exec, s[44:45]
	v_mov_b32_dpp v11, v2 row_shr:8 row_mask:0xf bank_mask:0xf
	v_mov_b32_dpp v12, v3 row_shr:8 row_mask:0xf bank_mask:0xf
	;; [unrolled: 1-line block ×3, first 2 shown]
	v_cmp_lt_u32_e64 s[0:1], 7, v7
	s_and_saveexec_b64 s[44:45], s[0:1]
; %bb.223:
	v_cmp_eq_u16_e64 s[0:1], 0, v9
	s_nop 1
	v_cndmask_b32_e64 v7, 0, v12, s[0:1]
	v_cndmask_b32_e64 v6, 0, v11, s[0:1]
	v_lshl_add_u64 v[2:3], v[6:7], 0, v[2:3]
	v_and_b32_e32 v6, 1, v9
	v_cmp_eq_u32_e64 s[0:1], 1, v6
	v_and_b32_e32 v6, 1, v10
	v_cmp_eq_u32_e64 s[42:43], 1, v6
	s_or_b64 s[0:1], s[0:1], s[42:43]
	v_cndmask_b32_e64 v9, 0, 1, s[0:1]
	v_cndmask_b32_e64 v6, 0, 1, s[0:1]
; %bb.224:
	s_or_b64 exec, exec, s[44:45]
	v_and_b32_e32 v12, 16, v8
	v_mov_b32_dpp v10, v2 row_bcast:15 row_mask:0xf bank_mask:0xf
	v_mov_b32_dpp v11, v3 row_bcast:15 row_mask:0xf bank_mask:0xf
	;; [unrolled: 1-line block ×3, first 2 shown]
	v_cmp_ne_u32_e64 s[0:1], 0, v12
	s_and_saveexec_b64 s[44:45], s[0:1]
; %bb.225:
	v_cmp_eq_u16_e64 s[0:1], 0, v9
	v_and_b32_e32 v6, 1, v9
	s_nop 0
	v_cndmask_b32_e64 v11, 0, v11, s[0:1]
	v_cndmask_b32_e64 v10, 0, v10, s[0:1]
	v_cmp_eq_u32_e64 s[0:1], 1, v6
	v_and_b32_e32 v6, 1, v7
	v_cmp_eq_u32_e64 s[42:43], 1, v6
	s_or_b64 s[0:1], s[0:1], s[42:43]
	v_lshl_add_u64 v[2:3], v[10:11], 0, v[2:3]
	v_cndmask_b32_e64 v9, 0, 1, s[0:1]
	v_cndmask_b32_e64 v6, 0, 1, s[0:1]
; %bb.226:
	s_or_b64 exec, exec, s[44:45]
	v_mov_b32_dpp v7, v2 row_bcast:31 row_mask:0xf bank_mask:0xf
	v_mov_b32_dpp v10, v3 row_bcast:31 row_mask:0xf bank_mask:0xf
	;; [unrolled: 1-line block ×3, first 2 shown]
	v_cmp_lt_u32_e64 s[0:1], 31, v8
	s_and_saveexec_b64 s[44:45], s[0:1]
; %bb.227:
	v_cmp_eq_u16_e64 s[0:1], 0, v9
	v_and_b32_e32 v6, 1, v6
	v_cmp_eq_u32_e64 s[42:43], 1, v6
	v_cndmask_b32_e64 v11, 0, v10, s[0:1]
	v_cndmask_b32_e64 v10, 0, v7, s[0:1]
	v_and_b32_e32 v7, 1, v9
	v_cmp_eq_u32_e64 s[0:1], 1, v7
	s_or_b64 s[0:1], s[0:1], s[42:43]
	v_lshl_add_u64 v[2:3], v[10:11], 0, v[2:3]
	v_cndmask_b32_e64 v9, 0, 1, s[0:1]
; %bb.228:
	s_or_b64 exec, exec, s[44:45]
	v_or_b32_e32 v6, 63, v0
	v_lshrrev_b32_e32 v10, 6, v0
	v_cmp_eq_u32_e64 s[0:1], v6, v0
	s_and_saveexec_b64 s[42:43], s[0:1]
	s_cbranch_execz .LBB1582_230
; %bb.229:
	v_lshlrev_b32_e32 v6, 4, v10
	ds_write_b64 v6, v[2:3]
	ds_write_b8 v6, v9 offset:8
.LBB1582_230:
	s_or_b64 exec, exec, s[42:43]
	v_cmp_gt_u32_e64 s[0:1], 4, v0
	s_waitcnt lgkmcnt(0)
	s_barrier
	s_and_saveexec_b64 s[44:45], s[0:1]
	s_cbranch_execz .LBB1582_236
; %bb.231:
	v_lshlrev_b32_e32 v11, 4, v0
	ds_read_b64 v[6:7], v11
	ds_read_b32 v12, v11 offset:8
	v_and_b32_e32 v13, 3, v8
	v_cmp_ne_u32_e64 s[0:1], 0, v13
	s_waitcnt lgkmcnt(1)
	v_mov_b32_dpp v17, v6 row_shr:1 row_mask:0xf bank_mask:0xf
	v_mov_b32_dpp v18, v7 row_shr:1 row_mask:0xf bank_mask:0xf
	s_waitcnt lgkmcnt(0)
	v_mov_b32_dpp v16, v12 row_shr:1 row_mask:0xf bank_mask:0xf
	v_mov_b32_e32 v14, v12
	v_mov_b32_e32 v15, v12
	s_and_saveexec_b64 s[42:43], s[0:1]
; %bb.232:
	v_mov_b32_e32 v14, 0
	v_cmp_eq_u16_sdwa s[0:1], v12, v14 src0_sel:BYTE_0 src1_sel:DWORD
	s_nop 1
	v_cndmask_b32_e64 v15, 0, v18, s[0:1]
	v_cndmask_b32_e64 v14, 0, v17, s[0:1]
	v_lshl_add_u64 v[6:7], v[14:15], 0, v[6:7]
	v_or_b32_e32 v15, v16, v12
	v_and_b32_e32 v14, 1, v15
	v_and_b32_e32 v15, 1, v15
	s_movk_i32 s0, 0xff00
	v_and_or_b32 v12, v12, s0, v15
; %bb.233:
	s_or_b64 exec, exec, s[42:43]
	v_mov_b32_dpp v16, v6 row_shr:2 row_mask:0xf bank_mask:0xf
	v_mov_b32_dpp v17, v7 row_shr:2 row_mask:0xf bank_mask:0xf
	;; [unrolled: 1-line block ×3, first 2 shown]
	v_cmp_lt_u32_e64 s[0:1], 1, v13
	s_and_saveexec_b64 s[48:49], s[0:1]
; %bb.234:
	v_mov_b32_e32 v13, 0
	v_cmp_eq_u16_sdwa s[0:1], v15, v13 src0_sel:BYTE_0 src1_sel:DWORD
	v_and_b32_e32 v13, 1, v15
	v_and_b32_e32 v12, 1, v12
	v_cndmask_b32_e64 v17, 0, v17, s[0:1]
	v_cndmask_b32_e64 v16, 0, v16, s[0:1]
	v_cmp_eq_u32_e64 s[0:1], 1, v13
	v_cmp_eq_u32_e64 s[42:43], 1, v12
	s_or_b64 s[0:1], s[0:1], s[42:43]
	v_lshl_add_u64 v[6:7], v[16:17], 0, v[6:7]
	v_cndmask_b32_e64 v14, 0, 1, s[0:1]
; %bb.235:
	s_or_b64 exec, exec, s[48:49]
	ds_write_b64 v11, v[6:7]
	ds_write_b8 v11, v14 offset:8
.LBB1582_236:
	s_or_b64 exec, exec, s[44:45]
	v_cmp_lt_u32_e64 s[0:1], 63, v0
	s_waitcnt vmcnt(0)
	v_mov_b64_e32 v[6:7], v[4:5]
	s_waitcnt lgkmcnt(0)
	s_barrier
	s_and_saveexec_b64 s[42:43], s[0:1]
	s_cbranch_execz .LBB1582_238
; %bb.237:
	v_lshl_add_u32 v6, v10, 4, -16
	ds_read_u8 v10, v6 offset:8
	ds_read_b64 v[6:7], v6
	s_waitcnt lgkmcnt(1)
	v_cmp_eq_u16_e64 s[0:1], 0, v10
	s_nop 1
	v_cndmask_b32_e64 v11, 0, v5, s[0:1]
	v_cndmask_b32_e64 v10, 0, v4, s[0:1]
	s_waitcnt lgkmcnt(0)
	v_lshl_add_u64 v[6:7], v[10:11], 0, v[6:7]
.LBB1582_238:
	s_or_b64 exec, exec, s[42:43]
	v_cmp_eq_u16_e64 s[0:1], 0, v9
	v_add_u32_e32 v9, -1, v8
	s_nop 0
	v_cndmask_b32_e64 v11, 0, v7, s[0:1]
	v_cndmask_b32_e64 v10, 0, v6, s[0:1]
	v_lshl_add_u64 v[2:3], v[10:11], 0, v[2:3]
	v_and_b32_e32 v10, 64, v8
	v_cmp_lt_i32_e64 s[0:1], v9, v10
	v_mov_b32_e32 v10, 0
	s_nop 0
	v_cndmask_b32_e64 v9, v9, v8, s[0:1]
	v_lshlrev_b32_e32 v9, 2, v9
	ds_bpermute_b32 v3, v9, v3
	ds_bpermute_b32 v2, v9, v2
	v_cmp_eq_u32_e64 s[0:1], 0, v8
	s_waitcnt lgkmcnt(1)
	s_nop 0
	v_cndmask_b32_e64 v85, v3, v7, s[0:1]
	s_waitcnt lgkmcnt(0)
	v_cndmask_b32_e64 v84, v2, v6, s[0:1]
	v_cndmask_b32_e64 v2, v84, v4, s[46:47]
	;; [unrolled: 1-line block ×3, first 2 shown]
	v_cmp_eq_u16_sdwa s[0:1], v1, v10 src0_sel:BYTE_0 src1_sel:DWORD
	s_nop 1
	v_cndmask_b32_e64 v3, 0, v3, s[0:1]
	v_cndmask_b32_e64 v2, 0, v2, s[0:1]
	v_lshl_add_u64 v[6:7], v[2:3], 0, v[44:45]
	v_cndmask_b32_e32 v3, 0, v7, vcc
	v_cndmask_b32_e32 v2, 0, v6, vcc
	v_lshl_add_u64 v[2:3], v[2:3], 0, v[46:47]
	v_cndmask_b32_e64 v9, 0, v3, s[4:5]
	v_cndmask_b32_e64 v8, 0, v2, s[4:5]
	v_lshl_add_u64 v[86:87], v[8:9], 0, v[48:49]
	v_cndmask_b32_e64 v9, 0, v87, s[6:7]
	v_cndmask_b32_e64 v8, 0, v86, s[6:7]
	;; [unrolled: 3-line block ×18, first 2 shown]
	s_and_saveexec_b64 s[0:1], s[46:47]
	s_cbranch_execz .LBB1582_240
; %bb.239:
	ds_read_u8 v1, v10 offset:56
	ds_read_b64 v[14:15], v10 offset:48
	v_mov_b64_e32 v[84:85], v[4:5]
	s_waitcnt lgkmcnt(1)
	v_cmp_eq_u32_e32 vcc, 0, v1
	s_nop 1
	v_cndmask_b32_e32 v19, 0, v5, vcc
	v_cndmask_b32_e32 v18, 0, v4, vcc
	s_waitcnt lgkmcnt(0)
	v_lshl_add_u64 v[14:15], v[18:19], 0, v[14:15]
	global_store_dword v10, v14, s[50:51] offset:1024 sc1
	global_store_dword v10, v15, s[50:51] offset:1028 sc1
	;; [unrolled: 1-line block ×4, first 2 shown]
	v_mov_b32_e32 v1, 2
	s_waitcnt vmcnt(0)
	global_store_byte v10, v1, s[52:53] offset:64 sc1
.LBB1582_240:
	s_or_b64 exec, exec, s[0:1]
.LBB1582_241:
	s_add_u32 s0, s62, s56
	s_addc_u32 s1, s63, s57
	v_lshl_add_u64 v[14:15], v[104:105], 0, v[40:41]
	v_lshl_add_u64 v[4:5], s[0:1], 0, v[42:43]
	s_and_b64 vcc, exec, s[2:3]
	v_lshlrev_b32_e32 v10, 3, v0
	s_cbranch_vccz .LBB1582_283
; %bb.242:
	s_movk_i32 s0, 0xa8
	v_mul_i32_i24_e32 v22, 0xffffff60, v0
	v_mul_u32_u24_e32 v1, 0xa8, v0
	v_mad_u32_u24 v11, v0, s0, v22
	s_barrier
	ds_write2_b64 v1, v[84:85], v[6:7] offset1:1
	ds_write2_b64 v1, v[2:3], v[86:87] offset0:2 offset1:3
	ds_write2_b64 v1, v[8:9], v[88:89] offset0:4 offset1:5
	;; [unrolled: 1-line block ×9, first 2 shown]
	ds_write_b64 v1, v[14:15] offset:160
	s_waitcnt lgkmcnt(0)
	s_barrier
	ds_read2st64_b64 v[74:77], v11 offset0:4 offset1:8
	ds_read2st64_b64 v[70:73], v11 offset0:12 offset1:16
	;; [unrolled: 1-line block ×10, first 2 shown]
	s_add_i32 s33, s33, s54
	v_mov_b32_e32 v11, 0
	v_lshl_add_u64 v[18:19], v[4:5], 0, v[10:11]
	v_cmp_gt_u32_e32 vcc, s33, v0
	s_and_saveexec_b64 s[0:1], vcc
	s_cbranch_execz .LBB1582_244
; %bb.243:
	v_add_u32_e32 v1, v1, v22
	ds_read_b64 v[22:23], v1
	s_waitcnt lgkmcnt(0)
	flat_store_dwordx2 v[18:19], v[22:23]
.LBB1582_244:
	s_or_b64 exec, exec, s[0:1]
	v_or_b32_e32 v1, 0x100, v0
	v_cmp_gt_u32_e32 vcc, s33, v1
	s_and_saveexec_b64 s[0:1], vcc
	s_cbranch_execz .LBB1582_246
; %bb.245:
	s_waitcnt lgkmcnt(0)
	flat_store_dwordx2 v[18:19], v[74:75] offset:2048
.LBB1582_246:
	s_or_b64 exec, exec, s[0:1]
	v_or_b32_e32 v1, 0x200, v0
	v_cmp_gt_u32_e32 vcc, s33, v1
	s_and_saveexec_b64 s[0:1], vcc
	s_cbranch_execz .LBB1582_248
; %bb.247:
	v_add_co_u32_e32 v22, vcc, 0x1000, v18
	s_nop 1
	v_addc_co_u32_e32 v23, vcc, 0, v19, vcc
	s_waitcnt lgkmcnt(0)
	flat_store_dwordx2 v[22:23], v[76:77]
.LBB1582_248:
	s_or_b64 exec, exec, s[0:1]
	v_or_b32_e32 v1, 0x300, v0
	v_cmp_gt_u32_e32 vcc, s33, v1
	s_and_saveexec_b64 s[0:1], vcc
	s_cbranch_execz .LBB1582_250
; %bb.249:
	v_add_co_u32_e32 v22, vcc, 0x1000, v18
	s_nop 1
	v_addc_co_u32_e32 v23, vcc, 0, v19, vcc
	s_waitcnt lgkmcnt(0)
	flat_store_dwordx2 v[22:23], v[70:71] offset:2048
.LBB1582_250:
	s_or_b64 exec, exec, s[0:1]
	v_or_b32_e32 v1, 0x400, v0
	v_cmp_gt_u32_e32 vcc, s33, v1
	s_and_saveexec_b64 s[0:1], vcc
	s_cbranch_execz .LBB1582_252
; %bb.251:
	v_add_co_u32_e32 v22, vcc, 0x2000, v18
	s_nop 1
	v_addc_co_u32_e32 v23, vcc, 0, v19, vcc
	s_waitcnt lgkmcnt(0)
	flat_store_dwordx2 v[22:23], v[72:73]
.LBB1582_252:
	s_or_b64 exec, exec, s[0:1]
	v_or_b32_e32 v1, 0x500, v0
	v_cmp_gt_u32_e32 vcc, s33, v1
	s_and_saveexec_b64 s[0:1], vcc
	s_cbranch_execz .LBB1582_254
; %bb.253:
	v_add_co_u32_e32 v22, vcc, 0x2000, v18
	s_nop 1
	v_addc_co_u32_e32 v23, vcc, 0, v19, vcc
	s_waitcnt lgkmcnt(0)
	flat_store_dwordx2 v[22:23], v[66:67] offset:2048
.LBB1582_254:
	;; [unrolled: 24-line block ×9, first 2 shown]
	s_or_b64 exec, exec, s[0:1]
	v_mov_b32_e32 v1, v11
	v_or_b32_e32 v11, 0x1400, v0
	v_cmp_gt_u32_e64 s[0:1], s33, v11
	s_branch .LBB1582_285
.LBB1582_283:
	s_mov_b64 s[0:1], 0
                                        ; implicit-def: $vgpr40_vgpr41
	s_cbranch_execz .LBB1582_285
; %bb.284:
	v_mul_u32_u24_e32 v1, 0xa8, v0
	s_waitcnt lgkmcnt(0)
	s_barrier
	s_movk_i32 s2, 0xa8
	ds_write2_b64 v1, v[84:85], v[6:7] offset1:1
	ds_write2_b64 v1, v[2:3], v[86:87] offset0:2 offset1:3
	ds_write2_b64 v1, v[8:9], v[88:89] offset0:4 offset1:5
	;; [unrolled: 1-line block ×9, first 2 shown]
	ds_write_b64 v1, v[14:15] offset:160
	v_mov_b32_e32 v1, 0
	v_mul_i32_i24_e32 v2, 0xffffff60, v0
	v_mad_u32_u24 v2, v0, s2, v2
	v_mov_b32_e32 v11, v1
	s_waitcnt lgkmcnt(0)
	s_barrier
	ds_read2st64_b64 v[6:9], v2 offset1:4
	ds_read2st64_b64 v[12:15], v2 offset0:8 offset1:12
	ds_read2st64_b64 v[16:19], v2 offset0:16 offset1:20
	;; [unrolled: 1-line block ×9, first 2 shown]
	ds_read_b64 v[40:41], v2 offset:40960
	v_lshl_add_u64 v[2:3], v[4:5], 0, v[10:11]
	s_movk_i32 s2, 0x1000
	s_waitcnt lgkmcnt(0)
	flat_store_dwordx2 v[2:3], v[6:7]
	flat_store_dwordx2 v[2:3], v[8:9] offset:2048
	v_add_co_u32_e32 v6, vcc, s2, v2
	s_movk_i32 s2, 0x2000
	s_nop 0
	v_addc_co_u32_e32 v7, vcc, 0, v3, vcc
	flat_store_dwordx2 v[6:7], v[12:13]
	flat_store_dwordx2 v[6:7], v[14:15] offset:2048
	v_add_co_u32_e32 v6, vcc, s2, v2
	s_movk_i32 s2, 0x3000
	s_nop 0
	v_addc_co_u32_e32 v7, vcc, 0, v3, vcc
	;; [unrolled: 6-line block ×6, first 2 shown]
	flat_store_dwordx2 v[6:7], v[32:33]
	flat_store_dwordx2 v[6:7], v[34:35] offset:2048
	v_add_co_u32_e32 v6, vcc, s2, v2
	s_or_b64 s[0:1], s[0:1], exec
	s_nop 0
	v_addc_co_u32_e32 v7, vcc, 0, v3, vcc
	flat_store_dwordx2 v[6:7], v[36:37]
	flat_store_dwordx2 v[6:7], v[38:39] offset:2048
	v_add_co_u32_e32 v6, vcc, 0x8000, v2
	s_nop 1
	v_addc_co_u32_e32 v7, vcc, 0, v3, vcc
	v_add_co_u32_e32 v2, vcc, 0x9000, v2
	flat_store_dwordx2 v[6:7], v[42:43]
	flat_store_dwordx2 v[6:7], v[44:45] offset:2048
	v_addc_co_u32_e32 v3, vcc, 0, v3, vcc
	flat_store_dwordx2 v[2:3], v[46:47]
	flat_store_dwordx2 v[2:3], v[48:49] offset:2048
.LBB1582_285:
	s_and_saveexec_b64 s[2:3], s[0:1]
	s_cbranch_execz .LBB1582_287
; %bb.286:
	v_lshl_add_u64 v[0:1], v[0:1], 3, v[4:5]
	v_add_co_u32_e32 v0, vcc, 0xa000, v0
	s_nop 1
	v_addc_co_u32_e32 v1, vcc, 0, v1, vcc
	s_waitcnt lgkmcnt(0)
	flat_store_dwordx2 v[0:1], v[40:41]
	s_endpgm
.LBB1582_287:
	s_endpgm
	.section	.rodata,"a",@progbits
	.p2align	6, 0x0
	.amdhsa_kernel _ZN7rocprim17ROCPRIM_400000_NS6detail17trampoline_kernelINS0_14default_configENS1_27scan_by_key_config_selectorIixEEZZNS1_16scan_by_key_implILNS1_25lookback_scan_determinismE0ELb1ES3_N6thrust23THRUST_200600_302600_NS6detail15normal_iteratorINS9_10device_ptrIiEEEENSB_INSC_IxEEEESG_xNS9_4plusIvEENS9_8equal_toIvEExEE10hipError_tPvRmT2_T3_T4_T5_mT6_T7_P12ihipStream_tbENKUlT_T0_E_clISt17integral_constantIbLb1EES11_EEDaSW_SX_EUlSW_E_NS1_11comp_targetILNS1_3genE5ELNS1_11target_archE942ELNS1_3gpuE9ELNS1_3repE0EEENS1_30default_config_static_selectorELNS0_4arch9wavefront6targetE1EEEvT1_
		.amdhsa_group_segment_fixed_size 43008
		.amdhsa_private_segment_fixed_size 0
		.amdhsa_kernarg_size 136
		.amdhsa_user_sgpr_count 2
		.amdhsa_user_sgpr_dispatch_ptr 0
		.amdhsa_user_sgpr_queue_ptr 0
		.amdhsa_user_sgpr_kernarg_segment_ptr 1
		.amdhsa_user_sgpr_dispatch_id 0
		.amdhsa_user_sgpr_kernarg_preload_length 0
		.amdhsa_user_sgpr_kernarg_preload_offset 0
		.amdhsa_user_sgpr_private_segment_size 0
		.amdhsa_uses_dynamic_stack 0
		.amdhsa_enable_private_segment 0
		.amdhsa_system_sgpr_workgroup_id_x 1
		.amdhsa_system_sgpr_workgroup_id_y 0
		.amdhsa_system_sgpr_workgroup_id_z 0
		.amdhsa_system_sgpr_workgroup_info 0
		.amdhsa_system_vgpr_workitem_id 0
		.amdhsa_next_free_vgpr 128
		.amdhsa_next_free_sgpr 74
		.amdhsa_accum_offset 128
		.amdhsa_reserve_vcc 1
		.amdhsa_float_round_mode_32 0
		.amdhsa_float_round_mode_16_64 0
		.amdhsa_float_denorm_mode_32 3
		.amdhsa_float_denorm_mode_16_64 3
		.amdhsa_dx10_clamp 1
		.amdhsa_ieee_mode 1
		.amdhsa_fp16_overflow 0
		.amdhsa_tg_split 0
		.amdhsa_exception_fp_ieee_invalid_op 0
		.amdhsa_exception_fp_denorm_src 0
		.amdhsa_exception_fp_ieee_div_zero 0
		.amdhsa_exception_fp_ieee_overflow 0
		.amdhsa_exception_fp_ieee_underflow 0
		.amdhsa_exception_fp_ieee_inexact 0
		.amdhsa_exception_int_div_zero 0
	.end_amdhsa_kernel
	.section	.text._ZN7rocprim17ROCPRIM_400000_NS6detail17trampoline_kernelINS0_14default_configENS1_27scan_by_key_config_selectorIixEEZZNS1_16scan_by_key_implILNS1_25lookback_scan_determinismE0ELb1ES3_N6thrust23THRUST_200600_302600_NS6detail15normal_iteratorINS9_10device_ptrIiEEEENSB_INSC_IxEEEESG_xNS9_4plusIvEENS9_8equal_toIvEExEE10hipError_tPvRmT2_T3_T4_T5_mT6_T7_P12ihipStream_tbENKUlT_T0_E_clISt17integral_constantIbLb1EES11_EEDaSW_SX_EUlSW_E_NS1_11comp_targetILNS1_3genE5ELNS1_11target_archE942ELNS1_3gpuE9ELNS1_3repE0EEENS1_30default_config_static_selectorELNS0_4arch9wavefront6targetE1EEEvT1_,"axG",@progbits,_ZN7rocprim17ROCPRIM_400000_NS6detail17trampoline_kernelINS0_14default_configENS1_27scan_by_key_config_selectorIixEEZZNS1_16scan_by_key_implILNS1_25lookback_scan_determinismE0ELb1ES3_N6thrust23THRUST_200600_302600_NS6detail15normal_iteratorINS9_10device_ptrIiEEEENSB_INSC_IxEEEESG_xNS9_4plusIvEENS9_8equal_toIvEExEE10hipError_tPvRmT2_T3_T4_T5_mT6_T7_P12ihipStream_tbENKUlT_T0_E_clISt17integral_constantIbLb1EES11_EEDaSW_SX_EUlSW_E_NS1_11comp_targetILNS1_3genE5ELNS1_11target_archE942ELNS1_3gpuE9ELNS1_3repE0EEENS1_30default_config_static_selectorELNS0_4arch9wavefront6targetE1EEEvT1_,comdat
.Lfunc_end1582:
	.size	_ZN7rocprim17ROCPRIM_400000_NS6detail17trampoline_kernelINS0_14default_configENS1_27scan_by_key_config_selectorIixEEZZNS1_16scan_by_key_implILNS1_25lookback_scan_determinismE0ELb1ES3_N6thrust23THRUST_200600_302600_NS6detail15normal_iteratorINS9_10device_ptrIiEEEENSB_INSC_IxEEEESG_xNS9_4plusIvEENS9_8equal_toIvEExEE10hipError_tPvRmT2_T3_T4_T5_mT6_T7_P12ihipStream_tbENKUlT_T0_E_clISt17integral_constantIbLb1EES11_EEDaSW_SX_EUlSW_E_NS1_11comp_targetILNS1_3genE5ELNS1_11target_archE942ELNS1_3gpuE9ELNS1_3repE0EEENS1_30default_config_static_selectorELNS0_4arch9wavefront6targetE1EEEvT1_, .Lfunc_end1582-_ZN7rocprim17ROCPRIM_400000_NS6detail17trampoline_kernelINS0_14default_configENS1_27scan_by_key_config_selectorIixEEZZNS1_16scan_by_key_implILNS1_25lookback_scan_determinismE0ELb1ES3_N6thrust23THRUST_200600_302600_NS6detail15normal_iteratorINS9_10device_ptrIiEEEENSB_INSC_IxEEEESG_xNS9_4plusIvEENS9_8equal_toIvEExEE10hipError_tPvRmT2_T3_T4_T5_mT6_T7_P12ihipStream_tbENKUlT_T0_E_clISt17integral_constantIbLb1EES11_EEDaSW_SX_EUlSW_E_NS1_11comp_targetILNS1_3genE5ELNS1_11target_archE942ELNS1_3gpuE9ELNS1_3repE0EEENS1_30default_config_static_selectorELNS0_4arch9wavefront6targetE1EEEvT1_
                                        ; -- End function
	.section	.AMDGPU.csdata,"",@progbits
; Kernel info:
; codeLenInByte = 17276
; NumSgprs: 80
; NumVgprs: 128
; NumAgprs: 0
; TotalNumVgprs: 128
; ScratchSize: 0
; MemoryBound: 0
; FloatMode: 240
; IeeeMode: 1
; LDSByteSize: 43008 bytes/workgroup (compile time only)
; SGPRBlocks: 9
; VGPRBlocks: 15
; NumSGPRsForWavesPerEU: 80
; NumVGPRsForWavesPerEU: 128
; AccumOffset: 128
; Occupancy: 1
; WaveLimiterHint : 1
; COMPUTE_PGM_RSRC2:SCRATCH_EN: 0
; COMPUTE_PGM_RSRC2:USER_SGPR: 2
; COMPUTE_PGM_RSRC2:TRAP_HANDLER: 0
; COMPUTE_PGM_RSRC2:TGID_X_EN: 1
; COMPUTE_PGM_RSRC2:TGID_Y_EN: 0
; COMPUTE_PGM_RSRC2:TGID_Z_EN: 0
; COMPUTE_PGM_RSRC2:TIDIG_COMP_CNT: 0
; COMPUTE_PGM_RSRC3_GFX90A:ACCUM_OFFSET: 31
; COMPUTE_PGM_RSRC3_GFX90A:TG_SPLIT: 0
	.section	.text._ZN7rocprim17ROCPRIM_400000_NS6detail17trampoline_kernelINS0_14default_configENS1_27scan_by_key_config_selectorIixEEZZNS1_16scan_by_key_implILNS1_25lookback_scan_determinismE0ELb1ES3_N6thrust23THRUST_200600_302600_NS6detail15normal_iteratorINS9_10device_ptrIiEEEENSB_INSC_IxEEEESG_xNS9_4plusIvEENS9_8equal_toIvEExEE10hipError_tPvRmT2_T3_T4_T5_mT6_T7_P12ihipStream_tbENKUlT_T0_E_clISt17integral_constantIbLb1EES11_EEDaSW_SX_EUlSW_E_NS1_11comp_targetILNS1_3genE4ELNS1_11target_archE910ELNS1_3gpuE8ELNS1_3repE0EEENS1_30default_config_static_selectorELNS0_4arch9wavefront6targetE1EEEvT1_,"axG",@progbits,_ZN7rocprim17ROCPRIM_400000_NS6detail17trampoline_kernelINS0_14default_configENS1_27scan_by_key_config_selectorIixEEZZNS1_16scan_by_key_implILNS1_25lookback_scan_determinismE0ELb1ES3_N6thrust23THRUST_200600_302600_NS6detail15normal_iteratorINS9_10device_ptrIiEEEENSB_INSC_IxEEEESG_xNS9_4plusIvEENS9_8equal_toIvEExEE10hipError_tPvRmT2_T3_T4_T5_mT6_T7_P12ihipStream_tbENKUlT_T0_E_clISt17integral_constantIbLb1EES11_EEDaSW_SX_EUlSW_E_NS1_11comp_targetILNS1_3genE4ELNS1_11target_archE910ELNS1_3gpuE8ELNS1_3repE0EEENS1_30default_config_static_selectorELNS0_4arch9wavefront6targetE1EEEvT1_,comdat
	.protected	_ZN7rocprim17ROCPRIM_400000_NS6detail17trampoline_kernelINS0_14default_configENS1_27scan_by_key_config_selectorIixEEZZNS1_16scan_by_key_implILNS1_25lookback_scan_determinismE0ELb1ES3_N6thrust23THRUST_200600_302600_NS6detail15normal_iteratorINS9_10device_ptrIiEEEENSB_INSC_IxEEEESG_xNS9_4plusIvEENS9_8equal_toIvEExEE10hipError_tPvRmT2_T3_T4_T5_mT6_T7_P12ihipStream_tbENKUlT_T0_E_clISt17integral_constantIbLb1EES11_EEDaSW_SX_EUlSW_E_NS1_11comp_targetILNS1_3genE4ELNS1_11target_archE910ELNS1_3gpuE8ELNS1_3repE0EEENS1_30default_config_static_selectorELNS0_4arch9wavefront6targetE1EEEvT1_ ; -- Begin function _ZN7rocprim17ROCPRIM_400000_NS6detail17trampoline_kernelINS0_14default_configENS1_27scan_by_key_config_selectorIixEEZZNS1_16scan_by_key_implILNS1_25lookback_scan_determinismE0ELb1ES3_N6thrust23THRUST_200600_302600_NS6detail15normal_iteratorINS9_10device_ptrIiEEEENSB_INSC_IxEEEESG_xNS9_4plusIvEENS9_8equal_toIvEExEE10hipError_tPvRmT2_T3_T4_T5_mT6_T7_P12ihipStream_tbENKUlT_T0_E_clISt17integral_constantIbLb1EES11_EEDaSW_SX_EUlSW_E_NS1_11comp_targetILNS1_3genE4ELNS1_11target_archE910ELNS1_3gpuE8ELNS1_3repE0EEENS1_30default_config_static_selectorELNS0_4arch9wavefront6targetE1EEEvT1_
	.globl	_ZN7rocprim17ROCPRIM_400000_NS6detail17trampoline_kernelINS0_14default_configENS1_27scan_by_key_config_selectorIixEEZZNS1_16scan_by_key_implILNS1_25lookback_scan_determinismE0ELb1ES3_N6thrust23THRUST_200600_302600_NS6detail15normal_iteratorINS9_10device_ptrIiEEEENSB_INSC_IxEEEESG_xNS9_4plusIvEENS9_8equal_toIvEExEE10hipError_tPvRmT2_T3_T4_T5_mT6_T7_P12ihipStream_tbENKUlT_T0_E_clISt17integral_constantIbLb1EES11_EEDaSW_SX_EUlSW_E_NS1_11comp_targetILNS1_3genE4ELNS1_11target_archE910ELNS1_3gpuE8ELNS1_3repE0EEENS1_30default_config_static_selectorELNS0_4arch9wavefront6targetE1EEEvT1_
	.p2align	8
	.type	_ZN7rocprim17ROCPRIM_400000_NS6detail17trampoline_kernelINS0_14default_configENS1_27scan_by_key_config_selectorIixEEZZNS1_16scan_by_key_implILNS1_25lookback_scan_determinismE0ELb1ES3_N6thrust23THRUST_200600_302600_NS6detail15normal_iteratorINS9_10device_ptrIiEEEENSB_INSC_IxEEEESG_xNS9_4plusIvEENS9_8equal_toIvEExEE10hipError_tPvRmT2_T3_T4_T5_mT6_T7_P12ihipStream_tbENKUlT_T0_E_clISt17integral_constantIbLb1EES11_EEDaSW_SX_EUlSW_E_NS1_11comp_targetILNS1_3genE4ELNS1_11target_archE910ELNS1_3gpuE8ELNS1_3repE0EEENS1_30default_config_static_selectorELNS0_4arch9wavefront6targetE1EEEvT1_,@function
_ZN7rocprim17ROCPRIM_400000_NS6detail17trampoline_kernelINS0_14default_configENS1_27scan_by_key_config_selectorIixEEZZNS1_16scan_by_key_implILNS1_25lookback_scan_determinismE0ELb1ES3_N6thrust23THRUST_200600_302600_NS6detail15normal_iteratorINS9_10device_ptrIiEEEENSB_INSC_IxEEEESG_xNS9_4plusIvEENS9_8equal_toIvEExEE10hipError_tPvRmT2_T3_T4_T5_mT6_T7_P12ihipStream_tbENKUlT_T0_E_clISt17integral_constantIbLb1EES11_EEDaSW_SX_EUlSW_E_NS1_11comp_targetILNS1_3genE4ELNS1_11target_archE910ELNS1_3gpuE8ELNS1_3repE0EEENS1_30default_config_static_selectorELNS0_4arch9wavefront6targetE1EEEvT1_: ; @_ZN7rocprim17ROCPRIM_400000_NS6detail17trampoline_kernelINS0_14default_configENS1_27scan_by_key_config_selectorIixEEZZNS1_16scan_by_key_implILNS1_25lookback_scan_determinismE0ELb1ES3_N6thrust23THRUST_200600_302600_NS6detail15normal_iteratorINS9_10device_ptrIiEEEENSB_INSC_IxEEEESG_xNS9_4plusIvEENS9_8equal_toIvEExEE10hipError_tPvRmT2_T3_T4_T5_mT6_T7_P12ihipStream_tbENKUlT_T0_E_clISt17integral_constantIbLb1EES11_EEDaSW_SX_EUlSW_E_NS1_11comp_targetILNS1_3genE4ELNS1_11target_archE910ELNS1_3gpuE8ELNS1_3repE0EEENS1_30default_config_static_selectorELNS0_4arch9wavefront6targetE1EEEvT1_
; %bb.0:
	.section	.rodata,"a",@progbits
	.p2align	6, 0x0
	.amdhsa_kernel _ZN7rocprim17ROCPRIM_400000_NS6detail17trampoline_kernelINS0_14default_configENS1_27scan_by_key_config_selectorIixEEZZNS1_16scan_by_key_implILNS1_25lookback_scan_determinismE0ELb1ES3_N6thrust23THRUST_200600_302600_NS6detail15normal_iteratorINS9_10device_ptrIiEEEENSB_INSC_IxEEEESG_xNS9_4plusIvEENS9_8equal_toIvEExEE10hipError_tPvRmT2_T3_T4_T5_mT6_T7_P12ihipStream_tbENKUlT_T0_E_clISt17integral_constantIbLb1EES11_EEDaSW_SX_EUlSW_E_NS1_11comp_targetILNS1_3genE4ELNS1_11target_archE910ELNS1_3gpuE8ELNS1_3repE0EEENS1_30default_config_static_selectorELNS0_4arch9wavefront6targetE1EEEvT1_
		.amdhsa_group_segment_fixed_size 0
		.amdhsa_private_segment_fixed_size 0
		.amdhsa_kernarg_size 136
		.amdhsa_user_sgpr_count 2
		.amdhsa_user_sgpr_dispatch_ptr 0
		.amdhsa_user_sgpr_queue_ptr 0
		.amdhsa_user_sgpr_kernarg_segment_ptr 1
		.amdhsa_user_sgpr_dispatch_id 0
		.amdhsa_user_sgpr_kernarg_preload_length 0
		.amdhsa_user_sgpr_kernarg_preload_offset 0
		.amdhsa_user_sgpr_private_segment_size 0
		.amdhsa_uses_dynamic_stack 0
		.amdhsa_enable_private_segment 0
		.amdhsa_system_sgpr_workgroup_id_x 1
		.amdhsa_system_sgpr_workgroup_id_y 0
		.amdhsa_system_sgpr_workgroup_id_z 0
		.amdhsa_system_sgpr_workgroup_info 0
		.amdhsa_system_vgpr_workitem_id 0
		.amdhsa_next_free_vgpr 1
		.amdhsa_next_free_sgpr 0
		.amdhsa_accum_offset 4
		.amdhsa_reserve_vcc 0
		.amdhsa_float_round_mode_32 0
		.amdhsa_float_round_mode_16_64 0
		.amdhsa_float_denorm_mode_32 3
		.amdhsa_float_denorm_mode_16_64 3
		.amdhsa_dx10_clamp 1
		.amdhsa_ieee_mode 1
		.amdhsa_fp16_overflow 0
		.amdhsa_tg_split 0
		.amdhsa_exception_fp_ieee_invalid_op 0
		.amdhsa_exception_fp_denorm_src 0
		.amdhsa_exception_fp_ieee_div_zero 0
		.amdhsa_exception_fp_ieee_overflow 0
		.amdhsa_exception_fp_ieee_underflow 0
		.amdhsa_exception_fp_ieee_inexact 0
		.amdhsa_exception_int_div_zero 0
	.end_amdhsa_kernel
	.section	.text._ZN7rocprim17ROCPRIM_400000_NS6detail17trampoline_kernelINS0_14default_configENS1_27scan_by_key_config_selectorIixEEZZNS1_16scan_by_key_implILNS1_25lookback_scan_determinismE0ELb1ES3_N6thrust23THRUST_200600_302600_NS6detail15normal_iteratorINS9_10device_ptrIiEEEENSB_INSC_IxEEEESG_xNS9_4plusIvEENS9_8equal_toIvEExEE10hipError_tPvRmT2_T3_T4_T5_mT6_T7_P12ihipStream_tbENKUlT_T0_E_clISt17integral_constantIbLb1EES11_EEDaSW_SX_EUlSW_E_NS1_11comp_targetILNS1_3genE4ELNS1_11target_archE910ELNS1_3gpuE8ELNS1_3repE0EEENS1_30default_config_static_selectorELNS0_4arch9wavefront6targetE1EEEvT1_,"axG",@progbits,_ZN7rocprim17ROCPRIM_400000_NS6detail17trampoline_kernelINS0_14default_configENS1_27scan_by_key_config_selectorIixEEZZNS1_16scan_by_key_implILNS1_25lookback_scan_determinismE0ELb1ES3_N6thrust23THRUST_200600_302600_NS6detail15normal_iteratorINS9_10device_ptrIiEEEENSB_INSC_IxEEEESG_xNS9_4plusIvEENS9_8equal_toIvEExEE10hipError_tPvRmT2_T3_T4_T5_mT6_T7_P12ihipStream_tbENKUlT_T0_E_clISt17integral_constantIbLb1EES11_EEDaSW_SX_EUlSW_E_NS1_11comp_targetILNS1_3genE4ELNS1_11target_archE910ELNS1_3gpuE8ELNS1_3repE0EEENS1_30default_config_static_selectorELNS0_4arch9wavefront6targetE1EEEvT1_,comdat
.Lfunc_end1583:
	.size	_ZN7rocprim17ROCPRIM_400000_NS6detail17trampoline_kernelINS0_14default_configENS1_27scan_by_key_config_selectorIixEEZZNS1_16scan_by_key_implILNS1_25lookback_scan_determinismE0ELb1ES3_N6thrust23THRUST_200600_302600_NS6detail15normal_iteratorINS9_10device_ptrIiEEEENSB_INSC_IxEEEESG_xNS9_4plusIvEENS9_8equal_toIvEExEE10hipError_tPvRmT2_T3_T4_T5_mT6_T7_P12ihipStream_tbENKUlT_T0_E_clISt17integral_constantIbLb1EES11_EEDaSW_SX_EUlSW_E_NS1_11comp_targetILNS1_3genE4ELNS1_11target_archE910ELNS1_3gpuE8ELNS1_3repE0EEENS1_30default_config_static_selectorELNS0_4arch9wavefront6targetE1EEEvT1_, .Lfunc_end1583-_ZN7rocprim17ROCPRIM_400000_NS6detail17trampoline_kernelINS0_14default_configENS1_27scan_by_key_config_selectorIixEEZZNS1_16scan_by_key_implILNS1_25lookback_scan_determinismE0ELb1ES3_N6thrust23THRUST_200600_302600_NS6detail15normal_iteratorINS9_10device_ptrIiEEEENSB_INSC_IxEEEESG_xNS9_4plusIvEENS9_8equal_toIvEExEE10hipError_tPvRmT2_T3_T4_T5_mT6_T7_P12ihipStream_tbENKUlT_T0_E_clISt17integral_constantIbLb1EES11_EEDaSW_SX_EUlSW_E_NS1_11comp_targetILNS1_3genE4ELNS1_11target_archE910ELNS1_3gpuE8ELNS1_3repE0EEENS1_30default_config_static_selectorELNS0_4arch9wavefront6targetE1EEEvT1_
                                        ; -- End function
	.section	.AMDGPU.csdata,"",@progbits
; Kernel info:
; codeLenInByte = 0
; NumSgprs: 6
; NumVgprs: 0
; NumAgprs: 0
; TotalNumVgprs: 0
; ScratchSize: 0
; MemoryBound: 0
; FloatMode: 240
; IeeeMode: 1
; LDSByteSize: 0 bytes/workgroup (compile time only)
; SGPRBlocks: 0
; VGPRBlocks: 0
; NumSGPRsForWavesPerEU: 6
; NumVGPRsForWavesPerEU: 1
; AccumOffset: 4
; Occupancy: 8
; WaveLimiterHint : 0
; COMPUTE_PGM_RSRC2:SCRATCH_EN: 0
; COMPUTE_PGM_RSRC2:USER_SGPR: 2
; COMPUTE_PGM_RSRC2:TRAP_HANDLER: 0
; COMPUTE_PGM_RSRC2:TGID_X_EN: 1
; COMPUTE_PGM_RSRC2:TGID_Y_EN: 0
; COMPUTE_PGM_RSRC2:TGID_Z_EN: 0
; COMPUTE_PGM_RSRC2:TIDIG_COMP_CNT: 0
; COMPUTE_PGM_RSRC3_GFX90A:ACCUM_OFFSET: 0
; COMPUTE_PGM_RSRC3_GFX90A:TG_SPLIT: 0
	.section	.text._ZN7rocprim17ROCPRIM_400000_NS6detail17trampoline_kernelINS0_14default_configENS1_27scan_by_key_config_selectorIixEEZZNS1_16scan_by_key_implILNS1_25lookback_scan_determinismE0ELb1ES3_N6thrust23THRUST_200600_302600_NS6detail15normal_iteratorINS9_10device_ptrIiEEEENSB_INSC_IxEEEESG_xNS9_4plusIvEENS9_8equal_toIvEExEE10hipError_tPvRmT2_T3_T4_T5_mT6_T7_P12ihipStream_tbENKUlT_T0_E_clISt17integral_constantIbLb1EES11_EEDaSW_SX_EUlSW_E_NS1_11comp_targetILNS1_3genE3ELNS1_11target_archE908ELNS1_3gpuE7ELNS1_3repE0EEENS1_30default_config_static_selectorELNS0_4arch9wavefront6targetE1EEEvT1_,"axG",@progbits,_ZN7rocprim17ROCPRIM_400000_NS6detail17trampoline_kernelINS0_14default_configENS1_27scan_by_key_config_selectorIixEEZZNS1_16scan_by_key_implILNS1_25lookback_scan_determinismE0ELb1ES3_N6thrust23THRUST_200600_302600_NS6detail15normal_iteratorINS9_10device_ptrIiEEEENSB_INSC_IxEEEESG_xNS9_4plusIvEENS9_8equal_toIvEExEE10hipError_tPvRmT2_T3_T4_T5_mT6_T7_P12ihipStream_tbENKUlT_T0_E_clISt17integral_constantIbLb1EES11_EEDaSW_SX_EUlSW_E_NS1_11comp_targetILNS1_3genE3ELNS1_11target_archE908ELNS1_3gpuE7ELNS1_3repE0EEENS1_30default_config_static_selectorELNS0_4arch9wavefront6targetE1EEEvT1_,comdat
	.protected	_ZN7rocprim17ROCPRIM_400000_NS6detail17trampoline_kernelINS0_14default_configENS1_27scan_by_key_config_selectorIixEEZZNS1_16scan_by_key_implILNS1_25lookback_scan_determinismE0ELb1ES3_N6thrust23THRUST_200600_302600_NS6detail15normal_iteratorINS9_10device_ptrIiEEEENSB_INSC_IxEEEESG_xNS9_4plusIvEENS9_8equal_toIvEExEE10hipError_tPvRmT2_T3_T4_T5_mT6_T7_P12ihipStream_tbENKUlT_T0_E_clISt17integral_constantIbLb1EES11_EEDaSW_SX_EUlSW_E_NS1_11comp_targetILNS1_3genE3ELNS1_11target_archE908ELNS1_3gpuE7ELNS1_3repE0EEENS1_30default_config_static_selectorELNS0_4arch9wavefront6targetE1EEEvT1_ ; -- Begin function _ZN7rocprim17ROCPRIM_400000_NS6detail17trampoline_kernelINS0_14default_configENS1_27scan_by_key_config_selectorIixEEZZNS1_16scan_by_key_implILNS1_25lookback_scan_determinismE0ELb1ES3_N6thrust23THRUST_200600_302600_NS6detail15normal_iteratorINS9_10device_ptrIiEEEENSB_INSC_IxEEEESG_xNS9_4plusIvEENS9_8equal_toIvEExEE10hipError_tPvRmT2_T3_T4_T5_mT6_T7_P12ihipStream_tbENKUlT_T0_E_clISt17integral_constantIbLb1EES11_EEDaSW_SX_EUlSW_E_NS1_11comp_targetILNS1_3genE3ELNS1_11target_archE908ELNS1_3gpuE7ELNS1_3repE0EEENS1_30default_config_static_selectorELNS0_4arch9wavefront6targetE1EEEvT1_
	.globl	_ZN7rocprim17ROCPRIM_400000_NS6detail17trampoline_kernelINS0_14default_configENS1_27scan_by_key_config_selectorIixEEZZNS1_16scan_by_key_implILNS1_25lookback_scan_determinismE0ELb1ES3_N6thrust23THRUST_200600_302600_NS6detail15normal_iteratorINS9_10device_ptrIiEEEENSB_INSC_IxEEEESG_xNS9_4plusIvEENS9_8equal_toIvEExEE10hipError_tPvRmT2_T3_T4_T5_mT6_T7_P12ihipStream_tbENKUlT_T0_E_clISt17integral_constantIbLb1EES11_EEDaSW_SX_EUlSW_E_NS1_11comp_targetILNS1_3genE3ELNS1_11target_archE908ELNS1_3gpuE7ELNS1_3repE0EEENS1_30default_config_static_selectorELNS0_4arch9wavefront6targetE1EEEvT1_
	.p2align	8
	.type	_ZN7rocprim17ROCPRIM_400000_NS6detail17trampoline_kernelINS0_14default_configENS1_27scan_by_key_config_selectorIixEEZZNS1_16scan_by_key_implILNS1_25lookback_scan_determinismE0ELb1ES3_N6thrust23THRUST_200600_302600_NS6detail15normal_iteratorINS9_10device_ptrIiEEEENSB_INSC_IxEEEESG_xNS9_4plusIvEENS9_8equal_toIvEExEE10hipError_tPvRmT2_T3_T4_T5_mT6_T7_P12ihipStream_tbENKUlT_T0_E_clISt17integral_constantIbLb1EES11_EEDaSW_SX_EUlSW_E_NS1_11comp_targetILNS1_3genE3ELNS1_11target_archE908ELNS1_3gpuE7ELNS1_3repE0EEENS1_30default_config_static_selectorELNS0_4arch9wavefront6targetE1EEEvT1_,@function
_ZN7rocprim17ROCPRIM_400000_NS6detail17trampoline_kernelINS0_14default_configENS1_27scan_by_key_config_selectorIixEEZZNS1_16scan_by_key_implILNS1_25lookback_scan_determinismE0ELb1ES3_N6thrust23THRUST_200600_302600_NS6detail15normal_iteratorINS9_10device_ptrIiEEEENSB_INSC_IxEEEESG_xNS9_4plusIvEENS9_8equal_toIvEExEE10hipError_tPvRmT2_T3_T4_T5_mT6_T7_P12ihipStream_tbENKUlT_T0_E_clISt17integral_constantIbLb1EES11_EEDaSW_SX_EUlSW_E_NS1_11comp_targetILNS1_3genE3ELNS1_11target_archE908ELNS1_3gpuE7ELNS1_3repE0EEENS1_30default_config_static_selectorELNS0_4arch9wavefront6targetE1EEEvT1_: ; @_ZN7rocprim17ROCPRIM_400000_NS6detail17trampoline_kernelINS0_14default_configENS1_27scan_by_key_config_selectorIixEEZZNS1_16scan_by_key_implILNS1_25lookback_scan_determinismE0ELb1ES3_N6thrust23THRUST_200600_302600_NS6detail15normal_iteratorINS9_10device_ptrIiEEEENSB_INSC_IxEEEESG_xNS9_4plusIvEENS9_8equal_toIvEExEE10hipError_tPvRmT2_T3_T4_T5_mT6_T7_P12ihipStream_tbENKUlT_T0_E_clISt17integral_constantIbLb1EES11_EEDaSW_SX_EUlSW_E_NS1_11comp_targetILNS1_3genE3ELNS1_11target_archE908ELNS1_3gpuE7ELNS1_3repE0EEENS1_30default_config_static_selectorELNS0_4arch9wavefront6targetE1EEEvT1_
; %bb.0:
	.section	.rodata,"a",@progbits
	.p2align	6, 0x0
	.amdhsa_kernel _ZN7rocprim17ROCPRIM_400000_NS6detail17trampoline_kernelINS0_14default_configENS1_27scan_by_key_config_selectorIixEEZZNS1_16scan_by_key_implILNS1_25lookback_scan_determinismE0ELb1ES3_N6thrust23THRUST_200600_302600_NS6detail15normal_iteratorINS9_10device_ptrIiEEEENSB_INSC_IxEEEESG_xNS9_4plusIvEENS9_8equal_toIvEExEE10hipError_tPvRmT2_T3_T4_T5_mT6_T7_P12ihipStream_tbENKUlT_T0_E_clISt17integral_constantIbLb1EES11_EEDaSW_SX_EUlSW_E_NS1_11comp_targetILNS1_3genE3ELNS1_11target_archE908ELNS1_3gpuE7ELNS1_3repE0EEENS1_30default_config_static_selectorELNS0_4arch9wavefront6targetE1EEEvT1_
		.amdhsa_group_segment_fixed_size 0
		.amdhsa_private_segment_fixed_size 0
		.amdhsa_kernarg_size 136
		.amdhsa_user_sgpr_count 2
		.amdhsa_user_sgpr_dispatch_ptr 0
		.amdhsa_user_sgpr_queue_ptr 0
		.amdhsa_user_sgpr_kernarg_segment_ptr 1
		.amdhsa_user_sgpr_dispatch_id 0
		.amdhsa_user_sgpr_kernarg_preload_length 0
		.amdhsa_user_sgpr_kernarg_preload_offset 0
		.amdhsa_user_sgpr_private_segment_size 0
		.amdhsa_uses_dynamic_stack 0
		.amdhsa_enable_private_segment 0
		.amdhsa_system_sgpr_workgroup_id_x 1
		.amdhsa_system_sgpr_workgroup_id_y 0
		.amdhsa_system_sgpr_workgroup_id_z 0
		.amdhsa_system_sgpr_workgroup_info 0
		.amdhsa_system_vgpr_workitem_id 0
		.amdhsa_next_free_vgpr 1
		.amdhsa_next_free_sgpr 0
		.amdhsa_accum_offset 4
		.amdhsa_reserve_vcc 0
		.amdhsa_float_round_mode_32 0
		.amdhsa_float_round_mode_16_64 0
		.amdhsa_float_denorm_mode_32 3
		.amdhsa_float_denorm_mode_16_64 3
		.amdhsa_dx10_clamp 1
		.amdhsa_ieee_mode 1
		.amdhsa_fp16_overflow 0
		.amdhsa_tg_split 0
		.amdhsa_exception_fp_ieee_invalid_op 0
		.amdhsa_exception_fp_denorm_src 0
		.amdhsa_exception_fp_ieee_div_zero 0
		.amdhsa_exception_fp_ieee_overflow 0
		.amdhsa_exception_fp_ieee_underflow 0
		.amdhsa_exception_fp_ieee_inexact 0
		.amdhsa_exception_int_div_zero 0
	.end_amdhsa_kernel
	.section	.text._ZN7rocprim17ROCPRIM_400000_NS6detail17trampoline_kernelINS0_14default_configENS1_27scan_by_key_config_selectorIixEEZZNS1_16scan_by_key_implILNS1_25lookback_scan_determinismE0ELb1ES3_N6thrust23THRUST_200600_302600_NS6detail15normal_iteratorINS9_10device_ptrIiEEEENSB_INSC_IxEEEESG_xNS9_4plusIvEENS9_8equal_toIvEExEE10hipError_tPvRmT2_T3_T4_T5_mT6_T7_P12ihipStream_tbENKUlT_T0_E_clISt17integral_constantIbLb1EES11_EEDaSW_SX_EUlSW_E_NS1_11comp_targetILNS1_3genE3ELNS1_11target_archE908ELNS1_3gpuE7ELNS1_3repE0EEENS1_30default_config_static_selectorELNS0_4arch9wavefront6targetE1EEEvT1_,"axG",@progbits,_ZN7rocprim17ROCPRIM_400000_NS6detail17trampoline_kernelINS0_14default_configENS1_27scan_by_key_config_selectorIixEEZZNS1_16scan_by_key_implILNS1_25lookback_scan_determinismE0ELb1ES3_N6thrust23THRUST_200600_302600_NS6detail15normal_iteratorINS9_10device_ptrIiEEEENSB_INSC_IxEEEESG_xNS9_4plusIvEENS9_8equal_toIvEExEE10hipError_tPvRmT2_T3_T4_T5_mT6_T7_P12ihipStream_tbENKUlT_T0_E_clISt17integral_constantIbLb1EES11_EEDaSW_SX_EUlSW_E_NS1_11comp_targetILNS1_3genE3ELNS1_11target_archE908ELNS1_3gpuE7ELNS1_3repE0EEENS1_30default_config_static_selectorELNS0_4arch9wavefront6targetE1EEEvT1_,comdat
.Lfunc_end1584:
	.size	_ZN7rocprim17ROCPRIM_400000_NS6detail17trampoline_kernelINS0_14default_configENS1_27scan_by_key_config_selectorIixEEZZNS1_16scan_by_key_implILNS1_25lookback_scan_determinismE0ELb1ES3_N6thrust23THRUST_200600_302600_NS6detail15normal_iteratorINS9_10device_ptrIiEEEENSB_INSC_IxEEEESG_xNS9_4plusIvEENS9_8equal_toIvEExEE10hipError_tPvRmT2_T3_T4_T5_mT6_T7_P12ihipStream_tbENKUlT_T0_E_clISt17integral_constantIbLb1EES11_EEDaSW_SX_EUlSW_E_NS1_11comp_targetILNS1_3genE3ELNS1_11target_archE908ELNS1_3gpuE7ELNS1_3repE0EEENS1_30default_config_static_selectorELNS0_4arch9wavefront6targetE1EEEvT1_, .Lfunc_end1584-_ZN7rocprim17ROCPRIM_400000_NS6detail17trampoline_kernelINS0_14default_configENS1_27scan_by_key_config_selectorIixEEZZNS1_16scan_by_key_implILNS1_25lookback_scan_determinismE0ELb1ES3_N6thrust23THRUST_200600_302600_NS6detail15normal_iteratorINS9_10device_ptrIiEEEENSB_INSC_IxEEEESG_xNS9_4plusIvEENS9_8equal_toIvEExEE10hipError_tPvRmT2_T3_T4_T5_mT6_T7_P12ihipStream_tbENKUlT_T0_E_clISt17integral_constantIbLb1EES11_EEDaSW_SX_EUlSW_E_NS1_11comp_targetILNS1_3genE3ELNS1_11target_archE908ELNS1_3gpuE7ELNS1_3repE0EEENS1_30default_config_static_selectorELNS0_4arch9wavefront6targetE1EEEvT1_
                                        ; -- End function
	.section	.AMDGPU.csdata,"",@progbits
; Kernel info:
; codeLenInByte = 0
; NumSgprs: 6
; NumVgprs: 0
; NumAgprs: 0
; TotalNumVgprs: 0
; ScratchSize: 0
; MemoryBound: 0
; FloatMode: 240
; IeeeMode: 1
; LDSByteSize: 0 bytes/workgroup (compile time only)
; SGPRBlocks: 0
; VGPRBlocks: 0
; NumSGPRsForWavesPerEU: 6
; NumVGPRsForWavesPerEU: 1
; AccumOffset: 4
; Occupancy: 8
; WaveLimiterHint : 0
; COMPUTE_PGM_RSRC2:SCRATCH_EN: 0
; COMPUTE_PGM_RSRC2:USER_SGPR: 2
; COMPUTE_PGM_RSRC2:TRAP_HANDLER: 0
; COMPUTE_PGM_RSRC2:TGID_X_EN: 1
; COMPUTE_PGM_RSRC2:TGID_Y_EN: 0
; COMPUTE_PGM_RSRC2:TGID_Z_EN: 0
; COMPUTE_PGM_RSRC2:TIDIG_COMP_CNT: 0
; COMPUTE_PGM_RSRC3_GFX90A:ACCUM_OFFSET: 0
; COMPUTE_PGM_RSRC3_GFX90A:TG_SPLIT: 0
	.section	.text._ZN7rocprim17ROCPRIM_400000_NS6detail17trampoline_kernelINS0_14default_configENS1_27scan_by_key_config_selectorIixEEZZNS1_16scan_by_key_implILNS1_25lookback_scan_determinismE0ELb1ES3_N6thrust23THRUST_200600_302600_NS6detail15normal_iteratorINS9_10device_ptrIiEEEENSB_INSC_IxEEEESG_xNS9_4plusIvEENS9_8equal_toIvEExEE10hipError_tPvRmT2_T3_T4_T5_mT6_T7_P12ihipStream_tbENKUlT_T0_E_clISt17integral_constantIbLb1EES11_EEDaSW_SX_EUlSW_E_NS1_11comp_targetILNS1_3genE2ELNS1_11target_archE906ELNS1_3gpuE6ELNS1_3repE0EEENS1_30default_config_static_selectorELNS0_4arch9wavefront6targetE1EEEvT1_,"axG",@progbits,_ZN7rocprim17ROCPRIM_400000_NS6detail17trampoline_kernelINS0_14default_configENS1_27scan_by_key_config_selectorIixEEZZNS1_16scan_by_key_implILNS1_25lookback_scan_determinismE0ELb1ES3_N6thrust23THRUST_200600_302600_NS6detail15normal_iteratorINS9_10device_ptrIiEEEENSB_INSC_IxEEEESG_xNS9_4plusIvEENS9_8equal_toIvEExEE10hipError_tPvRmT2_T3_T4_T5_mT6_T7_P12ihipStream_tbENKUlT_T0_E_clISt17integral_constantIbLb1EES11_EEDaSW_SX_EUlSW_E_NS1_11comp_targetILNS1_3genE2ELNS1_11target_archE906ELNS1_3gpuE6ELNS1_3repE0EEENS1_30default_config_static_selectorELNS0_4arch9wavefront6targetE1EEEvT1_,comdat
	.protected	_ZN7rocprim17ROCPRIM_400000_NS6detail17trampoline_kernelINS0_14default_configENS1_27scan_by_key_config_selectorIixEEZZNS1_16scan_by_key_implILNS1_25lookback_scan_determinismE0ELb1ES3_N6thrust23THRUST_200600_302600_NS6detail15normal_iteratorINS9_10device_ptrIiEEEENSB_INSC_IxEEEESG_xNS9_4plusIvEENS9_8equal_toIvEExEE10hipError_tPvRmT2_T3_T4_T5_mT6_T7_P12ihipStream_tbENKUlT_T0_E_clISt17integral_constantIbLb1EES11_EEDaSW_SX_EUlSW_E_NS1_11comp_targetILNS1_3genE2ELNS1_11target_archE906ELNS1_3gpuE6ELNS1_3repE0EEENS1_30default_config_static_selectorELNS0_4arch9wavefront6targetE1EEEvT1_ ; -- Begin function _ZN7rocprim17ROCPRIM_400000_NS6detail17trampoline_kernelINS0_14default_configENS1_27scan_by_key_config_selectorIixEEZZNS1_16scan_by_key_implILNS1_25lookback_scan_determinismE0ELb1ES3_N6thrust23THRUST_200600_302600_NS6detail15normal_iteratorINS9_10device_ptrIiEEEENSB_INSC_IxEEEESG_xNS9_4plusIvEENS9_8equal_toIvEExEE10hipError_tPvRmT2_T3_T4_T5_mT6_T7_P12ihipStream_tbENKUlT_T0_E_clISt17integral_constantIbLb1EES11_EEDaSW_SX_EUlSW_E_NS1_11comp_targetILNS1_3genE2ELNS1_11target_archE906ELNS1_3gpuE6ELNS1_3repE0EEENS1_30default_config_static_selectorELNS0_4arch9wavefront6targetE1EEEvT1_
	.globl	_ZN7rocprim17ROCPRIM_400000_NS6detail17trampoline_kernelINS0_14default_configENS1_27scan_by_key_config_selectorIixEEZZNS1_16scan_by_key_implILNS1_25lookback_scan_determinismE0ELb1ES3_N6thrust23THRUST_200600_302600_NS6detail15normal_iteratorINS9_10device_ptrIiEEEENSB_INSC_IxEEEESG_xNS9_4plusIvEENS9_8equal_toIvEExEE10hipError_tPvRmT2_T3_T4_T5_mT6_T7_P12ihipStream_tbENKUlT_T0_E_clISt17integral_constantIbLb1EES11_EEDaSW_SX_EUlSW_E_NS1_11comp_targetILNS1_3genE2ELNS1_11target_archE906ELNS1_3gpuE6ELNS1_3repE0EEENS1_30default_config_static_selectorELNS0_4arch9wavefront6targetE1EEEvT1_
	.p2align	8
	.type	_ZN7rocprim17ROCPRIM_400000_NS6detail17trampoline_kernelINS0_14default_configENS1_27scan_by_key_config_selectorIixEEZZNS1_16scan_by_key_implILNS1_25lookback_scan_determinismE0ELb1ES3_N6thrust23THRUST_200600_302600_NS6detail15normal_iteratorINS9_10device_ptrIiEEEENSB_INSC_IxEEEESG_xNS9_4plusIvEENS9_8equal_toIvEExEE10hipError_tPvRmT2_T3_T4_T5_mT6_T7_P12ihipStream_tbENKUlT_T0_E_clISt17integral_constantIbLb1EES11_EEDaSW_SX_EUlSW_E_NS1_11comp_targetILNS1_3genE2ELNS1_11target_archE906ELNS1_3gpuE6ELNS1_3repE0EEENS1_30default_config_static_selectorELNS0_4arch9wavefront6targetE1EEEvT1_,@function
_ZN7rocprim17ROCPRIM_400000_NS6detail17trampoline_kernelINS0_14default_configENS1_27scan_by_key_config_selectorIixEEZZNS1_16scan_by_key_implILNS1_25lookback_scan_determinismE0ELb1ES3_N6thrust23THRUST_200600_302600_NS6detail15normal_iteratorINS9_10device_ptrIiEEEENSB_INSC_IxEEEESG_xNS9_4plusIvEENS9_8equal_toIvEExEE10hipError_tPvRmT2_T3_T4_T5_mT6_T7_P12ihipStream_tbENKUlT_T0_E_clISt17integral_constantIbLb1EES11_EEDaSW_SX_EUlSW_E_NS1_11comp_targetILNS1_3genE2ELNS1_11target_archE906ELNS1_3gpuE6ELNS1_3repE0EEENS1_30default_config_static_selectorELNS0_4arch9wavefront6targetE1EEEvT1_: ; @_ZN7rocprim17ROCPRIM_400000_NS6detail17trampoline_kernelINS0_14default_configENS1_27scan_by_key_config_selectorIixEEZZNS1_16scan_by_key_implILNS1_25lookback_scan_determinismE0ELb1ES3_N6thrust23THRUST_200600_302600_NS6detail15normal_iteratorINS9_10device_ptrIiEEEENSB_INSC_IxEEEESG_xNS9_4plusIvEENS9_8equal_toIvEExEE10hipError_tPvRmT2_T3_T4_T5_mT6_T7_P12ihipStream_tbENKUlT_T0_E_clISt17integral_constantIbLb1EES11_EEDaSW_SX_EUlSW_E_NS1_11comp_targetILNS1_3genE2ELNS1_11target_archE906ELNS1_3gpuE6ELNS1_3repE0EEENS1_30default_config_static_selectorELNS0_4arch9wavefront6targetE1EEEvT1_
; %bb.0:
	.section	.rodata,"a",@progbits
	.p2align	6, 0x0
	.amdhsa_kernel _ZN7rocprim17ROCPRIM_400000_NS6detail17trampoline_kernelINS0_14default_configENS1_27scan_by_key_config_selectorIixEEZZNS1_16scan_by_key_implILNS1_25lookback_scan_determinismE0ELb1ES3_N6thrust23THRUST_200600_302600_NS6detail15normal_iteratorINS9_10device_ptrIiEEEENSB_INSC_IxEEEESG_xNS9_4plusIvEENS9_8equal_toIvEExEE10hipError_tPvRmT2_T3_T4_T5_mT6_T7_P12ihipStream_tbENKUlT_T0_E_clISt17integral_constantIbLb1EES11_EEDaSW_SX_EUlSW_E_NS1_11comp_targetILNS1_3genE2ELNS1_11target_archE906ELNS1_3gpuE6ELNS1_3repE0EEENS1_30default_config_static_selectorELNS0_4arch9wavefront6targetE1EEEvT1_
		.amdhsa_group_segment_fixed_size 0
		.amdhsa_private_segment_fixed_size 0
		.amdhsa_kernarg_size 136
		.amdhsa_user_sgpr_count 2
		.amdhsa_user_sgpr_dispatch_ptr 0
		.amdhsa_user_sgpr_queue_ptr 0
		.amdhsa_user_sgpr_kernarg_segment_ptr 1
		.amdhsa_user_sgpr_dispatch_id 0
		.amdhsa_user_sgpr_kernarg_preload_length 0
		.amdhsa_user_sgpr_kernarg_preload_offset 0
		.amdhsa_user_sgpr_private_segment_size 0
		.amdhsa_uses_dynamic_stack 0
		.amdhsa_enable_private_segment 0
		.amdhsa_system_sgpr_workgroup_id_x 1
		.amdhsa_system_sgpr_workgroup_id_y 0
		.amdhsa_system_sgpr_workgroup_id_z 0
		.amdhsa_system_sgpr_workgroup_info 0
		.amdhsa_system_vgpr_workitem_id 0
		.amdhsa_next_free_vgpr 1
		.amdhsa_next_free_sgpr 0
		.amdhsa_accum_offset 4
		.amdhsa_reserve_vcc 0
		.amdhsa_float_round_mode_32 0
		.amdhsa_float_round_mode_16_64 0
		.amdhsa_float_denorm_mode_32 3
		.amdhsa_float_denorm_mode_16_64 3
		.amdhsa_dx10_clamp 1
		.amdhsa_ieee_mode 1
		.amdhsa_fp16_overflow 0
		.amdhsa_tg_split 0
		.amdhsa_exception_fp_ieee_invalid_op 0
		.amdhsa_exception_fp_denorm_src 0
		.amdhsa_exception_fp_ieee_div_zero 0
		.amdhsa_exception_fp_ieee_overflow 0
		.amdhsa_exception_fp_ieee_underflow 0
		.amdhsa_exception_fp_ieee_inexact 0
		.amdhsa_exception_int_div_zero 0
	.end_amdhsa_kernel
	.section	.text._ZN7rocprim17ROCPRIM_400000_NS6detail17trampoline_kernelINS0_14default_configENS1_27scan_by_key_config_selectorIixEEZZNS1_16scan_by_key_implILNS1_25lookback_scan_determinismE0ELb1ES3_N6thrust23THRUST_200600_302600_NS6detail15normal_iteratorINS9_10device_ptrIiEEEENSB_INSC_IxEEEESG_xNS9_4plusIvEENS9_8equal_toIvEExEE10hipError_tPvRmT2_T3_T4_T5_mT6_T7_P12ihipStream_tbENKUlT_T0_E_clISt17integral_constantIbLb1EES11_EEDaSW_SX_EUlSW_E_NS1_11comp_targetILNS1_3genE2ELNS1_11target_archE906ELNS1_3gpuE6ELNS1_3repE0EEENS1_30default_config_static_selectorELNS0_4arch9wavefront6targetE1EEEvT1_,"axG",@progbits,_ZN7rocprim17ROCPRIM_400000_NS6detail17trampoline_kernelINS0_14default_configENS1_27scan_by_key_config_selectorIixEEZZNS1_16scan_by_key_implILNS1_25lookback_scan_determinismE0ELb1ES3_N6thrust23THRUST_200600_302600_NS6detail15normal_iteratorINS9_10device_ptrIiEEEENSB_INSC_IxEEEESG_xNS9_4plusIvEENS9_8equal_toIvEExEE10hipError_tPvRmT2_T3_T4_T5_mT6_T7_P12ihipStream_tbENKUlT_T0_E_clISt17integral_constantIbLb1EES11_EEDaSW_SX_EUlSW_E_NS1_11comp_targetILNS1_3genE2ELNS1_11target_archE906ELNS1_3gpuE6ELNS1_3repE0EEENS1_30default_config_static_selectorELNS0_4arch9wavefront6targetE1EEEvT1_,comdat
.Lfunc_end1585:
	.size	_ZN7rocprim17ROCPRIM_400000_NS6detail17trampoline_kernelINS0_14default_configENS1_27scan_by_key_config_selectorIixEEZZNS1_16scan_by_key_implILNS1_25lookback_scan_determinismE0ELb1ES3_N6thrust23THRUST_200600_302600_NS6detail15normal_iteratorINS9_10device_ptrIiEEEENSB_INSC_IxEEEESG_xNS9_4plusIvEENS9_8equal_toIvEExEE10hipError_tPvRmT2_T3_T4_T5_mT6_T7_P12ihipStream_tbENKUlT_T0_E_clISt17integral_constantIbLb1EES11_EEDaSW_SX_EUlSW_E_NS1_11comp_targetILNS1_3genE2ELNS1_11target_archE906ELNS1_3gpuE6ELNS1_3repE0EEENS1_30default_config_static_selectorELNS0_4arch9wavefront6targetE1EEEvT1_, .Lfunc_end1585-_ZN7rocprim17ROCPRIM_400000_NS6detail17trampoline_kernelINS0_14default_configENS1_27scan_by_key_config_selectorIixEEZZNS1_16scan_by_key_implILNS1_25lookback_scan_determinismE0ELb1ES3_N6thrust23THRUST_200600_302600_NS6detail15normal_iteratorINS9_10device_ptrIiEEEENSB_INSC_IxEEEESG_xNS9_4plusIvEENS9_8equal_toIvEExEE10hipError_tPvRmT2_T3_T4_T5_mT6_T7_P12ihipStream_tbENKUlT_T0_E_clISt17integral_constantIbLb1EES11_EEDaSW_SX_EUlSW_E_NS1_11comp_targetILNS1_3genE2ELNS1_11target_archE906ELNS1_3gpuE6ELNS1_3repE0EEENS1_30default_config_static_selectorELNS0_4arch9wavefront6targetE1EEEvT1_
                                        ; -- End function
	.section	.AMDGPU.csdata,"",@progbits
; Kernel info:
; codeLenInByte = 0
; NumSgprs: 6
; NumVgprs: 0
; NumAgprs: 0
; TotalNumVgprs: 0
; ScratchSize: 0
; MemoryBound: 0
; FloatMode: 240
; IeeeMode: 1
; LDSByteSize: 0 bytes/workgroup (compile time only)
; SGPRBlocks: 0
; VGPRBlocks: 0
; NumSGPRsForWavesPerEU: 6
; NumVGPRsForWavesPerEU: 1
; AccumOffset: 4
; Occupancy: 8
; WaveLimiterHint : 0
; COMPUTE_PGM_RSRC2:SCRATCH_EN: 0
; COMPUTE_PGM_RSRC2:USER_SGPR: 2
; COMPUTE_PGM_RSRC2:TRAP_HANDLER: 0
; COMPUTE_PGM_RSRC2:TGID_X_EN: 1
; COMPUTE_PGM_RSRC2:TGID_Y_EN: 0
; COMPUTE_PGM_RSRC2:TGID_Z_EN: 0
; COMPUTE_PGM_RSRC2:TIDIG_COMP_CNT: 0
; COMPUTE_PGM_RSRC3_GFX90A:ACCUM_OFFSET: 0
; COMPUTE_PGM_RSRC3_GFX90A:TG_SPLIT: 0
	.section	.text._ZN7rocprim17ROCPRIM_400000_NS6detail17trampoline_kernelINS0_14default_configENS1_27scan_by_key_config_selectorIixEEZZNS1_16scan_by_key_implILNS1_25lookback_scan_determinismE0ELb1ES3_N6thrust23THRUST_200600_302600_NS6detail15normal_iteratorINS9_10device_ptrIiEEEENSB_INSC_IxEEEESG_xNS9_4plusIvEENS9_8equal_toIvEExEE10hipError_tPvRmT2_T3_T4_T5_mT6_T7_P12ihipStream_tbENKUlT_T0_E_clISt17integral_constantIbLb1EES11_EEDaSW_SX_EUlSW_E_NS1_11comp_targetILNS1_3genE10ELNS1_11target_archE1200ELNS1_3gpuE4ELNS1_3repE0EEENS1_30default_config_static_selectorELNS0_4arch9wavefront6targetE1EEEvT1_,"axG",@progbits,_ZN7rocprim17ROCPRIM_400000_NS6detail17trampoline_kernelINS0_14default_configENS1_27scan_by_key_config_selectorIixEEZZNS1_16scan_by_key_implILNS1_25lookback_scan_determinismE0ELb1ES3_N6thrust23THRUST_200600_302600_NS6detail15normal_iteratorINS9_10device_ptrIiEEEENSB_INSC_IxEEEESG_xNS9_4plusIvEENS9_8equal_toIvEExEE10hipError_tPvRmT2_T3_T4_T5_mT6_T7_P12ihipStream_tbENKUlT_T0_E_clISt17integral_constantIbLb1EES11_EEDaSW_SX_EUlSW_E_NS1_11comp_targetILNS1_3genE10ELNS1_11target_archE1200ELNS1_3gpuE4ELNS1_3repE0EEENS1_30default_config_static_selectorELNS0_4arch9wavefront6targetE1EEEvT1_,comdat
	.protected	_ZN7rocprim17ROCPRIM_400000_NS6detail17trampoline_kernelINS0_14default_configENS1_27scan_by_key_config_selectorIixEEZZNS1_16scan_by_key_implILNS1_25lookback_scan_determinismE0ELb1ES3_N6thrust23THRUST_200600_302600_NS6detail15normal_iteratorINS9_10device_ptrIiEEEENSB_INSC_IxEEEESG_xNS9_4plusIvEENS9_8equal_toIvEExEE10hipError_tPvRmT2_T3_T4_T5_mT6_T7_P12ihipStream_tbENKUlT_T0_E_clISt17integral_constantIbLb1EES11_EEDaSW_SX_EUlSW_E_NS1_11comp_targetILNS1_3genE10ELNS1_11target_archE1200ELNS1_3gpuE4ELNS1_3repE0EEENS1_30default_config_static_selectorELNS0_4arch9wavefront6targetE1EEEvT1_ ; -- Begin function _ZN7rocprim17ROCPRIM_400000_NS6detail17trampoline_kernelINS0_14default_configENS1_27scan_by_key_config_selectorIixEEZZNS1_16scan_by_key_implILNS1_25lookback_scan_determinismE0ELb1ES3_N6thrust23THRUST_200600_302600_NS6detail15normal_iteratorINS9_10device_ptrIiEEEENSB_INSC_IxEEEESG_xNS9_4plusIvEENS9_8equal_toIvEExEE10hipError_tPvRmT2_T3_T4_T5_mT6_T7_P12ihipStream_tbENKUlT_T0_E_clISt17integral_constantIbLb1EES11_EEDaSW_SX_EUlSW_E_NS1_11comp_targetILNS1_3genE10ELNS1_11target_archE1200ELNS1_3gpuE4ELNS1_3repE0EEENS1_30default_config_static_selectorELNS0_4arch9wavefront6targetE1EEEvT1_
	.globl	_ZN7rocprim17ROCPRIM_400000_NS6detail17trampoline_kernelINS0_14default_configENS1_27scan_by_key_config_selectorIixEEZZNS1_16scan_by_key_implILNS1_25lookback_scan_determinismE0ELb1ES3_N6thrust23THRUST_200600_302600_NS6detail15normal_iteratorINS9_10device_ptrIiEEEENSB_INSC_IxEEEESG_xNS9_4plusIvEENS9_8equal_toIvEExEE10hipError_tPvRmT2_T3_T4_T5_mT6_T7_P12ihipStream_tbENKUlT_T0_E_clISt17integral_constantIbLb1EES11_EEDaSW_SX_EUlSW_E_NS1_11comp_targetILNS1_3genE10ELNS1_11target_archE1200ELNS1_3gpuE4ELNS1_3repE0EEENS1_30default_config_static_selectorELNS0_4arch9wavefront6targetE1EEEvT1_
	.p2align	8
	.type	_ZN7rocprim17ROCPRIM_400000_NS6detail17trampoline_kernelINS0_14default_configENS1_27scan_by_key_config_selectorIixEEZZNS1_16scan_by_key_implILNS1_25lookback_scan_determinismE0ELb1ES3_N6thrust23THRUST_200600_302600_NS6detail15normal_iteratorINS9_10device_ptrIiEEEENSB_INSC_IxEEEESG_xNS9_4plusIvEENS9_8equal_toIvEExEE10hipError_tPvRmT2_T3_T4_T5_mT6_T7_P12ihipStream_tbENKUlT_T0_E_clISt17integral_constantIbLb1EES11_EEDaSW_SX_EUlSW_E_NS1_11comp_targetILNS1_3genE10ELNS1_11target_archE1200ELNS1_3gpuE4ELNS1_3repE0EEENS1_30default_config_static_selectorELNS0_4arch9wavefront6targetE1EEEvT1_,@function
_ZN7rocprim17ROCPRIM_400000_NS6detail17trampoline_kernelINS0_14default_configENS1_27scan_by_key_config_selectorIixEEZZNS1_16scan_by_key_implILNS1_25lookback_scan_determinismE0ELb1ES3_N6thrust23THRUST_200600_302600_NS6detail15normal_iteratorINS9_10device_ptrIiEEEENSB_INSC_IxEEEESG_xNS9_4plusIvEENS9_8equal_toIvEExEE10hipError_tPvRmT2_T3_T4_T5_mT6_T7_P12ihipStream_tbENKUlT_T0_E_clISt17integral_constantIbLb1EES11_EEDaSW_SX_EUlSW_E_NS1_11comp_targetILNS1_3genE10ELNS1_11target_archE1200ELNS1_3gpuE4ELNS1_3repE0EEENS1_30default_config_static_selectorELNS0_4arch9wavefront6targetE1EEEvT1_: ; @_ZN7rocprim17ROCPRIM_400000_NS6detail17trampoline_kernelINS0_14default_configENS1_27scan_by_key_config_selectorIixEEZZNS1_16scan_by_key_implILNS1_25lookback_scan_determinismE0ELb1ES3_N6thrust23THRUST_200600_302600_NS6detail15normal_iteratorINS9_10device_ptrIiEEEENSB_INSC_IxEEEESG_xNS9_4plusIvEENS9_8equal_toIvEExEE10hipError_tPvRmT2_T3_T4_T5_mT6_T7_P12ihipStream_tbENKUlT_T0_E_clISt17integral_constantIbLb1EES11_EEDaSW_SX_EUlSW_E_NS1_11comp_targetILNS1_3genE10ELNS1_11target_archE1200ELNS1_3gpuE4ELNS1_3repE0EEENS1_30default_config_static_selectorELNS0_4arch9wavefront6targetE1EEEvT1_
; %bb.0:
	.section	.rodata,"a",@progbits
	.p2align	6, 0x0
	.amdhsa_kernel _ZN7rocprim17ROCPRIM_400000_NS6detail17trampoline_kernelINS0_14default_configENS1_27scan_by_key_config_selectorIixEEZZNS1_16scan_by_key_implILNS1_25lookback_scan_determinismE0ELb1ES3_N6thrust23THRUST_200600_302600_NS6detail15normal_iteratorINS9_10device_ptrIiEEEENSB_INSC_IxEEEESG_xNS9_4plusIvEENS9_8equal_toIvEExEE10hipError_tPvRmT2_T3_T4_T5_mT6_T7_P12ihipStream_tbENKUlT_T0_E_clISt17integral_constantIbLb1EES11_EEDaSW_SX_EUlSW_E_NS1_11comp_targetILNS1_3genE10ELNS1_11target_archE1200ELNS1_3gpuE4ELNS1_3repE0EEENS1_30default_config_static_selectorELNS0_4arch9wavefront6targetE1EEEvT1_
		.amdhsa_group_segment_fixed_size 0
		.amdhsa_private_segment_fixed_size 0
		.amdhsa_kernarg_size 136
		.amdhsa_user_sgpr_count 2
		.amdhsa_user_sgpr_dispatch_ptr 0
		.amdhsa_user_sgpr_queue_ptr 0
		.amdhsa_user_sgpr_kernarg_segment_ptr 1
		.amdhsa_user_sgpr_dispatch_id 0
		.amdhsa_user_sgpr_kernarg_preload_length 0
		.amdhsa_user_sgpr_kernarg_preload_offset 0
		.amdhsa_user_sgpr_private_segment_size 0
		.amdhsa_uses_dynamic_stack 0
		.amdhsa_enable_private_segment 0
		.amdhsa_system_sgpr_workgroup_id_x 1
		.amdhsa_system_sgpr_workgroup_id_y 0
		.amdhsa_system_sgpr_workgroup_id_z 0
		.amdhsa_system_sgpr_workgroup_info 0
		.amdhsa_system_vgpr_workitem_id 0
		.amdhsa_next_free_vgpr 1
		.amdhsa_next_free_sgpr 0
		.amdhsa_accum_offset 4
		.amdhsa_reserve_vcc 0
		.amdhsa_float_round_mode_32 0
		.amdhsa_float_round_mode_16_64 0
		.amdhsa_float_denorm_mode_32 3
		.amdhsa_float_denorm_mode_16_64 3
		.amdhsa_dx10_clamp 1
		.amdhsa_ieee_mode 1
		.amdhsa_fp16_overflow 0
		.amdhsa_tg_split 0
		.amdhsa_exception_fp_ieee_invalid_op 0
		.amdhsa_exception_fp_denorm_src 0
		.amdhsa_exception_fp_ieee_div_zero 0
		.amdhsa_exception_fp_ieee_overflow 0
		.amdhsa_exception_fp_ieee_underflow 0
		.amdhsa_exception_fp_ieee_inexact 0
		.amdhsa_exception_int_div_zero 0
	.end_amdhsa_kernel
	.section	.text._ZN7rocprim17ROCPRIM_400000_NS6detail17trampoline_kernelINS0_14default_configENS1_27scan_by_key_config_selectorIixEEZZNS1_16scan_by_key_implILNS1_25lookback_scan_determinismE0ELb1ES3_N6thrust23THRUST_200600_302600_NS6detail15normal_iteratorINS9_10device_ptrIiEEEENSB_INSC_IxEEEESG_xNS9_4plusIvEENS9_8equal_toIvEExEE10hipError_tPvRmT2_T3_T4_T5_mT6_T7_P12ihipStream_tbENKUlT_T0_E_clISt17integral_constantIbLb1EES11_EEDaSW_SX_EUlSW_E_NS1_11comp_targetILNS1_3genE10ELNS1_11target_archE1200ELNS1_3gpuE4ELNS1_3repE0EEENS1_30default_config_static_selectorELNS0_4arch9wavefront6targetE1EEEvT1_,"axG",@progbits,_ZN7rocprim17ROCPRIM_400000_NS6detail17trampoline_kernelINS0_14default_configENS1_27scan_by_key_config_selectorIixEEZZNS1_16scan_by_key_implILNS1_25lookback_scan_determinismE0ELb1ES3_N6thrust23THRUST_200600_302600_NS6detail15normal_iteratorINS9_10device_ptrIiEEEENSB_INSC_IxEEEESG_xNS9_4plusIvEENS9_8equal_toIvEExEE10hipError_tPvRmT2_T3_T4_T5_mT6_T7_P12ihipStream_tbENKUlT_T0_E_clISt17integral_constantIbLb1EES11_EEDaSW_SX_EUlSW_E_NS1_11comp_targetILNS1_3genE10ELNS1_11target_archE1200ELNS1_3gpuE4ELNS1_3repE0EEENS1_30default_config_static_selectorELNS0_4arch9wavefront6targetE1EEEvT1_,comdat
.Lfunc_end1586:
	.size	_ZN7rocprim17ROCPRIM_400000_NS6detail17trampoline_kernelINS0_14default_configENS1_27scan_by_key_config_selectorIixEEZZNS1_16scan_by_key_implILNS1_25lookback_scan_determinismE0ELb1ES3_N6thrust23THRUST_200600_302600_NS6detail15normal_iteratorINS9_10device_ptrIiEEEENSB_INSC_IxEEEESG_xNS9_4plusIvEENS9_8equal_toIvEExEE10hipError_tPvRmT2_T3_T4_T5_mT6_T7_P12ihipStream_tbENKUlT_T0_E_clISt17integral_constantIbLb1EES11_EEDaSW_SX_EUlSW_E_NS1_11comp_targetILNS1_3genE10ELNS1_11target_archE1200ELNS1_3gpuE4ELNS1_3repE0EEENS1_30default_config_static_selectorELNS0_4arch9wavefront6targetE1EEEvT1_, .Lfunc_end1586-_ZN7rocprim17ROCPRIM_400000_NS6detail17trampoline_kernelINS0_14default_configENS1_27scan_by_key_config_selectorIixEEZZNS1_16scan_by_key_implILNS1_25lookback_scan_determinismE0ELb1ES3_N6thrust23THRUST_200600_302600_NS6detail15normal_iteratorINS9_10device_ptrIiEEEENSB_INSC_IxEEEESG_xNS9_4plusIvEENS9_8equal_toIvEExEE10hipError_tPvRmT2_T3_T4_T5_mT6_T7_P12ihipStream_tbENKUlT_T0_E_clISt17integral_constantIbLb1EES11_EEDaSW_SX_EUlSW_E_NS1_11comp_targetILNS1_3genE10ELNS1_11target_archE1200ELNS1_3gpuE4ELNS1_3repE0EEENS1_30default_config_static_selectorELNS0_4arch9wavefront6targetE1EEEvT1_
                                        ; -- End function
	.section	.AMDGPU.csdata,"",@progbits
; Kernel info:
; codeLenInByte = 0
; NumSgprs: 6
; NumVgprs: 0
; NumAgprs: 0
; TotalNumVgprs: 0
; ScratchSize: 0
; MemoryBound: 0
; FloatMode: 240
; IeeeMode: 1
; LDSByteSize: 0 bytes/workgroup (compile time only)
; SGPRBlocks: 0
; VGPRBlocks: 0
; NumSGPRsForWavesPerEU: 6
; NumVGPRsForWavesPerEU: 1
; AccumOffset: 4
; Occupancy: 8
; WaveLimiterHint : 0
; COMPUTE_PGM_RSRC2:SCRATCH_EN: 0
; COMPUTE_PGM_RSRC2:USER_SGPR: 2
; COMPUTE_PGM_RSRC2:TRAP_HANDLER: 0
; COMPUTE_PGM_RSRC2:TGID_X_EN: 1
; COMPUTE_PGM_RSRC2:TGID_Y_EN: 0
; COMPUTE_PGM_RSRC2:TGID_Z_EN: 0
; COMPUTE_PGM_RSRC2:TIDIG_COMP_CNT: 0
; COMPUTE_PGM_RSRC3_GFX90A:ACCUM_OFFSET: 0
; COMPUTE_PGM_RSRC3_GFX90A:TG_SPLIT: 0
	.section	.text._ZN7rocprim17ROCPRIM_400000_NS6detail17trampoline_kernelINS0_14default_configENS1_27scan_by_key_config_selectorIixEEZZNS1_16scan_by_key_implILNS1_25lookback_scan_determinismE0ELb1ES3_N6thrust23THRUST_200600_302600_NS6detail15normal_iteratorINS9_10device_ptrIiEEEENSB_INSC_IxEEEESG_xNS9_4plusIvEENS9_8equal_toIvEExEE10hipError_tPvRmT2_T3_T4_T5_mT6_T7_P12ihipStream_tbENKUlT_T0_E_clISt17integral_constantIbLb1EES11_EEDaSW_SX_EUlSW_E_NS1_11comp_targetILNS1_3genE9ELNS1_11target_archE1100ELNS1_3gpuE3ELNS1_3repE0EEENS1_30default_config_static_selectorELNS0_4arch9wavefront6targetE1EEEvT1_,"axG",@progbits,_ZN7rocprim17ROCPRIM_400000_NS6detail17trampoline_kernelINS0_14default_configENS1_27scan_by_key_config_selectorIixEEZZNS1_16scan_by_key_implILNS1_25lookback_scan_determinismE0ELb1ES3_N6thrust23THRUST_200600_302600_NS6detail15normal_iteratorINS9_10device_ptrIiEEEENSB_INSC_IxEEEESG_xNS9_4plusIvEENS9_8equal_toIvEExEE10hipError_tPvRmT2_T3_T4_T5_mT6_T7_P12ihipStream_tbENKUlT_T0_E_clISt17integral_constantIbLb1EES11_EEDaSW_SX_EUlSW_E_NS1_11comp_targetILNS1_3genE9ELNS1_11target_archE1100ELNS1_3gpuE3ELNS1_3repE0EEENS1_30default_config_static_selectorELNS0_4arch9wavefront6targetE1EEEvT1_,comdat
	.protected	_ZN7rocprim17ROCPRIM_400000_NS6detail17trampoline_kernelINS0_14default_configENS1_27scan_by_key_config_selectorIixEEZZNS1_16scan_by_key_implILNS1_25lookback_scan_determinismE0ELb1ES3_N6thrust23THRUST_200600_302600_NS6detail15normal_iteratorINS9_10device_ptrIiEEEENSB_INSC_IxEEEESG_xNS9_4plusIvEENS9_8equal_toIvEExEE10hipError_tPvRmT2_T3_T4_T5_mT6_T7_P12ihipStream_tbENKUlT_T0_E_clISt17integral_constantIbLb1EES11_EEDaSW_SX_EUlSW_E_NS1_11comp_targetILNS1_3genE9ELNS1_11target_archE1100ELNS1_3gpuE3ELNS1_3repE0EEENS1_30default_config_static_selectorELNS0_4arch9wavefront6targetE1EEEvT1_ ; -- Begin function _ZN7rocprim17ROCPRIM_400000_NS6detail17trampoline_kernelINS0_14default_configENS1_27scan_by_key_config_selectorIixEEZZNS1_16scan_by_key_implILNS1_25lookback_scan_determinismE0ELb1ES3_N6thrust23THRUST_200600_302600_NS6detail15normal_iteratorINS9_10device_ptrIiEEEENSB_INSC_IxEEEESG_xNS9_4plusIvEENS9_8equal_toIvEExEE10hipError_tPvRmT2_T3_T4_T5_mT6_T7_P12ihipStream_tbENKUlT_T0_E_clISt17integral_constantIbLb1EES11_EEDaSW_SX_EUlSW_E_NS1_11comp_targetILNS1_3genE9ELNS1_11target_archE1100ELNS1_3gpuE3ELNS1_3repE0EEENS1_30default_config_static_selectorELNS0_4arch9wavefront6targetE1EEEvT1_
	.globl	_ZN7rocprim17ROCPRIM_400000_NS6detail17trampoline_kernelINS0_14default_configENS1_27scan_by_key_config_selectorIixEEZZNS1_16scan_by_key_implILNS1_25lookback_scan_determinismE0ELb1ES3_N6thrust23THRUST_200600_302600_NS6detail15normal_iteratorINS9_10device_ptrIiEEEENSB_INSC_IxEEEESG_xNS9_4plusIvEENS9_8equal_toIvEExEE10hipError_tPvRmT2_T3_T4_T5_mT6_T7_P12ihipStream_tbENKUlT_T0_E_clISt17integral_constantIbLb1EES11_EEDaSW_SX_EUlSW_E_NS1_11comp_targetILNS1_3genE9ELNS1_11target_archE1100ELNS1_3gpuE3ELNS1_3repE0EEENS1_30default_config_static_selectorELNS0_4arch9wavefront6targetE1EEEvT1_
	.p2align	8
	.type	_ZN7rocprim17ROCPRIM_400000_NS6detail17trampoline_kernelINS0_14default_configENS1_27scan_by_key_config_selectorIixEEZZNS1_16scan_by_key_implILNS1_25lookback_scan_determinismE0ELb1ES3_N6thrust23THRUST_200600_302600_NS6detail15normal_iteratorINS9_10device_ptrIiEEEENSB_INSC_IxEEEESG_xNS9_4plusIvEENS9_8equal_toIvEExEE10hipError_tPvRmT2_T3_T4_T5_mT6_T7_P12ihipStream_tbENKUlT_T0_E_clISt17integral_constantIbLb1EES11_EEDaSW_SX_EUlSW_E_NS1_11comp_targetILNS1_3genE9ELNS1_11target_archE1100ELNS1_3gpuE3ELNS1_3repE0EEENS1_30default_config_static_selectorELNS0_4arch9wavefront6targetE1EEEvT1_,@function
_ZN7rocprim17ROCPRIM_400000_NS6detail17trampoline_kernelINS0_14default_configENS1_27scan_by_key_config_selectorIixEEZZNS1_16scan_by_key_implILNS1_25lookback_scan_determinismE0ELb1ES3_N6thrust23THRUST_200600_302600_NS6detail15normal_iteratorINS9_10device_ptrIiEEEENSB_INSC_IxEEEESG_xNS9_4plusIvEENS9_8equal_toIvEExEE10hipError_tPvRmT2_T3_T4_T5_mT6_T7_P12ihipStream_tbENKUlT_T0_E_clISt17integral_constantIbLb1EES11_EEDaSW_SX_EUlSW_E_NS1_11comp_targetILNS1_3genE9ELNS1_11target_archE1100ELNS1_3gpuE3ELNS1_3repE0EEENS1_30default_config_static_selectorELNS0_4arch9wavefront6targetE1EEEvT1_: ; @_ZN7rocprim17ROCPRIM_400000_NS6detail17trampoline_kernelINS0_14default_configENS1_27scan_by_key_config_selectorIixEEZZNS1_16scan_by_key_implILNS1_25lookback_scan_determinismE0ELb1ES3_N6thrust23THRUST_200600_302600_NS6detail15normal_iteratorINS9_10device_ptrIiEEEENSB_INSC_IxEEEESG_xNS9_4plusIvEENS9_8equal_toIvEExEE10hipError_tPvRmT2_T3_T4_T5_mT6_T7_P12ihipStream_tbENKUlT_T0_E_clISt17integral_constantIbLb1EES11_EEDaSW_SX_EUlSW_E_NS1_11comp_targetILNS1_3genE9ELNS1_11target_archE1100ELNS1_3gpuE3ELNS1_3repE0EEENS1_30default_config_static_selectorELNS0_4arch9wavefront6targetE1EEEvT1_
; %bb.0:
	.section	.rodata,"a",@progbits
	.p2align	6, 0x0
	.amdhsa_kernel _ZN7rocprim17ROCPRIM_400000_NS6detail17trampoline_kernelINS0_14default_configENS1_27scan_by_key_config_selectorIixEEZZNS1_16scan_by_key_implILNS1_25lookback_scan_determinismE0ELb1ES3_N6thrust23THRUST_200600_302600_NS6detail15normal_iteratorINS9_10device_ptrIiEEEENSB_INSC_IxEEEESG_xNS9_4plusIvEENS9_8equal_toIvEExEE10hipError_tPvRmT2_T3_T4_T5_mT6_T7_P12ihipStream_tbENKUlT_T0_E_clISt17integral_constantIbLb1EES11_EEDaSW_SX_EUlSW_E_NS1_11comp_targetILNS1_3genE9ELNS1_11target_archE1100ELNS1_3gpuE3ELNS1_3repE0EEENS1_30default_config_static_selectorELNS0_4arch9wavefront6targetE1EEEvT1_
		.amdhsa_group_segment_fixed_size 0
		.amdhsa_private_segment_fixed_size 0
		.amdhsa_kernarg_size 136
		.amdhsa_user_sgpr_count 2
		.amdhsa_user_sgpr_dispatch_ptr 0
		.amdhsa_user_sgpr_queue_ptr 0
		.amdhsa_user_sgpr_kernarg_segment_ptr 1
		.amdhsa_user_sgpr_dispatch_id 0
		.amdhsa_user_sgpr_kernarg_preload_length 0
		.amdhsa_user_sgpr_kernarg_preload_offset 0
		.amdhsa_user_sgpr_private_segment_size 0
		.amdhsa_uses_dynamic_stack 0
		.amdhsa_enable_private_segment 0
		.amdhsa_system_sgpr_workgroup_id_x 1
		.amdhsa_system_sgpr_workgroup_id_y 0
		.amdhsa_system_sgpr_workgroup_id_z 0
		.amdhsa_system_sgpr_workgroup_info 0
		.amdhsa_system_vgpr_workitem_id 0
		.amdhsa_next_free_vgpr 1
		.amdhsa_next_free_sgpr 0
		.amdhsa_accum_offset 4
		.amdhsa_reserve_vcc 0
		.amdhsa_float_round_mode_32 0
		.amdhsa_float_round_mode_16_64 0
		.amdhsa_float_denorm_mode_32 3
		.amdhsa_float_denorm_mode_16_64 3
		.amdhsa_dx10_clamp 1
		.amdhsa_ieee_mode 1
		.amdhsa_fp16_overflow 0
		.amdhsa_tg_split 0
		.amdhsa_exception_fp_ieee_invalid_op 0
		.amdhsa_exception_fp_denorm_src 0
		.amdhsa_exception_fp_ieee_div_zero 0
		.amdhsa_exception_fp_ieee_overflow 0
		.amdhsa_exception_fp_ieee_underflow 0
		.amdhsa_exception_fp_ieee_inexact 0
		.amdhsa_exception_int_div_zero 0
	.end_amdhsa_kernel
	.section	.text._ZN7rocprim17ROCPRIM_400000_NS6detail17trampoline_kernelINS0_14default_configENS1_27scan_by_key_config_selectorIixEEZZNS1_16scan_by_key_implILNS1_25lookback_scan_determinismE0ELb1ES3_N6thrust23THRUST_200600_302600_NS6detail15normal_iteratorINS9_10device_ptrIiEEEENSB_INSC_IxEEEESG_xNS9_4plusIvEENS9_8equal_toIvEExEE10hipError_tPvRmT2_T3_T4_T5_mT6_T7_P12ihipStream_tbENKUlT_T0_E_clISt17integral_constantIbLb1EES11_EEDaSW_SX_EUlSW_E_NS1_11comp_targetILNS1_3genE9ELNS1_11target_archE1100ELNS1_3gpuE3ELNS1_3repE0EEENS1_30default_config_static_selectorELNS0_4arch9wavefront6targetE1EEEvT1_,"axG",@progbits,_ZN7rocprim17ROCPRIM_400000_NS6detail17trampoline_kernelINS0_14default_configENS1_27scan_by_key_config_selectorIixEEZZNS1_16scan_by_key_implILNS1_25lookback_scan_determinismE0ELb1ES3_N6thrust23THRUST_200600_302600_NS6detail15normal_iteratorINS9_10device_ptrIiEEEENSB_INSC_IxEEEESG_xNS9_4plusIvEENS9_8equal_toIvEExEE10hipError_tPvRmT2_T3_T4_T5_mT6_T7_P12ihipStream_tbENKUlT_T0_E_clISt17integral_constantIbLb1EES11_EEDaSW_SX_EUlSW_E_NS1_11comp_targetILNS1_3genE9ELNS1_11target_archE1100ELNS1_3gpuE3ELNS1_3repE0EEENS1_30default_config_static_selectorELNS0_4arch9wavefront6targetE1EEEvT1_,comdat
.Lfunc_end1587:
	.size	_ZN7rocprim17ROCPRIM_400000_NS6detail17trampoline_kernelINS0_14default_configENS1_27scan_by_key_config_selectorIixEEZZNS1_16scan_by_key_implILNS1_25lookback_scan_determinismE0ELb1ES3_N6thrust23THRUST_200600_302600_NS6detail15normal_iteratorINS9_10device_ptrIiEEEENSB_INSC_IxEEEESG_xNS9_4plusIvEENS9_8equal_toIvEExEE10hipError_tPvRmT2_T3_T4_T5_mT6_T7_P12ihipStream_tbENKUlT_T0_E_clISt17integral_constantIbLb1EES11_EEDaSW_SX_EUlSW_E_NS1_11comp_targetILNS1_3genE9ELNS1_11target_archE1100ELNS1_3gpuE3ELNS1_3repE0EEENS1_30default_config_static_selectorELNS0_4arch9wavefront6targetE1EEEvT1_, .Lfunc_end1587-_ZN7rocprim17ROCPRIM_400000_NS6detail17trampoline_kernelINS0_14default_configENS1_27scan_by_key_config_selectorIixEEZZNS1_16scan_by_key_implILNS1_25lookback_scan_determinismE0ELb1ES3_N6thrust23THRUST_200600_302600_NS6detail15normal_iteratorINS9_10device_ptrIiEEEENSB_INSC_IxEEEESG_xNS9_4plusIvEENS9_8equal_toIvEExEE10hipError_tPvRmT2_T3_T4_T5_mT6_T7_P12ihipStream_tbENKUlT_T0_E_clISt17integral_constantIbLb1EES11_EEDaSW_SX_EUlSW_E_NS1_11comp_targetILNS1_3genE9ELNS1_11target_archE1100ELNS1_3gpuE3ELNS1_3repE0EEENS1_30default_config_static_selectorELNS0_4arch9wavefront6targetE1EEEvT1_
                                        ; -- End function
	.section	.AMDGPU.csdata,"",@progbits
; Kernel info:
; codeLenInByte = 0
; NumSgprs: 6
; NumVgprs: 0
; NumAgprs: 0
; TotalNumVgprs: 0
; ScratchSize: 0
; MemoryBound: 0
; FloatMode: 240
; IeeeMode: 1
; LDSByteSize: 0 bytes/workgroup (compile time only)
; SGPRBlocks: 0
; VGPRBlocks: 0
; NumSGPRsForWavesPerEU: 6
; NumVGPRsForWavesPerEU: 1
; AccumOffset: 4
; Occupancy: 8
; WaveLimiterHint : 0
; COMPUTE_PGM_RSRC2:SCRATCH_EN: 0
; COMPUTE_PGM_RSRC2:USER_SGPR: 2
; COMPUTE_PGM_RSRC2:TRAP_HANDLER: 0
; COMPUTE_PGM_RSRC2:TGID_X_EN: 1
; COMPUTE_PGM_RSRC2:TGID_Y_EN: 0
; COMPUTE_PGM_RSRC2:TGID_Z_EN: 0
; COMPUTE_PGM_RSRC2:TIDIG_COMP_CNT: 0
; COMPUTE_PGM_RSRC3_GFX90A:ACCUM_OFFSET: 0
; COMPUTE_PGM_RSRC3_GFX90A:TG_SPLIT: 0
	.section	.text._ZN7rocprim17ROCPRIM_400000_NS6detail17trampoline_kernelINS0_14default_configENS1_27scan_by_key_config_selectorIixEEZZNS1_16scan_by_key_implILNS1_25lookback_scan_determinismE0ELb1ES3_N6thrust23THRUST_200600_302600_NS6detail15normal_iteratorINS9_10device_ptrIiEEEENSB_INSC_IxEEEESG_xNS9_4plusIvEENS9_8equal_toIvEExEE10hipError_tPvRmT2_T3_T4_T5_mT6_T7_P12ihipStream_tbENKUlT_T0_E_clISt17integral_constantIbLb1EES11_EEDaSW_SX_EUlSW_E_NS1_11comp_targetILNS1_3genE8ELNS1_11target_archE1030ELNS1_3gpuE2ELNS1_3repE0EEENS1_30default_config_static_selectorELNS0_4arch9wavefront6targetE1EEEvT1_,"axG",@progbits,_ZN7rocprim17ROCPRIM_400000_NS6detail17trampoline_kernelINS0_14default_configENS1_27scan_by_key_config_selectorIixEEZZNS1_16scan_by_key_implILNS1_25lookback_scan_determinismE0ELb1ES3_N6thrust23THRUST_200600_302600_NS6detail15normal_iteratorINS9_10device_ptrIiEEEENSB_INSC_IxEEEESG_xNS9_4plusIvEENS9_8equal_toIvEExEE10hipError_tPvRmT2_T3_T4_T5_mT6_T7_P12ihipStream_tbENKUlT_T0_E_clISt17integral_constantIbLb1EES11_EEDaSW_SX_EUlSW_E_NS1_11comp_targetILNS1_3genE8ELNS1_11target_archE1030ELNS1_3gpuE2ELNS1_3repE0EEENS1_30default_config_static_selectorELNS0_4arch9wavefront6targetE1EEEvT1_,comdat
	.protected	_ZN7rocprim17ROCPRIM_400000_NS6detail17trampoline_kernelINS0_14default_configENS1_27scan_by_key_config_selectorIixEEZZNS1_16scan_by_key_implILNS1_25lookback_scan_determinismE0ELb1ES3_N6thrust23THRUST_200600_302600_NS6detail15normal_iteratorINS9_10device_ptrIiEEEENSB_INSC_IxEEEESG_xNS9_4plusIvEENS9_8equal_toIvEExEE10hipError_tPvRmT2_T3_T4_T5_mT6_T7_P12ihipStream_tbENKUlT_T0_E_clISt17integral_constantIbLb1EES11_EEDaSW_SX_EUlSW_E_NS1_11comp_targetILNS1_3genE8ELNS1_11target_archE1030ELNS1_3gpuE2ELNS1_3repE0EEENS1_30default_config_static_selectorELNS0_4arch9wavefront6targetE1EEEvT1_ ; -- Begin function _ZN7rocprim17ROCPRIM_400000_NS6detail17trampoline_kernelINS0_14default_configENS1_27scan_by_key_config_selectorIixEEZZNS1_16scan_by_key_implILNS1_25lookback_scan_determinismE0ELb1ES3_N6thrust23THRUST_200600_302600_NS6detail15normal_iteratorINS9_10device_ptrIiEEEENSB_INSC_IxEEEESG_xNS9_4plusIvEENS9_8equal_toIvEExEE10hipError_tPvRmT2_T3_T4_T5_mT6_T7_P12ihipStream_tbENKUlT_T0_E_clISt17integral_constantIbLb1EES11_EEDaSW_SX_EUlSW_E_NS1_11comp_targetILNS1_3genE8ELNS1_11target_archE1030ELNS1_3gpuE2ELNS1_3repE0EEENS1_30default_config_static_selectorELNS0_4arch9wavefront6targetE1EEEvT1_
	.globl	_ZN7rocprim17ROCPRIM_400000_NS6detail17trampoline_kernelINS0_14default_configENS1_27scan_by_key_config_selectorIixEEZZNS1_16scan_by_key_implILNS1_25lookback_scan_determinismE0ELb1ES3_N6thrust23THRUST_200600_302600_NS6detail15normal_iteratorINS9_10device_ptrIiEEEENSB_INSC_IxEEEESG_xNS9_4plusIvEENS9_8equal_toIvEExEE10hipError_tPvRmT2_T3_T4_T5_mT6_T7_P12ihipStream_tbENKUlT_T0_E_clISt17integral_constantIbLb1EES11_EEDaSW_SX_EUlSW_E_NS1_11comp_targetILNS1_3genE8ELNS1_11target_archE1030ELNS1_3gpuE2ELNS1_3repE0EEENS1_30default_config_static_selectorELNS0_4arch9wavefront6targetE1EEEvT1_
	.p2align	8
	.type	_ZN7rocprim17ROCPRIM_400000_NS6detail17trampoline_kernelINS0_14default_configENS1_27scan_by_key_config_selectorIixEEZZNS1_16scan_by_key_implILNS1_25lookback_scan_determinismE0ELb1ES3_N6thrust23THRUST_200600_302600_NS6detail15normal_iteratorINS9_10device_ptrIiEEEENSB_INSC_IxEEEESG_xNS9_4plusIvEENS9_8equal_toIvEExEE10hipError_tPvRmT2_T3_T4_T5_mT6_T7_P12ihipStream_tbENKUlT_T0_E_clISt17integral_constantIbLb1EES11_EEDaSW_SX_EUlSW_E_NS1_11comp_targetILNS1_3genE8ELNS1_11target_archE1030ELNS1_3gpuE2ELNS1_3repE0EEENS1_30default_config_static_selectorELNS0_4arch9wavefront6targetE1EEEvT1_,@function
_ZN7rocprim17ROCPRIM_400000_NS6detail17trampoline_kernelINS0_14default_configENS1_27scan_by_key_config_selectorIixEEZZNS1_16scan_by_key_implILNS1_25lookback_scan_determinismE0ELb1ES3_N6thrust23THRUST_200600_302600_NS6detail15normal_iteratorINS9_10device_ptrIiEEEENSB_INSC_IxEEEESG_xNS9_4plusIvEENS9_8equal_toIvEExEE10hipError_tPvRmT2_T3_T4_T5_mT6_T7_P12ihipStream_tbENKUlT_T0_E_clISt17integral_constantIbLb1EES11_EEDaSW_SX_EUlSW_E_NS1_11comp_targetILNS1_3genE8ELNS1_11target_archE1030ELNS1_3gpuE2ELNS1_3repE0EEENS1_30default_config_static_selectorELNS0_4arch9wavefront6targetE1EEEvT1_: ; @_ZN7rocprim17ROCPRIM_400000_NS6detail17trampoline_kernelINS0_14default_configENS1_27scan_by_key_config_selectorIixEEZZNS1_16scan_by_key_implILNS1_25lookback_scan_determinismE0ELb1ES3_N6thrust23THRUST_200600_302600_NS6detail15normal_iteratorINS9_10device_ptrIiEEEENSB_INSC_IxEEEESG_xNS9_4plusIvEENS9_8equal_toIvEExEE10hipError_tPvRmT2_T3_T4_T5_mT6_T7_P12ihipStream_tbENKUlT_T0_E_clISt17integral_constantIbLb1EES11_EEDaSW_SX_EUlSW_E_NS1_11comp_targetILNS1_3genE8ELNS1_11target_archE1030ELNS1_3gpuE2ELNS1_3repE0EEENS1_30default_config_static_selectorELNS0_4arch9wavefront6targetE1EEEvT1_
; %bb.0:
	.section	.rodata,"a",@progbits
	.p2align	6, 0x0
	.amdhsa_kernel _ZN7rocprim17ROCPRIM_400000_NS6detail17trampoline_kernelINS0_14default_configENS1_27scan_by_key_config_selectorIixEEZZNS1_16scan_by_key_implILNS1_25lookback_scan_determinismE0ELb1ES3_N6thrust23THRUST_200600_302600_NS6detail15normal_iteratorINS9_10device_ptrIiEEEENSB_INSC_IxEEEESG_xNS9_4plusIvEENS9_8equal_toIvEExEE10hipError_tPvRmT2_T3_T4_T5_mT6_T7_P12ihipStream_tbENKUlT_T0_E_clISt17integral_constantIbLb1EES11_EEDaSW_SX_EUlSW_E_NS1_11comp_targetILNS1_3genE8ELNS1_11target_archE1030ELNS1_3gpuE2ELNS1_3repE0EEENS1_30default_config_static_selectorELNS0_4arch9wavefront6targetE1EEEvT1_
		.amdhsa_group_segment_fixed_size 0
		.amdhsa_private_segment_fixed_size 0
		.amdhsa_kernarg_size 136
		.amdhsa_user_sgpr_count 2
		.amdhsa_user_sgpr_dispatch_ptr 0
		.amdhsa_user_sgpr_queue_ptr 0
		.amdhsa_user_sgpr_kernarg_segment_ptr 1
		.amdhsa_user_sgpr_dispatch_id 0
		.amdhsa_user_sgpr_kernarg_preload_length 0
		.amdhsa_user_sgpr_kernarg_preload_offset 0
		.amdhsa_user_sgpr_private_segment_size 0
		.amdhsa_uses_dynamic_stack 0
		.amdhsa_enable_private_segment 0
		.amdhsa_system_sgpr_workgroup_id_x 1
		.amdhsa_system_sgpr_workgroup_id_y 0
		.amdhsa_system_sgpr_workgroup_id_z 0
		.amdhsa_system_sgpr_workgroup_info 0
		.amdhsa_system_vgpr_workitem_id 0
		.amdhsa_next_free_vgpr 1
		.amdhsa_next_free_sgpr 0
		.amdhsa_accum_offset 4
		.amdhsa_reserve_vcc 0
		.amdhsa_float_round_mode_32 0
		.amdhsa_float_round_mode_16_64 0
		.amdhsa_float_denorm_mode_32 3
		.amdhsa_float_denorm_mode_16_64 3
		.amdhsa_dx10_clamp 1
		.amdhsa_ieee_mode 1
		.amdhsa_fp16_overflow 0
		.amdhsa_tg_split 0
		.amdhsa_exception_fp_ieee_invalid_op 0
		.amdhsa_exception_fp_denorm_src 0
		.amdhsa_exception_fp_ieee_div_zero 0
		.amdhsa_exception_fp_ieee_overflow 0
		.amdhsa_exception_fp_ieee_underflow 0
		.amdhsa_exception_fp_ieee_inexact 0
		.amdhsa_exception_int_div_zero 0
	.end_amdhsa_kernel
	.section	.text._ZN7rocprim17ROCPRIM_400000_NS6detail17trampoline_kernelINS0_14default_configENS1_27scan_by_key_config_selectorIixEEZZNS1_16scan_by_key_implILNS1_25lookback_scan_determinismE0ELb1ES3_N6thrust23THRUST_200600_302600_NS6detail15normal_iteratorINS9_10device_ptrIiEEEENSB_INSC_IxEEEESG_xNS9_4plusIvEENS9_8equal_toIvEExEE10hipError_tPvRmT2_T3_T4_T5_mT6_T7_P12ihipStream_tbENKUlT_T0_E_clISt17integral_constantIbLb1EES11_EEDaSW_SX_EUlSW_E_NS1_11comp_targetILNS1_3genE8ELNS1_11target_archE1030ELNS1_3gpuE2ELNS1_3repE0EEENS1_30default_config_static_selectorELNS0_4arch9wavefront6targetE1EEEvT1_,"axG",@progbits,_ZN7rocprim17ROCPRIM_400000_NS6detail17trampoline_kernelINS0_14default_configENS1_27scan_by_key_config_selectorIixEEZZNS1_16scan_by_key_implILNS1_25lookback_scan_determinismE0ELb1ES3_N6thrust23THRUST_200600_302600_NS6detail15normal_iteratorINS9_10device_ptrIiEEEENSB_INSC_IxEEEESG_xNS9_4plusIvEENS9_8equal_toIvEExEE10hipError_tPvRmT2_T3_T4_T5_mT6_T7_P12ihipStream_tbENKUlT_T0_E_clISt17integral_constantIbLb1EES11_EEDaSW_SX_EUlSW_E_NS1_11comp_targetILNS1_3genE8ELNS1_11target_archE1030ELNS1_3gpuE2ELNS1_3repE0EEENS1_30default_config_static_selectorELNS0_4arch9wavefront6targetE1EEEvT1_,comdat
.Lfunc_end1588:
	.size	_ZN7rocprim17ROCPRIM_400000_NS6detail17trampoline_kernelINS0_14default_configENS1_27scan_by_key_config_selectorIixEEZZNS1_16scan_by_key_implILNS1_25lookback_scan_determinismE0ELb1ES3_N6thrust23THRUST_200600_302600_NS6detail15normal_iteratorINS9_10device_ptrIiEEEENSB_INSC_IxEEEESG_xNS9_4plusIvEENS9_8equal_toIvEExEE10hipError_tPvRmT2_T3_T4_T5_mT6_T7_P12ihipStream_tbENKUlT_T0_E_clISt17integral_constantIbLb1EES11_EEDaSW_SX_EUlSW_E_NS1_11comp_targetILNS1_3genE8ELNS1_11target_archE1030ELNS1_3gpuE2ELNS1_3repE0EEENS1_30default_config_static_selectorELNS0_4arch9wavefront6targetE1EEEvT1_, .Lfunc_end1588-_ZN7rocprim17ROCPRIM_400000_NS6detail17trampoline_kernelINS0_14default_configENS1_27scan_by_key_config_selectorIixEEZZNS1_16scan_by_key_implILNS1_25lookback_scan_determinismE0ELb1ES3_N6thrust23THRUST_200600_302600_NS6detail15normal_iteratorINS9_10device_ptrIiEEEENSB_INSC_IxEEEESG_xNS9_4plusIvEENS9_8equal_toIvEExEE10hipError_tPvRmT2_T3_T4_T5_mT6_T7_P12ihipStream_tbENKUlT_T0_E_clISt17integral_constantIbLb1EES11_EEDaSW_SX_EUlSW_E_NS1_11comp_targetILNS1_3genE8ELNS1_11target_archE1030ELNS1_3gpuE2ELNS1_3repE0EEENS1_30default_config_static_selectorELNS0_4arch9wavefront6targetE1EEEvT1_
                                        ; -- End function
	.section	.AMDGPU.csdata,"",@progbits
; Kernel info:
; codeLenInByte = 0
; NumSgprs: 6
; NumVgprs: 0
; NumAgprs: 0
; TotalNumVgprs: 0
; ScratchSize: 0
; MemoryBound: 0
; FloatMode: 240
; IeeeMode: 1
; LDSByteSize: 0 bytes/workgroup (compile time only)
; SGPRBlocks: 0
; VGPRBlocks: 0
; NumSGPRsForWavesPerEU: 6
; NumVGPRsForWavesPerEU: 1
; AccumOffset: 4
; Occupancy: 8
; WaveLimiterHint : 0
; COMPUTE_PGM_RSRC2:SCRATCH_EN: 0
; COMPUTE_PGM_RSRC2:USER_SGPR: 2
; COMPUTE_PGM_RSRC2:TRAP_HANDLER: 0
; COMPUTE_PGM_RSRC2:TGID_X_EN: 1
; COMPUTE_PGM_RSRC2:TGID_Y_EN: 0
; COMPUTE_PGM_RSRC2:TGID_Z_EN: 0
; COMPUTE_PGM_RSRC2:TIDIG_COMP_CNT: 0
; COMPUTE_PGM_RSRC3_GFX90A:ACCUM_OFFSET: 0
; COMPUTE_PGM_RSRC3_GFX90A:TG_SPLIT: 0
	.section	.text._ZN7rocprim17ROCPRIM_400000_NS6detail17trampoline_kernelINS0_14default_configENS1_27scan_by_key_config_selectorIixEEZZNS1_16scan_by_key_implILNS1_25lookback_scan_determinismE0ELb1ES3_N6thrust23THRUST_200600_302600_NS6detail15normal_iteratorINS9_10device_ptrIiEEEENSB_INSC_IxEEEESG_xNS9_4plusIvEENS9_8equal_toIvEExEE10hipError_tPvRmT2_T3_T4_T5_mT6_T7_P12ihipStream_tbENKUlT_T0_E_clISt17integral_constantIbLb1EES10_IbLb0EEEEDaSW_SX_EUlSW_E_NS1_11comp_targetILNS1_3genE0ELNS1_11target_archE4294967295ELNS1_3gpuE0ELNS1_3repE0EEENS1_30default_config_static_selectorELNS0_4arch9wavefront6targetE1EEEvT1_,"axG",@progbits,_ZN7rocprim17ROCPRIM_400000_NS6detail17trampoline_kernelINS0_14default_configENS1_27scan_by_key_config_selectorIixEEZZNS1_16scan_by_key_implILNS1_25lookback_scan_determinismE0ELb1ES3_N6thrust23THRUST_200600_302600_NS6detail15normal_iteratorINS9_10device_ptrIiEEEENSB_INSC_IxEEEESG_xNS9_4plusIvEENS9_8equal_toIvEExEE10hipError_tPvRmT2_T3_T4_T5_mT6_T7_P12ihipStream_tbENKUlT_T0_E_clISt17integral_constantIbLb1EES10_IbLb0EEEEDaSW_SX_EUlSW_E_NS1_11comp_targetILNS1_3genE0ELNS1_11target_archE4294967295ELNS1_3gpuE0ELNS1_3repE0EEENS1_30default_config_static_selectorELNS0_4arch9wavefront6targetE1EEEvT1_,comdat
	.protected	_ZN7rocprim17ROCPRIM_400000_NS6detail17trampoline_kernelINS0_14default_configENS1_27scan_by_key_config_selectorIixEEZZNS1_16scan_by_key_implILNS1_25lookback_scan_determinismE0ELb1ES3_N6thrust23THRUST_200600_302600_NS6detail15normal_iteratorINS9_10device_ptrIiEEEENSB_INSC_IxEEEESG_xNS9_4plusIvEENS9_8equal_toIvEExEE10hipError_tPvRmT2_T3_T4_T5_mT6_T7_P12ihipStream_tbENKUlT_T0_E_clISt17integral_constantIbLb1EES10_IbLb0EEEEDaSW_SX_EUlSW_E_NS1_11comp_targetILNS1_3genE0ELNS1_11target_archE4294967295ELNS1_3gpuE0ELNS1_3repE0EEENS1_30default_config_static_selectorELNS0_4arch9wavefront6targetE1EEEvT1_ ; -- Begin function _ZN7rocprim17ROCPRIM_400000_NS6detail17trampoline_kernelINS0_14default_configENS1_27scan_by_key_config_selectorIixEEZZNS1_16scan_by_key_implILNS1_25lookback_scan_determinismE0ELb1ES3_N6thrust23THRUST_200600_302600_NS6detail15normal_iteratorINS9_10device_ptrIiEEEENSB_INSC_IxEEEESG_xNS9_4plusIvEENS9_8equal_toIvEExEE10hipError_tPvRmT2_T3_T4_T5_mT6_T7_P12ihipStream_tbENKUlT_T0_E_clISt17integral_constantIbLb1EES10_IbLb0EEEEDaSW_SX_EUlSW_E_NS1_11comp_targetILNS1_3genE0ELNS1_11target_archE4294967295ELNS1_3gpuE0ELNS1_3repE0EEENS1_30default_config_static_selectorELNS0_4arch9wavefront6targetE1EEEvT1_
	.globl	_ZN7rocprim17ROCPRIM_400000_NS6detail17trampoline_kernelINS0_14default_configENS1_27scan_by_key_config_selectorIixEEZZNS1_16scan_by_key_implILNS1_25lookback_scan_determinismE0ELb1ES3_N6thrust23THRUST_200600_302600_NS6detail15normal_iteratorINS9_10device_ptrIiEEEENSB_INSC_IxEEEESG_xNS9_4plusIvEENS9_8equal_toIvEExEE10hipError_tPvRmT2_T3_T4_T5_mT6_T7_P12ihipStream_tbENKUlT_T0_E_clISt17integral_constantIbLb1EES10_IbLb0EEEEDaSW_SX_EUlSW_E_NS1_11comp_targetILNS1_3genE0ELNS1_11target_archE4294967295ELNS1_3gpuE0ELNS1_3repE0EEENS1_30default_config_static_selectorELNS0_4arch9wavefront6targetE1EEEvT1_
	.p2align	8
	.type	_ZN7rocprim17ROCPRIM_400000_NS6detail17trampoline_kernelINS0_14default_configENS1_27scan_by_key_config_selectorIixEEZZNS1_16scan_by_key_implILNS1_25lookback_scan_determinismE0ELb1ES3_N6thrust23THRUST_200600_302600_NS6detail15normal_iteratorINS9_10device_ptrIiEEEENSB_INSC_IxEEEESG_xNS9_4plusIvEENS9_8equal_toIvEExEE10hipError_tPvRmT2_T3_T4_T5_mT6_T7_P12ihipStream_tbENKUlT_T0_E_clISt17integral_constantIbLb1EES10_IbLb0EEEEDaSW_SX_EUlSW_E_NS1_11comp_targetILNS1_3genE0ELNS1_11target_archE4294967295ELNS1_3gpuE0ELNS1_3repE0EEENS1_30default_config_static_selectorELNS0_4arch9wavefront6targetE1EEEvT1_,@function
_ZN7rocprim17ROCPRIM_400000_NS6detail17trampoline_kernelINS0_14default_configENS1_27scan_by_key_config_selectorIixEEZZNS1_16scan_by_key_implILNS1_25lookback_scan_determinismE0ELb1ES3_N6thrust23THRUST_200600_302600_NS6detail15normal_iteratorINS9_10device_ptrIiEEEENSB_INSC_IxEEEESG_xNS9_4plusIvEENS9_8equal_toIvEExEE10hipError_tPvRmT2_T3_T4_T5_mT6_T7_P12ihipStream_tbENKUlT_T0_E_clISt17integral_constantIbLb1EES10_IbLb0EEEEDaSW_SX_EUlSW_E_NS1_11comp_targetILNS1_3genE0ELNS1_11target_archE4294967295ELNS1_3gpuE0ELNS1_3repE0EEENS1_30default_config_static_selectorELNS0_4arch9wavefront6targetE1EEEvT1_: ; @_ZN7rocprim17ROCPRIM_400000_NS6detail17trampoline_kernelINS0_14default_configENS1_27scan_by_key_config_selectorIixEEZZNS1_16scan_by_key_implILNS1_25lookback_scan_determinismE0ELb1ES3_N6thrust23THRUST_200600_302600_NS6detail15normal_iteratorINS9_10device_ptrIiEEEENSB_INSC_IxEEEESG_xNS9_4plusIvEENS9_8equal_toIvEExEE10hipError_tPvRmT2_T3_T4_T5_mT6_T7_P12ihipStream_tbENKUlT_T0_E_clISt17integral_constantIbLb1EES10_IbLb0EEEEDaSW_SX_EUlSW_E_NS1_11comp_targetILNS1_3genE0ELNS1_11target_archE4294967295ELNS1_3gpuE0ELNS1_3repE0EEENS1_30default_config_static_selectorELNS0_4arch9wavefront6targetE1EEEvT1_
; %bb.0:
	.section	.rodata,"a",@progbits
	.p2align	6, 0x0
	.amdhsa_kernel _ZN7rocprim17ROCPRIM_400000_NS6detail17trampoline_kernelINS0_14default_configENS1_27scan_by_key_config_selectorIixEEZZNS1_16scan_by_key_implILNS1_25lookback_scan_determinismE0ELb1ES3_N6thrust23THRUST_200600_302600_NS6detail15normal_iteratorINS9_10device_ptrIiEEEENSB_INSC_IxEEEESG_xNS9_4plusIvEENS9_8equal_toIvEExEE10hipError_tPvRmT2_T3_T4_T5_mT6_T7_P12ihipStream_tbENKUlT_T0_E_clISt17integral_constantIbLb1EES10_IbLb0EEEEDaSW_SX_EUlSW_E_NS1_11comp_targetILNS1_3genE0ELNS1_11target_archE4294967295ELNS1_3gpuE0ELNS1_3repE0EEENS1_30default_config_static_selectorELNS0_4arch9wavefront6targetE1EEEvT1_
		.amdhsa_group_segment_fixed_size 0
		.amdhsa_private_segment_fixed_size 0
		.amdhsa_kernarg_size 136
		.amdhsa_user_sgpr_count 2
		.amdhsa_user_sgpr_dispatch_ptr 0
		.amdhsa_user_sgpr_queue_ptr 0
		.amdhsa_user_sgpr_kernarg_segment_ptr 1
		.amdhsa_user_sgpr_dispatch_id 0
		.amdhsa_user_sgpr_kernarg_preload_length 0
		.amdhsa_user_sgpr_kernarg_preload_offset 0
		.amdhsa_user_sgpr_private_segment_size 0
		.amdhsa_uses_dynamic_stack 0
		.amdhsa_enable_private_segment 0
		.amdhsa_system_sgpr_workgroup_id_x 1
		.amdhsa_system_sgpr_workgroup_id_y 0
		.amdhsa_system_sgpr_workgroup_id_z 0
		.amdhsa_system_sgpr_workgroup_info 0
		.amdhsa_system_vgpr_workitem_id 0
		.amdhsa_next_free_vgpr 1
		.amdhsa_next_free_sgpr 0
		.amdhsa_accum_offset 4
		.amdhsa_reserve_vcc 0
		.amdhsa_float_round_mode_32 0
		.amdhsa_float_round_mode_16_64 0
		.amdhsa_float_denorm_mode_32 3
		.amdhsa_float_denorm_mode_16_64 3
		.amdhsa_dx10_clamp 1
		.amdhsa_ieee_mode 1
		.amdhsa_fp16_overflow 0
		.amdhsa_tg_split 0
		.amdhsa_exception_fp_ieee_invalid_op 0
		.amdhsa_exception_fp_denorm_src 0
		.amdhsa_exception_fp_ieee_div_zero 0
		.amdhsa_exception_fp_ieee_overflow 0
		.amdhsa_exception_fp_ieee_underflow 0
		.amdhsa_exception_fp_ieee_inexact 0
		.amdhsa_exception_int_div_zero 0
	.end_amdhsa_kernel
	.section	.text._ZN7rocprim17ROCPRIM_400000_NS6detail17trampoline_kernelINS0_14default_configENS1_27scan_by_key_config_selectorIixEEZZNS1_16scan_by_key_implILNS1_25lookback_scan_determinismE0ELb1ES3_N6thrust23THRUST_200600_302600_NS6detail15normal_iteratorINS9_10device_ptrIiEEEENSB_INSC_IxEEEESG_xNS9_4plusIvEENS9_8equal_toIvEExEE10hipError_tPvRmT2_T3_T4_T5_mT6_T7_P12ihipStream_tbENKUlT_T0_E_clISt17integral_constantIbLb1EES10_IbLb0EEEEDaSW_SX_EUlSW_E_NS1_11comp_targetILNS1_3genE0ELNS1_11target_archE4294967295ELNS1_3gpuE0ELNS1_3repE0EEENS1_30default_config_static_selectorELNS0_4arch9wavefront6targetE1EEEvT1_,"axG",@progbits,_ZN7rocprim17ROCPRIM_400000_NS6detail17trampoline_kernelINS0_14default_configENS1_27scan_by_key_config_selectorIixEEZZNS1_16scan_by_key_implILNS1_25lookback_scan_determinismE0ELb1ES3_N6thrust23THRUST_200600_302600_NS6detail15normal_iteratorINS9_10device_ptrIiEEEENSB_INSC_IxEEEESG_xNS9_4plusIvEENS9_8equal_toIvEExEE10hipError_tPvRmT2_T3_T4_T5_mT6_T7_P12ihipStream_tbENKUlT_T0_E_clISt17integral_constantIbLb1EES10_IbLb0EEEEDaSW_SX_EUlSW_E_NS1_11comp_targetILNS1_3genE0ELNS1_11target_archE4294967295ELNS1_3gpuE0ELNS1_3repE0EEENS1_30default_config_static_selectorELNS0_4arch9wavefront6targetE1EEEvT1_,comdat
.Lfunc_end1589:
	.size	_ZN7rocprim17ROCPRIM_400000_NS6detail17trampoline_kernelINS0_14default_configENS1_27scan_by_key_config_selectorIixEEZZNS1_16scan_by_key_implILNS1_25lookback_scan_determinismE0ELb1ES3_N6thrust23THRUST_200600_302600_NS6detail15normal_iteratorINS9_10device_ptrIiEEEENSB_INSC_IxEEEESG_xNS9_4plusIvEENS9_8equal_toIvEExEE10hipError_tPvRmT2_T3_T4_T5_mT6_T7_P12ihipStream_tbENKUlT_T0_E_clISt17integral_constantIbLb1EES10_IbLb0EEEEDaSW_SX_EUlSW_E_NS1_11comp_targetILNS1_3genE0ELNS1_11target_archE4294967295ELNS1_3gpuE0ELNS1_3repE0EEENS1_30default_config_static_selectorELNS0_4arch9wavefront6targetE1EEEvT1_, .Lfunc_end1589-_ZN7rocprim17ROCPRIM_400000_NS6detail17trampoline_kernelINS0_14default_configENS1_27scan_by_key_config_selectorIixEEZZNS1_16scan_by_key_implILNS1_25lookback_scan_determinismE0ELb1ES3_N6thrust23THRUST_200600_302600_NS6detail15normal_iteratorINS9_10device_ptrIiEEEENSB_INSC_IxEEEESG_xNS9_4plusIvEENS9_8equal_toIvEExEE10hipError_tPvRmT2_T3_T4_T5_mT6_T7_P12ihipStream_tbENKUlT_T0_E_clISt17integral_constantIbLb1EES10_IbLb0EEEEDaSW_SX_EUlSW_E_NS1_11comp_targetILNS1_3genE0ELNS1_11target_archE4294967295ELNS1_3gpuE0ELNS1_3repE0EEENS1_30default_config_static_selectorELNS0_4arch9wavefront6targetE1EEEvT1_
                                        ; -- End function
	.section	.AMDGPU.csdata,"",@progbits
; Kernel info:
; codeLenInByte = 0
; NumSgprs: 6
; NumVgprs: 0
; NumAgprs: 0
; TotalNumVgprs: 0
; ScratchSize: 0
; MemoryBound: 0
; FloatMode: 240
; IeeeMode: 1
; LDSByteSize: 0 bytes/workgroup (compile time only)
; SGPRBlocks: 0
; VGPRBlocks: 0
; NumSGPRsForWavesPerEU: 6
; NumVGPRsForWavesPerEU: 1
; AccumOffset: 4
; Occupancy: 8
; WaveLimiterHint : 0
; COMPUTE_PGM_RSRC2:SCRATCH_EN: 0
; COMPUTE_PGM_RSRC2:USER_SGPR: 2
; COMPUTE_PGM_RSRC2:TRAP_HANDLER: 0
; COMPUTE_PGM_RSRC2:TGID_X_EN: 1
; COMPUTE_PGM_RSRC2:TGID_Y_EN: 0
; COMPUTE_PGM_RSRC2:TGID_Z_EN: 0
; COMPUTE_PGM_RSRC2:TIDIG_COMP_CNT: 0
; COMPUTE_PGM_RSRC3_GFX90A:ACCUM_OFFSET: 0
; COMPUTE_PGM_RSRC3_GFX90A:TG_SPLIT: 0
	.section	.text._ZN7rocprim17ROCPRIM_400000_NS6detail17trampoline_kernelINS0_14default_configENS1_27scan_by_key_config_selectorIixEEZZNS1_16scan_by_key_implILNS1_25lookback_scan_determinismE0ELb1ES3_N6thrust23THRUST_200600_302600_NS6detail15normal_iteratorINS9_10device_ptrIiEEEENSB_INSC_IxEEEESG_xNS9_4plusIvEENS9_8equal_toIvEExEE10hipError_tPvRmT2_T3_T4_T5_mT6_T7_P12ihipStream_tbENKUlT_T0_E_clISt17integral_constantIbLb1EES10_IbLb0EEEEDaSW_SX_EUlSW_E_NS1_11comp_targetILNS1_3genE10ELNS1_11target_archE1201ELNS1_3gpuE5ELNS1_3repE0EEENS1_30default_config_static_selectorELNS0_4arch9wavefront6targetE1EEEvT1_,"axG",@progbits,_ZN7rocprim17ROCPRIM_400000_NS6detail17trampoline_kernelINS0_14default_configENS1_27scan_by_key_config_selectorIixEEZZNS1_16scan_by_key_implILNS1_25lookback_scan_determinismE0ELb1ES3_N6thrust23THRUST_200600_302600_NS6detail15normal_iteratorINS9_10device_ptrIiEEEENSB_INSC_IxEEEESG_xNS9_4plusIvEENS9_8equal_toIvEExEE10hipError_tPvRmT2_T3_T4_T5_mT6_T7_P12ihipStream_tbENKUlT_T0_E_clISt17integral_constantIbLb1EES10_IbLb0EEEEDaSW_SX_EUlSW_E_NS1_11comp_targetILNS1_3genE10ELNS1_11target_archE1201ELNS1_3gpuE5ELNS1_3repE0EEENS1_30default_config_static_selectorELNS0_4arch9wavefront6targetE1EEEvT1_,comdat
	.protected	_ZN7rocprim17ROCPRIM_400000_NS6detail17trampoline_kernelINS0_14default_configENS1_27scan_by_key_config_selectorIixEEZZNS1_16scan_by_key_implILNS1_25lookback_scan_determinismE0ELb1ES3_N6thrust23THRUST_200600_302600_NS6detail15normal_iteratorINS9_10device_ptrIiEEEENSB_INSC_IxEEEESG_xNS9_4plusIvEENS9_8equal_toIvEExEE10hipError_tPvRmT2_T3_T4_T5_mT6_T7_P12ihipStream_tbENKUlT_T0_E_clISt17integral_constantIbLb1EES10_IbLb0EEEEDaSW_SX_EUlSW_E_NS1_11comp_targetILNS1_3genE10ELNS1_11target_archE1201ELNS1_3gpuE5ELNS1_3repE0EEENS1_30default_config_static_selectorELNS0_4arch9wavefront6targetE1EEEvT1_ ; -- Begin function _ZN7rocprim17ROCPRIM_400000_NS6detail17trampoline_kernelINS0_14default_configENS1_27scan_by_key_config_selectorIixEEZZNS1_16scan_by_key_implILNS1_25lookback_scan_determinismE0ELb1ES3_N6thrust23THRUST_200600_302600_NS6detail15normal_iteratorINS9_10device_ptrIiEEEENSB_INSC_IxEEEESG_xNS9_4plusIvEENS9_8equal_toIvEExEE10hipError_tPvRmT2_T3_T4_T5_mT6_T7_P12ihipStream_tbENKUlT_T0_E_clISt17integral_constantIbLb1EES10_IbLb0EEEEDaSW_SX_EUlSW_E_NS1_11comp_targetILNS1_3genE10ELNS1_11target_archE1201ELNS1_3gpuE5ELNS1_3repE0EEENS1_30default_config_static_selectorELNS0_4arch9wavefront6targetE1EEEvT1_
	.globl	_ZN7rocprim17ROCPRIM_400000_NS6detail17trampoline_kernelINS0_14default_configENS1_27scan_by_key_config_selectorIixEEZZNS1_16scan_by_key_implILNS1_25lookback_scan_determinismE0ELb1ES3_N6thrust23THRUST_200600_302600_NS6detail15normal_iteratorINS9_10device_ptrIiEEEENSB_INSC_IxEEEESG_xNS9_4plusIvEENS9_8equal_toIvEExEE10hipError_tPvRmT2_T3_T4_T5_mT6_T7_P12ihipStream_tbENKUlT_T0_E_clISt17integral_constantIbLb1EES10_IbLb0EEEEDaSW_SX_EUlSW_E_NS1_11comp_targetILNS1_3genE10ELNS1_11target_archE1201ELNS1_3gpuE5ELNS1_3repE0EEENS1_30default_config_static_selectorELNS0_4arch9wavefront6targetE1EEEvT1_
	.p2align	8
	.type	_ZN7rocprim17ROCPRIM_400000_NS6detail17trampoline_kernelINS0_14default_configENS1_27scan_by_key_config_selectorIixEEZZNS1_16scan_by_key_implILNS1_25lookback_scan_determinismE0ELb1ES3_N6thrust23THRUST_200600_302600_NS6detail15normal_iteratorINS9_10device_ptrIiEEEENSB_INSC_IxEEEESG_xNS9_4plusIvEENS9_8equal_toIvEExEE10hipError_tPvRmT2_T3_T4_T5_mT6_T7_P12ihipStream_tbENKUlT_T0_E_clISt17integral_constantIbLb1EES10_IbLb0EEEEDaSW_SX_EUlSW_E_NS1_11comp_targetILNS1_3genE10ELNS1_11target_archE1201ELNS1_3gpuE5ELNS1_3repE0EEENS1_30default_config_static_selectorELNS0_4arch9wavefront6targetE1EEEvT1_,@function
_ZN7rocprim17ROCPRIM_400000_NS6detail17trampoline_kernelINS0_14default_configENS1_27scan_by_key_config_selectorIixEEZZNS1_16scan_by_key_implILNS1_25lookback_scan_determinismE0ELb1ES3_N6thrust23THRUST_200600_302600_NS6detail15normal_iteratorINS9_10device_ptrIiEEEENSB_INSC_IxEEEESG_xNS9_4plusIvEENS9_8equal_toIvEExEE10hipError_tPvRmT2_T3_T4_T5_mT6_T7_P12ihipStream_tbENKUlT_T0_E_clISt17integral_constantIbLb1EES10_IbLb0EEEEDaSW_SX_EUlSW_E_NS1_11comp_targetILNS1_3genE10ELNS1_11target_archE1201ELNS1_3gpuE5ELNS1_3repE0EEENS1_30default_config_static_selectorELNS0_4arch9wavefront6targetE1EEEvT1_: ; @_ZN7rocprim17ROCPRIM_400000_NS6detail17trampoline_kernelINS0_14default_configENS1_27scan_by_key_config_selectorIixEEZZNS1_16scan_by_key_implILNS1_25lookback_scan_determinismE0ELb1ES3_N6thrust23THRUST_200600_302600_NS6detail15normal_iteratorINS9_10device_ptrIiEEEENSB_INSC_IxEEEESG_xNS9_4plusIvEENS9_8equal_toIvEExEE10hipError_tPvRmT2_T3_T4_T5_mT6_T7_P12ihipStream_tbENKUlT_T0_E_clISt17integral_constantIbLb1EES10_IbLb0EEEEDaSW_SX_EUlSW_E_NS1_11comp_targetILNS1_3genE10ELNS1_11target_archE1201ELNS1_3gpuE5ELNS1_3repE0EEENS1_30default_config_static_selectorELNS0_4arch9wavefront6targetE1EEEvT1_
; %bb.0:
	.section	.rodata,"a",@progbits
	.p2align	6, 0x0
	.amdhsa_kernel _ZN7rocprim17ROCPRIM_400000_NS6detail17trampoline_kernelINS0_14default_configENS1_27scan_by_key_config_selectorIixEEZZNS1_16scan_by_key_implILNS1_25lookback_scan_determinismE0ELb1ES3_N6thrust23THRUST_200600_302600_NS6detail15normal_iteratorINS9_10device_ptrIiEEEENSB_INSC_IxEEEESG_xNS9_4plusIvEENS9_8equal_toIvEExEE10hipError_tPvRmT2_T3_T4_T5_mT6_T7_P12ihipStream_tbENKUlT_T0_E_clISt17integral_constantIbLb1EES10_IbLb0EEEEDaSW_SX_EUlSW_E_NS1_11comp_targetILNS1_3genE10ELNS1_11target_archE1201ELNS1_3gpuE5ELNS1_3repE0EEENS1_30default_config_static_selectorELNS0_4arch9wavefront6targetE1EEEvT1_
		.amdhsa_group_segment_fixed_size 0
		.amdhsa_private_segment_fixed_size 0
		.amdhsa_kernarg_size 136
		.amdhsa_user_sgpr_count 2
		.amdhsa_user_sgpr_dispatch_ptr 0
		.amdhsa_user_sgpr_queue_ptr 0
		.amdhsa_user_sgpr_kernarg_segment_ptr 1
		.amdhsa_user_sgpr_dispatch_id 0
		.amdhsa_user_sgpr_kernarg_preload_length 0
		.amdhsa_user_sgpr_kernarg_preload_offset 0
		.amdhsa_user_sgpr_private_segment_size 0
		.amdhsa_uses_dynamic_stack 0
		.amdhsa_enable_private_segment 0
		.amdhsa_system_sgpr_workgroup_id_x 1
		.amdhsa_system_sgpr_workgroup_id_y 0
		.amdhsa_system_sgpr_workgroup_id_z 0
		.amdhsa_system_sgpr_workgroup_info 0
		.amdhsa_system_vgpr_workitem_id 0
		.amdhsa_next_free_vgpr 1
		.amdhsa_next_free_sgpr 0
		.amdhsa_accum_offset 4
		.amdhsa_reserve_vcc 0
		.amdhsa_float_round_mode_32 0
		.amdhsa_float_round_mode_16_64 0
		.amdhsa_float_denorm_mode_32 3
		.amdhsa_float_denorm_mode_16_64 3
		.amdhsa_dx10_clamp 1
		.amdhsa_ieee_mode 1
		.amdhsa_fp16_overflow 0
		.amdhsa_tg_split 0
		.amdhsa_exception_fp_ieee_invalid_op 0
		.amdhsa_exception_fp_denorm_src 0
		.amdhsa_exception_fp_ieee_div_zero 0
		.amdhsa_exception_fp_ieee_overflow 0
		.amdhsa_exception_fp_ieee_underflow 0
		.amdhsa_exception_fp_ieee_inexact 0
		.amdhsa_exception_int_div_zero 0
	.end_amdhsa_kernel
	.section	.text._ZN7rocprim17ROCPRIM_400000_NS6detail17trampoline_kernelINS0_14default_configENS1_27scan_by_key_config_selectorIixEEZZNS1_16scan_by_key_implILNS1_25lookback_scan_determinismE0ELb1ES3_N6thrust23THRUST_200600_302600_NS6detail15normal_iteratorINS9_10device_ptrIiEEEENSB_INSC_IxEEEESG_xNS9_4plusIvEENS9_8equal_toIvEExEE10hipError_tPvRmT2_T3_T4_T5_mT6_T7_P12ihipStream_tbENKUlT_T0_E_clISt17integral_constantIbLb1EES10_IbLb0EEEEDaSW_SX_EUlSW_E_NS1_11comp_targetILNS1_3genE10ELNS1_11target_archE1201ELNS1_3gpuE5ELNS1_3repE0EEENS1_30default_config_static_selectorELNS0_4arch9wavefront6targetE1EEEvT1_,"axG",@progbits,_ZN7rocprim17ROCPRIM_400000_NS6detail17trampoline_kernelINS0_14default_configENS1_27scan_by_key_config_selectorIixEEZZNS1_16scan_by_key_implILNS1_25lookback_scan_determinismE0ELb1ES3_N6thrust23THRUST_200600_302600_NS6detail15normal_iteratorINS9_10device_ptrIiEEEENSB_INSC_IxEEEESG_xNS9_4plusIvEENS9_8equal_toIvEExEE10hipError_tPvRmT2_T3_T4_T5_mT6_T7_P12ihipStream_tbENKUlT_T0_E_clISt17integral_constantIbLb1EES10_IbLb0EEEEDaSW_SX_EUlSW_E_NS1_11comp_targetILNS1_3genE10ELNS1_11target_archE1201ELNS1_3gpuE5ELNS1_3repE0EEENS1_30default_config_static_selectorELNS0_4arch9wavefront6targetE1EEEvT1_,comdat
.Lfunc_end1590:
	.size	_ZN7rocprim17ROCPRIM_400000_NS6detail17trampoline_kernelINS0_14default_configENS1_27scan_by_key_config_selectorIixEEZZNS1_16scan_by_key_implILNS1_25lookback_scan_determinismE0ELb1ES3_N6thrust23THRUST_200600_302600_NS6detail15normal_iteratorINS9_10device_ptrIiEEEENSB_INSC_IxEEEESG_xNS9_4plusIvEENS9_8equal_toIvEExEE10hipError_tPvRmT2_T3_T4_T5_mT6_T7_P12ihipStream_tbENKUlT_T0_E_clISt17integral_constantIbLb1EES10_IbLb0EEEEDaSW_SX_EUlSW_E_NS1_11comp_targetILNS1_3genE10ELNS1_11target_archE1201ELNS1_3gpuE5ELNS1_3repE0EEENS1_30default_config_static_selectorELNS0_4arch9wavefront6targetE1EEEvT1_, .Lfunc_end1590-_ZN7rocprim17ROCPRIM_400000_NS6detail17trampoline_kernelINS0_14default_configENS1_27scan_by_key_config_selectorIixEEZZNS1_16scan_by_key_implILNS1_25lookback_scan_determinismE0ELb1ES3_N6thrust23THRUST_200600_302600_NS6detail15normal_iteratorINS9_10device_ptrIiEEEENSB_INSC_IxEEEESG_xNS9_4plusIvEENS9_8equal_toIvEExEE10hipError_tPvRmT2_T3_T4_T5_mT6_T7_P12ihipStream_tbENKUlT_T0_E_clISt17integral_constantIbLb1EES10_IbLb0EEEEDaSW_SX_EUlSW_E_NS1_11comp_targetILNS1_3genE10ELNS1_11target_archE1201ELNS1_3gpuE5ELNS1_3repE0EEENS1_30default_config_static_selectorELNS0_4arch9wavefront6targetE1EEEvT1_
                                        ; -- End function
	.section	.AMDGPU.csdata,"",@progbits
; Kernel info:
; codeLenInByte = 0
; NumSgprs: 6
; NumVgprs: 0
; NumAgprs: 0
; TotalNumVgprs: 0
; ScratchSize: 0
; MemoryBound: 0
; FloatMode: 240
; IeeeMode: 1
; LDSByteSize: 0 bytes/workgroup (compile time only)
; SGPRBlocks: 0
; VGPRBlocks: 0
; NumSGPRsForWavesPerEU: 6
; NumVGPRsForWavesPerEU: 1
; AccumOffset: 4
; Occupancy: 8
; WaveLimiterHint : 0
; COMPUTE_PGM_RSRC2:SCRATCH_EN: 0
; COMPUTE_PGM_RSRC2:USER_SGPR: 2
; COMPUTE_PGM_RSRC2:TRAP_HANDLER: 0
; COMPUTE_PGM_RSRC2:TGID_X_EN: 1
; COMPUTE_PGM_RSRC2:TGID_Y_EN: 0
; COMPUTE_PGM_RSRC2:TGID_Z_EN: 0
; COMPUTE_PGM_RSRC2:TIDIG_COMP_CNT: 0
; COMPUTE_PGM_RSRC3_GFX90A:ACCUM_OFFSET: 0
; COMPUTE_PGM_RSRC3_GFX90A:TG_SPLIT: 0
	.section	.text._ZN7rocprim17ROCPRIM_400000_NS6detail17trampoline_kernelINS0_14default_configENS1_27scan_by_key_config_selectorIixEEZZNS1_16scan_by_key_implILNS1_25lookback_scan_determinismE0ELb1ES3_N6thrust23THRUST_200600_302600_NS6detail15normal_iteratorINS9_10device_ptrIiEEEENSB_INSC_IxEEEESG_xNS9_4plusIvEENS9_8equal_toIvEExEE10hipError_tPvRmT2_T3_T4_T5_mT6_T7_P12ihipStream_tbENKUlT_T0_E_clISt17integral_constantIbLb1EES10_IbLb0EEEEDaSW_SX_EUlSW_E_NS1_11comp_targetILNS1_3genE5ELNS1_11target_archE942ELNS1_3gpuE9ELNS1_3repE0EEENS1_30default_config_static_selectorELNS0_4arch9wavefront6targetE1EEEvT1_,"axG",@progbits,_ZN7rocprim17ROCPRIM_400000_NS6detail17trampoline_kernelINS0_14default_configENS1_27scan_by_key_config_selectorIixEEZZNS1_16scan_by_key_implILNS1_25lookback_scan_determinismE0ELb1ES3_N6thrust23THRUST_200600_302600_NS6detail15normal_iteratorINS9_10device_ptrIiEEEENSB_INSC_IxEEEESG_xNS9_4plusIvEENS9_8equal_toIvEExEE10hipError_tPvRmT2_T3_T4_T5_mT6_T7_P12ihipStream_tbENKUlT_T0_E_clISt17integral_constantIbLb1EES10_IbLb0EEEEDaSW_SX_EUlSW_E_NS1_11comp_targetILNS1_3genE5ELNS1_11target_archE942ELNS1_3gpuE9ELNS1_3repE0EEENS1_30default_config_static_selectorELNS0_4arch9wavefront6targetE1EEEvT1_,comdat
	.protected	_ZN7rocprim17ROCPRIM_400000_NS6detail17trampoline_kernelINS0_14default_configENS1_27scan_by_key_config_selectorIixEEZZNS1_16scan_by_key_implILNS1_25lookback_scan_determinismE0ELb1ES3_N6thrust23THRUST_200600_302600_NS6detail15normal_iteratorINS9_10device_ptrIiEEEENSB_INSC_IxEEEESG_xNS9_4plusIvEENS9_8equal_toIvEExEE10hipError_tPvRmT2_T3_T4_T5_mT6_T7_P12ihipStream_tbENKUlT_T0_E_clISt17integral_constantIbLb1EES10_IbLb0EEEEDaSW_SX_EUlSW_E_NS1_11comp_targetILNS1_3genE5ELNS1_11target_archE942ELNS1_3gpuE9ELNS1_3repE0EEENS1_30default_config_static_selectorELNS0_4arch9wavefront6targetE1EEEvT1_ ; -- Begin function _ZN7rocprim17ROCPRIM_400000_NS6detail17trampoline_kernelINS0_14default_configENS1_27scan_by_key_config_selectorIixEEZZNS1_16scan_by_key_implILNS1_25lookback_scan_determinismE0ELb1ES3_N6thrust23THRUST_200600_302600_NS6detail15normal_iteratorINS9_10device_ptrIiEEEENSB_INSC_IxEEEESG_xNS9_4plusIvEENS9_8equal_toIvEExEE10hipError_tPvRmT2_T3_T4_T5_mT6_T7_P12ihipStream_tbENKUlT_T0_E_clISt17integral_constantIbLb1EES10_IbLb0EEEEDaSW_SX_EUlSW_E_NS1_11comp_targetILNS1_3genE5ELNS1_11target_archE942ELNS1_3gpuE9ELNS1_3repE0EEENS1_30default_config_static_selectorELNS0_4arch9wavefront6targetE1EEEvT1_
	.globl	_ZN7rocprim17ROCPRIM_400000_NS6detail17trampoline_kernelINS0_14default_configENS1_27scan_by_key_config_selectorIixEEZZNS1_16scan_by_key_implILNS1_25lookback_scan_determinismE0ELb1ES3_N6thrust23THRUST_200600_302600_NS6detail15normal_iteratorINS9_10device_ptrIiEEEENSB_INSC_IxEEEESG_xNS9_4plusIvEENS9_8equal_toIvEExEE10hipError_tPvRmT2_T3_T4_T5_mT6_T7_P12ihipStream_tbENKUlT_T0_E_clISt17integral_constantIbLb1EES10_IbLb0EEEEDaSW_SX_EUlSW_E_NS1_11comp_targetILNS1_3genE5ELNS1_11target_archE942ELNS1_3gpuE9ELNS1_3repE0EEENS1_30default_config_static_selectorELNS0_4arch9wavefront6targetE1EEEvT1_
	.p2align	8
	.type	_ZN7rocprim17ROCPRIM_400000_NS6detail17trampoline_kernelINS0_14default_configENS1_27scan_by_key_config_selectorIixEEZZNS1_16scan_by_key_implILNS1_25lookback_scan_determinismE0ELb1ES3_N6thrust23THRUST_200600_302600_NS6detail15normal_iteratorINS9_10device_ptrIiEEEENSB_INSC_IxEEEESG_xNS9_4plusIvEENS9_8equal_toIvEExEE10hipError_tPvRmT2_T3_T4_T5_mT6_T7_P12ihipStream_tbENKUlT_T0_E_clISt17integral_constantIbLb1EES10_IbLb0EEEEDaSW_SX_EUlSW_E_NS1_11comp_targetILNS1_3genE5ELNS1_11target_archE942ELNS1_3gpuE9ELNS1_3repE0EEENS1_30default_config_static_selectorELNS0_4arch9wavefront6targetE1EEEvT1_,@function
_ZN7rocprim17ROCPRIM_400000_NS6detail17trampoline_kernelINS0_14default_configENS1_27scan_by_key_config_selectorIixEEZZNS1_16scan_by_key_implILNS1_25lookback_scan_determinismE0ELb1ES3_N6thrust23THRUST_200600_302600_NS6detail15normal_iteratorINS9_10device_ptrIiEEEENSB_INSC_IxEEEESG_xNS9_4plusIvEENS9_8equal_toIvEExEE10hipError_tPvRmT2_T3_T4_T5_mT6_T7_P12ihipStream_tbENKUlT_T0_E_clISt17integral_constantIbLb1EES10_IbLb0EEEEDaSW_SX_EUlSW_E_NS1_11comp_targetILNS1_3genE5ELNS1_11target_archE942ELNS1_3gpuE9ELNS1_3repE0EEENS1_30default_config_static_selectorELNS0_4arch9wavefront6targetE1EEEvT1_: ; @_ZN7rocprim17ROCPRIM_400000_NS6detail17trampoline_kernelINS0_14default_configENS1_27scan_by_key_config_selectorIixEEZZNS1_16scan_by_key_implILNS1_25lookback_scan_determinismE0ELb1ES3_N6thrust23THRUST_200600_302600_NS6detail15normal_iteratorINS9_10device_ptrIiEEEENSB_INSC_IxEEEESG_xNS9_4plusIvEENS9_8equal_toIvEExEE10hipError_tPvRmT2_T3_T4_T5_mT6_T7_P12ihipStream_tbENKUlT_T0_E_clISt17integral_constantIbLb1EES10_IbLb0EEEEDaSW_SX_EUlSW_E_NS1_11comp_targetILNS1_3genE5ELNS1_11target_archE942ELNS1_3gpuE9ELNS1_3repE0EEENS1_30default_config_static_selectorELNS0_4arch9wavefront6targetE1EEEvT1_
; %bb.0:
	s_load_dwordx8 s[56:63], s[0:1], 0x0
	s_load_dwordx2 s[68:69], s[0:1], 0x20
	s_load_dwordx8 s[48:55], s[0:1], 0x30
	s_load_dwordx2 s[70:71], s[0:1], 0x50
	s_load_dword s3, s[0:1], 0x58
	s_load_dwordx4 s[64:67], s[0:1], 0x60
	s_waitcnt lgkmcnt(0)
	s_lshl_b64 s[0:1], s[58:59], 2
	s_add_u32 s6, s56, s0
	s_addc_u32 s7, s57, s1
	s_lshl_b64 s[56:57], s[58:59], 3
	s_add_u32 s8, s60, s56
	s_mul_i32 s0, s71, s3
	s_mul_hi_u32 s1, s70, s3
	s_addc_u32 s9, s61, s57
	s_add_i32 s10, s1, s0
	s_mul_i32 s0, s2, 0x1500
	s_mov_b32 s1, 0
	s_lshl_b64 s[4:5], s[0:1], 2
	s_add_u32 s72, s6, s4
	s_addc_u32 s73, s7, s5
	s_lshl_b64 s[58:59], s[0:1], 3
	s_add_u32 s60, s8, s58
	s_mul_i32 s3, s70, s3
	s_addc_u32 s61, s9, s59
	s_add_u32 s0, s3, s2
	s_addc_u32 s1, s10, 0
	s_add_u32 s6, s64, -1
	s_addc_u32 s7, s65, -1
	v_mov_b64_e32 v[2:3], s[6:7]
	v_cmp_ge_u64_e64 s[0:1], s[0:1], v[2:3]
	s_mov_b64 s[4:5], -1
	s_and_b64 vcc, exec, s[0:1]
	s_mul_i32 s33, s6, 0xffffeb00
	s_barrier
	s_cbranch_vccz .LBB1591_65
; %bb.1:
	v_mov_b64_e32 v[2:3], s[72:73]
	flat_load_dword v2, v[2:3]
	s_add_i32 s55, s33, s54
	v_cmp_gt_u32_e32 vcc, s55, v0
	s_waitcnt vmcnt(0) lgkmcnt(0)
	v_mov_b32_e32 v4, v2
	s_and_saveexec_b64 s[4:5], vcc
	s_cbranch_execz .LBB1591_3
; %bb.2:
	v_lshlrev_b32_e32 v4, 2, v0
	v_mov_b32_e32 v5, 0
	v_lshl_add_u64 v[4:5], s[72:73], 0, v[4:5]
	flat_load_dword v4, v[4:5]
.LBB1591_3:
	s_or_b64 exec, exec, s[4:5]
	v_or_b32_e32 v1, 0x100, v0
	v_cmp_gt_u32_e64 s[44:45], s55, v1
	v_mov_b32_e32 v5, v2
	s_and_saveexec_b64 s[4:5], s[44:45]
	s_cbranch_execz .LBB1591_5
; %bb.4:
	v_lshlrev_b32_e32 v6, 2, v0
	v_mov_b32_e32 v7, 0
	v_lshl_add_u64 v[6:7], s[72:73], 0, v[6:7]
	flat_load_dword v5, v[6:7] offset:1024
.LBB1591_5:
	s_or_b64 exec, exec, s[4:5]
	v_or_b32_e32 v1, 0x200, v0
	v_cmp_gt_u32_e64 s[4:5], s55, v1
	v_mov_b32_e32 v6, v2
	s_and_saveexec_b64 s[6:7], s[4:5]
	s_cbranch_execz .LBB1591_7
; %bb.6:
	v_lshlrev_b32_e32 v6, 2, v0
	v_mov_b32_e32 v7, 0
	v_lshl_add_u64 v[6:7], s[72:73], 0, v[6:7]
	flat_load_dword v6, v[6:7] offset:2048
.LBB1591_7:
	;; [unrolled: 12-line block ×3, first 2 shown]
	s_or_b64 exec, exec, s[8:9]
	v_or_b32_e32 v32, 0x400, v0
	v_cmp_gt_u32_e64 s[8:9], s55, v32
	v_mov_b32_e32 v8, v2
	s_and_saveexec_b64 s[10:11], s[8:9]
	s_cbranch_execz .LBB1591_11
; %bb.10:
	v_lshlrev_b32_e32 v8, 2, v32
	v_mov_b32_e32 v9, 0
	v_lshl_add_u64 v[8:9], s[72:73], 0, v[8:9]
	flat_load_dword v8, v[8:9]
.LBB1591_11:
	s_or_b64 exec, exec, s[10:11]
	v_or_b32_e32 v34, 0x500, v0
	v_cmp_gt_u32_e64 s[10:11], s55, v34
	v_mov_b32_e32 v9, v2
	s_and_saveexec_b64 s[12:13], s[10:11]
	s_cbranch_execz .LBB1591_13
; %bb.12:
	v_lshlrev_b32_e32 v10, 2, v34
	v_mov_b32_e32 v11, 0
	v_lshl_add_u64 v[10:11], s[72:73], 0, v[10:11]
	flat_load_dword v9, v[10:11]
.LBB1591_13:
	;; [unrolled: 12-line block ×16, first 2 shown]
	s_or_b64 exec, exec, s[42:43]
	v_or_b32_e32 v64, 0x1400, v0
	v_cmp_gt_u32_e64 s[42:43], s55, v64
	v_mov_b32_e32 v3, 0
	s_and_saveexec_b64 s[46:47], s[42:43]
	s_cbranch_execz .LBB1591_43
; %bb.42:
	v_lshlrev_b32_e32 v2, 2, v64
	v_lshl_add_u64 v[2:3], s[72:73], 0, v[2:3]
	flat_load_dword v2, v[2:3]
.LBB1591_43:
	s_or_b64 exec, exec, s[46:47]
	v_lshlrev_b32_e32 v3, 2, v0
	s_waitcnt vmcnt(0) lgkmcnt(0)
	ds_write2st64_b32 v3, v4, v5 offset1:4
	ds_write2st64_b32 v3, v6, v7 offset0:8 offset1:12
	ds_write2st64_b32 v3, v8, v9 offset0:16 offset1:20
	;; [unrolled: 1-line block ×9, first 2 shown]
	ds_write_b32 v3, v2 offset:20480
	v_mov_b64_e32 v[4:5], s[72:73]
	s_waitcnt lgkmcnt(0)
	s_barrier
	flat_load_dword v80, v[4:5]
	s_movk_i32 s3, 0x50
	v_mad_u32_u24 v2, v0, s3, v3
	s_movk_i32 s3, 0xffb0
	v_mad_i32_i24 v65, v0, s3, v2
	s_movk_i32 s3, 0xff
	v_cmp_ne_u32_e64 s[46:47], s3, v0
	ds_read_b32 v82, v2
	ds_read2_b32 v[24:25], v2 offset0:1 offset1:2
	ds_read2_b32 v[22:23], v2 offset0:3 offset1:4
	;; [unrolled: 1-line block ×10, first 2 shown]
	s_waitcnt lgkmcnt(0)
	ds_write_b32 v65, v82 offset:22528
	s_waitcnt lgkmcnt(0)
	s_barrier
	s_and_saveexec_b64 s[64:65], s[46:47]
	s_cbranch_execz .LBB1591_45
; %bb.44:
	s_waitcnt vmcnt(0)
	ds_read_b32 v80, v3 offset:22532
.LBB1591_45:
	s_or_b64 exec, exec, s[64:65]
	v_mov_b32_e32 v5, 0
	s_waitcnt lgkmcnt(0)
	s_barrier
	s_waitcnt lgkmcnt(0)
                                        ; implicit-def: $vgpr2_vgpr3
	s_and_saveexec_b64 s[46:47], vcc
	s_cbranch_execz .LBB1591_66
; %bb.46:
	v_lshlrev_b32_e32 v4, 3, v0
	v_lshl_add_u64 v[2:3], s[60:61], 0, v[4:5]
	flat_load_dwordx2 v[2:3], v[2:3]
	s_or_b64 exec, exec, s[46:47]
                                        ; implicit-def: $vgpr4_vgpr5
	s_and_saveexec_b64 s[46:47], s[44:45]
	s_cbranch_execnz .LBB1591_67
.LBB1591_47:
	s_or_b64 exec, exec, s[46:47]
                                        ; implicit-def: $vgpr26_vgpr27
	s_and_saveexec_b64 s[44:45], s[4:5]
	s_cbranch_execz .LBB1591_68
.LBB1591_48:
	v_lshlrev_b32_e32 v26, 3, v1
	v_mov_b32_e32 v27, 0
	v_lshl_add_u64 v[26:27], s[60:61], 0, v[26:27]
	flat_load_dwordx2 v[26:27], v[26:27]
	s_or_b64 exec, exec, s[44:45]
                                        ; implicit-def: $vgpr28_vgpr29
	s_and_saveexec_b64 s[4:5], s[6:7]
	s_cbranch_execnz .LBB1591_69
.LBB1591_49:
	s_or_b64 exec, exec, s[4:5]
                                        ; implicit-def: $vgpr30_vgpr31
	s_and_saveexec_b64 s[4:5], s[8:9]
	s_cbranch_execz .LBB1591_70
.LBB1591_50:
	v_lshlrev_b32_e32 v30, 3, v32
	v_mov_b32_e32 v31, 0
	v_lshl_add_u64 v[30:31], s[60:61], 0, v[30:31]
	flat_load_dwordx2 v[30:31], v[30:31]
	s_or_b64 exec, exec, s[4:5]
                                        ; implicit-def: $vgpr32_vgpr33
	s_and_saveexec_b64 s[4:5], s[10:11]
	s_cbranch_execnz .LBB1591_71
.LBB1591_51:
	s_or_b64 exec, exec, s[4:5]
                                        ; implicit-def: $vgpr34_vgpr35
	s_and_saveexec_b64 s[4:5], s[12:13]
	s_cbranch_execz .LBB1591_72
.LBB1591_52:
	v_lshlrev_b32_e32 v34, 3, v36
	v_mov_b32_e32 v35, 0
	v_lshl_add_u64 v[34:35], s[60:61], 0, v[34:35]
	flat_load_dwordx2 v[34:35], v[34:35]
	s_or_b64 exec, exec, s[4:5]
                                        ; implicit-def: $vgpr36_vgpr37
	s_and_saveexec_b64 s[4:5], s[14:15]
	s_cbranch_execnz .LBB1591_73
.LBB1591_53:
	s_or_b64 exec, exec, s[4:5]
                                        ; implicit-def: $vgpr38_vgpr39
	s_and_saveexec_b64 s[4:5], s[16:17]
	s_cbranch_execz .LBB1591_74
.LBB1591_54:
	v_lshlrev_b32_e32 v38, 3, v40
	v_mov_b32_e32 v39, 0
	v_lshl_add_u64 v[38:39], s[60:61], 0, v[38:39]
	flat_load_dwordx2 v[38:39], v[38:39]
	s_or_b64 exec, exec, s[4:5]
                                        ; implicit-def: $vgpr40_vgpr41
	s_and_saveexec_b64 s[4:5], s[18:19]
	s_cbranch_execnz .LBB1591_75
.LBB1591_55:
	s_or_b64 exec, exec, s[4:5]
                                        ; implicit-def: $vgpr42_vgpr43
	s_and_saveexec_b64 s[4:5], s[20:21]
	s_cbranch_execz .LBB1591_76
.LBB1591_56:
	v_lshlrev_b32_e32 v42, 3, v44
	v_mov_b32_e32 v43, 0
	v_lshl_add_u64 v[42:43], s[60:61], 0, v[42:43]
	flat_load_dwordx2 v[42:43], v[42:43]
	s_or_b64 exec, exec, s[4:5]
                                        ; implicit-def: $vgpr44_vgpr45
	s_and_saveexec_b64 s[4:5], s[22:23]
	s_cbranch_execnz .LBB1591_77
.LBB1591_57:
	s_or_b64 exec, exec, s[4:5]
                                        ; implicit-def: $vgpr46_vgpr47
	s_and_saveexec_b64 s[4:5], s[24:25]
	s_cbranch_execz .LBB1591_78
.LBB1591_58:
	v_lshlrev_b32_e32 v46, 3, v48
	v_mov_b32_e32 v47, 0
	v_lshl_add_u64 v[46:47], s[60:61], 0, v[46:47]
	flat_load_dwordx2 v[46:47], v[46:47]
	s_or_b64 exec, exec, s[4:5]
                                        ; implicit-def: $vgpr48_vgpr49
	s_and_saveexec_b64 s[4:5], s[26:27]
	s_cbranch_execnz .LBB1591_79
.LBB1591_59:
	s_or_b64 exec, exec, s[4:5]
                                        ; implicit-def: $vgpr50_vgpr51
	s_and_saveexec_b64 s[4:5], s[28:29]
	s_cbranch_execz .LBB1591_80
.LBB1591_60:
	v_lshlrev_b32_e32 v50, 3, v52
	v_mov_b32_e32 v51, 0
	v_lshl_add_u64 v[50:51], s[60:61], 0, v[50:51]
	flat_load_dwordx2 v[50:51], v[50:51]
	s_or_b64 exec, exec, s[4:5]
                                        ; implicit-def: $vgpr52_vgpr53
	s_and_saveexec_b64 s[4:5], s[30:31]
	s_cbranch_execnz .LBB1591_81
.LBB1591_61:
	s_or_b64 exec, exec, s[4:5]
                                        ; implicit-def: $vgpr54_vgpr55
	s_and_saveexec_b64 s[4:5], s[34:35]
	s_cbranch_execz .LBB1591_82
.LBB1591_62:
	v_lshlrev_b32_e32 v54, 3, v56
	v_mov_b32_e32 v55, 0
	v_lshl_add_u64 v[54:55], s[60:61], 0, v[54:55]
	flat_load_dwordx2 v[54:55], v[54:55]
	s_or_b64 exec, exec, s[4:5]
                                        ; implicit-def: $vgpr56_vgpr57
	s_and_saveexec_b64 s[4:5], s[36:37]
	s_cbranch_execnz .LBB1591_83
.LBB1591_63:
	s_or_b64 exec, exec, s[4:5]
                                        ; implicit-def: $vgpr58_vgpr59
	s_and_saveexec_b64 s[4:5], s[38:39]
	s_cbranch_execz .LBB1591_84
.LBB1591_64:
	v_lshlrev_b32_e32 v58, 3, v60
	v_mov_b32_e32 v59, 0
	v_lshl_add_u64 v[58:59], s[60:61], 0, v[58:59]
	flat_load_dwordx2 v[58:59], v[58:59]
	s_or_b64 exec, exec, s[4:5]
                                        ; implicit-def: $vgpr60_vgpr61
	s_and_saveexec_b64 s[4:5], s[40:41]
	s_cbranch_execz .LBB1591_86
	s_branch .LBB1591_85
.LBB1591_65:
	s_mov_b64 s[10:11], 0
                                        ; implicit-def: $sgpr8_sgpr9
                                        ; implicit-def: $vgpr2_vgpr3
                                        ; implicit-def: $vgpr42_vgpr43
                                        ; implicit-def: $vgpr106
                                        ; implicit-def: $vgpr40_vgpr41
                                        ; implicit-def: $vgpr122
                                        ; implicit-def: $vgpr78_vgpr79
                                        ; implicit-def: $vgpr121
                                        ; implicit-def: $vgpr76_vgpr77
                                        ; implicit-def: $vgpr120
                                        ; implicit-def: $vgpr74_vgpr75
                                        ; implicit-def: $vgpr119
                                        ; implicit-def: $vgpr72_vgpr73
                                        ; implicit-def: $vgpr118
                                        ; implicit-def: $vgpr70_vgpr71
                                        ; implicit-def: $vgpr117
                                        ; implicit-def: $vgpr68_vgpr69
                                        ; implicit-def: $vgpr116
                                        ; implicit-def: $vgpr66_vgpr67
                                        ; implicit-def: $vgpr115
                                        ; implicit-def: $vgpr64_vgpr65
                                        ; implicit-def: $vgpr114
                                        ; implicit-def: $vgpr62_vgpr63
                                        ; implicit-def: $vgpr113
                                        ; implicit-def: $vgpr60_vgpr61
                                        ; implicit-def: $vgpr112
                                        ; implicit-def: $vgpr58_vgpr59
                                        ; implicit-def: $vgpr111
                                        ; implicit-def: $vgpr56_vgpr57
                                        ; implicit-def: $vgpr110
                                        ; implicit-def: $vgpr54_vgpr55
                                        ; implicit-def: $vgpr109
                                        ; implicit-def: $vgpr52_vgpr53
                                        ; implicit-def: $vgpr108
                                        ; implicit-def: $vgpr50_vgpr51
                                        ; implicit-def: $vgpr107
                                        ; implicit-def: $vgpr48_vgpr49
                                        ; implicit-def: $vgpr105
                                        ; implicit-def: $vgpr46_vgpr47
                                        ; implicit-def: $vgpr104
                                        ; implicit-def: $vgpr44_vgpr45
                                        ; implicit-def: $vgpr1
                                        ; implicit-def: $sgpr3
                                        ; implicit-def: $sgpr6_sgpr7
	s_and_b64 vcc, exec, s[4:5]
	s_cbranch_vccz .LBB1591_136
	s_branch .LBB1591_131
.LBB1591_66:
	s_or_b64 exec, exec, s[46:47]
                                        ; implicit-def: $vgpr4_vgpr5
	s_and_saveexec_b64 s[46:47], s[44:45]
	s_cbranch_execz .LBB1591_47
.LBB1591_67:
	v_lshlrev_b32_e32 v4, 3, v0
	v_mov_b32_e32 v5, 0
	v_lshl_add_u64 v[4:5], s[60:61], 0, v[4:5]
	flat_load_dwordx2 v[4:5], v[4:5] offset:2048
	s_or_b64 exec, exec, s[46:47]
                                        ; implicit-def: $vgpr26_vgpr27
	s_and_saveexec_b64 s[44:45], s[4:5]
	s_cbranch_execnz .LBB1591_48
.LBB1591_68:
	s_or_b64 exec, exec, s[44:45]
                                        ; implicit-def: $vgpr28_vgpr29
	s_and_saveexec_b64 s[4:5], s[6:7]
	s_cbranch_execz .LBB1591_49
.LBB1591_69:
	v_lshlrev_b32_e32 v28, 3, v30
	v_mov_b32_e32 v29, 0
	v_lshl_add_u64 v[28:29], s[60:61], 0, v[28:29]
	flat_load_dwordx2 v[28:29], v[28:29]
	s_or_b64 exec, exec, s[4:5]
                                        ; implicit-def: $vgpr30_vgpr31
	s_and_saveexec_b64 s[4:5], s[8:9]
	s_cbranch_execnz .LBB1591_50
.LBB1591_70:
	s_or_b64 exec, exec, s[4:5]
                                        ; implicit-def: $vgpr32_vgpr33
	s_and_saveexec_b64 s[4:5], s[10:11]
	s_cbranch_execz .LBB1591_51
.LBB1591_71:
	v_lshlrev_b32_e32 v32, 3, v34
	v_mov_b32_e32 v33, 0
	v_lshl_add_u64 v[32:33], s[60:61], 0, v[32:33]
	flat_load_dwordx2 v[32:33], v[32:33]
	s_or_b64 exec, exec, s[4:5]
                                        ; implicit-def: $vgpr34_vgpr35
	s_and_saveexec_b64 s[4:5], s[12:13]
	s_cbranch_execnz .LBB1591_52
.LBB1591_72:
	s_or_b64 exec, exec, s[4:5]
                                        ; implicit-def: $vgpr36_vgpr37
	s_and_saveexec_b64 s[4:5], s[14:15]
	s_cbranch_execz .LBB1591_53
.LBB1591_73:
	v_lshlrev_b32_e32 v36, 3, v38
	v_mov_b32_e32 v37, 0
	v_lshl_add_u64 v[36:37], s[60:61], 0, v[36:37]
	flat_load_dwordx2 v[36:37], v[36:37]
	s_or_b64 exec, exec, s[4:5]
                                        ; implicit-def: $vgpr38_vgpr39
	s_and_saveexec_b64 s[4:5], s[16:17]
	s_cbranch_execnz .LBB1591_54
.LBB1591_74:
	s_or_b64 exec, exec, s[4:5]
                                        ; implicit-def: $vgpr40_vgpr41
	s_and_saveexec_b64 s[4:5], s[18:19]
	s_cbranch_execz .LBB1591_55
.LBB1591_75:
	v_lshlrev_b32_e32 v40, 3, v42
	v_mov_b32_e32 v41, 0
	v_lshl_add_u64 v[40:41], s[60:61], 0, v[40:41]
	flat_load_dwordx2 v[40:41], v[40:41]
	s_or_b64 exec, exec, s[4:5]
                                        ; implicit-def: $vgpr42_vgpr43
	s_and_saveexec_b64 s[4:5], s[20:21]
	s_cbranch_execnz .LBB1591_56
.LBB1591_76:
	s_or_b64 exec, exec, s[4:5]
                                        ; implicit-def: $vgpr44_vgpr45
	s_and_saveexec_b64 s[4:5], s[22:23]
	s_cbranch_execz .LBB1591_57
.LBB1591_77:
	v_lshlrev_b32_e32 v44, 3, v46
	v_mov_b32_e32 v45, 0
	v_lshl_add_u64 v[44:45], s[60:61], 0, v[44:45]
	flat_load_dwordx2 v[44:45], v[44:45]
	s_or_b64 exec, exec, s[4:5]
                                        ; implicit-def: $vgpr46_vgpr47
	s_and_saveexec_b64 s[4:5], s[24:25]
	s_cbranch_execnz .LBB1591_58
.LBB1591_78:
	s_or_b64 exec, exec, s[4:5]
                                        ; implicit-def: $vgpr48_vgpr49
	s_and_saveexec_b64 s[4:5], s[26:27]
	s_cbranch_execz .LBB1591_59
.LBB1591_79:
	v_lshlrev_b32_e32 v48, 3, v50
	v_mov_b32_e32 v49, 0
	v_lshl_add_u64 v[48:49], s[60:61], 0, v[48:49]
	flat_load_dwordx2 v[48:49], v[48:49]
	s_or_b64 exec, exec, s[4:5]
                                        ; implicit-def: $vgpr50_vgpr51
	s_and_saveexec_b64 s[4:5], s[28:29]
	s_cbranch_execnz .LBB1591_60
.LBB1591_80:
	s_or_b64 exec, exec, s[4:5]
                                        ; implicit-def: $vgpr52_vgpr53
	s_and_saveexec_b64 s[4:5], s[30:31]
	s_cbranch_execz .LBB1591_61
.LBB1591_81:
	v_lshlrev_b32_e32 v52, 3, v54
	v_mov_b32_e32 v53, 0
	v_lshl_add_u64 v[52:53], s[60:61], 0, v[52:53]
	flat_load_dwordx2 v[52:53], v[52:53]
	s_or_b64 exec, exec, s[4:5]
                                        ; implicit-def: $vgpr54_vgpr55
	s_and_saveexec_b64 s[4:5], s[34:35]
	s_cbranch_execnz .LBB1591_62
.LBB1591_82:
	s_or_b64 exec, exec, s[4:5]
                                        ; implicit-def: $vgpr56_vgpr57
	s_and_saveexec_b64 s[4:5], s[36:37]
	s_cbranch_execz .LBB1591_63
.LBB1591_83:
	v_lshlrev_b32_e32 v56, 3, v58
	v_mov_b32_e32 v57, 0
	v_lshl_add_u64 v[56:57], s[60:61], 0, v[56:57]
	flat_load_dwordx2 v[56:57], v[56:57]
	s_or_b64 exec, exec, s[4:5]
                                        ; implicit-def: $vgpr58_vgpr59
	s_and_saveexec_b64 s[4:5], s[38:39]
	s_cbranch_execnz .LBB1591_64
.LBB1591_84:
	s_or_b64 exec, exec, s[4:5]
                                        ; implicit-def: $vgpr60_vgpr61
	s_and_saveexec_b64 s[4:5], s[40:41]
	s_cbranch_execz .LBB1591_86
.LBB1591_85:
	v_lshlrev_b32_e32 v60, 3, v62
	v_mov_b32_e32 v61, 0
	v_lshl_add_u64 v[60:61], s[60:61], 0, v[60:61]
	flat_load_dwordx2 v[60:61], v[60:61]
.LBB1591_86:
	s_or_b64 exec, exec, s[4:5]
	v_mul_u32_u24_e32 v81, 21, v0
                                        ; implicit-def: $vgpr62_vgpr63
	s_and_saveexec_b64 s[4:5], s[42:43]
	s_cbranch_execz .LBB1591_88
; %bb.87:
	v_lshlrev_b32_e32 v62, 3, v64
	v_mov_b32_e32 v63, 0
	v_lshl_add_u64 v[62:63], s[60:61], 0, v[62:63]
	flat_load_dwordx2 v[62:63], v[62:63]
.LBB1591_88:
	s_or_b64 exec, exec, s[4:5]
	v_lshl_add_u32 v83, v0, 2, v65
	s_waitcnt vmcnt(0) lgkmcnt(0)
	ds_write2st64_b64 v83, v[2:3], v[4:5] offset1:4
	ds_write2st64_b64 v83, v[26:27], v[28:29] offset0:8 offset1:12
	ds_write2st64_b64 v83, v[30:31], v[32:33] offset0:16 offset1:20
	;; [unrolled: 1-line block ×9, first 2 shown]
	ds_write_b64 v83, v[62:63] offset:40960
	v_mov_b64_e32 v[42:43], 0
	v_cmp_gt_u32_e32 vcc, s55, v81
	s_mov_b64 s[10:11], 0
	s_mov_b32 s3, 0
	s_mov_b64 s[4:5], 0
	v_mov_b32_e32 v106, 0
	v_mov_b64_e32 v[40:41], v[42:43]
	v_mov_b32_e32 v122, 0
	v_mov_b64_e32 v[78:79], v[42:43]
	;; [unrolled: 2-line block ×19, first 2 shown]
	v_mov_b32_e32 v1, 0
	s_waitcnt lgkmcnt(0)
	s_barrier
	s_waitcnt lgkmcnt(0)
                                        ; implicit-def: $sgpr8_sgpr9
                                        ; implicit-def: $vgpr2_vgpr3
	s_and_saveexec_b64 s[6:7], vcc
	s_cbranch_execz .LBB1591_130
; %bb.89:
	s_movk_i32 s8, 0xa0
	v_mad_u32_u24 v1, v0, s8, v83
	ds_read_b64 v[2:3], v1
	v_cmp_ne_u32_e32 vcc, v82, v24
	v_mov_b32_e32 v5, s69
	v_add_u32_e32 v4, 1, v81
	v_mov_b64_e32 v[40:41], 0
	s_waitcnt lgkmcnt(0)
	v_cndmask_b32_e32 v43, v3, v5, vcc
	v_mov_b32_e32 v3, s68
	v_cndmask_b32_e64 v1, 0, 1, vcc
	v_cndmask_b32_e32 v42, v2, v3, vcc
	v_cmp_gt_u32_e32 vcc, s55, v4
	s_mov_b64 s[12:13], 0
	v_mov_b32_e32 v106, 0
	v_mov_b32_e32 v122, 0
	v_mov_b64_e32 v[78:79], v[40:41]
	v_mov_b32_e32 v121, 0
	v_mov_b64_e32 v[76:77], v[40:41]
	;; [unrolled: 2-line block ×18, first 2 shown]
                                        ; implicit-def: $sgpr14_sgpr15
                                        ; implicit-def: $vgpr2_vgpr3
	s_and_saveexec_b64 s[8:9], vcc
	s_cbranch_execz .LBB1591_129
; %bb.90:
	v_mul_u32_u24_e32 v2, 0xa0, v0
	v_add_u32_e32 v26, v83, v2
	ds_read2_b64 v[2:5], v26 offset0:1 offset1:2
	v_cmp_ne_u32_e32 vcc, v24, v25
	v_mov_b32_e32 v24, s69
	v_add_u32_e32 v27, 2, v81
	v_mov_b64_e32 v[40:41], 0
	s_waitcnt lgkmcnt(0)
	v_cndmask_b32_e32 v45, v3, v24, vcc
	v_mov_b32_e32 v3, s68
	v_cndmask_b32_e64 v104, 0, 1, vcc
	v_cndmask_b32_e32 v44, v2, v3, vcc
	v_cmp_gt_u32_e32 vcc, s55, v27
	s_mov_b64 s[14:15], 0
	v_mov_b32_e32 v106, 0
	v_mov_b32_e32 v122, 0
	v_mov_b64_e32 v[78:79], v[40:41]
	v_mov_b32_e32 v121, 0
	v_mov_b64_e32 v[76:77], v[40:41]
	;; [unrolled: 2-line block ×17, first 2 shown]
                                        ; implicit-def: $sgpr16_sgpr17
                                        ; implicit-def: $vgpr2_vgpr3
	s_and_saveexec_b64 s[10:11], vcc
	s_cbranch_execz .LBB1591_128
; %bb.91:
	v_cmp_ne_u32_e32 vcc, v25, v22
	v_mov_b32_e32 v3, s69
	v_add_u32_e32 v2, 3, v81
	v_cndmask_b32_e32 v47, v5, v3, vcc
	v_mov_b32_e32 v3, s68
	v_mov_b64_e32 v[40:41], 0
	v_cndmask_b32_e64 v105, 0, 1, vcc
	v_cndmask_b32_e32 v46, v4, v3, vcc
	v_cmp_gt_u32_e32 vcc, s55, v2
	s_mov_b64 s[16:17], 0
	v_mov_b32_e32 v106, 0
	v_mov_b32_e32 v122, 0
	v_mov_b64_e32 v[78:79], v[40:41]
	v_mov_b32_e32 v121, 0
	v_mov_b64_e32 v[76:77], v[40:41]
	;; [unrolled: 2-line block ×16, first 2 shown]
                                        ; implicit-def: $sgpr18_sgpr19
                                        ; implicit-def: $vgpr2_vgpr3
	s_and_saveexec_b64 s[12:13], vcc
	s_cbranch_execz .LBB1591_127
; %bb.92:
	ds_read2_b64 v[2:5], v26 offset0:3 offset1:4
	v_cmp_ne_u32_e32 vcc, v22, v23
	v_mov_b32_e32 v22, s69
	v_add_u32_e32 v24, 4, v81
	v_mov_b64_e32 v[40:41], 0
	s_waitcnt lgkmcnt(0)
	v_cndmask_b32_e32 v49, v3, v22, vcc
	v_mov_b32_e32 v3, s68
	v_cndmask_b32_e64 v107, 0, 1, vcc
	v_cndmask_b32_e32 v48, v2, v3, vcc
	v_cmp_gt_u32_e32 vcc, s55, v24
	s_mov_b64 s[18:19], 0
	v_mov_b32_e32 v106, 0
	v_mov_b32_e32 v122, 0
	v_mov_b64_e32 v[78:79], v[40:41]
	v_mov_b32_e32 v121, 0
	v_mov_b64_e32 v[76:77], v[40:41]
	;; [unrolled: 2-line block ×15, first 2 shown]
                                        ; implicit-def: $sgpr20_sgpr21
                                        ; implicit-def: $vgpr2_vgpr3
	s_and_saveexec_b64 s[14:15], vcc
	s_cbranch_execz .LBB1591_126
; %bb.93:
	v_cmp_ne_u32_e32 vcc, v23, v20
	v_mov_b32_e32 v3, s69
	v_add_u32_e32 v2, 5, v81
	v_cndmask_b32_e32 v51, v5, v3, vcc
	v_mov_b32_e32 v3, s68
	v_mov_b64_e32 v[40:41], 0
	v_cndmask_b32_e64 v108, 0, 1, vcc
	v_cndmask_b32_e32 v50, v4, v3, vcc
	v_cmp_gt_u32_e32 vcc, s55, v2
	s_mov_b64 s[20:21], 0
	v_mov_b32_e32 v106, 0
	v_mov_b32_e32 v122, 0
	v_mov_b64_e32 v[78:79], v[40:41]
	v_mov_b32_e32 v121, 0
	v_mov_b64_e32 v[76:77], v[40:41]
	;; [unrolled: 2-line block ×14, first 2 shown]
                                        ; implicit-def: $sgpr22_sgpr23
                                        ; implicit-def: $vgpr2_vgpr3
	s_and_saveexec_b64 s[16:17], vcc
	s_cbranch_execz .LBB1591_125
; %bb.94:
	ds_read2_b64 v[2:5], v26 offset0:5 offset1:6
	v_cmp_ne_u32_e32 vcc, v20, v21
	v_mov_b32_e32 v20, s69
	v_add_u32_e32 v22, 6, v81
	v_mov_b64_e32 v[40:41], 0
	s_waitcnt lgkmcnt(0)
	v_cndmask_b32_e32 v53, v3, v20, vcc
	v_mov_b32_e32 v3, s68
	v_cndmask_b32_e64 v109, 0, 1, vcc
	v_cndmask_b32_e32 v52, v2, v3, vcc
	v_cmp_gt_u32_e32 vcc, s55, v22
	s_mov_b64 s[22:23], 0
	v_mov_b32_e32 v106, 0
	v_mov_b32_e32 v122, 0
	v_mov_b64_e32 v[78:79], v[40:41]
	v_mov_b32_e32 v121, 0
	v_mov_b64_e32 v[76:77], v[40:41]
	;; [unrolled: 2-line block ×13, first 2 shown]
                                        ; implicit-def: $sgpr24_sgpr25
                                        ; implicit-def: $vgpr2_vgpr3
	s_and_saveexec_b64 s[18:19], vcc
	s_cbranch_execz .LBB1591_124
; %bb.95:
	v_cmp_ne_u32_e32 vcc, v21, v18
	v_mov_b32_e32 v3, s69
	v_add_u32_e32 v2, 7, v81
	v_cndmask_b32_e32 v55, v5, v3, vcc
	v_mov_b32_e32 v3, s68
	v_mov_b64_e32 v[40:41], 0
	v_cndmask_b32_e64 v110, 0, 1, vcc
	v_cndmask_b32_e32 v54, v4, v3, vcc
	v_cmp_gt_u32_e32 vcc, s55, v2
	s_mov_b64 s[24:25], 0
	v_mov_b32_e32 v106, 0
	v_mov_b32_e32 v122, 0
	v_mov_b64_e32 v[78:79], v[40:41]
	v_mov_b32_e32 v121, 0
	v_mov_b64_e32 v[76:77], v[40:41]
	v_mov_b32_e32 v120, 0
	v_mov_b64_e32 v[74:75], v[40:41]
	v_mov_b32_e32 v119, 0
	v_mov_b64_e32 v[72:73], v[40:41]
	v_mov_b32_e32 v118, 0
	v_mov_b64_e32 v[70:71], v[40:41]
	v_mov_b32_e32 v117, 0
	v_mov_b64_e32 v[68:69], v[40:41]
	v_mov_b32_e32 v116, 0
	v_mov_b64_e32 v[66:67], v[40:41]
	v_mov_b32_e32 v115, 0
	v_mov_b64_e32 v[64:65], v[40:41]
	v_mov_b32_e32 v114, 0
	v_mov_b64_e32 v[62:63], v[40:41]
	v_mov_b32_e32 v113, 0
	v_mov_b64_e32 v[60:61], v[40:41]
	v_mov_b32_e32 v112, 0
	v_mov_b64_e32 v[58:59], v[40:41]
	v_mov_b32_e32 v111, 0
	v_mov_b64_e32 v[56:57], v[40:41]
                                        ; implicit-def: $sgpr26_sgpr27
                                        ; implicit-def: $vgpr2_vgpr3
	s_and_saveexec_b64 s[20:21], vcc
	s_cbranch_execz .LBB1591_123
; %bb.96:
	ds_read2_b64 v[2:5], v26 offset0:7 offset1:8
	v_cmp_ne_u32_e32 vcc, v18, v19
	v_mov_b32_e32 v18, s69
	v_add_u32_e32 v20, 8, v81
	v_mov_b64_e32 v[40:41], 0
	s_waitcnt lgkmcnt(0)
	v_cndmask_b32_e32 v57, v3, v18, vcc
	v_mov_b32_e32 v3, s68
	v_cndmask_b32_e64 v111, 0, 1, vcc
	v_cndmask_b32_e32 v56, v2, v3, vcc
	v_cmp_gt_u32_e32 vcc, s55, v20
	s_mov_b64 s[26:27], 0
	v_mov_b32_e32 v106, 0
	v_mov_b32_e32 v122, 0
	v_mov_b64_e32 v[78:79], v[40:41]
	v_mov_b32_e32 v121, 0
	v_mov_b64_e32 v[76:77], v[40:41]
	;; [unrolled: 2-line block ×11, first 2 shown]
                                        ; implicit-def: $sgpr28_sgpr29
                                        ; implicit-def: $vgpr2_vgpr3
	s_and_saveexec_b64 s[22:23], vcc
	s_cbranch_execz .LBB1591_122
; %bb.97:
	v_cmp_ne_u32_e32 vcc, v19, v16
	v_mov_b32_e32 v3, s69
	v_add_u32_e32 v2, 9, v81
	v_cndmask_b32_e32 v59, v5, v3, vcc
	v_mov_b32_e32 v3, s68
	v_mov_b64_e32 v[40:41], 0
	v_cndmask_b32_e64 v112, 0, 1, vcc
	v_cndmask_b32_e32 v58, v4, v3, vcc
	v_cmp_gt_u32_e32 vcc, s55, v2
	s_mov_b64 s[28:29], 0
	v_mov_b32_e32 v106, 0
	v_mov_b32_e32 v122, 0
	v_mov_b64_e32 v[78:79], v[40:41]
	v_mov_b32_e32 v121, 0
	v_mov_b64_e32 v[76:77], v[40:41]
	;; [unrolled: 2-line block ×10, first 2 shown]
                                        ; implicit-def: $sgpr30_sgpr31
                                        ; implicit-def: $vgpr2_vgpr3
	s_and_saveexec_b64 s[24:25], vcc
	s_cbranch_execz .LBB1591_121
; %bb.98:
	ds_read2_b64 v[2:5], v26 offset0:9 offset1:10
	v_cmp_ne_u32_e32 vcc, v16, v17
	v_mov_b32_e32 v16, s69
	v_add_u32_e32 v18, 10, v81
	v_mov_b64_e32 v[40:41], 0
	s_waitcnt lgkmcnt(0)
	v_cndmask_b32_e32 v61, v3, v16, vcc
	v_mov_b32_e32 v3, s68
	v_cndmask_b32_e64 v113, 0, 1, vcc
	v_cndmask_b32_e32 v60, v2, v3, vcc
	v_cmp_gt_u32_e32 vcc, s55, v18
	s_mov_b64 s[30:31], 0
	v_mov_b32_e32 v106, 0
	v_mov_b32_e32 v122, 0
	v_mov_b64_e32 v[78:79], v[40:41]
	v_mov_b32_e32 v121, 0
	v_mov_b64_e32 v[76:77], v[40:41]
	v_mov_b32_e32 v120, 0
	v_mov_b64_e32 v[74:75], v[40:41]
	v_mov_b32_e32 v119, 0
	v_mov_b64_e32 v[72:73], v[40:41]
	v_mov_b32_e32 v118, 0
	v_mov_b64_e32 v[70:71], v[40:41]
	v_mov_b32_e32 v117, 0
	v_mov_b64_e32 v[68:69], v[40:41]
	v_mov_b32_e32 v116, 0
	v_mov_b64_e32 v[66:67], v[40:41]
	v_mov_b32_e32 v115, 0
	v_mov_b64_e32 v[64:65], v[40:41]
	v_mov_b32_e32 v114, 0
	v_mov_b64_e32 v[62:63], v[40:41]
                                        ; implicit-def: $sgpr34_sgpr35
                                        ; implicit-def: $vgpr2_vgpr3
	s_and_saveexec_b64 s[26:27], vcc
	s_cbranch_execz .LBB1591_120
; %bb.99:
	v_cmp_ne_u32_e32 vcc, v17, v14
	v_mov_b32_e32 v3, s69
	v_add_u32_e32 v2, 11, v81
	v_cndmask_b32_e32 v63, v5, v3, vcc
	v_mov_b32_e32 v3, s68
	v_mov_b64_e32 v[40:41], 0
	v_cndmask_b32_e64 v114, 0, 1, vcc
	v_cndmask_b32_e32 v62, v4, v3, vcc
	v_cmp_gt_u32_e32 vcc, s55, v2
	s_mov_b64 s[34:35], 0
	v_mov_b32_e32 v106, 0
	v_mov_b32_e32 v122, 0
	v_mov_b64_e32 v[78:79], v[40:41]
	v_mov_b32_e32 v121, 0
	v_mov_b64_e32 v[76:77], v[40:41]
	;; [unrolled: 2-line block ×8, first 2 shown]
                                        ; implicit-def: $sgpr36_sgpr37
                                        ; implicit-def: $vgpr2_vgpr3
	s_and_saveexec_b64 s[28:29], vcc
	s_cbranch_execz .LBB1591_119
; %bb.100:
	ds_read2_b64 v[2:5], v26 offset0:11 offset1:12
	v_cmp_ne_u32_e32 vcc, v14, v15
	v_mov_b32_e32 v14, s69
	v_add_u32_e32 v16, 12, v81
	v_mov_b64_e32 v[40:41], 0
	s_waitcnt lgkmcnt(0)
	v_cndmask_b32_e32 v65, v3, v14, vcc
	v_mov_b32_e32 v3, s68
	v_cndmask_b32_e64 v115, 0, 1, vcc
	v_cndmask_b32_e32 v64, v2, v3, vcc
	v_cmp_gt_u32_e32 vcc, s55, v16
	s_mov_b64 s[36:37], 0
	v_mov_b32_e32 v106, 0
	v_mov_b32_e32 v122, 0
	v_mov_b64_e32 v[78:79], v[40:41]
	v_mov_b32_e32 v121, 0
	v_mov_b64_e32 v[76:77], v[40:41]
	;; [unrolled: 2-line block ×7, first 2 shown]
                                        ; implicit-def: $sgpr38_sgpr39
                                        ; implicit-def: $vgpr2_vgpr3
	s_and_saveexec_b64 s[30:31], vcc
	s_cbranch_execz .LBB1591_118
; %bb.101:
	v_cmp_ne_u32_e32 vcc, v15, v12
	v_mov_b32_e32 v3, s69
	v_add_u32_e32 v2, 13, v81
	v_cndmask_b32_e32 v67, v5, v3, vcc
	v_mov_b32_e32 v3, s68
	v_mov_b64_e32 v[40:41], 0
	v_cndmask_b32_e64 v116, 0, 1, vcc
	v_cndmask_b32_e32 v66, v4, v3, vcc
	v_cmp_gt_u32_e32 vcc, s55, v2
	s_mov_b64 s[38:39], 0
	v_mov_b32_e32 v106, 0
	v_mov_b32_e32 v122, 0
	v_mov_b64_e32 v[78:79], v[40:41]
	v_mov_b32_e32 v121, 0
	v_mov_b64_e32 v[76:77], v[40:41]
	;; [unrolled: 2-line block ×6, first 2 shown]
                                        ; implicit-def: $sgpr40_sgpr41
                                        ; implicit-def: $vgpr2_vgpr3
	s_and_saveexec_b64 s[34:35], vcc
	s_cbranch_execz .LBB1591_117
; %bb.102:
	ds_read2_b64 v[2:5], v26 offset0:13 offset1:14
	v_cmp_ne_u32_e32 vcc, v12, v13
	v_mov_b32_e32 v12, s69
	v_add_u32_e32 v14, 14, v81
	v_mov_b64_e32 v[40:41], 0
	s_waitcnt lgkmcnt(0)
	v_cndmask_b32_e32 v69, v3, v12, vcc
	v_mov_b32_e32 v3, s68
	v_cndmask_b32_e64 v117, 0, 1, vcc
	v_cndmask_b32_e32 v68, v2, v3, vcc
	v_cmp_gt_u32_e32 vcc, s55, v14
	s_mov_b64 s[40:41], 0
	v_mov_b32_e32 v106, 0
	v_mov_b32_e32 v122, 0
	v_mov_b64_e32 v[78:79], v[40:41]
	v_mov_b32_e32 v121, 0
	v_mov_b64_e32 v[76:77], v[40:41]
	;; [unrolled: 2-line block ×5, first 2 shown]
                                        ; implicit-def: $sgpr42_sgpr43
                                        ; implicit-def: $vgpr2_vgpr3
	s_and_saveexec_b64 s[36:37], vcc
	s_cbranch_execz .LBB1591_116
; %bb.103:
	v_cmp_ne_u32_e32 vcc, v13, v10
	v_mov_b32_e32 v3, s69
	v_add_u32_e32 v2, 15, v81
	v_cndmask_b32_e32 v71, v5, v3, vcc
	v_mov_b32_e32 v3, s68
	v_mov_b64_e32 v[40:41], 0
	v_cndmask_b32_e64 v118, 0, 1, vcc
	v_cndmask_b32_e32 v70, v4, v3, vcc
	v_cmp_gt_u32_e32 vcc, s55, v2
	s_mov_b64 s[42:43], 0
	v_mov_b32_e32 v106, 0
	v_mov_b32_e32 v122, 0
	v_mov_b64_e32 v[78:79], v[40:41]
	v_mov_b32_e32 v121, 0
	v_mov_b64_e32 v[76:77], v[40:41]
	;; [unrolled: 2-line block ×4, first 2 shown]
                                        ; implicit-def: $sgpr44_sgpr45
                                        ; implicit-def: $vgpr2_vgpr3
	s_and_saveexec_b64 s[38:39], vcc
	s_cbranch_execz .LBB1591_115
; %bb.104:
	ds_read2_b64 v[2:5], v26 offset0:15 offset1:16
	v_cmp_ne_u32_e32 vcc, v10, v11
	v_mov_b32_e32 v10, s69
	v_add_u32_e32 v12, 16, v81
	v_mov_b64_e32 v[40:41], 0
	s_waitcnt lgkmcnt(0)
	v_cndmask_b32_e32 v73, v3, v10, vcc
	v_mov_b32_e32 v3, s68
	v_cndmask_b32_e64 v119, 0, 1, vcc
	v_cndmask_b32_e32 v72, v2, v3, vcc
	v_cmp_gt_u32_e32 vcc, s55, v12
	s_mov_b64 s[44:45], 0
	v_mov_b32_e32 v106, 0
	v_mov_b32_e32 v122, 0
	v_mov_b64_e32 v[78:79], v[40:41]
	v_mov_b32_e32 v121, 0
	v_mov_b64_e32 v[76:77], v[40:41]
	;; [unrolled: 2-line block ×3, first 2 shown]
                                        ; implicit-def: $sgpr46_sgpr47
                                        ; implicit-def: $vgpr2_vgpr3
	s_and_saveexec_b64 s[40:41], vcc
	s_cbranch_execz .LBB1591_114
; %bb.105:
	v_cmp_ne_u32_e32 vcc, v11, v8
	v_mov_b32_e32 v3, s69
	v_add_u32_e32 v2, 17, v81
	v_cndmask_b32_e32 v75, v5, v3, vcc
	v_mov_b32_e32 v3, s68
	v_mov_b64_e32 v[40:41], 0
	v_cndmask_b32_e64 v120, 0, 1, vcc
	v_cndmask_b32_e32 v74, v4, v3, vcc
	v_cmp_gt_u32_e32 vcc, s55, v2
	s_mov_b64 s[46:47], 0
	v_mov_b32_e32 v106, 0
	v_mov_b32_e32 v122, 0
	v_mov_b64_e32 v[78:79], v[40:41]
	v_mov_b32_e32 v121, 0
	v_mov_b64_e32 v[76:77], v[40:41]
                                        ; implicit-def: $sgpr64_sgpr65
                                        ; implicit-def: $vgpr2_vgpr3
	s_and_saveexec_b64 s[42:43], vcc
	s_cbranch_execz .LBB1591_113
; %bb.106:
	ds_read2_b64 v[2:5], v26 offset0:17 offset1:18
	v_cmp_ne_u32_e32 vcc, v8, v9
	v_mov_b32_e32 v8, s69
	v_add_u32_e32 v10, 18, v81
	v_mov_b64_e32 v[40:41], 0
	s_waitcnt lgkmcnt(0)
	v_cndmask_b32_e32 v77, v3, v8, vcc
	v_mov_b32_e32 v3, s68
	v_cndmask_b32_e64 v121, 0, 1, vcc
	v_cndmask_b32_e32 v76, v2, v3, vcc
	v_cmp_gt_u32_e32 vcc, s55, v10
	s_mov_b64 s[64:65], 0
	v_mov_b32_e32 v106, 0
	v_mov_b32_e32 v122, 0
	v_mov_b64_e32 v[78:79], v[40:41]
                                        ; implicit-def: $sgpr74_sgpr75
                                        ; implicit-def: $vgpr2_vgpr3
	s_and_saveexec_b64 s[44:45], vcc
	s_cbranch_execz .LBB1591_112
; %bb.107:
	v_cmp_ne_u32_e32 vcc, v9, v6
	v_mov_b32_e32 v3, s69
	v_add_u32_e32 v2, 19, v81
	v_cndmask_b32_e32 v79, v5, v3, vcc
	v_mov_b32_e32 v3, s68
	v_cndmask_b32_e64 v122, 0, 1, vcc
	v_cndmask_b32_e32 v78, v4, v3, vcc
	v_cmp_gt_u32_e32 vcc, s55, v2
	v_mov_b32_e32 v106, 0
	v_mov_b64_e32 v[40:41], 0
                                        ; implicit-def: $sgpr74_sgpr75
                                        ; implicit-def: $vgpr2_vgpr3
	s_and_saveexec_b64 s[46:47], vcc
	s_cbranch_execz .LBB1591_111
; %bb.108:
	ds_read2_b64 v[2:5], v26 offset0:19 offset1:20
	v_cmp_ne_u32_e32 vcc, v6, v7
	v_mov_b32_e32 v6, s69
	v_add_u32_e32 v8, 20, v81
	v_cndmask_b32_e64 v106, 0, 1, vcc
	s_waitcnt lgkmcnt(0)
	v_cndmask_b32_e32 v41, v3, v6, vcc
	v_mov_b32_e32 v3, s68
	v_cndmask_b32_e32 v40, v2, v3, vcc
	v_cmp_gt_u32_e32 vcc, s55, v8
                                        ; implicit-def: $sgpr74_sgpr75
                                        ; implicit-def: $vgpr2_vgpr3
	s_and_saveexec_b64 s[76:77], vcc
	s_xor_b64 s[76:77], exec, s[76:77]
; %bb.109:
	v_mov_b32_e32 v2, s69
	v_cmp_ne_u32_e32 vcc, v7, v80
	s_mov_b64 s[64:65], exec
	s_and_b64 s[74:75], vcc, exec
	v_cndmask_b32_e32 v3, v5, v2, vcc
	v_mov_b32_e32 v2, s68
	v_cndmask_b32_e32 v2, v4, v2, vcc
; %bb.110:
	s_or_b64 exec, exec, s[76:77]
	s_and_b64 s[74:75], s[74:75], exec
	s_and_b64 s[64:65], s[64:65], exec
.LBB1591_111:
	s_or_b64 exec, exec, s[46:47]
	s_and_b64 s[74:75], s[74:75], exec
	s_and_b64 s[46:47], s[64:65], exec
.LBB1591_112:
	s_or_b64 exec, exec, s[44:45]
	s_and_b64 s[64:65], s[74:75], exec
	s_and_b64 s[44:45], s[46:47], exec
.LBB1591_113:
	s_or_b64 exec, exec, s[42:43]
	s_and_b64 s[46:47], s[64:65], exec
	s_and_b64 s[42:43], s[44:45], exec
.LBB1591_114:
	s_or_b64 exec, exec, s[40:41]
	s_and_b64 s[44:45], s[46:47], exec
	s_and_b64 s[40:41], s[42:43], exec
.LBB1591_115:
	s_or_b64 exec, exec, s[38:39]
	s_and_b64 s[42:43], s[44:45], exec
	s_and_b64 s[38:39], s[40:41], exec
.LBB1591_116:
	s_or_b64 exec, exec, s[36:37]
	s_and_b64 s[40:41], s[42:43], exec
	s_and_b64 s[36:37], s[38:39], exec
.LBB1591_117:
	s_or_b64 exec, exec, s[34:35]
	s_and_b64 s[38:39], s[40:41], exec
	s_and_b64 s[34:35], s[36:37], exec
.LBB1591_118:
	s_or_b64 exec, exec, s[30:31]
	s_and_b64 s[36:37], s[38:39], exec
	s_and_b64 s[30:31], s[34:35], exec
.LBB1591_119:
	s_or_b64 exec, exec, s[28:29]
	s_and_b64 s[34:35], s[36:37], exec
	s_and_b64 s[28:29], s[30:31], exec
.LBB1591_120:
	s_or_b64 exec, exec, s[26:27]
	s_and_b64 s[30:31], s[34:35], exec
	s_and_b64 s[26:27], s[28:29], exec
.LBB1591_121:
	s_or_b64 exec, exec, s[24:25]
	s_and_b64 s[28:29], s[30:31], exec
	s_and_b64 s[24:25], s[26:27], exec
.LBB1591_122:
	s_or_b64 exec, exec, s[22:23]
	s_and_b64 s[26:27], s[28:29], exec
	s_and_b64 s[22:23], s[24:25], exec
.LBB1591_123:
	s_or_b64 exec, exec, s[20:21]
	s_and_b64 s[24:25], s[26:27], exec
	s_and_b64 s[20:21], s[22:23], exec
.LBB1591_124:
	s_or_b64 exec, exec, s[18:19]
	s_and_b64 s[22:23], s[24:25], exec
	s_and_b64 s[18:19], s[20:21], exec
.LBB1591_125:
	s_or_b64 exec, exec, s[16:17]
	s_and_b64 s[20:21], s[22:23], exec
	s_and_b64 s[16:17], s[18:19], exec
.LBB1591_126:
	s_or_b64 exec, exec, s[14:15]
	s_and_b64 s[18:19], s[20:21], exec
	s_and_b64 s[14:15], s[16:17], exec
.LBB1591_127:
	s_or_b64 exec, exec, s[12:13]
	s_and_b64 s[16:17], s[18:19], exec
	s_and_b64 s[12:13], s[14:15], exec
.LBB1591_128:
	s_or_b64 exec, exec, s[10:11]
	s_and_b64 s[14:15], s[16:17], exec
	s_and_b64 s[10:11], s[12:13], exec
.LBB1591_129:
	s_or_b64 exec, exec, s[8:9]
	s_and_b64 s[8:9], s[14:15], exec
	s_and_b64 s[10:11], s[10:11], exec
.LBB1591_130:
	s_or_b64 exec, exec, s[6:7]
	s_mov_b64 s[6:7], 0
	s_and_b64 vcc, exec, s[4:5]
	s_cbranch_vccz .LBB1591_136
.LBB1591_131:
	v_mov_b32_e32 v3, 0
	v_lshlrev_b32_e32 v2, 2, v0
	v_lshl_add_u64 v[4:5], s[72:73], 0, v[2:3]
	v_add_co_u32_e32 v6, vcc, 0x1000, v4
	s_movk_i32 s4, 0x50
	s_nop 0
	v_addc_co_u32_e32 v7, vcc, 0, v5, vcc
	flat_load_dword v1, v[4:5]
	flat_load_dword v10, v[4:5] offset:1024
	flat_load_dword v11, v[4:5] offset:2048
	;; [unrolled: 1-line block ×3, first 2 shown]
	flat_load_dword v13, v[6:7]
	flat_load_dword v14, v[6:7] offset:1024
	flat_load_dword v15, v[6:7] offset:2048
	flat_load_dword v16, v[6:7] offset:3072
	v_add_co_u32_e32 v6, vcc, 0x2000, v4
	s_movk_i32 s9, 0x1000
	s_nop 0
	v_addc_co_u32_e32 v7, vcc, 0, v5, vcc
	v_add_co_u32_e32 v8, vcc, 0x3000, v4
	s_movk_i32 s8, 0x2000
	s_nop 0
	v_addc_co_u32_e32 v9, vcc, 0, v5, vcc
	flat_load_dword v17, v[6:7]
	flat_load_dword v18, v[6:7] offset:1024
	flat_load_dword v19, v[6:7] offset:2048
	;; [unrolled: 1-line block ×3, first 2 shown]
	flat_load_dword v21, v[8:9]
	flat_load_dword v22, v[8:9] offset:1024
	flat_load_dword v23, v[8:9] offset:2048
	;; [unrolled: 1-line block ×3, first 2 shown]
	v_add_co_u32_e32 v6, vcc, 0x4000, v4
	s_movk_i32 s7, 0x3000
	s_nop 0
	v_addc_co_u32_e32 v7, vcc, 0, v5, vcc
	v_add_co_u32_e32 v4, vcc, 0x5000, v4
	s_movk_i32 s6, 0x4000
	s_nop 0
	v_addc_co_u32_e32 v5, vcc, 0, v5, vcc
	flat_load_dword v8, v[6:7]
	flat_load_dword v9, v[6:7] offset:1024
	flat_load_dword v25, v[6:7] offset:2048
	;; [unrolled: 1-line block ×3, first 2 shown]
	flat_load_dword v27, v[4:5]
	v_mov_b32_e32 v4, s72
	v_mov_b32_e32 v5, s73
	v_add_co_u32_e32 v4, vcc, 0x5000, v4
	s_movk_i32 s3, 0x5000
	s_nop 0
	v_addc_co_u32_e32 v5, vcc, 0, v5, vcc
	s_waitcnt vmcnt(0) lgkmcnt(0)
	ds_write2st64_b32 v2, v1, v10 offset1:4
	ds_write2st64_b32 v2, v11, v12 offset0:8 offset1:12
	ds_write2st64_b32 v2, v13, v14 offset0:16 offset1:20
	;; [unrolled: 1-line block ×9, first 2 shown]
	ds_write_b32 v2, v27 offset:20480
	s_waitcnt lgkmcnt(0)
	s_barrier
	flat_load_dword v82, v[4:5] offset:1024
	v_mad_u32_u24 v4, v0, s4, v2
	s_movk_i32 s4, 0xffb0
	ds_read_b32 v1, v4
	ds_read2_b32 v[60:61], v4 offset0:1 offset1:2
	ds_read2_b32 v[58:59], v4 offset0:3 offset1:4
	;; [unrolled: 1-line block ×10, first 2 shown]
	v_mad_i32_i24 v4, v0, s4, v4
	s_movk_i32 s4, 0xff
	v_cmp_ne_u32_e32 vcc, s4, v0
	s_waitcnt lgkmcnt(0)
	ds_write_b32 v4, v1 offset:22528
	s_waitcnt lgkmcnt(0)
	s_barrier
	s_and_saveexec_b64 s[4:5], vcc
	s_cbranch_execz .LBB1591_133
; %bb.132:
	s_waitcnt vmcnt(0)
	ds_read_b32 v82, v2 offset:22532
.LBB1591_133:
	s_or_b64 exec, exec, s[4:5]
	v_lshlrev_b32_e32 v2, 3, v0
	v_lshl_add_u64 v[2:3], s[60:61], 0, v[2:3]
	v_add_co_u32_e32 v6, vcc, s9, v2
	s_waitcnt lgkmcnt(0)
	s_nop 0
	v_addc_co_u32_e32 v7, vcc, 0, v3, vcc
	s_barrier
	flat_load_dwordx2 v[8:9], v[2:3]
	flat_load_dwordx2 v[10:11], v[2:3] offset:2048
	flat_load_dwordx2 v[12:13], v[6:7]
	flat_load_dwordx2 v[14:15], v[6:7] offset:2048
	v_add_co_u32_e32 v6, vcc, s8, v2
	v_lshl_add_u32 v62, v0, 2, v4
	s_nop 0
	v_addc_co_u32_e32 v7, vcc, 0, v3, vcc
	v_add_co_u32_e32 v16, vcc, s7, v2
	v_cmp_eq_u32_e64 s[4:5], v1, v60
	s_nop 0
	v_addc_co_u32_e32 v17, vcc, 0, v3, vcc
	flat_load_dwordx2 v[18:19], v[6:7]
	flat_load_dwordx2 v[20:21], v[6:7] offset:2048
	flat_load_dwordx2 v[22:23], v[16:17]
	flat_load_dwordx2 v[24:25], v[16:17] offset:2048
	v_add_co_u32_e32 v6, vcc, s6, v2
	s_nop 1
	v_addc_co_u32_e32 v7, vcc, 0, v3, vcc
	v_add_co_u32_e32 v16, vcc, s3, v2
	s_movk_i32 s3, 0x6000
	s_nop 0
	v_addc_co_u32_e32 v17, vcc, 0, v3, vcc
	flat_load_dwordx2 v[26:27], v[6:7]
	flat_load_dwordx2 v[28:29], v[6:7] offset:2048
	flat_load_dwordx2 v[30:31], v[16:17]
	flat_load_dwordx2 v[32:33], v[16:17] offset:2048
	v_add_co_u32_e32 v6, vcc, s3, v2
	s_movk_i32 s3, 0x7000
	s_nop 0
	v_addc_co_u32_e32 v7, vcc, 0, v3, vcc
	v_add_co_u32_e32 v16, vcc, s3, v2
	s_mov_b32 s3, 0x8000
	s_nop 0
	v_addc_co_u32_e32 v17, vcc, 0, v3, vcc
	flat_load_dwordx2 v[34:35], v[6:7]
	flat_load_dwordx2 v[36:37], v[6:7] offset:2048
	flat_load_dwordx2 v[38:39], v[16:17]
	flat_load_dwordx2 v[40:41], v[16:17] offset:2048
	v_add_co_u32_e32 v6, vcc, s3, v2
	s_mov_b32 s3, 0x9000
	s_nop 0
	v_addc_co_u32_e32 v7, vcc, 0, v3, vcc
	v_add_co_u32_e32 v16, vcc, s3, v2
	s_mov_b32 s3, 0xa000
	s_nop 0
	v_addc_co_u32_e32 v17, vcc, 0, v3, vcc
	flat_load_dwordx2 v[42:43], v[6:7]
	flat_load_dwordx2 v[64:65], v[6:7] offset:2048
	flat_load_dwordx2 v[66:67], v[16:17]
	flat_load_dwordx2 v[68:69], v[16:17] offset:2048
	v_add_co_u32_e32 v2, vcc, s3, v2
	s_movk_i32 s3, 0xa0
	s_nop 0
	v_addc_co_u32_e32 v3, vcc, 0, v3, vcc
	flat_load_dwordx2 v[2:3], v[2:3]
	v_cmp_ne_u32_e32 vcc, v1, v60
	s_waitcnt vmcnt(0) lgkmcnt(0)
	ds_write2st64_b64 v62, v[8:9], v[10:11] offset1:4
	ds_write2st64_b64 v62, v[12:13], v[14:15] offset0:8 offset1:12
	ds_write2st64_b64 v62, v[18:19], v[20:21] offset0:16 offset1:20
	;; [unrolled: 1-line block ×9, first 2 shown]
	ds_write_b64 v62, v[2:3] offset:40960
	v_mad_u32_u24 v2, v0, s3, v62
	s_waitcnt lgkmcnt(0)
	s_barrier
	ds_read2_b64 v[38:41], v2 offset0:1 offset1:2
	ds_read2_b64 v[34:37], v2 offset0:3 offset1:4
	;; [unrolled: 1-line block ×10, first 2 shown]
	v_mov_b64_e32 v[42:43], s[68:69]
	s_and_saveexec_b64 s[6:7], s[4:5]
	s_cbranch_execz .LBB1591_135
; %bb.134:
	v_mul_u32_u24_e32 v1, 0xa0, v0
	v_add_u32_e32 v1, v62, v1
	ds_read_b64 v[42:43], v1
.LBB1591_135:
	s_or_b64 exec, exec, s[6:7]
	v_cndmask_b32_e64 v1, 0, 1, vcc
	v_cmp_ne_u32_e32 vcc, v60, v61
	v_cmp_ne_u32_e64 s[38:39], v45, v80
	v_cmp_ne_u32_e64 s[40:41], v80, v81
	v_mov_b32_e32 v80, s69
	v_cmp_ne_u32_e64 s[8:9], v59, v56
	v_cmp_ne_u32_e64 s[36:37], v44, v45
	s_waitcnt lgkmcnt(9)
	v_cndmask_b32_e32 v45, v39, v80, vcc
	v_mov_b32_e32 v39, s68
	v_cmp_ne_u32_e64 s[4:5], v61, v58
	v_cmp_ne_u32_e64 s[6:7], v58, v59
	v_cndmask_b32_e64 v108, 0, 1, s[8:9]
	v_cmp_ne_u32_e64 s[10:11], v56, v57
	v_cmp_ne_u32_e64 s[12:13], v57, v54
	;; [unrolled: 1-line block ×12, first 2 shown]
	s_waitcnt lgkmcnt(8)
	v_cndmask_b32_e64 v51, v37, v80, s[8:9]
	v_cndmask_b32_e64 v50, v36, v39, s[8:9]
	v_cmp_ne_u32_e64 s[8:9], v81, v82
	v_cndmask_b32_e64 v104, 0, 1, vcc
	v_cndmask_b32_e64 v105, 0, 1, s[4:5]
	v_cndmask_b32_e64 v107, 0, 1, s[6:7]
	;; [unrolled: 1-line block ×17, first 2 shown]
	v_cndmask_b32_e32 v44, v38, v39, vcc
	v_cndmask_b32_e64 v47, v41, v80, s[4:5]
	v_cndmask_b32_e64 v46, v40, v39, s[4:5]
	v_cndmask_b32_e64 v49, v35, v80, s[6:7]
	v_cndmask_b32_e64 v48, v34, v39, s[6:7]
	s_waitcnt lgkmcnt(7)
	v_cndmask_b32_e64 v53, v31, v80, s[10:11]
	v_cndmask_b32_e64 v52, v30, v39, s[10:11]
	v_cndmask_b32_e64 v55, v33, v80, s[12:13]
	v_cndmask_b32_e64 v54, v32, v39, s[12:13]
	s_waitcnt lgkmcnt(6)
	;; [unrolled: 5-line block ×8, first 2 shown]
	v_cndmask_b32_e64 v41, v3, v80, s[40:41]
	v_cndmask_b32_e64 v40, v2, v39, s[40:41]
	;; [unrolled: 1-line block ×4, first 2 shown]
	s_mov_b64 s[10:11], -1
                                        ; implicit-def: $sgpr3
                                        ; implicit-def: $sgpr6_sgpr7
.LBB1591_136:
	v_mov_b64_e32 v[80:81], s[6:7]
	v_mov_b32_e32 v123, s3
	s_and_saveexec_b64 s[4:5], s[10:11]
; %bb.137:
	v_cndmask_b32_e64 v123, 0, 1, s[8:9]
	v_mov_b64_e32 v[80:81], v[2:3]
; %bb.138:
	s_or_b64 exec, exec, s[4:5]
	v_or_b32_e32 v2, v123, v106
	s_cmp_lg_u32 s2, 0
	v_or_b32_e32 v125, v2, v122
	v_mbcnt_lo_u32_b32 v124, -1, 0
	s_barrier
	s_cbranch_scc0 .LBB1591_209
; %bb.139:
	v_mov_b32_e32 v4, 0
	v_cmp_eq_u16_sdwa s[44:45], v104, v4 src0_sel:BYTE_0 src1_sel:DWORD
	v_cmp_eq_u16_sdwa s[4:5], v105, v4 src0_sel:BYTE_0 src1_sel:DWORD
	v_cmp_eq_u16_sdwa s[6:7], v107, v4 src0_sel:BYTE_0 src1_sel:DWORD
	v_cndmask_b32_e64 v3, 0, v43, s[44:45]
	v_cndmask_b32_e64 v2, 0, v42, s[44:45]
	v_lshl_add_u64 v[2:3], v[2:3], 0, v[44:45]
	v_cndmask_b32_e64 v3, 0, v3, s[4:5]
	v_cndmask_b32_e64 v2, 0, v2, s[4:5]
	v_lshl_add_u64 v[2:3], v[2:3], 0, v[46:47]
	v_cndmask_b32_e64 v3, 0, v3, s[6:7]
	v_cndmask_b32_e64 v2, 0, v2, s[6:7]
	v_lshl_add_u64 v[2:3], v[2:3], 0, v[48:49]
	v_cmp_eq_u16_sdwa s[8:9], v108, v4 src0_sel:BYTE_0 src1_sel:DWORD
	v_cmp_eq_u16_sdwa s[10:11], v109, v4 src0_sel:BYTE_0 src1_sel:DWORD
	v_cmp_eq_u16_sdwa s[12:13], v110, v4 src0_sel:BYTE_0 src1_sel:DWORD
	v_cndmask_b32_e64 v3, 0, v3, s[8:9]
	v_cndmask_b32_e64 v2, 0, v2, s[8:9]
	v_lshl_add_u64 v[2:3], v[2:3], 0, v[50:51]
	v_cndmask_b32_e64 v3, 0, v3, s[10:11]
	v_cndmask_b32_e64 v2, 0, v2, s[10:11]
	v_lshl_add_u64 v[2:3], v[2:3], 0, v[52:53]
	v_cndmask_b32_e64 v3, 0, v3, s[12:13]
	v_cndmask_b32_e64 v2, 0, v2, s[12:13]
	v_lshl_add_u64 v[2:3], v[2:3], 0, v[54:55]
	;; [unrolled: 12-line block ×3, first 2 shown]
	v_cmp_eq_u16_sdwa s[20:21], v114, v4 src0_sel:BYTE_0 src1_sel:DWORD
	v_cmp_eq_u16_sdwa s[22:23], v115, v4 src0_sel:BYTE_0 src1_sel:DWORD
	;; [unrolled: 1-line block ×3, first 2 shown]
	v_cndmask_b32_e64 v3, 0, v3, s[20:21]
	v_cndmask_b32_e64 v2, 0, v2, s[20:21]
	v_lshl_add_u64 v[2:3], v[2:3], 0, v[62:63]
	v_cndmask_b32_e64 v3, 0, v3, s[22:23]
	v_cndmask_b32_e64 v2, 0, v2, s[22:23]
	v_lshl_add_u64 v[2:3], v[2:3], 0, v[64:65]
	v_cmp_eq_u16_sdwa s[26:27], v117, v4 src0_sel:BYTE_0 src1_sel:DWORD
	v_cmp_eq_u16_sdwa s[28:29], v118, v4 src0_sel:BYTE_0 src1_sel:DWORD
	;; [unrolled: 1-line block ×7, first 2 shown]
	v_cmp_eq_u16_sdwa vcc, v123, v4 src0_sel:BYTE_0 src1_sel:DWORD
	v_or_b32_e32 v4, v125, v121
	v_cndmask_b32_e64 v3, 0, v3, s[24:25]
	v_cndmask_b32_e64 v2, 0, v2, s[24:25]
	v_or_b32_e32 v4, v4, v120
	v_lshl_add_u64 v[2:3], v[2:3], 0, v[66:67]
	v_or_b32_e32 v4, v4, v119
	v_cndmask_b32_e64 v3, 0, v3, s[26:27]
	v_cndmask_b32_e64 v2, 0, v2, s[26:27]
	v_or_b32_e32 v4, v4, v118
	v_lshl_add_u64 v[2:3], v[2:3], 0, v[68:69]
	;; [unrolled: 5-line block ×8, first 2 shown]
	v_or_b32_e32 v4, v4, v104
	v_cndmask_b32_e32 v3, 0, v3, vcc
	v_cndmask_b32_e32 v2, 0, v2, vcc
	v_or_b32_e32 v4, v4, v1
	v_mbcnt_hi_u32_b32 v9, -1, v124
	v_lshl_add_u64 v[2:3], v[2:3], 0, v[80:81]
	v_and_b32_e32 v8, 1, v4
	v_and_b32_e32 v5, 15, v9
	v_cmp_eq_u32_e32 vcc, 1, v8
	v_mov_b32_dpp v7, v2 row_shr:1 row_mask:0xf bank_mask:0xf
	v_mov_b32_dpp v10, v3 row_shr:1 row_mask:0xf bank_mask:0xf
	;; [unrolled: 1-line block ×3, first 2 shown]
	v_cmp_ne_u32_e64 s[42:43], 0, v5
	v_mov_b32_e32 v4, v8
	s_and_saveexec_b64 s[46:47], s[42:43]
; %bb.140:
	v_and_b32_e32 v4, 1, v6
	v_cndmask_b32_e64 v11, v10, 0, vcc
	v_cndmask_b32_e64 v10, v7, 0, vcc
	v_or_b32_e32 v8, v4, v8
	v_lshl_add_u64 v[2:3], v[10:11], 0, v[2:3]
	v_and_b32_e32 v4, 0xffff, v8
; %bb.141:
	s_or_b64 exec, exec, s[46:47]
	v_mov_b32_dpp v7, v2 row_shr:2 row_mask:0xf bank_mask:0xf
	v_mov_b32_dpp v10, v3 row_shr:2 row_mask:0xf bank_mask:0xf
	;; [unrolled: 1-line block ×3, first 2 shown]
	v_cmp_lt_u32_e32 vcc, 1, v5
	s_and_saveexec_b64 s[46:47], vcc
; %bb.142:
	v_cmp_eq_u16_e32 vcc, 0, v8
	v_and_b32_e32 v4, 1, v8
	s_nop 0
	v_cndmask_b32_e32 v11, 0, v10, vcc
	v_cndmask_b32_e32 v10, 0, v7, vcc
	v_cmp_eq_u32_e32 vcc, 1, v4
	v_and_b32_e32 v4, 1, v6
	v_cmp_eq_u32_e64 s[42:43], 1, v4
	s_or_b64 s[42:43], vcc, s[42:43]
	v_lshl_add_u64 v[2:3], v[10:11], 0, v[2:3]
	v_cndmask_b32_e64 v8, 0, 1, s[42:43]
	v_cndmask_b32_e64 v4, 0, 1, s[42:43]
; %bb.143:
	s_or_b64 exec, exec, s[46:47]
	v_mov_b32_dpp v7, v2 row_shr:4 row_mask:0xf bank_mask:0xf
	v_mov_b32_dpp v10, v3 row_shr:4 row_mask:0xf bank_mask:0xf
	;; [unrolled: 1-line block ×3, first 2 shown]
	v_cmp_lt_u32_e32 vcc, 3, v5
	s_and_saveexec_b64 s[46:47], vcc
; %bb.144:
	v_cmp_eq_u16_e32 vcc, 0, v8
	v_and_b32_e32 v4, 1, v8
	s_nop 0
	v_cndmask_b32_e32 v11, 0, v10, vcc
	v_cndmask_b32_e32 v10, 0, v7, vcc
	v_cmp_eq_u32_e32 vcc, 1, v4
	v_and_b32_e32 v4, 1, v6
	v_cmp_eq_u32_e64 s[42:43], 1, v4
	s_or_b64 s[42:43], vcc, s[42:43]
	v_lshl_add_u64 v[2:3], v[10:11], 0, v[2:3]
	v_cndmask_b32_e64 v8, 0, 1, s[42:43]
	v_cndmask_b32_e64 v4, 0, 1, s[42:43]
; %bb.145:
	s_or_b64 exec, exec, s[46:47]
	v_mov_b32_dpp v7, v2 row_shr:8 row_mask:0xf bank_mask:0xf
	v_mov_b32_dpp v10, v3 row_shr:8 row_mask:0xf bank_mask:0xf
	;; [unrolled: 1-line block ×3, first 2 shown]
	v_cmp_lt_u32_e32 vcc, 7, v5
	s_and_saveexec_b64 s[46:47], vcc
; %bb.146:
	v_cmp_eq_u16_e32 vcc, 0, v8
	s_nop 1
	v_cndmask_b32_e32 v5, 0, v10, vcc
	v_cndmask_b32_e32 v4, 0, v7, vcc
	v_lshl_add_u64 v[2:3], v[4:5], 0, v[2:3]
	v_and_b32_e32 v4, 1, v8
	v_cmp_eq_u32_e32 vcc, 1, v4
	v_and_b32_e32 v4, 1, v6
	v_cmp_eq_u32_e64 s[42:43], 1, v4
	s_or_b64 s[42:43], vcc, s[42:43]
	s_nop 0
	v_cndmask_b32_e64 v8, 0, 1, s[42:43]
	v_cndmask_b32_e64 v4, 0, 1, s[42:43]
; %bb.147:
	s_or_b64 exec, exec, s[46:47]
	v_and_b32_e32 v10, 16, v9
	v_mov_b32_dpp v6, v2 row_bcast:15 row_mask:0xf bank_mask:0xf
	v_mov_b32_dpp v7, v3 row_bcast:15 row_mask:0xf bank_mask:0xf
	;; [unrolled: 1-line block ×3, first 2 shown]
	v_cmp_ne_u32_e32 vcc, 0, v10
	s_and_saveexec_b64 s[46:47], vcc
; %bb.148:
	v_cmp_eq_u16_e32 vcc, 0, v8
	v_and_b32_e32 v4, 1, v8
	s_nop 0
	v_cndmask_b32_e32 v7, 0, v7, vcc
	v_cndmask_b32_e32 v6, 0, v6, vcc
	v_cmp_eq_u32_e32 vcc, 1, v4
	v_and_b32_e32 v4, 1, v5
	v_cmp_eq_u32_e64 s[42:43], 1, v4
	s_or_b64 s[42:43], vcc, s[42:43]
	v_lshl_add_u64 v[2:3], v[6:7], 0, v[2:3]
	v_cndmask_b32_e64 v8, 0, 1, s[42:43]
	v_cndmask_b32_e64 v4, 0, 1, s[42:43]
; %bb.149:
	s_or_b64 exec, exec, s[46:47]
	v_mov_b32_dpp v5, v2 row_bcast:31 row_mask:0xf bank_mask:0xf
	v_mov_b32_dpp v6, v3 row_bcast:31 row_mask:0xf bank_mask:0xf
	;; [unrolled: 1-line block ×3, first 2 shown]
	v_cmp_lt_u32_e32 vcc, 31, v9
	s_and_saveexec_b64 s[46:47], vcc
; %bb.150:
	v_cmp_eq_u16_e32 vcc, 0, v8
	v_and_b32_e32 v4, 1, v4
	v_cmp_eq_u32_e64 s[42:43], 1, v4
	v_cndmask_b32_e32 v7, 0, v6, vcc
	v_cndmask_b32_e32 v6, 0, v5, vcc
	v_and_b32_e32 v5, 1, v8
	v_cmp_eq_u32_e32 vcc, 1, v5
	s_or_b64 s[42:43], vcc, s[42:43]
	v_lshl_add_u64 v[2:3], v[6:7], 0, v[2:3]
	v_cndmask_b32_e64 v8, 0, 1, s[42:43]
; %bb.151:
	s_or_b64 exec, exec, s[46:47]
	v_or_b32_e32 v4, 63, v0
	v_lshrrev_b32_e32 v10, 6, v0
	v_cmp_eq_u32_e32 vcc, v4, v0
	s_and_saveexec_b64 s[42:43], vcc
	s_cbranch_execz .LBB1591_153
; %bb.152:
	v_lshlrev_b32_e32 v4, 4, v10
	ds_write_b64 v4, v[2:3]
	ds_write_b8 v4, v8 offset:8
.LBB1591_153:
	s_or_b64 exec, exec, s[42:43]
	v_cmp_gt_u32_e32 vcc, 4, v0
	s_waitcnt lgkmcnt(0)
	s_barrier
	s_and_saveexec_b64 s[46:47], vcc
	s_cbranch_execz .LBB1591_159
; %bb.154:
	v_lshlrev_b32_e32 v6, 4, v0
	ds_read_b64 v[4:5], v6
	ds_read_b32 v7, v6 offset:8
	v_and_b32_e32 v11, 3, v9
	v_cmp_ne_u32_e32 vcc, 0, v11
	s_waitcnt lgkmcnt(1)
	v_mov_b32_dpp v15, v4 row_shr:1 row_mask:0xf bank_mask:0xf
	v_mov_b32_dpp v16, v5 row_shr:1 row_mask:0xf bank_mask:0xf
	s_waitcnt lgkmcnt(0)
	v_mov_b32_dpp v14, v7 row_shr:1 row_mask:0xf bank_mask:0xf
	v_mov_b32_e32 v12, v7
	v_mov_b32_e32 v13, v7
	s_and_saveexec_b64 s[42:43], vcc
; %bb.155:
	v_mov_b32_e32 v12, 0
	v_cmp_eq_u16_sdwa vcc, v7, v12 src0_sel:BYTE_0 src1_sel:DWORD
	s_movk_i32 s3, 0xff00
	s_nop 0
	v_cndmask_b32_e32 v13, 0, v16, vcc
	v_cndmask_b32_e32 v12, 0, v15, vcc
	v_lshl_add_u64 v[4:5], v[12:13], 0, v[4:5]
	v_or_b32_e32 v13, v14, v7
	v_and_b32_e32 v12, 1, v13
	v_and_b32_e32 v13, 1, v13
	v_and_or_b32 v7, v7, s3, v13
; %bb.156:
	s_or_b64 exec, exec, s[42:43]
	v_mov_b32_dpp v14, v4 row_shr:2 row_mask:0xf bank_mask:0xf
	v_mov_b32_dpp v15, v5 row_shr:2 row_mask:0xf bank_mask:0xf
	;; [unrolled: 1-line block ×3, first 2 shown]
	v_cmp_lt_u32_e32 vcc, 1, v11
	s_and_saveexec_b64 s[60:61], vcc
; %bb.157:
	v_mov_b32_e32 v11, 0
	v_cmp_eq_u16_sdwa vcc, v13, v11 src0_sel:BYTE_0 src1_sel:DWORD
	v_and_b32_e32 v11, 1, v13
	v_and_b32_e32 v7, 1, v7
	v_cndmask_b32_e32 v15, 0, v15, vcc
	v_cndmask_b32_e32 v14, 0, v14, vcc
	v_cmp_eq_u32_e32 vcc, 1, v11
	v_cmp_eq_u32_e64 s[42:43], 1, v7
	s_or_b64 s[42:43], vcc, s[42:43]
	v_lshl_add_u64 v[4:5], v[14:15], 0, v[4:5]
	v_cndmask_b32_e64 v12, 0, 1, s[42:43]
; %bb.158:
	s_or_b64 exec, exec, s[60:61]
	ds_write_b64 v6, v[4:5]
	ds_write_b8 v6, v12 offset:8
.LBB1591_159:
	s_or_b64 exec, exec, s[46:47]
	v_cmp_gt_u32_e32 vcc, 64, v0
	v_cmp_lt_u32_e64 s[42:43], 63, v0
	v_mov_b32_e32 v16, 0
	v_mov_b64_e32 v[6:7], 0
	s_waitcnt lgkmcnt(0)
	s_barrier
	s_and_saveexec_b64 s[46:47], s[42:43]
	s_cbranch_execz .LBB1591_161
; %bb.160:
	v_lshl_add_u32 v4, v10, 4, -16
	ds_read_b64 v[6:7], v4
	ds_read_u8 v16, v4 offset:8
	v_cmp_eq_u16_e64 s[42:43], 0, v8
	s_waitcnt lgkmcnt(0)
	v_or_b32_e32 v8, v8, v16
	v_cndmask_b32_e64 v5, 0, v7, s[42:43]
	v_cndmask_b32_e64 v4, 0, v6, s[42:43]
	v_lshl_add_u64 v[2:3], v[2:3], 0, v[4:5]
	v_and_b32_e32 v8, 1, v8
.LBB1591_161:
	s_or_b64 exec, exec, s[46:47]
	v_add_u32_e32 v4, -1, v9
	v_and_b32_e32 v5, 64, v9
	v_cmp_lt_i32_e64 s[42:43], v4, v5
	s_nop 1
	v_cndmask_b32_e64 v4, v4, v9, s[42:43]
	v_lshlrev_b32_e32 v4, 2, v4
	ds_bpermute_b32 v17, v4, v2
	v_and_b32_e32 v2, 0xffff, v8
	ds_bpermute_b32 v18, v4, v3
	ds_bpermute_b32 v19, v4, v2
	v_cmp_eq_u32_e64 s[42:43], 0, v9
	s_and_saveexec_b64 s[60:61], vcc
	s_cbranch_execz .LBB1591_208
; %bb.162:
	v_mov_b32_e32 v11, 0
	ds_read2_b64 v[2:5], v11 offset0:6 offset1:7
	s_and_saveexec_b64 s[46:47], s[42:43]
	s_cbranch_execz .LBB1591_164
; %bb.163:
	s_add_i32 s64, s2, 64
	s_mov_b32 s65, 0
	s_lshl_b64 s[72:73], s[64:65], 4
	s_add_u32 s72, s48, s72
	s_addc_u32 s73, s49, s73
	s_waitcnt lgkmcnt(0)
	global_store_dword v11, v2, s[72:73] sc1
	global_store_dword v11, v3, s[72:73] offset:4 sc1
	global_store_dword v11, v4, s[72:73] offset:8 sc1
	;; [unrolled: 1-line block ×3, first 2 shown]
	v_mov_b32_e32 v5, s64
	v_mov_b32_e32 v8, 1
	s_waitcnt vmcnt(0)
	global_store_byte v5, v8, s[52:53] sc1
.LBB1591_164:
	s_or_b64 exec, exec, s[46:47]
	v_xad_u32 v8, v9, -1, s2
	v_add_u32_e32 v10, 64, v8
	s_waitcnt lgkmcnt(0)
	global_load_ubyte v5, v10, s[52:53] sc1
	s_waitcnt vmcnt(0)
	v_cmp_eq_u16_e32 vcc, 0, v5
	s_and_saveexec_b64 s[46:47], vcc
	s_cbranch_execz .LBB1591_170
; %bb.165:
	v_lshl_add_u64 v[12:13], s[52:53], 0, v[10:11]
	s_mov_b32 s3, 1
	s_mov_b64 s[64:65], 0
.LBB1591_166:                           ; =>This Loop Header: Depth=1
                                        ;     Child Loop BB1591_167 Depth 2
	s_max_u32 s55, s3, 1
.LBB1591_167:                           ;   Parent Loop BB1591_166 Depth=1
                                        ; =>  This Inner Loop Header: Depth=2
	s_add_i32 s55, s55, -1
	s_cmp_eq_u32 s55, 0
	s_sleep 1
	s_cbranch_scc0 .LBB1591_167
; %bb.168:                              ;   in Loop: Header=BB1591_166 Depth=1
	global_load_ubyte v5, v[12:13], off sc1
	s_cmp_lt_u32 s3, 32
	s_cselect_b64 s[72:73], -1, 0
	s_cmp_lg_u64 s[72:73], 0
	s_addc_u32 s3, s3, 0
	s_waitcnt vmcnt(0)
	v_cmp_ne_u16_e32 vcc, 0, v5
	s_or_b64 s[64:65], vcc, s[64:65]
	s_andn2_b64 exec, exec, s[64:65]
	s_cbranch_execnz .LBB1591_166
; %bb.169:
	s_or_b64 exec, exec, s[64:65]
.LBB1591_170:
	s_or_b64 exec, exec, s[46:47]
	v_mov_b32_e32 v12, s51
	v_mov_b32_e32 v13, s49
	v_cmp_eq_u16_e32 vcc, 1, v5
	v_mov_b32_e32 v14, s48
	s_waitcnt vmcnt(0)
	v_cndmask_b32_e32 v13, v12, v13, vcc
	v_mov_b32_e32 v12, s50
	v_cndmask_b32_e32 v12, v12, v14, vcc
	v_lshl_add_u64 v[10:11], v[10:11], 4, v[12:13]
	global_load_dword v14, v[10:11], off sc1
	global_load_dword v15, v[10:11], off offset:4 sc1
	global_load_dword v34, v[10:11], off offset:8 sc1
	s_nop 0
	global_load_dword v10, v[10:11], off offset:12 sc1
	v_cmp_eq_u16_e32 vcc, 2, v5
	s_waitcnt vmcnt(0)
	v_lshlrev_b64 v[10:11], v9, -1
	v_and_b32_e32 v20, 63, v9
	v_and_b32_e32 v12, vcc_hi, v11
	v_and_b32_e32 v25, vcc_lo, v10
	v_cmp_ne_u32_e32 vcc, 63, v20
	v_or_b32_e32 v12, 0x80000000, v12
	v_ffbl_b32_e32 v12, v12
	v_addc_co_u32_e32 v13, vcc, 0, v9, vcc
	v_lshlrev_b32_e32 v21, 2, v13
	v_add_u32_e32 v12, 32, v12
	v_ffbl_b32_e32 v25, v25
	v_min_u32_e32 v12, v25, v12
	v_cmp_lt_u32_e32 vcc, v20, v12
	ds_bpermute_b32 v23, v21, v14
	ds_bpermute_b32 v24, v21, v15
	v_and_b32_e32 v13, 0xff, v34
	ds_bpermute_b32 v22, v21, v13
	s_and_saveexec_b64 s[46:47], vcc
	s_cbranch_execz .LBB1591_172
; %bb.171:
	v_mov_b32_e32 v13, 0
	v_cmp_eq_u16_sdwa vcc, v34, v13 src0_sel:BYTE_0 src1_sel:DWORD
	s_waitcnt lgkmcnt(0)
	v_or_b32_e32 v13, v22, v34
	v_and_b32_e32 v34, 1, v13
	v_cndmask_b32_e32 v25, 0, v24, vcc
	v_cndmask_b32_e32 v24, 0, v23, vcc
	v_lshl_add_u64 v[14:15], v[24:25], 0, v[14:15]
	v_and_b32_e32 v13, 1, v13
.LBB1591_172:
	s_or_b64 exec, exec, s[46:47]
	v_cmp_gt_u32_e32 vcc, 62, v20
	s_waitcnt lgkmcnt(2)
	v_add_u32_e32 v23, 2, v20
	s_waitcnt lgkmcnt(0)
	v_cndmask_b32_e64 v22, 0, 1, vcc
	v_lshlrev_b32_e32 v22, 1, v22
	v_add_lshl_u32 v22, v22, v9, 2
	ds_bpermute_b32 v25, v22, v14
	ds_bpermute_b32 v26, v22, v15
	ds_bpermute_b32 v24, v22, v13
	v_cmp_le_u32_e32 vcc, v23, v12
	s_and_saveexec_b64 s[64:65], vcc
	s_cbranch_execz .LBB1591_174
; %bb.173:
	v_mov_b32_e32 v13, 0
	v_cmp_eq_u16_sdwa vcc, v34, v13 src0_sel:BYTE_0 src1_sel:DWORD
	v_and_b32_e32 v13, 1, v34
	s_waitcnt lgkmcnt(1)
	v_cndmask_b32_e32 v27, 0, v26, vcc
	v_cndmask_b32_e32 v26, 0, v25, vcc
	v_cmp_eq_u32_e32 vcc, 1, v13
	s_waitcnt lgkmcnt(0)
	v_and_b32_e32 v13, 1, v24
	v_cmp_eq_u32_e64 s[46:47], 1, v13
	s_or_b64 s[46:47], vcc, s[46:47]
	v_lshl_add_u64 v[14:15], v[26:27], 0, v[14:15]
	v_cndmask_b32_e64 v34, 0, 1, s[46:47]
	v_cndmask_b32_e64 v13, 0, 1, s[46:47]
.LBB1591_174:
	s_or_b64 exec, exec, s[64:65]
	v_cmp_gt_u32_e32 vcc, 60, v20
	s_waitcnt lgkmcnt(2)
	v_add_u32_e32 v25, 4, v20
	s_waitcnt lgkmcnt(0)
	v_cndmask_b32_e64 v24, 0, 1, vcc
	v_lshlrev_b32_e32 v24, 2, v24
	v_add_lshl_u32 v24, v24, v9, 2
	ds_bpermute_b32 v27, v24, v14
	ds_bpermute_b32 v28, v24, v15
	ds_bpermute_b32 v26, v24, v13
	v_cmp_le_u32_e32 vcc, v25, v12
	s_and_saveexec_b64 s[64:65], vcc
	s_cbranch_execz .LBB1591_176
; %bb.175:
	v_mov_b32_e32 v13, 0
	v_cmp_eq_u16_sdwa vcc, v34, v13 src0_sel:BYTE_0 src1_sel:DWORD
	v_and_b32_e32 v13, 1, v34
	s_waitcnt lgkmcnt(1)
	v_cndmask_b32_e32 v29, 0, v28, vcc
	v_cndmask_b32_e32 v28, 0, v27, vcc
	v_cmp_eq_u32_e32 vcc, 1, v13
	s_waitcnt lgkmcnt(0)
	v_and_b32_e32 v13, 1, v26
	v_cmp_eq_u32_e64 s[46:47], 1, v13
	s_or_b64 s[46:47], vcc, s[46:47]
	v_lshl_add_u64 v[14:15], v[28:29], 0, v[14:15]
	v_cndmask_b32_e64 v34, 0, 1, s[46:47]
	v_cndmask_b32_e64 v13, 0, 1, s[46:47]
.LBB1591_176:
	s_or_b64 exec, exec, s[64:65]
	v_cmp_gt_u32_e32 vcc, 56, v20
	s_waitcnt lgkmcnt(2)
	v_add_u32_e32 v27, 8, v20
	s_waitcnt lgkmcnt(0)
	v_cndmask_b32_e64 v26, 0, 1, vcc
	v_lshlrev_b32_e32 v26, 3, v26
	v_add_lshl_u32 v26, v26, v9, 2
	ds_bpermute_b32 v29, v26, v14
	ds_bpermute_b32 v30, v26, v15
	ds_bpermute_b32 v28, v26, v13
	v_cmp_le_u32_e32 vcc, v27, v12
	s_and_saveexec_b64 s[64:65], vcc
	s_cbranch_execz .LBB1591_178
; %bb.177:
	v_mov_b32_e32 v13, 0
	v_cmp_eq_u16_sdwa vcc, v34, v13 src0_sel:BYTE_0 src1_sel:DWORD
	v_and_b32_e32 v13, 1, v34
	s_waitcnt lgkmcnt(1)
	v_cndmask_b32_e32 v31, 0, v30, vcc
	v_cndmask_b32_e32 v30, 0, v29, vcc
	v_cmp_eq_u32_e32 vcc, 1, v13
	s_waitcnt lgkmcnt(0)
	v_and_b32_e32 v13, 1, v28
	v_cmp_eq_u32_e64 s[46:47], 1, v13
	s_or_b64 s[46:47], vcc, s[46:47]
	v_lshl_add_u64 v[14:15], v[30:31], 0, v[14:15]
	v_cndmask_b32_e64 v34, 0, 1, s[46:47]
	v_cndmask_b32_e64 v13, 0, 1, s[46:47]
.LBB1591_178:
	s_or_b64 exec, exec, s[64:65]
	v_cmp_gt_u32_e32 vcc, 48, v20
	s_waitcnt lgkmcnt(2)
	v_add_u32_e32 v29, 16, v20
	s_waitcnt lgkmcnt(0)
	v_cndmask_b32_e64 v28, 0, 1, vcc
	v_lshlrev_b32_e32 v28, 4, v28
	v_add_lshl_u32 v28, v28, v9, 2
	ds_bpermute_b32 v31, v28, v14
	ds_bpermute_b32 v32, v28, v15
	ds_bpermute_b32 v30, v28, v13
	v_cmp_le_u32_e32 vcc, v29, v12
	s_and_saveexec_b64 s[64:65], vcc
	s_cbranch_execz .LBB1591_180
; %bb.179:
	v_mov_b32_e32 v13, 0
	v_cmp_eq_u16_sdwa vcc, v34, v13 src0_sel:BYTE_0 src1_sel:DWORD
	v_and_b32_e32 v13, 1, v34
	s_waitcnt lgkmcnt(1)
	v_cndmask_b32_e32 v33, 0, v32, vcc
	v_cndmask_b32_e32 v32, 0, v31, vcc
	v_cmp_eq_u32_e32 vcc, 1, v13
	s_waitcnt lgkmcnt(0)
	v_and_b32_e32 v13, 1, v30
	v_cmp_eq_u32_e64 s[46:47], 1, v13
	s_or_b64 s[46:47], vcc, s[46:47]
	v_lshl_add_u64 v[14:15], v[32:33], 0, v[14:15]
	v_cndmask_b32_e64 v34, 0, 1, s[46:47]
	v_cndmask_b32_e64 v13, 0, 1, s[46:47]
.LBB1591_180:
	s_or_b64 exec, exec, s[64:65]
	v_cmp_gt_u32_e32 vcc, 32, v20
	s_waitcnt lgkmcnt(1)
	v_add_u32_e32 v32, 32, v20
	s_waitcnt lgkmcnt(0)
	v_cndmask_b32_e64 v30, 0, 1, vcc
	v_lshlrev_b32_e32 v30, 5, v30
	v_add_lshl_u32 v31, v30, v9, 2
	ds_bpermute_b32 v30, v31, v14
	ds_bpermute_b32 v33, v31, v15
	;; [unrolled: 1-line block ×3, first 2 shown]
	v_cmp_le_u32_e32 vcc, v32, v12
	s_and_saveexec_b64 s[64:65], vcc
	s_cbranch_execz .LBB1591_182
; %bb.181:
	v_mov_b32_e32 v12, 0
	v_cmp_eq_u16_sdwa vcc, v34, v12 src0_sel:BYTE_0 src1_sel:DWORD
	s_waitcnt lgkmcnt(0)
	v_and_b32_e32 v9, 1, v9
	v_cmp_eq_u32_e64 s[46:47], 1, v9
	v_cndmask_b32_e32 v13, 0, v33, vcc
	v_cndmask_b32_e32 v12, 0, v30, vcc
	v_lshl_add_u64 v[14:15], v[12:13], 0, v[14:15]
	v_and_b32_e32 v12, 1, v34
	v_cmp_eq_u32_e32 vcc, 1, v12
	s_or_b64 s[46:47], vcc, s[46:47]
	v_cndmask_b32_e64 v34, 0, 1, s[46:47]
.LBB1591_182:
	s_or_b64 exec, exec, s[64:65]
	s_waitcnt lgkmcnt(0)
	v_mov_b32_e32 v9, 0
	v_mov_b32_e32 v33, 2
	s_branch .LBB1591_184
.LBB1591_183:                           ;   in Loop: Header=BB1591_184 Depth=1
	s_or_b64 exec, exec, s[72:73]
	v_cmp_eq_u16_sdwa vcc, v30, v9 src0_sel:BYTE_0 src1_sel:DWORD
	v_and_b32_e32 v34, 1, v30
	v_subrev_u32_e32 v8, 64, v8
	v_cndmask_b32_e32 v15, 0, v15, vcc
	v_cndmask_b32_e32 v14, 0, v14, vcc
	v_cmp_eq_u32_e32 vcc, 1, v34
	s_or_b64 s[46:47], vcc, s[64:65]
	v_lshl_add_u64 v[14:15], v[14:15], 0, v[12:13]
	v_cndmask_b32_e64 v34, 0, 1, s[46:47]
.LBB1591_184:                           ; =>This Loop Header: Depth=1
                                        ;     Child Loop BB1591_187 Depth 2
                                        ;       Child Loop BB1591_188 Depth 3
	v_cmp_ne_u16_sdwa s[46:47], v5, v33 src0_sel:BYTE_0 src1_sel:DWORD
	v_mov_b32_e32 v30, v34
	v_mov_b64_e32 v[12:13], v[14:15]
	v_cndmask_b32_e64 v5, 0, 1, s[46:47]
	;;#ASMSTART
	;;#ASMEND
	s_nop 0
	v_cmp_ne_u32_e32 vcc, 0, v5
	s_cmp_lg_u64 vcc, exec
	s_cbranch_scc1 .LBB1591_203
; %bb.185:                              ;   in Loop: Header=BB1591_184 Depth=1
	global_load_ubyte v5, v8, s[52:53] sc1
	s_waitcnt vmcnt(0)
	v_cmp_eq_u16_e32 vcc, 0, v5
	s_and_saveexec_b64 s[46:47], vcc
	s_cbranch_execz .LBB1591_191
; %bb.186:                              ;   in Loop: Header=BB1591_184 Depth=1
	v_lshl_add_u64 v[14:15], s[52:53], 0, v[8:9]
	s_mov_b32 s3, 1
	s_mov_b64 s[64:65], 0
.LBB1591_187:                           ;   Parent Loop BB1591_184 Depth=1
                                        ; =>  This Loop Header: Depth=2
                                        ;       Child Loop BB1591_188 Depth 3
	s_max_u32 s55, s3, 1
.LBB1591_188:                           ;   Parent Loop BB1591_184 Depth=1
                                        ;     Parent Loop BB1591_187 Depth=2
                                        ; =>    This Inner Loop Header: Depth=3
	s_add_i32 s55, s55, -1
	s_cmp_eq_u32 s55, 0
	s_sleep 1
	s_cbranch_scc0 .LBB1591_188
; %bb.189:                              ;   in Loop: Header=BB1591_187 Depth=2
	global_load_ubyte v5, v[14:15], off sc1
	s_cmp_lt_u32 s3, 32
	s_cselect_b64 s[72:73], -1, 0
	s_cmp_lg_u64 s[72:73], 0
	s_addc_u32 s3, s3, 0
	s_waitcnt vmcnt(0)
	v_cmp_ne_u16_e32 vcc, 0, v5
	s_or_b64 s[64:65], vcc, s[64:65]
	s_andn2_b64 exec, exec, s[64:65]
	s_cbranch_execnz .LBB1591_187
; %bb.190:                              ;   in Loop: Header=BB1591_184 Depth=1
	s_or_b64 exec, exec, s[64:65]
.LBB1591_191:                           ;   in Loop: Header=BB1591_184 Depth=1
	s_or_b64 exec, exec, s[46:47]
	v_mov_b32_e32 v14, s51
	v_mov_b32_e32 v15, s49
	v_cmp_eq_u16_e32 vcc, 1, v5
	v_mov_b32_e32 v34, s48
	s_waitcnt vmcnt(0)
	v_cndmask_b32_e32 v15, v14, v15, vcc
	v_mov_b32_e32 v14, s50
	v_cndmask_b32_e32 v14, v14, v34, vcc
	s_waitcnt lgkmcnt(0)
	v_lshl_add_u64 v[36:37], v[8:9], 4, v[14:15]
	global_load_dword v14, v[36:37], off sc1
	global_load_dword v15, v[36:37], off offset:4 sc1
	global_load_dword v34, v[36:37], off offset:8 sc1
	;; [unrolled: 1-line block ×3, first 2 shown]
	v_cmp_eq_u16_e32 vcc, 2, v5
	s_waitcnt vmcnt(3)
	ds_bpermute_b32 v38, v21, v14
	s_waitcnt vmcnt(0)
	v_and_b32_e32 v35, vcc_hi, v11
	v_and_b32_e32 v36, 0xff, v34
	v_or_b32_e32 v35, 0x80000000, v35
	ds_bpermute_b32 v39, v21, v15
	ds_bpermute_b32 v37, v21, v36
	v_and_b32_e32 v82, vcc_lo, v10
	v_ffbl_b32_e32 v35, v35
	v_add_u32_e32 v35, 32, v35
	v_ffbl_b32_e32 v82, v82
	v_min_u32_e32 v35, v82, v35
	v_cmp_lt_u32_e32 vcc, v20, v35
	s_and_saveexec_b64 s[46:47], vcc
	s_cbranch_execz .LBB1591_193
; %bb.192:                              ;   in Loop: Header=BB1591_184 Depth=1
	v_cmp_eq_u16_sdwa vcc, v34, v9 src0_sel:BYTE_0 src1_sel:DWORD
	s_waitcnt lgkmcnt(0)
	v_or_b32_e32 v36, v37, v34
	v_and_b32_e32 v34, 1, v36
	v_cndmask_b32_e32 v39, 0, v39, vcc
	v_cndmask_b32_e32 v38, 0, v38, vcc
	v_lshl_add_u64 v[14:15], v[38:39], 0, v[14:15]
	v_and_b32_e32 v36, 1, v36
.LBB1591_193:                           ;   in Loop: Header=BB1591_184 Depth=1
	s_or_b64 exec, exec, s[46:47]
	s_waitcnt lgkmcnt(2)
	ds_bpermute_b32 v38, v22, v14
	s_waitcnt lgkmcnt(2)
	ds_bpermute_b32 v39, v22, v15
	;; [unrolled: 2-line block ×3, first 2 shown]
	v_and_b32_e32 v82, 1, v34
	v_cmp_le_u32_e32 vcc, v23, v35
	v_cmp_eq_u32_e64 s[64:65], 1, v82
	s_and_saveexec_b64 s[46:47], vcc
	s_cbranch_execz .LBB1591_195
; %bb.194:                              ;   in Loop: Header=BB1591_184 Depth=1
	v_cmp_eq_u16_sdwa vcc, v34, v9 src0_sel:BYTE_0 src1_sel:DWORD
	s_waitcnt lgkmcnt(0)
	v_and_b32_e32 v34, 1, v37
	v_cndmask_b32_e32 v39, 0, v39, vcc
	v_cndmask_b32_e32 v38, 0, v38, vcc
	v_cmp_eq_u32_e32 vcc, 1, v34
	s_or_b64 s[72:73], s[64:65], vcc
	v_cndmask_b32_e64 v34, 0, 1, s[72:73]
	v_cndmask_b32_e64 v36, 0, 1, s[72:73]
	s_andn2_b64 s[64:65], s[64:65], exec
	s_and_b64 s[72:73], s[72:73], exec
	v_lshl_add_u64 v[14:15], v[38:39], 0, v[14:15]
	s_or_b64 s[64:65], s[64:65], s[72:73]
.LBB1591_195:                           ;   in Loop: Header=BB1591_184 Depth=1
	s_or_b64 exec, exec, s[46:47]
	s_waitcnt lgkmcnt(2)
	ds_bpermute_b32 v38, v24, v14
	s_waitcnt lgkmcnt(2)
	ds_bpermute_b32 v39, v24, v15
	s_waitcnt lgkmcnt(2)
	ds_bpermute_b32 v37, v24, v36
	v_cmp_le_u32_e32 vcc, v25, v35
	s_and_saveexec_b64 s[72:73], vcc
	s_cbranch_execz .LBB1591_197
; %bb.196:                              ;   in Loop: Header=BB1591_184 Depth=1
	v_cmp_eq_u16_sdwa vcc, v34, v9 src0_sel:BYTE_0 src1_sel:DWORD
	v_and_b32_e32 v34, 1, v34
	s_andn2_b64 s[64:65], s[64:65], exec
	s_waitcnt lgkmcnt(1)
	v_cndmask_b32_e32 v39, 0, v39, vcc
	v_cndmask_b32_e32 v38, 0, v38, vcc
	v_cmp_eq_u32_e32 vcc, 1, v34
	s_waitcnt lgkmcnt(0)
	v_and_b32_e32 v34, 1, v37
	v_cmp_eq_u32_e64 s[46:47], 1, v34
	s_or_b64 s[46:47], vcc, s[46:47]
	v_lshl_add_u64 v[14:15], v[38:39], 0, v[14:15]
	v_cndmask_b32_e64 v34, 0, 1, s[46:47]
	v_cndmask_b32_e64 v36, 0, 1, s[46:47]
	s_and_b64 s[46:47], s[46:47], exec
	s_or_b64 s[64:65], s[64:65], s[46:47]
.LBB1591_197:                           ;   in Loop: Header=BB1591_184 Depth=1
	s_or_b64 exec, exec, s[72:73]
	s_waitcnt lgkmcnt(2)
	ds_bpermute_b32 v38, v26, v14
	s_waitcnt lgkmcnt(2)
	ds_bpermute_b32 v39, v26, v15
	s_waitcnt lgkmcnt(2)
	ds_bpermute_b32 v37, v26, v36
	v_cmp_le_u32_e32 vcc, v27, v35
	s_and_saveexec_b64 s[72:73], vcc
	s_cbranch_execz .LBB1591_199
; %bb.198:                              ;   in Loop: Header=BB1591_184 Depth=1
	v_cmp_eq_u16_sdwa vcc, v34, v9 src0_sel:BYTE_0 src1_sel:DWORD
	v_and_b32_e32 v34, 1, v34
	s_andn2_b64 s[64:65], s[64:65], exec
	s_waitcnt lgkmcnt(1)
	v_cndmask_b32_e32 v39, 0, v39, vcc
	v_cndmask_b32_e32 v38, 0, v38, vcc
	v_cmp_eq_u32_e32 vcc, 1, v34
	s_waitcnt lgkmcnt(0)
	v_and_b32_e32 v34, 1, v37
	v_cmp_eq_u32_e64 s[46:47], 1, v34
	s_or_b64 s[46:47], vcc, s[46:47]
	v_lshl_add_u64 v[14:15], v[38:39], 0, v[14:15]
	v_cndmask_b32_e64 v34, 0, 1, s[46:47]
	v_cndmask_b32_e64 v36, 0, 1, s[46:47]
	s_and_b64 s[46:47], s[46:47], exec
	s_or_b64 s[64:65], s[64:65], s[46:47]
.LBB1591_199:                           ;   in Loop: Header=BB1591_184 Depth=1
	;; [unrolled: 28-line block ×3, first 2 shown]
	s_or_b64 exec, exec, s[72:73]
	s_waitcnt lgkmcnt(0)
	ds_bpermute_b32 v37, v31, v14
	ds_bpermute_b32 v38, v31, v15
	;; [unrolled: 1-line block ×3, first 2 shown]
	v_cmp_le_u32_e32 vcc, v32, v35
	s_and_saveexec_b64 s[72:73], vcc
	s_cbranch_execz .LBB1591_183
; %bb.202:                              ;   in Loop: Header=BB1591_184 Depth=1
	v_cmp_eq_u16_sdwa vcc, v34, v9 src0_sel:BYTE_0 src1_sel:DWORD
	v_and_b32_e32 v34, 1, v34
	s_andn2_b64 s[64:65], s[64:65], exec
	s_waitcnt lgkmcnt(1)
	v_cndmask_b32_e32 v39, 0, v38, vcc
	v_cndmask_b32_e32 v38, 0, v37, vcc
	v_cmp_eq_u32_e32 vcc, 1, v34
	s_waitcnt lgkmcnt(0)
	v_and_b32_e32 v34, 1, v36
	v_cmp_eq_u32_e64 s[46:47], 1, v34
	s_or_b64 s[46:47], vcc, s[46:47]
	s_and_b64 s[46:47], s[46:47], exec
	v_lshl_add_u64 v[14:15], v[38:39], 0, v[14:15]
	s_or_b64 s[64:65], s[64:65], s[46:47]
	s_branch .LBB1591_183
.LBB1591_203:                           ;   in Loop: Header=BB1591_184 Depth=1
                                        ; implicit-def: $vgpr34
                                        ; implicit-def: $vgpr14_vgpr15
                                        ; implicit-def: $vgpr5
	s_cbranch_execz .LBB1591_184
; %bb.204:
	s_and_saveexec_b64 s[46:47], s[42:43]
	s_cbranch_execz .LBB1591_206
; %bb.205:
	s_mov_b32 s3, 0
	v_mov_b32_e32 v5, 0
	s_add_i32 s2, s2, 64
	v_cmp_eq_u32_sdwa vcc, v4, v5 src0_sel:BYTE_0 src1_sel:DWORD
	s_lshl_b64 s[48:49], s[2:3], 4
	v_and_b32_e32 v4, 1, v4
	v_cndmask_b32_e32 v9, 0, v13, vcc
	v_cndmask_b32_e32 v8, 0, v12, vcc
	s_add_u32 s48, s50, s48
	v_lshl_add_u64 v[2:3], v[8:9], 0, v[2:3]
	v_and_b32_e32 v8, 1, v30
	v_cmp_eq_u32_e32 vcc, 1, v4
	s_addc_u32 s49, s51, s49
	s_nop 0
	v_cndmask_b32_e64 v4, v8, 1, vcc
	global_store_dword v5, v2, s[48:49] sc1
	global_store_dword v5, v3, s[48:49] offset:4 sc1
	global_store_dword v5, v4, s[48:49] offset:8 sc1
	global_store_dword v5, v5, s[48:49] offset:12 sc1
	v_mov_b32_e32 v2, s2
	v_mov_b32_e32 v3, 2
	s_waitcnt vmcnt(0) lgkmcnt(0)
	global_store_byte v2, v3, s[52:53] sc1
.LBB1591_206:
	s_or_b64 exec, exec, s[46:47]
	v_cmp_eq_u32_e32 vcc, 0, v0
	s_and_b64 exec, exec, vcc
	s_cbranch_execz .LBB1591_208
; %bb.207:
	v_mov_b32_e32 v2, 0
	ds_write_b64 v2, v[12:13] offset:48
	ds_write_b8 v2, v30 offset:56
.LBB1591_208:
	s_or_b64 exec, exec, s[60:61]
	v_mov_b32_e32 v8, 0
	s_waitcnt lgkmcnt(0)
	s_barrier
	ds_read_b64 v[2:3], v8 offset:48
	v_cndmask_b32_e64 v9, v19, v16, s[42:43]
	v_cmp_eq_u16_sdwa vcc, v9, v8 src0_sel:BYTE_0 src1_sel:DWORD
	v_cndmask_b32_e64 v4, v17, v6, s[42:43]
	v_cndmask_b32_e64 v5, v18, v7, s[42:43]
	s_waitcnt lgkmcnt(0)
	v_cndmask_b32_e32 v7, 0, v3, vcc
	v_cndmask_b32_e32 v6, 0, v2, vcc
	v_lshl_add_u64 v[4:5], v[4:5], 0, v[6:7]
	v_cmp_eq_u32_e32 vcc, 0, v0
	s_nop 1
	v_cndmask_b32_e32 v83, v5, v3, vcc
	v_cndmask_b32_e32 v82, v4, v2, vcc
	v_cmp_eq_u16_sdwa vcc, v1, v8 src0_sel:BYTE_0 src1_sel:DWORD
	s_nop 1
	v_cndmask_b32_e32 v3, 0, v83, vcc
	v_cndmask_b32_e32 v2, 0, v82, vcc
	v_lshl_add_u64 v[6:7], v[2:3], 0, v[42:43]
	v_cndmask_b32_e64 v3, 0, v7, s[44:45]
	v_cndmask_b32_e64 v2, 0, v6, s[44:45]
	v_lshl_add_u64 v[2:3], v[2:3], 0, v[44:45]
	v_cndmask_b32_e64 v5, 0, v3, s[4:5]
	v_cndmask_b32_e64 v4, 0, v2, s[4:5]
	;; [unrolled: 3-line block ×19, first 2 shown]
	s_branch .LBB1591_237
.LBB1591_209:
                                        ; implicit-def: $vgpr2_vgpr3_vgpr4_vgpr5
                                        ; implicit-def: $vgpr82_vgpr83
                                        ; implicit-def: $vgpr102_vgpr103
                                        ; implicit-def: $vgpr100_vgpr101
                                        ; implicit-def: $vgpr98_vgpr99
                                        ; implicit-def: $vgpr96_vgpr97
                                        ; implicit-def: $vgpr94_vgpr95
                                        ; implicit-def: $vgpr92_vgpr93
                                        ; implicit-def: $vgpr90_vgpr91
                                        ; implicit-def: $vgpr88_vgpr89
                                        ; implicit-def: $vgpr86_vgpr87
                                        ; implicit-def: $vgpr84_vgpr85
                                        ; implicit-def: $vgpr36_vgpr37_vgpr38_vgpr39
                                        ; implicit-def: $vgpr32_vgpr33_vgpr34_vgpr35
                                        ; implicit-def: $vgpr28_vgpr29_vgpr30_vgpr31
                                        ; implicit-def: $vgpr24_vgpr25_vgpr26_vgpr27
                                        ; implicit-def: $vgpr20_vgpr21_vgpr22_vgpr23
                                        ; implicit-def: $vgpr16_vgpr17_vgpr18_vgpr19
                                        ; implicit-def: $vgpr12_vgpr13_vgpr14_vgpr15
                                        ; implicit-def: $vgpr8_vgpr9_vgpr10_vgpr11
                                        ; implicit-def: $vgpr4_vgpr5_vgpr6_vgpr7
	s_cbranch_execz .LBB1591_237
; %bb.210:
	s_cmp_lg_u64 s[70:71], 0
	s_cselect_b32 s3, s67, 0
	s_cselect_b32 s2, s66, 0
	s_cmp_eq_u64 s[2:3], 0
	v_mov_b64_e32 v[4:5], s[68:69]
	s_cbranch_scc1 .LBB1591_212
; %bb.211:
	v_mov_b32_e32 v2, 0
	global_load_dwordx2 v[4:5], v2, s[2:3]
.LBB1591_212:
	v_mov_b32_e32 v6, 0
	v_cmp_eq_u16_sdwa vcc, v104, v6 src0_sel:BYTE_0 src1_sel:DWORD
	v_cmp_eq_u16_sdwa s[2:3], v105, v6 src0_sel:BYTE_0 src1_sel:DWORD
	v_cmp_eq_u16_sdwa s[4:5], v107, v6 src0_sel:BYTE_0 src1_sel:DWORD
	v_cndmask_b32_e32 v3, 0, v43, vcc
	v_cndmask_b32_e32 v2, 0, v42, vcc
	v_lshl_add_u64 v[2:3], v[2:3], 0, v[44:45]
	v_cndmask_b32_e64 v3, 0, v3, s[2:3]
	v_cndmask_b32_e64 v2, 0, v2, s[2:3]
	v_lshl_add_u64 v[2:3], v[2:3], 0, v[46:47]
	v_cndmask_b32_e64 v3, 0, v3, s[4:5]
	v_cndmask_b32_e64 v2, 0, v2, s[4:5]
	v_lshl_add_u64 v[2:3], v[2:3], 0, v[48:49]
	v_cmp_eq_u16_sdwa s[6:7], v108, v6 src0_sel:BYTE_0 src1_sel:DWORD
	v_cmp_eq_u16_sdwa s[8:9], v109, v6 src0_sel:BYTE_0 src1_sel:DWORD
	v_cmp_eq_u16_sdwa s[10:11], v110, v6 src0_sel:BYTE_0 src1_sel:DWORD
	v_cndmask_b32_e64 v3, 0, v3, s[6:7]
	v_cndmask_b32_e64 v2, 0, v2, s[6:7]
	v_lshl_add_u64 v[2:3], v[2:3], 0, v[50:51]
	v_cndmask_b32_e64 v3, 0, v3, s[8:9]
	v_cndmask_b32_e64 v2, 0, v2, s[8:9]
	v_lshl_add_u64 v[2:3], v[2:3], 0, v[52:53]
	v_cndmask_b32_e64 v3, 0, v3, s[10:11]
	v_cndmask_b32_e64 v2, 0, v2, s[10:11]
	v_lshl_add_u64 v[2:3], v[2:3], 0, v[54:55]
	v_cmp_eq_u16_sdwa s[12:13], v111, v6 src0_sel:BYTE_0 src1_sel:DWORD
	v_cmp_eq_u16_sdwa s[14:15], v112, v6 src0_sel:BYTE_0 src1_sel:DWORD
	v_cmp_eq_u16_sdwa s[16:17], v113, v6 src0_sel:BYTE_0 src1_sel:DWORD
	v_cndmask_b32_e64 v3, 0, v3, s[12:13]
	v_cndmask_b32_e64 v2, 0, v2, s[12:13]
	;; [unrolled: 12-line block ×3, first 2 shown]
	v_lshl_add_u64 v[2:3], v[2:3], 0, v[62:63]
	v_cndmask_b32_e64 v3, 0, v3, s[20:21]
	v_cndmask_b32_e64 v2, 0, v2, s[20:21]
	v_lshl_add_u64 v[2:3], v[2:3], 0, v[64:65]
	v_cmp_eq_u16_sdwa s[24:25], v117, v6 src0_sel:BYTE_0 src1_sel:DWORD
	v_cmp_eq_u16_sdwa s[26:27], v118, v6 src0_sel:BYTE_0 src1_sel:DWORD
	;; [unrolled: 1-line block ×8, first 2 shown]
	v_or_b32_e32 v6, v125, v121
	v_cndmask_b32_e64 v3, 0, v3, s[22:23]
	v_cndmask_b32_e64 v2, 0, v2, s[22:23]
	v_or_b32_e32 v6, v6, v120
	v_lshl_add_u64 v[2:3], v[2:3], 0, v[66:67]
	v_or_b32_e32 v6, v6, v119
	v_cndmask_b32_e64 v3, 0, v3, s[24:25]
	v_cndmask_b32_e64 v2, 0, v2, s[24:25]
	v_or_b32_e32 v6, v6, v118
	v_lshl_add_u64 v[2:3], v[2:3], 0, v[68:69]
	;; [unrolled: 5-line block ×8, first 2 shown]
	v_or_b32_e32 v6, v6, v104
	v_cndmask_b32_e64 v3, 0, v3, s[40:41]
	v_cndmask_b32_e64 v2, 0, v2, s[40:41]
	v_or_b32_e32 v6, v6, v1
	v_mbcnt_hi_u32_b32 v8, -1, v124
	v_lshl_add_u64 v[2:3], v[2:3], 0, v[80:81]
	v_and_b32_e32 v9, 1, v6
	v_and_b32_e32 v7, 15, v8
	v_cmp_eq_u32_e64 s[40:41], 1, v9
	v_mov_b32_dpp v11, v2 row_shr:1 row_mask:0xf bank_mask:0xf
	v_mov_b32_dpp v12, v3 row_shr:1 row_mask:0xf bank_mask:0xf
	;; [unrolled: 1-line block ×3, first 2 shown]
	v_cmp_ne_u32_e64 s[42:43], 0, v7
	v_mov_b32_e32 v6, v9
	s_and_saveexec_b64 s[44:45], s[42:43]
; %bb.213:
	v_and_b32_e32 v6, 1, v10
	v_cndmask_b32_e64 v13, v12, 0, s[40:41]
	v_cndmask_b32_e64 v12, v11, 0, s[40:41]
	v_or_b32_e32 v9, v6, v9
	v_lshl_add_u64 v[2:3], v[12:13], 0, v[2:3]
	v_and_b32_e32 v6, 0xffff, v9
; %bb.214:
	s_or_b64 exec, exec, s[44:45]
	v_mov_b32_dpp v11, v2 row_shr:2 row_mask:0xf bank_mask:0xf
	v_mov_b32_dpp v12, v3 row_shr:2 row_mask:0xf bank_mask:0xf
	;; [unrolled: 1-line block ×3, first 2 shown]
	v_cmp_lt_u32_e64 s[40:41], 1, v7
	s_and_saveexec_b64 s[44:45], s[40:41]
; %bb.215:
	v_cmp_eq_u16_e64 s[40:41], 0, v9
	v_and_b32_e32 v6, 1, v9
	s_nop 0
	v_cndmask_b32_e64 v13, 0, v12, s[40:41]
	v_cndmask_b32_e64 v12, 0, v11, s[40:41]
	v_cmp_eq_u32_e64 s[40:41], 1, v6
	v_and_b32_e32 v6, 1, v10
	v_cmp_eq_u32_e64 s[42:43], 1, v6
	s_or_b64 s[40:41], s[40:41], s[42:43]
	v_lshl_add_u64 v[2:3], v[12:13], 0, v[2:3]
	v_cndmask_b32_e64 v9, 0, 1, s[40:41]
	v_cndmask_b32_e64 v6, 0, 1, s[40:41]
; %bb.216:
	s_or_b64 exec, exec, s[44:45]
	v_mov_b32_dpp v11, v2 row_shr:4 row_mask:0xf bank_mask:0xf
	v_mov_b32_dpp v12, v3 row_shr:4 row_mask:0xf bank_mask:0xf
	;; [unrolled: 1-line block ×3, first 2 shown]
	v_cmp_lt_u32_e64 s[40:41], 3, v7
	s_and_saveexec_b64 s[44:45], s[40:41]
; %bb.217:
	v_cmp_eq_u16_e64 s[40:41], 0, v9
	v_and_b32_e32 v6, 1, v9
	s_nop 0
	v_cndmask_b32_e64 v13, 0, v12, s[40:41]
	v_cndmask_b32_e64 v12, 0, v11, s[40:41]
	v_cmp_eq_u32_e64 s[40:41], 1, v6
	v_and_b32_e32 v6, 1, v10
	v_cmp_eq_u32_e64 s[42:43], 1, v6
	s_or_b64 s[40:41], s[40:41], s[42:43]
	v_lshl_add_u64 v[2:3], v[12:13], 0, v[2:3]
	v_cndmask_b32_e64 v9, 0, 1, s[40:41]
	v_cndmask_b32_e64 v6, 0, 1, s[40:41]
; %bb.218:
	s_or_b64 exec, exec, s[44:45]
	v_mov_b32_dpp v11, v2 row_shr:8 row_mask:0xf bank_mask:0xf
	v_mov_b32_dpp v12, v3 row_shr:8 row_mask:0xf bank_mask:0xf
	;; [unrolled: 1-line block ×3, first 2 shown]
	v_cmp_lt_u32_e64 s[40:41], 7, v7
	s_and_saveexec_b64 s[44:45], s[40:41]
; %bb.219:
	v_cmp_eq_u16_e64 s[40:41], 0, v9
	s_nop 1
	v_cndmask_b32_e64 v7, 0, v12, s[40:41]
	v_cndmask_b32_e64 v6, 0, v11, s[40:41]
	v_lshl_add_u64 v[2:3], v[6:7], 0, v[2:3]
	v_and_b32_e32 v6, 1, v9
	v_cmp_eq_u32_e64 s[40:41], 1, v6
	v_and_b32_e32 v6, 1, v10
	v_cmp_eq_u32_e64 s[42:43], 1, v6
	s_or_b64 s[40:41], s[40:41], s[42:43]
	v_cndmask_b32_e64 v9, 0, 1, s[40:41]
	v_cndmask_b32_e64 v6, 0, 1, s[40:41]
; %bb.220:
	s_or_b64 exec, exec, s[44:45]
	v_and_b32_e32 v12, 16, v8
	v_mov_b32_dpp v10, v2 row_bcast:15 row_mask:0xf bank_mask:0xf
	v_mov_b32_dpp v11, v3 row_bcast:15 row_mask:0xf bank_mask:0xf
	;; [unrolled: 1-line block ×3, first 2 shown]
	v_cmp_ne_u32_e64 s[40:41], 0, v12
	s_and_saveexec_b64 s[44:45], s[40:41]
; %bb.221:
	v_cmp_eq_u16_e64 s[40:41], 0, v9
	v_and_b32_e32 v6, 1, v9
	s_nop 0
	v_cndmask_b32_e64 v11, 0, v11, s[40:41]
	v_cndmask_b32_e64 v10, 0, v10, s[40:41]
	v_cmp_eq_u32_e64 s[40:41], 1, v6
	v_and_b32_e32 v6, 1, v7
	v_cmp_eq_u32_e64 s[42:43], 1, v6
	s_or_b64 s[40:41], s[40:41], s[42:43]
	v_lshl_add_u64 v[2:3], v[10:11], 0, v[2:3]
	v_cndmask_b32_e64 v9, 0, 1, s[40:41]
	v_cndmask_b32_e64 v6, 0, 1, s[40:41]
; %bb.222:
	s_or_b64 exec, exec, s[44:45]
	v_mov_b32_dpp v7, v2 row_bcast:31 row_mask:0xf bank_mask:0xf
	v_mov_b32_dpp v10, v3 row_bcast:31 row_mask:0xf bank_mask:0xf
	;; [unrolled: 1-line block ×3, first 2 shown]
	v_cmp_lt_u32_e64 s[40:41], 31, v8
	s_and_saveexec_b64 s[44:45], s[40:41]
; %bb.223:
	v_cmp_eq_u16_e64 s[40:41], 0, v9
	v_and_b32_e32 v6, 1, v6
	v_cmp_eq_u32_e64 s[42:43], 1, v6
	v_cndmask_b32_e64 v11, 0, v10, s[40:41]
	v_cndmask_b32_e64 v10, 0, v7, s[40:41]
	v_and_b32_e32 v7, 1, v9
	v_cmp_eq_u32_e64 s[40:41], 1, v7
	s_or_b64 s[40:41], s[40:41], s[42:43]
	v_lshl_add_u64 v[2:3], v[10:11], 0, v[2:3]
	v_cndmask_b32_e64 v9, 0, 1, s[40:41]
; %bb.224:
	s_or_b64 exec, exec, s[44:45]
	v_or_b32_e32 v6, 63, v0
	v_lshrrev_b32_e32 v10, 6, v0
	v_cmp_eq_u32_e64 s[40:41], v6, v0
	s_and_saveexec_b64 s[42:43], s[40:41]
	s_cbranch_execz .LBB1591_226
; %bb.225:
	v_lshlrev_b32_e32 v6, 4, v10
	ds_write_b64 v6, v[2:3]
	ds_write_b8 v6, v9 offset:8
.LBB1591_226:
	s_or_b64 exec, exec, s[42:43]
	v_cmp_gt_u32_e64 s[40:41], 4, v0
	s_waitcnt lgkmcnt(0)
	s_barrier
	s_and_saveexec_b64 s[44:45], s[40:41]
	s_cbranch_execz .LBB1591_232
; %bb.227:
	v_lshlrev_b32_e32 v11, 4, v0
	ds_read_b64 v[6:7], v11
	ds_read_b32 v12, v11 offset:8
	v_and_b32_e32 v13, 3, v8
	v_cmp_ne_u32_e64 s[40:41], 0, v13
	s_waitcnt lgkmcnt(1)
	v_mov_b32_dpp v17, v6 row_shr:1 row_mask:0xf bank_mask:0xf
	v_mov_b32_dpp v18, v7 row_shr:1 row_mask:0xf bank_mask:0xf
	s_waitcnt lgkmcnt(0)
	v_mov_b32_dpp v16, v12 row_shr:1 row_mask:0xf bank_mask:0xf
	v_mov_b32_e32 v14, v12
	v_mov_b32_e32 v15, v12
	s_and_saveexec_b64 s[42:43], s[40:41]
; %bb.228:
	v_mov_b32_e32 v14, 0
	v_cmp_eq_u16_sdwa s[40:41], v12, v14 src0_sel:BYTE_0 src1_sel:DWORD
	s_nop 1
	v_cndmask_b32_e64 v15, 0, v18, s[40:41]
	v_cndmask_b32_e64 v14, 0, v17, s[40:41]
	v_lshl_add_u64 v[6:7], v[14:15], 0, v[6:7]
	v_or_b32_e32 v15, v16, v12
	v_and_b32_e32 v14, 1, v15
	v_and_b32_e32 v15, 1, v15
	s_movk_i32 s40, 0xff00
	v_and_or_b32 v12, v12, s40, v15
; %bb.229:
	s_or_b64 exec, exec, s[42:43]
	v_mov_b32_dpp v16, v6 row_shr:2 row_mask:0xf bank_mask:0xf
	v_mov_b32_dpp v17, v7 row_shr:2 row_mask:0xf bank_mask:0xf
	;; [unrolled: 1-line block ×3, first 2 shown]
	v_cmp_lt_u32_e64 s[40:41], 1, v13
	s_and_saveexec_b64 s[46:47], s[40:41]
; %bb.230:
	v_mov_b32_e32 v13, 0
	v_cmp_eq_u16_sdwa s[40:41], v15, v13 src0_sel:BYTE_0 src1_sel:DWORD
	v_and_b32_e32 v13, 1, v15
	v_and_b32_e32 v12, 1, v12
	v_cndmask_b32_e64 v17, 0, v17, s[40:41]
	v_cndmask_b32_e64 v16, 0, v16, s[40:41]
	v_cmp_eq_u32_e64 s[40:41], 1, v13
	v_cmp_eq_u32_e64 s[42:43], 1, v12
	s_or_b64 s[40:41], s[40:41], s[42:43]
	v_lshl_add_u64 v[6:7], v[16:17], 0, v[6:7]
	v_cndmask_b32_e64 v14, 0, 1, s[40:41]
; %bb.231:
	s_or_b64 exec, exec, s[46:47]
	ds_write_b64 v11, v[6:7]
	ds_write_b8 v11, v14 offset:8
.LBB1591_232:
	s_or_b64 exec, exec, s[44:45]
	v_cmp_lt_u32_e64 s[40:41], 63, v0
	s_waitcnt vmcnt(0)
	v_mov_b64_e32 v[6:7], v[4:5]
	s_waitcnt lgkmcnt(0)
	s_barrier
	s_and_saveexec_b64 s[42:43], s[40:41]
	s_cbranch_execz .LBB1591_234
; %bb.233:
	v_lshl_add_u32 v6, v10, 4, -16
	ds_read_u8 v10, v6 offset:8
	ds_read_b64 v[6:7], v6
	s_waitcnt lgkmcnt(1)
	v_cmp_eq_u16_e64 s[40:41], 0, v10
	s_nop 1
	v_cndmask_b32_e64 v11, 0, v5, s[40:41]
	v_cndmask_b32_e64 v10, 0, v4, s[40:41]
	s_waitcnt lgkmcnt(0)
	v_lshl_add_u64 v[6:7], v[10:11], 0, v[6:7]
.LBB1591_234:
	s_or_b64 exec, exec, s[42:43]
	v_cmp_eq_u16_e64 s[40:41], 0, v9
	v_add_u32_e32 v9, -1, v8
	s_nop 0
	v_cndmask_b32_e64 v11, 0, v7, s[40:41]
	v_cndmask_b32_e64 v10, 0, v6, s[40:41]
	v_lshl_add_u64 v[2:3], v[10:11], 0, v[2:3]
	v_and_b32_e32 v10, 64, v8
	v_cmp_lt_i32_e64 s[40:41], v9, v10
	v_mov_b32_e32 v10, 0
	v_cmp_eq_u16_sdwa s[42:43], v1, v10 src0_sel:BYTE_0 src1_sel:DWORD
	v_cndmask_b32_e64 v9, v9, v8, s[40:41]
	v_lshlrev_b32_e32 v9, 2, v9
	ds_bpermute_b32 v3, v9, v3
	ds_bpermute_b32 v2, v9, v2
	v_cmp_eq_u32_e64 s[40:41], 0, v8
	s_waitcnt lgkmcnt(1)
	s_nop 0
	v_cndmask_b32_e64 v83, v3, v7, s[40:41]
	s_waitcnt lgkmcnt(0)
	v_cndmask_b32_e64 v82, v2, v6, s[40:41]
	v_cmp_eq_u32_e64 s[40:41], 0, v0
	s_nop 1
	v_cndmask_b32_e64 v2, v82, v4, s[40:41]
	v_cndmask_b32_e64 v3, v83, v5, s[40:41]
	;; [unrolled: 1-line block ×4, first 2 shown]
	v_lshl_add_u64 v[6:7], v[2:3], 0, v[42:43]
	v_cndmask_b32_e32 v3, 0, v7, vcc
	v_cndmask_b32_e32 v2, 0, v6, vcc
	v_lshl_add_u64 v[2:3], v[2:3], 0, v[44:45]
	v_cndmask_b32_e64 v9, 0, v3, s[2:3]
	v_cndmask_b32_e64 v8, 0, v2, s[2:3]
	v_lshl_add_u64 v[84:85], v[8:9], 0, v[46:47]
	v_cndmask_b32_e64 v9, 0, v85, s[4:5]
	v_cndmask_b32_e64 v8, 0, v84, s[4:5]
	;; [unrolled: 3-line block ×18, first 2 shown]
	s_and_saveexec_b64 s[2:3], s[40:41]
	s_cbranch_execz .LBB1591_236
; %bb.235:
	ds_read_u8 v1, v10 offset:56
	ds_read_b64 v[14:15], v10 offset:48
	v_mov_b64_e32 v[82:83], v[4:5]
	s_waitcnt lgkmcnt(1)
	v_cmp_eq_u32_e32 vcc, 0, v1
	s_nop 1
	v_cndmask_b32_e32 v19, 0, v5, vcc
	v_cndmask_b32_e32 v18, 0, v4, vcc
	s_waitcnt lgkmcnt(0)
	v_lshl_add_u64 v[14:15], v[18:19], 0, v[14:15]
	global_store_dword v10, v14, s[50:51] offset:1024 sc1
	global_store_dword v10, v15, s[50:51] offset:1028 sc1
	;; [unrolled: 1-line block ×4, first 2 shown]
	v_mov_b32_e32 v1, 2
	s_waitcnt vmcnt(0)
	global_store_byte v10, v1, s[52:53] offset:64 sc1
.LBB1591_236:
	s_or_b64 exec, exec, s[2:3]
.LBB1591_237:
	s_add_u32 s2, s62, s56
	s_addc_u32 s3, s63, s57
	s_add_u32 s2, s2, s58
	v_lshl_add_u64 v[10:11], v[102:103], 0, v[40:41]
	s_addc_u32 s3, s3, s59
	s_and_b64 vcc, exec, s[0:1]
	v_lshlrev_b32_e32 v4, 3, v0
	s_cbranch_vccz .LBB1591_279
; %bb.238:
	s_movk_i32 s0, 0xa8
	v_mul_i32_i24_e32 v18, 0xffffff60, v0
	v_mul_u32_u24_e32 v1, 0xa8, v0
	v_mad_u32_u24 v5, v0, s0, v18
	s_barrier
	ds_write2_b64 v1, v[82:83], v[6:7] offset1:1
	ds_write2_b64 v1, v[2:3], v[84:85] offset0:2 offset1:3
	ds_write2_b64 v1, v[8:9], v[86:87] offset0:4 offset1:5
	;; [unrolled: 1-line block ×9, first 2 shown]
	ds_write_b64 v1, v[10:11] offset:160
	s_waitcnt lgkmcnt(0)
	s_barrier
	ds_read2st64_b64 v[74:77], v5 offset0:4 offset1:8
	ds_read2st64_b64 v[70:73], v5 offset0:12 offset1:16
	;; [unrolled: 1-line block ×10, first 2 shown]
	s_add_i32 s33, s33, s54
	v_mov_b32_e32 v5, 0
	v_lshl_add_u64 v[14:15], s[2:3], 0, v[4:5]
	v_cmp_gt_u32_e32 vcc, s33, v0
	s_and_saveexec_b64 s[0:1], vcc
	s_cbranch_execz .LBB1591_240
; %bb.239:
	v_add_u32_e32 v1, v1, v18
	ds_read_b64 v[18:19], v1
	s_waitcnt lgkmcnt(0)
	flat_store_dwordx2 v[14:15], v[18:19]
.LBB1591_240:
	s_or_b64 exec, exec, s[0:1]
	v_or_b32_e32 v1, 0x100, v0
	v_cmp_gt_u32_e32 vcc, s33, v1
	s_and_saveexec_b64 s[0:1], vcc
	s_cbranch_execz .LBB1591_242
; %bb.241:
	s_waitcnt lgkmcnt(0)
	flat_store_dwordx2 v[14:15], v[74:75] offset:2048
.LBB1591_242:
	s_or_b64 exec, exec, s[0:1]
	v_or_b32_e32 v1, 0x200, v0
	v_cmp_gt_u32_e32 vcc, s33, v1
	s_and_saveexec_b64 s[0:1], vcc
	s_cbranch_execz .LBB1591_244
; %bb.243:
	v_add_co_u32_e32 v18, vcc, 0x1000, v14
	s_nop 1
	v_addc_co_u32_e32 v19, vcc, 0, v15, vcc
	s_waitcnt lgkmcnt(0)
	flat_store_dwordx2 v[18:19], v[76:77]
.LBB1591_244:
	s_or_b64 exec, exec, s[0:1]
	v_or_b32_e32 v1, 0x300, v0
	v_cmp_gt_u32_e32 vcc, s33, v1
	s_and_saveexec_b64 s[0:1], vcc
	s_cbranch_execz .LBB1591_246
; %bb.245:
	v_add_co_u32_e32 v18, vcc, 0x1000, v14
	s_nop 1
	v_addc_co_u32_e32 v19, vcc, 0, v15, vcc
	s_waitcnt lgkmcnt(0)
	flat_store_dwordx2 v[18:19], v[70:71] offset:2048
.LBB1591_246:
	s_or_b64 exec, exec, s[0:1]
	v_or_b32_e32 v1, 0x400, v0
	v_cmp_gt_u32_e32 vcc, s33, v1
	s_and_saveexec_b64 s[0:1], vcc
	s_cbranch_execz .LBB1591_248
; %bb.247:
	v_add_co_u32_e32 v18, vcc, 0x2000, v14
	s_nop 1
	v_addc_co_u32_e32 v19, vcc, 0, v15, vcc
	s_waitcnt lgkmcnt(0)
	flat_store_dwordx2 v[18:19], v[72:73]
.LBB1591_248:
	s_or_b64 exec, exec, s[0:1]
	v_or_b32_e32 v1, 0x500, v0
	v_cmp_gt_u32_e32 vcc, s33, v1
	s_and_saveexec_b64 s[0:1], vcc
	s_cbranch_execz .LBB1591_250
; %bb.249:
	v_add_co_u32_e32 v18, vcc, 0x2000, v14
	s_nop 1
	v_addc_co_u32_e32 v19, vcc, 0, v15, vcc
	s_waitcnt lgkmcnt(0)
	flat_store_dwordx2 v[18:19], v[66:67] offset:2048
.LBB1591_250:
	;; [unrolled: 24-line block ×9, first 2 shown]
	s_or_b64 exec, exec, s[0:1]
	v_mov_b32_e32 v1, v5
	v_or_b32_e32 v5, 0x1400, v0
	v_cmp_gt_u32_e64 s[0:1], s33, v5
	s_branch .LBB1591_281
.LBB1591_279:
	s_mov_b64 s[0:1], 0
                                        ; implicit-def: $vgpr40_vgpr41
	s_cbranch_execz .LBB1591_281
; %bb.280:
	v_mul_u32_u24_e32 v1, 0xa8, v0
	s_waitcnt lgkmcnt(0)
	s_barrier
	s_movk_i32 s4, 0xa8
	ds_write2_b64 v1, v[82:83], v[6:7] offset1:1
	ds_write2_b64 v1, v[2:3], v[84:85] offset0:2 offset1:3
	ds_write2_b64 v1, v[8:9], v[86:87] offset0:4 offset1:5
	;; [unrolled: 1-line block ×9, first 2 shown]
	ds_write_b64 v1, v[10:11] offset:160
	v_mov_b32_e32 v1, 0
	v_mul_i32_i24_e32 v2, 0xffffff60, v0
	v_mad_u32_u24 v2, v0, s4, v2
	v_mov_b32_e32 v5, v1
	s_waitcnt lgkmcnt(0)
	s_barrier
	ds_read2st64_b64 v[6:9], v2 offset1:4
	ds_read2st64_b64 v[10:13], v2 offset0:8 offset1:12
	ds_read2st64_b64 v[14:17], v2 offset0:16 offset1:20
	;; [unrolled: 1-line block ×9, first 2 shown]
	ds_read_b64 v[40:41], v2 offset:40960
	v_lshl_add_u64 v[2:3], s[2:3], 0, v[4:5]
	s_movk_i32 s4, 0x1000
	v_add_co_u32_e32 v4, vcc, s4, v2
	s_movk_i32 s4, 0x2000
	s_nop 0
	v_addc_co_u32_e32 v5, vcc, 0, v3, vcc
	s_waitcnt lgkmcnt(0)
	flat_store_dwordx2 v[2:3], v[6:7]
	flat_store_dwordx2 v[2:3], v[8:9] offset:2048
	flat_store_dwordx2 v[4:5], v[10:11]
	flat_store_dwordx2 v[4:5], v[12:13] offset:2048
	v_add_co_u32_e32 v4, vcc, s4, v2
	s_movk_i32 s4, 0x3000
	s_nop 0
	v_addc_co_u32_e32 v5, vcc, 0, v3, vcc
	flat_store_dwordx2 v[4:5], v[14:15]
	flat_store_dwordx2 v[4:5], v[16:17] offset:2048
	v_add_co_u32_e32 v4, vcc, s4, v2
	s_movk_i32 s4, 0x4000
	s_nop 0
	v_addc_co_u32_e32 v5, vcc, 0, v3, vcc
	;; [unrolled: 6-line block ×5, first 2 shown]
	flat_store_dwordx2 v[4:5], v[30:31]
	flat_store_dwordx2 v[4:5], v[32:33] offset:2048
	v_add_co_u32_e32 v4, vcc, s4, v2
	s_or_b64 s[0:1], s[0:1], exec
	s_nop 0
	v_addc_co_u32_e32 v5, vcc, 0, v3, vcc
	flat_store_dwordx2 v[4:5], v[34:35]
	flat_store_dwordx2 v[4:5], v[36:37] offset:2048
	v_add_co_u32_e32 v4, vcc, 0x8000, v2
	s_nop 1
	v_addc_co_u32_e32 v5, vcc, 0, v3, vcc
	v_add_co_u32_e32 v2, vcc, 0x9000, v2
	flat_store_dwordx2 v[4:5], v[42:43]
	flat_store_dwordx2 v[4:5], v[44:45] offset:2048
	v_addc_co_u32_e32 v3, vcc, 0, v3, vcc
	flat_store_dwordx2 v[2:3], v[46:47]
	flat_store_dwordx2 v[2:3], v[48:49] offset:2048
.LBB1591_281:
	s_and_saveexec_b64 s[4:5], s[0:1]
	s_cbranch_execz .LBB1591_283
; %bb.282:
	v_lshl_add_u64 v[0:1], v[0:1], 3, s[2:3]
	v_add_co_u32_e32 v0, vcc, 0xa000, v0
	s_nop 1
	v_addc_co_u32_e32 v1, vcc, 0, v1, vcc
	s_waitcnt lgkmcnt(0)
	flat_store_dwordx2 v[0:1], v[40:41]
	s_endpgm
.LBB1591_283:
	s_endpgm
	.section	.rodata,"a",@progbits
	.p2align	6, 0x0
	.amdhsa_kernel _ZN7rocprim17ROCPRIM_400000_NS6detail17trampoline_kernelINS0_14default_configENS1_27scan_by_key_config_selectorIixEEZZNS1_16scan_by_key_implILNS1_25lookback_scan_determinismE0ELb1ES3_N6thrust23THRUST_200600_302600_NS6detail15normal_iteratorINS9_10device_ptrIiEEEENSB_INSC_IxEEEESG_xNS9_4plusIvEENS9_8equal_toIvEExEE10hipError_tPvRmT2_T3_T4_T5_mT6_T7_P12ihipStream_tbENKUlT_T0_E_clISt17integral_constantIbLb1EES10_IbLb0EEEEDaSW_SX_EUlSW_E_NS1_11comp_targetILNS1_3genE5ELNS1_11target_archE942ELNS1_3gpuE9ELNS1_3repE0EEENS1_30default_config_static_selectorELNS0_4arch9wavefront6targetE1EEEvT1_
		.amdhsa_group_segment_fixed_size 43008
		.amdhsa_private_segment_fixed_size 0
		.amdhsa_kernarg_size 136
		.amdhsa_user_sgpr_count 2
		.amdhsa_user_sgpr_dispatch_ptr 0
		.amdhsa_user_sgpr_queue_ptr 0
		.amdhsa_user_sgpr_kernarg_segment_ptr 1
		.amdhsa_user_sgpr_dispatch_id 0
		.amdhsa_user_sgpr_kernarg_preload_length 0
		.amdhsa_user_sgpr_kernarg_preload_offset 0
		.amdhsa_user_sgpr_private_segment_size 0
		.amdhsa_uses_dynamic_stack 0
		.amdhsa_enable_private_segment 0
		.amdhsa_system_sgpr_workgroup_id_x 1
		.amdhsa_system_sgpr_workgroup_id_y 0
		.amdhsa_system_sgpr_workgroup_id_z 0
		.amdhsa_system_sgpr_workgroup_info 0
		.amdhsa_system_vgpr_workitem_id 0
		.amdhsa_next_free_vgpr 126
		.amdhsa_next_free_sgpr 78
		.amdhsa_accum_offset 128
		.amdhsa_reserve_vcc 1
		.amdhsa_float_round_mode_32 0
		.amdhsa_float_round_mode_16_64 0
		.amdhsa_float_denorm_mode_32 3
		.amdhsa_float_denorm_mode_16_64 3
		.amdhsa_dx10_clamp 1
		.amdhsa_ieee_mode 1
		.amdhsa_fp16_overflow 0
		.amdhsa_tg_split 0
		.amdhsa_exception_fp_ieee_invalid_op 0
		.amdhsa_exception_fp_denorm_src 0
		.amdhsa_exception_fp_ieee_div_zero 0
		.amdhsa_exception_fp_ieee_overflow 0
		.amdhsa_exception_fp_ieee_underflow 0
		.amdhsa_exception_fp_ieee_inexact 0
		.amdhsa_exception_int_div_zero 0
	.end_amdhsa_kernel
	.section	.text._ZN7rocprim17ROCPRIM_400000_NS6detail17trampoline_kernelINS0_14default_configENS1_27scan_by_key_config_selectorIixEEZZNS1_16scan_by_key_implILNS1_25lookback_scan_determinismE0ELb1ES3_N6thrust23THRUST_200600_302600_NS6detail15normal_iteratorINS9_10device_ptrIiEEEENSB_INSC_IxEEEESG_xNS9_4plusIvEENS9_8equal_toIvEExEE10hipError_tPvRmT2_T3_T4_T5_mT6_T7_P12ihipStream_tbENKUlT_T0_E_clISt17integral_constantIbLb1EES10_IbLb0EEEEDaSW_SX_EUlSW_E_NS1_11comp_targetILNS1_3genE5ELNS1_11target_archE942ELNS1_3gpuE9ELNS1_3repE0EEENS1_30default_config_static_selectorELNS0_4arch9wavefront6targetE1EEEvT1_,"axG",@progbits,_ZN7rocprim17ROCPRIM_400000_NS6detail17trampoline_kernelINS0_14default_configENS1_27scan_by_key_config_selectorIixEEZZNS1_16scan_by_key_implILNS1_25lookback_scan_determinismE0ELb1ES3_N6thrust23THRUST_200600_302600_NS6detail15normal_iteratorINS9_10device_ptrIiEEEENSB_INSC_IxEEEESG_xNS9_4plusIvEENS9_8equal_toIvEExEE10hipError_tPvRmT2_T3_T4_T5_mT6_T7_P12ihipStream_tbENKUlT_T0_E_clISt17integral_constantIbLb1EES10_IbLb0EEEEDaSW_SX_EUlSW_E_NS1_11comp_targetILNS1_3genE5ELNS1_11target_archE942ELNS1_3gpuE9ELNS1_3repE0EEENS1_30default_config_static_selectorELNS0_4arch9wavefront6targetE1EEEvT1_,comdat
.Lfunc_end1591:
	.size	_ZN7rocprim17ROCPRIM_400000_NS6detail17trampoline_kernelINS0_14default_configENS1_27scan_by_key_config_selectorIixEEZZNS1_16scan_by_key_implILNS1_25lookback_scan_determinismE0ELb1ES3_N6thrust23THRUST_200600_302600_NS6detail15normal_iteratorINS9_10device_ptrIiEEEENSB_INSC_IxEEEESG_xNS9_4plusIvEENS9_8equal_toIvEExEE10hipError_tPvRmT2_T3_T4_T5_mT6_T7_P12ihipStream_tbENKUlT_T0_E_clISt17integral_constantIbLb1EES10_IbLb0EEEEDaSW_SX_EUlSW_E_NS1_11comp_targetILNS1_3genE5ELNS1_11target_archE942ELNS1_3gpuE9ELNS1_3repE0EEENS1_30default_config_static_selectorELNS0_4arch9wavefront6targetE1EEEvT1_, .Lfunc_end1591-_ZN7rocprim17ROCPRIM_400000_NS6detail17trampoline_kernelINS0_14default_configENS1_27scan_by_key_config_selectorIixEEZZNS1_16scan_by_key_implILNS1_25lookback_scan_determinismE0ELb1ES3_N6thrust23THRUST_200600_302600_NS6detail15normal_iteratorINS9_10device_ptrIiEEEENSB_INSC_IxEEEESG_xNS9_4plusIvEENS9_8equal_toIvEExEE10hipError_tPvRmT2_T3_T4_T5_mT6_T7_P12ihipStream_tbENKUlT_T0_E_clISt17integral_constantIbLb1EES10_IbLb0EEEEDaSW_SX_EUlSW_E_NS1_11comp_targetILNS1_3genE5ELNS1_11target_archE942ELNS1_3gpuE9ELNS1_3repE0EEENS1_30default_config_static_selectorELNS0_4arch9wavefront6targetE1EEEvT1_
                                        ; -- End function
	.section	.AMDGPU.csdata,"",@progbits
; Kernel info:
; codeLenInByte = 17148
; NumSgprs: 84
; NumVgprs: 126
; NumAgprs: 0
; TotalNumVgprs: 126
; ScratchSize: 0
; MemoryBound: 0
; FloatMode: 240
; IeeeMode: 1
; LDSByteSize: 43008 bytes/workgroup (compile time only)
; SGPRBlocks: 10
; VGPRBlocks: 15
; NumSGPRsForWavesPerEU: 84
; NumVGPRsForWavesPerEU: 126
; AccumOffset: 128
; Occupancy: 1
; WaveLimiterHint : 1
; COMPUTE_PGM_RSRC2:SCRATCH_EN: 0
; COMPUTE_PGM_RSRC2:USER_SGPR: 2
; COMPUTE_PGM_RSRC2:TRAP_HANDLER: 0
; COMPUTE_PGM_RSRC2:TGID_X_EN: 1
; COMPUTE_PGM_RSRC2:TGID_Y_EN: 0
; COMPUTE_PGM_RSRC2:TGID_Z_EN: 0
; COMPUTE_PGM_RSRC2:TIDIG_COMP_CNT: 0
; COMPUTE_PGM_RSRC3_GFX90A:ACCUM_OFFSET: 31
; COMPUTE_PGM_RSRC3_GFX90A:TG_SPLIT: 0
	.section	.text._ZN7rocprim17ROCPRIM_400000_NS6detail17trampoline_kernelINS0_14default_configENS1_27scan_by_key_config_selectorIixEEZZNS1_16scan_by_key_implILNS1_25lookback_scan_determinismE0ELb1ES3_N6thrust23THRUST_200600_302600_NS6detail15normal_iteratorINS9_10device_ptrIiEEEENSB_INSC_IxEEEESG_xNS9_4plusIvEENS9_8equal_toIvEExEE10hipError_tPvRmT2_T3_T4_T5_mT6_T7_P12ihipStream_tbENKUlT_T0_E_clISt17integral_constantIbLb1EES10_IbLb0EEEEDaSW_SX_EUlSW_E_NS1_11comp_targetILNS1_3genE4ELNS1_11target_archE910ELNS1_3gpuE8ELNS1_3repE0EEENS1_30default_config_static_selectorELNS0_4arch9wavefront6targetE1EEEvT1_,"axG",@progbits,_ZN7rocprim17ROCPRIM_400000_NS6detail17trampoline_kernelINS0_14default_configENS1_27scan_by_key_config_selectorIixEEZZNS1_16scan_by_key_implILNS1_25lookback_scan_determinismE0ELb1ES3_N6thrust23THRUST_200600_302600_NS6detail15normal_iteratorINS9_10device_ptrIiEEEENSB_INSC_IxEEEESG_xNS9_4plusIvEENS9_8equal_toIvEExEE10hipError_tPvRmT2_T3_T4_T5_mT6_T7_P12ihipStream_tbENKUlT_T0_E_clISt17integral_constantIbLb1EES10_IbLb0EEEEDaSW_SX_EUlSW_E_NS1_11comp_targetILNS1_3genE4ELNS1_11target_archE910ELNS1_3gpuE8ELNS1_3repE0EEENS1_30default_config_static_selectorELNS0_4arch9wavefront6targetE1EEEvT1_,comdat
	.protected	_ZN7rocprim17ROCPRIM_400000_NS6detail17trampoline_kernelINS0_14default_configENS1_27scan_by_key_config_selectorIixEEZZNS1_16scan_by_key_implILNS1_25lookback_scan_determinismE0ELb1ES3_N6thrust23THRUST_200600_302600_NS6detail15normal_iteratorINS9_10device_ptrIiEEEENSB_INSC_IxEEEESG_xNS9_4plusIvEENS9_8equal_toIvEExEE10hipError_tPvRmT2_T3_T4_T5_mT6_T7_P12ihipStream_tbENKUlT_T0_E_clISt17integral_constantIbLb1EES10_IbLb0EEEEDaSW_SX_EUlSW_E_NS1_11comp_targetILNS1_3genE4ELNS1_11target_archE910ELNS1_3gpuE8ELNS1_3repE0EEENS1_30default_config_static_selectorELNS0_4arch9wavefront6targetE1EEEvT1_ ; -- Begin function _ZN7rocprim17ROCPRIM_400000_NS6detail17trampoline_kernelINS0_14default_configENS1_27scan_by_key_config_selectorIixEEZZNS1_16scan_by_key_implILNS1_25lookback_scan_determinismE0ELb1ES3_N6thrust23THRUST_200600_302600_NS6detail15normal_iteratorINS9_10device_ptrIiEEEENSB_INSC_IxEEEESG_xNS9_4plusIvEENS9_8equal_toIvEExEE10hipError_tPvRmT2_T3_T4_T5_mT6_T7_P12ihipStream_tbENKUlT_T0_E_clISt17integral_constantIbLb1EES10_IbLb0EEEEDaSW_SX_EUlSW_E_NS1_11comp_targetILNS1_3genE4ELNS1_11target_archE910ELNS1_3gpuE8ELNS1_3repE0EEENS1_30default_config_static_selectorELNS0_4arch9wavefront6targetE1EEEvT1_
	.globl	_ZN7rocprim17ROCPRIM_400000_NS6detail17trampoline_kernelINS0_14default_configENS1_27scan_by_key_config_selectorIixEEZZNS1_16scan_by_key_implILNS1_25lookback_scan_determinismE0ELb1ES3_N6thrust23THRUST_200600_302600_NS6detail15normal_iteratorINS9_10device_ptrIiEEEENSB_INSC_IxEEEESG_xNS9_4plusIvEENS9_8equal_toIvEExEE10hipError_tPvRmT2_T3_T4_T5_mT6_T7_P12ihipStream_tbENKUlT_T0_E_clISt17integral_constantIbLb1EES10_IbLb0EEEEDaSW_SX_EUlSW_E_NS1_11comp_targetILNS1_3genE4ELNS1_11target_archE910ELNS1_3gpuE8ELNS1_3repE0EEENS1_30default_config_static_selectorELNS0_4arch9wavefront6targetE1EEEvT1_
	.p2align	8
	.type	_ZN7rocprim17ROCPRIM_400000_NS6detail17trampoline_kernelINS0_14default_configENS1_27scan_by_key_config_selectorIixEEZZNS1_16scan_by_key_implILNS1_25lookback_scan_determinismE0ELb1ES3_N6thrust23THRUST_200600_302600_NS6detail15normal_iteratorINS9_10device_ptrIiEEEENSB_INSC_IxEEEESG_xNS9_4plusIvEENS9_8equal_toIvEExEE10hipError_tPvRmT2_T3_T4_T5_mT6_T7_P12ihipStream_tbENKUlT_T0_E_clISt17integral_constantIbLb1EES10_IbLb0EEEEDaSW_SX_EUlSW_E_NS1_11comp_targetILNS1_3genE4ELNS1_11target_archE910ELNS1_3gpuE8ELNS1_3repE0EEENS1_30default_config_static_selectorELNS0_4arch9wavefront6targetE1EEEvT1_,@function
_ZN7rocprim17ROCPRIM_400000_NS6detail17trampoline_kernelINS0_14default_configENS1_27scan_by_key_config_selectorIixEEZZNS1_16scan_by_key_implILNS1_25lookback_scan_determinismE0ELb1ES3_N6thrust23THRUST_200600_302600_NS6detail15normal_iteratorINS9_10device_ptrIiEEEENSB_INSC_IxEEEESG_xNS9_4plusIvEENS9_8equal_toIvEExEE10hipError_tPvRmT2_T3_T4_T5_mT6_T7_P12ihipStream_tbENKUlT_T0_E_clISt17integral_constantIbLb1EES10_IbLb0EEEEDaSW_SX_EUlSW_E_NS1_11comp_targetILNS1_3genE4ELNS1_11target_archE910ELNS1_3gpuE8ELNS1_3repE0EEENS1_30default_config_static_selectorELNS0_4arch9wavefront6targetE1EEEvT1_: ; @_ZN7rocprim17ROCPRIM_400000_NS6detail17trampoline_kernelINS0_14default_configENS1_27scan_by_key_config_selectorIixEEZZNS1_16scan_by_key_implILNS1_25lookback_scan_determinismE0ELb1ES3_N6thrust23THRUST_200600_302600_NS6detail15normal_iteratorINS9_10device_ptrIiEEEENSB_INSC_IxEEEESG_xNS9_4plusIvEENS9_8equal_toIvEExEE10hipError_tPvRmT2_T3_T4_T5_mT6_T7_P12ihipStream_tbENKUlT_T0_E_clISt17integral_constantIbLb1EES10_IbLb0EEEEDaSW_SX_EUlSW_E_NS1_11comp_targetILNS1_3genE4ELNS1_11target_archE910ELNS1_3gpuE8ELNS1_3repE0EEENS1_30default_config_static_selectorELNS0_4arch9wavefront6targetE1EEEvT1_
; %bb.0:
	.section	.rodata,"a",@progbits
	.p2align	6, 0x0
	.amdhsa_kernel _ZN7rocprim17ROCPRIM_400000_NS6detail17trampoline_kernelINS0_14default_configENS1_27scan_by_key_config_selectorIixEEZZNS1_16scan_by_key_implILNS1_25lookback_scan_determinismE0ELb1ES3_N6thrust23THRUST_200600_302600_NS6detail15normal_iteratorINS9_10device_ptrIiEEEENSB_INSC_IxEEEESG_xNS9_4plusIvEENS9_8equal_toIvEExEE10hipError_tPvRmT2_T3_T4_T5_mT6_T7_P12ihipStream_tbENKUlT_T0_E_clISt17integral_constantIbLb1EES10_IbLb0EEEEDaSW_SX_EUlSW_E_NS1_11comp_targetILNS1_3genE4ELNS1_11target_archE910ELNS1_3gpuE8ELNS1_3repE0EEENS1_30default_config_static_selectorELNS0_4arch9wavefront6targetE1EEEvT1_
		.amdhsa_group_segment_fixed_size 0
		.amdhsa_private_segment_fixed_size 0
		.amdhsa_kernarg_size 136
		.amdhsa_user_sgpr_count 2
		.amdhsa_user_sgpr_dispatch_ptr 0
		.amdhsa_user_sgpr_queue_ptr 0
		.amdhsa_user_sgpr_kernarg_segment_ptr 1
		.amdhsa_user_sgpr_dispatch_id 0
		.amdhsa_user_sgpr_kernarg_preload_length 0
		.amdhsa_user_sgpr_kernarg_preload_offset 0
		.amdhsa_user_sgpr_private_segment_size 0
		.amdhsa_uses_dynamic_stack 0
		.amdhsa_enable_private_segment 0
		.amdhsa_system_sgpr_workgroup_id_x 1
		.amdhsa_system_sgpr_workgroup_id_y 0
		.amdhsa_system_sgpr_workgroup_id_z 0
		.amdhsa_system_sgpr_workgroup_info 0
		.amdhsa_system_vgpr_workitem_id 0
		.amdhsa_next_free_vgpr 1
		.amdhsa_next_free_sgpr 0
		.amdhsa_accum_offset 4
		.amdhsa_reserve_vcc 0
		.amdhsa_float_round_mode_32 0
		.amdhsa_float_round_mode_16_64 0
		.amdhsa_float_denorm_mode_32 3
		.amdhsa_float_denorm_mode_16_64 3
		.amdhsa_dx10_clamp 1
		.amdhsa_ieee_mode 1
		.amdhsa_fp16_overflow 0
		.amdhsa_tg_split 0
		.amdhsa_exception_fp_ieee_invalid_op 0
		.amdhsa_exception_fp_denorm_src 0
		.amdhsa_exception_fp_ieee_div_zero 0
		.amdhsa_exception_fp_ieee_overflow 0
		.amdhsa_exception_fp_ieee_underflow 0
		.amdhsa_exception_fp_ieee_inexact 0
		.amdhsa_exception_int_div_zero 0
	.end_amdhsa_kernel
	.section	.text._ZN7rocprim17ROCPRIM_400000_NS6detail17trampoline_kernelINS0_14default_configENS1_27scan_by_key_config_selectorIixEEZZNS1_16scan_by_key_implILNS1_25lookback_scan_determinismE0ELb1ES3_N6thrust23THRUST_200600_302600_NS6detail15normal_iteratorINS9_10device_ptrIiEEEENSB_INSC_IxEEEESG_xNS9_4plusIvEENS9_8equal_toIvEExEE10hipError_tPvRmT2_T3_T4_T5_mT6_T7_P12ihipStream_tbENKUlT_T0_E_clISt17integral_constantIbLb1EES10_IbLb0EEEEDaSW_SX_EUlSW_E_NS1_11comp_targetILNS1_3genE4ELNS1_11target_archE910ELNS1_3gpuE8ELNS1_3repE0EEENS1_30default_config_static_selectorELNS0_4arch9wavefront6targetE1EEEvT1_,"axG",@progbits,_ZN7rocprim17ROCPRIM_400000_NS6detail17trampoline_kernelINS0_14default_configENS1_27scan_by_key_config_selectorIixEEZZNS1_16scan_by_key_implILNS1_25lookback_scan_determinismE0ELb1ES3_N6thrust23THRUST_200600_302600_NS6detail15normal_iteratorINS9_10device_ptrIiEEEENSB_INSC_IxEEEESG_xNS9_4plusIvEENS9_8equal_toIvEExEE10hipError_tPvRmT2_T3_T4_T5_mT6_T7_P12ihipStream_tbENKUlT_T0_E_clISt17integral_constantIbLb1EES10_IbLb0EEEEDaSW_SX_EUlSW_E_NS1_11comp_targetILNS1_3genE4ELNS1_11target_archE910ELNS1_3gpuE8ELNS1_3repE0EEENS1_30default_config_static_selectorELNS0_4arch9wavefront6targetE1EEEvT1_,comdat
.Lfunc_end1592:
	.size	_ZN7rocprim17ROCPRIM_400000_NS6detail17trampoline_kernelINS0_14default_configENS1_27scan_by_key_config_selectorIixEEZZNS1_16scan_by_key_implILNS1_25lookback_scan_determinismE0ELb1ES3_N6thrust23THRUST_200600_302600_NS6detail15normal_iteratorINS9_10device_ptrIiEEEENSB_INSC_IxEEEESG_xNS9_4plusIvEENS9_8equal_toIvEExEE10hipError_tPvRmT2_T3_T4_T5_mT6_T7_P12ihipStream_tbENKUlT_T0_E_clISt17integral_constantIbLb1EES10_IbLb0EEEEDaSW_SX_EUlSW_E_NS1_11comp_targetILNS1_3genE4ELNS1_11target_archE910ELNS1_3gpuE8ELNS1_3repE0EEENS1_30default_config_static_selectorELNS0_4arch9wavefront6targetE1EEEvT1_, .Lfunc_end1592-_ZN7rocprim17ROCPRIM_400000_NS6detail17trampoline_kernelINS0_14default_configENS1_27scan_by_key_config_selectorIixEEZZNS1_16scan_by_key_implILNS1_25lookback_scan_determinismE0ELb1ES3_N6thrust23THRUST_200600_302600_NS6detail15normal_iteratorINS9_10device_ptrIiEEEENSB_INSC_IxEEEESG_xNS9_4plusIvEENS9_8equal_toIvEExEE10hipError_tPvRmT2_T3_T4_T5_mT6_T7_P12ihipStream_tbENKUlT_T0_E_clISt17integral_constantIbLb1EES10_IbLb0EEEEDaSW_SX_EUlSW_E_NS1_11comp_targetILNS1_3genE4ELNS1_11target_archE910ELNS1_3gpuE8ELNS1_3repE0EEENS1_30default_config_static_selectorELNS0_4arch9wavefront6targetE1EEEvT1_
                                        ; -- End function
	.section	.AMDGPU.csdata,"",@progbits
; Kernel info:
; codeLenInByte = 0
; NumSgprs: 6
; NumVgprs: 0
; NumAgprs: 0
; TotalNumVgprs: 0
; ScratchSize: 0
; MemoryBound: 0
; FloatMode: 240
; IeeeMode: 1
; LDSByteSize: 0 bytes/workgroup (compile time only)
; SGPRBlocks: 0
; VGPRBlocks: 0
; NumSGPRsForWavesPerEU: 6
; NumVGPRsForWavesPerEU: 1
; AccumOffset: 4
; Occupancy: 8
; WaveLimiterHint : 0
; COMPUTE_PGM_RSRC2:SCRATCH_EN: 0
; COMPUTE_PGM_RSRC2:USER_SGPR: 2
; COMPUTE_PGM_RSRC2:TRAP_HANDLER: 0
; COMPUTE_PGM_RSRC2:TGID_X_EN: 1
; COMPUTE_PGM_RSRC2:TGID_Y_EN: 0
; COMPUTE_PGM_RSRC2:TGID_Z_EN: 0
; COMPUTE_PGM_RSRC2:TIDIG_COMP_CNT: 0
; COMPUTE_PGM_RSRC3_GFX90A:ACCUM_OFFSET: 0
; COMPUTE_PGM_RSRC3_GFX90A:TG_SPLIT: 0
	.section	.text._ZN7rocprim17ROCPRIM_400000_NS6detail17trampoline_kernelINS0_14default_configENS1_27scan_by_key_config_selectorIixEEZZNS1_16scan_by_key_implILNS1_25lookback_scan_determinismE0ELb1ES3_N6thrust23THRUST_200600_302600_NS6detail15normal_iteratorINS9_10device_ptrIiEEEENSB_INSC_IxEEEESG_xNS9_4plusIvEENS9_8equal_toIvEExEE10hipError_tPvRmT2_T3_T4_T5_mT6_T7_P12ihipStream_tbENKUlT_T0_E_clISt17integral_constantIbLb1EES10_IbLb0EEEEDaSW_SX_EUlSW_E_NS1_11comp_targetILNS1_3genE3ELNS1_11target_archE908ELNS1_3gpuE7ELNS1_3repE0EEENS1_30default_config_static_selectorELNS0_4arch9wavefront6targetE1EEEvT1_,"axG",@progbits,_ZN7rocprim17ROCPRIM_400000_NS6detail17trampoline_kernelINS0_14default_configENS1_27scan_by_key_config_selectorIixEEZZNS1_16scan_by_key_implILNS1_25lookback_scan_determinismE0ELb1ES3_N6thrust23THRUST_200600_302600_NS6detail15normal_iteratorINS9_10device_ptrIiEEEENSB_INSC_IxEEEESG_xNS9_4plusIvEENS9_8equal_toIvEExEE10hipError_tPvRmT2_T3_T4_T5_mT6_T7_P12ihipStream_tbENKUlT_T0_E_clISt17integral_constantIbLb1EES10_IbLb0EEEEDaSW_SX_EUlSW_E_NS1_11comp_targetILNS1_3genE3ELNS1_11target_archE908ELNS1_3gpuE7ELNS1_3repE0EEENS1_30default_config_static_selectorELNS0_4arch9wavefront6targetE1EEEvT1_,comdat
	.protected	_ZN7rocprim17ROCPRIM_400000_NS6detail17trampoline_kernelINS0_14default_configENS1_27scan_by_key_config_selectorIixEEZZNS1_16scan_by_key_implILNS1_25lookback_scan_determinismE0ELb1ES3_N6thrust23THRUST_200600_302600_NS6detail15normal_iteratorINS9_10device_ptrIiEEEENSB_INSC_IxEEEESG_xNS9_4plusIvEENS9_8equal_toIvEExEE10hipError_tPvRmT2_T3_T4_T5_mT6_T7_P12ihipStream_tbENKUlT_T0_E_clISt17integral_constantIbLb1EES10_IbLb0EEEEDaSW_SX_EUlSW_E_NS1_11comp_targetILNS1_3genE3ELNS1_11target_archE908ELNS1_3gpuE7ELNS1_3repE0EEENS1_30default_config_static_selectorELNS0_4arch9wavefront6targetE1EEEvT1_ ; -- Begin function _ZN7rocprim17ROCPRIM_400000_NS6detail17trampoline_kernelINS0_14default_configENS1_27scan_by_key_config_selectorIixEEZZNS1_16scan_by_key_implILNS1_25lookback_scan_determinismE0ELb1ES3_N6thrust23THRUST_200600_302600_NS6detail15normal_iteratorINS9_10device_ptrIiEEEENSB_INSC_IxEEEESG_xNS9_4plusIvEENS9_8equal_toIvEExEE10hipError_tPvRmT2_T3_T4_T5_mT6_T7_P12ihipStream_tbENKUlT_T0_E_clISt17integral_constantIbLb1EES10_IbLb0EEEEDaSW_SX_EUlSW_E_NS1_11comp_targetILNS1_3genE3ELNS1_11target_archE908ELNS1_3gpuE7ELNS1_3repE0EEENS1_30default_config_static_selectorELNS0_4arch9wavefront6targetE1EEEvT1_
	.globl	_ZN7rocprim17ROCPRIM_400000_NS6detail17trampoline_kernelINS0_14default_configENS1_27scan_by_key_config_selectorIixEEZZNS1_16scan_by_key_implILNS1_25lookback_scan_determinismE0ELb1ES3_N6thrust23THRUST_200600_302600_NS6detail15normal_iteratorINS9_10device_ptrIiEEEENSB_INSC_IxEEEESG_xNS9_4plusIvEENS9_8equal_toIvEExEE10hipError_tPvRmT2_T3_T4_T5_mT6_T7_P12ihipStream_tbENKUlT_T0_E_clISt17integral_constantIbLb1EES10_IbLb0EEEEDaSW_SX_EUlSW_E_NS1_11comp_targetILNS1_3genE3ELNS1_11target_archE908ELNS1_3gpuE7ELNS1_3repE0EEENS1_30default_config_static_selectorELNS0_4arch9wavefront6targetE1EEEvT1_
	.p2align	8
	.type	_ZN7rocprim17ROCPRIM_400000_NS6detail17trampoline_kernelINS0_14default_configENS1_27scan_by_key_config_selectorIixEEZZNS1_16scan_by_key_implILNS1_25lookback_scan_determinismE0ELb1ES3_N6thrust23THRUST_200600_302600_NS6detail15normal_iteratorINS9_10device_ptrIiEEEENSB_INSC_IxEEEESG_xNS9_4plusIvEENS9_8equal_toIvEExEE10hipError_tPvRmT2_T3_T4_T5_mT6_T7_P12ihipStream_tbENKUlT_T0_E_clISt17integral_constantIbLb1EES10_IbLb0EEEEDaSW_SX_EUlSW_E_NS1_11comp_targetILNS1_3genE3ELNS1_11target_archE908ELNS1_3gpuE7ELNS1_3repE0EEENS1_30default_config_static_selectorELNS0_4arch9wavefront6targetE1EEEvT1_,@function
_ZN7rocprim17ROCPRIM_400000_NS6detail17trampoline_kernelINS0_14default_configENS1_27scan_by_key_config_selectorIixEEZZNS1_16scan_by_key_implILNS1_25lookback_scan_determinismE0ELb1ES3_N6thrust23THRUST_200600_302600_NS6detail15normal_iteratorINS9_10device_ptrIiEEEENSB_INSC_IxEEEESG_xNS9_4plusIvEENS9_8equal_toIvEExEE10hipError_tPvRmT2_T3_T4_T5_mT6_T7_P12ihipStream_tbENKUlT_T0_E_clISt17integral_constantIbLb1EES10_IbLb0EEEEDaSW_SX_EUlSW_E_NS1_11comp_targetILNS1_3genE3ELNS1_11target_archE908ELNS1_3gpuE7ELNS1_3repE0EEENS1_30default_config_static_selectorELNS0_4arch9wavefront6targetE1EEEvT1_: ; @_ZN7rocprim17ROCPRIM_400000_NS6detail17trampoline_kernelINS0_14default_configENS1_27scan_by_key_config_selectorIixEEZZNS1_16scan_by_key_implILNS1_25lookback_scan_determinismE0ELb1ES3_N6thrust23THRUST_200600_302600_NS6detail15normal_iteratorINS9_10device_ptrIiEEEENSB_INSC_IxEEEESG_xNS9_4plusIvEENS9_8equal_toIvEExEE10hipError_tPvRmT2_T3_T4_T5_mT6_T7_P12ihipStream_tbENKUlT_T0_E_clISt17integral_constantIbLb1EES10_IbLb0EEEEDaSW_SX_EUlSW_E_NS1_11comp_targetILNS1_3genE3ELNS1_11target_archE908ELNS1_3gpuE7ELNS1_3repE0EEENS1_30default_config_static_selectorELNS0_4arch9wavefront6targetE1EEEvT1_
; %bb.0:
	.section	.rodata,"a",@progbits
	.p2align	6, 0x0
	.amdhsa_kernel _ZN7rocprim17ROCPRIM_400000_NS6detail17trampoline_kernelINS0_14default_configENS1_27scan_by_key_config_selectorIixEEZZNS1_16scan_by_key_implILNS1_25lookback_scan_determinismE0ELb1ES3_N6thrust23THRUST_200600_302600_NS6detail15normal_iteratorINS9_10device_ptrIiEEEENSB_INSC_IxEEEESG_xNS9_4plusIvEENS9_8equal_toIvEExEE10hipError_tPvRmT2_T3_T4_T5_mT6_T7_P12ihipStream_tbENKUlT_T0_E_clISt17integral_constantIbLb1EES10_IbLb0EEEEDaSW_SX_EUlSW_E_NS1_11comp_targetILNS1_3genE3ELNS1_11target_archE908ELNS1_3gpuE7ELNS1_3repE0EEENS1_30default_config_static_selectorELNS0_4arch9wavefront6targetE1EEEvT1_
		.amdhsa_group_segment_fixed_size 0
		.amdhsa_private_segment_fixed_size 0
		.amdhsa_kernarg_size 136
		.amdhsa_user_sgpr_count 2
		.amdhsa_user_sgpr_dispatch_ptr 0
		.amdhsa_user_sgpr_queue_ptr 0
		.amdhsa_user_sgpr_kernarg_segment_ptr 1
		.amdhsa_user_sgpr_dispatch_id 0
		.amdhsa_user_sgpr_kernarg_preload_length 0
		.amdhsa_user_sgpr_kernarg_preload_offset 0
		.amdhsa_user_sgpr_private_segment_size 0
		.amdhsa_uses_dynamic_stack 0
		.amdhsa_enable_private_segment 0
		.amdhsa_system_sgpr_workgroup_id_x 1
		.amdhsa_system_sgpr_workgroup_id_y 0
		.amdhsa_system_sgpr_workgroup_id_z 0
		.amdhsa_system_sgpr_workgroup_info 0
		.amdhsa_system_vgpr_workitem_id 0
		.amdhsa_next_free_vgpr 1
		.amdhsa_next_free_sgpr 0
		.amdhsa_accum_offset 4
		.amdhsa_reserve_vcc 0
		.amdhsa_float_round_mode_32 0
		.amdhsa_float_round_mode_16_64 0
		.amdhsa_float_denorm_mode_32 3
		.amdhsa_float_denorm_mode_16_64 3
		.amdhsa_dx10_clamp 1
		.amdhsa_ieee_mode 1
		.amdhsa_fp16_overflow 0
		.amdhsa_tg_split 0
		.amdhsa_exception_fp_ieee_invalid_op 0
		.amdhsa_exception_fp_denorm_src 0
		.amdhsa_exception_fp_ieee_div_zero 0
		.amdhsa_exception_fp_ieee_overflow 0
		.amdhsa_exception_fp_ieee_underflow 0
		.amdhsa_exception_fp_ieee_inexact 0
		.amdhsa_exception_int_div_zero 0
	.end_amdhsa_kernel
	.section	.text._ZN7rocprim17ROCPRIM_400000_NS6detail17trampoline_kernelINS0_14default_configENS1_27scan_by_key_config_selectorIixEEZZNS1_16scan_by_key_implILNS1_25lookback_scan_determinismE0ELb1ES3_N6thrust23THRUST_200600_302600_NS6detail15normal_iteratorINS9_10device_ptrIiEEEENSB_INSC_IxEEEESG_xNS9_4plusIvEENS9_8equal_toIvEExEE10hipError_tPvRmT2_T3_T4_T5_mT6_T7_P12ihipStream_tbENKUlT_T0_E_clISt17integral_constantIbLb1EES10_IbLb0EEEEDaSW_SX_EUlSW_E_NS1_11comp_targetILNS1_3genE3ELNS1_11target_archE908ELNS1_3gpuE7ELNS1_3repE0EEENS1_30default_config_static_selectorELNS0_4arch9wavefront6targetE1EEEvT1_,"axG",@progbits,_ZN7rocprim17ROCPRIM_400000_NS6detail17trampoline_kernelINS0_14default_configENS1_27scan_by_key_config_selectorIixEEZZNS1_16scan_by_key_implILNS1_25lookback_scan_determinismE0ELb1ES3_N6thrust23THRUST_200600_302600_NS6detail15normal_iteratorINS9_10device_ptrIiEEEENSB_INSC_IxEEEESG_xNS9_4plusIvEENS9_8equal_toIvEExEE10hipError_tPvRmT2_T3_T4_T5_mT6_T7_P12ihipStream_tbENKUlT_T0_E_clISt17integral_constantIbLb1EES10_IbLb0EEEEDaSW_SX_EUlSW_E_NS1_11comp_targetILNS1_3genE3ELNS1_11target_archE908ELNS1_3gpuE7ELNS1_3repE0EEENS1_30default_config_static_selectorELNS0_4arch9wavefront6targetE1EEEvT1_,comdat
.Lfunc_end1593:
	.size	_ZN7rocprim17ROCPRIM_400000_NS6detail17trampoline_kernelINS0_14default_configENS1_27scan_by_key_config_selectorIixEEZZNS1_16scan_by_key_implILNS1_25lookback_scan_determinismE0ELb1ES3_N6thrust23THRUST_200600_302600_NS6detail15normal_iteratorINS9_10device_ptrIiEEEENSB_INSC_IxEEEESG_xNS9_4plusIvEENS9_8equal_toIvEExEE10hipError_tPvRmT2_T3_T4_T5_mT6_T7_P12ihipStream_tbENKUlT_T0_E_clISt17integral_constantIbLb1EES10_IbLb0EEEEDaSW_SX_EUlSW_E_NS1_11comp_targetILNS1_3genE3ELNS1_11target_archE908ELNS1_3gpuE7ELNS1_3repE0EEENS1_30default_config_static_selectorELNS0_4arch9wavefront6targetE1EEEvT1_, .Lfunc_end1593-_ZN7rocprim17ROCPRIM_400000_NS6detail17trampoline_kernelINS0_14default_configENS1_27scan_by_key_config_selectorIixEEZZNS1_16scan_by_key_implILNS1_25lookback_scan_determinismE0ELb1ES3_N6thrust23THRUST_200600_302600_NS6detail15normal_iteratorINS9_10device_ptrIiEEEENSB_INSC_IxEEEESG_xNS9_4plusIvEENS9_8equal_toIvEExEE10hipError_tPvRmT2_T3_T4_T5_mT6_T7_P12ihipStream_tbENKUlT_T0_E_clISt17integral_constantIbLb1EES10_IbLb0EEEEDaSW_SX_EUlSW_E_NS1_11comp_targetILNS1_3genE3ELNS1_11target_archE908ELNS1_3gpuE7ELNS1_3repE0EEENS1_30default_config_static_selectorELNS0_4arch9wavefront6targetE1EEEvT1_
                                        ; -- End function
	.section	.AMDGPU.csdata,"",@progbits
; Kernel info:
; codeLenInByte = 0
; NumSgprs: 6
; NumVgprs: 0
; NumAgprs: 0
; TotalNumVgprs: 0
; ScratchSize: 0
; MemoryBound: 0
; FloatMode: 240
; IeeeMode: 1
; LDSByteSize: 0 bytes/workgroup (compile time only)
; SGPRBlocks: 0
; VGPRBlocks: 0
; NumSGPRsForWavesPerEU: 6
; NumVGPRsForWavesPerEU: 1
; AccumOffset: 4
; Occupancy: 8
; WaveLimiterHint : 0
; COMPUTE_PGM_RSRC2:SCRATCH_EN: 0
; COMPUTE_PGM_RSRC2:USER_SGPR: 2
; COMPUTE_PGM_RSRC2:TRAP_HANDLER: 0
; COMPUTE_PGM_RSRC2:TGID_X_EN: 1
; COMPUTE_PGM_RSRC2:TGID_Y_EN: 0
; COMPUTE_PGM_RSRC2:TGID_Z_EN: 0
; COMPUTE_PGM_RSRC2:TIDIG_COMP_CNT: 0
; COMPUTE_PGM_RSRC3_GFX90A:ACCUM_OFFSET: 0
; COMPUTE_PGM_RSRC3_GFX90A:TG_SPLIT: 0
	.section	.text._ZN7rocprim17ROCPRIM_400000_NS6detail17trampoline_kernelINS0_14default_configENS1_27scan_by_key_config_selectorIixEEZZNS1_16scan_by_key_implILNS1_25lookback_scan_determinismE0ELb1ES3_N6thrust23THRUST_200600_302600_NS6detail15normal_iteratorINS9_10device_ptrIiEEEENSB_INSC_IxEEEESG_xNS9_4plusIvEENS9_8equal_toIvEExEE10hipError_tPvRmT2_T3_T4_T5_mT6_T7_P12ihipStream_tbENKUlT_T0_E_clISt17integral_constantIbLb1EES10_IbLb0EEEEDaSW_SX_EUlSW_E_NS1_11comp_targetILNS1_3genE2ELNS1_11target_archE906ELNS1_3gpuE6ELNS1_3repE0EEENS1_30default_config_static_selectorELNS0_4arch9wavefront6targetE1EEEvT1_,"axG",@progbits,_ZN7rocprim17ROCPRIM_400000_NS6detail17trampoline_kernelINS0_14default_configENS1_27scan_by_key_config_selectorIixEEZZNS1_16scan_by_key_implILNS1_25lookback_scan_determinismE0ELb1ES3_N6thrust23THRUST_200600_302600_NS6detail15normal_iteratorINS9_10device_ptrIiEEEENSB_INSC_IxEEEESG_xNS9_4plusIvEENS9_8equal_toIvEExEE10hipError_tPvRmT2_T3_T4_T5_mT6_T7_P12ihipStream_tbENKUlT_T0_E_clISt17integral_constantIbLb1EES10_IbLb0EEEEDaSW_SX_EUlSW_E_NS1_11comp_targetILNS1_3genE2ELNS1_11target_archE906ELNS1_3gpuE6ELNS1_3repE0EEENS1_30default_config_static_selectorELNS0_4arch9wavefront6targetE1EEEvT1_,comdat
	.protected	_ZN7rocprim17ROCPRIM_400000_NS6detail17trampoline_kernelINS0_14default_configENS1_27scan_by_key_config_selectorIixEEZZNS1_16scan_by_key_implILNS1_25lookback_scan_determinismE0ELb1ES3_N6thrust23THRUST_200600_302600_NS6detail15normal_iteratorINS9_10device_ptrIiEEEENSB_INSC_IxEEEESG_xNS9_4plusIvEENS9_8equal_toIvEExEE10hipError_tPvRmT2_T3_T4_T5_mT6_T7_P12ihipStream_tbENKUlT_T0_E_clISt17integral_constantIbLb1EES10_IbLb0EEEEDaSW_SX_EUlSW_E_NS1_11comp_targetILNS1_3genE2ELNS1_11target_archE906ELNS1_3gpuE6ELNS1_3repE0EEENS1_30default_config_static_selectorELNS0_4arch9wavefront6targetE1EEEvT1_ ; -- Begin function _ZN7rocprim17ROCPRIM_400000_NS6detail17trampoline_kernelINS0_14default_configENS1_27scan_by_key_config_selectorIixEEZZNS1_16scan_by_key_implILNS1_25lookback_scan_determinismE0ELb1ES3_N6thrust23THRUST_200600_302600_NS6detail15normal_iteratorINS9_10device_ptrIiEEEENSB_INSC_IxEEEESG_xNS9_4plusIvEENS9_8equal_toIvEExEE10hipError_tPvRmT2_T3_T4_T5_mT6_T7_P12ihipStream_tbENKUlT_T0_E_clISt17integral_constantIbLb1EES10_IbLb0EEEEDaSW_SX_EUlSW_E_NS1_11comp_targetILNS1_3genE2ELNS1_11target_archE906ELNS1_3gpuE6ELNS1_3repE0EEENS1_30default_config_static_selectorELNS0_4arch9wavefront6targetE1EEEvT1_
	.globl	_ZN7rocprim17ROCPRIM_400000_NS6detail17trampoline_kernelINS0_14default_configENS1_27scan_by_key_config_selectorIixEEZZNS1_16scan_by_key_implILNS1_25lookback_scan_determinismE0ELb1ES3_N6thrust23THRUST_200600_302600_NS6detail15normal_iteratorINS9_10device_ptrIiEEEENSB_INSC_IxEEEESG_xNS9_4plusIvEENS9_8equal_toIvEExEE10hipError_tPvRmT2_T3_T4_T5_mT6_T7_P12ihipStream_tbENKUlT_T0_E_clISt17integral_constantIbLb1EES10_IbLb0EEEEDaSW_SX_EUlSW_E_NS1_11comp_targetILNS1_3genE2ELNS1_11target_archE906ELNS1_3gpuE6ELNS1_3repE0EEENS1_30default_config_static_selectorELNS0_4arch9wavefront6targetE1EEEvT1_
	.p2align	8
	.type	_ZN7rocprim17ROCPRIM_400000_NS6detail17trampoline_kernelINS0_14default_configENS1_27scan_by_key_config_selectorIixEEZZNS1_16scan_by_key_implILNS1_25lookback_scan_determinismE0ELb1ES3_N6thrust23THRUST_200600_302600_NS6detail15normal_iteratorINS9_10device_ptrIiEEEENSB_INSC_IxEEEESG_xNS9_4plusIvEENS9_8equal_toIvEExEE10hipError_tPvRmT2_T3_T4_T5_mT6_T7_P12ihipStream_tbENKUlT_T0_E_clISt17integral_constantIbLb1EES10_IbLb0EEEEDaSW_SX_EUlSW_E_NS1_11comp_targetILNS1_3genE2ELNS1_11target_archE906ELNS1_3gpuE6ELNS1_3repE0EEENS1_30default_config_static_selectorELNS0_4arch9wavefront6targetE1EEEvT1_,@function
_ZN7rocprim17ROCPRIM_400000_NS6detail17trampoline_kernelINS0_14default_configENS1_27scan_by_key_config_selectorIixEEZZNS1_16scan_by_key_implILNS1_25lookback_scan_determinismE0ELb1ES3_N6thrust23THRUST_200600_302600_NS6detail15normal_iteratorINS9_10device_ptrIiEEEENSB_INSC_IxEEEESG_xNS9_4plusIvEENS9_8equal_toIvEExEE10hipError_tPvRmT2_T3_T4_T5_mT6_T7_P12ihipStream_tbENKUlT_T0_E_clISt17integral_constantIbLb1EES10_IbLb0EEEEDaSW_SX_EUlSW_E_NS1_11comp_targetILNS1_3genE2ELNS1_11target_archE906ELNS1_3gpuE6ELNS1_3repE0EEENS1_30default_config_static_selectorELNS0_4arch9wavefront6targetE1EEEvT1_: ; @_ZN7rocprim17ROCPRIM_400000_NS6detail17trampoline_kernelINS0_14default_configENS1_27scan_by_key_config_selectorIixEEZZNS1_16scan_by_key_implILNS1_25lookback_scan_determinismE0ELb1ES3_N6thrust23THRUST_200600_302600_NS6detail15normal_iteratorINS9_10device_ptrIiEEEENSB_INSC_IxEEEESG_xNS9_4plusIvEENS9_8equal_toIvEExEE10hipError_tPvRmT2_T3_T4_T5_mT6_T7_P12ihipStream_tbENKUlT_T0_E_clISt17integral_constantIbLb1EES10_IbLb0EEEEDaSW_SX_EUlSW_E_NS1_11comp_targetILNS1_3genE2ELNS1_11target_archE906ELNS1_3gpuE6ELNS1_3repE0EEENS1_30default_config_static_selectorELNS0_4arch9wavefront6targetE1EEEvT1_
; %bb.0:
	.section	.rodata,"a",@progbits
	.p2align	6, 0x0
	.amdhsa_kernel _ZN7rocprim17ROCPRIM_400000_NS6detail17trampoline_kernelINS0_14default_configENS1_27scan_by_key_config_selectorIixEEZZNS1_16scan_by_key_implILNS1_25lookback_scan_determinismE0ELb1ES3_N6thrust23THRUST_200600_302600_NS6detail15normal_iteratorINS9_10device_ptrIiEEEENSB_INSC_IxEEEESG_xNS9_4plusIvEENS9_8equal_toIvEExEE10hipError_tPvRmT2_T3_T4_T5_mT6_T7_P12ihipStream_tbENKUlT_T0_E_clISt17integral_constantIbLb1EES10_IbLb0EEEEDaSW_SX_EUlSW_E_NS1_11comp_targetILNS1_3genE2ELNS1_11target_archE906ELNS1_3gpuE6ELNS1_3repE0EEENS1_30default_config_static_selectorELNS0_4arch9wavefront6targetE1EEEvT1_
		.amdhsa_group_segment_fixed_size 0
		.amdhsa_private_segment_fixed_size 0
		.amdhsa_kernarg_size 136
		.amdhsa_user_sgpr_count 2
		.amdhsa_user_sgpr_dispatch_ptr 0
		.amdhsa_user_sgpr_queue_ptr 0
		.amdhsa_user_sgpr_kernarg_segment_ptr 1
		.amdhsa_user_sgpr_dispatch_id 0
		.amdhsa_user_sgpr_kernarg_preload_length 0
		.amdhsa_user_sgpr_kernarg_preload_offset 0
		.amdhsa_user_sgpr_private_segment_size 0
		.amdhsa_uses_dynamic_stack 0
		.amdhsa_enable_private_segment 0
		.amdhsa_system_sgpr_workgroup_id_x 1
		.amdhsa_system_sgpr_workgroup_id_y 0
		.amdhsa_system_sgpr_workgroup_id_z 0
		.amdhsa_system_sgpr_workgroup_info 0
		.amdhsa_system_vgpr_workitem_id 0
		.amdhsa_next_free_vgpr 1
		.amdhsa_next_free_sgpr 0
		.amdhsa_accum_offset 4
		.amdhsa_reserve_vcc 0
		.amdhsa_float_round_mode_32 0
		.amdhsa_float_round_mode_16_64 0
		.amdhsa_float_denorm_mode_32 3
		.amdhsa_float_denorm_mode_16_64 3
		.amdhsa_dx10_clamp 1
		.amdhsa_ieee_mode 1
		.amdhsa_fp16_overflow 0
		.amdhsa_tg_split 0
		.amdhsa_exception_fp_ieee_invalid_op 0
		.amdhsa_exception_fp_denorm_src 0
		.amdhsa_exception_fp_ieee_div_zero 0
		.amdhsa_exception_fp_ieee_overflow 0
		.amdhsa_exception_fp_ieee_underflow 0
		.amdhsa_exception_fp_ieee_inexact 0
		.amdhsa_exception_int_div_zero 0
	.end_amdhsa_kernel
	.section	.text._ZN7rocprim17ROCPRIM_400000_NS6detail17trampoline_kernelINS0_14default_configENS1_27scan_by_key_config_selectorIixEEZZNS1_16scan_by_key_implILNS1_25lookback_scan_determinismE0ELb1ES3_N6thrust23THRUST_200600_302600_NS6detail15normal_iteratorINS9_10device_ptrIiEEEENSB_INSC_IxEEEESG_xNS9_4plusIvEENS9_8equal_toIvEExEE10hipError_tPvRmT2_T3_T4_T5_mT6_T7_P12ihipStream_tbENKUlT_T0_E_clISt17integral_constantIbLb1EES10_IbLb0EEEEDaSW_SX_EUlSW_E_NS1_11comp_targetILNS1_3genE2ELNS1_11target_archE906ELNS1_3gpuE6ELNS1_3repE0EEENS1_30default_config_static_selectorELNS0_4arch9wavefront6targetE1EEEvT1_,"axG",@progbits,_ZN7rocprim17ROCPRIM_400000_NS6detail17trampoline_kernelINS0_14default_configENS1_27scan_by_key_config_selectorIixEEZZNS1_16scan_by_key_implILNS1_25lookback_scan_determinismE0ELb1ES3_N6thrust23THRUST_200600_302600_NS6detail15normal_iteratorINS9_10device_ptrIiEEEENSB_INSC_IxEEEESG_xNS9_4plusIvEENS9_8equal_toIvEExEE10hipError_tPvRmT2_T3_T4_T5_mT6_T7_P12ihipStream_tbENKUlT_T0_E_clISt17integral_constantIbLb1EES10_IbLb0EEEEDaSW_SX_EUlSW_E_NS1_11comp_targetILNS1_3genE2ELNS1_11target_archE906ELNS1_3gpuE6ELNS1_3repE0EEENS1_30default_config_static_selectorELNS0_4arch9wavefront6targetE1EEEvT1_,comdat
.Lfunc_end1594:
	.size	_ZN7rocprim17ROCPRIM_400000_NS6detail17trampoline_kernelINS0_14default_configENS1_27scan_by_key_config_selectorIixEEZZNS1_16scan_by_key_implILNS1_25lookback_scan_determinismE0ELb1ES3_N6thrust23THRUST_200600_302600_NS6detail15normal_iteratorINS9_10device_ptrIiEEEENSB_INSC_IxEEEESG_xNS9_4plusIvEENS9_8equal_toIvEExEE10hipError_tPvRmT2_T3_T4_T5_mT6_T7_P12ihipStream_tbENKUlT_T0_E_clISt17integral_constantIbLb1EES10_IbLb0EEEEDaSW_SX_EUlSW_E_NS1_11comp_targetILNS1_3genE2ELNS1_11target_archE906ELNS1_3gpuE6ELNS1_3repE0EEENS1_30default_config_static_selectorELNS0_4arch9wavefront6targetE1EEEvT1_, .Lfunc_end1594-_ZN7rocprim17ROCPRIM_400000_NS6detail17trampoline_kernelINS0_14default_configENS1_27scan_by_key_config_selectorIixEEZZNS1_16scan_by_key_implILNS1_25lookback_scan_determinismE0ELb1ES3_N6thrust23THRUST_200600_302600_NS6detail15normal_iteratorINS9_10device_ptrIiEEEENSB_INSC_IxEEEESG_xNS9_4plusIvEENS9_8equal_toIvEExEE10hipError_tPvRmT2_T3_T4_T5_mT6_T7_P12ihipStream_tbENKUlT_T0_E_clISt17integral_constantIbLb1EES10_IbLb0EEEEDaSW_SX_EUlSW_E_NS1_11comp_targetILNS1_3genE2ELNS1_11target_archE906ELNS1_3gpuE6ELNS1_3repE0EEENS1_30default_config_static_selectorELNS0_4arch9wavefront6targetE1EEEvT1_
                                        ; -- End function
	.section	.AMDGPU.csdata,"",@progbits
; Kernel info:
; codeLenInByte = 0
; NumSgprs: 6
; NumVgprs: 0
; NumAgprs: 0
; TotalNumVgprs: 0
; ScratchSize: 0
; MemoryBound: 0
; FloatMode: 240
; IeeeMode: 1
; LDSByteSize: 0 bytes/workgroup (compile time only)
; SGPRBlocks: 0
; VGPRBlocks: 0
; NumSGPRsForWavesPerEU: 6
; NumVGPRsForWavesPerEU: 1
; AccumOffset: 4
; Occupancy: 8
; WaveLimiterHint : 0
; COMPUTE_PGM_RSRC2:SCRATCH_EN: 0
; COMPUTE_PGM_RSRC2:USER_SGPR: 2
; COMPUTE_PGM_RSRC2:TRAP_HANDLER: 0
; COMPUTE_PGM_RSRC2:TGID_X_EN: 1
; COMPUTE_PGM_RSRC2:TGID_Y_EN: 0
; COMPUTE_PGM_RSRC2:TGID_Z_EN: 0
; COMPUTE_PGM_RSRC2:TIDIG_COMP_CNT: 0
; COMPUTE_PGM_RSRC3_GFX90A:ACCUM_OFFSET: 0
; COMPUTE_PGM_RSRC3_GFX90A:TG_SPLIT: 0
	.section	.text._ZN7rocprim17ROCPRIM_400000_NS6detail17trampoline_kernelINS0_14default_configENS1_27scan_by_key_config_selectorIixEEZZNS1_16scan_by_key_implILNS1_25lookback_scan_determinismE0ELb1ES3_N6thrust23THRUST_200600_302600_NS6detail15normal_iteratorINS9_10device_ptrIiEEEENSB_INSC_IxEEEESG_xNS9_4plusIvEENS9_8equal_toIvEExEE10hipError_tPvRmT2_T3_T4_T5_mT6_T7_P12ihipStream_tbENKUlT_T0_E_clISt17integral_constantIbLb1EES10_IbLb0EEEEDaSW_SX_EUlSW_E_NS1_11comp_targetILNS1_3genE10ELNS1_11target_archE1200ELNS1_3gpuE4ELNS1_3repE0EEENS1_30default_config_static_selectorELNS0_4arch9wavefront6targetE1EEEvT1_,"axG",@progbits,_ZN7rocprim17ROCPRIM_400000_NS6detail17trampoline_kernelINS0_14default_configENS1_27scan_by_key_config_selectorIixEEZZNS1_16scan_by_key_implILNS1_25lookback_scan_determinismE0ELb1ES3_N6thrust23THRUST_200600_302600_NS6detail15normal_iteratorINS9_10device_ptrIiEEEENSB_INSC_IxEEEESG_xNS9_4plusIvEENS9_8equal_toIvEExEE10hipError_tPvRmT2_T3_T4_T5_mT6_T7_P12ihipStream_tbENKUlT_T0_E_clISt17integral_constantIbLb1EES10_IbLb0EEEEDaSW_SX_EUlSW_E_NS1_11comp_targetILNS1_3genE10ELNS1_11target_archE1200ELNS1_3gpuE4ELNS1_3repE0EEENS1_30default_config_static_selectorELNS0_4arch9wavefront6targetE1EEEvT1_,comdat
	.protected	_ZN7rocprim17ROCPRIM_400000_NS6detail17trampoline_kernelINS0_14default_configENS1_27scan_by_key_config_selectorIixEEZZNS1_16scan_by_key_implILNS1_25lookback_scan_determinismE0ELb1ES3_N6thrust23THRUST_200600_302600_NS6detail15normal_iteratorINS9_10device_ptrIiEEEENSB_INSC_IxEEEESG_xNS9_4plusIvEENS9_8equal_toIvEExEE10hipError_tPvRmT2_T3_T4_T5_mT6_T7_P12ihipStream_tbENKUlT_T0_E_clISt17integral_constantIbLb1EES10_IbLb0EEEEDaSW_SX_EUlSW_E_NS1_11comp_targetILNS1_3genE10ELNS1_11target_archE1200ELNS1_3gpuE4ELNS1_3repE0EEENS1_30default_config_static_selectorELNS0_4arch9wavefront6targetE1EEEvT1_ ; -- Begin function _ZN7rocprim17ROCPRIM_400000_NS6detail17trampoline_kernelINS0_14default_configENS1_27scan_by_key_config_selectorIixEEZZNS1_16scan_by_key_implILNS1_25lookback_scan_determinismE0ELb1ES3_N6thrust23THRUST_200600_302600_NS6detail15normal_iteratorINS9_10device_ptrIiEEEENSB_INSC_IxEEEESG_xNS9_4plusIvEENS9_8equal_toIvEExEE10hipError_tPvRmT2_T3_T4_T5_mT6_T7_P12ihipStream_tbENKUlT_T0_E_clISt17integral_constantIbLb1EES10_IbLb0EEEEDaSW_SX_EUlSW_E_NS1_11comp_targetILNS1_3genE10ELNS1_11target_archE1200ELNS1_3gpuE4ELNS1_3repE0EEENS1_30default_config_static_selectorELNS0_4arch9wavefront6targetE1EEEvT1_
	.globl	_ZN7rocprim17ROCPRIM_400000_NS6detail17trampoline_kernelINS0_14default_configENS1_27scan_by_key_config_selectorIixEEZZNS1_16scan_by_key_implILNS1_25lookback_scan_determinismE0ELb1ES3_N6thrust23THRUST_200600_302600_NS6detail15normal_iteratorINS9_10device_ptrIiEEEENSB_INSC_IxEEEESG_xNS9_4plusIvEENS9_8equal_toIvEExEE10hipError_tPvRmT2_T3_T4_T5_mT6_T7_P12ihipStream_tbENKUlT_T0_E_clISt17integral_constantIbLb1EES10_IbLb0EEEEDaSW_SX_EUlSW_E_NS1_11comp_targetILNS1_3genE10ELNS1_11target_archE1200ELNS1_3gpuE4ELNS1_3repE0EEENS1_30default_config_static_selectorELNS0_4arch9wavefront6targetE1EEEvT1_
	.p2align	8
	.type	_ZN7rocprim17ROCPRIM_400000_NS6detail17trampoline_kernelINS0_14default_configENS1_27scan_by_key_config_selectorIixEEZZNS1_16scan_by_key_implILNS1_25lookback_scan_determinismE0ELb1ES3_N6thrust23THRUST_200600_302600_NS6detail15normal_iteratorINS9_10device_ptrIiEEEENSB_INSC_IxEEEESG_xNS9_4plusIvEENS9_8equal_toIvEExEE10hipError_tPvRmT2_T3_T4_T5_mT6_T7_P12ihipStream_tbENKUlT_T0_E_clISt17integral_constantIbLb1EES10_IbLb0EEEEDaSW_SX_EUlSW_E_NS1_11comp_targetILNS1_3genE10ELNS1_11target_archE1200ELNS1_3gpuE4ELNS1_3repE0EEENS1_30default_config_static_selectorELNS0_4arch9wavefront6targetE1EEEvT1_,@function
_ZN7rocprim17ROCPRIM_400000_NS6detail17trampoline_kernelINS0_14default_configENS1_27scan_by_key_config_selectorIixEEZZNS1_16scan_by_key_implILNS1_25lookback_scan_determinismE0ELb1ES3_N6thrust23THRUST_200600_302600_NS6detail15normal_iteratorINS9_10device_ptrIiEEEENSB_INSC_IxEEEESG_xNS9_4plusIvEENS9_8equal_toIvEExEE10hipError_tPvRmT2_T3_T4_T5_mT6_T7_P12ihipStream_tbENKUlT_T0_E_clISt17integral_constantIbLb1EES10_IbLb0EEEEDaSW_SX_EUlSW_E_NS1_11comp_targetILNS1_3genE10ELNS1_11target_archE1200ELNS1_3gpuE4ELNS1_3repE0EEENS1_30default_config_static_selectorELNS0_4arch9wavefront6targetE1EEEvT1_: ; @_ZN7rocprim17ROCPRIM_400000_NS6detail17trampoline_kernelINS0_14default_configENS1_27scan_by_key_config_selectorIixEEZZNS1_16scan_by_key_implILNS1_25lookback_scan_determinismE0ELb1ES3_N6thrust23THRUST_200600_302600_NS6detail15normal_iteratorINS9_10device_ptrIiEEEENSB_INSC_IxEEEESG_xNS9_4plusIvEENS9_8equal_toIvEExEE10hipError_tPvRmT2_T3_T4_T5_mT6_T7_P12ihipStream_tbENKUlT_T0_E_clISt17integral_constantIbLb1EES10_IbLb0EEEEDaSW_SX_EUlSW_E_NS1_11comp_targetILNS1_3genE10ELNS1_11target_archE1200ELNS1_3gpuE4ELNS1_3repE0EEENS1_30default_config_static_selectorELNS0_4arch9wavefront6targetE1EEEvT1_
; %bb.0:
	.section	.rodata,"a",@progbits
	.p2align	6, 0x0
	.amdhsa_kernel _ZN7rocprim17ROCPRIM_400000_NS6detail17trampoline_kernelINS0_14default_configENS1_27scan_by_key_config_selectorIixEEZZNS1_16scan_by_key_implILNS1_25lookback_scan_determinismE0ELb1ES3_N6thrust23THRUST_200600_302600_NS6detail15normal_iteratorINS9_10device_ptrIiEEEENSB_INSC_IxEEEESG_xNS9_4plusIvEENS9_8equal_toIvEExEE10hipError_tPvRmT2_T3_T4_T5_mT6_T7_P12ihipStream_tbENKUlT_T0_E_clISt17integral_constantIbLb1EES10_IbLb0EEEEDaSW_SX_EUlSW_E_NS1_11comp_targetILNS1_3genE10ELNS1_11target_archE1200ELNS1_3gpuE4ELNS1_3repE0EEENS1_30default_config_static_selectorELNS0_4arch9wavefront6targetE1EEEvT1_
		.amdhsa_group_segment_fixed_size 0
		.amdhsa_private_segment_fixed_size 0
		.amdhsa_kernarg_size 136
		.amdhsa_user_sgpr_count 2
		.amdhsa_user_sgpr_dispatch_ptr 0
		.amdhsa_user_sgpr_queue_ptr 0
		.amdhsa_user_sgpr_kernarg_segment_ptr 1
		.amdhsa_user_sgpr_dispatch_id 0
		.amdhsa_user_sgpr_kernarg_preload_length 0
		.amdhsa_user_sgpr_kernarg_preload_offset 0
		.amdhsa_user_sgpr_private_segment_size 0
		.amdhsa_uses_dynamic_stack 0
		.amdhsa_enable_private_segment 0
		.amdhsa_system_sgpr_workgroup_id_x 1
		.amdhsa_system_sgpr_workgroup_id_y 0
		.amdhsa_system_sgpr_workgroup_id_z 0
		.amdhsa_system_sgpr_workgroup_info 0
		.amdhsa_system_vgpr_workitem_id 0
		.amdhsa_next_free_vgpr 1
		.amdhsa_next_free_sgpr 0
		.amdhsa_accum_offset 4
		.amdhsa_reserve_vcc 0
		.amdhsa_float_round_mode_32 0
		.amdhsa_float_round_mode_16_64 0
		.amdhsa_float_denorm_mode_32 3
		.amdhsa_float_denorm_mode_16_64 3
		.amdhsa_dx10_clamp 1
		.amdhsa_ieee_mode 1
		.amdhsa_fp16_overflow 0
		.amdhsa_tg_split 0
		.amdhsa_exception_fp_ieee_invalid_op 0
		.amdhsa_exception_fp_denorm_src 0
		.amdhsa_exception_fp_ieee_div_zero 0
		.amdhsa_exception_fp_ieee_overflow 0
		.amdhsa_exception_fp_ieee_underflow 0
		.amdhsa_exception_fp_ieee_inexact 0
		.amdhsa_exception_int_div_zero 0
	.end_amdhsa_kernel
	.section	.text._ZN7rocprim17ROCPRIM_400000_NS6detail17trampoline_kernelINS0_14default_configENS1_27scan_by_key_config_selectorIixEEZZNS1_16scan_by_key_implILNS1_25lookback_scan_determinismE0ELb1ES3_N6thrust23THRUST_200600_302600_NS6detail15normal_iteratorINS9_10device_ptrIiEEEENSB_INSC_IxEEEESG_xNS9_4plusIvEENS9_8equal_toIvEExEE10hipError_tPvRmT2_T3_T4_T5_mT6_T7_P12ihipStream_tbENKUlT_T0_E_clISt17integral_constantIbLb1EES10_IbLb0EEEEDaSW_SX_EUlSW_E_NS1_11comp_targetILNS1_3genE10ELNS1_11target_archE1200ELNS1_3gpuE4ELNS1_3repE0EEENS1_30default_config_static_selectorELNS0_4arch9wavefront6targetE1EEEvT1_,"axG",@progbits,_ZN7rocprim17ROCPRIM_400000_NS6detail17trampoline_kernelINS0_14default_configENS1_27scan_by_key_config_selectorIixEEZZNS1_16scan_by_key_implILNS1_25lookback_scan_determinismE0ELb1ES3_N6thrust23THRUST_200600_302600_NS6detail15normal_iteratorINS9_10device_ptrIiEEEENSB_INSC_IxEEEESG_xNS9_4plusIvEENS9_8equal_toIvEExEE10hipError_tPvRmT2_T3_T4_T5_mT6_T7_P12ihipStream_tbENKUlT_T0_E_clISt17integral_constantIbLb1EES10_IbLb0EEEEDaSW_SX_EUlSW_E_NS1_11comp_targetILNS1_3genE10ELNS1_11target_archE1200ELNS1_3gpuE4ELNS1_3repE0EEENS1_30default_config_static_selectorELNS0_4arch9wavefront6targetE1EEEvT1_,comdat
.Lfunc_end1595:
	.size	_ZN7rocprim17ROCPRIM_400000_NS6detail17trampoline_kernelINS0_14default_configENS1_27scan_by_key_config_selectorIixEEZZNS1_16scan_by_key_implILNS1_25lookback_scan_determinismE0ELb1ES3_N6thrust23THRUST_200600_302600_NS6detail15normal_iteratorINS9_10device_ptrIiEEEENSB_INSC_IxEEEESG_xNS9_4plusIvEENS9_8equal_toIvEExEE10hipError_tPvRmT2_T3_T4_T5_mT6_T7_P12ihipStream_tbENKUlT_T0_E_clISt17integral_constantIbLb1EES10_IbLb0EEEEDaSW_SX_EUlSW_E_NS1_11comp_targetILNS1_3genE10ELNS1_11target_archE1200ELNS1_3gpuE4ELNS1_3repE0EEENS1_30default_config_static_selectorELNS0_4arch9wavefront6targetE1EEEvT1_, .Lfunc_end1595-_ZN7rocprim17ROCPRIM_400000_NS6detail17trampoline_kernelINS0_14default_configENS1_27scan_by_key_config_selectorIixEEZZNS1_16scan_by_key_implILNS1_25lookback_scan_determinismE0ELb1ES3_N6thrust23THRUST_200600_302600_NS6detail15normal_iteratorINS9_10device_ptrIiEEEENSB_INSC_IxEEEESG_xNS9_4plusIvEENS9_8equal_toIvEExEE10hipError_tPvRmT2_T3_T4_T5_mT6_T7_P12ihipStream_tbENKUlT_T0_E_clISt17integral_constantIbLb1EES10_IbLb0EEEEDaSW_SX_EUlSW_E_NS1_11comp_targetILNS1_3genE10ELNS1_11target_archE1200ELNS1_3gpuE4ELNS1_3repE0EEENS1_30default_config_static_selectorELNS0_4arch9wavefront6targetE1EEEvT1_
                                        ; -- End function
	.section	.AMDGPU.csdata,"",@progbits
; Kernel info:
; codeLenInByte = 0
; NumSgprs: 6
; NumVgprs: 0
; NumAgprs: 0
; TotalNumVgprs: 0
; ScratchSize: 0
; MemoryBound: 0
; FloatMode: 240
; IeeeMode: 1
; LDSByteSize: 0 bytes/workgroup (compile time only)
; SGPRBlocks: 0
; VGPRBlocks: 0
; NumSGPRsForWavesPerEU: 6
; NumVGPRsForWavesPerEU: 1
; AccumOffset: 4
; Occupancy: 8
; WaveLimiterHint : 0
; COMPUTE_PGM_RSRC2:SCRATCH_EN: 0
; COMPUTE_PGM_RSRC2:USER_SGPR: 2
; COMPUTE_PGM_RSRC2:TRAP_HANDLER: 0
; COMPUTE_PGM_RSRC2:TGID_X_EN: 1
; COMPUTE_PGM_RSRC2:TGID_Y_EN: 0
; COMPUTE_PGM_RSRC2:TGID_Z_EN: 0
; COMPUTE_PGM_RSRC2:TIDIG_COMP_CNT: 0
; COMPUTE_PGM_RSRC3_GFX90A:ACCUM_OFFSET: 0
; COMPUTE_PGM_RSRC3_GFX90A:TG_SPLIT: 0
	.section	.text._ZN7rocprim17ROCPRIM_400000_NS6detail17trampoline_kernelINS0_14default_configENS1_27scan_by_key_config_selectorIixEEZZNS1_16scan_by_key_implILNS1_25lookback_scan_determinismE0ELb1ES3_N6thrust23THRUST_200600_302600_NS6detail15normal_iteratorINS9_10device_ptrIiEEEENSB_INSC_IxEEEESG_xNS9_4plusIvEENS9_8equal_toIvEExEE10hipError_tPvRmT2_T3_T4_T5_mT6_T7_P12ihipStream_tbENKUlT_T0_E_clISt17integral_constantIbLb1EES10_IbLb0EEEEDaSW_SX_EUlSW_E_NS1_11comp_targetILNS1_3genE9ELNS1_11target_archE1100ELNS1_3gpuE3ELNS1_3repE0EEENS1_30default_config_static_selectorELNS0_4arch9wavefront6targetE1EEEvT1_,"axG",@progbits,_ZN7rocprim17ROCPRIM_400000_NS6detail17trampoline_kernelINS0_14default_configENS1_27scan_by_key_config_selectorIixEEZZNS1_16scan_by_key_implILNS1_25lookback_scan_determinismE0ELb1ES3_N6thrust23THRUST_200600_302600_NS6detail15normal_iteratorINS9_10device_ptrIiEEEENSB_INSC_IxEEEESG_xNS9_4plusIvEENS9_8equal_toIvEExEE10hipError_tPvRmT2_T3_T4_T5_mT6_T7_P12ihipStream_tbENKUlT_T0_E_clISt17integral_constantIbLb1EES10_IbLb0EEEEDaSW_SX_EUlSW_E_NS1_11comp_targetILNS1_3genE9ELNS1_11target_archE1100ELNS1_3gpuE3ELNS1_3repE0EEENS1_30default_config_static_selectorELNS0_4arch9wavefront6targetE1EEEvT1_,comdat
	.protected	_ZN7rocprim17ROCPRIM_400000_NS6detail17trampoline_kernelINS0_14default_configENS1_27scan_by_key_config_selectorIixEEZZNS1_16scan_by_key_implILNS1_25lookback_scan_determinismE0ELb1ES3_N6thrust23THRUST_200600_302600_NS6detail15normal_iteratorINS9_10device_ptrIiEEEENSB_INSC_IxEEEESG_xNS9_4plusIvEENS9_8equal_toIvEExEE10hipError_tPvRmT2_T3_T4_T5_mT6_T7_P12ihipStream_tbENKUlT_T0_E_clISt17integral_constantIbLb1EES10_IbLb0EEEEDaSW_SX_EUlSW_E_NS1_11comp_targetILNS1_3genE9ELNS1_11target_archE1100ELNS1_3gpuE3ELNS1_3repE0EEENS1_30default_config_static_selectorELNS0_4arch9wavefront6targetE1EEEvT1_ ; -- Begin function _ZN7rocprim17ROCPRIM_400000_NS6detail17trampoline_kernelINS0_14default_configENS1_27scan_by_key_config_selectorIixEEZZNS1_16scan_by_key_implILNS1_25lookback_scan_determinismE0ELb1ES3_N6thrust23THRUST_200600_302600_NS6detail15normal_iteratorINS9_10device_ptrIiEEEENSB_INSC_IxEEEESG_xNS9_4plusIvEENS9_8equal_toIvEExEE10hipError_tPvRmT2_T3_T4_T5_mT6_T7_P12ihipStream_tbENKUlT_T0_E_clISt17integral_constantIbLb1EES10_IbLb0EEEEDaSW_SX_EUlSW_E_NS1_11comp_targetILNS1_3genE9ELNS1_11target_archE1100ELNS1_3gpuE3ELNS1_3repE0EEENS1_30default_config_static_selectorELNS0_4arch9wavefront6targetE1EEEvT1_
	.globl	_ZN7rocprim17ROCPRIM_400000_NS6detail17trampoline_kernelINS0_14default_configENS1_27scan_by_key_config_selectorIixEEZZNS1_16scan_by_key_implILNS1_25lookback_scan_determinismE0ELb1ES3_N6thrust23THRUST_200600_302600_NS6detail15normal_iteratorINS9_10device_ptrIiEEEENSB_INSC_IxEEEESG_xNS9_4plusIvEENS9_8equal_toIvEExEE10hipError_tPvRmT2_T3_T4_T5_mT6_T7_P12ihipStream_tbENKUlT_T0_E_clISt17integral_constantIbLb1EES10_IbLb0EEEEDaSW_SX_EUlSW_E_NS1_11comp_targetILNS1_3genE9ELNS1_11target_archE1100ELNS1_3gpuE3ELNS1_3repE0EEENS1_30default_config_static_selectorELNS0_4arch9wavefront6targetE1EEEvT1_
	.p2align	8
	.type	_ZN7rocprim17ROCPRIM_400000_NS6detail17trampoline_kernelINS0_14default_configENS1_27scan_by_key_config_selectorIixEEZZNS1_16scan_by_key_implILNS1_25lookback_scan_determinismE0ELb1ES3_N6thrust23THRUST_200600_302600_NS6detail15normal_iteratorINS9_10device_ptrIiEEEENSB_INSC_IxEEEESG_xNS9_4plusIvEENS9_8equal_toIvEExEE10hipError_tPvRmT2_T3_T4_T5_mT6_T7_P12ihipStream_tbENKUlT_T0_E_clISt17integral_constantIbLb1EES10_IbLb0EEEEDaSW_SX_EUlSW_E_NS1_11comp_targetILNS1_3genE9ELNS1_11target_archE1100ELNS1_3gpuE3ELNS1_3repE0EEENS1_30default_config_static_selectorELNS0_4arch9wavefront6targetE1EEEvT1_,@function
_ZN7rocprim17ROCPRIM_400000_NS6detail17trampoline_kernelINS0_14default_configENS1_27scan_by_key_config_selectorIixEEZZNS1_16scan_by_key_implILNS1_25lookback_scan_determinismE0ELb1ES3_N6thrust23THRUST_200600_302600_NS6detail15normal_iteratorINS9_10device_ptrIiEEEENSB_INSC_IxEEEESG_xNS9_4plusIvEENS9_8equal_toIvEExEE10hipError_tPvRmT2_T3_T4_T5_mT6_T7_P12ihipStream_tbENKUlT_T0_E_clISt17integral_constantIbLb1EES10_IbLb0EEEEDaSW_SX_EUlSW_E_NS1_11comp_targetILNS1_3genE9ELNS1_11target_archE1100ELNS1_3gpuE3ELNS1_3repE0EEENS1_30default_config_static_selectorELNS0_4arch9wavefront6targetE1EEEvT1_: ; @_ZN7rocprim17ROCPRIM_400000_NS6detail17trampoline_kernelINS0_14default_configENS1_27scan_by_key_config_selectorIixEEZZNS1_16scan_by_key_implILNS1_25lookback_scan_determinismE0ELb1ES3_N6thrust23THRUST_200600_302600_NS6detail15normal_iteratorINS9_10device_ptrIiEEEENSB_INSC_IxEEEESG_xNS9_4plusIvEENS9_8equal_toIvEExEE10hipError_tPvRmT2_T3_T4_T5_mT6_T7_P12ihipStream_tbENKUlT_T0_E_clISt17integral_constantIbLb1EES10_IbLb0EEEEDaSW_SX_EUlSW_E_NS1_11comp_targetILNS1_3genE9ELNS1_11target_archE1100ELNS1_3gpuE3ELNS1_3repE0EEENS1_30default_config_static_selectorELNS0_4arch9wavefront6targetE1EEEvT1_
; %bb.0:
	.section	.rodata,"a",@progbits
	.p2align	6, 0x0
	.amdhsa_kernel _ZN7rocprim17ROCPRIM_400000_NS6detail17trampoline_kernelINS0_14default_configENS1_27scan_by_key_config_selectorIixEEZZNS1_16scan_by_key_implILNS1_25lookback_scan_determinismE0ELb1ES3_N6thrust23THRUST_200600_302600_NS6detail15normal_iteratorINS9_10device_ptrIiEEEENSB_INSC_IxEEEESG_xNS9_4plusIvEENS9_8equal_toIvEExEE10hipError_tPvRmT2_T3_T4_T5_mT6_T7_P12ihipStream_tbENKUlT_T0_E_clISt17integral_constantIbLb1EES10_IbLb0EEEEDaSW_SX_EUlSW_E_NS1_11comp_targetILNS1_3genE9ELNS1_11target_archE1100ELNS1_3gpuE3ELNS1_3repE0EEENS1_30default_config_static_selectorELNS0_4arch9wavefront6targetE1EEEvT1_
		.amdhsa_group_segment_fixed_size 0
		.amdhsa_private_segment_fixed_size 0
		.amdhsa_kernarg_size 136
		.amdhsa_user_sgpr_count 2
		.amdhsa_user_sgpr_dispatch_ptr 0
		.amdhsa_user_sgpr_queue_ptr 0
		.amdhsa_user_sgpr_kernarg_segment_ptr 1
		.amdhsa_user_sgpr_dispatch_id 0
		.amdhsa_user_sgpr_kernarg_preload_length 0
		.amdhsa_user_sgpr_kernarg_preload_offset 0
		.amdhsa_user_sgpr_private_segment_size 0
		.amdhsa_uses_dynamic_stack 0
		.amdhsa_enable_private_segment 0
		.amdhsa_system_sgpr_workgroup_id_x 1
		.amdhsa_system_sgpr_workgroup_id_y 0
		.amdhsa_system_sgpr_workgroup_id_z 0
		.amdhsa_system_sgpr_workgroup_info 0
		.amdhsa_system_vgpr_workitem_id 0
		.amdhsa_next_free_vgpr 1
		.amdhsa_next_free_sgpr 0
		.amdhsa_accum_offset 4
		.amdhsa_reserve_vcc 0
		.amdhsa_float_round_mode_32 0
		.amdhsa_float_round_mode_16_64 0
		.amdhsa_float_denorm_mode_32 3
		.amdhsa_float_denorm_mode_16_64 3
		.amdhsa_dx10_clamp 1
		.amdhsa_ieee_mode 1
		.amdhsa_fp16_overflow 0
		.amdhsa_tg_split 0
		.amdhsa_exception_fp_ieee_invalid_op 0
		.amdhsa_exception_fp_denorm_src 0
		.amdhsa_exception_fp_ieee_div_zero 0
		.amdhsa_exception_fp_ieee_overflow 0
		.amdhsa_exception_fp_ieee_underflow 0
		.amdhsa_exception_fp_ieee_inexact 0
		.amdhsa_exception_int_div_zero 0
	.end_amdhsa_kernel
	.section	.text._ZN7rocprim17ROCPRIM_400000_NS6detail17trampoline_kernelINS0_14default_configENS1_27scan_by_key_config_selectorIixEEZZNS1_16scan_by_key_implILNS1_25lookback_scan_determinismE0ELb1ES3_N6thrust23THRUST_200600_302600_NS6detail15normal_iteratorINS9_10device_ptrIiEEEENSB_INSC_IxEEEESG_xNS9_4plusIvEENS9_8equal_toIvEExEE10hipError_tPvRmT2_T3_T4_T5_mT6_T7_P12ihipStream_tbENKUlT_T0_E_clISt17integral_constantIbLb1EES10_IbLb0EEEEDaSW_SX_EUlSW_E_NS1_11comp_targetILNS1_3genE9ELNS1_11target_archE1100ELNS1_3gpuE3ELNS1_3repE0EEENS1_30default_config_static_selectorELNS0_4arch9wavefront6targetE1EEEvT1_,"axG",@progbits,_ZN7rocprim17ROCPRIM_400000_NS6detail17trampoline_kernelINS0_14default_configENS1_27scan_by_key_config_selectorIixEEZZNS1_16scan_by_key_implILNS1_25lookback_scan_determinismE0ELb1ES3_N6thrust23THRUST_200600_302600_NS6detail15normal_iteratorINS9_10device_ptrIiEEEENSB_INSC_IxEEEESG_xNS9_4plusIvEENS9_8equal_toIvEExEE10hipError_tPvRmT2_T3_T4_T5_mT6_T7_P12ihipStream_tbENKUlT_T0_E_clISt17integral_constantIbLb1EES10_IbLb0EEEEDaSW_SX_EUlSW_E_NS1_11comp_targetILNS1_3genE9ELNS1_11target_archE1100ELNS1_3gpuE3ELNS1_3repE0EEENS1_30default_config_static_selectorELNS0_4arch9wavefront6targetE1EEEvT1_,comdat
.Lfunc_end1596:
	.size	_ZN7rocprim17ROCPRIM_400000_NS6detail17trampoline_kernelINS0_14default_configENS1_27scan_by_key_config_selectorIixEEZZNS1_16scan_by_key_implILNS1_25lookback_scan_determinismE0ELb1ES3_N6thrust23THRUST_200600_302600_NS6detail15normal_iteratorINS9_10device_ptrIiEEEENSB_INSC_IxEEEESG_xNS9_4plusIvEENS9_8equal_toIvEExEE10hipError_tPvRmT2_T3_T4_T5_mT6_T7_P12ihipStream_tbENKUlT_T0_E_clISt17integral_constantIbLb1EES10_IbLb0EEEEDaSW_SX_EUlSW_E_NS1_11comp_targetILNS1_3genE9ELNS1_11target_archE1100ELNS1_3gpuE3ELNS1_3repE0EEENS1_30default_config_static_selectorELNS0_4arch9wavefront6targetE1EEEvT1_, .Lfunc_end1596-_ZN7rocprim17ROCPRIM_400000_NS6detail17trampoline_kernelINS0_14default_configENS1_27scan_by_key_config_selectorIixEEZZNS1_16scan_by_key_implILNS1_25lookback_scan_determinismE0ELb1ES3_N6thrust23THRUST_200600_302600_NS6detail15normal_iteratorINS9_10device_ptrIiEEEENSB_INSC_IxEEEESG_xNS9_4plusIvEENS9_8equal_toIvEExEE10hipError_tPvRmT2_T3_T4_T5_mT6_T7_P12ihipStream_tbENKUlT_T0_E_clISt17integral_constantIbLb1EES10_IbLb0EEEEDaSW_SX_EUlSW_E_NS1_11comp_targetILNS1_3genE9ELNS1_11target_archE1100ELNS1_3gpuE3ELNS1_3repE0EEENS1_30default_config_static_selectorELNS0_4arch9wavefront6targetE1EEEvT1_
                                        ; -- End function
	.section	.AMDGPU.csdata,"",@progbits
; Kernel info:
; codeLenInByte = 0
; NumSgprs: 6
; NumVgprs: 0
; NumAgprs: 0
; TotalNumVgprs: 0
; ScratchSize: 0
; MemoryBound: 0
; FloatMode: 240
; IeeeMode: 1
; LDSByteSize: 0 bytes/workgroup (compile time only)
; SGPRBlocks: 0
; VGPRBlocks: 0
; NumSGPRsForWavesPerEU: 6
; NumVGPRsForWavesPerEU: 1
; AccumOffset: 4
; Occupancy: 8
; WaveLimiterHint : 0
; COMPUTE_PGM_RSRC2:SCRATCH_EN: 0
; COMPUTE_PGM_RSRC2:USER_SGPR: 2
; COMPUTE_PGM_RSRC2:TRAP_HANDLER: 0
; COMPUTE_PGM_RSRC2:TGID_X_EN: 1
; COMPUTE_PGM_RSRC2:TGID_Y_EN: 0
; COMPUTE_PGM_RSRC2:TGID_Z_EN: 0
; COMPUTE_PGM_RSRC2:TIDIG_COMP_CNT: 0
; COMPUTE_PGM_RSRC3_GFX90A:ACCUM_OFFSET: 0
; COMPUTE_PGM_RSRC3_GFX90A:TG_SPLIT: 0
	.section	.text._ZN7rocprim17ROCPRIM_400000_NS6detail17trampoline_kernelINS0_14default_configENS1_27scan_by_key_config_selectorIixEEZZNS1_16scan_by_key_implILNS1_25lookback_scan_determinismE0ELb1ES3_N6thrust23THRUST_200600_302600_NS6detail15normal_iteratorINS9_10device_ptrIiEEEENSB_INSC_IxEEEESG_xNS9_4plusIvEENS9_8equal_toIvEExEE10hipError_tPvRmT2_T3_T4_T5_mT6_T7_P12ihipStream_tbENKUlT_T0_E_clISt17integral_constantIbLb1EES10_IbLb0EEEEDaSW_SX_EUlSW_E_NS1_11comp_targetILNS1_3genE8ELNS1_11target_archE1030ELNS1_3gpuE2ELNS1_3repE0EEENS1_30default_config_static_selectorELNS0_4arch9wavefront6targetE1EEEvT1_,"axG",@progbits,_ZN7rocprim17ROCPRIM_400000_NS6detail17trampoline_kernelINS0_14default_configENS1_27scan_by_key_config_selectorIixEEZZNS1_16scan_by_key_implILNS1_25lookback_scan_determinismE0ELb1ES3_N6thrust23THRUST_200600_302600_NS6detail15normal_iteratorINS9_10device_ptrIiEEEENSB_INSC_IxEEEESG_xNS9_4plusIvEENS9_8equal_toIvEExEE10hipError_tPvRmT2_T3_T4_T5_mT6_T7_P12ihipStream_tbENKUlT_T0_E_clISt17integral_constantIbLb1EES10_IbLb0EEEEDaSW_SX_EUlSW_E_NS1_11comp_targetILNS1_3genE8ELNS1_11target_archE1030ELNS1_3gpuE2ELNS1_3repE0EEENS1_30default_config_static_selectorELNS0_4arch9wavefront6targetE1EEEvT1_,comdat
	.protected	_ZN7rocprim17ROCPRIM_400000_NS6detail17trampoline_kernelINS0_14default_configENS1_27scan_by_key_config_selectorIixEEZZNS1_16scan_by_key_implILNS1_25lookback_scan_determinismE0ELb1ES3_N6thrust23THRUST_200600_302600_NS6detail15normal_iteratorINS9_10device_ptrIiEEEENSB_INSC_IxEEEESG_xNS9_4plusIvEENS9_8equal_toIvEExEE10hipError_tPvRmT2_T3_T4_T5_mT6_T7_P12ihipStream_tbENKUlT_T0_E_clISt17integral_constantIbLb1EES10_IbLb0EEEEDaSW_SX_EUlSW_E_NS1_11comp_targetILNS1_3genE8ELNS1_11target_archE1030ELNS1_3gpuE2ELNS1_3repE0EEENS1_30default_config_static_selectorELNS0_4arch9wavefront6targetE1EEEvT1_ ; -- Begin function _ZN7rocprim17ROCPRIM_400000_NS6detail17trampoline_kernelINS0_14default_configENS1_27scan_by_key_config_selectorIixEEZZNS1_16scan_by_key_implILNS1_25lookback_scan_determinismE0ELb1ES3_N6thrust23THRUST_200600_302600_NS6detail15normal_iteratorINS9_10device_ptrIiEEEENSB_INSC_IxEEEESG_xNS9_4plusIvEENS9_8equal_toIvEExEE10hipError_tPvRmT2_T3_T4_T5_mT6_T7_P12ihipStream_tbENKUlT_T0_E_clISt17integral_constantIbLb1EES10_IbLb0EEEEDaSW_SX_EUlSW_E_NS1_11comp_targetILNS1_3genE8ELNS1_11target_archE1030ELNS1_3gpuE2ELNS1_3repE0EEENS1_30default_config_static_selectorELNS0_4arch9wavefront6targetE1EEEvT1_
	.globl	_ZN7rocprim17ROCPRIM_400000_NS6detail17trampoline_kernelINS0_14default_configENS1_27scan_by_key_config_selectorIixEEZZNS1_16scan_by_key_implILNS1_25lookback_scan_determinismE0ELb1ES3_N6thrust23THRUST_200600_302600_NS6detail15normal_iteratorINS9_10device_ptrIiEEEENSB_INSC_IxEEEESG_xNS9_4plusIvEENS9_8equal_toIvEExEE10hipError_tPvRmT2_T3_T4_T5_mT6_T7_P12ihipStream_tbENKUlT_T0_E_clISt17integral_constantIbLb1EES10_IbLb0EEEEDaSW_SX_EUlSW_E_NS1_11comp_targetILNS1_3genE8ELNS1_11target_archE1030ELNS1_3gpuE2ELNS1_3repE0EEENS1_30default_config_static_selectorELNS0_4arch9wavefront6targetE1EEEvT1_
	.p2align	8
	.type	_ZN7rocprim17ROCPRIM_400000_NS6detail17trampoline_kernelINS0_14default_configENS1_27scan_by_key_config_selectorIixEEZZNS1_16scan_by_key_implILNS1_25lookback_scan_determinismE0ELb1ES3_N6thrust23THRUST_200600_302600_NS6detail15normal_iteratorINS9_10device_ptrIiEEEENSB_INSC_IxEEEESG_xNS9_4plusIvEENS9_8equal_toIvEExEE10hipError_tPvRmT2_T3_T4_T5_mT6_T7_P12ihipStream_tbENKUlT_T0_E_clISt17integral_constantIbLb1EES10_IbLb0EEEEDaSW_SX_EUlSW_E_NS1_11comp_targetILNS1_3genE8ELNS1_11target_archE1030ELNS1_3gpuE2ELNS1_3repE0EEENS1_30default_config_static_selectorELNS0_4arch9wavefront6targetE1EEEvT1_,@function
_ZN7rocprim17ROCPRIM_400000_NS6detail17trampoline_kernelINS0_14default_configENS1_27scan_by_key_config_selectorIixEEZZNS1_16scan_by_key_implILNS1_25lookback_scan_determinismE0ELb1ES3_N6thrust23THRUST_200600_302600_NS6detail15normal_iteratorINS9_10device_ptrIiEEEENSB_INSC_IxEEEESG_xNS9_4plusIvEENS9_8equal_toIvEExEE10hipError_tPvRmT2_T3_T4_T5_mT6_T7_P12ihipStream_tbENKUlT_T0_E_clISt17integral_constantIbLb1EES10_IbLb0EEEEDaSW_SX_EUlSW_E_NS1_11comp_targetILNS1_3genE8ELNS1_11target_archE1030ELNS1_3gpuE2ELNS1_3repE0EEENS1_30default_config_static_selectorELNS0_4arch9wavefront6targetE1EEEvT1_: ; @_ZN7rocprim17ROCPRIM_400000_NS6detail17trampoline_kernelINS0_14default_configENS1_27scan_by_key_config_selectorIixEEZZNS1_16scan_by_key_implILNS1_25lookback_scan_determinismE0ELb1ES3_N6thrust23THRUST_200600_302600_NS6detail15normal_iteratorINS9_10device_ptrIiEEEENSB_INSC_IxEEEESG_xNS9_4plusIvEENS9_8equal_toIvEExEE10hipError_tPvRmT2_T3_T4_T5_mT6_T7_P12ihipStream_tbENKUlT_T0_E_clISt17integral_constantIbLb1EES10_IbLb0EEEEDaSW_SX_EUlSW_E_NS1_11comp_targetILNS1_3genE8ELNS1_11target_archE1030ELNS1_3gpuE2ELNS1_3repE0EEENS1_30default_config_static_selectorELNS0_4arch9wavefront6targetE1EEEvT1_
; %bb.0:
	.section	.rodata,"a",@progbits
	.p2align	6, 0x0
	.amdhsa_kernel _ZN7rocprim17ROCPRIM_400000_NS6detail17trampoline_kernelINS0_14default_configENS1_27scan_by_key_config_selectorIixEEZZNS1_16scan_by_key_implILNS1_25lookback_scan_determinismE0ELb1ES3_N6thrust23THRUST_200600_302600_NS6detail15normal_iteratorINS9_10device_ptrIiEEEENSB_INSC_IxEEEESG_xNS9_4plusIvEENS9_8equal_toIvEExEE10hipError_tPvRmT2_T3_T4_T5_mT6_T7_P12ihipStream_tbENKUlT_T0_E_clISt17integral_constantIbLb1EES10_IbLb0EEEEDaSW_SX_EUlSW_E_NS1_11comp_targetILNS1_3genE8ELNS1_11target_archE1030ELNS1_3gpuE2ELNS1_3repE0EEENS1_30default_config_static_selectorELNS0_4arch9wavefront6targetE1EEEvT1_
		.amdhsa_group_segment_fixed_size 0
		.amdhsa_private_segment_fixed_size 0
		.amdhsa_kernarg_size 136
		.amdhsa_user_sgpr_count 2
		.amdhsa_user_sgpr_dispatch_ptr 0
		.amdhsa_user_sgpr_queue_ptr 0
		.amdhsa_user_sgpr_kernarg_segment_ptr 1
		.amdhsa_user_sgpr_dispatch_id 0
		.amdhsa_user_sgpr_kernarg_preload_length 0
		.amdhsa_user_sgpr_kernarg_preload_offset 0
		.amdhsa_user_sgpr_private_segment_size 0
		.amdhsa_uses_dynamic_stack 0
		.amdhsa_enable_private_segment 0
		.amdhsa_system_sgpr_workgroup_id_x 1
		.amdhsa_system_sgpr_workgroup_id_y 0
		.amdhsa_system_sgpr_workgroup_id_z 0
		.amdhsa_system_sgpr_workgroup_info 0
		.amdhsa_system_vgpr_workitem_id 0
		.amdhsa_next_free_vgpr 1
		.amdhsa_next_free_sgpr 0
		.amdhsa_accum_offset 4
		.amdhsa_reserve_vcc 0
		.amdhsa_float_round_mode_32 0
		.amdhsa_float_round_mode_16_64 0
		.amdhsa_float_denorm_mode_32 3
		.amdhsa_float_denorm_mode_16_64 3
		.amdhsa_dx10_clamp 1
		.amdhsa_ieee_mode 1
		.amdhsa_fp16_overflow 0
		.amdhsa_tg_split 0
		.amdhsa_exception_fp_ieee_invalid_op 0
		.amdhsa_exception_fp_denorm_src 0
		.amdhsa_exception_fp_ieee_div_zero 0
		.amdhsa_exception_fp_ieee_overflow 0
		.amdhsa_exception_fp_ieee_underflow 0
		.amdhsa_exception_fp_ieee_inexact 0
		.amdhsa_exception_int_div_zero 0
	.end_amdhsa_kernel
	.section	.text._ZN7rocprim17ROCPRIM_400000_NS6detail17trampoline_kernelINS0_14default_configENS1_27scan_by_key_config_selectorIixEEZZNS1_16scan_by_key_implILNS1_25lookback_scan_determinismE0ELb1ES3_N6thrust23THRUST_200600_302600_NS6detail15normal_iteratorINS9_10device_ptrIiEEEENSB_INSC_IxEEEESG_xNS9_4plusIvEENS9_8equal_toIvEExEE10hipError_tPvRmT2_T3_T4_T5_mT6_T7_P12ihipStream_tbENKUlT_T0_E_clISt17integral_constantIbLb1EES10_IbLb0EEEEDaSW_SX_EUlSW_E_NS1_11comp_targetILNS1_3genE8ELNS1_11target_archE1030ELNS1_3gpuE2ELNS1_3repE0EEENS1_30default_config_static_selectorELNS0_4arch9wavefront6targetE1EEEvT1_,"axG",@progbits,_ZN7rocprim17ROCPRIM_400000_NS6detail17trampoline_kernelINS0_14default_configENS1_27scan_by_key_config_selectorIixEEZZNS1_16scan_by_key_implILNS1_25lookback_scan_determinismE0ELb1ES3_N6thrust23THRUST_200600_302600_NS6detail15normal_iteratorINS9_10device_ptrIiEEEENSB_INSC_IxEEEESG_xNS9_4plusIvEENS9_8equal_toIvEExEE10hipError_tPvRmT2_T3_T4_T5_mT6_T7_P12ihipStream_tbENKUlT_T0_E_clISt17integral_constantIbLb1EES10_IbLb0EEEEDaSW_SX_EUlSW_E_NS1_11comp_targetILNS1_3genE8ELNS1_11target_archE1030ELNS1_3gpuE2ELNS1_3repE0EEENS1_30default_config_static_selectorELNS0_4arch9wavefront6targetE1EEEvT1_,comdat
.Lfunc_end1597:
	.size	_ZN7rocprim17ROCPRIM_400000_NS6detail17trampoline_kernelINS0_14default_configENS1_27scan_by_key_config_selectorIixEEZZNS1_16scan_by_key_implILNS1_25lookback_scan_determinismE0ELb1ES3_N6thrust23THRUST_200600_302600_NS6detail15normal_iteratorINS9_10device_ptrIiEEEENSB_INSC_IxEEEESG_xNS9_4plusIvEENS9_8equal_toIvEExEE10hipError_tPvRmT2_T3_T4_T5_mT6_T7_P12ihipStream_tbENKUlT_T0_E_clISt17integral_constantIbLb1EES10_IbLb0EEEEDaSW_SX_EUlSW_E_NS1_11comp_targetILNS1_3genE8ELNS1_11target_archE1030ELNS1_3gpuE2ELNS1_3repE0EEENS1_30default_config_static_selectorELNS0_4arch9wavefront6targetE1EEEvT1_, .Lfunc_end1597-_ZN7rocprim17ROCPRIM_400000_NS6detail17trampoline_kernelINS0_14default_configENS1_27scan_by_key_config_selectorIixEEZZNS1_16scan_by_key_implILNS1_25lookback_scan_determinismE0ELb1ES3_N6thrust23THRUST_200600_302600_NS6detail15normal_iteratorINS9_10device_ptrIiEEEENSB_INSC_IxEEEESG_xNS9_4plusIvEENS9_8equal_toIvEExEE10hipError_tPvRmT2_T3_T4_T5_mT6_T7_P12ihipStream_tbENKUlT_T0_E_clISt17integral_constantIbLb1EES10_IbLb0EEEEDaSW_SX_EUlSW_E_NS1_11comp_targetILNS1_3genE8ELNS1_11target_archE1030ELNS1_3gpuE2ELNS1_3repE0EEENS1_30default_config_static_selectorELNS0_4arch9wavefront6targetE1EEEvT1_
                                        ; -- End function
	.section	.AMDGPU.csdata,"",@progbits
; Kernel info:
; codeLenInByte = 0
; NumSgprs: 6
; NumVgprs: 0
; NumAgprs: 0
; TotalNumVgprs: 0
; ScratchSize: 0
; MemoryBound: 0
; FloatMode: 240
; IeeeMode: 1
; LDSByteSize: 0 bytes/workgroup (compile time only)
; SGPRBlocks: 0
; VGPRBlocks: 0
; NumSGPRsForWavesPerEU: 6
; NumVGPRsForWavesPerEU: 1
; AccumOffset: 4
; Occupancy: 8
; WaveLimiterHint : 0
; COMPUTE_PGM_RSRC2:SCRATCH_EN: 0
; COMPUTE_PGM_RSRC2:USER_SGPR: 2
; COMPUTE_PGM_RSRC2:TRAP_HANDLER: 0
; COMPUTE_PGM_RSRC2:TGID_X_EN: 1
; COMPUTE_PGM_RSRC2:TGID_Y_EN: 0
; COMPUTE_PGM_RSRC2:TGID_Z_EN: 0
; COMPUTE_PGM_RSRC2:TIDIG_COMP_CNT: 0
; COMPUTE_PGM_RSRC3_GFX90A:ACCUM_OFFSET: 0
; COMPUTE_PGM_RSRC3_GFX90A:TG_SPLIT: 0
	.section	.text._ZN7rocprim17ROCPRIM_400000_NS6detail17trampoline_kernelINS0_14default_configENS1_27scan_by_key_config_selectorIixEEZZNS1_16scan_by_key_implILNS1_25lookback_scan_determinismE0ELb1ES3_N6thrust23THRUST_200600_302600_NS6detail15normal_iteratorINS9_10device_ptrIiEEEENSB_INSC_IxEEEESG_xNS9_4plusIvEENS9_8equal_toIvEExEE10hipError_tPvRmT2_T3_T4_T5_mT6_T7_P12ihipStream_tbENKUlT_T0_E_clISt17integral_constantIbLb0EES10_IbLb1EEEEDaSW_SX_EUlSW_E_NS1_11comp_targetILNS1_3genE0ELNS1_11target_archE4294967295ELNS1_3gpuE0ELNS1_3repE0EEENS1_30default_config_static_selectorELNS0_4arch9wavefront6targetE1EEEvT1_,"axG",@progbits,_ZN7rocprim17ROCPRIM_400000_NS6detail17trampoline_kernelINS0_14default_configENS1_27scan_by_key_config_selectorIixEEZZNS1_16scan_by_key_implILNS1_25lookback_scan_determinismE0ELb1ES3_N6thrust23THRUST_200600_302600_NS6detail15normal_iteratorINS9_10device_ptrIiEEEENSB_INSC_IxEEEESG_xNS9_4plusIvEENS9_8equal_toIvEExEE10hipError_tPvRmT2_T3_T4_T5_mT6_T7_P12ihipStream_tbENKUlT_T0_E_clISt17integral_constantIbLb0EES10_IbLb1EEEEDaSW_SX_EUlSW_E_NS1_11comp_targetILNS1_3genE0ELNS1_11target_archE4294967295ELNS1_3gpuE0ELNS1_3repE0EEENS1_30default_config_static_selectorELNS0_4arch9wavefront6targetE1EEEvT1_,comdat
	.protected	_ZN7rocprim17ROCPRIM_400000_NS6detail17trampoline_kernelINS0_14default_configENS1_27scan_by_key_config_selectorIixEEZZNS1_16scan_by_key_implILNS1_25lookback_scan_determinismE0ELb1ES3_N6thrust23THRUST_200600_302600_NS6detail15normal_iteratorINS9_10device_ptrIiEEEENSB_INSC_IxEEEESG_xNS9_4plusIvEENS9_8equal_toIvEExEE10hipError_tPvRmT2_T3_T4_T5_mT6_T7_P12ihipStream_tbENKUlT_T0_E_clISt17integral_constantIbLb0EES10_IbLb1EEEEDaSW_SX_EUlSW_E_NS1_11comp_targetILNS1_3genE0ELNS1_11target_archE4294967295ELNS1_3gpuE0ELNS1_3repE0EEENS1_30default_config_static_selectorELNS0_4arch9wavefront6targetE1EEEvT1_ ; -- Begin function _ZN7rocprim17ROCPRIM_400000_NS6detail17trampoline_kernelINS0_14default_configENS1_27scan_by_key_config_selectorIixEEZZNS1_16scan_by_key_implILNS1_25lookback_scan_determinismE0ELb1ES3_N6thrust23THRUST_200600_302600_NS6detail15normal_iteratorINS9_10device_ptrIiEEEENSB_INSC_IxEEEESG_xNS9_4plusIvEENS9_8equal_toIvEExEE10hipError_tPvRmT2_T3_T4_T5_mT6_T7_P12ihipStream_tbENKUlT_T0_E_clISt17integral_constantIbLb0EES10_IbLb1EEEEDaSW_SX_EUlSW_E_NS1_11comp_targetILNS1_3genE0ELNS1_11target_archE4294967295ELNS1_3gpuE0ELNS1_3repE0EEENS1_30default_config_static_selectorELNS0_4arch9wavefront6targetE1EEEvT1_
	.globl	_ZN7rocprim17ROCPRIM_400000_NS6detail17trampoline_kernelINS0_14default_configENS1_27scan_by_key_config_selectorIixEEZZNS1_16scan_by_key_implILNS1_25lookback_scan_determinismE0ELb1ES3_N6thrust23THRUST_200600_302600_NS6detail15normal_iteratorINS9_10device_ptrIiEEEENSB_INSC_IxEEEESG_xNS9_4plusIvEENS9_8equal_toIvEExEE10hipError_tPvRmT2_T3_T4_T5_mT6_T7_P12ihipStream_tbENKUlT_T0_E_clISt17integral_constantIbLb0EES10_IbLb1EEEEDaSW_SX_EUlSW_E_NS1_11comp_targetILNS1_3genE0ELNS1_11target_archE4294967295ELNS1_3gpuE0ELNS1_3repE0EEENS1_30default_config_static_selectorELNS0_4arch9wavefront6targetE1EEEvT1_
	.p2align	8
	.type	_ZN7rocprim17ROCPRIM_400000_NS6detail17trampoline_kernelINS0_14default_configENS1_27scan_by_key_config_selectorIixEEZZNS1_16scan_by_key_implILNS1_25lookback_scan_determinismE0ELb1ES3_N6thrust23THRUST_200600_302600_NS6detail15normal_iteratorINS9_10device_ptrIiEEEENSB_INSC_IxEEEESG_xNS9_4plusIvEENS9_8equal_toIvEExEE10hipError_tPvRmT2_T3_T4_T5_mT6_T7_P12ihipStream_tbENKUlT_T0_E_clISt17integral_constantIbLb0EES10_IbLb1EEEEDaSW_SX_EUlSW_E_NS1_11comp_targetILNS1_3genE0ELNS1_11target_archE4294967295ELNS1_3gpuE0ELNS1_3repE0EEENS1_30default_config_static_selectorELNS0_4arch9wavefront6targetE1EEEvT1_,@function
_ZN7rocprim17ROCPRIM_400000_NS6detail17trampoline_kernelINS0_14default_configENS1_27scan_by_key_config_selectorIixEEZZNS1_16scan_by_key_implILNS1_25lookback_scan_determinismE0ELb1ES3_N6thrust23THRUST_200600_302600_NS6detail15normal_iteratorINS9_10device_ptrIiEEEENSB_INSC_IxEEEESG_xNS9_4plusIvEENS9_8equal_toIvEExEE10hipError_tPvRmT2_T3_T4_T5_mT6_T7_P12ihipStream_tbENKUlT_T0_E_clISt17integral_constantIbLb0EES10_IbLb1EEEEDaSW_SX_EUlSW_E_NS1_11comp_targetILNS1_3genE0ELNS1_11target_archE4294967295ELNS1_3gpuE0ELNS1_3repE0EEENS1_30default_config_static_selectorELNS0_4arch9wavefront6targetE1EEEvT1_: ; @_ZN7rocprim17ROCPRIM_400000_NS6detail17trampoline_kernelINS0_14default_configENS1_27scan_by_key_config_selectorIixEEZZNS1_16scan_by_key_implILNS1_25lookback_scan_determinismE0ELb1ES3_N6thrust23THRUST_200600_302600_NS6detail15normal_iteratorINS9_10device_ptrIiEEEENSB_INSC_IxEEEESG_xNS9_4plusIvEENS9_8equal_toIvEExEE10hipError_tPvRmT2_T3_T4_T5_mT6_T7_P12ihipStream_tbENKUlT_T0_E_clISt17integral_constantIbLb0EES10_IbLb1EEEEDaSW_SX_EUlSW_E_NS1_11comp_targetILNS1_3genE0ELNS1_11target_archE4294967295ELNS1_3gpuE0ELNS1_3repE0EEENS1_30default_config_static_selectorELNS0_4arch9wavefront6targetE1EEEvT1_
; %bb.0:
	.section	.rodata,"a",@progbits
	.p2align	6, 0x0
	.amdhsa_kernel _ZN7rocprim17ROCPRIM_400000_NS6detail17trampoline_kernelINS0_14default_configENS1_27scan_by_key_config_selectorIixEEZZNS1_16scan_by_key_implILNS1_25lookback_scan_determinismE0ELb1ES3_N6thrust23THRUST_200600_302600_NS6detail15normal_iteratorINS9_10device_ptrIiEEEENSB_INSC_IxEEEESG_xNS9_4plusIvEENS9_8equal_toIvEExEE10hipError_tPvRmT2_T3_T4_T5_mT6_T7_P12ihipStream_tbENKUlT_T0_E_clISt17integral_constantIbLb0EES10_IbLb1EEEEDaSW_SX_EUlSW_E_NS1_11comp_targetILNS1_3genE0ELNS1_11target_archE4294967295ELNS1_3gpuE0ELNS1_3repE0EEENS1_30default_config_static_selectorELNS0_4arch9wavefront6targetE1EEEvT1_
		.amdhsa_group_segment_fixed_size 0
		.amdhsa_private_segment_fixed_size 0
		.amdhsa_kernarg_size 136
		.amdhsa_user_sgpr_count 2
		.amdhsa_user_sgpr_dispatch_ptr 0
		.amdhsa_user_sgpr_queue_ptr 0
		.amdhsa_user_sgpr_kernarg_segment_ptr 1
		.amdhsa_user_sgpr_dispatch_id 0
		.amdhsa_user_sgpr_kernarg_preload_length 0
		.amdhsa_user_sgpr_kernarg_preload_offset 0
		.amdhsa_user_sgpr_private_segment_size 0
		.amdhsa_uses_dynamic_stack 0
		.amdhsa_enable_private_segment 0
		.amdhsa_system_sgpr_workgroup_id_x 1
		.amdhsa_system_sgpr_workgroup_id_y 0
		.amdhsa_system_sgpr_workgroup_id_z 0
		.amdhsa_system_sgpr_workgroup_info 0
		.amdhsa_system_vgpr_workitem_id 0
		.amdhsa_next_free_vgpr 1
		.amdhsa_next_free_sgpr 0
		.amdhsa_accum_offset 4
		.amdhsa_reserve_vcc 0
		.amdhsa_float_round_mode_32 0
		.amdhsa_float_round_mode_16_64 0
		.amdhsa_float_denorm_mode_32 3
		.amdhsa_float_denorm_mode_16_64 3
		.amdhsa_dx10_clamp 1
		.amdhsa_ieee_mode 1
		.amdhsa_fp16_overflow 0
		.amdhsa_tg_split 0
		.amdhsa_exception_fp_ieee_invalid_op 0
		.amdhsa_exception_fp_denorm_src 0
		.amdhsa_exception_fp_ieee_div_zero 0
		.amdhsa_exception_fp_ieee_overflow 0
		.amdhsa_exception_fp_ieee_underflow 0
		.amdhsa_exception_fp_ieee_inexact 0
		.amdhsa_exception_int_div_zero 0
	.end_amdhsa_kernel
	.section	.text._ZN7rocprim17ROCPRIM_400000_NS6detail17trampoline_kernelINS0_14default_configENS1_27scan_by_key_config_selectorIixEEZZNS1_16scan_by_key_implILNS1_25lookback_scan_determinismE0ELb1ES3_N6thrust23THRUST_200600_302600_NS6detail15normal_iteratorINS9_10device_ptrIiEEEENSB_INSC_IxEEEESG_xNS9_4plusIvEENS9_8equal_toIvEExEE10hipError_tPvRmT2_T3_T4_T5_mT6_T7_P12ihipStream_tbENKUlT_T0_E_clISt17integral_constantIbLb0EES10_IbLb1EEEEDaSW_SX_EUlSW_E_NS1_11comp_targetILNS1_3genE0ELNS1_11target_archE4294967295ELNS1_3gpuE0ELNS1_3repE0EEENS1_30default_config_static_selectorELNS0_4arch9wavefront6targetE1EEEvT1_,"axG",@progbits,_ZN7rocprim17ROCPRIM_400000_NS6detail17trampoline_kernelINS0_14default_configENS1_27scan_by_key_config_selectorIixEEZZNS1_16scan_by_key_implILNS1_25lookback_scan_determinismE0ELb1ES3_N6thrust23THRUST_200600_302600_NS6detail15normal_iteratorINS9_10device_ptrIiEEEENSB_INSC_IxEEEESG_xNS9_4plusIvEENS9_8equal_toIvEExEE10hipError_tPvRmT2_T3_T4_T5_mT6_T7_P12ihipStream_tbENKUlT_T0_E_clISt17integral_constantIbLb0EES10_IbLb1EEEEDaSW_SX_EUlSW_E_NS1_11comp_targetILNS1_3genE0ELNS1_11target_archE4294967295ELNS1_3gpuE0ELNS1_3repE0EEENS1_30default_config_static_selectorELNS0_4arch9wavefront6targetE1EEEvT1_,comdat
.Lfunc_end1598:
	.size	_ZN7rocprim17ROCPRIM_400000_NS6detail17trampoline_kernelINS0_14default_configENS1_27scan_by_key_config_selectorIixEEZZNS1_16scan_by_key_implILNS1_25lookback_scan_determinismE0ELb1ES3_N6thrust23THRUST_200600_302600_NS6detail15normal_iteratorINS9_10device_ptrIiEEEENSB_INSC_IxEEEESG_xNS9_4plusIvEENS9_8equal_toIvEExEE10hipError_tPvRmT2_T3_T4_T5_mT6_T7_P12ihipStream_tbENKUlT_T0_E_clISt17integral_constantIbLb0EES10_IbLb1EEEEDaSW_SX_EUlSW_E_NS1_11comp_targetILNS1_3genE0ELNS1_11target_archE4294967295ELNS1_3gpuE0ELNS1_3repE0EEENS1_30default_config_static_selectorELNS0_4arch9wavefront6targetE1EEEvT1_, .Lfunc_end1598-_ZN7rocprim17ROCPRIM_400000_NS6detail17trampoline_kernelINS0_14default_configENS1_27scan_by_key_config_selectorIixEEZZNS1_16scan_by_key_implILNS1_25lookback_scan_determinismE0ELb1ES3_N6thrust23THRUST_200600_302600_NS6detail15normal_iteratorINS9_10device_ptrIiEEEENSB_INSC_IxEEEESG_xNS9_4plusIvEENS9_8equal_toIvEExEE10hipError_tPvRmT2_T3_T4_T5_mT6_T7_P12ihipStream_tbENKUlT_T0_E_clISt17integral_constantIbLb0EES10_IbLb1EEEEDaSW_SX_EUlSW_E_NS1_11comp_targetILNS1_3genE0ELNS1_11target_archE4294967295ELNS1_3gpuE0ELNS1_3repE0EEENS1_30default_config_static_selectorELNS0_4arch9wavefront6targetE1EEEvT1_
                                        ; -- End function
	.section	.AMDGPU.csdata,"",@progbits
; Kernel info:
; codeLenInByte = 0
; NumSgprs: 6
; NumVgprs: 0
; NumAgprs: 0
; TotalNumVgprs: 0
; ScratchSize: 0
; MemoryBound: 0
; FloatMode: 240
; IeeeMode: 1
; LDSByteSize: 0 bytes/workgroup (compile time only)
; SGPRBlocks: 0
; VGPRBlocks: 0
; NumSGPRsForWavesPerEU: 6
; NumVGPRsForWavesPerEU: 1
; AccumOffset: 4
; Occupancy: 8
; WaveLimiterHint : 0
; COMPUTE_PGM_RSRC2:SCRATCH_EN: 0
; COMPUTE_PGM_RSRC2:USER_SGPR: 2
; COMPUTE_PGM_RSRC2:TRAP_HANDLER: 0
; COMPUTE_PGM_RSRC2:TGID_X_EN: 1
; COMPUTE_PGM_RSRC2:TGID_Y_EN: 0
; COMPUTE_PGM_RSRC2:TGID_Z_EN: 0
; COMPUTE_PGM_RSRC2:TIDIG_COMP_CNT: 0
; COMPUTE_PGM_RSRC3_GFX90A:ACCUM_OFFSET: 0
; COMPUTE_PGM_RSRC3_GFX90A:TG_SPLIT: 0
	.section	.text._ZN7rocprim17ROCPRIM_400000_NS6detail17trampoline_kernelINS0_14default_configENS1_27scan_by_key_config_selectorIixEEZZNS1_16scan_by_key_implILNS1_25lookback_scan_determinismE0ELb1ES3_N6thrust23THRUST_200600_302600_NS6detail15normal_iteratorINS9_10device_ptrIiEEEENSB_INSC_IxEEEESG_xNS9_4plusIvEENS9_8equal_toIvEExEE10hipError_tPvRmT2_T3_T4_T5_mT6_T7_P12ihipStream_tbENKUlT_T0_E_clISt17integral_constantIbLb0EES10_IbLb1EEEEDaSW_SX_EUlSW_E_NS1_11comp_targetILNS1_3genE10ELNS1_11target_archE1201ELNS1_3gpuE5ELNS1_3repE0EEENS1_30default_config_static_selectorELNS0_4arch9wavefront6targetE1EEEvT1_,"axG",@progbits,_ZN7rocprim17ROCPRIM_400000_NS6detail17trampoline_kernelINS0_14default_configENS1_27scan_by_key_config_selectorIixEEZZNS1_16scan_by_key_implILNS1_25lookback_scan_determinismE0ELb1ES3_N6thrust23THRUST_200600_302600_NS6detail15normal_iteratorINS9_10device_ptrIiEEEENSB_INSC_IxEEEESG_xNS9_4plusIvEENS9_8equal_toIvEExEE10hipError_tPvRmT2_T3_T4_T5_mT6_T7_P12ihipStream_tbENKUlT_T0_E_clISt17integral_constantIbLb0EES10_IbLb1EEEEDaSW_SX_EUlSW_E_NS1_11comp_targetILNS1_3genE10ELNS1_11target_archE1201ELNS1_3gpuE5ELNS1_3repE0EEENS1_30default_config_static_selectorELNS0_4arch9wavefront6targetE1EEEvT1_,comdat
	.protected	_ZN7rocprim17ROCPRIM_400000_NS6detail17trampoline_kernelINS0_14default_configENS1_27scan_by_key_config_selectorIixEEZZNS1_16scan_by_key_implILNS1_25lookback_scan_determinismE0ELb1ES3_N6thrust23THRUST_200600_302600_NS6detail15normal_iteratorINS9_10device_ptrIiEEEENSB_INSC_IxEEEESG_xNS9_4plusIvEENS9_8equal_toIvEExEE10hipError_tPvRmT2_T3_T4_T5_mT6_T7_P12ihipStream_tbENKUlT_T0_E_clISt17integral_constantIbLb0EES10_IbLb1EEEEDaSW_SX_EUlSW_E_NS1_11comp_targetILNS1_3genE10ELNS1_11target_archE1201ELNS1_3gpuE5ELNS1_3repE0EEENS1_30default_config_static_selectorELNS0_4arch9wavefront6targetE1EEEvT1_ ; -- Begin function _ZN7rocprim17ROCPRIM_400000_NS6detail17trampoline_kernelINS0_14default_configENS1_27scan_by_key_config_selectorIixEEZZNS1_16scan_by_key_implILNS1_25lookback_scan_determinismE0ELb1ES3_N6thrust23THRUST_200600_302600_NS6detail15normal_iteratorINS9_10device_ptrIiEEEENSB_INSC_IxEEEESG_xNS9_4plusIvEENS9_8equal_toIvEExEE10hipError_tPvRmT2_T3_T4_T5_mT6_T7_P12ihipStream_tbENKUlT_T0_E_clISt17integral_constantIbLb0EES10_IbLb1EEEEDaSW_SX_EUlSW_E_NS1_11comp_targetILNS1_3genE10ELNS1_11target_archE1201ELNS1_3gpuE5ELNS1_3repE0EEENS1_30default_config_static_selectorELNS0_4arch9wavefront6targetE1EEEvT1_
	.globl	_ZN7rocprim17ROCPRIM_400000_NS6detail17trampoline_kernelINS0_14default_configENS1_27scan_by_key_config_selectorIixEEZZNS1_16scan_by_key_implILNS1_25lookback_scan_determinismE0ELb1ES3_N6thrust23THRUST_200600_302600_NS6detail15normal_iteratorINS9_10device_ptrIiEEEENSB_INSC_IxEEEESG_xNS9_4plusIvEENS9_8equal_toIvEExEE10hipError_tPvRmT2_T3_T4_T5_mT6_T7_P12ihipStream_tbENKUlT_T0_E_clISt17integral_constantIbLb0EES10_IbLb1EEEEDaSW_SX_EUlSW_E_NS1_11comp_targetILNS1_3genE10ELNS1_11target_archE1201ELNS1_3gpuE5ELNS1_3repE0EEENS1_30default_config_static_selectorELNS0_4arch9wavefront6targetE1EEEvT1_
	.p2align	8
	.type	_ZN7rocprim17ROCPRIM_400000_NS6detail17trampoline_kernelINS0_14default_configENS1_27scan_by_key_config_selectorIixEEZZNS1_16scan_by_key_implILNS1_25lookback_scan_determinismE0ELb1ES3_N6thrust23THRUST_200600_302600_NS6detail15normal_iteratorINS9_10device_ptrIiEEEENSB_INSC_IxEEEESG_xNS9_4plusIvEENS9_8equal_toIvEExEE10hipError_tPvRmT2_T3_T4_T5_mT6_T7_P12ihipStream_tbENKUlT_T0_E_clISt17integral_constantIbLb0EES10_IbLb1EEEEDaSW_SX_EUlSW_E_NS1_11comp_targetILNS1_3genE10ELNS1_11target_archE1201ELNS1_3gpuE5ELNS1_3repE0EEENS1_30default_config_static_selectorELNS0_4arch9wavefront6targetE1EEEvT1_,@function
_ZN7rocprim17ROCPRIM_400000_NS6detail17trampoline_kernelINS0_14default_configENS1_27scan_by_key_config_selectorIixEEZZNS1_16scan_by_key_implILNS1_25lookback_scan_determinismE0ELb1ES3_N6thrust23THRUST_200600_302600_NS6detail15normal_iteratorINS9_10device_ptrIiEEEENSB_INSC_IxEEEESG_xNS9_4plusIvEENS9_8equal_toIvEExEE10hipError_tPvRmT2_T3_T4_T5_mT6_T7_P12ihipStream_tbENKUlT_T0_E_clISt17integral_constantIbLb0EES10_IbLb1EEEEDaSW_SX_EUlSW_E_NS1_11comp_targetILNS1_3genE10ELNS1_11target_archE1201ELNS1_3gpuE5ELNS1_3repE0EEENS1_30default_config_static_selectorELNS0_4arch9wavefront6targetE1EEEvT1_: ; @_ZN7rocprim17ROCPRIM_400000_NS6detail17trampoline_kernelINS0_14default_configENS1_27scan_by_key_config_selectorIixEEZZNS1_16scan_by_key_implILNS1_25lookback_scan_determinismE0ELb1ES3_N6thrust23THRUST_200600_302600_NS6detail15normal_iteratorINS9_10device_ptrIiEEEENSB_INSC_IxEEEESG_xNS9_4plusIvEENS9_8equal_toIvEExEE10hipError_tPvRmT2_T3_T4_T5_mT6_T7_P12ihipStream_tbENKUlT_T0_E_clISt17integral_constantIbLb0EES10_IbLb1EEEEDaSW_SX_EUlSW_E_NS1_11comp_targetILNS1_3genE10ELNS1_11target_archE1201ELNS1_3gpuE5ELNS1_3repE0EEENS1_30default_config_static_selectorELNS0_4arch9wavefront6targetE1EEEvT1_
; %bb.0:
	.section	.rodata,"a",@progbits
	.p2align	6, 0x0
	.amdhsa_kernel _ZN7rocprim17ROCPRIM_400000_NS6detail17trampoline_kernelINS0_14default_configENS1_27scan_by_key_config_selectorIixEEZZNS1_16scan_by_key_implILNS1_25lookback_scan_determinismE0ELb1ES3_N6thrust23THRUST_200600_302600_NS6detail15normal_iteratorINS9_10device_ptrIiEEEENSB_INSC_IxEEEESG_xNS9_4plusIvEENS9_8equal_toIvEExEE10hipError_tPvRmT2_T3_T4_T5_mT6_T7_P12ihipStream_tbENKUlT_T0_E_clISt17integral_constantIbLb0EES10_IbLb1EEEEDaSW_SX_EUlSW_E_NS1_11comp_targetILNS1_3genE10ELNS1_11target_archE1201ELNS1_3gpuE5ELNS1_3repE0EEENS1_30default_config_static_selectorELNS0_4arch9wavefront6targetE1EEEvT1_
		.amdhsa_group_segment_fixed_size 0
		.amdhsa_private_segment_fixed_size 0
		.amdhsa_kernarg_size 136
		.amdhsa_user_sgpr_count 2
		.amdhsa_user_sgpr_dispatch_ptr 0
		.amdhsa_user_sgpr_queue_ptr 0
		.amdhsa_user_sgpr_kernarg_segment_ptr 1
		.amdhsa_user_sgpr_dispatch_id 0
		.amdhsa_user_sgpr_kernarg_preload_length 0
		.amdhsa_user_sgpr_kernarg_preload_offset 0
		.amdhsa_user_sgpr_private_segment_size 0
		.amdhsa_uses_dynamic_stack 0
		.amdhsa_enable_private_segment 0
		.amdhsa_system_sgpr_workgroup_id_x 1
		.amdhsa_system_sgpr_workgroup_id_y 0
		.amdhsa_system_sgpr_workgroup_id_z 0
		.amdhsa_system_sgpr_workgroup_info 0
		.amdhsa_system_vgpr_workitem_id 0
		.amdhsa_next_free_vgpr 1
		.amdhsa_next_free_sgpr 0
		.amdhsa_accum_offset 4
		.amdhsa_reserve_vcc 0
		.amdhsa_float_round_mode_32 0
		.amdhsa_float_round_mode_16_64 0
		.amdhsa_float_denorm_mode_32 3
		.amdhsa_float_denorm_mode_16_64 3
		.amdhsa_dx10_clamp 1
		.amdhsa_ieee_mode 1
		.amdhsa_fp16_overflow 0
		.amdhsa_tg_split 0
		.amdhsa_exception_fp_ieee_invalid_op 0
		.amdhsa_exception_fp_denorm_src 0
		.amdhsa_exception_fp_ieee_div_zero 0
		.amdhsa_exception_fp_ieee_overflow 0
		.amdhsa_exception_fp_ieee_underflow 0
		.amdhsa_exception_fp_ieee_inexact 0
		.amdhsa_exception_int_div_zero 0
	.end_amdhsa_kernel
	.section	.text._ZN7rocprim17ROCPRIM_400000_NS6detail17trampoline_kernelINS0_14default_configENS1_27scan_by_key_config_selectorIixEEZZNS1_16scan_by_key_implILNS1_25lookback_scan_determinismE0ELb1ES3_N6thrust23THRUST_200600_302600_NS6detail15normal_iteratorINS9_10device_ptrIiEEEENSB_INSC_IxEEEESG_xNS9_4plusIvEENS9_8equal_toIvEExEE10hipError_tPvRmT2_T3_T4_T5_mT6_T7_P12ihipStream_tbENKUlT_T0_E_clISt17integral_constantIbLb0EES10_IbLb1EEEEDaSW_SX_EUlSW_E_NS1_11comp_targetILNS1_3genE10ELNS1_11target_archE1201ELNS1_3gpuE5ELNS1_3repE0EEENS1_30default_config_static_selectorELNS0_4arch9wavefront6targetE1EEEvT1_,"axG",@progbits,_ZN7rocprim17ROCPRIM_400000_NS6detail17trampoline_kernelINS0_14default_configENS1_27scan_by_key_config_selectorIixEEZZNS1_16scan_by_key_implILNS1_25lookback_scan_determinismE0ELb1ES3_N6thrust23THRUST_200600_302600_NS6detail15normal_iteratorINS9_10device_ptrIiEEEENSB_INSC_IxEEEESG_xNS9_4plusIvEENS9_8equal_toIvEExEE10hipError_tPvRmT2_T3_T4_T5_mT6_T7_P12ihipStream_tbENKUlT_T0_E_clISt17integral_constantIbLb0EES10_IbLb1EEEEDaSW_SX_EUlSW_E_NS1_11comp_targetILNS1_3genE10ELNS1_11target_archE1201ELNS1_3gpuE5ELNS1_3repE0EEENS1_30default_config_static_selectorELNS0_4arch9wavefront6targetE1EEEvT1_,comdat
.Lfunc_end1599:
	.size	_ZN7rocprim17ROCPRIM_400000_NS6detail17trampoline_kernelINS0_14default_configENS1_27scan_by_key_config_selectorIixEEZZNS1_16scan_by_key_implILNS1_25lookback_scan_determinismE0ELb1ES3_N6thrust23THRUST_200600_302600_NS6detail15normal_iteratorINS9_10device_ptrIiEEEENSB_INSC_IxEEEESG_xNS9_4plusIvEENS9_8equal_toIvEExEE10hipError_tPvRmT2_T3_T4_T5_mT6_T7_P12ihipStream_tbENKUlT_T0_E_clISt17integral_constantIbLb0EES10_IbLb1EEEEDaSW_SX_EUlSW_E_NS1_11comp_targetILNS1_3genE10ELNS1_11target_archE1201ELNS1_3gpuE5ELNS1_3repE0EEENS1_30default_config_static_selectorELNS0_4arch9wavefront6targetE1EEEvT1_, .Lfunc_end1599-_ZN7rocprim17ROCPRIM_400000_NS6detail17trampoline_kernelINS0_14default_configENS1_27scan_by_key_config_selectorIixEEZZNS1_16scan_by_key_implILNS1_25lookback_scan_determinismE0ELb1ES3_N6thrust23THRUST_200600_302600_NS6detail15normal_iteratorINS9_10device_ptrIiEEEENSB_INSC_IxEEEESG_xNS9_4plusIvEENS9_8equal_toIvEExEE10hipError_tPvRmT2_T3_T4_T5_mT6_T7_P12ihipStream_tbENKUlT_T0_E_clISt17integral_constantIbLb0EES10_IbLb1EEEEDaSW_SX_EUlSW_E_NS1_11comp_targetILNS1_3genE10ELNS1_11target_archE1201ELNS1_3gpuE5ELNS1_3repE0EEENS1_30default_config_static_selectorELNS0_4arch9wavefront6targetE1EEEvT1_
                                        ; -- End function
	.section	.AMDGPU.csdata,"",@progbits
; Kernel info:
; codeLenInByte = 0
; NumSgprs: 6
; NumVgprs: 0
; NumAgprs: 0
; TotalNumVgprs: 0
; ScratchSize: 0
; MemoryBound: 0
; FloatMode: 240
; IeeeMode: 1
; LDSByteSize: 0 bytes/workgroup (compile time only)
; SGPRBlocks: 0
; VGPRBlocks: 0
; NumSGPRsForWavesPerEU: 6
; NumVGPRsForWavesPerEU: 1
; AccumOffset: 4
; Occupancy: 8
; WaveLimiterHint : 0
; COMPUTE_PGM_RSRC2:SCRATCH_EN: 0
; COMPUTE_PGM_RSRC2:USER_SGPR: 2
; COMPUTE_PGM_RSRC2:TRAP_HANDLER: 0
; COMPUTE_PGM_RSRC2:TGID_X_EN: 1
; COMPUTE_PGM_RSRC2:TGID_Y_EN: 0
; COMPUTE_PGM_RSRC2:TGID_Z_EN: 0
; COMPUTE_PGM_RSRC2:TIDIG_COMP_CNT: 0
; COMPUTE_PGM_RSRC3_GFX90A:ACCUM_OFFSET: 0
; COMPUTE_PGM_RSRC3_GFX90A:TG_SPLIT: 0
	.section	.text._ZN7rocprim17ROCPRIM_400000_NS6detail17trampoline_kernelINS0_14default_configENS1_27scan_by_key_config_selectorIixEEZZNS1_16scan_by_key_implILNS1_25lookback_scan_determinismE0ELb1ES3_N6thrust23THRUST_200600_302600_NS6detail15normal_iteratorINS9_10device_ptrIiEEEENSB_INSC_IxEEEESG_xNS9_4plusIvEENS9_8equal_toIvEExEE10hipError_tPvRmT2_T3_T4_T5_mT6_T7_P12ihipStream_tbENKUlT_T0_E_clISt17integral_constantIbLb0EES10_IbLb1EEEEDaSW_SX_EUlSW_E_NS1_11comp_targetILNS1_3genE5ELNS1_11target_archE942ELNS1_3gpuE9ELNS1_3repE0EEENS1_30default_config_static_selectorELNS0_4arch9wavefront6targetE1EEEvT1_,"axG",@progbits,_ZN7rocprim17ROCPRIM_400000_NS6detail17trampoline_kernelINS0_14default_configENS1_27scan_by_key_config_selectorIixEEZZNS1_16scan_by_key_implILNS1_25lookback_scan_determinismE0ELb1ES3_N6thrust23THRUST_200600_302600_NS6detail15normal_iteratorINS9_10device_ptrIiEEEENSB_INSC_IxEEEESG_xNS9_4plusIvEENS9_8equal_toIvEExEE10hipError_tPvRmT2_T3_T4_T5_mT6_T7_P12ihipStream_tbENKUlT_T0_E_clISt17integral_constantIbLb0EES10_IbLb1EEEEDaSW_SX_EUlSW_E_NS1_11comp_targetILNS1_3genE5ELNS1_11target_archE942ELNS1_3gpuE9ELNS1_3repE0EEENS1_30default_config_static_selectorELNS0_4arch9wavefront6targetE1EEEvT1_,comdat
	.protected	_ZN7rocprim17ROCPRIM_400000_NS6detail17trampoline_kernelINS0_14default_configENS1_27scan_by_key_config_selectorIixEEZZNS1_16scan_by_key_implILNS1_25lookback_scan_determinismE0ELb1ES3_N6thrust23THRUST_200600_302600_NS6detail15normal_iteratorINS9_10device_ptrIiEEEENSB_INSC_IxEEEESG_xNS9_4plusIvEENS9_8equal_toIvEExEE10hipError_tPvRmT2_T3_T4_T5_mT6_T7_P12ihipStream_tbENKUlT_T0_E_clISt17integral_constantIbLb0EES10_IbLb1EEEEDaSW_SX_EUlSW_E_NS1_11comp_targetILNS1_3genE5ELNS1_11target_archE942ELNS1_3gpuE9ELNS1_3repE0EEENS1_30default_config_static_selectorELNS0_4arch9wavefront6targetE1EEEvT1_ ; -- Begin function _ZN7rocprim17ROCPRIM_400000_NS6detail17trampoline_kernelINS0_14default_configENS1_27scan_by_key_config_selectorIixEEZZNS1_16scan_by_key_implILNS1_25lookback_scan_determinismE0ELb1ES3_N6thrust23THRUST_200600_302600_NS6detail15normal_iteratorINS9_10device_ptrIiEEEENSB_INSC_IxEEEESG_xNS9_4plusIvEENS9_8equal_toIvEExEE10hipError_tPvRmT2_T3_T4_T5_mT6_T7_P12ihipStream_tbENKUlT_T0_E_clISt17integral_constantIbLb0EES10_IbLb1EEEEDaSW_SX_EUlSW_E_NS1_11comp_targetILNS1_3genE5ELNS1_11target_archE942ELNS1_3gpuE9ELNS1_3repE0EEENS1_30default_config_static_selectorELNS0_4arch9wavefront6targetE1EEEvT1_
	.globl	_ZN7rocprim17ROCPRIM_400000_NS6detail17trampoline_kernelINS0_14default_configENS1_27scan_by_key_config_selectorIixEEZZNS1_16scan_by_key_implILNS1_25lookback_scan_determinismE0ELb1ES3_N6thrust23THRUST_200600_302600_NS6detail15normal_iteratorINS9_10device_ptrIiEEEENSB_INSC_IxEEEESG_xNS9_4plusIvEENS9_8equal_toIvEExEE10hipError_tPvRmT2_T3_T4_T5_mT6_T7_P12ihipStream_tbENKUlT_T0_E_clISt17integral_constantIbLb0EES10_IbLb1EEEEDaSW_SX_EUlSW_E_NS1_11comp_targetILNS1_3genE5ELNS1_11target_archE942ELNS1_3gpuE9ELNS1_3repE0EEENS1_30default_config_static_selectorELNS0_4arch9wavefront6targetE1EEEvT1_
	.p2align	8
	.type	_ZN7rocprim17ROCPRIM_400000_NS6detail17trampoline_kernelINS0_14default_configENS1_27scan_by_key_config_selectorIixEEZZNS1_16scan_by_key_implILNS1_25lookback_scan_determinismE0ELb1ES3_N6thrust23THRUST_200600_302600_NS6detail15normal_iteratorINS9_10device_ptrIiEEEENSB_INSC_IxEEEESG_xNS9_4plusIvEENS9_8equal_toIvEExEE10hipError_tPvRmT2_T3_T4_T5_mT6_T7_P12ihipStream_tbENKUlT_T0_E_clISt17integral_constantIbLb0EES10_IbLb1EEEEDaSW_SX_EUlSW_E_NS1_11comp_targetILNS1_3genE5ELNS1_11target_archE942ELNS1_3gpuE9ELNS1_3repE0EEENS1_30default_config_static_selectorELNS0_4arch9wavefront6targetE1EEEvT1_,@function
_ZN7rocprim17ROCPRIM_400000_NS6detail17trampoline_kernelINS0_14default_configENS1_27scan_by_key_config_selectorIixEEZZNS1_16scan_by_key_implILNS1_25lookback_scan_determinismE0ELb1ES3_N6thrust23THRUST_200600_302600_NS6detail15normal_iteratorINS9_10device_ptrIiEEEENSB_INSC_IxEEEESG_xNS9_4plusIvEENS9_8equal_toIvEExEE10hipError_tPvRmT2_T3_T4_T5_mT6_T7_P12ihipStream_tbENKUlT_T0_E_clISt17integral_constantIbLb0EES10_IbLb1EEEEDaSW_SX_EUlSW_E_NS1_11comp_targetILNS1_3genE5ELNS1_11target_archE942ELNS1_3gpuE9ELNS1_3repE0EEENS1_30default_config_static_selectorELNS0_4arch9wavefront6targetE1EEEvT1_: ; @_ZN7rocprim17ROCPRIM_400000_NS6detail17trampoline_kernelINS0_14default_configENS1_27scan_by_key_config_selectorIixEEZZNS1_16scan_by_key_implILNS1_25lookback_scan_determinismE0ELb1ES3_N6thrust23THRUST_200600_302600_NS6detail15normal_iteratorINS9_10device_ptrIiEEEENSB_INSC_IxEEEESG_xNS9_4plusIvEENS9_8equal_toIvEExEE10hipError_tPvRmT2_T3_T4_T5_mT6_T7_P12ihipStream_tbENKUlT_T0_E_clISt17integral_constantIbLb0EES10_IbLb1EEEEDaSW_SX_EUlSW_E_NS1_11comp_targetILNS1_3genE5ELNS1_11target_archE942ELNS1_3gpuE9ELNS1_3repE0EEENS1_30default_config_static_selectorELNS0_4arch9wavefront6targetE1EEEvT1_
; %bb.0:
	s_load_dwordx8 s[56:63], s[0:1], 0x0
	s_load_dwordx2 s[68:69], s[0:1], 0x20
	s_load_dwordx8 s[48:55], s[0:1], 0x30
	s_load_dwordx2 s[70:71], s[0:1], 0x50
	v_cmp_eq_u32_e64 s[46:47], 0, v0
	s_and_saveexec_b64 s[2:3], s[46:47]
	s_cbranch_execz .LBB1600_4
; %bb.1:
	s_mov_b64 s[6:7], exec
	v_mbcnt_lo_u32_b32 v1, s6, 0
	v_mbcnt_hi_u32_b32 v1, s7, v1
	v_cmp_eq_u32_e32 vcc, 0, v1
                                        ; implicit-def: $vgpr2
	s_and_saveexec_b64 s[4:5], vcc
	s_cbranch_execz .LBB1600_3
; %bb.2:
	s_load_dwordx2 s[8:9], s[0:1], 0x80
	s_bcnt1_i32_b64 s6, s[6:7]
	v_mov_b32_e32 v2, 0
	v_mov_b32_e32 v3, s6
	s_waitcnt lgkmcnt(0)
	global_atomic_add v2, v2, v3, s[8:9] sc0
.LBB1600_3:
	s_or_b64 exec, exec, s[4:5]
	s_waitcnt vmcnt(0)
	v_readfirstlane_b32 s4, v2
	v_mov_b32_e32 v2, 0
	s_nop 0
	v_add_u32_e32 v1, s4, v1
	ds_write_b32 v2, v1
.LBB1600_4:
	s_or_b64 exec, exec, s[2:3]
	s_load_dword s2, s[0:1], 0x58
	s_load_dwordx4 s[64:67], s[0:1], 0x60
	v_mov_b32_e32 v3, 0
	s_waitcnt lgkmcnt(0)
	s_lshl_b64 s[0:1], s[58:59], 2
	s_barrier
	ds_read_b32 v2, v3
	s_add_u32 s0, s56, s0
	s_addc_u32 s1, s57, s1
	s_lshl_b64 s[56:57], s[58:59], 3
	s_add_u32 s4, s60, s56
	s_mul_i32 s3, s71, s2
	s_mul_hi_u32 s6, s70, s2
	s_addc_u32 s5, s61, s57
	s_add_i32 s3, s6, s3
	s_movk_i32 s6, 0x1500
	s_waitcnt lgkmcnt(0)
	v_mul_lo_u32 v4, v2, s6
	v_mov_b32_e32 v5, v3
	v_lshlrev_b64 v[6:7], 2, v[4:5]
	v_lshlrev_b64 v[42:43], 3, v[4:5]
	s_mul_i32 s2, s70, s2
	v_lshl_add_u64 v[8:9], s[0:1], 0, v[6:7]
	v_lshl_add_u64 v[6:7], s[4:5], 0, v[42:43]
	s_add_u32 s4, s64, -1
	v_readfirstlane_b32 s55, v2
	v_lshl_add_u64 v[2:3], s[2:3], 0, v[2:3]
	s_addc_u32 s5, s65, -1
	v_cmp_le_u64_e64 s[2:3], s[4:5], v[2:3]
	s_mov_b64 s[0:1], -1
	s_and_b64 vcc, exec, s[2:3]
	s_mul_i32 s33, s4, 0xffffeb00
	s_barrier
	s_barrier
	s_cbranch_vccz .LBB1600_69
; %bb.5:
	flat_load_dword v2, v[8:9]
	s_add_i32 s64, s33, s54
	v_cmp_gt_u32_e32 vcc, s64, v0
	s_waitcnt vmcnt(0) lgkmcnt(0)
	v_mov_b32_e32 v4, v2
	s_and_saveexec_b64 s[0:1], vcc
	s_cbranch_execz .LBB1600_7
; %bb.6:
	v_lshlrev_b32_e32 v4, 2, v0
	v_mov_b32_e32 v5, 0
	v_lshl_add_u64 v[4:5], v[8:9], 0, v[4:5]
	flat_load_dword v4, v[4:5]
.LBB1600_7:
	s_or_b64 exec, exec, s[0:1]
	v_or_b32_e32 v1, 0x100, v0
	v_cmp_gt_u32_e64 s[4:5], s64, v1
	v_mov_b32_e32 v5, v2
	s_and_saveexec_b64 s[0:1], s[4:5]
	s_cbranch_execz .LBB1600_9
; %bb.8:
	v_lshlrev_b32_e32 v10, 2, v0
	v_mov_b32_e32 v11, 0
	v_lshl_add_u64 v[10:11], v[8:9], 0, v[10:11]
	flat_load_dword v5, v[10:11] offset:1024
.LBB1600_9:
	s_or_b64 exec, exec, s[0:1]
	v_or_b32_e32 v1, 0x200, v0
	v_cmp_gt_u32_e64 s[6:7], s64, v1
	v_mov_b32_e32 v10, v2
	s_and_saveexec_b64 s[0:1], s[6:7]
	s_cbranch_execz .LBB1600_11
; %bb.10:
	v_lshlrev_b32_e32 v10, 2, v0
	v_mov_b32_e32 v11, 0
	v_lshl_add_u64 v[10:11], v[8:9], 0, v[10:11]
	flat_load_dword v10, v[10:11] offset:2048
.LBB1600_11:
	;; [unrolled: 12-line block ×3, first 2 shown]
	s_or_b64 exec, exec, s[0:1]
	v_or_b32_e32 v36, 0x400, v0
	v_cmp_gt_u32_e64 s[10:11], s64, v36
	v_mov_b32_e32 v12, v2
	s_and_saveexec_b64 s[0:1], s[10:11]
	s_cbranch_execz .LBB1600_15
; %bb.14:
	v_lshlrev_b32_e32 v12, 2, v36
	v_mov_b32_e32 v13, 0
	v_lshl_add_u64 v[12:13], v[8:9], 0, v[12:13]
	flat_load_dword v12, v[12:13]
.LBB1600_15:
	s_or_b64 exec, exec, s[0:1]
	v_or_b32_e32 v38, 0x500, v0
	v_cmp_gt_u32_e64 s[12:13], s64, v38
	v_mov_b32_e32 v13, v2
	s_and_saveexec_b64 s[0:1], s[12:13]
	s_cbranch_execz .LBB1600_17
; %bb.16:
	v_lshlrev_b32_e32 v14, 2, v38
	v_mov_b32_e32 v15, 0
	v_lshl_add_u64 v[14:15], v[8:9], 0, v[14:15]
	flat_load_dword v13, v[14:15]
.LBB1600_17:
	s_or_b64 exec, exec, s[0:1]
	v_or_b32_e32 v40, 0x600, v0
	v_cmp_gt_u32_e64 s[14:15], s64, v40
	v_mov_b32_e32 v14, v2
	s_and_saveexec_b64 s[0:1], s[14:15]
	s_cbranch_execz .LBB1600_19
; %bb.18:
	v_lshlrev_b32_e32 v14, 2, v40
	v_mov_b32_e32 v15, 0
	v_lshl_add_u64 v[14:15], v[8:9], 0, v[14:15]
	flat_load_dword v14, v[14:15]
.LBB1600_19:
	s_or_b64 exec, exec, s[0:1]
	v_or_b32_e32 v44, 0x700, v0
	v_cmp_gt_u32_e64 s[16:17], s64, v44
	v_mov_b32_e32 v15, v2
	s_and_saveexec_b64 s[0:1], s[16:17]
	s_cbranch_execz .LBB1600_21
; %bb.20:
	v_lshlrev_b32_e32 v16, 2, v44
	v_mov_b32_e32 v17, 0
	v_lshl_add_u64 v[16:17], v[8:9], 0, v[16:17]
	flat_load_dword v15, v[16:17]
.LBB1600_21:
	s_or_b64 exec, exec, s[0:1]
	v_or_b32_e32 v46, 0x800, v0
	v_cmp_gt_u32_e64 s[18:19], s64, v46
	v_mov_b32_e32 v16, v2
	s_and_saveexec_b64 s[0:1], s[18:19]
	s_cbranch_execz .LBB1600_23
; %bb.22:
	v_lshlrev_b32_e32 v16, 2, v46
	v_mov_b32_e32 v17, 0
	v_lshl_add_u64 v[16:17], v[8:9], 0, v[16:17]
	flat_load_dword v16, v[16:17]
.LBB1600_23:
	s_or_b64 exec, exec, s[0:1]
	v_or_b32_e32 v48, 0x900, v0
	v_cmp_gt_u32_e64 s[20:21], s64, v48
	v_mov_b32_e32 v17, v2
	s_and_saveexec_b64 s[0:1], s[20:21]
	s_cbranch_execz .LBB1600_25
; %bb.24:
	v_lshlrev_b32_e32 v18, 2, v48
	v_mov_b32_e32 v19, 0
	v_lshl_add_u64 v[18:19], v[8:9], 0, v[18:19]
	flat_load_dword v17, v[18:19]
.LBB1600_25:
	s_or_b64 exec, exec, s[0:1]
	v_or_b32_e32 v50, 0xa00, v0
	v_cmp_gt_u32_e64 s[22:23], s64, v50
	v_mov_b32_e32 v18, v2
	s_and_saveexec_b64 s[0:1], s[22:23]
	s_cbranch_execz .LBB1600_27
; %bb.26:
	v_lshlrev_b32_e32 v18, 2, v50
	v_mov_b32_e32 v19, 0
	v_lshl_add_u64 v[18:19], v[8:9], 0, v[18:19]
	flat_load_dword v18, v[18:19]
.LBB1600_27:
	s_or_b64 exec, exec, s[0:1]
	v_or_b32_e32 v52, 0xb00, v0
	v_cmp_gt_u32_e64 s[24:25], s64, v52
	v_mov_b32_e32 v19, v2
	s_and_saveexec_b64 s[0:1], s[24:25]
	s_cbranch_execz .LBB1600_29
; %bb.28:
	v_lshlrev_b32_e32 v20, 2, v52
	v_mov_b32_e32 v21, 0
	v_lshl_add_u64 v[20:21], v[8:9], 0, v[20:21]
	flat_load_dword v19, v[20:21]
.LBB1600_29:
	s_or_b64 exec, exec, s[0:1]
	v_or_b32_e32 v54, 0xc00, v0
	v_cmp_gt_u32_e64 s[26:27], s64, v54
	v_mov_b32_e32 v20, v2
	s_and_saveexec_b64 s[0:1], s[26:27]
	s_cbranch_execz .LBB1600_31
; %bb.30:
	v_lshlrev_b32_e32 v20, 2, v54
	v_mov_b32_e32 v21, 0
	v_lshl_add_u64 v[20:21], v[8:9], 0, v[20:21]
	flat_load_dword v20, v[20:21]
.LBB1600_31:
	s_or_b64 exec, exec, s[0:1]
	v_or_b32_e32 v56, 0xd00, v0
	v_cmp_gt_u32_e64 s[28:29], s64, v56
	v_mov_b32_e32 v21, v2
	s_and_saveexec_b64 s[0:1], s[28:29]
	s_cbranch_execz .LBB1600_33
; %bb.32:
	v_lshlrev_b32_e32 v22, 2, v56
	v_mov_b32_e32 v23, 0
	v_lshl_add_u64 v[22:23], v[8:9], 0, v[22:23]
	flat_load_dword v21, v[22:23]
.LBB1600_33:
	s_or_b64 exec, exec, s[0:1]
	v_or_b32_e32 v58, 0xe00, v0
	v_cmp_gt_u32_e64 s[30:31], s64, v58
	v_mov_b32_e32 v22, v2
	s_and_saveexec_b64 s[0:1], s[30:31]
	s_cbranch_execz .LBB1600_35
; %bb.34:
	v_lshlrev_b32_e32 v22, 2, v58
	v_mov_b32_e32 v23, 0
	v_lshl_add_u64 v[22:23], v[8:9], 0, v[22:23]
	flat_load_dword v22, v[22:23]
.LBB1600_35:
	s_or_b64 exec, exec, s[0:1]
	v_or_b32_e32 v60, 0xf00, v0
	v_cmp_gt_u32_e64 s[34:35], s64, v60
	v_mov_b32_e32 v23, v2
	s_and_saveexec_b64 s[0:1], s[34:35]
	s_cbranch_execz .LBB1600_37
; %bb.36:
	v_lshlrev_b32_e32 v24, 2, v60
	v_mov_b32_e32 v25, 0
	v_lshl_add_u64 v[24:25], v[8:9], 0, v[24:25]
	flat_load_dword v23, v[24:25]
.LBB1600_37:
	s_or_b64 exec, exec, s[0:1]
	v_or_b32_e32 v62, 0x1000, v0
	v_cmp_gt_u32_e64 s[36:37], s64, v62
	v_mov_b32_e32 v24, v2
	s_and_saveexec_b64 s[0:1], s[36:37]
	s_cbranch_execz .LBB1600_39
; %bb.38:
	v_lshlrev_b32_e32 v24, 2, v62
	v_mov_b32_e32 v25, 0
	v_lshl_add_u64 v[24:25], v[8:9], 0, v[24:25]
	flat_load_dword v24, v[24:25]
.LBB1600_39:
	s_or_b64 exec, exec, s[0:1]
	v_or_b32_e32 v64, 0x1100, v0
	v_cmp_gt_u32_e64 s[38:39], s64, v64
	v_mov_b32_e32 v25, v2
	s_and_saveexec_b64 s[0:1], s[38:39]
	s_cbranch_execz .LBB1600_41
; %bb.40:
	v_lshlrev_b32_e32 v26, 2, v64
	v_mov_b32_e32 v27, 0
	v_lshl_add_u64 v[26:27], v[8:9], 0, v[26:27]
	flat_load_dword v25, v[26:27]
.LBB1600_41:
	s_or_b64 exec, exec, s[0:1]
	v_or_b32_e32 v66, 0x1200, v0
	v_cmp_gt_u32_e64 s[40:41], s64, v66
	v_mov_b32_e32 v26, v2
	s_and_saveexec_b64 s[0:1], s[40:41]
	s_cbranch_execz .LBB1600_43
; %bb.42:
	v_lshlrev_b32_e32 v26, 2, v66
	v_mov_b32_e32 v27, 0
	v_lshl_add_u64 v[26:27], v[8:9], 0, v[26:27]
	flat_load_dword v26, v[26:27]
.LBB1600_43:
	s_or_b64 exec, exec, s[0:1]
	v_or_b32_e32 v68, 0x1300, v0
	v_cmp_gt_u32_e64 s[42:43], s64, v68
	v_mov_b32_e32 v27, v2
	s_and_saveexec_b64 s[0:1], s[42:43]
	s_cbranch_execz .LBB1600_45
; %bb.44:
	v_lshlrev_b32_e32 v28, 2, v68
	v_mov_b32_e32 v29, 0
	v_lshl_add_u64 v[28:29], v[8:9], 0, v[28:29]
	flat_load_dword v27, v[28:29]
.LBB1600_45:
	s_or_b64 exec, exec, s[0:1]
	v_or_b32_e32 v70, 0x1400, v0
	v_cmp_gt_u32_e64 s[44:45], s64, v70
	v_mov_b32_e32 v3, 0
	s_and_saveexec_b64 s[0:1], s[44:45]
	s_cbranch_execz .LBB1600_47
; %bb.46:
	v_lshlrev_b32_e32 v2, 2, v70
	v_lshl_add_u64 v[2:3], v[8:9], 0, v[2:3]
	flat_load_dword v2, v[2:3]
.LBB1600_47:
	s_or_b64 exec, exec, s[0:1]
	v_lshlrev_b32_e32 v3, 2, v0
	s_waitcnt vmcnt(0) lgkmcnt(0)
	ds_write2st64_b32 v3, v4, v5 offset1:4
	ds_write2st64_b32 v3, v10, v11 offset0:8 offset1:12
	ds_write2st64_b32 v3, v12, v13 offset0:16 offset1:20
	;; [unrolled: 1-line block ×9, first 2 shown]
	ds_write_b32 v3, v2 offset:20480
	s_waitcnt lgkmcnt(0)
	s_barrier
	flat_load_dword v82, v[8:9]
	s_movk_i32 s0, 0x50
	v_mad_u32_u24 v2, v0, s0, v3
	s_movk_i32 s0, 0xffb0
	v_mad_i32_i24 v71, v0, s0, v2
	s_movk_i32 s0, 0xff
	v_cmp_ne_u32_e64 s[0:1], s0, v0
	ds_read_b32 v84, v2
	ds_read2_b32 v[28:29], v2 offset0:1 offset1:2
	ds_read2_b32 v[26:27], v2 offset0:3 offset1:4
	;; [unrolled: 1-line block ×10, first 2 shown]
	s_waitcnt lgkmcnt(0)
	ds_write_b32 v71, v84 offset:22528
	s_waitcnt lgkmcnt(0)
	s_barrier
	s_and_saveexec_b64 s[58:59], s[0:1]
	s_cbranch_execz .LBB1600_49
; %bb.48:
	s_waitcnt vmcnt(0)
	ds_read_b32 v82, v3 offset:22532
.LBB1600_49:
	s_or_b64 exec, exec, s[58:59]
	v_mov_b32_e32 v5, 0
	s_waitcnt lgkmcnt(0)
	s_barrier
	s_waitcnt lgkmcnt(0)
                                        ; implicit-def: $vgpr2_vgpr3
	s_and_saveexec_b64 s[0:1], vcc
	s_cbranch_execz .LBB1600_70
; %bb.50:
	v_lshlrev_b32_e32 v4, 3, v0
	v_lshl_add_u64 v[2:3], v[6:7], 0, v[4:5]
	flat_load_dwordx2 v[2:3], v[2:3]
	s_or_b64 exec, exec, s[0:1]
                                        ; implicit-def: $vgpr4_vgpr5
	s_and_saveexec_b64 s[0:1], s[4:5]
	s_cbranch_execnz .LBB1600_71
.LBB1600_51:
	s_or_b64 exec, exec, s[0:1]
                                        ; implicit-def: $vgpr30_vgpr31
	s_and_saveexec_b64 s[0:1], s[6:7]
	s_cbranch_execz .LBB1600_72
.LBB1600_52:
	v_lshlrev_b32_e32 v30, 3, v1
	v_mov_b32_e32 v31, 0
	v_lshl_add_u64 v[30:31], v[6:7], 0, v[30:31]
	flat_load_dwordx2 v[30:31], v[30:31]
	s_or_b64 exec, exec, s[0:1]
                                        ; implicit-def: $vgpr32_vgpr33
	s_and_saveexec_b64 s[0:1], s[8:9]
	s_cbranch_execnz .LBB1600_73
.LBB1600_53:
	s_or_b64 exec, exec, s[0:1]
                                        ; implicit-def: $vgpr34_vgpr35
	s_and_saveexec_b64 s[0:1], s[10:11]
	s_cbranch_execz .LBB1600_74
.LBB1600_54:
	v_lshlrev_b32_e32 v34, 3, v36
	v_mov_b32_e32 v35, 0
	v_lshl_add_u64 v[34:35], v[6:7], 0, v[34:35]
	flat_load_dwordx2 v[34:35], v[34:35]
	s_or_b64 exec, exec, s[0:1]
                                        ; implicit-def: $vgpr36_vgpr37
	s_and_saveexec_b64 s[0:1], s[12:13]
	s_cbranch_execnz .LBB1600_75
.LBB1600_55:
	s_or_b64 exec, exec, s[0:1]
                                        ; implicit-def: $vgpr38_vgpr39
	s_and_saveexec_b64 s[0:1], s[14:15]
	s_cbranch_execz .LBB1600_76
.LBB1600_56:
	v_lshlrev_b32_e32 v38, 3, v40
	v_mov_b32_e32 v39, 0
	v_lshl_add_u64 v[38:39], v[6:7], 0, v[38:39]
	flat_load_dwordx2 v[38:39], v[38:39]
	s_or_b64 exec, exec, s[0:1]
                                        ; implicit-def: $vgpr40_vgpr41
	s_and_saveexec_b64 s[0:1], s[16:17]
	s_cbranch_execnz .LBB1600_77
.LBB1600_57:
	s_or_b64 exec, exec, s[0:1]
                                        ; implicit-def: $vgpr44_vgpr45
	s_and_saveexec_b64 s[0:1], s[18:19]
	s_cbranch_execz .LBB1600_78
.LBB1600_58:
	v_lshlrev_b32_e32 v44, 3, v46
	v_mov_b32_e32 v45, 0
	v_lshl_add_u64 v[44:45], v[6:7], 0, v[44:45]
	flat_load_dwordx2 v[44:45], v[44:45]
	s_or_b64 exec, exec, s[0:1]
                                        ; implicit-def: $vgpr46_vgpr47
	s_and_saveexec_b64 s[0:1], s[20:21]
	s_cbranch_execnz .LBB1600_79
.LBB1600_59:
	s_or_b64 exec, exec, s[0:1]
                                        ; implicit-def: $vgpr48_vgpr49
	s_and_saveexec_b64 s[0:1], s[22:23]
	s_cbranch_execz .LBB1600_80
.LBB1600_60:
	v_lshlrev_b32_e32 v48, 3, v50
	v_mov_b32_e32 v49, 0
	v_lshl_add_u64 v[48:49], v[6:7], 0, v[48:49]
	flat_load_dwordx2 v[48:49], v[48:49]
	s_or_b64 exec, exec, s[0:1]
                                        ; implicit-def: $vgpr50_vgpr51
	s_and_saveexec_b64 s[0:1], s[24:25]
	s_cbranch_execnz .LBB1600_81
.LBB1600_61:
	s_or_b64 exec, exec, s[0:1]
                                        ; implicit-def: $vgpr52_vgpr53
	s_and_saveexec_b64 s[0:1], s[26:27]
	s_cbranch_execz .LBB1600_82
.LBB1600_62:
	v_lshlrev_b32_e32 v52, 3, v54
	v_mov_b32_e32 v53, 0
	v_lshl_add_u64 v[52:53], v[6:7], 0, v[52:53]
	flat_load_dwordx2 v[52:53], v[52:53]
	s_or_b64 exec, exec, s[0:1]
                                        ; implicit-def: $vgpr54_vgpr55
	s_and_saveexec_b64 s[0:1], s[28:29]
	s_cbranch_execnz .LBB1600_83
.LBB1600_63:
	s_or_b64 exec, exec, s[0:1]
                                        ; implicit-def: $vgpr56_vgpr57
	s_and_saveexec_b64 s[0:1], s[30:31]
	s_cbranch_execz .LBB1600_84
.LBB1600_64:
	v_lshlrev_b32_e32 v56, 3, v58
	v_mov_b32_e32 v57, 0
	v_lshl_add_u64 v[56:57], v[6:7], 0, v[56:57]
	flat_load_dwordx2 v[56:57], v[56:57]
	s_or_b64 exec, exec, s[0:1]
                                        ; implicit-def: $vgpr58_vgpr59
	s_and_saveexec_b64 s[0:1], s[34:35]
	s_cbranch_execnz .LBB1600_85
.LBB1600_65:
	s_or_b64 exec, exec, s[0:1]
                                        ; implicit-def: $vgpr60_vgpr61
	s_and_saveexec_b64 s[0:1], s[36:37]
	s_cbranch_execz .LBB1600_86
.LBB1600_66:
	v_lshlrev_b32_e32 v60, 3, v62
	v_mov_b32_e32 v61, 0
	v_lshl_add_u64 v[60:61], v[6:7], 0, v[60:61]
	flat_load_dwordx2 v[60:61], v[60:61]
	s_or_b64 exec, exec, s[0:1]
                                        ; implicit-def: $vgpr62_vgpr63
	s_and_saveexec_b64 s[0:1], s[38:39]
	s_cbranch_execnz .LBB1600_87
.LBB1600_67:
	s_or_b64 exec, exec, s[0:1]
                                        ; implicit-def: $vgpr64_vgpr65
	s_and_saveexec_b64 s[0:1], s[40:41]
	s_cbranch_execz .LBB1600_88
.LBB1600_68:
	v_lshlrev_b32_e32 v64, 3, v66
	v_mov_b32_e32 v65, 0
	v_lshl_add_u64 v[64:65], v[6:7], 0, v[64:65]
	flat_load_dwordx2 v[64:65], v[64:65]
	s_or_b64 exec, exec, s[0:1]
                                        ; implicit-def: $vgpr66_vgpr67
	s_and_saveexec_b64 s[0:1], s[42:43]
	s_cbranch_execz .LBB1600_90
	s_branch .LBB1600_89
.LBB1600_69:
	s_mov_b64 s[8:9], 0
                                        ; implicit-def: $sgpr6_sgpr7
                                        ; implicit-def: $vgpr2_vgpr3
                                        ; implicit-def: $vgpr44_vgpr45
                                        ; implicit-def: $vgpr108
                                        ; implicit-def: $vgpr40_vgpr41
                                        ; implicit-def: $vgpr124
                                        ; implicit-def: $vgpr80_vgpr81
                                        ; implicit-def: $vgpr123
                                        ; implicit-def: $vgpr78_vgpr79
                                        ; implicit-def: $vgpr122
                                        ; implicit-def: $vgpr76_vgpr77
                                        ; implicit-def: $vgpr121
                                        ; implicit-def: $vgpr74_vgpr75
                                        ; implicit-def: $vgpr120
                                        ; implicit-def: $vgpr72_vgpr73
                                        ; implicit-def: $vgpr119
                                        ; implicit-def: $vgpr70_vgpr71
                                        ; implicit-def: $vgpr118
                                        ; implicit-def: $vgpr68_vgpr69
                                        ; implicit-def: $vgpr117
                                        ; implicit-def: $vgpr66_vgpr67
                                        ; implicit-def: $vgpr116
                                        ; implicit-def: $vgpr64_vgpr65
                                        ; implicit-def: $vgpr115
                                        ; implicit-def: $vgpr62_vgpr63
                                        ; implicit-def: $vgpr114
                                        ; implicit-def: $vgpr60_vgpr61
                                        ; implicit-def: $vgpr113
                                        ; implicit-def: $vgpr58_vgpr59
                                        ; implicit-def: $vgpr112
                                        ; implicit-def: $vgpr56_vgpr57
                                        ; implicit-def: $vgpr111
                                        ; implicit-def: $vgpr54_vgpr55
                                        ; implicit-def: $vgpr110
                                        ; implicit-def: $vgpr52_vgpr53
                                        ; implicit-def: $vgpr109
                                        ; implicit-def: $vgpr50_vgpr51
                                        ; implicit-def: $vgpr107
                                        ; implicit-def: $vgpr48_vgpr49
                                        ; implicit-def: $vgpr106
                                        ; implicit-def: $vgpr46_vgpr47
                                        ; implicit-def: $vgpr1
                                        ; implicit-def: $sgpr72
                                        ; implicit-def: $sgpr4_sgpr5
	s_and_b64 vcc, exec, s[0:1]
	s_cbranch_vccz .LBB1600_140
	s_branch .LBB1600_135
.LBB1600_70:
	s_or_b64 exec, exec, s[0:1]
                                        ; implicit-def: $vgpr4_vgpr5
	s_and_saveexec_b64 s[0:1], s[4:5]
	s_cbranch_execz .LBB1600_51
.LBB1600_71:
	v_lshlrev_b32_e32 v4, 3, v0
	v_mov_b32_e32 v5, 0
	v_lshl_add_u64 v[4:5], v[6:7], 0, v[4:5]
	flat_load_dwordx2 v[4:5], v[4:5] offset:2048
	s_or_b64 exec, exec, s[0:1]
                                        ; implicit-def: $vgpr30_vgpr31
	s_and_saveexec_b64 s[0:1], s[6:7]
	s_cbranch_execnz .LBB1600_52
.LBB1600_72:
	s_or_b64 exec, exec, s[0:1]
                                        ; implicit-def: $vgpr32_vgpr33
	s_and_saveexec_b64 s[0:1], s[8:9]
	s_cbranch_execz .LBB1600_53
.LBB1600_73:
	v_lshlrev_b32_e32 v32, 3, v34
	v_mov_b32_e32 v33, 0
	v_lshl_add_u64 v[32:33], v[6:7], 0, v[32:33]
	flat_load_dwordx2 v[32:33], v[32:33]
	s_or_b64 exec, exec, s[0:1]
                                        ; implicit-def: $vgpr34_vgpr35
	s_and_saveexec_b64 s[0:1], s[10:11]
	s_cbranch_execnz .LBB1600_54
.LBB1600_74:
	s_or_b64 exec, exec, s[0:1]
                                        ; implicit-def: $vgpr36_vgpr37
	s_and_saveexec_b64 s[0:1], s[12:13]
	s_cbranch_execz .LBB1600_55
.LBB1600_75:
	v_lshlrev_b32_e32 v36, 3, v38
	v_mov_b32_e32 v37, 0
	v_lshl_add_u64 v[36:37], v[6:7], 0, v[36:37]
	flat_load_dwordx2 v[36:37], v[36:37]
	s_or_b64 exec, exec, s[0:1]
                                        ; implicit-def: $vgpr38_vgpr39
	s_and_saveexec_b64 s[0:1], s[14:15]
	s_cbranch_execnz .LBB1600_56
.LBB1600_76:
	s_or_b64 exec, exec, s[0:1]
                                        ; implicit-def: $vgpr40_vgpr41
	s_and_saveexec_b64 s[0:1], s[16:17]
	s_cbranch_execz .LBB1600_57
.LBB1600_77:
	v_lshlrev_b32_e32 v40, 3, v44
	v_mov_b32_e32 v41, 0
	v_lshl_add_u64 v[40:41], v[6:7], 0, v[40:41]
	flat_load_dwordx2 v[40:41], v[40:41]
	s_or_b64 exec, exec, s[0:1]
                                        ; implicit-def: $vgpr44_vgpr45
	s_and_saveexec_b64 s[0:1], s[18:19]
	s_cbranch_execnz .LBB1600_58
.LBB1600_78:
	s_or_b64 exec, exec, s[0:1]
                                        ; implicit-def: $vgpr46_vgpr47
	s_and_saveexec_b64 s[0:1], s[20:21]
	s_cbranch_execz .LBB1600_59
.LBB1600_79:
	v_lshlrev_b32_e32 v46, 3, v48
	v_mov_b32_e32 v47, 0
	v_lshl_add_u64 v[46:47], v[6:7], 0, v[46:47]
	flat_load_dwordx2 v[46:47], v[46:47]
	s_or_b64 exec, exec, s[0:1]
                                        ; implicit-def: $vgpr48_vgpr49
	s_and_saveexec_b64 s[0:1], s[22:23]
	s_cbranch_execnz .LBB1600_60
.LBB1600_80:
	s_or_b64 exec, exec, s[0:1]
                                        ; implicit-def: $vgpr50_vgpr51
	s_and_saveexec_b64 s[0:1], s[24:25]
	s_cbranch_execz .LBB1600_61
.LBB1600_81:
	v_lshlrev_b32_e32 v50, 3, v52
	v_mov_b32_e32 v51, 0
	v_lshl_add_u64 v[50:51], v[6:7], 0, v[50:51]
	flat_load_dwordx2 v[50:51], v[50:51]
	s_or_b64 exec, exec, s[0:1]
                                        ; implicit-def: $vgpr52_vgpr53
	s_and_saveexec_b64 s[0:1], s[26:27]
	s_cbranch_execnz .LBB1600_62
.LBB1600_82:
	s_or_b64 exec, exec, s[0:1]
                                        ; implicit-def: $vgpr54_vgpr55
	s_and_saveexec_b64 s[0:1], s[28:29]
	s_cbranch_execz .LBB1600_63
.LBB1600_83:
	v_lshlrev_b32_e32 v54, 3, v56
	v_mov_b32_e32 v55, 0
	v_lshl_add_u64 v[54:55], v[6:7], 0, v[54:55]
	flat_load_dwordx2 v[54:55], v[54:55]
	s_or_b64 exec, exec, s[0:1]
                                        ; implicit-def: $vgpr56_vgpr57
	s_and_saveexec_b64 s[0:1], s[30:31]
	s_cbranch_execnz .LBB1600_64
.LBB1600_84:
	s_or_b64 exec, exec, s[0:1]
                                        ; implicit-def: $vgpr58_vgpr59
	s_and_saveexec_b64 s[0:1], s[34:35]
	s_cbranch_execz .LBB1600_65
.LBB1600_85:
	v_lshlrev_b32_e32 v58, 3, v60
	v_mov_b32_e32 v59, 0
	v_lshl_add_u64 v[58:59], v[6:7], 0, v[58:59]
	flat_load_dwordx2 v[58:59], v[58:59]
	s_or_b64 exec, exec, s[0:1]
                                        ; implicit-def: $vgpr60_vgpr61
	s_and_saveexec_b64 s[0:1], s[36:37]
	s_cbranch_execnz .LBB1600_66
.LBB1600_86:
	s_or_b64 exec, exec, s[0:1]
                                        ; implicit-def: $vgpr62_vgpr63
	s_and_saveexec_b64 s[0:1], s[38:39]
	s_cbranch_execz .LBB1600_67
.LBB1600_87:
	v_lshlrev_b32_e32 v62, 3, v64
	v_mov_b32_e32 v63, 0
	v_lshl_add_u64 v[62:63], v[6:7], 0, v[62:63]
	flat_load_dwordx2 v[62:63], v[62:63]
	s_or_b64 exec, exec, s[0:1]
                                        ; implicit-def: $vgpr64_vgpr65
	s_and_saveexec_b64 s[0:1], s[40:41]
	s_cbranch_execnz .LBB1600_68
.LBB1600_88:
	s_or_b64 exec, exec, s[0:1]
                                        ; implicit-def: $vgpr66_vgpr67
	s_and_saveexec_b64 s[0:1], s[42:43]
	s_cbranch_execz .LBB1600_90
.LBB1600_89:
	v_lshlrev_b32_e32 v66, 3, v68
	v_mov_b32_e32 v67, 0
	v_lshl_add_u64 v[66:67], v[6:7], 0, v[66:67]
	flat_load_dwordx2 v[66:67], v[66:67]
.LBB1600_90:
	s_or_b64 exec, exec, s[0:1]
	v_mul_u32_u24_e32 v83, 21, v0
                                        ; implicit-def: $vgpr68_vgpr69
	s_and_saveexec_b64 s[0:1], s[44:45]
	s_cbranch_execz .LBB1600_92
; %bb.91:
	v_lshlrev_b32_e32 v68, 3, v70
	v_mov_b32_e32 v69, 0
	v_lshl_add_u64 v[68:69], v[6:7], 0, v[68:69]
	flat_load_dwordx2 v[68:69], v[68:69]
.LBB1600_92:
	s_or_b64 exec, exec, s[0:1]
	v_lshl_add_u32 v85, v0, 2, v71
	s_waitcnt vmcnt(0) lgkmcnt(0)
	ds_write2st64_b64 v85, v[2:3], v[4:5] offset1:4
	ds_write2st64_b64 v85, v[30:31], v[32:33] offset0:8 offset1:12
	ds_write2st64_b64 v85, v[34:35], v[36:37] offset0:16 offset1:20
	;; [unrolled: 1-line block ×9, first 2 shown]
	ds_write_b64 v85, v[68:69] offset:40960
	v_mov_b64_e32 v[44:45], 0
	v_cmp_gt_u32_e32 vcc, s64, v83
	s_mov_b64 s[8:9], 0
	s_mov_b32 s72, 0
	s_mov_b64 s[0:1], 0
	v_mov_b32_e32 v108, 0
	v_mov_b64_e32 v[40:41], v[44:45]
	v_mov_b32_e32 v124, 0
	v_mov_b64_e32 v[80:81], v[44:45]
	;; [unrolled: 2-line block ×19, first 2 shown]
	v_mov_b32_e32 v1, 0
	s_waitcnt lgkmcnt(0)
	s_barrier
	s_waitcnt lgkmcnt(0)
                                        ; implicit-def: $sgpr6_sgpr7
                                        ; implicit-def: $vgpr2_vgpr3
	s_and_saveexec_b64 s[4:5], vcc
	s_cbranch_execz .LBB1600_134
; %bb.93:
	s_movk_i32 s6, 0xa0
	v_mad_u32_u24 v1, v0, s6, v85
	ds_read_b64 v[2:3], v1
	v_cmp_ne_u32_e32 vcc, v84, v28
	v_mov_b32_e32 v5, s69
	v_add_u32_e32 v4, 1, v83
	v_mov_b64_e32 v[40:41], 0
	s_waitcnt lgkmcnt(0)
	v_cndmask_b32_e32 v45, v3, v5, vcc
	v_mov_b32_e32 v3, s68
	v_cndmask_b32_e64 v1, 0, 1, vcc
	v_cndmask_b32_e32 v44, v2, v3, vcc
	v_cmp_gt_u32_e32 vcc, s64, v4
	s_mov_b64 s[10:11], 0
	v_mov_b32_e32 v108, 0
	v_mov_b32_e32 v124, 0
	v_mov_b64_e32 v[80:81], v[40:41]
	v_mov_b32_e32 v123, 0
	v_mov_b64_e32 v[78:79], v[40:41]
	;; [unrolled: 2-line block ×18, first 2 shown]
                                        ; implicit-def: $sgpr12_sgpr13
                                        ; implicit-def: $vgpr2_vgpr3
	s_and_saveexec_b64 s[6:7], vcc
	s_cbranch_execz .LBB1600_133
; %bb.94:
	v_mul_u32_u24_e32 v2, 0xa0, v0
	v_add_u32_e32 v30, v85, v2
	ds_read2_b64 v[2:5], v30 offset0:1 offset1:2
	v_cmp_ne_u32_e32 vcc, v28, v29
	v_mov_b32_e32 v28, s69
	v_add_u32_e32 v31, 2, v83
	v_mov_b64_e32 v[40:41], 0
	s_waitcnt lgkmcnt(0)
	v_cndmask_b32_e32 v47, v3, v28, vcc
	v_mov_b32_e32 v3, s68
	v_cndmask_b32_e64 v106, 0, 1, vcc
	v_cndmask_b32_e32 v46, v2, v3, vcc
	v_cmp_gt_u32_e32 vcc, s64, v31
	s_mov_b64 s[12:13], 0
	v_mov_b32_e32 v108, 0
	v_mov_b32_e32 v124, 0
	v_mov_b64_e32 v[80:81], v[40:41]
	v_mov_b32_e32 v123, 0
	v_mov_b64_e32 v[78:79], v[40:41]
	;; [unrolled: 2-line block ×17, first 2 shown]
                                        ; implicit-def: $sgpr14_sgpr15
                                        ; implicit-def: $vgpr2_vgpr3
	s_and_saveexec_b64 s[8:9], vcc
	s_cbranch_execz .LBB1600_132
; %bb.95:
	v_cmp_ne_u32_e32 vcc, v29, v26
	v_mov_b32_e32 v3, s69
	v_add_u32_e32 v2, 3, v83
	v_cndmask_b32_e32 v49, v5, v3, vcc
	v_mov_b32_e32 v3, s68
	v_mov_b64_e32 v[40:41], 0
	v_cndmask_b32_e64 v107, 0, 1, vcc
	v_cndmask_b32_e32 v48, v4, v3, vcc
	v_cmp_gt_u32_e32 vcc, s64, v2
	s_mov_b64 s[14:15], 0
	v_mov_b32_e32 v108, 0
	v_mov_b32_e32 v124, 0
	v_mov_b64_e32 v[80:81], v[40:41]
	v_mov_b32_e32 v123, 0
	v_mov_b64_e32 v[78:79], v[40:41]
	;; [unrolled: 2-line block ×16, first 2 shown]
                                        ; implicit-def: $sgpr16_sgpr17
                                        ; implicit-def: $vgpr2_vgpr3
	s_and_saveexec_b64 s[10:11], vcc
	s_cbranch_execz .LBB1600_131
; %bb.96:
	ds_read2_b64 v[2:5], v30 offset0:3 offset1:4
	v_cmp_ne_u32_e32 vcc, v26, v27
	v_mov_b32_e32 v26, s69
	v_add_u32_e32 v28, 4, v83
	v_mov_b64_e32 v[40:41], 0
	s_waitcnt lgkmcnt(0)
	v_cndmask_b32_e32 v51, v3, v26, vcc
	v_mov_b32_e32 v3, s68
	v_cndmask_b32_e64 v109, 0, 1, vcc
	v_cndmask_b32_e32 v50, v2, v3, vcc
	v_cmp_gt_u32_e32 vcc, s64, v28
	s_mov_b64 s[16:17], 0
	v_mov_b32_e32 v108, 0
	v_mov_b32_e32 v124, 0
	v_mov_b64_e32 v[80:81], v[40:41]
	v_mov_b32_e32 v123, 0
	v_mov_b64_e32 v[78:79], v[40:41]
	;; [unrolled: 2-line block ×15, first 2 shown]
                                        ; implicit-def: $sgpr18_sgpr19
                                        ; implicit-def: $vgpr2_vgpr3
	s_and_saveexec_b64 s[12:13], vcc
	s_cbranch_execz .LBB1600_130
; %bb.97:
	v_cmp_ne_u32_e32 vcc, v27, v24
	v_mov_b32_e32 v3, s69
	v_add_u32_e32 v2, 5, v83
	v_cndmask_b32_e32 v53, v5, v3, vcc
	v_mov_b32_e32 v3, s68
	v_mov_b64_e32 v[40:41], 0
	v_cndmask_b32_e64 v110, 0, 1, vcc
	v_cndmask_b32_e32 v52, v4, v3, vcc
	v_cmp_gt_u32_e32 vcc, s64, v2
	s_mov_b64 s[18:19], 0
	v_mov_b32_e32 v108, 0
	v_mov_b32_e32 v124, 0
	v_mov_b64_e32 v[80:81], v[40:41]
	v_mov_b32_e32 v123, 0
	v_mov_b64_e32 v[78:79], v[40:41]
	;; [unrolled: 2-line block ×14, first 2 shown]
                                        ; implicit-def: $sgpr20_sgpr21
                                        ; implicit-def: $vgpr2_vgpr3
	s_and_saveexec_b64 s[14:15], vcc
	s_cbranch_execz .LBB1600_129
; %bb.98:
	ds_read2_b64 v[2:5], v30 offset0:5 offset1:6
	v_cmp_ne_u32_e32 vcc, v24, v25
	v_mov_b32_e32 v24, s69
	v_add_u32_e32 v26, 6, v83
	v_mov_b64_e32 v[40:41], 0
	s_waitcnt lgkmcnt(0)
	v_cndmask_b32_e32 v55, v3, v24, vcc
	v_mov_b32_e32 v3, s68
	v_cndmask_b32_e64 v111, 0, 1, vcc
	v_cndmask_b32_e32 v54, v2, v3, vcc
	v_cmp_gt_u32_e32 vcc, s64, v26
	s_mov_b64 s[20:21], 0
	v_mov_b32_e32 v108, 0
	v_mov_b32_e32 v124, 0
	v_mov_b64_e32 v[80:81], v[40:41]
	v_mov_b32_e32 v123, 0
	v_mov_b64_e32 v[78:79], v[40:41]
	;; [unrolled: 2-line block ×13, first 2 shown]
                                        ; implicit-def: $sgpr22_sgpr23
                                        ; implicit-def: $vgpr2_vgpr3
	s_and_saveexec_b64 s[16:17], vcc
	s_cbranch_execz .LBB1600_128
; %bb.99:
	v_cmp_ne_u32_e32 vcc, v25, v22
	v_mov_b32_e32 v3, s69
	v_add_u32_e32 v2, 7, v83
	v_cndmask_b32_e32 v57, v5, v3, vcc
	v_mov_b32_e32 v3, s68
	v_mov_b64_e32 v[40:41], 0
	v_cndmask_b32_e64 v112, 0, 1, vcc
	v_cndmask_b32_e32 v56, v4, v3, vcc
	v_cmp_gt_u32_e32 vcc, s64, v2
	s_mov_b64 s[22:23], 0
	v_mov_b32_e32 v108, 0
	v_mov_b32_e32 v124, 0
	v_mov_b64_e32 v[80:81], v[40:41]
	v_mov_b32_e32 v123, 0
	v_mov_b64_e32 v[78:79], v[40:41]
	;; [unrolled: 2-line block ×12, first 2 shown]
                                        ; implicit-def: $sgpr24_sgpr25
                                        ; implicit-def: $vgpr2_vgpr3
	s_and_saveexec_b64 s[18:19], vcc
	s_cbranch_execz .LBB1600_127
; %bb.100:
	ds_read2_b64 v[2:5], v30 offset0:7 offset1:8
	v_cmp_ne_u32_e32 vcc, v22, v23
	v_mov_b32_e32 v22, s69
	v_add_u32_e32 v24, 8, v83
	v_mov_b64_e32 v[40:41], 0
	s_waitcnt lgkmcnt(0)
	v_cndmask_b32_e32 v59, v3, v22, vcc
	v_mov_b32_e32 v3, s68
	v_cndmask_b32_e64 v113, 0, 1, vcc
	v_cndmask_b32_e32 v58, v2, v3, vcc
	v_cmp_gt_u32_e32 vcc, s64, v24
	s_mov_b64 s[24:25], 0
	v_mov_b32_e32 v108, 0
	v_mov_b32_e32 v124, 0
	v_mov_b64_e32 v[80:81], v[40:41]
	v_mov_b32_e32 v123, 0
	v_mov_b64_e32 v[78:79], v[40:41]
	v_mov_b32_e32 v122, 0
	v_mov_b64_e32 v[76:77], v[40:41]
	v_mov_b32_e32 v121, 0
	v_mov_b64_e32 v[74:75], v[40:41]
	v_mov_b32_e32 v120, 0
	v_mov_b64_e32 v[72:73], v[40:41]
	v_mov_b32_e32 v119, 0
	v_mov_b64_e32 v[70:71], v[40:41]
	v_mov_b32_e32 v118, 0
	v_mov_b64_e32 v[68:69], v[40:41]
	v_mov_b32_e32 v117, 0
	v_mov_b64_e32 v[66:67], v[40:41]
	v_mov_b32_e32 v116, 0
	v_mov_b64_e32 v[64:65], v[40:41]
	v_mov_b32_e32 v115, 0
	v_mov_b64_e32 v[62:63], v[40:41]
	v_mov_b32_e32 v114, 0
	v_mov_b64_e32 v[60:61], v[40:41]
                                        ; implicit-def: $sgpr26_sgpr27
                                        ; implicit-def: $vgpr2_vgpr3
	s_and_saveexec_b64 s[20:21], vcc
	s_cbranch_execz .LBB1600_126
; %bb.101:
	v_cmp_ne_u32_e32 vcc, v23, v20
	v_mov_b32_e32 v3, s69
	v_add_u32_e32 v2, 9, v83
	v_cndmask_b32_e32 v61, v5, v3, vcc
	v_mov_b32_e32 v3, s68
	v_mov_b64_e32 v[40:41], 0
	v_cndmask_b32_e64 v114, 0, 1, vcc
	v_cndmask_b32_e32 v60, v4, v3, vcc
	v_cmp_gt_u32_e32 vcc, s64, v2
	s_mov_b64 s[26:27], 0
	v_mov_b32_e32 v108, 0
	v_mov_b32_e32 v124, 0
	v_mov_b64_e32 v[80:81], v[40:41]
	v_mov_b32_e32 v123, 0
	v_mov_b64_e32 v[78:79], v[40:41]
	;; [unrolled: 2-line block ×10, first 2 shown]
                                        ; implicit-def: $sgpr28_sgpr29
                                        ; implicit-def: $vgpr2_vgpr3
	s_and_saveexec_b64 s[22:23], vcc
	s_cbranch_execz .LBB1600_125
; %bb.102:
	ds_read2_b64 v[2:5], v30 offset0:9 offset1:10
	v_cmp_ne_u32_e32 vcc, v20, v21
	v_mov_b32_e32 v20, s69
	v_add_u32_e32 v22, 10, v83
	v_mov_b64_e32 v[40:41], 0
	s_waitcnt lgkmcnt(0)
	v_cndmask_b32_e32 v63, v3, v20, vcc
	v_mov_b32_e32 v3, s68
	v_cndmask_b32_e64 v115, 0, 1, vcc
	v_cndmask_b32_e32 v62, v2, v3, vcc
	v_cmp_gt_u32_e32 vcc, s64, v22
	s_mov_b64 s[28:29], 0
	v_mov_b32_e32 v108, 0
	v_mov_b32_e32 v124, 0
	v_mov_b64_e32 v[80:81], v[40:41]
	v_mov_b32_e32 v123, 0
	v_mov_b64_e32 v[78:79], v[40:41]
	;; [unrolled: 2-line block ×9, first 2 shown]
                                        ; implicit-def: $sgpr30_sgpr31
                                        ; implicit-def: $vgpr2_vgpr3
	s_and_saveexec_b64 s[24:25], vcc
	s_cbranch_execz .LBB1600_124
; %bb.103:
	v_cmp_ne_u32_e32 vcc, v21, v18
	v_mov_b32_e32 v3, s69
	v_add_u32_e32 v2, 11, v83
	v_cndmask_b32_e32 v65, v5, v3, vcc
	v_mov_b32_e32 v3, s68
	v_mov_b64_e32 v[40:41], 0
	v_cndmask_b32_e64 v116, 0, 1, vcc
	v_cndmask_b32_e32 v64, v4, v3, vcc
	v_cmp_gt_u32_e32 vcc, s64, v2
	s_mov_b64 s[30:31], 0
	v_mov_b32_e32 v108, 0
	v_mov_b32_e32 v124, 0
	v_mov_b64_e32 v[80:81], v[40:41]
	v_mov_b32_e32 v123, 0
	v_mov_b64_e32 v[78:79], v[40:41]
	;; [unrolled: 2-line block ×8, first 2 shown]
                                        ; implicit-def: $sgpr34_sgpr35
                                        ; implicit-def: $vgpr2_vgpr3
	s_and_saveexec_b64 s[26:27], vcc
	s_cbranch_execz .LBB1600_123
; %bb.104:
	ds_read2_b64 v[2:5], v30 offset0:11 offset1:12
	v_cmp_ne_u32_e32 vcc, v18, v19
	v_mov_b32_e32 v18, s69
	v_add_u32_e32 v20, 12, v83
	v_mov_b64_e32 v[40:41], 0
	s_waitcnt lgkmcnt(0)
	v_cndmask_b32_e32 v67, v3, v18, vcc
	v_mov_b32_e32 v3, s68
	v_cndmask_b32_e64 v117, 0, 1, vcc
	v_cndmask_b32_e32 v66, v2, v3, vcc
	v_cmp_gt_u32_e32 vcc, s64, v20
	s_mov_b64 s[34:35], 0
	v_mov_b32_e32 v108, 0
	v_mov_b32_e32 v124, 0
	v_mov_b64_e32 v[80:81], v[40:41]
	v_mov_b32_e32 v123, 0
	v_mov_b64_e32 v[78:79], v[40:41]
	;; [unrolled: 2-line block ×7, first 2 shown]
                                        ; implicit-def: $sgpr36_sgpr37
                                        ; implicit-def: $vgpr2_vgpr3
	s_and_saveexec_b64 s[28:29], vcc
	s_cbranch_execz .LBB1600_122
; %bb.105:
	v_cmp_ne_u32_e32 vcc, v19, v16
	v_mov_b32_e32 v3, s69
	v_add_u32_e32 v2, 13, v83
	v_cndmask_b32_e32 v69, v5, v3, vcc
	v_mov_b32_e32 v3, s68
	v_mov_b64_e32 v[40:41], 0
	v_cndmask_b32_e64 v118, 0, 1, vcc
	v_cndmask_b32_e32 v68, v4, v3, vcc
	v_cmp_gt_u32_e32 vcc, s64, v2
	s_mov_b64 s[36:37], 0
	v_mov_b32_e32 v108, 0
	v_mov_b32_e32 v124, 0
	v_mov_b64_e32 v[80:81], v[40:41]
	v_mov_b32_e32 v123, 0
	v_mov_b64_e32 v[78:79], v[40:41]
	;; [unrolled: 2-line block ×6, first 2 shown]
                                        ; implicit-def: $sgpr38_sgpr39
                                        ; implicit-def: $vgpr2_vgpr3
	s_and_saveexec_b64 s[30:31], vcc
	s_cbranch_execz .LBB1600_121
; %bb.106:
	ds_read2_b64 v[2:5], v30 offset0:13 offset1:14
	v_cmp_ne_u32_e32 vcc, v16, v17
	v_mov_b32_e32 v16, s69
	v_add_u32_e32 v18, 14, v83
	v_mov_b64_e32 v[40:41], 0
	s_waitcnt lgkmcnt(0)
	v_cndmask_b32_e32 v71, v3, v16, vcc
	v_mov_b32_e32 v3, s68
	v_cndmask_b32_e64 v119, 0, 1, vcc
	v_cndmask_b32_e32 v70, v2, v3, vcc
	v_cmp_gt_u32_e32 vcc, s64, v18
	s_mov_b64 s[38:39], 0
	v_mov_b32_e32 v108, 0
	v_mov_b32_e32 v124, 0
	v_mov_b64_e32 v[80:81], v[40:41]
	v_mov_b32_e32 v123, 0
	v_mov_b64_e32 v[78:79], v[40:41]
	v_mov_b32_e32 v122, 0
	v_mov_b64_e32 v[76:77], v[40:41]
	v_mov_b32_e32 v121, 0
	v_mov_b64_e32 v[74:75], v[40:41]
	v_mov_b32_e32 v120, 0
	v_mov_b64_e32 v[72:73], v[40:41]
                                        ; implicit-def: $sgpr40_sgpr41
                                        ; implicit-def: $vgpr2_vgpr3
	s_and_saveexec_b64 s[34:35], vcc
	s_cbranch_execz .LBB1600_120
; %bb.107:
	v_cmp_ne_u32_e32 vcc, v17, v14
	v_mov_b32_e32 v3, s69
	v_add_u32_e32 v2, 15, v83
	v_cndmask_b32_e32 v73, v5, v3, vcc
	v_mov_b32_e32 v3, s68
	v_mov_b64_e32 v[40:41], 0
	v_cndmask_b32_e64 v120, 0, 1, vcc
	v_cndmask_b32_e32 v72, v4, v3, vcc
	v_cmp_gt_u32_e32 vcc, s64, v2
	s_mov_b64 s[40:41], 0
	v_mov_b32_e32 v108, 0
	v_mov_b32_e32 v124, 0
	v_mov_b64_e32 v[80:81], v[40:41]
	v_mov_b32_e32 v123, 0
	v_mov_b64_e32 v[78:79], v[40:41]
	;; [unrolled: 2-line block ×4, first 2 shown]
                                        ; implicit-def: $sgpr42_sgpr43
                                        ; implicit-def: $vgpr2_vgpr3
	s_and_saveexec_b64 s[36:37], vcc
	s_cbranch_execz .LBB1600_119
; %bb.108:
	ds_read2_b64 v[2:5], v30 offset0:15 offset1:16
	v_cmp_ne_u32_e32 vcc, v14, v15
	v_mov_b32_e32 v14, s69
	v_add_u32_e32 v16, 16, v83
	v_mov_b64_e32 v[40:41], 0
	s_waitcnt lgkmcnt(0)
	v_cndmask_b32_e32 v75, v3, v14, vcc
	v_mov_b32_e32 v3, s68
	v_cndmask_b32_e64 v121, 0, 1, vcc
	v_cndmask_b32_e32 v74, v2, v3, vcc
	v_cmp_gt_u32_e32 vcc, s64, v16
	s_mov_b64 s[42:43], 0
	v_mov_b32_e32 v108, 0
	v_mov_b32_e32 v124, 0
	v_mov_b64_e32 v[80:81], v[40:41]
	v_mov_b32_e32 v123, 0
	v_mov_b64_e32 v[78:79], v[40:41]
	;; [unrolled: 2-line block ×3, first 2 shown]
                                        ; implicit-def: $sgpr44_sgpr45
                                        ; implicit-def: $vgpr2_vgpr3
	s_and_saveexec_b64 s[38:39], vcc
	s_cbranch_execz .LBB1600_118
; %bb.109:
	v_cmp_ne_u32_e32 vcc, v15, v12
	v_mov_b32_e32 v3, s69
	v_add_u32_e32 v2, 17, v83
	v_cndmask_b32_e32 v77, v5, v3, vcc
	v_mov_b32_e32 v3, s68
	v_mov_b64_e32 v[40:41], 0
	v_cndmask_b32_e64 v122, 0, 1, vcc
	v_cndmask_b32_e32 v76, v4, v3, vcc
	v_cmp_gt_u32_e32 vcc, s64, v2
	s_mov_b64 s[44:45], 0
	v_mov_b32_e32 v108, 0
	v_mov_b32_e32 v124, 0
	v_mov_b64_e32 v[80:81], v[40:41]
	v_mov_b32_e32 v123, 0
	v_mov_b64_e32 v[78:79], v[40:41]
                                        ; implicit-def: $sgpr58_sgpr59
                                        ; implicit-def: $vgpr2_vgpr3
	s_and_saveexec_b64 s[40:41], vcc
	s_cbranch_execz .LBB1600_117
; %bb.110:
	ds_read2_b64 v[2:5], v30 offset0:17 offset1:18
	v_cmp_ne_u32_e32 vcc, v12, v13
	v_mov_b32_e32 v12, s69
	v_add_u32_e32 v14, 18, v83
	v_mov_b64_e32 v[40:41], 0
	s_waitcnt lgkmcnt(0)
	v_cndmask_b32_e32 v79, v3, v12, vcc
	v_mov_b32_e32 v3, s68
	v_cndmask_b32_e64 v123, 0, 1, vcc
	v_cndmask_b32_e32 v78, v2, v3, vcc
	v_cmp_gt_u32_e32 vcc, s64, v14
	s_mov_b64 s[58:59], 0
	v_mov_b32_e32 v108, 0
	v_mov_b32_e32 v124, 0
	v_mov_b64_e32 v[80:81], v[40:41]
                                        ; implicit-def: $sgpr60_sgpr61
                                        ; implicit-def: $vgpr2_vgpr3
	s_and_saveexec_b64 s[42:43], vcc
	s_cbranch_execz .LBB1600_116
; %bb.111:
	v_cmp_ne_u32_e32 vcc, v13, v10
	v_mov_b32_e32 v3, s69
	v_add_u32_e32 v2, 19, v83
	v_cndmask_b32_e32 v81, v5, v3, vcc
	v_mov_b32_e32 v3, s68
	v_cndmask_b32_e64 v124, 0, 1, vcc
	v_cndmask_b32_e32 v80, v4, v3, vcc
	v_cmp_gt_u32_e32 vcc, s64, v2
	v_mov_b32_e32 v108, 0
	v_mov_b64_e32 v[40:41], 0
                                        ; implicit-def: $sgpr60_sgpr61
                                        ; implicit-def: $vgpr2_vgpr3
	s_and_saveexec_b64 s[44:45], vcc
	s_cbranch_execz .LBB1600_115
; %bb.112:
	ds_read2_b64 v[2:5], v30 offset0:19 offset1:20
	v_cmp_ne_u32_e32 vcc, v10, v11
	v_mov_b32_e32 v10, s69
	v_add_u32_e32 v12, 20, v83
	v_cndmask_b32_e64 v108, 0, 1, vcc
	s_waitcnt lgkmcnt(0)
	v_cndmask_b32_e32 v41, v3, v10, vcc
	v_mov_b32_e32 v3, s68
	v_cndmask_b32_e32 v40, v2, v3, vcc
	v_cmp_gt_u32_e32 vcc, s64, v12
                                        ; implicit-def: $sgpr60_sgpr61
                                        ; implicit-def: $vgpr2_vgpr3
	s_and_saveexec_b64 s[64:65], vcc
	s_xor_b64 s[64:65], exec, s[64:65]
; %bb.113:
	v_mov_b32_e32 v2, s69
	v_cmp_ne_u32_e32 vcc, v11, v82
	s_mov_b64 s[58:59], exec
	s_and_b64 s[60:61], vcc, exec
	v_cndmask_b32_e32 v3, v5, v2, vcc
	v_mov_b32_e32 v2, s68
	v_cndmask_b32_e32 v2, v4, v2, vcc
; %bb.114:
	s_or_b64 exec, exec, s[64:65]
	s_and_b64 s[60:61], s[60:61], exec
	s_and_b64 s[58:59], s[58:59], exec
.LBB1600_115:
	s_or_b64 exec, exec, s[44:45]
	s_and_b64 s[60:61], s[60:61], exec
	s_and_b64 s[44:45], s[58:59], exec
.LBB1600_116:
	s_or_b64 exec, exec, s[42:43]
	s_and_b64 s[58:59], s[60:61], exec
	s_and_b64 s[42:43], s[44:45], exec
.LBB1600_117:
	s_or_b64 exec, exec, s[40:41]
	s_and_b64 s[44:45], s[58:59], exec
	s_and_b64 s[40:41], s[42:43], exec
.LBB1600_118:
	s_or_b64 exec, exec, s[38:39]
	s_and_b64 s[42:43], s[44:45], exec
	s_and_b64 s[38:39], s[40:41], exec
.LBB1600_119:
	s_or_b64 exec, exec, s[36:37]
	s_and_b64 s[40:41], s[42:43], exec
	s_and_b64 s[36:37], s[38:39], exec
.LBB1600_120:
	s_or_b64 exec, exec, s[34:35]
	s_and_b64 s[38:39], s[40:41], exec
	s_and_b64 s[34:35], s[36:37], exec
.LBB1600_121:
	s_or_b64 exec, exec, s[30:31]
	s_and_b64 s[36:37], s[38:39], exec
	s_and_b64 s[30:31], s[34:35], exec
.LBB1600_122:
	s_or_b64 exec, exec, s[28:29]
	s_and_b64 s[34:35], s[36:37], exec
	s_and_b64 s[28:29], s[30:31], exec
.LBB1600_123:
	s_or_b64 exec, exec, s[26:27]
	s_and_b64 s[30:31], s[34:35], exec
	s_and_b64 s[26:27], s[28:29], exec
.LBB1600_124:
	s_or_b64 exec, exec, s[24:25]
	s_and_b64 s[28:29], s[30:31], exec
	s_and_b64 s[24:25], s[26:27], exec
.LBB1600_125:
	s_or_b64 exec, exec, s[22:23]
	s_and_b64 s[26:27], s[28:29], exec
	s_and_b64 s[22:23], s[24:25], exec
.LBB1600_126:
	s_or_b64 exec, exec, s[20:21]
	s_and_b64 s[24:25], s[26:27], exec
	s_and_b64 s[20:21], s[22:23], exec
.LBB1600_127:
	s_or_b64 exec, exec, s[18:19]
	s_and_b64 s[22:23], s[24:25], exec
	s_and_b64 s[18:19], s[20:21], exec
.LBB1600_128:
	s_or_b64 exec, exec, s[16:17]
	s_and_b64 s[20:21], s[22:23], exec
	s_and_b64 s[16:17], s[18:19], exec
.LBB1600_129:
	s_or_b64 exec, exec, s[14:15]
	s_and_b64 s[18:19], s[20:21], exec
	s_and_b64 s[14:15], s[16:17], exec
.LBB1600_130:
	s_or_b64 exec, exec, s[12:13]
	s_and_b64 s[16:17], s[18:19], exec
	s_and_b64 s[12:13], s[14:15], exec
.LBB1600_131:
	s_or_b64 exec, exec, s[10:11]
	s_and_b64 s[14:15], s[16:17], exec
	s_and_b64 s[10:11], s[12:13], exec
.LBB1600_132:
	s_or_b64 exec, exec, s[8:9]
	s_and_b64 s[12:13], s[14:15], exec
	s_and_b64 s[8:9], s[10:11], exec
.LBB1600_133:
	s_or_b64 exec, exec, s[6:7]
	s_and_b64 s[6:7], s[12:13], exec
	s_and_b64 s[8:9], s[8:9], exec
.LBB1600_134:
	s_or_b64 exec, exec, s[4:5]
	s_mov_b64 s[4:5], 0
	s_and_b64 vcc, exec, s[0:1]
	s_cbranch_vccz .LBB1600_140
.LBB1600_135:
	v_mov_b32_e32 v3, 0
	v_lshlrev_b32_e32 v2, 2, v0
	v_lshl_add_u64 v[4:5], v[8:9], 0, v[2:3]
	v_add_co_u32_e32 v10, vcc, 0x1000, v4
	s_movk_i32 s0, 0x50
	s_nop 0
	v_addc_co_u32_e32 v11, vcc, 0, v5, vcc
	flat_load_dword v1, v[4:5]
	flat_load_dword v14, v[4:5] offset:1024
	flat_load_dword v15, v[4:5] offset:2048
	flat_load_dword v16, v[4:5] offset:3072
	flat_load_dword v17, v[10:11]
	flat_load_dword v18, v[10:11] offset:1024
	flat_load_dword v19, v[10:11] offset:2048
	;; [unrolled: 1-line block ×3, first 2 shown]
	v_add_co_u32_e32 v10, vcc, 0x2000, v4
	s_movk_i32 s8, 0x1000
	s_nop 0
	v_addc_co_u32_e32 v11, vcc, 0, v5, vcc
	v_add_co_u32_e32 v12, vcc, 0x3000, v4
	s_movk_i32 s7, 0x2000
	s_nop 0
	v_addc_co_u32_e32 v13, vcc, 0, v5, vcc
	flat_load_dword v21, v[10:11]
	flat_load_dword v22, v[10:11] offset:1024
	flat_load_dword v23, v[10:11] offset:2048
	;; [unrolled: 1-line block ×3, first 2 shown]
	flat_load_dword v25, v[12:13]
	flat_load_dword v26, v[12:13] offset:1024
	flat_load_dword v27, v[12:13] offset:2048
	;; [unrolled: 1-line block ×3, first 2 shown]
	v_add_co_u32_e32 v10, vcc, 0x4000, v4
	s_movk_i32 s6, 0x3000
	s_nop 0
	v_addc_co_u32_e32 v11, vcc, 0, v5, vcc
	v_add_co_u32_e32 v4, vcc, 0x5000, v4
	s_movk_i32 s5, 0x4000
	s_nop 0
	v_addc_co_u32_e32 v5, vcc, 0, v5, vcc
	flat_load_dword v12, v[10:11]
	flat_load_dword v13, v[10:11] offset:1024
	flat_load_dword v29, v[10:11] offset:2048
	;; [unrolled: 1-line block ×3, first 2 shown]
	flat_load_dword v31, v[4:5]
	v_add_co_u32_e32 v4, vcc, 0x5000, v8
	s_movk_i32 s4, 0x5000
	s_nop 0
	v_addc_co_u32_e32 v5, vcc, 0, v9, vcc
	s_waitcnt vmcnt(0) lgkmcnt(0)
	ds_write2st64_b32 v2, v1, v14 offset1:4
	ds_write2st64_b32 v2, v15, v16 offset0:8 offset1:12
	ds_write2st64_b32 v2, v17, v18 offset0:16 offset1:20
	;; [unrolled: 1-line block ×9, first 2 shown]
	ds_write_b32 v2, v31 offset:20480
	s_waitcnt lgkmcnt(0)
	s_barrier
	flat_load_dword v84, v[4:5] offset:1024
	v_mad_u32_u24 v4, v0, s0, v2
	s_movk_i32 s0, 0xffb0
	ds_read_b32 v1, v4
	ds_read2_b32 v[62:63], v4 offset0:1 offset1:2
	ds_read2_b32 v[60:61], v4 offset0:3 offset1:4
	;; [unrolled: 1-line block ×10, first 2 shown]
	v_mad_i32_i24 v4, v0, s0, v4
	s_movk_i32 s0, 0xff
	v_cmp_ne_u32_e32 vcc, s0, v0
	s_waitcnt lgkmcnt(0)
	ds_write_b32 v4, v1 offset:22528
	s_waitcnt lgkmcnt(0)
	s_barrier
	s_and_saveexec_b64 s[0:1], vcc
	s_cbranch_execz .LBB1600_137
; %bb.136:
	s_waitcnt vmcnt(0)
	ds_read_b32 v84, v2 offset:22532
.LBB1600_137:
	s_or_b64 exec, exec, s[0:1]
	v_lshlrev_b32_e32 v2, 3, v0
	v_lshl_add_u64 v[2:3], v[6:7], 0, v[2:3]
	v_add_co_u32_e32 v6, vcc, s8, v2
	s_waitcnt lgkmcnt(0)
	s_nop 0
	v_addc_co_u32_e32 v7, vcc, 0, v3, vcc
	s_barrier
	flat_load_dwordx2 v[8:9], v[2:3]
	flat_load_dwordx2 v[10:11], v[2:3] offset:2048
	flat_load_dwordx2 v[12:13], v[6:7]
	flat_load_dwordx2 v[14:15], v[6:7] offset:2048
	v_add_co_u32_e32 v6, vcc, s7, v2
	s_movk_i32 s0, 0x6000
	s_nop 0
	v_addc_co_u32_e32 v7, vcc, 0, v3, vcc
	v_add_co_u32_e32 v16, vcc, s6, v2
	v_lshl_add_u32 v64, v0, 2, v4
	s_nop 0
	v_addc_co_u32_e32 v17, vcc, 0, v3, vcc
	flat_load_dwordx2 v[18:19], v[6:7]
	flat_load_dwordx2 v[20:21], v[6:7] offset:2048
	flat_load_dwordx2 v[22:23], v[16:17]
	flat_load_dwordx2 v[24:25], v[16:17] offset:2048
	v_add_co_u32_e32 v6, vcc, s5, v2
	s_nop 1
	v_addc_co_u32_e32 v7, vcc, 0, v3, vcc
	v_add_co_u32_e32 v16, vcc, s4, v2
	s_nop 1
	v_addc_co_u32_e32 v17, vcc, 0, v3, vcc
	flat_load_dwordx2 v[26:27], v[6:7]
	flat_load_dwordx2 v[28:29], v[6:7] offset:2048
	flat_load_dwordx2 v[30:31], v[16:17]
	flat_load_dwordx2 v[32:33], v[16:17] offset:2048
	v_add_co_u32_e32 v6, vcc, s0, v2
	s_movk_i32 s0, 0x7000
	s_nop 0
	v_addc_co_u32_e32 v7, vcc, 0, v3, vcc
	v_add_co_u32_e32 v16, vcc, s0, v2
	s_mov_b32 s0, 0x8000
	s_nop 0
	v_addc_co_u32_e32 v17, vcc, 0, v3, vcc
	flat_load_dwordx2 v[34:35], v[6:7]
	flat_load_dwordx2 v[36:37], v[6:7] offset:2048
	flat_load_dwordx2 v[38:39], v[16:17]
	flat_load_dwordx2 v[40:41], v[16:17] offset:2048
	v_add_co_u32_e32 v6, vcc, s0, v2
	s_mov_b32 s0, 0x9000
	s_nop 0
	v_addc_co_u32_e32 v7, vcc, 0, v3, vcc
	v_add_co_u32_e32 v16, vcc, s0, v2
	s_mov_b32 s0, 0xa000
	s_nop 0
	v_addc_co_u32_e32 v17, vcc, 0, v3, vcc
	flat_load_dwordx2 v[44:45], v[6:7]
	flat_load_dwordx2 v[66:67], v[6:7] offset:2048
	flat_load_dwordx2 v[68:69], v[16:17]
	flat_load_dwordx2 v[70:71], v[16:17] offset:2048
	v_add_co_u32_e32 v2, vcc, s0, v2
	s_movk_i32 s0, 0xa0
	s_nop 0
	v_addc_co_u32_e32 v3, vcc, 0, v3, vcc
	flat_load_dwordx2 v[2:3], v[2:3]
	v_cmp_ne_u32_e32 vcc, v1, v62
	s_waitcnt vmcnt(0) lgkmcnt(0)
	ds_write2st64_b64 v64, v[8:9], v[10:11] offset1:4
	ds_write2st64_b64 v64, v[12:13], v[14:15] offset0:8 offset1:12
	ds_write2st64_b64 v64, v[18:19], v[20:21] offset0:16 offset1:20
	;; [unrolled: 1-line block ×9, first 2 shown]
	ds_write_b64 v64, v[2:3] offset:40960
	v_mad_u32_u24 v2, v0, s0, v64
	s_waitcnt lgkmcnt(0)
	s_barrier
	ds_read2_b64 v[38:41], v2 offset0:1 offset1:2
	ds_read2_b64 v[34:37], v2 offset0:3 offset1:4
	;; [unrolled: 1-line block ×10, first 2 shown]
	v_cmp_eq_u32_e64 s[0:1], v1, v62
	v_mov_b64_e32 v[44:45], s[68:69]
	s_and_saveexec_b64 s[4:5], s[0:1]
	s_cbranch_execz .LBB1600_139
; %bb.138:
	v_mul_u32_u24_e32 v1, 0xa0, v0
	v_add_u32_e32 v1, v64, v1
	ds_read_b64 v[44:45], v1
.LBB1600_139:
	s_or_b64 exec, exec, s[4:5]
	v_cndmask_b32_e64 v1, 0, 1, vcc
	v_cmp_ne_u32_e32 vcc, v62, v63
	v_cmp_ne_u32_e64 s[36:37], v47, v82
	v_cmp_ne_u32_e64 s[38:39], v82, v83
	v_mov_b32_e32 v82, s69
	v_cmp_ne_u32_e64 s[6:7], v61, v58
	v_cmp_ne_u32_e64 s[34:35], v46, v47
	s_waitcnt lgkmcnt(9)
	v_cndmask_b32_e32 v47, v39, v82, vcc
	v_mov_b32_e32 v39, s68
	v_cmp_ne_u32_e64 s[0:1], v63, v60
	v_cmp_ne_u32_e64 s[4:5], v60, v61
	v_cndmask_b32_e64 v110, 0, 1, s[6:7]
	v_cmp_ne_u32_e64 s[8:9], v58, v59
	v_cmp_ne_u32_e64 s[10:11], v59, v56
	;; [unrolled: 1-line block ×12, first 2 shown]
	s_waitcnt lgkmcnt(8)
	v_cndmask_b32_e64 v53, v37, v82, s[6:7]
	v_cndmask_b32_e64 v52, v36, v39, s[6:7]
	v_cmp_ne_u32_e64 s[6:7], v83, v84
	v_cndmask_b32_e64 v106, 0, 1, vcc
	v_cndmask_b32_e64 v107, 0, 1, s[0:1]
	v_cndmask_b32_e64 v109, 0, 1, s[4:5]
	;; [unrolled: 1-line block ×17, first 2 shown]
	v_cndmask_b32_e32 v46, v38, v39, vcc
	v_cndmask_b32_e64 v49, v41, v82, s[0:1]
	v_cndmask_b32_e64 v48, v40, v39, s[0:1]
	v_cndmask_b32_e64 v51, v35, v82, s[4:5]
	v_cndmask_b32_e64 v50, v34, v39, s[4:5]
	s_waitcnt lgkmcnt(7)
	v_cndmask_b32_e64 v55, v31, v82, s[8:9]
	v_cndmask_b32_e64 v54, v30, v39, s[8:9]
	v_cndmask_b32_e64 v57, v33, v82, s[10:11]
	v_cndmask_b32_e64 v56, v32, v39, s[10:11]
	s_waitcnt lgkmcnt(6)
	;; [unrolled: 5-line block ×8, first 2 shown]
	v_cndmask_b32_e64 v41, v3, v82, s[38:39]
	v_cndmask_b32_e64 v40, v2, v39, s[38:39]
	;; [unrolled: 1-line block ×4, first 2 shown]
	s_mov_b64 s[8:9], -1
                                        ; implicit-def: $sgpr72
                                        ; implicit-def: $sgpr4_sgpr5
.LBB1600_140:
	v_mov_b64_e32 v[82:83], s[4:5]
	v_mov_b32_e32 v125, s72
	s_and_saveexec_b64 s[0:1], s[8:9]
; %bb.141:
	v_cndmask_b32_e64 v125, 0, 1, s[6:7]
	v_mov_b64_e32 v[82:83], v[2:3]
; %bb.142:
	s_or_b64 exec, exec, s[0:1]
	v_or_b32_e32 v2, v125, v108
	s_cmp_lg_u32 s55, 0
	v_or_b32_e32 v127, v2, v124
	v_mbcnt_lo_u32_b32 v126, -1, 0
	s_barrier
	s_cbranch_scc0 .LBB1600_209
; %bb.143:
	v_mov_b32_e32 v4, 0
	v_cmp_eq_u16_sdwa s[4:5], v106, v4 src0_sel:BYTE_0 src1_sel:DWORD
	v_cmp_eq_u16_sdwa s[6:7], v107, v4 src0_sel:BYTE_0 src1_sel:DWORD
	v_cmp_eq_u16_sdwa s[8:9], v109, v4 src0_sel:BYTE_0 src1_sel:DWORD
	v_cndmask_b32_e64 v3, 0, v45, s[4:5]
	v_cndmask_b32_e64 v2, 0, v44, s[4:5]
	v_lshl_add_u64 v[2:3], v[2:3], 0, v[46:47]
	v_cndmask_b32_e64 v3, 0, v3, s[6:7]
	v_cndmask_b32_e64 v2, 0, v2, s[6:7]
	v_lshl_add_u64 v[2:3], v[2:3], 0, v[48:49]
	v_cndmask_b32_e64 v3, 0, v3, s[8:9]
	v_cndmask_b32_e64 v2, 0, v2, s[8:9]
	v_lshl_add_u64 v[2:3], v[2:3], 0, v[50:51]
	v_cmp_eq_u16_sdwa s[10:11], v110, v4 src0_sel:BYTE_0 src1_sel:DWORD
	v_cmp_eq_u16_sdwa s[12:13], v111, v4 src0_sel:BYTE_0 src1_sel:DWORD
	v_cmp_eq_u16_sdwa s[14:15], v112, v4 src0_sel:BYTE_0 src1_sel:DWORD
	v_cndmask_b32_e64 v3, 0, v3, s[10:11]
	v_cndmask_b32_e64 v2, 0, v2, s[10:11]
	v_lshl_add_u64 v[2:3], v[2:3], 0, v[52:53]
	v_cndmask_b32_e64 v3, 0, v3, s[12:13]
	v_cndmask_b32_e64 v2, 0, v2, s[12:13]
	v_lshl_add_u64 v[2:3], v[2:3], 0, v[54:55]
	v_cndmask_b32_e64 v3, 0, v3, s[14:15]
	v_cndmask_b32_e64 v2, 0, v2, s[14:15]
	v_lshl_add_u64 v[2:3], v[2:3], 0, v[56:57]
	;; [unrolled: 12-line block ×3, first 2 shown]
	v_cmp_eq_u16_sdwa s[22:23], v116, v4 src0_sel:BYTE_0 src1_sel:DWORD
	v_cmp_eq_u16_sdwa s[24:25], v117, v4 src0_sel:BYTE_0 src1_sel:DWORD
	v_cmp_eq_u16_sdwa s[26:27], v118, v4 src0_sel:BYTE_0 src1_sel:DWORD
	v_cndmask_b32_e64 v3, 0, v3, s[22:23]
	v_cndmask_b32_e64 v2, 0, v2, s[22:23]
	v_lshl_add_u64 v[2:3], v[2:3], 0, v[64:65]
	v_cndmask_b32_e64 v3, 0, v3, s[24:25]
	v_cndmask_b32_e64 v2, 0, v2, s[24:25]
	v_lshl_add_u64 v[2:3], v[2:3], 0, v[66:67]
	v_cmp_eq_u16_sdwa s[28:29], v119, v4 src0_sel:BYTE_0 src1_sel:DWORD
	v_cmp_eq_u16_sdwa s[30:31], v120, v4 src0_sel:BYTE_0 src1_sel:DWORD
	v_cmp_eq_u16_sdwa s[34:35], v121, v4 src0_sel:BYTE_0 src1_sel:DWORD
	v_cmp_eq_u16_sdwa s[36:37], v122, v4 src0_sel:BYTE_0 src1_sel:DWORD
	v_cmp_eq_u16_sdwa s[38:39], v123, v4 src0_sel:BYTE_0 src1_sel:DWORD
	v_cmp_eq_u16_sdwa s[40:41], v124, v4 src0_sel:BYTE_0 src1_sel:DWORD
	v_cmp_eq_u16_sdwa s[42:43], v108, v4 src0_sel:BYTE_0 src1_sel:DWORD
	v_cmp_eq_u16_sdwa vcc, v125, v4 src0_sel:BYTE_0 src1_sel:DWORD
	v_or_b32_e32 v4, v127, v123
	v_cndmask_b32_e64 v3, 0, v3, s[26:27]
	v_cndmask_b32_e64 v2, 0, v2, s[26:27]
	v_or_b32_e32 v4, v4, v122
	v_lshl_add_u64 v[2:3], v[2:3], 0, v[68:69]
	v_or_b32_e32 v4, v4, v121
	v_cndmask_b32_e64 v3, 0, v3, s[28:29]
	v_cndmask_b32_e64 v2, 0, v2, s[28:29]
	v_or_b32_e32 v4, v4, v120
	v_lshl_add_u64 v[2:3], v[2:3], 0, v[70:71]
	;; [unrolled: 5-line block ×8, first 2 shown]
	v_or_b32_e32 v4, v4, v106
	v_cndmask_b32_e32 v3, 0, v3, vcc
	v_cndmask_b32_e32 v2, 0, v2, vcc
	v_or_b32_e32 v4, v4, v1
	v_mbcnt_hi_u32_b32 v9, -1, v126
	v_lshl_add_u64 v[2:3], v[2:3], 0, v[82:83]
	v_and_b32_e32 v8, 1, v4
	v_and_b32_e32 v5, 15, v9
	v_cmp_eq_u32_e32 vcc, 1, v8
	v_mov_b32_dpp v7, v2 row_shr:1 row_mask:0xf bank_mask:0xf
	v_mov_b32_dpp v10, v3 row_shr:1 row_mask:0xf bank_mask:0xf
	;; [unrolled: 1-line block ×3, first 2 shown]
	v_cmp_ne_u32_e64 s[0:1], 0, v5
	v_mov_b32_e32 v4, v8
	s_and_saveexec_b64 s[44:45], s[0:1]
; %bb.144:
	v_and_b32_e32 v4, 1, v6
	v_cndmask_b32_e64 v11, v10, 0, vcc
	v_cndmask_b32_e64 v10, v7, 0, vcc
	v_or_b32_e32 v8, v4, v8
	v_lshl_add_u64 v[2:3], v[10:11], 0, v[2:3]
	v_and_b32_e32 v4, 0xffff, v8
; %bb.145:
	s_or_b64 exec, exec, s[44:45]
	v_mov_b32_dpp v7, v2 row_shr:2 row_mask:0xf bank_mask:0xf
	v_mov_b32_dpp v10, v3 row_shr:2 row_mask:0xf bank_mask:0xf
	;; [unrolled: 1-line block ×3, first 2 shown]
	v_cmp_lt_u32_e32 vcc, 1, v5
	s_and_saveexec_b64 s[44:45], vcc
; %bb.146:
	v_cmp_eq_u16_e32 vcc, 0, v8
	v_and_b32_e32 v4, 1, v8
	s_nop 0
	v_cndmask_b32_e32 v11, 0, v10, vcc
	v_cndmask_b32_e32 v10, 0, v7, vcc
	v_cmp_eq_u32_e32 vcc, 1, v4
	v_and_b32_e32 v4, 1, v6
	v_cmp_eq_u32_e64 s[0:1], 1, v4
	s_or_b64 s[0:1], vcc, s[0:1]
	v_lshl_add_u64 v[2:3], v[10:11], 0, v[2:3]
	v_cndmask_b32_e64 v8, 0, 1, s[0:1]
	v_cndmask_b32_e64 v4, 0, 1, s[0:1]
; %bb.147:
	s_or_b64 exec, exec, s[44:45]
	v_mov_b32_dpp v7, v2 row_shr:4 row_mask:0xf bank_mask:0xf
	v_mov_b32_dpp v10, v3 row_shr:4 row_mask:0xf bank_mask:0xf
	v_mov_b32_dpp v6, v4 row_shr:4 row_mask:0xf bank_mask:0xf
	v_cmp_lt_u32_e32 vcc, 3, v5
	s_and_saveexec_b64 s[44:45], vcc
; %bb.148:
	v_cmp_eq_u16_e32 vcc, 0, v8
	v_and_b32_e32 v4, 1, v8
	s_nop 0
	v_cndmask_b32_e32 v11, 0, v10, vcc
	v_cndmask_b32_e32 v10, 0, v7, vcc
	v_cmp_eq_u32_e32 vcc, 1, v4
	v_and_b32_e32 v4, 1, v6
	v_cmp_eq_u32_e64 s[0:1], 1, v4
	s_or_b64 s[0:1], vcc, s[0:1]
	v_lshl_add_u64 v[2:3], v[10:11], 0, v[2:3]
	v_cndmask_b32_e64 v8, 0, 1, s[0:1]
	v_cndmask_b32_e64 v4, 0, 1, s[0:1]
; %bb.149:
	s_or_b64 exec, exec, s[44:45]
	v_mov_b32_dpp v7, v2 row_shr:8 row_mask:0xf bank_mask:0xf
	v_mov_b32_dpp v10, v3 row_shr:8 row_mask:0xf bank_mask:0xf
	;; [unrolled: 1-line block ×3, first 2 shown]
	v_cmp_lt_u32_e32 vcc, 7, v5
	s_and_saveexec_b64 s[44:45], vcc
; %bb.150:
	v_cmp_eq_u16_e32 vcc, 0, v8
	s_nop 1
	v_cndmask_b32_e32 v5, 0, v10, vcc
	v_cndmask_b32_e32 v4, 0, v7, vcc
	v_lshl_add_u64 v[2:3], v[4:5], 0, v[2:3]
	v_and_b32_e32 v4, 1, v8
	v_cmp_eq_u32_e32 vcc, 1, v4
	v_and_b32_e32 v4, 1, v6
	v_cmp_eq_u32_e64 s[0:1], 1, v4
	s_or_b64 s[0:1], vcc, s[0:1]
	s_nop 0
	v_cndmask_b32_e64 v8, 0, 1, s[0:1]
	v_cndmask_b32_e64 v4, 0, 1, s[0:1]
; %bb.151:
	s_or_b64 exec, exec, s[44:45]
	v_and_b32_e32 v10, 16, v9
	v_mov_b32_dpp v6, v2 row_bcast:15 row_mask:0xf bank_mask:0xf
	v_mov_b32_dpp v7, v3 row_bcast:15 row_mask:0xf bank_mask:0xf
	;; [unrolled: 1-line block ×3, first 2 shown]
	v_cmp_ne_u32_e32 vcc, 0, v10
	s_and_saveexec_b64 s[44:45], vcc
; %bb.152:
	v_cmp_eq_u16_e32 vcc, 0, v8
	v_and_b32_e32 v4, 1, v8
	s_nop 0
	v_cndmask_b32_e32 v7, 0, v7, vcc
	v_cndmask_b32_e32 v6, 0, v6, vcc
	v_cmp_eq_u32_e32 vcc, 1, v4
	v_and_b32_e32 v4, 1, v5
	v_cmp_eq_u32_e64 s[0:1], 1, v4
	s_or_b64 s[0:1], vcc, s[0:1]
	v_lshl_add_u64 v[2:3], v[6:7], 0, v[2:3]
	v_cndmask_b32_e64 v8, 0, 1, s[0:1]
	v_cndmask_b32_e64 v4, 0, 1, s[0:1]
; %bb.153:
	s_or_b64 exec, exec, s[44:45]
	v_mov_b32_dpp v5, v2 row_bcast:31 row_mask:0xf bank_mask:0xf
	v_mov_b32_dpp v6, v3 row_bcast:31 row_mask:0xf bank_mask:0xf
	v_mov_b32_dpp v4, v4 row_bcast:31 row_mask:0xf bank_mask:0xf
	v_cmp_lt_u32_e32 vcc, 31, v9
	s_and_saveexec_b64 s[44:45], vcc
; %bb.154:
	v_cmp_eq_u16_e32 vcc, 0, v8
	v_and_b32_e32 v4, 1, v4
	v_cmp_eq_u32_e64 s[0:1], 1, v4
	v_cndmask_b32_e32 v7, 0, v6, vcc
	v_cndmask_b32_e32 v6, 0, v5, vcc
	v_and_b32_e32 v5, 1, v8
	v_cmp_eq_u32_e32 vcc, 1, v5
	s_or_b64 s[0:1], vcc, s[0:1]
	v_lshl_add_u64 v[2:3], v[6:7], 0, v[2:3]
	v_cndmask_b32_e64 v8, 0, 1, s[0:1]
; %bb.155:
	s_or_b64 exec, exec, s[44:45]
	v_or_b32_e32 v4, 63, v0
	v_lshrrev_b32_e32 v10, 6, v0
	v_cmp_eq_u32_e32 vcc, v4, v0
	s_and_saveexec_b64 s[0:1], vcc
	s_cbranch_execz .LBB1600_157
; %bb.156:
	v_lshlrev_b32_e32 v4, 4, v10
	ds_write_b64 v4, v[2:3]
	ds_write_b8 v4, v8 offset:8
.LBB1600_157:
	s_or_b64 exec, exec, s[0:1]
	v_cmp_gt_u32_e32 vcc, 4, v0
	s_waitcnt lgkmcnt(0)
	s_barrier
	s_and_saveexec_b64 s[44:45], vcc
	s_cbranch_execz .LBB1600_163
; %bb.158:
	v_lshlrev_b32_e32 v6, 4, v0
	ds_read_b64 v[4:5], v6
	ds_read_b32 v7, v6 offset:8
	v_and_b32_e32 v11, 3, v9
	v_cmp_ne_u32_e32 vcc, 0, v11
	s_waitcnt lgkmcnt(1)
	v_mov_b32_dpp v15, v4 row_shr:1 row_mask:0xf bank_mask:0xf
	v_mov_b32_dpp v16, v5 row_shr:1 row_mask:0xf bank_mask:0xf
	s_waitcnt lgkmcnt(0)
	v_mov_b32_dpp v14, v7 row_shr:1 row_mask:0xf bank_mask:0xf
	v_mov_b32_e32 v12, v7
	v_mov_b32_e32 v13, v7
	s_and_saveexec_b64 s[0:1], vcc
; %bb.159:
	v_mov_b32_e32 v12, 0
	v_cmp_eq_u16_sdwa vcc, v7, v12 src0_sel:BYTE_0 src1_sel:DWORD
	s_movk_i32 s58, 0xff00
	s_nop 0
	v_cndmask_b32_e32 v13, 0, v16, vcc
	v_cndmask_b32_e32 v12, 0, v15, vcc
	v_lshl_add_u64 v[4:5], v[12:13], 0, v[4:5]
	v_or_b32_e32 v13, v14, v7
	v_and_b32_e32 v12, 1, v13
	v_and_b32_e32 v13, 1, v13
	v_and_or_b32 v7, v7, s58, v13
; %bb.160:
	s_or_b64 exec, exec, s[0:1]
	v_mov_b32_dpp v14, v4 row_shr:2 row_mask:0xf bank_mask:0xf
	v_mov_b32_dpp v15, v5 row_shr:2 row_mask:0xf bank_mask:0xf
	;; [unrolled: 1-line block ×3, first 2 shown]
	v_cmp_lt_u32_e32 vcc, 1, v11
	s_and_saveexec_b64 s[58:59], vcc
; %bb.161:
	v_mov_b32_e32 v11, 0
	v_cmp_eq_u16_sdwa vcc, v13, v11 src0_sel:BYTE_0 src1_sel:DWORD
	v_and_b32_e32 v11, 1, v13
	v_and_b32_e32 v7, 1, v7
	v_cndmask_b32_e32 v15, 0, v15, vcc
	v_cndmask_b32_e32 v14, 0, v14, vcc
	v_cmp_eq_u32_e32 vcc, 1, v11
	v_cmp_eq_u32_e64 s[0:1], 1, v7
	s_or_b64 s[0:1], vcc, s[0:1]
	v_lshl_add_u64 v[4:5], v[14:15], 0, v[4:5]
	v_cndmask_b32_e64 v12, 0, 1, s[0:1]
; %bb.162:
	s_or_b64 exec, exec, s[58:59]
	ds_write_b64 v6, v[4:5]
	ds_write_b8 v6, v12 offset:8
.LBB1600_163:
	s_or_b64 exec, exec, s[44:45]
	v_cmp_gt_u32_e32 vcc, 64, v0
	v_cmp_lt_u32_e64 s[0:1], 63, v0
	v_mov_b32_e32 v16, 0
	v_mov_b64_e32 v[6:7], 0
	s_waitcnt lgkmcnt(0)
	s_barrier
	s_and_saveexec_b64 s[44:45], s[0:1]
	s_cbranch_execz .LBB1600_165
; %bb.164:
	v_lshl_add_u32 v4, v10, 4, -16
	ds_read_b64 v[6:7], v4
	ds_read_u8 v16, v4 offset:8
	v_cmp_eq_u16_e64 s[0:1], 0, v8
	s_waitcnt lgkmcnt(0)
	v_or_b32_e32 v8, v8, v16
	v_cndmask_b32_e64 v5, 0, v7, s[0:1]
	v_cndmask_b32_e64 v4, 0, v6, s[0:1]
	v_lshl_add_u64 v[2:3], v[2:3], 0, v[4:5]
	v_and_b32_e32 v8, 1, v8
.LBB1600_165:
	s_or_b64 exec, exec, s[44:45]
	v_add_u32_e32 v4, -1, v9
	v_and_b32_e32 v5, 64, v9
	v_cmp_lt_i32_e64 s[0:1], v4, v5
	v_cmp_eq_u32_e64 s[44:45], 0, v9
	s_nop 0
	v_cndmask_b32_e64 v4, v4, v9, s[0:1]
	v_lshlrev_b32_e32 v4, 2, v4
	ds_bpermute_b32 v17, v4, v2
	v_and_b32_e32 v2, 0xffff, v8
	ds_bpermute_b32 v18, v4, v3
	ds_bpermute_b32 v19, v4, v2
	s_and_saveexec_b64 s[58:59], vcc
	s_cbranch_execz .LBB1600_208
; %bb.166:
	v_mov_b32_e32 v11, 0
	ds_read2_b64 v[2:5], v11 offset0:6 offset1:7
	s_and_saveexec_b64 s[0:1], s[44:45]
	s_cbranch_execz .LBB1600_168
; %bb.167:
	s_add_i32 s60, s55, 64
	s_mov_b32 s61, 0
	s_lshl_b64 s[64:65], s[60:61], 4
	s_add_u32 s64, s48, s64
	s_addc_u32 s65, s49, s65
	s_waitcnt lgkmcnt(0)
	global_store_dword v11, v2, s[64:65] sc1
	global_store_dword v11, v3, s[64:65] offset:4 sc1
	global_store_dword v11, v4, s[64:65] offset:8 sc1
	;; [unrolled: 1-line block ×3, first 2 shown]
	v_mov_b32_e32 v5, s60
	v_mov_b32_e32 v8, 1
	s_waitcnt vmcnt(0)
	global_store_byte v5, v8, s[52:53] sc1
.LBB1600_168:
	s_or_b64 exec, exec, s[0:1]
	v_xad_u32 v8, v9, -1, s55
	v_add_u32_e32 v10, 64, v8
	s_waitcnt lgkmcnt(0)
	global_load_ubyte v5, v10, s[52:53] sc1
	s_waitcnt vmcnt(0)
	v_cmp_eq_u16_e32 vcc, 0, v5
	s_and_saveexec_b64 s[0:1], vcc
	s_cbranch_execz .LBB1600_172
; %bb.169:
	v_lshl_add_u64 v[12:13], s[52:53], 0, v[10:11]
	s_mov_b64 s[60:61], 0
.LBB1600_170:                           ; =>This Inner Loop Header: Depth=1
	global_load_ubyte v5, v[12:13], off sc1
	s_waitcnt vmcnt(0)
	v_cmp_ne_u16_e32 vcc, 0, v5
	s_or_b64 s[60:61], vcc, s[60:61]
	s_andn2_b64 exec, exec, s[60:61]
	s_cbranch_execnz .LBB1600_170
; %bb.171:
	s_or_b64 exec, exec, s[60:61]
.LBB1600_172:
	s_or_b64 exec, exec, s[0:1]
	v_mov_b32_e32 v12, s51
	v_mov_b32_e32 v13, s49
	v_cmp_eq_u16_e32 vcc, 1, v5
	v_mov_b32_e32 v14, s48
	s_waitcnt vmcnt(0)
	v_cndmask_b32_e32 v13, v12, v13, vcc
	v_mov_b32_e32 v12, s50
	v_cndmask_b32_e32 v12, v12, v14, vcc
	v_lshl_add_u64 v[10:11], v[10:11], 4, v[12:13]
	global_load_dword v14, v[10:11], off sc1
	global_load_dword v15, v[10:11], off offset:4 sc1
	global_load_dword v34, v[10:11], off offset:8 sc1
	s_nop 0
	global_load_dword v10, v[10:11], off offset:12 sc1
	v_cmp_eq_u16_e32 vcc, 2, v5
	s_waitcnt vmcnt(0)
	v_lshlrev_b64 v[10:11], v9, -1
	v_and_b32_e32 v20, 63, v9
	v_and_b32_e32 v12, vcc_hi, v11
	v_and_b32_e32 v25, vcc_lo, v10
	v_cmp_ne_u32_e32 vcc, 63, v20
	v_or_b32_e32 v12, 0x80000000, v12
	v_ffbl_b32_e32 v12, v12
	v_addc_co_u32_e32 v13, vcc, 0, v9, vcc
	v_lshlrev_b32_e32 v21, 2, v13
	v_add_u32_e32 v12, 32, v12
	v_ffbl_b32_e32 v25, v25
	v_min_u32_e32 v12, v25, v12
	v_cmp_lt_u32_e32 vcc, v20, v12
	ds_bpermute_b32 v23, v21, v14
	ds_bpermute_b32 v24, v21, v15
	v_and_b32_e32 v13, 0xff, v34
	ds_bpermute_b32 v22, v21, v13
	s_and_saveexec_b64 s[0:1], vcc
	s_cbranch_execz .LBB1600_174
; %bb.173:
	v_mov_b32_e32 v13, 0
	v_cmp_eq_u16_sdwa vcc, v34, v13 src0_sel:BYTE_0 src1_sel:DWORD
	s_waitcnt lgkmcnt(0)
	v_or_b32_e32 v13, v22, v34
	v_and_b32_e32 v34, 1, v13
	v_cndmask_b32_e32 v25, 0, v24, vcc
	v_cndmask_b32_e32 v24, 0, v23, vcc
	v_lshl_add_u64 v[14:15], v[24:25], 0, v[14:15]
	v_and_b32_e32 v13, 1, v13
.LBB1600_174:
	s_or_b64 exec, exec, s[0:1]
	v_cmp_gt_u32_e32 vcc, 62, v20
	s_waitcnt lgkmcnt(2)
	v_add_u32_e32 v23, 2, v20
	s_waitcnt lgkmcnt(0)
	v_cndmask_b32_e64 v22, 0, 1, vcc
	v_lshlrev_b32_e32 v22, 1, v22
	v_add_lshl_u32 v22, v22, v9, 2
	ds_bpermute_b32 v25, v22, v14
	ds_bpermute_b32 v26, v22, v15
	ds_bpermute_b32 v24, v22, v13
	v_cmp_le_u32_e32 vcc, v23, v12
	s_and_saveexec_b64 s[60:61], vcc
	s_cbranch_execz .LBB1600_176
; %bb.175:
	v_mov_b32_e32 v13, 0
	v_cmp_eq_u16_sdwa vcc, v34, v13 src0_sel:BYTE_0 src1_sel:DWORD
	v_and_b32_e32 v13, 1, v34
	s_waitcnt lgkmcnt(1)
	v_cndmask_b32_e32 v27, 0, v26, vcc
	v_cndmask_b32_e32 v26, 0, v25, vcc
	v_cmp_eq_u32_e32 vcc, 1, v13
	s_waitcnt lgkmcnt(0)
	v_and_b32_e32 v13, 1, v24
	v_cmp_eq_u32_e64 s[0:1], 1, v13
	s_or_b64 s[0:1], vcc, s[0:1]
	v_lshl_add_u64 v[14:15], v[26:27], 0, v[14:15]
	v_cndmask_b32_e64 v34, 0, 1, s[0:1]
	v_cndmask_b32_e64 v13, 0, 1, s[0:1]
.LBB1600_176:
	s_or_b64 exec, exec, s[60:61]
	v_cmp_gt_u32_e32 vcc, 60, v20
	s_waitcnt lgkmcnt(2)
	v_add_u32_e32 v25, 4, v20
	s_waitcnt lgkmcnt(0)
	v_cndmask_b32_e64 v24, 0, 1, vcc
	v_lshlrev_b32_e32 v24, 2, v24
	v_add_lshl_u32 v24, v24, v9, 2
	ds_bpermute_b32 v27, v24, v14
	ds_bpermute_b32 v28, v24, v15
	ds_bpermute_b32 v26, v24, v13
	v_cmp_le_u32_e32 vcc, v25, v12
	s_and_saveexec_b64 s[60:61], vcc
	s_cbranch_execz .LBB1600_178
; %bb.177:
	v_mov_b32_e32 v13, 0
	v_cmp_eq_u16_sdwa vcc, v34, v13 src0_sel:BYTE_0 src1_sel:DWORD
	v_and_b32_e32 v13, 1, v34
	s_waitcnt lgkmcnt(1)
	v_cndmask_b32_e32 v29, 0, v28, vcc
	v_cndmask_b32_e32 v28, 0, v27, vcc
	v_cmp_eq_u32_e32 vcc, 1, v13
	s_waitcnt lgkmcnt(0)
	v_and_b32_e32 v13, 1, v26
	v_cmp_eq_u32_e64 s[0:1], 1, v13
	s_or_b64 s[0:1], vcc, s[0:1]
	v_lshl_add_u64 v[14:15], v[28:29], 0, v[14:15]
	v_cndmask_b32_e64 v34, 0, 1, s[0:1]
	v_cndmask_b32_e64 v13, 0, 1, s[0:1]
.LBB1600_178:
	;; [unrolled: 30-line block ×4, first 2 shown]
	s_or_b64 exec, exec, s[60:61]
	v_cmp_gt_u32_e32 vcc, 32, v20
	s_waitcnt lgkmcnt(1)
	v_add_u32_e32 v32, 32, v20
	s_waitcnt lgkmcnt(0)
	v_cndmask_b32_e64 v30, 0, 1, vcc
	v_lshlrev_b32_e32 v30, 5, v30
	v_add_lshl_u32 v31, v30, v9, 2
	ds_bpermute_b32 v30, v31, v14
	ds_bpermute_b32 v33, v31, v15
	;; [unrolled: 1-line block ×3, first 2 shown]
	v_cmp_le_u32_e32 vcc, v32, v12
	s_and_saveexec_b64 s[60:61], vcc
	s_cbranch_execz .LBB1600_184
; %bb.183:
	v_mov_b32_e32 v12, 0
	v_cmp_eq_u16_sdwa vcc, v34, v12 src0_sel:BYTE_0 src1_sel:DWORD
	s_waitcnt lgkmcnt(0)
	v_and_b32_e32 v9, 1, v9
	v_cmp_eq_u32_e64 s[0:1], 1, v9
	v_cndmask_b32_e32 v13, 0, v33, vcc
	v_cndmask_b32_e32 v12, 0, v30, vcc
	v_lshl_add_u64 v[14:15], v[12:13], 0, v[14:15]
	v_and_b32_e32 v12, 1, v34
	v_cmp_eq_u32_e32 vcc, 1, v12
	s_or_b64 s[0:1], vcc, s[0:1]
	v_cndmask_b32_e64 v34, 0, 1, s[0:1]
.LBB1600_184:
	s_or_b64 exec, exec, s[60:61]
	s_waitcnt lgkmcnt(0)
	v_mov_b32_e32 v9, 0
	v_mov_b32_e32 v33, 2
	s_branch .LBB1600_186
.LBB1600_185:                           ;   in Loop: Header=BB1600_186 Depth=1
	s_or_b64 exec, exec, s[64:65]
	v_cmp_eq_u16_sdwa vcc, v30, v9 src0_sel:BYTE_0 src1_sel:DWORD
	v_and_b32_e32 v34, 1, v30
	v_subrev_u32_e32 v8, 64, v8
	v_cndmask_b32_e32 v15, 0, v15, vcc
	v_cndmask_b32_e32 v14, 0, v14, vcc
	v_cmp_eq_u32_e32 vcc, 1, v34
	s_or_b64 s[0:1], vcc, s[60:61]
	v_lshl_add_u64 v[14:15], v[14:15], 0, v[12:13]
	v_cndmask_b32_e64 v34, 0, 1, s[0:1]
.LBB1600_186:                           ; =>This Loop Header: Depth=1
                                        ;     Child Loop BB1600_189 Depth 2
	v_cmp_ne_u16_sdwa s[0:1], v5, v33 src0_sel:BYTE_0 src1_sel:DWORD
	v_mov_b32_e32 v30, v34
	v_mov_b64_e32 v[12:13], v[14:15]
	v_cndmask_b32_e64 v5, 0, 1, s[0:1]
	;;#ASMSTART
	;;#ASMEND
	s_nop 0
	v_cmp_ne_u32_e32 vcc, 0, v5
	s_cmp_lg_u64 vcc, exec
	s_cbranch_scc1 .LBB1600_203
; %bb.187:                              ;   in Loop: Header=BB1600_186 Depth=1
	global_load_ubyte v5, v8, s[52:53] sc1
	s_waitcnt vmcnt(0)
	v_cmp_eq_u16_e32 vcc, 0, v5
	s_and_saveexec_b64 s[0:1], vcc
	s_cbranch_execz .LBB1600_191
; %bb.188:                              ;   in Loop: Header=BB1600_186 Depth=1
	v_lshl_add_u64 v[14:15], s[52:53], 0, v[8:9]
	s_mov_b64 s[60:61], 0
.LBB1600_189:                           ;   Parent Loop BB1600_186 Depth=1
                                        ; =>  This Inner Loop Header: Depth=2
	global_load_ubyte v5, v[14:15], off sc1
	s_waitcnt vmcnt(0)
	v_cmp_ne_u16_e32 vcc, 0, v5
	s_or_b64 s[60:61], vcc, s[60:61]
	s_andn2_b64 exec, exec, s[60:61]
	s_cbranch_execnz .LBB1600_189
; %bb.190:                              ;   in Loop: Header=BB1600_186 Depth=1
	s_or_b64 exec, exec, s[60:61]
.LBB1600_191:                           ;   in Loop: Header=BB1600_186 Depth=1
	s_or_b64 exec, exec, s[0:1]
	v_mov_b32_e32 v14, s51
	v_mov_b32_e32 v15, s49
	v_cmp_eq_u16_e32 vcc, 1, v5
	v_mov_b32_e32 v34, s48
	s_waitcnt vmcnt(0)
	v_cndmask_b32_e32 v15, v14, v15, vcc
	v_mov_b32_e32 v14, s50
	v_cndmask_b32_e32 v14, v14, v34, vcc
	s_waitcnt lgkmcnt(0)
	v_lshl_add_u64 v[36:37], v[8:9], 4, v[14:15]
	global_load_dword v14, v[36:37], off sc1
	global_load_dword v15, v[36:37], off offset:4 sc1
	global_load_dword v34, v[36:37], off offset:8 sc1
	;; [unrolled: 1-line block ×3, first 2 shown]
	v_cmp_eq_u16_e32 vcc, 2, v5
	s_waitcnt vmcnt(3)
	ds_bpermute_b32 v38, v21, v14
	s_waitcnt vmcnt(0)
	v_and_b32_e32 v35, vcc_hi, v11
	v_and_b32_e32 v36, 0xff, v34
	v_or_b32_e32 v35, 0x80000000, v35
	ds_bpermute_b32 v39, v21, v15
	ds_bpermute_b32 v37, v21, v36
	v_and_b32_e32 v84, vcc_lo, v10
	v_ffbl_b32_e32 v35, v35
	v_add_u32_e32 v35, 32, v35
	v_ffbl_b32_e32 v84, v84
	v_min_u32_e32 v35, v84, v35
	v_cmp_lt_u32_e32 vcc, v20, v35
	s_and_saveexec_b64 s[0:1], vcc
	s_cbranch_execz .LBB1600_193
; %bb.192:                              ;   in Loop: Header=BB1600_186 Depth=1
	v_cmp_eq_u16_sdwa vcc, v34, v9 src0_sel:BYTE_0 src1_sel:DWORD
	s_waitcnt lgkmcnt(0)
	v_or_b32_e32 v36, v37, v34
	v_and_b32_e32 v34, 1, v36
	v_cndmask_b32_e32 v39, 0, v39, vcc
	v_cndmask_b32_e32 v38, 0, v38, vcc
	v_lshl_add_u64 v[14:15], v[38:39], 0, v[14:15]
	v_and_b32_e32 v36, 1, v36
.LBB1600_193:                           ;   in Loop: Header=BB1600_186 Depth=1
	s_or_b64 exec, exec, s[0:1]
	s_waitcnt lgkmcnt(2)
	ds_bpermute_b32 v38, v22, v14
	s_waitcnt lgkmcnt(2)
	ds_bpermute_b32 v39, v22, v15
	;; [unrolled: 2-line block ×3, first 2 shown]
	v_and_b32_e32 v84, 1, v34
	v_cmp_le_u32_e32 vcc, v23, v35
	v_cmp_eq_u32_e64 s[60:61], 1, v84
	s_and_saveexec_b64 s[0:1], vcc
	s_cbranch_execz .LBB1600_195
; %bb.194:                              ;   in Loop: Header=BB1600_186 Depth=1
	v_cmp_eq_u16_sdwa vcc, v34, v9 src0_sel:BYTE_0 src1_sel:DWORD
	s_waitcnt lgkmcnt(0)
	v_and_b32_e32 v34, 1, v37
	v_cndmask_b32_e32 v39, 0, v39, vcc
	v_cndmask_b32_e32 v38, 0, v38, vcc
	v_cmp_eq_u32_e32 vcc, 1, v34
	s_or_b64 s[64:65], s[60:61], vcc
	v_cndmask_b32_e64 v34, 0, 1, s[64:65]
	v_cndmask_b32_e64 v36, 0, 1, s[64:65]
	s_andn2_b64 s[60:61], s[60:61], exec
	s_and_b64 s[64:65], s[64:65], exec
	v_lshl_add_u64 v[14:15], v[38:39], 0, v[14:15]
	s_or_b64 s[60:61], s[60:61], s[64:65]
.LBB1600_195:                           ;   in Loop: Header=BB1600_186 Depth=1
	s_or_b64 exec, exec, s[0:1]
	s_waitcnt lgkmcnt(2)
	ds_bpermute_b32 v38, v24, v14
	s_waitcnt lgkmcnt(2)
	ds_bpermute_b32 v39, v24, v15
	s_waitcnt lgkmcnt(2)
	ds_bpermute_b32 v37, v24, v36
	v_cmp_le_u32_e32 vcc, v25, v35
	s_and_saveexec_b64 s[64:65], vcc
	s_cbranch_execz .LBB1600_197
; %bb.196:                              ;   in Loop: Header=BB1600_186 Depth=1
	v_cmp_eq_u16_sdwa vcc, v34, v9 src0_sel:BYTE_0 src1_sel:DWORD
	v_and_b32_e32 v34, 1, v34
	s_andn2_b64 s[60:61], s[60:61], exec
	s_waitcnt lgkmcnt(1)
	v_cndmask_b32_e32 v39, 0, v39, vcc
	v_cndmask_b32_e32 v38, 0, v38, vcc
	v_cmp_eq_u32_e32 vcc, 1, v34
	s_waitcnt lgkmcnt(0)
	v_and_b32_e32 v34, 1, v37
	v_cmp_eq_u32_e64 s[0:1], 1, v34
	s_or_b64 s[0:1], vcc, s[0:1]
	v_lshl_add_u64 v[14:15], v[38:39], 0, v[14:15]
	v_cndmask_b32_e64 v34, 0, 1, s[0:1]
	v_cndmask_b32_e64 v36, 0, 1, s[0:1]
	s_and_b64 s[0:1], s[0:1], exec
	s_or_b64 s[60:61], s[60:61], s[0:1]
.LBB1600_197:                           ;   in Loop: Header=BB1600_186 Depth=1
	s_or_b64 exec, exec, s[64:65]
	s_waitcnt lgkmcnt(2)
	ds_bpermute_b32 v38, v26, v14
	s_waitcnt lgkmcnt(2)
	ds_bpermute_b32 v39, v26, v15
	s_waitcnt lgkmcnt(2)
	ds_bpermute_b32 v37, v26, v36
	v_cmp_le_u32_e32 vcc, v27, v35
	s_and_saveexec_b64 s[64:65], vcc
	s_cbranch_execz .LBB1600_199
; %bb.198:                              ;   in Loop: Header=BB1600_186 Depth=1
	v_cmp_eq_u16_sdwa vcc, v34, v9 src0_sel:BYTE_0 src1_sel:DWORD
	v_and_b32_e32 v34, 1, v34
	s_andn2_b64 s[60:61], s[60:61], exec
	s_waitcnt lgkmcnt(1)
	v_cndmask_b32_e32 v39, 0, v39, vcc
	v_cndmask_b32_e32 v38, 0, v38, vcc
	v_cmp_eq_u32_e32 vcc, 1, v34
	s_waitcnt lgkmcnt(0)
	v_and_b32_e32 v34, 1, v37
	v_cmp_eq_u32_e64 s[0:1], 1, v34
	s_or_b64 s[0:1], vcc, s[0:1]
	v_lshl_add_u64 v[14:15], v[38:39], 0, v[14:15]
	v_cndmask_b32_e64 v34, 0, 1, s[0:1]
	v_cndmask_b32_e64 v36, 0, 1, s[0:1]
	s_and_b64 s[0:1], s[0:1], exec
	s_or_b64 s[60:61], s[60:61], s[0:1]
.LBB1600_199:                           ;   in Loop: Header=BB1600_186 Depth=1
	;; [unrolled: 28-line block ×3, first 2 shown]
	s_or_b64 exec, exec, s[64:65]
	s_waitcnt lgkmcnt(0)
	ds_bpermute_b32 v37, v31, v14
	ds_bpermute_b32 v38, v31, v15
	;; [unrolled: 1-line block ×3, first 2 shown]
	v_cmp_le_u32_e32 vcc, v32, v35
	s_and_saveexec_b64 s[64:65], vcc
	s_cbranch_execz .LBB1600_185
; %bb.202:                              ;   in Loop: Header=BB1600_186 Depth=1
	v_cmp_eq_u16_sdwa vcc, v34, v9 src0_sel:BYTE_0 src1_sel:DWORD
	v_and_b32_e32 v34, 1, v34
	s_andn2_b64 s[60:61], s[60:61], exec
	s_waitcnt lgkmcnt(1)
	v_cndmask_b32_e32 v39, 0, v38, vcc
	v_cndmask_b32_e32 v38, 0, v37, vcc
	v_cmp_eq_u32_e32 vcc, 1, v34
	s_waitcnt lgkmcnt(0)
	v_and_b32_e32 v34, 1, v36
	v_cmp_eq_u32_e64 s[0:1], 1, v34
	s_or_b64 s[0:1], vcc, s[0:1]
	s_and_b64 s[0:1], s[0:1], exec
	v_lshl_add_u64 v[14:15], v[38:39], 0, v[14:15]
	s_or_b64 s[60:61], s[60:61], s[0:1]
	s_branch .LBB1600_185
.LBB1600_203:                           ;   in Loop: Header=BB1600_186 Depth=1
                                        ; implicit-def: $vgpr34
                                        ; implicit-def: $vgpr14_vgpr15
                                        ; implicit-def: $vgpr5
	s_cbranch_execz .LBB1600_186
; %bb.204:
	s_and_saveexec_b64 s[0:1], s[44:45]
	s_cbranch_execz .LBB1600_206
; %bb.205:
	s_mov_b32 s49, 0
	v_mov_b32_e32 v5, 0
	s_add_i32 s48, s55, 64
	v_cmp_eq_u32_sdwa vcc, v4, v5 src0_sel:BYTE_0 src1_sel:DWORD
	s_lshl_b64 s[60:61], s[48:49], 4
	v_and_b32_e32 v4, 1, v4
	v_cndmask_b32_e32 v9, 0, v13, vcc
	v_cndmask_b32_e32 v8, 0, v12, vcc
	s_add_u32 s60, s50, s60
	v_lshl_add_u64 v[2:3], v[8:9], 0, v[2:3]
	v_and_b32_e32 v8, 1, v30
	v_cmp_eq_u32_e32 vcc, 1, v4
	s_addc_u32 s61, s51, s61
	s_nop 0
	v_cndmask_b32_e64 v4, v8, 1, vcc
	global_store_dword v5, v2, s[60:61] sc1
	global_store_dword v5, v3, s[60:61] offset:4 sc1
	global_store_dword v5, v4, s[60:61] offset:8 sc1
	;; [unrolled: 1-line block ×3, first 2 shown]
	v_mov_b32_e32 v2, s48
	v_mov_b32_e32 v3, 2
	s_waitcnt vmcnt(0) lgkmcnt(0)
	global_store_byte v2, v3, s[52:53] sc1
.LBB1600_206:
	s_or_b64 exec, exec, s[0:1]
	s_and_b64 exec, exec, s[46:47]
	s_cbranch_execz .LBB1600_208
; %bb.207:
	v_mov_b32_e32 v2, 0
	ds_write_b64 v2, v[12:13] offset:48
	ds_write_b8 v2, v30 offset:56
.LBB1600_208:
	s_or_b64 exec, exec, s[58:59]
	v_mov_b32_e32 v8, 0
	s_waitcnt lgkmcnt(0)
	s_barrier
	ds_read_b64 v[2:3], v8 offset:48
	v_cndmask_b32_e64 v9, v19, v16, s[44:45]
	v_cmp_eq_u16_sdwa vcc, v9, v8 src0_sel:BYTE_0 src1_sel:DWORD
	v_cndmask_b32_e64 v4, v17, v6, s[44:45]
	v_cndmask_b32_e64 v5, v18, v7, s[44:45]
	s_waitcnt lgkmcnt(0)
	v_cndmask_b32_e32 v7, 0, v3, vcc
	v_cndmask_b32_e32 v6, 0, v2, vcc
	v_lshl_add_u64 v[4:5], v[4:5], 0, v[6:7]
	v_cndmask_b32_e64 v85, v5, v3, s[46:47]
	v_cndmask_b32_e64 v84, v4, v2, s[46:47]
	v_cmp_eq_u16_sdwa vcc, v1, v8 src0_sel:BYTE_0 src1_sel:DWORD
	s_nop 1
	v_cndmask_b32_e32 v3, 0, v85, vcc
	v_cndmask_b32_e32 v2, 0, v84, vcc
	v_lshl_add_u64 v[6:7], v[2:3], 0, v[44:45]
	v_cndmask_b32_e64 v3, 0, v7, s[4:5]
	v_cndmask_b32_e64 v2, 0, v6, s[4:5]
	v_lshl_add_u64 v[2:3], v[2:3], 0, v[46:47]
	v_cndmask_b32_e64 v5, 0, v3, s[6:7]
	v_cndmask_b32_e64 v4, 0, v2, s[6:7]
	;; [unrolled: 3-line block ×19, first 2 shown]
	s_branch .LBB1600_237
.LBB1600_209:
                                        ; implicit-def: $vgpr2_vgpr3_vgpr4_vgpr5
                                        ; implicit-def: $vgpr84_vgpr85
                                        ; implicit-def: $vgpr104_vgpr105
                                        ; implicit-def: $vgpr102_vgpr103
                                        ; implicit-def: $vgpr100_vgpr101
                                        ; implicit-def: $vgpr98_vgpr99
                                        ; implicit-def: $vgpr96_vgpr97
                                        ; implicit-def: $vgpr94_vgpr95
                                        ; implicit-def: $vgpr92_vgpr93
                                        ; implicit-def: $vgpr90_vgpr91
                                        ; implicit-def: $vgpr88_vgpr89
                                        ; implicit-def: $vgpr86_vgpr87
                                        ; implicit-def: $vgpr36_vgpr37_vgpr38_vgpr39
                                        ; implicit-def: $vgpr32_vgpr33_vgpr34_vgpr35
                                        ; implicit-def: $vgpr28_vgpr29_vgpr30_vgpr31
                                        ; implicit-def: $vgpr24_vgpr25_vgpr26_vgpr27
                                        ; implicit-def: $vgpr20_vgpr21_vgpr22_vgpr23
                                        ; implicit-def: $vgpr16_vgpr17_vgpr18_vgpr19
                                        ; implicit-def: $vgpr12_vgpr13_vgpr14_vgpr15
                                        ; implicit-def: $vgpr8_vgpr9_vgpr10_vgpr11
                                        ; implicit-def: $vgpr4_vgpr5_vgpr6_vgpr7
	s_cbranch_execz .LBB1600_237
; %bb.210:
	s_cmp_lg_u64 s[70:71], 0
	s_cselect_b32 s1, s67, 0
	s_cselect_b32 s0, s66, 0
	s_cmp_eq_u64 s[0:1], 0
	v_mov_b64_e32 v[4:5], s[68:69]
	s_cbranch_scc1 .LBB1600_212
; %bb.211:
	v_mov_b32_e32 v2, 0
	global_load_dwordx2 v[4:5], v2, s[0:1]
.LBB1600_212:
	v_mov_b32_e32 v6, 0
	v_cmp_eq_u16_sdwa vcc, v106, v6 src0_sel:BYTE_0 src1_sel:DWORD
	v_cmp_eq_u16_sdwa s[4:5], v107, v6 src0_sel:BYTE_0 src1_sel:DWORD
	v_cmp_eq_u16_sdwa s[6:7], v109, v6 src0_sel:BYTE_0 src1_sel:DWORD
	v_cndmask_b32_e32 v3, 0, v45, vcc
	v_cndmask_b32_e32 v2, 0, v44, vcc
	v_lshl_add_u64 v[2:3], v[2:3], 0, v[46:47]
	v_cndmask_b32_e64 v3, 0, v3, s[4:5]
	v_cndmask_b32_e64 v2, 0, v2, s[4:5]
	v_lshl_add_u64 v[2:3], v[2:3], 0, v[48:49]
	v_cndmask_b32_e64 v3, 0, v3, s[6:7]
	v_cndmask_b32_e64 v2, 0, v2, s[6:7]
	v_lshl_add_u64 v[2:3], v[2:3], 0, v[50:51]
	v_cmp_eq_u16_sdwa s[8:9], v110, v6 src0_sel:BYTE_0 src1_sel:DWORD
	v_cmp_eq_u16_sdwa s[10:11], v111, v6 src0_sel:BYTE_0 src1_sel:DWORD
	v_cmp_eq_u16_sdwa s[12:13], v112, v6 src0_sel:BYTE_0 src1_sel:DWORD
	v_cndmask_b32_e64 v3, 0, v3, s[8:9]
	v_cndmask_b32_e64 v2, 0, v2, s[8:9]
	v_lshl_add_u64 v[2:3], v[2:3], 0, v[52:53]
	v_cndmask_b32_e64 v3, 0, v3, s[10:11]
	v_cndmask_b32_e64 v2, 0, v2, s[10:11]
	v_lshl_add_u64 v[2:3], v[2:3], 0, v[54:55]
	v_cndmask_b32_e64 v3, 0, v3, s[12:13]
	v_cndmask_b32_e64 v2, 0, v2, s[12:13]
	v_lshl_add_u64 v[2:3], v[2:3], 0, v[56:57]
	v_cmp_eq_u16_sdwa s[14:15], v113, v6 src0_sel:BYTE_0 src1_sel:DWORD
	v_cmp_eq_u16_sdwa s[16:17], v114, v6 src0_sel:BYTE_0 src1_sel:DWORD
	v_cmp_eq_u16_sdwa s[18:19], v115, v6 src0_sel:BYTE_0 src1_sel:DWORD
	v_cndmask_b32_e64 v3, 0, v3, s[14:15]
	v_cndmask_b32_e64 v2, 0, v2, s[14:15]
	;; [unrolled: 12-line block ×3, first 2 shown]
	v_lshl_add_u64 v[2:3], v[2:3], 0, v[64:65]
	v_cndmask_b32_e64 v3, 0, v3, s[22:23]
	v_cndmask_b32_e64 v2, 0, v2, s[22:23]
	v_lshl_add_u64 v[2:3], v[2:3], 0, v[66:67]
	v_cmp_eq_u16_sdwa s[26:27], v119, v6 src0_sel:BYTE_0 src1_sel:DWORD
	v_cmp_eq_u16_sdwa s[28:29], v120, v6 src0_sel:BYTE_0 src1_sel:DWORD
	;; [unrolled: 1-line block ×8, first 2 shown]
	v_or_b32_e32 v6, v127, v123
	v_cndmask_b32_e64 v3, 0, v3, s[24:25]
	v_cndmask_b32_e64 v2, 0, v2, s[24:25]
	v_or_b32_e32 v6, v6, v122
	v_lshl_add_u64 v[2:3], v[2:3], 0, v[68:69]
	v_or_b32_e32 v6, v6, v121
	v_cndmask_b32_e64 v3, 0, v3, s[26:27]
	v_cndmask_b32_e64 v2, 0, v2, s[26:27]
	v_or_b32_e32 v6, v6, v120
	v_lshl_add_u64 v[2:3], v[2:3], 0, v[70:71]
	;; [unrolled: 5-line block ×8, first 2 shown]
	v_or_b32_e32 v6, v6, v106
	v_cndmask_b32_e64 v3, 0, v3, s[0:1]
	v_cndmask_b32_e64 v2, 0, v2, s[0:1]
	v_or_b32_e32 v6, v6, v1
	v_mbcnt_hi_u32_b32 v8, -1, v126
	v_lshl_add_u64 v[2:3], v[2:3], 0, v[82:83]
	v_and_b32_e32 v9, 1, v6
	v_and_b32_e32 v7, 15, v8
	v_cmp_eq_u32_e64 s[0:1], 1, v9
	v_mov_b32_dpp v11, v2 row_shr:1 row_mask:0xf bank_mask:0xf
	v_mov_b32_dpp v12, v3 row_shr:1 row_mask:0xf bank_mask:0xf
	v_mov_b32_dpp v10, v9 row_shr:1 row_mask:0xf bank_mask:0xf
	v_cmp_ne_u32_e64 s[42:43], 0, v7
	v_mov_b32_e32 v6, v9
	s_and_saveexec_b64 s[44:45], s[42:43]
; %bb.213:
	v_and_b32_e32 v6, 1, v10
	v_cndmask_b32_e64 v13, v12, 0, s[0:1]
	v_cndmask_b32_e64 v12, v11, 0, s[0:1]
	v_or_b32_e32 v9, v6, v9
	v_lshl_add_u64 v[2:3], v[12:13], 0, v[2:3]
	v_and_b32_e32 v6, 0xffff, v9
; %bb.214:
	s_or_b64 exec, exec, s[44:45]
	v_mov_b32_dpp v11, v2 row_shr:2 row_mask:0xf bank_mask:0xf
	v_mov_b32_dpp v12, v3 row_shr:2 row_mask:0xf bank_mask:0xf
	;; [unrolled: 1-line block ×3, first 2 shown]
	v_cmp_lt_u32_e64 s[0:1], 1, v7
	s_and_saveexec_b64 s[44:45], s[0:1]
; %bb.215:
	v_cmp_eq_u16_e64 s[0:1], 0, v9
	v_and_b32_e32 v6, 1, v9
	s_nop 0
	v_cndmask_b32_e64 v13, 0, v12, s[0:1]
	v_cndmask_b32_e64 v12, 0, v11, s[0:1]
	v_cmp_eq_u32_e64 s[0:1], 1, v6
	v_and_b32_e32 v6, 1, v10
	v_cmp_eq_u32_e64 s[42:43], 1, v6
	s_or_b64 s[0:1], s[0:1], s[42:43]
	v_lshl_add_u64 v[2:3], v[12:13], 0, v[2:3]
	v_cndmask_b32_e64 v9, 0, 1, s[0:1]
	v_cndmask_b32_e64 v6, 0, 1, s[0:1]
; %bb.216:
	s_or_b64 exec, exec, s[44:45]
	v_mov_b32_dpp v11, v2 row_shr:4 row_mask:0xf bank_mask:0xf
	v_mov_b32_dpp v12, v3 row_shr:4 row_mask:0xf bank_mask:0xf
	;; [unrolled: 1-line block ×3, first 2 shown]
	v_cmp_lt_u32_e64 s[0:1], 3, v7
	s_and_saveexec_b64 s[44:45], s[0:1]
; %bb.217:
	v_cmp_eq_u16_e64 s[0:1], 0, v9
	v_and_b32_e32 v6, 1, v9
	s_nop 0
	v_cndmask_b32_e64 v13, 0, v12, s[0:1]
	v_cndmask_b32_e64 v12, 0, v11, s[0:1]
	v_cmp_eq_u32_e64 s[0:1], 1, v6
	v_and_b32_e32 v6, 1, v10
	v_cmp_eq_u32_e64 s[42:43], 1, v6
	s_or_b64 s[0:1], s[0:1], s[42:43]
	v_lshl_add_u64 v[2:3], v[12:13], 0, v[2:3]
	v_cndmask_b32_e64 v9, 0, 1, s[0:1]
	v_cndmask_b32_e64 v6, 0, 1, s[0:1]
; %bb.218:
	s_or_b64 exec, exec, s[44:45]
	v_mov_b32_dpp v11, v2 row_shr:8 row_mask:0xf bank_mask:0xf
	v_mov_b32_dpp v12, v3 row_shr:8 row_mask:0xf bank_mask:0xf
	;; [unrolled: 1-line block ×3, first 2 shown]
	v_cmp_lt_u32_e64 s[0:1], 7, v7
	s_and_saveexec_b64 s[44:45], s[0:1]
; %bb.219:
	v_cmp_eq_u16_e64 s[0:1], 0, v9
	s_nop 1
	v_cndmask_b32_e64 v7, 0, v12, s[0:1]
	v_cndmask_b32_e64 v6, 0, v11, s[0:1]
	v_lshl_add_u64 v[2:3], v[6:7], 0, v[2:3]
	v_and_b32_e32 v6, 1, v9
	v_cmp_eq_u32_e64 s[0:1], 1, v6
	v_and_b32_e32 v6, 1, v10
	v_cmp_eq_u32_e64 s[42:43], 1, v6
	s_or_b64 s[0:1], s[0:1], s[42:43]
	v_cndmask_b32_e64 v9, 0, 1, s[0:1]
	v_cndmask_b32_e64 v6, 0, 1, s[0:1]
; %bb.220:
	s_or_b64 exec, exec, s[44:45]
	v_and_b32_e32 v12, 16, v8
	v_mov_b32_dpp v10, v2 row_bcast:15 row_mask:0xf bank_mask:0xf
	v_mov_b32_dpp v11, v3 row_bcast:15 row_mask:0xf bank_mask:0xf
	;; [unrolled: 1-line block ×3, first 2 shown]
	v_cmp_ne_u32_e64 s[0:1], 0, v12
	s_and_saveexec_b64 s[44:45], s[0:1]
; %bb.221:
	v_cmp_eq_u16_e64 s[0:1], 0, v9
	v_and_b32_e32 v6, 1, v9
	s_nop 0
	v_cndmask_b32_e64 v11, 0, v11, s[0:1]
	v_cndmask_b32_e64 v10, 0, v10, s[0:1]
	v_cmp_eq_u32_e64 s[0:1], 1, v6
	v_and_b32_e32 v6, 1, v7
	v_cmp_eq_u32_e64 s[42:43], 1, v6
	s_or_b64 s[0:1], s[0:1], s[42:43]
	v_lshl_add_u64 v[2:3], v[10:11], 0, v[2:3]
	v_cndmask_b32_e64 v9, 0, 1, s[0:1]
	v_cndmask_b32_e64 v6, 0, 1, s[0:1]
; %bb.222:
	s_or_b64 exec, exec, s[44:45]
	v_mov_b32_dpp v7, v2 row_bcast:31 row_mask:0xf bank_mask:0xf
	v_mov_b32_dpp v10, v3 row_bcast:31 row_mask:0xf bank_mask:0xf
	;; [unrolled: 1-line block ×3, first 2 shown]
	v_cmp_lt_u32_e64 s[0:1], 31, v8
	s_and_saveexec_b64 s[44:45], s[0:1]
; %bb.223:
	v_cmp_eq_u16_e64 s[0:1], 0, v9
	v_and_b32_e32 v6, 1, v6
	v_cmp_eq_u32_e64 s[42:43], 1, v6
	v_cndmask_b32_e64 v11, 0, v10, s[0:1]
	v_cndmask_b32_e64 v10, 0, v7, s[0:1]
	v_and_b32_e32 v7, 1, v9
	v_cmp_eq_u32_e64 s[0:1], 1, v7
	s_or_b64 s[0:1], s[0:1], s[42:43]
	v_lshl_add_u64 v[2:3], v[10:11], 0, v[2:3]
	v_cndmask_b32_e64 v9, 0, 1, s[0:1]
; %bb.224:
	s_or_b64 exec, exec, s[44:45]
	v_or_b32_e32 v6, 63, v0
	v_lshrrev_b32_e32 v10, 6, v0
	v_cmp_eq_u32_e64 s[0:1], v6, v0
	s_and_saveexec_b64 s[42:43], s[0:1]
	s_cbranch_execz .LBB1600_226
; %bb.225:
	v_lshlrev_b32_e32 v6, 4, v10
	ds_write_b64 v6, v[2:3]
	ds_write_b8 v6, v9 offset:8
.LBB1600_226:
	s_or_b64 exec, exec, s[42:43]
	v_cmp_gt_u32_e64 s[0:1], 4, v0
	s_waitcnt lgkmcnt(0)
	s_barrier
	s_and_saveexec_b64 s[44:45], s[0:1]
	s_cbranch_execz .LBB1600_232
; %bb.227:
	v_lshlrev_b32_e32 v11, 4, v0
	ds_read_b64 v[6:7], v11
	ds_read_b32 v12, v11 offset:8
	v_and_b32_e32 v13, 3, v8
	v_cmp_ne_u32_e64 s[0:1], 0, v13
	s_waitcnt lgkmcnt(1)
	v_mov_b32_dpp v17, v6 row_shr:1 row_mask:0xf bank_mask:0xf
	v_mov_b32_dpp v18, v7 row_shr:1 row_mask:0xf bank_mask:0xf
	s_waitcnt lgkmcnt(0)
	v_mov_b32_dpp v16, v12 row_shr:1 row_mask:0xf bank_mask:0xf
	v_mov_b32_e32 v14, v12
	v_mov_b32_e32 v15, v12
	s_and_saveexec_b64 s[42:43], s[0:1]
; %bb.228:
	v_mov_b32_e32 v14, 0
	v_cmp_eq_u16_sdwa s[0:1], v12, v14 src0_sel:BYTE_0 src1_sel:DWORD
	s_nop 1
	v_cndmask_b32_e64 v15, 0, v18, s[0:1]
	v_cndmask_b32_e64 v14, 0, v17, s[0:1]
	v_lshl_add_u64 v[6:7], v[14:15], 0, v[6:7]
	v_or_b32_e32 v15, v16, v12
	v_and_b32_e32 v14, 1, v15
	v_and_b32_e32 v15, 1, v15
	s_movk_i32 s0, 0xff00
	v_and_or_b32 v12, v12, s0, v15
; %bb.229:
	s_or_b64 exec, exec, s[42:43]
	v_mov_b32_dpp v16, v6 row_shr:2 row_mask:0xf bank_mask:0xf
	v_mov_b32_dpp v17, v7 row_shr:2 row_mask:0xf bank_mask:0xf
	;; [unrolled: 1-line block ×3, first 2 shown]
	v_cmp_lt_u32_e64 s[0:1], 1, v13
	s_and_saveexec_b64 s[48:49], s[0:1]
; %bb.230:
	v_mov_b32_e32 v13, 0
	v_cmp_eq_u16_sdwa s[0:1], v15, v13 src0_sel:BYTE_0 src1_sel:DWORD
	v_and_b32_e32 v13, 1, v15
	v_and_b32_e32 v12, 1, v12
	v_cndmask_b32_e64 v17, 0, v17, s[0:1]
	v_cndmask_b32_e64 v16, 0, v16, s[0:1]
	v_cmp_eq_u32_e64 s[0:1], 1, v13
	v_cmp_eq_u32_e64 s[42:43], 1, v12
	s_or_b64 s[0:1], s[0:1], s[42:43]
	v_lshl_add_u64 v[6:7], v[16:17], 0, v[6:7]
	v_cndmask_b32_e64 v14, 0, 1, s[0:1]
; %bb.231:
	s_or_b64 exec, exec, s[48:49]
	ds_write_b64 v11, v[6:7]
	ds_write_b8 v11, v14 offset:8
.LBB1600_232:
	s_or_b64 exec, exec, s[44:45]
	v_cmp_lt_u32_e64 s[0:1], 63, v0
	s_waitcnt vmcnt(0)
	v_mov_b64_e32 v[6:7], v[4:5]
	s_waitcnt lgkmcnt(0)
	s_barrier
	s_and_saveexec_b64 s[42:43], s[0:1]
	s_cbranch_execz .LBB1600_234
; %bb.233:
	v_lshl_add_u32 v6, v10, 4, -16
	ds_read_u8 v10, v6 offset:8
	ds_read_b64 v[6:7], v6
	s_waitcnt lgkmcnt(1)
	v_cmp_eq_u16_e64 s[0:1], 0, v10
	s_nop 1
	v_cndmask_b32_e64 v11, 0, v5, s[0:1]
	v_cndmask_b32_e64 v10, 0, v4, s[0:1]
	s_waitcnt lgkmcnt(0)
	v_lshl_add_u64 v[6:7], v[10:11], 0, v[6:7]
.LBB1600_234:
	s_or_b64 exec, exec, s[42:43]
	v_cmp_eq_u16_e64 s[0:1], 0, v9
	v_add_u32_e32 v9, -1, v8
	s_nop 0
	v_cndmask_b32_e64 v11, 0, v7, s[0:1]
	v_cndmask_b32_e64 v10, 0, v6, s[0:1]
	v_lshl_add_u64 v[2:3], v[10:11], 0, v[2:3]
	v_and_b32_e32 v10, 64, v8
	v_cmp_lt_i32_e64 s[0:1], v9, v10
	v_mov_b32_e32 v10, 0
	s_nop 0
	v_cndmask_b32_e64 v9, v9, v8, s[0:1]
	v_lshlrev_b32_e32 v9, 2, v9
	ds_bpermute_b32 v3, v9, v3
	ds_bpermute_b32 v2, v9, v2
	v_cmp_eq_u32_e64 s[0:1], 0, v8
	s_waitcnt lgkmcnt(1)
	s_nop 0
	v_cndmask_b32_e64 v85, v3, v7, s[0:1]
	s_waitcnt lgkmcnt(0)
	v_cndmask_b32_e64 v84, v2, v6, s[0:1]
	v_cndmask_b32_e64 v2, v84, v4, s[46:47]
	v_cndmask_b32_e64 v3, v85, v5, s[46:47]
	v_cmp_eq_u16_sdwa s[0:1], v1, v10 src0_sel:BYTE_0 src1_sel:DWORD
	s_nop 1
	v_cndmask_b32_e64 v3, 0, v3, s[0:1]
	v_cndmask_b32_e64 v2, 0, v2, s[0:1]
	v_lshl_add_u64 v[6:7], v[2:3], 0, v[44:45]
	v_cndmask_b32_e32 v3, 0, v7, vcc
	v_cndmask_b32_e32 v2, 0, v6, vcc
	v_lshl_add_u64 v[2:3], v[2:3], 0, v[46:47]
	v_cndmask_b32_e64 v9, 0, v3, s[4:5]
	v_cndmask_b32_e64 v8, 0, v2, s[4:5]
	v_lshl_add_u64 v[86:87], v[8:9], 0, v[48:49]
	v_cndmask_b32_e64 v9, 0, v87, s[6:7]
	v_cndmask_b32_e64 v8, 0, v86, s[6:7]
	;; [unrolled: 3-line block ×18, first 2 shown]
	s_and_saveexec_b64 s[0:1], s[46:47]
	s_cbranch_execz .LBB1600_236
; %bb.235:
	ds_read_u8 v1, v10 offset:56
	ds_read_b64 v[14:15], v10 offset:48
	v_mov_b64_e32 v[84:85], v[4:5]
	s_waitcnt lgkmcnt(1)
	v_cmp_eq_u32_e32 vcc, 0, v1
	s_nop 1
	v_cndmask_b32_e32 v19, 0, v5, vcc
	v_cndmask_b32_e32 v18, 0, v4, vcc
	s_waitcnt lgkmcnt(0)
	v_lshl_add_u64 v[14:15], v[18:19], 0, v[14:15]
	global_store_dword v10, v14, s[50:51] offset:1024 sc1
	global_store_dword v10, v15, s[50:51] offset:1028 sc1
	;; [unrolled: 1-line block ×4, first 2 shown]
	v_mov_b32_e32 v1, 2
	s_waitcnt vmcnt(0)
	global_store_byte v10, v1, s[52:53] offset:64 sc1
.LBB1600_236:
	s_or_b64 exec, exec, s[0:1]
.LBB1600_237:
	s_add_u32 s0, s62, s56
	s_addc_u32 s1, s63, s57
	v_lshl_add_u64 v[14:15], v[104:105], 0, v[40:41]
	v_lshl_add_u64 v[4:5], s[0:1], 0, v[42:43]
	s_and_b64 vcc, exec, s[2:3]
	v_lshlrev_b32_e32 v10, 3, v0
	s_cbranch_vccz .LBB1600_279
; %bb.238:
	s_movk_i32 s0, 0xa8
	v_mul_i32_i24_e32 v22, 0xffffff60, v0
	v_mul_u32_u24_e32 v1, 0xa8, v0
	v_mad_u32_u24 v11, v0, s0, v22
	s_barrier
	ds_write2_b64 v1, v[84:85], v[6:7] offset1:1
	ds_write2_b64 v1, v[2:3], v[86:87] offset0:2 offset1:3
	ds_write2_b64 v1, v[8:9], v[88:89] offset0:4 offset1:5
	;; [unrolled: 1-line block ×9, first 2 shown]
	ds_write_b64 v1, v[14:15] offset:160
	s_waitcnt lgkmcnt(0)
	s_barrier
	ds_read2st64_b64 v[74:77], v11 offset0:4 offset1:8
	ds_read2st64_b64 v[70:73], v11 offset0:12 offset1:16
	ds_read2st64_b64 v[66:69], v11 offset0:20 offset1:24
	ds_read2st64_b64 v[62:65], v11 offset0:28 offset1:32
	ds_read2st64_b64 v[58:61], v11 offset0:36 offset1:40
	ds_read2st64_b64 v[54:57], v11 offset0:44 offset1:48
	ds_read2st64_b64 v[50:53], v11 offset0:52 offset1:56
	ds_read2st64_b64 v[46:49], v11 offset0:60 offset1:64
	ds_read2st64_b64 v[42:45], v11 offset0:68 offset1:72
	ds_read2st64_b64 v[38:41], v11 offset0:76 offset1:80
	s_add_i32 s33, s33, s54
	v_mov_b32_e32 v11, 0
	v_lshl_add_u64 v[18:19], v[4:5], 0, v[10:11]
	v_cmp_gt_u32_e32 vcc, s33, v0
	s_and_saveexec_b64 s[0:1], vcc
	s_cbranch_execz .LBB1600_240
; %bb.239:
	v_add_u32_e32 v1, v1, v22
	ds_read_b64 v[22:23], v1
	s_waitcnt lgkmcnt(0)
	flat_store_dwordx2 v[18:19], v[22:23]
.LBB1600_240:
	s_or_b64 exec, exec, s[0:1]
	v_or_b32_e32 v1, 0x100, v0
	v_cmp_gt_u32_e32 vcc, s33, v1
	s_and_saveexec_b64 s[0:1], vcc
	s_cbranch_execz .LBB1600_242
; %bb.241:
	s_waitcnt lgkmcnt(0)
	flat_store_dwordx2 v[18:19], v[74:75] offset:2048
.LBB1600_242:
	s_or_b64 exec, exec, s[0:1]
	v_or_b32_e32 v1, 0x200, v0
	v_cmp_gt_u32_e32 vcc, s33, v1
	s_and_saveexec_b64 s[0:1], vcc
	s_cbranch_execz .LBB1600_244
; %bb.243:
	v_add_co_u32_e32 v22, vcc, 0x1000, v18
	s_nop 1
	v_addc_co_u32_e32 v23, vcc, 0, v19, vcc
	s_waitcnt lgkmcnt(0)
	flat_store_dwordx2 v[22:23], v[76:77]
.LBB1600_244:
	s_or_b64 exec, exec, s[0:1]
	v_or_b32_e32 v1, 0x300, v0
	v_cmp_gt_u32_e32 vcc, s33, v1
	s_and_saveexec_b64 s[0:1], vcc
	s_cbranch_execz .LBB1600_246
; %bb.245:
	v_add_co_u32_e32 v22, vcc, 0x1000, v18
	s_nop 1
	v_addc_co_u32_e32 v23, vcc, 0, v19, vcc
	s_waitcnt lgkmcnt(0)
	flat_store_dwordx2 v[22:23], v[70:71] offset:2048
.LBB1600_246:
	s_or_b64 exec, exec, s[0:1]
	v_or_b32_e32 v1, 0x400, v0
	v_cmp_gt_u32_e32 vcc, s33, v1
	s_and_saveexec_b64 s[0:1], vcc
	s_cbranch_execz .LBB1600_248
; %bb.247:
	v_add_co_u32_e32 v22, vcc, 0x2000, v18
	s_nop 1
	v_addc_co_u32_e32 v23, vcc, 0, v19, vcc
	s_waitcnt lgkmcnt(0)
	flat_store_dwordx2 v[22:23], v[72:73]
.LBB1600_248:
	s_or_b64 exec, exec, s[0:1]
	v_or_b32_e32 v1, 0x500, v0
	v_cmp_gt_u32_e32 vcc, s33, v1
	s_and_saveexec_b64 s[0:1], vcc
	s_cbranch_execz .LBB1600_250
; %bb.249:
	v_add_co_u32_e32 v22, vcc, 0x2000, v18
	s_nop 1
	v_addc_co_u32_e32 v23, vcc, 0, v19, vcc
	s_waitcnt lgkmcnt(0)
	flat_store_dwordx2 v[22:23], v[66:67] offset:2048
.LBB1600_250:
	;; [unrolled: 24-line block ×9, first 2 shown]
	s_or_b64 exec, exec, s[0:1]
	v_mov_b32_e32 v1, v11
	v_or_b32_e32 v11, 0x1400, v0
	v_cmp_gt_u32_e64 s[0:1], s33, v11
	s_branch .LBB1600_281
.LBB1600_279:
	s_mov_b64 s[0:1], 0
                                        ; implicit-def: $vgpr40_vgpr41
	s_cbranch_execz .LBB1600_281
; %bb.280:
	v_mul_u32_u24_e32 v1, 0xa8, v0
	s_waitcnt lgkmcnt(0)
	s_barrier
	s_movk_i32 s2, 0xa8
	ds_write2_b64 v1, v[84:85], v[6:7] offset1:1
	ds_write2_b64 v1, v[2:3], v[86:87] offset0:2 offset1:3
	ds_write2_b64 v1, v[8:9], v[88:89] offset0:4 offset1:5
	ds_write2_b64 v1, v[12:13], v[90:91] offset0:6 offset1:7
	ds_write2_b64 v1, v[16:17], v[92:93] offset0:8 offset1:9
	ds_write2_b64 v1, v[20:21], v[94:95] offset0:10 offset1:11
	ds_write2_b64 v1, v[24:25], v[96:97] offset0:12 offset1:13
	ds_write2_b64 v1, v[28:29], v[98:99] offset0:14 offset1:15
	ds_write2_b64 v1, v[32:33], v[100:101] offset0:16 offset1:17
	ds_write2_b64 v1, v[36:37], v[102:103] offset0:18 offset1:19
	ds_write_b64 v1, v[14:15] offset:160
	v_mov_b32_e32 v1, 0
	v_mul_i32_i24_e32 v2, 0xffffff60, v0
	v_mad_u32_u24 v2, v0, s2, v2
	v_mov_b32_e32 v11, v1
	s_waitcnt lgkmcnt(0)
	s_barrier
	ds_read2st64_b64 v[6:9], v2 offset1:4
	ds_read2st64_b64 v[12:15], v2 offset0:8 offset1:12
	ds_read2st64_b64 v[16:19], v2 offset0:16 offset1:20
	;; [unrolled: 1-line block ×9, first 2 shown]
	ds_read_b64 v[40:41], v2 offset:40960
	v_lshl_add_u64 v[2:3], v[4:5], 0, v[10:11]
	s_movk_i32 s2, 0x1000
	s_waitcnt lgkmcnt(0)
	flat_store_dwordx2 v[2:3], v[6:7]
	flat_store_dwordx2 v[2:3], v[8:9] offset:2048
	v_add_co_u32_e32 v6, vcc, s2, v2
	s_movk_i32 s2, 0x2000
	s_nop 0
	v_addc_co_u32_e32 v7, vcc, 0, v3, vcc
	flat_store_dwordx2 v[6:7], v[12:13]
	flat_store_dwordx2 v[6:7], v[14:15] offset:2048
	v_add_co_u32_e32 v6, vcc, s2, v2
	s_movk_i32 s2, 0x3000
	s_nop 0
	v_addc_co_u32_e32 v7, vcc, 0, v3, vcc
	;; [unrolled: 6-line block ×6, first 2 shown]
	flat_store_dwordx2 v[6:7], v[32:33]
	flat_store_dwordx2 v[6:7], v[34:35] offset:2048
	v_add_co_u32_e32 v6, vcc, s2, v2
	s_or_b64 s[0:1], s[0:1], exec
	s_nop 0
	v_addc_co_u32_e32 v7, vcc, 0, v3, vcc
	flat_store_dwordx2 v[6:7], v[36:37]
	flat_store_dwordx2 v[6:7], v[38:39] offset:2048
	v_add_co_u32_e32 v6, vcc, 0x8000, v2
	s_nop 1
	v_addc_co_u32_e32 v7, vcc, 0, v3, vcc
	v_add_co_u32_e32 v2, vcc, 0x9000, v2
	flat_store_dwordx2 v[6:7], v[42:43]
	flat_store_dwordx2 v[6:7], v[44:45] offset:2048
	v_addc_co_u32_e32 v3, vcc, 0, v3, vcc
	flat_store_dwordx2 v[2:3], v[46:47]
	flat_store_dwordx2 v[2:3], v[48:49] offset:2048
.LBB1600_281:
	s_and_saveexec_b64 s[2:3], s[0:1]
	s_cbranch_execz .LBB1600_283
; %bb.282:
	v_lshl_add_u64 v[0:1], v[0:1], 3, v[4:5]
	v_add_co_u32_e32 v0, vcc, 0xa000, v0
	s_nop 1
	v_addc_co_u32_e32 v1, vcc, 0, v1, vcc
	s_waitcnt lgkmcnt(0)
	flat_store_dwordx2 v[0:1], v[40:41]
	s_endpgm
.LBB1600_283:
	s_endpgm
	.section	.rodata,"a",@progbits
	.p2align	6, 0x0
	.amdhsa_kernel _ZN7rocprim17ROCPRIM_400000_NS6detail17trampoline_kernelINS0_14default_configENS1_27scan_by_key_config_selectorIixEEZZNS1_16scan_by_key_implILNS1_25lookback_scan_determinismE0ELb1ES3_N6thrust23THRUST_200600_302600_NS6detail15normal_iteratorINS9_10device_ptrIiEEEENSB_INSC_IxEEEESG_xNS9_4plusIvEENS9_8equal_toIvEExEE10hipError_tPvRmT2_T3_T4_T5_mT6_T7_P12ihipStream_tbENKUlT_T0_E_clISt17integral_constantIbLb0EES10_IbLb1EEEEDaSW_SX_EUlSW_E_NS1_11comp_targetILNS1_3genE5ELNS1_11target_archE942ELNS1_3gpuE9ELNS1_3repE0EEENS1_30default_config_static_selectorELNS0_4arch9wavefront6targetE1EEEvT1_
		.amdhsa_group_segment_fixed_size 43008
		.amdhsa_private_segment_fixed_size 0
		.amdhsa_kernarg_size 136
		.amdhsa_user_sgpr_count 2
		.amdhsa_user_sgpr_dispatch_ptr 0
		.amdhsa_user_sgpr_queue_ptr 0
		.amdhsa_user_sgpr_kernarg_segment_ptr 1
		.amdhsa_user_sgpr_dispatch_id 0
		.amdhsa_user_sgpr_kernarg_preload_length 0
		.amdhsa_user_sgpr_kernarg_preload_offset 0
		.amdhsa_user_sgpr_private_segment_size 0
		.amdhsa_uses_dynamic_stack 0
		.amdhsa_enable_private_segment 0
		.amdhsa_system_sgpr_workgroup_id_x 1
		.amdhsa_system_sgpr_workgroup_id_y 0
		.amdhsa_system_sgpr_workgroup_id_z 0
		.amdhsa_system_sgpr_workgroup_info 0
		.amdhsa_system_vgpr_workitem_id 0
		.amdhsa_next_free_vgpr 128
		.amdhsa_next_free_sgpr 73
		.amdhsa_accum_offset 128
		.amdhsa_reserve_vcc 1
		.amdhsa_float_round_mode_32 0
		.amdhsa_float_round_mode_16_64 0
		.amdhsa_float_denorm_mode_32 3
		.amdhsa_float_denorm_mode_16_64 3
		.amdhsa_dx10_clamp 1
		.amdhsa_ieee_mode 1
		.amdhsa_fp16_overflow 0
		.amdhsa_tg_split 0
		.amdhsa_exception_fp_ieee_invalid_op 0
		.amdhsa_exception_fp_denorm_src 0
		.amdhsa_exception_fp_ieee_div_zero 0
		.amdhsa_exception_fp_ieee_overflow 0
		.amdhsa_exception_fp_ieee_underflow 0
		.amdhsa_exception_fp_ieee_inexact 0
		.amdhsa_exception_int_div_zero 0
	.end_amdhsa_kernel
	.section	.text._ZN7rocprim17ROCPRIM_400000_NS6detail17trampoline_kernelINS0_14default_configENS1_27scan_by_key_config_selectorIixEEZZNS1_16scan_by_key_implILNS1_25lookback_scan_determinismE0ELb1ES3_N6thrust23THRUST_200600_302600_NS6detail15normal_iteratorINS9_10device_ptrIiEEEENSB_INSC_IxEEEESG_xNS9_4plusIvEENS9_8equal_toIvEExEE10hipError_tPvRmT2_T3_T4_T5_mT6_T7_P12ihipStream_tbENKUlT_T0_E_clISt17integral_constantIbLb0EES10_IbLb1EEEEDaSW_SX_EUlSW_E_NS1_11comp_targetILNS1_3genE5ELNS1_11target_archE942ELNS1_3gpuE9ELNS1_3repE0EEENS1_30default_config_static_selectorELNS0_4arch9wavefront6targetE1EEEvT1_,"axG",@progbits,_ZN7rocprim17ROCPRIM_400000_NS6detail17trampoline_kernelINS0_14default_configENS1_27scan_by_key_config_selectorIixEEZZNS1_16scan_by_key_implILNS1_25lookback_scan_determinismE0ELb1ES3_N6thrust23THRUST_200600_302600_NS6detail15normal_iteratorINS9_10device_ptrIiEEEENSB_INSC_IxEEEESG_xNS9_4plusIvEENS9_8equal_toIvEExEE10hipError_tPvRmT2_T3_T4_T5_mT6_T7_P12ihipStream_tbENKUlT_T0_E_clISt17integral_constantIbLb0EES10_IbLb1EEEEDaSW_SX_EUlSW_E_NS1_11comp_targetILNS1_3genE5ELNS1_11target_archE942ELNS1_3gpuE9ELNS1_3repE0EEENS1_30default_config_static_selectorELNS0_4arch9wavefront6targetE1EEEvT1_,comdat
.Lfunc_end1600:
	.size	_ZN7rocprim17ROCPRIM_400000_NS6detail17trampoline_kernelINS0_14default_configENS1_27scan_by_key_config_selectorIixEEZZNS1_16scan_by_key_implILNS1_25lookback_scan_determinismE0ELb1ES3_N6thrust23THRUST_200600_302600_NS6detail15normal_iteratorINS9_10device_ptrIiEEEENSB_INSC_IxEEEESG_xNS9_4plusIvEENS9_8equal_toIvEExEE10hipError_tPvRmT2_T3_T4_T5_mT6_T7_P12ihipStream_tbENKUlT_T0_E_clISt17integral_constantIbLb0EES10_IbLb1EEEEDaSW_SX_EUlSW_E_NS1_11comp_targetILNS1_3genE5ELNS1_11target_archE942ELNS1_3gpuE9ELNS1_3repE0EEENS1_30default_config_static_selectorELNS0_4arch9wavefront6targetE1EEEvT1_, .Lfunc_end1600-_ZN7rocprim17ROCPRIM_400000_NS6detail17trampoline_kernelINS0_14default_configENS1_27scan_by_key_config_selectorIixEEZZNS1_16scan_by_key_implILNS1_25lookback_scan_determinismE0ELb1ES3_N6thrust23THRUST_200600_302600_NS6detail15normal_iteratorINS9_10device_ptrIiEEEENSB_INSC_IxEEEESG_xNS9_4plusIvEENS9_8equal_toIvEExEE10hipError_tPvRmT2_T3_T4_T5_mT6_T7_P12ihipStream_tbENKUlT_T0_E_clISt17integral_constantIbLb0EES10_IbLb1EEEEDaSW_SX_EUlSW_E_NS1_11comp_targetILNS1_3genE5ELNS1_11target_archE942ELNS1_3gpuE9ELNS1_3repE0EEENS1_30default_config_static_selectorELNS0_4arch9wavefront6targetE1EEEvT1_
                                        ; -- End function
	.section	.AMDGPU.csdata,"",@progbits
; Kernel info:
; codeLenInByte = 17196
; NumSgprs: 79
; NumVgprs: 128
; NumAgprs: 0
; TotalNumVgprs: 128
; ScratchSize: 0
; MemoryBound: 0
; FloatMode: 240
; IeeeMode: 1
; LDSByteSize: 43008 bytes/workgroup (compile time only)
; SGPRBlocks: 9
; VGPRBlocks: 15
; NumSGPRsForWavesPerEU: 79
; NumVGPRsForWavesPerEU: 128
; AccumOffset: 128
; Occupancy: 1
; WaveLimiterHint : 1
; COMPUTE_PGM_RSRC2:SCRATCH_EN: 0
; COMPUTE_PGM_RSRC2:USER_SGPR: 2
; COMPUTE_PGM_RSRC2:TRAP_HANDLER: 0
; COMPUTE_PGM_RSRC2:TGID_X_EN: 1
; COMPUTE_PGM_RSRC2:TGID_Y_EN: 0
; COMPUTE_PGM_RSRC2:TGID_Z_EN: 0
; COMPUTE_PGM_RSRC2:TIDIG_COMP_CNT: 0
; COMPUTE_PGM_RSRC3_GFX90A:ACCUM_OFFSET: 31
; COMPUTE_PGM_RSRC3_GFX90A:TG_SPLIT: 0
	.section	.text._ZN7rocprim17ROCPRIM_400000_NS6detail17trampoline_kernelINS0_14default_configENS1_27scan_by_key_config_selectorIixEEZZNS1_16scan_by_key_implILNS1_25lookback_scan_determinismE0ELb1ES3_N6thrust23THRUST_200600_302600_NS6detail15normal_iteratorINS9_10device_ptrIiEEEENSB_INSC_IxEEEESG_xNS9_4plusIvEENS9_8equal_toIvEExEE10hipError_tPvRmT2_T3_T4_T5_mT6_T7_P12ihipStream_tbENKUlT_T0_E_clISt17integral_constantIbLb0EES10_IbLb1EEEEDaSW_SX_EUlSW_E_NS1_11comp_targetILNS1_3genE4ELNS1_11target_archE910ELNS1_3gpuE8ELNS1_3repE0EEENS1_30default_config_static_selectorELNS0_4arch9wavefront6targetE1EEEvT1_,"axG",@progbits,_ZN7rocprim17ROCPRIM_400000_NS6detail17trampoline_kernelINS0_14default_configENS1_27scan_by_key_config_selectorIixEEZZNS1_16scan_by_key_implILNS1_25lookback_scan_determinismE0ELb1ES3_N6thrust23THRUST_200600_302600_NS6detail15normal_iteratorINS9_10device_ptrIiEEEENSB_INSC_IxEEEESG_xNS9_4plusIvEENS9_8equal_toIvEExEE10hipError_tPvRmT2_T3_T4_T5_mT6_T7_P12ihipStream_tbENKUlT_T0_E_clISt17integral_constantIbLb0EES10_IbLb1EEEEDaSW_SX_EUlSW_E_NS1_11comp_targetILNS1_3genE4ELNS1_11target_archE910ELNS1_3gpuE8ELNS1_3repE0EEENS1_30default_config_static_selectorELNS0_4arch9wavefront6targetE1EEEvT1_,comdat
	.protected	_ZN7rocprim17ROCPRIM_400000_NS6detail17trampoline_kernelINS0_14default_configENS1_27scan_by_key_config_selectorIixEEZZNS1_16scan_by_key_implILNS1_25lookback_scan_determinismE0ELb1ES3_N6thrust23THRUST_200600_302600_NS6detail15normal_iteratorINS9_10device_ptrIiEEEENSB_INSC_IxEEEESG_xNS9_4plusIvEENS9_8equal_toIvEExEE10hipError_tPvRmT2_T3_T4_T5_mT6_T7_P12ihipStream_tbENKUlT_T0_E_clISt17integral_constantIbLb0EES10_IbLb1EEEEDaSW_SX_EUlSW_E_NS1_11comp_targetILNS1_3genE4ELNS1_11target_archE910ELNS1_3gpuE8ELNS1_3repE0EEENS1_30default_config_static_selectorELNS0_4arch9wavefront6targetE1EEEvT1_ ; -- Begin function _ZN7rocprim17ROCPRIM_400000_NS6detail17trampoline_kernelINS0_14default_configENS1_27scan_by_key_config_selectorIixEEZZNS1_16scan_by_key_implILNS1_25lookback_scan_determinismE0ELb1ES3_N6thrust23THRUST_200600_302600_NS6detail15normal_iteratorINS9_10device_ptrIiEEEENSB_INSC_IxEEEESG_xNS9_4plusIvEENS9_8equal_toIvEExEE10hipError_tPvRmT2_T3_T4_T5_mT6_T7_P12ihipStream_tbENKUlT_T0_E_clISt17integral_constantIbLb0EES10_IbLb1EEEEDaSW_SX_EUlSW_E_NS1_11comp_targetILNS1_3genE4ELNS1_11target_archE910ELNS1_3gpuE8ELNS1_3repE0EEENS1_30default_config_static_selectorELNS0_4arch9wavefront6targetE1EEEvT1_
	.globl	_ZN7rocprim17ROCPRIM_400000_NS6detail17trampoline_kernelINS0_14default_configENS1_27scan_by_key_config_selectorIixEEZZNS1_16scan_by_key_implILNS1_25lookback_scan_determinismE0ELb1ES3_N6thrust23THRUST_200600_302600_NS6detail15normal_iteratorINS9_10device_ptrIiEEEENSB_INSC_IxEEEESG_xNS9_4plusIvEENS9_8equal_toIvEExEE10hipError_tPvRmT2_T3_T4_T5_mT6_T7_P12ihipStream_tbENKUlT_T0_E_clISt17integral_constantIbLb0EES10_IbLb1EEEEDaSW_SX_EUlSW_E_NS1_11comp_targetILNS1_3genE4ELNS1_11target_archE910ELNS1_3gpuE8ELNS1_3repE0EEENS1_30default_config_static_selectorELNS0_4arch9wavefront6targetE1EEEvT1_
	.p2align	8
	.type	_ZN7rocprim17ROCPRIM_400000_NS6detail17trampoline_kernelINS0_14default_configENS1_27scan_by_key_config_selectorIixEEZZNS1_16scan_by_key_implILNS1_25lookback_scan_determinismE0ELb1ES3_N6thrust23THRUST_200600_302600_NS6detail15normal_iteratorINS9_10device_ptrIiEEEENSB_INSC_IxEEEESG_xNS9_4plusIvEENS9_8equal_toIvEExEE10hipError_tPvRmT2_T3_T4_T5_mT6_T7_P12ihipStream_tbENKUlT_T0_E_clISt17integral_constantIbLb0EES10_IbLb1EEEEDaSW_SX_EUlSW_E_NS1_11comp_targetILNS1_3genE4ELNS1_11target_archE910ELNS1_3gpuE8ELNS1_3repE0EEENS1_30default_config_static_selectorELNS0_4arch9wavefront6targetE1EEEvT1_,@function
_ZN7rocprim17ROCPRIM_400000_NS6detail17trampoline_kernelINS0_14default_configENS1_27scan_by_key_config_selectorIixEEZZNS1_16scan_by_key_implILNS1_25lookback_scan_determinismE0ELb1ES3_N6thrust23THRUST_200600_302600_NS6detail15normal_iteratorINS9_10device_ptrIiEEEENSB_INSC_IxEEEESG_xNS9_4plusIvEENS9_8equal_toIvEExEE10hipError_tPvRmT2_T3_T4_T5_mT6_T7_P12ihipStream_tbENKUlT_T0_E_clISt17integral_constantIbLb0EES10_IbLb1EEEEDaSW_SX_EUlSW_E_NS1_11comp_targetILNS1_3genE4ELNS1_11target_archE910ELNS1_3gpuE8ELNS1_3repE0EEENS1_30default_config_static_selectorELNS0_4arch9wavefront6targetE1EEEvT1_: ; @_ZN7rocprim17ROCPRIM_400000_NS6detail17trampoline_kernelINS0_14default_configENS1_27scan_by_key_config_selectorIixEEZZNS1_16scan_by_key_implILNS1_25lookback_scan_determinismE0ELb1ES3_N6thrust23THRUST_200600_302600_NS6detail15normal_iteratorINS9_10device_ptrIiEEEENSB_INSC_IxEEEESG_xNS9_4plusIvEENS9_8equal_toIvEExEE10hipError_tPvRmT2_T3_T4_T5_mT6_T7_P12ihipStream_tbENKUlT_T0_E_clISt17integral_constantIbLb0EES10_IbLb1EEEEDaSW_SX_EUlSW_E_NS1_11comp_targetILNS1_3genE4ELNS1_11target_archE910ELNS1_3gpuE8ELNS1_3repE0EEENS1_30default_config_static_selectorELNS0_4arch9wavefront6targetE1EEEvT1_
; %bb.0:
	.section	.rodata,"a",@progbits
	.p2align	6, 0x0
	.amdhsa_kernel _ZN7rocprim17ROCPRIM_400000_NS6detail17trampoline_kernelINS0_14default_configENS1_27scan_by_key_config_selectorIixEEZZNS1_16scan_by_key_implILNS1_25lookback_scan_determinismE0ELb1ES3_N6thrust23THRUST_200600_302600_NS6detail15normal_iteratorINS9_10device_ptrIiEEEENSB_INSC_IxEEEESG_xNS9_4plusIvEENS9_8equal_toIvEExEE10hipError_tPvRmT2_T3_T4_T5_mT6_T7_P12ihipStream_tbENKUlT_T0_E_clISt17integral_constantIbLb0EES10_IbLb1EEEEDaSW_SX_EUlSW_E_NS1_11comp_targetILNS1_3genE4ELNS1_11target_archE910ELNS1_3gpuE8ELNS1_3repE0EEENS1_30default_config_static_selectorELNS0_4arch9wavefront6targetE1EEEvT1_
		.amdhsa_group_segment_fixed_size 0
		.amdhsa_private_segment_fixed_size 0
		.amdhsa_kernarg_size 136
		.amdhsa_user_sgpr_count 2
		.amdhsa_user_sgpr_dispatch_ptr 0
		.amdhsa_user_sgpr_queue_ptr 0
		.amdhsa_user_sgpr_kernarg_segment_ptr 1
		.amdhsa_user_sgpr_dispatch_id 0
		.amdhsa_user_sgpr_kernarg_preload_length 0
		.amdhsa_user_sgpr_kernarg_preload_offset 0
		.amdhsa_user_sgpr_private_segment_size 0
		.amdhsa_uses_dynamic_stack 0
		.amdhsa_enable_private_segment 0
		.amdhsa_system_sgpr_workgroup_id_x 1
		.amdhsa_system_sgpr_workgroup_id_y 0
		.amdhsa_system_sgpr_workgroup_id_z 0
		.amdhsa_system_sgpr_workgroup_info 0
		.amdhsa_system_vgpr_workitem_id 0
		.amdhsa_next_free_vgpr 1
		.amdhsa_next_free_sgpr 0
		.amdhsa_accum_offset 4
		.amdhsa_reserve_vcc 0
		.amdhsa_float_round_mode_32 0
		.amdhsa_float_round_mode_16_64 0
		.amdhsa_float_denorm_mode_32 3
		.amdhsa_float_denorm_mode_16_64 3
		.amdhsa_dx10_clamp 1
		.amdhsa_ieee_mode 1
		.amdhsa_fp16_overflow 0
		.amdhsa_tg_split 0
		.amdhsa_exception_fp_ieee_invalid_op 0
		.amdhsa_exception_fp_denorm_src 0
		.amdhsa_exception_fp_ieee_div_zero 0
		.amdhsa_exception_fp_ieee_overflow 0
		.amdhsa_exception_fp_ieee_underflow 0
		.amdhsa_exception_fp_ieee_inexact 0
		.amdhsa_exception_int_div_zero 0
	.end_amdhsa_kernel
	.section	.text._ZN7rocprim17ROCPRIM_400000_NS6detail17trampoline_kernelINS0_14default_configENS1_27scan_by_key_config_selectorIixEEZZNS1_16scan_by_key_implILNS1_25lookback_scan_determinismE0ELb1ES3_N6thrust23THRUST_200600_302600_NS6detail15normal_iteratorINS9_10device_ptrIiEEEENSB_INSC_IxEEEESG_xNS9_4plusIvEENS9_8equal_toIvEExEE10hipError_tPvRmT2_T3_T4_T5_mT6_T7_P12ihipStream_tbENKUlT_T0_E_clISt17integral_constantIbLb0EES10_IbLb1EEEEDaSW_SX_EUlSW_E_NS1_11comp_targetILNS1_3genE4ELNS1_11target_archE910ELNS1_3gpuE8ELNS1_3repE0EEENS1_30default_config_static_selectorELNS0_4arch9wavefront6targetE1EEEvT1_,"axG",@progbits,_ZN7rocprim17ROCPRIM_400000_NS6detail17trampoline_kernelINS0_14default_configENS1_27scan_by_key_config_selectorIixEEZZNS1_16scan_by_key_implILNS1_25lookback_scan_determinismE0ELb1ES3_N6thrust23THRUST_200600_302600_NS6detail15normal_iteratorINS9_10device_ptrIiEEEENSB_INSC_IxEEEESG_xNS9_4plusIvEENS9_8equal_toIvEExEE10hipError_tPvRmT2_T3_T4_T5_mT6_T7_P12ihipStream_tbENKUlT_T0_E_clISt17integral_constantIbLb0EES10_IbLb1EEEEDaSW_SX_EUlSW_E_NS1_11comp_targetILNS1_3genE4ELNS1_11target_archE910ELNS1_3gpuE8ELNS1_3repE0EEENS1_30default_config_static_selectorELNS0_4arch9wavefront6targetE1EEEvT1_,comdat
.Lfunc_end1601:
	.size	_ZN7rocprim17ROCPRIM_400000_NS6detail17trampoline_kernelINS0_14default_configENS1_27scan_by_key_config_selectorIixEEZZNS1_16scan_by_key_implILNS1_25lookback_scan_determinismE0ELb1ES3_N6thrust23THRUST_200600_302600_NS6detail15normal_iteratorINS9_10device_ptrIiEEEENSB_INSC_IxEEEESG_xNS9_4plusIvEENS9_8equal_toIvEExEE10hipError_tPvRmT2_T3_T4_T5_mT6_T7_P12ihipStream_tbENKUlT_T0_E_clISt17integral_constantIbLb0EES10_IbLb1EEEEDaSW_SX_EUlSW_E_NS1_11comp_targetILNS1_3genE4ELNS1_11target_archE910ELNS1_3gpuE8ELNS1_3repE0EEENS1_30default_config_static_selectorELNS0_4arch9wavefront6targetE1EEEvT1_, .Lfunc_end1601-_ZN7rocprim17ROCPRIM_400000_NS6detail17trampoline_kernelINS0_14default_configENS1_27scan_by_key_config_selectorIixEEZZNS1_16scan_by_key_implILNS1_25lookback_scan_determinismE0ELb1ES3_N6thrust23THRUST_200600_302600_NS6detail15normal_iteratorINS9_10device_ptrIiEEEENSB_INSC_IxEEEESG_xNS9_4plusIvEENS9_8equal_toIvEExEE10hipError_tPvRmT2_T3_T4_T5_mT6_T7_P12ihipStream_tbENKUlT_T0_E_clISt17integral_constantIbLb0EES10_IbLb1EEEEDaSW_SX_EUlSW_E_NS1_11comp_targetILNS1_3genE4ELNS1_11target_archE910ELNS1_3gpuE8ELNS1_3repE0EEENS1_30default_config_static_selectorELNS0_4arch9wavefront6targetE1EEEvT1_
                                        ; -- End function
	.section	.AMDGPU.csdata,"",@progbits
; Kernel info:
; codeLenInByte = 0
; NumSgprs: 6
; NumVgprs: 0
; NumAgprs: 0
; TotalNumVgprs: 0
; ScratchSize: 0
; MemoryBound: 0
; FloatMode: 240
; IeeeMode: 1
; LDSByteSize: 0 bytes/workgroup (compile time only)
; SGPRBlocks: 0
; VGPRBlocks: 0
; NumSGPRsForWavesPerEU: 6
; NumVGPRsForWavesPerEU: 1
; AccumOffset: 4
; Occupancy: 8
; WaveLimiterHint : 0
; COMPUTE_PGM_RSRC2:SCRATCH_EN: 0
; COMPUTE_PGM_RSRC2:USER_SGPR: 2
; COMPUTE_PGM_RSRC2:TRAP_HANDLER: 0
; COMPUTE_PGM_RSRC2:TGID_X_EN: 1
; COMPUTE_PGM_RSRC2:TGID_Y_EN: 0
; COMPUTE_PGM_RSRC2:TGID_Z_EN: 0
; COMPUTE_PGM_RSRC2:TIDIG_COMP_CNT: 0
; COMPUTE_PGM_RSRC3_GFX90A:ACCUM_OFFSET: 0
; COMPUTE_PGM_RSRC3_GFX90A:TG_SPLIT: 0
	.section	.text._ZN7rocprim17ROCPRIM_400000_NS6detail17trampoline_kernelINS0_14default_configENS1_27scan_by_key_config_selectorIixEEZZNS1_16scan_by_key_implILNS1_25lookback_scan_determinismE0ELb1ES3_N6thrust23THRUST_200600_302600_NS6detail15normal_iteratorINS9_10device_ptrIiEEEENSB_INSC_IxEEEESG_xNS9_4plusIvEENS9_8equal_toIvEExEE10hipError_tPvRmT2_T3_T4_T5_mT6_T7_P12ihipStream_tbENKUlT_T0_E_clISt17integral_constantIbLb0EES10_IbLb1EEEEDaSW_SX_EUlSW_E_NS1_11comp_targetILNS1_3genE3ELNS1_11target_archE908ELNS1_3gpuE7ELNS1_3repE0EEENS1_30default_config_static_selectorELNS0_4arch9wavefront6targetE1EEEvT1_,"axG",@progbits,_ZN7rocprim17ROCPRIM_400000_NS6detail17trampoline_kernelINS0_14default_configENS1_27scan_by_key_config_selectorIixEEZZNS1_16scan_by_key_implILNS1_25lookback_scan_determinismE0ELb1ES3_N6thrust23THRUST_200600_302600_NS6detail15normal_iteratorINS9_10device_ptrIiEEEENSB_INSC_IxEEEESG_xNS9_4plusIvEENS9_8equal_toIvEExEE10hipError_tPvRmT2_T3_T4_T5_mT6_T7_P12ihipStream_tbENKUlT_T0_E_clISt17integral_constantIbLb0EES10_IbLb1EEEEDaSW_SX_EUlSW_E_NS1_11comp_targetILNS1_3genE3ELNS1_11target_archE908ELNS1_3gpuE7ELNS1_3repE0EEENS1_30default_config_static_selectorELNS0_4arch9wavefront6targetE1EEEvT1_,comdat
	.protected	_ZN7rocprim17ROCPRIM_400000_NS6detail17trampoline_kernelINS0_14default_configENS1_27scan_by_key_config_selectorIixEEZZNS1_16scan_by_key_implILNS1_25lookback_scan_determinismE0ELb1ES3_N6thrust23THRUST_200600_302600_NS6detail15normal_iteratorINS9_10device_ptrIiEEEENSB_INSC_IxEEEESG_xNS9_4plusIvEENS9_8equal_toIvEExEE10hipError_tPvRmT2_T3_T4_T5_mT6_T7_P12ihipStream_tbENKUlT_T0_E_clISt17integral_constantIbLb0EES10_IbLb1EEEEDaSW_SX_EUlSW_E_NS1_11comp_targetILNS1_3genE3ELNS1_11target_archE908ELNS1_3gpuE7ELNS1_3repE0EEENS1_30default_config_static_selectorELNS0_4arch9wavefront6targetE1EEEvT1_ ; -- Begin function _ZN7rocprim17ROCPRIM_400000_NS6detail17trampoline_kernelINS0_14default_configENS1_27scan_by_key_config_selectorIixEEZZNS1_16scan_by_key_implILNS1_25lookback_scan_determinismE0ELb1ES3_N6thrust23THRUST_200600_302600_NS6detail15normal_iteratorINS9_10device_ptrIiEEEENSB_INSC_IxEEEESG_xNS9_4plusIvEENS9_8equal_toIvEExEE10hipError_tPvRmT2_T3_T4_T5_mT6_T7_P12ihipStream_tbENKUlT_T0_E_clISt17integral_constantIbLb0EES10_IbLb1EEEEDaSW_SX_EUlSW_E_NS1_11comp_targetILNS1_3genE3ELNS1_11target_archE908ELNS1_3gpuE7ELNS1_3repE0EEENS1_30default_config_static_selectorELNS0_4arch9wavefront6targetE1EEEvT1_
	.globl	_ZN7rocprim17ROCPRIM_400000_NS6detail17trampoline_kernelINS0_14default_configENS1_27scan_by_key_config_selectorIixEEZZNS1_16scan_by_key_implILNS1_25lookback_scan_determinismE0ELb1ES3_N6thrust23THRUST_200600_302600_NS6detail15normal_iteratorINS9_10device_ptrIiEEEENSB_INSC_IxEEEESG_xNS9_4plusIvEENS9_8equal_toIvEExEE10hipError_tPvRmT2_T3_T4_T5_mT6_T7_P12ihipStream_tbENKUlT_T0_E_clISt17integral_constantIbLb0EES10_IbLb1EEEEDaSW_SX_EUlSW_E_NS1_11comp_targetILNS1_3genE3ELNS1_11target_archE908ELNS1_3gpuE7ELNS1_3repE0EEENS1_30default_config_static_selectorELNS0_4arch9wavefront6targetE1EEEvT1_
	.p2align	8
	.type	_ZN7rocprim17ROCPRIM_400000_NS6detail17trampoline_kernelINS0_14default_configENS1_27scan_by_key_config_selectorIixEEZZNS1_16scan_by_key_implILNS1_25lookback_scan_determinismE0ELb1ES3_N6thrust23THRUST_200600_302600_NS6detail15normal_iteratorINS9_10device_ptrIiEEEENSB_INSC_IxEEEESG_xNS9_4plusIvEENS9_8equal_toIvEExEE10hipError_tPvRmT2_T3_T4_T5_mT6_T7_P12ihipStream_tbENKUlT_T0_E_clISt17integral_constantIbLb0EES10_IbLb1EEEEDaSW_SX_EUlSW_E_NS1_11comp_targetILNS1_3genE3ELNS1_11target_archE908ELNS1_3gpuE7ELNS1_3repE0EEENS1_30default_config_static_selectorELNS0_4arch9wavefront6targetE1EEEvT1_,@function
_ZN7rocprim17ROCPRIM_400000_NS6detail17trampoline_kernelINS0_14default_configENS1_27scan_by_key_config_selectorIixEEZZNS1_16scan_by_key_implILNS1_25lookback_scan_determinismE0ELb1ES3_N6thrust23THRUST_200600_302600_NS6detail15normal_iteratorINS9_10device_ptrIiEEEENSB_INSC_IxEEEESG_xNS9_4plusIvEENS9_8equal_toIvEExEE10hipError_tPvRmT2_T3_T4_T5_mT6_T7_P12ihipStream_tbENKUlT_T0_E_clISt17integral_constantIbLb0EES10_IbLb1EEEEDaSW_SX_EUlSW_E_NS1_11comp_targetILNS1_3genE3ELNS1_11target_archE908ELNS1_3gpuE7ELNS1_3repE0EEENS1_30default_config_static_selectorELNS0_4arch9wavefront6targetE1EEEvT1_: ; @_ZN7rocprim17ROCPRIM_400000_NS6detail17trampoline_kernelINS0_14default_configENS1_27scan_by_key_config_selectorIixEEZZNS1_16scan_by_key_implILNS1_25lookback_scan_determinismE0ELb1ES3_N6thrust23THRUST_200600_302600_NS6detail15normal_iteratorINS9_10device_ptrIiEEEENSB_INSC_IxEEEESG_xNS9_4plusIvEENS9_8equal_toIvEExEE10hipError_tPvRmT2_T3_T4_T5_mT6_T7_P12ihipStream_tbENKUlT_T0_E_clISt17integral_constantIbLb0EES10_IbLb1EEEEDaSW_SX_EUlSW_E_NS1_11comp_targetILNS1_3genE3ELNS1_11target_archE908ELNS1_3gpuE7ELNS1_3repE0EEENS1_30default_config_static_selectorELNS0_4arch9wavefront6targetE1EEEvT1_
; %bb.0:
	.section	.rodata,"a",@progbits
	.p2align	6, 0x0
	.amdhsa_kernel _ZN7rocprim17ROCPRIM_400000_NS6detail17trampoline_kernelINS0_14default_configENS1_27scan_by_key_config_selectorIixEEZZNS1_16scan_by_key_implILNS1_25lookback_scan_determinismE0ELb1ES3_N6thrust23THRUST_200600_302600_NS6detail15normal_iteratorINS9_10device_ptrIiEEEENSB_INSC_IxEEEESG_xNS9_4plusIvEENS9_8equal_toIvEExEE10hipError_tPvRmT2_T3_T4_T5_mT6_T7_P12ihipStream_tbENKUlT_T0_E_clISt17integral_constantIbLb0EES10_IbLb1EEEEDaSW_SX_EUlSW_E_NS1_11comp_targetILNS1_3genE3ELNS1_11target_archE908ELNS1_3gpuE7ELNS1_3repE0EEENS1_30default_config_static_selectorELNS0_4arch9wavefront6targetE1EEEvT1_
		.amdhsa_group_segment_fixed_size 0
		.amdhsa_private_segment_fixed_size 0
		.amdhsa_kernarg_size 136
		.amdhsa_user_sgpr_count 2
		.amdhsa_user_sgpr_dispatch_ptr 0
		.amdhsa_user_sgpr_queue_ptr 0
		.amdhsa_user_sgpr_kernarg_segment_ptr 1
		.amdhsa_user_sgpr_dispatch_id 0
		.amdhsa_user_sgpr_kernarg_preload_length 0
		.amdhsa_user_sgpr_kernarg_preload_offset 0
		.amdhsa_user_sgpr_private_segment_size 0
		.amdhsa_uses_dynamic_stack 0
		.amdhsa_enable_private_segment 0
		.amdhsa_system_sgpr_workgroup_id_x 1
		.amdhsa_system_sgpr_workgroup_id_y 0
		.amdhsa_system_sgpr_workgroup_id_z 0
		.amdhsa_system_sgpr_workgroup_info 0
		.amdhsa_system_vgpr_workitem_id 0
		.amdhsa_next_free_vgpr 1
		.amdhsa_next_free_sgpr 0
		.amdhsa_accum_offset 4
		.amdhsa_reserve_vcc 0
		.amdhsa_float_round_mode_32 0
		.amdhsa_float_round_mode_16_64 0
		.amdhsa_float_denorm_mode_32 3
		.amdhsa_float_denorm_mode_16_64 3
		.amdhsa_dx10_clamp 1
		.amdhsa_ieee_mode 1
		.amdhsa_fp16_overflow 0
		.amdhsa_tg_split 0
		.amdhsa_exception_fp_ieee_invalid_op 0
		.amdhsa_exception_fp_denorm_src 0
		.amdhsa_exception_fp_ieee_div_zero 0
		.amdhsa_exception_fp_ieee_overflow 0
		.amdhsa_exception_fp_ieee_underflow 0
		.amdhsa_exception_fp_ieee_inexact 0
		.amdhsa_exception_int_div_zero 0
	.end_amdhsa_kernel
	.section	.text._ZN7rocprim17ROCPRIM_400000_NS6detail17trampoline_kernelINS0_14default_configENS1_27scan_by_key_config_selectorIixEEZZNS1_16scan_by_key_implILNS1_25lookback_scan_determinismE0ELb1ES3_N6thrust23THRUST_200600_302600_NS6detail15normal_iteratorINS9_10device_ptrIiEEEENSB_INSC_IxEEEESG_xNS9_4plusIvEENS9_8equal_toIvEExEE10hipError_tPvRmT2_T3_T4_T5_mT6_T7_P12ihipStream_tbENKUlT_T0_E_clISt17integral_constantIbLb0EES10_IbLb1EEEEDaSW_SX_EUlSW_E_NS1_11comp_targetILNS1_3genE3ELNS1_11target_archE908ELNS1_3gpuE7ELNS1_3repE0EEENS1_30default_config_static_selectorELNS0_4arch9wavefront6targetE1EEEvT1_,"axG",@progbits,_ZN7rocprim17ROCPRIM_400000_NS6detail17trampoline_kernelINS0_14default_configENS1_27scan_by_key_config_selectorIixEEZZNS1_16scan_by_key_implILNS1_25lookback_scan_determinismE0ELb1ES3_N6thrust23THRUST_200600_302600_NS6detail15normal_iteratorINS9_10device_ptrIiEEEENSB_INSC_IxEEEESG_xNS9_4plusIvEENS9_8equal_toIvEExEE10hipError_tPvRmT2_T3_T4_T5_mT6_T7_P12ihipStream_tbENKUlT_T0_E_clISt17integral_constantIbLb0EES10_IbLb1EEEEDaSW_SX_EUlSW_E_NS1_11comp_targetILNS1_3genE3ELNS1_11target_archE908ELNS1_3gpuE7ELNS1_3repE0EEENS1_30default_config_static_selectorELNS0_4arch9wavefront6targetE1EEEvT1_,comdat
.Lfunc_end1602:
	.size	_ZN7rocprim17ROCPRIM_400000_NS6detail17trampoline_kernelINS0_14default_configENS1_27scan_by_key_config_selectorIixEEZZNS1_16scan_by_key_implILNS1_25lookback_scan_determinismE0ELb1ES3_N6thrust23THRUST_200600_302600_NS6detail15normal_iteratorINS9_10device_ptrIiEEEENSB_INSC_IxEEEESG_xNS9_4plusIvEENS9_8equal_toIvEExEE10hipError_tPvRmT2_T3_T4_T5_mT6_T7_P12ihipStream_tbENKUlT_T0_E_clISt17integral_constantIbLb0EES10_IbLb1EEEEDaSW_SX_EUlSW_E_NS1_11comp_targetILNS1_3genE3ELNS1_11target_archE908ELNS1_3gpuE7ELNS1_3repE0EEENS1_30default_config_static_selectorELNS0_4arch9wavefront6targetE1EEEvT1_, .Lfunc_end1602-_ZN7rocprim17ROCPRIM_400000_NS6detail17trampoline_kernelINS0_14default_configENS1_27scan_by_key_config_selectorIixEEZZNS1_16scan_by_key_implILNS1_25lookback_scan_determinismE0ELb1ES3_N6thrust23THRUST_200600_302600_NS6detail15normal_iteratorINS9_10device_ptrIiEEEENSB_INSC_IxEEEESG_xNS9_4plusIvEENS9_8equal_toIvEExEE10hipError_tPvRmT2_T3_T4_T5_mT6_T7_P12ihipStream_tbENKUlT_T0_E_clISt17integral_constantIbLb0EES10_IbLb1EEEEDaSW_SX_EUlSW_E_NS1_11comp_targetILNS1_3genE3ELNS1_11target_archE908ELNS1_3gpuE7ELNS1_3repE0EEENS1_30default_config_static_selectorELNS0_4arch9wavefront6targetE1EEEvT1_
                                        ; -- End function
	.section	.AMDGPU.csdata,"",@progbits
; Kernel info:
; codeLenInByte = 0
; NumSgprs: 6
; NumVgprs: 0
; NumAgprs: 0
; TotalNumVgprs: 0
; ScratchSize: 0
; MemoryBound: 0
; FloatMode: 240
; IeeeMode: 1
; LDSByteSize: 0 bytes/workgroup (compile time only)
; SGPRBlocks: 0
; VGPRBlocks: 0
; NumSGPRsForWavesPerEU: 6
; NumVGPRsForWavesPerEU: 1
; AccumOffset: 4
; Occupancy: 8
; WaveLimiterHint : 0
; COMPUTE_PGM_RSRC2:SCRATCH_EN: 0
; COMPUTE_PGM_RSRC2:USER_SGPR: 2
; COMPUTE_PGM_RSRC2:TRAP_HANDLER: 0
; COMPUTE_PGM_RSRC2:TGID_X_EN: 1
; COMPUTE_PGM_RSRC2:TGID_Y_EN: 0
; COMPUTE_PGM_RSRC2:TGID_Z_EN: 0
; COMPUTE_PGM_RSRC2:TIDIG_COMP_CNT: 0
; COMPUTE_PGM_RSRC3_GFX90A:ACCUM_OFFSET: 0
; COMPUTE_PGM_RSRC3_GFX90A:TG_SPLIT: 0
	.section	.text._ZN7rocprim17ROCPRIM_400000_NS6detail17trampoline_kernelINS0_14default_configENS1_27scan_by_key_config_selectorIixEEZZNS1_16scan_by_key_implILNS1_25lookback_scan_determinismE0ELb1ES3_N6thrust23THRUST_200600_302600_NS6detail15normal_iteratorINS9_10device_ptrIiEEEENSB_INSC_IxEEEESG_xNS9_4plusIvEENS9_8equal_toIvEExEE10hipError_tPvRmT2_T3_T4_T5_mT6_T7_P12ihipStream_tbENKUlT_T0_E_clISt17integral_constantIbLb0EES10_IbLb1EEEEDaSW_SX_EUlSW_E_NS1_11comp_targetILNS1_3genE2ELNS1_11target_archE906ELNS1_3gpuE6ELNS1_3repE0EEENS1_30default_config_static_selectorELNS0_4arch9wavefront6targetE1EEEvT1_,"axG",@progbits,_ZN7rocprim17ROCPRIM_400000_NS6detail17trampoline_kernelINS0_14default_configENS1_27scan_by_key_config_selectorIixEEZZNS1_16scan_by_key_implILNS1_25lookback_scan_determinismE0ELb1ES3_N6thrust23THRUST_200600_302600_NS6detail15normal_iteratorINS9_10device_ptrIiEEEENSB_INSC_IxEEEESG_xNS9_4plusIvEENS9_8equal_toIvEExEE10hipError_tPvRmT2_T3_T4_T5_mT6_T7_P12ihipStream_tbENKUlT_T0_E_clISt17integral_constantIbLb0EES10_IbLb1EEEEDaSW_SX_EUlSW_E_NS1_11comp_targetILNS1_3genE2ELNS1_11target_archE906ELNS1_3gpuE6ELNS1_3repE0EEENS1_30default_config_static_selectorELNS0_4arch9wavefront6targetE1EEEvT1_,comdat
	.protected	_ZN7rocprim17ROCPRIM_400000_NS6detail17trampoline_kernelINS0_14default_configENS1_27scan_by_key_config_selectorIixEEZZNS1_16scan_by_key_implILNS1_25lookback_scan_determinismE0ELb1ES3_N6thrust23THRUST_200600_302600_NS6detail15normal_iteratorINS9_10device_ptrIiEEEENSB_INSC_IxEEEESG_xNS9_4plusIvEENS9_8equal_toIvEExEE10hipError_tPvRmT2_T3_T4_T5_mT6_T7_P12ihipStream_tbENKUlT_T0_E_clISt17integral_constantIbLb0EES10_IbLb1EEEEDaSW_SX_EUlSW_E_NS1_11comp_targetILNS1_3genE2ELNS1_11target_archE906ELNS1_3gpuE6ELNS1_3repE0EEENS1_30default_config_static_selectorELNS0_4arch9wavefront6targetE1EEEvT1_ ; -- Begin function _ZN7rocprim17ROCPRIM_400000_NS6detail17trampoline_kernelINS0_14default_configENS1_27scan_by_key_config_selectorIixEEZZNS1_16scan_by_key_implILNS1_25lookback_scan_determinismE0ELb1ES3_N6thrust23THRUST_200600_302600_NS6detail15normal_iteratorINS9_10device_ptrIiEEEENSB_INSC_IxEEEESG_xNS9_4plusIvEENS9_8equal_toIvEExEE10hipError_tPvRmT2_T3_T4_T5_mT6_T7_P12ihipStream_tbENKUlT_T0_E_clISt17integral_constantIbLb0EES10_IbLb1EEEEDaSW_SX_EUlSW_E_NS1_11comp_targetILNS1_3genE2ELNS1_11target_archE906ELNS1_3gpuE6ELNS1_3repE0EEENS1_30default_config_static_selectorELNS0_4arch9wavefront6targetE1EEEvT1_
	.globl	_ZN7rocprim17ROCPRIM_400000_NS6detail17trampoline_kernelINS0_14default_configENS1_27scan_by_key_config_selectorIixEEZZNS1_16scan_by_key_implILNS1_25lookback_scan_determinismE0ELb1ES3_N6thrust23THRUST_200600_302600_NS6detail15normal_iteratorINS9_10device_ptrIiEEEENSB_INSC_IxEEEESG_xNS9_4plusIvEENS9_8equal_toIvEExEE10hipError_tPvRmT2_T3_T4_T5_mT6_T7_P12ihipStream_tbENKUlT_T0_E_clISt17integral_constantIbLb0EES10_IbLb1EEEEDaSW_SX_EUlSW_E_NS1_11comp_targetILNS1_3genE2ELNS1_11target_archE906ELNS1_3gpuE6ELNS1_3repE0EEENS1_30default_config_static_selectorELNS0_4arch9wavefront6targetE1EEEvT1_
	.p2align	8
	.type	_ZN7rocprim17ROCPRIM_400000_NS6detail17trampoline_kernelINS0_14default_configENS1_27scan_by_key_config_selectorIixEEZZNS1_16scan_by_key_implILNS1_25lookback_scan_determinismE0ELb1ES3_N6thrust23THRUST_200600_302600_NS6detail15normal_iteratorINS9_10device_ptrIiEEEENSB_INSC_IxEEEESG_xNS9_4plusIvEENS9_8equal_toIvEExEE10hipError_tPvRmT2_T3_T4_T5_mT6_T7_P12ihipStream_tbENKUlT_T0_E_clISt17integral_constantIbLb0EES10_IbLb1EEEEDaSW_SX_EUlSW_E_NS1_11comp_targetILNS1_3genE2ELNS1_11target_archE906ELNS1_3gpuE6ELNS1_3repE0EEENS1_30default_config_static_selectorELNS0_4arch9wavefront6targetE1EEEvT1_,@function
_ZN7rocprim17ROCPRIM_400000_NS6detail17trampoline_kernelINS0_14default_configENS1_27scan_by_key_config_selectorIixEEZZNS1_16scan_by_key_implILNS1_25lookback_scan_determinismE0ELb1ES3_N6thrust23THRUST_200600_302600_NS6detail15normal_iteratorINS9_10device_ptrIiEEEENSB_INSC_IxEEEESG_xNS9_4plusIvEENS9_8equal_toIvEExEE10hipError_tPvRmT2_T3_T4_T5_mT6_T7_P12ihipStream_tbENKUlT_T0_E_clISt17integral_constantIbLb0EES10_IbLb1EEEEDaSW_SX_EUlSW_E_NS1_11comp_targetILNS1_3genE2ELNS1_11target_archE906ELNS1_3gpuE6ELNS1_3repE0EEENS1_30default_config_static_selectorELNS0_4arch9wavefront6targetE1EEEvT1_: ; @_ZN7rocprim17ROCPRIM_400000_NS6detail17trampoline_kernelINS0_14default_configENS1_27scan_by_key_config_selectorIixEEZZNS1_16scan_by_key_implILNS1_25lookback_scan_determinismE0ELb1ES3_N6thrust23THRUST_200600_302600_NS6detail15normal_iteratorINS9_10device_ptrIiEEEENSB_INSC_IxEEEESG_xNS9_4plusIvEENS9_8equal_toIvEExEE10hipError_tPvRmT2_T3_T4_T5_mT6_T7_P12ihipStream_tbENKUlT_T0_E_clISt17integral_constantIbLb0EES10_IbLb1EEEEDaSW_SX_EUlSW_E_NS1_11comp_targetILNS1_3genE2ELNS1_11target_archE906ELNS1_3gpuE6ELNS1_3repE0EEENS1_30default_config_static_selectorELNS0_4arch9wavefront6targetE1EEEvT1_
; %bb.0:
	.section	.rodata,"a",@progbits
	.p2align	6, 0x0
	.amdhsa_kernel _ZN7rocprim17ROCPRIM_400000_NS6detail17trampoline_kernelINS0_14default_configENS1_27scan_by_key_config_selectorIixEEZZNS1_16scan_by_key_implILNS1_25lookback_scan_determinismE0ELb1ES3_N6thrust23THRUST_200600_302600_NS6detail15normal_iteratorINS9_10device_ptrIiEEEENSB_INSC_IxEEEESG_xNS9_4plusIvEENS9_8equal_toIvEExEE10hipError_tPvRmT2_T3_T4_T5_mT6_T7_P12ihipStream_tbENKUlT_T0_E_clISt17integral_constantIbLb0EES10_IbLb1EEEEDaSW_SX_EUlSW_E_NS1_11comp_targetILNS1_3genE2ELNS1_11target_archE906ELNS1_3gpuE6ELNS1_3repE0EEENS1_30default_config_static_selectorELNS0_4arch9wavefront6targetE1EEEvT1_
		.amdhsa_group_segment_fixed_size 0
		.amdhsa_private_segment_fixed_size 0
		.amdhsa_kernarg_size 136
		.amdhsa_user_sgpr_count 2
		.amdhsa_user_sgpr_dispatch_ptr 0
		.amdhsa_user_sgpr_queue_ptr 0
		.amdhsa_user_sgpr_kernarg_segment_ptr 1
		.amdhsa_user_sgpr_dispatch_id 0
		.amdhsa_user_sgpr_kernarg_preload_length 0
		.amdhsa_user_sgpr_kernarg_preload_offset 0
		.amdhsa_user_sgpr_private_segment_size 0
		.amdhsa_uses_dynamic_stack 0
		.amdhsa_enable_private_segment 0
		.amdhsa_system_sgpr_workgroup_id_x 1
		.amdhsa_system_sgpr_workgroup_id_y 0
		.amdhsa_system_sgpr_workgroup_id_z 0
		.amdhsa_system_sgpr_workgroup_info 0
		.amdhsa_system_vgpr_workitem_id 0
		.amdhsa_next_free_vgpr 1
		.amdhsa_next_free_sgpr 0
		.amdhsa_accum_offset 4
		.amdhsa_reserve_vcc 0
		.amdhsa_float_round_mode_32 0
		.amdhsa_float_round_mode_16_64 0
		.amdhsa_float_denorm_mode_32 3
		.amdhsa_float_denorm_mode_16_64 3
		.amdhsa_dx10_clamp 1
		.amdhsa_ieee_mode 1
		.amdhsa_fp16_overflow 0
		.amdhsa_tg_split 0
		.amdhsa_exception_fp_ieee_invalid_op 0
		.amdhsa_exception_fp_denorm_src 0
		.amdhsa_exception_fp_ieee_div_zero 0
		.amdhsa_exception_fp_ieee_overflow 0
		.amdhsa_exception_fp_ieee_underflow 0
		.amdhsa_exception_fp_ieee_inexact 0
		.amdhsa_exception_int_div_zero 0
	.end_amdhsa_kernel
	.section	.text._ZN7rocprim17ROCPRIM_400000_NS6detail17trampoline_kernelINS0_14default_configENS1_27scan_by_key_config_selectorIixEEZZNS1_16scan_by_key_implILNS1_25lookback_scan_determinismE0ELb1ES3_N6thrust23THRUST_200600_302600_NS6detail15normal_iteratorINS9_10device_ptrIiEEEENSB_INSC_IxEEEESG_xNS9_4plusIvEENS9_8equal_toIvEExEE10hipError_tPvRmT2_T3_T4_T5_mT6_T7_P12ihipStream_tbENKUlT_T0_E_clISt17integral_constantIbLb0EES10_IbLb1EEEEDaSW_SX_EUlSW_E_NS1_11comp_targetILNS1_3genE2ELNS1_11target_archE906ELNS1_3gpuE6ELNS1_3repE0EEENS1_30default_config_static_selectorELNS0_4arch9wavefront6targetE1EEEvT1_,"axG",@progbits,_ZN7rocprim17ROCPRIM_400000_NS6detail17trampoline_kernelINS0_14default_configENS1_27scan_by_key_config_selectorIixEEZZNS1_16scan_by_key_implILNS1_25lookback_scan_determinismE0ELb1ES3_N6thrust23THRUST_200600_302600_NS6detail15normal_iteratorINS9_10device_ptrIiEEEENSB_INSC_IxEEEESG_xNS9_4plusIvEENS9_8equal_toIvEExEE10hipError_tPvRmT2_T3_T4_T5_mT6_T7_P12ihipStream_tbENKUlT_T0_E_clISt17integral_constantIbLb0EES10_IbLb1EEEEDaSW_SX_EUlSW_E_NS1_11comp_targetILNS1_3genE2ELNS1_11target_archE906ELNS1_3gpuE6ELNS1_3repE0EEENS1_30default_config_static_selectorELNS0_4arch9wavefront6targetE1EEEvT1_,comdat
.Lfunc_end1603:
	.size	_ZN7rocprim17ROCPRIM_400000_NS6detail17trampoline_kernelINS0_14default_configENS1_27scan_by_key_config_selectorIixEEZZNS1_16scan_by_key_implILNS1_25lookback_scan_determinismE0ELb1ES3_N6thrust23THRUST_200600_302600_NS6detail15normal_iteratorINS9_10device_ptrIiEEEENSB_INSC_IxEEEESG_xNS9_4plusIvEENS9_8equal_toIvEExEE10hipError_tPvRmT2_T3_T4_T5_mT6_T7_P12ihipStream_tbENKUlT_T0_E_clISt17integral_constantIbLb0EES10_IbLb1EEEEDaSW_SX_EUlSW_E_NS1_11comp_targetILNS1_3genE2ELNS1_11target_archE906ELNS1_3gpuE6ELNS1_3repE0EEENS1_30default_config_static_selectorELNS0_4arch9wavefront6targetE1EEEvT1_, .Lfunc_end1603-_ZN7rocprim17ROCPRIM_400000_NS6detail17trampoline_kernelINS0_14default_configENS1_27scan_by_key_config_selectorIixEEZZNS1_16scan_by_key_implILNS1_25lookback_scan_determinismE0ELb1ES3_N6thrust23THRUST_200600_302600_NS6detail15normal_iteratorINS9_10device_ptrIiEEEENSB_INSC_IxEEEESG_xNS9_4plusIvEENS9_8equal_toIvEExEE10hipError_tPvRmT2_T3_T4_T5_mT6_T7_P12ihipStream_tbENKUlT_T0_E_clISt17integral_constantIbLb0EES10_IbLb1EEEEDaSW_SX_EUlSW_E_NS1_11comp_targetILNS1_3genE2ELNS1_11target_archE906ELNS1_3gpuE6ELNS1_3repE0EEENS1_30default_config_static_selectorELNS0_4arch9wavefront6targetE1EEEvT1_
                                        ; -- End function
	.section	.AMDGPU.csdata,"",@progbits
; Kernel info:
; codeLenInByte = 0
; NumSgprs: 6
; NumVgprs: 0
; NumAgprs: 0
; TotalNumVgprs: 0
; ScratchSize: 0
; MemoryBound: 0
; FloatMode: 240
; IeeeMode: 1
; LDSByteSize: 0 bytes/workgroup (compile time only)
; SGPRBlocks: 0
; VGPRBlocks: 0
; NumSGPRsForWavesPerEU: 6
; NumVGPRsForWavesPerEU: 1
; AccumOffset: 4
; Occupancy: 8
; WaveLimiterHint : 0
; COMPUTE_PGM_RSRC2:SCRATCH_EN: 0
; COMPUTE_PGM_RSRC2:USER_SGPR: 2
; COMPUTE_PGM_RSRC2:TRAP_HANDLER: 0
; COMPUTE_PGM_RSRC2:TGID_X_EN: 1
; COMPUTE_PGM_RSRC2:TGID_Y_EN: 0
; COMPUTE_PGM_RSRC2:TGID_Z_EN: 0
; COMPUTE_PGM_RSRC2:TIDIG_COMP_CNT: 0
; COMPUTE_PGM_RSRC3_GFX90A:ACCUM_OFFSET: 0
; COMPUTE_PGM_RSRC3_GFX90A:TG_SPLIT: 0
	.section	.text._ZN7rocprim17ROCPRIM_400000_NS6detail17trampoline_kernelINS0_14default_configENS1_27scan_by_key_config_selectorIixEEZZNS1_16scan_by_key_implILNS1_25lookback_scan_determinismE0ELb1ES3_N6thrust23THRUST_200600_302600_NS6detail15normal_iteratorINS9_10device_ptrIiEEEENSB_INSC_IxEEEESG_xNS9_4plusIvEENS9_8equal_toIvEExEE10hipError_tPvRmT2_T3_T4_T5_mT6_T7_P12ihipStream_tbENKUlT_T0_E_clISt17integral_constantIbLb0EES10_IbLb1EEEEDaSW_SX_EUlSW_E_NS1_11comp_targetILNS1_3genE10ELNS1_11target_archE1200ELNS1_3gpuE4ELNS1_3repE0EEENS1_30default_config_static_selectorELNS0_4arch9wavefront6targetE1EEEvT1_,"axG",@progbits,_ZN7rocprim17ROCPRIM_400000_NS6detail17trampoline_kernelINS0_14default_configENS1_27scan_by_key_config_selectorIixEEZZNS1_16scan_by_key_implILNS1_25lookback_scan_determinismE0ELb1ES3_N6thrust23THRUST_200600_302600_NS6detail15normal_iteratorINS9_10device_ptrIiEEEENSB_INSC_IxEEEESG_xNS9_4plusIvEENS9_8equal_toIvEExEE10hipError_tPvRmT2_T3_T4_T5_mT6_T7_P12ihipStream_tbENKUlT_T0_E_clISt17integral_constantIbLb0EES10_IbLb1EEEEDaSW_SX_EUlSW_E_NS1_11comp_targetILNS1_3genE10ELNS1_11target_archE1200ELNS1_3gpuE4ELNS1_3repE0EEENS1_30default_config_static_selectorELNS0_4arch9wavefront6targetE1EEEvT1_,comdat
	.protected	_ZN7rocprim17ROCPRIM_400000_NS6detail17trampoline_kernelINS0_14default_configENS1_27scan_by_key_config_selectorIixEEZZNS1_16scan_by_key_implILNS1_25lookback_scan_determinismE0ELb1ES3_N6thrust23THRUST_200600_302600_NS6detail15normal_iteratorINS9_10device_ptrIiEEEENSB_INSC_IxEEEESG_xNS9_4plusIvEENS9_8equal_toIvEExEE10hipError_tPvRmT2_T3_T4_T5_mT6_T7_P12ihipStream_tbENKUlT_T0_E_clISt17integral_constantIbLb0EES10_IbLb1EEEEDaSW_SX_EUlSW_E_NS1_11comp_targetILNS1_3genE10ELNS1_11target_archE1200ELNS1_3gpuE4ELNS1_3repE0EEENS1_30default_config_static_selectorELNS0_4arch9wavefront6targetE1EEEvT1_ ; -- Begin function _ZN7rocprim17ROCPRIM_400000_NS6detail17trampoline_kernelINS0_14default_configENS1_27scan_by_key_config_selectorIixEEZZNS1_16scan_by_key_implILNS1_25lookback_scan_determinismE0ELb1ES3_N6thrust23THRUST_200600_302600_NS6detail15normal_iteratorINS9_10device_ptrIiEEEENSB_INSC_IxEEEESG_xNS9_4plusIvEENS9_8equal_toIvEExEE10hipError_tPvRmT2_T3_T4_T5_mT6_T7_P12ihipStream_tbENKUlT_T0_E_clISt17integral_constantIbLb0EES10_IbLb1EEEEDaSW_SX_EUlSW_E_NS1_11comp_targetILNS1_3genE10ELNS1_11target_archE1200ELNS1_3gpuE4ELNS1_3repE0EEENS1_30default_config_static_selectorELNS0_4arch9wavefront6targetE1EEEvT1_
	.globl	_ZN7rocprim17ROCPRIM_400000_NS6detail17trampoline_kernelINS0_14default_configENS1_27scan_by_key_config_selectorIixEEZZNS1_16scan_by_key_implILNS1_25lookback_scan_determinismE0ELb1ES3_N6thrust23THRUST_200600_302600_NS6detail15normal_iteratorINS9_10device_ptrIiEEEENSB_INSC_IxEEEESG_xNS9_4plusIvEENS9_8equal_toIvEExEE10hipError_tPvRmT2_T3_T4_T5_mT6_T7_P12ihipStream_tbENKUlT_T0_E_clISt17integral_constantIbLb0EES10_IbLb1EEEEDaSW_SX_EUlSW_E_NS1_11comp_targetILNS1_3genE10ELNS1_11target_archE1200ELNS1_3gpuE4ELNS1_3repE0EEENS1_30default_config_static_selectorELNS0_4arch9wavefront6targetE1EEEvT1_
	.p2align	8
	.type	_ZN7rocprim17ROCPRIM_400000_NS6detail17trampoline_kernelINS0_14default_configENS1_27scan_by_key_config_selectorIixEEZZNS1_16scan_by_key_implILNS1_25lookback_scan_determinismE0ELb1ES3_N6thrust23THRUST_200600_302600_NS6detail15normal_iteratorINS9_10device_ptrIiEEEENSB_INSC_IxEEEESG_xNS9_4plusIvEENS9_8equal_toIvEExEE10hipError_tPvRmT2_T3_T4_T5_mT6_T7_P12ihipStream_tbENKUlT_T0_E_clISt17integral_constantIbLb0EES10_IbLb1EEEEDaSW_SX_EUlSW_E_NS1_11comp_targetILNS1_3genE10ELNS1_11target_archE1200ELNS1_3gpuE4ELNS1_3repE0EEENS1_30default_config_static_selectorELNS0_4arch9wavefront6targetE1EEEvT1_,@function
_ZN7rocprim17ROCPRIM_400000_NS6detail17trampoline_kernelINS0_14default_configENS1_27scan_by_key_config_selectorIixEEZZNS1_16scan_by_key_implILNS1_25lookback_scan_determinismE0ELb1ES3_N6thrust23THRUST_200600_302600_NS6detail15normal_iteratorINS9_10device_ptrIiEEEENSB_INSC_IxEEEESG_xNS9_4plusIvEENS9_8equal_toIvEExEE10hipError_tPvRmT2_T3_T4_T5_mT6_T7_P12ihipStream_tbENKUlT_T0_E_clISt17integral_constantIbLb0EES10_IbLb1EEEEDaSW_SX_EUlSW_E_NS1_11comp_targetILNS1_3genE10ELNS1_11target_archE1200ELNS1_3gpuE4ELNS1_3repE0EEENS1_30default_config_static_selectorELNS0_4arch9wavefront6targetE1EEEvT1_: ; @_ZN7rocprim17ROCPRIM_400000_NS6detail17trampoline_kernelINS0_14default_configENS1_27scan_by_key_config_selectorIixEEZZNS1_16scan_by_key_implILNS1_25lookback_scan_determinismE0ELb1ES3_N6thrust23THRUST_200600_302600_NS6detail15normal_iteratorINS9_10device_ptrIiEEEENSB_INSC_IxEEEESG_xNS9_4plusIvEENS9_8equal_toIvEExEE10hipError_tPvRmT2_T3_T4_T5_mT6_T7_P12ihipStream_tbENKUlT_T0_E_clISt17integral_constantIbLb0EES10_IbLb1EEEEDaSW_SX_EUlSW_E_NS1_11comp_targetILNS1_3genE10ELNS1_11target_archE1200ELNS1_3gpuE4ELNS1_3repE0EEENS1_30default_config_static_selectorELNS0_4arch9wavefront6targetE1EEEvT1_
; %bb.0:
	.section	.rodata,"a",@progbits
	.p2align	6, 0x0
	.amdhsa_kernel _ZN7rocprim17ROCPRIM_400000_NS6detail17trampoline_kernelINS0_14default_configENS1_27scan_by_key_config_selectorIixEEZZNS1_16scan_by_key_implILNS1_25lookback_scan_determinismE0ELb1ES3_N6thrust23THRUST_200600_302600_NS6detail15normal_iteratorINS9_10device_ptrIiEEEENSB_INSC_IxEEEESG_xNS9_4plusIvEENS9_8equal_toIvEExEE10hipError_tPvRmT2_T3_T4_T5_mT6_T7_P12ihipStream_tbENKUlT_T0_E_clISt17integral_constantIbLb0EES10_IbLb1EEEEDaSW_SX_EUlSW_E_NS1_11comp_targetILNS1_3genE10ELNS1_11target_archE1200ELNS1_3gpuE4ELNS1_3repE0EEENS1_30default_config_static_selectorELNS0_4arch9wavefront6targetE1EEEvT1_
		.amdhsa_group_segment_fixed_size 0
		.amdhsa_private_segment_fixed_size 0
		.amdhsa_kernarg_size 136
		.amdhsa_user_sgpr_count 2
		.amdhsa_user_sgpr_dispatch_ptr 0
		.amdhsa_user_sgpr_queue_ptr 0
		.amdhsa_user_sgpr_kernarg_segment_ptr 1
		.amdhsa_user_sgpr_dispatch_id 0
		.amdhsa_user_sgpr_kernarg_preload_length 0
		.amdhsa_user_sgpr_kernarg_preload_offset 0
		.amdhsa_user_sgpr_private_segment_size 0
		.amdhsa_uses_dynamic_stack 0
		.amdhsa_enable_private_segment 0
		.amdhsa_system_sgpr_workgroup_id_x 1
		.amdhsa_system_sgpr_workgroup_id_y 0
		.amdhsa_system_sgpr_workgroup_id_z 0
		.amdhsa_system_sgpr_workgroup_info 0
		.amdhsa_system_vgpr_workitem_id 0
		.amdhsa_next_free_vgpr 1
		.amdhsa_next_free_sgpr 0
		.amdhsa_accum_offset 4
		.amdhsa_reserve_vcc 0
		.amdhsa_float_round_mode_32 0
		.amdhsa_float_round_mode_16_64 0
		.amdhsa_float_denorm_mode_32 3
		.amdhsa_float_denorm_mode_16_64 3
		.amdhsa_dx10_clamp 1
		.amdhsa_ieee_mode 1
		.amdhsa_fp16_overflow 0
		.amdhsa_tg_split 0
		.amdhsa_exception_fp_ieee_invalid_op 0
		.amdhsa_exception_fp_denorm_src 0
		.amdhsa_exception_fp_ieee_div_zero 0
		.amdhsa_exception_fp_ieee_overflow 0
		.amdhsa_exception_fp_ieee_underflow 0
		.amdhsa_exception_fp_ieee_inexact 0
		.amdhsa_exception_int_div_zero 0
	.end_amdhsa_kernel
	.section	.text._ZN7rocprim17ROCPRIM_400000_NS6detail17trampoline_kernelINS0_14default_configENS1_27scan_by_key_config_selectorIixEEZZNS1_16scan_by_key_implILNS1_25lookback_scan_determinismE0ELb1ES3_N6thrust23THRUST_200600_302600_NS6detail15normal_iteratorINS9_10device_ptrIiEEEENSB_INSC_IxEEEESG_xNS9_4plusIvEENS9_8equal_toIvEExEE10hipError_tPvRmT2_T3_T4_T5_mT6_T7_P12ihipStream_tbENKUlT_T0_E_clISt17integral_constantIbLb0EES10_IbLb1EEEEDaSW_SX_EUlSW_E_NS1_11comp_targetILNS1_3genE10ELNS1_11target_archE1200ELNS1_3gpuE4ELNS1_3repE0EEENS1_30default_config_static_selectorELNS0_4arch9wavefront6targetE1EEEvT1_,"axG",@progbits,_ZN7rocprim17ROCPRIM_400000_NS6detail17trampoline_kernelINS0_14default_configENS1_27scan_by_key_config_selectorIixEEZZNS1_16scan_by_key_implILNS1_25lookback_scan_determinismE0ELb1ES3_N6thrust23THRUST_200600_302600_NS6detail15normal_iteratorINS9_10device_ptrIiEEEENSB_INSC_IxEEEESG_xNS9_4plusIvEENS9_8equal_toIvEExEE10hipError_tPvRmT2_T3_T4_T5_mT6_T7_P12ihipStream_tbENKUlT_T0_E_clISt17integral_constantIbLb0EES10_IbLb1EEEEDaSW_SX_EUlSW_E_NS1_11comp_targetILNS1_3genE10ELNS1_11target_archE1200ELNS1_3gpuE4ELNS1_3repE0EEENS1_30default_config_static_selectorELNS0_4arch9wavefront6targetE1EEEvT1_,comdat
.Lfunc_end1604:
	.size	_ZN7rocprim17ROCPRIM_400000_NS6detail17trampoline_kernelINS0_14default_configENS1_27scan_by_key_config_selectorIixEEZZNS1_16scan_by_key_implILNS1_25lookback_scan_determinismE0ELb1ES3_N6thrust23THRUST_200600_302600_NS6detail15normal_iteratorINS9_10device_ptrIiEEEENSB_INSC_IxEEEESG_xNS9_4plusIvEENS9_8equal_toIvEExEE10hipError_tPvRmT2_T3_T4_T5_mT6_T7_P12ihipStream_tbENKUlT_T0_E_clISt17integral_constantIbLb0EES10_IbLb1EEEEDaSW_SX_EUlSW_E_NS1_11comp_targetILNS1_3genE10ELNS1_11target_archE1200ELNS1_3gpuE4ELNS1_3repE0EEENS1_30default_config_static_selectorELNS0_4arch9wavefront6targetE1EEEvT1_, .Lfunc_end1604-_ZN7rocprim17ROCPRIM_400000_NS6detail17trampoline_kernelINS0_14default_configENS1_27scan_by_key_config_selectorIixEEZZNS1_16scan_by_key_implILNS1_25lookback_scan_determinismE0ELb1ES3_N6thrust23THRUST_200600_302600_NS6detail15normal_iteratorINS9_10device_ptrIiEEEENSB_INSC_IxEEEESG_xNS9_4plusIvEENS9_8equal_toIvEExEE10hipError_tPvRmT2_T3_T4_T5_mT6_T7_P12ihipStream_tbENKUlT_T0_E_clISt17integral_constantIbLb0EES10_IbLb1EEEEDaSW_SX_EUlSW_E_NS1_11comp_targetILNS1_3genE10ELNS1_11target_archE1200ELNS1_3gpuE4ELNS1_3repE0EEENS1_30default_config_static_selectorELNS0_4arch9wavefront6targetE1EEEvT1_
                                        ; -- End function
	.section	.AMDGPU.csdata,"",@progbits
; Kernel info:
; codeLenInByte = 0
; NumSgprs: 6
; NumVgprs: 0
; NumAgprs: 0
; TotalNumVgprs: 0
; ScratchSize: 0
; MemoryBound: 0
; FloatMode: 240
; IeeeMode: 1
; LDSByteSize: 0 bytes/workgroup (compile time only)
; SGPRBlocks: 0
; VGPRBlocks: 0
; NumSGPRsForWavesPerEU: 6
; NumVGPRsForWavesPerEU: 1
; AccumOffset: 4
; Occupancy: 8
; WaveLimiterHint : 0
; COMPUTE_PGM_RSRC2:SCRATCH_EN: 0
; COMPUTE_PGM_RSRC2:USER_SGPR: 2
; COMPUTE_PGM_RSRC2:TRAP_HANDLER: 0
; COMPUTE_PGM_RSRC2:TGID_X_EN: 1
; COMPUTE_PGM_RSRC2:TGID_Y_EN: 0
; COMPUTE_PGM_RSRC2:TGID_Z_EN: 0
; COMPUTE_PGM_RSRC2:TIDIG_COMP_CNT: 0
; COMPUTE_PGM_RSRC3_GFX90A:ACCUM_OFFSET: 0
; COMPUTE_PGM_RSRC3_GFX90A:TG_SPLIT: 0
	.section	.text._ZN7rocprim17ROCPRIM_400000_NS6detail17trampoline_kernelINS0_14default_configENS1_27scan_by_key_config_selectorIixEEZZNS1_16scan_by_key_implILNS1_25lookback_scan_determinismE0ELb1ES3_N6thrust23THRUST_200600_302600_NS6detail15normal_iteratorINS9_10device_ptrIiEEEENSB_INSC_IxEEEESG_xNS9_4plusIvEENS9_8equal_toIvEExEE10hipError_tPvRmT2_T3_T4_T5_mT6_T7_P12ihipStream_tbENKUlT_T0_E_clISt17integral_constantIbLb0EES10_IbLb1EEEEDaSW_SX_EUlSW_E_NS1_11comp_targetILNS1_3genE9ELNS1_11target_archE1100ELNS1_3gpuE3ELNS1_3repE0EEENS1_30default_config_static_selectorELNS0_4arch9wavefront6targetE1EEEvT1_,"axG",@progbits,_ZN7rocprim17ROCPRIM_400000_NS6detail17trampoline_kernelINS0_14default_configENS1_27scan_by_key_config_selectorIixEEZZNS1_16scan_by_key_implILNS1_25lookback_scan_determinismE0ELb1ES3_N6thrust23THRUST_200600_302600_NS6detail15normal_iteratorINS9_10device_ptrIiEEEENSB_INSC_IxEEEESG_xNS9_4plusIvEENS9_8equal_toIvEExEE10hipError_tPvRmT2_T3_T4_T5_mT6_T7_P12ihipStream_tbENKUlT_T0_E_clISt17integral_constantIbLb0EES10_IbLb1EEEEDaSW_SX_EUlSW_E_NS1_11comp_targetILNS1_3genE9ELNS1_11target_archE1100ELNS1_3gpuE3ELNS1_3repE0EEENS1_30default_config_static_selectorELNS0_4arch9wavefront6targetE1EEEvT1_,comdat
	.protected	_ZN7rocprim17ROCPRIM_400000_NS6detail17trampoline_kernelINS0_14default_configENS1_27scan_by_key_config_selectorIixEEZZNS1_16scan_by_key_implILNS1_25lookback_scan_determinismE0ELb1ES3_N6thrust23THRUST_200600_302600_NS6detail15normal_iteratorINS9_10device_ptrIiEEEENSB_INSC_IxEEEESG_xNS9_4plusIvEENS9_8equal_toIvEExEE10hipError_tPvRmT2_T3_T4_T5_mT6_T7_P12ihipStream_tbENKUlT_T0_E_clISt17integral_constantIbLb0EES10_IbLb1EEEEDaSW_SX_EUlSW_E_NS1_11comp_targetILNS1_3genE9ELNS1_11target_archE1100ELNS1_3gpuE3ELNS1_3repE0EEENS1_30default_config_static_selectorELNS0_4arch9wavefront6targetE1EEEvT1_ ; -- Begin function _ZN7rocprim17ROCPRIM_400000_NS6detail17trampoline_kernelINS0_14default_configENS1_27scan_by_key_config_selectorIixEEZZNS1_16scan_by_key_implILNS1_25lookback_scan_determinismE0ELb1ES3_N6thrust23THRUST_200600_302600_NS6detail15normal_iteratorINS9_10device_ptrIiEEEENSB_INSC_IxEEEESG_xNS9_4plusIvEENS9_8equal_toIvEExEE10hipError_tPvRmT2_T3_T4_T5_mT6_T7_P12ihipStream_tbENKUlT_T0_E_clISt17integral_constantIbLb0EES10_IbLb1EEEEDaSW_SX_EUlSW_E_NS1_11comp_targetILNS1_3genE9ELNS1_11target_archE1100ELNS1_3gpuE3ELNS1_3repE0EEENS1_30default_config_static_selectorELNS0_4arch9wavefront6targetE1EEEvT1_
	.globl	_ZN7rocprim17ROCPRIM_400000_NS6detail17trampoline_kernelINS0_14default_configENS1_27scan_by_key_config_selectorIixEEZZNS1_16scan_by_key_implILNS1_25lookback_scan_determinismE0ELb1ES3_N6thrust23THRUST_200600_302600_NS6detail15normal_iteratorINS9_10device_ptrIiEEEENSB_INSC_IxEEEESG_xNS9_4plusIvEENS9_8equal_toIvEExEE10hipError_tPvRmT2_T3_T4_T5_mT6_T7_P12ihipStream_tbENKUlT_T0_E_clISt17integral_constantIbLb0EES10_IbLb1EEEEDaSW_SX_EUlSW_E_NS1_11comp_targetILNS1_3genE9ELNS1_11target_archE1100ELNS1_3gpuE3ELNS1_3repE0EEENS1_30default_config_static_selectorELNS0_4arch9wavefront6targetE1EEEvT1_
	.p2align	8
	.type	_ZN7rocprim17ROCPRIM_400000_NS6detail17trampoline_kernelINS0_14default_configENS1_27scan_by_key_config_selectorIixEEZZNS1_16scan_by_key_implILNS1_25lookback_scan_determinismE0ELb1ES3_N6thrust23THRUST_200600_302600_NS6detail15normal_iteratorINS9_10device_ptrIiEEEENSB_INSC_IxEEEESG_xNS9_4plusIvEENS9_8equal_toIvEExEE10hipError_tPvRmT2_T3_T4_T5_mT6_T7_P12ihipStream_tbENKUlT_T0_E_clISt17integral_constantIbLb0EES10_IbLb1EEEEDaSW_SX_EUlSW_E_NS1_11comp_targetILNS1_3genE9ELNS1_11target_archE1100ELNS1_3gpuE3ELNS1_3repE0EEENS1_30default_config_static_selectorELNS0_4arch9wavefront6targetE1EEEvT1_,@function
_ZN7rocprim17ROCPRIM_400000_NS6detail17trampoline_kernelINS0_14default_configENS1_27scan_by_key_config_selectorIixEEZZNS1_16scan_by_key_implILNS1_25lookback_scan_determinismE0ELb1ES3_N6thrust23THRUST_200600_302600_NS6detail15normal_iteratorINS9_10device_ptrIiEEEENSB_INSC_IxEEEESG_xNS9_4plusIvEENS9_8equal_toIvEExEE10hipError_tPvRmT2_T3_T4_T5_mT6_T7_P12ihipStream_tbENKUlT_T0_E_clISt17integral_constantIbLb0EES10_IbLb1EEEEDaSW_SX_EUlSW_E_NS1_11comp_targetILNS1_3genE9ELNS1_11target_archE1100ELNS1_3gpuE3ELNS1_3repE0EEENS1_30default_config_static_selectorELNS0_4arch9wavefront6targetE1EEEvT1_: ; @_ZN7rocprim17ROCPRIM_400000_NS6detail17trampoline_kernelINS0_14default_configENS1_27scan_by_key_config_selectorIixEEZZNS1_16scan_by_key_implILNS1_25lookback_scan_determinismE0ELb1ES3_N6thrust23THRUST_200600_302600_NS6detail15normal_iteratorINS9_10device_ptrIiEEEENSB_INSC_IxEEEESG_xNS9_4plusIvEENS9_8equal_toIvEExEE10hipError_tPvRmT2_T3_T4_T5_mT6_T7_P12ihipStream_tbENKUlT_T0_E_clISt17integral_constantIbLb0EES10_IbLb1EEEEDaSW_SX_EUlSW_E_NS1_11comp_targetILNS1_3genE9ELNS1_11target_archE1100ELNS1_3gpuE3ELNS1_3repE0EEENS1_30default_config_static_selectorELNS0_4arch9wavefront6targetE1EEEvT1_
; %bb.0:
	.section	.rodata,"a",@progbits
	.p2align	6, 0x0
	.amdhsa_kernel _ZN7rocprim17ROCPRIM_400000_NS6detail17trampoline_kernelINS0_14default_configENS1_27scan_by_key_config_selectorIixEEZZNS1_16scan_by_key_implILNS1_25lookback_scan_determinismE0ELb1ES3_N6thrust23THRUST_200600_302600_NS6detail15normal_iteratorINS9_10device_ptrIiEEEENSB_INSC_IxEEEESG_xNS9_4plusIvEENS9_8equal_toIvEExEE10hipError_tPvRmT2_T3_T4_T5_mT6_T7_P12ihipStream_tbENKUlT_T0_E_clISt17integral_constantIbLb0EES10_IbLb1EEEEDaSW_SX_EUlSW_E_NS1_11comp_targetILNS1_3genE9ELNS1_11target_archE1100ELNS1_3gpuE3ELNS1_3repE0EEENS1_30default_config_static_selectorELNS0_4arch9wavefront6targetE1EEEvT1_
		.amdhsa_group_segment_fixed_size 0
		.amdhsa_private_segment_fixed_size 0
		.amdhsa_kernarg_size 136
		.amdhsa_user_sgpr_count 2
		.amdhsa_user_sgpr_dispatch_ptr 0
		.amdhsa_user_sgpr_queue_ptr 0
		.amdhsa_user_sgpr_kernarg_segment_ptr 1
		.amdhsa_user_sgpr_dispatch_id 0
		.amdhsa_user_sgpr_kernarg_preload_length 0
		.amdhsa_user_sgpr_kernarg_preload_offset 0
		.amdhsa_user_sgpr_private_segment_size 0
		.amdhsa_uses_dynamic_stack 0
		.amdhsa_enable_private_segment 0
		.amdhsa_system_sgpr_workgroup_id_x 1
		.amdhsa_system_sgpr_workgroup_id_y 0
		.amdhsa_system_sgpr_workgroup_id_z 0
		.amdhsa_system_sgpr_workgroup_info 0
		.amdhsa_system_vgpr_workitem_id 0
		.amdhsa_next_free_vgpr 1
		.amdhsa_next_free_sgpr 0
		.amdhsa_accum_offset 4
		.amdhsa_reserve_vcc 0
		.amdhsa_float_round_mode_32 0
		.amdhsa_float_round_mode_16_64 0
		.amdhsa_float_denorm_mode_32 3
		.amdhsa_float_denorm_mode_16_64 3
		.amdhsa_dx10_clamp 1
		.amdhsa_ieee_mode 1
		.amdhsa_fp16_overflow 0
		.amdhsa_tg_split 0
		.amdhsa_exception_fp_ieee_invalid_op 0
		.amdhsa_exception_fp_denorm_src 0
		.amdhsa_exception_fp_ieee_div_zero 0
		.amdhsa_exception_fp_ieee_overflow 0
		.amdhsa_exception_fp_ieee_underflow 0
		.amdhsa_exception_fp_ieee_inexact 0
		.amdhsa_exception_int_div_zero 0
	.end_amdhsa_kernel
	.section	.text._ZN7rocprim17ROCPRIM_400000_NS6detail17trampoline_kernelINS0_14default_configENS1_27scan_by_key_config_selectorIixEEZZNS1_16scan_by_key_implILNS1_25lookback_scan_determinismE0ELb1ES3_N6thrust23THRUST_200600_302600_NS6detail15normal_iteratorINS9_10device_ptrIiEEEENSB_INSC_IxEEEESG_xNS9_4plusIvEENS9_8equal_toIvEExEE10hipError_tPvRmT2_T3_T4_T5_mT6_T7_P12ihipStream_tbENKUlT_T0_E_clISt17integral_constantIbLb0EES10_IbLb1EEEEDaSW_SX_EUlSW_E_NS1_11comp_targetILNS1_3genE9ELNS1_11target_archE1100ELNS1_3gpuE3ELNS1_3repE0EEENS1_30default_config_static_selectorELNS0_4arch9wavefront6targetE1EEEvT1_,"axG",@progbits,_ZN7rocprim17ROCPRIM_400000_NS6detail17trampoline_kernelINS0_14default_configENS1_27scan_by_key_config_selectorIixEEZZNS1_16scan_by_key_implILNS1_25lookback_scan_determinismE0ELb1ES3_N6thrust23THRUST_200600_302600_NS6detail15normal_iteratorINS9_10device_ptrIiEEEENSB_INSC_IxEEEESG_xNS9_4plusIvEENS9_8equal_toIvEExEE10hipError_tPvRmT2_T3_T4_T5_mT6_T7_P12ihipStream_tbENKUlT_T0_E_clISt17integral_constantIbLb0EES10_IbLb1EEEEDaSW_SX_EUlSW_E_NS1_11comp_targetILNS1_3genE9ELNS1_11target_archE1100ELNS1_3gpuE3ELNS1_3repE0EEENS1_30default_config_static_selectorELNS0_4arch9wavefront6targetE1EEEvT1_,comdat
.Lfunc_end1605:
	.size	_ZN7rocprim17ROCPRIM_400000_NS6detail17trampoline_kernelINS0_14default_configENS1_27scan_by_key_config_selectorIixEEZZNS1_16scan_by_key_implILNS1_25lookback_scan_determinismE0ELb1ES3_N6thrust23THRUST_200600_302600_NS6detail15normal_iteratorINS9_10device_ptrIiEEEENSB_INSC_IxEEEESG_xNS9_4plusIvEENS9_8equal_toIvEExEE10hipError_tPvRmT2_T3_T4_T5_mT6_T7_P12ihipStream_tbENKUlT_T0_E_clISt17integral_constantIbLb0EES10_IbLb1EEEEDaSW_SX_EUlSW_E_NS1_11comp_targetILNS1_3genE9ELNS1_11target_archE1100ELNS1_3gpuE3ELNS1_3repE0EEENS1_30default_config_static_selectorELNS0_4arch9wavefront6targetE1EEEvT1_, .Lfunc_end1605-_ZN7rocprim17ROCPRIM_400000_NS6detail17trampoline_kernelINS0_14default_configENS1_27scan_by_key_config_selectorIixEEZZNS1_16scan_by_key_implILNS1_25lookback_scan_determinismE0ELb1ES3_N6thrust23THRUST_200600_302600_NS6detail15normal_iteratorINS9_10device_ptrIiEEEENSB_INSC_IxEEEESG_xNS9_4plusIvEENS9_8equal_toIvEExEE10hipError_tPvRmT2_T3_T4_T5_mT6_T7_P12ihipStream_tbENKUlT_T0_E_clISt17integral_constantIbLb0EES10_IbLb1EEEEDaSW_SX_EUlSW_E_NS1_11comp_targetILNS1_3genE9ELNS1_11target_archE1100ELNS1_3gpuE3ELNS1_3repE0EEENS1_30default_config_static_selectorELNS0_4arch9wavefront6targetE1EEEvT1_
                                        ; -- End function
	.section	.AMDGPU.csdata,"",@progbits
; Kernel info:
; codeLenInByte = 0
; NumSgprs: 6
; NumVgprs: 0
; NumAgprs: 0
; TotalNumVgprs: 0
; ScratchSize: 0
; MemoryBound: 0
; FloatMode: 240
; IeeeMode: 1
; LDSByteSize: 0 bytes/workgroup (compile time only)
; SGPRBlocks: 0
; VGPRBlocks: 0
; NumSGPRsForWavesPerEU: 6
; NumVGPRsForWavesPerEU: 1
; AccumOffset: 4
; Occupancy: 8
; WaveLimiterHint : 0
; COMPUTE_PGM_RSRC2:SCRATCH_EN: 0
; COMPUTE_PGM_RSRC2:USER_SGPR: 2
; COMPUTE_PGM_RSRC2:TRAP_HANDLER: 0
; COMPUTE_PGM_RSRC2:TGID_X_EN: 1
; COMPUTE_PGM_RSRC2:TGID_Y_EN: 0
; COMPUTE_PGM_RSRC2:TGID_Z_EN: 0
; COMPUTE_PGM_RSRC2:TIDIG_COMP_CNT: 0
; COMPUTE_PGM_RSRC3_GFX90A:ACCUM_OFFSET: 0
; COMPUTE_PGM_RSRC3_GFX90A:TG_SPLIT: 0
	.section	.text._ZN7rocprim17ROCPRIM_400000_NS6detail17trampoline_kernelINS0_14default_configENS1_27scan_by_key_config_selectorIixEEZZNS1_16scan_by_key_implILNS1_25lookback_scan_determinismE0ELb1ES3_N6thrust23THRUST_200600_302600_NS6detail15normal_iteratorINS9_10device_ptrIiEEEENSB_INSC_IxEEEESG_xNS9_4plusIvEENS9_8equal_toIvEExEE10hipError_tPvRmT2_T3_T4_T5_mT6_T7_P12ihipStream_tbENKUlT_T0_E_clISt17integral_constantIbLb0EES10_IbLb1EEEEDaSW_SX_EUlSW_E_NS1_11comp_targetILNS1_3genE8ELNS1_11target_archE1030ELNS1_3gpuE2ELNS1_3repE0EEENS1_30default_config_static_selectorELNS0_4arch9wavefront6targetE1EEEvT1_,"axG",@progbits,_ZN7rocprim17ROCPRIM_400000_NS6detail17trampoline_kernelINS0_14default_configENS1_27scan_by_key_config_selectorIixEEZZNS1_16scan_by_key_implILNS1_25lookback_scan_determinismE0ELb1ES3_N6thrust23THRUST_200600_302600_NS6detail15normal_iteratorINS9_10device_ptrIiEEEENSB_INSC_IxEEEESG_xNS9_4plusIvEENS9_8equal_toIvEExEE10hipError_tPvRmT2_T3_T4_T5_mT6_T7_P12ihipStream_tbENKUlT_T0_E_clISt17integral_constantIbLb0EES10_IbLb1EEEEDaSW_SX_EUlSW_E_NS1_11comp_targetILNS1_3genE8ELNS1_11target_archE1030ELNS1_3gpuE2ELNS1_3repE0EEENS1_30default_config_static_selectorELNS0_4arch9wavefront6targetE1EEEvT1_,comdat
	.protected	_ZN7rocprim17ROCPRIM_400000_NS6detail17trampoline_kernelINS0_14default_configENS1_27scan_by_key_config_selectorIixEEZZNS1_16scan_by_key_implILNS1_25lookback_scan_determinismE0ELb1ES3_N6thrust23THRUST_200600_302600_NS6detail15normal_iteratorINS9_10device_ptrIiEEEENSB_INSC_IxEEEESG_xNS9_4plusIvEENS9_8equal_toIvEExEE10hipError_tPvRmT2_T3_T4_T5_mT6_T7_P12ihipStream_tbENKUlT_T0_E_clISt17integral_constantIbLb0EES10_IbLb1EEEEDaSW_SX_EUlSW_E_NS1_11comp_targetILNS1_3genE8ELNS1_11target_archE1030ELNS1_3gpuE2ELNS1_3repE0EEENS1_30default_config_static_selectorELNS0_4arch9wavefront6targetE1EEEvT1_ ; -- Begin function _ZN7rocprim17ROCPRIM_400000_NS6detail17trampoline_kernelINS0_14default_configENS1_27scan_by_key_config_selectorIixEEZZNS1_16scan_by_key_implILNS1_25lookback_scan_determinismE0ELb1ES3_N6thrust23THRUST_200600_302600_NS6detail15normal_iteratorINS9_10device_ptrIiEEEENSB_INSC_IxEEEESG_xNS9_4plusIvEENS9_8equal_toIvEExEE10hipError_tPvRmT2_T3_T4_T5_mT6_T7_P12ihipStream_tbENKUlT_T0_E_clISt17integral_constantIbLb0EES10_IbLb1EEEEDaSW_SX_EUlSW_E_NS1_11comp_targetILNS1_3genE8ELNS1_11target_archE1030ELNS1_3gpuE2ELNS1_3repE0EEENS1_30default_config_static_selectorELNS0_4arch9wavefront6targetE1EEEvT1_
	.globl	_ZN7rocprim17ROCPRIM_400000_NS6detail17trampoline_kernelINS0_14default_configENS1_27scan_by_key_config_selectorIixEEZZNS1_16scan_by_key_implILNS1_25lookback_scan_determinismE0ELb1ES3_N6thrust23THRUST_200600_302600_NS6detail15normal_iteratorINS9_10device_ptrIiEEEENSB_INSC_IxEEEESG_xNS9_4plusIvEENS9_8equal_toIvEExEE10hipError_tPvRmT2_T3_T4_T5_mT6_T7_P12ihipStream_tbENKUlT_T0_E_clISt17integral_constantIbLb0EES10_IbLb1EEEEDaSW_SX_EUlSW_E_NS1_11comp_targetILNS1_3genE8ELNS1_11target_archE1030ELNS1_3gpuE2ELNS1_3repE0EEENS1_30default_config_static_selectorELNS0_4arch9wavefront6targetE1EEEvT1_
	.p2align	8
	.type	_ZN7rocprim17ROCPRIM_400000_NS6detail17trampoline_kernelINS0_14default_configENS1_27scan_by_key_config_selectorIixEEZZNS1_16scan_by_key_implILNS1_25lookback_scan_determinismE0ELb1ES3_N6thrust23THRUST_200600_302600_NS6detail15normal_iteratorINS9_10device_ptrIiEEEENSB_INSC_IxEEEESG_xNS9_4plusIvEENS9_8equal_toIvEExEE10hipError_tPvRmT2_T3_T4_T5_mT6_T7_P12ihipStream_tbENKUlT_T0_E_clISt17integral_constantIbLb0EES10_IbLb1EEEEDaSW_SX_EUlSW_E_NS1_11comp_targetILNS1_3genE8ELNS1_11target_archE1030ELNS1_3gpuE2ELNS1_3repE0EEENS1_30default_config_static_selectorELNS0_4arch9wavefront6targetE1EEEvT1_,@function
_ZN7rocprim17ROCPRIM_400000_NS6detail17trampoline_kernelINS0_14default_configENS1_27scan_by_key_config_selectorIixEEZZNS1_16scan_by_key_implILNS1_25lookback_scan_determinismE0ELb1ES3_N6thrust23THRUST_200600_302600_NS6detail15normal_iteratorINS9_10device_ptrIiEEEENSB_INSC_IxEEEESG_xNS9_4plusIvEENS9_8equal_toIvEExEE10hipError_tPvRmT2_T3_T4_T5_mT6_T7_P12ihipStream_tbENKUlT_T0_E_clISt17integral_constantIbLb0EES10_IbLb1EEEEDaSW_SX_EUlSW_E_NS1_11comp_targetILNS1_3genE8ELNS1_11target_archE1030ELNS1_3gpuE2ELNS1_3repE0EEENS1_30default_config_static_selectorELNS0_4arch9wavefront6targetE1EEEvT1_: ; @_ZN7rocprim17ROCPRIM_400000_NS6detail17trampoline_kernelINS0_14default_configENS1_27scan_by_key_config_selectorIixEEZZNS1_16scan_by_key_implILNS1_25lookback_scan_determinismE0ELb1ES3_N6thrust23THRUST_200600_302600_NS6detail15normal_iteratorINS9_10device_ptrIiEEEENSB_INSC_IxEEEESG_xNS9_4plusIvEENS9_8equal_toIvEExEE10hipError_tPvRmT2_T3_T4_T5_mT6_T7_P12ihipStream_tbENKUlT_T0_E_clISt17integral_constantIbLb0EES10_IbLb1EEEEDaSW_SX_EUlSW_E_NS1_11comp_targetILNS1_3genE8ELNS1_11target_archE1030ELNS1_3gpuE2ELNS1_3repE0EEENS1_30default_config_static_selectorELNS0_4arch9wavefront6targetE1EEEvT1_
; %bb.0:
	.section	.rodata,"a",@progbits
	.p2align	6, 0x0
	.amdhsa_kernel _ZN7rocprim17ROCPRIM_400000_NS6detail17trampoline_kernelINS0_14default_configENS1_27scan_by_key_config_selectorIixEEZZNS1_16scan_by_key_implILNS1_25lookback_scan_determinismE0ELb1ES3_N6thrust23THRUST_200600_302600_NS6detail15normal_iteratorINS9_10device_ptrIiEEEENSB_INSC_IxEEEESG_xNS9_4plusIvEENS9_8equal_toIvEExEE10hipError_tPvRmT2_T3_T4_T5_mT6_T7_P12ihipStream_tbENKUlT_T0_E_clISt17integral_constantIbLb0EES10_IbLb1EEEEDaSW_SX_EUlSW_E_NS1_11comp_targetILNS1_3genE8ELNS1_11target_archE1030ELNS1_3gpuE2ELNS1_3repE0EEENS1_30default_config_static_selectorELNS0_4arch9wavefront6targetE1EEEvT1_
		.amdhsa_group_segment_fixed_size 0
		.amdhsa_private_segment_fixed_size 0
		.amdhsa_kernarg_size 136
		.amdhsa_user_sgpr_count 2
		.amdhsa_user_sgpr_dispatch_ptr 0
		.amdhsa_user_sgpr_queue_ptr 0
		.amdhsa_user_sgpr_kernarg_segment_ptr 1
		.amdhsa_user_sgpr_dispatch_id 0
		.amdhsa_user_sgpr_kernarg_preload_length 0
		.amdhsa_user_sgpr_kernarg_preload_offset 0
		.amdhsa_user_sgpr_private_segment_size 0
		.amdhsa_uses_dynamic_stack 0
		.amdhsa_enable_private_segment 0
		.amdhsa_system_sgpr_workgroup_id_x 1
		.amdhsa_system_sgpr_workgroup_id_y 0
		.amdhsa_system_sgpr_workgroup_id_z 0
		.amdhsa_system_sgpr_workgroup_info 0
		.amdhsa_system_vgpr_workitem_id 0
		.amdhsa_next_free_vgpr 1
		.amdhsa_next_free_sgpr 0
		.amdhsa_accum_offset 4
		.amdhsa_reserve_vcc 0
		.amdhsa_float_round_mode_32 0
		.amdhsa_float_round_mode_16_64 0
		.amdhsa_float_denorm_mode_32 3
		.amdhsa_float_denorm_mode_16_64 3
		.amdhsa_dx10_clamp 1
		.amdhsa_ieee_mode 1
		.amdhsa_fp16_overflow 0
		.amdhsa_tg_split 0
		.amdhsa_exception_fp_ieee_invalid_op 0
		.amdhsa_exception_fp_denorm_src 0
		.amdhsa_exception_fp_ieee_div_zero 0
		.amdhsa_exception_fp_ieee_overflow 0
		.amdhsa_exception_fp_ieee_underflow 0
		.amdhsa_exception_fp_ieee_inexact 0
		.amdhsa_exception_int_div_zero 0
	.end_amdhsa_kernel
	.section	.text._ZN7rocprim17ROCPRIM_400000_NS6detail17trampoline_kernelINS0_14default_configENS1_27scan_by_key_config_selectorIixEEZZNS1_16scan_by_key_implILNS1_25lookback_scan_determinismE0ELb1ES3_N6thrust23THRUST_200600_302600_NS6detail15normal_iteratorINS9_10device_ptrIiEEEENSB_INSC_IxEEEESG_xNS9_4plusIvEENS9_8equal_toIvEExEE10hipError_tPvRmT2_T3_T4_T5_mT6_T7_P12ihipStream_tbENKUlT_T0_E_clISt17integral_constantIbLb0EES10_IbLb1EEEEDaSW_SX_EUlSW_E_NS1_11comp_targetILNS1_3genE8ELNS1_11target_archE1030ELNS1_3gpuE2ELNS1_3repE0EEENS1_30default_config_static_selectorELNS0_4arch9wavefront6targetE1EEEvT1_,"axG",@progbits,_ZN7rocprim17ROCPRIM_400000_NS6detail17trampoline_kernelINS0_14default_configENS1_27scan_by_key_config_selectorIixEEZZNS1_16scan_by_key_implILNS1_25lookback_scan_determinismE0ELb1ES3_N6thrust23THRUST_200600_302600_NS6detail15normal_iteratorINS9_10device_ptrIiEEEENSB_INSC_IxEEEESG_xNS9_4plusIvEENS9_8equal_toIvEExEE10hipError_tPvRmT2_T3_T4_T5_mT6_T7_P12ihipStream_tbENKUlT_T0_E_clISt17integral_constantIbLb0EES10_IbLb1EEEEDaSW_SX_EUlSW_E_NS1_11comp_targetILNS1_3genE8ELNS1_11target_archE1030ELNS1_3gpuE2ELNS1_3repE0EEENS1_30default_config_static_selectorELNS0_4arch9wavefront6targetE1EEEvT1_,comdat
.Lfunc_end1606:
	.size	_ZN7rocprim17ROCPRIM_400000_NS6detail17trampoline_kernelINS0_14default_configENS1_27scan_by_key_config_selectorIixEEZZNS1_16scan_by_key_implILNS1_25lookback_scan_determinismE0ELb1ES3_N6thrust23THRUST_200600_302600_NS6detail15normal_iteratorINS9_10device_ptrIiEEEENSB_INSC_IxEEEESG_xNS9_4plusIvEENS9_8equal_toIvEExEE10hipError_tPvRmT2_T3_T4_T5_mT6_T7_P12ihipStream_tbENKUlT_T0_E_clISt17integral_constantIbLb0EES10_IbLb1EEEEDaSW_SX_EUlSW_E_NS1_11comp_targetILNS1_3genE8ELNS1_11target_archE1030ELNS1_3gpuE2ELNS1_3repE0EEENS1_30default_config_static_selectorELNS0_4arch9wavefront6targetE1EEEvT1_, .Lfunc_end1606-_ZN7rocprim17ROCPRIM_400000_NS6detail17trampoline_kernelINS0_14default_configENS1_27scan_by_key_config_selectorIixEEZZNS1_16scan_by_key_implILNS1_25lookback_scan_determinismE0ELb1ES3_N6thrust23THRUST_200600_302600_NS6detail15normal_iteratorINS9_10device_ptrIiEEEENSB_INSC_IxEEEESG_xNS9_4plusIvEENS9_8equal_toIvEExEE10hipError_tPvRmT2_T3_T4_T5_mT6_T7_P12ihipStream_tbENKUlT_T0_E_clISt17integral_constantIbLb0EES10_IbLb1EEEEDaSW_SX_EUlSW_E_NS1_11comp_targetILNS1_3genE8ELNS1_11target_archE1030ELNS1_3gpuE2ELNS1_3repE0EEENS1_30default_config_static_selectorELNS0_4arch9wavefront6targetE1EEEvT1_
                                        ; -- End function
	.section	.AMDGPU.csdata,"",@progbits
; Kernel info:
; codeLenInByte = 0
; NumSgprs: 6
; NumVgprs: 0
; NumAgprs: 0
; TotalNumVgprs: 0
; ScratchSize: 0
; MemoryBound: 0
; FloatMode: 240
; IeeeMode: 1
; LDSByteSize: 0 bytes/workgroup (compile time only)
; SGPRBlocks: 0
; VGPRBlocks: 0
; NumSGPRsForWavesPerEU: 6
; NumVGPRsForWavesPerEU: 1
; AccumOffset: 4
; Occupancy: 8
; WaveLimiterHint : 0
; COMPUTE_PGM_RSRC2:SCRATCH_EN: 0
; COMPUTE_PGM_RSRC2:USER_SGPR: 2
; COMPUTE_PGM_RSRC2:TRAP_HANDLER: 0
; COMPUTE_PGM_RSRC2:TGID_X_EN: 1
; COMPUTE_PGM_RSRC2:TGID_Y_EN: 0
; COMPUTE_PGM_RSRC2:TGID_Z_EN: 0
; COMPUTE_PGM_RSRC2:TIDIG_COMP_CNT: 0
; COMPUTE_PGM_RSRC3_GFX90A:ACCUM_OFFSET: 0
; COMPUTE_PGM_RSRC3_GFX90A:TG_SPLIT: 0
	.section	.text._ZN7rocprim17ROCPRIM_400000_NS6detail17trampoline_kernelINS0_14default_configENS1_27scan_by_key_config_selectorIisEEZZNS1_16scan_by_key_implILNS1_25lookback_scan_determinismE0ELb1ES3_N6thrust23THRUST_200600_302600_NS6detail15normal_iteratorINS9_10device_ptrIiEEEENSB_INSC_IsEEEESG_sNS9_4plusIvEENS9_8equal_toIvEEsEE10hipError_tPvRmT2_T3_T4_T5_mT6_T7_P12ihipStream_tbENKUlT_T0_E_clISt17integral_constantIbLb0EES11_EEDaSW_SX_EUlSW_E_NS1_11comp_targetILNS1_3genE0ELNS1_11target_archE4294967295ELNS1_3gpuE0ELNS1_3repE0EEENS1_30default_config_static_selectorELNS0_4arch9wavefront6targetE1EEEvT1_,"axG",@progbits,_ZN7rocprim17ROCPRIM_400000_NS6detail17trampoline_kernelINS0_14default_configENS1_27scan_by_key_config_selectorIisEEZZNS1_16scan_by_key_implILNS1_25lookback_scan_determinismE0ELb1ES3_N6thrust23THRUST_200600_302600_NS6detail15normal_iteratorINS9_10device_ptrIiEEEENSB_INSC_IsEEEESG_sNS9_4plusIvEENS9_8equal_toIvEEsEE10hipError_tPvRmT2_T3_T4_T5_mT6_T7_P12ihipStream_tbENKUlT_T0_E_clISt17integral_constantIbLb0EES11_EEDaSW_SX_EUlSW_E_NS1_11comp_targetILNS1_3genE0ELNS1_11target_archE4294967295ELNS1_3gpuE0ELNS1_3repE0EEENS1_30default_config_static_selectorELNS0_4arch9wavefront6targetE1EEEvT1_,comdat
	.protected	_ZN7rocprim17ROCPRIM_400000_NS6detail17trampoline_kernelINS0_14default_configENS1_27scan_by_key_config_selectorIisEEZZNS1_16scan_by_key_implILNS1_25lookback_scan_determinismE0ELb1ES3_N6thrust23THRUST_200600_302600_NS6detail15normal_iteratorINS9_10device_ptrIiEEEENSB_INSC_IsEEEESG_sNS9_4plusIvEENS9_8equal_toIvEEsEE10hipError_tPvRmT2_T3_T4_T5_mT6_T7_P12ihipStream_tbENKUlT_T0_E_clISt17integral_constantIbLb0EES11_EEDaSW_SX_EUlSW_E_NS1_11comp_targetILNS1_3genE0ELNS1_11target_archE4294967295ELNS1_3gpuE0ELNS1_3repE0EEENS1_30default_config_static_selectorELNS0_4arch9wavefront6targetE1EEEvT1_ ; -- Begin function _ZN7rocprim17ROCPRIM_400000_NS6detail17trampoline_kernelINS0_14default_configENS1_27scan_by_key_config_selectorIisEEZZNS1_16scan_by_key_implILNS1_25lookback_scan_determinismE0ELb1ES3_N6thrust23THRUST_200600_302600_NS6detail15normal_iteratorINS9_10device_ptrIiEEEENSB_INSC_IsEEEESG_sNS9_4plusIvEENS9_8equal_toIvEEsEE10hipError_tPvRmT2_T3_T4_T5_mT6_T7_P12ihipStream_tbENKUlT_T0_E_clISt17integral_constantIbLb0EES11_EEDaSW_SX_EUlSW_E_NS1_11comp_targetILNS1_3genE0ELNS1_11target_archE4294967295ELNS1_3gpuE0ELNS1_3repE0EEENS1_30default_config_static_selectorELNS0_4arch9wavefront6targetE1EEEvT1_
	.globl	_ZN7rocprim17ROCPRIM_400000_NS6detail17trampoline_kernelINS0_14default_configENS1_27scan_by_key_config_selectorIisEEZZNS1_16scan_by_key_implILNS1_25lookback_scan_determinismE0ELb1ES3_N6thrust23THRUST_200600_302600_NS6detail15normal_iteratorINS9_10device_ptrIiEEEENSB_INSC_IsEEEESG_sNS9_4plusIvEENS9_8equal_toIvEEsEE10hipError_tPvRmT2_T3_T4_T5_mT6_T7_P12ihipStream_tbENKUlT_T0_E_clISt17integral_constantIbLb0EES11_EEDaSW_SX_EUlSW_E_NS1_11comp_targetILNS1_3genE0ELNS1_11target_archE4294967295ELNS1_3gpuE0ELNS1_3repE0EEENS1_30default_config_static_selectorELNS0_4arch9wavefront6targetE1EEEvT1_
	.p2align	8
	.type	_ZN7rocprim17ROCPRIM_400000_NS6detail17trampoline_kernelINS0_14default_configENS1_27scan_by_key_config_selectorIisEEZZNS1_16scan_by_key_implILNS1_25lookback_scan_determinismE0ELb1ES3_N6thrust23THRUST_200600_302600_NS6detail15normal_iteratorINS9_10device_ptrIiEEEENSB_INSC_IsEEEESG_sNS9_4plusIvEENS9_8equal_toIvEEsEE10hipError_tPvRmT2_T3_T4_T5_mT6_T7_P12ihipStream_tbENKUlT_T0_E_clISt17integral_constantIbLb0EES11_EEDaSW_SX_EUlSW_E_NS1_11comp_targetILNS1_3genE0ELNS1_11target_archE4294967295ELNS1_3gpuE0ELNS1_3repE0EEENS1_30default_config_static_selectorELNS0_4arch9wavefront6targetE1EEEvT1_,@function
_ZN7rocprim17ROCPRIM_400000_NS6detail17trampoline_kernelINS0_14default_configENS1_27scan_by_key_config_selectorIisEEZZNS1_16scan_by_key_implILNS1_25lookback_scan_determinismE0ELb1ES3_N6thrust23THRUST_200600_302600_NS6detail15normal_iteratorINS9_10device_ptrIiEEEENSB_INSC_IsEEEESG_sNS9_4plusIvEENS9_8equal_toIvEEsEE10hipError_tPvRmT2_T3_T4_T5_mT6_T7_P12ihipStream_tbENKUlT_T0_E_clISt17integral_constantIbLb0EES11_EEDaSW_SX_EUlSW_E_NS1_11comp_targetILNS1_3genE0ELNS1_11target_archE4294967295ELNS1_3gpuE0ELNS1_3repE0EEENS1_30default_config_static_selectorELNS0_4arch9wavefront6targetE1EEEvT1_: ; @_ZN7rocprim17ROCPRIM_400000_NS6detail17trampoline_kernelINS0_14default_configENS1_27scan_by_key_config_selectorIisEEZZNS1_16scan_by_key_implILNS1_25lookback_scan_determinismE0ELb1ES3_N6thrust23THRUST_200600_302600_NS6detail15normal_iteratorINS9_10device_ptrIiEEEENSB_INSC_IsEEEESG_sNS9_4plusIvEENS9_8equal_toIvEEsEE10hipError_tPvRmT2_T3_T4_T5_mT6_T7_P12ihipStream_tbENKUlT_T0_E_clISt17integral_constantIbLb0EES11_EEDaSW_SX_EUlSW_E_NS1_11comp_targetILNS1_3genE0ELNS1_11target_archE4294967295ELNS1_3gpuE0ELNS1_3repE0EEENS1_30default_config_static_selectorELNS0_4arch9wavefront6targetE1EEEvT1_
; %bb.0:
	.section	.rodata,"a",@progbits
	.p2align	6, 0x0
	.amdhsa_kernel _ZN7rocprim17ROCPRIM_400000_NS6detail17trampoline_kernelINS0_14default_configENS1_27scan_by_key_config_selectorIisEEZZNS1_16scan_by_key_implILNS1_25lookback_scan_determinismE0ELb1ES3_N6thrust23THRUST_200600_302600_NS6detail15normal_iteratorINS9_10device_ptrIiEEEENSB_INSC_IsEEEESG_sNS9_4plusIvEENS9_8equal_toIvEEsEE10hipError_tPvRmT2_T3_T4_T5_mT6_T7_P12ihipStream_tbENKUlT_T0_E_clISt17integral_constantIbLb0EES11_EEDaSW_SX_EUlSW_E_NS1_11comp_targetILNS1_3genE0ELNS1_11target_archE4294967295ELNS1_3gpuE0ELNS1_3repE0EEENS1_30default_config_static_selectorELNS0_4arch9wavefront6targetE1EEEvT1_
		.amdhsa_group_segment_fixed_size 0
		.amdhsa_private_segment_fixed_size 0
		.amdhsa_kernarg_size 112
		.amdhsa_user_sgpr_count 2
		.amdhsa_user_sgpr_dispatch_ptr 0
		.amdhsa_user_sgpr_queue_ptr 0
		.amdhsa_user_sgpr_kernarg_segment_ptr 1
		.amdhsa_user_sgpr_dispatch_id 0
		.amdhsa_user_sgpr_kernarg_preload_length 0
		.amdhsa_user_sgpr_kernarg_preload_offset 0
		.amdhsa_user_sgpr_private_segment_size 0
		.amdhsa_uses_dynamic_stack 0
		.amdhsa_enable_private_segment 0
		.amdhsa_system_sgpr_workgroup_id_x 1
		.amdhsa_system_sgpr_workgroup_id_y 0
		.amdhsa_system_sgpr_workgroup_id_z 0
		.amdhsa_system_sgpr_workgroup_info 0
		.amdhsa_system_vgpr_workitem_id 0
		.amdhsa_next_free_vgpr 1
		.amdhsa_next_free_sgpr 0
		.amdhsa_accum_offset 4
		.amdhsa_reserve_vcc 0
		.amdhsa_float_round_mode_32 0
		.amdhsa_float_round_mode_16_64 0
		.amdhsa_float_denorm_mode_32 3
		.amdhsa_float_denorm_mode_16_64 3
		.amdhsa_dx10_clamp 1
		.amdhsa_ieee_mode 1
		.amdhsa_fp16_overflow 0
		.amdhsa_tg_split 0
		.amdhsa_exception_fp_ieee_invalid_op 0
		.amdhsa_exception_fp_denorm_src 0
		.amdhsa_exception_fp_ieee_div_zero 0
		.amdhsa_exception_fp_ieee_overflow 0
		.amdhsa_exception_fp_ieee_underflow 0
		.amdhsa_exception_fp_ieee_inexact 0
		.amdhsa_exception_int_div_zero 0
	.end_amdhsa_kernel
	.section	.text._ZN7rocprim17ROCPRIM_400000_NS6detail17trampoline_kernelINS0_14default_configENS1_27scan_by_key_config_selectorIisEEZZNS1_16scan_by_key_implILNS1_25lookback_scan_determinismE0ELb1ES3_N6thrust23THRUST_200600_302600_NS6detail15normal_iteratorINS9_10device_ptrIiEEEENSB_INSC_IsEEEESG_sNS9_4plusIvEENS9_8equal_toIvEEsEE10hipError_tPvRmT2_T3_T4_T5_mT6_T7_P12ihipStream_tbENKUlT_T0_E_clISt17integral_constantIbLb0EES11_EEDaSW_SX_EUlSW_E_NS1_11comp_targetILNS1_3genE0ELNS1_11target_archE4294967295ELNS1_3gpuE0ELNS1_3repE0EEENS1_30default_config_static_selectorELNS0_4arch9wavefront6targetE1EEEvT1_,"axG",@progbits,_ZN7rocprim17ROCPRIM_400000_NS6detail17trampoline_kernelINS0_14default_configENS1_27scan_by_key_config_selectorIisEEZZNS1_16scan_by_key_implILNS1_25lookback_scan_determinismE0ELb1ES3_N6thrust23THRUST_200600_302600_NS6detail15normal_iteratorINS9_10device_ptrIiEEEENSB_INSC_IsEEEESG_sNS9_4plusIvEENS9_8equal_toIvEEsEE10hipError_tPvRmT2_T3_T4_T5_mT6_T7_P12ihipStream_tbENKUlT_T0_E_clISt17integral_constantIbLb0EES11_EEDaSW_SX_EUlSW_E_NS1_11comp_targetILNS1_3genE0ELNS1_11target_archE4294967295ELNS1_3gpuE0ELNS1_3repE0EEENS1_30default_config_static_selectorELNS0_4arch9wavefront6targetE1EEEvT1_,comdat
.Lfunc_end1607:
	.size	_ZN7rocprim17ROCPRIM_400000_NS6detail17trampoline_kernelINS0_14default_configENS1_27scan_by_key_config_selectorIisEEZZNS1_16scan_by_key_implILNS1_25lookback_scan_determinismE0ELb1ES3_N6thrust23THRUST_200600_302600_NS6detail15normal_iteratorINS9_10device_ptrIiEEEENSB_INSC_IsEEEESG_sNS9_4plusIvEENS9_8equal_toIvEEsEE10hipError_tPvRmT2_T3_T4_T5_mT6_T7_P12ihipStream_tbENKUlT_T0_E_clISt17integral_constantIbLb0EES11_EEDaSW_SX_EUlSW_E_NS1_11comp_targetILNS1_3genE0ELNS1_11target_archE4294967295ELNS1_3gpuE0ELNS1_3repE0EEENS1_30default_config_static_selectorELNS0_4arch9wavefront6targetE1EEEvT1_, .Lfunc_end1607-_ZN7rocprim17ROCPRIM_400000_NS6detail17trampoline_kernelINS0_14default_configENS1_27scan_by_key_config_selectorIisEEZZNS1_16scan_by_key_implILNS1_25lookback_scan_determinismE0ELb1ES3_N6thrust23THRUST_200600_302600_NS6detail15normal_iteratorINS9_10device_ptrIiEEEENSB_INSC_IsEEEESG_sNS9_4plusIvEENS9_8equal_toIvEEsEE10hipError_tPvRmT2_T3_T4_T5_mT6_T7_P12ihipStream_tbENKUlT_T0_E_clISt17integral_constantIbLb0EES11_EEDaSW_SX_EUlSW_E_NS1_11comp_targetILNS1_3genE0ELNS1_11target_archE4294967295ELNS1_3gpuE0ELNS1_3repE0EEENS1_30default_config_static_selectorELNS0_4arch9wavefront6targetE1EEEvT1_
                                        ; -- End function
	.section	.AMDGPU.csdata,"",@progbits
; Kernel info:
; codeLenInByte = 0
; NumSgprs: 6
; NumVgprs: 0
; NumAgprs: 0
; TotalNumVgprs: 0
; ScratchSize: 0
; MemoryBound: 0
; FloatMode: 240
; IeeeMode: 1
; LDSByteSize: 0 bytes/workgroup (compile time only)
; SGPRBlocks: 0
; VGPRBlocks: 0
; NumSGPRsForWavesPerEU: 6
; NumVGPRsForWavesPerEU: 1
; AccumOffset: 4
; Occupancy: 8
; WaveLimiterHint : 0
; COMPUTE_PGM_RSRC2:SCRATCH_EN: 0
; COMPUTE_PGM_RSRC2:USER_SGPR: 2
; COMPUTE_PGM_RSRC2:TRAP_HANDLER: 0
; COMPUTE_PGM_RSRC2:TGID_X_EN: 1
; COMPUTE_PGM_RSRC2:TGID_Y_EN: 0
; COMPUTE_PGM_RSRC2:TGID_Z_EN: 0
; COMPUTE_PGM_RSRC2:TIDIG_COMP_CNT: 0
; COMPUTE_PGM_RSRC3_GFX90A:ACCUM_OFFSET: 0
; COMPUTE_PGM_RSRC3_GFX90A:TG_SPLIT: 0
	.section	.text._ZN7rocprim17ROCPRIM_400000_NS6detail17trampoline_kernelINS0_14default_configENS1_27scan_by_key_config_selectorIisEEZZNS1_16scan_by_key_implILNS1_25lookback_scan_determinismE0ELb1ES3_N6thrust23THRUST_200600_302600_NS6detail15normal_iteratorINS9_10device_ptrIiEEEENSB_INSC_IsEEEESG_sNS9_4plusIvEENS9_8equal_toIvEEsEE10hipError_tPvRmT2_T3_T4_T5_mT6_T7_P12ihipStream_tbENKUlT_T0_E_clISt17integral_constantIbLb0EES11_EEDaSW_SX_EUlSW_E_NS1_11comp_targetILNS1_3genE10ELNS1_11target_archE1201ELNS1_3gpuE5ELNS1_3repE0EEENS1_30default_config_static_selectorELNS0_4arch9wavefront6targetE1EEEvT1_,"axG",@progbits,_ZN7rocprim17ROCPRIM_400000_NS6detail17trampoline_kernelINS0_14default_configENS1_27scan_by_key_config_selectorIisEEZZNS1_16scan_by_key_implILNS1_25lookback_scan_determinismE0ELb1ES3_N6thrust23THRUST_200600_302600_NS6detail15normal_iteratorINS9_10device_ptrIiEEEENSB_INSC_IsEEEESG_sNS9_4plusIvEENS9_8equal_toIvEEsEE10hipError_tPvRmT2_T3_T4_T5_mT6_T7_P12ihipStream_tbENKUlT_T0_E_clISt17integral_constantIbLb0EES11_EEDaSW_SX_EUlSW_E_NS1_11comp_targetILNS1_3genE10ELNS1_11target_archE1201ELNS1_3gpuE5ELNS1_3repE0EEENS1_30default_config_static_selectorELNS0_4arch9wavefront6targetE1EEEvT1_,comdat
	.protected	_ZN7rocprim17ROCPRIM_400000_NS6detail17trampoline_kernelINS0_14default_configENS1_27scan_by_key_config_selectorIisEEZZNS1_16scan_by_key_implILNS1_25lookback_scan_determinismE0ELb1ES3_N6thrust23THRUST_200600_302600_NS6detail15normal_iteratorINS9_10device_ptrIiEEEENSB_INSC_IsEEEESG_sNS9_4plusIvEENS9_8equal_toIvEEsEE10hipError_tPvRmT2_T3_T4_T5_mT6_T7_P12ihipStream_tbENKUlT_T0_E_clISt17integral_constantIbLb0EES11_EEDaSW_SX_EUlSW_E_NS1_11comp_targetILNS1_3genE10ELNS1_11target_archE1201ELNS1_3gpuE5ELNS1_3repE0EEENS1_30default_config_static_selectorELNS0_4arch9wavefront6targetE1EEEvT1_ ; -- Begin function _ZN7rocprim17ROCPRIM_400000_NS6detail17trampoline_kernelINS0_14default_configENS1_27scan_by_key_config_selectorIisEEZZNS1_16scan_by_key_implILNS1_25lookback_scan_determinismE0ELb1ES3_N6thrust23THRUST_200600_302600_NS6detail15normal_iteratorINS9_10device_ptrIiEEEENSB_INSC_IsEEEESG_sNS9_4plusIvEENS9_8equal_toIvEEsEE10hipError_tPvRmT2_T3_T4_T5_mT6_T7_P12ihipStream_tbENKUlT_T0_E_clISt17integral_constantIbLb0EES11_EEDaSW_SX_EUlSW_E_NS1_11comp_targetILNS1_3genE10ELNS1_11target_archE1201ELNS1_3gpuE5ELNS1_3repE0EEENS1_30default_config_static_selectorELNS0_4arch9wavefront6targetE1EEEvT1_
	.globl	_ZN7rocprim17ROCPRIM_400000_NS6detail17trampoline_kernelINS0_14default_configENS1_27scan_by_key_config_selectorIisEEZZNS1_16scan_by_key_implILNS1_25lookback_scan_determinismE0ELb1ES3_N6thrust23THRUST_200600_302600_NS6detail15normal_iteratorINS9_10device_ptrIiEEEENSB_INSC_IsEEEESG_sNS9_4plusIvEENS9_8equal_toIvEEsEE10hipError_tPvRmT2_T3_T4_T5_mT6_T7_P12ihipStream_tbENKUlT_T0_E_clISt17integral_constantIbLb0EES11_EEDaSW_SX_EUlSW_E_NS1_11comp_targetILNS1_3genE10ELNS1_11target_archE1201ELNS1_3gpuE5ELNS1_3repE0EEENS1_30default_config_static_selectorELNS0_4arch9wavefront6targetE1EEEvT1_
	.p2align	8
	.type	_ZN7rocprim17ROCPRIM_400000_NS6detail17trampoline_kernelINS0_14default_configENS1_27scan_by_key_config_selectorIisEEZZNS1_16scan_by_key_implILNS1_25lookback_scan_determinismE0ELb1ES3_N6thrust23THRUST_200600_302600_NS6detail15normal_iteratorINS9_10device_ptrIiEEEENSB_INSC_IsEEEESG_sNS9_4plusIvEENS9_8equal_toIvEEsEE10hipError_tPvRmT2_T3_T4_T5_mT6_T7_P12ihipStream_tbENKUlT_T0_E_clISt17integral_constantIbLb0EES11_EEDaSW_SX_EUlSW_E_NS1_11comp_targetILNS1_3genE10ELNS1_11target_archE1201ELNS1_3gpuE5ELNS1_3repE0EEENS1_30default_config_static_selectorELNS0_4arch9wavefront6targetE1EEEvT1_,@function
_ZN7rocprim17ROCPRIM_400000_NS6detail17trampoline_kernelINS0_14default_configENS1_27scan_by_key_config_selectorIisEEZZNS1_16scan_by_key_implILNS1_25lookback_scan_determinismE0ELb1ES3_N6thrust23THRUST_200600_302600_NS6detail15normal_iteratorINS9_10device_ptrIiEEEENSB_INSC_IsEEEESG_sNS9_4plusIvEENS9_8equal_toIvEEsEE10hipError_tPvRmT2_T3_T4_T5_mT6_T7_P12ihipStream_tbENKUlT_T0_E_clISt17integral_constantIbLb0EES11_EEDaSW_SX_EUlSW_E_NS1_11comp_targetILNS1_3genE10ELNS1_11target_archE1201ELNS1_3gpuE5ELNS1_3repE0EEENS1_30default_config_static_selectorELNS0_4arch9wavefront6targetE1EEEvT1_: ; @_ZN7rocprim17ROCPRIM_400000_NS6detail17trampoline_kernelINS0_14default_configENS1_27scan_by_key_config_selectorIisEEZZNS1_16scan_by_key_implILNS1_25lookback_scan_determinismE0ELb1ES3_N6thrust23THRUST_200600_302600_NS6detail15normal_iteratorINS9_10device_ptrIiEEEENSB_INSC_IsEEEESG_sNS9_4plusIvEENS9_8equal_toIvEEsEE10hipError_tPvRmT2_T3_T4_T5_mT6_T7_P12ihipStream_tbENKUlT_T0_E_clISt17integral_constantIbLb0EES11_EEDaSW_SX_EUlSW_E_NS1_11comp_targetILNS1_3genE10ELNS1_11target_archE1201ELNS1_3gpuE5ELNS1_3repE0EEENS1_30default_config_static_selectorELNS0_4arch9wavefront6targetE1EEEvT1_
; %bb.0:
	.section	.rodata,"a",@progbits
	.p2align	6, 0x0
	.amdhsa_kernel _ZN7rocprim17ROCPRIM_400000_NS6detail17trampoline_kernelINS0_14default_configENS1_27scan_by_key_config_selectorIisEEZZNS1_16scan_by_key_implILNS1_25lookback_scan_determinismE0ELb1ES3_N6thrust23THRUST_200600_302600_NS6detail15normal_iteratorINS9_10device_ptrIiEEEENSB_INSC_IsEEEESG_sNS9_4plusIvEENS9_8equal_toIvEEsEE10hipError_tPvRmT2_T3_T4_T5_mT6_T7_P12ihipStream_tbENKUlT_T0_E_clISt17integral_constantIbLb0EES11_EEDaSW_SX_EUlSW_E_NS1_11comp_targetILNS1_3genE10ELNS1_11target_archE1201ELNS1_3gpuE5ELNS1_3repE0EEENS1_30default_config_static_selectorELNS0_4arch9wavefront6targetE1EEEvT1_
		.amdhsa_group_segment_fixed_size 0
		.amdhsa_private_segment_fixed_size 0
		.amdhsa_kernarg_size 112
		.amdhsa_user_sgpr_count 2
		.amdhsa_user_sgpr_dispatch_ptr 0
		.amdhsa_user_sgpr_queue_ptr 0
		.amdhsa_user_sgpr_kernarg_segment_ptr 1
		.amdhsa_user_sgpr_dispatch_id 0
		.amdhsa_user_sgpr_kernarg_preload_length 0
		.amdhsa_user_sgpr_kernarg_preload_offset 0
		.amdhsa_user_sgpr_private_segment_size 0
		.amdhsa_uses_dynamic_stack 0
		.amdhsa_enable_private_segment 0
		.amdhsa_system_sgpr_workgroup_id_x 1
		.amdhsa_system_sgpr_workgroup_id_y 0
		.amdhsa_system_sgpr_workgroup_id_z 0
		.amdhsa_system_sgpr_workgroup_info 0
		.amdhsa_system_vgpr_workitem_id 0
		.amdhsa_next_free_vgpr 1
		.amdhsa_next_free_sgpr 0
		.amdhsa_accum_offset 4
		.amdhsa_reserve_vcc 0
		.amdhsa_float_round_mode_32 0
		.amdhsa_float_round_mode_16_64 0
		.amdhsa_float_denorm_mode_32 3
		.amdhsa_float_denorm_mode_16_64 3
		.amdhsa_dx10_clamp 1
		.amdhsa_ieee_mode 1
		.amdhsa_fp16_overflow 0
		.amdhsa_tg_split 0
		.amdhsa_exception_fp_ieee_invalid_op 0
		.amdhsa_exception_fp_denorm_src 0
		.amdhsa_exception_fp_ieee_div_zero 0
		.amdhsa_exception_fp_ieee_overflow 0
		.amdhsa_exception_fp_ieee_underflow 0
		.amdhsa_exception_fp_ieee_inexact 0
		.amdhsa_exception_int_div_zero 0
	.end_amdhsa_kernel
	.section	.text._ZN7rocprim17ROCPRIM_400000_NS6detail17trampoline_kernelINS0_14default_configENS1_27scan_by_key_config_selectorIisEEZZNS1_16scan_by_key_implILNS1_25lookback_scan_determinismE0ELb1ES3_N6thrust23THRUST_200600_302600_NS6detail15normal_iteratorINS9_10device_ptrIiEEEENSB_INSC_IsEEEESG_sNS9_4plusIvEENS9_8equal_toIvEEsEE10hipError_tPvRmT2_T3_T4_T5_mT6_T7_P12ihipStream_tbENKUlT_T0_E_clISt17integral_constantIbLb0EES11_EEDaSW_SX_EUlSW_E_NS1_11comp_targetILNS1_3genE10ELNS1_11target_archE1201ELNS1_3gpuE5ELNS1_3repE0EEENS1_30default_config_static_selectorELNS0_4arch9wavefront6targetE1EEEvT1_,"axG",@progbits,_ZN7rocprim17ROCPRIM_400000_NS6detail17trampoline_kernelINS0_14default_configENS1_27scan_by_key_config_selectorIisEEZZNS1_16scan_by_key_implILNS1_25lookback_scan_determinismE0ELb1ES3_N6thrust23THRUST_200600_302600_NS6detail15normal_iteratorINS9_10device_ptrIiEEEENSB_INSC_IsEEEESG_sNS9_4plusIvEENS9_8equal_toIvEEsEE10hipError_tPvRmT2_T3_T4_T5_mT6_T7_P12ihipStream_tbENKUlT_T0_E_clISt17integral_constantIbLb0EES11_EEDaSW_SX_EUlSW_E_NS1_11comp_targetILNS1_3genE10ELNS1_11target_archE1201ELNS1_3gpuE5ELNS1_3repE0EEENS1_30default_config_static_selectorELNS0_4arch9wavefront6targetE1EEEvT1_,comdat
.Lfunc_end1608:
	.size	_ZN7rocprim17ROCPRIM_400000_NS6detail17trampoline_kernelINS0_14default_configENS1_27scan_by_key_config_selectorIisEEZZNS1_16scan_by_key_implILNS1_25lookback_scan_determinismE0ELb1ES3_N6thrust23THRUST_200600_302600_NS6detail15normal_iteratorINS9_10device_ptrIiEEEENSB_INSC_IsEEEESG_sNS9_4plusIvEENS9_8equal_toIvEEsEE10hipError_tPvRmT2_T3_T4_T5_mT6_T7_P12ihipStream_tbENKUlT_T0_E_clISt17integral_constantIbLb0EES11_EEDaSW_SX_EUlSW_E_NS1_11comp_targetILNS1_3genE10ELNS1_11target_archE1201ELNS1_3gpuE5ELNS1_3repE0EEENS1_30default_config_static_selectorELNS0_4arch9wavefront6targetE1EEEvT1_, .Lfunc_end1608-_ZN7rocprim17ROCPRIM_400000_NS6detail17trampoline_kernelINS0_14default_configENS1_27scan_by_key_config_selectorIisEEZZNS1_16scan_by_key_implILNS1_25lookback_scan_determinismE0ELb1ES3_N6thrust23THRUST_200600_302600_NS6detail15normal_iteratorINS9_10device_ptrIiEEEENSB_INSC_IsEEEESG_sNS9_4plusIvEENS9_8equal_toIvEEsEE10hipError_tPvRmT2_T3_T4_T5_mT6_T7_P12ihipStream_tbENKUlT_T0_E_clISt17integral_constantIbLb0EES11_EEDaSW_SX_EUlSW_E_NS1_11comp_targetILNS1_3genE10ELNS1_11target_archE1201ELNS1_3gpuE5ELNS1_3repE0EEENS1_30default_config_static_selectorELNS0_4arch9wavefront6targetE1EEEvT1_
                                        ; -- End function
	.section	.AMDGPU.csdata,"",@progbits
; Kernel info:
; codeLenInByte = 0
; NumSgprs: 6
; NumVgprs: 0
; NumAgprs: 0
; TotalNumVgprs: 0
; ScratchSize: 0
; MemoryBound: 0
; FloatMode: 240
; IeeeMode: 1
; LDSByteSize: 0 bytes/workgroup (compile time only)
; SGPRBlocks: 0
; VGPRBlocks: 0
; NumSGPRsForWavesPerEU: 6
; NumVGPRsForWavesPerEU: 1
; AccumOffset: 4
; Occupancy: 8
; WaveLimiterHint : 0
; COMPUTE_PGM_RSRC2:SCRATCH_EN: 0
; COMPUTE_PGM_RSRC2:USER_SGPR: 2
; COMPUTE_PGM_RSRC2:TRAP_HANDLER: 0
; COMPUTE_PGM_RSRC2:TGID_X_EN: 1
; COMPUTE_PGM_RSRC2:TGID_Y_EN: 0
; COMPUTE_PGM_RSRC2:TGID_Z_EN: 0
; COMPUTE_PGM_RSRC2:TIDIG_COMP_CNT: 0
; COMPUTE_PGM_RSRC3_GFX90A:ACCUM_OFFSET: 0
; COMPUTE_PGM_RSRC3_GFX90A:TG_SPLIT: 0
	.section	.text._ZN7rocprim17ROCPRIM_400000_NS6detail17trampoline_kernelINS0_14default_configENS1_27scan_by_key_config_selectorIisEEZZNS1_16scan_by_key_implILNS1_25lookback_scan_determinismE0ELb1ES3_N6thrust23THRUST_200600_302600_NS6detail15normal_iteratorINS9_10device_ptrIiEEEENSB_INSC_IsEEEESG_sNS9_4plusIvEENS9_8equal_toIvEEsEE10hipError_tPvRmT2_T3_T4_T5_mT6_T7_P12ihipStream_tbENKUlT_T0_E_clISt17integral_constantIbLb0EES11_EEDaSW_SX_EUlSW_E_NS1_11comp_targetILNS1_3genE5ELNS1_11target_archE942ELNS1_3gpuE9ELNS1_3repE0EEENS1_30default_config_static_selectorELNS0_4arch9wavefront6targetE1EEEvT1_,"axG",@progbits,_ZN7rocprim17ROCPRIM_400000_NS6detail17trampoline_kernelINS0_14default_configENS1_27scan_by_key_config_selectorIisEEZZNS1_16scan_by_key_implILNS1_25lookback_scan_determinismE0ELb1ES3_N6thrust23THRUST_200600_302600_NS6detail15normal_iteratorINS9_10device_ptrIiEEEENSB_INSC_IsEEEESG_sNS9_4plusIvEENS9_8equal_toIvEEsEE10hipError_tPvRmT2_T3_T4_T5_mT6_T7_P12ihipStream_tbENKUlT_T0_E_clISt17integral_constantIbLb0EES11_EEDaSW_SX_EUlSW_E_NS1_11comp_targetILNS1_3genE5ELNS1_11target_archE942ELNS1_3gpuE9ELNS1_3repE0EEENS1_30default_config_static_selectorELNS0_4arch9wavefront6targetE1EEEvT1_,comdat
	.protected	_ZN7rocprim17ROCPRIM_400000_NS6detail17trampoline_kernelINS0_14default_configENS1_27scan_by_key_config_selectorIisEEZZNS1_16scan_by_key_implILNS1_25lookback_scan_determinismE0ELb1ES3_N6thrust23THRUST_200600_302600_NS6detail15normal_iteratorINS9_10device_ptrIiEEEENSB_INSC_IsEEEESG_sNS9_4plusIvEENS9_8equal_toIvEEsEE10hipError_tPvRmT2_T3_T4_T5_mT6_T7_P12ihipStream_tbENKUlT_T0_E_clISt17integral_constantIbLb0EES11_EEDaSW_SX_EUlSW_E_NS1_11comp_targetILNS1_3genE5ELNS1_11target_archE942ELNS1_3gpuE9ELNS1_3repE0EEENS1_30default_config_static_selectorELNS0_4arch9wavefront6targetE1EEEvT1_ ; -- Begin function _ZN7rocprim17ROCPRIM_400000_NS6detail17trampoline_kernelINS0_14default_configENS1_27scan_by_key_config_selectorIisEEZZNS1_16scan_by_key_implILNS1_25lookback_scan_determinismE0ELb1ES3_N6thrust23THRUST_200600_302600_NS6detail15normal_iteratorINS9_10device_ptrIiEEEENSB_INSC_IsEEEESG_sNS9_4plusIvEENS9_8equal_toIvEEsEE10hipError_tPvRmT2_T3_T4_T5_mT6_T7_P12ihipStream_tbENKUlT_T0_E_clISt17integral_constantIbLb0EES11_EEDaSW_SX_EUlSW_E_NS1_11comp_targetILNS1_3genE5ELNS1_11target_archE942ELNS1_3gpuE9ELNS1_3repE0EEENS1_30default_config_static_selectorELNS0_4arch9wavefront6targetE1EEEvT1_
	.globl	_ZN7rocprim17ROCPRIM_400000_NS6detail17trampoline_kernelINS0_14default_configENS1_27scan_by_key_config_selectorIisEEZZNS1_16scan_by_key_implILNS1_25lookback_scan_determinismE0ELb1ES3_N6thrust23THRUST_200600_302600_NS6detail15normal_iteratorINS9_10device_ptrIiEEEENSB_INSC_IsEEEESG_sNS9_4plusIvEENS9_8equal_toIvEEsEE10hipError_tPvRmT2_T3_T4_T5_mT6_T7_P12ihipStream_tbENKUlT_T0_E_clISt17integral_constantIbLb0EES11_EEDaSW_SX_EUlSW_E_NS1_11comp_targetILNS1_3genE5ELNS1_11target_archE942ELNS1_3gpuE9ELNS1_3repE0EEENS1_30default_config_static_selectorELNS0_4arch9wavefront6targetE1EEEvT1_
	.p2align	8
	.type	_ZN7rocprim17ROCPRIM_400000_NS6detail17trampoline_kernelINS0_14default_configENS1_27scan_by_key_config_selectorIisEEZZNS1_16scan_by_key_implILNS1_25lookback_scan_determinismE0ELb1ES3_N6thrust23THRUST_200600_302600_NS6detail15normal_iteratorINS9_10device_ptrIiEEEENSB_INSC_IsEEEESG_sNS9_4plusIvEENS9_8equal_toIvEEsEE10hipError_tPvRmT2_T3_T4_T5_mT6_T7_P12ihipStream_tbENKUlT_T0_E_clISt17integral_constantIbLb0EES11_EEDaSW_SX_EUlSW_E_NS1_11comp_targetILNS1_3genE5ELNS1_11target_archE942ELNS1_3gpuE9ELNS1_3repE0EEENS1_30default_config_static_selectorELNS0_4arch9wavefront6targetE1EEEvT1_,@function
_ZN7rocprim17ROCPRIM_400000_NS6detail17trampoline_kernelINS0_14default_configENS1_27scan_by_key_config_selectorIisEEZZNS1_16scan_by_key_implILNS1_25lookback_scan_determinismE0ELb1ES3_N6thrust23THRUST_200600_302600_NS6detail15normal_iteratorINS9_10device_ptrIiEEEENSB_INSC_IsEEEESG_sNS9_4plusIvEENS9_8equal_toIvEEsEE10hipError_tPvRmT2_T3_T4_T5_mT6_T7_P12ihipStream_tbENKUlT_T0_E_clISt17integral_constantIbLb0EES11_EEDaSW_SX_EUlSW_E_NS1_11comp_targetILNS1_3genE5ELNS1_11target_archE942ELNS1_3gpuE9ELNS1_3repE0EEENS1_30default_config_static_selectorELNS0_4arch9wavefront6targetE1EEEvT1_: ; @_ZN7rocprim17ROCPRIM_400000_NS6detail17trampoline_kernelINS0_14default_configENS1_27scan_by_key_config_selectorIisEEZZNS1_16scan_by_key_implILNS1_25lookback_scan_determinismE0ELb1ES3_N6thrust23THRUST_200600_302600_NS6detail15normal_iteratorINS9_10device_ptrIiEEEENSB_INSC_IsEEEESG_sNS9_4plusIvEENS9_8equal_toIvEEsEE10hipError_tPvRmT2_T3_T4_T5_mT6_T7_P12ihipStream_tbENKUlT_T0_E_clISt17integral_constantIbLb0EES11_EEDaSW_SX_EUlSW_E_NS1_11comp_targetILNS1_3genE5ELNS1_11target_archE942ELNS1_3gpuE9ELNS1_3repE0EEENS1_30default_config_static_selectorELNS0_4arch9wavefront6targetE1EEEvT1_
; %bb.0:
	s_load_dwordx8 s[48:55], s[0:1], 0x0
	s_load_dword s80, s[0:1], 0x20
	s_load_dwordx4 s[56:59], s[0:1], 0x28
	s_load_dwordx2 s[68:69], s[0:1], 0x38
	s_load_dword s3, s[0:1], 0x40
	s_load_dwordx4 s[60:63], s[0:1], 0x48
	s_waitcnt lgkmcnt(0)
	s_lshl_b64 s[0:1], s[50:51], 2
	s_add_u32 s6, s48, s0
	s_addc_u32 s7, s49, s1
	s_lshl_b64 s[64:65], s[50:51], 1
	s_add_u32 s8, s52, s64
	s_mul_i32 s0, s69, s3
	s_mul_hi_u32 s1, s68, s3
	s_addc_u32 s9, s53, s65
	s_add_i32 s10, s1, s0
	s_mul_i32 s0, s2, 0x1800
	s_mov_b32 s1, 0
	s_lshl_b64 s[4:5], s[0:1], 2
	s_add_u32 s72, s6, s4
	s_addc_u32 s73, s7, s5
	s_lshl_b64 s[66:67], s[0:1], 1
	s_add_u32 s70, s8, s66
	s_mul_i32 s3, s68, s3
	s_addc_u32 s71, s9, s67
	s_add_u32 s0, s3, s2
	s_addc_u32 s1, s10, 0
	s_add_u32 s4, s60, -1
	s_addc_u32 s5, s61, -1
	v_mov_b64_e32 v[2:3], s[4:5]
	v_cmp_ge_u64_e64 s[0:1], s[0:1], v[2:3]
	s_mov_b64 s[20:21], -1
	s_and_b64 vcc, exec, s[0:1]
	s_mul_i32 s33, s4, 0xffffe800
	s_barrier
	s_cbranch_vccz .LBB1609_126
; %bb.1:
	v_mov_b64_e32 v[2:3], s[72:73]
	flat_load_dword v2, v[2:3]
	s_add_i32 s3, s33, s58
	v_cmp_gt_u32_e32 vcc, s3, v0
	s_waitcnt vmcnt(0) lgkmcnt(0)
	v_mov_b32_e32 v3, v2
	s_and_saveexec_b64 s[4:5], vcc
	s_cbranch_execz .LBB1609_3
; %bb.2:
	v_lshlrev_b32_e32 v4, 2, v0
	v_mov_b32_e32 v5, 0
	v_lshl_add_u64 v[4:5], s[72:73], 0, v[4:5]
	flat_load_dword v3, v[4:5]
.LBB1609_3:
	s_or_b64 exec, exec, s[4:5]
	v_or_b32_e32 v1, 0x100, v0
	v_cmp_gt_u32_e64 s[50:51], s3, v1
	v_mov_b32_e32 v19, v2
	s_and_saveexec_b64 s[4:5], s[50:51]
	s_cbranch_execz .LBB1609_5
; %bb.4:
	v_lshlrev_b32_e32 v4, 2, v0
	v_mov_b32_e32 v5, 0
	v_lshl_add_u64 v[4:5], s[72:73], 0, v[4:5]
	flat_load_dword v19, v[4:5] offset:1024
.LBB1609_5:
	s_or_b64 exec, exec, s[4:5]
	v_or_b32_e32 v1, 0x200, v0
	v_cmp_gt_u32_e64 s[4:5], s3, v1
	v_mov_b32_e32 v20, v2
	s_and_saveexec_b64 s[6:7], s[4:5]
	s_cbranch_execz .LBB1609_7
; %bb.6:
	v_lshlrev_b32_e32 v4, 2, v0
	v_mov_b32_e32 v5, 0
	v_lshl_add_u64 v[4:5], s[72:73], 0, v[4:5]
	flat_load_dword v20, v[4:5] offset:2048
.LBB1609_7:
	;; [unrolled: 12-line block ×3, first 2 shown]
	s_or_b64 exec, exec, s[8:9]
	v_or_b32_e32 v1, 0x400, v0
	v_cmp_gt_u32_e64 s[8:9], s3, v1
	v_mov_b32_e32 v22, v2
	s_and_saveexec_b64 s[10:11], s[8:9]
	s_cbranch_execz .LBB1609_11
; %bb.10:
	v_lshlrev_b32_e32 v4, 2, v1
	v_mov_b32_e32 v5, 0
	v_lshl_add_u64 v[4:5], s[72:73], 0, v[4:5]
	flat_load_dword v22, v[4:5]
.LBB1609_11:
	s_or_b64 exec, exec, s[10:11]
	v_or_b32_e32 v1, 0x500, v0
	v_cmp_gt_u32_e64 s[10:11], s3, v1
	v_mov_b32_e32 v23, v2
	s_and_saveexec_b64 s[12:13], s[10:11]
	s_cbranch_execz .LBB1609_13
; %bb.12:
	v_lshlrev_b32_e32 v4, 2, v1
	v_mov_b32_e32 v5, 0
	v_lshl_add_u64 v[4:5], s[72:73], 0, v[4:5]
	flat_load_dword v23, v[4:5]
.LBB1609_13:
	;; [unrolled: 12-line block ×19, first 2 shown]
	s_or_b64 exec, exec, s[48:49]
	v_or_b32_e32 v18, 0x1700, v0
	v_cmp_gt_u32_e64 s[48:49], s3, v18
	s_and_saveexec_b64 s[52:53], s[48:49]
	s_cbranch_execz .LBB1609_49
; %bb.48:
	v_lshlrev_b32_e32 v42, 2, v18
	v_mov_b32_e32 v43, 0
	v_lshl_add_u64 v[42:43], s[72:73], 0, v[42:43]
	flat_load_dword v2, v[42:43]
.LBB1609_49:
	s_or_b64 exec, exec, s[52:53]
	v_lshlrev_b32_e32 v46, 2, v0
	s_waitcnt vmcnt(0) lgkmcnt(0)
	ds_write2st64_b32 v46, v3, v19 offset1:4
	ds_write2st64_b32 v46, v20, v21 offset0:8 offset1:12
	ds_write2st64_b32 v46, v22, v23 offset0:16 offset1:20
	;; [unrolled: 1-line block ×11, first 2 shown]
	v_mov_b64_e32 v[2:3], s[72:73]
	s_waitcnt lgkmcnt(0)
	s_barrier
	flat_load_dword v52, v[2:3]
	s_movk_i32 s52, 0x5c
	v_mad_u32_u24 v2, v0, s52, v46
	s_movk_i32 s52, 0xffa4
	v_mad_i32_i24 v19, v0, s52, v2
	s_movk_i32 s52, 0xff
	v_cmp_ne_u32_e64 s[52:53], s52, v0
	ds_read_b128 v[42:45], v2
	ds_read_b128 v[38:41], v2 offset:16
	ds_read_b128 v[34:37], v2 offset:32
	;; [unrolled: 1-line block ×5, first 2 shown]
	s_waitcnt lgkmcnt(0)
	ds_write_b32 v19, v42 offset:25600
	s_waitcnt lgkmcnt(0)
	s_barrier
	s_and_saveexec_b64 s[60:61], s[52:53]
	s_cbranch_execz .LBB1609_51
; %bb.50:
	s_waitcnt vmcnt(0)
	ds_read_b32 v52, v46 offset:25604
.LBB1609_51:
	s_or_b64 exec, exec, s[60:61]
	v_mov_b32_e32 v3, 0
	s_waitcnt lgkmcnt(0)
	s_barrier
	s_waitcnt lgkmcnt(0)
                                        ; implicit-def: $vgpr2
	s_and_saveexec_b64 s[52:53], vcc
	s_cbranch_execz .LBB1609_201
; %bb.52:
	v_lshlrev_b32_e32 v2, 1, v0
	v_lshl_add_u64 v[2:3], s[70:71], 0, v[2:3]
	flat_load_ushort v2, v[2:3]
	s_or_b64 exec, exec, s[52:53]
                                        ; implicit-def: $vgpr3
	s_and_saveexec_b64 s[52:53], s[50:51]
	s_cbranch_execnz .LBB1609_202
.LBB1609_53:
	s_or_b64 exec, exec, s[52:53]
                                        ; implicit-def: $vgpr20
	s_and_saveexec_b64 s[50:51], s[4:5]
	s_cbranch_execz .LBB1609_203
.LBB1609_54:
	v_lshlrev_b32_e32 v20, 1, v0
	v_mov_b32_e32 v21, 0
	v_lshl_add_u64 v[20:21], s[70:71], 0, v[20:21]
	flat_load_ushort v20, v[20:21] offset:1024
	s_or_b64 exec, exec, s[50:51]
                                        ; implicit-def: $vgpr21
	s_and_saveexec_b64 s[4:5], s[6:7]
	s_cbranch_execnz .LBB1609_204
.LBB1609_55:
	s_or_b64 exec, exec, s[4:5]
                                        ; implicit-def: $vgpr46
	s_and_saveexec_b64 s[4:5], s[8:9]
	s_cbranch_execz .LBB1609_205
.LBB1609_56:
	v_lshlrev_b32_e32 v46, 1, v0
	v_mov_b32_e32 v47, 0
	v_lshl_add_u64 v[46:47], s[70:71], 0, v[46:47]
	flat_load_ushort v46, v[46:47] offset:2048
	s_or_b64 exec, exec, s[4:5]
                                        ; implicit-def: $vgpr47
	s_and_saveexec_b64 s[4:5], s[10:11]
	s_cbranch_execnz .LBB1609_206
.LBB1609_57:
	s_or_b64 exec, exec, s[4:5]
                                        ; implicit-def: $vgpr48
	s_and_saveexec_b64 s[4:5], s[12:13]
	s_cbranch_execz .LBB1609_207
.LBB1609_58:
	v_lshlrev_b32_e32 v48, 1, v0
	v_mov_b32_e32 v49, 0
	v_lshl_add_u64 v[48:49], s[70:71], 0, v[48:49]
	flat_load_ushort v48, v[48:49] offset:3072
	s_or_b64 exec, exec, s[4:5]
                                        ; implicit-def: $vgpr49
	s_and_saveexec_b64 s[4:5], s[14:15]
	s_cbranch_execnz .LBB1609_208
.LBB1609_59:
	s_or_b64 exec, exec, s[4:5]
                                        ; implicit-def: $vgpr50
	s_and_saveexec_b64 s[4:5], s[16:17]
	s_cbranch_execz .LBB1609_209
.LBB1609_60:
	v_lshlrev_b32_e32 v50, 1, v1
	v_mov_b32_e32 v51, 0
	v_lshl_add_u64 v[50:51], s[70:71], 0, v[50:51]
	flat_load_ushort v50, v[50:51]
	s_or_b64 exec, exec, s[4:5]
                                        ; implicit-def: $vgpr1
	s_and_saveexec_b64 s[4:5], s[18:19]
	s_cbranch_execnz .LBB1609_210
.LBB1609_61:
	s_or_b64 exec, exec, s[4:5]
                                        ; implicit-def: $vgpr4
	s_and_saveexec_b64 s[4:5], s[20:21]
	s_cbranch_execz .LBB1609_211
.LBB1609_62:
	v_lshlrev_b32_e32 v4, 1, v5
	v_mov_b32_e32 v5, 0
	v_lshl_add_u64 v[4:5], s[70:71], 0, v[4:5]
	flat_load_ushort v4, v[4:5]
	s_or_b64 exec, exec, s[4:5]
                                        ; implicit-def: $vgpr5
	s_and_saveexec_b64 s[4:5], s[22:23]
	s_cbranch_execnz .LBB1609_212
.LBB1609_63:
	s_or_b64 exec, exec, s[4:5]
                                        ; implicit-def: $vgpr6
	s_and_saveexec_b64 s[4:5], s[24:25]
	s_cbranch_execz .LBB1609_213
.LBB1609_64:
	v_lshlrev_b32_e32 v6, 1, v7
	v_mov_b32_e32 v7, 0
	v_lshl_add_u64 v[6:7], s[70:71], 0, v[6:7]
	flat_load_ushort v6, v[6:7]
	s_or_b64 exec, exec, s[4:5]
                                        ; implicit-def: $vgpr7
	s_and_saveexec_b64 s[4:5], s[26:27]
	s_cbranch_execnz .LBB1609_214
.LBB1609_65:
	s_or_b64 exec, exec, s[4:5]
                                        ; implicit-def: $vgpr8
	s_and_saveexec_b64 s[4:5], s[28:29]
	s_cbranch_execz .LBB1609_215
.LBB1609_66:
	v_lshlrev_b32_e32 v8, 1, v9
	v_mov_b32_e32 v9, 0
	v_lshl_add_u64 v[8:9], s[70:71], 0, v[8:9]
	flat_load_ushort v8, v[8:9]
	s_or_b64 exec, exec, s[4:5]
                                        ; implicit-def: $vgpr9
	s_and_saveexec_b64 s[4:5], s[30:31]
	s_cbranch_execnz .LBB1609_216
.LBB1609_67:
	s_or_b64 exec, exec, s[4:5]
                                        ; implicit-def: $vgpr10
	s_and_saveexec_b64 s[4:5], s[34:35]
	s_cbranch_execz .LBB1609_217
.LBB1609_68:
	v_lshlrev_b32_e32 v10, 1, v11
	v_mov_b32_e32 v11, 0
	v_lshl_add_u64 v[10:11], s[70:71], 0, v[10:11]
	flat_load_ushort v10, v[10:11]
	s_or_b64 exec, exec, s[4:5]
                                        ; implicit-def: $vgpr11
	s_and_saveexec_b64 s[4:5], s[36:37]
	s_cbranch_execnz .LBB1609_218
.LBB1609_69:
	s_or_b64 exec, exec, s[4:5]
                                        ; implicit-def: $vgpr12
	s_and_saveexec_b64 s[4:5], s[38:39]
	s_cbranch_execz .LBB1609_219
.LBB1609_70:
	v_lshlrev_b32_e32 v12, 1, v13
	v_mov_b32_e32 v13, 0
	v_lshl_add_u64 v[12:13], s[70:71], 0, v[12:13]
	flat_load_ushort v12, v[12:13]
	s_or_b64 exec, exec, s[4:5]
                                        ; implicit-def: $vgpr13
	s_and_saveexec_b64 s[4:5], s[40:41]
	s_cbranch_execnz .LBB1609_220
.LBB1609_71:
	s_or_b64 exec, exec, s[4:5]
                                        ; implicit-def: $vgpr14
	s_and_saveexec_b64 s[4:5], s[42:43]
	s_cbranch_execz .LBB1609_221
.LBB1609_72:
	v_lshlrev_b32_e32 v14, 1, v15
	v_mov_b32_e32 v15, 0
	v_lshl_add_u64 v[14:15], s[70:71], 0, v[14:15]
	flat_load_ushort v14, v[14:15]
	s_or_b64 exec, exec, s[4:5]
                                        ; implicit-def: $vgpr15
	s_and_saveexec_b64 s[4:5], s[44:45]
	s_cbranch_execnz .LBB1609_222
.LBB1609_73:
	s_or_b64 exec, exec, s[4:5]
                                        ; implicit-def: $vgpr16
	s_and_saveexec_b64 s[4:5], s[46:47]
	s_cbranch_execz .LBB1609_75
.LBB1609_74:
	v_lshlrev_b32_e32 v16, 1, v17
	v_mov_b32_e32 v17, 0
	v_lshl_add_u64 v[16:17], s[70:71], 0, v[16:17]
	flat_load_ushort v16, v[16:17]
.LBB1609_75:
	s_or_b64 exec, exec, s[4:5]
	v_mul_u32_u24_e32 v54, 24, v0
                                        ; implicit-def: $vgpr17
	s_and_saveexec_b64 s[4:5], s[48:49]
	s_cbranch_execz .LBB1609_77
; %bb.76:
	v_lshlrev_b32_e32 v56, 1, v18
	v_mov_b32_e32 v57, 0
	v_lshl_add_u64 v[56:57], s[70:71], 0, v[56:57]
	flat_load_ushort v17, v[56:57]
.LBB1609_77:
	s_or_b64 exec, exec, s[4:5]
	v_lshlrev_b32_e32 v18, 1, v0
	s_mov_b32 s4, 0
	v_sub_u32_e32 v55, v19, v18
	s_mov_b32 s5, s4
	s_waitcnt vmcnt(0) lgkmcnt(0)
	ds_write_b16 v55, v2
	ds_write_b16 v55, v3 offset:512
	ds_write_b16 v55, v20 offset:1024
	;; [unrolled: 1-line block ×23, first 2 shown]
	s_mov_b32 s6, s4
	s_mov_b32 s7, s4
	;; [unrolled: 1-line block ×6, first 2 shown]
	v_mov_b64_e32 v[2:3], s[4:5]
	s_mov_b32 s14, s4
	s_mov_b32 s15, s4
	v_mov_b64_e32 v[8:9], s[10:11]
	s_mov_b32 s12, s4
	s_mov_b32 s13, s4
	v_mov_b64_e32 v[20:21], s[14:15]
	v_mov_b64_e32 v[4:5], s[6:7]
	;; [unrolled: 1-line block ×4, first 2 shown]
	v_cmp_gt_u32_e32 vcc, s3, v54
	s_mov_b64 s[20:21], 0
	v_mov_b64_e32 v[18:19], s[12:13]
	v_mov_b32_e32 v1, 0
	s_mov_b64 s[10:11], 0
	v_mov_b64_e32 v[14:15], v[6:7]
	v_mov_b64_e32 v[12:13], v[4:5]
	;; [unrolled: 1-line block ×3, first 2 shown]
	v_mov_b32_e32 v50, 0
	v_mov_b32_e32 v51, 0
	s_waitcnt lgkmcnt(0)
	s_barrier
	s_waitcnt lgkmcnt(0)
                                        ; implicit-def: $sgpr8_sgpr9
                                        ; implicit-def: $vgpr53
	s_and_saveexec_b64 s[6:7], vcc
	s_cbranch_execz .LBB1609_125
; %bb.78:
	v_mad_u32_u24 v1, v0, 46, v55
	ds_read_u16 v1, v1
	v_mov_b32_e32 v3, s80
	v_cmp_eq_u32_e32 vcc, v42, v43
	s_mov_b32 s8, 0
	v_or_b32_e32 v2, 1, v54
	s_waitcnt lgkmcnt(0)
	v_cndmask_b32_e32 v1, v3, v1, vcc
	v_cmp_ne_u32_e32 vcc, v42, v43
	v_and_b32_e32 v1, 0xffff, v1
	s_mov_b32 s9, s8
	v_cndmask_b32_e64 v3, 0, 1, vcc
	v_lshl_or_b32 v1, v3, 16, v1
	v_cmp_gt_u32_e32 vcc, s3, v2
	s_mov_b32 s10, s8
	s_mov_b32 s11, s8
	;; [unrolled: 1-line block ×6, first 2 shown]
	v_mov_b64_e32 v[2:3], s[8:9]
	s_mov_b32 s18, s8
	s_mov_b32 s19, s8
	v_mov_b64_e32 v[8:9], s[14:15]
	s_mov_b32 s16, s8
	s_mov_b32 s17, s8
	v_mov_b64_e32 v[20:21], s[18:19]
	v_mov_b64_e32 v[4:5], s[10:11]
	;; [unrolled: 1-line block ×4, first 2 shown]
	s_mov_b64 s[24:25], 0
	v_mov_b64_e32 v[18:19], s[16:17]
	v_mov_b32_e32 v50, 0
	v_mov_b64_e32 v[14:15], v[6:7]
	v_mov_b64_e32 v[12:13], v[4:5]
	;; [unrolled: 1-line block ×3, first 2 shown]
	v_mov_b32_e32 v51, 0
                                        ; implicit-def: $sgpr26_sgpr27
                                        ; implicit-def: $vgpr53
	s_and_saveexec_b64 s[22:23], vcc
	s_cbranch_execz .LBB1609_124
; %bb.79:
	v_mul_u32_u24_e32 v2, 46, v0
	v_add_u32_e32 v42, v55, v2
	ds_read_b128 v[46:49], v42 offset:2
	v_mov_b32_e32 v3, s80
	v_cmp_eq_u32_e32 vcc, v43, v44
	v_or_b32_e32 v2, 2, v54
	v_mov_b64_e32 v[20:21], s[18:19]
	s_waitcnt lgkmcnt(0)
	v_cndmask_b32_e32 v3, v3, v46, vcc
	v_cmp_ne_u32_e32 vcc, v43, v44
	v_and_b32_e32 v3, 0xffff, v3
	v_mov_b64_e32 v[18:19], s[16:17]
	v_cndmask_b32_e64 v4, 0, 1, vcc
	v_lshl_or_b32 v50, v4, 16, v3
	v_cmp_gt_u32_e32 vcc, s3, v2
	v_mov_b64_e32 v[2:3], s[8:9]
	v_mov_b64_e32 v[8:9], s[14:15]
	;; [unrolled: 1-line block ×5, first 2 shown]
	v_mov_b32_e32 v51, 0
	v_mov_b64_e32 v[14:15], v[6:7]
	v_mov_b64_e32 v[12:13], v[4:5]
	v_mov_b64_e32 v[10:11], v[2:3]
                                        ; implicit-def: $sgpr8_sgpr9
                                        ; implicit-def: $vgpr53
	s_and_saveexec_b64 s[16:17], vcc
	s_cbranch_execz .LBB1609_123
; %bb.80:
	v_lshrrev_b32_e32 v2, 16, v46
	v_mov_b32_e32 v4, s80
	v_cmp_eq_u32_e32 vcc, v44, v45
	s_mov_b32 s8, 0
	v_or_b32_e32 v3, 3, v54
	v_cndmask_b32_e32 v2, v4, v2, vcc
	v_cmp_ne_u32_e32 vcc, v44, v45
	v_and_b32_e32 v2, 0xffff, v2
	s_mov_b32 s9, s8
	v_cndmask_b32_e64 v4, 0, 1, vcc
	v_lshl_or_b32 v21, v4, 16, v2
	v_cmp_gt_u32_e32 vcc, s3, v3
	s_mov_b32 s10, s8
	s_mov_b32 s11, s8
	;; [unrolled: 1-line block ×6, first 2 shown]
	v_mov_b64_e32 v[2:3], s[8:9]
	v_mov_b64_e32 v[8:9], s[14:15]
	v_mov_b32_e32 v18, 0
	v_mov_b64_e32 v[4:5], s[10:11]
	v_mov_b64_e32 v[6:7], s[12:13]
	;; [unrolled: 1-line block ×3, first 2 shown]
	v_mov_b32_e32 v19, v18
	v_mov_b32_e32 v20, v18
	v_mov_b64_e32 v[14:15], v[6:7]
	v_mov_b64_e32 v[12:13], v[4:5]
	;; [unrolled: 1-line block ×3, first 2 shown]
	v_mov_b32_e32 v51, v18
                                        ; implicit-def: $sgpr28_sgpr29
                                        ; implicit-def: $vgpr53
	s_and_saveexec_b64 s[18:19], vcc
	s_cbranch_execz .LBB1609_122
; %bb.81:
	v_mov_b32_e32 v3, s80
	v_cmp_eq_u32_e32 vcc, v45, v38
	v_or_b32_e32 v2, 4, v54
	v_mov_b32_e32 v18, 0
	v_cndmask_b32_e32 v3, v3, v47, vcc
	v_cmp_ne_u32_e32 vcc, v45, v38
	v_and_b32_e32 v3, 0xffff, v3
	v_mov_b32_e32 v19, v18
	v_cndmask_b32_e64 v4, 0, 1, vcc
	v_lshl_or_b32 v20, v4, 16, v3
	v_cmp_gt_u32_e32 vcc, s3, v2
	v_mov_b64_e32 v[2:3], s[8:9]
	v_mov_b64_e32 v[8:9], s[14:15]
	;; [unrolled: 1-line block ×5, first 2 shown]
	s_mov_b64 s[26:27], 0
	v_mov_b64_e32 v[14:15], v[6:7]
	v_mov_b64_e32 v[12:13], v[4:5]
	;; [unrolled: 1-line block ×3, first 2 shown]
	v_mov_b32_e32 v51, v18
                                        ; implicit-def: $sgpr8_sgpr9
                                        ; implicit-def: $vgpr53
	s_and_saveexec_b64 s[24:25], vcc
	s_cbranch_execz .LBB1609_121
; %bb.82:
	v_lshrrev_b32_e32 v2, 16, v47
	v_mov_b32_e32 v4, s80
	v_cmp_eq_u32_e32 vcc, v38, v39
	s_mov_b32 s8, 0
	v_or_b32_e32 v3, 5, v54
	v_cndmask_b32_e32 v2, v4, v2, vcc
	v_cmp_ne_u32_e32 vcc, v38, v39
	v_and_b32_e32 v2, 0xffff, v2
	s_mov_b32 s9, s8
	v_cndmask_b32_e64 v4, 0, 1, vcc
	v_lshl_or_b32 v19, v4, 16, v2
	v_cmp_gt_u32_e32 vcc, s3, v3
	s_mov_b32 s10, s8
	s_mov_b32 s11, s8
	;; [unrolled: 1-line block ×6, first 2 shown]
	v_mov_b64_e32 v[2:3], s[8:9]
	v_mov_b64_e32 v[8:9], s[14:15]
	;; [unrolled: 1-line block ×5, first 2 shown]
	v_mov_b32_e32 v18, s8
	s_mov_b64 s[28:29], 0
	v_mov_b32_e32 v51, 0
	v_mov_b64_e32 v[14:15], v[6:7]
	v_mov_b64_e32 v[12:13], v[4:5]
	;; [unrolled: 1-line block ×3, first 2 shown]
                                        ; implicit-def: $sgpr34_sgpr35
                                        ; implicit-def: $vgpr53
	s_and_saveexec_b64 s[26:27], vcc
	s_cbranch_execz .LBB1609_120
; %bb.83:
	v_mov_b32_e32 v3, s80
	v_cmp_eq_u32_e32 vcc, v39, v40
	v_or_b32_e32 v2, 6, v54
	s_mov_b64 s[30:31], 0
	v_cndmask_b32_e32 v3, v3, v48, vcc
	v_cmp_ne_u32_e32 vcc, v39, v40
	v_and_b32_e32 v3, 0xffff, v3
	v_mov_b32_e32 v51, 0
	v_cndmask_b32_e64 v4, 0, 1, vcc
	v_lshl_or_b32 v18, v4, 16, v3
	v_cmp_gt_u32_e32 vcc, s3, v2
	v_mov_b64_e32 v[2:3], s[8:9]
	v_mov_b64_e32 v[8:9], s[14:15]
	;; [unrolled: 1-line block ×8, first 2 shown]
                                        ; implicit-def: $sgpr8_sgpr9
                                        ; implicit-def: $vgpr53
	s_and_saveexec_b64 s[28:29], vcc
	s_cbranch_execz .LBB1609_119
; %bb.84:
	v_lshrrev_b32_e32 v2, 16, v48
	v_mov_b32_e32 v4, s80
	v_cmp_eq_u32_e32 vcc, v40, v41
	s_mov_b32 s8, 0
	v_or_b32_e32 v3, 7, v54
	v_cndmask_b32_e32 v2, v4, v2, vcc
	v_cmp_ne_u32_e32 vcc, v40, v41
	v_and_b32_e32 v2, 0xffff, v2
	s_mov_b32 s9, s8
	v_cndmask_b32_e64 v4, 0, 1, vcc
	v_lshl_or_b32 v51, v4, 16, v2
	v_cmp_gt_u32_e32 vcc, s3, v3
	s_mov_b32 s10, s8
	s_mov_b32 s11, s8
	;; [unrolled: 1-line block ×6, first 2 shown]
	v_mov_b64_e32 v[2:3], s[8:9]
	v_mov_b64_e32 v[8:9], s[14:15]
	;; [unrolled: 1-line block ×5, first 2 shown]
	s_mov_b64 s[34:35], 0
	v_mov_b64_e32 v[14:15], v[6:7]
	v_mov_b64_e32 v[12:13], v[4:5]
	;; [unrolled: 1-line block ×3, first 2 shown]
                                        ; implicit-def: $sgpr38_sgpr39
                                        ; implicit-def: $vgpr53
	s_and_saveexec_b64 s[30:31], vcc
	s_cbranch_execz .LBB1609_118
; %bb.85:
	v_mov_b32_e32 v3, s80
	v_cmp_eq_u32_e32 vcc, v41, v34
	v_add_u32_e32 v2, 8, v54
	v_mov_b64_e32 v[16:17], s[14:15]
	v_cndmask_b32_e32 v3, v3, v49, vcc
	v_cmp_ne_u32_e32 vcc, v41, v34
	v_and_b32_e32 v3, 0xffff, v3
	s_mov_b64 s[36:37], 0
	v_cndmask_b32_e64 v4, 0, 1, vcc
	v_cmp_gt_u32_e32 vcc, s3, v2
	v_mov_b32_e32 v2, 0
	v_lshl_or_b32 v9, v4, 16, v3
	v_mov_b32_e32 v3, v2
	v_mov_b32_e32 v4, v2
	;; [unrolled: 1-line block ×6, first 2 shown]
	v_mov_b64_e32 v[14:15], s[12:13]
	v_mov_b64_e32 v[12:13], s[10:11]
	;; [unrolled: 1-line block ×3, first 2 shown]
                                        ; implicit-def: $sgpr8_sgpr9
                                        ; implicit-def: $vgpr53
	s_and_saveexec_b64 s[34:35], vcc
	s_cbranch_execz .LBB1609_117
; %bb.86:
	v_lshrrev_b32_e32 v3, 16, v49
	v_mov_b32_e32 v5, s80
	v_cmp_eq_u32_e32 vcc, v34, v35
	s_mov_b32 s8, 0
	s_mov_b32 s14, s8
	v_cndmask_b32_e32 v3, v5, v3, vcc
	v_cmp_ne_u32_e32 vcc, v34, v35
	s_mov_b32 s15, s8
	v_add_u32_e32 v4, 9, v54
	v_and_b32_e32 v3, 0xffff, v3
	v_cndmask_b32_e64 v5, 0, 1, vcc
	s_mov_b32 s9, s8
	s_mov_b32 s10, s8
	;; [unrolled: 1-line block ×5, first 2 shown]
	v_mov_b64_e32 v[16:17], s[14:15]
	v_lshl_or_b32 v8, v5, 16, v3
	v_cmp_gt_u32_e32 vcc, s3, v4
	v_mov_b32_e32 v3, v2
	v_mov_b32_e32 v4, v2
	;; [unrolled: 1-line block ×5, first 2 shown]
	s_mov_b64 s[38:39], 0
	v_mov_b64_e32 v[14:15], s[12:13]
	v_mov_b64_e32 v[12:13], s[10:11]
	;; [unrolled: 1-line block ×3, first 2 shown]
                                        ; implicit-def: $sgpr42_sgpr43
                                        ; implicit-def: $vgpr53
	s_and_saveexec_b64 s[36:37], vcc
	s_cbranch_execz .LBB1609_116
; %bb.87:
	ds_read_b128 v[38:41], v42 offset:18
	v_mov_b32_e32 v3, s80
	v_cmp_eq_u32_e32 vcc, v35, v36
	v_add_u32_e32 v2, 10, v54
	v_mov_b64_e32 v[16:17], s[14:15]
	s_waitcnt lgkmcnt(0)
	v_cndmask_b32_e32 v3, v3, v38, vcc
	v_cmp_ne_u32_e32 vcc, v35, v36
	v_and_b32_e32 v3, 0xffff, v3
	s_mov_b64 s[40:41], 0
	v_cndmask_b32_e64 v4, 0, 1, vcc
	v_cmp_gt_u32_e32 vcc, s3, v2
	v_mov_b32_e32 v2, 0
	v_lshl_or_b32 v7, v4, 16, v3
	v_mov_b32_e32 v3, v2
	v_mov_b32_e32 v4, v2
	;; [unrolled: 1-line block ×4, first 2 shown]
	v_mov_b64_e32 v[14:15], s[12:13]
	v_mov_b64_e32 v[12:13], s[10:11]
	;; [unrolled: 1-line block ×3, first 2 shown]
                                        ; implicit-def: $sgpr8_sgpr9
                                        ; implicit-def: $vgpr53
	s_and_saveexec_b64 s[38:39], vcc
	s_cbranch_execz .LBB1609_115
; %bb.88:
	v_lshrrev_b32_e32 v3, 16, v38
	v_mov_b32_e32 v5, s80
	v_cmp_eq_u32_e32 vcc, v36, v37
	s_mov_b32 s8, 0
	s_mov_b32 s14, s8
	v_cndmask_b32_e32 v3, v5, v3, vcc
	v_cmp_ne_u32_e32 vcc, v36, v37
	s_mov_b32 s15, s8
	v_add_u32_e32 v4, 11, v54
	v_and_b32_e32 v3, 0xffff, v3
	v_cndmask_b32_e64 v5, 0, 1, vcc
	s_mov_b32 s9, s8
	s_mov_b32 s10, s8
	;; [unrolled: 1-line block ×5, first 2 shown]
	v_mov_b64_e32 v[16:17], s[14:15]
	v_lshl_or_b32 v6, v5, 16, v3
	v_cmp_gt_u32_e32 vcc, s3, v4
	v_mov_b32_e32 v3, v2
	v_mov_b32_e32 v4, v2
	v_mov_b32_e32 v5, v2
	s_mov_b64 s[42:43], 0
	v_mov_b64_e32 v[14:15], s[12:13]
	v_mov_b64_e32 v[12:13], s[10:11]
	;; [unrolled: 1-line block ×3, first 2 shown]
                                        ; implicit-def: $sgpr46_sgpr47
                                        ; implicit-def: $vgpr53
	s_and_saveexec_b64 s[40:41], vcc
	s_cbranch_execz .LBB1609_114
; %bb.89:
	v_mov_b32_e32 v3, s80
	v_cmp_eq_u32_e32 vcc, v37, v30
	v_add_u32_e32 v2, 12, v54
	v_mov_b64_e32 v[16:17], s[14:15]
	v_cndmask_b32_e32 v3, v3, v39, vcc
	v_cmp_ne_u32_e32 vcc, v37, v30
	v_and_b32_e32 v3, 0xffff, v3
	s_mov_b64 s[44:45], 0
	v_cndmask_b32_e64 v4, 0, 1, vcc
	v_cmp_gt_u32_e32 vcc, s3, v2
	v_mov_b32_e32 v2, 0
	v_lshl_or_b32 v5, v4, 16, v3
	v_mov_b32_e32 v3, v2
	v_mov_b32_e32 v4, v2
	v_mov_b64_e32 v[14:15], s[12:13]
	v_mov_b64_e32 v[12:13], s[10:11]
	;; [unrolled: 1-line block ×3, first 2 shown]
                                        ; implicit-def: $sgpr8_sgpr9
                                        ; implicit-def: $vgpr53
	s_and_saveexec_b64 s[42:43], vcc
	s_cbranch_execz .LBB1609_113
; %bb.90:
	v_lshrrev_b32_e32 v3, 16, v39
	v_mov_b32_e32 v4, s80
	v_cmp_eq_u32_e32 vcc, v30, v31
	s_mov_b32 s8, 0
	v_add_u32_e32 v10, 13, v54
	v_cndmask_b32_e32 v3, v4, v3, vcc
	v_cmp_ne_u32_e32 vcc, v30, v31
	s_mov_b32 s14, s8
	s_mov_b32 s15, s8
	v_and_b32_e32 v3, 0xffff, v3
	v_cndmask_b32_e64 v4, 0, 1, vcc
	v_cmp_gt_u32_e32 vcc, s3, v10
	s_mov_b32 s9, s8
	s_mov_b32 s10, s8
	;; [unrolled: 1-line block ×5, first 2 shown]
	v_mov_b64_e32 v[16:17], s[14:15]
	v_lshl_or_b32 v4, v4, 16, v3
	v_mov_b32_e32 v3, v2
	s_mov_b64 s[46:47], 0
	v_mov_b64_e32 v[14:15], s[12:13]
	v_mov_b64_e32 v[12:13], s[10:11]
	;; [unrolled: 1-line block ×3, first 2 shown]
                                        ; implicit-def: $sgpr48_sgpr49
                                        ; implicit-def: $vgpr53
	s_and_saveexec_b64 s[44:45], vcc
	s_cbranch_execz .LBB1609_112
; %bb.91:
	v_mov_b32_e32 v3, s80
	v_cmp_eq_u32_e32 vcc, v31, v32
	v_add_u32_e32 v2, 14, v54
                                        ; implicit-def: $vgpr53
	s_nop 0
	v_cndmask_b32_e32 v3, v3, v40, vcc
	v_cmp_ne_u32_e32 vcc, v31, v32
	v_and_b32_e32 v3, 0xffff, v3
	s_nop 0
	v_cndmask_b32_e64 v10, 0, 1, vcc
	v_lshl_or_b32 v3, v10, 16, v3
	v_mov_b64_e32 v[16:17], s[14:15]
	v_cmp_gt_u32_e32 vcc, s3, v2
	v_mov_b32_e32 v2, s8
	v_mov_b64_e32 v[14:15], s[12:13]
	v_mov_b64_e32 v[12:13], s[10:11]
	;; [unrolled: 1-line block ×3, first 2 shown]
                                        ; implicit-def: $sgpr10_sgpr11
	s_and_saveexec_b64 s[8:9], vcc
	s_cbranch_execz .LBB1609_111
; %bb.92:
	v_lshrrev_b32_e32 v2, 16, v40
	v_mov_b32_e32 v11, s80
	v_cmp_eq_u32_e32 vcc, v32, v33
	s_mov_b32 s84, 0
	v_add_u32_e32 v10, 15, v54
	v_cndmask_b32_e32 v2, v11, v2, vcc
	v_cmp_ne_u32_e32 vcc, v32, v33
	v_and_b32_e32 v2, 0xffff, v2
	s_mov_b32 s85, s84
	v_cndmask_b32_e64 v11, 0, 1, vcc
	v_lshl_or_b32 v2, v11, 16, v2
	v_cmp_gt_u32_e32 vcc, s3, v10
	s_mov_b32 s86, s84
	s_mov_b32 s87, s84
	;; [unrolled: 1-line block ×6, first 2 shown]
	v_mov_b64_e32 v[10:11], s[84:85]
	s_mov_b64 s[12:13], 0
	v_mov_b64_e32 v[12:13], s[86:87]
	v_mov_b64_e32 v[14:15], s[88:89]
	;; [unrolled: 1-line block ×3, first 2 shown]
                                        ; implicit-def: $sgpr46_sgpr47
                                        ; implicit-def: $vgpr53
	s_and_saveexec_b64 s[10:11], vcc
	s_cbranch_execz .LBB1609_110
; %bb.93:
	v_mov_b32_e32 v10, s80
	v_cmp_eq_u32_e32 vcc, v33, v26
	v_add_u32_e32 v11, 16, v54
	s_mov_b64 s[14:15], 0
	v_cndmask_b32_e32 v10, v10, v41, vcc
	v_cmp_ne_u32_e32 vcc, v33, v26
	v_and_b32_e32 v10, 0xffff, v10
                                        ; implicit-def: $sgpr48_sgpr49
                                        ; implicit-def: $vgpr53
	s_nop 0
	v_cndmask_b32_e64 v12, 0, 1, vcc
	v_lshl_or_b32 v10, v12, 16, v10
	v_mov_b32_e32 v12, 0
	v_cmp_gt_u32_e32 vcc, s3, v11
	v_mov_b32_e32 v11, v12
	v_mov_b32_e32 v13, v12
	;; [unrolled: 1-line block ×6, first 2 shown]
	s_and_saveexec_b64 s[12:13], vcc
	s_cbranch_execz .LBB1609_109
; %bb.94:
	v_lshrrev_b32_e32 v11, 16, v41
	v_mov_b32_e32 v14, s80
	v_cmp_eq_u32_e32 vcc, v26, v27
	v_add_u32_e32 v13, 17, v54
	v_mov_b32_e32 v15, v12
	v_cndmask_b32_e32 v11, v14, v11, vcc
	v_cmp_ne_u32_e32 vcc, v26, v27
	v_and_b32_e32 v11, 0xffff, v11
	v_mov_b32_e32 v16, v12
	v_cndmask_b32_e64 v14, 0, 1, vcc
	v_lshl_or_b32 v11, v14, 16, v11
	v_cmp_gt_u32_e32 vcc, s3, v13
	v_mov_b32_e32 v13, v12
	v_mov_b32_e32 v14, v12
	;; [unrolled: 1-line block ×3, first 2 shown]
	s_mov_b64 s[46:47], 0
                                        ; implicit-def: $sgpr50_sgpr51
                                        ; implicit-def: $vgpr53
	s_and_saveexec_b64 s[14:15], vcc
	s_cbranch_execz .LBB1609_108
; %bb.95:
	ds_read_b96 v[30:32], v42 offset:34
	v_mov_b32_e32 v12, s80
	v_cmp_eq_u32_e32 vcc, v27, v28
	v_add_u32_e32 v13, 18, v54
	s_mov_b64 s[48:49], 0
	s_waitcnt lgkmcnt(0)
	v_cndmask_b32_e32 v12, v12, v30, vcc
	v_cmp_ne_u32_e32 vcc, v27, v28
	v_and_b32_e32 v12, 0xffff, v12
                                        ; implicit-def: $sgpr52_sgpr53
                                        ; implicit-def: $vgpr53
	s_nop 0
	v_cndmask_b32_e64 v14, 0, 1, vcc
	v_lshl_or_b32 v12, v14, 16, v12
	v_mov_b32_e32 v14, 0
	v_cmp_gt_u32_e32 vcc, s3, v13
	v_mov_b32_e32 v13, v14
	v_mov_b32_e32 v15, v14
	;; [unrolled: 1-line block ×4, first 2 shown]
	s_and_saveexec_b64 s[46:47], vcc
	s_cbranch_execz .LBB1609_107
; %bb.96:
	v_lshrrev_b32_e32 v13, 16, v30
	v_mov_b32_e32 v16, s80
	v_cmp_eq_u32_e32 vcc, v28, v29
	v_add_u32_e32 v15, 19, v54
	v_mov_b32_e32 v17, v14
	v_cndmask_b32_e32 v13, v16, v13, vcc
	v_cmp_ne_u32_e32 vcc, v28, v29
	v_and_b32_e32 v13, 0xffff, v13
	s_mov_b64 s[50:51], 0
	v_cndmask_b32_e64 v16, 0, 1, vcc
	v_lshl_or_b32 v13, v16, 16, v13
	v_cmp_gt_u32_e32 vcc, s3, v15
	v_mov_b32_e32 v15, v14
	v_mov_b32_e32 v16, v14
                                        ; implicit-def: $sgpr60_sgpr61
                                        ; implicit-def: $vgpr53
	s_and_saveexec_b64 s[48:49], vcc
	s_cbranch_execz .LBB1609_106
; %bb.97:
	v_mov_b32_e32 v14, s80
	v_cmp_eq_u32_e32 vcc, v29, v22
	v_add_u32_e32 v15, 20, v54
	s_mov_b64 s[52:53], 0
	v_cndmask_b32_e32 v14, v14, v31, vcc
	v_cmp_ne_u32_e32 vcc, v29, v22
	v_and_b32_e32 v14, 0xffff, v14
                                        ; implicit-def: $sgpr74_sgpr75
                                        ; implicit-def: $vgpr53
	s_nop 0
	v_cndmask_b32_e64 v16, 0, 1, vcc
	v_lshl_or_b32 v14, v16, 16, v14
	v_mov_b32_e32 v16, 0
	v_cmp_gt_u32_e32 vcc, s3, v15
	v_mov_b32_e32 v15, v16
	v_mov_b32_e32 v17, v16
	s_and_saveexec_b64 s[50:51], vcc
	s_cbranch_execz .LBB1609_105
; %bb.98:
	v_lshrrev_b32_e32 v15, 16, v31
	v_mov_b32_e32 v26, s80
	v_cmp_eq_u32_e32 vcc, v22, v23
	v_add_u32_e32 v17, 21, v54
	s_mov_b32 s5, 0
	v_cndmask_b32_e32 v15, v26, v15, vcc
	v_cmp_ne_u32_e32 vcc, v22, v23
	v_and_b32_e32 v15, 0xffff, v15
	s_mov_b64 s[60:61], 0
	v_cndmask_b32_e64 v22, 0, 1, vcc
	v_lshl_or_b32 v15, v22, 16, v15
	v_cmp_gt_u32_e32 vcc, s3, v17
	v_mov_b32_e32 v17, v16
                                        ; implicit-def: $sgpr76_sgpr77
                                        ; implicit-def: $vgpr53
	s_and_saveexec_b64 s[52:53], vcc
	s_cbranch_execz .LBB1609_104
; %bb.99:
	v_mov_b32_e32 v16, s80
	v_cmp_eq_u32_e32 vcc, v23, v24
	v_add_u32_e32 v17, 22, v54
	s_mov_b64 s[74:75], 0
	v_cndmask_b32_e32 v16, v16, v32, vcc
	v_cmp_ne_u32_e32 vcc, v23, v24
	v_and_b32_e32 v16, 0xffff, v16
                                        ; implicit-def: $sgpr76_sgpr77
                                        ; implicit-def: $vgpr53
	s_nop 0
	v_cndmask_b32_e64 v22, 0, 1, vcc
	v_lshl_or_b32 v16, v22, 16, v16
	v_cmp_gt_u32_e32 vcc, s3, v17
	v_mov_b32_e32 v17, s5
	s_and_saveexec_b64 s[60:61], vcc
	s_cbranch_execz .LBB1609_103
; %bb.100:
	v_lshrrev_b32_e32 v17, 16, v32
	v_mov_b32_e32 v23, s80
	v_cmp_eq_u32_e32 vcc, v24, v25
	v_add_u32_e32 v22, 23, v54
                                        ; implicit-def: $sgpr76_sgpr77
                                        ; implicit-def: $vgpr53
	s_nop 0
	v_cndmask_b32_e32 v17, v23, v17, vcc
	v_cmp_ne_u32_e32 vcc, v24, v25
	v_and_b32_e32 v17, 0xffff, v17
	s_nop 0
	v_cndmask_b32_e64 v23, 0, 1, vcc
	v_lshl_or_b32 v17, v23, 16, v17
	v_cmp_gt_u32_e32 vcc, s3, v22
	s_and_saveexec_b64 s[78:79], vcc
	s_xor_b64 s[78:79], exec, s[78:79]
	s_cbranch_execz .LBB1609_102
; %bb.101:
	ds_read_u16 v22, v42 offset:46
	v_mov_b32_e32 v23, s80
	v_cmp_ne_u32_e32 vcc, v25, v52
	s_mov_b64 s[74:75], exec
	s_and_b64 s[76:77], vcc, exec
	s_waitcnt lgkmcnt(0)
	v_cndmask_b32_e32 v53, v22, v23, vcc
.LBB1609_102:
	s_or_b64 exec, exec, s[78:79]
	s_and_b64 s[76:77], s[76:77], exec
	s_and_b64 s[74:75], s[74:75], exec
.LBB1609_103:
	s_or_b64 exec, exec, s[60:61]
	s_and_b64 s[76:77], s[76:77], exec
	s_and_b64 s[60:61], s[74:75], exec
.LBB1609_104:
	s_or_b64 exec, exec, s[52:53]
	s_and_b64 s[74:75], s[76:77], exec
	s_and_b64 s[52:53], s[60:61], exec
.LBB1609_105:
	s_or_b64 exec, exec, s[50:51]
	s_and_b64 s[60:61], s[74:75], exec
	s_and_b64 s[50:51], s[52:53], exec
.LBB1609_106:
	s_or_b64 exec, exec, s[48:49]
	s_and_b64 s[52:53], s[60:61], exec
	s_and_b64 s[48:49], s[50:51], exec
.LBB1609_107:
	s_or_b64 exec, exec, s[46:47]
	s_and_b64 s[50:51], s[52:53], exec
	s_and_b64 s[46:47], s[48:49], exec
.LBB1609_108:
	s_or_b64 exec, exec, s[14:15]
	s_and_b64 s[48:49], s[50:51], exec
	s_and_b64 s[14:15], s[46:47], exec
.LBB1609_109:
	s_or_b64 exec, exec, s[12:13]
	s_and_b64 s[46:47], s[48:49], exec
	s_and_b64 s[12:13], s[14:15], exec
.LBB1609_110:
	s_or_b64 exec, exec, s[10:11]
	s_and_b64 s[10:11], s[46:47], exec
	s_and_b64 s[46:47], s[12:13], exec
.LBB1609_111:
	s_or_b64 exec, exec, s[8:9]
	s_and_b64 s[48:49], s[10:11], exec
	s_and_b64 s[46:47], s[46:47], exec
.LBB1609_112:
	s_or_b64 exec, exec, s[44:45]
	s_and_b64 s[8:9], s[48:49], exec
	s_and_b64 s[44:45], s[46:47], exec
.LBB1609_113:
	s_or_b64 exec, exec, s[42:43]
	s_and_b64 s[46:47], s[8:9], exec
	s_and_b64 s[42:43], s[44:45], exec
.LBB1609_114:
	s_or_b64 exec, exec, s[40:41]
	s_and_b64 s[8:9], s[46:47], exec
	s_and_b64 s[40:41], s[42:43], exec
.LBB1609_115:
	s_or_b64 exec, exec, s[38:39]
	s_and_b64 s[42:43], s[8:9], exec
	s_and_b64 s[38:39], s[40:41], exec
.LBB1609_116:
	s_or_b64 exec, exec, s[36:37]
	s_and_b64 s[8:9], s[42:43], exec
	s_and_b64 s[36:37], s[38:39], exec
.LBB1609_117:
	s_or_b64 exec, exec, s[34:35]
	s_and_b64 s[38:39], s[8:9], exec
	s_and_b64 s[34:35], s[36:37], exec
.LBB1609_118:
	s_or_b64 exec, exec, s[30:31]
	s_and_b64 s[8:9], s[38:39], exec
	s_and_b64 s[30:31], s[34:35], exec
.LBB1609_119:
	s_or_b64 exec, exec, s[28:29]
	s_and_b64 s[34:35], s[8:9], exec
	s_and_b64 s[28:29], s[30:31], exec
.LBB1609_120:
	s_or_b64 exec, exec, s[26:27]
	s_and_b64 s[8:9], s[34:35], exec
	s_and_b64 s[26:27], s[28:29], exec
.LBB1609_121:
	s_or_b64 exec, exec, s[24:25]
	s_and_b64 s[28:29], s[8:9], exec
	s_and_b64 s[24:25], s[26:27], exec
.LBB1609_122:
	s_or_b64 exec, exec, s[18:19]
	s_and_b64 s[8:9], s[28:29], exec
	s_and_b64 s[24:25], s[24:25], exec
.LBB1609_123:
	s_or_b64 exec, exec, s[16:17]
	s_and_b64 s[26:27], s[8:9], exec
	s_and_b64 s[24:25], s[24:25], exec
.LBB1609_124:
	s_or_b64 exec, exec, s[22:23]
	s_and_b64 s[8:9], s[26:27], exec
	s_and_b64 s[10:11], s[24:25], exec
.LBB1609_125:
	s_or_b64 exec, exec, s[6:7]
	s_and_b64 vcc, exec, s[20:21]
	s_cbranch_vccnz .LBB1609_127
	s_branch .LBB1609_132
.LBB1609_126:
	s_mov_b64 s[10:11], 0
                                        ; implicit-def: $sgpr8_sgpr9
                                        ; implicit-def: $vgpr18_vgpr19_vgpr20_vgpr21
                                        ; implicit-def: $vgpr2_vgpr3_vgpr4_vgpr5_vgpr6_vgpr7_vgpr8_vgpr9
                                        ; implicit-def: $vgpr10_vgpr11_vgpr12_vgpr13_vgpr14_vgpr15_vgpr16_vgpr17
                                        ; implicit-def: $vgpr53
                                        ; implicit-def: $vgpr1
                                        ; implicit-def: $vgpr50
                                        ; implicit-def: $vgpr51
                                        ; implicit-def: $sgpr4
	s_and_b64 vcc, exec, s[20:21]
	s_cbranch_vccz .LBB1609_132
.LBB1609_127:
	v_mov_b32_e32 v7, 0
	v_lshlrev_b32_e32 v6, 2, v0
	v_lshl_add_u64 v[2:3], s[72:73], 0, v[6:7]
	v_add_co_u32_e32 v4, vcc, 0x1000, v2
	s_movk_i32 s3, 0x6000
	s_nop 0
	v_addc_co_u32_e32 v5, vcc, 0, v3, vcc
	flat_load_dword v1, v[2:3]
	flat_load_dword v10, v[2:3] offset:1024
	flat_load_dword v11, v[2:3] offset:2048
	;; [unrolled: 1-line block ×3, first 2 shown]
	flat_load_dword v13, v[4:5]
	flat_load_dword v14, v[4:5] offset:1024
	flat_load_dword v15, v[4:5] offset:2048
	;; [unrolled: 1-line block ×3, first 2 shown]
	v_add_co_u32_e32 v4, vcc, 0x2000, v2
	s_movk_i32 s4, 0x5c
	s_nop 0
	v_addc_co_u32_e32 v5, vcc, 0, v3, vcc
	v_add_co_u32_e32 v8, vcc, 0x3000, v2
	s_movk_i32 s6, 0x1000
	s_nop 0
	v_addc_co_u32_e32 v9, vcc, 0, v3, vcc
	flat_load_dword v17, v[4:5]
	flat_load_dword v18, v[4:5] offset:1024
	flat_load_dword v19, v[4:5] offset:2048
	;; [unrolled: 1-line block ×3, first 2 shown]
	flat_load_dword v21, v[8:9]
	flat_load_dword v22, v[8:9] offset:1024
	flat_load_dword v23, v[8:9] offset:2048
	;; [unrolled: 1-line block ×3, first 2 shown]
	v_add_co_u32_e32 v4, vcc, 0x4000, v2
	s_nop 1
	v_addc_co_u32_e32 v5, vcc, 0, v3, vcc
	v_add_co_u32_e32 v2, vcc, 0x5000, v2
	s_nop 1
	v_addc_co_u32_e32 v3, vcc, 0, v3, vcc
	flat_load_dword v8, v[4:5]
	flat_load_dword v9, v[4:5] offset:1024
	flat_load_dword v25, v[4:5] offset:2048
	;; [unrolled: 1-line block ×3, first 2 shown]
	flat_load_dword v27, v[2:3]
	flat_load_dword v28, v[2:3] offset:1024
	flat_load_dword v29, v[2:3] offset:2048
	;; [unrolled: 1-line block ×3, first 2 shown]
	v_mov_b32_e32 v2, s72
	v_mov_b32_e32 v3, s73
	v_add_co_u32_e32 v2, vcc, s3, v2
	s_movk_i32 s3, 0x2000
	s_nop 0
	v_addc_co_u32_e32 v3, vcc, 0, v3, vcc
	s_waitcnt vmcnt(0) lgkmcnt(0)
	ds_write2st64_b32 v6, v1, v10 offset1:4
	ds_write2st64_b32 v6, v11, v12 offset0:8 offset1:12
	ds_write2st64_b32 v6, v13, v14 offset0:16 offset1:20
	;; [unrolled: 1-line block ×11, first 2 shown]
	s_waitcnt lgkmcnt(0)
	s_barrier
	flat_load_dword v40, v[2:3]
	v_mad_u32_u24 v1, v0, s4, v6
	s_movk_i32 s4, 0xffa4
	ds_read2_b32 v[22:23], v1 offset0:6 offset1:23
	ds_read_b64 v[18:19], v1
	ds_read2_b64 v[2:5], v1 offset0:1 offset1:2
	ds_read2_b32 v[32:33], v1 offset0:13 offset1:14
	ds_read2_b32 v[34:35], v1 offset0:11 offset1:12
	;; [unrolled: 1-line block ×8, first 2 shown]
	v_mad_i32_i24 v1, v0, s4, v1
	s_movk_i32 s4, 0xff
	v_cmp_ne_u32_e32 vcc, s4, v0
	s_waitcnt lgkmcnt(0)
	ds_write_b32 v1, v18 offset:25600
	s_waitcnt lgkmcnt(0)
	s_barrier
	s_and_saveexec_b64 s[4:5], vcc
	s_cbranch_execz .LBB1609_129
; %bb.128:
	s_waitcnt vmcnt(0)
	ds_read_b32 v40, v6 offset:25604
.LBB1609_129:
	s_or_b64 exec, exec, s[4:5]
	v_lshlrev_b32_e32 v6, 1, v0
	v_lshl_add_u64 v[8:9], s[70:71], 0, v[6:7]
	v_add_co_u32_e32 v10, vcc, s6, v8
	s_waitcnt lgkmcnt(0)
	s_nop 0
	v_addc_co_u32_e32 v11, vcc, 0, v9, vcc
	s_barrier
	flat_load_ushort v7, v[8:9]
	flat_load_ushort v12, v[8:9] offset:512
	flat_load_ushort v13, v[8:9] offset:1024
	;; [unrolled: 1-line block ×7, first 2 shown]
	v_add_co_u32_e32 v8, vcc, s3, v8
	flat_load_ushort v21, v[10:11]
	flat_load_ushort v41, v[10:11] offset:512
	flat_load_ushort v42, v[10:11] offset:1024
	;; [unrolled: 1-line block ×7, first 2 shown]
	v_addc_co_u32_e32 v9, vcc, 0, v9, vcc
	flat_load_ushort v10, v[8:9]
	flat_load_ushort v11, v[8:9] offset:512
	flat_load_ushort v48, v[8:9] offset:1024
	;; [unrolled: 1-line block ×7, first 2 shown]
	v_sub_u32_e32 v1, v1, v6
	v_mad_u32_u24 v54, v0, 46, v1
	v_cmp_eq_u32_e32 vcc, v18, v19
	v_mov_b32_e32 v18, s80
	s_waitcnt vmcnt(0) lgkmcnt(0)
	ds_write_b16 v1, v7
	ds_write_b16 v1, v12 offset:512
	ds_write_b16 v1, v13 offset:1024
	;; [unrolled: 1-line block ×23, first 2 shown]
	s_waitcnt lgkmcnt(0)
	s_barrier
	ds_read_b96 v[14:16], v54 offset:2
	ds_read_b128 v[6:9], v54 offset:14
	ds_read_b128 v[10:13], v54 offset:30
	ds_read_u16 v41, v54 offset:46
	v_mov_b32_e32 v17, 0x10000
	s_and_saveexec_b64 s[4:5], vcc
	s_cbranch_execz .LBB1609_131
; %bb.130:
	v_mul_u32_u24_e32 v17, 46, v0
	v_add_u32_e32 v1, v1, v17
	ds_read_u16 v18, v1
	v_mov_b32_e32 v17, 0
.LBB1609_131:
	s_or_b64 exec, exec, s[4:5]
	v_mov_b32_e32 v47, s80
	v_cmp_eq_u32_e32 vcc, v19, v2
	s_waitcnt lgkmcnt(3)
	v_lshrrev_b32_e32 v21, 16, v14
	s_waitcnt lgkmcnt(0)
	v_or_b32_sdwa v1, v17, v18 dst_sel:DWORD dst_unused:UNUSED_PAD src0_sel:DWORD src1_sel:WORD_0
	v_cndmask_b32_e32 v14, v47, v14, vcc
	v_cmp_ne_u32_e32 vcc, v19, v2
	v_and_b32_e32 v14, 0xffff, v14
	v_lshrrev_b32_e32 v20, 16, v15
	v_cndmask_b32_e64 v17, 0, 1, vcc
	v_cmp_eq_u32_e32 vcc, v2, v3
	v_lshl_or_b32 v50, v17, 16, v14
	v_lshrrev_b32_e32 v42, 16, v16
	v_cndmask_b32_e32 v14, v47, v21, vcc
	v_cmp_eq_u32_e32 vcc, v4, v5
	v_and_b32_e32 v14, 0xffff, v14
	v_lshrrev_b32_e32 v46, 16, v6
	v_cndmask_b32_e32 v17, v47, v20, vcc
	v_cmp_eq_u32_e32 vcc, v3, v4
	v_and_b32_e32 v17, 0xffff, v17
	;; [unrolled: 4-line block ×3, first 2 shown]
	v_lshrrev_b32_e32 v44, 16, v8
	v_cndmask_b32_e32 v16, v47, v16, vcc
	v_cmp_ne_u32_e32 vcc, v3, v4
	v_lshrrev_b32_e32 v43, 16, v9
	v_and_b32_e32 v16, 0xffff, v16
	v_cndmask_b32_e64 v18, 0, 1, vcc
	v_cmp_ne_u32_e32 vcc, v5, v22
	v_lshl_or_b32 v20, v18, 16, v15
	v_cmp_ne_u32_e64 s[8:9], v23, v40
	v_cndmask_b32_e64 v15, 0, 1, vcc
	v_cmp_ne_u32_e32 vcc, v2, v3
	v_lshl_or_b32 v18, v15, 16, v16
	v_lshrrev_b32_e32 v16, 16, v11
	v_cndmask_b32_e64 v2, 0, 1, vcc
	v_cmp_ne_u32_e32 vcc, v4, v5
	v_lshl_or_b32 v21, v2, 16, v14
	v_cndmask_b32_e64 v53, v41, v47, s[8:9]
	v_cndmask_b32_e64 v2, 0, 1, vcc
	v_cmp_eq_u32_e32 vcc, v22, v38
	v_lshl_or_b32 v19, v2, 16, v17
	v_lshrrev_b32_e32 v17, 16, v10
	v_cndmask_b32_e32 v2, v47, v42, vcc
	v_cmp_ne_u32_e32 vcc, v22, v38
	v_and_b32_e32 v2, 0xffff, v2
	s_mov_b64 s[10:11], -1
	v_cndmask_b32_e64 v3, 0, 1, vcc
	v_cmp_eq_u32_e32 vcc, v39, v36
	v_lshl_or_b32 v51, v3, 16, v2
                                        ; implicit-def: $sgpr4
	s_nop 0
	v_cndmask_b32_e32 v2, v47, v46, vcc
	v_cmp_eq_u32_e32 vcc, v37, v34
	v_and_b32_e32 v2, 0xffff, v2
	s_nop 0
	v_cndmask_b32_e32 v3, v47, v45, vcc
	v_cmp_eq_u32_e32 vcc, v35, v32
	v_and_b32_e32 v15, 0xffff, v3
	;; [unrolled: 4-line block ×7, first 2 shown]
	s_nop 0
	v_cndmask_b32_e32 v9, v47, v9, vcc
	v_cmp_ne_u32_e32 vcc, v38, v39
	v_and_b32_e32 v3, 0xffff, v9
	s_nop 0
	v_cndmask_b32_e64 v8, 0, 1, vcc
	v_cmp_ne_u32_e32 vcc, v36, v37
	v_lshl_or_b32 v9, v8, 16, v6
	s_nop 0
	v_cndmask_b32_e64 v6, 0, 1, vcc
	v_cmp_ne_u32_e32 vcc, v34, v35
	v_lshl_or_b32 v7, v6, 16, v7
	;; [unrolled: 4-line block ×6, first 2 shown]
	v_lshrrev_b32_e32 v15, 16, v12
	v_cndmask_b32_e64 v2, 0, 1, vcc
	v_cmp_ne_u32_e32 vcc, v33, v26
	v_lshl_or_b32 v4, v2, 16, v4
	s_nop 0
	v_cndmask_b32_e64 v2, 0, 1, vcc
	v_lshl_or_b32 v2, v2, 16, v14
	v_lshrrev_b32_e32 v14, 16, v13
	v_cmp_eq_u32_e32 vcc, v31, v23
	s_nop 1
	v_cndmask_b32_e32 v14, v47, v14, vcc
	v_cmp_eq_u32_e32 vcc, v29, v30
	s_nop 1
	v_cndmask_b32_e32 v15, v47, v15, vcc
	v_cmp_eq_u32_e32 vcc, v25, v28
	v_and_b32_e32 v15, 0xffff, v15
	s_nop 0
	v_cndmask_b32_e32 v16, v47, v16, vcc
	v_cmp_eq_u32_e32 vcc, v27, v24
	v_and_b32_e32 v32, 0xffff, v16
	;; [unrolled: 4-line block ×3, first 2 shown]
	v_and_b32_e32 v17, 0xffff, v14
	v_cndmask_b32_e32 v13, v47, v13, vcc
	v_cmp_eq_u32_e32 vcc, v28, v29
	v_and_b32_e32 v13, 0xffff, v13
	s_nop 0
	v_cndmask_b32_e32 v12, v47, v12, vcc
	v_cmp_eq_u32_e32 vcc, v24, v25
	v_and_b32_e32 v12, 0xffff, v12
	s_nop 0
	;; [unrolled: 4-line block ×3, first 2 shown]
	v_cndmask_b32_e32 v10, v47, v10, vcc
	v_cmp_ne_u32_e32 vcc, v30, v31
	v_and_b32_e32 v10, 0xffff, v10
	s_nop 0
	v_cndmask_b32_e64 v14, 0, 1, vcc
	v_cmp_ne_u32_e32 vcc, v28, v29
	v_lshl_or_b32 v16, v14, 16, v13
	s_nop 0
	v_cndmask_b32_e64 v13, 0, 1, vcc
	v_cmp_ne_u32_e32 vcc, v24, v25
	v_lshl_or_b32 v14, v13, 16, v12
	;; [unrolled: 4-line block ×7, first 2 shown]
	s_nop 0
	v_cndmask_b32_e64 v11, 0, 1, vcc
	v_lshl_or_b32 v11, v11, 16, v22
.LBB1609_132:
	v_mov_b32_e32 v32, s4
	s_and_saveexec_b64 s[4:5], s[10:11]
; %bb.133:
	v_mov_b32_e32 v22, 0x10000
	v_cndmask_b32_e64 v22, 0, v22, s[8:9]
	v_or_b32_sdwa v32, v22, v53 dst_sel:DWORD dst_unused:UNUSED_PAD src0_sel:DWORD src1_sel:WORD_0
; %bb.134:
	s_or_b64 exec, exec, s[4:5]
	s_cmp_lg_u32 s2, 0
	v_mbcnt_lo_u32_b32 v33, -1, 0
	s_barrier
	s_cbranch_scc0 .LBB1609_223
; %bb.135:
	s_mov_b32 s3, 0x10000
	v_cmp_gt_u32_e64 s[50:51], s3, v50
	v_cmp_gt_u32_e64 s[4:5], s3, v21
	v_cmp_gt_u32_e64 s[6:7], s3, v20
	v_cndmask_b32_e64 v22, 0, v1, s[50:51]
	v_add_u16_e32 v22, v22, v50
	v_cndmask_b32_e64 v22, 0, v22, s[4:5]
	v_add_u16_e32 v22, v22, v21
	v_cndmask_b32_e64 v22, 0, v22, s[6:7]
	v_add_u16_e32 v22, v22, v20
	v_cmp_gt_u32_e64 s[8:9], s3, v19
	v_cmp_gt_u32_e64 s[10:11], s3, v18
	v_cmp_gt_u32_e64 s[12:13], s3, v51
	v_cndmask_b32_e64 v22, 0, v22, s[8:9]
	v_add_u16_e32 v22, v22, v19
	v_cndmask_b32_e64 v22, 0, v22, s[10:11]
	v_add_u16_e32 v22, v22, v18
	v_cndmask_b32_e64 v22, 0, v22, s[12:13]
	v_add_u16_e32 v22, v22, v51
	;; [unrolled: 9-line block ×5, first 2 shown]
	v_cmp_gt_u32_e64 s[34:35], s3, v11
	v_cmp_gt_u32_e64 s[36:37], s3, v12
	v_or3_b32 v25, v32, v17, v16
	v_cndmask_b32_e64 v22, 0, v22, s[34:35]
	v_add_u16_e32 v22, v22, v11
	v_cndmask_b32_e64 v22, 0, v22, s[36:37]
	v_add_u16_e32 v22, v22, v12
	v_cmp_gt_u32_e64 s[38:39], s3, v13
	v_or3_b32 v25, v25, v15, v14
	v_or3_b32 v25, v25, v13, v12
	v_cndmask_b32_e64 v22, 0, v22, s[38:39]
	v_add_u16_e32 v22, v22, v13
	v_cmp_gt_u32_e64 s[40:41], s3, v14
	v_or3_b32 v25, v25, v11, v10
	v_or3_b32 v25, v25, v2, v3
	;; [unrolled: 5-line block ×5, first 2 shown]
	v_cndmask_b32_e64 v22, 0, v22, s[46:47]
	v_add_u16_e32 v22, v22, v17
	v_cmp_gt_u32_e32 vcc, s3, v32
	v_and_b32_e32 v25, 0x10000, v25
	v_and_b32_e32 v23, 0x10000, v1
	v_cndmask_b32_e32 v24, 0, v22, vcc
	v_mov_b32_e32 v26, 0x10000
	v_cmp_ne_u32_e32 vcc, 0, v25
	v_add_u16_e32 v22, v24, v32
	v_add_u16_e32 v24, v24, v32
	v_cndmask_b32_e32 v26, v23, v26, vcc
	v_mbcnt_hi_u32_b32 v25, -1, v33
	v_and_b32_e32 v27, 15, v25
	v_or_b32_e32 v24, v26, v24
	v_lshrrev_b32_e32 v23, 16, v26
	v_cmp_ne_u32_e32 vcc, 0, v27
	v_mov_b32_dpp v28, v24 row_shr:1 row_mask:0xf bank_mask:0xf
	s_and_saveexec_b64 s[48:49], vcc
	s_cbranch_execz .LBB1609_137
; %bb.136:
	v_cmp_eq_u32_e32 vcc, 0, v26
	v_and_b32_e32 v23, 0x10000, v26
	v_mov_b32_e32 v26, 1
	v_cndmask_b32_e32 v24, 0, v28, vcc
	v_and_b32_sdwa v26, v28, v26 dst_sel:DWORD dst_unused:UNUSED_PAD src0_sel:WORD_1 src1_sel:DWORD
	v_cmp_ne_u32_e32 vcc, 0, v23
	v_add_u16_e32 v29, v24, v22
	v_add_u16_e32 v22, v24, v22
	v_cndmask_b32_e64 v23, v26, 1, vcc
	v_lshlrev_b32_e32 v26, 16, v23
	v_or_b32_e32 v24, v26, v22
	v_mov_b32_e32 v22, v29
.LBB1609_137:
	s_or_b64 exec, exec, s[48:49]
	v_lshrrev_b32_e32 v26, 16, v24
	v_mov_b32_dpp v28, v24 row_shr:2 row_mask:0xf bank_mask:0xf
	v_cmp_lt_u32_e32 vcc, 1, v27
	s_and_saveexec_b64 s[48:49], vcc
	s_cbranch_execz .LBB1609_139
; %bb.138:
	v_cmp_gt_u32_e32 vcc, s3, v24
	v_and_b32_e32 v23, 0x10000, v24
	v_mov_b32_e32 v24, 1
	v_cndmask_b32_e32 v26, 0, v28, vcc
	v_and_b32_sdwa v24, v28, v24 dst_sel:DWORD dst_unused:UNUSED_PAD src0_sel:WORD_1 src1_sel:DWORD
	v_cmp_ne_u32_e32 vcc, 0, v23
	v_add_u16_e32 v29, v26, v22
	v_add_u16_e32 v22, v26, v22
	v_cndmask_b32_e64 v23, v24, 1, vcc
	v_lshlrev_b32_e32 v24, 16, v23
	v_or_b32_e32 v24, v24, v22
	v_mov_b32_e32 v26, v23
	v_mov_b32_e32 v22, v29
.LBB1609_139:
	s_or_b64 exec, exec, s[48:49]
	v_mov_b32_dpp v28, v24 row_shr:4 row_mask:0xf bank_mask:0xf
	v_cmp_lt_u32_e32 vcc, 3, v27
	s_and_saveexec_b64 s[48:49], vcc
	s_cbranch_execz .LBB1609_141
; %bb.140:
	v_cmp_eq_u16_e32 vcc, 0, v26
	v_and_b32_e32 v23, 1, v26
	v_mov_b32_e32 v26, 1
	v_cndmask_b32_e32 v24, 0, v28, vcc
	v_and_b32_sdwa v26, v28, v26 dst_sel:DWORD dst_unused:UNUSED_PAD src0_sel:WORD_1 src1_sel:DWORD
	v_cmp_eq_u32_e32 vcc, 1, v23
	v_add_u16_e32 v29, v24, v22
	v_add_u16_e32 v22, v24, v22
	v_cndmask_b32_e64 v23, v26, 1, vcc
	v_lshlrev_b32_e32 v26, 16, v23
	v_or_b32_e32 v24, v26, v22
	v_mov_b32_e32 v26, v23
	v_mov_b32_e32 v22, v29
.LBB1609_141:
	s_or_b64 exec, exec, s[48:49]
	v_mov_b32_dpp v28, v24 row_shr:8 row_mask:0xf bank_mask:0xf
	v_cmp_lt_u32_e32 vcc, 7, v27
	s_and_saveexec_b64 s[48:49], vcc
	s_cbranch_execz .LBB1609_143
; %bb.142:
	v_cmp_eq_u16_e32 vcc, 0, v26
	v_and_b32_e32 v23, 1, v26
	v_mov_b32_e32 v26, 1
	v_cndmask_b32_e32 v24, 0, v28, vcc
	v_and_b32_sdwa v26, v28, v26 dst_sel:DWORD dst_unused:UNUSED_PAD src0_sel:WORD_1 src1_sel:DWORD
	v_cmp_eq_u32_e32 vcc, 1, v23
	v_add_u16_e32 v27, v24, v22
	v_add_u16_e32 v22, v24, v22
	v_cndmask_b32_e64 v23, v26, 1, vcc
	v_lshlrev_b32_e32 v26, 16, v23
	v_or_b32_e32 v24, v26, v22
	v_mov_b32_e32 v26, v23
	v_mov_b32_e32 v22, v27
.LBB1609_143:
	s_or_b64 exec, exec, s[48:49]
	v_and_b32_e32 v28, 16, v25
	v_mov_b32_dpp v27, v24 row_bcast:15 row_mask:0xf bank_mask:0xf
	v_cmp_ne_u32_e32 vcc, 0, v28
	s_and_saveexec_b64 s[48:49], vcc
	s_cbranch_execz .LBB1609_145
; %bb.144:
	v_cmp_eq_u16_e32 vcc, 0, v26
	v_and_b32_e32 v23, 1, v26
	v_mov_b32_e32 v26, 1
	v_cndmask_b32_e32 v24, 0, v27, vcc
	v_and_b32_sdwa v26, v27, v26 dst_sel:DWORD dst_unused:UNUSED_PAD src0_sel:WORD_1 src1_sel:DWORD
	v_cmp_eq_u32_e32 vcc, 1, v23
	v_add_u16_e32 v28, v24, v22
	v_add_u16_e32 v22, v24, v22
	v_cndmask_b32_e64 v23, v26, 1, vcc
	v_lshlrev_b32_e32 v26, 16, v23
	v_or_b32_e32 v24, v26, v22
	v_mov_b32_e32 v26, v23
	v_mov_b32_e32 v22, v28
.LBB1609_145:
	s_or_b64 exec, exec, s[48:49]
	v_mov_b32_dpp v24, v24 row_bcast:31 row_mask:0xf bank_mask:0xf
	v_cmp_lt_u32_e32 vcc, 31, v25
	s_and_saveexec_b64 s[48:49], vcc
; %bb.146:
	v_cmp_eq_u16_e32 vcc, 0, v26
	s_nop 1
	v_cndmask_b32_e32 v23, 0, v24, vcc
	v_add_u16_e32 v22, v23, v22
	v_and_b32_e32 v23, 1, v26
	v_mov_b32_e32 v26, 1
	v_and_b32_sdwa v24, v24, v26 dst_sel:DWORD dst_unused:UNUSED_PAD src0_sel:WORD_1 src1_sel:DWORD
	v_cmp_eq_u32_e32 vcc, 1, v23
	s_nop 1
	v_cndmask_b32_e64 v23, v24, 1, vcc
; %bb.147:
	s_or_b64 exec, exec, s[48:49]
	v_or_b32_e32 v26, 63, v0
	v_lshrrev_b32_e32 v24, 6, v0
	v_cmp_eq_u32_e32 vcc, v26, v0
	s_and_saveexec_b64 s[48:49], vcc
	s_cbranch_execz .LBB1609_149
; %bb.148:
	v_lshlrev_b32_e32 v26, 2, v24
	ds_write_b16 v26, v22
	ds_write_b8 v26, v23 offset:2
.LBB1609_149:
	s_or_b64 exec, exec, s[48:49]
	v_cmp_gt_u32_e32 vcc, 4, v0
	s_waitcnt lgkmcnt(0)
	s_barrier
	s_and_saveexec_b64 s[48:49], vcc
	s_cbranch_execz .LBB1609_155
; %bb.150:
	v_lshlrev_b32_e32 v26, 2, v0
	ds_read_b32 v27, v26
	v_and_b32_e32 v30, 3, v25
	v_cmp_ne_u32_e32 vcc, 0, v30
	s_waitcnt lgkmcnt(0)
	v_lshrrev_b32_e32 v29, 16, v27
	v_mov_b32_dpp v31, v27 row_shr:1 row_mask:0xf bank_mask:0xf
	v_mov_b32_e32 v28, v27
	s_and_saveexec_b64 s[52:53], vcc
	s_cbranch_execz .LBB1609_152
; %bb.151:
	v_mov_b32_e32 v28, 0
	v_cmp_eq_u16_sdwa vcc, v29, v28 src0_sel:BYTE_0 src1_sel:DWORD
	v_and_b32_e32 v29, 0x10000, v27
	v_mov_b32_e32 v36, 1
	v_cndmask_b32_e32 v35, 0, v31, vcc
	v_and_b32_sdwa v31, v31, v36 dst_sel:DWORD dst_unused:UNUSED_PAD src0_sel:WORD_1 src1_sel:DWORD
	v_cmp_ne_u32_e32 vcc, 0, v29
	v_and_b32_e32 v34, 0xff000000, v27
	v_add_u16_e32 v28, v35, v27
	v_cndmask_b32_e64 v29, v31, 1, vcc
	v_lshlrev_b32_e32 v31, 16, v29
	v_add_u16_e32 v27, v35, v27
	v_or3_b32 v27, v31, v34, v27
.LBB1609_152:
	s_or_b64 exec, exec, s[52:53]
	s_nop 0
	v_mov_b32_dpp v31, v27 row_shr:2 row_mask:0xf bank_mask:0xf
	v_cmp_lt_u32_e32 vcc, 1, v30
	s_and_saveexec_b64 s[52:53], vcc
; %bb.153:
	v_and_b32_e32 v29, 0xff0000, v27
	v_cmp_eq_u32_e32 vcc, 0, v29
	v_and_b32_e32 v27, 0x10000, v27
	s_nop 0
	v_cndmask_b32_e32 v29, 0, v31, vcc
	v_add_u16_e32 v28, v29, v28
	v_mov_b32_e32 v29, 1
	v_and_b32_sdwa v29, v31, v29 dst_sel:DWORD dst_unused:UNUSED_PAD src0_sel:WORD_1 src1_sel:DWORD
	v_cmp_eq_u32_e32 vcc, 0, v27
	s_nop 1
	v_cndmask_b32_e32 v29, 1, v29, vcc
; %bb.154:
	s_or_b64 exec, exec, s[52:53]
	ds_write_b16 v26, v28
	ds_write_b8 v26, v29 offset:2
.LBB1609_155:
	s_or_b64 exec, exec, s[48:49]
	v_cmp_gt_u32_e32 vcc, 64, v0
	v_cmp_lt_u32_e64 s[48:49], 63, v0
	v_mov_b32_e32 v34, 0
	v_mov_b32_e32 v35, 0
	s_waitcnt lgkmcnt(0)
	s_barrier
	s_and_saveexec_b64 s[52:53], s[48:49]
	s_cbranch_execz .LBB1609_157
; %bb.156:
	v_lshl_add_u32 v24, v24, 2, -4
	ds_read_u16 v34, v24
	ds_read_u8 v35, v24 offset:2
	v_and_b32_e32 v26, 1, v23
	v_cmp_eq_u16_e64 s[48:49], 0, v23
	s_waitcnt lgkmcnt(1)
	s_nop 0
	v_cndmask_b32_e64 v23, 0, v34, s[48:49]
	v_cmp_eq_u32_e64 s[48:49], 1, v26
	v_add_u16_e32 v22, v23, v22
	s_waitcnt lgkmcnt(0)
	v_cndmask_b32_e64 v23, v35, 1, s[48:49]
.LBB1609_157:
	s_or_b64 exec, exec, s[52:53]
	v_and_b32_e32 v23, 0xff, v23
	v_and_b32_e32 v22, 0xffff, v22
	v_lshl_or_b32 v22, v23, 16, v22
	v_add_u32_e32 v23, -1, v25
	v_and_b32_e32 v24, 64, v25
	v_cmp_lt_i32_e64 s[48:49], v23, v24
	s_nop 1
	v_cndmask_b32_e64 v23, v23, v25, s[48:49]
	v_lshlrev_b32_e32 v23, 2, v23
	ds_bpermute_b32 v36, v23, v22
	v_cmp_eq_u32_e64 s[48:49], 0, v25
	s_and_saveexec_b64 s[52:53], vcc
	s_cbranch_execz .LBB1609_200
; %bb.158:
	v_mov_b32_e32 v29, 0
	ds_read_b32 v22, v29 offset:12
	s_and_saveexec_b64 s[60:61], s[48:49]
	s_cbranch_execz .LBB1609_160
; %bb.159:
	s_add_i32 s70, s2, 64
	s_mov_b32 s71, 0
	s_lshl_b64 s[70:71], s[70:71], 3
	s_add_u32 s70, s56, s70
	v_mov_b32_e32 v23, 1
	s_addc_u32 s71, s57, s71
	s_waitcnt lgkmcnt(0)
	global_store_dwordx2 v29, v[22:23], s[70:71] sc1
.LBB1609_160:
	s_or_b64 exec, exec, s[60:61]
	v_xad_u32 v24, v25, -1, s2
	v_add_u32_e32 v28, 64, v24
	v_lshl_add_u64 v[30:31], v[28:29], 3, s[56:57]
	global_load_dwordx2 v[26:27], v[30:31], off sc1
	s_waitcnt vmcnt(0)
	v_cmp_eq_u16_sdwa s[70:71], v27, v29 src0_sel:BYTE_0 src1_sel:DWORD
	s_and_saveexec_b64 s[60:61], s[70:71]
	s_cbranch_execz .LBB1609_164
; %bb.161:
	s_mov_b64 s[70:71], 0
	v_mov_b32_e32 v23, 0
.LBB1609_162:                           ; =>This Inner Loop Header: Depth=1
	global_load_dwordx2 v[26:27], v[30:31], off sc1
	s_waitcnt vmcnt(0)
	v_cmp_ne_u16_sdwa s[72:73], v27, v23 src0_sel:BYTE_0 src1_sel:DWORD
	s_or_b64 s[70:71], s[72:73], s[70:71]
	s_andn2_b64 exec, exec, s[70:71]
	s_cbranch_execnz .LBB1609_162
; %bb.163:
	s_or_b64 exec, exec, s[70:71]
.LBB1609_164:
	s_or_b64 exec, exec, s[60:61]
	v_mov_b32_e32 v23, 2
	v_cmp_eq_u16_sdwa s[60:61], v27, v23 src0_sel:BYTE_0 src1_sel:DWORD
	v_lshlrev_b64 v[28:29], v25, -1
	v_and_b32_e32 v48, 0xffffff, v26
	v_and_b32_e32 v23, s61, v29
	v_or_b32_e32 v23, 0x80000000, v23
	v_ffbl_b32_e32 v23, v23
	v_add_u32_e32 v31, 32, v23
	v_and_b32_e32 v23, 63, v25
	v_cmp_ne_u32_e32 vcc, 63, v23
	v_and_b32_e32 v30, s60, v28
	v_ffbl_b32_e32 v30, v30
	v_addc_co_u32_e32 v37, vcc, 0, v25, vcc
	v_lshlrev_b32_e32 v37, 2, v37
	ds_bpermute_b32 v38, v37, v48
	v_min_u32_e32 v31, v30, v31
	v_lshrrev_b32_e32 v30, 16, v26
	v_cmp_lt_u32_e32 vcc, v23, v31
	v_bfe_u32 v46, v26, 16, 8
	s_and_saveexec_b64 s[60:61], vcc
	s_cbranch_execz .LBB1609_166
; %bb.165:
	v_and_b32_e32 v30, 0xff0000, v26
	v_cmp_eq_u32_e32 vcc, 0, v30
	v_and_b32_e32 v30, 0x10000, v30
	v_mov_b32_e32 v41, 1
	s_waitcnt lgkmcnt(0)
	v_cndmask_b32_e32 v39, 0, v38, vcc
	v_and_b32_sdwa v38, v38, v41 dst_sel:DWORD dst_unused:UNUSED_PAD src0_sel:WORD_1 src1_sel:DWORD
	v_cmp_ne_u32_e32 vcc, 0, v30
	v_add_u16_e32 v40, v39, v26
	v_add_u16_e32 v26, v39, v26
	v_cndmask_b32_e64 v30, v38, 1, vcc
	v_lshlrev_b32_e32 v38, 16, v30
	v_or_b32_e32 v48, v38, v26
	v_mov_b32_e32 v26, v40
	v_mov_b32_e32 v46, v30
.LBB1609_166:
	s_or_b64 exec, exec, s[60:61]
	v_cmp_gt_u32_e32 vcc, 62, v23
	v_add_u32_e32 v39, 2, v23
	s_waitcnt lgkmcnt(0)
	v_cndmask_b32_e64 v38, 0, 1, vcc
	v_lshlrev_b32_e32 v38, 1, v38
	v_add_lshl_u32 v38, v38, v25, 2
	ds_bpermute_b32 v40, v38, v48
	v_cmp_le_u32_e32 vcc, v39, v31
	s_and_saveexec_b64 s[60:61], vcc
	s_cbranch_execz .LBB1609_168
; %bb.167:
	v_cmp_eq_u16_e32 vcc, 0, v46
	v_and_b32_e32 v30, 1, v46
	v_mov_b32_e32 v43, 1
	s_waitcnt lgkmcnt(0)
	v_cndmask_b32_e32 v41, 0, v40, vcc
	v_and_b32_sdwa v40, v40, v43 dst_sel:DWORD dst_unused:UNUSED_PAD src0_sel:WORD_1 src1_sel:DWORD
	v_cmp_eq_u32_e32 vcc, 1, v30
	v_add_u16_e32 v42, v41, v26
	v_add_u16_e32 v26, v41, v26
	v_cndmask_b32_e64 v30, v40, 1, vcc
	v_lshlrev_b32_e32 v40, 16, v30
	v_or_b32_e32 v48, v40, v26
	v_mov_b32_e32 v26, v42
	v_mov_b32_e32 v46, v30
.LBB1609_168:
	s_or_b64 exec, exec, s[60:61]
	v_cmp_gt_u32_e32 vcc, 60, v23
	v_add_u32_e32 v41, 4, v23
	s_waitcnt lgkmcnt(0)
	v_cndmask_b32_e64 v40, 0, 1, vcc
	v_lshlrev_b32_e32 v40, 2, v40
	v_add_lshl_u32 v40, v40, v25, 2
	ds_bpermute_b32 v42, v40, v48
	v_cmp_le_u32_e32 vcc, v41, v31
	s_and_saveexec_b64 s[60:61], vcc
	s_cbranch_execz .LBB1609_170
; %bb.169:
	v_cmp_eq_u16_e32 vcc, 0, v46
	v_and_b32_e32 v30, 1, v46
	v_mov_b32_e32 v45, 1
	s_waitcnt lgkmcnt(0)
	v_cndmask_b32_e32 v43, 0, v42, vcc
	v_and_b32_sdwa v42, v42, v45 dst_sel:DWORD dst_unused:UNUSED_PAD src0_sel:WORD_1 src1_sel:DWORD
	v_cmp_eq_u32_e32 vcc, 1, v30
	v_add_u16_e32 v44, v43, v26
	v_add_u16_e32 v26, v43, v26
	v_cndmask_b32_e64 v30, v42, 1, vcc
	v_lshlrev_b32_e32 v42, 16, v30
	v_or_b32_e32 v48, v42, v26
	v_mov_b32_e32 v26, v44
	v_mov_b32_e32 v46, v30
.LBB1609_170:
	;; [unrolled: 27-line block ×4, first 2 shown]
	s_or_b64 exec, exec, s[60:61]
	v_cmp_gt_u32_e32 vcc, 32, v23
	v_add_u32_e32 v49, 32, v23
	s_waitcnt lgkmcnt(0)
	v_cndmask_b32_e64 v47, 0, 1, vcc
	v_lshlrev_b32_e32 v47, 5, v47
	v_add_lshl_u32 v47, v47, v25, 2
	ds_bpermute_b32 v25, v47, v48
	v_cmp_le_u32_e32 vcc, v49, v31
	s_and_saveexec_b64 s[60:61], vcc
	s_cbranch_execz .LBB1609_176
; %bb.175:
	v_cmp_eq_u16_e32 vcc, 0, v46
	v_mov_b32_e32 v31, 1
	s_waitcnt lgkmcnt(0)
	v_cndmask_b32_e32 v30, 0, v25, vcc
	v_add_u16_e32 v26, v30, v26
	v_and_b32_e32 v30, 1, v46
	v_and_b32_sdwa v25, v25, v31 dst_sel:DWORD dst_unused:UNUSED_PAD src0_sel:WORD_1 src1_sel:DWORD
	v_cmp_eq_u32_e32 vcc, 1, v30
	s_nop 1
	v_cndmask_b32_e64 v30, v25, 1, vcc
.LBB1609_176:
	s_or_b64 exec, exec, s[60:61]
	s_waitcnt lgkmcnt(0)
	v_mov_b32_e32 v25, 0
	v_mov_b32_e32 v52, 2
	v_mov_b32_e32 v53, 1
	s_branch .LBB1609_178
.LBB1609_177:                           ;   in Loop: Header=BB1609_178 Depth=1
	s_or_b64 exec, exec, s[60:61]
	v_cmp_eq_u16_sdwa vcc, v46, v25 src0_sel:BYTE_0 src1_sel:DWORD
	v_and_b32_e32 v30, 1, v46
	v_and_b32_e32 v31, 1, v31
	v_cndmask_b32_e32 v26, 0, v26, vcc
	v_cmp_eq_u32_e32 vcc, 1, v30
	v_subrev_u32_e32 v24, 64, v24
	v_add_u16_e32 v26, v26, v48
	v_cndmask_b32_e64 v30, v31, 1, vcc
.LBB1609_178:                           ; =>This Loop Header: Depth=1
                                        ;     Child Loop BB1609_181 Depth 2
	v_cmp_ne_u16_sdwa s[60:61], v27, v52 src0_sel:BYTE_0 src1_sel:DWORD
	v_mov_b32_e32 v46, v30
	v_mov_b32_e32 v48, v26
	v_cndmask_b32_e64 v27, 0, 1, s[60:61]
	;;#ASMSTART
	;;#ASMEND
	s_nop 0
	v_cmp_ne_u32_e32 vcc, 0, v27
	s_cmp_lg_u64 vcc, exec
	s_cbranch_scc1 .LBB1609_195
; %bb.179:                              ;   in Loop: Header=BB1609_178 Depth=1
	v_lshl_add_u64 v[30:31], v[24:25], 3, s[56:57]
	global_load_dwordx2 v[26:27], v[30:31], off sc1
	s_waitcnt vmcnt(0)
	v_cmp_eq_u16_sdwa s[70:71], v27, v25 src0_sel:BYTE_0 src1_sel:DWORD
	s_and_saveexec_b64 s[60:61], s[70:71]
	s_cbranch_execz .LBB1609_183
; %bb.180:                              ;   in Loop: Header=BB1609_178 Depth=1
	s_mov_b64 s[70:71], 0
.LBB1609_181:                           ;   Parent Loop BB1609_178 Depth=1
                                        ; =>  This Inner Loop Header: Depth=2
	global_load_dwordx2 v[26:27], v[30:31], off sc1
	s_waitcnt vmcnt(0)
	v_cmp_ne_u16_sdwa s[72:73], v27, v25 src0_sel:BYTE_0 src1_sel:DWORD
	s_or_b64 s[70:71], s[72:73], s[70:71]
	s_andn2_b64 exec, exec, s[70:71]
	s_cbranch_execnz .LBB1609_181
; %bb.182:                              ;   in Loop: Header=BB1609_178 Depth=1
	s_or_b64 exec, exec, s[70:71]
.LBB1609_183:                           ;   in Loop: Header=BB1609_178 Depth=1
	s_or_b64 exec, exec, s[60:61]
	v_cmp_eq_u16_sdwa s[60:61], v27, v52 src0_sel:BYTE_0 src1_sel:DWORD
	s_waitcnt lgkmcnt(0)
	v_and_b32_e32 v55, 0xffffff, v26
	ds_bpermute_b32 v56, v37, v55
	v_and_b32_e32 v30, s61, v29
	v_or_b32_e32 v30, 0x80000000, v30
	v_and_b32_e32 v31, s60, v28
	v_ffbl_b32_e32 v30, v30
	v_add_u32_e32 v30, 32, v30
	v_ffbl_b32_e32 v31, v31
	v_min_u32_e32 v30, v31, v30
	v_lshrrev_b32_e32 v31, 16, v26
	v_cmp_lt_u32_e32 vcc, v23, v30
	v_bfe_u32 v54, v26, 16, 8
	s_and_saveexec_b64 s[60:61], vcc
	s_cbranch_execz .LBB1609_185
; %bb.184:                              ;   in Loop: Header=BB1609_178 Depth=1
	v_and_b32_e32 v31, 0xff0000, v26
	v_cmp_eq_u32_e32 vcc, 0, v31
	v_and_b32_e32 v31, 0x10000, v31
	s_waitcnt lgkmcnt(0)
	v_and_b32_sdwa v55, v56, v53 dst_sel:DWORD dst_unused:UNUSED_PAD src0_sel:WORD_1 src1_sel:DWORD
	v_cndmask_b32_e32 v54, 0, v56, vcc
	v_cmp_ne_u32_e32 vcc, 0, v31
	v_add_u16_e32 v57, v54, v26
	v_add_u16_e32 v26, v54, v26
	v_cndmask_b32_e64 v31, v55, 1, vcc
	v_lshlrev_b32_e32 v55, 16, v31
	v_or_b32_e32 v55, v55, v26
	v_mov_b32_e32 v26, v57
	v_mov_b32_e32 v54, v31
.LBB1609_185:                           ;   in Loop: Header=BB1609_178 Depth=1
	s_or_b64 exec, exec, s[60:61]
	s_waitcnt lgkmcnt(0)
	ds_bpermute_b32 v56, v38, v55
	v_cmp_le_u32_e32 vcc, v39, v30
	s_and_saveexec_b64 s[60:61], vcc
	s_cbranch_execz .LBB1609_187
; %bb.186:                              ;   in Loop: Header=BB1609_178 Depth=1
	v_cmp_eq_u16_e32 vcc, 0, v54
	v_and_b32_e32 v31, 1, v54
	s_waitcnt lgkmcnt(0)
	v_and_b32_sdwa v54, v56, v53 dst_sel:DWORD dst_unused:UNUSED_PAD src0_sel:WORD_1 src1_sel:DWORD
	v_cndmask_b32_e32 v55, 0, v56, vcc
	v_cmp_eq_u32_e32 vcc, 1, v31
	v_add_u16_e32 v57, v55, v26
	v_add_u16_e32 v26, v55, v26
	v_cndmask_b32_e64 v31, v54, 1, vcc
	v_lshlrev_b32_e32 v54, 16, v31
	v_or_b32_e32 v55, v54, v26
	v_mov_b32_e32 v26, v57
	v_mov_b32_e32 v54, v31
.LBB1609_187:                           ;   in Loop: Header=BB1609_178 Depth=1
	s_or_b64 exec, exec, s[60:61]
	s_waitcnt lgkmcnt(0)
	ds_bpermute_b32 v56, v40, v55
	v_cmp_le_u32_e32 vcc, v41, v30
	s_and_saveexec_b64 s[60:61], vcc
	s_cbranch_execz .LBB1609_189
; %bb.188:                              ;   in Loop: Header=BB1609_178 Depth=1
	v_cmp_eq_u16_e32 vcc, 0, v54
	v_and_b32_e32 v31, 1, v54
	s_waitcnt lgkmcnt(0)
	v_and_b32_sdwa v54, v56, v53 dst_sel:DWORD dst_unused:UNUSED_PAD src0_sel:WORD_1 src1_sel:DWORD
	v_cndmask_b32_e32 v55, 0, v56, vcc
	v_cmp_eq_u32_e32 vcc, 1, v31
	v_add_u16_e32 v57, v55, v26
	v_add_u16_e32 v26, v55, v26
	v_cndmask_b32_e64 v31, v54, 1, vcc
	v_lshlrev_b32_e32 v54, 16, v31
	v_or_b32_e32 v55, v54, v26
	v_mov_b32_e32 v26, v57
	v_mov_b32_e32 v54, v31
.LBB1609_189:                           ;   in Loop: Header=BB1609_178 Depth=1
	;; [unrolled: 21-line block ×4, first 2 shown]
	s_or_b64 exec, exec, s[60:61]
	ds_bpermute_b32 v55, v47, v55
	v_cmp_le_u32_e32 vcc, v49, v30
	s_and_saveexec_b64 s[60:61], vcc
	s_cbranch_execz .LBB1609_177
; %bb.194:                              ;   in Loop: Header=BB1609_178 Depth=1
	v_cmp_eq_u16_e32 vcc, 0, v54
	s_waitcnt lgkmcnt(0)
	v_lshrrev_b32_e32 v31, 16, v55
	v_cndmask_b32_e32 v30, 0, v55, vcc
	v_add_u16_e32 v26, v30, v26
	v_and_b32_e32 v30, 1, v54
	v_cmp_eq_u32_e32 vcc, 1, v30
	s_nop 1
	v_cndmask_b32_e64 v31, v31, 1, vcc
	s_branch .LBB1609_177
.LBB1609_195:                           ;   in Loop: Header=BB1609_178 Depth=1
                                        ; implicit-def: $vgpr30
                                        ; implicit-def: $vgpr26
	s_cbranch_execz .LBB1609_178
; %bb.196:
	s_and_saveexec_b64 s[60:61], s[48:49]
	s_cbranch_execz .LBB1609_198
; %bb.197:
	v_and_b32_e32 v23, 0xff0000, v22
	s_mov_b32 s3, 0
	v_cmp_eq_u32_e32 vcc, 0, v23
	v_and_b32_e32 v24, 0x10000, v22
	v_mov_b32_e32 v25, 1
	s_add_i32 s2, s2, 64
	v_cndmask_b32_e32 v23, 0, v48, vcc
	v_and_b32_sdwa v25, v46, v25 dst_sel:WORD_1 dst_unused:UNUSED_PAD src0_sel:DWORD src1_sel:DWORD
	v_mov_b32_e32 v26, 0x10000
	v_cmp_eq_u32_e32 vcc, 0, v24
	s_lshl_b64 s[2:3], s[2:3], 3
	s_add_u32 s2, s56, s2
	v_cndmask_b32_e32 v24, v26, v25, vcc
	v_add_u16_e32 v22, v23, v22
	s_addc_u32 s3, s57, s3
	v_mov_b32_e32 v25, 0
	v_or_b32_e32 v22, v24, v22
	v_mov_b32_e32 v23, 2
	global_store_dwordx2 v25, v[22:23], s[2:3] sc1
.LBB1609_198:
	s_or_b64 exec, exec, s[60:61]
	v_cmp_eq_u32_e32 vcc, 0, v0
	s_and_b64 exec, exec, vcc
	s_cbranch_execz .LBB1609_200
; %bb.199:
	v_mov_b32_e32 v22, 0
	ds_write_b16 v22, v48 offset:12
	ds_write_b8 v22, v46 offset:14
.LBB1609_200:
	s_or_b64 exec, exec, s[52:53]
	v_mov_b32_e32 v22, 0
	s_waitcnt lgkmcnt(0)
	s_barrier
	ds_read_b32 v23, v22 offset:12
	v_lshrrev_b32_e32 v24, 16, v36
	v_cndmask_b32_e64 v24, v24, v35, s[48:49]
	v_cmp_eq_u16_sdwa vcc, v24, v22 src0_sel:BYTE_0 src1_sel:DWORD
	v_cndmask_b32_e64 v25, v36, v34, s[48:49]
	s_waitcnt lgkmcnt(0)
	v_cndmask_b32_e32 v22, 0, v23, vcc
	v_add_u16_e32 v22, v22, v25
	v_cmp_eq_u32_e32 vcc, 0, v0
	s_nop 1
	v_cndmask_b32_e32 v24, v22, v23, vcc
	v_and_b32_e32 v22, 0xff0000, v1
	v_cmp_eq_u32_e32 vcc, 0, v22
	s_nop 1
	v_cndmask_b32_e32 v22, 0, v24, vcc
	v_add_u16_e32 v22, v22, v1
	v_cndmask_b32_e64 v23, 0, v22, s[50:51]
	v_add_u16_e32 v23, v23, v50
	v_cndmask_b32_e64 v25, 0, v23, s[4:5]
	;; [unrolled: 2-line block ×22, first 2 shown]
	v_add_u16_e32 v47, v47, v17
	s_branch .LBB1609_251
.LBB1609_201:
	s_or_b64 exec, exec, s[52:53]
                                        ; implicit-def: $vgpr3
	s_and_saveexec_b64 s[52:53], s[50:51]
	s_cbranch_execz .LBB1609_53
.LBB1609_202:
	v_lshlrev_b32_e32 v20, 1, v0
	v_mov_b32_e32 v21, 0
	v_lshl_add_u64 v[20:21], s[70:71], 0, v[20:21]
	flat_load_ushort v3, v[20:21] offset:512
	s_or_b64 exec, exec, s[52:53]
                                        ; implicit-def: $vgpr20
	s_and_saveexec_b64 s[50:51], s[4:5]
	s_cbranch_execnz .LBB1609_54
.LBB1609_203:
	s_or_b64 exec, exec, s[50:51]
                                        ; implicit-def: $vgpr21
	s_and_saveexec_b64 s[4:5], s[6:7]
	s_cbranch_execz .LBB1609_55
.LBB1609_204:
	v_lshlrev_b32_e32 v46, 1, v0
	v_mov_b32_e32 v47, 0
	v_lshl_add_u64 v[46:47], s[70:71], 0, v[46:47]
	flat_load_ushort v21, v[46:47] offset:1536
	s_or_b64 exec, exec, s[4:5]
                                        ; implicit-def: $vgpr46
	s_and_saveexec_b64 s[4:5], s[8:9]
	s_cbranch_execnz .LBB1609_56
.LBB1609_205:
	s_or_b64 exec, exec, s[4:5]
                                        ; implicit-def: $vgpr47
	s_and_saveexec_b64 s[4:5], s[10:11]
	s_cbranch_execz .LBB1609_57
.LBB1609_206:
	v_lshlrev_b32_e32 v48, 1, v0
	v_mov_b32_e32 v49, 0
	v_lshl_add_u64 v[48:49], s[70:71], 0, v[48:49]
	flat_load_ushort v47, v[48:49] offset:2560
	s_or_b64 exec, exec, s[4:5]
                                        ; implicit-def: $vgpr48
	s_and_saveexec_b64 s[4:5], s[12:13]
	s_cbranch_execnz .LBB1609_58
.LBB1609_207:
	s_or_b64 exec, exec, s[4:5]
                                        ; implicit-def: $vgpr49
	s_and_saveexec_b64 s[4:5], s[14:15]
	s_cbranch_execz .LBB1609_59
.LBB1609_208:
	v_lshlrev_b32_e32 v50, 1, v0
	v_mov_b32_e32 v51, 0
	v_lshl_add_u64 v[50:51], s[70:71], 0, v[50:51]
	flat_load_ushort v49, v[50:51] offset:3584
	s_or_b64 exec, exec, s[4:5]
                                        ; implicit-def: $vgpr50
	s_and_saveexec_b64 s[4:5], s[16:17]
	s_cbranch_execnz .LBB1609_60
.LBB1609_209:
	s_or_b64 exec, exec, s[4:5]
                                        ; implicit-def: $vgpr1
	s_and_saveexec_b64 s[4:5], s[18:19]
	s_cbranch_execz .LBB1609_61
.LBB1609_210:
	v_lshlrev_b32_e32 v54, 1, v4
	v_mov_b32_e32 v55, 0
	v_lshl_add_u64 v[54:55], s[70:71], 0, v[54:55]
	flat_load_ushort v1, v[54:55]
	s_or_b64 exec, exec, s[4:5]
                                        ; implicit-def: $vgpr4
	s_and_saveexec_b64 s[4:5], s[20:21]
	s_cbranch_execnz .LBB1609_62
.LBB1609_211:
	s_or_b64 exec, exec, s[4:5]
                                        ; implicit-def: $vgpr5
	s_and_saveexec_b64 s[4:5], s[22:23]
	s_cbranch_execz .LBB1609_63
.LBB1609_212:
	v_lshlrev_b32_e32 v54, 1, v6
	v_mov_b32_e32 v55, 0
	v_lshl_add_u64 v[54:55], s[70:71], 0, v[54:55]
	flat_load_ushort v5, v[54:55]
	s_or_b64 exec, exec, s[4:5]
                                        ; implicit-def: $vgpr6
	s_and_saveexec_b64 s[4:5], s[24:25]
	s_cbranch_execnz .LBB1609_64
.LBB1609_213:
	s_or_b64 exec, exec, s[4:5]
                                        ; implicit-def: $vgpr7
	s_and_saveexec_b64 s[4:5], s[26:27]
	s_cbranch_execz .LBB1609_65
.LBB1609_214:
	v_lshlrev_b32_e32 v54, 1, v8
	v_mov_b32_e32 v55, 0
	v_lshl_add_u64 v[54:55], s[70:71], 0, v[54:55]
	flat_load_ushort v7, v[54:55]
	s_or_b64 exec, exec, s[4:5]
                                        ; implicit-def: $vgpr8
	s_and_saveexec_b64 s[4:5], s[28:29]
	s_cbranch_execnz .LBB1609_66
.LBB1609_215:
	s_or_b64 exec, exec, s[4:5]
                                        ; implicit-def: $vgpr9
	s_and_saveexec_b64 s[4:5], s[30:31]
	s_cbranch_execz .LBB1609_67
.LBB1609_216:
	v_lshlrev_b32_e32 v54, 1, v10
	v_mov_b32_e32 v55, 0
	v_lshl_add_u64 v[54:55], s[70:71], 0, v[54:55]
	flat_load_ushort v9, v[54:55]
	s_or_b64 exec, exec, s[4:5]
                                        ; implicit-def: $vgpr10
	s_and_saveexec_b64 s[4:5], s[34:35]
	s_cbranch_execnz .LBB1609_68
.LBB1609_217:
	s_or_b64 exec, exec, s[4:5]
                                        ; implicit-def: $vgpr11
	s_and_saveexec_b64 s[4:5], s[36:37]
	s_cbranch_execz .LBB1609_69
.LBB1609_218:
	v_lshlrev_b32_e32 v54, 1, v12
	v_mov_b32_e32 v55, 0
	v_lshl_add_u64 v[54:55], s[70:71], 0, v[54:55]
	flat_load_ushort v11, v[54:55]
	s_or_b64 exec, exec, s[4:5]
                                        ; implicit-def: $vgpr12
	s_and_saveexec_b64 s[4:5], s[38:39]
	s_cbranch_execnz .LBB1609_70
.LBB1609_219:
	s_or_b64 exec, exec, s[4:5]
                                        ; implicit-def: $vgpr13
	s_and_saveexec_b64 s[4:5], s[40:41]
	s_cbranch_execz .LBB1609_71
.LBB1609_220:
	v_lshlrev_b32_e32 v54, 1, v14
	v_mov_b32_e32 v55, 0
	v_lshl_add_u64 v[54:55], s[70:71], 0, v[54:55]
	flat_load_ushort v13, v[54:55]
	s_or_b64 exec, exec, s[4:5]
                                        ; implicit-def: $vgpr14
	s_and_saveexec_b64 s[4:5], s[42:43]
	s_cbranch_execnz .LBB1609_72
.LBB1609_221:
	s_or_b64 exec, exec, s[4:5]
                                        ; implicit-def: $vgpr15
	s_and_saveexec_b64 s[4:5], s[44:45]
	s_cbranch_execz .LBB1609_73
.LBB1609_222:
	v_lshlrev_b32_e32 v54, 1, v16
	v_mov_b32_e32 v55, 0
	v_lshl_add_u64 v[54:55], s[70:71], 0, v[54:55]
	flat_load_ushort v15, v[54:55]
	s_or_b64 exec, exec, s[4:5]
                                        ; implicit-def: $vgpr16
	s_and_saveexec_b64 s[4:5], s[46:47]
	s_cbranch_execz .LBB1609_75
	s_branch .LBB1609_74
.LBB1609_223:
                                        ; implicit-def: $vgpr24
                                        ; implicit-def: $vgpr22
                                        ; implicit-def: $vgpr23
                                        ; implicit-def: $vgpr25
                                        ; implicit-def: $vgpr26
                                        ; implicit-def: $vgpr27
                                        ; implicit-def: $vgpr29
                                        ; implicit-def: $vgpr31
                                        ; implicit-def: $vgpr28
                                        ; implicit-def: $vgpr30
                                        ; implicit-def: $vgpr34
                                        ; implicit-def: $vgpr35
                                        ; implicit-def: $vgpr36
                                        ; implicit-def: $vgpr37
                                        ; implicit-def: $vgpr39
                                        ; implicit-def: $vgpr41
                                        ; implicit-def: $vgpr38
                                        ; implicit-def: $vgpr40
                                        ; implicit-def: $vgpr42
                                        ; implicit-def: $vgpr43
                                        ; implicit-def: $vgpr44
                                        ; implicit-def: $vgpr45
                                        ; implicit-def: $vgpr46
                                        ; implicit-def: $vgpr47
	s_cbranch_execz .LBB1609_251
; %bb.224:
	s_cmp_lg_u64 s[68:69], 0
	s_cselect_b32 s3, s63, 0
	s_cselect_b32 s2, s62, 0
	s_cmp_eq_u64 s[2:3], 0
	v_mov_b32_e32 v47, s80
	s_cbranch_scc1 .LBB1609_226
; %bb.225:
	v_mov_b32_e32 v22, 0
	global_load_ushort v47, v22, s[2:3]
.LBB1609_226:
	s_mov_b32 s50, 0x10000
	v_cmp_gt_u32_e32 vcc, s50, v50
	v_cmp_gt_u32_e64 s[2:3], s50, v21
	v_cmp_gt_u32_e64 s[4:5], s50, v20
	v_cndmask_b32_e32 v22, 0, v1, vcc
	v_add_u16_e32 v22, v22, v50
	v_cndmask_b32_e64 v22, 0, v22, s[2:3]
	v_add_u16_e32 v22, v22, v21
	v_cndmask_b32_e64 v22, 0, v22, s[4:5]
	v_add_u16_e32 v22, v22, v20
	v_cmp_gt_u32_e64 s[6:7], s50, v19
	v_cmp_gt_u32_e64 s[8:9], s50, v18
	v_cmp_gt_u32_e64 s[10:11], s50, v51
	v_cndmask_b32_e64 v22, 0, v22, s[6:7]
	v_add_u16_e32 v22, v22, v19
	v_cndmask_b32_e64 v22, 0, v22, s[8:9]
	v_add_u16_e32 v22, v22, v18
	v_cndmask_b32_e64 v22, 0, v22, s[10:11]
	v_add_u16_e32 v22, v22, v51
	v_cmp_gt_u32_e64 s[12:13], s50, v9
	v_cmp_gt_u32_e64 s[14:15], s50, v8
	v_cmp_gt_u32_e64 s[16:17], s50, v7
	v_cndmask_b32_e64 v22, 0, v22, s[12:13]
	;; [unrolled: 9-line block ×5, first 2 shown]
	v_add_u16_e32 v22, v22, v11
	v_cndmask_b32_e64 v22, 0, v22, s[34:35]
	v_add_u16_e32 v22, v22, v12
	v_cndmask_b32_e64 v22, 0, v22, s[36:37]
	v_add_u16_e32 v22, v22, v13
	v_cmp_gt_u32_e64 s[38:39], s50, v14
	v_bfe_u32 v25, v19, 16, 1
	v_cmp_gt_u32_e64 s[40:41], s50, v15
	v_cndmask_b32_e64 v22, 0, v22, s[38:39]
	v_add_u16_e32 v22, v22, v14
	v_lshlrev_b16_e32 v26, 1, v25
	v_mov_b32_e32 v25, 1
	v_cndmask_b32_e64 v22, 0, v22, s[40:41]
	v_and_b32_sdwa v27, v18, v25 dst_sel:DWORD dst_unused:UNUSED_PAD src0_sel:WORD_1 src1_sel:DWORD
	v_add_u16_e32 v22, v22, v15
	v_cmp_gt_u32_e64 s[42:43], s50, v16
	v_or_b32_e32 v26, v27, v26
	v_bfe_u32 v27, v21, 16, 1
	v_and_b32_sdwa v28, v20, v25 dst_sel:DWORD dst_unused:UNUSED_PAD src0_sel:WORD_1 src1_sel:DWORD
	v_cndmask_b32_e64 v22, 0, v22, s[42:43]
	v_lshlrev_b16_e32 v27, 3, v27
	v_lshlrev_b16_e32 v28, 2, v28
	v_add_u16_e32 v22, v22, v16
	v_cmp_gt_u32_e64 s[44:45], s50, v17
	v_or_b32_e32 v27, v27, v28
	v_or_b32_e32 v26, v26, v27
	v_cndmask_b32_e64 v22, 0, v22, s[44:45]
	v_and_b32_e32 v27, 0x10000, v51
	v_add_u16_e32 v22, v22, v17
	v_cmp_gt_u32_e64 s[50:51], s50, v32
	v_and_b32_e32 v28, 0x10000, v32
	v_cmp_ne_u32_e64 s[48:49], 0, v27
	v_cndmask_b32_e64 v27, 0, v22, s[50:51]
	v_cmp_ne_u32_e64 s[50:51], 0, v28
	v_or_b32_e32 v28, v16, v8
	v_or_b32_e32 v29, v17, v9
	;; [unrolled: 1-line block ×7, first 2 shown]
	v_bfe_u32 v31, v31, 16, 1
	v_bfe_u32 v29, v29, 16, 1
	v_and_b32_sdwa v28, v28, v25 dst_sel:DWORD dst_unused:UNUSED_PAD src0_sel:WORD_1 src1_sel:DWORD
	v_or_b32_e32 v36, v10, v2
	v_bfe_u32 v37, v37, 16, 1
	v_bfe_u32 v35, v35, 16, 1
	v_and_b32_sdwa v34, v34, v25 dst_sel:DWORD dst_unused:UNUSED_PAD src0_sel:WORD_1 src1_sel:DWORD
	v_lshlrev_b16_e32 v31, 1, v31
	v_and_b32_sdwa v30, v30, v25 dst_sel:DWORD dst_unused:UNUSED_PAD src0_sel:WORD_1 src1_sel:DWORD
	v_lshlrev_b16_e32 v29, 3, v29
	v_lshlrev_b16_e32 v28, 2, v28
	;; [unrolled: 1-line block ×3, first 2 shown]
	v_and_b32_sdwa v36, v36, v25 dst_sel:DWORD dst_unused:UNUSED_PAD src0_sel:WORD_1 src1_sel:DWORD
	v_lshlrev_b16_e32 v35, 3, v35
	v_lshlrev_b16_e32 v34, 2, v34
	v_or_b32_e32 v30, v30, v31
	v_or_b32_e32 v28, v29, v28
	;; [unrolled: 1-line block ×6, first 2 shown]
	v_lshlrev_b16_e32 v28, 4, v28
	v_or_b32_e32 v28, v34, v28
	v_or_b32_e32 v26, v28, v26
	v_mov_b32_e32 v28, 0
	v_cmp_ne_u16_sdwa s[52:53], v26, v28 src0_sel:BYTE_0 src1_sel:DWORD
	v_and_b32_e32 v24, 0x10000, v50
	s_or_b64 s[50:51], s[50:51], s[52:53]
	v_cmp_ne_u32_e64 s[46:47], 0, v24
	s_or_b64 s[48:49], s[50:51], s[48:49]
	v_mov_b32_e32 v23, 0x10000
	v_and_b32_e32 v24, 0x10000, v1
	s_or_b64 s[46:47], s[48:49], s[46:47]
	v_cndmask_b32_e64 v28, v24, v23, s[46:47]
	v_add_u16_e32 v26, v27, v32
	v_mbcnt_hi_u32_b32 v23, -1, v33
	v_add_u16_e32 v22, v27, v32
	v_and_b32_e32 v27, 15, v23
	v_or_b32_e32 v26, v28, v26
	v_lshrrev_b32_e32 v24, 16, v28
	v_cmp_ne_u32_e64 s[46:47], 0, v27
	v_mov_b32_dpp v29, v26 row_shr:1 row_mask:0xf bank_mask:0xf
	s_and_saveexec_b64 s[48:49], s[46:47]
; %bb.227:
	v_cmp_eq_u32_e64 s[46:47], 0, v28
	v_and_b32_e32 v24, 0x10000, v28
	v_and_b32_sdwa v25, v29, v25 dst_sel:DWORD dst_unused:UNUSED_PAD src0_sel:WORD_1 src1_sel:DWORD
	v_cndmask_b32_e64 v26, 0, v29, s[46:47]
	v_cmp_ne_u32_e64 s[46:47], 0, v24
	v_add_u16_e32 v30, v26, v22
	v_add_u16_e32 v22, v26, v22
	v_cndmask_b32_e64 v24, v25, 1, s[46:47]
	v_lshlrev_b32_e32 v25, 16, v24
	v_or_b32_e32 v26, v25, v22
	v_mov_b32_e32 v22, v30
; %bb.228:
	s_or_b64 exec, exec, s[48:49]
	v_lshrrev_b32_e32 v25, 16, v26
	v_mov_b32_dpp v28, v26 row_shr:2 row_mask:0xf bank_mask:0xf
	v_cmp_lt_u32_e64 s[46:47], 1, v27
	s_and_saveexec_b64 s[48:49], s[46:47]
	s_cbranch_execz .LBB1609_230
; %bb.229:
	s_mov_b32 s46, 0x10000
	v_cmp_gt_u32_e64 s[46:47], s46, v26
	v_and_b32_e32 v24, 0x10000, v26
	v_mov_b32_e32 v26, 1
	v_cndmask_b32_e64 v25, 0, v28, s[46:47]
	v_and_b32_sdwa v26, v28, v26 dst_sel:DWORD dst_unused:UNUSED_PAD src0_sel:WORD_1 src1_sel:DWORD
	v_cmp_ne_u32_e64 s[46:47], 0, v24
	v_add_u16_e32 v29, v25, v22
	v_add_u16_e32 v22, v25, v22
	v_cndmask_b32_e64 v24, v26, 1, s[46:47]
	v_lshlrev_b32_e32 v26, 16, v24
	v_or_b32_e32 v26, v26, v22
	v_mov_b32_e32 v25, v24
	v_mov_b32_e32 v22, v29
.LBB1609_230:
	s_or_b64 exec, exec, s[48:49]
	v_mov_b32_dpp v28, v26 row_shr:4 row_mask:0xf bank_mask:0xf
	v_cmp_lt_u32_e64 s[46:47], 3, v27
	s_and_saveexec_b64 s[48:49], s[46:47]
	s_cbranch_execz .LBB1609_232
; %bb.231:
	v_cmp_eq_u16_e64 s[46:47], 0, v25
	v_and_b32_e32 v24, 1, v25
	v_mov_b32_e32 v25, 1
	v_cndmask_b32_e64 v26, 0, v28, s[46:47]
	v_and_b32_sdwa v25, v28, v25 dst_sel:DWORD dst_unused:UNUSED_PAD src0_sel:WORD_1 src1_sel:DWORD
	v_cmp_eq_u32_e64 s[46:47], 1, v24
	v_add_u16_e32 v29, v26, v22
	v_add_u16_e32 v22, v26, v22
	v_cndmask_b32_e64 v24, v25, 1, s[46:47]
	v_lshlrev_b32_e32 v25, 16, v24
	v_or_b32_e32 v26, v25, v22
	v_mov_b32_e32 v25, v24
	v_mov_b32_e32 v22, v29
.LBB1609_232:
	s_or_b64 exec, exec, s[48:49]
	v_mov_b32_dpp v28, v26 row_shr:8 row_mask:0xf bank_mask:0xf
	v_cmp_lt_u32_e64 s[46:47], 7, v27
	s_and_saveexec_b64 s[48:49], s[46:47]
	s_cbranch_execz .LBB1609_234
; %bb.233:
	v_cmp_eq_u16_e64 s[46:47], 0, v25
	v_and_b32_e32 v24, 1, v25
	v_mov_b32_e32 v25, 1
	v_cndmask_b32_e64 v26, 0, v28, s[46:47]
	v_and_b32_sdwa v25, v28, v25 dst_sel:DWORD dst_unused:UNUSED_PAD src0_sel:WORD_1 src1_sel:DWORD
	v_cmp_eq_u32_e64 s[46:47], 1, v24
	v_add_u16_e32 v27, v26, v22
	v_add_u16_e32 v22, v26, v22
	v_cndmask_b32_e64 v24, v25, 1, s[46:47]
	v_lshlrev_b32_e32 v25, 16, v24
	v_or_b32_e32 v26, v25, v22
	v_mov_b32_e32 v25, v24
	v_mov_b32_e32 v22, v27
.LBB1609_234:
	s_or_b64 exec, exec, s[48:49]
	v_and_b32_e32 v28, 16, v23
	v_mov_b32_dpp v27, v26 row_bcast:15 row_mask:0xf bank_mask:0xf
	v_cmp_ne_u32_e64 s[46:47], 0, v28
	s_and_saveexec_b64 s[48:49], s[46:47]
	s_cbranch_execz .LBB1609_236
; %bb.235:
	v_cmp_eq_u16_e64 s[46:47], 0, v25
	v_and_b32_e32 v24, 1, v25
	v_mov_b32_e32 v25, 1
	v_cndmask_b32_e64 v26, 0, v27, s[46:47]
	v_and_b32_sdwa v25, v27, v25 dst_sel:DWORD dst_unused:UNUSED_PAD src0_sel:WORD_1 src1_sel:DWORD
	v_cmp_eq_u32_e64 s[46:47], 1, v24
	v_add_u16_e32 v28, v26, v22
	v_add_u16_e32 v22, v26, v22
	v_cndmask_b32_e64 v24, v25, 1, s[46:47]
	v_lshlrev_b32_e32 v25, 16, v24
	v_or_b32_e32 v26, v25, v22
	v_mov_b32_e32 v25, v24
	v_mov_b32_e32 v22, v28
.LBB1609_236:
	s_or_b64 exec, exec, s[48:49]
	v_mov_b32_dpp v26, v26 row_bcast:31 row_mask:0xf bank_mask:0xf
	v_cmp_lt_u32_e64 s[46:47], 31, v23
	s_and_saveexec_b64 s[48:49], s[46:47]
; %bb.237:
	v_cmp_eq_u16_e64 s[46:47], 0, v25
	s_nop 1
	v_cndmask_b32_e64 v24, 0, v26, s[46:47]
	v_add_u16_e32 v22, v24, v22
	v_and_b32_e32 v24, 1, v25
	v_mov_b32_e32 v25, 1
	v_and_b32_sdwa v25, v26, v25 dst_sel:DWORD dst_unused:UNUSED_PAD src0_sel:WORD_1 src1_sel:DWORD
	v_cmp_eq_u32_e64 s[46:47], 1, v24
	s_nop 1
	v_cndmask_b32_e64 v24, v25, 1, s[46:47]
; %bb.238:
	s_or_b64 exec, exec, s[48:49]
	v_or_b32_e32 v26, 63, v0
	v_lshrrev_b32_e32 v25, 6, v0
	v_cmp_eq_u32_e64 s[46:47], v26, v0
	s_and_saveexec_b64 s[48:49], s[46:47]
	s_cbranch_execz .LBB1609_240
; %bb.239:
	v_lshlrev_b32_e32 v26, 2, v25
	ds_write_b16 v26, v22
	ds_write_b8 v26, v24 offset:2
.LBB1609_240:
	s_or_b64 exec, exec, s[48:49]
	v_cmp_gt_u32_e64 s[46:47], 4, v0
	s_waitcnt lgkmcnt(0)
	s_barrier
	s_and_saveexec_b64 s[48:49], s[46:47]
	s_cbranch_execz .LBB1609_246
; %bb.241:
	v_lshlrev_b32_e32 v26, 2, v0
	ds_read_b32 v27, v26
	v_and_b32_e32 v30, 3, v23
	v_cmp_ne_u32_e64 s[46:47], 0, v30
	s_waitcnt lgkmcnt(0)
	v_lshrrev_b32_e32 v29, 16, v27
	v_mov_b32_dpp v31, v27 row_shr:1 row_mask:0xf bank_mask:0xf
	v_mov_b32_e32 v28, v27
	s_and_saveexec_b64 s[50:51], s[46:47]
	s_cbranch_execz .LBB1609_243
; %bb.242:
	v_mov_b32_e32 v28, 0
	v_cmp_eq_u16_sdwa s[46:47], v29, v28 src0_sel:BYTE_0 src1_sel:DWORD
	v_and_b32_e32 v29, 0x10000, v27
	v_mov_b32_e32 v34, 1
	v_cndmask_b32_e64 v33, 0, v31, s[46:47]
	v_and_b32_sdwa v31, v31, v34 dst_sel:DWORD dst_unused:UNUSED_PAD src0_sel:WORD_1 src1_sel:DWORD
	v_cmp_ne_u32_e64 s[46:47], 0, v29
	v_and_b32_e32 v32, 0xff000000, v27
	v_add_u16_e32 v28, v33, v27
	v_cndmask_b32_e64 v29, v31, 1, s[46:47]
	v_lshlrev_b32_e32 v31, 16, v29
	v_add_u16_e32 v27, v33, v27
	v_or3_b32 v27, v31, v32, v27
.LBB1609_243:
	s_or_b64 exec, exec, s[50:51]
	s_nop 0
	v_mov_b32_dpp v31, v27 row_shr:2 row_mask:0xf bank_mask:0xf
	v_cmp_lt_u32_e64 s[46:47], 1, v30
	s_and_saveexec_b64 s[50:51], s[46:47]
; %bb.244:
	v_and_b32_e32 v29, 0xff0000, v27
	v_cmp_eq_u32_e64 s[46:47], 0, v29
	v_and_b32_e32 v27, 0x10000, v27
	s_nop 0
	v_cndmask_b32_e64 v29, 0, v31, s[46:47]
	v_add_u16_e32 v28, v29, v28
	v_mov_b32_e32 v29, 1
	v_and_b32_sdwa v29, v31, v29 dst_sel:DWORD dst_unused:UNUSED_PAD src0_sel:WORD_1 src1_sel:DWORD
	v_cmp_eq_u32_e64 s[46:47], 0, v27
	s_nop 1
	v_cndmask_b32_e64 v29, 1, v29, s[46:47]
; %bb.245:
	s_or_b64 exec, exec, s[50:51]
	ds_write_b16 v26, v28
	ds_write_b8 v26, v29 offset:2
.LBB1609_246:
	s_or_b64 exec, exec, s[48:49]
	v_cmp_lt_u32_e64 s[46:47], 63, v0
	v_mov_b32_e32 v27, 0
	s_waitcnt vmcnt(0)
	v_mov_b32_e32 v26, v47
	s_waitcnt lgkmcnt(0)
	s_barrier
	s_and_saveexec_b64 s[48:49], s[46:47]
	s_cbranch_execz .LBB1609_248
; %bb.247:
	v_lshl_add_u32 v25, v25, 2, -4
	ds_read_u8 v27, v25 offset:2
	ds_read_u16 v25, v25
	s_waitcnt lgkmcnt(1)
	v_cmp_eq_u16_e64 s[46:47], 0, v27
	s_nop 1
	v_cndmask_b32_e64 v26, 0, v47, s[46:47]
	s_waitcnt lgkmcnt(0)
	v_add_u16_e32 v26, v26, v25
.LBB1609_248:
	s_or_b64 exec, exec, s[48:49]
	v_cmp_eq_u16_e64 s[46:47], 0, v24
	v_and_b32_e32 v24, 1, v24
	v_lshlrev_b32_e32 v27, 16, v27
	v_cndmask_b32_e64 v25, 0, v26, s[46:47]
	v_mov_b32_e32 v28, 0x10000
	v_cmp_eq_u32_e64 s[46:47], 1, v24
	v_add_u16_e32 v22, v25, v22
	v_and_b32_e32 v25, 64, v23
	v_cndmask_b32_e64 v24, v27, v28, s[46:47]
	v_or_b32_e32 v22, v24, v22
	v_add_u32_e32 v24, -1, v23
	v_cmp_lt_i32_e64 s[46:47], v24, v25
	s_nop 1
	v_cndmask_b32_e64 v24, v24, v23, s[46:47]
	v_lshlrev_b32_e32 v24, 2, v24
	ds_bpermute_b32 v22, v24, v22
	v_cmp_eq_u32_e64 s[46:47], 0, v23
	v_and_b32_e32 v23, 0xff0000, v1
	v_cmp_eq_u32_e64 s[48:49], 0, v23
	s_waitcnt lgkmcnt(0)
	v_cndmask_b32_e64 v24, v22, v26, s[46:47]
	v_cmp_eq_u32_e64 s[46:47], 0, v0
	s_nop 1
	v_cndmask_b32_e64 v22, v24, v47, s[46:47]
	v_cndmask_b32_e64 v22, 0, v22, s[48:49]
	v_add_u16_e32 v22, v22, v1
	v_cndmask_b32_e32 v1, 0, v22, vcc
	v_add_u16_e32 v23, v1, v50
	v_cndmask_b32_e64 v1, 0, v23, s[2:3]
	v_add_u16_e32 v25, v1, v21
	v_cndmask_b32_e64 v1, 0, v25, s[4:5]
	;; [unrolled: 2-line block ×21, first 2 shown]
	s_and_saveexec_b64 s[2:3], s[46:47]
	s_cbranch_execz .LBB1609_250
; %bb.249:
	v_mov_b32_e32 v4, 0
	ds_read_u8 v2, v4 offset:14
	ds_read_u16 v5, v4 offset:12
	v_mov_b32_e32 v3, 2
	v_mov_b32_e32 v24, v47
	s_waitcnt lgkmcnt(1)
	v_cmp_eq_u32_e32 vcc, 0, v2
	v_lshlrev_b32_e32 v6, 16, v2
	s_nop 0
	v_cndmask_b32_e32 v2, 0, v47, vcc
	s_waitcnt lgkmcnt(0)
	v_add_u32_e32 v2, v2, v5
	v_or_b32_sdwa v2, v6, v2 dst_sel:DWORD dst_unused:UNUSED_PAD src0_sel:DWORD src1_sel:WORD_0
	global_store_dwordx2 v4, v[2:3], s[56:57] offset:512 sc1
.LBB1609_250:
	s_or_b64 exec, exec, s[2:3]
	v_add_u16_e32 v47, v1, v17
.LBB1609_251:
	s_add_u32 s2, s54, s64
	s_addc_u32 s3, s55, s65
	s_add_u32 s2, s2, s66
	v_mul_u32_u24_e32 v1, 24, v0
	s_addc_u32 s3, s3, s67
	s_and_b64 vcc, exec, s[0:1]
	v_lshlrev_b32_e32 v6, 1, v1
	v_lshlrev_b32_e32 v2, 1, v0
	s_cbranch_vccz .LBB1609_299
; %bb.252:
	s_mov_b32 s0, 0x5040100
	v_perm_b32 v11, v31, v29, s0
	v_perm_b32 v10, v27, v26, s0
	;; [unrolled: 1-line block ×4, first 2 shown]
	s_barrier
	ds_write_b128 v6, v[8:11]
	v_perm_b32 v11, v41, v39, s0
	v_perm_b32 v10, v37, v36, s0
	;; [unrolled: 1-line block ×4, first 2 shown]
	ds_write_b128 v6, v[8:11] offset:16
	v_perm_b32 v11, v47, v46, s0
	v_perm_b32 v10, v45, v44, s0
	;; [unrolled: 1-line block ×4, first 2 shown]
	s_movk_i32 s0, 0xffd2
	v_mad_i32_i24 v3, v0, s0, v6
	ds_write_b128 v6, v[8:11] offset:32
	s_waitcnt lgkmcnt(0)
	s_barrier
	ds_read_u16 v52, v3 offset:512
	ds_read_u16 v51, v3 offset:1024
	;; [unrolled: 1-line block ×23, first 2 shown]
	s_add_i32 s33, s33, s58
	v_mov_b32_e32 v3, 0
	v_lshl_add_u64 v[4:5], s[2:3], 0, v[2:3]
	v_cmp_gt_u32_e32 vcc, s33, v0
	s_and_saveexec_b64 s[0:1], vcc
	s_cbranch_execz .LBB1609_254
; %bb.253:
	v_mul_i32_i24_e32 v53, 0xffffffd2, v0
	v_add_u32_e32 v53, v6, v53
	ds_read_u16 v53, v53
	s_waitcnt lgkmcnt(0)
	flat_store_short v[4:5], v53
.LBB1609_254:
	s_or_b64 exec, exec, s[0:1]
	v_or_b32_e32 v53, 0x100, v0
	v_cmp_gt_u32_e32 vcc, s33, v53
	s_and_saveexec_b64 s[0:1], vcc
	s_cbranch_execz .LBB1609_256
; %bb.255:
	s_waitcnt lgkmcnt(0)
	flat_store_short v[4:5], v52 offset:512
.LBB1609_256:
	s_or_b64 exec, exec, s[0:1]
	s_waitcnt lgkmcnt(0)
	v_or_b32_e32 v52, 0x200, v0
	v_cmp_gt_u32_e32 vcc, s33, v52
	s_and_saveexec_b64 s[0:1], vcc
	s_cbranch_execz .LBB1609_258
; %bb.257:
	flat_store_short v[4:5], v51 offset:1024
.LBB1609_258:
	s_or_b64 exec, exec, s[0:1]
	v_or_b32_e32 v51, 0x300, v0
	v_cmp_gt_u32_e32 vcc, s33, v51
	s_and_saveexec_b64 s[0:1], vcc
	s_cbranch_execz .LBB1609_260
; %bb.259:
	flat_store_short v[4:5], v50 offset:1536
.LBB1609_260:
	s_or_b64 exec, exec, s[0:1]
	;; [unrolled: 8-line block ×6, first 2 shown]
	v_or_b32_e32 v32, 0x800, v0
	v_cmp_gt_u32_e32 vcc, s33, v32
	s_and_saveexec_b64 s[0:1], vcc
	s_cbranch_execz .LBB1609_270
; %bb.269:
	v_add_co_u32_e32 v32, vcc, 0x1000, v4
	s_nop 1
	v_addc_co_u32_e32 v33, vcc, 0, v5, vcc
	flat_store_short v[32:33], v21
.LBB1609_270:
	s_or_b64 exec, exec, s[0:1]
	v_or_b32_e32 v21, 0x900, v0
	v_cmp_gt_u32_e32 vcc, s33, v21
	s_and_saveexec_b64 s[0:1], vcc
	s_cbranch_execz .LBB1609_272
; %bb.271:
	v_add_co_u32_e32 v32, vcc, 0x1000, v4
	s_nop 1
	v_addc_co_u32_e32 v33, vcc, 0, v5, vcc
	flat_store_short v[32:33], v20 offset:512
.LBB1609_272:
	s_or_b64 exec, exec, s[0:1]
	v_or_b32_e32 v20, 0xa00, v0
	v_cmp_gt_u32_e32 vcc, s33, v20
	s_and_saveexec_b64 s[0:1], vcc
	s_cbranch_execz .LBB1609_274
; %bb.273:
	v_add_co_u32_e32 v20, vcc, 0x1000, v4
	s_nop 1
	v_addc_co_u32_e32 v21, vcc, 0, v5, vcc
	flat_store_short v[20:21], v19 offset:1024
.LBB1609_274:
	;; [unrolled: 11-line block ×7, first 2 shown]
	s_or_b64 exec, exec, s[0:1]
	v_or_b32_e32 v14, 0x1000, v0
	v_cmp_gt_u32_e32 vcc, s33, v14
	s_and_saveexec_b64 s[0:1], vcc
	s_cbranch_execz .LBB1609_286
; %bb.285:
	v_add_co_u32_e32 v14, vcc, 0x2000, v4
	s_nop 1
	v_addc_co_u32_e32 v15, vcc, 0, v5, vcc
	flat_store_short v[14:15], v13
.LBB1609_286:
	s_or_b64 exec, exec, s[0:1]
	v_or_b32_e32 v13, 0x1100, v0
	v_cmp_gt_u32_e32 vcc, s33, v13
	s_and_saveexec_b64 s[0:1], vcc
	s_cbranch_execz .LBB1609_288
; %bb.287:
	v_add_co_u32_e32 v14, vcc, 0x2000, v4
	s_nop 1
	v_addc_co_u32_e32 v15, vcc, 0, v5, vcc
	flat_store_short v[14:15], v12 offset:512
.LBB1609_288:
	s_or_b64 exec, exec, s[0:1]
	v_or_b32_e32 v12, 0x1200, v0
	v_cmp_gt_u32_e32 vcc, s33, v12
	s_and_saveexec_b64 s[0:1], vcc
	s_cbranch_execz .LBB1609_290
; %bb.289:
	v_add_co_u32_e32 v12, vcc, 0x2000, v4
	s_nop 1
	v_addc_co_u32_e32 v13, vcc, 0, v5, vcc
	flat_store_short v[12:13], v11 offset:1024
.LBB1609_290:
	;; [unrolled: 11-line block ×6, first 2 shown]
	s_or_b64 exec, exec, s[0:1]
	v_mov_b32_e32 v1, v3
	v_or_b32_e32 v3, 0x1700, v0
	v_cmp_gt_u32_e64 s[0:1], s33, v3
	s_branch .LBB1609_301
.LBB1609_299:
	s_mov_b64 s[0:1], 0
                                        ; implicit-def: $vgpr7
	s_cbranch_execz .LBB1609_301
; %bb.300:
	s_mov_b32 s4, 0x5040100
	v_perm_b32 v11, v31, v29, s4
	v_perm_b32 v10, v27, v26, s4
	;; [unrolled: 1-line block ×4, first 2 shown]
	s_waitcnt lgkmcnt(0)
	s_barrier
	ds_write_b128 v6, v[8:11]
	v_perm_b32 v11, v41, v39, s4
	v_perm_b32 v10, v37, v36, s4
	;; [unrolled: 1-line block ×4, first 2 shown]
	ds_write_b128 v6, v[8:11] offset:16
	v_perm_b32 v11, v47, v46, s4
	v_perm_b32 v10, v45, v44, s4
	;; [unrolled: 1-line block ×4, first 2 shown]
	s_movk_i32 s4, 0xffd2
	v_mov_b32_e32 v1, 0
	v_mad_i32_i24 v3, v0, s4, v6
	ds_write_b128 v6, v[8:11] offset:32
	s_waitcnt lgkmcnt(0)
	s_barrier
	ds_read_u16 v4, v3
	ds_read_u16 v5, v3 offset:512
	ds_read_u16 v6, v3 offset:1024
	;; [unrolled: 1-line block ×23, first 2 shown]
	v_mov_b32_e32 v3, v1
	v_lshl_add_u64 v[2:3], s[2:3], 0, v[2:3]
	s_movk_i32 s4, 0x1000
	s_waitcnt lgkmcnt(0)
	flat_store_short v[2:3], v4
	flat_store_short v[2:3], v5 offset:512
	flat_store_short v[2:3], v6 offset:1024
	;; [unrolled: 1-line block ×7, first 2 shown]
	v_add_co_u32_e32 v4, vcc, s4, v2
	s_or_b64 s[0:1], s[0:1], exec
	s_nop 0
	v_addc_co_u32_e32 v5, vcc, 0, v3, vcc
	v_add_co_u32_e32 v2, vcc, 0x2000, v2
	flat_store_short v[4:5], v13
	flat_store_short v[4:5], v14 offset:512
	flat_store_short v[4:5], v15 offset:1024
	;; [unrolled: 1-line block ×7, first 2 shown]
	v_addc_co_u32_e32 v3, vcc, 0, v3, vcc
	flat_store_short v[2:3], v21
	flat_store_short v[2:3], v22 offset:512
	flat_store_short v[2:3], v23 offset:1024
	flat_store_short v[2:3], v24 offset:1536
	flat_store_short v[2:3], v25 offset:2048
	flat_store_short v[2:3], v26 offset:2560
	flat_store_short v[2:3], v27 offset:3072
.LBB1609_301:
	s_and_saveexec_b64 s[4:5], s[0:1]
	s_cbranch_execz .LBB1609_303
; %bb.302:
	v_lshl_add_u64 v[0:1], v[0:1], 1, s[2:3]
	v_add_co_u32_e32 v0, vcc, 0x2000, v0
	s_nop 1
	v_addc_co_u32_e32 v1, vcc, 0, v1, vcc
	flat_store_short v[0:1], v7 offset:3584
	s_endpgm
.LBB1609_303:
	s_endpgm
	.section	.rodata,"a",@progbits
	.p2align	6, 0x0
	.amdhsa_kernel _ZN7rocprim17ROCPRIM_400000_NS6detail17trampoline_kernelINS0_14default_configENS1_27scan_by_key_config_selectorIisEEZZNS1_16scan_by_key_implILNS1_25lookback_scan_determinismE0ELb1ES3_N6thrust23THRUST_200600_302600_NS6detail15normal_iteratorINS9_10device_ptrIiEEEENSB_INSC_IsEEEESG_sNS9_4plusIvEENS9_8equal_toIvEEsEE10hipError_tPvRmT2_T3_T4_T5_mT6_T7_P12ihipStream_tbENKUlT_T0_E_clISt17integral_constantIbLb0EES11_EEDaSW_SX_EUlSW_E_NS1_11comp_targetILNS1_3genE5ELNS1_11target_archE942ELNS1_3gpuE9ELNS1_3repE0EEENS1_30default_config_static_selectorELNS0_4arch9wavefront6targetE1EEEvT1_
		.amdhsa_group_segment_fixed_size 26624
		.amdhsa_private_segment_fixed_size 0
		.amdhsa_kernarg_size 112
		.amdhsa_user_sgpr_count 2
		.amdhsa_user_sgpr_dispatch_ptr 0
		.amdhsa_user_sgpr_queue_ptr 0
		.amdhsa_user_sgpr_kernarg_segment_ptr 1
		.amdhsa_user_sgpr_dispatch_id 0
		.amdhsa_user_sgpr_kernarg_preload_length 0
		.amdhsa_user_sgpr_kernarg_preload_offset 0
		.amdhsa_user_sgpr_private_segment_size 0
		.amdhsa_uses_dynamic_stack 0
		.amdhsa_enable_private_segment 0
		.amdhsa_system_sgpr_workgroup_id_x 1
		.amdhsa_system_sgpr_workgroup_id_y 0
		.amdhsa_system_sgpr_workgroup_id_z 0
		.amdhsa_system_sgpr_workgroup_info 0
		.amdhsa_system_vgpr_workitem_id 0
		.amdhsa_next_free_vgpr 58
		.amdhsa_next_free_sgpr 92
		.amdhsa_accum_offset 60
		.amdhsa_reserve_vcc 1
		.amdhsa_float_round_mode_32 0
		.amdhsa_float_round_mode_16_64 0
		.amdhsa_float_denorm_mode_32 3
		.amdhsa_float_denorm_mode_16_64 3
		.amdhsa_dx10_clamp 1
		.amdhsa_ieee_mode 1
		.amdhsa_fp16_overflow 0
		.amdhsa_tg_split 0
		.amdhsa_exception_fp_ieee_invalid_op 0
		.amdhsa_exception_fp_denorm_src 0
		.amdhsa_exception_fp_ieee_div_zero 0
		.amdhsa_exception_fp_ieee_overflow 0
		.amdhsa_exception_fp_ieee_underflow 0
		.amdhsa_exception_fp_ieee_inexact 0
		.amdhsa_exception_int_div_zero 0
	.end_amdhsa_kernel
	.section	.text._ZN7rocprim17ROCPRIM_400000_NS6detail17trampoline_kernelINS0_14default_configENS1_27scan_by_key_config_selectorIisEEZZNS1_16scan_by_key_implILNS1_25lookback_scan_determinismE0ELb1ES3_N6thrust23THRUST_200600_302600_NS6detail15normal_iteratorINS9_10device_ptrIiEEEENSB_INSC_IsEEEESG_sNS9_4plusIvEENS9_8equal_toIvEEsEE10hipError_tPvRmT2_T3_T4_T5_mT6_T7_P12ihipStream_tbENKUlT_T0_E_clISt17integral_constantIbLb0EES11_EEDaSW_SX_EUlSW_E_NS1_11comp_targetILNS1_3genE5ELNS1_11target_archE942ELNS1_3gpuE9ELNS1_3repE0EEENS1_30default_config_static_selectorELNS0_4arch9wavefront6targetE1EEEvT1_,"axG",@progbits,_ZN7rocprim17ROCPRIM_400000_NS6detail17trampoline_kernelINS0_14default_configENS1_27scan_by_key_config_selectorIisEEZZNS1_16scan_by_key_implILNS1_25lookback_scan_determinismE0ELb1ES3_N6thrust23THRUST_200600_302600_NS6detail15normal_iteratorINS9_10device_ptrIiEEEENSB_INSC_IsEEEESG_sNS9_4plusIvEENS9_8equal_toIvEEsEE10hipError_tPvRmT2_T3_T4_T5_mT6_T7_P12ihipStream_tbENKUlT_T0_E_clISt17integral_constantIbLb0EES11_EEDaSW_SX_EUlSW_E_NS1_11comp_targetILNS1_3genE5ELNS1_11target_archE942ELNS1_3gpuE9ELNS1_3repE0EEENS1_30default_config_static_selectorELNS0_4arch9wavefront6targetE1EEEvT1_,comdat
.Lfunc_end1609:
	.size	_ZN7rocprim17ROCPRIM_400000_NS6detail17trampoline_kernelINS0_14default_configENS1_27scan_by_key_config_selectorIisEEZZNS1_16scan_by_key_implILNS1_25lookback_scan_determinismE0ELb1ES3_N6thrust23THRUST_200600_302600_NS6detail15normal_iteratorINS9_10device_ptrIiEEEENSB_INSC_IsEEEESG_sNS9_4plusIvEENS9_8equal_toIvEEsEE10hipError_tPvRmT2_T3_T4_T5_mT6_T7_P12ihipStream_tbENKUlT_T0_E_clISt17integral_constantIbLb0EES11_EEDaSW_SX_EUlSW_E_NS1_11comp_targetILNS1_3genE5ELNS1_11target_archE942ELNS1_3gpuE9ELNS1_3repE0EEENS1_30default_config_static_selectorELNS0_4arch9wavefront6targetE1EEEvT1_, .Lfunc_end1609-_ZN7rocprim17ROCPRIM_400000_NS6detail17trampoline_kernelINS0_14default_configENS1_27scan_by_key_config_selectorIisEEZZNS1_16scan_by_key_implILNS1_25lookback_scan_determinismE0ELb1ES3_N6thrust23THRUST_200600_302600_NS6detail15normal_iteratorINS9_10device_ptrIiEEEENSB_INSC_IsEEEESG_sNS9_4plusIvEENS9_8equal_toIvEEsEE10hipError_tPvRmT2_T3_T4_T5_mT6_T7_P12ihipStream_tbENKUlT_T0_E_clISt17integral_constantIbLb0EES11_EEDaSW_SX_EUlSW_E_NS1_11comp_targetILNS1_3genE5ELNS1_11target_archE942ELNS1_3gpuE9ELNS1_3repE0EEENS1_30default_config_static_selectorELNS0_4arch9wavefront6targetE1EEEvT1_
                                        ; -- End function
	.section	.AMDGPU.csdata,"",@progbits
; Kernel info:
; codeLenInByte = 16396
; NumSgprs: 98
; NumVgprs: 58
; NumAgprs: 0
; TotalNumVgprs: 58
; ScratchSize: 0
; MemoryBound: 0
; FloatMode: 240
; IeeeMode: 1
; LDSByteSize: 26624 bytes/workgroup (compile time only)
; SGPRBlocks: 12
; VGPRBlocks: 7
; NumSGPRsForWavesPerEU: 98
; NumVGPRsForWavesPerEU: 58
; AccumOffset: 60
; Occupancy: 2
; WaveLimiterHint : 1
; COMPUTE_PGM_RSRC2:SCRATCH_EN: 0
; COMPUTE_PGM_RSRC2:USER_SGPR: 2
; COMPUTE_PGM_RSRC2:TRAP_HANDLER: 0
; COMPUTE_PGM_RSRC2:TGID_X_EN: 1
; COMPUTE_PGM_RSRC2:TGID_Y_EN: 0
; COMPUTE_PGM_RSRC2:TGID_Z_EN: 0
; COMPUTE_PGM_RSRC2:TIDIG_COMP_CNT: 0
; COMPUTE_PGM_RSRC3_GFX90A:ACCUM_OFFSET: 14
; COMPUTE_PGM_RSRC3_GFX90A:TG_SPLIT: 0
	.section	.text._ZN7rocprim17ROCPRIM_400000_NS6detail17trampoline_kernelINS0_14default_configENS1_27scan_by_key_config_selectorIisEEZZNS1_16scan_by_key_implILNS1_25lookback_scan_determinismE0ELb1ES3_N6thrust23THRUST_200600_302600_NS6detail15normal_iteratorINS9_10device_ptrIiEEEENSB_INSC_IsEEEESG_sNS9_4plusIvEENS9_8equal_toIvEEsEE10hipError_tPvRmT2_T3_T4_T5_mT6_T7_P12ihipStream_tbENKUlT_T0_E_clISt17integral_constantIbLb0EES11_EEDaSW_SX_EUlSW_E_NS1_11comp_targetILNS1_3genE4ELNS1_11target_archE910ELNS1_3gpuE8ELNS1_3repE0EEENS1_30default_config_static_selectorELNS0_4arch9wavefront6targetE1EEEvT1_,"axG",@progbits,_ZN7rocprim17ROCPRIM_400000_NS6detail17trampoline_kernelINS0_14default_configENS1_27scan_by_key_config_selectorIisEEZZNS1_16scan_by_key_implILNS1_25lookback_scan_determinismE0ELb1ES3_N6thrust23THRUST_200600_302600_NS6detail15normal_iteratorINS9_10device_ptrIiEEEENSB_INSC_IsEEEESG_sNS9_4plusIvEENS9_8equal_toIvEEsEE10hipError_tPvRmT2_T3_T4_T5_mT6_T7_P12ihipStream_tbENKUlT_T0_E_clISt17integral_constantIbLb0EES11_EEDaSW_SX_EUlSW_E_NS1_11comp_targetILNS1_3genE4ELNS1_11target_archE910ELNS1_3gpuE8ELNS1_3repE0EEENS1_30default_config_static_selectorELNS0_4arch9wavefront6targetE1EEEvT1_,comdat
	.protected	_ZN7rocprim17ROCPRIM_400000_NS6detail17trampoline_kernelINS0_14default_configENS1_27scan_by_key_config_selectorIisEEZZNS1_16scan_by_key_implILNS1_25lookback_scan_determinismE0ELb1ES3_N6thrust23THRUST_200600_302600_NS6detail15normal_iteratorINS9_10device_ptrIiEEEENSB_INSC_IsEEEESG_sNS9_4plusIvEENS9_8equal_toIvEEsEE10hipError_tPvRmT2_T3_T4_T5_mT6_T7_P12ihipStream_tbENKUlT_T0_E_clISt17integral_constantIbLb0EES11_EEDaSW_SX_EUlSW_E_NS1_11comp_targetILNS1_3genE4ELNS1_11target_archE910ELNS1_3gpuE8ELNS1_3repE0EEENS1_30default_config_static_selectorELNS0_4arch9wavefront6targetE1EEEvT1_ ; -- Begin function _ZN7rocprim17ROCPRIM_400000_NS6detail17trampoline_kernelINS0_14default_configENS1_27scan_by_key_config_selectorIisEEZZNS1_16scan_by_key_implILNS1_25lookback_scan_determinismE0ELb1ES3_N6thrust23THRUST_200600_302600_NS6detail15normal_iteratorINS9_10device_ptrIiEEEENSB_INSC_IsEEEESG_sNS9_4plusIvEENS9_8equal_toIvEEsEE10hipError_tPvRmT2_T3_T4_T5_mT6_T7_P12ihipStream_tbENKUlT_T0_E_clISt17integral_constantIbLb0EES11_EEDaSW_SX_EUlSW_E_NS1_11comp_targetILNS1_3genE4ELNS1_11target_archE910ELNS1_3gpuE8ELNS1_3repE0EEENS1_30default_config_static_selectorELNS0_4arch9wavefront6targetE1EEEvT1_
	.globl	_ZN7rocprim17ROCPRIM_400000_NS6detail17trampoline_kernelINS0_14default_configENS1_27scan_by_key_config_selectorIisEEZZNS1_16scan_by_key_implILNS1_25lookback_scan_determinismE0ELb1ES3_N6thrust23THRUST_200600_302600_NS6detail15normal_iteratorINS9_10device_ptrIiEEEENSB_INSC_IsEEEESG_sNS9_4plusIvEENS9_8equal_toIvEEsEE10hipError_tPvRmT2_T3_T4_T5_mT6_T7_P12ihipStream_tbENKUlT_T0_E_clISt17integral_constantIbLb0EES11_EEDaSW_SX_EUlSW_E_NS1_11comp_targetILNS1_3genE4ELNS1_11target_archE910ELNS1_3gpuE8ELNS1_3repE0EEENS1_30default_config_static_selectorELNS0_4arch9wavefront6targetE1EEEvT1_
	.p2align	8
	.type	_ZN7rocprim17ROCPRIM_400000_NS6detail17trampoline_kernelINS0_14default_configENS1_27scan_by_key_config_selectorIisEEZZNS1_16scan_by_key_implILNS1_25lookback_scan_determinismE0ELb1ES3_N6thrust23THRUST_200600_302600_NS6detail15normal_iteratorINS9_10device_ptrIiEEEENSB_INSC_IsEEEESG_sNS9_4plusIvEENS9_8equal_toIvEEsEE10hipError_tPvRmT2_T3_T4_T5_mT6_T7_P12ihipStream_tbENKUlT_T0_E_clISt17integral_constantIbLb0EES11_EEDaSW_SX_EUlSW_E_NS1_11comp_targetILNS1_3genE4ELNS1_11target_archE910ELNS1_3gpuE8ELNS1_3repE0EEENS1_30default_config_static_selectorELNS0_4arch9wavefront6targetE1EEEvT1_,@function
_ZN7rocprim17ROCPRIM_400000_NS6detail17trampoline_kernelINS0_14default_configENS1_27scan_by_key_config_selectorIisEEZZNS1_16scan_by_key_implILNS1_25lookback_scan_determinismE0ELb1ES3_N6thrust23THRUST_200600_302600_NS6detail15normal_iteratorINS9_10device_ptrIiEEEENSB_INSC_IsEEEESG_sNS9_4plusIvEENS9_8equal_toIvEEsEE10hipError_tPvRmT2_T3_T4_T5_mT6_T7_P12ihipStream_tbENKUlT_T0_E_clISt17integral_constantIbLb0EES11_EEDaSW_SX_EUlSW_E_NS1_11comp_targetILNS1_3genE4ELNS1_11target_archE910ELNS1_3gpuE8ELNS1_3repE0EEENS1_30default_config_static_selectorELNS0_4arch9wavefront6targetE1EEEvT1_: ; @_ZN7rocprim17ROCPRIM_400000_NS6detail17trampoline_kernelINS0_14default_configENS1_27scan_by_key_config_selectorIisEEZZNS1_16scan_by_key_implILNS1_25lookback_scan_determinismE0ELb1ES3_N6thrust23THRUST_200600_302600_NS6detail15normal_iteratorINS9_10device_ptrIiEEEENSB_INSC_IsEEEESG_sNS9_4plusIvEENS9_8equal_toIvEEsEE10hipError_tPvRmT2_T3_T4_T5_mT6_T7_P12ihipStream_tbENKUlT_T0_E_clISt17integral_constantIbLb0EES11_EEDaSW_SX_EUlSW_E_NS1_11comp_targetILNS1_3genE4ELNS1_11target_archE910ELNS1_3gpuE8ELNS1_3repE0EEENS1_30default_config_static_selectorELNS0_4arch9wavefront6targetE1EEEvT1_
; %bb.0:
	.section	.rodata,"a",@progbits
	.p2align	6, 0x0
	.amdhsa_kernel _ZN7rocprim17ROCPRIM_400000_NS6detail17trampoline_kernelINS0_14default_configENS1_27scan_by_key_config_selectorIisEEZZNS1_16scan_by_key_implILNS1_25lookback_scan_determinismE0ELb1ES3_N6thrust23THRUST_200600_302600_NS6detail15normal_iteratorINS9_10device_ptrIiEEEENSB_INSC_IsEEEESG_sNS9_4plusIvEENS9_8equal_toIvEEsEE10hipError_tPvRmT2_T3_T4_T5_mT6_T7_P12ihipStream_tbENKUlT_T0_E_clISt17integral_constantIbLb0EES11_EEDaSW_SX_EUlSW_E_NS1_11comp_targetILNS1_3genE4ELNS1_11target_archE910ELNS1_3gpuE8ELNS1_3repE0EEENS1_30default_config_static_selectorELNS0_4arch9wavefront6targetE1EEEvT1_
		.amdhsa_group_segment_fixed_size 0
		.amdhsa_private_segment_fixed_size 0
		.amdhsa_kernarg_size 112
		.amdhsa_user_sgpr_count 2
		.amdhsa_user_sgpr_dispatch_ptr 0
		.amdhsa_user_sgpr_queue_ptr 0
		.amdhsa_user_sgpr_kernarg_segment_ptr 1
		.amdhsa_user_sgpr_dispatch_id 0
		.amdhsa_user_sgpr_kernarg_preload_length 0
		.amdhsa_user_sgpr_kernarg_preload_offset 0
		.amdhsa_user_sgpr_private_segment_size 0
		.amdhsa_uses_dynamic_stack 0
		.amdhsa_enable_private_segment 0
		.amdhsa_system_sgpr_workgroup_id_x 1
		.amdhsa_system_sgpr_workgroup_id_y 0
		.amdhsa_system_sgpr_workgroup_id_z 0
		.amdhsa_system_sgpr_workgroup_info 0
		.amdhsa_system_vgpr_workitem_id 0
		.amdhsa_next_free_vgpr 1
		.amdhsa_next_free_sgpr 0
		.amdhsa_accum_offset 4
		.amdhsa_reserve_vcc 0
		.amdhsa_float_round_mode_32 0
		.amdhsa_float_round_mode_16_64 0
		.amdhsa_float_denorm_mode_32 3
		.amdhsa_float_denorm_mode_16_64 3
		.amdhsa_dx10_clamp 1
		.amdhsa_ieee_mode 1
		.amdhsa_fp16_overflow 0
		.amdhsa_tg_split 0
		.amdhsa_exception_fp_ieee_invalid_op 0
		.amdhsa_exception_fp_denorm_src 0
		.amdhsa_exception_fp_ieee_div_zero 0
		.amdhsa_exception_fp_ieee_overflow 0
		.amdhsa_exception_fp_ieee_underflow 0
		.amdhsa_exception_fp_ieee_inexact 0
		.amdhsa_exception_int_div_zero 0
	.end_amdhsa_kernel
	.section	.text._ZN7rocprim17ROCPRIM_400000_NS6detail17trampoline_kernelINS0_14default_configENS1_27scan_by_key_config_selectorIisEEZZNS1_16scan_by_key_implILNS1_25lookback_scan_determinismE0ELb1ES3_N6thrust23THRUST_200600_302600_NS6detail15normal_iteratorINS9_10device_ptrIiEEEENSB_INSC_IsEEEESG_sNS9_4plusIvEENS9_8equal_toIvEEsEE10hipError_tPvRmT2_T3_T4_T5_mT6_T7_P12ihipStream_tbENKUlT_T0_E_clISt17integral_constantIbLb0EES11_EEDaSW_SX_EUlSW_E_NS1_11comp_targetILNS1_3genE4ELNS1_11target_archE910ELNS1_3gpuE8ELNS1_3repE0EEENS1_30default_config_static_selectorELNS0_4arch9wavefront6targetE1EEEvT1_,"axG",@progbits,_ZN7rocprim17ROCPRIM_400000_NS6detail17trampoline_kernelINS0_14default_configENS1_27scan_by_key_config_selectorIisEEZZNS1_16scan_by_key_implILNS1_25lookback_scan_determinismE0ELb1ES3_N6thrust23THRUST_200600_302600_NS6detail15normal_iteratorINS9_10device_ptrIiEEEENSB_INSC_IsEEEESG_sNS9_4plusIvEENS9_8equal_toIvEEsEE10hipError_tPvRmT2_T3_T4_T5_mT6_T7_P12ihipStream_tbENKUlT_T0_E_clISt17integral_constantIbLb0EES11_EEDaSW_SX_EUlSW_E_NS1_11comp_targetILNS1_3genE4ELNS1_11target_archE910ELNS1_3gpuE8ELNS1_3repE0EEENS1_30default_config_static_selectorELNS0_4arch9wavefront6targetE1EEEvT1_,comdat
.Lfunc_end1610:
	.size	_ZN7rocprim17ROCPRIM_400000_NS6detail17trampoline_kernelINS0_14default_configENS1_27scan_by_key_config_selectorIisEEZZNS1_16scan_by_key_implILNS1_25lookback_scan_determinismE0ELb1ES3_N6thrust23THRUST_200600_302600_NS6detail15normal_iteratorINS9_10device_ptrIiEEEENSB_INSC_IsEEEESG_sNS9_4plusIvEENS9_8equal_toIvEEsEE10hipError_tPvRmT2_T3_T4_T5_mT6_T7_P12ihipStream_tbENKUlT_T0_E_clISt17integral_constantIbLb0EES11_EEDaSW_SX_EUlSW_E_NS1_11comp_targetILNS1_3genE4ELNS1_11target_archE910ELNS1_3gpuE8ELNS1_3repE0EEENS1_30default_config_static_selectorELNS0_4arch9wavefront6targetE1EEEvT1_, .Lfunc_end1610-_ZN7rocprim17ROCPRIM_400000_NS6detail17trampoline_kernelINS0_14default_configENS1_27scan_by_key_config_selectorIisEEZZNS1_16scan_by_key_implILNS1_25lookback_scan_determinismE0ELb1ES3_N6thrust23THRUST_200600_302600_NS6detail15normal_iteratorINS9_10device_ptrIiEEEENSB_INSC_IsEEEESG_sNS9_4plusIvEENS9_8equal_toIvEEsEE10hipError_tPvRmT2_T3_T4_T5_mT6_T7_P12ihipStream_tbENKUlT_T0_E_clISt17integral_constantIbLb0EES11_EEDaSW_SX_EUlSW_E_NS1_11comp_targetILNS1_3genE4ELNS1_11target_archE910ELNS1_3gpuE8ELNS1_3repE0EEENS1_30default_config_static_selectorELNS0_4arch9wavefront6targetE1EEEvT1_
                                        ; -- End function
	.section	.AMDGPU.csdata,"",@progbits
; Kernel info:
; codeLenInByte = 0
; NumSgprs: 6
; NumVgprs: 0
; NumAgprs: 0
; TotalNumVgprs: 0
; ScratchSize: 0
; MemoryBound: 0
; FloatMode: 240
; IeeeMode: 1
; LDSByteSize: 0 bytes/workgroup (compile time only)
; SGPRBlocks: 0
; VGPRBlocks: 0
; NumSGPRsForWavesPerEU: 6
; NumVGPRsForWavesPerEU: 1
; AccumOffset: 4
; Occupancy: 8
; WaveLimiterHint : 0
; COMPUTE_PGM_RSRC2:SCRATCH_EN: 0
; COMPUTE_PGM_RSRC2:USER_SGPR: 2
; COMPUTE_PGM_RSRC2:TRAP_HANDLER: 0
; COMPUTE_PGM_RSRC2:TGID_X_EN: 1
; COMPUTE_PGM_RSRC2:TGID_Y_EN: 0
; COMPUTE_PGM_RSRC2:TGID_Z_EN: 0
; COMPUTE_PGM_RSRC2:TIDIG_COMP_CNT: 0
; COMPUTE_PGM_RSRC3_GFX90A:ACCUM_OFFSET: 0
; COMPUTE_PGM_RSRC3_GFX90A:TG_SPLIT: 0
	.section	.text._ZN7rocprim17ROCPRIM_400000_NS6detail17trampoline_kernelINS0_14default_configENS1_27scan_by_key_config_selectorIisEEZZNS1_16scan_by_key_implILNS1_25lookback_scan_determinismE0ELb1ES3_N6thrust23THRUST_200600_302600_NS6detail15normal_iteratorINS9_10device_ptrIiEEEENSB_INSC_IsEEEESG_sNS9_4plusIvEENS9_8equal_toIvEEsEE10hipError_tPvRmT2_T3_T4_T5_mT6_T7_P12ihipStream_tbENKUlT_T0_E_clISt17integral_constantIbLb0EES11_EEDaSW_SX_EUlSW_E_NS1_11comp_targetILNS1_3genE3ELNS1_11target_archE908ELNS1_3gpuE7ELNS1_3repE0EEENS1_30default_config_static_selectorELNS0_4arch9wavefront6targetE1EEEvT1_,"axG",@progbits,_ZN7rocprim17ROCPRIM_400000_NS6detail17trampoline_kernelINS0_14default_configENS1_27scan_by_key_config_selectorIisEEZZNS1_16scan_by_key_implILNS1_25lookback_scan_determinismE0ELb1ES3_N6thrust23THRUST_200600_302600_NS6detail15normal_iteratorINS9_10device_ptrIiEEEENSB_INSC_IsEEEESG_sNS9_4plusIvEENS9_8equal_toIvEEsEE10hipError_tPvRmT2_T3_T4_T5_mT6_T7_P12ihipStream_tbENKUlT_T0_E_clISt17integral_constantIbLb0EES11_EEDaSW_SX_EUlSW_E_NS1_11comp_targetILNS1_3genE3ELNS1_11target_archE908ELNS1_3gpuE7ELNS1_3repE0EEENS1_30default_config_static_selectorELNS0_4arch9wavefront6targetE1EEEvT1_,comdat
	.protected	_ZN7rocprim17ROCPRIM_400000_NS6detail17trampoline_kernelINS0_14default_configENS1_27scan_by_key_config_selectorIisEEZZNS1_16scan_by_key_implILNS1_25lookback_scan_determinismE0ELb1ES3_N6thrust23THRUST_200600_302600_NS6detail15normal_iteratorINS9_10device_ptrIiEEEENSB_INSC_IsEEEESG_sNS9_4plusIvEENS9_8equal_toIvEEsEE10hipError_tPvRmT2_T3_T4_T5_mT6_T7_P12ihipStream_tbENKUlT_T0_E_clISt17integral_constantIbLb0EES11_EEDaSW_SX_EUlSW_E_NS1_11comp_targetILNS1_3genE3ELNS1_11target_archE908ELNS1_3gpuE7ELNS1_3repE0EEENS1_30default_config_static_selectorELNS0_4arch9wavefront6targetE1EEEvT1_ ; -- Begin function _ZN7rocprim17ROCPRIM_400000_NS6detail17trampoline_kernelINS0_14default_configENS1_27scan_by_key_config_selectorIisEEZZNS1_16scan_by_key_implILNS1_25lookback_scan_determinismE0ELb1ES3_N6thrust23THRUST_200600_302600_NS6detail15normal_iteratorINS9_10device_ptrIiEEEENSB_INSC_IsEEEESG_sNS9_4plusIvEENS9_8equal_toIvEEsEE10hipError_tPvRmT2_T3_T4_T5_mT6_T7_P12ihipStream_tbENKUlT_T0_E_clISt17integral_constantIbLb0EES11_EEDaSW_SX_EUlSW_E_NS1_11comp_targetILNS1_3genE3ELNS1_11target_archE908ELNS1_3gpuE7ELNS1_3repE0EEENS1_30default_config_static_selectorELNS0_4arch9wavefront6targetE1EEEvT1_
	.globl	_ZN7rocprim17ROCPRIM_400000_NS6detail17trampoline_kernelINS0_14default_configENS1_27scan_by_key_config_selectorIisEEZZNS1_16scan_by_key_implILNS1_25lookback_scan_determinismE0ELb1ES3_N6thrust23THRUST_200600_302600_NS6detail15normal_iteratorINS9_10device_ptrIiEEEENSB_INSC_IsEEEESG_sNS9_4plusIvEENS9_8equal_toIvEEsEE10hipError_tPvRmT2_T3_T4_T5_mT6_T7_P12ihipStream_tbENKUlT_T0_E_clISt17integral_constantIbLb0EES11_EEDaSW_SX_EUlSW_E_NS1_11comp_targetILNS1_3genE3ELNS1_11target_archE908ELNS1_3gpuE7ELNS1_3repE0EEENS1_30default_config_static_selectorELNS0_4arch9wavefront6targetE1EEEvT1_
	.p2align	8
	.type	_ZN7rocprim17ROCPRIM_400000_NS6detail17trampoline_kernelINS0_14default_configENS1_27scan_by_key_config_selectorIisEEZZNS1_16scan_by_key_implILNS1_25lookback_scan_determinismE0ELb1ES3_N6thrust23THRUST_200600_302600_NS6detail15normal_iteratorINS9_10device_ptrIiEEEENSB_INSC_IsEEEESG_sNS9_4plusIvEENS9_8equal_toIvEEsEE10hipError_tPvRmT2_T3_T4_T5_mT6_T7_P12ihipStream_tbENKUlT_T0_E_clISt17integral_constantIbLb0EES11_EEDaSW_SX_EUlSW_E_NS1_11comp_targetILNS1_3genE3ELNS1_11target_archE908ELNS1_3gpuE7ELNS1_3repE0EEENS1_30default_config_static_selectorELNS0_4arch9wavefront6targetE1EEEvT1_,@function
_ZN7rocprim17ROCPRIM_400000_NS6detail17trampoline_kernelINS0_14default_configENS1_27scan_by_key_config_selectorIisEEZZNS1_16scan_by_key_implILNS1_25lookback_scan_determinismE0ELb1ES3_N6thrust23THRUST_200600_302600_NS6detail15normal_iteratorINS9_10device_ptrIiEEEENSB_INSC_IsEEEESG_sNS9_4plusIvEENS9_8equal_toIvEEsEE10hipError_tPvRmT2_T3_T4_T5_mT6_T7_P12ihipStream_tbENKUlT_T0_E_clISt17integral_constantIbLb0EES11_EEDaSW_SX_EUlSW_E_NS1_11comp_targetILNS1_3genE3ELNS1_11target_archE908ELNS1_3gpuE7ELNS1_3repE0EEENS1_30default_config_static_selectorELNS0_4arch9wavefront6targetE1EEEvT1_: ; @_ZN7rocprim17ROCPRIM_400000_NS6detail17trampoline_kernelINS0_14default_configENS1_27scan_by_key_config_selectorIisEEZZNS1_16scan_by_key_implILNS1_25lookback_scan_determinismE0ELb1ES3_N6thrust23THRUST_200600_302600_NS6detail15normal_iteratorINS9_10device_ptrIiEEEENSB_INSC_IsEEEESG_sNS9_4plusIvEENS9_8equal_toIvEEsEE10hipError_tPvRmT2_T3_T4_T5_mT6_T7_P12ihipStream_tbENKUlT_T0_E_clISt17integral_constantIbLb0EES11_EEDaSW_SX_EUlSW_E_NS1_11comp_targetILNS1_3genE3ELNS1_11target_archE908ELNS1_3gpuE7ELNS1_3repE0EEENS1_30default_config_static_selectorELNS0_4arch9wavefront6targetE1EEEvT1_
; %bb.0:
	.section	.rodata,"a",@progbits
	.p2align	6, 0x0
	.amdhsa_kernel _ZN7rocprim17ROCPRIM_400000_NS6detail17trampoline_kernelINS0_14default_configENS1_27scan_by_key_config_selectorIisEEZZNS1_16scan_by_key_implILNS1_25lookback_scan_determinismE0ELb1ES3_N6thrust23THRUST_200600_302600_NS6detail15normal_iteratorINS9_10device_ptrIiEEEENSB_INSC_IsEEEESG_sNS9_4plusIvEENS9_8equal_toIvEEsEE10hipError_tPvRmT2_T3_T4_T5_mT6_T7_P12ihipStream_tbENKUlT_T0_E_clISt17integral_constantIbLb0EES11_EEDaSW_SX_EUlSW_E_NS1_11comp_targetILNS1_3genE3ELNS1_11target_archE908ELNS1_3gpuE7ELNS1_3repE0EEENS1_30default_config_static_selectorELNS0_4arch9wavefront6targetE1EEEvT1_
		.amdhsa_group_segment_fixed_size 0
		.amdhsa_private_segment_fixed_size 0
		.amdhsa_kernarg_size 112
		.amdhsa_user_sgpr_count 2
		.amdhsa_user_sgpr_dispatch_ptr 0
		.amdhsa_user_sgpr_queue_ptr 0
		.amdhsa_user_sgpr_kernarg_segment_ptr 1
		.amdhsa_user_sgpr_dispatch_id 0
		.amdhsa_user_sgpr_kernarg_preload_length 0
		.amdhsa_user_sgpr_kernarg_preload_offset 0
		.amdhsa_user_sgpr_private_segment_size 0
		.amdhsa_uses_dynamic_stack 0
		.amdhsa_enable_private_segment 0
		.amdhsa_system_sgpr_workgroup_id_x 1
		.amdhsa_system_sgpr_workgroup_id_y 0
		.amdhsa_system_sgpr_workgroup_id_z 0
		.amdhsa_system_sgpr_workgroup_info 0
		.amdhsa_system_vgpr_workitem_id 0
		.amdhsa_next_free_vgpr 1
		.amdhsa_next_free_sgpr 0
		.amdhsa_accum_offset 4
		.amdhsa_reserve_vcc 0
		.amdhsa_float_round_mode_32 0
		.amdhsa_float_round_mode_16_64 0
		.amdhsa_float_denorm_mode_32 3
		.amdhsa_float_denorm_mode_16_64 3
		.amdhsa_dx10_clamp 1
		.amdhsa_ieee_mode 1
		.amdhsa_fp16_overflow 0
		.amdhsa_tg_split 0
		.amdhsa_exception_fp_ieee_invalid_op 0
		.amdhsa_exception_fp_denorm_src 0
		.amdhsa_exception_fp_ieee_div_zero 0
		.amdhsa_exception_fp_ieee_overflow 0
		.amdhsa_exception_fp_ieee_underflow 0
		.amdhsa_exception_fp_ieee_inexact 0
		.amdhsa_exception_int_div_zero 0
	.end_amdhsa_kernel
	.section	.text._ZN7rocprim17ROCPRIM_400000_NS6detail17trampoline_kernelINS0_14default_configENS1_27scan_by_key_config_selectorIisEEZZNS1_16scan_by_key_implILNS1_25lookback_scan_determinismE0ELb1ES3_N6thrust23THRUST_200600_302600_NS6detail15normal_iteratorINS9_10device_ptrIiEEEENSB_INSC_IsEEEESG_sNS9_4plusIvEENS9_8equal_toIvEEsEE10hipError_tPvRmT2_T3_T4_T5_mT6_T7_P12ihipStream_tbENKUlT_T0_E_clISt17integral_constantIbLb0EES11_EEDaSW_SX_EUlSW_E_NS1_11comp_targetILNS1_3genE3ELNS1_11target_archE908ELNS1_3gpuE7ELNS1_3repE0EEENS1_30default_config_static_selectorELNS0_4arch9wavefront6targetE1EEEvT1_,"axG",@progbits,_ZN7rocprim17ROCPRIM_400000_NS6detail17trampoline_kernelINS0_14default_configENS1_27scan_by_key_config_selectorIisEEZZNS1_16scan_by_key_implILNS1_25lookback_scan_determinismE0ELb1ES3_N6thrust23THRUST_200600_302600_NS6detail15normal_iteratorINS9_10device_ptrIiEEEENSB_INSC_IsEEEESG_sNS9_4plusIvEENS9_8equal_toIvEEsEE10hipError_tPvRmT2_T3_T4_T5_mT6_T7_P12ihipStream_tbENKUlT_T0_E_clISt17integral_constantIbLb0EES11_EEDaSW_SX_EUlSW_E_NS1_11comp_targetILNS1_3genE3ELNS1_11target_archE908ELNS1_3gpuE7ELNS1_3repE0EEENS1_30default_config_static_selectorELNS0_4arch9wavefront6targetE1EEEvT1_,comdat
.Lfunc_end1611:
	.size	_ZN7rocprim17ROCPRIM_400000_NS6detail17trampoline_kernelINS0_14default_configENS1_27scan_by_key_config_selectorIisEEZZNS1_16scan_by_key_implILNS1_25lookback_scan_determinismE0ELb1ES3_N6thrust23THRUST_200600_302600_NS6detail15normal_iteratorINS9_10device_ptrIiEEEENSB_INSC_IsEEEESG_sNS9_4plusIvEENS9_8equal_toIvEEsEE10hipError_tPvRmT2_T3_T4_T5_mT6_T7_P12ihipStream_tbENKUlT_T0_E_clISt17integral_constantIbLb0EES11_EEDaSW_SX_EUlSW_E_NS1_11comp_targetILNS1_3genE3ELNS1_11target_archE908ELNS1_3gpuE7ELNS1_3repE0EEENS1_30default_config_static_selectorELNS0_4arch9wavefront6targetE1EEEvT1_, .Lfunc_end1611-_ZN7rocprim17ROCPRIM_400000_NS6detail17trampoline_kernelINS0_14default_configENS1_27scan_by_key_config_selectorIisEEZZNS1_16scan_by_key_implILNS1_25lookback_scan_determinismE0ELb1ES3_N6thrust23THRUST_200600_302600_NS6detail15normal_iteratorINS9_10device_ptrIiEEEENSB_INSC_IsEEEESG_sNS9_4plusIvEENS9_8equal_toIvEEsEE10hipError_tPvRmT2_T3_T4_T5_mT6_T7_P12ihipStream_tbENKUlT_T0_E_clISt17integral_constantIbLb0EES11_EEDaSW_SX_EUlSW_E_NS1_11comp_targetILNS1_3genE3ELNS1_11target_archE908ELNS1_3gpuE7ELNS1_3repE0EEENS1_30default_config_static_selectorELNS0_4arch9wavefront6targetE1EEEvT1_
                                        ; -- End function
	.section	.AMDGPU.csdata,"",@progbits
; Kernel info:
; codeLenInByte = 0
; NumSgprs: 6
; NumVgprs: 0
; NumAgprs: 0
; TotalNumVgprs: 0
; ScratchSize: 0
; MemoryBound: 0
; FloatMode: 240
; IeeeMode: 1
; LDSByteSize: 0 bytes/workgroup (compile time only)
; SGPRBlocks: 0
; VGPRBlocks: 0
; NumSGPRsForWavesPerEU: 6
; NumVGPRsForWavesPerEU: 1
; AccumOffset: 4
; Occupancy: 8
; WaveLimiterHint : 0
; COMPUTE_PGM_RSRC2:SCRATCH_EN: 0
; COMPUTE_PGM_RSRC2:USER_SGPR: 2
; COMPUTE_PGM_RSRC2:TRAP_HANDLER: 0
; COMPUTE_PGM_RSRC2:TGID_X_EN: 1
; COMPUTE_PGM_RSRC2:TGID_Y_EN: 0
; COMPUTE_PGM_RSRC2:TGID_Z_EN: 0
; COMPUTE_PGM_RSRC2:TIDIG_COMP_CNT: 0
; COMPUTE_PGM_RSRC3_GFX90A:ACCUM_OFFSET: 0
; COMPUTE_PGM_RSRC3_GFX90A:TG_SPLIT: 0
	.section	.text._ZN7rocprim17ROCPRIM_400000_NS6detail17trampoline_kernelINS0_14default_configENS1_27scan_by_key_config_selectorIisEEZZNS1_16scan_by_key_implILNS1_25lookback_scan_determinismE0ELb1ES3_N6thrust23THRUST_200600_302600_NS6detail15normal_iteratorINS9_10device_ptrIiEEEENSB_INSC_IsEEEESG_sNS9_4plusIvEENS9_8equal_toIvEEsEE10hipError_tPvRmT2_T3_T4_T5_mT6_T7_P12ihipStream_tbENKUlT_T0_E_clISt17integral_constantIbLb0EES11_EEDaSW_SX_EUlSW_E_NS1_11comp_targetILNS1_3genE2ELNS1_11target_archE906ELNS1_3gpuE6ELNS1_3repE0EEENS1_30default_config_static_selectorELNS0_4arch9wavefront6targetE1EEEvT1_,"axG",@progbits,_ZN7rocprim17ROCPRIM_400000_NS6detail17trampoline_kernelINS0_14default_configENS1_27scan_by_key_config_selectorIisEEZZNS1_16scan_by_key_implILNS1_25lookback_scan_determinismE0ELb1ES3_N6thrust23THRUST_200600_302600_NS6detail15normal_iteratorINS9_10device_ptrIiEEEENSB_INSC_IsEEEESG_sNS9_4plusIvEENS9_8equal_toIvEEsEE10hipError_tPvRmT2_T3_T4_T5_mT6_T7_P12ihipStream_tbENKUlT_T0_E_clISt17integral_constantIbLb0EES11_EEDaSW_SX_EUlSW_E_NS1_11comp_targetILNS1_3genE2ELNS1_11target_archE906ELNS1_3gpuE6ELNS1_3repE0EEENS1_30default_config_static_selectorELNS0_4arch9wavefront6targetE1EEEvT1_,comdat
	.protected	_ZN7rocprim17ROCPRIM_400000_NS6detail17trampoline_kernelINS0_14default_configENS1_27scan_by_key_config_selectorIisEEZZNS1_16scan_by_key_implILNS1_25lookback_scan_determinismE0ELb1ES3_N6thrust23THRUST_200600_302600_NS6detail15normal_iteratorINS9_10device_ptrIiEEEENSB_INSC_IsEEEESG_sNS9_4plusIvEENS9_8equal_toIvEEsEE10hipError_tPvRmT2_T3_T4_T5_mT6_T7_P12ihipStream_tbENKUlT_T0_E_clISt17integral_constantIbLb0EES11_EEDaSW_SX_EUlSW_E_NS1_11comp_targetILNS1_3genE2ELNS1_11target_archE906ELNS1_3gpuE6ELNS1_3repE0EEENS1_30default_config_static_selectorELNS0_4arch9wavefront6targetE1EEEvT1_ ; -- Begin function _ZN7rocprim17ROCPRIM_400000_NS6detail17trampoline_kernelINS0_14default_configENS1_27scan_by_key_config_selectorIisEEZZNS1_16scan_by_key_implILNS1_25lookback_scan_determinismE0ELb1ES3_N6thrust23THRUST_200600_302600_NS6detail15normal_iteratorINS9_10device_ptrIiEEEENSB_INSC_IsEEEESG_sNS9_4plusIvEENS9_8equal_toIvEEsEE10hipError_tPvRmT2_T3_T4_T5_mT6_T7_P12ihipStream_tbENKUlT_T0_E_clISt17integral_constantIbLb0EES11_EEDaSW_SX_EUlSW_E_NS1_11comp_targetILNS1_3genE2ELNS1_11target_archE906ELNS1_3gpuE6ELNS1_3repE0EEENS1_30default_config_static_selectorELNS0_4arch9wavefront6targetE1EEEvT1_
	.globl	_ZN7rocprim17ROCPRIM_400000_NS6detail17trampoline_kernelINS0_14default_configENS1_27scan_by_key_config_selectorIisEEZZNS1_16scan_by_key_implILNS1_25lookback_scan_determinismE0ELb1ES3_N6thrust23THRUST_200600_302600_NS6detail15normal_iteratorINS9_10device_ptrIiEEEENSB_INSC_IsEEEESG_sNS9_4plusIvEENS9_8equal_toIvEEsEE10hipError_tPvRmT2_T3_T4_T5_mT6_T7_P12ihipStream_tbENKUlT_T0_E_clISt17integral_constantIbLb0EES11_EEDaSW_SX_EUlSW_E_NS1_11comp_targetILNS1_3genE2ELNS1_11target_archE906ELNS1_3gpuE6ELNS1_3repE0EEENS1_30default_config_static_selectorELNS0_4arch9wavefront6targetE1EEEvT1_
	.p2align	8
	.type	_ZN7rocprim17ROCPRIM_400000_NS6detail17trampoline_kernelINS0_14default_configENS1_27scan_by_key_config_selectorIisEEZZNS1_16scan_by_key_implILNS1_25lookback_scan_determinismE0ELb1ES3_N6thrust23THRUST_200600_302600_NS6detail15normal_iteratorINS9_10device_ptrIiEEEENSB_INSC_IsEEEESG_sNS9_4plusIvEENS9_8equal_toIvEEsEE10hipError_tPvRmT2_T3_T4_T5_mT6_T7_P12ihipStream_tbENKUlT_T0_E_clISt17integral_constantIbLb0EES11_EEDaSW_SX_EUlSW_E_NS1_11comp_targetILNS1_3genE2ELNS1_11target_archE906ELNS1_3gpuE6ELNS1_3repE0EEENS1_30default_config_static_selectorELNS0_4arch9wavefront6targetE1EEEvT1_,@function
_ZN7rocprim17ROCPRIM_400000_NS6detail17trampoline_kernelINS0_14default_configENS1_27scan_by_key_config_selectorIisEEZZNS1_16scan_by_key_implILNS1_25lookback_scan_determinismE0ELb1ES3_N6thrust23THRUST_200600_302600_NS6detail15normal_iteratorINS9_10device_ptrIiEEEENSB_INSC_IsEEEESG_sNS9_4plusIvEENS9_8equal_toIvEEsEE10hipError_tPvRmT2_T3_T4_T5_mT6_T7_P12ihipStream_tbENKUlT_T0_E_clISt17integral_constantIbLb0EES11_EEDaSW_SX_EUlSW_E_NS1_11comp_targetILNS1_3genE2ELNS1_11target_archE906ELNS1_3gpuE6ELNS1_3repE0EEENS1_30default_config_static_selectorELNS0_4arch9wavefront6targetE1EEEvT1_: ; @_ZN7rocprim17ROCPRIM_400000_NS6detail17trampoline_kernelINS0_14default_configENS1_27scan_by_key_config_selectorIisEEZZNS1_16scan_by_key_implILNS1_25lookback_scan_determinismE0ELb1ES3_N6thrust23THRUST_200600_302600_NS6detail15normal_iteratorINS9_10device_ptrIiEEEENSB_INSC_IsEEEESG_sNS9_4plusIvEENS9_8equal_toIvEEsEE10hipError_tPvRmT2_T3_T4_T5_mT6_T7_P12ihipStream_tbENKUlT_T0_E_clISt17integral_constantIbLb0EES11_EEDaSW_SX_EUlSW_E_NS1_11comp_targetILNS1_3genE2ELNS1_11target_archE906ELNS1_3gpuE6ELNS1_3repE0EEENS1_30default_config_static_selectorELNS0_4arch9wavefront6targetE1EEEvT1_
; %bb.0:
	.section	.rodata,"a",@progbits
	.p2align	6, 0x0
	.amdhsa_kernel _ZN7rocprim17ROCPRIM_400000_NS6detail17trampoline_kernelINS0_14default_configENS1_27scan_by_key_config_selectorIisEEZZNS1_16scan_by_key_implILNS1_25lookback_scan_determinismE0ELb1ES3_N6thrust23THRUST_200600_302600_NS6detail15normal_iteratorINS9_10device_ptrIiEEEENSB_INSC_IsEEEESG_sNS9_4plusIvEENS9_8equal_toIvEEsEE10hipError_tPvRmT2_T3_T4_T5_mT6_T7_P12ihipStream_tbENKUlT_T0_E_clISt17integral_constantIbLb0EES11_EEDaSW_SX_EUlSW_E_NS1_11comp_targetILNS1_3genE2ELNS1_11target_archE906ELNS1_3gpuE6ELNS1_3repE0EEENS1_30default_config_static_selectorELNS0_4arch9wavefront6targetE1EEEvT1_
		.amdhsa_group_segment_fixed_size 0
		.amdhsa_private_segment_fixed_size 0
		.amdhsa_kernarg_size 112
		.amdhsa_user_sgpr_count 2
		.amdhsa_user_sgpr_dispatch_ptr 0
		.amdhsa_user_sgpr_queue_ptr 0
		.amdhsa_user_sgpr_kernarg_segment_ptr 1
		.amdhsa_user_sgpr_dispatch_id 0
		.amdhsa_user_sgpr_kernarg_preload_length 0
		.amdhsa_user_sgpr_kernarg_preload_offset 0
		.amdhsa_user_sgpr_private_segment_size 0
		.amdhsa_uses_dynamic_stack 0
		.amdhsa_enable_private_segment 0
		.amdhsa_system_sgpr_workgroup_id_x 1
		.amdhsa_system_sgpr_workgroup_id_y 0
		.amdhsa_system_sgpr_workgroup_id_z 0
		.amdhsa_system_sgpr_workgroup_info 0
		.amdhsa_system_vgpr_workitem_id 0
		.amdhsa_next_free_vgpr 1
		.amdhsa_next_free_sgpr 0
		.amdhsa_accum_offset 4
		.amdhsa_reserve_vcc 0
		.amdhsa_float_round_mode_32 0
		.amdhsa_float_round_mode_16_64 0
		.amdhsa_float_denorm_mode_32 3
		.amdhsa_float_denorm_mode_16_64 3
		.amdhsa_dx10_clamp 1
		.amdhsa_ieee_mode 1
		.amdhsa_fp16_overflow 0
		.amdhsa_tg_split 0
		.amdhsa_exception_fp_ieee_invalid_op 0
		.amdhsa_exception_fp_denorm_src 0
		.amdhsa_exception_fp_ieee_div_zero 0
		.amdhsa_exception_fp_ieee_overflow 0
		.amdhsa_exception_fp_ieee_underflow 0
		.amdhsa_exception_fp_ieee_inexact 0
		.amdhsa_exception_int_div_zero 0
	.end_amdhsa_kernel
	.section	.text._ZN7rocprim17ROCPRIM_400000_NS6detail17trampoline_kernelINS0_14default_configENS1_27scan_by_key_config_selectorIisEEZZNS1_16scan_by_key_implILNS1_25lookback_scan_determinismE0ELb1ES3_N6thrust23THRUST_200600_302600_NS6detail15normal_iteratorINS9_10device_ptrIiEEEENSB_INSC_IsEEEESG_sNS9_4plusIvEENS9_8equal_toIvEEsEE10hipError_tPvRmT2_T3_T4_T5_mT6_T7_P12ihipStream_tbENKUlT_T0_E_clISt17integral_constantIbLb0EES11_EEDaSW_SX_EUlSW_E_NS1_11comp_targetILNS1_3genE2ELNS1_11target_archE906ELNS1_3gpuE6ELNS1_3repE0EEENS1_30default_config_static_selectorELNS0_4arch9wavefront6targetE1EEEvT1_,"axG",@progbits,_ZN7rocprim17ROCPRIM_400000_NS6detail17trampoline_kernelINS0_14default_configENS1_27scan_by_key_config_selectorIisEEZZNS1_16scan_by_key_implILNS1_25lookback_scan_determinismE0ELb1ES3_N6thrust23THRUST_200600_302600_NS6detail15normal_iteratorINS9_10device_ptrIiEEEENSB_INSC_IsEEEESG_sNS9_4plusIvEENS9_8equal_toIvEEsEE10hipError_tPvRmT2_T3_T4_T5_mT6_T7_P12ihipStream_tbENKUlT_T0_E_clISt17integral_constantIbLb0EES11_EEDaSW_SX_EUlSW_E_NS1_11comp_targetILNS1_3genE2ELNS1_11target_archE906ELNS1_3gpuE6ELNS1_3repE0EEENS1_30default_config_static_selectorELNS0_4arch9wavefront6targetE1EEEvT1_,comdat
.Lfunc_end1612:
	.size	_ZN7rocprim17ROCPRIM_400000_NS6detail17trampoline_kernelINS0_14default_configENS1_27scan_by_key_config_selectorIisEEZZNS1_16scan_by_key_implILNS1_25lookback_scan_determinismE0ELb1ES3_N6thrust23THRUST_200600_302600_NS6detail15normal_iteratorINS9_10device_ptrIiEEEENSB_INSC_IsEEEESG_sNS9_4plusIvEENS9_8equal_toIvEEsEE10hipError_tPvRmT2_T3_T4_T5_mT6_T7_P12ihipStream_tbENKUlT_T0_E_clISt17integral_constantIbLb0EES11_EEDaSW_SX_EUlSW_E_NS1_11comp_targetILNS1_3genE2ELNS1_11target_archE906ELNS1_3gpuE6ELNS1_3repE0EEENS1_30default_config_static_selectorELNS0_4arch9wavefront6targetE1EEEvT1_, .Lfunc_end1612-_ZN7rocprim17ROCPRIM_400000_NS6detail17trampoline_kernelINS0_14default_configENS1_27scan_by_key_config_selectorIisEEZZNS1_16scan_by_key_implILNS1_25lookback_scan_determinismE0ELb1ES3_N6thrust23THRUST_200600_302600_NS6detail15normal_iteratorINS9_10device_ptrIiEEEENSB_INSC_IsEEEESG_sNS9_4plusIvEENS9_8equal_toIvEEsEE10hipError_tPvRmT2_T3_T4_T5_mT6_T7_P12ihipStream_tbENKUlT_T0_E_clISt17integral_constantIbLb0EES11_EEDaSW_SX_EUlSW_E_NS1_11comp_targetILNS1_3genE2ELNS1_11target_archE906ELNS1_3gpuE6ELNS1_3repE0EEENS1_30default_config_static_selectorELNS0_4arch9wavefront6targetE1EEEvT1_
                                        ; -- End function
	.section	.AMDGPU.csdata,"",@progbits
; Kernel info:
; codeLenInByte = 0
; NumSgprs: 6
; NumVgprs: 0
; NumAgprs: 0
; TotalNumVgprs: 0
; ScratchSize: 0
; MemoryBound: 0
; FloatMode: 240
; IeeeMode: 1
; LDSByteSize: 0 bytes/workgroup (compile time only)
; SGPRBlocks: 0
; VGPRBlocks: 0
; NumSGPRsForWavesPerEU: 6
; NumVGPRsForWavesPerEU: 1
; AccumOffset: 4
; Occupancy: 8
; WaveLimiterHint : 0
; COMPUTE_PGM_RSRC2:SCRATCH_EN: 0
; COMPUTE_PGM_RSRC2:USER_SGPR: 2
; COMPUTE_PGM_RSRC2:TRAP_HANDLER: 0
; COMPUTE_PGM_RSRC2:TGID_X_EN: 1
; COMPUTE_PGM_RSRC2:TGID_Y_EN: 0
; COMPUTE_PGM_RSRC2:TGID_Z_EN: 0
; COMPUTE_PGM_RSRC2:TIDIG_COMP_CNT: 0
; COMPUTE_PGM_RSRC3_GFX90A:ACCUM_OFFSET: 0
; COMPUTE_PGM_RSRC3_GFX90A:TG_SPLIT: 0
	.section	.text._ZN7rocprim17ROCPRIM_400000_NS6detail17trampoline_kernelINS0_14default_configENS1_27scan_by_key_config_selectorIisEEZZNS1_16scan_by_key_implILNS1_25lookback_scan_determinismE0ELb1ES3_N6thrust23THRUST_200600_302600_NS6detail15normal_iteratorINS9_10device_ptrIiEEEENSB_INSC_IsEEEESG_sNS9_4plusIvEENS9_8equal_toIvEEsEE10hipError_tPvRmT2_T3_T4_T5_mT6_T7_P12ihipStream_tbENKUlT_T0_E_clISt17integral_constantIbLb0EES11_EEDaSW_SX_EUlSW_E_NS1_11comp_targetILNS1_3genE10ELNS1_11target_archE1200ELNS1_3gpuE4ELNS1_3repE0EEENS1_30default_config_static_selectorELNS0_4arch9wavefront6targetE1EEEvT1_,"axG",@progbits,_ZN7rocprim17ROCPRIM_400000_NS6detail17trampoline_kernelINS0_14default_configENS1_27scan_by_key_config_selectorIisEEZZNS1_16scan_by_key_implILNS1_25lookback_scan_determinismE0ELb1ES3_N6thrust23THRUST_200600_302600_NS6detail15normal_iteratorINS9_10device_ptrIiEEEENSB_INSC_IsEEEESG_sNS9_4plusIvEENS9_8equal_toIvEEsEE10hipError_tPvRmT2_T3_T4_T5_mT6_T7_P12ihipStream_tbENKUlT_T0_E_clISt17integral_constantIbLb0EES11_EEDaSW_SX_EUlSW_E_NS1_11comp_targetILNS1_3genE10ELNS1_11target_archE1200ELNS1_3gpuE4ELNS1_3repE0EEENS1_30default_config_static_selectorELNS0_4arch9wavefront6targetE1EEEvT1_,comdat
	.protected	_ZN7rocprim17ROCPRIM_400000_NS6detail17trampoline_kernelINS0_14default_configENS1_27scan_by_key_config_selectorIisEEZZNS1_16scan_by_key_implILNS1_25lookback_scan_determinismE0ELb1ES3_N6thrust23THRUST_200600_302600_NS6detail15normal_iteratorINS9_10device_ptrIiEEEENSB_INSC_IsEEEESG_sNS9_4plusIvEENS9_8equal_toIvEEsEE10hipError_tPvRmT2_T3_T4_T5_mT6_T7_P12ihipStream_tbENKUlT_T0_E_clISt17integral_constantIbLb0EES11_EEDaSW_SX_EUlSW_E_NS1_11comp_targetILNS1_3genE10ELNS1_11target_archE1200ELNS1_3gpuE4ELNS1_3repE0EEENS1_30default_config_static_selectorELNS0_4arch9wavefront6targetE1EEEvT1_ ; -- Begin function _ZN7rocprim17ROCPRIM_400000_NS6detail17trampoline_kernelINS0_14default_configENS1_27scan_by_key_config_selectorIisEEZZNS1_16scan_by_key_implILNS1_25lookback_scan_determinismE0ELb1ES3_N6thrust23THRUST_200600_302600_NS6detail15normal_iteratorINS9_10device_ptrIiEEEENSB_INSC_IsEEEESG_sNS9_4plusIvEENS9_8equal_toIvEEsEE10hipError_tPvRmT2_T3_T4_T5_mT6_T7_P12ihipStream_tbENKUlT_T0_E_clISt17integral_constantIbLb0EES11_EEDaSW_SX_EUlSW_E_NS1_11comp_targetILNS1_3genE10ELNS1_11target_archE1200ELNS1_3gpuE4ELNS1_3repE0EEENS1_30default_config_static_selectorELNS0_4arch9wavefront6targetE1EEEvT1_
	.globl	_ZN7rocprim17ROCPRIM_400000_NS6detail17trampoline_kernelINS0_14default_configENS1_27scan_by_key_config_selectorIisEEZZNS1_16scan_by_key_implILNS1_25lookback_scan_determinismE0ELb1ES3_N6thrust23THRUST_200600_302600_NS6detail15normal_iteratorINS9_10device_ptrIiEEEENSB_INSC_IsEEEESG_sNS9_4plusIvEENS9_8equal_toIvEEsEE10hipError_tPvRmT2_T3_T4_T5_mT6_T7_P12ihipStream_tbENKUlT_T0_E_clISt17integral_constantIbLb0EES11_EEDaSW_SX_EUlSW_E_NS1_11comp_targetILNS1_3genE10ELNS1_11target_archE1200ELNS1_3gpuE4ELNS1_3repE0EEENS1_30default_config_static_selectorELNS0_4arch9wavefront6targetE1EEEvT1_
	.p2align	8
	.type	_ZN7rocprim17ROCPRIM_400000_NS6detail17trampoline_kernelINS0_14default_configENS1_27scan_by_key_config_selectorIisEEZZNS1_16scan_by_key_implILNS1_25lookback_scan_determinismE0ELb1ES3_N6thrust23THRUST_200600_302600_NS6detail15normal_iteratorINS9_10device_ptrIiEEEENSB_INSC_IsEEEESG_sNS9_4plusIvEENS9_8equal_toIvEEsEE10hipError_tPvRmT2_T3_T4_T5_mT6_T7_P12ihipStream_tbENKUlT_T0_E_clISt17integral_constantIbLb0EES11_EEDaSW_SX_EUlSW_E_NS1_11comp_targetILNS1_3genE10ELNS1_11target_archE1200ELNS1_3gpuE4ELNS1_3repE0EEENS1_30default_config_static_selectorELNS0_4arch9wavefront6targetE1EEEvT1_,@function
_ZN7rocprim17ROCPRIM_400000_NS6detail17trampoline_kernelINS0_14default_configENS1_27scan_by_key_config_selectorIisEEZZNS1_16scan_by_key_implILNS1_25lookback_scan_determinismE0ELb1ES3_N6thrust23THRUST_200600_302600_NS6detail15normal_iteratorINS9_10device_ptrIiEEEENSB_INSC_IsEEEESG_sNS9_4plusIvEENS9_8equal_toIvEEsEE10hipError_tPvRmT2_T3_T4_T5_mT6_T7_P12ihipStream_tbENKUlT_T0_E_clISt17integral_constantIbLb0EES11_EEDaSW_SX_EUlSW_E_NS1_11comp_targetILNS1_3genE10ELNS1_11target_archE1200ELNS1_3gpuE4ELNS1_3repE0EEENS1_30default_config_static_selectorELNS0_4arch9wavefront6targetE1EEEvT1_: ; @_ZN7rocprim17ROCPRIM_400000_NS6detail17trampoline_kernelINS0_14default_configENS1_27scan_by_key_config_selectorIisEEZZNS1_16scan_by_key_implILNS1_25lookback_scan_determinismE0ELb1ES3_N6thrust23THRUST_200600_302600_NS6detail15normal_iteratorINS9_10device_ptrIiEEEENSB_INSC_IsEEEESG_sNS9_4plusIvEENS9_8equal_toIvEEsEE10hipError_tPvRmT2_T3_T4_T5_mT6_T7_P12ihipStream_tbENKUlT_T0_E_clISt17integral_constantIbLb0EES11_EEDaSW_SX_EUlSW_E_NS1_11comp_targetILNS1_3genE10ELNS1_11target_archE1200ELNS1_3gpuE4ELNS1_3repE0EEENS1_30default_config_static_selectorELNS0_4arch9wavefront6targetE1EEEvT1_
; %bb.0:
	.section	.rodata,"a",@progbits
	.p2align	6, 0x0
	.amdhsa_kernel _ZN7rocprim17ROCPRIM_400000_NS6detail17trampoline_kernelINS0_14default_configENS1_27scan_by_key_config_selectorIisEEZZNS1_16scan_by_key_implILNS1_25lookback_scan_determinismE0ELb1ES3_N6thrust23THRUST_200600_302600_NS6detail15normal_iteratorINS9_10device_ptrIiEEEENSB_INSC_IsEEEESG_sNS9_4plusIvEENS9_8equal_toIvEEsEE10hipError_tPvRmT2_T3_T4_T5_mT6_T7_P12ihipStream_tbENKUlT_T0_E_clISt17integral_constantIbLb0EES11_EEDaSW_SX_EUlSW_E_NS1_11comp_targetILNS1_3genE10ELNS1_11target_archE1200ELNS1_3gpuE4ELNS1_3repE0EEENS1_30default_config_static_selectorELNS0_4arch9wavefront6targetE1EEEvT1_
		.amdhsa_group_segment_fixed_size 0
		.amdhsa_private_segment_fixed_size 0
		.amdhsa_kernarg_size 112
		.amdhsa_user_sgpr_count 2
		.amdhsa_user_sgpr_dispatch_ptr 0
		.amdhsa_user_sgpr_queue_ptr 0
		.amdhsa_user_sgpr_kernarg_segment_ptr 1
		.amdhsa_user_sgpr_dispatch_id 0
		.amdhsa_user_sgpr_kernarg_preload_length 0
		.amdhsa_user_sgpr_kernarg_preload_offset 0
		.amdhsa_user_sgpr_private_segment_size 0
		.amdhsa_uses_dynamic_stack 0
		.amdhsa_enable_private_segment 0
		.amdhsa_system_sgpr_workgroup_id_x 1
		.amdhsa_system_sgpr_workgroup_id_y 0
		.amdhsa_system_sgpr_workgroup_id_z 0
		.amdhsa_system_sgpr_workgroup_info 0
		.amdhsa_system_vgpr_workitem_id 0
		.amdhsa_next_free_vgpr 1
		.amdhsa_next_free_sgpr 0
		.amdhsa_accum_offset 4
		.amdhsa_reserve_vcc 0
		.amdhsa_float_round_mode_32 0
		.amdhsa_float_round_mode_16_64 0
		.amdhsa_float_denorm_mode_32 3
		.amdhsa_float_denorm_mode_16_64 3
		.amdhsa_dx10_clamp 1
		.amdhsa_ieee_mode 1
		.amdhsa_fp16_overflow 0
		.amdhsa_tg_split 0
		.amdhsa_exception_fp_ieee_invalid_op 0
		.amdhsa_exception_fp_denorm_src 0
		.amdhsa_exception_fp_ieee_div_zero 0
		.amdhsa_exception_fp_ieee_overflow 0
		.amdhsa_exception_fp_ieee_underflow 0
		.amdhsa_exception_fp_ieee_inexact 0
		.amdhsa_exception_int_div_zero 0
	.end_amdhsa_kernel
	.section	.text._ZN7rocprim17ROCPRIM_400000_NS6detail17trampoline_kernelINS0_14default_configENS1_27scan_by_key_config_selectorIisEEZZNS1_16scan_by_key_implILNS1_25lookback_scan_determinismE0ELb1ES3_N6thrust23THRUST_200600_302600_NS6detail15normal_iteratorINS9_10device_ptrIiEEEENSB_INSC_IsEEEESG_sNS9_4plusIvEENS9_8equal_toIvEEsEE10hipError_tPvRmT2_T3_T4_T5_mT6_T7_P12ihipStream_tbENKUlT_T0_E_clISt17integral_constantIbLb0EES11_EEDaSW_SX_EUlSW_E_NS1_11comp_targetILNS1_3genE10ELNS1_11target_archE1200ELNS1_3gpuE4ELNS1_3repE0EEENS1_30default_config_static_selectorELNS0_4arch9wavefront6targetE1EEEvT1_,"axG",@progbits,_ZN7rocprim17ROCPRIM_400000_NS6detail17trampoline_kernelINS0_14default_configENS1_27scan_by_key_config_selectorIisEEZZNS1_16scan_by_key_implILNS1_25lookback_scan_determinismE0ELb1ES3_N6thrust23THRUST_200600_302600_NS6detail15normal_iteratorINS9_10device_ptrIiEEEENSB_INSC_IsEEEESG_sNS9_4plusIvEENS9_8equal_toIvEEsEE10hipError_tPvRmT2_T3_T4_T5_mT6_T7_P12ihipStream_tbENKUlT_T0_E_clISt17integral_constantIbLb0EES11_EEDaSW_SX_EUlSW_E_NS1_11comp_targetILNS1_3genE10ELNS1_11target_archE1200ELNS1_3gpuE4ELNS1_3repE0EEENS1_30default_config_static_selectorELNS0_4arch9wavefront6targetE1EEEvT1_,comdat
.Lfunc_end1613:
	.size	_ZN7rocprim17ROCPRIM_400000_NS6detail17trampoline_kernelINS0_14default_configENS1_27scan_by_key_config_selectorIisEEZZNS1_16scan_by_key_implILNS1_25lookback_scan_determinismE0ELb1ES3_N6thrust23THRUST_200600_302600_NS6detail15normal_iteratorINS9_10device_ptrIiEEEENSB_INSC_IsEEEESG_sNS9_4plusIvEENS9_8equal_toIvEEsEE10hipError_tPvRmT2_T3_T4_T5_mT6_T7_P12ihipStream_tbENKUlT_T0_E_clISt17integral_constantIbLb0EES11_EEDaSW_SX_EUlSW_E_NS1_11comp_targetILNS1_3genE10ELNS1_11target_archE1200ELNS1_3gpuE4ELNS1_3repE0EEENS1_30default_config_static_selectorELNS0_4arch9wavefront6targetE1EEEvT1_, .Lfunc_end1613-_ZN7rocprim17ROCPRIM_400000_NS6detail17trampoline_kernelINS0_14default_configENS1_27scan_by_key_config_selectorIisEEZZNS1_16scan_by_key_implILNS1_25lookback_scan_determinismE0ELb1ES3_N6thrust23THRUST_200600_302600_NS6detail15normal_iteratorINS9_10device_ptrIiEEEENSB_INSC_IsEEEESG_sNS9_4plusIvEENS9_8equal_toIvEEsEE10hipError_tPvRmT2_T3_T4_T5_mT6_T7_P12ihipStream_tbENKUlT_T0_E_clISt17integral_constantIbLb0EES11_EEDaSW_SX_EUlSW_E_NS1_11comp_targetILNS1_3genE10ELNS1_11target_archE1200ELNS1_3gpuE4ELNS1_3repE0EEENS1_30default_config_static_selectorELNS0_4arch9wavefront6targetE1EEEvT1_
                                        ; -- End function
	.section	.AMDGPU.csdata,"",@progbits
; Kernel info:
; codeLenInByte = 0
; NumSgprs: 6
; NumVgprs: 0
; NumAgprs: 0
; TotalNumVgprs: 0
; ScratchSize: 0
; MemoryBound: 0
; FloatMode: 240
; IeeeMode: 1
; LDSByteSize: 0 bytes/workgroup (compile time only)
; SGPRBlocks: 0
; VGPRBlocks: 0
; NumSGPRsForWavesPerEU: 6
; NumVGPRsForWavesPerEU: 1
; AccumOffset: 4
; Occupancy: 8
; WaveLimiterHint : 0
; COMPUTE_PGM_RSRC2:SCRATCH_EN: 0
; COMPUTE_PGM_RSRC2:USER_SGPR: 2
; COMPUTE_PGM_RSRC2:TRAP_HANDLER: 0
; COMPUTE_PGM_RSRC2:TGID_X_EN: 1
; COMPUTE_PGM_RSRC2:TGID_Y_EN: 0
; COMPUTE_PGM_RSRC2:TGID_Z_EN: 0
; COMPUTE_PGM_RSRC2:TIDIG_COMP_CNT: 0
; COMPUTE_PGM_RSRC3_GFX90A:ACCUM_OFFSET: 0
; COMPUTE_PGM_RSRC3_GFX90A:TG_SPLIT: 0
	.section	.text._ZN7rocprim17ROCPRIM_400000_NS6detail17trampoline_kernelINS0_14default_configENS1_27scan_by_key_config_selectorIisEEZZNS1_16scan_by_key_implILNS1_25lookback_scan_determinismE0ELb1ES3_N6thrust23THRUST_200600_302600_NS6detail15normal_iteratorINS9_10device_ptrIiEEEENSB_INSC_IsEEEESG_sNS9_4plusIvEENS9_8equal_toIvEEsEE10hipError_tPvRmT2_T3_T4_T5_mT6_T7_P12ihipStream_tbENKUlT_T0_E_clISt17integral_constantIbLb0EES11_EEDaSW_SX_EUlSW_E_NS1_11comp_targetILNS1_3genE9ELNS1_11target_archE1100ELNS1_3gpuE3ELNS1_3repE0EEENS1_30default_config_static_selectorELNS0_4arch9wavefront6targetE1EEEvT1_,"axG",@progbits,_ZN7rocprim17ROCPRIM_400000_NS6detail17trampoline_kernelINS0_14default_configENS1_27scan_by_key_config_selectorIisEEZZNS1_16scan_by_key_implILNS1_25lookback_scan_determinismE0ELb1ES3_N6thrust23THRUST_200600_302600_NS6detail15normal_iteratorINS9_10device_ptrIiEEEENSB_INSC_IsEEEESG_sNS9_4plusIvEENS9_8equal_toIvEEsEE10hipError_tPvRmT2_T3_T4_T5_mT6_T7_P12ihipStream_tbENKUlT_T0_E_clISt17integral_constantIbLb0EES11_EEDaSW_SX_EUlSW_E_NS1_11comp_targetILNS1_3genE9ELNS1_11target_archE1100ELNS1_3gpuE3ELNS1_3repE0EEENS1_30default_config_static_selectorELNS0_4arch9wavefront6targetE1EEEvT1_,comdat
	.protected	_ZN7rocprim17ROCPRIM_400000_NS6detail17trampoline_kernelINS0_14default_configENS1_27scan_by_key_config_selectorIisEEZZNS1_16scan_by_key_implILNS1_25lookback_scan_determinismE0ELb1ES3_N6thrust23THRUST_200600_302600_NS6detail15normal_iteratorINS9_10device_ptrIiEEEENSB_INSC_IsEEEESG_sNS9_4plusIvEENS9_8equal_toIvEEsEE10hipError_tPvRmT2_T3_T4_T5_mT6_T7_P12ihipStream_tbENKUlT_T0_E_clISt17integral_constantIbLb0EES11_EEDaSW_SX_EUlSW_E_NS1_11comp_targetILNS1_3genE9ELNS1_11target_archE1100ELNS1_3gpuE3ELNS1_3repE0EEENS1_30default_config_static_selectorELNS0_4arch9wavefront6targetE1EEEvT1_ ; -- Begin function _ZN7rocprim17ROCPRIM_400000_NS6detail17trampoline_kernelINS0_14default_configENS1_27scan_by_key_config_selectorIisEEZZNS1_16scan_by_key_implILNS1_25lookback_scan_determinismE0ELb1ES3_N6thrust23THRUST_200600_302600_NS6detail15normal_iteratorINS9_10device_ptrIiEEEENSB_INSC_IsEEEESG_sNS9_4plusIvEENS9_8equal_toIvEEsEE10hipError_tPvRmT2_T3_T4_T5_mT6_T7_P12ihipStream_tbENKUlT_T0_E_clISt17integral_constantIbLb0EES11_EEDaSW_SX_EUlSW_E_NS1_11comp_targetILNS1_3genE9ELNS1_11target_archE1100ELNS1_3gpuE3ELNS1_3repE0EEENS1_30default_config_static_selectorELNS0_4arch9wavefront6targetE1EEEvT1_
	.globl	_ZN7rocprim17ROCPRIM_400000_NS6detail17trampoline_kernelINS0_14default_configENS1_27scan_by_key_config_selectorIisEEZZNS1_16scan_by_key_implILNS1_25lookback_scan_determinismE0ELb1ES3_N6thrust23THRUST_200600_302600_NS6detail15normal_iteratorINS9_10device_ptrIiEEEENSB_INSC_IsEEEESG_sNS9_4plusIvEENS9_8equal_toIvEEsEE10hipError_tPvRmT2_T3_T4_T5_mT6_T7_P12ihipStream_tbENKUlT_T0_E_clISt17integral_constantIbLb0EES11_EEDaSW_SX_EUlSW_E_NS1_11comp_targetILNS1_3genE9ELNS1_11target_archE1100ELNS1_3gpuE3ELNS1_3repE0EEENS1_30default_config_static_selectorELNS0_4arch9wavefront6targetE1EEEvT1_
	.p2align	8
	.type	_ZN7rocprim17ROCPRIM_400000_NS6detail17trampoline_kernelINS0_14default_configENS1_27scan_by_key_config_selectorIisEEZZNS1_16scan_by_key_implILNS1_25lookback_scan_determinismE0ELb1ES3_N6thrust23THRUST_200600_302600_NS6detail15normal_iteratorINS9_10device_ptrIiEEEENSB_INSC_IsEEEESG_sNS9_4plusIvEENS9_8equal_toIvEEsEE10hipError_tPvRmT2_T3_T4_T5_mT6_T7_P12ihipStream_tbENKUlT_T0_E_clISt17integral_constantIbLb0EES11_EEDaSW_SX_EUlSW_E_NS1_11comp_targetILNS1_3genE9ELNS1_11target_archE1100ELNS1_3gpuE3ELNS1_3repE0EEENS1_30default_config_static_selectorELNS0_4arch9wavefront6targetE1EEEvT1_,@function
_ZN7rocprim17ROCPRIM_400000_NS6detail17trampoline_kernelINS0_14default_configENS1_27scan_by_key_config_selectorIisEEZZNS1_16scan_by_key_implILNS1_25lookback_scan_determinismE0ELb1ES3_N6thrust23THRUST_200600_302600_NS6detail15normal_iteratorINS9_10device_ptrIiEEEENSB_INSC_IsEEEESG_sNS9_4plusIvEENS9_8equal_toIvEEsEE10hipError_tPvRmT2_T3_T4_T5_mT6_T7_P12ihipStream_tbENKUlT_T0_E_clISt17integral_constantIbLb0EES11_EEDaSW_SX_EUlSW_E_NS1_11comp_targetILNS1_3genE9ELNS1_11target_archE1100ELNS1_3gpuE3ELNS1_3repE0EEENS1_30default_config_static_selectorELNS0_4arch9wavefront6targetE1EEEvT1_: ; @_ZN7rocprim17ROCPRIM_400000_NS6detail17trampoline_kernelINS0_14default_configENS1_27scan_by_key_config_selectorIisEEZZNS1_16scan_by_key_implILNS1_25lookback_scan_determinismE0ELb1ES3_N6thrust23THRUST_200600_302600_NS6detail15normal_iteratorINS9_10device_ptrIiEEEENSB_INSC_IsEEEESG_sNS9_4plusIvEENS9_8equal_toIvEEsEE10hipError_tPvRmT2_T3_T4_T5_mT6_T7_P12ihipStream_tbENKUlT_T0_E_clISt17integral_constantIbLb0EES11_EEDaSW_SX_EUlSW_E_NS1_11comp_targetILNS1_3genE9ELNS1_11target_archE1100ELNS1_3gpuE3ELNS1_3repE0EEENS1_30default_config_static_selectorELNS0_4arch9wavefront6targetE1EEEvT1_
; %bb.0:
	.section	.rodata,"a",@progbits
	.p2align	6, 0x0
	.amdhsa_kernel _ZN7rocprim17ROCPRIM_400000_NS6detail17trampoline_kernelINS0_14default_configENS1_27scan_by_key_config_selectorIisEEZZNS1_16scan_by_key_implILNS1_25lookback_scan_determinismE0ELb1ES3_N6thrust23THRUST_200600_302600_NS6detail15normal_iteratorINS9_10device_ptrIiEEEENSB_INSC_IsEEEESG_sNS9_4plusIvEENS9_8equal_toIvEEsEE10hipError_tPvRmT2_T3_T4_T5_mT6_T7_P12ihipStream_tbENKUlT_T0_E_clISt17integral_constantIbLb0EES11_EEDaSW_SX_EUlSW_E_NS1_11comp_targetILNS1_3genE9ELNS1_11target_archE1100ELNS1_3gpuE3ELNS1_3repE0EEENS1_30default_config_static_selectorELNS0_4arch9wavefront6targetE1EEEvT1_
		.amdhsa_group_segment_fixed_size 0
		.amdhsa_private_segment_fixed_size 0
		.amdhsa_kernarg_size 112
		.amdhsa_user_sgpr_count 2
		.amdhsa_user_sgpr_dispatch_ptr 0
		.amdhsa_user_sgpr_queue_ptr 0
		.amdhsa_user_sgpr_kernarg_segment_ptr 1
		.amdhsa_user_sgpr_dispatch_id 0
		.amdhsa_user_sgpr_kernarg_preload_length 0
		.amdhsa_user_sgpr_kernarg_preload_offset 0
		.amdhsa_user_sgpr_private_segment_size 0
		.amdhsa_uses_dynamic_stack 0
		.amdhsa_enable_private_segment 0
		.amdhsa_system_sgpr_workgroup_id_x 1
		.amdhsa_system_sgpr_workgroup_id_y 0
		.amdhsa_system_sgpr_workgroup_id_z 0
		.amdhsa_system_sgpr_workgroup_info 0
		.amdhsa_system_vgpr_workitem_id 0
		.amdhsa_next_free_vgpr 1
		.amdhsa_next_free_sgpr 0
		.amdhsa_accum_offset 4
		.amdhsa_reserve_vcc 0
		.amdhsa_float_round_mode_32 0
		.amdhsa_float_round_mode_16_64 0
		.amdhsa_float_denorm_mode_32 3
		.amdhsa_float_denorm_mode_16_64 3
		.amdhsa_dx10_clamp 1
		.amdhsa_ieee_mode 1
		.amdhsa_fp16_overflow 0
		.amdhsa_tg_split 0
		.amdhsa_exception_fp_ieee_invalid_op 0
		.amdhsa_exception_fp_denorm_src 0
		.amdhsa_exception_fp_ieee_div_zero 0
		.amdhsa_exception_fp_ieee_overflow 0
		.amdhsa_exception_fp_ieee_underflow 0
		.amdhsa_exception_fp_ieee_inexact 0
		.amdhsa_exception_int_div_zero 0
	.end_amdhsa_kernel
	.section	.text._ZN7rocprim17ROCPRIM_400000_NS6detail17trampoline_kernelINS0_14default_configENS1_27scan_by_key_config_selectorIisEEZZNS1_16scan_by_key_implILNS1_25lookback_scan_determinismE0ELb1ES3_N6thrust23THRUST_200600_302600_NS6detail15normal_iteratorINS9_10device_ptrIiEEEENSB_INSC_IsEEEESG_sNS9_4plusIvEENS9_8equal_toIvEEsEE10hipError_tPvRmT2_T3_T4_T5_mT6_T7_P12ihipStream_tbENKUlT_T0_E_clISt17integral_constantIbLb0EES11_EEDaSW_SX_EUlSW_E_NS1_11comp_targetILNS1_3genE9ELNS1_11target_archE1100ELNS1_3gpuE3ELNS1_3repE0EEENS1_30default_config_static_selectorELNS0_4arch9wavefront6targetE1EEEvT1_,"axG",@progbits,_ZN7rocprim17ROCPRIM_400000_NS6detail17trampoline_kernelINS0_14default_configENS1_27scan_by_key_config_selectorIisEEZZNS1_16scan_by_key_implILNS1_25lookback_scan_determinismE0ELb1ES3_N6thrust23THRUST_200600_302600_NS6detail15normal_iteratorINS9_10device_ptrIiEEEENSB_INSC_IsEEEESG_sNS9_4plusIvEENS9_8equal_toIvEEsEE10hipError_tPvRmT2_T3_T4_T5_mT6_T7_P12ihipStream_tbENKUlT_T0_E_clISt17integral_constantIbLb0EES11_EEDaSW_SX_EUlSW_E_NS1_11comp_targetILNS1_3genE9ELNS1_11target_archE1100ELNS1_3gpuE3ELNS1_3repE0EEENS1_30default_config_static_selectorELNS0_4arch9wavefront6targetE1EEEvT1_,comdat
.Lfunc_end1614:
	.size	_ZN7rocprim17ROCPRIM_400000_NS6detail17trampoline_kernelINS0_14default_configENS1_27scan_by_key_config_selectorIisEEZZNS1_16scan_by_key_implILNS1_25lookback_scan_determinismE0ELb1ES3_N6thrust23THRUST_200600_302600_NS6detail15normal_iteratorINS9_10device_ptrIiEEEENSB_INSC_IsEEEESG_sNS9_4plusIvEENS9_8equal_toIvEEsEE10hipError_tPvRmT2_T3_T4_T5_mT6_T7_P12ihipStream_tbENKUlT_T0_E_clISt17integral_constantIbLb0EES11_EEDaSW_SX_EUlSW_E_NS1_11comp_targetILNS1_3genE9ELNS1_11target_archE1100ELNS1_3gpuE3ELNS1_3repE0EEENS1_30default_config_static_selectorELNS0_4arch9wavefront6targetE1EEEvT1_, .Lfunc_end1614-_ZN7rocprim17ROCPRIM_400000_NS6detail17trampoline_kernelINS0_14default_configENS1_27scan_by_key_config_selectorIisEEZZNS1_16scan_by_key_implILNS1_25lookback_scan_determinismE0ELb1ES3_N6thrust23THRUST_200600_302600_NS6detail15normal_iteratorINS9_10device_ptrIiEEEENSB_INSC_IsEEEESG_sNS9_4plusIvEENS9_8equal_toIvEEsEE10hipError_tPvRmT2_T3_T4_T5_mT6_T7_P12ihipStream_tbENKUlT_T0_E_clISt17integral_constantIbLb0EES11_EEDaSW_SX_EUlSW_E_NS1_11comp_targetILNS1_3genE9ELNS1_11target_archE1100ELNS1_3gpuE3ELNS1_3repE0EEENS1_30default_config_static_selectorELNS0_4arch9wavefront6targetE1EEEvT1_
                                        ; -- End function
	.section	.AMDGPU.csdata,"",@progbits
; Kernel info:
; codeLenInByte = 0
; NumSgprs: 6
; NumVgprs: 0
; NumAgprs: 0
; TotalNumVgprs: 0
; ScratchSize: 0
; MemoryBound: 0
; FloatMode: 240
; IeeeMode: 1
; LDSByteSize: 0 bytes/workgroup (compile time only)
; SGPRBlocks: 0
; VGPRBlocks: 0
; NumSGPRsForWavesPerEU: 6
; NumVGPRsForWavesPerEU: 1
; AccumOffset: 4
; Occupancy: 8
; WaveLimiterHint : 0
; COMPUTE_PGM_RSRC2:SCRATCH_EN: 0
; COMPUTE_PGM_RSRC2:USER_SGPR: 2
; COMPUTE_PGM_RSRC2:TRAP_HANDLER: 0
; COMPUTE_PGM_RSRC2:TGID_X_EN: 1
; COMPUTE_PGM_RSRC2:TGID_Y_EN: 0
; COMPUTE_PGM_RSRC2:TGID_Z_EN: 0
; COMPUTE_PGM_RSRC2:TIDIG_COMP_CNT: 0
; COMPUTE_PGM_RSRC3_GFX90A:ACCUM_OFFSET: 0
; COMPUTE_PGM_RSRC3_GFX90A:TG_SPLIT: 0
	.section	.text._ZN7rocprim17ROCPRIM_400000_NS6detail17trampoline_kernelINS0_14default_configENS1_27scan_by_key_config_selectorIisEEZZNS1_16scan_by_key_implILNS1_25lookback_scan_determinismE0ELb1ES3_N6thrust23THRUST_200600_302600_NS6detail15normal_iteratorINS9_10device_ptrIiEEEENSB_INSC_IsEEEESG_sNS9_4plusIvEENS9_8equal_toIvEEsEE10hipError_tPvRmT2_T3_T4_T5_mT6_T7_P12ihipStream_tbENKUlT_T0_E_clISt17integral_constantIbLb0EES11_EEDaSW_SX_EUlSW_E_NS1_11comp_targetILNS1_3genE8ELNS1_11target_archE1030ELNS1_3gpuE2ELNS1_3repE0EEENS1_30default_config_static_selectorELNS0_4arch9wavefront6targetE1EEEvT1_,"axG",@progbits,_ZN7rocprim17ROCPRIM_400000_NS6detail17trampoline_kernelINS0_14default_configENS1_27scan_by_key_config_selectorIisEEZZNS1_16scan_by_key_implILNS1_25lookback_scan_determinismE0ELb1ES3_N6thrust23THRUST_200600_302600_NS6detail15normal_iteratorINS9_10device_ptrIiEEEENSB_INSC_IsEEEESG_sNS9_4plusIvEENS9_8equal_toIvEEsEE10hipError_tPvRmT2_T3_T4_T5_mT6_T7_P12ihipStream_tbENKUlT_T0_E_clISt17integral_constantIbLb0EES11_EEDaSW_SX_EUlSW_E_NS1_11comp_targetILNS1_3genE8ELNS1_11target_archE1030ELNS1_3gpuE2ELNS1_3repE0EEENS1_30default_config_static_selectorELNS0_4arch9wavefront6targetE1EEEvT1_,comdat
	.protected	_ZN7rocprim17ROCPRIM_400000_NS6detail17trampoline_kernelINS0_14default_configENS1_27scan_by_key_config_selectorIisEEZZNS1_16scan_by_key_implILNS1_25lookback_scan_determinismE0ELb1ES3_N6thrust23THRUST_200600_302600_NS6detail15normal_iteratorINS9_10device_ptrIiEEEENSB_INSC_IsEEEESG_sNS9_4plusIvEENS9_8equal_toIvEEsEE10hipError_tPvRmT2_T3_T4_T5_mT6_T7_P12ihipStream_tbENKUlT_T0_E_clISt17integral_constantIbLb0EES11_EEDaSW_SX_EUlSW_E_NS1_11comp_targetILNS1_3genE8ELNS1_11target_archE1030ELNS1_3gpuE2ELNS1_3repE0EEENS1_30default_config_static_selectorELNS0_4arch9wavefront6targetE1EEEvT1_ ; -- Begin function _ZN7rocprim17ROCPRIM_400000_NS6detail17trampoline_kernelINS0_14default_configENS1_27scan_by_key_config_selectorIisEEZZNS1_16scan_by_key_implILNS1_25lookback_scan_determinismE0ELb1ES3_N6thrust23THRUST_200600_302600_NS6detail15normal_iteratorINS9_10device_ptrIiEEEENSB_INSC_IsEEEESG_sNS9_4plusIvEENS9_8equal_toIvEEsEE10hipError_tPvRmT2_T3_T4_T5_mT6_T7_P12ihipStream_tbENKUlT_T0_E_clISt17integral_constantIbLb0EES11_EEDaSW_SX_EUlSW_E_NS1_11comp_targetILNS1_3genE8ELNS1_11target_archE1030ELNS1_3gpuE2ELNS1_3repE0EEENS1_30default_config_static_selectorELNS0_4arch9wavefront6targetE1EEEvT1_
	.globl	_ZN7rocprim17ROCPRIM_400000_NS6detail17trampoline_kernelINS0_14default_configENS1_27scan_by_key_config_selectorIisEEZZNS1_16scan_by_key_implILNS1_25lookback_scan_determinismE0ELb1ES3_N6thrust23THRUST_200600_302600_NS6detail15normal_iteratorINS9_10device_ptrIiEEEENSB_INSC_IsEEEESG_sNS9_4plusIvEENS9_8equal_toIvEEsEE10hipError_tPvRmT2_T3_T4_T5_mT6_T7_P12ihipStream_tbENKUlT_T0_E_clISt17integral_constantIbLb0EES11_EEDaSW_SX_EUlSW_E_NS1_11comp_targetILNS1_3genE8ELNS1_11target_archE1030ELNS1_3gpuE2ELNS1_3repE0EEENS1_30default_config_static_selectorELNS0_4arch9wavefront6targetE1EEEvT1_
	.p2align	8
	.type	_ZN7rocprim17ROCPRIM_400000_NS6detail17trampoline_kernelINS0_14default_configENS1_27scan_by_key_config_selectorIisEEZZNS1_16scan_by_key_implILNS1_25lookback_scan_determinismE0ELb1ES3_N6thrust23THRUST_200600_302600_NS6detail15normal_iteratorINS9_10device_ptrIiEEEENSB_INSC_IsEEEESG_sNS9_4plusIvEENS9_8equal_toIvEEsEE10hipError_tPvRmT2_T3_T4_T5_mT6_T7_P12ihipStream_tbENKUlT_T0_E_clISt17integral_constantIbLb0EES11_EEDaSW_SX_EUlSW_E_NS1_11comp_targetILNS1_3genE8ELNS1_11target_archE1030ELNS1_3gpuE2ELNS1_3repE0EEENS1_30default_config_static_selectorELNS0_4arch9wavefront6targetE1EEEvT1_,@function
_ZN7rocprim17ROCPRIM_400000_NS6detail17trampoline_kernelINS0_14default_configENS1_27scan_by_key_config_selectorIisEEZZNS1_16scan_by_key_implILNS1_25lookback_scan_determinismE0ELb1ES3_N6thrust23THRUST_200600_302600_NS6detail15normal_iteratorINS9_10device_ptrIiEEEENSB_INSC_IsEEEESG_sNS9_4plusIvEENS9_8equal_toIvEEsEE10hipError_tPvRmT2_T3_T4_T5_mT6_T7_P12ihipStream_tbENKUlT_T0_E_clISt17integral_constantIbLb0EES11_EEDaSW_SX_EUlSW_E_NS1_11comp_targetILNS1_3genE8ELNS1_11target_archE1030ELNS1_3gpuE2ELNS1_3repE0EEENS1_30default_config_static_selectorELNS0_4arch9wavefront6targetE1EEEvT1_: ; @_ZN7rocprim17ROCPRIM_400000_NS6detail17trampoline_kernelINS0_14default_configENS1_27scan_by_key_config_selectorIisEEZZNS1_16scan_by_key_implILNS1_25lookback_scan_determinismE0ELb1ES3_N6thrust23THRUST_200600_302600_NS6detail15normal_iteratorINS9_10device_ptrIiEEEENSB_INSC_IsEEEESG_sNS9_4plusIvEENS9_8equal_toIvEEsEE10hipError_tPvRmT2_T3_T4_T5_mT6_T7_P12ihipStream_tbENKUlT_T0_E_clISt17integral_constantIbLb0EES11_EEDaSW_SX_EUlSW_E_NS1_11comp_targetILNS1_3genE8ELNS1_11target_archE1030ELNS1_3gpuE2ELNS1_3repE0EEENS1_30default_config_static_selectorELNS0_4arch9wavefront6targetE1EEEvT1_
; %bb.0:
	.section	.rodata,"a",@progbits
	.p2align	6, 0x0
	.amdhsa_kernel _ZN7rocprim17ROCPRIM_400000_NS6detail17trampoline_kernelINS0_14default_configENS1_27scan_by_key_config_selectorIisEEZZNS1_16scan_by_key_implILNS1_25lookback_scan_determinismE0ELb1ES3_N6thrust23THRUST_200600_302600_NS6detail15normal_iteratorINS9_10device_ptrIiEEEENSB_INSC_IsEEEESG_sNS9_4plusIvEENS9_8equal_toIvEEsEE10hipError_tPvRmT2_T3_T4_T5_mT6_T7_P12ihipStream_tbENKUlT_T0_E_clISt17integral_constantIbLb0EES11_EEDaSW_SX_EUlSW_E_NS1_11comp_targetILNS1_3genE8ELNS1_11target_archE1030ELNS1_3gpuE2ELNS1_3repE0EEENS1_30default_config_static_selectorELNS0_4arch9wavefront6targetE1EEEvT1_
		.amdhsa_group_segment_fixed_size 0
		.amdhsa_private_segment_fixed_size 0
		.amdhsa_kernarg_size 112
		.amdhsa_user_sgpr_count 2
		.amdhsa_user_sgpr_dispatch_ptr 0
		.amdhsa_user_sgpr_queue_ptr 0
		.amdhsa_user_sgpr_kernarg_segment_ptr 1
		.amdhsa_user_sgpr_dispatch_id 0
		.amdhsa_user_sgpr_kernarg_preload_length 0
		.amdhsa_user_sgpr_kernarg_preload_offset 0
		.amdhsa_user_sgpr_private_segment_size 0
		.amdhsa_uses_dynamic_stack 0
		.amdhsa_enable_private_segment 0
		.amdhsa_system_sgpr_workgroup_id_x 1
		.amdhsa_system_sgpr_workgroup_id_y 0
		.amdhsa_system_sgpr_workgroup_id_z 0
		.amdhsa_system_sgpr_workgroup_info 0
		.amdhsa_system_vgpr_workitem_id 0
		.amdhsa_next_free_vgpr 1
		.amdhsa_next_free_sgpr 0
		.amdhsa_accum_offset 4
		.amdhsa_reserve_vcc 0
		.amdhsa_float_round_mode_32 0
		.amdhsa_float_round_mode_16_64 0
		.amdhsa_float_denorm_mode_32 3
		.amdhsa_float_denorm_mode_16_64 3
		.amdhsa_dx10_clamp 1
		.amdhsa_ieee_mode 1
		.amdhsa_fp16_overflow 0
		.amdhsa_tg_split 0
		.amdhsa_exception_fp_ieee_invalid_op 0
		.amdhsa_exception_fp_denorm_src 0
		.amdhsa_exception_fp_ieee_div_zero 0
		.amdhsa_exception_fp_ieee_overflow 0
		.amdhsa_exception_fp_ieee_underflow 0
		.amdhsa_exception_fp_ieee_inexact 0
		.amdhsa_exception_int_div_zero 0
	.end_amdhsa_kernel
	.section	.text._ZN7rocprim17ROCPRIM_400000_NS6detail17trampoline_kernelINS0_14default_configENS1_27scan_by_key_config_selectorIisEEZZNS1_16scan_by_key_implILNS1_25lookback_scan_determinismE0ELb1ES3_N6thrust23THRUST_200600_302600_NS6detail15normal_iteratorINS9_10device_ptrIiEEEENSB_INSC_IsEEEESG_sNS9_4plusIvEENS9_8equal_toIvEEsEE10hipError_tPvRmT2_T3_T4_T5_mT6_T7_P12ihipStream_tbENKUlT_T0_E_clISt17integral_constantIbLb0EES11_EEDaSW_SX_EUlSW_E_NS1_11comp_targetILNS1_3genE8ELNS1_11target_archE1030ELNS1_3gpuE2ELNS1_3repE0EEENS1_30default_config_static_selectorELNS0_4arch9wavefront6targetE1EEEvT1_,"axG",@progbits,_ZN7rocprim17ROCPRIM_400000_NS6detail17trampoline_kernelINS0_14default_configENS1_27scan_by_key_config_selectorIisEEZZNS1_16scan_by_key_implILNS1_25lookback_scan_determinismE0ELb1ES3_N6thrust23THRUST_200600_302600_NS6detail15normal_iteratorINS9_10device_ptrIiEEEENSB_INSC_IsEEEESG_sNS9_4plusIvEENS9_8equal_toIvEEsEE10hipError_tPvRmT2_T3_T4_T5_mT6_T7_P12ihipStream_tbENKUlT_T0_E_clISt17integral_constantIbLb0EES11_EEDaSW_SX_EUlSW_E_NS1_11comp_targetILNS1_3genE8ELNS1_11target_archE1030ELNS1_3gpuE2ELNS1_3repE0EEENS1_30default_config_static_selectorELNS0_4arch9wavefront6targetE1EEEvT1_,comdat
.Lfunc_end1615:
	.size	_ZN7rocprim17ROCPRIM_400000_NS6detail17trampoline_kernelINS0_14default_configENS1_27scan_by_key_config_selectorIisEEZZNS1_16scan_by_key_implILNS1_25lookback_scan_determinismE0ELb1ES3_N6thrust23THRUST_200600_302600_NS6detail15normal_iteratorINS9_10device_ptrIiEEEENSB_INSC_IsEEEESG_sNS9_4plusIvEENS9_8equal_toIvEEsEE10hipError_tPvRmT2_T3_T4_T5_mT6_T7_P12ihipStream_tbENKUlT_T0_E_clISt17integral_constantIbLb0EES11_EEDaSW_SX_EUlSW_E_NS1_11comp_targetILNS1_3genE8ELNS1_11target_archE1030ELNS1_3gpuE2ELNS1_3repE0EEENS1_30default_config_static_selectorELNS0_4arch9wavefront6targetE1EEEvT1_, .Lfunc_end1615-_ZN7rocprim17ROCPRIM_400000_NS6detail17trampoline_kernelINS0_14default_configENS1_27scan_by_key_config_selectorIisEEZZNS1_16scan_by_key_implILNS1_25lookback_scan_determinismE0ELb1ES3_N6thrust23THRUST_200600_302600_NS6detail15normal_iteratorINS9_10device_ptrIiEEEENSB_INSC_IsEEEESG_sNS9_4plusIvEENS9_8equal_toIvEEsEE10hipError_tPvRmT2_T3_T4_T5_mT6_T7_P12ihipStream_tbENKUlT_T0_E_clISt17integral_constantIbLb0EES11_EEDaSW_SX_EUlSW_E_NS1_11comp_targetILNS1_3genE8ELNS1_11target_archE1030ELNS1_3gpuE2ELNS1_3repE0EEENS1_30default_config_static_selectorELNS0_4arch9wavefront6targetE1EEEvT1_
                                        ; -- End function
	.section	.AMDGPU.csdata,"",@progbits
; Kernel info:
; codeLenInByte = 0
; NumSgprs: 6
; NumVgprs: 0
; NumAgprs: 0
; TotalNumVgprs: 0
; ScratchSize: 0
; MemoryBound: 0
; FloatMode: 240
; IeeeMode: 1
; LDSByteSize: 0 bytes/workgroup (compile time only)
; SGPRBlocks: 0
; VGPRBlocks: 0
; NumSGPRsForWavesPerEU: 6
; NumVGPRsForWavesPerEU: 1
; AccumOffset: 4
; Occupancy: 8
; WaveLimiterHint : 0
; COMPUTE_PGM_RSRC2:SCRATCH_EN: 0
; COMPUTE_PGM_RSRC2:USER_SGPR: 2
; COMPUTE_PGM_RSRC2:TRAP_HANDLER: 0
; COMPUTE_PGM_RSRC2:TGID_X_EN: 1
; COMPUTE_PGM_RSRC2:TGID_Y_EN: 0
; COMPUTE_PGM_RSRC2:TGID_Z_EN: 0
; COMPUTE_PGM_RSRC2:TIDIG_COMP_CNT: 0
; COMPUTE_PGM_RSRC3_GFX90A:ACCUM_OFFSET: 0
; COMPUTE_PGM_RSRC3_GFX90A:TG_SPLIT: 0
	.section	.text._ZN7rocprim17ROCPRIM_400000_NS6detail17trampoline_kernelINS0_14default_configENS1_27scan_by_key_config_selectorIisEEZZNS1_16scan_by_key_implILNS1_25lookback_scan_determinismE0ELb1ES3_N6thrust23THRUST_200600_302600_NS6detail15normal_iteratorINS9_10device_ptrIiEEEENSB_INSC_IsEEEESG_sNS9_4plusIvEENS9_8equal_toIvEEsEE10hipError_tPvRmT2_T3_T4_T5_mT6_T7_P12ihipStream_tbENKUlT_T0_E_clISt17integral_constantIbLb1EES11_EEDaSW_SX_EUlSW_E_NS1_11comp_targetILNS1_3genE0ELNS1_11target_archE4294967295ELNS1_3gpuE0ELNS1_3repE0EEENS1_30default_config_static_selectorELNS0_4arch9wavefront6targetE1EEEvT1_,"axG",@progbits,_ZN7rocprim17ROCPRIM_400000_NS6detail17trampoline_kernelINS0_14default_configENS1_27scan_by_key_config_selectorIisEEZZNS1_16scan_by_key_implILNS1_25lookback_scan_determinismE0ELb1ES3_N6thrust23THRUST_200600_302600_NS6detail15normal_iteratorINS9_10device_ptrIiEEEENSB_INSC_IsEEEESG_sNS9_4plusIvEENS9_8equal_toIvEEsEE10hipError_tPvRmT2_T3_T4_T5_mT6_T7_P12ihipStream_tbENKUlT_T0_E_clISt17integral_constantIbLb1EES11_EEDaSW_SX_EUlSW_E_NS1_11comp_targetILNS1_3genE0ELNS1_11target_archE4294967295ELNS1_3gpuE0ELNS1_3repE0EEENS1_30default_config_static_selectorELNS0_4arch9wavefront6targetE1EEEvT1_,comdat
	.protected	_ZN7rocprim17ROCPRIM_400000_NS6detail17trampoline_kernelINS0_14default_configENS1_27scan_by_key_config_selectorIisEEZZNS1_16scan_by_key_implILNS1_25lookback_scan_determinismE0ELb1ES3_N6thrust23THRUST_200600_302600_NS6detail15normal_iteratorINS9_10device_ptrIiEEEENSB_INSC_IsEEEESG_sNS9_4plusIvEENS9_8equal_toIvEEsEE10hipError_tPvRmT2_T3_T4_T5_mT6_T7_P12ihipStream_tbENKUlT_T0_E_clISt17integral_constantIbLb1EES11_EEDaSW_SX_EUlSW_E_NS1_11comp_targetILNS1_3genE0ELNS1_11target_archE4294967295ELNS1_3gpuE0ELNS1_3repE0EEENS1_30default_config_static_selectorELNS0_4arch9wavefront6targetE1EEEvT1_ ; -- Begin function _ZN7rocprim17ROCPRIM_400000_NS6detail17trampoline_kernelINS0_14default_configENS1_27scan_by_key_config_selectorIisEEZZNS1_16scan_by_key_implILNS1_25lookback_scan_determinismE0ELb1ES3_N6thrust23THRUST_200600_302600_NS6detail15normal_iteratorINS9_10device_ptrIiEEEENSB_INSC_IsEEEESG_sNS9_4plusIvEENS9_8equal_toIvEEsEE10hipError_tPvRmT2_T3_T4_T5_mT6_T7_P12ihipStream_tbENKUlT_T0_E_clISt17integral_constantIbLb1EES11_EEDaSW_SX_EUlSW_E_NS1_11comp_targetILNS1_3genE0ELNS1_11target_archE4294967295ELNS1_3gpuE0ELNS1_3repE0EEENS1_30default_config_static_selectorELNS0_4arch9wavefront6targetE1EEEvT1_
	.globl	_ZN7rocprim17ROCPRIM_400000_NS6detail17trampoline_kernelINS0_14default_configENS1_27scan_by_key_config_selectorIisEEZZNS1_16scan_by_key_implILNS1_25lookback_scan_determinismE0ELb1ES3_N6thrust23THRUST_200600_302600_NS6detail15normal_iteratorINS9_10device_ptrIiEEEENSB_INSC_IsEEEESG_sNS9_4plusIvEENS9_8equal_toIvEEsEE10hipError_tPvRmT2_T3_T4_T5_mT6_T7_P12ihipStream_tbENKUlT_T0_E_clISt17integral_constantIbLb1EES11_EEDaSW_SX_EUlSW_E_NS1_11comp_targetILNS1_3genE0ELNS1_11target_archE4294967295ELNS1_3gpuE0ELNS1_3repE0EEENS1_30default_config_static_selectorELNS0_4arch9wavefront6targetE1EEEvT1_
	.p2align	8
	.type	_ZN7rocprim17ROCPRIM_400000_NS6detail17trampoline_kernelINS0_14default_configENS1_27scan_by_key_config_selectorIisEEZZNS1_16scan_by_key_implILNS1_25lookback_scan_determinismE0ELb1ES3_N6thrust23THRUST_200600_302600_NS6detail15normal_iteratorINS9_10device_ptrIiEEEENSB_INSC_IsEEEESG_sNS9_4plusIvEENS9_8equal_toIvEEsEE10hipError_tPvRmT2_T3_T4_T5_mT6_T7_P12ihipStream_tbENKUlT_T0_E_clISt17integral_constantIbLb1EES11_EEDaSW_SX_EUlSW_E_NS1_11comp_targetILNS1_3genE0ELNS1_11target_archE4294967295ELNS1_3gpuE0ELNS1_3repE0EEENS1_30default_config_static_selectorELNS0_4arch9wavefront6targetE1EEEvT1_,@function
_ZN7rocprim17ROCPRIM_400000_NS6detail17trampoline_kernelINS0_14default_configENS1_27scan_by_key_config_selectorIisEEZZNS1_16scan_by_key_implILNS1_25lookback_scan_determinismE0ELb1ES3_N6thrust23THRUST_200600_302600_NS6detail15normal_iteratorINS9_10device_ptrIiEEEENSB_INSC_IsEEEESG_sNS9_4plusIvEENS9_8equal_toIvEEsEE10hipError_tPvRmT2_T3_T4_T5_mT6_T7_P12ihipStream_tbENKUlT_T0_E_clISt17integral_constantIbLb1EES11_EEDaSW_SX_EUlSW_E_NS1_11comp_targetILNS1_3genE0ELNS1_11target_archE4294967295ELNS1_3gpuE0ELNS1_3repE0EEENS1_30default_config_static_selectorELNS0_4arch9wavefront6targetE1EEEvT1_: ; @_ZN7rocprim17ROCPRIM_400000_NS6detail17trampoline_kernelINS0_14default_configENS1_27scan_by_key_config_selectorIisEEZZNS1_16scan_by_key_implILNS1_25lookback_scan_determinismE0ELb1ES3_N6thrust23THRUST_200600_302600_NS6detail15normal_iteratorINS9_10device_ptrIiEEEENSB_INSC_IsEEEESG_sNS9_4plusIvEENS9_8equal_toIvEEsEE10hipError_tPvRmT2_T3_T4_T5_mT6_T7_P12ihipStream_tbENKUlT_T0_E_clISt17integral_constantIbLb1EES11_EEDaSW_SX_EUlSW_E_NS1_11comp_targetILNS1_3genE0ELNS1_11target_archE4294967295ELNS1_3gpuE0ELNS1_3repE0EEENS1_30default_config_static_selectorELNS0_4arch9wavefront6targetE1EEEvT1_
; %bb.0:
	.section	.rodata,"a",@progbits
	.p2align	6, 0x0
	.amdhsa_kernel _ZN7rocprim17ROCPRIM_400000_NS6detail17trampoline_kernelINS0_14default_configENS1_27scan_by_key_config_selectorIisEEZZNS1_16scan_by_key_implILNS1_25lookback_scan_determinismE0ELb1ES3_N6thrust23THRUST_200600_302600_NS6detail15normal_iteratorINS9_10device_ptrIiEEEENSB_INSC_IsEEEESG_sNS9_4plusIvEENS9_8equal_toIvEEsEE10hipError_tPvRmT2_T3_T4_T5_mT6_T7_P12ihipStream_tbENKUlT_T0_E_clISt17integral_constantIbLb1EES11_EEDaSW_SX_EUlSW_E_NS1_11comp_targetILNS1_3genE0ELNS1_11target_archE4294967295ELNS1_3gpuE0ELNS1_3repE0EEENS1_30default_config_static_selectorELNS0_4arch9wavefront6targetE1EEEvT1_
		.amdhsa_group_segment_fixed_size 0
		.amdhsa_private_segment_fixed_size 0
		.amdhsa_kernarg_size 112
		.amdhsa_user_sgpr_count 2
		.amdhsa_user_sgpr_dispatch_ptr 0
		.amdhsa_user_sgpr_queue_ptr 0
		.amdhsa_user_sgpr_kernarg_segment_ptr 1
		.amdhsa_user_sgpr_dispatch_id 0
		.amdhsa_user_sgpr_kernarg_preload_length 0
		.amdhsa_user_sgpr_kernarg_preload_offset 0
		.amdhsa_user_sgpr_private_segment_size 0
		.amdhsa_uses_dynamic_stack 0
		.amdhsa_enable_private_segment 0
		.amdhsa_system_sgpr_workgroup_id_x 1
		.amdhsa_system_sgpr_workgroup_id_y 0
		.amdhsa_system_sgpr_workgroup_id_z 0
		.amdhsa_system_sgpr_workgroup_info 0
		.amdhsa_system_vgpr_workitem_id 0
		.amdhsa_next_free_vgpr 1
		.amdhsa_next_free_sgpr 0
		.amdhsa_accum_offset 4
		.amdhsa_reserve_vcc 0
		.amdhsa_float_round_mode_32 0
		.amdhsa_float_round_mode_16_64 0
		.amdhsa_float_denorm_mode_32 3
		.amdhsa_float_denorm_mode_16_64 3
		.amdhsa_dx10_clamp 1
		.amdhsa_ieee_mode 1
		.amdhsa_fp16_overflow 0
		.amdhsa_tg_split 0
		.amdhsa_exception_fp_ieee_invalid_op 0
		.amdhsa_exception_fp_denorm_src 0
		.amdhsa_exception_fp_ieee_div_zero 0
		.amdhsa_exception_fp_ieee_overflow 0
		.amdhsa_exception_fp_ieee_underflow 0
		.amdhsa_exception_fp_ieee_inexact 0
		.amdhsa_exception_int_div_zero 0
	.end_amdhsa_kernel
	.section	.text._ZN7rocprim17ROCPRIM_400000_NS6detail17trampoline_kernelINS0_14default_configENS1_27scan_by_key_config_selectorIisEEZZNS1_16scan_by_key_implILNS1_25lookback_scan_determinismE0ELb1ES3_N6thrust23THRUST_200600_302600_NS6detail15normal_iteratorINS9_10device_ptrIiEEEENSB_INSC_IsEEEESG_sNS9_4plusIvEENS9_8equal_toIvEEsEE10hipError_tPvRmT2_T3_T4_T5_mT6_T7_P12ihipStream_tbENKUlT_T0_E_clISt17integral_constantIbLb1EES11_EEDaSW_SX_EUlSW_E_NS1_11comp_targetILNS1_3genE0ELNS1_11target_archE4294967295ELNS1_3gpuE0ELNS1_3repE0EEENS1_30default_config_static_selectorELNS0_4arch9wavefront6targetE1EEEvT1_,"axG",@progbits,_ZN7rocprim17ROCPRIM_400000_NS6detail17trampoline_kernelINS0_14default_configENS1_27scan_by_key_config_selectorIisEEZZNS1_16scan_by_key_implILNS1_25lookback_scan_determinismE0ELb1ES3_N6thrust23THRUST_200600_302600_NS6detail15normal_iteratorINS9_10device_ptrIiEEEENSB_INSC_IsEEEESG_sNS9_4plusIvEENS9_8equal_toIvEEsEE10hipError_tPvRmT2_T3_T4_T5_mT6_T7_P12ihipStream_tbENKUlT_T0_E_clISt17integral_constantIbLb1EES11_EEDaSW_SX_EUlSW_E_NS1_11comp_targetILNS1_3genE0ELNS1_11target_archE4294967295ELNS1_3gpuE0ELNS1_3repE0EEENS1_30default_config_static_selectorELNS0_4arch9wavefront6targetE1EEEvT1_,comdat
.Lfunc_end1616:
	.size	_ZN7rocprim17ROCPRIM_400000_NS6detail17trampoline_kernelINS0_14default_configENS1_27scan_by_key_config_selectorIisEEZZNS1_16scan_by_key_implILNS1_25lookback_scan_determinismE0ELb1ES3_N6thrust23THRUST_200600_302600_NS6detail15normal_iteratorINS9_10device_ptrIiEEEENSB_INSC_IsEEEESG_sNS9_4plusIvEENS9_8equal_toIvEEsEE10hipError_tPvRmT2_T3_T4_T5_mT6_T7_P12ihipStream_tbENKUlT_T0_E_clISt17integral_constantIbLb1EES11_EEDaSW_SX_EUlSW_E_NS1_11comp_targetILNS1_3genE0ELNS1_11target_archE4294967295ELNS1_3gpuE0ELNS1_3repE0EEENS1_30default_config_static_selectorELNS0_4arch9wavefront6targetE1EEEvT1_, .Lfunc_end1616-_ZN7rocprim17ROCPRIM_400000_NS6detail17trampoline_kernelINS0_14default_configENS1_27scan_by_key_config_selectorIisEEZZNS1_16scan_by_key_implILNS1_25lookback_scan_determinismE0ELb1ES3_N6thrust23THRUST_200600_302600_NS6detail15normal_iteratorINS9_10device_ptrIiEEEENSB_INSC_IsEEEESG_sNS9_4plusIvEENS9_8equal_toIvEEsEE10hipError_tPvRmT2_T3_T4_T5_mT6_T7_P12ihipStream_tbENKUlT_T0_E_clISt17integral_constantIbLb1EES11_EEDaSW_SX_EUlSW_E_NS1_11comp_targetILNS1_3genE0ELNS1_11target_archE4294967295ELNS1_3gpuE0ELNS1_3repE0EEENS1_30default_config_static_selectorELNS0_4arch9wavefront6targetE1EEEvT1_
                                        ; -- End function
	.section	.AMDGPU.csdata,"",@progbits
; Kernel info:
; codeLenInByte = 0
; NumSgprs: 6
; NumVgprs: 0
; NumAgprs: 0
; TotalNumVgprs: 0
; ScratchSize: 0
; MemoryBound: 0
; FloatMode: 240
; IeeeMode: 1
; LDSByteSize: 0 bytes/workgroup (compile time only)
; SGPRBlocks: 0
; VGPRBlocks: 0
; NumSGPRsForWavesPerEU: 6
; NumVGPRsForWavesPerEU: 1
; AccumOffset: 4
; Occupancy: 8
; WaveLimiterHint : 0
; COMPUTE_PGM_RSRC2:SCRATCH_EN: 0
; COMPUTE_PGM_RSRC2:USER_SGPR: 2
; COMPUTE_PGM_RSRC2:TRAP_HANDLER: 0
; COMPUTE_PGM_RSRC2:TGID_X_EN: 1
; COMPUTE_PGM_RSRC2:TGID_Y_EN: 0
; COMPUTE_PGM_RSRC2:TGID_Z_EN: 0
; COMPUTE_PGM_RSRC2:TIDIG_COMP_CNT: 0
; COMPUTE_PGM_RSRC3_GFX90A:ACCUM_OFFSET: 0
; COMPUTE_PGM_RSRC3_GFX90A:TG_SPLIT: 0
	.section	.text._ZN7rocprim17ROCPRIM_400000_NS6detail17trampoline_kernelINS0_14default_configENS1_27scan_by_key_config_selectorIisEEZZNS1_16scan_by_key_implILNS1_25lookback_scan_determinismE0ELb1ES3_N6thrust23THRUST_200600_302600_NS6detail15normal_iteratorINS9_10device_ptrIiEEEENSB_INSC_IsEEEESG_sNS9_4plusIvEENS9_8equal_toIvEEsEE10hipError_tPvRmT2_T3_T4_T5_mT6_T7_P12ihipStream_tbENKUlT_T0_E_clISt17integral_constantIbLb1EES11_EEDaSW_SX_EUlSW_E_NS1_11comp_targetILNS1_3genE10ELNS1_11target_archE1201ELNS1_3gpuE5ELNS1_3repE0EEENS1_30default_config_static_selectorELNS0_4arch9wavefront6targetE1EEEvT1_,"axG",@progbits,_ZN7rocprim17ROCPRIM_400000_NS6detail17trampoline_kernelINS0_14default_configENS1_27scan_by_key_config_selectorIisEEZZNS1_16scan_by_key_implILNS1_25lookback_scan_determinismE0ELb1ES3_N6thrust23THRUST_200600_302600_NS6detail15normal_iteratorINS9_10device_ptrIiEEEENSB_INSC_IsEEEESG_sNS9_4plusIvEENS9_8equal_toIvEEsEE10hipError_tPvRmT2_T3_T4_T5_mT6_T7_P12ihipStream_tbENKUlT_T0_E_clISt17integral_constantIbLb1EES11_EEDaSW_SX_EUlSW_E_NS1_11comp_targetILNS1_3genE10ELNS1_11target_archE1201ELNS1_3gpuE5ELNS1_3repE0EEENS1_30default_config_static_selectorELNS0_4arch9wavefront6targetE1EEEvT1_,comdat
	.protected	_ZN7rocprim17ROCPRIM_400000_NS6detail17trampoline_kernelINS0_14default_configENS1_27scan_by_key_config_selectorIisEEZZNS1_16scan_by_key_implILNS1_25lookback_scan_determinismE0ELb1ES3_N6thrust23THRUST_200600_302600_NS6detail15normal_iteratorINS9_10device_ptrIiEEEENSB_INSC_IsEEEESG_sNS9_4plusIvEENS9_8equal_toIvEEsEE10hipError_tPvRmT2_T3_T4_T5_mT6_T7_P12ihipStream_tbENKUlT_T0_E_clISt17integral_constantIbLb1EES11_EEDaSW_SX_EUlSW_E_NS1_11comp_targetILNS1_3genE10ELNS1_11target_archE1201ELNS1_3gpuE5ELNS1_3repE0EEENS1_30default_config_static_selectorELNS0_4arch9wavefront6targetE1EEEvT1_ ; -- Begin function _ZN7rocprim17ROCPRIM_400000_NS6detail17trampoline_kernelINS0_14default_configENS1_27scan_by_key_config_selectorIisEEZZNS1_16scan_by_key_implILNS1_25lookback_scan_determinismE0ELb1ES3_N6thrust23THRUST_200600_302600_NS6detail15normal_iteratorINS9_10device_ptrIiEEEENSB_INSC_IsEEEESG_sNS9_4plusIvEENS9_8equal_toIvEEsEE10hipError_tPvRmT2_T3_T4_T5_mT6_T7_P12ihipStream_tbENKUlT_T0_E_clISt17integral_constantIbLb1EES11_EEDaSW_SX_EUlSW_E_NS1_11comp_targetILNS1_3genE10ELNS1_11target_archE1201ELNS1_3gpuE5ELNS1_3repE0EEENS1_30default_config_static_selectorELNS0_4arch9wavefront6targetE1EEEvT1_
	.globl	_ZN7rocprim17ROCPRIM_400000_NS6detail17trampoline_kernelINS0_14default_configENS1_27scan_by_key_config_selectorIisEEZZNS1_16scan_by_key_implILNS1_25lookback_scan_determinismE0ELb1ES3_N6thrust23THRUST_200600_302600_NS6detail15normal_iteratorINS9_10device_ptrIiEEEENSB_INSC_IsEEEESG_sNS9_4plusIvEENS9_8equal_toIvEEsEE10hipError_tPvRmT2_T3_T4_T5_mT6_T7_P12ihipStream_tbENKUlT_T0_E_clISt17integral_constantIbLb1EES11_EEDaSW_SX_EUlSW_E_NS1_11comp_targetILNS1_3genE10ELNS1_11target_archE1201ELNS1_3gpuE5ELNS1_3repE0EEENS1_30default_config_static_selectorELNS0_4arch9wavefront6targetE1EEEvT1_
	.p2align	8
	.type	_ZN7rocprim17ROCPRIM_400000_NS6detail17trampoline_kernelINS0_14default_configENS1_27scan_by_key_config_selectorIisEEZZNS1_16scan_by_key_implILNS1_25lookback_scan_determinismE0ELb1ES3_N6thrust23THRUST_200600_302600_NS6detail15normal_iteratorINS9_10device_ptrIiEEEENSB_INSC_IsEEEESG_sNS9_4plusIvEENS9_8equal_toIvEEsEE10hipError_tPvRmT2_T3_T4_T5_mT6_T7_P12ihipStream_tbENKUlT_T0_E_clISt17integral_constantIbLb1EES11_EEDaSW_SX_EUlSW_E_NS1_11comp_targetILNS1_3genE10ELNS1_11target_archE1201ELNS1_3gpuE5ELNS1_3repE0EEENS1_30default_config_static_selectorELNS0_4arch9wavefront6targetE1EEEvT1_,@function
_ZN7rocprim17ROCPRIM_400000_NS6detail17trampoline_kernelINS0_14default_configENS1_27scan_by_key_config_selectorIisEEZZNS1_16scan_by_key_implILNS1_25lookback_scan_determinismE0ELb1ES3_N6thrust23THRUST_200600_302600_NS6detail15normal_iteratorINS9_10device_ptrIiEEEENSB_INSC_IsEEEESG_sNS9_4plusIvEENS9_8equal_toIvEEsEE10hipError_tPvRmT2_T3_T4_T5_mT6_T7_P12ihipStream_tbENKUlT_T0_E_clISt17integral_constantIbLb1EES11_EEDaSW_SX_EUlSW_E_NS1_11comp_targetILNS1_3genE10ELNS1_11target_archE1201ELNS1_3gpuE5ELNS1_3repE0EEENS1_30default_config_static_selectorELNS0_4arch9wavefront6targetE1EEEvT1_: ; @_ZN7rocprim17ROCPRIM_400000_NS6detail17trampoline_kernelINS0_14default_configENS1_27scan_by_key_config_selectorIisEEZZNS1_16scan_by_key_implILNS1_25lookback_scan_determinismE0ELb1ES3_N6thrust23THRUST_200600_302600_NS6detail15normal_iteratorINS9_10device_ptrIiEEEENSB_INSC_IsEEEESG_sNS9_4plusIvEENS9_8equal_toIvEEsEE10hipError_tPvRmT2_T3_T4_T5_mT6_T7_P12ihipStream_tbENKUlT_T0_E_clISt17integral_constantIbLb1EES11_EEDaSW_SX_EUlSW_E_NS1_11comp_targetILNS1_3genE10ELNS1_11target_archE1201ELNS1_3gpuE5ELNS1_3repE0EEENS1_30default_config_static_selectorELNS0_4arch9wavefront6targetE1EEEvT1_
; %bb.0:
	.section	.rodata,"a",@progbits
	.p2align	6, 0x0
	.amdhsa_kernel _ZN7rocprim17ROCPRIM_400000_NS6detail17trampoline_kernelINS0_14default_configENS1_27scan_by_key_config_selectorIisEEZZNS1_16scan_by_key_implILNS1_25lookback_scan_determinismE0ELb1ES3_N6thrust23THRUST_200600_302600_NS6detail15normal_iteratorINS9_10device_ptrIiEEEENSB_INSC_IsEEEESG_sNS9_4plusIvEENS9_8equal_toIvEEsEE10hipError_tPvRmT2_T3_T4_T5_mT6_T7_P12ihipStream_tbENKUlT_T0_E_clISt17integral_constantIbLb1EES11_EEDaSW_SX_EUlSW_E_NS1_11comp_targetILNS1_3genE10ELNS1_11target_archE1201ELNS1_3gpuE5ELNS1_3repE0EEENS1_30default_config_static_selectorELNS0_4arch9wavefront6targetE1EEEvT1_
		.amdhsa_group_segment_fixed_size 0
		.amdhsa_private_segment_fixed_size 0
		.amdhsa_kernarg_size 112
		.amdhsa_user_sgpr_count 2
		.amdhsa_user_sgpr_dispatch_ptr 0
		.amdhsa_user_sgpr_queue_ptr 0
		.amdhsa_user_sgpr_kernarg_segment_ptr 1
		.amdhsa_user_sgpr_dispatch_id 0
		.amdhsa_user_sgpr_kernarg_preload_length 0
		.amdhsa_user_sgpr_kernarg_preload_offset 0
		.amdhsa_user_sgpr_private_segment_size 0
		.amdhsa_uses_dynamic_stack 0
		.amdhsa_enable_private_segment 0
		.amdhsa_system_sgpr_workgroup_id_x 1
		.amdhsa_system_sgpr_workgroup_id_y 0
		.amdhsa_system_sgpr_workgroup_id_z 0
		.amdhsa_system_sgpr_workgroup_info 0
		.amdhsa_system_vgpr_workitem_id 0
		.amdhsa_next_free_vgpr 1
		.amdhsa_next_free_sgpr 0
		.amdhsa_accum_offset 4
		.amdhsa_reserve_vcc 0
		.amdhsa_float_round_mode_32 0
		.amdhsa_float_round_mode_16_64 0
		.amdhsa_float_denorm_mode_32 3
		.amdhsa_float_denorm_mode_16_64 3
		.amdhsa_dx10_clamp 1
		.amdhsa_ieee_mode 1
		.amdhsa_fp16_overflow 0
		.amdhsa_tg_split 0
		.amdhsa_exception_fp_ieee_invalid_op 0
		.amdhsa_exception_fp_denorm_src 0
		.amdhsa_exception_fp_ieee_div_zero 0
		.amdhsa_exception_fp_ieee_overflow 0
		.amdhsa_exception_fp_ieee_underflow 0
		.amdhsa_exception_fp_ieee_inexact 0
		.amdhsa_exception_int_div_zero 0
	.end_amdhsa_kernel
	.section	.text._ZN7rocprim17ROCPRIM_400000_NS6detail17trampoline_kernelINS0_14default_configENS1_27scan_by_key_config_selectorIisEEZZNS1_16scan_by_key_implILNS1_25lookback_scan_determinismE0ELb1ES3_N6thrust23THRUST_200600_302600_NS6detail15normal_iteratorINS9_10device_ptrIiEEEENSB_INSC_IsEEEESG_sNS9_4plusIvEENS9_8equal_toIvEEsEE10hipError_tPvRmT2_T3_T4_T5_mT6_T7_P12ihipStream_tbENKUlT_T0_E_clISt17integral_constantIbLb1EES11_EEDaSW_SX_EUlSW_E_NS1_11comp_targetILNS1_3genE10ELNS1_11target_archE1201ELNS1_3gpuE5ELNS1_3repE0EEENS1_30default_config_static_selectorELNS0_4arch9wavefront6targetE1EEEvT1_,"axG",@progbits,_ZN7rocprim17ROCPRIM_400000_NS6detail17trampoline_kernelINS0_14default_configENS1_27scan_by_key_config_selectorIisEEZZNS1_16scan_by_key_implILNS1_25lookback_scan_determinismE0ELb1ES3_N6thrust23THRUST_200600_302600_NS6detail15normal_iteratorINS9_10device_ptrIiEEEENSB_INSC_IsEEEESG_sNS9_4plusIvEENS9_8equal_toIvEEsEE10hipError_tPvRmT2_T3_T4_T5_mT6_T7_P12ihipStream_tbENKUlT_T0_E_clISt17integral_constantIbLb1EES11_EEDaSW_SX_EUlSW_E_NS1_11comp_targetILNS1_3genE10ELNS1_11target_archE1201ELNS1_3gpuE5ELNS1_3repE0EEENS1_30default_config_static_selectorELNS0_4arch9wavefront6targetE1EEEvT1_,comdat
.Lfunc_end1617:
	.size	_ZN7rocprim17ROCPRIM_400000_NS6detail17trampoline_kernelINS0_14default_configENS1_27scan_by_key_config_selectorIisEEZZNS1_16scan_by_key_implILNS1_25lookback_scan_determinismE0ELb1ES3_N6thrust23THRUST_200600_302600_NS6detail15normal_iteratorINS9_10device_ptrIiEEEENSB_INSC_IsEEEESG_sNS9_4plusIvEENS9_8equal_toIvEEsEE10hipError_tPvRmT2_T3_T4_T5_mT6_T7_P12ihipStream_tbENKUlT_T0_E_clISt17integral_constantIbLb1EES11_EEDaSW_SX_EUlSW_E_NS1_11comp_targetILNS1_3genE10ELNS1_11target_archE1201ELNS1_3gpuE5ELNS1_3repE0EEENS1_30default_config_static_selectorELNS0_4arch9wavefront6targetE1EEEvT1_, .Lfunc_end1617-_ZN7rocprim17ROCPRIM_400000_NS6detail17trampoline_kernelINS0_14default_configENS1_27scan_by_key_config_selectorIisEEZZNS1_16scan_by_key_implILNS1_25lookback_scan_determinismE0ELb1ES3_N6thrust23THRUST_200600_302600_NS6detail15normal_iteratorINS9_10device_ptrIiEEEENSB_INSC_IsEEEESG_sNS9_4plusIvEENS9_8equal_toIvEEsEE10hipError_tPvRmT2_T3_T4_T5_mT6_T7_P12ihipStream_tbENKUlT_T0_E_clISt17integral_constantIbLb1EES11_EEDaSW_SX_EUlSW_E_NS1_11comp_targetILNS1_3genE10ELNS1_11target_archE1201ELNS1_3gpuE5ELNS1_3repE0EEENS1_30default_config_static_selectorELNS0_4arch9wavefront6targetE1EEEvT1_
                                        ; -- End function
	.section	.AMDGPU.csdata,"",@progbits
; Kernel info:
; codeLenInByte = 0
; NumSgprs: 6
; NumVgprs: 0
; NumAgprs: 0
; TotalNumVgprs: 0
; ScratchSize: 0
; MemoryBound: 0
; FloatMode: 240
; IeeeMode: 1
; LDSByteSize: 0 bytes/workgroup (compile time only)
; SGPRBlocks: 0
; VGPRBlocks: 0
; NumSGPRsForWavesPerEU: 6
; NumVGPRsForWavesPerEU: 1
; AccumOffset: 4
; Occupancy: 8
; WaveLimiterHint : 0
; COMPUTE_PGM_RSRC2:SCRATCH_EN: 0
; COMPUTE_PGM_RSRC2:USER_SGPR: 2
; COMPUTE_PGM_RSRC2:TRAP_HANDLER: 0
; COMPUTE_PGM_RSRC2:TGID_X_EN: 1
; COMPUTE_PGM_RSRC2:TGID_Y_EN: 0
; COMPUTE_PGM_RSRC2:TGID_Z_EN: 0
; COMPUTE_PGM_RSRC2:TIDIG_COMP_CNT: 0
; COMPUTE_PGM_RSRC3_GFX90A:ACCUM_OFFSET: 0
; COMPUTE_PGM_RSRC3_GFX90A:TG_SPLIT: 0
	.section	.text._ZN7rocprim17ROCPRIM_400000_NS6detail17trampoline_kernelINS0_14default_configENS1_27scan_by_key_config_selectorIisEEZZNS1_16scan_by_key_implILNS1_25lookback_scan_determinismE0ELb1ES3_N6thrust23THRUST_200600_302600_NS6detail15normal_iteratorINS9_10device_ptrIiEEEENSB_INSC_IsEEEESG_sNS9_4plusIvEENS9_8equal_toIvEEsEE10hipError_tPvRmT2_T3_T4_T5_mT6_T7_P12ihipStream_tbENKUlT_T0_E_clISt17integral_constantIbLb1EES11_EEDaSW_SX_EUlSW_E_NS1_11comp_targetILNS1_3genE5ELNS1_11target_archE942ELNS1_3gpuE9ELNS1_3repE0EEENS1_30default_config_static_selectorELNS0_4arch9wavefront6targetE1EEEvT1_,"axG",@progbits,_ZN7rocprim17ROCPRIM_400000_NS6detail17trampoline_kernelINS0_14default_configENS1_27scan_by_key_config_selectorIisEEZZNS1_16scan_by_key_implILNS1_25lookback_scan_determinismE0ELb1ES3_N6thrust23THRUST_200600_302600_NS6detail15normal_iteratorINS9_10device_ptrIiEEEENSB_INSC_IsEEEESG_sNS9_4plusIvEENS9_8equal_toIvEEsEE10hipError_tPvRmT2_T3_T4_T5_mT6_T7_P12ihipStream_tbENKUlT_T0_E_clISt17integral_constantIbLb1EES11_EEDaSW_SX_EUlSW_E_NS1_11comp_targetILNS1_3genE5ELNS1_11target_archE942ELNS1_3gpuE9ELNS1_3repE0EEENS1_30default_config_static_selectorELNS0_4arch9wavefront6targetE1EEEvT1_,comdat
	.protected	_ZN7rocprim17ROCPRIM_400000_NS6detail17trampoline_kernelINS0_14default_configENS1_27scan_by_key_config_selectorIisEEZZNS1_16scan_by_key_implILNS1_25lookback_scan_determinismE0ELb1ES3_N6thrust23THRUST_200600_302600_NS6detail15normal_iteratorINS9_10device_ptrIiEEEENSB_INSC_IsEEEESG_sNS9_4plusIvEENS9_8equal_toIvEEsEE10hipError_tPvRmT2_T3_T4_T5_mT6_T7_P12ihipStream_tbENKUlT_T0_E_clISt17integral_constantIbLb1EES11_EEDaSW_SX_EUlSW_E_NS1_11comp_targetILNS1_3genE5ELNS1_11target_archE942ELNS1_3gpuE9ELNS1_3repE0EEENS1_30default_config_static_selectorELNS0_4arch9wavefront6targetE1EEEvT1_ ; -- Begin function _ZN7rocprim17ROCPRIM_400000_NS6detail17trampoline_kernelINS0_14default_configENS1_27scan_by_key_config_selectorIisEEZZNS1_16scan_by_key_implILNS1_25lookback_scan_determinismE0ELb1ES3_N6thrust23THRUST_200600_302600_NS6detail15normal_iteratorINS9_10device_ptrIiEEEENSB_INSC_IsEEEESG_sNS9_4plusIvEENS9_8equal_toIvEEsEE10hipError_tPvRmT2_T3_T4_T5_mT6_T7_P12ihipStream_tbENKUlT_T0_E_clISt17integral_constantIbLb1EES11_EEDaSW_SX_EUlSW_E_NS1_11comp_targetILNS1_3genE5ELNS1_11target_archE942ELNS1_3gpuE9ELNS1_3repE0EEENS1_30default_config_static_selectorELNS0_4arch9wavefront6targetE1EEEvT1_
	.globl	_ZN7rocprim17ROCPRIM_400000_NS6detail17trampoline_kernelINS0_14default_configENS1_27scan_by_key_config_selectorIisEEZZNS1_16scan_by_key_implILNS1_25lookback_scan_determinismE0ELb1ES3_N6thrust23THRUST_200600_302600_NS6detail15normal_iteratorINS9_10device_ptrIiEEEENSB_INSC_IsEEEESG_sNS9_4plusIvEENS9_8equal_toIvEEsEE10hipError_tPvRmT2_T3_T4_T5_mT6_T7_P12ihipStream_tbENKUlT_T0_E_clISt17integral_constantIbLb1EES11_EEDaSW_SX_EUlSW_E_NS1_11comp_targetILNS1_3genE5ELNS1_11target_archE942ELNS1_3gpuE9ELNS1_3repE0EEENS1_30default_config_static_selectorELNS0_4arch9wavefront6targetE1EEEvT1_
	.p2align	8
	.type	_ZN7rocprim17ROCPRIM_400000_NS6detail17trampoline_kernelINS0_14default_configENS1_27scan_by_key_config_selectorIisEEZZNS1_16scan_by_key_implILNS1_25lookback_scan_determinismE0ELb1ES3_N6thrust23THRUST_200600_302600_NS6detail15normal_iteratorINS9_10device_ptrIiEEEENSB_INSC_IsEEEESG_sNS9_4plusIvEENS9_8equal_toIvEEsEE10hipError_tPvRmT2_T3_T4_T5_mT6_T7_P12ihipStream_tbENKUlT_T0_E_clISt17integral_constantIbLb1EES11_EEDaSW_SX_EUlSW_E_NS1_11comp_targetILNS1_3genE5ELNS1_11target_archE942ELNS1_3gpuE9ELNS1_3repE0EEENS1_30default_config_static_selectorELNS0_4arch9wavefront6targetE1EEEvT1_,@function
_ZN7rocprim17ROCPRIM_400000_NS6detail17trampoline_kernelINS0_14default_configENS1_27scan_by_key_config_selectorIisEEZZNS1_16scan_by_key_implILNS1_25lookback_scan_determinismE0ELb1ES3_N6thrust23THRUST_200600_302600_NS6detail15normal_iteratorINS9_10device_ptrIiEEEENSB_INSC_IsEEEESG_sNS9_4plusIvEENS9_8equal_toIvEEsEE10hipError_tPvRmT2_T3_T4_T5_mT6_T7_P12ihipStream_tbENKUlT_T0_E_clISt17integral_constantIbLb1EES11_EEDaSW_SX_EUlSW_E_NS1_11comp_targetILNS1_3genE5ELNS1_11target_archE942ELNS1_3gpuE9ELNS1_3repE0EEENS1_30default_config_static_selectorELNS0_4arch9wavefront6targetE1EEEvT1_: ; @_ZN7rocprim17ROCPRIM_400000_NS6detail17trampoline_kernelINS0_14default_configENS1_27scan_by_key_config_selectorIisEEZZNS1_16scan_by_key_implILNS1_25lookback_scan_determinismE0ELb1ES3_N6thrust23THRUST_200600_302600_NS6detail15normal_iteratorINS9_10device_ptrIiEEEENSB_INSC_IsEEEESG_sNS9_4plusIvEENS9_8equal_toIvEEsEE10hipError_tPvRmT2_T3_T4_T5_mT6_T7_P12ihipStream_tbENKUlT_T0_E_clISt17integral_constantIbLb1EES11_EEDaSW_SX_EUlSW_E_NS1_11comp_targetILNS1_3genE5ELNS1_11target_archE942ELNS1_3gpuE9ELNS1_3repE0EEENS1_30default_config_static_selectorELNS0_4arch9wavefront6targetE1EEEvT1_
; %bb.0:
	s_load_dword s74, s[0:1], 0x20
	s_load_dwordx4 s[64:67], s[0:1], 0x28
	s_load_dwordx2 s[72:73], s[0:1], 0x38
	v_cmp_eq_u32_e64 s[52:53], 0, v0
	s_and_saveexec_b64 s[2:3], s[52:53]
	s_cbranch_execz .LBB1618_4
; %bb.1:
	s_mov_b64 s[6:7], exec
	v_mbcnt_lo_u32_b32 v1, s6, 0
	v_mbcnt_hi_u32_b32 v1, s7, v1
	v_cmp_eq_u32_e32 vcc, 0, v1
                                        ; implicit-def: $vgpr2
	s_and_saveexec_b64 s[4:5], vcc
	s_cbranch_execz .LBB1618_3
; %bb.2:
	s_load_dwordx2 s[8:9], s[0:1], 0x68
	s_bcnt1_i32_b64 s6, s[6:7]
	v_mov_b32_e32 v2, 0
	v_mov_b32_e32 v3, s6
	s_waitcnt lgkmcnt(0)
	global_atomic_add v2, v2, v3, s[8:9] sc0
.LBB1618_3:
	s_or_b64 exec, exec, s[4:5]
	s_waitcnt vmcnt(0)
	v_readfirstlane_b32 s4, v2
	v_mov_b32_e32 v2, 0
	s_nop 0
	v_add_u32_e32 v1, s4, v1
	ds_write_b32 v2, v1
.LBB1618_4:
	s_or_b64 exec, exec, s[2:3]
	s_load_dwordx8 s[56:63], s[0:1], 0x0
	s_load_dword s2, s[0:1], 0x40
	s_load_dwordx4 s[68:71], s[0:1], 0x48
	v_mov_b32_e32 v3, 0
	s_waitcnt lgkmcnt(0)
	s_lshl_b64 s[0:1], s[58:59], 2
	s_barrier
	ds_read_b32 v2, v3
	s_add_u32 s0, s56, s0
	s_addc_u32 s1, s57, s1
	s_lshl_b64 s[54:55], s[58:59], 1
	s_add_u32 s4, s60, s54
	s_mul_i32 s3, s73, s2
	s_mul_hi_u32 s6, s72, s2
	s_addc_u32 s5, s61, s55
	s_add_i32 s3, s6, s3
	s_movk_i32 s6, 0x1800
	s_waitcnt lgkmcnt(0)
	v_mul_lo_u32 v4, v2, s6
	v_mov_b32_e32 v5, v3
	v_lshlrev_b64 v[50:51], 1, v[4:5]
	s_mul_i32 s2, s72, s2
	v_lshl_add_u64 v[52:53], s[4:5], 0, v[50:51]
	s_add_u32 s4, s68, -1
	v_readfirstlane_b32 s67, v2
	v_lshl_add_u64 v[2:3], s[2:3], 0, v[2:3]
	s_addc_u32 s5, s69, -1
	v_lshlrev_b64 v[6:7], 2, v[4:5]
	v_cmp_le_u64_e64 s[2:3], s[4:5], v[2:3]
	v_lshl_add_u64 v[54:55], s[0:1], 0, v[6:7]
	s_mov_b64 s[0:1], -1
	s_and_b64 vcc, exec, s[2:3]
	s_mul_i32 s33, s4, 0xffffe800
	s_barrier
	s_barrier
	s_cbranch_vccz .LBB1618_130
; %bb.5:
	flat_load_dword v2, v[54:55]
	s_add_i32 s68, s33, s66
	v_cmp_gt_u32_e32 vcc, s68, v0
	s_waitcnt vmcnt(0) lgkmcnt(0)
	v_mov_b32_e32 v3, v2
	s_and_saveexec_b64 s[0:1], vcc
	s_cbranch_execz .LBB1618_7
; %bb.6:
	v_lshlrev_b32_e32 v4, 2, v0
	v_mov_b32_e32 v5, 0
	v_lshl_add_u64 v[4:5], v[54:55], 0, v[4:5]
	flat_load_dword v3, v[4:5]
.LBB1618_7:
	s_or_b64 exec, exec, s[0:1]
	v_or_b32_e32 v1, 0x100, v0
	v_cmp_gt_u32_e64 s[4:5], s68, v1
	v_mov_b32_e32 v19, v2
	s_and_saveexec_b64 s[0:1], s[4:5]
	s_cbranch_execz .LBB1618_9
; %bb.8:
	v_lshlrev_b32_e32 v4, 2, v0
	v_mov_b32_e32 v5, 0
	v_lshl_add_u64 v[4:5], v[54:55], 0, v[4:5]
	flat_load_dword v19, v[4:5] offset:1024
.LBB1618_9:
	s_or_b64 exec, exec, s[0:1]
	v_or_b32_e32 v1, 0x200, v0
	v_cmp_gt_u32_e64 s[6:7], s68, v1
	v_mov_b32_e32 v20, v2
	s_and_saveexec_b64 s[0:1], s[6:7]
	s_cbranch_execz .LBB1618_11
; %bb.10:
	v_lshlrev_b32_e32 v4, 2, v0
	v_mov_b32_e32 v5, 0
	v_lshl_add_u64 v[4:5], v[54:55], 0, v[4:5]
	flat_load_dword v20, v[4:5] offset:2048
.LBB1618_11:
	;; [unrolled: 12-line block ×3, first 2 shown]
	s_or_b64 exec, exec, s[0:1]
	v_or_b32_e32 v1, 0x400, v0
	v_cmp_gt_u32_e64 s[10:11], s68, v1
	v_mov_b32_e32 v22, v2
	s_and_saveexec_b64 s[0:1], s[10:11]
	s_cbranch_execz .LBB1618_15
; %bb.14:
	v_lshlrev_b32_e32 v4, 2, v1
	v_mov_b32_e32 v5, 0
	v_lshl_add_u64 v[4:5], v[54:55], 0, v[4:5]
	flat_load_dword v22, v[4:5]
.LBB1618_15:
	s_or_b64 exec, exec, s[0:1]
	v_or_b32_e32 v1, 0x500, v0
	v_cmp_gt_u32_e64 s[12:13], s68, v1
	v_mov_b32_e32 v23, v2
	s_and_saveexec_b64 s[0:1], s[12:13]
	s_cbranch_execz .LBB1618_17
; %bb.16:
	v_lshlrev_b32_e32 v4, 2, v1
	v_mov_b32_e32 v5, 0
	v_lshl_add_u64 v[4:5], v[54:55], 0, v[4:5]
	flat_load_dword v23, v[4:5]
.LBB1618_17:
	;; [unrolled: 12-line block ×19, first 2 shown]
	s_or_b64 exec, exec, s[0:1]
	v_or_b32_e32 v18, 0x1700, v0
	v_cmp_gt_u32_e64 s[50:51], s68, v18
	s_and_saveexec_b64 s[0:1], s[50:51]
	s_cbranch_execz .LBB1618_53
; %bb.52:
	v_lshlrev_b32_e32 v42, 2, v18
	v_mov_b32_e32 v43, 0
	v_lshl_add_u64 v[42:43], v[54:55], 0, v[42:43]
	flat_load_dword v2, v[42:43]
.LBB1618_53:
	s_or_b64 exec, exec, s[0:1]
	v_lshlrev_b32_e32 v46, 2, v0
	s_waitcnt vmcnt(0) lgkmcnt(0)
	ds_write2st64_b32 v46, v3, v19 offset1:4
	ds_write2st64_b32 v46, v20, v21 offset0:8 offset1:12
	ds_write2st64_b32 v46, v22, v23 offset0:16 offset1:20
	;; [unrolled: 1-line block ×11, first 2 shown]
	s_waitcnt lgkmcnt(0)
	s_barrier
	flat_load_dword v58, v[54:55]
	s_movk_i32 s0, 0x5c
	v_mad_u32_u24 v2, v0, s0, v46
	s_movk_i32 s0, 0xffa4
	v_mad_i32_i24 v19, v0, s0, v2
	s_movk_i32 s0, 0xff
	v_cmp_ne_u32_e64 s[0:1], s0, v0
	ds_read_b128 v[42:45], v2
	ds_read_b128 v[38:41], v2 offset:16
	ds_read_b128 v[34:37], v2 offset:32
	;; [unrolled: 1-line block ×5, first 2 shown]
	s_waitcnt lgkmcnt(0)
	ds_write_b32 v19, v42 offset:25600
	s_waitcnt lgkmcnt(0)
	s_barrier
	s_and_saveexec_b64 s[56:57], s[0:1]
	s_cbranch_execz .LBB1618_55
; %bb.54:
	s_waitcnt vmcnt(0)
	ds_read_b32 v58, v46 offset:25604
.LBB1618_55:
	s_or_b64 exec, exec, s[56:57]
	v_mov_b32_e32 v3, 0
	s_waitcnt lgkmcnt(0)
	s_barrier
	s_waitcnt lgkmcnt(0)
                                        ; implicit-def: $vgpr2
	s_and_saveexec_b64 s[0:1], vcc
	s_cbranch_execz .LBB1618_209
; %bb.56:
	v_lshlrev_b32_e32 v2, 1, v0
	v_lshl_add_u64 v[2:3], v[52:53], 0, v[2:3]
	flat_load_ushort v2, v[2:3]
	s_or_b64 exec, exec, s[0:1]
                                        ; implicit-def: $vgpr3
	s_and_saveexec_b64 s[0:1], s[4:5]
	s_cbranch_execnz .LBB1618_210
.LBB1618_57:
	s_or_b64 exec, exec, s[0:1]
                                        ; implicit-def: $vgpr20
	s_and_saveexec_b64 s[0:1], s[6:7]
	s_cbranch_execz .LBB1618_211
.LBB1618_58:
	v_lshlrev_b32_e32 v20, 1, v0
	v_mov_b32_e32 v21, 0
	v_lshl_add_u64 v[20:21], v[52:53], 0, v[20:21]
	flat_load_ushort v20, v[20:21] offset:1024
	s_or_b64 exec, exec, s[0:1]
                                        ; implicit-def: $vgpr21
	s_and_saveexec_b64 s[0:1], s[8:9]
	s_cbranch_execnz .LBB1618_212
.LBB1618_59:
	s_or_b64 exec, exec, s[0:1]
                                        ; implicit-def: $vgpr46
	s_and_saveexec_b64 s[0:1], s[10:11]
	s_cbranch_execz .LBB1618_213
.LBB1618_60:
	v_lshlrev_b32_e32 v46, 1, v0
	v_mov_b32_e32 v47, 0
	v_lshl_add_u64 v[46:47], v[52:53], 0, v[46:47]
	flat_load_ushort v46, v[46:47] offset:2048
	s_or_b64 exec, exec, s[0:1]
                                        ; implicit-def: $vgpr47
	s_and_saveexec_b64 s[0:1], s[12:13]
	s_cbranch_execnz .LBB1618_214
.LBB1618_61:
	s_or_b64 exec, exec, s[0:1]
                                        ; implicit-def: $vgpr48
	s_and_saveexec_b64 s[0:1], s[14:15]
	s_cbranch_execz .LBB1618_215
.LBB1618_62:
	v_lshlrev_b32_e32 v48, 1, v0
	v_mov_b32_e32 v49, 0
	v_lshl_add_u64 v[48:49], v[52:53], 0, v[48:49]
	flat_load_ushort v48, v[48:49] offset:3072
	s_or_b64 exec, exec, s[0:1]
                                        ; implicit-def: $vgpr49
	s_and_saveexec_b64 s[0:1], s[16:17]
	s_cbranch_execnz .LBB1618_216
.LBB1618_63:
	s_or_b64 exec, exec, s[0:1]
                                        ; implicit-def: $vgpr56
	s_and_saveexec_b64 s[0:1], s[18:19]
	s_cbranch_execz .LBB1618_217
.LBB1618_64:
	v_lshlrev_b32_e32 v56, 1, v1
	v_mov_b32_e32 v57, 0
	v_lshl_add_u64 v[56:57], v[52:53], 0, v[56:57]
	flat_load_ushort v56, v[56:57]
	s_or_b64 exec, exec, s[0:1]
                                        ; implicit-def: $vgpr1
	s_and_saveexec_b64 s[0:1], s[20:21]
	s_cbranch_execnz .LBB1618_218
.LBB1618_65:
	s_or_b64 exec, exec, s[0:1]
                                        ; implicit-def: $vgpr4
	s_and_saveexec_b64 s[0:1], s[22:23]
	s_cbranch_execz .LBB1618_219
.LBB1618_66:
	v_lshlrev_b32_e32 v4, 1, v5
	v_mov_b32_e32 v5, 0
	v_lshl_add_u64 v[4:5], v[52:53], 0, v[4:5]
	flat_load_ushort v4, v[4:5]
	s_or_b64 exec, exec, s[0:1]
                                        ; implicit-def: $vgpr5
	s_and_saveexec_b64 s[0:1], s[24:25]
	s_cbranch_execnz .LBB1618_220
.LBB1618_67:
	s_or_b64 exec, exec, s[0:1]
                                        ; implicit-def: $vgpr6
	s_and_saveexec_b64 s[0:1], s[26:27]
	s_cbranch_execz .LBB1618_221
.LBB1618_68:
	v_lshlrev_b32_e32 v6, 1, v7
	v_mov_b32_e32 v7, 0
	v_lshl_add_u64 v[6:7], v[52:53], 0, v[6:7]
	flat_load_ushort v6, v[6:7]
	s_or_b64 exec, exec, s[0:1]
                                        ; implicit-def: $vgpr7
	s_and_saveexec_b64 s[0:1], s[28:29]
	s_cbranch_execnz .LBB1618_222
.LBB1618_69:
	s_or_b64 exec, exec, s[0:1]
                                        ; implicit-def: $vgpr8
	s_and_saveexec_b64 s[0:1], s[30:31]
	s_cbranch_execz .LBB1618_223
.LBB1618_70:
	v_lshlrev_b32_e32 v8, 1, v9
	v_mov_b32_e32 v9, 0
	v_lshl_add_u64 v[8:9], v[52:53], 0, v[8:9]
	flat_load_ushort v8, v[8:9]
	s_or_b64 exec, exec, s[0:1]
                                        ; implicit-def: $vgpr9
	s_and_saveexec_b64 s[0:1], s[34:35]
	s_cbranch_execnz .LBB1618_224
.LBB1618_71:
	s_or_b64 exec, exec, s[0:1]
                                        ; implicit-def: $vgpr10
	s_and_saveexec_b64 s[0:1], s[36:37]
	s_cbranch_execz .LBB1618_225
.LBB1618_72:
	v_lshlrev_b32_e32 v10, 1, v11
	v_mov_b32_e32 v11, 0
	v_lshl_add_u64 v[10:11], v[52:53], 0, v[10:11]
	flat_load_ushort v10, v[10:11]
	s_or_b64 exec, exec, s[0:1]
                                        ; implicit-def: $vgpr11
	s_and_saveexec_b64 s[0:1], s[38:39]
	s_cbranch_execnz .LBB1618_226
.LBB1618_73:
	s_or_b64 exec, exec, s[0:1]
                                        ; implicit-def: $vgpr12
	s_and_saveexec_b64 s[0:1], s[40:41]
	s_cbranch_execz .LBB1618_227
.LBB1618_74:
	v_lshlrev_b32_e32 v12, 1, v13
	v_mov_b32_e32 v13, 0
	v_lshl_add_u64 v[12:13], v[52:53], 0, v[12:13]
	flat_load_ushort v12, v[12:13]
	s_or_b64 exec, exec, s[0:1]
                                        ; implicit-def: $vgpr13
	s_and_saveexec_b64 s[0:1], s[42:43]
	s_cbranch_execnz .LBB1618_228
.LBB1618_75:
	s_or_b64 exec, exec, s[0:1]
                                        ; implicit-def: $vgpr14
	s_and_saveexec_b64 s[0:1], s[44:45]
	s_cbranch_execz .LBB1618_229
.LBB1618_76:
	v_lshlrev_b32_e32 v14, 1, v15
	v_mov_b32_e32 v15, 0
	v_lshl_add_u64 v[14:15], v[52:53], 0, v[14:15]
	flat_load_ushort v14, v[14:15]
	s_or_b64 exec, exec, s[0:1]
                                        ; implicit-def: $vgpr15
	s_and_saveexec_b64 s[0:1], s[46:47]
	s_cbranch_execnz .LBB1618_230
.LBB1618_77:
	s_or_b64 exec, exec, s[0:1]
                                        ; implicit-def: $vgpr16
	s_and_saveexec_b64 s[0:1], s[48:49]
	s_cbranch_execz .LBB1618_79
.LBB1618_78:
	v_lshlrev_b32_e32 v16, 1, v17
	v_mov_b32_e32 v17, 0
	v_lshl_add_u64 v[16:17], v[52:53], 0, v[16:17]
	flat_load_ushort v16, v[16:17]
.LBB1618_79:
	s_or_b64 exec, exec, s[0:1]
	v_mul_u32_u24_e32 v60, 24, v0
                                        ; implicit-def: $vgpr17
	s_and_saveexec_b64 s[0:1], s[50:51]
	s_cbranch_execz .LBB1618_81
; %bb.80:
	v_lshlrev_b32_e32 v62, 1, v18
	v_mov_b32_e32 v63, 0
	v_lshl_add_u64 v[62:63], v[52:53], 0, v[62:63]
	flat_load_ushort v17, v[62:63]
.LBB1618_81:
	s_or_b64 exec, exec, s[0:1]
	v_lshlrev_b32_e32 v18, 1, v0
	s_mov_b32 s4, 0
	v_sub_u32_e32 v61, v19, v18
	s_mov_b32 s5, s4
	s_waitcnt vmcnt(0) lgkmcnt(0)
	ds_write_b16 v61, v2
	ds_write_b16 v61, v3 offset:512
	ds_write_b16 v61, v20 offset:1024
	;; [unrolled: 1-line block ×23, first 2 shown]
	s_mov_b32 s6, s4
	s_mov_b32 s7, s4
	;; [unrolled: 1-line block ×6, first 2 shown]
	v_mov_b64_e32 v[2:3], s[4:5]
	s_mov_b32 s14, s4
	s_mov_b32 s15, s4
	v_mov_b64_e32 v[8:9], s[10:11]
	s_mov_b32 s12, s4
	s_mov_b32 s13, s4
	v_mov_b64_e32 v[20:21], s[14:15]
	v_mov_b64_e32 v[4:5], s[6:7]
	;; [unrolled: 1-line block ×4, first 2 shown]
	v_cmp_gt_u32_e32 vcc, s68, v60
	s_mov_b64 s[0:1], 0
	v_mov_b64_e32 v[18:19], s[12:13]
	v_mov_b32_e32 v1, 0
	s_mov_b64 s[10:11], 0
	v_mov_b64_e32 v[14:15], v[6:7]
	v_mov_b64_e32 v[12:13], v[4:5]
	;; [unrolled: 1-line block ×3, first 2 shown]
	v_mov_b32_e32 v56, 0
	v_mov_b32_e32 v57, 0
	s_waitcnt lgkmcnt(0)
	s_barrier
	s_waitcnt lgkmcnt(0)
                                        ; implicit-def: $sgpr8_sgpr9
                                        ; implicit-def: $vgpr59
	s_and_saveexec_b64 s[6:7], vcc
	s_cbranch_execz .LBB1618_129
; %bb.82:
	v_mad_u32_u24 v1, v0, 46, v61
	ds_read_u16 v1, v1
	v_mov_b32_e32 v3, s74
	v_cmp_eq_u32_e32 vcc, v42, v43
	s_mov_b32 s8, 0
	v_or_b32_e32 v2, 1, v60
	s_waitcnt lgkmcnt(0)
	v_cndmask_b32_e32 v1, v3, v1, vcc
	v_cmp_ne_u32_e32 vcc, v42, v43
	v_and_b32_e32 v1, 0xffff, v1
	s_mov_b32 s9, s8
	v_cndmask_b32_e64 v3, 0, 1, vcc
	v_lshl_or_b32 v1, v3, 16, v1
	v_cmp_gt_u32_e32 vcc, s68, v2
	s_mov_b32 s10, s8
	s_mov_b32 s11, s8
	;; [unrolled: 1-line block ×6, first 2 shown]
	v_mov_b64_e32 v[2:3], s[8:9]
	s_mov_b32 s18, s8
	s_mov_b32 s19, s8
	v_mov_b64_e32 v[8:9], s[14:15]
	s_mov_b32 s16, s8
	s_mov_b32 s17, s8
	v_mov_b64_e32 v[20:21], s[18:19]
	v_mov_b64_e32 v[4:5], s[10:11]
	;; [unrolled: 1-line block ×4, first 2 shown]
	s_mov_b64 s[22:23], 0
	v_mov_b64_e32 v[18:19], s[16:17]
	v_mov_b32_e32 v56, 0
	v_mov_b64_e32 v[14:15], v[6:7]
	v_mov_b64_e32 v[12:13], v[4:5]
	;; [unrolled: 1-line block ×3, first 2 shown]
	v_mov_b32_e32 v57, 0
                                        ; implicit-def: $sgpr24_sgpr25
                                        ; implicit-def: $vgpr59
	s_and_saveexec_b64 s[20:21], vcc
	s_cbranch_execz .LBB1618_128
; %bb.83:
	v_mul_u32_u24_e32 v2, 46, v0
	v_add_u32_e32 v42, v61, v2
	ds_read_b128 v[46:49], v42 offset:2
	v_mov_b32_e32 v3, s74
	v_cmp_eq_u32_e32 vcc, v43, v44
	v_or_b32_e32 v2, 2, v60
	v_mov_b64_e32 v[20:21], s[18:19]
	s_waitcnt lgkmcnt(0)
	v_cndmask_b32_e32 v3, v3, v46, vcc
	v_cmp_ne_u32_e32 vcc, v43, v44
	v_and_b32_e32 v3, 0xffff, v3
	v_mov_b64_e32 v[18:19], s[16:17]
	v_cndmask_b32_e64 v4, 0, 1, vcc
	v_lshl_or_b32 v56, v4, 16, v3
	v_cmp_gt_u32_e32 vcc, s68, v2
	v_mov_b64_e32 v[2:3], s[8:9]
	v_mov_b64_e32 v[8:9], s[14:15]
	;; [unrolled: 1-line block ×5, first 2 shown]
	v_mov_b32_e32 v57, 0
	v_mov_b64_e32 v[14:15], v[6:7]
	v_mov_b64_e32 v[12:13], v[4:5]
	;; [unrolled: 1-line block ×3, first 2 shown]
                                        ; implicit-def: $sgpr8_sgpr9
                                        ; implicit-def: $vgpr59
	s_and_saveexec_b64 s[16:17], vcc
	s_cbranch_execz .LBB1618_127
; %bb.84:
	v_lshrrev_b32_e32 v2, 16, v46
	v_mov_b32_e32 v4, s74
	v_cmp_eq_u32_e32 vcc, v44, v45
	s_mov_b32 s8, 0
	v_or_b32_e32 v3, 3, v60
	v_cndmask_b32_e32 v2, v4, v2, vcc
	v_cmp_ne_u32_e32 vcc, v44, v45
	v_and_b32_e32 v2, 0xffff, v2
	s_mov_b32 s9, s8
	v_cndmask_b32_e64 v4, 0, 1, vcc
	v_lshl_or_b32 v21, v4, 16, v2
	v_cmp_gt_u32_e32 vcc, s68, v3
	s_mov_b32 s10, s8
	s_mov_b32 s11, s8
	;; [unrolled: 1-line block ×6, first 2 shown]
	v_mov_b64_e32 v[2:3], s[8:9]
	v_mov_b64_e32 v[8:9], s[14:15]
	v_mov_b32_e32 v18, 0
	v_mov_b64_e32 v[4:5], s[10:11]
	v_mov_b64_e32 v[6:7], s[12:13]
	v_mov_b64_e32 v[16:17], v[8:9]
	v_mov_b32_e32 v19, v18
	v_mov_b32_e32 v20, v18
	v_mov_b64_e32 v[14:15], v[6:7]
	v_mov_b64_e32 v[12:13], v[4:5]
	;; [unrolled: 1-line block ×3, first 2 shown]
	v_mov_b32_e32 v57, v18
                                        ; implicit-def: $sgpr26_sgpr27
                                        ; implicit-def: $vgpr59
	s_and_saveexec_b64 s[18:19], vcc
	s_cbranch_execz .LBB1618_126
; %bb.85:
	v_mov_b32_e32 v3, s74
	v_cmp_eq_u32_e32 vcc, v45, v38
	v_or_b32_e32 v2, 4, v60
	v_mov_b32_e32 v18, 0
	v_cndmask_b32_e32 v3, v3, v47, vcc
	v_cmp_ne_u32_e32 vcc, v45, v38
	v_and_b32_e32 v3, 0xffff, v3
	v_mov_b32_e32 v19, v18
	v_cndmask_b32_e64 v4, 0, 1, vcc
	v_lshl_or_b32 v20, v4, 16, v3
	v_cmp_gt_u32_e32 vcc, s68, v2
	v_mov_b64_e32 v[2:3], s[8:9]
	v_mov_b64_e32 v[8:9], s[14:15]
	;; [unrolled: 1-line block ×5, first 2 shown]
	s_mov_b64 s[24:25], 0
	v_mov_b64_e32 v[14:15], v[6:7]
	v_mov_b64_e32 v[12:13], v[4:5]
	;; [unrolled: 1-line block ×3, first 2 shown]
	v_mov_b32_e32 v57, v18
                                        ; implicit-def: $sgpr8_sgpr9
                                        ; implicit-def: $vgpr59
	s_and_saveexec_b64 s[22:23], vcc
	s_cbranch_execz .LBB1618_125
; %bb.86:
	v_lshrrev_b32_e32 v2, 16, v47
	v_mov_b32_e32 v4, s74
	v_cmp_eq_u32_e32 vcc, v38, v39
	s_mov_b32 s8, 0
	v_or_b32_e32 v3, 5, v60
	v_cndmask_b32_e32 v2, v4, v2, vcc
	v_cmp_ne_u32_e32 vcc, v38, v39
	v_and_b32_e32 v2, 0xffff, v2
	s_mov_b32 s9, s8
	v_cndmask_b32_e64 v4, 0, 1, vcc
	v_lshl_or_b32 v19, v4, 16, v2
	v_cmp_gt_u32_e32 vcc, s68, v3
	s_mov_b32 s10, s8
	s_mov_b32 s11, s8
	;; [unrolled: 1-line block ×6, first 2 shown]
	v_mov_b64_e32 v[2:3], s[8:9]
	v_mov_b64_e32 v[8:9], s[14:15]
	;; [unrolled: 1-line block ×5, first 2 shown]
	v_mov_b32_e32 v18, s8
	s_mov_b64 s[26:27], 0
	v_mov_b32_e32 v57, 0
	v_mov_b64_e32 v[14:15], v[6:7]
	v_mov_b64_e32 v[12:13], v[4:5]
	;; [unrolled: 1-line block ×3, first 2 shown]
                                        ; implicit-def: $sgpr30_sgpr31
                                        ; implicit-def: $vgpr59
	s_and_saveexec_b64 s[24:25], vcc
	s_cbranch_execz .LBB1618_124
; %bb.87:
	v_mov_b32_e32 v3, s74
	v_cmp_eq_u32_e32 vcc, v39, v40
	v_or_b32_e32 v2, 6, v60
	s_mov_b64 s[28:29], 0
	v_cndmask_b32_e32 v3, v3, v48, vcc
	v_cmp_ne_u32_e32 vcc, v39, v40
	v_and_b32_e32 v3, 0xffff, v3
	v_mov_b32_e32 v57, 0
	v_cndmask_b32_e64 v4, 0, 1, vcc
	v_lshl_or_b32 v18, v4, 16, v3
	v_cmp_gt_u32_e32 vcc, s68, v2
	v_mov_b64_e32 v[2:3], s[8:9]
	v_mov_b64_e32 v[8:9], s[14:15]
	;; [unrolled: 1-line block ×8, first 2 shown]
                                        ; implicit-def: $sgpr8_sgpr9
                                        ; implicit-def: $vgpr59
	s_and_saveexec_b64 s[26:27], vcc
	s_cbranch_execz .LBB1618_123
; %bb.88:
	v_lshrrev_b32_e32 v2, 16, v48
	v_mov_b32_e32 v4, s74
	v_cmp_eq_u32_e32 vcc, v40, v41
	s_mov_b32 s8, 0
	v_or_b32_e32 v3, 7, v60
	v_cndmask_b32_e32 v2, v4, v2, vcc
	v_cmp_ne_u32_e32 vcc, v40, v41
	v_and_b32_e32 v2, 0xffff, v2
	s_mov_b32 s9, s8
	v_cndmask_b32_e64 v4, 0, 1, vcc
	v_lshl_or_b32 v57, v4, 16, v2
	v_cmp_gt_u32_e32 vcc, s68, v3
	s_mov_b32 s10, s8
	s_mov_b32 s11, s8
	;; [unrolled: 1-line block ×6, first 2 shown]
	v_mov_b64_e32 v[2:3], s[8:9]
	v_mov_b64_e32 v[8:9], s[14:15]
	;; [unrolled: 1-line block ×5, first 2 shown]
	s_mov_b64 s[30:31], 0
	v_mov_b64_e32 v[14:15], v[6:7]
	v_mov_b64_e32 v[12:13], v[4:5]
	;; [unrolled: 1-line block ×3, first 2 shown]
                                        ; implicit-def: $sgpr36_sgpr37
                                        ; implicit-def: $vgpr59
	s_and_saveexec_b64 s[28:29], vcc
	s_cbranch_execz .LBB1618_122
; %bb.89:
	v_mov_b32_e32 v3, s74
	v_cmp_eq_u32_e32 vcc, v41, v34
	v_add_u32_e32 v2, 8, v60
	v_mov_b64_e32 v[16:17], s[14:15]
	v_cndmask_b32_e32 v3, v3, v49, vcc
	v_cmp_ne_u32_e32 vcc, v41, v34
	v_and_b32_e32 v3, 0xffff, v3
	s_mov_b64 s[34:35], 0
	v_cndmask_b32_e64 v4, 0, 1, vcc
	v_cmp_gt_u32_e32 vcc, s68, v2
	v_mov_b32_e32 v2, 0
	v_lshl_or_b32 v9, v4, 16, v3
	v_mov_b32_e32 v3, v2
	v_mov_b32_e32 v4, v2
	;; [unrolled: 1-line block ×6, first 2 shown]
	v_mov_b64_e32 v[14:15], s[12:13]
	v_mov_b64_e32 v[12:13], s[10:11]
	;; [unrolled: 1-line block ×3, first 2 shown]
                                        ; implicit-def: $sgpr8_sgpr9
                                        ; implicit-def: $vgpr59
	s_and_saveexec_b64 s[30:31], vcc
	s_cbranch_execz .LBB1618_121
; %bb.90:
	v_lshrrev_b32_e32 v3, 16, v49
	v_mov_b32_e32 v5, s74
	v_cmp_eq_u32_e32 vcc, v34, v35
	s_mov_b32 s8, 0
	s_mov_b32 s14, s8
	v_cndmask_b32_e32 v3, v5, v3, vcc
	v_cmp_ne_u32_e32 vcc, v34, v35
	s_mov_b32 s15, s8
	v_add_u32_e32 v4, 9, v60
	v_and_b32_e32 v3, 0xffff, v3
	v_cndmask_b32_e64 v5, 0, 1, vcc
	s_mov_b32 s9, s8
	s_mov_b32 s10, s8
	;; [unrolled: 1-line block ×5, first 2 shown]
	v_mov_b64_e32 v[16:17], s[14:15]
	v_lshl_or_b32 v8, v5, 16, v3
	v_cmp_gt_u32_e32 vcc, s68, v4
	v_mov_b32_e32 v3, v2
	v_mov_b32_e32 v4, v2
	;; [unrolled: 1-line block ×5, first 2 shown]
	s_mov_b64 s[36:37], 0
	v_mov_b64_e32 v[14:15], s[12:13]
	v_mov_b64_e32 v[12:13], s[10:11]
	;; [unrolled: 1-line block ×3, first 2 shown]
                                        ; implicit-def: $sgpr40_sgpr41
                                        ; implicit-def: $vgpr59
	s_and_saveexec_b64 s[34:35], vcc
	s_cbranch_execz .LBB1618_120
; %bb.91:
	ds_read_b128 v[38:41], v42 offset:18
	v_mov_b32_e32 v3, s74
	v_cmp_eq_u32_e32 vcc, v35, v36
	v_add_u32_e32 v2, 10, v60
	v_mov_b64_e32 v[16:17], s[14:15]
	s_waitcnt lgkmcnt(0)
	v_cndmask_b32_e32 v3, v3, v38, vcc
	v_cmp_ne_u32_e32 vcc, v35, v36
	v_and_b32_e32 v3, 0xffff, v3
	s_mov_b64 s[38:39], 0
	v_cndmask_b32_e64 v4, 0, 1, vcc
	v_cmp_gt_u32_e32 vcc, s68, v2
	v_mov_b32_e32 v2, 0
	v_lshl_or_b32 v7, v4, 16, v3
	v_mov_b32_e32 v3, v2
	v_mov_b32_e32 v4, v2
	;; [unrolled: 1-line block ×4, first 2 shown]
	v_mov_b64_e32 v[14:15], s[12:13]
	v_mov_b64_e32 v[12:13], s[10:11]
	;; [unrolled: 1-line block ×3, first 2 shown]
                                        ; implicit-def: $sgpr8_sgpr9
                                        ; implicit-def: $vgpr59
	s_and_saveexec_b64 s[36:37], vcc
	s_cbranch_execz .LBB1618_119
; %bb.92:
	v_lshrrev_b32_e32 v3, 16, v38
	v_mov_b32_e32 v5, s74
	v_cmp_eq_u32_e32 vcc, v36, v37
	s_mov_b32 s8, 0
	s_mov_b32 s14, s8
	v_cndmask_b32_e32 v3, v5, v3, vcc
	v_cmp_ne_u32_e32 vcc, v36, v37
	s_mov_b32 s15, s8
	v_add_u32_e32 v4, 11, v60
	v_and_b32_e32 v3, 0xffff, v3
	v_cndmask_b32_e64 v5, 0, 1, vcc
	s_mov_b32 s9, s8
	s_mov_b32 s10, s8
	;; [unrolled: 1-line block ×5, first 2 shown]
	v_mov_b64_e32 v[16:17], s[14:15]
	v_lshl_or_b32 v6, v5, 16, v3
	v_cmp_gt_u32_e32 vcc, s68, v4
	v_mov_b32_e32 v3, v2
	v_mov_b32_e32 v4, v2
	v_mov_b32_e32 v5, v2
	s_mov_b64 s[40:41], 0
	v_mov_b64_e32 v[14:15], s[12:13]
	v_mov_b64_e32 v[12:13], s[10:11]
	;; [unrolled: 1-line block ×3, first 2 shown]
                                        ; implicit-def: $sgpr44_sgpr45
                                        ; implicit-def: $vgpr59
	s_and_saveexec_b64 s[38:39], vcc
	s_cbranch_execz .LBB1618_118
; %bb.93:
	v_mov_b32_e32 v3, s74
	v_cmp_eq_u32_e32 vcc, v37, v30
	v_add_u32_e32 v2, 12, v60
	v_mov_b64_e32 v[16:17], s[14:15]
	v_cndmask_b32_e32 v3, v3, v39, vcc
	v_cmp_ne_u32_e32 vcc, v37, v30
	v_and_b32_e32 v3, 0xffff, v3
	s_mov_b64 s[42:43], 0
	v_cndmask_b32_e64 v4, 0, 1, vcc
	v_cmp_gt_u32_e32 vcc, s68, v2
	v_mov_b32_e32 v2, 0
	v_lshl_or_b32 v5, v4, 16, v3
	v_mov_b32_e32 v3, v2
	v_mov_b32_e32 v4, v2
	v_mov_b64_e32 v[14:15], s[12:13]
	v_mov_b64_e32 v[12:13], s[10:11]
	;; [unrolled: 1-line block ×3, first 2 shown]
                                        ; implicit-def: $sgpr8_sgpr9
                                        ; implicit-def: $vgpr59
	s_and_saveexec_b64 s[40:41], vcc
	s_cbranch_execz .LBB1618_117
; %bb.94:
	v_lshrrev_b32_e32 v3, 16, v39
	v_mov_b32_e32 v4, s74
	v_cmp_eq_u32_e32 vcc, v30, v31
	s_mov_b32 s8, 0
	v_add_u32_e32 v10, 13, v60
	v_cndmask_b32_e32 v3, v4, v3, vcc
	v_cmp_ne_u32_e32 vcc, v30, v31
	s_mov_b32 s14, s8
	s_mov_b32 s15, s8
	v_and_b32_e32 v3, 0xffff, v3
	v_cndmask_b32_e64 v4, 0, 1, vcc
	v_cmp_gt_u32_e32 vcc, s68, v10
	s_mov_b32 s9, s8
	s_mov_b32 s10, s8
	;; [unrolled: 1-line block ×5, first 2 shown]
	v_mov_b64_e32 v[16:17], s[14:15]
	v_lshl_or_b32 v4, v4, 16, v3
	v_mov_b32_e32 v3, v2
	s_mov_b64 s[44:45], 0
	v_mov_b64_e32 v[14:15], s[12:13]
	v_mov_b64_e32 v[12:13], s[10:11]
	;; [unrolled: 1-line block ×3, first 2 shown]
                                        ; implicit-def: $sgpr46_sgpr47
                                        ; implicit-def: $vgpr59
	s_and_saveexec_b64 s[42:43], vcc
	s_cbranch_execz .LBB1618_116
; %bb.95:
	v_mov_b32_e32 v3, s74
	v_cmp_eq_u32_e32 vcc, v31, v32
	v_add_u32_e32 v2, 14, v60
                                        ; implicit-def: $vgpr59
	s_nop 0
	v_cndmask_b32_e32 v3, v3, v40, vcc
	v_cmp_ne_u32_e32 vcc, v31, v32
	v_and_b32_e32 v3, 0xffff, v3
	s_nop 0
	v_cndmask_b32_e64 v10, 0, 1, vcc
	v_lshl_or_b32 v3, v10, 16, v3
	v_mov_b64_e32 v[16:17], s[14:15]
	v_cmp_gt_u32_e32 vcc, s68, v2
	v_mov_b32_e32 v2, s8
	v_mov_b64_e32 v[14:15], s[12:13]
	v_mov_b64_e32 v[12:13], s[10:11]
	;; [unrolled: 1-line block ×3, first 2 shown]
                                        ; implicit-def: $sgpr10_sgpr11
	s_and_saveexec_b64 s[8:9], vcc
	s_cbranch_execz .LBB1618_115
; %bb.96:
	v_lshrrev_b32_e32 v2, 16, v40
	v_mov_b32_e32 v11, s74
	v_cmp_eq_u32_e32 vcc, v32, v33
	s_mov_b32 s44, 0
	v_add_u32_e32 v10, 15, v60
	v_cndmask_b32_e32 v2, v11, v2, vcc
	v_cmp_ne_u32_e32 vcc, v32, v33
	v_and_b32_e32 v2, 0xffff, v2
	s_mov_b32 s45, s44
	v_cndmask_b32_e64 v11, 0, 1, vcc
	v_lshl_or_b32 v2, v11, 16, v2
	v_cmp_gt_u32_e32 vcc, s68, v10
	s_mov_b32 s46, s44
	s_mov_b32 s47, s44
	;; [unrolled: 1-line block ×6, first 2 shown]
	v_mov_b64_e32 v[10:11], s[44:45]
	s_mov_b64 s[12:13], 0
	v_mov_b64_e32 v[12:13], s[46:47]
	v_mov_b64_e32 v[14:15], s[48:49]
	;; [unrolled: 1-line block ×3, first 2 shown]
                                        ; implicit-def: $sgpr44_sgpr45
                                        ; implicit-def: $vgpr59
	s_and_saveexec_b64 s[10:11], vcc
	s_cbranch_execz .LBB1618_114
; %bb.97:
	v_mov_b32_e32 v10, s74
	v_cmp_eq_u32_e32 vcc, v33, v26
	v_add_u32_e32 v11, 16, v60
	s_mov_b64 s[14:15], 0
	v_cndmask_b32_e32 v10, v10, v41, vcc
	v_cmp_ne_u32_e32 vcc, v33, v26
	v_and_b32_e32 v10, 0xffff, v10
                                        ; implicit-def: $sgpr46_sgpr47
                                        ; implicit-def: $vgpr59
	s_nop 0
	v_cndmask_b32_e64 v12, 0, 1, vcc
	v_lshl_or_b32 v10, v12, 16, v10
	v_mov_b32_e32 v12, 0
	v_cmp_gt_u32_e32 vcc, s68, v11
	v_mov_b32_e32 v11, v12
	v_mov_b32_e32 v13, v12
	;; [unrolled: 1-line block ×6, first 2 shown]
	s_and_saveexec_b64 s[12:13], vcc
	s_cbranch_execz .LBB1618_113
; %bb.98:
	v_lshrrev_b32_e32 v11, 16, v41
	v_mov_b32_e32 v14, s74
	v_cmp_eq_u32_e32 vcc, v26, v27
	v_add_u32_e32 v13, 17, v60
	v_mov_b32_e32 v15, v12
	v_cndmask_b32_e32 v11, v14, v11, vcc
	v_cmp_ne_u32_e32 vcc, v26, v27
	v_and_b32_e32 v11, 0xffff, v11
	v_mov_b32_e32 v16, v12
	v_cndmask_b32_e64 v14, 0, 1, vcc
	v_lshl_or_b32 v11, v14, 16, v11
	v_cmp_gt_u32_e32 vcc, s68, v13
	v_mov_b32_e32 v13, v12
	v_mov_b32_e32 v14, v12
	;; [unrolled: 1-line block ×3, first 2 shown]
	s_mov_b64 s[44:45], 0
                                        ; implicit-def: $sgpr48_sgpr49
                                        ; implicit-def: $vgpr59
	s_and_saveexec_b64 s[14:15], vcc
	s_cbranch_execz .LBB1618_112
; %bb.99:
	ds_read_b96 v[30:32], v42 offset:34
	v_mov_b32_e32 v12, s74
	v_cmp_eq_u32_e32 vcc, v27, v28
	v_add_u32_e32 v13, 18, v60
	s_mov_b64 s[46:47], 0
	s_waitcnt lgkmcnt(0)
	v_cndmask_b32_e32 v12, v12, v30, vcc
	v_cmp_ne_u32_e32 vcc, v27, v28
	v_and_b32_e32 v12, 0xffff, v12
                                        ; implicit-def: $sgpr50_sgpr51
                                        ; implicit-def: $vgpr59
	s_nop 0
	v_cndmask_b32_e64 v14, 0, 1, vcc
	v_lshl_or_b32 v12, v14, 16, v12
	v_mov_b32_e32 v14, 0
	v_cmp_gt_u32_e32 vcc, s68, v13
	v_mov_b32_e32 v13, v14
	v_mov_b32_e32 v15, v14
	;; [unrolled: 1-line block ×4, first 2 shown]
	s_and_saveexec_b64 s[44:45], vcc
	s_cbranch_execz .LBB1618_111
; %bb.100:
	v_lshrrev_b32_e32 v13, 16, v30
	v_mov_b32_e32 v16, s74
	v_cmp_eq_u32_e32 vcc, v28, v29
	v_add_u32_e32 v15, 19, v60
	v_mov_b32_e32 v17, v14
	v_cndmask_b32_e32 v13, v16, v13, vcc
	v_cmp_ne_u32_e32 vcc, v28, v29
	v_and_b32_e32 v13, 0xffff, v13
	s_mov_b64 s[48:49], 0
	v_cndmask_b32_e64 v16, 0, 1, vcc
	v_lshl_or_b32 v13, v16, 16, v13
	v_cmp_gt_u32_e32 vcc, s68, v15
	v_mov_b32_e32 v15, v14
	v_mov_b32_e32 v16, v14
                                        ; implicit-def: $sgpr56_sgpr57
                                        ; implicit-def: $vgpr59
	s_and_saveexec_b64 s[46:47], vcc
	s_cbranch_execz .LBB1618_110
; %bb.101:
	v_mov_b32_e32 v14, s74
	v_cmp_eq_u32_e32 vcc, v29, v22
	v_add_u32_e32 v15, 20, v60
	s_mov_b64 s[50:51], 0
	v_cndmask_b32_e32 v14, v14, v31, vcc
	v_cmp_ne_u32_e32 vcc, v29, v22
	v_and_b32_e32 v14, 0xffff, v14
                                        ; implicit-def: $sgpr58_sgpr59
                                        ; implicit-def: $vgpr59
	s_nop 0
	v_cndmask_b32_e64 v16, 0, 1, vcc
	v_lshl_or_b32 v14, v16, 16, v14
	v_mov_b32_e32 v16, 0
	v_cmp_gt_u32_e32 vcc, s68, v15
	v_mov_b32_e32 v15, v16
	v_mov_b32_e32 v17, v16
	s_and_saveexec_b64 s[48:49], vcc
	s_cbranch_execz .LBB1618_109
; %bb.102:
	v_lshrrev_b32_e32 v15, 16, v31
	v_mov_b32_e32 v26, s74
	v_cmp_eq_u32_e32 vcc, v22, v23
	v_add_u32_e32 v17, 21, v60
	s_mov_b32 s5, 0
	v_cndmask_b32_e32 v15, v26, v15, vcc
	v_cmp_ne_u32_e32 vcc, v22, v23
	v_and_b32_e32 v15, 0xffff, v15
	s_mov_b64 s[56:57], 0
	v_cndmask_b32_e64 v22, 0, 1, vcc
	v_lshl_or_b32 v15, v22, 16, v15
	v_cmp_gt_u32_e32 vcc, s68, v17
	v_mov_b32_e32 v17, v16
                                        ; implicit-def: $sgpr60_sgpr61
                                        ; implicit-def: $vgpr59
	s_and_saveexec_b64 s[50:51], vcc
	s_cbranch_execz .LBB1618_108
; %bb.103:
	v_mov_b32_e32 v16, s74
	v_cmp_eq_u32_e32 vcc, v23, v24
	v_add_u32_e32 v17, 22, v60
	s_mov_b64 s[58:59], 0
	v_cndmask_b32_e32 v16, v16, v32, vcc
	v_cmp_ne_u32_e32 vcc, v23, v24
	v_and_b32_e32 v16, 0xffff, v16
                                        ; implicit-def: $sgpr60_sgpr61
                                        ; implicit-def: $vgpr59
	s_nop 0
	v_cndmask_b32_e64 v22, 0, 1, vcc
	v_lshl_or_b32 v16, v22, 16, v16
	v_cmp_gt_u32_e32 vcc, s68, v17
	v_mov_b32_e32 v17, s5
	s_and_saveexec_b64 s[56:57], vcc
	s_cbranch_execz .LBB1618_107
; %bb.104:
	v_lshrrev_b32_e32 v17, 16, v32
	v_mov_b32_e32 v23, s74
	v_cmp_eq_u32_e32 vcc, v24, v25
	v_add_u32_e32 v22, 23, v60
                                        ; implicit-def: $sgpr60_sgpr61
                                        ; implicit-def: $vgpr59
	s_nop 0
	v_cndmask_b32_e32 v17, v23, v17, vcc
	v_cmp_ne_u32_e32 vcc, v24, v25
	v_and_b32_e32 v17, 0xffff, v17
	s_nop 0
	v_cndmask_b32_e64 v23, 0, 1, vcc
	v_lshl_or_b32 v17, v23, 16, v17
	v_cmp_gt_u32_e32 vcc, s68, v22
	s_and_saveexec_b64 s[68:69], vcc
	s_xor_b64 s[68:69], exec, s[68:69]
	s_cbranch_execz .LBB1618_106
; %bb.105:
	ds_read_u16 v22, v42 offset:46
	v_mov_b32_e32 v23, s74
	v_cmp_ne_u32_e32 vcc, v25, v58
	s_mov_b64 s[58:59], exec
	s_and_b64 s[60:61], vcc, exec
	s_waitcnt lgkmcnt(0)
	v_cndmask_b32_e32 v59, v22, v23, vcc
.LBB1618_106:
	s_or_b64 exec, exec, s[68:69]
	s_and_b64 s[60:61], s[60:61], exec
	s_and_b64 s[58:59], s[58:59], exec
.LBB1618_107:
	s_or_b64 exec, exec, s[56:57]
	s_and_b64 s[60:61], s[60:61], exec
	s_and_b64 s[56:57], s[58:59], exec
.LBB1618_108:
	s_or_b64 exec, exec, s[50:51]
	s_and_b64 s[58:59], s[60:61], exec
	s_and_b64 s[50:51], s[56:57], exec
.LBB1618_109:
	s_or_b64 exec, exec, s[48:49]
	s_and_b64 s[56:57], s[58:59], exec
	s_and_b64 s[48:49], s[50:51], exec
.LBB1618_110:
	s_or_b64 exec, exec, s[46:47]
	s_and_b64 s[50:51], s[56:57], exec
	s_and_b64 s[46:47], s[48:49], exec
.LBB1618_111:
	s_or_b64 exec, exec, s[44:45]
	s_and_b64 s[48:49], s[50:51], exec
	s_and_b64 s[44:45], s[46:47], exec
.LBB1618_112:
	s_or_b64 exec, exec, s[14:15]
	s_and_b64 s[46:47], s[48:49], exec
	s_and_b64 s[14:15], s[44:45], exec
.LBB1618_113:
	s_or_b64 exec, exec, s[12:13]
	s_and_b64 s[44:45], s[46:47], exec
	s_and_b64 s[12:13], s[14:15], exec
.LBB1618_114:
	s_or_b64 exec, exec, s[10:11]
	s_and_b64 s[10:11], s[44:45], exec
	s_and_b64 s[44:45], s[12:13], exec
.LBB1618_115:
	s_or_b64 exec, exec, s[8:9]
	s_and_b64 s[46:47], s[10:11], exec
	s_and_b64 s[44:45], s[44:45], exec
.LBB1618_116:
	s_or_b64 exec, exec, s[42:43]
	s_and_b64 s[8:9], s[46:47], exec
	s_and_b64 s[42:43], s[44:45], exec
.LBB1618_117:
	s_or_b64 exec, exec, s[40:41]
	s_and_b64 s[44:45], s[8:9], exec
	s_and_b64 s[40:41], s[42:43], exec
.LBB1618_118:
	s_or_b64 exec, exec, s[38:39]
	s_and_b64 s[8:9], s[44:45], exec
	s_and_b64 s[38:39], s[40:41], exec
.LBB1618_119:
	s_or_b64 exec, exec, s[36:37]
	s_and_b64 s[40:41], s[8:9], exec
	s_and_b64 s[36:37], s[38:39], exec
.LBB1618_120:
	s_or_b64 exec, exec, s[34:35]
	s_and_b64 s[8:9], s[40:41], exec
	s_and_b64 s[34:35], s[36:37], exec
.LBB1618_121:
	s_or_b64 exec, exec, s[30:31]
	s_and_b64 s[36:37], s[8:9], exec
	s_and_b64 s[30:31], s[34:35], exec
.LBB1618_122:
	s_or_b64 exec, exec, s[28:29]
	s_and_b64 s[8:9], s[36:37], exec
	s_and_b64 s[28:29], s[30:31], exec
.LBB1618_123:
	s_or_b64 exec, exec, s[26:27]
	s_and_b64 s[30:31], s[8:9], exec
	s_and_b64 s[26:27], s[28:29], exec
.LBB1618_124:
	s_or_b64 exec, exec, s[24:25]
	s_and_b64 s[8:9], s[30:31], exec
	s_and_b64 s[24:25], s[26:27], exec
.LBB1618_125:
	s_or_b64 exec, exec, s[22:23]
	s_and_b64 s[26:27], s[8:9], exec
	s_and_b64 s[22:23], s[24:25], exec
.LBB1618_126:
	s_or_b64 exec, exec, s[18:19]
	s_and_b64 s[8:9], s[26:27], exec
	s_and_b64 s[22:23], s[22:23], exec
.LBB1618_127:
	s_or_b64 exec, exec, s[16:17]
	s_and_b64 s[24:25], s[8:9], exec
	s_and_b64 s[22:23], s[22:23], exec
.LBB1618_128:
	s_or_b64 exec, exec, s[20:21]
	s_and_b64 s[8:9], s[24:25], exec
	s_and_b64 s[10:11], s[22:23], exec
.LBB1618_129:
	s_or_b64 exec, exec, s[6:7]
	s_and_b64 vcc, exec, s[0:1]
	s_cbranch_vccnz .LBB1618_131
	s_branch .LBB1618_136
.LBB1618_130:
	s_mov_b64 s[10:11], 0
                                        ; implicit-def: $sgpr8_sgpr9
                                        ; implicit-def: $vgpr18_vgpr19_vgpr20_vgpr21
                                        ; implicit-def: $vgpr2_vgpr3_vgpr4_vgpr5_vgpr6_vgpr7_vgpr8_vgpr9
                                        ; implicit-def: $vgpr10_vgpr11_vgpr12_vgpr13_vgpr14_vgpr15_vgpr16_vgpr17
                                        ; implicit-def: $vgpr59
                                        ; implicit-def: $vgpr1
                                        ; implicit-def: $vgpr56
                                        ; implicit-def: $vgpr57
                                        ; implicit-def: $sgpr4
	s_and_b64 vcc, exec, s[0:1]
	s_cbranch_vccz .LBB1618_136
.LBB1618_131:
	v_mov_b32_e32 v7, 0
	v_lshlrev_b32_e32 v6, 2, v0
	v_lshl_add_u64 v[2:3], v[54:55], 0, v[6:7]
	v_add_co_u32_e32 v4, vcc, 0x1000, v2
	s_movk_i32 s0, 0x5c
	s_nop 0
	v_addc_co_u32_e32 v5, vcc, 0, v3, vcc
	flat_load_dword v1, v[2:3]
	flat_load_dword v10, v[2:3] offset:1024
	flat_load_dword v11, v[2:3] offset:2048
	;; [unrolled: 1-line block ×3, first 2 shown]
	flat_load_dword v13, v[4:5]
	flat_load_dword v14, v[4:5] offset:1024
	flat_load_dword v15, v[4:5] offset:2048
	;; [unrolled: 1-line block ×3, first 2 shown]
	v_add_co_u32_e32 v4, vcc, 0x2000, v2
	s_movk_i32 s5, 0x1000
	s_nop 0
	v_addc_co_u32_e32 v5, vcc, 0, v3, vcc
	v_add_co_u32_e32 v8, vcc, 0x3000, v2
	s_movk_i32 s4, 0x2000
	s_nop 0
	v_addc_co_u32_e32 v9, vcc, 0, v3, vcc
	flat_load_dword v17, v[4:5]
	flat_load_dword v18, v[4:5] offset:1024
	flat_load_dword v19, v[4:5] offset:2048
	;; [unrolled: 1-line block ×3, first 2 shown]
	flat_load_dword v21, v[8:9]
	flat_load_dword v22, v[8:9] offset:1024
	flat_load_dword v23, v[8:9] offset:2048
	;; [unrolled: 1-line block ×3, first 2 shown]
	v_add_co_u32_e32 v4, vcc, 0x4000, v2
	s_nop 1
	v_addc_co_u32_e32 v5, vcc, 0, v3, vcc
	v_add_co_u32_e32 v2, vcc, 0x5000, v2
	s_nop 1
	v_addc_co_u32_e32 v3, vcc, 0, v3, vcc
	flat_load_dword v8, v[4:5]
	flat_load_dword v9, v[4:5] offset:1024
	flat_load_dword v25, v[4:5] offset:2048
	;; [unrolled: 1-line block ×3, first 2 shown]
	flat_load_dword v27, v[2:3]
	flat_load_dword v28, v[2:3] offset:1024
	flat_load_dword v29, v[2:3] offset:2048
	;; [unrolled: 1-line block ×3, first 2 shown]
	v_add_co_u32_e32 v2, vcc, 0x6000, v54
	s_waitcnt vmcnt(0) lgkmcnt(0)
	ds_write2st64_b32 v6, v1, v10 offset1:4
	ds_write2st64_b32 v6, v11, v12 offset0:8 offset1:12
	ds_write2st64_b32 v6, v13, v14 offset0:16 offset1:20
	;; [unrolled: 1-line block ×11, first 2 shown]
	v_addc_co_u32_e32 v3, vcc, 0, v55, vcc
	s_waitcnt lgkmcnt(0)
	s_barrier
	flat_load_dword v40, v[2:3]
	v_mad_u32_u24 v1, v0, s0, v6
	s_movk_i32 s0, 0xffa4
	ds_read2_b32 v[22:23], v1 offset0:6 offset1:23
	ds_read_b64 v[18:19], v1
	ds_read2_b64 v[2:5], v1 offset0:1 offset1:2
	ds_read2_b32 v[32:33], v1 offset0:13 offset1:14
	ds_read2_b32 v[34:35], v1 offset0:11 offset1:12
	;; [unrolled: 1-line block ×8, first 2 shown]
	v_mad_i32_i24 v1, v0, s0, v1
	s_movk_i32 s0, 0xff
	v_cmp_ne_u32_e32 vcc, s0, v0
	s_waitcnt lgkmcnt(0)
	ds_write_b32 v1, v18 offset:25600
	s_waitcnt lgkmcnt(0)
	s_barrier
	s_and_saveexec_b64 s[0:1], vcc
	s_cbranch_execz .LBB1618_133
; %bb.132:
	s_waitcnt vmcnt(0)
	ds_read_b32 v40, v6 offset:25604
.LBB1618_133:
	s_or_b64 exec, exec, s[0:1]
	v_lshlrev_b32_e32 v6, 1, v0
	v_lshl_add_u64 v[8:9], v[52:53], 0, v[6:7]
	v_add_co_u32_e32 v10, vcc, s5, v8
	s_waitcnt lgkmcnt(0)
	s_nop 0
	v_addc_co_u32_e32 v11, vcc, 0, v9, vcc
	s_barrier
	flat_load_ushort v7, v[8:9]
	flat_load_ushort v12, v[8:9] offset:512
	flat_load_ushort v13, v[8:9] offset:1024
	;; [unrolled: 1-line block ×7, first 2 shown]
	v_add_co_u32_e32 v8, vcc, s4, v8
	flat_load_ushort v21, v[10:11]
	flat_load_ushort v41, v[10:11] offset:512
	flat_load_ushort v42, v[10:11] offset:1024
	;; [unrolled: 1-line block ×7, first 2 shown]
	v_addc_co_u32_e32 v9, vcc, 0, v9, vcc
	flat_load_ushort v10, v[8:9]
	flat_load_ushort v11, v[8:9] offset:512
	flat_load_ushort v48, v[8:9] offset:1024
	;; [unrolled: 1-line block ×7, first 2 shown]
	v_sub_u32_e32 v1, v1, v6
	v_mad_u32_u24 v56, v0, 46, v1
	v_cmp_eq_u32_e32 vcc, v18, v19
	v_mov_b32_e32 v18, s74
	s_waitcnt vmcnt(0) lgkmcnt(0)
	ds_write_b16 v1, v7
	ds_write_b16 v1, v12 offset:512
	ds_write_b16 v1, v13 offset:1024
	;; [unrolled: 1-line block ×23, first 2 shown]
	s_waitcnt lgkmcnt(0)
	s_barrier
	ds_read_b96 v[14:16], v56 offset:2
	ds_read_b128 v[6:9], v56 offset:14
	ds_read_b128 v[10:13], v56 offset:30
	ds_read_u16 v41, v56 offset:46
	v_mov_b32_e32 v17, 0x10000
	s_and_saveexec_b64 s[0:1], vcc
	s_cbranch_execz .LBB1618_135
; %bb.134:
	v_mul_u32_u24_e32 v17, 46, v0
	v_add_u32_e32 v1, v1, v17
	ds_read_u16 v18, v1
	v_mov_b32_e32 v17, 0
.LBB1618_135:
	s_or_b64 exec, exec, s[0:1]
	v_mov_b32_e32 v47, s74
	v_cmp_eq_u32_e32 vcc, v19, v2
	s_waitcnt lgkmcnt(3)
	v_lshrrev_b32_e32 v21, 16, v14
	s_waitcnt lgkmcnt(0)
	v_or_b32_sdwa v1, v17, v18 dst_sel:DWORD dst_unused:UNUSED_PAD src0_sel:DWORD src1_sel:WORD_0
	v_cndmask_b32_e32 v14, v47, v14, vcc
	v_cmp_ne_u32_e32 vcc, v19, v2
	v_and_b32_e32 v14, 0xffff, v14
	v_lshrrev_b32_e32 v20, 16, v15
	v_cndmask_b32_e64 v17, 0, 1, vcc
	v_cmp_eq_u32_e32 vcc, v2, v3
	v_lshl_or_b32 v56, v17, 16, v14
	v_lshrrev_b32_e32 v42, 16, v16
	v_cndmask_b32_e32 v14, v47, v21, vcc
	v_cmp_eq_u32_e32 vcc, v4, v5
	v_and_b32_e32 v14, 0xffff, v14
	v_lshrrev_b32_e32 v46, 16, v6
	v_cndmask_b32_e32 v17, v47, v20, vcc
	v_cmp_eq_u32_e32 vcc, v3, v4
	v_and_b32_e32 v17, 0xffff, v17
	;; [unrolled: 4-line block ×3, first 2 shown]
	v_lshrrev_b32_e32 v44, 16, v8
	v_cndmask_b32_e32 v16, v47, v16, vcc
	v_cmp_ne_u32_e32 vcc, v3, v4
	v_lshrrev_b32_e32 v43, 16, v9
	v_and_b32_e32 v16, 0xffff, v16
	v_cndmask_b32_e64 v18, 0, 1, vcc
	v_cmp_ne_u32_e32 vcc, v5, v22
	v_lshl_or_b32 v20, v18, 16, v15
	v_cmp_ne_u32_e64 s[8:9], v23, v40
	v_cndmask_b32_e64 v15, 0, 1, vcc
	v_cmp_ne_u32_e32 vcc, v2, v3
	v_lshl_or_b32 v18, v15, 16, v16
	v_lshrrev_b32_e32 v16, 16, v11
	v_cndmask_b32_e64 v2, 0, 1, vcc
	v_cmp_ne_u32_e32 vcc, v4, v5
	v_lshl_or_b32 v21, v2, 16, v14
	v_cndmask_b32_e64 v59, v41, v47, s[8:9]
	v_cndmask_b32_e64 v2, 0, 1, vcc
	v_cmp_eq_u32_e32 vcc, v22, v38
	v_lshl_or_b32 v19, v2, 16, v17
	v_lshrrev_b32_e32 v17, 16, v10
	v_cndmask_b32_e32 v2, v47, v42, vcc
	v_cmp_ne_u32_e32 vcc, v22, v38
	v_and_b32_e32 v2, 0xffff, v2
	s_mov_b64 s[10:11], -1
	v_cndmask_b32_e64 v3, 0, 1, vcc
	v_cmp_eq_u32_e32 vcc, v39, v36
	v_lshl_or_b32 v57, v3, 16, v2
                                        ; implicit-def: $sgpr4
	s_nop 0
	v_cndmask_b32_e32 v2, v47, v46, vcc
	v_cmp_eq_u32_e32 vcc, v37, v34
	v_and_b32_e32 v2, 0xffff, v2
	s_nop 0
	v_cndmask_b32_e32 v3, v47, v45, vcc
	v_cmp_eq_u32_e32 vcc, v35, v32
	v_and_b32_e32 v15, 0xffff, v3
	s_nop 0
	v_cndmask_b32_e32 v4, v47, v44, vcc
	v_cmp_eq_u32_e32 vcc, v33, v26
	v_and_b32_e32 v4, 0xffff, v4
	s_nop 0
	v_cndmask_b32_e32 v5, v47, v43, vcc
	v_cmp_eq_u32_e32 vcc, v38, v39
	v_and_b32_e32 v14, 0xffff, v5
	s_nop 0
	v_cndmask_b32_e32 v6, v47, v6, vcc
	v_cmp_eq_u32_e32 vcc, v36, v37
	v_and_b32_e32 v6, 0xffff, v6
	s_nop 0
	v_cndmask_b32_e32 v7, v47, v7, vcc
	v_cmp_eq_u32_e32 vcc, v34, v35
	v_and_b32_e32 v7, 0xffff, v7
	s_nop 0
	v_cndmask_b32_e32 v8, v47, v8, vcc
	v_cmp_eq_u32_e32 vcc, v32, v33
	v_and_b32_e32 v5, 0xffff, v8
	s_nop 0
	v_cndmask_b32_e32 v9, v47, v9, vcc
	v_cmp_ne_u32_e32 vcc, v38, v39
	v_and_b32_e32 v3, 0xffff, v9
	s_nop 0
	v_cndmask_b32_e64 v8, 0, 1, vcc
	v_cmp_ne_u32_e32 vcc, v36, v37
	v_lshl_or_b32 v9, v8, 16, v6
	s_nop 0
	v_cndmask_b32_e64 v6, 0, 1, vcc
	v_cmp_ne_u32_e32 vcc, v34, v35
	v_lshl_or_b32 v7, v6, 16, v7
	;; [unrolled: 4-line block ×6, first 2 shown]
	v_lshrrev_b32_e32 v15, 16, v12
	v_cndmask_b32_e64 v2, 0, 1, vcc
	v_cmp_ne_u32_e32 vcc, v33, v26
	v_lshl_or_b32 v4, v2, 16, v4
	s_nop 0
	v_cndmask_b32_e64 v2, 0, 1, vcc
	v_lshl_or_b32 v2, v2, 16, v14
	v_lshrrev_b32_e32 v14, 16, v13
	v_cmp_eq_u32_e32 vcc, v31, v23
	s_nop 1
	v_cndmask_b32_e32 v14, v47, v14, vcc
	v_cmp_eq_u32_e32 vcc, v29, v30
	s_nop 1
	v_cndmask_b32_e32 v15, v47, v15, vcc
	v_cmp_eq_u32_e32 vcc, v25, v28
	v_and_b32_e32 v15, 0xffff, v15
	s_nop 0
	v_cndmask_b32_e32 v16, v47, v16, vcc
	v_cmp_eq_u32_e32 vcc, v27, v24
	v_and_b32_e32 v32, 0xffff, v16
	;; [unrolled: 4-line block ×3, first 2 shown]
	v_and_b32_e32 v17, 0xffff, v14
	v_cndmask_b32_e32 v13, v47, v13, vcc
	v_cmp_eq_u32_e32 vcc, v28, v29
	v_and_b32_e32 v13, 0xffff, v13
	s_nop 0
	v_cndmask_b32_e32 v12, v47, v12, vcc
	v_cmp_eq_u32_e32 vcc, v24, v25
	v_and_b32_e32 v12, 0xffff, v12
	s_nop 0
	;; [unrolled: 4-line block ×3, first 2 shown]
	v_cndmask_b32_e32 v10, v47, v10, vcc
	v_cmp_ne_u32_e32 vcc, v30, v31
	v_and_b32_e32 v10, 0xffff, v10
	s_nop 0
	v_cndmask_b32_e64 v14, 0, 1, vcc
	v_cmp_ne_u32_e32 vcc, v28, v29
	v_lshl_or_b32 v16, v14, 16, v13
	s_nop 0
	v_cndmask_b32_e64 v13, 0, 1, vcc
	v_cmp_ne_u32_e32 vcc, v24, v25
	v_lshl_or_b32 v14, v13, 16, v12
	;; [unrolled: 4-line block ×7, first 2 shown]
	s_nop 0
	v_cndmask_b32_e64 v11, 0, 1, vcc
	v_lshl_or_b32 v11, v11, 16, v22
.LBB1618_136:
	v_mov_b32_e32 v32, s4
	s_and_saveexec_b64 s[0:1], s[10:11]
; %bb.137:
	v_mov_b32_e32 v22, 0x10000
	v_cndmask_b32_e64 v22, 0, v22, s[8:9]
	v_or_b32_sdwa v32, v22, v59 dst_sel:DWORD dst_unused:UNUSED_PAD src0_sel:DWORD src1_sel:WORD_0
; %bb.138:
	s_or_b64 exec, exec, s[0:1]
	s_cmp_lg_u32 s67, 0
	v_mbcnt_lo_u32_b32 v33, -1, 0
	s_barrier
	s_cbranch_scc0 .LBB1618_231
; %bb.139:
	s_mov_b32 s0, 0x10000
	v_cmp_gt_u32_e64 s[4:5], s0, v56
	v_cmp_gt_u32_e64 s[6:7], s0, v21
	v_cmp_gt_u32_e64 s[8:9], s0, v20
	v_cndmask_b32_e64 v22, 0, v1, s[4:5]
	v_add_u16_e32 v22, v22, v56
	v_cndmask_b32_e64 v22, 0, v22, s[6:7]
	v_add_u16_e32 v22, v22, v21
	v_cndmask_b32_e64 v22, 0, v22, s[8:9]
	v_add_u16_e32 v22, v22, v20
	v_cmp_gt_u32_e64 s[10:11], s0, v19
	v_cmp_gt_u32_e64 s[12:13], s0, v18
	v_cmp_gt_u32_e64 s[14:15], s0, v57
	v_cndmask_b32_e64 v22, 0, v22, s[10:11]
	v_add_u16_e32 v22, v22, v19
	v_cndmask_b32_e64 v22, 0, v22, s[12:13]
	v_add_u16_e32 v22, v22, v18
	v_cndmask_b32_e64 v22, 0, v22, s[14:15]
	v_add_u16_e32 v22, v22, v57
	;; [unrolled: 9-line block ×5, first 2 shown]
	v_cmp_gt_u32_e64 s[36:37], s0, v11
	v_cmp_gt_u32_e64 s[38:39], s0, v12
	v_or3_b32 v25, v32, v17, v16
	v_cndmask_b32_e64 v22, 0, v22, s[36:37]
	v_add_u16_e32 v22, v22, v11
	v_cndmask_b32_e64 v22, 0, v22, s[38:39]
	v_add_u16_e32 v22, v22, v12
	v_cmp_gt_u32_e64 s[40:41], s0, v13
	v_or3_b32 v25, v25, v15, v14
	v_or3_b32 v25, v25, v13, v12
	v_cndmask_b32_e64 v22, 0, v22, s[40:41]
	v_add_u16_e32 v22, v22, v13
	v_cmp_gt_u32_e64 s[42:43], s0, v14
	v_or3_b32 v25, v25, v11, v10
	v_or3_b32 v25, v25, v2, v3
	;; [unrolled: 5-line block ×5, first 2 shown]
	v_cndmask_b32_e64 v22, 0, v22, s[48:49]
	v_add_u16_e32 v22, v22, v17
	v_cmp_gt_u32_e32 vcc, s0, v32
	v_and_b32_e32 v25, 0x10000, v25
	v_and_b32_e32 v23, 0x10000, v1
	v_cndmask_b32_e32 v24, 0, v22, vcc
	v_mov_b32_e32 v26, 0x10000
	v_cmp_ne_u32_e32 vcc, 0, v25
	v_add_u16_e32 v22, v24, v32
	v_add_u16_e32 v24, v24, v32
	v_cndmask_b32_e32 v26, v23, v26, vcc
	v_mbcnt_hi_u32_b32 v25, -1, v33
	v_and_b32_e32 v27, 15, v25
	v_or_b32_e32 v24, v26, v24
	v_lshrrev_b32_e32 v23, 16, v26
	v_cmp_ne_u32_e32 vcc, 0, v27
	v_mov_b32_dpp v28, v24 row_shr:1 row_mask:0xf bank_mask:0xf
	s_and_saveexec_b64 s[0:1], vcc
	s_cbranch_execz .LBB1618_141
; %bb.140:
	v_cmp_eq_u32_e32 vcc, 0, v26
	v_and_b32_e32 v23, 0x10000, v26
	v_mov_b32_e32 v26, 1
	v_cndmask_b32_e32 v24, 0, v28, vcc
	v_and_b32_sdwa v26, v28, v26 dst_sel:DWORD dst_unused:UNUSED_PAD src0_sel:WORD_1 src1_sel:DWORD
	v_cmp_ne_u32_e32 vcc, 0, v23
	v_add_u16_e32 v29, v24, v22
	v_add_u16_e32 v22, v24, v22
	v_cndmask_b32_e64 v23, v26, 1, vcc
	v_lshlrev_b32_e32 v26, 16, v23
	v_or_b32_e32 v24, v26, v22
	v_mov_b32_e32 v22, v29
.LBB1618_141:
	s_or_b64 exec, exec, s[0:1]
	v_lshrrev_b32_e32 v26, 16, v24
	v_mov_b32_dpp v28, v24 row_shr:2 row_mask:0xf bank_mask:0xf
	v_cmp_lt_u32_e32 vcc, 1, v27
	s_and_saveexec_b64 s[0:1], vcc
	s_cbranch_execz .LBB1618_143
; %bb.142:
	s_mov_b32 s50, 0x10000
	v_cmp_gt_u32_e32 vcc, s50, v24
	v_and_b32_e32 v23, 0x10000, v24
	v_mov_b32_e32 v24, 1
	v_cndmask_b32_e32 v26, 0, v28, vcc
	v_and_b32_sdwa v24, v28, v24 dst_sel:DWORD dst_unused:UNUSED_PAD src0_sel:WORD_1 src1_sel:DWORD
	v_cmp_ne_u32_e32 vcc, 0, v23
	v_add_u16_e32 v29, v26, v22
	v_add_u16_e32 v22, v26, v22
	v_cndmask_b32_e64 v23, v24, 1, vcc
	v_lshlrev_b32_e32 v24, 16, v23
	v_or_b32_e32 v24, v24, v22
	v_mov_b32_e32 v26, v23
	v_mov_b32_e32 v22, v29
.LBB1618_143:
	s_or_b64 exec, exec, s[0:1]
	v_mov_b32_dpp v28, v24 row_shr:4 row_mask:0xf bank_mask:0xf
	v_cmp_lt_u32_e32 vcc, 3, v27
	s_and_saveexec_b64 s[0:1], vcc
	s_cbranch_execz .LBB1618_145
; %bb.144:
	v_cmp_eq_u16_e32 vcc, 0, v26
	v_and_b32_e32 v23, 1, v26
	v_mov_b32_e32 v26, 1
	v_cndmask_b32_e32 v24, 0, v28, vcc
	v_and_b32_sdwa v26, v28, v26 dst_sel:DWORD dst_unused:UNUSED_PAD src0_sel:WORD_1 src1_sel:DWORD
	v_cmp_eq_u32_e32 vcc, 1, v23
	v_add_u16_e32 v29, v24, v22
	v_add_u16_e32 v22, v24, v22
	v_cndmask_b32_e64 v23, v26, 1, vcc
	v_lshlrev_b32_e32 v26, 16, v23
	v_or_b32_e32 v24, v26, v22
	v_mov_b32_e32 v26, v23
	v_mov_b32_e32 v22, v29
.LBB1618_145:
	s_or_b64 exec, exec, s[0:1]
	v_mov_b32_dpp v28, v24 row_shr:8 row_mask:0xf bank_mask:0xf
	v_cmp_lt_u32_e32 vcc, 7, v27
	s_and_saveexec_b64 s[0:1], vcc
	s_cbranch_execz .LBB1618_147
; %bb.146:
	v_cmp_eq_u16_e32 vcc, 0, v26
	v_and_b32_e32 v23, 1, v26
	v_mov_b32_e32 v26, 1
	v_cndmask_b32_e32 v24, 0, v28, vcc
	v_and_b32_sdwa v26, v28, v26 dst_sel:DWORD dst_unused:UNUSED_PAD src0_sel:WORD_1 src1_sel:DWORD
	v_cmp_eq_u32_e32 vcc, 1, v23
	v_add_u16_e32 v27, v24, v22
	v_add_u16_e32 v22, v24, v22
	v_cndmask_b32_e64 v23, v26, 1, vcc
	v_lshlrev_b32_e32 v26, 16, v23
	v_or_b32_e32 v24, v26, v22
	v_mov_b32_e32 v26, v23
	v_mov_b32_e32 v22, v27
.LBB1618_147:
	s_or_b64 exec, exec, s[0:1]
	v_and_b32_e32 v28, 16, v25
	v_mov_b32_dpp v27, v24 row_bcast:15 row_mask:0xf bank_mask:0xf
	v_cmp_ne_u32_e32 vcc, 0, v28
	s_and_saveexec_b64 s[0:1], vcc
	s_cbranch_execz .LBB1618_149
; %bb.148:
	v_cmp_eq_u16_e32 vcc, 0, v26
	v_and_b32_e32 v23, 1, v26
	v_mov_b32_e32 v26, 1
	v_cndmask_b32_e32 v24, 0, v27, vcc
	v_and_b32_sdwa v26, v27, v26 dst_sel:DWORD dst_unused:UNUSED_PAD src0_sel:WORD_1 src1_sel:DWORD
	v_cmp_eq_u32_e32 vcc, 1, v23
	v_add_u16_e32 v28, v24, v22
	v_add_u16_e32 v22, v24, v22
	v_cndmask_b32_e64 v23, v26, 1, vcc
	v_lshlrev_b32_e32 v26, 16, v23
	v_or_b32_e32 v24, v26, v22
	v_mov_b32_e32 v26, v23
	v_mov_b32_e32 v22, v28
.LBB1618_149:
	s_or_b64 exec, exec, s[0:1]
	v_mov_b32_dpp v24, v24 row_bcast:31 row_mask:0xf bank_mask:0xf
	v_cmp_lt_u32_e32 vcc, 31, v25
	s_and_saveexec_b64 s[0:1], vcc
; %bb.150:
	v_cmp_eq_u16_e32 vcc, 0, v26
	s_nop 1
	v_cndmask_b32_e32 v23, 0, v24, vcc
	v_add_u16_e32 v22, v23, v22
	v_and_b32_e32 v23, 1, v26
	v_mov_b32_e32 v26, 1
	v_and_b32_sdwa v24, v24, v26 dst_sel:DWORD dst_unused:UNUSED_PAD src0_sel:WORD_1 src1_sel:DWORD
	v_cmp_eq_u32_e32 vcc, 1, v23
	s_nop 1
	v_cndmask_b32_e64 v23, v24, 1, vcc
; %bb.151:
	s_or_b64 exec, exec, s[0:1]
	v_or_b32_e32 v26, 63, v0
	v_lshrrev_b32_e32 v24, 6, v0
	v_cmp_eq_u32_e32 vcc, v26, v0
	s_and_saveexec_b64 s[0:1], vcc
	s_cbranch_execz .LBB1618_153
; %bb.152:
	v_lshlrev_b32_e32 v26, 2, v24
	ds_write_b16 v26, v22
	ds_write_b8 v26, v23 offset:2
.LBB1618_153:
	s_or_b64 exec, exec, s[0:1]
	v_cmp_gt_u32_e32 vcc, 4, v0
	s_waitcnt lgkmcnt(0)
	s_barrier
	s_and_saveexec_b64 s[0:1], vcc
	s_cbranch_execz .LBB1618_159
; %bb.154:
	v_lshlrev_b32_e32 v26, 2, v0
	ds_read_b32 v27, v26
	v_and_b32_e32 v30, 3, v25
	v_cmp_ne_u32_e32 vcc, 0, v30
	s_waitcnt lgkmcnt(0)
	v_lshrrev_b32_e32 v29, 16, v27
	v_mov_b32_dpp v31, v27 row_shr:1 row_mask:0xf bank_mask:0xf
	v_mov_b32_e32 v28, v27
	s_and_saveexec_b64 s[50:51], vcc
	s_cbranch_execz .LBB1618_156
; %bb.155:
	v_mov_b32_e32 v28, 0
	v_cmp_eq_u16_sdwa vcc, v29, v28 src0_sel:BYTE_0 src1_sel:DWORD
	v_and_b32_e32 v29, 0x10000, v27
	v_mov_b32_e32 v36, 1
	v_cndmask_b32_e32 v35, 0, v31, vcc
	v_and_b32_sdwa v31, v31, v36 dst_sel:DWORD dst_unused:UNUSED_PAD src0_sel:WORD_1 src1_sel:DWORD
	v_cmp_ne_u32_e32 vcc, 0, v29
	v_and_b32_e32 v34, 0xff000000, v27
	v_add_u16_e32 v28, v35, v27
	v_cndmask_b32_e64 v29, v31, 1, vcc
	v_lshlrev_b32_e32 v31, 16, v29
	v_add_u16_e32 v27, v35, v27
	v_or3_b32 v27, v31, v34, v27
.LBB1618_156:
	s_or_b64 exec, exec, s[50:51]
	s_nop 0
	v_mov_b32_dpp v31, v27 row_shr:2 row_mask:0xf bank_mask:0xf
	v_cmp_lt_u32_e32 vcc, 1, v30
	s_and_saveexec_b64 s[50:51], vcc
; %bb.157:
	v_and_b32_e32 v29, 0xff0000, v27
	v_cmp_eq_u32_e32 vcc, 0, v29
	v_and_b32_e32 v27, 0x10000, v27
	s_nop 0
	v_cndmask_b32_e32 v29, 0, v31, vcc
	v_add_u16_e32 v28, v29, v28
	v_mov_b32_e32 v29, 1
	v_and_b32_sdwa v29, v31, v29 dst_sel:DWORD dst_unused:UNUSED_PAD src0_sel:WORD_1 src1_sel:DWORD
	v_cmp_eq_u32_e32 vcc, 0, v27
	s_nop 1
	v_cndmask_b32_e32 v29, 1, v29, vcc
; %bb.158:
	s_or_b64 exec, exec, s[50:51]
	ds_write_b16 v26, v28
	ds_write_b8 v26, v29 offset:2
.LBB1618_159:
	s_or_b64 exec, exec, s[0:1]
	v_cmp_gt_u32_e32 vcc, 64, v0
	v_cmp_lt_u32_e64 s[0:1], 63, v0
	v_mov_b32_e32 v34, 0
	v_mov_b32_e32 v35, 0
	s_waitcnt lgkmcnt(0)
	s_barrier
	s_and_saveexec_b64 s[50:51], s[0:1]
	s_cbranch_execz .LBB1618_161
; %bb.160:
	v_lshl_add_u32 v24, v24, 2, -4
	ds_read_u16 v34, v24
	ds_read_u8 v35, v24 offset:2
	v_and_b32_e32 v26, 1, v23
	v_cmp_eq_u16_e64 s[0:1], 0, v23
	s_waitcnt lgkmcnt(1)
	s_nop 0
	v_cndmask_b32_e64 v23, 0, v34, s[0:1]
	v_cmp_eq_u32_e64 s[0:1], 1, v26
	v_add_u16_e32 v22, v23, v22
	s_waitcnt lgkmcnt(0)
	v_cndmask_b32_e64 v23, v35, 1, s[0:1]
.LBB1618_161:
	s_or_b64 exec, exec, s[50:51]
	v_and_b32_e32 v23, 0xff, v23
	v_and_b32_e32 v22, 0xffff, v22
	v_lshl_or_b32 v22, v23, 16, v22
	v_add_u32_e32 v23, -1, v25
	v_and_b32_e32 v24, 64, v25
	v_cmp_lt_i32_e64 s[0:1], v23, v24
	v_cmp_eq_u32_e64 s[50:51], 0, v25
	s_nop 0
	v_cndmask_b32_e64 v23, v23, v25, s[0:1]
	v_lshlrev_b32_e32 v23, 2, v23
	ds_bpermute_b32 v36, v23, v22
	s_and_saveexec_b64 s[0:1], vcc
	s_cbranch_execz .LBB1618_208
; %bb.162:
	v_mov_b32_e32 v31, 0
	ds_read_b32 v22, v31 offset:12
	s_and_saveexec_b64 s[56:57], s[50:51]
	s_cbranch_execz .LBB1618_164
; %bb.163:
	s_add_i32 s58, s67, 64
	s_mov_b32 s59, 0
	s_lshl_b64 s[58:59], s[58:59], 3
	s_add_u32 s58, s64, s58
	v_mov_b32_e32 v23, 1
	s_addc_u32 s59, s65, s59
	s_waitcnt lgkmcnt(0)
	global_store_dwordx2 v31, v[22:23], s[58:59] sc1
.LBB1618_164:
	s_or_b64 exec, exec, s[56:57]
	v_xad_u32 v24, v25, -1, s67
	v_add_u32_e32 v30, 64, v24
	v_lshl_add_u64 v[28:29], v[30:31], 3, s[64:65]
	global_load_dwordx2 v[26:27], v[28:29], off sc1
	s_waitcnt vmcnt(0)
	v_cmp_eq_u16_sdwa s[58:59], v27, v31 src0_sel:BYTE_0 src1_sel:DWORD
	s_and_saveexec_b64 s[56:57], s[58:59]
	s_cbranch_execz .LBB1618_170
; %bb.165:
	s_mov_b32 s60, 1
	s_mov_b64 s[58:59], 0
	v_mov_b32_e32 v23, 0
.LBB1618_166:                           ; =>This Loop Header: Depth=1
                                        ;     Child Loop BB1618_167 Depth 2
	s_max_u32 s61, s60, 1
.LBB1618_167:                           ;   Parent Loop BB1618_166 Depth=1
                                        ; =>  This Inner Loop Header: Depth=2
	s_add_i32 s61, s61, -1
	s_cmp_eq_u32 s61, 0
	s_sleep 1
	s_cbranch_scc0 .LBB1618_167
; %bb.168:                              ;   in Loop: Header=BB1618_166 Depth=1
	global_load_dwordx2 v[26:27], v[28:29], off sc1
	s_cmp_lt_u32 s60, 32
	s_cselect_b64 s[68:69], -1, 0
	s_cmp_lg_u64 s[68:69], 0
	s_addc_u32 s60, s60, 0
	s_waitcnt vmcnt(0)
	v_cmp_ne_u16_sdwa s[68:69], v27, v23 src0_sel:BYTE_0 src1_sel:DWORD
	s_or_b64 s[58:59], s[68:69], s[58:59]
	s_andn2_b64 exec, exec, s[58:59]
	s_cbranch_execnz .LBB1618_166
; %bb.169:
	s_or_b64 exec, exec, s[58:59]
.LBB1618_170:
	s_or_b64 exec, exec, s[56:57]
	v_mov_b32_e32 v23, 2
	v_cmp_eq_u16_sdwa s[56:57], v27, v23 src0_sel:BYTE_0 src1_sel:DWORD
	v_lshlrev_b64 v[28:29], v25, -1
	v_and_b32_e32 v48, 0xffffff, v26
	v_and_b32_e32 v23, s57, v29
	v_or_b32_e32 v23, 0x80000000, v23
	v_ffbl_b32_e32 v23, v23
	v_add_u32_e32 v31, 32, v23
	v_and_b32_e32 v23, 63, v25
	v_cmp_ne_u32_e32 vcc, 63, v23
	v_and_b32_e32 v30, s56, v28
	v_ffbl_b32_e32 v30, v30
	v_addc_co_u32_e32 v37, vcc, 0, v25, vcc
	v_lshlrev_b32_e32 v37, 2, v37
	ds_bpermute_b32 v38, v37, v48
	v_min_u32_e32 v31, v30, v31
	v_lshrrev_b32_e32 v30, 16, v26
	v_cmp_lt_u32_e32 vcc, v23, v31
	v_bfe_u32 v46, v26, 16, 8
	s_and_saveexec_b64 s[56:57], vcc
	s_cbranch_execz .LBB1618_172
; %bb.171:
	v_and_b32_e32 v30, 0xff0000, v26
	v_cmp_eq_u32_e32 vcc, 0, v30
	v_and_b32_e32 v30, 0x10000, v30
	v_mov_b32_e32 v41, 1
	s_waitcnt lgkmcnt(0)
	v_cndmask_b32_e32 v39, 0, v38, vcc
	v_and_b32_sdwa v38, v38, v41 dst_sel:DWORD dst_unused:UNUSED_PAD src0_sel:WORD_1 src1_sel:DWORD
	v_cmp_ne_u32_e32 vcc, 0, v30
	v_add_u16_e32 v40, v39, v26
	v_add_u16_e32 v26, v39, v26
	v_cndmask_b32_e64 v30, v38, 1, vcc
	v_lshlrev_b32_e32 v38, 16, v30
	v_or_b32_e32 v48, v38, v26
	v_mov_b32_e32 v26, v40
	v_mov_b32_e32 v46, v30
.LBB1618_172:
	s_or_b64 exec, exec, s[56:57]
	v_cmp_gt_u32_e32 vcc, 62, v23
	v_add_u32_e32 v39, 2, v23
	s_waitcnt lgkmcnt(0)
	v_cndmask_b32_e64 v38, 0, 1, vcc
	v_lshlrev_b32_e32 v38, 1, v38
	v_add_lshl_u32 v38, v38, v25, 2
	ds_bpermute_b32 v40, v38, v48
	v_cmp_le_u32_e32 vcc, v39, v31
	s_and_saveexec_b64 s[56:57], vcc
	s_cbranch_execz .LBB1618_174
; %bb.173:
	v_cmp_eq_u16_e32 vcc, 0, v46
	v_and_b32_e32 v30, 1, v46
	v_mov_b32_e32 v43, 1
	s_waitcnt lgkmcnt(0)
	v_cndmask_b32_e32 v41, 0, v40, vcc
	v_and_b32_sdwa v40, v40, v43 dst_sel:DWORD dst_unused:UNUSED_PAD src0_sel:WORD_1 src1_sel:DWORD
	v_cmp_eq_u32_e32 vcc, 1, v30
	v_add_u16_e32 v42, v41, v26
	v_add_u16_e32 v26, v41, v26
	v_cndmask_b32_e64 v30, v40, 1, vcc
	v_lshlrev_b32_e32 v40, 16, v30
	v_or_b32_e32 v48, v40, v26
	v_mov_b32_e32 v26, v42
	v_mov_b32_e32 v46, v30
.LBB1618_174:
	s_or_b64 exec, exec, s[56:57]
	v_cmp_gt_u32_e32 vcc, 60, v23
	v_add_u32_e32 v41, 4, v23
	s_waitcnt lgkmcnt(0)
	v_cndmask_b32_e64 v40, 0, 1, vcc
	v_lshlrev_b32_e32 v40, 2, v40
	v_add_lshl_u32 v40, v40, v25, 2
	ds_bpermute_b32 v42, v40, v48
	v_cmp_le_u32_e32 vcc, v41, v31
	s_and_saveexec_b64 s[56:57], vcc
	s_cbranch_execz .LBB1618_176
; %bb.175:
	v_cmp_eq_u16_e32 vcc, 0, v46
	v_and_b32_e32 v30, 1, v46
	v_mov_b32_e32 v45, 1
	s_waitcnt lgkmcnt(0)
	v_cndmask_b32_e32 v43, 0, v42, vcc
	v_and_b32_sdwa v42, v42, v45 dst_sel:DWORD dst_unused:UNUSED_PAD src0_sel:WORD_1 src1_sel:DWORD
	v_cmp_eq_u32_e32 vcc, 1, v30
	v_add_u16_e32 v44, v43, v26
	v_add_u16_e32 v26, v43, v26
	v_cndmask_b32_e64 v30, v42, 1, vcc
	v_lshlrev_b32_e32 v42, 16, v30
	v_or_b32_e32 v48, v42, v26
	v_mov_b32_e32 v26, v44
	v_mov_b32_e32 v46, v30
.LBB1618_176:
	;; [unrolled: 27-line block ×4, first 2 shown]
	s_or_b64 exec, exec, s[56:57]
	v_cmp_gt_u32_e32 vcc, 32, v23
	s_waitcnt lgkmcnt(0)
	s_nop 0
	v_cndmask_b32_e64 v47, 0, 1, vcc
	v_lshlrev_b32_e32 v47, 5, v47
	v_add_lshl_u32 v47, v47, v25, 2
	ds_bpermute_b32 v25, v47, v48
	v_add_u32_e32 v48, 32, v23
	v_cmp_le_u32_e32 vcc, v48, v31
	s_and_saveexec_b64 s[56:57], vcc
	s_cbranch_execz .LBB1618_182
; %bb.181:
	v_cmp_eq_u16_e32 vcc, 0, v46
	v_mov_b32_e32 v31, 1
	s_waitcnt lgkmcnt(0)
	v_cndmask_b32_e32 v30, 0, v25, vcc
	v_add_u16_e32 v26, v30, v26
	v_and_b32_e32 v30, 1, v46
	v_and_b32_sdwa v25, v25, v31 dst_sel:DWORD dst_unused:UNUSED_PAD src0_sel:WORD_1 src1_sel:DWORD
	v_cmp_eq_u32_e32 vcc, 1, v30
	s_nop 1
	v_cndmask_b32_e64 v30, v25, 1, vcc
.LBB1618_182:
	s_or_b64 exec, exec, s[56:57]
	s_waitcnt lgkmcnt(0)
	v_mov_b32_e32 v25, 0
	v_mov_b32_e32 v52, 2
	;; [unrolled: 1-line block ×3, first 2 shown]
	s_branch .LBB1618_184
.LBB1618_183:                           ;   in Loop: Header=BB1618_184 Depth=1
	s_or_b64 exec, exec, s[56:57]
	v_cmp_eq_u16_sdwa vcc, v46, v25 src0_sel:BYTE_0 src1_sel:DWORD
	v_and_b32_e32 v30, 1, v46
	v_and_b32_e32 v31, 1, v31
	v_cndmask_b32_e32 v26, 0, v26, vcc
	v_cmp_eq_u32_e32 vcc, 1, v30
	v_subrev_u32_e32 v24, 64, v24
	v_add_u16_e32 v26, v26, v49
	v_cndmask_b32_e64 v30, v31, 1, vcc
.LBB1618_184:                           ; =>This Loop Header: Depth=1
                                        ;     Child Loop BB1618_187 Depth 2
                                        ;       Child Loop BB1618_188 Depth 3
	v_cmp_ne_u16_sdwa s[56:57], v27, v52 src0_sel:BYTE_0 src1_sel:DWORD
	v_mov_b32_e32 v46, v30
	v_mov_b32_e32 v49, v26
	v_cndmask_b32_e64 v27, 0, 1, s[56:57]
	;;#ASMSTART
	;;#ASMEND
	s_nop 0
	v_cmp_ne_u32_e32 vcc, 0, v27
	s_cmp_lg_u64 vcc, exec
	s_cbranch_scc1 .LBB1618_203
; %bb.185:                              ;   in Loop: Header=BB1618_184 Depth=1
	v_lshl_add_u64 v[30:31], v[24:25], 3, s[64:65]
	global_load_dwordx2 v[26:27], v[30:31], off sc1
	s_waitcnt vmcnt(0)
	v_cmp_eq_u16_sdwa s[58:59], v27, v25 src0_sel:BYTE_0 src1_sel:DWORD
	s_and_saveexec_b64 s[56:57], s[58:59]
	s_cbranch_execz .LBB1618_191
; %bb.186:                              ;   in Loop: Header=BB1618_184 Depth=1
	s_mov_b32 s60, 1
	s_mov_b64 s[58:59], 0
.LBB1618_187:                           ;   Parent Loop BB1618_184 Depth=1
                                        ; =>  This Loop Header: Depth=2
                                        ;       Child Loop BB1618_188 Depth 3
	s_max_u32 s61, s60, 1
.LBB1618_188:                           ;   Parent Loop BB1618_184 Depth=1
                                        ;     Parent Loop BB1618_187 Depth=2
                                        ; =>    This Inner Loop Header: Depth=3
	s_add_i32 s61, s61, -1
	s_cmp_eq_u32 s61, 0
	s_sleep 1
	s_cbranch_scc0 .LBB1618_188
; %bb.189:                              ;   in Loop: Header=BB1618_187 Depth=2
	global_load_dwordx2 v[26:27], v[30:31], off sc1
	s_cmp_lt_u32 s60, 32
	s_cselect_b64 s[68:69], -1, 0
	s_cmp_lg_u64 s[68:69], 0
	s_addc_u32 s60, s60, 0
	s_waitcnt vmcnt(0)
	v_cmp_ne_u16_sdwa s[68:69], v27, v25 src0_sel:BYTE_0 src1_sel:DWORD
	s_or_b64 s[58:59], s[68:69], s[58:59]
	s_andn2_b64 exec, exec, s[58:59]
	s_cbranch_execnz .LBB1618_187
; %bb.190:                              ;   in Loop: Header=BB1618_184 Depth=1
	s_or_b64 exec, exec, s[58:59]
.LBB1618_191:                           ;   in Loop: Header=BB1618_184 Depth=1
	s_or_b64 exec, exec, s[56:57]
	v_cmp_eq_u16_sdwa s[56:57], v27, v52 src0_sel:BYTE_0 src1_sel:DWORD
	s_waitcnt lgkmcnt(0)
	v_and_b32_e32 v55, 0xffffff, v26
	ds_bpermute_b32 v58, v37, v55
	v_and_b32_e32 v30, s57, v29
	v_or_b32_e32 v30, 0x80000000, v30
	v_and_b32_e32 v31, s56, v28
	v_ffbl_b32_e32 v30, v30
	v_add_u32_e32 v30, 32, v30
	v_ffbl_b32_e32 v31, v31
	v_min_u32_e32 v30, v31, v30
	v_lshrrev_b32_e32 v31, 16, v26
	v_cmp_lt_u32_e32 vcc, v23, v30
	v_bfe_u32 v54, v26, 16, 8
	s_and_saveexec_b64 s[56:57], vcc
	s_cbranch_execz .LBB1618_193
; %bb.192:                              ;   in Loop: Header=BB1618_184 Depth=1
	v_and_b32_e32 v31, 0xff0000, v26
	v_cmp_eq_u32_e32 vcc, 0, v31
	v_and_b32_e32 v31, 0x10000, v31
	s_waitcnt lgkmcnt(0)
	v_and_b32_sdwa v55, v58, v53 dst_sel:DWORD dst_unused:UNUSED_PAD src0_sel:WORD_1 src1_sel:DWORD
	v_cndmask_b32_e32 v54, 0, v58, vcc
	v_cmp_ne_u32_e32 vcc, 0, v31
	v_add_u16_e32 v59, v54, v26
	v_add_u16_e32 v26, v54, v26
	v_cndmask_b32_e64 v31, v55, 1, vcc
	v_lshlrev_b32_e32 v55, 16, v31
	v_or_b32_e32 v55, v55, v26
	v_mov_b32_e32 v26, v59
	v_mov_b32_e32 v54, v31
.LBB1618_193:                           ;   in Loop: Header=BB1618_184 Depth=1
	s_or_b64 exec, exec, s[56:57]
	s_waitcnt lgkmcnt(0)
	ds_bpermute_b32 v58, v38, v55
	v_cmp_le_u32_e32 vcc, v39, v30
	s_and_saveexec_b64 s[56:57], vcc
	s_cbranch_execz .LBB1618_195
; %bb.194:                              ;   in Loop: Header=BB1618_184 Depth=1
	v_cmp_eq_u16_e32 vcc, 0, v54
	v_and_b32_e32 v31, 1, v54
	s_waitcnt lgkmcnt(0)
	v_and_b32_sdwa v54, v58, v53 dst_sel:DWORD dst_unused:UNUSED_PAD src0_sel:WORD_1 src1_sel:DWORD
	v_cndmask_b32_e32 v55, 0, v58, vcc
	v_cmp_eq_u32_e32 vcc, 1, v31
	v_add_u16_e32 v59, v55, v26
	v_add_u16_e32 v26, v55, v26
	v_cndmask_b32_e64 v31, v54, 1, vcc
	v_lshlrev_b32_e32 v54, 16, v31
	v_or_b32_e32 v55, v54, v26
	v_mov_b32_e32 v26, v59
	v_mov_b32_e32 v54, v31
.LBB1618_195:                           ;   in Loop: Header=BB1618_184 Depth=1
	s_or_b64 exec, exec, s[56:57]
	s_waitcnt lgkmcnt(0)
	ds_bpermute_b32 v58, v40, v55
	v_cmp_le_u32_e32 vcc, v41, v30
	s_and_saveexec_b64 s[56:57], vcc
	s_cbranch_execz .LBB1618_197
; %bb.196:                              ;   in Loop: Header=BB1618_184 Depth=1
	v_cmp_eq_u16_e32 vcc, 0, v54
	v_and_b32_e32 v31, 1, v54
	s_waitcnt lgkmcnt(0)
	v_and_b32_sdwa v54, v58, v53 dst_sel:DWORD dst_unused:UNUSED_PAD src0_sel:WORD_1 src1_sel:DWORD
	v_cndmask_b32_e32 v55, 0, v58, vcc
	v_cmp_eq_u32_e32 vcc, 1, v31
	v_add_u16_e32 v59, v55, v26
	v_add_u16_e32 v26, v55, v26
	v_cndmask_b32_e64 v31, v54, 1, vcc
	v_lshlrev_b32_e32 v54, 16, v31
	v_or_b32_e32 v55, v54, v26
	v_mov_b32_e32 v26, v59
	v_mov_b32_e32 v54, v31
.LBB1618_197:                           ;   in Loop: Header=BB1618_184 Depth=1
	s_or_b64 exec, exec, s[56:57]
	s_waitcnt lgkmcnt(0)
	ds_bpermute_b32 v58, v42, v55
	v_cmp_le_u32_e32 vcc, v43, v30
	s_and_saveexec_b64 s[56:57], vcc
	s_cbranch_execz .LBB1618_199
; %bb.198:                              ;   in Loop: Header=BB1618_184 Depth=1
	v_cmp_eq_u16_e32 vcc, 0, v54
	v_and_b32_e32 v31, 1, v54
	s_waitcnt lgkmcnt(0)
	v_and_b32_sdwa v54, v58, v53 dst_sel:DWORD dst_unused:UNUSED_PAD src0_sel:WORD_1 src1_sel:DWORD
	v_cndmask_b32_e32 v55, 0, v58, vcc
	v_cmp_eq_u32_e32 vcc, 1, v31
	v_add_u16_e32 v59, v55, v26
	v_add_u16_e32 v26, v55, v26
	v_cndmask_b32_e64 v31, v54, 1, vcc
	v_lshlrev_b32_e32 v54, 16, v31
	v_or_b32_e32 v55, v54, v26
	v_mov_b32_e32 v26, v59
	v_mov_b32_e32 v54, v31
.LBB1618_199:                           ;   in Loop: Header=BB1618_184 Depth=1
	s_or_b64 exec, exec, s[56:57]
	s_waitcnt lgkmcnt(0)
	ds_bpermute_b32 v58, v44, v55
	v_cmp_le_u32_e32 vcc, v45, v30
	s_and_saveexec_b64 s[56:57], vcc
	s_cbranch_execz .LBB1618_201
; %bb.200:                              ;   in Loop: Header=BB1618_184 Depth=1
	v_cmp_eq_u16_e32 vcc, 0, v54
	v_and_b32_e32 v31, 1, v54
	s_waitcnt lgkmcnt(0)
	v_and_b32_sdwa v54, v58, v53 dst_sel:DWORD dst_unused:UNUSED_PAD src0_sel:WORD_1 src1_sel:DWORD
	v_cndmask_b32_e32 v55, 0, v58, vcc
	v_cmp_eq_u32_e32 vcc, 1, v31
	v_add_u16_e32 v59, v55, v26
	v_add_u16_e32 v26, v55, v26
	v_cndmask_b32_e64 v31, v54, 1, vcc
	v_lshlrev_b32_e32 v54, 16, v31
	v_or_b32_e32 v55, v54, v26
	v_mov_b32_e32 v26, v59
	v_mov_b32_e32 v54, v31
.LBB1618_201:                           ;   in Loop: Header=BB1618_184 Depth=1
	s_or_b64 exec, exec, s[56:57]
	ds_bpermute_b32 v55, v47, v55
	v_cmp_le_u32_e32 vcc, v48, v30
	s_and_saveexec_b64 s[56:57], vcc
	s_cbranch_execz .LBB1618_183
; %bb.202:                              ;   in Loop: Header=BB1618_184 Depth=1
	v_cmp_eq_u16_e32 vcc, 0, v54
	s_waitcnt lgkmcnt(0)
	v_lshrrev_b32_e32 v31, 16, v55
	v_cndmask_b32_e32 v30, 0, v55, vcc
	v_add_u16_e32 v26, v30, v26
	v_and_b32_e32 v30, 1, v54
	v_cmp_eq_u32_e32 vcc, 1, v30
	s_nop 1
	v_cndmask_b32_e64 v31, v31, 1, vcc
	s_branch .LBB1618_183
.LBB1618_203:                           ;   in Loop: Header=BB1618_184 Depth=1
                                        ; implicit-def: $vgpr30
                                        ; implicit-def: $vgpr26
	s_cbranch_execz .LBB1618_184
; %bb.204:
	s_and_saveexec_b64 s[56:57], s[50:51]
	s_cbranch_execz .LBB1618_206
; %bb.205:
	v_and_b32_e32 v23, 0xff0000, v22
	s_mov_b32 s59, 0
	v_cmp_eq_u32_e32 vcc, 0, v23
	v_and_b32_e32 v24, 0x10000, v22
	v_mov_b32_e32 v25, 1
	s_add_i32 s58, s67, 64
	v_cndmask_b32_e32 v23, 0, v49, vcc
	v_and_b32_sdwa v25, v46, v25 dst_sel:WORD_1 dst_unused:UNUSED_PAD src0_sel:DWORD src1_sel:DWORD
	v_mov_b32_e32 v26, 0x10000
	v_cmp_eq_u32_e32 vcc, 0, v24
	s_lshl_b64 s[58:59], s[58:59], 3
	s_add_u32 s58, s64, s58
	v_cndmask_b32_e32 v24, v26, v25, vcc
	v_add_u16_e32 v22, v23, v22
	s_addc_u32 s59, s65, s59
	v_mov_b32_e32 v25, 0
	v_or_b32_e32 v22, v24, v22
	v_mov_b32_e32 v23, 2
	global_store_dwordx2 v25, v[22:23], s[58:59] sc1
.LBB1618_206:
	s_or_b64 exec, exec, s[56:57]
	s_and_b64 exec, exec, s[52:53]
	s_cbranch_execz .LBB1618_208
; %bb.207:
	v_mov_b32_e32 v22, 0
	ds_write_b16 v22, v49 offset:12
	ds_write_b8 v22, v46 offset:14
.LBB1618_208:
	s_or_b64 exec, exec, s[0:1]
	v_mov_b32_e32 v22, 0
	s_waitcnt lgkmcnt(0)
	s_barrier
	ds_read_b32 v23, v22 offset:12
	v_lshrrev_b32_e32 v24, 16, v36
	v_cndmask_b32_e64 v24, v24, v35, s[50:51]
	v_cmp_eq_u16_sdwa vcc, v24, v22 src0_sel:BYTE_0 src1_sel:DWORD
	v_cndmask_b32_e64 v25, v36, v34, s[50:51]
	s_waitcnt lgkmcnt(0)
	v_cndmask_b32_e32 v22, 0, v23, vcc
	v_add_u16_e32 v22, v22, v25
	v_cndmask_b32_e64 v24, v22, v23, s[52:53]
	v_and_b32_e32 v22, 0xff0000, v1
	v_cmp_eq_u32_e32 vcc, 0, v22
	s_nop 1
	v_cndmask_b32_e32 v22, 0, v24, vcc
	v_add_u16_e32 v22, v22, v1
	v_cndmask_b32_e64 v23, 0, v22, s[4:5]
	v_add_u16_e32 v23, v23, v56
	v_cndmask_b32_e64 v25, 0, v23, s[6:7]
	;; [unrolled: 2-line block ×22, first 2 shown]
	v_add_u16_e32 v47, v47, v17
	s_branch .LBB1618_259
.LBB1618_209:
	s_or_b64 exec, exec, s[0:1]
                                        ; implicit-def: $vgpr3
	s_and_saveexec_b64 s[0:1], s[4:5]
	s_cbranch_execz .LBB1618_57
.LBB1618_210:
	v_lshlrev_b32_e32 v20, 1, v0
	v_mov_b32_e32 v21, 0
	v_lshl_add_u64 v[20:21], v[52:53], 0, v[20:21]
	flat_load_ushort v3, v[20:21] offset:512
	s_or_b64 exec, exec, s[0:1]
                                        ; implicit-def: $vgpr20
	s_and_saveexec_b64 s[0:1], s[6:7]
	s_cbranch_execnz .LBB1618_58
.LBB1618_211:
	s_or_b64 exec, exec, s[0:1]
                                        ; implicit-def: $vgpr21
	s_and_saveexec_b64 s[0:1], s[8:9]
	s_cbranch_execz .LBB1618_59
.LBB1618_212:
	v_lshlrev_b32_e32 v46, 1, v0
	v_mov_b32_e32 v47, 0
	v_lshl_add_u64 v[46:47], v[52:53], 0, v[46:47]
	flat_load_ushort v21, v[46:47] offset:1536
	s_or_b64 exec, exec, s[0:1]
                                        ; implicit-def: $vgpr46
	s_and_saveexec_b64 s[0:1], s[10:11]
	s_cbranch_execnz .LBB1618_60
.LBB1618_213:
	s_or_b64 exec, exec, s[0:1]
                                        ; implicit-def: $vgpr47
	s_and_saveexec_b64 s[0:1], s[12:13]
	s_cbranch_execz .LBB1618_61
.LBB1618_214:
	v_lshlrev_b32_e32 v48, 1, v0
	v_mov_b32_e32 v49, 0
	v_lshl_add_u64 v[48:49], v[52:53], 0, v[48:49]
	flat_load_ushort v47, v[48:49] offset:2560
	s_or_b64 exec, exec, s[0:1]
                                        ; implicit-def: $vgpr48
	s_and_saveexec_b64 s[0:1], s[14:15]
	s_cbranch_execnz .LBB1618_62
.LBB1618_215:
	s_or_b64 exec, exec, s[0:1]
                                        ; implicit-def: $vgpr49
	s_and_saveexec_b64 s[0:1], s[16:17]
	s_cbranch_execz .LBB1618_63
.LBB1618_216:
	v_lshlrev_b32_e32 v56, 1, v0
	v_mov_b32_e32 v57, 0
	v_lshl_add_u64 v[56:57], v[52:53], 0, v[56:57]
	flat_load_ushort v49, v[56:57] offset:3584
	s_or_b64 exec, exec, s[0:1]
                                        ; implicit-def: $vgpr56
	s_and_saveexec_b64 s[0:1], s[18:19]
	s_cbranch_execnz .LBB1618_64
.LBB1618_217:
	s_or_b64 exec, exec, s[0:1]
                                        ; implicit-def: $vgpr1
	s_and_saveexec_b64 s[0:1], s[20:21]
	s_cbranch_execz .LBB1618_65
.LBB1618_218:
	v_lshlrev_b32_e32 v60, 1, v4
	v_mov_b32_e32 v61, 0
	v_lshl_add_u64 v[60:61], v[52:53], 0, v[60:61]
	flat_load_ushort v1, v[60:61]
	s_or_b64 exec, exec, s[0:1]
                                        ; implicit-def: $vgpr4
	s_and_saveexec_b64 s[0:1], s[22:23]
	s_cbranch_execnz .LBB1618_66
.LBB1618_219:
	s_or_b64 exec, exec, s[0:1]
                                        ; implicit-def: $vgpr5
	s_and_saveexec_b64 s[0:1], s[24:25]
	s_cbranch_execz .LBB1618_67
.LBB1618_220:
	v_lshlrev_b32_e32 v60, 1, v6
	v_mov_b32_e32 v61, 0
	v_lshl_add_u64 v[60:61], v[52:53], 0, v[60:61]
	flat_load_ushort v5, v[60:61]
	s_or_b64 exec, exec, s[0:1]
                                        ; implicit-def: $vgpr6
	s_and_saveexec_b64 s[0:1], s[26:27]
	s_cbranch_execnz .LBB1618_68
.LBB1618_221:
	s_or_b64 exec, exec, s[0:1]
                                        ; implicit-def: $vgpr7
	s_and_saveexec_b64 s[0:1], s[28:29]
	s_cbranch_execz .LBB1618_69
.LBB1618_222:
	v_lshlrev_b32_e32 v60, 1, v8
	v_mov_b32_e32 v61, 0
	v_lshl_add_u64 v[60:61], v[52:53], 0, v[60:61]
	flat_load_ushort v7, v[60:61]
	s_or_b64 exec, exec, s[0:1]
                                        ; implicit-def: $vgpr8
	s_and_saveexec_b64 s[0:1], s[30:31]
	s_cbranch_execnz .LBB1618_70
.LBB1618_223:
	s_or_b64 exec, exec, s[0:1]
                                        ; implicit-def: $vgpr9
	s_and_saveexec_b64 s[0:1], s[34:35]
	s_cbranch_execz .LBB1618_71
.LBB1618_224:
	v_lshlrev_b32_e32 v60, 1, v10
	v_mov_b32_e32 v61, 0
	v_lshl_add_u64 v[60:61], v[52:53], 0, v[60:61]
	flat_load_ushort v9, v[60:61]
	s_or_b64 exec, exec, s[0:1]
                                        ; implicit-def: $vgpr10
	s_and_saveexec_b64 s[0:1], s[36:37]
	s_cbranch_execnz .LBB1618_72
.LBB1618_225:
	s_or_b64 exec, exec, s[0:1]
                                        ; implicit-def: $vgpr11
	s_and_saveexec_b64 s[0:1], s[38:39]
	s_cbranch_execz .LBB1618_73
.LBB1618_226:
	v_lshlrev_b32_e32 v60, 1, v12
	v_mov_b32_e32 v61, 0
	v_lshl_add_u64 v[60:61], v[52:53], 0, v[60:61]
	flat_load_ushort v11, v[60:61]
	s_or_b64 exec, exec, s[0:1]
                                        ; implicit-def: $vgpr12
	s_and_saveexec_b64 s[0:1], s[40:41]
	s_cbranch_execnz .LBB1618_74
.LBB1618_227:
	s_or_b64 exec, exec, s[0:1]
                                        ; implicit-def: $vgpr13
	s_and_saveexec_b64 s[0:1], s[42:43]
	s_cbranch_execz .LBB1618_75
.LBB1618_228:
	v_lshlrev_b32_e32 v60, 1, v14
	v_mov_b32_e32 v61, 0
	v_lshl_add_u64 v[60:61], v[52:53], 0, v[60:61]
	flat_load_ushort v13, v[60:61]
	s_or_b64 exec, exec, s[0:1]
                                        ; implicit-def: $vgpr14
	s_and_saveexec_b64 s[0:1], s[44:45]
	s_cbranch_execnz .LBB1618_76
.LBB1618_229:
	s_or_b64 exec, exec, s[0:1]
                                        ; implicit-def: $vgpr15
	s_and_saveexec_b64 s[0:1], s[46:47]
	s_cbranch_execz .LBB1618_77
.LBB1618_230:
	v_lshlrev_b32_e32 v60, 1, v16
	v_mov_b32_e32 v61, 0
	v_lshl_add_u64 v[60:61], v[52:53], 0, v[60:61]
	flat_load_ushort v15, v[60:61]
	s_or_b64 exec, exec, s[0:1]
                                        ; implicit-def: $vgpr16
	s_and_saveexec_b64 s[0:1], s[48:49]
	s_cbranch_execz .LBB1618_79
	s_branch .LBB1618_78
.LBB1618_231:
                                        ; implicit-def: $vgpr24
                                        ; implicit-def: $vgpr22
                                        ; implicit-def: $vgpr23
                                        ; implicit-def: $vgpr25
                                        ; implicit-def: $vgpr26
                                        ; implicit-def: $vgpr27
                                        ; implicit-def: $vgpr29
                                        ; implicit-def: $vgpr31
                                        ; implicit-def: $vgpr28
                                        ; implicit-def: $vgpr30
                                        ; implicit-def: $vgpr34
                                        ; implicit-def: $vgpr35
                                        ; implicit-def: $vgpr36
                                        ; implicit-def: $vgpr37
                                        ; implicit-def: $vgpr39
                                        ; implicit-def: $vgpr41
                                        ; implicit-def: $vgpr38
                                        ; implicit-def: $vgpr40
                                        ; implicit-def: $vgpr42
                                        ; implicit-def: $vgpr43
                                        ; implicit-def: $vgpr44
                                        ; implicit-def: $vgpr45
                                        ; implicit-def: $vgpr46
                                        ; implicit-def: $vgpr47
	s_cbranch_execz .LBB1618_259
; %bb.232:
	s_cmp_lg_u64 s[72:73], 0
	s_cselect_b32 s1, s71, 0
	s_cselect_b32 s0, s70, 0
	s_cmp_eq_u64 s[0:1], 0
	v_mov_b32_e32 v47, s74
	s_cbranch_scc1 .LBB1618_234
; %bb.233:
	v_mov_b32_e32 v22, 0
	global_load_ushort v47, v22, s[0:1]
.LBB1618_234:
	s_mov_b32 s50, 0x10000
	v_cmp_gt_u32_e32 vcc, s50, v56
	v_cmp_gt_u32_e64 s[4:5], s50, v21
	v_cmp_gt_u32_e64 s[6:7], s50, v20
	v_cndmask_b32_e32 v22, 0, v1, vcc
	v_add_u16_e32 v22, v22, v56
	v_cndmask_b32_e64 v22, 0, v22, s[4:5]
	v_add_u16_e32 v22, v22, v21
	v_cndmask_b32_e64 v22, 0, v22, s[6:7]
	v_add_u16_e32 v22, v22, v20
	v_cmp_gt_u32_e64 s[8:9], s50, v19
	v_cmp_gt_u32_e64 s[10:11], s50, v18
	v_cmp_gt_u32_e64 s[12:13], s50, v57
	v_cndmask_b32_e64 v22, 0, v22, s[8:9]
	v_add_u16_e32 v22, v22, v19
	v_cndmask_b32_e64 v22, 0, v22, s[10:11]
	v_add_u16_e32 v22, v22, v18
	v_cndmask_b32_e64 v22, 0, v22, s[12:13]
	v_add_u16_e32 v22, v22, v57
	v_cmp_gt_u32_e64 s[14:15], s50, v9
	v_cmp_gt_u32_e64 s[16:17], s50, v8
	v_cmp_gt_u32_e64 s[18:19], s50, v7
	v_cndmask_b32_e64 v22, 0, v22, s[14:15]
	;; [unrolled: 9-line block ×5, first 2 shown]
	v_add_u16_e32 v22, v22, v11
	v_cndmask_b32_e64 v22, 0, v22, s[36:37]
	v_add_u16_e32 v22, v22, v12
	v_cndmask_b32_e64 v22, 0, v22, s[38:39]
	v_add_u16_e32 v22, v22, v13
	v_cmp_gt_u32_e64 s[40:41], s50, v14
	v_bfe_u32 v25, v19, 16, 1
	v_cmp_gt_u32_e64 s[42:43], s50, v15
	v_cndmask_b32_e64 v22, 0, v22, s[40:41]
	v_add_u16_e32 v22, v22, v14
	v_lshlrev_b16_e32 v26, 1, v25
	v_mov_b32_e32 v25, 1
	v_cndmask_b32_e64 v22, 0, v22, s[42:43]
	v_and_b32_sdwa v27, v18, v25 dst_sel:DWORD dst_unused:UNUSED_PAD src0_sel:WORD_1 src1_sel:DWORD
	v_add_u16_e32 v22, v22, v15
	v_cmp_gt_u32_e64 s[44:45], s50, v16
	v_or_b32_e32 v26, v27, v26
	v_bfe_u32 v27, v21, 16, 1
	v_and_b32_sdwa v28, v20, v25 dst_sel:DWORD dst_unused:UNUSED_PAD src0_sel:WORD_1 src1_sel:DWORD
	v_cndmask_b32_e64 v22, 0, v22, s[44:45]
	v_lshlrev_b16_e32 v27, 3, v27
	v_lshlrev_b16_e32 v28, 2, v28
	v_add_u16_e32 v22, v22, v16
	v_cmp_gt_u32_e64 s[46:47], s50, v17
	v_or_b32_e32 v27, v27, v28
	v_or_b32_e32 v26, v26, v27
	v_cndmask_b32_e64 v22, 0, v22, s[46:47]
	v_and_b32_e32 v27, 0x10000, v57
	v_add_u16_e32 v22, v22, v17
	v_cmp_gt_u32_e64 s[50:51], s50, v32
	v_and_b32_e32 v28, 0x10000, v32
	v_cmp_ne_u32_e64 s[0:1], 0, v27
	v_cndmask_b32_e64 v27, 0, v22, s[50:51]
	v_cmp_ne_u32_e64 s[50:51], 0, v28
	v_or_b32_e32 v28, v16, v8
	v_or_b32_e32 v29, v17, v9
	;; [unrolled: 1-line block ×7, first 2 shown]
	v_bfe_u32 v31, v31, 16, 1
	v_bfe_u32 v29, v29, 16, 1
	v_and_b32_sdwa v28, v28, v25 dst_sel:DWORD dst_unused:UNUSED_PAD src0_sel:WORD_1 src1_sel:DWORD
	v_or_b32_e32 v36, v10, v2
	v_bfe_u32 v37, v37, 16, 1
	v_bfe_u32 v35, v35, 16, 1
	v_and_b32_sdwa v34, v34, v25 dst_sel:DWORD dst_unused:UNUSED_PAD src0_sel:WORD_1 src1_sel:DWORD
	v_lshlrev_b16_e32 v31, 1, v31
	v_and_b32_sdwa v30, v30, v25 dst_sel:DWORD dst_unused:UNUSED_PAD src0_sel:WORD_1 src1_sel:DWORD
	v_lshlrev_b16_e32 v29, 3, v29
	v_lshlrev_b16_e32 v28, 2, v28
	;; [unrolled: 1-line block ×3, first 2 shown]
	v_and_b32_sdwa v36, v36, v25 dst_sel:DWORD dst_unused:UNUSED_PAD src0_sel:WORD_1 src1_sel:DWORD
	v_lshlrev_b16_e32 v35, 3, v35
	v_lshlrev_b16_e32 v34, 2, v34
	v_or_b32_e32 v30, v30, v31
	v_or_b32_e32 v28, v29, v28
	;; [unrolled: 1-line block ×6, first 2 shown]
	v_lshlrev_b16_e32 v28, 4, v28
	v_or_b32_e32 v28, v34, v28
	v_or_b32_e32 v26, v28, v26
	v_mov_b32_e32 v28, 0
	v_cmp_ne_u16_sdwa s[56:57], v26, v28 src0_sel:BYTE_0 src1_sel:DWORD
	v_and_b32_e32 v24, 0x10000, v56
	s_or_b64 s[50:51], s[50:51], s[56:57]
	v_cmp_ne_u32_e64 s[48:49], 0, v24
	s_or_b64 s[0:1], s[50:51], s[0:1]
	v_mov_b32_e32 v23, 0x10000
	v_and_b32_e32 v24, 0x10000, v1
	s_or_b64 s[0:1], s[0:1], s[48:49]
	v_cndmask_b32_e64 v28, v24, v23, s[0:1]
	v_add_u16_e32 v26, v27, v32
	v_mbcnt_hi_u32_b32 v23, -1, v33
	v_add_u16_e32 v22, v27, v32
	v_and_b32_e32 v27, 15, v23
	v_or_b32_e32 v26, v28, v26
	v_lshrrev_b32_e32 v24, 16, v28
	v_cmp_ne_u32_e64 s[0:1], 0, v27
	v_mov_b32_dpp v29, v26 row_shr:1 row_mask:0xf bank_mask:0xf
	s_and_saveexec_b64 s[48:49], s[0:1]
; %bb.235:
	v_cmp_eq_u32_e64 s[0:1], 0, v28
	v_and_b32_e32 v24, 0x10000, v28
	v_and_b32_sdwa v25, v29, v25 dst_sel:DWORD dst_unused:UNUSED_PAD src0_sel:WORD_1 src1_sel:DWORD
	v_cndmask_b32_e64 v26, 0, v29, s[0:1]
	v_cmp_ne_u32_e64 s[0:1], 0, v24
	v_add_u16_e32 v30, v26, v22
	v_add_u16_e32 v22, v26, v22
	v_cndmask_b32_e64 v24, v25, 1, s[0:1]
	v_lshlrev_b32_e32 v25, 16, v24
	v_or_b32_e32 v26, v25, v22
	v_mov_b32_e32 v22, v30
; %bb.236:
	s_or_b64 exec, exec, s[48:49]
	v_lshrrev_b32_e32 v25, 16, v26
	v_mov_b32_dpp v28, v26 row_shr:2 row_mask:0xf bank_mask:0xf
	v_cmp_lt_u32_e64 s[0:1], 1, v27
	s_and_saveexec_b64 s[48:49], s[0:1]
	s_cbranch_execz .LBB1618_238
; %bb.237:
	s_mov_b32 s0, 0x10000
	v_cmp_gt_u32_e64 s[0:1], s0, v26
	v_and_b32_e32 v24, 0x10000, v26
	v_mov_b32_e32 v26, 1
	v_cndmask_b32_e64 v25, 0, v28, s[0:1]
	v_and_b32_sdwa v26, v28, v26 dst_sel:DWORD dst_unused:UNUSED_PAD src0_sel:WORD_1 src1_sel:DWORD
	v_cmp_ne_u32_e64 s[0:1], 0, v24
	v_add_u16_e32 v29, v25, v22
	v_add_u16_e32 v22, v25, v22
	v_cndmask_b32_e64 v24, v26, 1, s[0:1]
	v_lshlrev_b32_e32 v26, 16, v24
	v_or_b32_e32 v26, v26, v22
	v_mov_b32_e32 v25, v24
	v_mov_b32_e32 v22, v29
.LBB1618_238:
	s_or_b64 exec, exec, s[48:49]
	v_mov_b32_dpp v28, v26 row_shr:4 row_mask:0xf bank_mask:0xf
	v_cmp_lt_u32_e64 s[0:1], 3, v27
	s_and_saveexec_b64 s[48:49], s[0:1]
	s_cbranch_execz .LBB1618_240
; %bb.239:
	v_cmp_eq_u16_e64 s[0:1], 0, v25
	v_and_b32_e32 v24, 1, v25
	v_mov_b32_e32 v25, 1
	v_cndmask_b32_e64 v26, 0, v28, s[0:1]
	v_and_b32_sdwa v25, v28, v25 dst_sel:DWORD dst_unused:UNUSED_PAD src0_sel:WORD_1 src1_sel:DWORD
	v_cmp_eq_u32_e64 s[0:1], 1, v24
	v_add_u16_e32 v29, v26, v22
	v_add_u16_e32 v22, v26, v22
	v_cndmask_b32_e64 v24, v25, 1, s[0:1]
	v_lshlrev_b32_e32 v25, 16, v24
	v_or_b32_e32 v26, v25, v22
	v_mov_b32_e32 v25, v24
	v_mov_b32_e32 v22, v29
.LBB1618_240:
	s_or_b64 exec, exec, s[48:49]
	v_mov_b32_dpp v28, v26 row_shr:8 row_mask:0xf bank_mask:0xf
	v_cmp_lt_u32_e64 s[0:1], 7, v27
	s_and_saveexec_b64 s[48:49], s[0:1]
	s_cbranch_execz .LBB1618_242
; %bb.241:
	v_cmp_eq_u16_e64 s[0:1], 0, v25
	v_and_b32_e32 v24, 1, v25
	v_mov_b32_e32 v25, 1
	v_cndmask_b32_e64 v26, 0, v28, s[0:1]
	v_and_b32_sdwa v25, v28, v25 dst_sel:DWORD dst_unused:UNUSED_PAD src0_sel:WORD_1 src1_sel:DWORD
	v_cmp_eq_u32_e64 s[0:1], 1, v24
	v_add_u16_e32 v27, v26, v22
	v_add_u16_e32 v22, v26, v22
	v_cndmask_b32_e64 v24, v25, 1, s[0:1]
	v_lshlrev_b32_e32 v25, 16, v24
	v_or_b32_e32 v26, v25, v22
	v_mov_b32_e32 v25, v24
	v_mov_b32_e32 v22, v27
.LBB1618_242:
	s_or_b64 exec, exec, s[48:49]
	v_and_b32_e32 v28, 16, v23
	v_mov_b32_dpp v27, v26 row_bcast:15 row_mask:0xf bank_mask:0xf
	v_cmp_ne_u32_e64 s[0:1], 0, v28
	s_and_saveexec_b64 s[48:49], s[0:1]
	s_cbranch_execz .LBB1618_244
; %bb.243:
	v_cmp_eq_u16_e64 s[0:1], 0, v25
	v_and_b32_e32 v24, 1, v25
	v_mov_b32_e32 v25, 1
	v_cndmask_b32_e64 v26, 0, v27, s[0:1]
	v_and_b32_sdwa v25, v27, v25 dst_sel:DWORD dst_unused:UNUSED_PAD src0_sel:WORD_1 src1_sel:DWORD
	v_cmp_eq_u32_e64 s[0:1], 1, v24
	v_add_u16_e32 v28, v26, v22
	v_add_u16_e32 v22, v26, v22
	v_cndmask_b32_e64 v24, v25, 1, s[0:1]
	v_lshlrev_b32_e32 v25, 16, v24
	v_or_b32_e32 v26, v25, v22
	v_mov_b32_e32 v25, v24
	v_mov_b32_e32 v22, v28
.LBB1618_244:
	s_or_b64 exec, exec, s[48:49]
	v_mov_b32_dpp v26, v26 row_bcast:31 row_mask:0xf bank_mask:0xf
	v_cmp_lt_u32_e64 s[0:1], 31, v23
	s_and_saveexec_b64 s[48:49], s[0:1]
; %bb.245:
	v_cmp_eq_u16_e64 s[0:1], 0, v25
	s_nop 1
	v_cndmask_b32_e64 v24, 0, v26, s[0:1]
	v_add_u16_e32 v22, v24, v22
	v_and_b32_e32 v24, 1, v25
	v_mov_b32_e32 v25, 1
	v_and_b32_sdwa v25, v26, v25 dst_sel:DWORD dst_unused:UNUSED_PAD src0_sel:WORD_1 src1_sel:DWORD
	v_cmp_eq_u32_e64 s[0:1], 1, v24
	s_nop 1
	v_cndmask_b32_e64 v24, v25, 1, s[0:1]
; %bb.246:
	s_or_b64 exec, exec, s[48:49]
	v_or_b32_e32 v26, 63, v0
	v_lshrrev_b32_e32 v25, 6, v0
	v_cmp_eq_u32_e64 s[0:1], v26, v0
	s_and_saveexec_b64 s[48:49], s[0:1]
	s_cbranch_execz .LBB1618_248
; %bb.247:
	v_lshlrev_b32_e32 v26, 2, v25
	ds_write_b16 v26, v22
	ds_write_b8 v26, v24 offset:2
.LBB1618_248:
	s_or_b64 exec, exec, s[48:49]
	v_cmp_gt_u32_e64 s[0:1], 4, v0
	s_waitcnt lgkmcnt(0)
	s_barrier
	s_and_saveexec_b64 s[48:49], s[0:1]
	s_cbranch_execz .LBB1618_254
; %bb.249:
	v_lshlrev_b32_e32 v26, 2, v0
	ds_read_b32 v27, v26
	v_and_b32_e32 v30, 3, v23
	v_cmp_ne_u32_e64 s[0:1], 0, v30
	s_waitcnt lgkmcnt(0)
	v_lshrrev_b32_e32 v29, 16, v27
	v_mov_b32_dpp v31, v27 row_shr:1 row_mask:0xf bank_mask:0xf
	v_mov_b32_e32 v28, v27
	s_and_saveexec_b64 s[50:51], s[0:1]
	s_cbranch_execz .LBB1618_251
; %bb.250:
	v_mov_b32_e32 v28, 0
	v_cmp_eq_u16_sdwa s[0:1], v29, v28 src0_sel:BYTE_0 src1_sel:DWORD
	v_and_b32_e32 v29, 0x10000, v27
	v_mov_b32_e32 v34, 1
	v_cndmask_b32_e64 v33, 0, v31, s[0:1]
	v_and_b32_sdwa v31, v31, v34 dst_sel:DWORD dst_unused:UNUSED_PAD src0_sel:WORD_1 src1_sel:DWORD
	v_cmp_ne_u32_e64 s[0:1], 0, v29
	v_and_b32_e32 v32, 0xff000000, v27
	v_add_u16_e32 v28, v33, v27
	v_cndmask_b32_e64 v29, v31, 1, s[0:1]
	v_lshlrev_b32_e32 v31, 16, v29
	v_add_u16_e32 v27, v33, v27
	v_or3_b32 v27, v31, v32, v27
.LBB1618_251:
	s_or_b64 exec, exec, s[50:51]
	s_nop 0
	v_mov_b32_dpp v31, v27 row_shr:2 row_mask:0xf bank_mask:0xf
	v_cmp_lt_u32_e64 s[0:1], 1, v30
	s_and_saveexec_b64 s[50:51], s[0:1]
; %bb.252:
	v_and_b32_e32 v29, 0xff0000, v27
	v_cmp_eq_u32_e64 s[0:1], 0, v29
	v_and_b32_e32 v27, 0x10000, v27
	s_nop 0
	v_cndmask_b32_e64 v29, 0, v31, s[0:1]
	v_add_u16_e32 v28, v29, v28
	v_mov_b32_e32 v29, 1
	v_and_b32_sdwa v29, v31, v29 dst_sel:DWORD dst_unused:UNUSED_PAD src0_sel:WORD_1 src1_sel:DWORD
	v_cmp_eq_u32_e64 s[0:1], 0, v27
	s_nop 1
	v_cndmask_b32_e64 v29, 1, v29, s[0:1]
; %bb.253:
	s_or_b64 exec, exec, s[50:51]
	ds_write_b16 v26, v28
	ds_write_b8 v26, v29 offset:2
.LBB1618_254:
	s_or_b64 exec, exec, s[48:49]
	v_cmp_lt_u32_e64 s[0:1], 63, v0
	v_mov_b32_e32 v27, 0
	s_waitcnt vmcnt(0)
	v_mov_b32_e32 v26, v47
	s_waitcnt lgkmcnt(0)
	s_barrier
	s_and_saveexec_b64 s[48:49], s[0:1]
	s_cbranch_execz .LBB1618_256
; %bb.255:
	v_lshl_add_u32 v25, v25, 2, -4
	ds_read_u8 v27, v25 offset:2
	ds_read_u16 v25, v25
	s_waitcnt lgkmcnt(1)
	v_cmp_eq_u16_e64 s[0:1], 0, v27
	s_nop 1
	v_cndmask_b32_e64 v26, 0, v47, s[0:1]
	s_waitcnt lgkmcnt(0)
	v_add_u16_e32 v26, v26, v25
.LBB1618_256:
	s_or_b64 exec, exec, s[48:49]
	v_cmp_eq_u16_e64 s[0:1], 0, v24
	v_and_b32_e32 v24, 1, v24
	v_lshlrev_b32_e32 v27, 16, v27
	v_cndmask_b32_e64 v25, 0, v26, s[0:1]
	v_mov_b32_e32 v28, 0x10000
	v_cmp_eq_u32_e64 s[0:1], 1, v24
	v_add_u16_e32 v22, v25, v22
	v_and_b32_e32 v25, 64, v23
	v_cndmask_b32_e64 v24, v27, v28, s[0:1]
	v_or_b32_e32 v22, v24, v22
	v_add_u32_e32 v24, -1, v23
	v_cmp_lt_i32_e64 s[0:1], v24, v25
	s_nop 1
	v_cndmask_b32_e64 v24, v24, v23, s[0:1]
	v_lshlrev_b32_e32 v24, 2, v24
	ds_bpermute_b32 v22, v24, v22
	v_cmp_eq_u32_e64 s[0:1], 0, v23
	v_and_b32_e32 v23, 0xff0000, v1
	s_waitcnt lgkmcnt(0)
	v_cndmask_b32_e64 v24, v22, v26, s[0:1]
	v_cndmask_b32_e64 v22, v24, v47, s[52:53]
	v_cmp_eq_u32_e64 s[0:1], 0, v23
	s_nop 1
	v_cndmask_b32_e64 v22, 0, v22, s[0:1]
	v_add_u16_e32 v22, v22, v1
	v_cndmask_b32_e32 v1, 0, v22, vcc
	v_add_u16_e32 v23, v1, v56
	v_cndmask_b32_e64 v1, 0, v23, s[4:5]
	v_add_u16_e32 v25, v1, v21
	v_cndmask_b32_e64 v1, 0, v25, s[6:7]
	v_add_u16_e32 v26, v1, v20
	v_cndmask_b32_e64 v1, 0, v26, s[8:9]
	v_add_u16_e32 v27, v1, v19
	v_cndmask_b32_e64 v1, 0, v27, s[10:11]
	v_add_u16_e32 v29, v1, v18
	v_cndmask_b32_e64 v1, 0, v29, s[12:13]
	v_add_u16_e32 v31, v1, v57
	v_cndmask_b32_e64 v1, 0, v31, s[14:15]
	v_add_u16_e32 v28, v1, v9
	v_cndmask_b32_e64 v1, 0, v28, s[16:17]
	v_add_u16_e32 v30, v1, v8
	v_cndmask_b32_e64 v1, 0, v30, s[18:19]
	v_add_u16_e32 v34, v1, v7
	v_cndmask_b32_e64 v1, 0, v34, s[20:21]
	v_add_u16_e32 v35, v1, v6
	v_cndmask_b32_e64 v1, 0, v35, s[22:23]
	v_add_u16_e32 v36, v1, v5
	v_cndmask_b32_e64 v1, 0, v36, s[24:25]
	v_add_u16_e32 v37, v1, v4
	v_cndmask_b32_e64 v1, 0, v37, s[26:27]
	v_add_u16_e32 v39, v1, v3
	v_cndmask_b32_e64 v1, 0, v39, s[28:29]
	v_add_u16_e32 v41, v1, v2
	v_cndmask_b32_e64 v1, 0, v41, s[30:31]
	v_add_u16_e32 v38, v1, v10
	v_cndmask_b32_e64 v1, 0, v38, s[34:35]
	v_add_u16_e32 v40, v1, v11
	v_cndmask_b32_e64 v1, 0, v40, s[36:37]
	v_add_u16_e32 v42, v1, v12
	v_cndmask_b32_e64 v1, 0, v42, s[38:39]
	v_add_u16_e32 v43, v1, v13
	v_cndmask_b32_e64 v1, 0, v43, s[40:41]
	v_add_u16_e32 v44, v1, v14
	v_cndmask_b32_e64 v1, 0, v44, s[42:43]
	v_add_u16_e32 v45, v1, v15
	v_cndmask_b32_e64 v1, 0, v45, s[44:45]
	v_add_u16_e32 v46, v1, v16
	v_cndmask_b32_e64 v1, 0, v46, s[46:47]
	s_and_saveexec_b64 s[0:1], s[52:53]
	s_cbranch_execz .LBB1618_258
; %bb.257:
	v_mov_b32_e32 v4, 0
	ds_read_u8 v2, v4 offset:14
	ds_read_u16 v5, v4 offset:12
	v_mov_b32_e32 v3, 2
	v_mov_b32_e32 v24, v47
	s_waitcnt lgkmcnt(1)
	v_cmp_eq_u32_e32 vcc, 0, v2
	v_lshlrev_b32_e32 v6, 16, v2
	s_nop 0
	v_cndmask_b32_e32 v2, 0, v47, vcc
	s_waitcnt lgkmcnt(0)
	v_add_u32_e32 v2, v2, v5
	v_or_b32_sdwa v2, v6, v2 dst_sel:DWORD dst_unused:UNUSED_PAD src0_sel:DWORD src1_sel:WORD_0
	global_store_dwordx2 v4, v[2:3], s[64:65] offset:512 sc1
.LBB1618_258:
	s_or_b64 exec, exec, s[0:1]
	v_add_u16_e32 v47, v1, v17
.LBB1618_259:
	s_add_u32 s0, s62, s54
	s_addc_u32 s1, s63, s55
	v_mul_u32_u24_e32 v1, 24, v0
	v_lshl_add_u64 v[2:3], s[0:1], 0, v[50:51]
	s_and_b64 vcc, exec, s[2:3]
	v_lshlrev_b32_e32 v8, 1, v1
	v_lshlrev_b32_e32 v4, 1, v0
	s_cbranch_vccz .LBB1618_307
; %bb.260:
	s_mov_b32 s0, 0x5040100
	v_perm_b32 v13, v31, v29, s0
	v_perm_b32 v12, v27, v26, s0
	;; [unrolled: 1-line block ×4, first 2 shown]
	s_barrier
	ds_write_b128 v8, v[10:13]
	v_perm_b32 v13, v41, v39, s0
	v_perm_b32 v12, v37, v36, s0
	;; [unrolled: 1-line block ×4, first 2 shown]
	ds_write_b128 v8, v[10:13] offset:16
	v_perm_b32 v13, v47, v46, s0
	v_perm_b32 v12, v45, v44, s0
	;; [unrolled: 1-line block ×4, first 2 shown]
	s_movk_i32 s0, 0xffd2
	v_mad_i32_i24 v5, v0, s0, v8
	ds_write_b128 v8, v[10:13] offset:32
	s_waitcnt lgkmcnt(0)
	s_barrier
	ds_read_u16 v54, v5 offset:512
	ds_read_u16 v53, v5 offset:1024
	;; [unrolled: 1-line block ×23, first 2 shown]
	s_add_i32 s33, s33, s66
	v_mov_b32_e32 v5, 0
	v_lshl_add_u64 v[6:7], v[2:3], 0, v[4:5]
	v_cmp_gt_u32_e32 vcc, s33, v0
	s_and_saveexec_b64 s[0:1], vcc
	s_cbranch_execz .LBB1618_262
; %bb.261:
	v_mul_i32_i24_e32 v55, 0xffffffd2, v0
	v_add_u32_e32 v55, v8, v55
	ds_read_u16 v55, v55
	s_waitcnt lgkmcnt(0)
	flat_store_short v[6:7], v55
.LBB1618_262:
	s_or_b64 exec, exec, s[0:1]
	v_or_b32_e32 v55, 0x100, v0
	v_cmp_gt_u32_e32 vcc, s33, v55
	s_and_saveexec_b64 s[0:1], vcc
	s_cbranch_execz .LBB1618_264
; %bb.263:
	s_waitcnt lgkmcnt(0)
	flat_store_short v[6:7], v54 offset:512
.LBB1618_264:
	s_or_b64 exec, exec, s[0:1]
	s_waitcnt lgkmcnt(0)
	v_or_b32_e32 v54, 0x200, v0
	v_cmp_gt_u32_e32 vcc, s33, v54
	s_and_saveexec_b64 s[0:1], vcc
	s_cbranch_execz .LBB1618_266
; %bb.265:
	flat_store_short v[6:7], v53 offset:1024
.LBB1618_266:
	s_or_b64 exec, exec, s[0:1]
	v_or_b32_e32 v53, 0x300, v0
	v_cmp_gt_u32_e32 vcc, s33, v53
	s_and_saveexec_b64 s[0:1], vcc
	s_cbranch_execz .LBB1618_268
; %bb.267:
	flat_store_short v[6:7], v52 offset:1536
.LBB1618_268:
	s_or_b64 exec, exec, s[0:1]
	;; [unrolled: 8-line block ×6, first 2 shown]
	v_or_b32_e32 v48, 0x800, v0
	v_cmp_gt_u32_e32 vcc, s33, v48
	s_and_saveexec_b64 s[0:1], vcc
	s_cbranch_execz .LBB1618_278
; %bb.277:
	v_add_co_u32_e32 v48, vcc, 0x1000, v6
	s_nop 1
	v_addc_co_u32_e32 v49, vcc, 0, v7, vcc
	flat_store_short v[48:49], v33
.LBB1618_278:
	s_or_b64 exec, exec, s[0:1]
	v_or_b32_e32 v33, 0x900, v0
	v_cmp_gt_u32_e32 vcc, s33, v33
	s_and_saveexec_b64 s[0:1], vcc
	s_cbranch_execz .LBB1618_280
; %bb.279:
	v_add_co_u32_e32 v48, vcc, 0x1000, v6
	s_nop 1
	v_addc_co_u32_e32 v49, vcc, 0, v7, vcc
	flat_store_short v[48:49], v32 offset:512
.LBB1618_280:
	s_or_b64 exec, exec, s[0:1]
	v_or_b32_e32 v32, 0xa00, v0
	v_cmp_gt_u32_e32 vcc, s33, v32
	s_and_saveexec_b64 s[0:1], vcc
	s_cbranch_execz .LBB1618_282
; %bb.281:
	v_add_co_u32_e32 v32, vcc, 0x1000, v6
	s_nop 1
	v_addc_co_u32_e32 v33, vcc, 0, v7, vcc
	flat_store_short v[32:33], v21 offset:1024
.LBB1618_282:
	;; [unrolled: 11-line block ×7, first 2 shown]
	s_or_b64 exec, exec, s[0:1]
	v_or_b32_e32 v16, 0x1000, v0
	v_cmp_gt_u32_e32 vcc, s33, v16
	s_and_saveexec_b64 s[0:1], vcc
	s_cbranch_execz .LBB1618_294
; %bb.293:
	v_add_co_u32_e32 v16, vcc, 0x2000, v6
	s_nop 1
	v_addc_co_u32_e32 v17, vcc, 0, v7, vcc
	flat_store_short v[16:17], v15
.LBB1618_294:
	s_or_b64 exec, exec, s[0:1]
	v_or_b32_e32 v15, 0x1100, v0
	v_cmp_gt_u32_e32 vcc, s33, v15
	s_and_saveexec_b64 s[0:1], vcc
	s_cbranch_execz .LBB1618_296
; %bb.295:
	v_add_co_u32_e32 v16, vcc, 0x2000, v6
	s_nop 1
	v_addc_co_u32_e32 v17, vcc, 0, v7, vcc
	flat_store_short v[16:17], v14 offset:512
.LBB1618_296:
	s_or_b64 exec, exec, s[0:1]
	v_or_b32_e32 v14, 0x1200, v0
	v_cmp_gt_u32_e32 vcc, s33, v14
	s_and_saveexec_b64 s[0:1], vcc
	s_cbranch_execz .LBB1618_298
; %bb.297:
	v_add_co_u32_e32 v14, vcc, 0x2000, v6
	s_nop 1
	v_addc_co_u32_e32 v15, vcc, 0, v7, vcc
	flat_store_short v[14:15], v13 offset:1024
.LBB1618_298:
	;; [unrolled: 11-line block ×6, first 2 shown]
	s_or_b64 exec, exec, s[0:1]
	v_mov_b32_e32 v1, v5
	v_or_b32_e32 v5, 0x1700, v0
	v_cmp_gt_u32_e64 s[0:1], s33, v5
	s_branch .LBB1618_309
.LBB1618_307:
	s_mov_b64 s[0:1], 0
                                        ; implicit-def: $vgpr9
	s_cbranch_execz .LBB1618_309
; %bb.308:
	s_mov_b32 s2, 0x5040100
	v_perm_b32 v13, v31, v29, s2
	v_perm_b32 v12, v27, v26, s2
	;; [unrolled: 1-line block ×4, first 2 shown]
	s_waitcnt lgkmcnt(0)
	s_barrier
	ds_write_b128 v8, v[10:13]
	v_perm_b32 v13, v41, v39, s2
	v_perm_b32 v12, v37, v36, s2
	;; [unrolled: 1-line block ×4, first 2 shown]
	ds_write_b128 v8, v[10:13] offset:16
	v_perm_b32 v13, v47, v46, s2
	v_perm_b32 v12, v45, v44, s2
	;; [unrolled: 1-line block ×4, first 2 shown]
	s_movk_i32 s2, 0xffd2
	v_mov_b32_e32 v1, 0
	v_mad_i32_i24 v5, v0, s2, v8
	ds_write_b128 v8, v[10:13] offset:32
	s_waitcnt lgkmcnt(0)
	s_barrier
	ds_read_u16 v6, v5
	ds_read_u16 v7, v5 offset:512
	ds_read_u16 v8, v5 offset:1024
	;; [unrolled: 1-line block ×23, first 2 shown]
	v_mov_b32_e32 v5, v1
	v_lshl_add_u64 v[4:5], v[2:3], 0, v[4:5]
	s_movk_i32 s2, 0x1000
	s_waitcnt lgkmcnt(0)
	flat_store_short v[4:5], v6
	flat_store_short v[4:5], v7 offset:512
	flat_store_short v[4:5], v8 offset:1024
	;; [unrolled: 1-line block ×7, first 2 shown]
	v_add_co_u32_e32 v6, vcc, s2, v4
	s_or_b64 s[0:1], s[0:1], exec
	s_nop 0
	v_addc_co_u32_e32 v7, vcc, 0, v5, vcc
	v_add_co_u32_e32 v4, vcc, 0x2000, v4
	flat_store_short v[6:7], v15
	flat_store_short v[6:7], v16 offset:512
	flat_store_short v[6:7], v17 offset:1024
	;; [unrolled: 1-line block ×7, first 2 shown]
	v_addc_co_u32_e32 v5, vcc, 0, v5, vcc
	flat_store_short v[4:5], v23
	flat_store_short v[4:5], v24 offset:512
	flat_store_short v[4:5], v25 offset:1024
	;; [unrolled: 1-line block ×6, first 2 shown]
.LBB1618_309:
	s_and_saveexec_b64 s[2:3], s[0:1]
	s_cbranch_execz .LBB1618_311
; %bb.310:
	v_lshl_add_u64 v[0:1], v[0:1], 1, v[2:3]
	v_add_co_u32_e32 v0, vcc, 0x2000, v0
	s_nop 1
	v_addc_co_u32_e32 v1, vcc, 0, v1, vcc
	flat_store_short v[0:1], v9 offset:3584
	s_endpgm
.LBB1618_311:
	s_endpgm
	.section	.rodata,"a",@progbits
	.p2align	6, 0x0
	.amdhsa_kernel _ZN7rocprim17ROCPRIM_400000_NS6detail17trampoline_kernelINS0_14default_configENS1_27scan_by_key_config_selectorIisEEZZNS1_16scan_by_key_implILNS1_25lookback_scan_determinismE0ELb1ES3_N6thrust23THRUST_200600_302600_NS6detail15normal_iteratorINS9_10device_ptrIiEEEENSB_INSC_IsEEEESG_sNS9_4plusIvEENS9_8equal_toIvEEsEE10hipError_tPvRmT2_T3_T4_T5_mT6_T7_P12ihipStream_tbENKUlT_T0_E_clISt17integral_constantIbLb1EES11_EEDaSW_SX_EUlSW_E_NS1_11comp_targetILNS1_3genE5ELNS1_11target_archE942ELNS1_3gpuE9ELNS1_3repE0EEENS1_30default_config_static_selectorELNS0_4arch9wavefront6targetE1EEEvT1_
		.amdhsa_group_segment_fixed_size 26624
		.amdhsa_private_segment_fixed_size 0
		.amdhsa_kernarg_size 112
		.amdhsa_user_sgpr_count 2
		.amdhsa_user_sgpr_dispatch_ptr 0
		.amdhsa_user_sgpr_queue_ptr 0
		.amdhsa_user_sgpr_kernarg_segment_ptr 1
		.amdhsa_user_sgpr_dispatch_id 0
		.amdhsa_user_sgpr_kernarg_preload_length 0
		.amdhsa_user_sgpr_kernarg_preload_offset 0
		.amdhsa_user_sgpr_private_segment_size 0
		.amdhsa_uses_dynamic_stack 0
		.amdhsa_enable_private_segment 0
		.amdhsa_system_sgpr_workgroup_id_x 1
		.amdhsa_system_sgpr_workgroup_id_y 0
		.amdhsa_system_sgpr_workgroup_id_z 0
		.amdhsa_system_sgpr_workgroup_info 0
		.amdhsa_system_vgpr_workitem_id 0
		.amdhsa_next_free_vgpr 64
		.amdhsa_next_free_sgpr 75
		.amdhsa_accum_offset 64
		.amdhsa_reserve_vcc 1
		.amdhsa_float_round_mode_32 0
		.amdhsa_float_round_mode_16_64 0
		.amdhsa_float_denorm_mode_32 3
		.amdhsa_float_denorm_mode_16_64 3
		.amdhsa_dx10_clamp 1
		.amdhsa_ieee_mode 1
		.amdhsa_fp16_overflow 0
		.amdhsa_tg_split 0
		.amdhsa_exception_fp_ieee_invalid_op 0
		.amdhsa_exception_fp_denorm_src 0
		.amdhsa_exception_fp_ieee_div_zero 0
		.amdhsa_exception_fp_ieee_overflow 0
		.amdhsa_exception_fp_ieee_underflow 0
		.amdhsa_exception_fp_ieee_inexact 0
		.amdhsa_exception_int_div_zero 0
	.end_amdhsa_kernel
	.section	.text._ZN7rocprim17ROCPRIM_400000_NS6detail17trampoline_kernelINS0_14default_configENS1_27scan_by_key_config_selectorIisEEZZNS1_16scan_by_key_implILNS1_25lookback_scan_determinismE0ELb1ES3_N6thrust23THRUST_200600_302600_NS6detail15normal_iteratorINS9_10device_ptrIiEEEENSB_INSC_IsEEEESG_sNS9_4plusIvEENS9_8equal_toIvEEsEE10hipError_tPvRmT2_T3_T4_T5_mT6_T7_P12ihipStream_tbENKUlT_T0_E_clISt17integral_constantIbLb1EES11_EEDaSW_SX_EUlSW_E_NS1_11comp_targetILNS1_3genE5ELNS1_11target_archE942ELNS1_3gpuE9ELNS1_3repE0EEENS1_30default_config_static_selectorELNS0_4arch9wavefront6targetE1EEEvT1_,"axG",@progbits,_ZN7rocprim17ROCPRIM_400000_NS6detail17trampoline_kernelINS0_14default_configENS1_27scan_by_key_config_selectorIisEEZZNS1_16scan_by_key_implILNS1_25lookback_scan_determinismE0ELb1ES3_N6thrust23THRUST_200600_302600_NS6detail15normal_iteratorINS9_10device_ptrIiEEEENSB_INSC_IsEEEESG_sNS9_4plusIvEENS9_8equal_toIvEEsEE10hipError_tPvRmT2_T3_T4_T5_mT6_T7_P12ihipStream_tbENKUlT_T0_E_clISt17integral_constantIbLb1EES11_EEDaSW_SX_EUlSW_E_NS1_11comp_targetILNS1_3genE5ELNS1_11target_archE942ELNS1_3gpuE9ELNS1_3repE0EEENS1_30default_config_static_selectorELNS0_4arch9wavefront6targetE1EEEvT1_,comdat
.Lfunc_end1618:
	.size	_ZN7rocprim17ROCPRIM_400000_NS6detail17trampoline_kernelINS0_14default_configENS1_27scan_by_key_config_selectorIisEEZZNS1_16scan_by_key_implILNS1_25lookback_scan_determinismE0ELb1ES3_N6thrust23THRUST_200600_302600_NS6detail15normal_iteratorINS9_10device_ptrIiEEEENSB_INSC_IsEEEESG_sNS9_4plusIvEENS9_8equal_toIvEEsEE10hipError_tPvRmT2_T3_T4_T5_mT6_T7_P12ihipStream_tbENKUlT_T0_E_clISt17integral_constantIbLb1EES11_EEDaSW_SX_EUlSW_E_NS1_11comp_targetILNS1_3genE5ELNS1_11target_archE942ELNS1_3gpuE9ELNS1_3repE0EEENS1_30default_config_static_selectorELNS0_4arch9wavefront6targetE1EEEvT1_, .Lfunc_end1618-_ZN7rocprim17ROCPRIM_400000_NS6detail17trampoline_kernelINS0_14default_configENS1_27scan_by_key_config_selectorIisEEZZNS1_16scan_by_key_implILNS1_25lookback_scan_determinismE0ELb1ES3_N6thrust23THRUST_200600_302600_NS6detail15normal_iteratorINS9_10device_ptrIiEEEENSB_INSC_IsEEEESG_sNS9_4plusIvEENS9_8equal_toIvEEsEE10hipError_tPvRmT2_T3_T4_T5_mT6_T7_P12ihipStream_tbENKUlT_T0_E_clISt17integral_constantIbLb1EES11_EEDaSW_SX_EUlSW_E_NS1_11comp_targetILNS1_3genE5ELNS1_11target_archE942ELNS1_3gpuE9ELNS1_3repE0EEENS1_30default_config_static_selectorELNS0_4arch9wavefront6targetE1EEEvT1_
                                        ; -- End function
	.section	.AMDGPU.csdata,"",@progbits
; Kernel info:
; codeLenInByte = 16604
; NumSgprs: 81
; NumVgprs: 64
; NumAgprs: 0
; TotalNumVgprs: 64
; ScratchSize: 0
; MemoryBound: 0
; FloatMode: 240
; IeeeMode: 1
; LDSByteSize: 26624 bytes/workgroup (compile time only)
; SGPRBlocks: 10
; VGPRBlocks: 7
; NumSGPRsForWavesPerEU: 81
; NumVGPRsForWavesPerEU: 64
; AccumOffset: 64
; Occupancy: 2
; WaveLimiterHint : 1
; COMPUTE_PGM_RSRC2:SCRATCH_EN: 0
; COMPUTE_PGM_RSRC2:USER_SGPR: 2
; COMPUTE_PGM_RSRC2:TRAP_HANDLER: 0
; COMPUTE_PGM_RSRC2:TGID_X_EN: 1
; COMPUTE_PGM_RSRC2:TGID_Y_EN: 0
; COMPUTE_PGM_RSRC2:TGID_Z_EN: 0
; COMPUTE_PGM_RSRC2:TIDIG_COMP_CNT: 0
; COMPUTE_PGM_RSRC3_GFX90A:ACCUM_OFFSET: 15
; COMPUTE_PGM_RSRC3_GFX90A:TG_SPLIT: 0
	.section	.text._ZN7rocprim17ROCPRIM_400000_NS6detail17trampoline_kernelINS0_14default_configENS1_27scan_by_key_config_selectorIisEEZZNS1_16scan_by_key_implILNS1_25lookback_scan_determinismE0ELb1ES3_N6thrust23THRUST_200600_302600_NS6detail15normal_iteratorINS9_10device_ptrIiEEEENSB_INSC_IsEEEESG_sNS9_4plusIvEENS9_8equal_toIvEEsEE10hipError_tPvRmT2_T3_T4_T5_mT6_T7_P12ihipStream_tbENKUlT_T0_E_clISt17integral_constantIbLb1EES11_EEDaSW_SX_EUlSW_E_NS1_11comp_targetILNS1_3genE4ELNS1_11target_archE910ELNS1_3gpuE8ELNS1_3repE0EEENS1_30default_config_static_selectorELNS0_4arch9wavefront6targetE1EEEvT1_,"axG",@progbits,_ZN7rocprim17ROCPRIM_400000_NS6detail17trampoline_kernelINS0_14default_configENS1_27scan_by_key_config_selectorIisEEZZNS1_16scan_by_key_implILNS1_25lookback_scan_determinismE0ELb1ES3_N6thrust23THRUST_200600_302600_NS6detail15normal_iteratorINS9_10device_ptrIiEEEENSB_INSC_IsEEEESG_sNS9_4plusIvEENS9_8equal_toIvEEsEE10hipError_tPvRmT2_T3_T4_T5_mT6_T7_P12ihipStream_tbENKUlT_T0_E_clISt17integral_constantIbLb1EES11_EEDaSW_SX_EUlSW_E_NS1_11comp_targetILNS1_3genE4ELNS1_11target_archE910ELNS1_3gpuE8ELNS1_3repE0EEENS1_30default_config_static_selectorELNS0_4arch9wavefront6targetE1EEEvT1_,comdat
	.protected	_ZN7rocprim17ROCPRIM_400000_NS6detail17trampoline_kernelINS0_14default_configENS1_27scan_by_key_config_selectorIisEEZZNS1_16scan_by_key_implILNS1_25lookback_scan_determinismE0ELb1ES3_N6thrust23THRUST_200600_302600_NS6detail15normal_iteratorINS9_10device_ptrIiEEEENSB_INSC_IsEEEESG_sNS9_4plusIvEENS9_8equal_toIvEEsEE10hipError_tPvRmT2_T3_T4_T5_mT6_T7_P12ihipStream_tbENKUlT_T0_E_clISt17integral_constantIbLb1EES11_EEDaSW_SX_EUlSW_E_NS1_11comp_targetILNS1_3genE4ELNS1_11target_archE910ELNS1_3gpuE8ELNS1_3repE0EEENS1_30default_config_static_selectorELNS0_4arch9wavefront6targetE1EEEvT1_ ; -- Begin function _ZN7rocprim17ROCPRIM_400000_NS6detail17trampoline_kernelINS0_14default_configENS1_27scan_by_key_config_selectorIisEEZZNS1_16scan_by_key_implILNS1_25lookback_scan_determinismE0ELb1ES3_N6thrust23THRUST_200600_302600_NS6detail15normal_iteratorINS9_10device_ptrIiEEEENSB_INSC_IsEEEESG_sNS9_4plusIvEENS9_8equal_toIvEEsEE10hipError_tPvRmT2_T3_T4_T5_mT6_T7_P12ihipStream_tbENKUlT_T0_E_clISt17integral_constantIbLb1EES11_EEDaSW_SX_EUlSW_E_NS1_11comp_targetILNS1_3genE4ELNS1_11target_archE910ELNS1_3gpuE8ELNS1_3repE0EEENS1_30default_config_static_selectorELNS0_4arch9wavefront6targetE1EEEvT1_
	.globl	_ZN7rocprim17ROCPRIM_400000_NS6detail17trampoline_kernelINS0_14default_configENS1_27scan_by_key_config_selectorIisEEZZNS1_16scan_by_key_implILNS1_25lookback_scan_determinismE0ELb1ES3_N6thrust23THRUST_200600_302600_NS6detail15normal_iteratorINS9_10device_ptrIiEEEENSB_INSC_IsEEEESG_sNS9_4plusIvEENS9_8equal_toIvEEsEE10hipError_tPvRmT2_T3_T4_T5_mT6_T7_P12ihipStream_tbENKUlT_T0_E_clISt17integral_constantIbLb1EES11_EEDaSW_SX_EUlSW_E_NS1_11comp_targetILNS1_3genE4ELNS1_11target_archE910ELNS1_3gpuE8ELNS1_3repE0EEENS1_30default_config_static_selectorELNS0_4arch9wavefront6targetE1EEEvT1_
	.p2align	8
	.type	_ZN7rocprim17ROCPRIM_400000_NS6detail17trampoline_kernelINS0_14default_configENS1_27scan_by_key_config_selectorIisEEZZNS1_16scan_by_key_implILNS1_25lookback_scan_determinismE0ELb1ES3_N6thrust23THRUST_200600_302600_NS6detail15normal_iteratorINS9_10device_ptrIiEEEENSB_INSC_IsEEEESG_sNS9_4plusIvEENS9_8equal_toIvEEsEE10hipError_tPvRmT2_T3_T4_T5_mT6_T7_P12ihipStream_tbENKUlT_T0_E_clISt17integral_constantIbLb1EES11_EEDaSW_SX_EUlSW_E_NS1_11comp_targetILNS1_3genE4ELNS1_11target_archE910ELNS1_3gpuE8ELNS1_3repE0EEENS1_30default_config_static_selectorELNS0_4arch9wavefront6targetE1EEEvT1_,@function
_ZN7rocprim17ROCPRIM_400000_NS6detail17trampoline_kernelINS0_14default_configENS1_27scan_by_key_config_selectorIisEEZZNS1_16scan_by_key_implILNS1_25lookback_scan_determinismE0ELb1ES3_N6thrust23THRUST_200600_302600_NS6detail15normal_iteratorINS9_10device_ptrIiEEEENSB_INSC_IsEEEESG_sNS9_4plusIvEENS9_8equal_toIvEEsEE10hipError_tPvRmT2_T3_T4_T5_mT6_T7_P12ihipStream_tbENKUlT_T0_E_clISt17integral_constantIbLb1EES11_EEDaSW_SX_EUlSW_E_NS1_11comp_targetILNS1_3genE4ELNS1_11target_archE910ELNS1_3gpuE8ELNS1_3repE0EEENS1_30default_config_static_selectorELNS0_4arch9wavefront6targetE1EEEvT1_: ; @_ZN7rocprim17ROCPRIM_400000_NS6detail17trampoline_kernelINS0_14default_configENS1_27scan_by_key_config_selectorIisEEZZNS1_16scan_by_key_implILNS1_25lookback_scan_determinismE0ELb1ES3_N6thrust23THRUST_200600_302600_NS6detail15normal_iteratorINS9_10device_ptrIiEEEENSB_INSC_IsEEEESG_sNS9_4plusIvEENS9_8equal_toIvEEsEE10hipError_tPvRmT2_T3_T4_T5_mT6_T7_P12ihipStream_tbENKUlT_T0_E_clISt17integral_constantIbLb1EES11_EEDaSW_SX_EUlSW_E_NS1_11comp_targetILNS1_3genE4ELNS1_11target_archE910ELNS1_3gpuE8ELNS1_3repE0EEENS1_30default_config_static_selectorELNS0_4arch9wavefront6targetE1EEEvT1_
; %bb.0:
	.section	.rodata,"a",@progbits
	.p2align	6, 0x0
	.amdhsa_kernel _ZN7rocprim17ROCPRIM_400000_NS6detail17trampoline_kernelINS0_14default_configENS1_27scan_by_key_config_selectorIisEEZZNS1_16scan_by_key_implILNS1_25lookback_scan_determinismE0ELb1ES3_N6thrust23THRUST_200600_302600_NS6detail15normal_iteratorINS9_10device_ptrIiEEEENSB_INSC_IsEEEESG_sNS9_4plusIvEENS9_8equal_toIvEEsEE10hipError_tPvRmT2_T3_T4_T5_mT6_T7_P12ihipStream_tbENKUlT_T0_E_clISt17integral_constantIbLb1EES11_EEDaSW_SX_EUlSW_E_NS1_11comp_targetILNS1_3genE4ELNS1_11target_archE910ELNS1_3gpuE8ELNS1_3repE0EEENS1_30default_config_static_selectorELNS0_4arch9wavefront6targetE1EEEvT1_
		.amdhsa_group_segment_fixed_size 0
		.amdhsa_private_segment_fixed_size 0
		.amdhsa_kernarg_size 112
		.amdhsa_user_sgpr_count 2
		.amdhsa_user_sgpr_dispatch_ptr 0
		.amdhsa_user_sgpr_queue_ptr 0
		.amdhsa_user_sgpr_kernarg_segment_ptr 1
		.amdhsa_user_sgpr_dispatch_id 0
		.amdhsa_user_sgpr_kernarg_preload_length 0
		.amdhsa_user_sgpr_kernarg_preload_offset 0
		.amdhsa_user_sgpr_private_segment_size 0
		.amdhsa_uses_dynamic_stack 0
		.amdhsa_enable_private_segment 0
		.amdhsa_system_sgpr_workgroup_id_x 1
		.amdhsa_system_sgpr_workgroup_id_y 0
		.amdhsa_system_sgpr_workgroup_id_z 0
		.amdhsa_system_sgpr_workgroup_info 0
		.amdhsa_system_vgpr_workitem_id 0
		.amdhsa_next_free_vgpr 1
		.amdhsa_next_free_sgpr 0
		.amdhsa_accum_offset 4
		.amdhsa_reserve_vcc 0
		.amdhsa_float_round_mode_32 0
		.amdhsa_float_round_mode_16_64 0
		.amdhsa_float_denorm_mode_32 3
		.amdhsa_float_denorm_mode_16_64 3
		.amdhsa_dx10_clamp 1
		.amdhsa_ieee_mode 1
		.amdhsa_fp16_overflow 0
		.amdhsa_tg_split 0
		.amdhsa_exception_fp_ieee_invalid_op 0
		.amdhsa_exception_fp_denorm_src 0
		.amdhsa_exception_fp_ieee_div_zero 0
		.amdhsa_exception_fp_ieee_overflow 0
		.amdhsa_exception_fp_ieee_underflow 0
		.amdhsa_exception_fp_ieee_inexact 0
		.amdhsa_exception_int_div_zero 0
	.end_amdhsa_kernel
	.section	.text._ZN7rocprim17ROCPRIM_400000_NS6detail17trampoline_kernelINS0_14default_configENS1_27scan_by_key_config_selectorIisEEZZNS1_16scan_by_key_implILNS1_25lookback_scan_determinismE0ELb1ES3_N6thrust23THRUST_200600_302600_NS6detail15normal_iteratorINS9_10device_ptrIiEEEENSB_INSC_IsEEEESG_sNS9_4plusIvEENS9_8equal_toIvEEsEE10hipError_tPvRmT2_T3_T4_T5_mT6_T7_P12ihipStream_tbENKUlT_T0_E_clISt17integral_constantIbLb1EES11_EEDaSW_SX_EUlSW_E_NS1_11comp_targetILNS1_3genE4ELNS1_11target_archE910ELNS1_3gpuE8ELNS1_3repE0EEENS1_30default_config_static_selectorELNS0_4arch9wavefront6targetE1EEEvT1_,"axG",@progbits,_ZN7rocprim17ROCPRIM_400000_NS6detail17trampoline_kernelINS0_14default_configENS1_27scan_by_key_config_selectorIisEEZZNS1_16scan_by_key_implILNS1_25lookback_scan_determinismE0ELb1ES3_N6thrust23THRUST_200600_302600_NS6detail15normal_iteratorINS9_10device_ptrIiEEEENSB_INSC_IsEEEESG_sNS9_4plusIvEENS9_8equal_toIvEEsEE10hipError_tPvRmT2_T3_T4_T5_mT6_T7_P12ihipStream_tbENKUlT_T0_E_clISt17integral_constantIbLb1EES11_EEDaSW_SX_EUlSW_E_NS1_11comp_targetILNS1_3genE4ELNS1_11target_archE910ELNS1_3gpuE8ELNS1_3repE0EEENS1_30default_config_static_selectorELNS0_4arch9wavefront6targetE1EEEvT1_,comdat
.Lfunc_end1619:
	.size	_ZN7rocprim17ROCPRIM_400000_NS6detail17trampoline_kernelINS0_14default_configENS1_27scan_by_key_config_selectorIisEEZZNS1_16scan_by_key_implILNS1_25lookback_scan_determinismE0ELb1ES3_N6thrust23THRUST_200600_302600_NS6detail15normal_iteratorINS9_10device_ptrIiEEEENSB_INSC_IsEEEESG_sNS9_4plusIvEENS9_8equal_toIvEEsEE10hipError_tPvRmT2_T3_T4_T5_mT6_T7_P12ihipStream_tbENKUlT_T0_E_clISt17integral_constantIbLb1EES11_EEDaSW_SX_EUlSW_E_NS1_11comp_targetILNS1_3genE4ELNS1_11target_archE910ELNS1_3gpuE8ELNS1_3repE0EEENS1_30default_config_static_selectorELNS0_4arch9wavefront6targetE1EEEvT1_, .Lfunc_end1619-_ZN7rocprim17ROCPRIM_400000_NS6detail17trampoline_kernelINS0_14default_configENS1_27scan_by_key_config_selectorIisEEZZNS1_16scan_by_key_implILNS1_25lookback_scan_determinismE0ELb1ES3_N6thrust23THRUST_200600_302600_NS6detail15normal_iteratorINS9_10device_ptrIiEEEENSB_INSC_IsEEEESG_sNS9_4plusIvEENS9_8equal_toIvEEsEE10hipError_tPvRmT2_T3_T4_T5_mT6_T7_P12ihipStream_tbENKUlT_T0_E_clISt17integral_constantIbLb1EES11_EEDaSW_SX_EUlSW_E_NS1_11comp_targetILNS1_3genE4ELNS1_11target_archE910ELNS1_3gpuE8ELNS1_3repE0EEENS1_30default_config_static_selectorELNS0_4arch9wavefront6targetE1EEEvT1_
                                        ; -- End function
	.section	.AMDGPU.csdata,"",@progbits
; Kernel info:
; codeLenInByte = 0
; NumSgprs: 6
; NumVgprs: 0
; NumAgprs: 0
; TotalNumVgprs: 0
; ScratchSize: 0
; MemoryBound: 0
; FloatMode: 240
; IeeeMode: 1
; LDSByteSize: 0 bytes/workgroup (compile time only)
; SGPRBlocks: 0
; VGPRBlocks: 0
; NumSGPRsForWavesPerEU: 6
; NumVGPRsForWavesPerEU: 1
; AccumOffset: 4
; Occupancy: 8
; WaveLimiterHint : 0
; COMPUTE_PGM_RSRC2:SCRATCH_EN: 0
; COMPUTE_PGM_RSRC2:USER_SGPR: 2
; COMPUTE_PGM_RSRC2:TRAP_HANDLER: 0
; COMPUTE_PGM_RSRC2:TGID_X_EN: 1
; COMPUTE_PGM_RSRC2:TGID_Y_EN: 0
; COMPUTE_PGM_RSRC2:TGID_Z_EN: 0
; COMPUTE_PGM_RSRC2:TIDIG_COMP_CNT: 0
; COMPUTE_PGM_RSRC3_GFX90A:ACCUM_OFFSET: 0
; COMPUTE_PGM_RSRC3_GFX90A:TG_SPLIT: 0
	.section	.text._ZN7rocprim17ROCPRIM_400000_NS6detail17trampoline_kernelINS0_14default_configENS1_27scan_by_key_config_selectorIisEEZZNS1_16scan_by_key_implILNS1_25lookback_scan_determinismE0ELb1ES3_N6thrust23THRUST_200600_302600_NS6detail15normal_iteratorINS9_10device_ptrIiEEEENSB_INSC_IsEEEESG_sNS9_4plusIvEENS9_8equal_toIvEEsEE10hipError_tPvRmT2_T3_T4_T5_mT6_T7_P12ihipStream_tbENKUlT_T0_E_clISt17integral_constantIbLb1EES11_EEDaSW_SX_EUlSW_E_NS1_11comp_targetILNS1_3genE3ELNS1_11target_archE908ELNS1_3gpuE7ELNS1_3repE0EEENS1_30default_config_static_selectorELNS0_4arch9wavefront6targetE1EEEvT1_,"axG",@progbits,_ZN7rocprim17ROCPRIM_400000_NS6detail17trampoline_kernelINS0_14default_configENS1_27scan_by_key_config_selectorIisEEZZNS1_16scan_by_key_implILNS1_25lookback_scan_determinismE0ELb1ES3_N6thrust23THRUST_200600_302600_NS6detail15normal_iteratorINS9_10device_ptrIiEEEENSB_INSC_IsEEEESG_sNS9_4plusIvEENS9_8equal_toIvEEsEE10hipError_tPvRmT2_T3_T4_T5_mT6_T7_P12ihipStream_tbENKUlT_T0_E_clISt17integral_constantIbLb1EES11_EEDaSW_SX_EUlSW_E_NS1_11comp_targetILNS1_3genE3ELNS1_11target_archE908ELNS1_3gpuE7ELNS1_3repE0EEENS1_30default_config_static_selectorELNS0_4arch9wavefront6targetE1EEEvT1_,comdat
	.protected	_ZN7rocprim17ROCPRIM_400000_NS6detail17trampoline_kernelINS0_14default_configENS1_27scan_by_key_config_selectorIisEEZZNS1_16scan_by_key_implILNS1_25lookback_scan_determinismE0ELb1ES3_N6thrust23THRUST_200600_302600_NS6detail15normal_iteratorINS9_10device_ptrIiEEEENSB_INSC_IsEEEESG_sNS9_4plusIvEENS9_8equal_toIvEEsEE10hipError_tPvRmT2_T3_T4_T5_mT6_T7_P12ihipStream_tbENKUlT_T0_E_clISt17integral_constantIbLb1EES11_EEDaSW_SX_EUlSW_E_NS1_11comp_targetILNS1_3genE3ELNS1_11target_archE908ELNS1_3gpuE7ELNS1_3repE0EEENS1_30default_config_static_selectorELNS0_4arch9wavefront6targetE1EEEvT1_ ; -- Begin function _ZN7rocprim17ROCPRIM_400000_NS6detail17trampoline_kernelINS0_14default_configENS1_27scan_by_key_config_selectorIisEEZZNS1_16scan_by_key_implILNS1_25lookback_scan_determinismE0ELb1ES3_N6thrust23THRUST_200600_302600_NS6detail15normal_iteratorINS9_10device_ptrIiEEEENSB_INSC_IsEEEESG_sNS9_4plusIvEENS9_8equal_toIvEEsEE10hipError_tPvRmT2_T3_T4_T5_mT6_T7_P12ihipStream_tbENKUlT_T0_E_clISt17integral_constantIbLb1EES11_EEDaSW_SX_EUlSW_E_NS1_11comp_targetILNS1_3genE3ELNS1_11target_archE908ELNS1_3gpuE7ELNS1_3repE0EEENS1_30default_config_static_selectorELNS0_4arch9wavefront6targetE1EEEvT1_
	.globl	_ZN7rocprim17ROCPRIM_400000_NS6detail17trampoline_kernelINS0_14default_configENS1_27scan_by_key_config_selectorIisEEZZNS1_16scan_by_key_implILNS1_25lookback_scan_determinismE0ELb1ES3_N6thrust23THRUST_200600_302600_NS6detail15normal_iteratorINS9_10device_ptrIiEEEENSB_INSC_IsEEEESG_sNS9_4plusIvEENS9_8equal_toIvEEsEE10hipError_tPvRmT2_T3_T4_T5_mT6_T7_P12ihipStream_tbENKUlT_T0_E_clISt17integral_constantIbLb1EES11_EEDaSW_SX_EUlSW_E_NS1_11comp_targetILNS1_3genE3ELNS1_11target_archE908ELNS1_3gpuE7ELNS1_3repE0EEENS1_30default_config_static_selectorELNS0_4arch9wavefront6targetE1EEEvT1_
	.p2align	8
	.type	_ZN7rocprim17ROCPRIM_400000_NS6detail17trampoline_kernelINS0_14default_configENS1_27scan_by_key_config_selectorIisEEZZNS1_16scan_by_key_implILNS1_25lookback_scan_determinismE0ELb1ES3_N6thrust23THRUST_200600_302600_NS6detail15normal_iteratorINS9_10device_ptrIiEEEENSB_INSC_IsEEEESG_sNS9_4plusIvEENS9_8equal_toIvEEsEE10hipError_tPvRmT2_T3_T4_T5_mT6_T7_P12ihipStream_tbENKUlT_T0_E_clISt17integral_constantIbLb1EES11_EEDaSW_SX_EUlSW_E_NS1_11comp_targetILNS1_3genE3ELNS1_11target_archE908ELNS1_3gpuE7ELNS1_3repE0EEENS1_30default_config_static_selectorELNS0_4arch9wavefront6targetE1EEEvT1_,@function
_ZN7rocprim17ROCPRIM_400000_NS6detail17trampoline_kernelINS0_14default_configENS1_27scan_by_key_config_selectorIisEEZZNS1_16scan_by_key_implILNS1_25lookback_scan_determinismE0ELb1ES3_N6thrust23THRUST_200600_302600_NS6detail15normal_iteratorINS9_10device_ptrIiEEEENSB_INSC_IsEEEESG_sNS9_4plusIvEENS9_8equal_toIvEEsEE10hipError_tPvRmT2_T3_T4_T5_mT6_T7_P12ihipStream_tbENKUlT_T0_E_clISt17integral_constantIbLb1EES11_EEDaSW_SX_EUlSW_E_NS1_11comp_targetILNS1_3genE3ELNS1_11target_archE908ELNS1_3gpuE7ELNS1_3repE0EEENS1_30default_config_static_selectorELNS0_4arch9wavefront6targetE1EEEvT1_: ; @_ZN7rocprim17ROCPRIM_400000_NS6detail17trampoline_kernelINS0_14default_configENS1_27scan_by_key_config_selectorIisEEZZNS1_16scan_by_key_implILNS1_25lookback_scan_determinismE0ELb1ES3_N6thrust23THRUST_200600_302600_NS6detail15normal_iteratorINS9_10device_ptrIiEEEENSB_INSC_IsEEEESG_sNS9_4plusIvEENS9_8equal_toIvEEsEE10hipError_tPvRmT2_T3_T4_T5_mT6_T7_P12ihipStream_tbENKUlT_T0_E_clISt17integral_constantIbLb1EES11_EEDaSW_SX_EUlSW_E_NS1_11comp_targetILNS1_3genE3ELNS1_11target_archE908ELNS1_3gpuE7ELNS1_3repE0EEENS1_30default_config_static_selectorELNS0_4arch9wavefront6targetE1EEEvT1_
; %bb.0:
	.section	.rodata,"a",@progbits
	.p2align	6, 0x0
	.amdhsa_kernel _ZN7rocprim17ROCPRIM_400000_NS6detail17trampoline_kernelINS0_14default_configENS1_27scan_by_key_config_selectorIisEEZZNS1_16scan_by_key_implILNS1_25lookback_scan_determinismE0ELb1ES3_N6thrust23THRUST_200600_302600_NS6detail15normal_iteratorINS9_10device_ptrIiEEEENSB_INSC_IsEEEESG_sNS9_4plusIvEENS9_8equal_toIvEEsEE10hipError_tPvRmT2_T3_T4_T5_mT6_T7_P12ihipStream_tbENKUlT_T0_E_clISt17integral_constantIbLb1EES11_EEDaSW_SX_EUlSW_E_NS1_11comp_targetILNS1_3genE3ELNS1_11target_archE908ELNS1_3gpuE7ELNS1_3repE0EEENS1_30default_config_static_selectorELNS0_4arch9wavefront6targetE1EEEvT1_
		.amdhsa_group_segment_fixed_size 0
		.amdhsa_private_segment_fixed_size 0
		.amdhsa_kernarg_size 112
		.amdhsa_user_sgpr_count 2
		.amdhsa_user_sgpr_dispatch_ptr 0
		.amdhsa_user_sgpr_queue_ptr 0
		.amdhsa_user_sgpr_kernarg_segment_ptr 1
		.amdhsa_user_sgpr_dispatch_id 0
		.amdhsa_user_sgpr_kernarg_preload_length 0
		.amdhsa_user_sgpr_kernarg_preload_offset 0
		.amdhsa_user_sgpr_private_segment_size 0
		.amdhsa_uses_dynamic_stack 0
		.amdhsa_enable_private_segment 0
		.amdhsa_system_sgpr_workgroup_id_x 1
		.amdhsa_system_sgpr_workgroup_id_y 0
		.amdhsa_system_sgpr_workgroup_id_z 0
		.amdhsa_system_sgpr_workgroup_info 0
		.amdhsa_system_vgpr_workitem_id 0
		.amdhsa_next_free_vgpr 1
		.amdhsa_next_free_sgpr 0
		.amdhsa_accum_offset 4
		.amdhsa_reserve_vcc 0
		.amdhsa_float_round_mode_32 0
		.amdhsa_float_round_mode_16_64 0
		.amdhsa_float_denorm_mode_32 3
		.amdhsa_float_denorm_mode_16_64 3
		.amdhsa_dx10_clamp 1
		.amdhsa_ieee_mode 1
		.amdhsa_fp16_overflow 0
		.amdhsa_tg_split 0
		.amdhsa_exception_fp_ieee_invalid_op 0
		.amdhsa_exception_fp_denorm_src 0
		.amdhsa_exception_fp_ieee_div_zero 0
		.amdhsa_exception_fp_ieee_overflow 0
		.amdhsa_exception_fp_ieee_underflow 0
		.amdhsa_exception_fp_ieee_inexact 0
		.amdhsa_exception_int_div_zero 0
	.end_amdhsa_kernel
	.section	.text._ZN7rocprim17ROCPRIM_400000_NS6detail17trampoline_kernelINS0_14default_configENS1_27scan_by_key_config_selectorIisEEZZNS1_16scan_by_key_implILNS1_25lookback_scan_determinismE0ELb1ES3_N6thrust23THRUST_200600_302600_NS6detail15normal_iteratorINS9_10device_ptrIiEEEENSB_INSC_IsEEEESG_sNS9_4plusIvEENS9_8equal_toIvEEsEE10hipError_tPvRmT2_T3_T4_T5_mT6_T7_P12ihipStream_tbENKUlT_T0_E_clISt17integral_constantIbLb1EES11_EEDaSW_SX_EUlSW_E_NS1_11comp_targetILNS1_3genE3ELNS1_11target_archE908ELNS1_3gpuE7ELNS1_3repE0EEENS1_30default_config_static_selectorELNS0_4arch9wavefront6targetE1EEEvT1_,"axG",@progbits,_ZN7rocprim17ROCPRIM_400000_NS6detail17trampoline_kernelINS0_14default_configENS1_27scan_by_key_config_selectorIisEEZZNS1_16scan_by_key_implILNS1_25lookback_scan_determinismE0ELb1ES3_N6thrust23THRUST_200600_302600_NS6detail15normal_iteratorINS9_10device_ptrIiEEEENSB_INSC_IsEEEESG_sNS9_4plusIvEENS9_8equal_toIvEEsEE10hipError_tPvRmT2_T3_T4_T5_mT6_T7_P12ihipStream_tbENKUlT_T0_E_clISt17integral_constantIbLb1EES11_EEDaSW_SX_EUlSW_E_NS1_11comp_targetILNS1_3genE3ELNS1_11target_archE908ELNS1_3gpuE7ELNS1_3repE0EEENS1_30default_config_static_selectorELNS0_4arch9wavefront6targetE1EEEvT1_,comdat
.Lfunc_end1620:
	.size	_ZN7rocprim17ROCPRIM_400000_NS6detail17trampoline_kernelINS0_14default_configENS1_27scan_by_key_config_selectorIisEEZZNS1_16scan_by_key_implILNS1_25lookback_scan_determinismE0ELb1ES3_N6thrust23THRUST_200600_302600_NS6detail15normal_iteratorINS9_10device_ptrIiEEEENSB_INSC_IsEEEESG_sNS9_4plusIvEENS9_8equal_toIvEEsEE10hipError_tPvRmT2_T3_T4_T5_mT6_T7_P12ihipStream_tbENKUlT_T0_E_clISt17integral_constantIbLb1EES11_EEDaSW_SX_EUlSW_E_NS1_11comp_targetILNS1_3genE3ELNS1_11target_archE908ELNS1_3gpuE7ELNS1_3repE0EEENS1_30default_config_static_selectorELNS0_4arch9wavefront6targetE1EEEvT1_, .Lfunc_end1620-_ZN7rocprim17ROCPRIM_400000_NS6detail17trampoline_kernelINS0_14default_configENS1_27scan_by_key_config_selectorIisEEZZNS1_16scan_by_key_implILNS1_25lookback_scan_determinismE0ELb1ES3_N6thrust23THRUST_200600_302600_NS6detail15normal_iteratorINS9_10device_ptrIiEEEENSB_INSC_IsEEEESG_sNS9_4plusIvEENS9_8equal_toIvEEsEE10hipError_tPvRmT2_T3_T4_T5_mT6_T7_P12ihipStream_tbENKUlT_T0_E_clISt17integral_constantIbLb1EES11_EEDaSW_SX_EUlSW_E_NS1_11comp_targetILNS1_3genE3ELNS1_11target_archE908ELNS1_3gpuE7ELNS1_3repE0EEENS1_30default_config_static_selectorELNS0_4arch9wavefront6targetE1EEEvT1_
                                        ; -- End function
	.section	.AMDGPU.csdata,"",@progbits
; Kernel info:
; codeLenInByte = 0
; NumSgprs: 6
; NumVgprs: 0
; NumAgprs: 0
; TotalNumVgprs: 0
; ScratchSize: 0
; MemoryBound: 0
; FloatMode: 240
; IeeeMode: 1
; LDSByteSize: 0 bytes/workgroup (compile time only)
; SGPRBlocks: 0
; VGPRBlocks: 0
; NumSGPRsForWavesPerEU: 6
; NumVGPRsForWavesPerEU: 1
; AccumOffset: 4
; Occupancy: 8
; WaveLimiterHint : 0
; COMPUTE_PGM_RSRC2:SCRATCH_EN: 0
; COMPUTE_PGM_RSRC2:USER_SGPR: 2
; COMPUTE_PGM_RSRC2:TRAP_HANDLER: 0
; COMPUTE_PGM_RSRC2:TGID_X_EN: 1
; COMPUTE_PGM_RSRC2:TGID_Y_EN: 0
; COMPUTE_PGM_RSRC2:TGID_Z_EN: 0
; COMPUTE_PGM_RSRC2:TIDIG_COMP_CNT: 0
; COMPUTE_PGM_RSRC3_GFX90A:ACCUM_OFFSET: 0
; COMPUTE_PGM_RSRC3_GFX90A:TG_SPLIT: 0
	.section	.text._ZN7rocprim17ROCPRIM_400000_NS6detail17trampoline_kernelINS0_14default_configENS1_27scan_by_key_config_selectorIisEEZZNS1_16scan_by_key_implILNS1_25lookback_scan_determinismE0ELb1ES3_N6thrust23THRUST_200600_302600_NS6detail15normal_iteratorINS9_10device_ptrIiEEEENSB_INSC_IsEEEESG_sNS9_4plusIvEENS9_8equal_toIvEEsEE10hipError_tPvRmT2_T3_T4_T5_mT6_T7_P12ihipStream_tbENKUlT_T0_E_clISt17integral_constantIbLb1EES11_EEDaSW_SX_EUlSW_E_NS1_11comp_targetILNS1_3genE2ELNS1_11target_archE906ELNS1_3gpuE6ELNS1_3repE0EEENS1_30default_config_static_selectorELNS0_4arch9wavefront6targetE1EEEvT1_,"axG",@progbits,_ZN7rocprim17ROCPRIM_400000_NS6detail17trampoline_kernelINS0_14default_configENS1_27scan_by_key_config_selectorIisEEZZNS1_16scan_by_key_implILNS1_25lookback_scan_determinismE0ELb1ES3_N6thrust23THRUST_200600_302600_NS6detail15normal_iteratorINS9_10device_ptrIiEEEENSB_INSC_IsEEEESG_sNS9_4plusIvEENS9_8equal_toIvEEsEE10hipError_tPvRmT2_T3_T4_T5_mT6_T7_P12ihipStream_tbENKUlT_T0_E_clISt17integral_constantIbLb1EES11_EEDaSW_SX_EUlSW_E_NS1_11comp_targetILNS1_3genE2ELNS1_11target_archE906ELNS1_3gpuE6ELNS1_3repE0EEENS1_30default_config_static_selectorELNS0_4arch9wavefront6targetE1EEEvT1_,comdat
	.protected	_ZN7rocprim17ROCPRIM_400000_NS6detail17trampoline_kernelINS0_14default_configENS1_27scan_by_key_config_selectorIisEEZZNS1_16scan_by_key_implILNS1_25lookback_scan_determinismE0ELb1ES3_N6thrust23THRUST_200600_302600_NS6detail15normal_iteratorINS9_10device_ptrIiEEEENSB_INSC_IsEEEESG_sNS9_4plusIvEENS9_8equal_toIvEEsEE10hipError_tPvRmT2_T3_T4_T5_mT6_T7_P12ihipStream_tbENKUlT_T0_E_clISt17integral_constantIbLb1EES11_EEDaSW_SX_EUlSW_E_NS1_11comp_targetILNS1_3genE2ELNS1_11target_archE906ELNS1_3gpuE6ELNS1_3repE0EEENS1_30default_config_static_selectorELNS0_4arch9wavefront6targetE1EEEvT1_ ; -- Begin function _ZN7rocprim17ROCPRIM_400000_NS6detail17trampoline_kernelINS0_14default_configENS1_27scan_by_key_config_selectorIisEEZZNS1_16scan_by_key_implILNS1_25lookback_scan_determinismE0ELb1ES3_N6thrust23THRUST_200600_302600_NS6detail15normal_iteratorINS9_10device_ptrIiEEEENSB_INSC_IsEEEESG_sNS9_4plusIvEENS9_8equal_toIvEEsEE10hipError_tPvRmT2_T3_T4_T5_mT6_T7_P12ihipStream_tbENKUlT_T0_E_clISt17integral_constantIbLb1EES11_EEDaSW_SX_EUlSW_E_NS1_11comp_targetILNS1_3genE2ELNS1_11target_archE906ELNS1_3gpuE6ELNS1_3repE0EEENS1_30default_config_static_selectorELNS0_4arch9wavefront6targetE1EEEvT1_
	.globl	_ZN7rocprim17ROCPRIM_400000_NS6detail17trampoline_kernelINS0_14default_configENS1_27scan_by_key_config_selectorIisEEZZNS1_16scan_by_key_implILNS1_25lookback_scan_determinismE0ELb1ES3_N6thrust23THRUST_200600_302600_NS6detail15normal_iteratorINS9_10device_ptrIiEEEENSB_INSC_IsEEEESG_sNS9_4plusIvEENS9_8equal_toIvEEsEE10hipError_tPvRmT2_T3_T4_T5_mT6_T7_P12ihipStream_tbENKUlT_T0_E_clISt17integral_constantIbLb1EES11_EEDaSW_SX_EUlSW_E_NS1_11comp_targetILNS1_3genE2ELNS1_11target_archE906ELNS1_3gpuE6ELNS1_3repE0EEENS1_30default_config_static_selectorELNS0_4arch9wavefront6targetE1EEEvT1_
	.p2align	8
	.type	_ZN7rocprim17ROCPRIM_400000_NS6detail17trampoline_kernelINS0_14default_configENS1_27scan_by_key_config_selectorIisEEZZNS1_16scan_by_key_implILNS1_25lookback_scan_determinismE0ELb1ES3_N6thrust23THRUST_200600_302600_NS6detail15normal_iteratorINS9_10device_ptrIiEEEENSB_INSC_IsEEEESG_sNS9_4plusIvEENS9_8equal_toIvEEsEE10hipError_tPvRmT2_T3_T4_T5_mT6_T7_P12ihipStream_tbENKUlT_T0_E_clISt17integral_constantIbLb1EES11_EEDaSW_SX_EUlSW_E_NS1_11comp_targetILNS1_3genE2ELNS1_11target_archE906ELNS1_3gpuE6ELNS1_3repE0EEENS1_30default_config_static_selectorELNS0_4arch9wavefront6targetE1EEEvT1_,@function
_ZN7rocprim17ROCPRIM_400000_NS6detail17trampoline_kernelINS0_14default_configENS1_27scan_by_key_config_selectorIisEEZZNS1_16scan_by_key_implILNS1_25lookback_scan_determinismE0ELb1ES3_N6thrust23THRUST_200600_302600_NS6detail15normal_iteratorINS9_10device_ptrIiEEEENSB_INSC_IsEEEESG_sNS9_4plusIvEENS9_8equal_toIvEEsEE10hipError_tPvRmT2_T3_T4_T5_mT6_T7_P12ihipStream_tbENKUlT_T0_E_clISt17integral_constantIbLb1EES11_EEDaSW_SX_EUlSW_E_NS1_11comp_targetILNS1_3genE2ELNS1_11target_archE906ELNS1_3gpuE6ELNS1_3repE0EEENS1_30default_config_static_selectorELNS0_4arch9wavefront6targetE1EEEvT1_: ; @_ZN7rocprim17ROCPRIM_400000_NS6detail17trampoline_kernelINS0_14default_configENS1_27scan_by_key_config_selectorIisEEZZNS1_16scan_by_key_implILNS1_25lookback_scan_determinismE0ELb1ES3_N6thrust23THRUST_200600_302600_NS6detail15normal_iteratorINS9_10device_ptrIiEEEENSB_INSC_IsEEEESG_sNS9_4plusIvEENS9_8equal_toIvEEsEE10hipError_tPvRmT2_T3_T4_T5_mT6_T7_P12ihipStream_tbENKUlT_T0_E_clISt17integral_constantIbLb1EES11_EEDaSW_SX_EUlSW_E_NS1_11comp_targetILNS1_3genE2ELNS1_11target_archE906ELNS1_3gpuE6ELNS1_3repE0EEENS1_30default_config_static_selectorELNS0_4arch9wavefront6targetE1EEEvT1_
; %bb.0:
	.section	.rodata,"a",@progbits
	.p2align	6, 0x0
	.amdhsa_kernel _ZN7rocprim17ROCPRIM_400000_NS6detail17trampoline_kernelINS0_14default_configENS1_27scan_by_key_config_selectorIisEEZZNS1_16scan_by_key_implILNS1_25lookback_scan_determinismE0ELb1ES3_N6thrust23THRUST_200600_302600_NS6detail15normal_iteratorINS9_10device_ptrIiEEEENSB_INSC_IsEEEESG_sNS9_4plusIvEENS9_8equal_toIvEEsEE10hipError_tPvRmT2_T3_T4_T5_mT6_T7_P12ihipStream_tbENKUlT_T0_E_clISt17integral_constantIbLb1EES11_EEDaSW_SX_EUlSW_E_NS1_11comp_targetILNS1_3genE2ELNS1_11target_archE906ELNS1_3gpuE6ELNS1_3repE0EEENS1_30default_config_static_selectorELNS0_4arch9wavefront6targetE1EEEvT1_
		.amdhsa_group_segment_fixed_size 0
		.amdhsa_private_segment_fixed_size 0
		.amdhsa_kernarg_size 112
		.amdhsa_user_sgpr_count 2
		.amdhsa_user_sgpr_dispatch_ptr 0
		.amdhsa_user_sgpr_queue_ptr 0
		.amdhsa_user_sgpr_kernarg_segment_ptr 1
		.amdhsa_user_sgpr_dispatch_id 0
		.amdhsa_user_sgpr_kernarg_preload_length 0
		.amdhsa_user_sgpr_kernarg_preload_offset 0
		.amdhsa_user_sgpr_private_segment_size 0
		.amdhsa_uses_dynamic_stack 0
		.amdhsa_enable_private_segment 0
		.amdhsa_system_sgpr_workgroup_id_x 1
		.amdhsa_system_sgpr_workgroup_id_y 0
		.amdhsa_system_sgpr_workgroup_id_z 0
		.amdhsa_system_sgpr_workgroup_info 0
		.amdhsa_system_vgpr_workitem_id 0
		.amdhsa_next_free_vgpr 1
		.amdhsa_next_free_sgpr 0
		.amdhsa_accum_offset 4
		.amdhsa_reserve_vcc 0
		.amdhsa_float_round_mode_32 0
		.amdhsa_float_round_mode_16_64 0
		.amdhsa_float_denorm_mode_32 3
		.amdhsa_float_denorm_mode_16_64 3
		.amdhsa_dx10_clamp 1
		.amdhsa_ieee_mode 1
		.amdhsa_fp16_overflow 0
		.amdhsa_tg_split 0
		.amdhsa_exception_fp_ieee_invalid_op 0
		.amdhsa_exception_fp_denorm_src 0
		.amdhsa_exception_fp_ieee_div_zero 0
		.amdhsa_exception_fp_ieee_overflow 0
		.amdhsa_exception_fp_ieee_underflow 0
		.amdhsa_exception_fp_ieee_inexact 0
		.amdhsa_exception_int_div_zero 0
	.end_amdhsa_kernel
	.section	.text._ZN7rocprim17ROCPRIM_400000_NS6detail17trampoline_kernelINS0_14default_configENS1_27scan_by_key_config_selectorIisEEZZNS1_16scan_by_key_implILNS1_25lookback_scan_determinismE0ELb1ES3_N6thrust23THRUST_200600_302600_NS6detail15normal_iteratorINS9_10device_ptrIiEEEENSB_INSC_IsEEEESG_sNS9_4plusIvEENS9_8equal_toIvEEsEE10hipError_tPvRmT2_T3_T4_T5_mT6_T7_P12ihipStream_tbENKUlT_T0_E_clISt17integral_constantIbLb1EES11_EEDaSW_SX_EUlSW_E_NS1_11comp_targetILNS1_3genE2ELNS1_11target_archE906ELNS1_3gpuE6ELNS1_3repE0EEENS1_30default_config_static_selectorELNS0_4arch9wavefront6targetE1EEEvT1_,"axG",@progbits,_ZN7rocprim17ROCPRIM_400000_NS6detail17trampoline_kernelINS0_14default_configENS1_27scan_by_key_config_selectorIisEEZZNS1_16scan_by_key_implILNS1_25lookback_scan_determinismE0ELb1ES3_N6thrust23THRUST_200600_302600_NS6detail15normal_iteratorINS9_10device_ptrIiEEEENSB_INSC_IsEEEESG_sNS9_4plusIvEENS9_8equal_toIvEEsEE10hipError_tPvRmT2_T3_T4_T5_mT6_T7_P12ihipStream_tbENKUlT_T0_E_clISt17integral_constantIbLb1EES11_EEDaSW_SX_EUlSW_E_NS1_11comp_targetILNS1_3genE2ELNS1_11target_archE906ELNS1_3gpuE6ELNS1_3repE0EEENS1_30default_config_static_selectorELNS0_4arch9wavefront6targetE1EEEvT1_,comdat
.Lfunc_end1621:
	.size	_ZN7rocprim17ROCPRIM_400000_NS6detail17trampoline_kernelINS0_14default_configENS1_27scan_by_key_config_selectorIisEEZZNS1_16scan_by_key_implILNS1_25lookback_scan_determinismE0ELb1ES3_N6thrust23THRUST_200600_302600_NS6detail15normal_iteratorINS9_10device_ptrIiEEEENSB_INSC_IsEEEESG_sNS9_4plusIvEENS9_8equal_toIvEEsEE10hipError_tPvRmT2_T3_T4_T5_mT6_T7_P12ihipStream_tbENKUlT_T0_E_clISt17integral_constantIbLb1EES11_EEDaSW_SX_EUlSW_E_NS1_11comp_targetILNS1_3genE2ELNS1_11target_archE906ELNS1_3gpuE6ELNS1_3repE0EEENS1_30default_config_static_selectorELNS0_4arch9wavefront6targetE1EEEvT1_, .Lfunc_end1621-_ZN7rocprim17ROCPRIM_400000_NS6detail17trampoline_kernelINS0_14default_configENS1_27scan_by_key_config_selectorIisEEZZNS1_16scan_by_key_implILNS1_25lookback_scan_determinismE0ELb1ES3_N6thrust23THRUST_200600_302600_NS6detail15normal_iteratorINS9_10device_ptrIiEEEENSB_INSC_IsEEEESG_sNS9_4plusIvEENS9_8equal_toIvEEsEE10hipError_tPvRmT2_T3_T4_T5_mT6_T7_P12ihipStream_tbENKUlT_T0_E_clISt17integral_constantIbLb1EES11_EEDaSW_SX_EUlSW_E_NS1_11comp_targetILNS1_3genE2ELNS1_11target_archE906ELNS1_3gpuE6ELNS1_3repE0EEENS1_30default_config_static_selectorELNS0_4arch9wavefront6targetE1EEEvT1_
                                        ; -- End function
	.section	.AMDGPU.csdata,"",@progbits
; Kernel info:
; codeLenInByte = 0
; NumSgprs: 6
; NumVgprs: 0
; NumAgprs: 0
; TotalNumVgprs: 0
; ScratchSize: 0
; MemoryBound: 0
; FloatMode: 240
; IeeeMode: 1
; LDSByteSize: 0 bytes/workgroup (compile time only)
; SGPRBlocks: 0
; VGPRBlocks: 0
; NumSGPRsForWavesPerEU: 6
; NumVGPRsForWavesPerEU: 1
; AccumOffset: 4
; Occupancy: 8
; WaveLimiterHint : 0
; COMPUTE_PGM_RSRC2:SCRATCH_EN: 0
; COMPUTE_PGM_RSRC2:USER_SGPR: 2
; COMPUTE_PGM_RSRC2:TRAP_HANDLER: 0
; COMPUTE_PGM_RSRC2:TGID_X_EN: 1
; COMPUTE_PGM_RSRC2:TGID_Y_EN: 0
; COMPUTE_PGM_RSRC2:TGID_Z_EN: 0
; COMPUTE_PGM_RSRC2:TIDIG_COMP_CNT: 0
; COMPUTE_PGM_RSRC3_GFX90A:ACCUM_OFFSET: 0
; COMPUTE_PGM_RSRC3_GFX90A:TG_SPLIT: 0
	.section	.text._ZN7rocprim17ROCPRIM_400000_NS6detail17trampoline_kernelINS0_14default_configENS1_27scan_by_key_config_selectorIisEEZZNS1_16scan_by_key_implILNS1_25lookback_scan_determinismE0ELb1ES3_N6thrust23THRUST_200600_302600_NS6detail15normal_iteratorINS9_10device_ptrIiEEEENSB_INSC_IsEEEESG_sNS9_4plusIvEENS9_8equal_toIvEEsEE10hipError_tPvRmT2_T3_T4_T5_mT6_T7_P12ihipStream_tbENKUlT_T0_E_clISt17integral_constantIbLb1EES11_EEDaSW_SX_EUlSW_E_NS1_11comp_targetILNS1_3genE10ELNS1_11target_archE1200ELNS1_3gpuE4ELNS1_3repE0EEENS1_30default_config_static_selectorELNS0_4arch9wavefront6targetE1EEEvT1_,"axG",@progbits,_ZN7rocprim17ROCPRIM_400000_NS6detail17trampoline_kernelINS0_14default_configENS1_27scan_by_key_config_selectorIisEEZZNS1_16scan_by_key_implILNS1_25lookback_scan_determinismE0ELb1ES3_N6thrust23THRUST_200600_302600_NS6detail15normal_iteratorINS9_10device_ptrIiEEEENSB_INSC_IsEEEESG_sNS9_4plusIvEENS9_8equal_toIvEEsEE10hipError_tPvRmT2_T3_T4_T5_mT6_T7_P12ihipStream_tbENKUlT_T0_E_clISt17integral_constantIbLb1EES11_EEDaSW_SX_EUlSW_E_NS1_11comp_targetILNS1_3genE10ELNS1_11target_archE1200ELNS1_3gpuE4ELNS1_3repE0EEENS1_30default_config_static_selectorELNS0_4arch9wavefront6targetE1EEEvT1_,comdat
	.protected	_ZN7rocprim17ROCPRIM_400000_NS6detail17trampoline_kernelINS0_14default_configENS1_27scan_by_key_config_selectorIisEEZZNS1_16scan_by_key_implILNS1_25lookback_scan_determinismE0ELb1ES3_N6thrust23THRUST_200600_302600_NS6detail15normal_iteratorINS9_10device_ptrIiEEEENSB_INSC_IsEEEESG_sNS9_4plusIvEENS9_8equal_toIvEEsEE10hipError_tPvRmT2_T3_T4_T5_mT6_T7_P12ihipStream_tbENKUlT_T0_E_clISt17integral_constantIbLb1EES11_EEDaSW_SX_EUlSW_E_NS1_11comp_targetILNS1_3genE10ELNS1_11target_archE1200ELNS1_3gpuE4ELNS1_3repE0EEENS1_30default_config_static_selectorELNS0_4arch9wavefront6targetE1EEEvT1_ ; -- Begin function _ZN7rocprim17ROCPRIM_400000_NS6detail17trampoline_kernelINS0_14default_configENS1_27scan_by_key_config_selectorIisEEZZNS1_16scan_by_key_implILNS1_25lookback_scan_determinismE0ELb1ES3_N6thrust23THRUST_200600_302600_NS6detail15normal_iteratorINS9_10device_ptrIiEEEENSB_INSC_IsEEEESG_sNS9_4plusIvEENS9_8equal_toIvEEsEE10hipError_tPvRmT2_T3_T4_T5_mT6_T7_P12ihipStream_tbENKUlT_T0_E_clISt17integral_constantIbLb1EES11_EEDaSW_SX_EUlSW_E_NS1_11comp_targetILNS1_3genE10ELNS1_11target_archE1200ELNS1_3gpuE4ELNS1_3repE0EEENS1_30default_config_static_selectorELNS0_4arch9wavefront6targetE1EEEvT1_
	.globl	_ZN7rocprim17ROCPRIM_400000_NS6detail17trampoline_kernelINS0_14default_configENS1_27scan_by_key_config_selectorIisEEZZNS1_16scan_by_key_implILNS1_25lookback_scan_determinismE0ELb1ES3_N6thrust23THRUST_200600_302600_NS6detail15normal_iteratorINS9_10device_ptrIiEEEENSB_INSC_IsEEEESG_sNS9_4plusIvEENS9_8equal_toIvEEsEE10hipError_tPvRmT2_T3_T4_T5_mT6_T7_P12ihipStream_tbENKUlT_T0_E_clISt17integral_constantIbLb1EES11_EEDaSW_SX_EUlSW_E_NS1_11comp_targetILNS1_3genE10ELNS1_11target_archE1200ELNS1_3gpuE4ELNS1_3repE0EEENS1_30default_config_static_selectorELNS0_4arch9wavefront6targetE1EEEvT1_
	.p2align	8
	.type	_ZN7rocprim17ROCPRIM_400000_NS6detail17trampoline_kernelINS0_14default_configENS1_27scan_by_key_config_selectorIisEEZZNS1_16scan_by_key_implILNS1_25lookback_scan_determinismE0ELb1ES3_N6thrust23THRUST_200600_302600_NS6detail15normal_iteratorINS9_10device_ptrIiEEEENSB_INSC_IsEEEESG_sNS9_4plusIvEENS9_8equal_toIvEEsEE10hipError_tPvRmT2_T3_T4_T5_mT6_T7_P12ihipStream_tbENKUlT_T0_E_clISt17integral_constantIbLb1EES11_EEDaSW_SX_EUlSW_E_NS1_11comp_targetILNS1_3genE10ELNS1_11target_archE1200ELNS1_3gpuE4ELNS1_3repE0EEENS1_30default_config_static_selectorELNS0_4arch9wavefront6targetE1EEEvT1_,@function
_ZN7rocprim17ROCPRIM_400000_NS6detail17trampoline_kernelINS0_14default_configENS1_27scan_by_key_config_selectorIisEEZZNS1_16scan_by_key_implILNS1_25lookback_scan_determinismE0ELb1ES3_N6thrust23THRUST_200600_302600_NS6detail15normal_iteratorINS9_10device_ptrIiEEEENSB_INSC_IsEEEESG_sNS9_4plusIvEENS9_8equal_toIvEEsEE10hipError_tPvRmT2_T3_T4_T5_mT6_T7_P12ihipStream_tbENKUlT_T0_E_clISt17integral_constantIbLb1EES11_EEDaSW_SX_EUlSW_E_NS1_11comp_targetILNS1_3genE10ELNS1_11target_archE1200ELNS1_3gpuE4ELNS1_3repE0EEENS1_30default_config_static_selectorELNS0_4arch9wavefront6targetE1EEEvT1_: ; @_ZN7rocprim17ROCPRIM_400000_NS6detail17trampoline_kernelINS0_14default_configENS1_27scan_by_key_config_selectorIisEEZZNS1_16scan_by_key_implILNS1_25lookback_scan_determinismE0ELb1ES3_N6thrust23THRUST_200600_302600_NS6detail15normal_iteratorINS9_10device_ptrIiEEEENSB_INSC_IsEEEESG_sNS9_4plusIvEENS9_8equal_toIvEEsEE10hipError_tPvRmT2_T3_T4_T5_mT6_T7_P12ihipStream_tbENKUlT_T0_E_clISt17integral_constantIbLb1EES11_EEDaSW_SX_EUlSW_E_NS1_11comp_targetILNS1_3genE10ELNS1_11target_archE1200ELNS1_3gpuE4ELNS1_3repE0EEENS1_30default_config_static_selectorELNS0_4arch9wavefront6targetE1EEEvT1_
; %bb.0:
	.section	.rodata,"a",@progbits
	.p2align	6, 0x0
	.amdhsa_kernel _ZN7rocprim17ROCPRIM_400000_NS6detail17trampoline_kernelINS0_14default_configENS1_27scan_by_key_config_selectorIisEEZZNS1_16scan_by_key_implILNS1_25lookback_scan_determinismE0ELb1ES3_N6thrust23THRUST_200600_302600_NS6detail15normal_iteratorINS9_10device_ptrIiEEEENSB_INSC_IsEEEESG_sNS9_4plusIvEENS9_8equal_toIvEEsEE10hipError_tPvRmT2_T3_T4_T5_mT6_T7_P12ihipStream_tbENKUlT_T0_E_clISt17integral_constantIbLb1EES11_EEDaSW_SX_EUlSW_E_NS1_11comp_targetILNS1_3genE10ELNS1_11target_archE1200ELNS1_3gpuE4ELNS1_3repE0EEENS1_30default_config_static_selectorELNS0_4arch9wavefront6targetE1EEEvT1_
		.amdhsa_group_segment_fixed_size 0
		.amdhsa_private_segment_fixed_size 0
		.amdhsa_kernarg_size 112
		.amdhsa_user_sgpr_count 2
		.amdhsa_user_sgpr_dispatch_ptr 0
		.amdhsa_user_sgpr_queue_ptr 0
		.amdhsa_user_sgpr_kernarg_segment_ptr 1
		.amdhsa_user_sgpr_dispatch_id 0
		.amdhsa_user_sgpr_kernarg_preload_length 0
		.amdhsa_user_sgpr_kernarg_preload_offset 0
		.amdhsa_user_sgpr_private_segment_size 0
		.amdhsa_uses_dynamic_stack 0
		.amdhsa_enable_private_segment 0
		.amdhsa_system_sgpr_workgroup_id_x 1
		.amdhsa_system_sgpr_workgroup_id_y 0
		.amdhsa_system_sgpr_workgroup_id_z 0
		.amdhsa_system_sgpr_workgroup_info 0
		.amdhsa_system_vgpr_workitem_id 0
		.amdhsa_next_free_vgpr 1
		.amdhsa_next_free_sgpr 0
		.amdhsa_accum_offset 4
		.amdhsa_reserve_vcc 0
		.amdhsa_float_round_mode_32 0
		.amdhsa_float_round_mode_16_64 0
		.amdhsa_float_denorm_mode_32 3
		.amdhsa_float_denorm_mode_16_64 3
		.amdhsa_dx10_clamp 1
		.amdhsa_ieee_mode 1
		.amdhsa_fp16_overflow 0
		.amdhsa_tg_split 0
		.amdhsa_exception_fp_ieee_invalid_op 0
		.amdhsa_exception_fp_denorm_src 0
		.amdhsa_exception_fp_ieee_div_zero 0
		.amdhsa_exception_fp_ieee_overflow 0
		.amdhsa_exception_fp_ieee_underflow 0
		.amdhsa_exception_fp_ieee_inexact 0
		.amdhsa_exception_int_div_zero 0
	.end_amdhsa_kernel
	.section	.text._ZN7rocprim17ROCPRIM_400000_NS6detail17trampoline_kernelINS0_14default_configENS1_27scan_by_key_config_selectorIisEEZZNS1_16scan_by_key_implILNS1_25lookback_scan_determinismE0ELb1ES3_N6thrust23THRUST_200600_302600_NS6detail15normal_iteratorINS9_10device_ptrIiEEEENSB_INSC_IsEEEESG_sNS9_4plusIvEENS9_8equal_toIvEEsEE10hipError_tPvRmT2_T3_T4_T5_mT6_T7_P12ihipStream_tbENKUlT_T0_E_clISt17integral_constantIbLb1EES11_EEDaSW_SX_EUlSW_E_NS1_11comp_targetILNS1_3genE10ELNS1_11target_archE1200ELNS1_3gpuE4ELNS1_3repE0EEENS1_30default_config_static_selectorELNS0_4arch9wavefront6targetE1EEEvT1_,"axG",@progbits,_ZN7rocprim17ROCPRIM_400000_NS6detail17trampoline_kernelINS0_14default_configENS1_27scan_by_key_config_selectorIisEEZZNS1_16scan_by_key_implILNS1_25lookback_scan_determinismE0ELb1ES3_N6thrust23THRUST_200600_302600_NS6detail15normal_iteratorINS9_10device_ptrIiEEEENSB_INSC_IsEEEESG_sNS9_4plusIvEENS9_8equal_toIvEEsEE10hipError_tPvRmT2_T3_T4_T5_mT6_T7_P12ihipStream_tbENKUlT_T0_E_clISt17integral_constantIbLb1EES11_EEDaSW_SX_EUlSW_E_NS1_11comp_targetILNS1_3genE10ELNS1_11target_archE1200ELNS1_3gpuE4ELNS1_3repE0EEENS1_30default_config_static_selectorELNS0_4arch9wavefront6targetE1EEEvT1_,comdat
.Lfunc_end1622:
	.size	_ZN7rocprim17ROCPRIM_400000_NS6detail17trampoline_kernelINS0_14default_configENS1_27scan_by_key_config_selectorIisEEZZNS1_16scan_by_key_implILNS1_25lookback_scan_determinismE0ELb1ES3_N6thrust23THRUST_200600_302600_NS6detail15normal_iteratorINS9_10device_ptrIiEEEENSB_INSC_IsEEEESG_sNS9_4plusIvEENS9_8equal_toIvEEsEE10hipError_tPvRmT2_T3_T4_T5_mT6_T7_P12ihipStream_tbENKUlT_T0_E_clISt17integral_constantIbLb1EES11_EEDaSW_SX_EUlSW_E_NS1_11comp_targetILNS1_3genE10ELNS1_11target_archE1200ELNS1_3gpuE4ELNS1_3repE0EEENS1_30default_config_static_selectorELNS0_4arch9wavefront6targetE1EEEvT1_, .Lfunc_end1622-_ZN7rocprim17ROCPRIM_400000_NS6detail17trampoline_kernelINS0_14default_configENS1_27scan_by_key_config_selectorIisEEZZNS1_16scan_by_key_implILNS1_25lookback_scan_determinismE0ELb1ES3_N6thrust23THRUST_200600_302600_NS6detail15normal_iteratorINS9_10device_ptrIiEEEENSB_INSC_IsEEEESG_sNS9_4plusIvEENS9_8equal_toIvEEsEE10hipError_tPvRmT2_T3_T4_T5_mT6_T7_P12ihipStream_tbENKUlT_T0_E_clISt17integral_constantIbLb1EES11_EEDaSW_SX_EUlSW_E_NS1_11comp_targetILNS1_3genE10ELNS1_11target_archE1200ELNS1_3gpuE4ELNS1_3repE0EEENS1_30default_config_static_selectorELNS0_4arch9wavefront6targetE1EEEvT1_
                                        ; -- End function
	.section	.AMDGPU.csdata,"",@progbits
; Kernel info:
; codeLenInByte = 0
; NumSgprs: 6
; NumVgprs: 0
; NumAgprs: 0
; TotalNumVgprs: 0
; ScratchSize: 0
; MemoryBound: 0
; FloatMode: 240
; IeeeMode: 1
; LDSByteSize: 0 bytes/workgroup (compile time only)
; SGPRBlocks: 0
; VGPRBlocks: 0
; NumSGPRsForWavesPerEU: 6
; NumVGPRsForWavesPerEU: 1
; AccumOffset: 4
; Occupancy: 8
; WaveLimiterHint : 0
; COMPUTE_PGM_RSRC2:SCRATCH_EN: 0
; COMPUTE_PGM_RSRC2:USER_SGPR: 2
; COMPUTE_PGM_RSRC2:TRAP_HANDLER: 0
; COMPUTE_PGM_RSRC2:TGID_X_EN: 1
; COMPUTE_PGM_RSRC2:TGID_Y_EN: 0
; COMPUTE_PGM_RSRC2:TGID_Z_EN: 0
; COMPUTE_PGM_RSRC2:TIDIG_COMP_CNT: 0
; COMPUTE_PGM_RSRC3_GFX90A:ACCUM_OFFSET: 0
; COMPUTE_PGM_RSRC3_GFX90A:TG_SPLIT: 0
	.section	.text._ZN7rocprim17ROCPRIM_400000_NS6detail17trampoline_kernelINS0_14default_configENS1_27scan_by_key_config_selectorIisEEZZNS1_16scan_by_key_implILNS1_25lookback_scan_determinismE0ELb1ES3_N6thrust23THRUST_200600_302600_NS6detail15normal_iteratorINS9_10device_ptrIiEEEENSB_INSC_IsEEEESG_sNS9_4plusIvEENS9_8equal_toIvEEsEE10hipError_tPvRmT2_T3_T4_T5_mT6_T7_P12ihipStream_tbENKUlT_T0_E_clISt17integral_constantIbLb1EES11_EEDaSW_SX_EUlSW_E_NS1_11comp_targetILNS1_3genE9ELNS1_11target_archE1100ELNS1_3gpuE3ELNS1_3repE0EEENS1_30default_config_static_selectorELNS0_4arch9wavefront6targetE1EEEvT1_,"axG",@progbits,_ZN7rocprim17ROCPRIM_400000_NS6detail17trampoline_kernelINS0_14default_configENS1_27scan_by_key_config_selectorIisEEZZNS1_16scan_by_key_implILNS1_25lookback_scan_determinismE0ELb1ES3_N6thrust23THRUST_200600_302600_NS6detail15normal_iteratorINS9_10device_ptrIiEEEENSB_INSC_IsEEEESG_sNS9_4plusIvEENS9_8equal_toIvEEsEE10hipError_tPvRmT2_T3_T4_T5_mT6_T7_P12ihipStream_tbENKUlT_T0_E_clISt17integral_constantIbLb1EES11_EEDaSW_SX_EUlSW_E_NS1_11comp_targetILNS1_3genE9ELNS1_11target_archE1100ELNS1_3gpuE3ELNS1_3repE0EEENS1_30default_config_static_selectorELNS0_4arch9wavefront6targetE1EEEvT1_,comdat
	.protected	_ZN7rocprim17ROCPRIM_400000_NS6detail17trampoline_kernelINS0_14default_configENS1_27scan_by_key_config_selectorIisEEZZNS1_16scan_by_key_implILNS1_25lookback_scan_determinismE0ELb1ES3_N6thrust23THRUST_200600_302600_NS6detail15normal_iteratorINS9_10device_ptrIiEEEENSB_INSC_IsEEEESG_sNS9_4plusIvEENS9_8equal_toIvEEsEE10hipError_tPvRmT2_T3_T4_T5_mT6_T7_P12ihipStream_tbENKUlT_T0_E_clISt17integral_constantIbLb1EES11_EEDaSW_SX_EUlSW_E_NS1_11comp_targetILNS1_3genE9ELNS1_11target_archE1100ELNS1_3gpuE3ELNS1_3repE0EEENS1_30default_config_static_selectorELNS0_4arch9wavefront6targetE1EEEvT1_ ; -- Begin function _ZN7rocprim17ROCPRIM_400000_NS6detail17trampoline_kernelINS0_14default_configENS1_27scan_by_key_config_selectorIisEEZZNS1_16scan_by_key_implILNS1_25lookback_scan_determinismE0ELb1ES3_N6thrust23THRUST_200600_302600_NS6detail15normal_iteratorINS9_10device_ptrIiEEEENSB_INSC_IsEEEESG_sNS9_4plusIvEENS9_8equal_toIvEEsEE10hipError_tPvRmT2_T3_T4_T5_mT6_T7_P12ihipStream_tbENKUlT_T0_E_clISt17integral_constantIbLb1EES11_EEDaSW_SX_EUlSW_E_NS1_11comp_targetILNS1_3genE9ELNS1_11target_archE1100ELNS1_3gpuE3ELNS1_3repE0EEENS1_30default_config_static_selectorELNS0_4arch9wavefront6targetE1EEEvT1_
	.globl	_ZN7rocprim17ROCPRIM_400000_NS6detail17trampoline_kernelINS0_14default_configENS1_27scan_by_key_config_selectorIisEEZZNS1_16scan_by_key_implILNS1_25lookback_scan_determinismE0ELb1ES3_N6thrust23THRUST_200600_302600_NS6detail15normal_iteratorINS9_10device_ptrIiEEEENSB_INSC_IsEEEESG_sNS9_4plusIvEENS9_8equal_toIvEEsEE10hipError_tPvRmT2_T3_T4_T5_mT6_T7_P12ihipStream_tbENKUlT_T0_E_clISt17integral_constantIbLb1EES11_EEDaSW_SX_EUlSW_E_NS1_11comp_targetILNS1_3genE9ELNS1_11target_archE1100ELNS1_3gpuE3ELNS1_3repE0EEENS1_30default_config_static_selectorELNS0_4arch9wavefront6targetE1EEEvT1_
	.p2align	8
	.type	_ZN7rocprim17ROCPRIM_400000_NS6detail17trampoline_kernelINS0_14default_configENS1_27scan_by_key_config_selectorIisEEZZNS1_16scan_by_key_implILNS1_25lookback_scan_determinismE0ELb1ES3_N6thrust23THRUST_200600_302600_NS6detail15normal_iteratorINS9_10device_ptrIiEEEENSB_INSC_IsEEEESG_sNS9_4plusIvEENS9_8equal_toIvEEsEE10hipError_tPvRmT2_T3_T4_T5_mT6_T7_P12ihipStream_tbENKUlT_T0_E_clISt17integral_constantIbLb1EES11_EEDaSW_SX_EUlSW_E_NS1_11comp_targetILNS1_3genE9ELNS1_11target_archE1100ELNS1_3gpuE3ELNS1_3repE0EEENS1_30default_config_static_selectorELNS0_4arch9wavefront6targetE1EEEvT1_,@function
_ZN7rocprim17ROCPRIM_400000_NS6detail17trampoline_kernelINS0_14default_configENS1_27scan_by_key_config_selectorIisEEZZNS1_16scan_by_key_implILNS1_25lookback_scan_determinismE0ELb1ES3_N6thrust23THRUST_200600_302600_NS6detail15normal_iteratorINS9_10device_ptrIiEEEENSB_INSC_IsEEEESG_sNS9_4plusIvEENS9_8equal_toIvEEsEE10hipError_tPvRmT2_T3_T4_T5_mT6_T7_P12ihipStream_tbENKUlT_T0_E_clISt17integral_constantIbLb1EES11_EEDaSW_SX_EUlSW_E_NS1_11comp_targetILNS1_3genE9ELNS1_11target_archE1100ELNS1_3gpuE3ELNS1_3repE0EEENS1_30default_config_static_selectorELNS0_4arch9wavefront6targetE1EEEvT1_: ; @_ZN7rocprim17ROCPRIM_400000_NS6detail17trampoline_kernelINS0_14default_configENS1_27scan_by_key_config_selectorIisEEZZNS1_16scan_by_key_implILNS1_25lookback_scan_determinismE0ELb1ES3_N6thrust23THRUST_200600_302600_NS6detail15normal_iteratorINS9_10device_ptrIiEEEENSB_INSC_IsEEEESG_sNS9_4plusIvEENS9_8equal_toIvEEsEE10hipError_tPvRmT2_T3_T4_T5_mT6_T7_P12ihipStream_tbENKUlT_T0_E_clISt17integral_constantIbLb1EES11_EEDaSW_SX_EUlSW_E_NS1_11comp_targetILNS1_3genE9ELNS1_11target_archE1100ELNS1_3gpuE3ELNS1_3repE0EEENS1_30default_config_static_selectorELNS0_4arch9wavefront6targetE1EEEvT1_
; %bb.0:
	.section	.rodata,"a",@progbits
	.p2align	6, 0x0
	.amdhsa_kernel _ZN7rocprim17ROCPRIM_400000_NS6detail17trampoline_kernelINS0_14default_configENS1_27scan_by_key_config_selectorIisEEZZNS1_16scan_by_key_implILNS1_25lookback_scan_determinismE0ELb1ES3_N6thrust23THRUST_200600_302600_NS6detail15normal_iteratorINS9_10device_ptrIiEEEENSB_INSC_IsEEEESG_sNS9_4plusIvEENS9_8equal_toIvEEsEE10hipError_tPvRmT2_T3_T4_T5_mT6_T7_P12ihipStream_tbENKUlT_T0_E_clISt17integral_constantIbLb1EES11_EEDaSW_SX_EUlSW_E_NS1_11comp_targetILNS1_3genE9ELNS1_11target_archE1100ELNS1_3gpuE3ELNS1_3repE0EEENS1_30default_config_static_selectorELNS0_4arch9wavefront6targetE1EEEvT1_
		.amdhsa_group_segment_fixed_size 0
		.amdhsa_private_segment_fixed_size 0
		.amdhsa_kernarg_size 112
		.amdhsa_user_sgpr_count 2
		.amdhsa_user_sgpr_dispatch_ptr 0
		.amdhsa_user_sgpr_queue_ptr 0
		.amdhsa_user_sgpr_kernarg_segment_ptr 1
		.amdhsa_user_sgpr_dispatch_id 0
		.amdhsa_user_sgpr_kernarg_preload_length 0
		.amdhsa_user_sgpr_kernarg_preload_offset 0
		.amdhsa_user_sgpr_private_segment_size 0
		.amdhsa_uses_dynamic_stack 0
		.amdhsa_enable_private_segment 0
		.amdhsa_system_sgpr_workgroup_id_x 1
		.amdhsa_system_sgpr_workgroup_id_y 0
		.amdhsa_system_sgpr_workgroup_id_z 0
		.amdhsa_system_sgpr_workgroup_info 0
		.amdhsa_system_vgpr_workitem_id 0
		.amdhsa_next_free_vgpr 1
		.amdhsa_next_free_sgpr 0
		.amdhsa_accum_offset 4
		.amdhsa_reserve_vcc 0
		.amdhsa_float_round_mode_32 0
		.amdhsa_float_round_mode_16_64 0
		.amdhsa_float_denorm_mode_32 3
		.amdhsa_float_denorm_mode_16_64 3
		.amdhsa_dx10_clamp 1
		.amdhsa_ieee_mode 1
		.amdhsa_fp16_overflow 0
		.amdhsa_tg_split 0
		.amdhsa_exception_fp_ieee_invalid_op 0
		.amdhsa_exception_fp_denorm_src 0
		.amdhsa_exception_fp_ieee_div_zero 0
		.amdhsa_exception_fp_ieee_overflow 0
		.amdhsa_exception_fp_ieee_underflow 0
		.amdhsa_exception_fp_ieee_inexact 0
		.amdhsa_exception_int_div_zero 0
	.end_amdhsa_kernel
	.section	.text._ZN7rocprim17ROCPRIM_400000_NS6detail17trampoline_kernelINS0_14default_configENS1_27scan_by_key_config_selectorIisEEZZNS1_16scan_by_key_implILNS1_25lookback_scan_determinismE0ELb1ES3_N6thrust23THRUST_200600_302600_NS6detail15normal_iteratorINS9_10device_ptrIiEEEENSB_INSC_IsEEEESG_sNS9_4plusIvEENS9_8equal_toIvEEsEE10hipError_tPvRmT2_T3_T4_T5_mT6_T7_P12ihipStream_tbENKUlT_T0_E_clISt17integral_constantIbLb1EES11_EEDaSW_SX_EUlSW_E_NS1_11comp_targetILNS1_3genE9ELNS1_11target_archE1100ELNS1_3gpuE3ELNS1_3repE0EEENS1_30default_config_static_selectorELNS0_4arch9wavefront6targetE1EEEvT1_,"axG",@progbits,_ZN7rocprim17ROCPRIM_400000_NS6detail17trampoline_kernelINS0_14default_configENS1_27scan_by_key_config_selectorIisEEZZNS1_16scan_by_key_implILNS1_25lookback_scan_determinismE0ELb1ES3_N6thrust23THRUST_200600_302600_NS6detail15normal_iteratorINS9_10device_ptrIiEEEENSB_INSC_IsEEEESG_sNS9_4plusIvEENS9_8equal_toIvEEsEE10hipError_tPvRmT2_T3_T4_T5_mT6_T7_P12ihipStream_tbENKUlT_T0_E_clISt17integral_constantIbLb1EES11_EEDaSW_SX_EUlSW_E_NS1_11comp_targetILNS1_3genE9ELNS1_11target_archE1100ELNS1_3gpuE3ELNS1_3repE0EEENS1_30default_config_static_selectorELNS0_4arch9wavefront6targetE1EEEvT1_,comdat
.Lfunc_end1623:
	.size	_ZN7rocprim17ROCPRIM_400000_NS6detail17trampoline_kernelINS0_14default_configENS1_27scan_by_key_config_selectorIisEEZZNS1_16scan_by_key_implILNS1_25lookback_scan_determinismE0ELb1ES3_N6thrust23THRUST_200600_302600_NS6detail15normal_iteratorINS9_10device_ptrIiEEEENSB_INSC_IsEEEESG_sNS9_4plusIvEENS9_8equal_toIvEEsEE10hipError_tPvRmT2_T3_T4_T5_mT6_T7_P12ihipStream_tbENKUlT_T0_E_clISt17integral_constantIbLb1EES11_EEDaSW_SX_EUlSW_E_NS1_11comp_targetILNS1_3genE9ELNS1_11target_archE1100ELNS1_3gpuE3ELNS1_3repE0EEENS1_30default_config_static_selectorELNS0_4arch9wavefront6targetE1EEEvT1_, .Lfunc_end1623-_ZN7rocprim17ROCPRIM_400000_NS6detail17trampoline_kernelINS0_14default_configENS1_27scan_by_key_config_selectorIisEEZZNS1_16scan_by_key_implILNS1_25lookback_scan_determinismE0ELb1ES3_N6thrust23THRUST_200600_302600_NS6detail15normal_iteratorINS9_10device_ptrIiEEEENSB_INSC_IsEEEESG_sNS9_4plusIvEENS9_8equal_toIvEEsEE10hipError_tPvRmT2_T3_T4_T5_mT6_T7_P12ihipStream_tbENKUlT_T0_E_clISt17integral_constantIbLb1EES11_EEDaSW_SX_EUlSW_E_NS1_11comp_targetILNS1_3genE9ELNS1_11target_archE1100ELNS1_3gpuE3ELNS1_3repE0EEENS1_30default_config_static_selectorELNS0_4arch9wavefront6targetE1EEEvT1_
                                        ; -- End function
	.section	.AMDGPU.csdata,"",@progbits
; Kernel info:
; codeLenInByte = 0
; NumSgprs: 6
; NumVgprs: 0
; NumAgprs: 0
; TotalNumVgprs: 0
; ScratchSize: 0
; MemoryBound: 0
; FloatMode: 240
; IeeeMode: 1
; LDSByteSize: 0 bytes/workgroup (compile time only)
; SGPRBlocks: 0
; VGPRBlocks: 0
; NumSGPRsForWavesPerEU: 6
; NumVGPRsForWavesPerEU: 1
; AccumOffset: 4
; Occupancy: 8
; WaveLimiterHint : 0
; COMPUTE_PGM_RSRC2:SCRATCH_EN: 0
; COMPUTE_PGM_RSRC2:USER_SGPR: 2
; COMPUTE_PGM_RSRC2:TRAP_HANDLER: 0
; COMPUTE_PGM_RSRC2:TGID_X_EN: 1
; COMPUTE_PGM_RSRC2:TGID_Y_EN: 0
; COMPUTE_PGM_RSRC2:TGID_Z_EN: 0
; COMPUTE_PGM_RSRC2:TIDIG_COMP_CNT: 0
; COMPUTE_PGM_RSRC3_GFX90A:ACCUM_OFFSET: 0
; COMPUTE_PGM_RSRC3_GFX90A:TG_SPLIT: 0
	.section	.text._ZN7rocprim17ROCPRIM_400000_NS6detail17trampoline_kernelINS0_14default_configENS1_27scan_by_key_config_selectorIisEEZZNS1_16scan_by_key_implILNS1_25lookback_scan_determinismE0ELb1ES3_N6thrust23THRUST_200600_302600_NS6detail15normal_iteratorINS9_10device_ptrIiEEEENSB_INSC_IsEEEESG_sNS9_4plusIvEENS9_8equal_toIvEEsEE10hipError_tPvRmT2_T3_T4_T5_mT6_T7_P12ihipStream_tbENKUlT_T0_E_clISt17integral_constantIbLb1EES11_EEDaSW_SX_EUlSW_E_NS1_11comp_targetILNS1_3genE8ELNS1_11target_archE1030ELNS1_3gpuE2ELNS1_3repE0EEENS1_30default_config_static_selectorELNS0_4arch9wavefront6targetE1EEEvT1_,"axG",@progbits,_ZN7rocprim17ROCPRIM_400000_NS6detail17trampoline_kernelINS0_14default_configENS1_27scan_by_key_config_selectorIisEEZZNS1_16scan_by_key_implILNS1_25lookback_scan_determinismE0ELb1ES3_N6thrust23THRUST_200600_302600_NS6detail15normal_iteratorINS9_10device_ptrIiEEEENSB_INSC_IsEEEESG_sNS9_4plusIvEENS9_8equal_toIvEEsEE10hipError_tPvRmT2_T3_T4_T5_mT6_T7_P12ihipStream_tbENKUlT_T0_E_clISt17integral_constantIbLb1EES11_EEDaSW_SX_EUlSW_E_NS1_11comp_targetILNS1_3genE8ELNS1_11target_archE1030ELNS1_3gpuE2ELNS1_3repE0EEENS1_30default_config_static_selectorELNS0_4arch9wavefront6targetE1EEEvT1_,comdat
	.protected	_ZN7rocprim17ROCPRIM_400000_NS6detail17trampoline_kernelINS0_14default_configENS1_27scan_by_key_config_selectorIisEEZZNS1_16scan_by_key_implILNS1_25lookback_scan_determinismE0ELb1ES3_N6thrust23THRUST_200600_302600_NS6detail15normal_iteratorINS9_10device_ptrIiEEEENSB_INSC_IsEEEESG_sNS9_4plusIvEENS9_8equal_toIvEEsEE10hipError_tPvRmT2_T3_T4_T5_mT6_T7_P12ihipStream_tbENKUlT_T0_E_clISt17integral_constantIbLb1EES11_EEDaSW_SX_EUlSW_E_NS1_11comp_targetILNS1_3genE8ELNS1_11target_archE1030ELNS1_3gpuE2ELNS1_3repE0EEENS1_30default_config_static_selectorELNS0_4arch9wavefront6targetE1EEEvT1_ ; -- Begin function _ZN7rocprim17ROCPRIM_400000_NS6detail17trampoline_kernelINS0_14default_configENS1_27scan_by_key_config_selectorIisEEZZNS1_16scan_by_key_implILNS1_25lookback_scan_determinismE0ELb1ES3_N6thrust23THRUST_200600_302600_NS6detail15normal_iteratorINS9_10device_ptrIiEEEENSB_INSC_IsEEEESG_sNS9_4plusIvEENS9_8equal_toIvEEsEE10hipError_tPvRmT2_T3_T4_T5_mT6_T7_P12ihipStream_tbENKUlT_T0_E_clISt17integral_constantIbLb1EES11_EEDaSW_SX_EUlSW_E_NS1_11comp_targetILNS1_3genE8ELNS1_11target_archE1030ELNS1_3gpuE2ELNS1_3repE0EEENS1_30default_config_static_selectorELNS0_4arch9wavefront6targetE1EEEvT1_
	.globl	_ZN7rocprim17ROCPRIM_400000_NS6detail17trampoline_kernelINS0_14default_configENS1_27scan_by_key_config_selectorIisEEZZNS1_16scan_by_key_implILNS1_25lookback_scan_determinismE0ELb1ES3_N6thrust23THRUST_200600_302600_NS6detail15normal_iteratorINS9_10device_ptrIiEEEENSB_INSC_IsEEEESG_sNS9_4plusIvEENS9_8equal_toIvEEsEE10hipError_tPvRmT2_T3_T4_T5_mT6_T7_P12ihipStream_tbENKUlT_T0_E_clISt17integral_constantIbLb1EES11_EEDaSW_SX_EUlSW_E_NS1_11comp_targetILNS1_3genE8ELNS1_11target_archE1030ELNS1_3gpuE2ELNS1_3repE0EEENS1_30default_config_static_selectorELNS0_4arch9wavefront6targetE1EEEvT1_
	.p2align	8
	.type	_ZN7rocprim17ROCPRIM_400000_NS6detail17trampoline_kernelINS0_14default_configENS1_27scan_by_key_config_selectorIisEEZZNS1_16scan_by_key_implILNS1_25lookback_scan_determinismE0ELb1ES3_N6thrust23THRUST_200600_302600_NS6detail15normal_iteratorINS9_10device_ptrIiEEEENSB_INSC_IsEEEESG_sNS9_4plusIvEENS9_8equal_toIvEEsEE10hipError_tPvRmT2_T3_T4_T5_mT6_T7_P12ihipStream_tbENKUlT_T0_E_clISt17integral_constantIbLb1EES11_EEDaSW_SX_EUlSW_E_NS1_11comp_targetILNS1_3genE8ELNS1_11target_archE1030ELNS1_3gpuE2ELNS1_3repE0EEENS1_30default_config_static_selectorELNS0_4arch9wavefront6targetE1EEEvT1_,@function
_ZN7rocprim17ROCPRIM_400000_NS6detail17trampoline_kernelINS0_14default_configENS1_27scan_by_key_config_selectorIisEEZZNS1_16scan_by_key_implILNS1_25lookback_scan_determinismE0ELb1ES3_N6thrust23THRUST_200600_302600_NS6detail15normal_iteratorINS9_10device_ptrIiEEEENSB_INSC_IsEEEESG_sNS9_4plusIvEENS9_8equal_toIvEEsEE10hipError_tPvRmT2_T3_T4_T5_mT6_T7_P12ihipStream_tbENKUlT_T0_E_clISt17integral_constantIbLb1EES11_EEDaSW_SX_EUlSW_E_NS1_11comp_targetILNS1_3genE8ELNS1_11target_archE1030ELNS1_3gpuE2ELNS1_3repE0EEENS1_30default_config_static_selectorELNS0_4arch9wavefront6targetE1EEEvT1_: ; @_ZN7rocprim17ROCPRIM_400000_NS6detail17trampoline_kernelINS0_14default_configENS1_27scan_by_key_config_selectorIisEEZZNS1_16scan_by_key_implILNS1_25lookback_scan_determinismE0ELb1ES3_N6thrust23THRUST_200600_302600_NS6detail15normal_iteratorINS9_10device_ptrIiEEEENSB_INSC_IsEEEESG_sNS9_4plusIvEENS9_8equal_toIvEEsEE10hipError_tPvRmT2_T3_T4_T5_mT6_T7_P12ihipStream_tbENKUlT_T0_E_clISt17integral_constantIbLb1EES11_EEDaSW_SX_EUlSW_E_NS1_11comp_targetILNS1_3genE8ELNS1_11target_archE1030ELNS1_3gpuE2ELNS1_3repE0EEENS1_30default_config_static_selectorELNS0_4arch9wavefront6targetE1EEEvT1_
; %bb.0:
	.section	.rodata,"a",@progbits
	.p2align	6, 0x0
	.amdhsa_kernel _ZN7rocprim17ROCPRIM_400000_NS6detail17trampoline_kernelINS0_14default_configENS1_27scan_by_key_config_selectorIisEEZZNS1_16scan_by_key_implILNS1_25lookback_scan_determinismE0ELb1ES3_N6thrust23THRUST_200600_302600_NS6detail15normal_iteratorINS9_10device_ptrIiEEEENSB_INSC_IsEEEESG_sNS9_4plusIvEENS9_8equal_toIvEEsEE10hipError_tPvRmT2_T3_T4_T5_mT6_T7_P12ihipStream_tbENKUlT_T0_E_clISt17integral_constantIbLb1EES11_EEDaSW_SX_EUlSW_E_NS1_11comp_targetILNS1_3genE8ELNS1_11target_archE1030ELNS1_3gpuE2ELNS1_3repE0EEENS1_30default_config_static_selectorELNS0_4arch9wavefront6targetE1EEEvT1_
		.amdhsa_group_segment_fixed_size 0
		.amdhsa_private_segment_fixed_size 0
		.amdhsa_kernarg_size 112
		.amdhsa_user_sgpr_count 2
		.amdhsa_user_sgpr_dispatch_ptr 0
		.amdhsa_user_sgpr_queue_ptr 0
		.amdhsa_user_sgpr_kernarg_segment_ptr 1
		.amdhsa_user_sgpr_dispatch_id 0
		.amdhsa_user_sgpr_kernarg_preload_length 0
		.amdhsa_user_sgpr_kernarg_preload_offset 0
		.amdhsa_user_sgpr_private_segment_size 0
		.amdhsa_uses_dynamic_stack 0
		.amdhsa_enable_private_segment 0
		.amdhsa_system_sgpr_workgroup_id_x 1
		.amdhsa_system_sgpr_workgroup_id_y 0
		.amdhsa_system_sgpr_workgroup_id_z 0
		.amdhsa_system_sgpr_workgroup_info 0
		.amdhsa_system_vgpr_workitem_id 0
		.amdhsa_next_free_vgpr 1
		.amdhsa_next_free_sgpr 0
		.amdhsa_accum_offset 4
		.amdhsa_reserve_vcc 0
		.amdhsa_float_round_mode_32 0
		.amdhsa_float_round_mode_16_64 0
		.amdhsa_float_denorm_mode_32 3
		.amdhsa_float_denorm_mode_16_64 3
		.amdhsa_dx10_clamp 1
		.amdhsa_ieee_mode 1
		.amdhsa_fp16_overflow 0
		.amdhsa_tg_split 0
		.amdhsa_exception_fp_ieee_invalid_op 0
		.amdhsa_exception_fp_denorm_src 0
		.amdhsa_exception_fp_ieee_div_zero 0
		.amdhsa_exception_fp_ieee_overflow 0
		.amdhsa_exception_fp_ieee_underflow 0
		.amdhsa_exception_fp_ieee_inexact 0
		.amdhsa_exception_int_div_zero 0
	.end_amdhsa_kernel
	.section	.text._ZN7rocprim17ROCPRIM_400000_NS6detail17trampoline_kernelINS0_14default_configENS1_27scan_by_key_config_selectorIisEEZZNS1_16scan_by_key_implILNS1_25lookback_scan_determinismE0ELb1ES3_N6thrust23THRUST_200600_302600_NS6detail15normal_iteratorINS9_10device_ptrIiEEEENSB_INSC_IsEEEESG_sNS9_4plusIvEENS9_8equal_toIvEEsEE10hipError_tPvRmT2_T3_T4_T5_mT6_T7_P12ihipStream_tbENKUlT_T0_E_clISt17integral_constantIbLb1EES11_EEDaSW_SX_EUlSW_E_NS1_11comp_targetILNS1_3genE8ELNS1_11target_archE1030ELNS1_3gpuE2ELNS1_3repE0EEENS1_30default_config_static_selectorELNS0_4arch9wavefront6targetE1EEEvT1_,"axG",@progbits,_ZN7rocprim17ROCPRIM_400000_NS6detail17trampoline_kernelINS0_14default_configENS1_27scan_by_key_config_selectorIisEEZZNS1_16scan_by_key_implILNS1_25lookback_scan_determinismE0ELb1ES3_N6thrust23THRUST_200600_302600_NS6detail15normal_iteratorINS9_10device_ptrIiEEEENSB_INSC_IsEEEESG_sNS9_4plusIvEENS9_8equal_toIvEEsEE10hipError_tPvRmT2_T3_T4_T5_mT6_T7_P12ihipStream_tbENKUlT_T0_E_clISt17integral_constantIbLb1EES11_EEDaSW_SX_EUlSW_E_NS1_11comp_targetILNS1_3genE8ELNS1_11target_archE1030ELNS1_3gpuE2ELNS1_3repE0EEENS1_30default_config_static_selectorELNS0_4arch9wavefront6targetE1EEEvT1_,comdat
.Lfunc_end1624:
	.size	_ZN7rocprim17ROCPRIM_400000_NS6detail17trampoline_kernelINS0_14default_configENS1_27scan_by_key_config_selectorIisEEZZNS1_16scan_by_key_implILNS1_25lookback_scan_determinismE0ELb1ES3_N6thrust23THRUST_200600_302600_NS6detail15normal_iteratorINS9_10device_ptrIiEEEENSB_INSC_IsEEEESG_sNS9_4plusIvEENS9_8equal_toIvEEsEE10hipError_tPvRmT2_T3_T4_T5_mT6_T7_P12ihipStream_tbENKUlT_T0_E_clISt17integral_constantIbLb1EES11_EEDaSW_SX_EUlSW_E_NS1_11comp_targetILNS1_3genE8ELNS1_11target_archE1030ELNS1_3gpuE2ELNS1_3repE0EEENS1_30default_config_static_selectorELNS0_4arch9wavefront6targetE1EEEvT1_, .Lfunc_end1624-_ZN7rocprim17ROCPRIM_400000_NS6detail17trampoline_kernelINS0_14default_configENS1_27scan_by_key_config_selectorIisEEZZNS1_16scan_by_key_implILNS1_25lookback_scan_determinismE0ELb1ES3_N6thrust23THRUST_200600_302600_NS6detail15normal_iteratorINS9_10device_ptrIiEEEENSB_INSC_IsEEEESG_sNS9_4plusIvEENS9_8equal_toIvEEsEE10hipError_tPvRmT2_T3_T4_T5_mT6_T7_P12ihipStream_tbENKUlT_T0_E_clISt17integral_constantIbLb1EES11_EEDaSW_SX_EUlSW_E_NS1_11comp_targetILNS1_3genE8ELNS1_11target_archE1030ELNS1_3gpuE2ELNS1_3repE0EEENS1_30default_config_static_selectorELNS0_4arch9wavefront6targetE1EEEvT1_
                                        ; -- End function
	.section	.AMDGPU.csdata,"",@progbits
; Kernel info:
; codeLenInByte = 0
; NumSgprs: 6
; NumVgprs: 0
; NumAgprs: 0
; TotalNumVgprs: 0
; ScratchSize: 0
; MemoryBound: 0
; FloatMode: 240
; IeeeMode: 1
; LDSByteSize: 0 bytes/workgroup (compile time only)
; SGPRBlocks: 0
; VGPRBlocks: 0
; NumSGPRsForWavesPerEU: 6
; NumVGPRsForWavesPerEU: 1
; AccumOffset: 4
; Occupancy: 8
; WaveLimiterHint : 0
; COMPUTE_PGM_RSRC2:SCRATCH_EN: 0
; COMPUTE_PGM_RSRC2:USER_SGPR: 2
; COMPUTE_PGM_RSRC2:TRAP_HANDLER: 0
; COMPUTE_PGM_RSRC2:TGID_X_EN: 1
; COMPUTE_PGM_RSRC2:TGID_Y_EN: 0
; COMPUTE_PGM_RSRC2:TGID_Z_EN: 0
; COMPUTE_PGM_RSRC2:TIDIG_COMP_CNT: 0
; COMPUTE_PGM_RSRC3_GFX90A:ACCUM_OFFSET: 0
; COMPUTE_PGM_RSRC3_GFX90A:TG_SPLIT: 0
	.section	.text._ZN7rocprim17ROCPRIM_400000_NS6detail17trampoline_kernelINS0_14default_configENS1_27scan_by_key_config_selectorIisEEZZNS1_16scan_by_key_implILNS1_25lookback_scan_determinismE0ELb1ES3_N6thrust23THRUST_200600_302600_NS6detail15normal_iteratorINS9_10device_ptrIiEEEENSB_INSC_IsEEEESG_sNS9_4plusIvEENS9_8equal_toIvEEsEE10hipError_tPvRmT2_T3_T4_T5_mT6_T7_P12ihipStream_tbENKUlT_T0_E_clISt17integral_constantIbLb1EES10_IbLb0EEEEDaSW_SX_EUlSW_E_NS1_11comp_targetILNS1_3genE0ELNS1_11target_archE4294967295ELNS1_3gpuE0ELNS1_3repE0EEENS1_30default_config_static_selectorELNS0_4arch9wavefront6targetE1EEEvT1_,"axG",@progbits,_ZN7rocprim17ROCPRIM_400000_NS6detail17trampoline_kernelINS0_14default_configENS1_27scan_by_key_config_selectorIisEEZZNS1_16scan_by_key_implILNS1_25lookback_scan_determinismE0ELb1ES3_N6thrust23THRUST_200600_302600_NS6detail15normal_iteratorINS9_10device_ptrIiEEEENSB_INSC_IsEEEESG_sNS9_4plusIvEENS9_8equal_toIvEEsEE10hipError_tPvRmT2_T3_T4_T5_mT6_T7_P12ihipStream_tbENKUlT_T0_E_clISt17integral_constantIbLb1EES10_IbLb0EEEEDaSW_SX_EUlSW_E_NS1_11comp_targetILNS1_3genE0ELNS1_11target_archE4294967295ELNS1_3gpuE0ELNS1_3repE0EEENS1_30default_config_static_selectorELNS0_4arch9wavefront6targetE1EEEvT1_,comdat
	.protected	_ZN7rocprim17ROCPRIM_400000_NS6detail17trampoline_kernelINS0_14default_configENS1_27scan_by_key_config_selectorIisEEZZNS1_16scan_by_key_implILNS1_25lookback_scan_determinismE0ELb1ES3_N6thrust23THRUST_200600_302600_NS6detail15normal_iteratorINS9_10device_ptrIiEEEENSB_INSC_IsEEEESG_sNS9_4plusIvEENS9_8equal_toIvEEsEE10hipError_tPvRmT2_T3_T4_T5_mT6_T7_P12ihipStream_tbENKUlT_T0_E_clISt17integral_constantIbLb1EES10_IbLb0EEEEDaSW_SX_EUlSW_E_NS1_11comp_targetILNS1_3genE0ELNS1_11target_archE4294967295ELNS1_3gpuE0ELNS1_3repE0EEENS1_30default_config_static_selectorELNS0_4arch9wavefront6targetE1EEEvT1_ ; -- Begin function _ZN7rocprim17ROCPRIM_400000_NS6detail17trampoline_kernelINS0_14default_configENS1_27scan_by_key_config_selectorIisEEZZNS1_16scan_by_key_implILNS1_25lookback_scan_determinismE0ELb1ES3_N6thrust23THRUST_200600_302600_NS6detail15normal_iteratorINS9_10device_ptrIiEEEENSB_INSC_IsEEEESG_sNS9_4plusIvEENS9_8equal_toIvEEsEE10hipError_tPvRmT2_T3_T4_T5_mT6_T7_P12ihipStream_tbENKUlT_T0_E_clISt17integral_constantIbLb1EES10_IbLb0EEEEDaSW_SX_EUlSW_E_NS1_11comp_targetILNS1_3genE0ELNS1_11target_archE4294967295ELNS1_3gpuE0ELNS1_3repE0EEENS1_30default_config_static_selectorELNS0_4arch9wavefront6targetE1EEEvT1_
	.globl	_ZN7rocprim17ROCPRIM_400000_NS6detail17trampoline_kernelINS0_14default_configENS1_27scan_by_key_config_selectorIisEEZZNS1_16scan_by_key_implILNS1_25lookback_scan_determinismE0ELb1ES3_N6thrust23THRUST_200600_302600_NS6detail15normal_iteratorINS9_10device_ptrIiEEEENSB_INSC_IsEEEESG_sNS9_4plusIvEENS9_8equal_toIvEEsEE10hipError_tPvRmT2_T3_T4_T5_mT6_T7_P12ihipStream_tbENKUlT_T0_E_clISt17integral_constantIbLb1EES10_IbLb0EEEEDaSW_SX_EUlSW_E_NS1_11comp_targetILNS1_3genE0ELNS1_11target_archE4294967295ELNS1_3gpuE0ELNS1_3repE0EEENS1_30default_config_static_selectorELNS0_4arch9wavefront6targetE1EEEvT1_
	.p2align	8
	.type	_ZN7rocprim17ROCPRIM_400000_NS6detail17trampoline_kernelINS0_14default_configENS1_27scan_by_key_config_selectorIisEEZZNS1_16scan_by_key_implILNS1_25lookback_scan_determinismE0ELb1ES3_N6thrust23THRUST_200600_302600_NS6detail15normal_iteratorINS9_10device_ptrIiEEEENSB_INSC_IsEEEESG_sNS9_4plusIvEENS9_8equal_toIvEEsEE10hipError_tPvRmT2_T3_T4_T5_mT6_T7_P12ihipStream_tbENKUlT_T0_E_clISt17integral_constantIbLb1EES10_IbLb0EEEEDaSW_SX_EUlSW_E_NS1_11comp_targetILNS1_3genE0ELNS1_11target_archE4294967295ELNS1_3gpuE0ELNS1_3repE0EEENS1_30default_config_static_selectorELNS0_4arch9wavefront6targetE1EEEvT1_,@function
_ZN7rocprim17ROCPRIM_400000_NS6detail17trampoline_kernelINS0_14default_configENS1_27scan_by_key_config_selectorIisEEZZNS1_16scan_by_key_implILNS1_25lookback_scan_determinismE0ELb1ES3_N6thrust23THRUST_200600_302600_NS6detail15normal_iteratorINS9_10device_ptrIiEEEENSB_INSC_IsEEEESG_sNS9_4plusIvEENS9_8equal_toIvEEsEE10hipError_tPvRmT2_T3_T4_T5_mT6_T7_P12ihipStream_tbENKUlT_T0_E_clISt17integral_constantIbLb1EES10_IbLb0EEEEDaSW_SX_EUlSW_E_NS1_11comp_targetILNS1_3genE0ELNS1_11target_archE4294967295ELNS1_3gpuE0ELNS1_3repE0EEENS1_30default_config_static_selectorELNS0_4arch9wavefront6targetE1EEEvT1_: ; @_ZN7rocprim17ROCPRIM_400000_NS6detail17trampoline_kernelINS0_14default_configENS1_27scan_by_key_config_selectorIisEEZZNS1_16scan_by_key_implILNS1_25lookback_scan_determinismE0ELb1ES3_N6thrust23THRUST_200600_302600_NS6detail15normal_iteratorINS9_10device_ptrIiEEEENSB_INSC_IsEEEESG_sNS9_4plusIvEENS9_8equal_toIvEEsEE10hipError_tPvRmT2_T3_T4_T5_mT6_T7_P12ihipStream_tbENKUlT_T0_E_clISt17integral_constantIbLb1EES10_IbLb0EEEEDaSW_SX_EUlSW_E_NS1_11comp_targetILNS1_3genE0ELNS1_11target_archE4294967295ELNS1_3gpuE0ELNS1_3repE0EEENS1_30default_config_static_selectorELNS0_4arch9wavefront6targetE1EEEvT1_
; %bb.0:
	.section	.rodata,"a",@progbits
	.p2align	6, 0x0
	.amdhsa_kernel _ZN7rocprim17ROCPRIM_400000_NS6detail17trampoline_kernelINS0_14default_configENS1_27scan_by_key_config_selectorIisEEZZNS1_16scan_by_key_implILNS1_25lookback_scan_determinismE0ELb1ES3_N6thrust23THRUST_200600_302600_NS6detail15normal_iteratorINS9_10device_ptrIiEEEENSB_INSC_IsEEEESG_sNS9_4plusIvEENS9_8equal_toIvEEsEE10hipError_tPvRmT2_T3_T4_T5_mT6_T7_P12ihipStream_tbENKUlT_T0_E_clISt17integral_constantIbLb1EES10_IbLb0EEEEDaSW_SX_EUlSW_E_NS1_11comp_targetILNS1_3genE0ELNS1_11target_archE4294967295ELNS1_3gpuE0ELNS1_3repE0EEENS1_30default_config_static_selectorELNS0_4arch9wavefront6targetE1EEEvT1_
		.amdhsa_group_segment_fixed_size 0
		.amdhsa_private_segment_fixed_size 0
		.amdhsa_kernarg_size 112
		.amdhsa_user_sgpr_count 2
		.amdhsa_user_sgpr_dispatch_ptr 0
		.amdhsa_user_sgpr_queue_ptr 0
		.amdhsa_user_sgpr_kernarg_segment_ptr 1
		.amdhsa_user_sgpr_dispatch_id 0
		.amdhsa_user_sgpr_kernarg_preload_length 0
		.amdhsa_user_sgpr_kernarg_preload_offset 0
		.amdhsa_user_sgpr_private_segment_size 0
		.amdhsa_uses_dynamic_stack 0
		.amdhsa_enable_private_segment 0
		.amdhsa_system_sgpr_workgroup_id_x 1
		.amdhsa_system_sgpr_workgroup_id_y 0
		.amdhsa_system_sgpr_workgroup_id_z 0
		.amdhsa_system_sgpr_workgroup_info 0
		.amdhsa_system_vgpr_workitem_id 0
		.amdhsa_next_free_vgpr 1
		.amdhsa_next_free_sgpr 0
		.amdhsa_accum_offset 4
		.amdhsa_reserve_vcc 0
		.amdhsa_float_round_mode_32 0
		.amdhsa_float_round_mode_16_64 0
		.amdhsa_float_denorm_mode_32 3
		.amdhsa_float_denorm_mode_16_64 3
		.amdhsa_dx10_clamp 1
		.amdhsa_ieee_mode 1
		.amdhsa_fp16_overflow 0
		.amdhsa_tg_split 0
		.amdhsa_exception_fp_ieee_invalid_op 0
		.amdhsa_exception_fp_denorm_src 0
		.amdhsa_exception_fp_ieee_div_zero 0
		.amdhsa_exception_fp_ieee_overflow 0
		.amdhsa_exception_fp_ieee_underflow 0
		.amdhsa_exception_fp_ieee_inexact 0
		.amdhsa_exception_int_div_zero 0
	.end_amdhsa_kernel
	.section	.text._ZN7rocprim17ROCPRIM_400000_NS6detail17trampoline_kernelINS0_14default_configENS1_27scan_by_key_config_selectorIisEEZZNS1_16scan_by_key_implILNS1_25lookback_scan_determinismE0ELb1ES3_N6thrust23THRUST_200600_302600_NS6detail15normal_iteratorINS9_10device_ptrIiEEEENSB_INSC_IsEEEESG_sNS9_4plusIvEENS9_8equal_toIvEEsEE10hipError_tPvRmT2_T3_T4_T5_mT6_T7_P12ihipStream_tbENKUlT_T0_E_clISt17integral_constantIbLb1EES10_IbLb0EEEEDaSW_SX_EUlSW_E_NS1_11comp_targetILNS1_3genE0ELNS1_11target_archE4294967295ELNS1_3gpuE0ELNS1_3repE0EEENS1_30default_config_static_selectorELNS0_4arch9wavefront6targetE1EEEvT1_,"axG",@progbits,_ZN7rocprim17ROCPRIM_400000_NS6detail17trampoline_kernelINS0_14default_configENS1_27scan_by_key_config_selectorIisEEZZNS1_16scan_by_key_implILNS1_25lookback_scan_determinismE0ELb1ES3_N6thrust23THRUST_200600_302600_NS6detail15normal_iteratorINS9_10device_ptrIiEEEENSB_INSC_IsEEEESG_sNS9_4plusIvEENS9_8equal_toIvEEsEE10hipError_tPvRmT2_T3_T4_T5_mT6_T7_P12ihipStream_tbENKUlT_T0_E_clISt17integral_constantIbLb1EES10_IbLb0EEEEDaSW_SX_EUlSW_E_NS1_11comp_targetILNS1_3genE0ELNS1_11target_archE4294967295ELNS1_3gpuE0ELNS1_3repE0EEENS1_30default_config_static_selectorELNS0_4arch9wavefront6targetE1EEEvT1_,comdat
.Lfunc_end1625:
	.size	_ZN7rocprim17ROCPRIM_400000_NS6detail17trampoline_kernelINS0_14default_configENS1_27scan_by_key_config_selectorIisEEZZNS1_16scan_by_key_implILNS1_25lookback_scan_determinismE0ELb1ES3_N6thrust23THRUST_200600_302600_NS6detail15normal_iteratorINS9_10device_ptrIiEEEENSB_INSC_IsEEEESG_sNS9_4plusIvEENS9_8equal_toIvEEsEE10hipError_tPvRmT2_T3_T4_T5_mT6_T7_P12ihipStream_tbENKUlT_T0_E_clISt17integral_constantIbLb1EES10_IbLb0EEEEDaSW_SX_EUlSW_E_NS1_11comp_targetILNS1_3genE0ELNS1_11target_archE4294967295ELNS1_3gpuE0ELNS1_3repE0EEENS1_30default_config_static_selectorELNS0_4arch9wavefront6targetE1EEEvT1_, .Lfunc_end1625-_ZN7rocprim17ROCPRIM_400000_NS6detail17trampoline_kernelINS0_14default_configENS1_27scan_by_key_config_selectorIisEEZZNS1_16scan_by_key_implILNS1_25lookback_scan_determinismE0ELb1ES3_N6thrust23THRUST_200600_302600_NS6detail15normal_iteratorINS9_10device_ptrIiEEEENSB_INSC_IsEEEESG_sNS9_4plusIvEENS9_8equal_toIvEEsEE10hipError_tPvRmT2_T3_T4_T5_mT6_T7_P12ihipStream_tbENKUlT_T0_E_clISt17integral_constantIbLb1EES10_IbLb0EEEEDaSW_SX_EUlSW_E_NS1_11comp_targetILNS1_3genE0ELNS1_11target_archE4294967295ELNS1_3gpuE0ELNS1_3repE0EEENS1_30default_config_static_selectorELNS0_4arch9wavefront6targetE1EEEvT1_
                                        ; -- End function
	.section	.AMDGPU.csdata,"",@progbits
; Kernel info:
; codeLenInByte = 0
; NumSgprs: 6
; NumVgprs: 0
; NumAgprs: 0
; TotalNumVgprs: 0
; ScratchSize: 0
; MemoryBound: 0
; FloatMode: 240
; IeeeMode: 1
; LDSByteSize: 0 bytes/workgroup (compile time only)
; SGPRBlocks: 0
; VGPRBlocks: 0
; NumSGPRsForWavesPerEU: 6
; NumVGPRsForWavesPerEU: 1
; AccumOffset: 4
; Occupancy: 8
; WaveLimiterHint : 0
; COMPUTE_PGM_RSRC2:SCRATCH_EN: 0
; COMPUTE_PGM_RSRC2:USER_SGPR: 2
; COMPUTE_PGM_RSRC2:TRAP_HANDLER: 0
; COMPUTE_PGM_RSRC2:TGID_X_EN: 1
; COMPUTE_PGM_RSRC2:TGID_Y_EN: 0
; COMPUTE_PGM_RSRC2:TGID_Z_EN: 0
; COMPUTE_PGM_RSRC2:TIDIG_COMP_CNT: 0
; COMPUTE_PGM_RSRC3_GFX90A:ACCUM_OFFSET: 0
; COMPUTE_PGM_RSRC3_GFX90A:TG_SPLIT: 0
	.section	.text._ZN7rocprim17ROCPRIM_400000_NS6detail17trampoline_kernelINS0_14default_configENS1_27scan_by_key_config_selectorIisEEZZNS1_16scan_by_key_implILNS1_25lookback_scan_determinismE0ELb1ES3_N6thrust23THRUST_200600_302600_NS6detail15normal_iteratorINS9_10device_ptrIiEEEENSB_INSC_IsEEEESG_sNS9_4plusIvEENS9_8equal_toIvEEsEE10hipError_tPvRmT2_T3_T4_T5_mT6_T7_P12ihipStream_tbENKUlT_T0_E_clISt17integral_constantIbLb1EES10_IbLb0EEEEDaSW_SX_EUlSW_E_NS1_11comp_targetILNS1_3genE10ELNS1_11target_archE1201ELNS1_3gpuE5ELNS1_3repE0EEENS1_30default_config_static_selectorELNS0_4arch9wavefront6targetE1EEEvT1_,"axG",@progbits,_ZN7rocprim17ROCPRIM_400000_NS6detail17trampoline_kernelINS0_14default_configENS1_27scan_by_key_config_selectorIisEEZZNS1_16scan_by_key_implILNS1_25lookback_scan_determinismE0ELb1ES3_N6thrust23THRUST_200600_302600_NS6detail15normal_iteratorINS9_10device_ptrIiEEEENSB_INSC_IsEEEESG_sNS9_4plusIvEENS9_8equal_toIvEEsEE10hipError_tPvRmT2_T3_T4_T5_mT6_T7_P12ihipStream_tbENKUlT_T0_E_clISt17integral_constantIbLb1EES10_IbLb0EEEEDaSW_SX_EUlSW_E_NS1_11comp_targetILNS1_3genE10ELNS1_11target_archE1201ELNS1_3gpuE5ELNS1_3repE0EEENS1_30default_config_static_selectorELNS0_4arch9wavefront6targetE1EEEvT1_,comdat
	.protected	_ZN7rocprim17ROCPRIM_400000_NS6detail17trampoline_kernelINS0_14default_configENS1_27scan_by_key_config_selectorIisEEZZNS1_16scan_by_key_implILNS1_25lookback_scan_determinismE0ELb1ES3_N6thrust23THRUST_200600_302600_NS6detail15normal_iteratorINS9_10device_ptrIiEEEENSB_INSC_IsEEEESG_sNS9_4plusIvEENS9_8equal_toIvEEsEE10hipError_tPvRmT2_T3_T4_T5_mT6_T7_P12ihipStream_tbENKUlT_T0_E_clISt17integral_constantIbLb1EES10_IbLb0EEEEDaSW_SX_EUlSW_E_NS1_11comp_targetILNS1_3genE10ELNS1_11target_archE1201ELNS1_3gpuE5ELNS1_3repE0EEENS1_30default_config_static_selectorELNS0_4arch9wavefront6targetE1EEEvT1_ ; -- Begin function _ZN7rocprim17ROCPRIM_400000_NS6detail17trampoline_kernelINS0_14default_configENS1_27scan_by_key_config_selectorIisEEZZNS1_16scan_by_key_implILNS1_25lookback_scan_determinismE0ELb1ES3_N6thrust23THRUST_200600_302600_NS6detail15normal_iteratorINS9_10device_ptrIiEEEENSB_INSC_IsEEEESG_sNS9_4plusIvEENS9_8equal_toIvEEsEE10hipError_tPvRmT2_T3_T4_T5_mT6_T7_P12ihipStream_tbENKUlT_T0_E_clISt17integral_constantIbLb1EES10_IbLb0EEEEDaSW_SX_EUlSW_E_NS1_11comp_targetILNS1_3genE10ELNS1_11target_archE1201ELNS1_3gpuE5ELNS1_3repE0EEENS1_30default_config_static_selectorELNS0_4arch9wavefront6targetE1EEEvT1_
	.globl	_ZN7rocprim17ROCPRIM_400000_NS6detail17trampoline_kernelINS0_14default_configENS1_27scan_by_key_config_selectorIisEEZZNS1_16scan_by_key_implILNS1_25lookback_scan_determinismE0ELb1ES3_N6thrust23THRUST_200600_302600_NS6detail15normal_iteratorINS9_10device_ptrIiEEEENSB_INSC_IsEEEESG_sNS9_4plusIvEENS9_8equal_toIvEEsEE10hipError_tPvRmT2_T3_T4_T5_mT6_T7_P12ihipStream_tbENKUlT_T0_E_clISt17integral_constantIbLb1EES10_IbLb0EEEEDaSW_SX_EUlSW_E_NS1_11comp_targetILNS1_3genE10ELNS1_11target_archE1201ELNS1_3gpuE5ELNS1_3repE0EEENS1_30default_config_static_selectorELNS0_4arch9wavefront6targetE1EEEvT1_
	.p2align	8
	.type	_ZN7rocprim17ROCPRIM_400000_NS6detail17trampoline_kernelINS0_14default_configENS1_27scan_by_key_config_selectorIisEEZZNS1_16scan_by_key_implILNS1_25lookback_scan_determinismE0ELb1ES3_N6thrust23THRUST_200600_302600_NS6detail15normal_iteratorINS9_10device_ptrIiEEEENSB_INSC_IsEEEESG_sNS9_4plusIvEENS9_8equal_toIvEEsEE10hipError_tPvRmT2_T3_T4_T5_mT6_T7_P12ihipStream_tbENKUlT_T0_E_clISt17integral_constantIbLb1EES10_IbLb0EEEEDaSW_SX_EUlSW_E_NS1_11comp_targetILNS1_3genE10ELNS1_11target_archE1201ELNS1_3gpuE5ELNS1_3repE0EEENS1_30default_config_static_selectorELNS0_4arch9wavefront6targetE1EEEvT1_,@function
_ZN7rocprim17ROCPRIM_400000_NS6detail17trampoline_kernelINS0_14default_configENS1_27scan_by_key_config_selectorIisEEZZNS1_16scan_by_key_implILNS1_25lookback_scan_determinismE0ELb1ES3_N6thrust23THRUST_200600_302600_NS6detail15normal_iteratorINS9_10device_ptrIiEEEENSB_INSC_IsEEEESG_sNS9_4plusIvEENS9_8equal_toIvEEsEE10hipError_tPvRmT2_T3_T4_T5_mT6_T7_P12ihipStream_tbENKUlT_T0_E_clISt17integral_constantIbLb1EES10_IbLb0EEEEDaSW_SX_EUlSW_E_NS1_11comp_targetILNS1_3genE10ELNS1_11target_archE1201ELNS1_3gpuE5ELNS1_3repE0EEENS1_30default_config_static_selectorELNS0_4arch9wavefront6targetE1EEEvT1_: ; @_ZN7rocprim17ROCPRIM_400000_NS6detail17trampoline_kernelINS0_14default_configENS1_27scan_by_key_config_selectorIisEEZZNS1_16scan_by_key_implILNS1_25lookback_scan_determinismE0ELb1ES3_N6thrust23THRUST_200600_302600_NS6detail15normal_iteratorINS9_10device_ptrIiEEEENSB_INSC_IsEEEESG_sNS9_4plusIvEENS9_8equal_toIvEEsEE10hipError_tPvRmT2_T3_T4_T5_mT6_T7_P12ihipStream_tbENKUlT_T0_E_clISt17integral_constantIbLb1EES10_IbLb0EEEEDaSW_SX_EUlSW_E_NS1_11comp_targetILNS1_3genE10ELNS1_11target_archE1201ELNS1_3gpuE5ELNS1_3repE0EEENS1_30default_config_static_selectorELNS0_4arch9wavefront6targetE1EEEvT1_
; %bb.0:
	.section	.rodata,"a",@progbits
	.p2align	6, 0x0
	.amdhsa_kernel _ZN7rocprim17ROCPRIM_400000_NS6detail17trampoline_kernelINS0_14default_configENS1_27scan_by_key_config_selectorIisEEZZNS1_16scan_by_key_implILNS1_25lookback_scan_determinismE0ELb1ES3_N6thrust23THRUST_200600_302600_NS6detail15normal_iteratorINS9_10device_ptrIiEEEENSB_INSC_IsEEEESG_sNS9_4plusIvEENS9_8equal_toIvEEsEE10hipError_tPvRmT2_T3_T4_T5_mT6_T7_P12ihipStream_tbENKUlT_T0_E_clISt17integral_constantIbLb1EES10_IbLb0EEEEDaSW_SX_EUlSW_E_NS1_11comp_targetILNS1_3genE10ELNS1_11target_archE1201ELNS1_3gpuE5ELNS1_3repE0EEENS1_30default_config_static_selectorELNS0_4arch9wavefront6targetE1EEEvT1_
		.amdhsa_group_segment_fixed_size 0
		.amdhsa_private_segment_fixed_size 0
		.amdhsa_kernarg_size 112
		.amdhsa_user_sgpr_count 2
		.amdhsa_user_sgpr_dispatch_ptr 0
		.amdhsa_user_sgpr_queue_ptr 0
		.amdhsa_user_sgpr_kernarg_segment_ptr 1
		.amdhsa_user_sgpr_dispatch_id 0
		.amdhsa_user_sgpr_kernarg_preload_length 0
		.amdhsa_user_sgpr_kernarg_preload_offset 0
		.amdhsa_user_sgpr_private_segment_size 0
		.amdhsa_uses_dynamic_stack 0
		.amdhsa_enable_private_segment 0
		.amdhsa_system_sgpr_workgroup_id_x 1
		.amdhsa_system_sgpr_workgroup_id_y 0
		.amdhsa_system_sgpr_workgroup_id_z 0
		.amdhsa_system_sgpr_workgroup_info 0
		.amdhsa_system_vgpr_workitem_id 0
		.amdhsa_next_free_vgpr 1
		.amdhsa_next_free_sgpr 0
		.amdhsa_accum_offset 4
		.amdhsa_reserve_vcc 0
		.amdhsa_float_round_mode_32 0
		.amdhsa_float_round_mode_16_64 0
		.amdhsa_float_denorm_mode_32 3
		.amdhsa_float_denorm_mode_16_64 3
		.amdhsa_dx10_clamp 1
		.amdhsa_ieee_mode 1
		.amdhsa_fp16_overflow 0
		.amdhsa_tg_split 0
		.amdhsa_exception_fp_ieee_invalid_op 0
		.amdhsa_exception_fp_denorm_src 0
		.amdhsa_exception_fp_ieee_div_zero 0
		.amdhsa_exception_fp_ieee_overflow 0
		.amdhsa_exception_fp_ieee_underflow 0
		.amdhsa_exception_fp_ieee_inexact 0
		.amdhsa_exception_int_div_zero 0
	.end_amdhsa_kernel
	.section	.text._ZN7rocprim17ROCPRIM_400000_NS6detail17trampoline_kernelINS0_14default_configENS1_27scan_by_key_config_selectorIisEEZZNS1_16scan_by_key_implILNS1_25lookback_scan_determinismE0ELb1ES3_N6thrust23THRUST_200600_302600_NS6detail15normal_iteratorINS9_10device_ptrIiEEEENSB_INSC_IsEEEESG_sNS9_4plusIvEENS9_8equal_toIvEEsEE10hipError_tPvRmT2_T3_T4_T5_mT6_T7_P12ihipStream_tbENKUlT_T0_E_clISt17integral_constantIbLb1EES10_IbLb0EEEEDaSW_SX_EUlSW_E_NS1_11comp_targetILNS1_3genE10ELNS1_11target_archE1201ELNS1_3gpuE5ELNS1_3repE0EEENS1_30default_config_static_selectorELNS0_4arch9wavefront6targetE1EEEvT1_,"axG",@progbits,_ZN7rocprim17ROCPRIM_400000_NS6detail17trampoline_kernelINS0_14default_configENS1_27scan_by_key_config_selectorIisEEZZNS1_16scan_by_key_implILNS1_25lookback_scan_determinismE0ELb1ES3_N6thrust23THRUST_200600_302600_NS6detail15normal_iteratorINS9_10device_ptrIiEEEENSB_INSC_IsEEEESG_sNS9_4plusIvEENS9_8equal_toIvEEsEE10hipError_tPvRmT2_T3_T4_T5_mT6_T7_P12ihipStream_tbENKUlT_T0_E_clISt17integral_constantIbLb1EES10_IbLb0EEEEDaSW_SX_EUlSW_E_NS1_11comp_targetILNS1_3genE10ELNS1_11target_archE1201ELNS1_3gpuE5ELNS1_3repE0EEENS1_30default_config_static_selectorELNS0_4arch9wavefront6targetE1EEEvT1_,comdat
.Lfunc_end1626:
	.size	_ZN7rocprim17ROCPRIM_400000_NS6detail17trampoline_kernelINS0_14default_configENS1_27scan_by_key_config_selectorIisEEZZNS1_16scan_by_key_implILNS1_25lookback_scan_determinismE0ELb1ES3_N6thrust23THRUST_200600_302600_NS6detail15normal_iteratorINS9_10device_ptrIiEEEENSB_INSC_IsEEEESG_sNS9_4plusIvEENS9_8equal_toIvEEsEE10hipError_tPvRmT2_T3_T4_T5_mT6_T7_P12ihipStream_tbENKUlT_T0_E_clISt17integral_constantIbLb1EES10_IbLb0EEEEDaSW_SX_EUlSW_E_NS1_11comp_targetILNS1_3genE10ELNS1_11target_archE1201ELNS1_3gpuE5ELNS1_3repE0EEENS1_30default_config_static_selectorELNS0_4arch9wavefront6targetE1EEEvT1_, .Lfunc_end1626-_ZN7rocprim17ROCPRIM_400000_NS6detail17trampoline_kernelINS0_14default_configENS1_27scan_by_key_config_selectorIisEEZZNS1_16scan_by_key_implILNS1_25lookback_scan_determinismE0ELb1ES3_N6thrust23THRUST_200600_302600_NS6detail15normal_iteratorINS9_10device_ptrIiEEEENSB_INSC_IsEEEESG_sNS9_4plusIvEENS9_8equal_toIvEEsEE10hipError_tPvRmT2_T3_T4_T5_mT6_T7_P12ihipStream_tbENKUlT_T0_E_clISt17integral_constantIbLb1EES10_IbLb0EEEEDaSW_SX_EUlSW_E_NS1_11comp_targetILNS1_3genE10ELNS1_11target_archE1201ELNS1_3gpuE5ELNS1_3repE0EEENS1_30default_config_static_selectorELNS0_4arch9wavefront6targetE1EEEvT1_
                                        ; -- End function
	.section	.AMDGPU.csdata,"",@progbits
; Kernel info:
; codeLenInByte = 0
; NumSgprs: 6
; NumVgprs: 0
; NumAgprs: 0
; TotalNumVgprs: 0
; ScratchSize: 0
; MemoryBound: 0
; FloatMode: 240
; IeeeMode: 1
; LDSByteSize: 0 bytes/workgroup (compile time only)
; SGPRBlocks: 0
; VGPRBlocks: 0
; NumSGPRsForWavesPerEU: 6
; NumVGPRsForWavesPerEU: 1
; AccumOffset: 4
; Occupancy: 8
; WaveLimiterHint : 0
; COMPUTE_PGM_RSRC2:SCRATCH_EN: 0
; COMPUTE_PGM_RSRC2:USER_SGPR: 2
; COMPUTE_PGM_RSRC2:TRAP_HANDLER: 0
; COMPUTE_PGM_RSRC2:TGID_X_EN: 1
; COMPUTE_PGM_RSRC2:TGID_Y_EN: 0
; COMPUTE_PGM_RSRC2:TGID_Z_EN: 0
; COMPUTE_PGM_RSRC2:TIDIG_COMP_CNT: 0
; COMPUTE_PGM_RSRC3_GFX90A:ACCUM_OFFSET: 0
; COMPUTE_PGM_RSRC3_GFX90A:TG_SPLIT: 0
	.section	.text._ZN7rocprim17ROCPRIM_400000_NS6detail17trampoline_kernelINS0_14default_configENS1_27scan_by_key_config_selectorIisEEZZNS1_16scan_by_key_implILNS1_25lookback_scan_determinismE0ELb1ES3_N6thrust23THRUST_200600_302600_NS6detail15normal_iteratorINS9_10device_ptrIiEEEENSB_INSC_IsEEEESG_sNS9_4plusIvEENS9_8equal_toIvEEsEE10hipError_tPvRmT2_T3_T4_T5_mT6_T7_P12ihipStream_tbENKUlT_T0_E_clISt17integral_constantIbLb1EES10_IbLb0EEEEDaSW_SX_EUlSW_E_NS1_11comp_targetILNS1_3genE5ELNS1_11target_archE942ELNS1_3gpuE9ELNS1_3repE0EEENS1_30default_config_static_selectorELNS0_4arch9wavefront6targetE1EEEvT1_,"axG",@progbits,_ZN7rocprim17ROCPRIM_400000_NS6detail17trampoline_kernelINS0_14default_configENS1_27scan_by_key_config_selectorIisEEZZNS1_16scan_by_key_implILNS1_25lookback_scan_determinismE0ELb1ES3_N6thrust23THRUST_200600_302600_NS6detail15normal_iteratorINS9_10device_ptrIiEEEENSB_INSC_IsEEEESG_sNS9_4plusIvEENS9_8equal_toIvEEsEE10hipError_tPvRmT2_T3_T4_T5_mT6_T7_P12ihipStream_tbENKUlT_T0_E_clISt17integral_constantIbLb1EES10_IbLb0EEEEDaSW_SX_EUlSW_E_NS1_11comp_targetILNS1_3genE5ELNS1_11target_archE942ELNS1_3gpuE9ELNS1_3repE0EEENS1_30default_config_static_selectorELNS0_4arch9wavefront6targetE1EEEvT1_,comdat
	.protected	_ZN7rocprim17ROCPRIM_400000_NS6detail17trampoline_kernelINS0_14default_configENS1_27scan_by_key_config_selectorIisEEZZNS1_16scan_by_key_implILNS1_25lookback_scan_determinismE0ELb1ES3_N6thrust23THRUST_200600_302600_NS6detail15normal_iteratorINS9_10device_ptrIiEEEENSB_INSC_IsEEEESG_sNS9_4plusIvEENS9_8equal_toIvEEsEE10hipError_tPvRmT2_T3_T4_T5_mT6_T7_P12ihipStream_tbENKUlT_T0_E_clISt17integral_constantIbLb1EES10_IbLb0EEEEDaSW_SX_EUlSW_E_NS1_11comp_targetILNS1_3genE5ELNS1_11target_archE942ELNS1_3gpuE9ELNS1_3repE0EEENS1_30default_config_static_selectorELNS0_4arch9wavefront6targetE1EEEvT1_ ; -- Begin function _ZN7rocprim17ROCPRIM_400000_NS6detail17trampoline_kernelINS0_14default_configENS1_27scan_by_key_config_selectorIisEEZZNS1_16scan_by_key_implILNS1_25lookback_scan_determinismE0ELb1ES3_N6thrust23THRUST_200600_302600_NS6detail15normal_iteratorINS9_10device_ptrIiEEEENSB_INSC_IsEEEESG_sNS9_4plusIvEENS9_8equal_toIvEEsEE10hipError_tPvRmT2_T3_T4_T5_mT6_T7_P12ihipStream_tbENKUlT_T0_E_clISt17integral_constantIbLb1EES10_IbLb0EEEEDaSW_SX_EUlSW_E_NS1_11comp_targetILNS1_3genE5ELNS1_11target_archE942ELNS1_3gpuE9ELNS1_3repE0EEENS1_30default_config_static_selectorELNS0_4arch9wavefront6targetE1EEEvT1_
	.globl	_ZN7rocprim17ROCPRIM_400000_NS6detail17trampoline_kernelINS0_14default_configENS1_27scan_by_key_config_selectorIisEEZZNS1_16scan_by_key_implILNS1_25lookback_scan_determinismE0ELb1ES3_N6thrust23THRUST_200600_302600_NS6detail15normal_iteratorINS9_10device_ptrIiEEEENSB_INSC_IsEEEESG_sNS9_4plusIvEENS9_8equal_toIvEEsEE10hipError_tPvRmT2_T3_T4_T5_mT6_T7_P12ihipStream_tbENKUlT_T0_E_clISt17integral_constantIbLb1EES10_IbLb0EEEEDaSW_SX_EUlSW_E_NS1_11comp_targetILNS1_3genE5ELNS1_11target_archE942ELNS1_3gpuE9ELNS1_3repE0EEENS1_30default_config_static_selectorELNS0_4arch9wavefront6targetE1EEEvT1_
	.p2align	8
	.type	_ZN7rocprim17ROCPRIM_400000_NS6detail17trampoline_kernelINS0_14default_configENS1_27scan_by_key_config_selectorIisEEZZNS1_16scan_by_key_implILNS1_25lookback_scan_determinismE0ELb1ES3_N6thrust23THRUST_200600_302600_NS6detail15normal_iteratorINS9_10device_ptrIiEEEENSB_INSC_IsEEEESG_sNS9_4plusIvEENS9_8equal_toIvEEsEE10hipError_tPvRmT2_T3_T4_T5_mT6_T7_P12ihipStream_tbENKUlT_T0_E_clISt17integral_constantIbLb1EES10_IbLb0EEEEDaSW_SX_EUlSW_E_NS1_11comp_targetILNS1_3genE5ELNS1_11target_archE942ELNS1_3gpuE9ELNS1_3repE0EEENS1_30default_config_static_selectorELNS0_4arch9wavefront6targetE1EEEvT1_,@function
_ZN7rocprim17ROCPRIM_400000_NS6detail17trampoline_kernelINS0_14default_configENS1_27scan_by_key_config_selectorIisEEZZNS1_16scan_by_key_implILNS1_25lookback_scan_determinismE0ELb1ES3_N6thrust23THRUST_200600_302600_NS6detail15normal_iteratorINS9_10device_ptrIiEEEENSB_INSC_IsEEEESG_sNS9_4plusIvEENS9_8equal_toIvEEsEE10hipError_tPvRmT2_T3_T4_T5_mT6_T7_P12ihipStream_tbENKUlT_T0_E_clISt17integral_constantIbLb1EES10_IbLb0EEEEDaSW_SX_EUlSW_E_NS1_11comp_targetILNS1_3genE5ELNS1_11target_archE942ELNS1_3gpuE9ELNS1_3repE0EEENS1_30default_config_static_selectorELNS0_4arch9wavefront6targetE1EEEvT1_: ; @_ZN7rocprim17ROCPRIM_400000_NS6detail17trampoline_kernelINS0_14default_configENS1_27scan_by_key_config_selectorIisEEZZNS1_16scan_by_key_implILNS1_25lookback_scan_determinismE0ELb1ES3_N6thrust23THRUST_200600_302600_NS6detail15normal_iteratorINS9_10device_ptrIiEEEENSB_INSC_IsEEEESG_sNS9_4plusIvEENS9_8equal_toIvEEsEE10hipError_tPvRmT2_T3_T4_T5_mT6_T7_P12ihipStream_tbENKUlT_T0_E_clISt17integral_constantIbLb1EES10_IbLb0EEEEDaSW_SX_EUlSW_E_NS1_11comp_targetILNS1_3genE5ELNS1_11target_archE942ELNS1_3gpuE9ELNS1_3repE0EEENS1_30default_config_static_selectorELNS0_4arch9wavefront6targetE1EEEvT1_
; %bb.0:
	s_load_dwordx8 s[48:55], s[0:1], 0x0
	s_load_dword s80, s[0:1], 0x20
	s_load_dwordx4 s[56:59], s[0:1], 0x28
	s_load_dwordx2 s[68:69], s[0:1], 0x38
	s_load_dword s3, s[0:1], 0x40
	s_load_dwordx4 s[60:63], s[0:1], 0x48
	s_waitcnt lgkmcnt(0)
	s_lshl_b64 s[0:1], s[50:51], 2
	s_add_u32 s6, s48, s0
	s_addc_u32 s7, s49, s1
	s_lshl_b64 s[64:65], s[50:51], 1
	s_add_u32 s8, s52, s64
	s_mul_i32 s0, s69, s3
	s_mul_hi_u32 s1, s68, s3
	s_addc_u32 s9, s53, s65
	s_add_i32 s10, s1, s0
	s_mul_i32 s0, s2, 0x1800
	s_mov_b32 s1, 0
	s_lshl_b64 s[4:5], s[0:1], 2
	s_add_u32 s72, s6, s4
	s_addc_u32 s73, s7, s5
	s_lshl_b64 s[66:67], s[0:1], 1
	s_add_u32 s70, s8, s66
	s_mul_i32 s3, s68, s3
	s_addc_u32 s71, s9, s67
	s_add_u32 s0, s3, s2
	s_addc_u32 s1, s10, 0
	s_add_u32 s4, s60, -1
	s_addc_u32 s5, s61, -1
	v_mov_b64_e32 v[2:3], s[4:5]
	v_cmp_ge_u64_e64 s[0:1], s[0:1], v[2:3]
	s_mov_b64 s[20:21], -1
	s_and_b64 vcc, exec, s[0:1]
	s_mul_i32 s33, s4, 0xffffe800
	s_barrier
	s_cbranch_vccz .LBB1627_126
; %bb.1:
	v_mov_b64_e32 v[2:3], s[72:73]
	flat_load_dword v2, v[2:3]
	s_add_i32 s3, s33, s58
	v_cmp_gt_u32_e32 vcc, s3, v0
	s_waitcnt vmcnt(0) lgkmcnt(0)
	v_mov_b32_e32 v3, v2
	s_and_saveexec_b64 s[4:5], vcc
	s_cbranch_execz .LBB1627_3
; %bb.2:
	v_lshlrev_b32_e32 v4, 2, v0
	v_mov_b32_e32 v5, 0
	v_lshl_add_u64 v[4:5], s[72:73], 0, v[4:5]
	flat_load_dword v3, v[4:5]
.LBB1627_3:
	s_or_b64 exec, exec, s[4:5]
	v_or_b32_e32 v1, 0x100, v0
	v_cmp_gt_u32_e64 s[50:51], s3, v1
	v_mov_b32_e32 v19, v2
	s_and_saveexec_b64 s[4:5], s[50:51]
	s_cbranch_execz .LBB1627_5
; %bb.4:
	v_lshlrev_b32_e32 v4, 2, v0
	v_mov_b32_e32 v5, 0
	v_lshl_add_u64 v[4:5], s[72:73], 0, v[4:5]
	flat_load_dword v19, v[4:5] offset:1024
.LBB1627_5:
	s_or_b64 exec, exec, s[4:5]
	v_or_b32_e32 v1, 0x200, v0
	v_cmp_gt_u32_e64 s[4:5], s3, v1
	v_mov_b32_e32 v20, v2
	s_and_saveexec_b64 s[6:7], s[4:5]
	s_cbranch_execz .LBB1627_7
; %bb.6:
	v_lshlrev_b32_e32 v4, 2, v0
	v_mov_b32_e32 v5, 0
	v_lshl_add_u64 v[4:5], s[72:73], 0, v[4:5]
	flat_load_dword v20, v[4:5] offset:2048
.LBB1627_7:
	;; [unrolled: 12-line block ×3, first 2 shown]
	s_or_b64 exec, exec, s[8:9]
	v_or_b32_e32 v1, 0x400, v0
	v_cmp_gt_u32_e64 s[8:9], s3, v1
	v_mov_b32_e32 v22, v2
	s_and_saveexec_b64 s[10:11], s[8:9]
	s_cbranch_execz .LBB1627_11
; %bb.10:
	v_lshlrev_b32_e32 v4, 2, v1
	v_mov_b32_e32 v5, 0
	v_lshl_add_u64 v[4:5], s[72:73], 0, v[4:5]
	flat_load_dword v22, v[4:5]
.LBB1627_11:
	s_or_b64 exec, exec, s[10:11]
	v_or_b32_e32 v1, 0x500, v0
	v_cmp_gt_u32_e64 s[10:11], s3, v1
	v_mov_b32_e32 v23, v2
	s_and_saveexec_b64 s[12:13], s[10:11]
	s_cbranch_execz .LBB1627_13
; %bb.12:
	v_lshlrev_b32_e32 v4, 2, v1
	v_mov_b32_e32 v5, 0
	v_lshl_add_u64 v[4:5], s[72:73], 0, v[4:5]
	flat_load_dword v23, v[4:5]
.LBB1627_13:
	;; [unrolled: 12-line block ×19, first 2 shown]
	s_or_b64 exec, exec, s[48:49]
	v_or_b32_e32 v18, 0x1700, v0
	v_cmp_gt_u32_e64 s[48:49], s3, v18
	s_and_saveexec_b64 s[52:53], s[48:49]
	s_cbranch_execz .LBB1627_49
; %bb.48:
	v_lshlrev_b32_e32 v42, 2, v18
	v_mov_b32_e32 v43, 0
	v_lshl_add_u64 v[42:43], s[72:73], 0, v[42:43]
	flat_load_dword v2, v[42:43]
.LBB1627_49:
	s_or_b64 exec, exec, s[52:53]
	v_lshlrev_b32_e32 v46, 2, v0
	s_waitcnt vmcnt(0) lgkmcnt(0)
	ds_write2st64_b32 v46, v3, v19 offset1:4
	ds_write2st64_b32 v46, v20, v21 offset0:8 offset1:12
	ds_write2st64_b32 v46, v22, v23 offset0:16 offset1:20
	;; [unrolled: 1-line block ×11, first 2 shown]
	v_mov_b64_e32 v[2:3], s[72:73]
	s_waitcnt lgkmcnt(0)
	s_barrier
	flat_load_dword v52, v[2:3]
	s_movk_i32 s52, 0x5c
	v_mad_u32_u24 v2, v0, s52, v46
	s_movk_i32 s52, 0xffa4
	v_mad_i32_i24 v19, v0, s52, v2
	s_movk_i32 s52, 0xff
	v_cmp_ne_u32_e64 s[52:53], s52, v0
	ds_read_b128 v[42:45], v2
	ds_read_b128 v[38:41], v2 offset:16
	ds_read_b128 v[34:37], v2 offset:32
	;; [unrolled: 1-line block ×5, first 2 shown]
	s_waitcnt lgkmcnt(0)
	ds_write_b32 v19, v42 offset:25600
	s_waitcnt lgkmcnt(0)
	s_barrier
	s_and_saveexec_b64 s[60:61], s[52:53]
	s_cbranch_execz .LBB1627_51
; %bb.50:
	s_waitcnt vmcnt(0)
	ds_read_b32 v52, v46 offset:25604
.LBB1627_51:
	s_or_b64 exec, exec, s[60:61]
	v_mov_b32_e32 v3, 0
	s_waitcnt lgkmcnt(0)
	s_barrier
	s_waitcnt lgkmcnt(0)
                                        ; implicit-def: $vgpr2
	s_and_saveexec_b64 s[52:53], vcc
	s_cbranch_execz .LBB1627_205
; %bb.52:
	v_lshlrev_b32_e32 v2, 1, v0
	v_lshl_add_u64 v[2:3], s[70:71], 0, v[2:3]
	flat_load_ushort v2, v[2:3]
	s_or_b64 exec, exec, s[52:53]
                                        ; implicit-def: $vgpr3
	s_and_saveexec_b64 s[52:53], s[50:51]
	s_cbranch_execnz .LBB1627_206
.LBB1627_53:
	s_or_b64 exec, exec, s[52:53]
                                        ; implicit-def: $vgpr20
	s_and_saveexec_b64 s[50:51], s[4:5]
	s_cbranch_execz .LBB1627_207
.LBB1627_54:
	v_lshlrev_b32_e32 v20, 1, v0
	v_mov_b32_e32 v21, 0
	v_lshl_add_u64 v[20:21], s[70:71], 0, v[20:21]
	flat_load_ushort v20, v[20:21] offset:1024
	s_or_b64 exec, exec, s[50:51]
                                        ; implicit-def: $vgpr21
	s_and_saveexec_b64 s[4:5], s[6:7]
	s_cbranch_execnz .LBB1627_208
.LBB1627_55:
	s_or_b64 exec, exec, s[4:5]
                                        ; implicit-def: $vgpr46
	s_and_saveexec_b64 s[4:5], s[8:9]
	s_cbranch_execz .LBB1627_209
.LBB1627_56:
	v_lshlrev_b32_e32 v46, 1, v0
	v_mov_b32_e32 v47, 0
	v_lshl_add_u64 v[46:47], s[70:71], 0, v[46:47]
	flat_load_ushort v46, v[46:47] offset:2048
	s_or_b64 exec, exec, s[4:5]
                                        ; implicit-def: $vgpr47
	s_and_saveexec_b64 s[4:5], s[10:11]
	s_cbranch_execnz .LBB1627_210
.LBB1627_57:
	s_or_b64 exec, exec, s[4:5]
                                        ; implicit-def: $vgpr48
	s_and_saveexec_b64 s[4:5], s[12:13]
	s_cbranch_execz .LBB1627_211
.LBB1627_58:
	v_lshlrev_b32_e32 v48, 1, v0
	v_mov_b32_e32 v49, 0
	v_lshl_add_u64 v[48:49], s[70:71], 0, v[48:49]
	flat_load_ushort v48, v[48:49] offset:3072
	s_or_b64 exec, exec, s[4:5]
                                        ; implicit-def: $vgpr49
	s_and_saveexec_b64 s[4:5], s[14:15]
	s_cbranch_execnz .LBB1627_212
.LBB1627_59:
	s_or_b64 exec, exec, s[4:5]
                                        ; implicit-def: $vgpr50
	s_and_saveexec_b64 s[4:5], s[16:17]
	s_cbranch_execz .LBB1627_213
.LBB1627_60:
	v_lshlrev_b32_e32 v50, 1, v1
	v_mov_b32_e32 v51, 0
	v_lshl_add_u64 v[50:51], s[70:71], 0, v[50:51]
	flat_load_ushort v50, v[50:51]
	s_or_b64 exec, exec, s[4:5]
                                        ; implicit-def: $vgpr1
	s_and_saveexec_b64 s[4:5], s[18:19]
	s_cbranch_execnz .LBB1627_214
.LBB1627_61:
	s_or_b64 exec, exec, s[4:5]
                                        ; implicit-def: $vgpr4
	s_and_saveexec_b64 s[4:5], s[20:21]
	s_cbranch_execz .LBB1627_215
.LBB1627_62:
	v_lshlrev_b32_e32 v4, 1, v5
	v_mov_b32_e32 v5, 0
	v_lshl_add_u64 v[4:5], s[70:71], 0, v[4:5]
	flat_load_ushort v4, v[4:5]
	s_or_b64 exec, exec, s[4:5]
                                        ; implicit-def: $vgpr5
	s_and_saveexec_b64 s[4:5], s[22:23]
	s_cbranch_execnz .LBB1627_216
.LBB1627_63:
	s_or_b64 exec, exec, s[4:5]
                                        ; implicit-def: $vgpr6
	s_and_saveexec_b64 s[4:5], s[24:25]
	s_cbranch_execz .LBB1627_217
.LBB1627_64:
	v_lshlrev_b32_e32 v6, 1, v7
	v_mov_b32_e32 v7, 0
	v_lshl_add_u64 v[6:7], s[70:71], 0, v[6:7]
	flat_load_ushort v6, v[6:7]
	s_or_b64 exec, exec, s[4:5]
                                        ; implicit-def: $vgpr7
	s_and_saveexec_b64 s[4:5], s[26:27]
	s_cbranch_execnz .LBB1627_218
.LBB1627_65:
	s_or_b64 exec, exec, s[4:5]
                                        ; implicit-def: $vgpr8
	s_and_saveexec_b64 s[4:5], s[28:29]
	s_cbranch_execz .LBB1627_219
.LBB1627_66:
	v_lshlrev_b32_e32 v8, 1, v9
	v_mov_b32_e32 v9, 0
	v_lshl_add_u64 v[8:9], s[70:71], 0, v[8:9]
	flat_load_ushort v8, v[8:9]
	s_or_b64 exec, exec, s[4:5]
                                        ; implicit-def: $vgpr9
	s_and_saveexec_b64 s[4:5], s[30:31]
	s_cbranch_execnz .LBB1627_220
.LBB1627_67:
	s_or_b64 exec, exec, s[4:5]
                                        ; implicit-def: $vgpr10
	s_and_saveexec_b64 s[4:5], s[34:35]
	s_cbranch_execz .LBB1627_221
.LBB1627_68:
	v_lshlrev_b32_e32 v10, 1, v11
	v_mov_b32_e32 v11, 0
	v_lshl_add_u64 v[10:11], s[70:71], 0, v[10:11]
	flat_load_ushort v10, v[10:11]
	s_or_b64 exec, exec, s[4:5]
                                        ; implicit-def: $vgpr11
	s_and_saveexec_b64 s[4:5], s[36:37]
	s_cbranch_execnz .LBB1627_222
.LBB1627_69:
	s_or_b64 exec, exec, s[4:5]
                                        ; implicit-def: $vgpr12
	s_and_saveexec_b64 s[4:5], s[38:39]
	s_cbranch_execz .LBB1627_223
.LBB1627_70:
	v_lshlrev_b32_e32 v12, 1, v13
	v_mov_b32_e32 v13, 0
	v_lshl_add_u64 v[12:13], s[70:71], 0, v[12:13]
	flat_load_ushort v12, v[12:13]
	s_or_b64 exec, exec, s[4:5]
                                        ; implicit-def: $vgpr13
	s_and_saveexec_b64 s[4:5], s[40:41]
	s_cbranch_execnz .LBB1627_224
.LBB1627_71:
	s_or_b64 exec, exec, s[4:5]
                                        ; implicit-def: $vgpr14
	s_and_saveexec_b64 s[4:5], s[42:43]
	s_cbranch_execz .LBB1627_225
.LBB1627_72:
	v_lshlrev_b32_e32 v14, 1, v15
	v_mov_b32_e32 v15, 0
	v_lshl_add_u64 v[14:15], s[70:71], 0, v[14:15]
	flat_load_ushort v14, v[14:15]
	s_or_b64 exec, exec, s[4:5]
                                        ; implicit-def: $vgpr15
	s_and_saveexec_b64 s[4:5], s[44:45]
	s_cbranch_execnz .LBB1627_226
.LBB1627_73:
	s_or_b64 exec, exec, s[4:5]
                                        ; implicit-def: $vgpr16
	s_and_saveexec_b64 s[4:5], s[46:47]
	s_cbranch_execz .LBB1627_75
.LBB1627_74:
	v_lshlrev_b32_e32 v16, 1, v17
	v_mov_b32_e32 v17, 0
	v_lshl_add_u64 v[16:17], s[70:71], 0, v[16:17]
	flat_load_ushort v16, v[16:17]
.LBB1627_75:
	s_or_b64 exec, exec, s[4:5]
	v_mul_u32_u24_e32 v54, 24, v0
                                        ; implicit-def: $vgpr17
	s_and_saveexec_b64 s[4:5], s[48:49]
	s_cbranch_execz .LBB1627_77
; %bb.76:
	v_lshlrev_b32_e32 v56, 1, v18
	v_mov_b32_e32 v57, 0
	v_lshl_add_u64 v[56:57], s[70:71], 0, v[56:57]
	flat_load_ushort v17, v[56:57]
.LBB1627_77:
	s_or_b64 exec, exec, s[4:5]
	v_lshlrev_b32_e32 v18, 1, v0
	s_mov_b32 s4, 0
	v_sub_u32_e32 v55, v19, v18
	s_mov_b32 s5, s4
	s_waitcnt vmcnt(0) lgkmcnt(0)
	ds_write_b16 v55, v2
	ds_write_b16 v55, v3 offset:512
	ds_write_b16 v55, v20 offset:1024
	;; [unrolled: 1-line block ×23, first 2 shown]
	s_mov_b32 s6, s4
	s_mov_b32 s7, s4
	s_mov_b32 s8, s4
	s_mov_b32 s9, s4
	s_mov_b32 s10, s4
	s_mov_b32 s11, s4
	v_mov_b64_e32 v[2:3], s[4:5]
	s_mov_b32 s14, s4
	s_mov_b32 s15, s4
	v_mov_b64_e32 v[8:9], s[10:11]
	s_mov_b32 s12, s4
	s_mov_b32 s13, s4
	v_mov_b64_e32 v[20:21], s[14:15]
	v_mov_b64_e32 v[4:5], s[6:7]
	;; [unrolled: 1-line block ×4, first 2 shown]
	v_cmp_gt_u32_e32 vcc, s3, v54
	s_mov_b64 s[20:21], 0
	v_mov_b64_e32 v[18:19], s[12:13]
	v_mov_b32_e32 v1, 0
	s_mov_b64 s[10:11], 0
	v_mov_b64_e32 v[14:15], v[6:7]
	v_mov_b64_e32 v[12:13], v[4:5]
	;; [unrolled: 1-line block ×3, first 2 shown]
	v_mov_b32_e32 v50, 0
	v_mov_b32_e32 v51, 0
	s_waitcnt lgkmcnt(0)
	s_barrier
	s_waitcnt lgkmcnt(0)
                                        ; implicit-def: $sgpr8_sgpr9
                                        ; implicit-def: $vgpr53
	s_and_saveexec_b64 s[6:7], vcc
	s_cbranch_execz .LBB1627_125
; %bb.78:
	v_mad_u32_u24 v1, v0, 46, v55
	ds_read_u16 v1, v1
	v_mov_b32_e32 v3, s80
	v_cmp_eq_u32_e32 vcc, v42, v43
	s_mov_b32 s8, 0
	v_or_b32_e32 v2, 1, v54
	s_waitcnt lgkmcnt(0)
	v_cndmask_b32_e32 v1, v3, v1, vcc
	v_cmp_ne_u32_e32 vcc, v42, v43
	v_and_b32_e32 v1, 0xffff, v1
	s_mov_b32 s9, s8
	v_cndmask_b32_e64 v3, 0, 1, vcc
	v_lshl_or_b32 v1, v3, 16, v1
	v_cmp_gt_u32_e32 vcc, s3, v2
	s_mov_b32 s10, s8
	s_mov_b32 s11, s8
	;; [unrolled: 1-line block ×6, first 2 shown]
	v_mov_b64_e32 v[2:3], s[8:9]
	s_mov_b32 s18, s8
	s_mov_b32 s19, s8
	v_mov_b64_e32 v[8:9], s[14:15]
	s_mov_b32 s16, s8
	s_mov_b32 s17, s8
	v_mov_b64_e32 v[20:21], s[18:19]
	v_mov_b64_e32 v[4:5], s[10:11]
	;; [unrolled: 1-line block ×4, first 2 shown]
	s_mov_b64 s[24:25], 0
	v_mov_b64_e32 v[18:19], s[16:17]
	v_mov_b32_e32 v50, 0
	v_mov_b64_e32 v[14:15], v[6:7]
	v_mov_b64_e32 v[12:13], v[4:5]
	;; [unrolled: 1-line block ×3, first 2 shown]
	v_mov_b32_e32 v51, 0
                                        ; implicit-def: $sgpr26_sgpr27
                                        ; implicit-def: $vgpr53
	s_and_saveexec_b64 s[22:23], vcc
	s_cbranch_execz .LBB1627_124
; %bb.79:
	v_mul_u32_u24_e32 v2, 46, v0
	v_add_u32_e32 v42, v55, v2
	ds_read_b128 v[46:49], v42 offset:2
	v_mov_b32_e32 v3, s80
	v_cmp_eq_u32_e32 vcc, v43, v44
	v_or_b32_e32 v2, 2, v54
	v_mov_b64_e32 v[20:21], s[18:19]
	s_waitcnt lgkmcnt(0)
	v_cndmask_b32_e32 v3, v3, v46, vcc
	v_cmp_ne_u32_e32 vcc, v43, v44
	v_and_b32_e32 v3, 0xffff, v3
	v_mov_b64_e32 v[18:19], s[16:17]
	v_cndmask_b32_e64 v4, 0, 1, vcc
	v_lshl_or_b32 v50, v4, 16, v3
	v_cmp_gt_u32_e32 vcc, s3, v2
	v_mov_b64_e32 v[2:3], s[8:9]
	v_mov_b64_e32 v[8:9], s[14:15]
	;; [unrolled: 1-line block ×5, first 2 shown]
	v_mov_b32_e32 v51, 0
	v_mov_b64_e32 v[14:15], v[6:7]
	v_mov_b64_e32 v[12:13], v[4:5]
	;; [unrolled: 1-line block ×3, first 2 shown]
                                        ; implicit-def: $sgpr8_sgpr9
                                        ; implicit-def: $vgpr53
	s_and_saveexec_b64 s[16:17], vcc
	s_cbranch_execz .LBB1627_123
; %bb.80:
	v_lshrrev_b32_e32 v2, 16, v46
	v_mov_b32_e32 v4, s80
	v_cmp_eq_u32_e32 vcc, v44, v45
	s_mov_b32 s8, 0
	v_or_b32_e32 v3, 3, v54
	v_cndmask_b32_e32 v2, v4, v2, vcc
	v_cmp_ne_u32_e32 vcc, v44, v45
	v_and_b32_e32 v2, 0xffff, v2
	s_mov_b32 s9, s8
	v_cndmask_b32_e64 v4, 0, 1, vcc
	v_lshl_or_b32 v21, v4, 16, v2
	v_cmp_gt_u32_e32 vcc, s3, v3
	s_mov_b32 s10, s8
	s_mov_b32 s11, s8
	;; [unrolled: 1-line block ×6, first 2 shown]
	v_mov_b64_e32 v[2:3], s[8:9]
	v_mov_b64_e32 v[8:9], s[14:15]
	v_mov_b32_e32 v18, 0
	v_mov_b64_e32 v[4:5], s[10:11]
	v_mov_b64_e32 v[6:7], s[12:13]
	;; [unrolled: 1-line block ×3, first 2 shown]
	v_mov_b32_e32 v19, v18
	v_mov_b32_e32 v20, v18
	v_mov_b64_e32 v[14:15], v[6:7]
	v_mov_b64_e32 v[12:13], v[4:5]
	;; [unrolled: 1-line block ×3, first 2 shown]
	v_mov_b32_e32 v51, v18
                                        ; implicit-def: $sgpr28_sgpr29
                                        ; implicit-def: $vgpr53
	s_and_saveexec_b64 s[18:19], vcc
	s_cbranch_execz .LBB1627_122
; %bb.81:
	v_mov_b32_e32 v3, s80
	v_cmp_eq_u32_e32 vcc, v45, v38
	v_or_b32_e32 v2, 4, v54
	v_mov_b32_e32 v18, 0
	v_cndmask_b32_e32 v3, v3, v47, vcc
	v_cmp_ne_u32_e32 vcc, v45, v38
	v_and_b32_e32 v3, 0xffff, v3
	v_mov_b32_e32 v19, v18
	v_cndmask_b32_e64 v4, 0, 1, vcc
	v_lshl_or_b32 v20, v4, 16, v3
	v_cmp_gt_u32_e32 vcc, s3, v2
	v_mov_b64_e32 v[2:3], s[8:9]
	v_mov_b64_e32 v[8:9], s[14:15]
	;; [unrolled: 1-line block ×5, first 2 shown]
	s_mov_b64 s[26:27], 0
	v_mov_b64_e32 v[14:15], v[6:7]
	v_mov_b64_e32 v[12:13], v[4:5]
	;; [unrolled: 1-line block ×3, first 2 shown]
	v_mov_b32_e32 v51, v18
                                        ; implicit-def: $sgpr8_sgpr9
                                        ; implicit-def: $vgpr53
	s_and_saveexec_b64 s[24:25], vcc
	s_cbranch_execz .LBB1627_121
; %bb.82:
	v_lshrrev_b32_e32 v2, 16, v47
	v_mov_b32_e32 v4, s80
	v_cmp_eq_u32_e32 vcc, v38, v39
	s_mov_b32 s8, 0
	v_or_b32_e32 v3, 5, v54
	v_cndmask_b32_e32 v2, v4, v2, vcc
	v_cmp_ne_u32_e32 vcc, v38, v39
	v_and_b32_e32 v2, 0xffff, v2
	s_mov_b32 s9, s8
	v_cndmask_b32_e64 v4, 0, 1, vcc
	v_lshl_or_b32 v19, v4, 16, v2
	v_cmp_gt_u32_e32 vcc, s3, v3
	s_mov_b32 s10, s8
	s_mov_b32 s11, s8
	;; [unrolled: 1-line block ×6, first 2 shown]
	v_mov_b64_e32 v[2:3], s[8:9]
	v_mov_b64_e32 v[8:9], s[14:15]
	;; [unrolled: 1-line block ×5, first 2 shown]
	v_mov_b32_e32 v18, s8
	s_mov_b64 s[28:29], 0
	v_mov_b32_e32 v51, 0
	v_mov_b64_e32 v[14:15], v[6:7]
	v_mov_b64_e32 v[12:13], v[4:5]
	v_mov_b64_e32 v[10:11], v[2:3]
                                        ; implicit-def: $sgpr34_sgpr35
                                        ; implicit-def: $vgpr53
	s_and_saveexec_b64 s[26:27], vcc
	s_cbranch_execz .LBB1627_120
; %bb.83:
	v_mov_b32_e32 v3, s80
	v_cmp_eq_u32_e32 vcc, v39, v40
	v_or_b32_e32 v2, 6, v54
	s_mov_b64 s[30:31], 0
	v_cndmask_b32_e32 v3, v3, v48, vcc
	v_cmp_ne_u32_e32 vcc, v39, v40
	v_and_b32_e32 v3, 0xffff, v3
	v_mov_b32_e32 v51, 0
	v_cndmask_b32_e64 v4, 0, 1, vcc
	v_lshl_or_b32 v18, v4, 16, v3
	v_cmp_gt_u32_e32 vcc, s3, v2
	v_mov_b64_e32 v[2:3], s[8:9]
	v_mov_b64_e32 v[8:9], s[14:15]
	;; [unrolled: 1-line block ×8, first 2 shown]
                                        ; implicit-def: $sgpr8_sgpr9
                                        ; implicit-def: $vgpr53
	s_and_saveexec_b64 s[28:29], vcc
	s_cbranch_execz .LBB1627_119
; %bb.84:
	v_lshrrev_b32_e32 v2, 16, v48
	v_mov_b32_e32 v4, s80
	v_cmp_eq_u32_e32 vcc, v40, v41
	s_mov_b32 s8, 0
	v_or_b32_e32 v3, 7, v54
	v_cndmask_b32_e32 v2, v4, v2, vcc
	v_cmp_ne_u32_e32 vcc, v40, v41
	v_and_b32_e32 v2, 0xffff, v2
	s_mov_b32 s9, s8
	v_cndmask_b32_e64 v4, 0, 1, vcc
	v_lshl_or_b32 v51, v4, 16, v2
	v_cmp_gt_u32_e32 vcc, s3, v3
	s_mov_b32 s10, s8
	s_mov_b32 s11, s8
	s_mov_b32 s12, s8
	s_mov_b32 s13, s8
	s_mov_b32 s14, s8
	s_mov_b32 s15, s8
	v_mov_b64_e32 v[2:3], s[8:9]
	v_mov_b64_e32 v[8:9], s[14:15]
	;; [unrolled: 1-line block ×5, first 2 shown]
	s_mov_b64 s[34:35], 0
	v_mov_b64_e32 v[14:15], v[6:7]
	v_mov_b64_e32 v[12:13], v[4:5]
	;; [unrolled: 1-line block ×3, first 2 shown]
                                        ; implicit-def: $sgpr38_sgpr39
                                        ; implicit-def: $vgpr53
	s_and_saveexec_b64 s[30:31], vcc
	s_cbranch_execz .LBB1627_118
; %bb.85:
	v_mov_b32_e32 v3, s80
	v_cmp_eq_u32_e32 vcc, v41, v34
	v_add_u32_e32 v2, 8, v54
	v_mov_b64_e32 v[16:17], s[14:15]
	v_cndmask_b32_e32 v3, v3, v49, vcc
	v_cmp_ne_u32_e32 vcc, v41, v34
	v_and_b32_e32 v3, 0xffff, v3
	s_mov_b64 s[36:37], 0
	v_cndmask_b32_e64 v4, 0, 1, vcc
	v_cmp_gt_u32_e32 vcc, s3, v2
	v_mov_b32_e32 v2, 0
	v_lshl_or_b32 v9, v4, 16, v3
	v_mov_b32_e32 v3, v2
	v_mov_b32_e32 v4, v2
	;; [unrolled: 1-line block ×6, first 2 shown]
	v_mov_b64_e32 v[14:15], s[12:13]
	v_mov_b64_e32 v[12:13], s[10:11]
	;; [unrolled: 1-line block ×3, first 2 shown]
                                        ; implicit-def: $sgpr8_sgpr9
                                        ; implicit-def: $vgpr53
	s_and_saveexec_b64 s[34:35], vcc
	s_cbranch_execz .LBB1627_117
; %bb.86:
	v_lshrrev_b32_e32 v3, 16, v49
	v_mov_b32_e32 v5, s80
	v_cmp_eq_u32_e32 vcc, v34, v35
	s_mov_b32 s8, 0
	s_mov_b32 s14, s8
	v_cndmask_b32_e32 v3, v5, v3, vcc
	v_cmp_ne_u32_e32 vcc, v34, v35
	s_mov_b32 s15, s8
	v_add_u32_e32 v4, 9, v54
	v_and_b32_e32 v3, 0xffff, v3
	v_cndmask_b32_e64 v5, 0, 1, vcc
	s_mov_b32 s9, s8
	s_mov_b32 s10, s8
	;; [unrolled: 1-line block ×5, first 2 shown]
	v_mov_b64_e32 v[16:17], s[14:15]
	v_lshl_or_b32 v8, v5, 16, v3
	v_cmp_gt_u32_e32 vcc, s3, v4
	v_mov_b32_e32 v3, v2
	v_mov_b32_e32 v4, v2
	;; [unrolled: 1-line block ×5, first 2 shown]
	s_mov_b64 s[38:39], 0
	v_mov_b64_e32 v[14:15], s[12:13]
	v_mov_b64_e32 v[12:13], s[10:11]
	;; [unrolled: 1-line block ×3, first 2 shown]
                                        ; implicit-def: $sgpr42_sgpr43
                                        ; implicit-def: $vgpr53
	s_and_saveexec_b64 s[36:37], vcc
	s_cbranch_execz .LBB1627_116
; %bb.87:
	ds_read_b128 v[38:41], v42 offset:18
	v_mov_b32_e32 v3, s80
	v_cmp_eq_u32_e32 vcc, v35, v36
	v_add_u32_e32 v2, 10, v54
	v_mov_b64_e32 v[16:17], s[14:15]
	s_waitcnt lgkmcnt(0)
	v_cndmask_b32_e32 v3, v3, v38, vcc
	v_cmp_ne_u32_e32 vcc, v35, v36
	v_and_b32_e32 v3, 0xffff, v3
	s_mov_b64 s[40:41], 0
	v_cndmask_b32_e64 v4, 0, 1, vcc
	v_cmp_gt_u32_e32 vcc, s3, v2
	v_mov_b32_e32 v2, 0
	v_lshl_or_b32 v7, v4, 16, v3
	v_mov_b32_e32 v3, v2
	v_mov_b32_e32 v4, v2
	;; [unrolled: 1-line block ×4, first 2 shown]
	v_mov_b64_e32 v[14:15], s[12:13]
	v_mov_b64_e32 v[12:13], s[10:11]
	;; [unrolled: 1-line block ×3, first 2 shown]
                                        ; implicit-def: $sgpr8_sgpr9
                                        ; implicit-def: $vgpr53
	s_and_saveexec_b64 s[38:39], vcc
	s_cbranch_execz .LBB1627_115
; %bb.88:
	v_lshrrev_b32_e32 v3, 16, v38
	v_mov_b32_e32 v5, s80
	v_cmp_eq_u32_e32 vcc, v36, v37
	s_mov_b32 s8, 0
	s_mov_b32 s14, s8
	v_cndmask_b32_e32 v3, v5, v3, vcc
	v_cmp_ne_u32_e32 vcc, v36, v37
	s_mov_b32 s15, s8
	v_add_u32_e32 v4, 11, v54
	v_and_b32_e32 v3, 0xffff, v3
	v_cndmask_b32_e64 v5, 0, 1, vcc
	s_mov_b32 s9, s8
	s_mov_b32 s10, s8
	;; [unrolled: 1-line block ×5, first 2 shown]
	v_mov_b64_e32 v[16:17], s[14:15]
	v_lshl_or_b32 v6, v5, 16, v3
	v_cmp_gt_u32_e32 vcc, s3, v4
	v_mov_b32_e32 v3, v2
	v_mov_b32_e32 v4, v2
	;; [unrolled: 1-line block ×3, first 2 shown]
	s_mov_b64 s[42:43], 0
	v_mov_b64_e32 v[14:15], s[12:13]
	v_mov_b64_e32 v[12:13], s[10:11]
	;; [unrolled: 1-line block ×3, first 2 shown]
                                        ; implicit-def: $sgpr46_sgpr47
                                        ; implicit-def: $vgpr53
	s_and_saveexec_b64 s[40:41], vcc
	s_cbranch_execz .LBB1627_114
; %bb.89:
	v_mov_b32_e32 v3, s80
	v_cmp_eq_u32_e32 vcc, v37, v30
	v_add_u32_e32 v2, 12, v54
	v_mov_b64_e32 v[16:17], s[14:15]
	v_cndmask_b32_e32 v3, v3, v39, vcc
	v_cmp_ne_u32_e32 vcc, v37, v30
	v_and_b32_e32 v3, 0xffff, v3
	s_mov_b64 s[44:45], 0
	v_cndmask_b32_e64 v4, 0, 1, vcc
	v_cmp_gt_u32_e32 vcc, s3, v2
	v_mov_b32_e32 v2, 0
	v_lshl_or_b32 v5, v4, 16, v3
	v_mov_b32_e32 v3, v2
	v_mov_b32_e32 v4, v2
	v_mov_b64_e32 v[14:15], s[12:13]
	v_mov_b64_e32 v[12:13], s[10:11]
	;; [unrolled: 1-line block ×3, first 2 shown]
                                        ; implicit-def: $sgpr8_sgpr9
                                        ; implicit-def: $vgpr53
	s_and_saveexec_b64 s[42:43], vcc
	s_cbranch_execz .LBB1627_113
; %bb.90:
	v_lshrrev_b32_e32 v3, 16, v39
	v_mov_b32_e32 v4, s80
	v_cmp_eq_u32_e32 vcc, v30, v31
	s_mov_b32 s8, 0
	v_add_u32_e32 v10, 13, v54
	v_cndmask_b32_e32 v3, v4, v3, vcc
	v_cmp_ne_u32_e32 vcc, v30, v31
	s_mov_b32 s14, s8
	s_mov_b32 s15, s8
	v_and_b32_e32 v3, 0xffff, v3
	v_cndmask_b32_e64 v4, 0, 1, vcc
	v_cmp_gt_u32_e32 vcc, s3, v10
	s_mov_b32 s9, s8
	s_mov_b32 s10, s8
	;; [unrolled: 1-line block ×5, first 2 shown]
	v_mov_b64_e32 v[16:17], s[14:15]
	v_lshl_or_b32 v4, v4, 16, v3
	v_mov_b32_e32 v3, v2
	s_mov_b64 s[46:47], 0
	v_mov_b64_e32 v[14:15], s[12:13]
	v_mov_b64_e32 v[12:13], s[10:11]
	;; [unrolled: 1-line block ×3, first 2 shown]
                                        ; implicit-def: $sgpr48_sgpr49
                                        ; implicit-def: $vgpr53
	s_and_saveexec_b64 s[44:45], vcc
	s_cbranch_execz .LBB1627_112
; %bb.91:
	v_mov_b32_e32 v3, s80
	v_cmp_eq_u32_e32 vcc, v31, v32
	v_add_u32_e32 v2, 14, v54
                                        ; implicit-def: $vgpr53
	s_nop 0
	v_cndmask_b32_e32 v3, v3, v40, vcc
	v_cmp_ne_u32_e32 vcc, v31, v32
	v_and_b32_e32 v3, 0xffff, v3
	s_nop 0
	v_cndmask_b32_e64 v10, 0, 1, vcc
	v_lshl_or_b32 v3, v10, 16, v3
	v_mov_b64_e32 v[16:17], s[14:15]
	v_cmp_gt_u32_e32 vcc, s3, v2
	v_mov_b32_e32 v2, s8
	v_mov_b64_e32 v[14:15], s[12:13]
	v_mov_b64_e32 v[12:13], s[10:11]
	;; [unrolled: 1-line block ×3, first 2 shown]
                                        ; implicit-def: $sgpr10_sgpr11
	s_and_saveexec_b64 s[8:9], vcc
	s_cbranch_execz .LBB1627_111
; %bb.92:
	v_lshrrev_b32_e32 v2, 16, v40
	v_mov_b32_e32 v11, s80
	v_cmp_eq_u32_e32 vcc, v32, v33
	s_mov_b32 s84, 0
	v_add_u32_e32 v10, 15, v54
	v_cndmask_b32_e32 v2, v11, v2, vcc
	v_cmp_ne_u32_e32 vcc, v32, v33
	v_and_b32_e32 v2, 0xffff, v2
	s_mov_b32 s85, s84
	v_cndmask_b32_e64 v11, 0, 1, vcc
	v_lshl_or_b32 v2, v11, 16, v2
	v_cmp_gt_u32_e32 vcc, s3, v10
	s_mov_b32 s86, s84
	s_mov_b32 s87, s84
	s_mov_b32 s88, s84
	s_mov_b32 s89, s84
	s_mov_b32 s90, s84
	s_mov_b32 s91, s84
	v_mov_b64_e32 v[10:11], s[84:85]
	s_mov_b64 s[12:13], 0
	v_mov_b64_e32 v[12:13], s[86:87]
	v_mov_b64_e32 v[14:15], s[88:89]
	v_mov_b64_e32 v[16:17], s[90:91]
                                        ; implicit-def: $sgpr46_sgpr47
                                        ; implicit-def: $vgpr53
	s_and_saveexec_b64 s[10:11], vcc
	s_cbranch_execz .LBB1627_110
; %bb.93:
	v_mov_b32_e32 v10, s80
	v_cmp_eq_u32_e32 vcc, v33, v26
	v_add_u32_e32 v11, 16, v54
	s_mov_b64 s[14:15], 0
	v_cndmask_b32_e32 v10, v10, v41, vcc
	v_cmp_ne_u32_e32 vcc, v33, v26
	v_and_b32_e32 v10, 0xffff, v10
                                        ; implicit-def: $sgpr48_sgpr49
                                        ; implicit-def: $vgpr53
	s_nop 0
	v_cndmask_b32_e64 v12, 0, 1, vcc
	v_lshl_or_b32 v10, v12, 16, v10
	v_mov_b32_e32 v12, 0
	v_cmp_gt_u32_e32 vcc, s3, v11
	v_mov_b32_e32 v11, v12
	v_mov_b32_e32 v13, v12
	;; [unrolled: 1-line block ×6, first 2 shown]
	s_and_saveexec_b64 s[12:13], vcc
	s_cbranch_execz .LBB1627_109
; %bb.94:
	v_lshrrev_b32_e32 v11, 16, v41
	v_mov_b32_e32 v14, s80
	v_cmp_eq_u32_e32 vcc, v26, v27
	v_add_u32_e32 v13, 17, v54
	v_mov_b32_e32 v15, v12
	v_cndmask_b32_e32 v11, v14, v11, vcc
	v_cmp_ne_u32_e32 vcc, v26, v27
	v_and_b32_e32 v11, 0xffff, v11
	v_mov_b32_e32 v16, v12
	v_cndmask_b32_e64 v14, 0, 1, vcc
	v_lshl_or_b32 v11, v14, 16, v11
	v_cmp_gt_u32_e32 vcc, s3, v13
	v_mov_b32_e32 v13, v12
	v_mov_b32_e32 v14, v12
	;; [unrolled: 1-line block ×3, first 2 shown]
	s_mov_b64 s[46:47], 0
                                        ; implicit-def: $sgpr50_sgpr51
                                        ; implicit-def: $vgpr53
	s_and_saveexec_b64 s[14:15], vcc
	s_cbranch_execz .LBB1627_108
; %bb.95:
	ds_read_b96 v[30:32], v42 offset:34
	v_mov_b32_e32 v12, s80
	v_cmp_eq_u32_e32 vcc, v27, v28
	v_add_u32_e32 v13, 18, v54
	s_mov_b64 s[48:49], 0
	s_waitcnt lgkmcnt(0)
	v_cndmask_b32_e32 v12, v12, v30, vcc
	v_cmp_ne_u32_e32 vcc, v27, v28
	v_and_b32_e32 v12, 0xffff, v12
                                        ; implicit-def: $sgpr52_sgpr53
                                        ; implicit-def: $vgpr53
	s_nop 0
	v_cndmask_b32_e64 v14, 0, 1, vcc
	v_lshl_or_b32 v12, v14, 16, v12
	v_mov_b32_e32 v14, 0
	v_cmp_gt_u32_e32 vcc, s3, v13
	v_mov_b32_e32 v13, v14
	v_mov_b32_e32 v15, v14
	;; [unrolled: 1-line block ×4, first 2 shown]
	s_and_saveexec_b64 s[46:47], vcc
	s_cbranch_execz .LBB1627_107
; %bb.96:
	v_lshrrev_b32_e32 v13, 16, v30
	v_mov_b32_e32 v16, s80
	v_cmp_eq_u32_e32 vcc, v28, v29
	v_add_u32_e32 v15, 19, v54
	v_mov_b32_e32 v17, v14
	v_cndmask_b32_e32 v13, v16, v13, vcc
	v_cmp_ne_u32_e32 vcc, v28, v29
	v_and_b32_e32 v13, 0xffff, v13
	s_mov_b64 s[50:51], 0
	v_cndmask_b32_e64 v16, 0, 1, vcc
	v_lshl_or_b32 v13, v16, 16, v13
	v_cmp_gt_u32_e32 vcc, s3, v15
	v_mov_b32_e32 v15, v14
	v_mov_b32_e32 v16, v14
                                        ; implicit-def: $sgpr60_sgpr61
                                        ; implicit-def: $vgpr53
	s_and_saveexec_b64 s[48:49], vcc
	s_cbranch_execz .LBB1627_106
; %bb.97:
	v_mov_b32_e32 v14, s80
	v_cmp_eq_u32_e32 vcc, v29, v22
	v_add_u32_e32 v15, 20, v54
	s_mov_b64 s[52:53], 0
	v_cndmask_b32_e32 v14, v14, v31, vcc
	v_cmp_ne_u32_e32 vcc, v29, v22
	v_and_b32_e32 v14, 0xffff, v14
                                        ; implicit-def: $sgpr74_sgpr75
                                        ; implicit-def: $vgpr53
	s_nop 0
	v_cndmask_b32_e64 v16, 0, 1, vcc
	v_lshl_or_b32 v14, v16, 16, v14
	v_mov_b32_e32 v16, 0
	v_cmp_gt_u32_e32 vcc, s3, v15
	v_mov_b32_e32 v15, v16
	v_mov_b32_e32 v17, v16
	s_and_saveexec_b64 s[50:51], vcc
	s_cbranch_execz .LBB1627_105
; %bb.98:
	v_lshrrev_b32_e32 v15, 16, v31
	v_mov_b32_e32 v26, s80
	v_cmp_eq_u32_e32 vcc, v22, v23
	v_add_u32_e32 v17, 21, v54
	s_mov_b32 s5, 0
	v_cndmask_b32_e32 v15, v26, v15, vcc
	v_cmp_ne_u32_e32 vcc, v22, v23
	v_and_b32_e32 v15, 0xffff, v15
	s_mov_b64 s[60:61], 0
	v_cndmask_b32_e64 v22, 0, 1, vcc
	v_lshl_or_b32 v15, v22, 16, v15
	v_cmp_gt_u32_e32 vcc, s3, v17
	v_mov_b32_e32 v17, v16
                                        ; implicit-def: $sgpr76_sgpr77
                                        ; implicit-def: $vgpr53
	s_and_saveexec_b64 s[52:53], vcc
	s_cbranch_execz .LBB1627_104
; %bb.99:
	v_mov_b32_e32 v16, s80
	v_cmp_eq_u32_e32 vcc, v23, v24
	v_add_u32_e32 v17, 22, v54
	s_mov_b64 s[74:75], 0
	v_cndmask_b32_e32 v16, v16, v32, vcc
	v_cmp_ne_u32_e32 vcc, v23, v24
	v_and_b32_e32 v16, 0xffff, v16
                                        ; implicit-def: $sgpr76_sgpr77
                                        ; implicit-def: $vgpr53
	s_nop 0
	v_cndmask_b32_e64 v22, 0, 1, vcc
	v_lshl_or_b32 v16, v22, 16, v16
	v_cmp_gt_u32_e32 vcc, s3, v17
	v_mov_b32_e32 v17, s5
	s_and_saveexec_b64 s[60:61], vcc
	s_cbranch_execz .LBB1627_103
; %bb.100:
	v_lshrrev_b32_e32 v17, 16, v32
	v_mov_b32_e32 v23, s80
	v_cmp_eq_u32_e32 vcc, v24, v25
	v_add_u32_e32 v22, 23, v54
                                        ; implicit-def: $sgpr76_sgpr77
                                        ; implicit-def: $vgpr53
	s_nop 0
	v_cndmask_b32_e32 v17, v23, v17, vcc
	v_cmp_ne_u32_e32 vcc, v24, v25
	v_and_b32_e32 v17, 0xffff, v17
	s_nop 0
	v_cndmask_b32_e64 v23, 0, 1, vcc
	v_lshl_or_b32 v17, v23, 16, v17
	v_cmp_gt_u32_e32 vcc, s3, v22
	s_and_saveexec_b64 s[78:79], vcc
	s_xor_b64 s[78:79], exec, s[78:79]
	s_cbranch_execz .LBB1627_102
; %bb.101:
	ds_read_u16 v22, v42 offset:46
	v_mov_b32_e32 v23, s80
	v_cmp_ne_u32_e32 vcc, v25, v52
	s_mov_b64 s[74:75], exec
	s_and_b64 s[76:77], vcc, exec
	s_waitcnt lgkmcnt(0)
	v_cndmask_b32_e32 v53, v22, v23, vcc
.LBB1627_102:
	s_or_b64 exec, exec, s[78:79]
	s_and_b64 s[76:77], s[76:77], exec
	s_and_b64 s[74:75], s[74:75], exec
.LBB1627_103:
	s_or_b64 exec, exec, s[60:61]
	s_and_b64 s[76:77], s[76:77], exec
	s_and_b64 s[60:61], s[74:75], exec
.LBB1627_104:
	s_or_b64 exec, exec, s[52:53]
	s_and_b64 s[74:75], s[76:77], exec
	s_and_b64 s[52:53], s[60:61], exec
.LBB1627_105:
	s_or_b64 exec, exec, s[50:51]
	s_and_b64 s[60:61], s[74:75], exec
	s_and_b64 s[50:51], s[52:53], exec
.LBB1627_106:
	s_or_b64 exec, exec, s[48:49]
	s_and_b64 s[52:53], s[60:61], exec
	s_and_b64 s[48:49], s[50:51], exec
.LBB1627_107:
	s_or_b64 exec, exec, s[46:47]
	s_and_b64 s[50:51], s[52:53], exec
	s_and_b64 s[46:47], s[48:49], exec
.LBB1627_108:
	s_or_b64 exec, exec, s[14:15]
	s_and_b64 s[48:49], s[50:51], exec
	s_and_b64 s[14:15], s[46:47], exec
.LBB1627_109:
	s_or_b64 exec, exec, s[12:13]
	s_and_b64 s[46:47], s[48:49], exec
	s_and_b64 s[12:13], s[14:15], exec
.LBB1627_110:
	s_or_b64 exec, exec, s[10:11]
	s_and_b64 s[10:11], s[46:47], exec
	s_and_b64 s[46:47], s[12:13], exec
.LBB1627_111:
	s_or_b64 exec, exec, s[8:9]
	s_and_b64 s[48:49], s[10:11], exec
	s_and_b64 s[46:47], s[46:47], exec
.LBB1627_112:
	s_or_b64 exec, exec, s[44:45]
	s_and_b64 s[8:9], s[48:49], exec
	s_and_b64 s[44:45], s[46:47], exec
.LBB1627_113:
	s_or_b64 exec, exec, s[42:43]
	s_and_b64 s[46:47], s[8:9], exec
	s_and_b64 s[42:43], s[44:45], exec
.LBB1627_114:
	s_or_b64 exec, exec, s[40:41]
	s_and_b64 s[8:9], s[46:47], exec
	s_and_b64 s[40:41], s[42:43], exec
.LBB1627_115:
	s_or_b64 exec, exec, s[38:39]
	s_and_b64 s[42:43], s[8:9], exec
	s_and_b64 s[38:39], s[40:41], exec
.LBB1627_116:
	s_or_b64 exec, exec, s[36:37]
	s_and_b64 s[8:9], s[42:43], exec
	s_and_b64 s[36:37], s[38:39], exec
.LBB1627_117:
	s_or_b64 exec, exec, s[34:35]
	s_and_b64 s[38:39], s[8:9], exec
	s_and_b64 s[34:35], s[36:37], exec
.LBB1627_118:
	s_or_b64 exec, exec, s[30:31]
	s_and_b64 s[8:9], s[38:39], exec
	s_and_b64 s[30:31], s[34:35], exec
.LBB1627_119:
	s_or_b64 exec, exec, s[28:29]
	s_and_b64 s[34:35], s[8:9], exec
	s_and_b64 s[28:29], s[30:31], exec
.LBB1627_120:
	s_or_b64 exec, exec, s[26:27]
	s_and_b64 s[8:9], s[34:35], exec
	s_and_b64 s[26:27], s[28:29], exec
.LBB1627_121:
	s_or_b64 exec, exec, s[24:25]
	s_and_b64 s[28:29], s[8:9], exec
	s_and_b64 s[24:25], s[26:27], exec
.LBB1627_122:
	s_or_b64 exec, exec, s[18:19]
	s_and_b64 s[8:9], s[28:29], exec
	s_and_b64 s[24:25], s[24:25], exec
.LBB1627_123:
	s_or_b64 exec, exec, s[16:17]
	s_and_b64 s[26:27], s[8:9], exec
	s_and_b64 s[24:25], s[24:25], exec
.LBB1627_124:
	s_or_b64 exec, exec, s[22:23]
	s_and_b64 s[8:9], s[26:27], exec
	s_and_b64 s[10:11], s[24:25], exec
.LBB1627_125:
	s_or_b64 exec, exec, s[6:7]
	s_and_b64 vcc, exec, s[20:21]
	s_cbranch_vccnz .LBB1627_127
	s_branch .LBB1627_132
.LBB1627_126:
	s_mov_b64 s[10:11], 0
                                        ; implicit-def: $sgpr8_sgpr9
                                        ; implicit-def: $vgpr18_vgpr19_vgpr20_vgpr21
                                        ; implicit-def: $vgpr2_vgpr3_vgpr4_vgpr5_vgpr6_vgpr7_vgpr8_vgpr9
                                        ; implicit-def: $vgpr10_vgpr11_vgpr12_vgpr13_vgpr14_vgpr15_vgpr16_vgpr17
                                        ; implicit-def: $vgpr53
                                        ; implicit-def: $vgpr1
                                        ; implicit-def: $vgpr50
                                        ; implicit-def: $vgpr51
                                        ; implicit-def: $sgpr4
	s_and_b64 vcc, exec, s[20:21]
	s_cbranch_vccz .LBB1627_132
.LBB1627_127:
	v_mov_b32_e32 v7, 0
	v_lshlrev_b32_e32 v6, 2, v0
	v_lshl_add_u64 v[2:3], s[72:73], 0, v[6:7]
	v_add_co_u32_e32 v4, vcc, 0x1000, v2
	s_movk_i32 s3, 0x6000
	s_nop 0
	v_addc_co_u32_e32 v5, vcc, 0, v3, vcc
	flat_load_dword v1, v[2:3]
	flat_load_dword v10, v[2:3] offset:1024
	flat_load_dword v11, v[2:3] offset:2048
	;; [unrolled: 1-line block ×3, first 2 shown]
	flat_load_dword v13, v[4:5]
	flat_load_dword v14, v[4:5] offset:1024
	flat_load_dword v15, v[4:5] offset:2048
	;; [unrolled: 1-line block ×3, first 2 shown]
	v_add_co_u32_e32 v4, vcc, 0x2000, v2
	s_movk_i32 s4, 0x5c
	s_nop 0
	v_addc_co_u32_e32 v5, vcc, 0, v3, vcc
	v_add_co_u32_e32 v8, vcc, 0x3000, v2
	s_movk_i32 s6, 0x1000
	s_nop 0
	v_addc_co_u32_e32 v9, vcc, 0, v3, vcc
	flat_load_dword v17, v[4:5]
	flat_load_dword v18, v[4:5] offset:1024
	flat_load_dword v19, v[4:5] offset:2048
	;; [unrolled: 1-line block ×3, first 2 shown]
	flat_load_dword v21, v[8:9]
	flat_load_dword v22, v[8:9] offset:1024
	flat_load_dword v23, v[8:9] offset:2048
	;; [unrolled: 1-line block ×3, first 2 shown]
	v_add_co_u32_e32 v4, vcc, 0x4000, v2
	s_nop 1
	v_addc_co_u32_e32 v5, vcc, 0, v3, vcc
	v_add_co_u32_e32 v2, vcc, 0x5000, v2
	s_nop 1
	v_addc_co_u32_e32 v3, vcc, 0, v3, vcc
	flat_load_dword v8, v[4:5]
	flat_load_dword v9, v[4:5] offset:1024
	flat_load_dword v25, v[4:5] offset:2048
	;; [unrolled: 1-line block ×3, first 2 shown]
	flat_load_dword v27, v[2:3]
	flat_load_dword v28, v[2:3] offset:1024
	flat_load_dword v29, v[2:3] offset:2048
	;; [unrolled: 1-line block ×3, first 2 shown]
	v_mov_b32_e32 v2, s72
	v_mov_b32_e32 v3, s73
	v_add_co_u32_e32 v2, vcc, s3, v2
	s_movk_i32 s3, 0x2000
	s_nop 0
	v_addc_co_u32_e32 v3, vcc, 0, v3, vcc
	s_waitcnt vmcnt(0) lgkmcnt(0)
	ds_write2st64_b32 v6, v1, v10 offset1:4
	ds_write2st64_b32 v6, v11, v12 offset0:8 offset1:12
	ds_write2st64_b32 v6, v13, v14 offset0:16 offset1:20
	;; [unrolled: 1-line block ×11, first 2 shown]
	s_waitcnt lgkmcnt(0)
	s_barrier
	flat_load_dword v40, v[2:3]
	v_mad_u32_u24 v1, v0, s4, v6
	s_movk_i32 s4, 0xffa4
	ds_read2_b32 v[22:23], v1 offset0:6 offset1:23
	ds_read_b64 v[18:19], v1
	ds_read2_b64 v[2:5], v1 offset0:1 offset1:2
	ds_read2_b32 v[32:33], v1 offset0:13 offset1:14
	ds_read2_b32 v[34:35], v1 offset0:11 offset1:12
	;; [unrolled: 1-line block ×8, first 2 shown]
	v_mad_i32_i24 v1, v0, s4, v1
	s_movk_i32 s4, 0xff
	v_cmp_ne_u32_e32 vcc, s4, v0
	s_waitcnt lgkmcnt(0)
	ds_write_b32 v1, v18 offset:25600
	s_waitcnt lgkmcnt(0)
	s_barrier
	s_and_saveexec_b64 s[4:5], vcc
	s_cbranch_execz .LBB1627_129
; %bb.128:
	s_waitcnt vmcnt(0)
	ds_read_b32 v40, v6 offset:25604
.LBB1627_129:
	s_or_b64 exec, exec, s[4:5]
	v_lshlrev_b32_e32 v6, 1, v0
	v_lshl_add_u64 v[8:9], s[70:71], 0, v[6:7]
	v_add_co_u32_e32 v10, vcc, s6, v8
	s_waitcnt lgkmcnt(0)
	s_nop 0
	v_addc_co_u32_e32 v11, vcc, 0, v9, vcc
	s_barrier
	flat_load_ushort v7, v[8:9]
	flat_load_ushort v12, v[8:9] offset:512
	flat_load_ushort v13, v[8:9] offset:1024
	;; [unrolled: 1-line block ×7, first 2 shown]
	v_add_co_u32_e32 v8, vcc, s3, v8
	flat_load_ushort v21, v[10:11]
	flat_load_ushort v41, v[10:11] offset:512
	flat_load_ushort v42, v[10:11] offset:1024
	;; [unrolled: 1-line block ×7, first 2 shown]
	v_addc_co_u32_e32 v9, vcc, 0, v9, vcc
	flat_load_ushort v10, v[8:9]
	flat_load_ushort v11, v[8:9] offset:512
	flat_load_ushort v48, v[8:9] offset:1024
	;; [unrolled: 1-line block ×7, first 2 shown]
	v_sub_u32_e32 v1, v1, v6
	v_mad_u32_u24 v54, v0, 46, v1
	v_cmp_eq_u32_e32 vcc, v18, v19
	v_mov_b32_e32 v18, s80
	s_waitcnt vmcnt(0) lgkmcnt(0)
	ds_write_b16 v1, v7
	ds_write_b16 v1, v12 offset:512
	ds_write_b16 v1, v13 offset:1024
	;; [unrolled: 1-line block ×23, first 2 shown]
	s_waitcnt lgkmcnt(0)
	s_barrier
	ds_read_b96 v[14:16], v54 offset:2
	ds_read_b128 v[6:9], v54 offset:14
	ds_read_b128 v[10:13], v54 offset:30
	ds_read_u16 v41, v54 offset:46
	v_mov_b32_e32 v17, 0x10000
	s_and_saveexec_b64 s[4:5], vcc
	s_cbranch_execz .LBB1627_131
; %bb.130:
	v_mul_u32_u24_e32 v17, 46, v0
	v_add_u32_e32 v1, v1, v17
	ds_read_u16 v18, v1
	v_mov_b32_e32 v17, 0
.LBB1627_131:
	s_or_b64 exec, exec, s[4:5]
	v_mov_b32_e32 v47, s80
	v_cmp_eq_u32_e32 vcc, v19, v2
	s_waitcnt lgkmcnt(3)
	v_lshrrev_b32_e32 v21, 16, v14
	s_waitcnt lgkmcnt(0)
	v_or_b32_sdwa v1, v17, v18 dst_sel:DWORD dst_unused:UNUSED_PAD src0_sel:DWORD src1_sel:WORD_0
	v_cndmask_b32_e32 v14, v47, v14, vcc
	v_cmp_ne_u32_e32 vcc, v19, v2
	v_and_b32_e32 v14, 0xffff, v14
	v_lshrrev_b32_e32 v20, 16, v15
	v_cndmask_b32_e64 v17, 0, 1, vcc
	v_cmp_eq_u32_e32 vcc, v2, v3
	v_lshl_or_b32 v50, v17, 16, v14
	v_lshrrev_b32_e32 v42, 16, v16
	v_cndmask_b32_e32 v14, v47, v21, vcc
	v_cmp_eq_u32_e32 vcc, v4, v5
	v_and_b32_e32 v14, 0xffff, v14
	v_lshrrev_b32_e32 v46, 16, v6
	v_cndmask_b32_e32 v17, v47, v20, vcc
	v_cmp_eq_u32_e32 vcc, v3, v4
	v_and_b32_e32 v17, 0xffff, v17
	;; [unrolled: 4-line block ×3, first 2 shown]
	v_lshrrev_b32_e32 v44, 16, v8
	v_cndmask_b32_e32 v16, v47, v16, vcc
	v_cmp_ne_u32_e32 vcc, v3, v4
	v_lshrrev_b32_e32 v43, 16, v9
	v_and_b32_e32 v16, 0xffff, v16
	v_cndmask_b32_e64 v18, 0, 1, vcc
	v_cmp_ne_u32_e32 vcc, v5, v22
	v_lshl_or_b32 v20, v18, 16, v15
	v_cmp_ne_u32_e64 s[8:9], v23, v40
	v_cndmask_b32_e64 v15, 0, 1, vcc
	v_cmp_ne_u32_e32 vcc, v2, v3
	v_lshl_or_b32 v18, v15, 16, v16
	v_lshrrev_b32_e32 v16, 16, v11
	v_cndmask_b32_e64 v2, 0, 1, vcc
	v_cmp_ne_u32_e32 vcc, v4, v5
	v_lshl_or_b32 v21, v2, 16, v14
	v_cndmask_b32_e64 v53, v41, v47, s[8:9]
	v_cndmask_b32_e64 v2, 0, 1, vcc
	v_cmp_eq_u32_e32 vcc, v22, v38
	v_lshl_or_b32 v19, v2, 16, v17
	v_lshrrev_b32_e32 v17, 16, v10
	v_cndmask_b32_e32 v2, v47, v42, vcc
	v_cmp_ne_u32_e32 vcc, v22, v38
	v_and_b32_e32 v2, 0xffff, v2
	s_mov_b64 s[10:11], -1
	v_cndmask_b32_e64 v3, 0, 1, vcc
	v_cmp_eq_u32_e32 vcc, v39, v36
	v_lshl_or_b32 v51, v3, 16, v2
                                        ; implicit-def: $sgpr4
	s_nop 0
	v_cndmask_b32_e32 v2, v47, v46, vcc
	v_cmp_eq_u32_e32 vcc, v37, v34
	v_and_b32_e32 v2, 0xffff, v2
	s_nop 0
	v_cndmask_b32_e32 v3, v47, v45, vcc
	v_cmp_eq_u32_e32 vcc, v35, v32
	v_and_b32_e32 v15, 0xffff, v3
	;; [unrolled: 4-line block ×7, first 2 shown]
	s_nop 0
	v_cndmask_b32_e32 v9, v47, v9, vcc
	v_cmp_ne_u32_e32 vcc, v38, v39
	v_and_b32_e32 v3, 0xffff, v9
	s_nop 0
	v_cndmask_b32_e64 v8, 0, 1, vcc
	v_cmp_ne_u32_e32 vcc, v36, v37
	v_lshl_or_b32 v9, v8, 16, v6
	s_nop 0
	v_cndmask_b32_e64 v6, 0, 1, vcc
	v_cmp_ne_u32_e32 vcc, v34, v35
	v_lshl_or_b32 v7, v6, 16, v7
	;; [unrolled: 4-line block ×6, first 2 shown]
	v_lshrrev_b32_e32 v15, 16, v12
	v_cndmask_b32_e64 v2, 0, 1, vcc
	v_cmp_ne_u32_e32 vcc, v33, v26
	v_lshl_or_b32 v4, v2, 16, v4
	s_nop 0
	v_cndmask_b32_e64 v2, 0, 1, vcc
	v_lshl_or_b32 v2, v2, 16, v14
	v_lshrrev_b32_e32 v14, 16, v13
	v_cmp_eq_u32_e32 vcc, v31, v23
	s_nop 1
	v_cndmask_b32_e32 v14, v47, v14, vcc
	v_cmp_eq_u32_e32 vcc, v29, v30
	s_nop 1
	v_cndmask_b32_e32 v15, v47, v15, vcc
	v_cmp_eq_u32_e32 vcc, v25, v28
	v_and_b32_e32 v15, 0xffff, v15
	s_nop 0
	v_cndmask_b32_e32 v16, v47, v16, vcc
	v_cmp_eq_u32_e32 vcc, v27, v24
	v_and_b32_e32 v32, 0xffff, v16
	;; [unrolled: 4-line block ×3, first 2 shown]
	v_and_b32_e32 v17, 0xffff, v14
	v_cndmask_b32_e32 v13, v47, v13, vcc
	v_cmp_eq_u32_e32 vcc, v28, v29
	v_and_b32_e32 v13, 0xffff, v13
	s_nop 0
	v_cndmask_b32_e32 v12, v47, v12, vcc
	v_cmp_eq_u32_e32 vcc, v24, v25
	v_and_b32_e32 v12, 0xffff, v12
	s_nop 0
	;; [unrolled: 4-line block ×3, first 2 shown]
	v_cndmask_b32_e32 v10, v47, v10, vcc
	v_cmp_ne_u32_e32 vcc, v30, v31
	v_and_b32_e32 v10, 0xffff, v10
	s_nop 0
	v_cndmask_b32_e64 v14, 0, 1, vcc
	v_cmp_ne_u32_e32 vcc, v28, v29
	v_lshl_or_b32 v16, v14, 16, v13
	s_nop 0
	v_cndmask_b32_e64 v13, 0, 1, vcc
	v_cmp_ne_u32_e32 vcc, v24, v25
	v_lshl_or_b32 v14, v13, 16, v12
	;; [unrolled: 4-line block ×7, first 2 shown]
	s_nop 0
	v_cndmask_b32_e64 v11, 0, 1, vcc
	v_lshl_or_b32 v11, v11, 16, v22
.LBB1627_132:
	v_mov_b32_e32 v32, s4
	s_and_saveexec_b64 s[4:5], s[10:11]
; %bb.133:
	v_mov_b32_e32 v22, 0x10000
	v_cndmask_b32_e64 v22, 0, v22, s[8:9]
	v_or_b32_sdwa v32, v22, v53 dst_sel:DWORD dst_unused:UNUSED_PAD src0_sel:DWORD src1_sel:WORD_0
; %bb.134:
	s_or_b64 exec, exec, s[4:5]
	s_cmp_lg_u32 s2, 0
	v_mbcnt_lo_u32_b32 v33, -1, 0
	s_barrier
	s_cbranch_scc0 .LBB1627_227
; %bb.135:
	s_mov_b32 s3, 0x10000
	v_cmp_gt_u32_e64 s[50:51], s3, v50
	v_cmp_gt_u32_e64 s[4:5], s3, v21
	v_cmp_gt_u32_e64 s[6:7], s3, v20
	v_cndmask_b32_e64 v22, 0, v1, s[50:51]
	v_add_u16_e32 v22, v22, v50
	v_cndmask_b32_e64 v22, 0, v22, s[4:5]
	v_add_u16_e32 v22, v22, v21
	v_cndmask_b32_e64 v22, 0, v22, s[6:7]
	v_add_u16_e32 v22, v22, v20
	v_cmp_gt_u32_e64 s[8:9], s3, v19
	v_cmp_gt_u32_e64 s[10:11], s3, v18
	v_cmp_gt_u32_e64 s[12:13], s3, v51
	v_cndmask_b32_e64 v22, 0, v22, s[8:9]
	v_add_u16_e32 v22, v22, v19
	v_cndmask_b32_e64 v22, 0, v22, s[10:11]
	v_add_u16_e32 v22, v22, v18
	v_cndmask_b32_e64 v22, 0, v22, s[12:13]
	v_add_u16_e32 v22, v22, v51
	;; [unrolled: 9-line block ×5, first 2 shown]
	v_cmp_gt_u32_e64 s[34:35], s3, v11
	v_cmp_gt_u32_e64 s[36:37], s3, v12
	v_or3_b32 v25, v32, v17, v16
	v_cndmask_b32_e64 v22, 0, v22, s[34:35]
	v_add_u16_e32 v22, v22, v11
	v_cndmask_b32_e64 v22, 0, v22, s[36:37]
	v_add_u16_e32 v22, v22, v12
	v_cmp_gt_u32_e64 s[38:39], s3, v13
	v_or3_b32 v25, v25, v15, v14
	v_or3_b32 v25, v25, v13, v12
	v_cndmask_b32_e64 v22, 0, v22, s[38:39]
	v_add_u16_e32 v22, v22, v13
	v_cmp_gt_u32_e64 s[40:41], s3, v14
	v_or3_b32 v25, v25, v11, v10
	v_or3_b32 v25, v25, v2, v3
	;; [unrolled: 5-line block ×5, first 2 shown]
	v_cndmask_b32_e64 v22, 0, v22, s[46:47]
	v_add_u16_e32 v22, v22, v17
	v_cmp_gt_u32_e32 vcc, s3, v32
	v_and_b32_e32 v25, 0x10000, v25
	v_and_b32_e32 v23, 0x10000, v1
	v_cndmask_b32_e32 v24, 0, v22, vcc
	v_mov_b32_e32 v26, 0x10000
	v_cmp_ne_u32_e32 vcc, 0, v25
	v_add_u16_e32 v22, v24, v32
	v_add_u16_e32 v24, v24, v32
	v_cndmask_b32_e32 v26, v23, v26, vcc
	v_mbcnt_hi_u32_b32 v25, -1, v33
	v_and_b32_e32 v27, 15, v25
	v_or_b32_e32 v24, v26, v24
	v_lshrrev_b32_e32 v23, 16, v26
	v_cmp_ne_u32_e32 vcc, 0, v27
	v_mov_b32_dpp v28, v24 row_shr:1 row_mask:0xf bank_mask:0xf
	s_and_saveexec_b64 s[48:49], vcc
	s_cbranch_execz .LBB1627_137
; %bb.136:
	v_cmp_eq_u32_e32 vcc, 0, v26
	v_and_b32_e32 v23, 0x10000, v26
	v_mov_b32_e32 v26, 1
	v_cndmask_b32_e32 v24, 0, v28, vcc
	v_and_b32_sdwa v26, v28, v26 dst_sel:DWORD dst_unused:UNUSED_PAD src0_sel:WORD_1 src1_sel:DWORD
	v_cmp_ne_u32_e32 vcc, 0, v23
	v_add_u16_e32 v29, v24, v22
	v_add_u16_e32 v22, v24, v22
	v_cndmask_b32_e64 v23, v26, 1, vcc
	v_lshlrev_b32_e32 v26, 16, v23
	v_or_b32_e32 v24, v26, v22
	v_mov_b32_e32 v22, v29
.LBB1627_137:
	s_or_b64 exec, exec, s[48:49]
	v_lshrrev_b32_e32 v26, 16, v24
	v_mov_b32_dpp v28, v24 row_shr:2 row_mask:0xf bank_mask:0xf
	v_cmp_lt_u32_e32 vcc, 1, v27
	s_and_saveexec_b64 s[48:49], vcc
	s_cbranch_execz .LBB1627_139
; %bb.138:
	v_cmp_gt_u32_e32 vcc, s3, v24
	v_and_b32_e32 v23, 0x10000, v24
	v_mov_b32_e32 v24, 1
	v_cndmask_b32_e32 v26, 0, v28, vcc
	v_and_b32_sdwa v24, v28, v24 dst_sel:DWORD dst_unused:UNUSED_PAD src0_sel:WORD_1 src1_sel:DWORD
	v_cmp_ne_u32_e32 vcc, 0, v23
	v_add_u16_e32 v29, v26, v22
	v_add_u16_e32 v22, v26, v22
	v_cndmask_b32_e64 v23, v24, 1, vcc
	v_lshlrev_b32_e32 v24, 16, v23
	v_or_b32_e32 v24, v24, v22
	v_mov_b32_e32 v26, v23
	v_mov_b32_e32 v22, v29
.LBB1627_139:
	s_or_b64 exec, exec, s[48:49]
	v_mov_b32_dpp v28, v24 row_shr:4 row_mask:0xf bank_mask:0xf
	v_cmp_lt_u32_e32 vcc, 3, v27
	s_and_saveexec_b64 s[48:49], vcc
	s_cbranch_execz .LBB1627_141
; %bb.140:
	v_cmp_eq_u16_e32 vcc, 0, v26
	v_and_b32_e32 v23, 1, v26
	v_mov_b32_e32 v26, 1
	v_cndmask_b32_e32 v24, 0, v28, vcc
	v_and_b32_sdwa v26, v28, v26 dst_sel:DWORD dst_unused:UNUSED_PAD src0_sel:WORD_1 src1_sel:DWORD
	v_cmp_eq_u32_e32 vcc, 1, v23
	v_add_u16_e32 v29, v24, v22
	v_add_u16_e32 v22, v24, v22
	v_cndmask_b32_e64 v23, v26, 1, vcc
	v_lshlrev_b32_e32 v26, 16, v23
	v_or_b32_e32 v24, v26, v22
	v_mov_b32_e32 v26, v23
	v_mov_b32_e32 v22, v29
.LBB1627_141:
	s_or_b64 exec, exec, s[48:49]
	v_mov_b32_dpp v28, v24 row_shr:8 row_mask:0xf bank_mask:0xf
	v_cmp_lt_u32_e32 vcc, 7, v27
	s_and_saveexec_b64 s[48:49], vcc
	s_cbranch_execz .LBB1627_143
; %bb.142:
	v_cmp_eq_u16_e32 vcc, 0, v26
	v_and_b32_e32 v23, 1, v26
	v_mov_b32_e32 v26, 1
	v_cndmask_b32_e32 v24, 0, v28, vcc
	v_and_b32_sdwa v26, v28, v26 dst_sel:DWORD dst_unused:UNUSED_PAD src0_sel:WORD_1 src1_sel:DWORD
	v_cmp_eq_u32_e32 vcc, 1, v23
	v_add_u16_e32 v27, v24, v22
	v_add_u16_e32 v22, v24, v22
	v_cndmask_b32_e64 v23, v26, 1, vcc
	v_lshlrev_b32_e32 v26, 16, v23
	v_or_b32_e32 v24, v26, v22
	v_mov_b32_e32 v26, v23
	v_mov_b32_e32 v22, v27
.LBB1627_143:
	s_or_b64 exec, exec, s[48:49]
	v_and_b32_e32 v28, 16, v25
	v_mov_b32_dpp v27, v24 row_bcast:15 row_mask:0xf bank_mask:0xf
	v_cmp_ne_u32_e32 vcc, 0, v28
	s_and_saveexec_b64 s[48:49], vcc
	s_cbranch_execz .LBB1627_145
; %bb.144:
	v_cmp_eq_u16_e32 vcc, 0, v26
	v_and_b32_e32 v23, 1, v26
	v_mov_b32_e32 v26, 1
	v_cndmask_b32_e32 v24, 0, v27, vcc
	v_and_b32_sdwa v26, v27, v26 dst_sel:DWORD dst_unused:UNUSED_PAD src0_sel:WORD_1 src1_sel:DWORD
	v_cmp_eq_u32_e32 vcc, 1, v23
	v_add_u16_e32 v28, v24, v22
	v_add_u16_e32 v22, v24, v22
	v_cndmask_b32_e64 v23, v26, 1, vcc
	v_lshlrev_b32_e32 v26, 16, v23
	v_or_b32_e32 v24, v26, v22
	v_mov_b32_e32 v26, v23
	v_mov_b32_e32 v22, v28
.LBB1627_145:
	s_or_b64 exec, exec, s[48:49]
	v_mov_b32_dpp v24, v24 row_bcast:31 row_mask:0xf bank_mask:0xf
	v_cmp_lt_u32_e32 vcc, 31, v25
	s_and_saveexec_b64 s[48:49], vcc
; %bb.146:
	v_cmp_eq_u16_e32 vcc, 0, v26
	s_nop 1
	v_cndmask_b32_e32 v23, 0, v24, vcc
	v_add_u16_e32 v22, v23, v22
	v_and_b32_e32 v23, 1, v26
	v_mov_b32_e32 v26, 1
	v_and_b32_sdwa v24, v24, v26 dst_sel:DWORD dst_unused:UNUSED_PAD src0_sel:WORD_1 src1_sel:DWORD
	v_cmp_eq_u32_e32 vcc, 1, v23
	s_nop 1
	v_cndmask_b32_e64 v23, v24, 1, vcc
; %bb.147:
	s_or_b64 exec, exec, s[48:49]
	v_or_b32_e32 v26, 63, v0
	v_lshrrev_b32_e32 v24, 6, v0
	v_cmp_eq_u32_e32 vcc, v26, v0
	s_and_saveexec_b64 s[48:49], vcc
	s_cbranch_execz .LBB1627_149
; %bb.148:
	v_lshlrev_b32_e32 v26, 2, v24
	ds_write_b16 v26, v22
	ds_write_b8 v26, v23 offset:2
.LBB1627_149:
	s_or_b64 exec, exec, s[48:49]
	v_cmp_gt_u32_e32 vcc, 4, v0
	s_waitcnt lgkmcnt(0)
	s_barrier
	s_and_saveexec_b64 s[48:49], vcc
	s_cbranch_execz .LBB1627_155
; %bb.150:
	v_lshlrev_b32_e32 v26, 2, v0
	ds_read_b32 v27, v26
	v_and_b32_e32 v30, 3, v25
	v_cmp_ne_u32_e32 vcc, 0, v30
	s_waitcnt lgkmcnt(0)
	v_lshrrev_b32_e32 v29, 16, v27
	v_mov_b32_dpp v31, v27 row_shr:1 row_mask:0xf bank_mask:0xf
	v_mov_b32_e32 v28, v27
	s_and_saveexec_b64 s[52:53], vcc
	s_cbranch_execz .LBB1627_152
; %bb.151:
	v_mov_b32_e32 v28, 0
	v_cmp_eq_u16_sdwa vcc, v29, v28 src0_sel:BYTE_0 src1_sel:DWORD
	v_and_b32_e32 v29, 0x10000, v27
	v_mov_b32_e32 v36, 1
	v_cndmask_b32_e32 v35, 0, v31, vcc
	v_and_b32_sdwa v31, v31, v36 dst_sel:DWORD dst_unused:UNUSED_PAD src0_sel:WORD_1 src1_sel:DWORD
	v_cmp_ne_u32_e32 vcc, 0, v29
	v_and_b32_e32 v34, 0xff000000, v27
	v_add_u16_e32 v28, v35, v27
	v_cndmask_b32_e64 v29, v31, 1, vcc
	v_lshlrev_b32_e32 v31, 16, v29
	v_add_u16_e32 v27, v35, v27
	v_or3_b32 v27, v31, v34, v27
.LBB1627_152:
	s_or_b64 exec, exec, s[52:53]
	s_nop 0
	v_mov_b32_dpp v31, v27 row_shr:2 row_mask:0xf bank_mask:0xf
	v_cmp_lt_u32_e32 vcc, 1, v30
	s_and_saveexec_b64 s[52:53], vcc
; %bb.153:
	v_and_b32_e32 v29, 0xff0000, v27
	v_cmp_eq_u32_e32 vcc, 0, v29
	v_and_b32_e32 v27, 0x10000, v27
	s_nop 0
	v_cndmask_b32_e32 v29, 0, v31, vcc
	v_add_u16_e32 v28, v29, v28
	v_mov_b32_e32 v29, 1
	v_and_b32_sdwa v29, v31, v29 dst_sel:DWORD dst_unused:UNUSED_PAD src0_sel:WORD_1 src1_sel:DWORD
	v_cmp_eq_u32_e32 vcc, 0, v27
	s_nop 1
	v_cndmask_b32_e32 v29, 1, v29, vcc
; %bb.154:
	s_or_b64 exec, exec, s[52:53]
	ds_write_b16 v26, v28
	ds_write_b8 v26, v29 offset:2
.LBB1627_155:
	s_or_b64 exec, exec, s[48:49]
	v_cmp_gt_u32_e32 vcc, 64, v0
	v_cmp_lt_u32_e64 s[48:49], 63, v0
	v_mov_b32_e32 v34, 0
	v_mov_b32_e32 v35, 0
	s_waitcnt lgkmcnt(0)
	s_barrier
	s_and_saveexec_b64 s[52:53], s[48:49]
	s_cbranch_execz .LBB1627_157
; %bb.156:
	v_lshl_add_u32 v24, v24, 2, -4
	ds_read_u16 v34, v24
	ds_read_u8 v35, v24 offset:2
	v_and_b32_e32 v26, 1, v23
	v_cmp_eq_u16_e64 s[48:49], 0, v23
	s_waitcnt lgkmcnt(1)
	s_nop 0
	v_cndmask_b32_e64 v23, 0, v34, s[48:49]
	v_cmp_eq_u32_e64 s[48:49], 1, v26
	v_add_u16_e32 v22, v23, v22
	s_waitcnt lgkmcnt(0)
	v_cndmask_b32_e64 v23, v35, 1, s[48:49]
.LBB1627_157:
	s_or_b64 exec, exec, s[52:53]
	v_and_b32_e32 v23, 0xff, v23
	v_and_b32_e32 v22, 0xffff, v22
	v_lshl_or_b32 v22, v23, 16, v22
	v_add_u32_e32 v23, -1, v25
	v_and_b32_e32 v24, 64, v25
	v_cmp_lt_i32_e64 s[48:49], v23, v24
	s_nop 1
	v_cndmask_b32_e64 v23, v23, v25, s[48:49]
	v_lshlrev_b32_e32 v23, 2, v23
	ds_bpermute_b32 v36, v23, v22
	v_cmp_eq_u32_e64 s[48:49], 0, v25
	s_and_saveexec_b64 s[52:53], vcc
	s_cbranch_execz .LBB1627_204
; %bb.158:
	v_mov_b32_e32 v31, 0
	ds_read_b32 v22, v31 offset:12
	s_and_saveexec_b64 s[60:61], s[48:49]
	s_cbranch_execz .LBB1627_160
; %bb.159:
	s_add_i32 s70, s2, 64
	s_mov_b32 s71, 0
	s_lshl_b64 s[70:71], s[70:71], 3
	s_add_u32 s70, s56, s70
	v_mov_b32_e32 v23, 1
	s_addc_u32 s71, s57, s71
	s_waitcnt lgkmcnt(0)
	global_store_dwordx2 v31, v[22:23], s[70:71] sc1
.LBB1627_160:
	s_or_b64 exec, exec, s[60:61]
	v_xad_u32 v24, v25, -1, s2
	v_add_u32_e32 v30, 64, v24
	v_lshl_add_u64 v[28:29], v[30:31], 3, s[56:57]
	global_load_dwordx2 v[26:27], v[28:29], off sc1
	s_waitcnt vmcnt(0)
	v_cmp_eq_u16_sdwa s[70:71], v27, v31 src0_sel:BYTE_0 src1_sel:DWORD
	s_and_saveexec_b64 s[60:61], s[70:71]
	s_cbranch_execz .LBB1627_166
; %bb.161:
	s_mov_b32 s3, 1
	s_mov_b64 s[70:71], 0
	v_mov_b32_e32 v23, 0
.LBB1627_162:                           ; =>This Loop Header: Depth=1
                                        ;     Child Loop BB1627_163 Depth 2
	s_max_u32 s59, s3, 1
.LBB1627_163:                           ;   Parent Loop BB1627_162 Depth=1
                                        ; =>  This Inner Loop Header: Depth=2
	s_add_i32 s59, s59, -1
	s_cmp_eq_u32 s59, 0
	s_sleep 1
	s_cbranch_scc0 .LBB1627_163
; %bb.164:                              ;   in Loop: Header=BB1627_162 Depth=1
	global_load_dwordx2 v[26:27], v[28:29], off sc1
	s_cmp_lt_u32 s3, 32
	s_cselect_b64 s[72:73], -1, 0
	s_cmp_lg_u64 s[72:73], 0
	s_addc_u32 s3, s3, 0
	s_waitcnt vmcnt(0)
	v_cmp_ne_u16_sdwa s[72:73], v27, v23 src0_sel:BYTE_0 src1_sel:DWORD
	s_or_b64 s[70:71], s[72:73], s[70:71]
	s_andn2_b64 exec, exec, s[70:71]
	s_cbranch_execnz .LBB1627_162
; %bb.165:
	s_or_b64 exec, exec, s[70:71]
.LBB1627_166:
	s_or_b64 exec, exec, s[60:61]
	v_mov_b32_e32 v23, 2
	v_cmp_eq_u16_sdwa s[60:61], v27, v23 src0_sel:BYTE_0 src1_sel:DWORD
	v_lshlrev_b64 v[28:29], v25, -1
	v_and_b32_e32 v48, 0xffffff, v26
	v_and_b32_e32 v23, s61, v29
	v_or_b32_e32 v23, 0x80000000, v23
	v_ffbl_b32_e32 v23, v23
	v_add_u32_e32 v31, 32, v23
	v_and_b32_e32 v23, 63, v25
	v_cmp_ne_u32_e32 vcc, 63, v23
	v_and_b32_e32 v30, s60, v28
	v_ffbl_b32_e32 v30, v30
	v_addc_co_u32_e32 v37, vcc, 0, v25, vcc
	v_lshlrev_b32_e32 v37, 2, v37
	ds_bpermute_b32 v38, v37, v48
	v_min_u32_e32 v31, v30, v31
	v_lshrrev_b32_e32 v30, 16, v26
	v_cmp_lt_u32_e32 vcc, v23, v31
	v_bfe_u32 v46, v26, 16, 8
	s_and_saveexec_b64 s[60:61], vcc
	s_cbranch_execz .LBB1627_168
; %bb.167:
	v_and_b32_e32 v30, 0xff0000, v26
	v_cmp_eq_u32_e32 vcc, 0, v30
	v_and_b32_e32 v30, 0x10000, v30
	v_mov_b32_e32 v41, 1
	s_waitcnt lgkmcnt(0)
	v_cndmask_b32_e32 v39, 0, v38, vcc
	v_and_b32_sdwa v38, v38, v41 dst_sel:DWORD dst_unused:UNUSED_PAD src0_sel:WORD_1 src1_sel:DWORD
	v_cmp_ne_u32_e32 vcc, 0, v30
	v_add_u16_e32 v40, v39, v26
	v_add_u16_e32 v26, v39, v26
	v_cndmask_b32_e64 v30, v38, 1, vcc
	v_lshlrev_b32_e32 v38, 16, v30
	v_or_b32_e32 v48, v38, v26
	v_mov_b32_e32 v26, v40
	v_mov_b32_e32 v46, v30
.LBB1627_168:
	s_or_b64 exec, exec, s[60:61]
	v_cmp_gt_u32_e32 vcc, 62, v23
	v_add_u32_e32 v39, 2, v23
	s_waitcnt lgkmcnt(0)
	v_cndmask_b32_e64 v38, 0, 1, vcc
	v_lshlrev_b32_e32 v38, 1, v38
	v_add_lshl_u32 v38, v38, v25, 2
	ds_bpermute_b32 v40, v38, v48
	v_cmp_le_u32_e32 vcc, v39, v31
	s_and_saveexec_b64 s[60:61], vcc
	s_cbranch_execz .LBB1627_170
; %bb.169:
	v_cmp_eq_u16_e32 vcc, 0, v46
	v_and_b32_e32 v30, 1, v46
	v_mov_b32_e32 v43, 1
	s_waitcnt lgkmcnt(0)
	v_cndmask_b32_e32 v41, 0, v40, vcc
	v_and_b32_sdwa v40, v40, v43 dst_sel:DWORD dst_unused:UNUSED_PAD src0_sel:WORD_1 src1_sel:DWORD
	v_cmp_eq_u32_e32 vcc, 1, v30
	v_add_u16_e32 v42, v41, v26
	v_add_u16_e32 v26, v41, v26
	v_cndmask_b32_e64 v30, v40, 1, vcc
	v_lshlrev_b32_e32 v40, 16, v30
	v_or_b32_e32 v48, v40, v26
	v_mov_b32_e32 v26, v42
	v_mov_b32_e32 v46, v30
.LBB1627_170:
	s_or_b64 exec, exec, s[60:61]
	v_cmp_gt_u32_e32 vcc, 60, v23
	v_add_u32_e32 v41, 4, v23
	s_waitcnt lgkmcnt(0)
	v_cndmask_b32_e64 v40, 0, 1, vcc
	v_lshlrev_b32_e32 v40, 2, v40
	v_add_lshl_u32 v40, v40, v25, 2
	ds_bpermute_b32 v42, v40, v48
	v_cmp_le_u32_e32 vcc, v41, v31
	s_and_saveexec_b64 s[60:61], vcc
	s_cbranch_execz .LBB1627_172
; %bb.171:
	v_cmp_eq_u16_e32 vcc, 0, v46
	v_and_b32_e32 v30, 1, v46
	v_mov_b32_e32 v45, 1
	s_waitcnt lgkmcnt(0)
	v_cndmask_b32_e32 v43, 0, v42, vcc
	v_and_b32_sdwa v42, v42, v45 dst_sel:DWORD dst_unused:UNUSED_PAD src0_sel:WORD_1 src1_sel:DWORD
	v_cmp_eq_u32_e32 vcc, 1, v30
	v_add_u16_e32 v44, v43, v26
	v_add_u16_e32 v26, v43, v26
	v_cndmask_b32_e64 v30, v42, 1, vcc
	v_lshlrev_b32_e32 v42, 16, v30
	v_or_b32_e32 v48, v42, v26
	v_mov_b32_e32 v26, v44
	v_mov_b32_e32 v46, v30
.LBB1627_172:
	;; [unrolled: 27-line block ×4, first 2 shown]
	s_or_b64 exec, exec, s[60:61]
	v_cmp_gt_u32_e32 vcc, 32, v23
	v_add_u32_e32 v49, 32, v23
	s_waitcnt lgkmcnt(0)
	v_cndmask_b32_e64 v47, 0, 1, vcc
	v_lshlrev_b32_e32 v47, 5, v47
	v_add_lshl_u32 v47, v47, v25, 2
	ds_bpermute_b32 v25, v47, v48
	v_cmp_le_u32_e32 vcc, v49, v31
	s_and_saveexec_b64 s[60:61], vcc
	s_cbranch_execz .LBB1627_178
; %bb.177:
	v_cmp_eq_u16_e32 vcc, 0, v46
	v_mov_b32_e32 v31, 1
	s_waitcnt lgkmcnt(0)
	v_cndmask_b32_e32 v30, 0, v25, vcc
	v_add_u16_e32 v26, v30, v26
	v_and_b32_e32 v30, 1, v46
	v_and_b32_sdwa v25, v25, v31 dst_sel:DWORD dst_unused:UNUSED_PAD src0_sel:WORD_1 src1_sel:DWORD
	v_cmp_eq_u32_e32 vcc, 1, v30
	s_nop 1
	v_cndmask_b32_e64 v30, v25, 1, vcc
.LBB1627_178:
	s_or_b64 exec, exec, s[60:61]
	s_waitcnt lgkmcnt(0)
	v_mov_b32_e32 v25, 0
	v_mov_b32_e32 v52, 2
	;; [unrolled: 1-line block ×3, first 2 shown]
	s_branch .LBB1627_180
.LBB1627_179:                           ;   in Loop: Header=BB1627_180 Depth=1
	s_or_b64 exec, exec, s[60:61]
	v_cmp_eq_u16_sdwa vcc, v46, v25 src0_sel:BYTE_0 src1_sel:DWORD
	v_and_b32_e32 v30, 1, v46
	v_and_b32_e32 v31, 1, v31
	v_cndmask_b32_e32 v26, 0, v26, vcc
	v_cmp_eq_u32_e32 vcc, 1, v30
	v_subrev_u32_e32 v24, 64, v24
	v_add_u16_e32 v26, v26, v48
	v_cndmask_b32_e64 v30, v31, 1, vcc
.LBB1627_180:                           ; =>This Loop Header: Depth=1
                                        ;     Child Loop BB1627_183 Depth 2
                                        ;       Child Loop BB1627_184 Depth 3
	v_cmp_ne_u16_sdwa s[60:61], v27, v52 src0_sel:BYTE_0 src1_sel:DWORD
	v_mov_b32_e32 v46, v30
	v_mov_b32_e32 v48, v26
	v_cndmask_b32_e64 v27, 0, 1, s[60:61]
	;;#ASMSTART
	;;#ASMEND
	s_nop 0
	v_cmp_ne_u32_e32 vcc, 0, v27
	s_cmp_lg_u64 vcc, exec
	s_cbranch_scc1 .LBB1627_199
; %bb.181:                              ;   in Loop: Header=BB1627_180 Depth=1
	v_lshl_add_u64 v[30:31], v[24:25], 3, s[56:57]
	global_load_dwordx2 v[26:27], v[30:31], off sc1
	s_waitcnt vmcnt(0)
	v_cmp_eq_u16_sdwa s[70:71], v27, v25 src0_sel:BYTE_0 src1_sel:DWORD
	s_and_saveexec_b64 s[60:61], s[70:71]
	s_cbranch_execz .LBB1627_187
; %bb.182:                              ;   in Loop: Header=BB1627_180 Depth=1
	s_mov_b32 s3, 1
	s_mov_b64 s[70:71], 0
.LBB1627_183:                           ;   Parent Loop BB1627_180 Depth=1
                                        ; =>  This Loop Header: Depth=2
                                        ;       Child Loop BB1627_184 Depth 3
	s_max_u32 s59, s3, 1
.LBB1627_184:                           ;   Parent Loop BB1627_180 Depth=1
                                        ;     Parent Loop BB1627_183 Depth=2
                                        ; =>    This Inner Loop Header: Depth=3
	s_add_i32 s59, s59, -1
	s_cmp_eq_u32 s59, 0
	s_sleep 1
	s_cbranch_scc0 .LBB1627_184
; %bb.185:                              ;   in Loop: Header=BB1627_183 Depth=2
	global_load_dwordx2 v[26:27], v[30:31], off sc1
	s_cmp_lt_u32 s3, 32
	s_cselect_b64 s[72:73], -1, 0
	s_cmp_lg_u64 s[72:73], 0
	s_addc_u32 s3, s3, 0
	s_waitcnt vmcnt(0)
	v_cmp_ne_u16_sdwa s[72:73], v27, v25 src0_sel:BYTE_0 src1_sel:DWORD
	s_or_b64 s[70:71], s[72:73], s[70:71]
	s_andn2_b64 exec, exec, s[70:71]
	s_cbranch_execnz .LBB1627_183
; %bb.186:                              ;   in Loop: Header=BB1627_180 Depth=1
	s_or_b64 exec, exec, s[70:71]
.LBB1627_187:                           ;   in Loop: Header=BB1627_180 Depth=1
	s_or_b64 exec, exec, s[60:61]
	v_cmp_eq_u16_sdwa s[60:61], v27, v52 src0_sel:BYTE_0 src1_sel:DWORD
	s_waitcnt lgkmcnt(0)
	v_and_b32_e32 v55, 0xffffff, v26
	ds_bpermute_b32 v56, v37, v55
	v_and_b32_e32 v30, s61, v29
	v_or_b32_e32 v30, 0x80000000, v30
	v_and_b32_e32 v31, s60, v28
	v_ffbl_b32_e32 v30, v30
	v_add_u32_e32 v30, 32, v30
	v_ffbl_b32_e32 v31, v31
	v_min_u32_e32 v30, v31, v30
	v_lshrrev_b32_e32 v31, 16, v26
	v_cmp_lt_u32_e32 vcc, v23, v30
	v_bfe_u32 v54, v26, 16, 8
	s_and_saveexec_b64 s[60:61], vcc
	s_cbranch_execz .LBB1627_189
; %bb.188:                              ;   in Loop: Header=BB1627_180 Depth=1
	v_and_b32_e32 v31, 0xff0000, v26
	v_cmp_eq_u32_e32 vcc, 0, v31
	v_and_b32_e32 v31, 0x10000, v31
	s_waitcnt lgkmcnt(0)
	v_and_b32_sdwa v55, v56, v53 dst_sel:DWORD dst_unused:UNUSED_PAD src0_sel:WORD_1 src1_sel:DWORD
	v_cndmask_b32_e32 v54, 0, v56, vcc
	v_cmp_ne_u32_e32 vcc, 0, v31
	v_add_u16_e32 v57, v54, v26
	v_add_u16_e32 v26, v54, v26
	v_cndmask_b32_e64 v31, v55, 1, vcc
	v_lshlrev_b32_e32 v55, 16, v31
	v_or_b32_e32 v55, v55, v26
	v_mov_b32_e32 v26, v57
	v_mov_b32_e32 v54, v31
.LBB1627_189:                           ;   in Loop: Header=BB1627_180 Depth=1
	s_or_b64 exec, exec, s[60:61]
	s_waitcnt lgkmcnt(0)
	ds_bpermute_b32 v56, v38, v55
	v_cmp_le_u32_e32 vcc, v39, v30
	s_and_saveexec_b64 s[60:61], vcc
	s_cbranch_execz .LBB1627_191
; %bb.190:                              ;   in Loop: Header=BB1627_180 Depth=1
	v_cmp_eq_u16_e32 vcc, 0, v54
	v_and_b32_e32 v31, 1, v54
	s_waitcnt lgkmcnt(0)
	v_and_b32_sdwa v54, v56, v53 dst_sel:DWORD dst_unused:UNUSED_PAD src0_sel:WORD_1 src1_sel:DWORD
	v_cndmask_b32_e32 v55, 0, v56, vcc
	v_cmp_eq_u32_e32 vcc, 1, v31
	v_add_u16_e32 v57, v55, v26
	v_add_u16_e32 v26, v55, v26
	v_cndmask_b32_e64 v31, v54, 1, vcc
	v_lshlrev_b32_e32 v54, 16, v31
	v_or_b32_e32 v55, v54, v26
	v_mov_b32_e32 v26, v57
	v_mov_b32_e32 v54, v31
.LBB1627_191:                           ;   in Loop: Header=BB1627_180 Depth=1
	s_or_b64 exec, exec, s[60:61]
	s_waitcnt lgkmcnt(0)
	ds_bpermute_b32 v56, v40, v55
	v_cmp_le_u32_e32 vcc, v41, v30
	s_and_saveexec_b64 s[60:61], vcc
	s_cbranch_execz .LBB1627_193
; %bb.192:                              ;   in Loop: Header=BB1627_180 Depth=1
	v_cmp_eq_u16_e32 vcc, 0, v54
	v_and_b32_e32 v31, 1, v54
	s_waitcnt lgkmcnt(0)
	v_and_b32_sdwa v54, v56, v53 dst_sel:DWORD dst_unused:UNUSED_PAD src0_sel:WORD_1 src1_sel:DWORD
	v_cndmask_b32_e32 v55, 0, v56, vcc
	v_cmp_eq_u32_e32 vcc, 1, v31
	v_add_u16_e32 v57, v55, v26
	v_add_u16_e32 v26, v55, v26
	v_cndmask_b32_e64 v31, v54, 1, vcc
	v_lshlrev_b32_e32 v54, 16, v31
	v_or_b32_e32 v55, v54, v26
	v_mov_b32_e32 v26, v57
	v_mov_b32_e32 v54, v31
.LBB1627_193:                           ;   in Loop: Header=BB1627_180 Depth=1
	;; [unrolled: 21-line block ×4, first 2 shown]
	s_or_b64 exec, exec, s[60:61]
	ds_bpermute_b32 v55, v47, v55
	v_cmp_le_u32_e32 vcc, v49, v30
	s_and_saveexec_b64 s[60:61], vcc
	s_cbranch_execz .LBB1627_179
; %bb.198:                              ;   in Loop: Header=BB1627_180 Depth=1
	v_cmp_eq_u16_e32 vcc, 0, v54
	s_waitcnt lgkmcnt(0)
	v_lshrrev_b32_e32 v31, 16, v55
	v_cndmask_b32_e32 v30, 0, v55, vcc
	v_add_u16_e32 v26, v30, v26
	v_and_b32_e32 v30, 1, v54
	v_cmp_eq_u32_e32 vcc, 1, v30
	s_nop 1
	v_cndmask_b32_e64 v31, v31, 1, vcc
	s_branch .LBB1627_179
.LBB1627_199:                           ;   in Loop: Header=BB1627_180 Depth=1
                                        ; implicit-def: $vgpr30
                                        ; implicit-def: $vgpr26
	s_cbranch_execz .LBB1627_180
; %bb.200:
	s_and_saveexec_b64 s[60:61], s[48:49]
	s_cbranch_execz .LBB1627_202
; %bb.201:
	v_and_b32_e32 v23, 0xff0000, v22
	s_mov_b32 s3, 0
	v_cmp_eq_u32_e32 vcc, 0, v23
	v_and_b32_e32 v24, 0x10000, v22
	v_mov_b32_e32 v25, 1
	s_add_i32 s2, s2, 64
	v_cndmask_b32_e32 v23, 0, v48, vcc
	v_and_b32_sdwa v25, v46, v25 dst_sel:WORD_1 dst_unused:UNUSED_PAD src0_sel:DWORD src1_sel:DWORD
	v_mov_b32_e32 v26, 0x10000
	v_cmp_eq_u32_e32 vcc, 0, v24
	s_lshl_b64 s[2:3], s[2:3], 3
	s_add_u32 s2, s56, s2
	v_cndmask_b32_e32 v24, v26, v25, vcc
	v_add_u16_e32 v22, v23, v22
	s_addc_u32 s3, s57, s3
	v_mov_b32_e32 v25, 0
	v_or_b32_e32 v22, v24, v22
	v_mov_b32_e32 v23, 2
	global_store_dwordx2 v25, v[22:23], s[2:3] sc1
.LBB1627_202:
	s_or_b64 exec, exec, s[60:61]
	v_cmp_eq_u32_e32 vcc, 0, v0
	s_and_b64 exec, exec, vcc
	s_cbranch_execz .LBB1627_204
; %bb.203:
	v_mov_b32_e32 v22, 0
	ds_write_b16 v22, v48 offset:12
	ds_write_b8 v22, v46 offset:14
.LBB1627_204:
	s_or_b64 exec, exec, s[52:53]
	v_mov_b32_e32 v22, 0
	s_waitcnt lgkmcnt(0)
	s_barrier
	ds_read_b32 v23, v22 offset:12
	v_lshrrev_b32_e32 v24, 16, v36
	v_cndmask_b32_e64 v24, v24, v35, s[48:49]
	v_cmp_eq_u16_sdwa vcc, v24, v22 src0_sel:BYTE_0 src1_sel:DWORD
	v_cndmask_b32_e64 v25, v36, v34, s[48:49]
	s_waitcnt lgkmcnt(0)
	v_cndmask_b32_e32 v22, 0, v23, vcc
	v_add_u16_e32 v22, v22, v25
	v_cmp_eq_u32_e32 vcc, 0, v0
	s_nop 1
	v_cndmask_b32_e32 v24, v22, v23, vcc
	v_and_b32_e32 v22, 0xff0000, v1
	v_cmp_eq_u32_e32 vcc, 0, v22
	s_nop 1
	v_cndmask_b32_e32 v22, 0, v24, vcc
	v_add_u16_e32 v22, v22, v1
	v_cndmask_b32_e64 v23, 0, v22, s[50:51]
	v_add_u16_e32 v23, v23, v50
	v_cndmask_b32_e64 v25, 0, v23, s[4:5]
	;; [unrolled: 2-line block ×22, first 2 shown]
	v_add_u16_e32 v47, v47, v17
	s_branch .LBB1627_255
.LBB1627_205:
	s_or_b64 exec, exec, s[52:53]
                                        ; implicit-def: $vgpr3
	s_and_saveexec_b64 s[52:53], s[50:51]
	s_cbranch_execz .LBB1627_53
.LBB1627_206:
	v_lshlrev_b32_e32 v20, 1, v0
	v_mov_b32_e32 v21, 0
	v_lshl_add_u64 v[20:21], s[70:71], 0, v[20:21]
	flat_load_ushort v3, v[20:21] offset:512
	s_or_b64 exec, exec, s[52:53]
                                        ; implicit-def: $vgpr20
	s_and_saveexec_b64 s[50:51], s[4:5]
	s_cbranch_execnz .LBB1627_54
.LBB1627_207:
	s_or_b64 exec, exec, s[50:51]
                                        ; implicit-def: $vgpr21
	s_and_saveexec_b64 s[4:5], s[6:7]
	s_cbranch_execz .LBB1627_55
.LBB1627_208:
	v_lshlrev_b32_e32 v46, 1, v0
	v_mov_b32_e32 v47, 0
	v_lshl_add_u64 v[46:47], s[70:71], 0, v[46:47]
	flat_load_ushort v21, v[46:47] offset:1536
	s_or_b64 exec, exec, s[4:5]
                                        ; implicit-def: $vgpr46
	s_and_saveexec_b64 s[4:5], s[8:9]
	s_cbranch_execnz .LBB1627_56
.LBB1627_209:
	s_or_b64 exec, exec, s[4:5]
                                        ; implicit-def: $vgpr47
	s_and_saveexec_b64 s[4:5], s[10:11]
	s_cbranch_execz .LBB1627_57
.LBB1627_210:
	v_lshlrev_b32_e32 v48, 1, v0
	v_mov_b32_e32 v49, 0
	v_lshl_add_u64 v[48:49], s[70:71], 0, v[48:49]
	flat_load_ushort v47, v[48:49] offset:2560
	s_or_b64 exec, exec, s[4:5]
                                        ; implicit-def: $vgpr48
	s_and_saveexec_b64 s[4:5], s[12:13]
	s_cbranch_execnz .LBB1627_58
.LBB1627_211:
	s_or_b64 exec, exec, s[4:5]
                                        ; implicit-def: $vgpr49
	s_and_saveexec_b64 s[4:5], s[14:15]
	s_cbranch_execz .LBB1627_59
.LBB1627_212:
	v_lshlrev_b32_e32 v50, 1, v0
	v_mov_b32_e32 v51, 0
	v_lshl_add_u64 v[50:51], s[70:71], 0, v[50:51]
	flat_load_ushort v49, v[50:51] offset:3584
	s_or_b64 exec, exec, s[4:5]
                                        ; implicit-def: $vgpr50
	s_and_saveexec_b64 s[4:5], s[16:17]
	s_cbranch_execnz .LBB1627_60
.LBB1627_213:
	s_or_b64 exec, exec, s[4:5]
                                        ; implicit-def: $vgpr1
	s_and_saveexec_b64 s[4:5], s[18:19]
	s_cbranch_execz .LBB1627_61
.LBB1627_214:
	v_lshlrev_b32_e32 v54, 1, v4
	v_mov_b32_e32 v55, 0
	v_lshl_add_u64 v[54:55], s[70:71], 0, v[54:55]
	flat_load_ushort v1, v[54:55]
	s_or_b64 exec, exec, s[4:5]
                                        ; implicit-def: $vgpr4
	s_and_saveexec_b64 s[4:5], s[20:21]
	s_cbranch_execnz .LBB1627_62
.LBB1627_215:
	s_or_b64 exec, exec, s[4:5]
                                        ; implicit-def: $vgpr5
	s_and_saveexec_b64 s[4:5], s[22:23]
	s_cbranch_execz .LBB1627_63
.LBB1627_216:
	v_lshlrev_b32_e32 v54, 1, v6
	v_mov_b32_e32 v55, 0
	v_lshl_add_u64 v[54:55], s[70:71], 0, v[54:55]
	flat_load_ushort v5, v[54:55]
	s_or_b64 exec, exec, s[4:5]
                                        ; implicit-def: $vgpr6
	s_and_saveexec_b64 s[4:5], s[24:25]
	s_cbranch_execnz .LBB1627_64
.LBB1627_217:
	s_or_b64 exec, exec, s[4:5]
                                        ; implicit-def: $vgpr7
	s_and_saveexec_b64 s[4:5], s[26:27]
	s_cbranch_execz .LBB1627_65
.LBB1627_218:
	v_lshlrev_b32_e32 v54, 1, v8
	v_mov_b32_e32 v55, 0
	v_lshl_add_u64 v[54:55], s[70:71], 0, v[54:55]
	flat_load_ushort v7, v[54:55]
	s_or_b64 exec, exec, s[4:5]
                                        ; implicit-def: $vgpr8
	s_and_saveexec_b64 s[4:5], s[28:29]
	s_cbranch_execnz .LBB1627_66
.LBB1627_219:
	s_or_b64 exec, exec, s[4:5]
                                        ; implicit-def: $vgpr9
	s_and_saveexec_b64 s[4:5], s[30:31]
	s_cbranch_execz .LBB1627_67
.LBB1627_220:
	v_lshlrev_b32_e32 v54, 1, v10
	v_mov_b32_e32 v55, 0
	v_lshl_add_u64 v[54:55], s[70:71], 0, v[54:55]
	flat_load_ushort v9, v[54:55]
	s_or_b64 exec, exec, s[4:5]
                                        ; implicit-def: $vgpr10
	s_and_saveexec_b64 s[4:5], s[34:35]
	s_cbranch_execnz .LBB1627_68
.LBB1627_221:
	s_or_b64 exec, exec, s[4:5]
                                        ; implicit-def: $vgpr11
	s_and_saveexec_b64 s[4:5], s[36:37]
	s_cbranch_execz .LBB1627_69
.LBB1627_222:
	v_lshlrev_b32_e32 v54, 1, v12
	v_mov_b32_e32 v55, 0
	v_lshl_add_u64 v[54:55], s[70:71], 0, v[54:55]
	flat_load_ushort v11, v[54:55]
	s_or_b64 exec, exec, s[4:5]
                                        ; implicit-def: $vgpr12
	s_and_saveexec_b64 s[4:5], s[38:39]
	s_cbranch_execnz .LBB1627_70
.LBB1627_223:
	s_or_b64 exec, exec, s[4:5]
                                        ; implicit-def: $vgpr13
	s_and_saveexec_b64 s[4:5], s[40:41]
	s_cbranch_execz .LBB1627_71
.LBB1627_224:
	v_lshlrev_b32_e32 v54, 1, v14
	v_mov_b32_e32 v55, 0
	v_lshl_add_u64 v[54:55], s[70:71], 0, v[54:55]
	flat_load_ushort v13, v[54:55]
	s_or_b64 exec, exec, s[4:5]
                                        ; implicit-def: $vgpr14
	s_and_saveexec_b64 s[4:5], s[42:43]
	s_cbranch_execnz .LBB1627_72
.LBB1627_225:
	s_or_b64 exec, exec, s[4:5]
                                        ; implicit-def: $vgpr15
	s_and_saveexec_b64 s[4:5], s[44:45]
	s_cbranch_execz .LBB1627_73
.LBB1627_226:
	v_lshlrev_b32_e32 v54, 1, v16
	v_mov_b32_e32 v55, 0
	v_lshl_add_u64 v[54:55], s[70:71], 0, v[54:55]
	flat_load_ushort v15, v[54:55]
	s_or_b64 exec, exec, s[4:5]
                                        ; implicit-def: $vgpr16
	s_and_saveexec_b64 s[4:5], s[46:47]
	s_cbranch_execz .LBB1627_75
	s_branch .LBB1627_74
.LBB1627_227:
                                        ; implicit-def: $vgpr24
                                        ; implicit-def: $vgpr22
                                        ; implicit-def: $vgpr23
                                        ; implicit-def: $vgpr25
                                        ; implicit-def: $vgpr26
                                        ; implicit-def: $vgpr27
                                        ; implicit-def: $vgpr29
                                        ; implicit-def: $vgpr31
                                        ; implicit-def: $vgpr28
                                        ; implicit-def: $vgpr30
                                        ; implicit-def: $vgpr34
                                        ; implicit-def: $vgpr35
                                        ; implicit-def: $vgpr36
                                        ; implicit-def: $vgpr37
                                        ; implicit-def: $vgpr39
                                        ; implicit-def: $vgpr41
                                        ; implicit-def: $vgpr38
                                        ; implicit-def: $vgpr40
                                        ; implicit-def: $vgpr42
                                        ; implicit-def: $vgpr43
                                        ; implicit-def: $vgpr44
                                        ; implicit-def: $vgpr45
                                        ; implicit-def: $vgpr46
                                        ; implicit-def: $vgpr47
	s_cbranch_execz .LBB1627_255
; %bb.228:
	s_cmp_lg_u64 s[68:69], 0
	s_cselect_b32 s3, s63, 0
	s_cselect_b32 s2, s62, 0
	s_cmp_eq_u64 s[2:3], 0
	v_mov_b32_e32 v47, s80
	s_cbranch_scc1 .LBB1627_230
; %bb.229:
	v_mov_b32_e32 v22, 0
	global_load_ushort v47, v22, s[2:3]
.LBB1627_230:
	s_mov_b32 s50, 0x10000
	v_cmp_gt_u32_e32 vcc, s50, v50
	v_cmp_gt_u32_e64 s[2:3], s50, v21
	v_cmp_gt_u32_e64 s[4:5], s50, v20
	v_cndmask_b32_e32 v22, 0, v1, vcc
	v_add_u16_e32 v22, v22, v50
	v_cndmask_b32_e64 v22, 0, v22, s[2:3]
	v_add_u16_e32 v22, v22, v21
	v_cndmask_b32_e64 v22, 0, v22, s[4:5]
	v_add_u16_e32 v22, v22, v20
	v_cmp_gt_u32_e64 s[6:7], s50, v19
	v_cmp_gt_u32_e64 s[8:9], s50, v18
	v_cmp_gt_u32_e64 s[10:11], s50, v51
	v_cndmask_b32_e64 v22, 0, v22, s[6:7]
	v_add_u16_e32 v22, v22, v19
	v_cndmask_b32_e64 v22, 0, v22, s[8:9]
	v_add_u16_e32 v22, v22, v18
	v_cndmask_b32_e64 v22, 0, v22, s[10:11]
	v_add_u16_e32 v22, v22, v51
	v_cmp_gt_u32_e64 s[12:13], s50, v9
	v_cmp_gt_u32_e64 s[14:15], s50, v8
	v_cmp_gt_u32_e64 s[16:17], s50, v7
	v_cndmask_b32_e64 v22, 0, v22, s[12:13]
	v_add_u16_e32 v22, v22, v9
	v_cndmask_b32_e64 v22, 0, v22, s[14:15]
	v_add_u16_e32 v22, v22, v8
	v_cndmask_b32_e64 v22, 0, v22, s[16:17]
	v_add_u16_e32 v22, v22, v7
	v_cmp_gt_u32_e64 s[18:19], s50, v6
	v_cmp_gt_u32_e64 s[20:21], s50, v5
	v_cmp_gt_u32_e64 s[22:23], s50, v4
	v_cndmask_b32_e64 v22, 0, v22, s[18:19]
	v_add_u16_e32 v22, v22, v6
	v_cndmask_b32_e64 v22, 0, v22, s[20:21]
	v_add_u16_e32 v22, v22, v5
	v_cndmask_b32_e64 v22, 0, v22, s[22:23]
	v_add_u16_e32 v22, v22, v4
	v_cmp_gt_u32_e64 s[24:25], s50, v3
	v_cmp_gt_u32_e64 s[26:27], s50, v2
	v_cmp_gt_u32_e64 s[28:29], s50, v10
	v_cndmask_b32_e64 v22, 0, v22, s[24:25]
	v_add_u16_e32 v22, v22, v3
	v_cndmask_b32_e64 v22, 0, v22, s[26:27]
	v_add_u16_e32 v22, v22, v2
	v_cndmask_b32_e64 v22, 0, v22, s[28:29]
	v_add_u16_e32 v22, v22, v10
	v_cmp_gt_u32_e64 s[30:31], s50, v11
	v_cmp_gt_u32_e64 s[34:35], s50, v12
	v_cmp_gt_u32_e64 s[36:37], s50, v13
	v_cndmask_b32_e64 v22, 0, v22, s[30:31]
	v_add_u16_e32 v22, v22, v11
	v_cndmask_b32_e64 v22, 0, v22, s[34:35]
	v_add_u16_e32 v22, v22, v12
	v_cndmask_b32_e64 v22, 0, v22, s[36:37]
	v_add_u16_e32 v22, v22, v13
	v_cmp_gt_u32_e64 s[38:39], s50, v14
	v_bfe_u32 v25, v19, 16, 1
	v_cmp_gt_u32_e64 s[40:41], s50, v15
	v_cndmask_b32_e64 v22, 0, v22, s[38:39]
	v_add_u16_e32 v22, v22, v14
	v_lshlrev_b16_e32 v26, 1, v25
	v_mov_b32_e32 v25, 1
	v_cndmask_b32_e64 v22, 0, v22, s[40:41]
	v_and_b32_sdwa v27, v18, v25 dst_sel:DWORD dst_unused:UNUSED_PAD src0_sel:WORD_1 src1_sel:DWORD
	v_add_u16_e32 v22, v22, v15
	v_cmp_gt_u32_e64 s[42:43], s50, v16
	v_or_b32_e32 v26, v27, v26
	v_bfe_u32 v27, v21, 16, 1
	v_and_b32_sdwa v28, v20, v25 dst_sel:DWORD dst_unused:UNUSED_PAD src0_sel:WORD_1 src1_sel:DWORD
	v_cndmask_b32_e64 v22, 0, v22, s[42:43]
	v_lshlrev_b16_e32 v27, 3, v27
	v_lshlrev_b16_e32 v28, 2, v28
	v_add_u16_e32 v22, v22, v16
	v_cmp_gt_u32_e64 s[44:45], s50, v17
	v_or_b32_e32 v27, v27, v28
	v_or_b32_e32 v26, v26, v27
	v_cndmask_b32_e64 v22, 0, v22, s[44:45]
	v_and_b32_e32 v27, 0x10000, v51
	v_add_u16_e32 v22, v22, v17
	v_cmp_gt_u32_e64 s[50:51], s50, v32
	v_and_b32_e32 v28, 0x10000, v32
	v_cmp_ne_u32_e64 s[48:49], 0, v27
	v_cndmask_b32_e64 v27, 0, v22, s[50:51]
	v_cmp_ne_u32_e64 s[50:51], 0, v28
	v_or_b32_e32 v28, v16, v8
	v_or_b32_e32 v29, v17, v9
	;; [unrolled: 1-line block ×7, first 2 shown]
	v_bfe_u32 v31, v31, 16, 1
	v_bfe_u32 v29, v29, 16, 1
	v_and_b32_sdwa v28, v28, v25 dst_sel:DWORD dst_unused:UNUSED_PAD src0_sel:WORD_1 src1_sel:DWORD
	v_or_b32_e32 v36, v10, v2
	v_bfe_u32 v37, v37, 16, 1
	v_bfe_u32 v35, v35, 16, 1
	v_and_b32_sdwa v34, v34, v25 dst_sel:DWORD dst_unused:UNUSED_PAD src0_sel:WORD_1 src1_sel:DWORD
	v_lshlrev_b16_e32 v31, 1, v31
	v_and_b32_sdwa v30, v30, v25 dst_sel:DWORD dst_unused:UNUSED_PAD src0_sel:WORD_1 src1_sel:DWORD
	v_lshlrev_b16_e32 v29, 3, v29
	v_lshlrev_b16_e32 v28, 2, v28
	;; [unrolled: 1-line block ×3, first 2 shown]
	v_and_b32_sdwa v36, v36, v25 dst_sel:DWORD dst_unused:UNUSED_PAD src0_sel:WORD_1 src1_sel:DWORD
	v_lshlrev_b16_e32 v35, 3, v35
	v_lshlrev_b16_e32 v34, 2, v34
	v_or_b32_e32 v30, v30, v31
	v_or_b32_e32 v28, v29, v28
	;; [unrolled: 1-line block ×6, first 2 shown]
	v_lshlrev_b16_e32 v28, 4, v28
	v_or_b32_e32 v28, v34, v28
	v_or_b32_e32 v26, v28, v26
	v_mov_b32_e32 v28, 0
	v_cmp_ne_u16_sdwa s[52:53], v26, v28 src0_sel:BYTE_0 src1_sel:DWORD
	v_and_b32_e32 v24, 0x10000, v50
	s_or_b64 s[50:51], s[50:51], s[52:53]
	v_cmp_ne_u32_e64 s[46:47], 0, v24
	s_or_b64 s[48:49], s[50:51], s[48:49]
	v_mov_b32_e32 v23, 0x10000
	v_and_b32_e32 v24, 0x10000, v1
	s_or_b64 s[46:47], s[48:49], s[46:47]
	v_cndmask_b32_e64 v28, v24, v23, s[46:47]
	v_add_u16_e32 v26, v27, v32
	v_mbcnt_hi_u32_b32 v23, -1, v33
	v_add_u16_e32 v22, v27, v32
	v_and_b32_e32 v27, 15, v23
	v_or_b32_e32 v26, v28, v26
	v_lshrrev_b32_e32 v24, 16, v28
	v_cmp_ne_u32_e64 s[46:47], 0, v27
	v_mov_b32_dpp v29, v26 row_shr:1 row_mask:0xf bank_mask:0xf
	s_and_saveexec_b64 s[48:49], s[46:47]
; %bb.231:
	v_cmp_eq_u32_e64 s[46:47], 0, v28
	v_and_b32_e32 v24, 0x10000, v28
	v_and_b32_sdwa v25, v29, v25 dst_sel:DWORD dst_unused:UNUSED_PAD src0_sel:WORD_1 src1_sel:DWORD
	v_cndmask_b32_e64 v26, 0, v29, s[46:47]
	v_cmp_ne_u32_e64 s[46:47], 0, v24
	v_add_u16_e32 v30, v26, v22
	v_add_u16_e32 v22, v26, v22
	v_cndmask_b32_e64 v24, v25, 1, s[46:47]
	v_lshlrev_b32_e32 v25, 16, v24
	v_or_b32_e32 v26, v25, v22
	v_mov_b32_e32 v22, v30
; %bb.232:
	s_or_b64 exec, exec, s[48:49]
	v_lshrrev_b32_e32 v25, 16, v26
	v_mov_b32_dpp v28, v26 row_shr:2 row_mask:0xf bank_mask:0xf
	v_cmp_lt_u32_e64 s[46:47], 1, v27
	s_and_saveexec_b64 s[48:49], s[46:47]
	s_cbranch_execz .LBB1627_234
; %bb.233:
	s_mov_b32 s46, 0x10000
	v_cmp_gt_u32_e64 s[46:47], s46, v26
	v_and_b32_e32 v24, 0x10000, v26
	v_mov_b32_e32 v26, 1
	v_cndmask_b32_e64 v25, 0, v28, s[46:47]
	v_and_b32_sdwa v26, v28, v26 dst_sel:DWORD dst_unused:UNUSED_PAD src0_sel:WORD_1 src1_sel:DWORD
	v_cmp_ne_u32_e64 s[46:47], 0, v24
	v_add_u16_e32 v29, v25, v22
	v_add_u16_e32 v22, v25, v22
	v_cndmask_b32_e64 v24, v26, 1, s[46:47]
	v_lshlrev_b32_e32 v26, 16, v24
	v_or_b32_e32 v26, v26, v22
	v_mov_b32_e32 v25, v24
	v_mov_b32_e32 v22, v29
.LBB1627_234:
	s_or_b64 exec, exec, s[48:49]
	v_mov_b32_dpp v28, v26 row_shr:4 row_mask:0xf bank_mask:0xf
	v_cmp_lt_u32_e64 s[46:47], 3, v27
	s_and_saveexec_b64 s[48:49], s[46:47]
	s_cbranch_execz .LBB1627_236
; %bb.235:
	v_cmp_eq_u16_e64 s[46:47], 0, v25
	v_and_b32_e32 v24, 1, v25
	v_mov_b32_e32 v25, 1
	v_cndmask_b32_e64 v26, 0, v28, s[46:47]
	v_and_b32_sdwa v25, v28, v25 dst_sel:DWORD dst_unused:UNUSED_PAD src0_sel:WORD_1 src1_sel:DWORD
	v_cmp_eq_u32_e64 s[46:47], 1, v24
	v_add_u16_e32 v29, v26, v22
	v_add_u16_e32 v22, v26, v22
	v_cndmask_b32_e64 v24, v25, 1, s[46:47]
	v_lshlrev_b32_e32 v25, 16, v24
	v_or_b32_e32 v26, v25, v22
	v_mov_b32_e32 v25, v24
	v_mov_b32_e32 v22, v29
.LBB1627_236:
	s_or_b64 exec, exec, s[48:49]
	v_mov_b32_dpp v28, v26 row_shr:8 row_mask:0xf bank_mask:0xf
	v_cmp_lt_u32_e64 s[46:47], 7, v27
	s_and_saveexec_b64 s[48:49], s[46:47]
	s_cbranch_execz .LBB1627_238
; %bb.237:
	v_cmp_eq_u16_e64 s[46:47], 0, v25
	v_and_b32_e32 v24, 1, v25
	v_mov_b32_e32 v25, 1
	v_cndmask_b32_e64 v26, 0, v28, s[46:47]
	v_and_b32_sdwa v25, v28, v25 dst_sel:DWORD dst_unused:UNUSED_PAD src0_sel:WORD_1 src1_sel:DWORD
	v_cmp_eq_u32_e64 s[46:47], 1, v24
	v_add_u16_e32 v27, v26, v22
	v_add_u16_e32 v22, v26, v22
	v_cndmask_b32_e64 v24, v25, 1, s[46:47]
	v_lshlrev_b32_e32 v25, 16, v24
	v_or_b32_e32 v26, v25, v22
	v_mov_b32_e32 v25, v24
	v_mov_b32_e32 v22, v27
.LBB1627_238:
	s_or_b64 exec, exec, s[48:49]
	v_and_b32_e32 v28, 16, v23
	v_mov_b32_dpp v27, v26 row_bcast:15 row_mask:0xf bank_mask:0xf
	v_cmp_ne_u32_e64 s[46:47], 0, v28
	s_and_saveexec_b64 s[48:49], s[46:47]
	s_cbranch_execz .LBB1627_240
; %bb.239:
	v_cmp_eq_u16_e64 s[46:47], 0, v25
	v_and_b32_e32 v24, 1, v25
	v_mov_b32_e32 v25, 1
	v_cndmask_b32_e64 v26, 0, v27, s[46:47]
	v_and_b32_sdwa v25, v27, v25 dst_sel:DWORD dst_unused:UNUSED_PAD src0_sel:WORD_1 src1_sel:DWORD
	v_cmp_eq_u32_e64 s[46:47], 1, v24
	v_add_u16_e32 v28, v26, v22
	v_add_u16_e32 v22, v26, v22
	v_cndmask_b32_e64 v24, v25, 1, s[46:47]
	v_lshlrev_b32_e32 v25, 16, v24
	v_or_b32_e32 v26, v25, v22
	v_mov_b32_e32 v25, v24
	v_mov_b32_e32 v22, v28
.LBB1627_240:
	s_or_b64 exec, exec, s[48:49]
	v_mov_b32_dpp v26, v26 row_bcast:31 row_mask:0xf bank_mask:0xf
	v_cmp_lt_u32_e64 s[46:47], 31, v23
	s_and_saveexec_b64 s[48:49], s[46:47]
; %bb.241:
	v_cmp_eq_u16_e64 s[46:47], 0, v25
	s_nop 1
	v_cndmask_b32_e64 v24, 0, v26, s[46:47]
	v_add_u16_e32 v22, v24, v22
	v_and_b32_e32 v24, 1, v25
	v_mov_b32_e32 v25, 1
	v_and_b32_sdwa v25, v26, v25 dst_sel:DWORD dst_unused:UNUSED_PAD src0_sel:WORD_1 src1_sel:DWORD
	v_cmp_eq_u32_e64 s[46:47], 1, v24
	s_nop 1
	v_cndmask_b32_e64 v24, v25, 1, s[46:47]
; %bb.242:
	s_or_b64 exec, exec, s[48:49]
	v_or_b32_e32 v26, 63, v0
	v_lshrrev_b32_e32 v25, 6, v0
	v_cmp_eq_u32_e64 s[46:47], v26, v0
	s_and_saveexec_b64 s[48:49], s[46:47]
	s_cbranch_execz .LBB1627_244
; %bb.243:
	v_lshlrev_b32_e32 v26, 2, v25
	ds_write_b16 v26, v22
	ds_write_b8 v26, v24 offset:2
.LBB1627_244:
	s_or_b64 exec, exec, s[48:49]
	v_cmp_gt_u32_e64 s[46:47], 4, v0
	s_waitcnt lgkmcnt(0)
	s_barrier
	s_and_saveexec_b64 s[48:49], s[46:47]
	s_cbranch_execz .LBB1627_250
; %bb.245:
	v_lshlrev_b32_e32 v26, 2, v0
	ds_read_b32 v27, v26
	v_and_b32_e32 v30, 3, v23
	v_cmp_ne_u32_e64 s[46:47], 0, v30
	s_waitcnt lgkmcnt(0)
	v_lshrrev_b32_e32 v29, 16, v27
	v_mov_b32_dpp v31, v27 row_shr:1 row_mask:0xf bank_mask:0xf
	v_mov_b32_e32 v28, v27
	s_and_saveexec_b64 s[50:51], s[46:47]
	s_cbranch_execz .LBB1627_247
; %bb.246:
	v_mov_b32_e32 v28, 0
	v_cmp_eq_u16_sdwa s[46:47], v29, v28 src0_sel:BYTE_0 src1_sel:DWORD
	v_and_b32_e32 v29, 0x10000, v27
	v_mov_b32_e32 v34, 1
	v_cndmask_b32_e64 v33, 0, v31, s[46:47]
	v_and_b32_sdwa v31, v31, v34 dst_sel:DWORD dst_unused:UNUSED_PAD src0_sel:WORD_1 src1_sel:DWORD
	v_cmp_ne_u32_e64 s[46:47], 0, v29
	v_and_b32_e32 v32, 0xff000000, v27
	v_add_u16_e32 v28, v33, v27
	v_cndmask_b32_e64 v29, v31, 1, s[46:47]
	v_lshlrev_b32_e32 v31, 16, v29
	v_add_u16_e32 v27, v33, v27
	v_or3_b32 v27, v31, v32, v27
.LBB1627_247:
	s_or_b64 exec, exec, s[50:51]
	s_nop 0
	v_mov_b32_dpp v31, v27 row_shr:2 row_mask:0xf bank_mask:0xf
	v_cmp_lt_u32_e64 s[46:47], 1, v30
	s_and_saveexec_b64 s[50:51], s[46:47]
; %bb.248:
	v_and_b32_e32 v29, 0xff0000, v27
	v_cmp_eq_u32_e64 s[46:47], 0, v29
	v_and_b32_e32 v27, 0x10000, v27
	s_nop 0
	v_cndmask_b32_e64 v29, 0, v31, s[46:47]
	v_add_u16_e32 v28, v29, v28
	v_mov_b32_e32 v29, 1
	v_and_b32_sdwa v29, v31, v29 dst_sel:DWORD dst_unused:UNUSED_PAD src0_sel:WORD_1 src1_sel:DWORD
	v_cmp_eq_u32_e64 s[46:47], 0, v27
	s_nop 1
	v_cndmask_b32_e64 v29, 1, v29, s[46:47]
; %bb.249:
	s_or_b64 exec, exec, s[50:51]
	ds_write_b16 v26, v28
	ds_write_b8 v26, v29 offset:2
.LBB1627_250:
	s_or_b64 exec, exec, s[48:49]
	v_cmp_lt_u32_e64 s[46:47], 63, v0
	v_mov_b32_e32 v27, 0
	s_waitcnt vmcnt(0)
	v_mov_b32_e32 v26, v47
	s_waitcnt lgkmcnt(0)
	s_barrier
	s_and_saveexec_b64 s[48:49], s[46:47]
	s_cbranch_execz .LBB1627_252
; %bb.251:
	v_lshl_add_u32 v25, v25, 2, -4
	ds_read_u8 v27, v25 offset:2
	ds_read_u16 v25, v25
	s_waitcnt lgkmcnt(1)
	v_cmp_eq_u16_e64 s[46:47], 0, v27
	s_nop 1
	v_cndmask_b32_e64 v26, 0, v47, s[46:47]
	s_waitcnt lgkmcnt(0)
	v_add_u16_e32 v26, v26, v25
.LBB1627_252:
	s_or_b64 exec, exec, s[48:49]
	v_cmp_eq_u16_e64 s[46:47], 0, v24
	v_and_b32_e32 v24, 1, v24
	v_lshlrev_b32_e32 v27, 16, v27
	v_cndmask_b32_e64 v25, 0, v26, s[46:47]
	v_mov_b32_e32 v28, 0x10000
	v_cmp_eq_u32_e64 s[46:47], 1, v24
	v_add_u16_e32 v22, v25, v22
	v_and_b32_e32 v25, 64, v23
	v_cndmask_b32_e64 v24, v27, v28, s[46:47]
	v_or_b32_e32 v22, v24, v22
	v_add_u32_e32 v24, -1, v23
	v_cmp_lt_i32_e64 s[46:47], v24, v25
	s_nop 1
	v_cndmask_b32_e64 v24, v24, v23, s[46:47]
	v_lshlrev_b32_e32 v24, 2, v24
	ds_bpermute_b32 v22, v24, v22
	v_cmp_eq_u32_e64 s[46:47], 0, v23
	v_and_b32_e32 v23, 0xff0000, v1
	v_cmp_eq_u32_e64 s[48:49], 0, v23
	s_waitcnt lgkmcnt(0)
	v_cndmask_b32_e64 v24, v22, v26, s[46:47]
	v_cmp_eq_u32_e64 s[46:47], 0, v0
	s_nop 1
	v_cndmask_b32_e64 v22, v24, v47, s[46:47]
	v_cndmask_b32_e64 v22, 0, v22, s[48:49]
	v_add_u16_e32 v22, v22, v1
	v_cndmask_b32_e32 v1, 0, v22, vcc
	v_add_u16_e32 v23, v1, v50
	v_cndmask_b32_e64 v1, 0, v23, s[2:3]
	v_add_u16_e32 v25, v1, v21
	v_cndmask_b32_e64 v1, 0, v25, s[4:5]
	;; [unrolled: 2-line block ×21, first 2 shown]
	s_and_saveexec_b64 s[2:3], s[46:47]
	s_cbranch_execz .LBB1627_254
; %bb.253:
	v_mov_b32_e32 v4, 0
	ds_read_u8 v2, v4 offset:14
	ds_read_u16 v5, v4 offset:12
	v_mov_b32_e32 v3, 2
	v_mov_b32_e32 v24, v47
	s_waitcnt lgkmcnt(1)
	v_cmp_eq_u32_e32 vcc, 0, v2
	v_lshlrev_b32_e32 v6, 16, v2
	s_nop 0
	v_cndmask_b32_e32 v2, 0, v47, vcc
	s_waitcnt lgkmcnt(0)
	v_add_u32_e32 v2, v2, v5
	v_or_b32_sdwa v2, v6, v2 dst_sel:DWORD dst_unused:UNUSED_PAD src0_sel:DWORD src1_sel:WORD_0
	global_store_dwordx2 v4, v[2:3], s[56:57] offset:512 sc1
.LBB1627_254:
	s_or_b64 exec, exec, s[2:3]
	v_add_u16_e32 v47, v1, v17
.LBB1627_255:
	s_add_u32 s2, s54, s64
	s_addc_u32 s3, s55, s65
	s_add_u32 s2, s2, s66
	v_mul_u32_u24_e32 v1, 24, v0
	s_addc_u32 s3, s3, s67
	s_and_b64 vcc, exec, s[0:1]
	v_lshlrev_b32_e32 v6, 1, v1
	v_lshlrev_b32_e32 v2, 1, v0
	s_cbranch_vccz .LBB1627_303
; %bb.256:
	s_mov_b32 s0, 0x5040100
	v_perm_b32 v11, v31, v29, s0
	v_perm_b32 v10, v27, v26, s0
	;; [unrolled: 1-line block ×4, first 2 shown]
	s_barrier
	ds_write_b128 v6, v[8:11]
	v_perm_b32 v11, v41, v39, s0
	v_perm_b32 v10, v37, v36, s0
	;; [unrolled: 1-line block ×4, first 2 shown]
	ds_write_b128 v6, v[8:11] offset:16
	v_perm_b32 v11, v47, v46, s0
	v_perm_b32 v10, v45, v44, s0
	;; [unrolled: 1-line block ×4, first 2 shown]
	s_movk_i32 s0, 0xffd2
	v_mad_i32_i24 v3, v0, s0, v6
	ds_write_b128 v6, v[8:11] offset:32
	s_waitcnt lgkmcnt(0)
	s_barrier
	ds_read_u16 v52, v3 offset:512
	ds_read_u16 v51, v3 offset:1024
	;; [unrolled: 1-line block ×23, first 2 shown]
	s_add_i32 s33, s33, s58
	v_mov_b32_e32 v3, 0
	v_lshl_add_u64 v[4:5], s[2:3], 0, v[2:3]
	v_cmp_gt_u32_e32 vcc, s33, v0
	s_and_saveexec_b64 s[0:1], vcc
	s_cbranch_execz .LBB1627_258
; %bb.257:
	v_mul_i32_i24_e32 v53, 0xffffffd2, v0
	v_add_u32_e32 v53, v6, v53
	ds_read_u16 v53, v53
	s_waitcnt lgkmcnt(0)
	flat_store_short v[4:5], v53
.LBB1627_258:
	s_or_b64 exec, exec, s[0:1]
	v_or_b32_e32 v53, 0x100, v0
	v_cmp_gt_u32_e32 vcc, s33, v53
	s_and_saveexec_b64 s[0:1], vcc
	s_cbranch_execz .LBB1627_260
; %bb.259:
	s_waitcnt lgkmcnt(0)
	flat_store_short v[4:5], v52 offset:512
.LBB1627_260:
	s_or_b64 exec, exec, s[0:1]
	s_waitcnt lgkmcnt(0)
	v_or_b32_e32 v52, 0x200, v0
	v_cmp_gt_u32_e32 vcc, s33, v52
	s_and_saveexec_b64 s[0:1], vcc
	s_cbranch_execz .LBB1627_262
; %bb.261:
	flat_store_short v[4:5], v51 offset:1024
.LBB1627_262:
	s_or_b64 exec, exec, s[0:1]
	v_or_b32_e32 v51, 0x300, v0
	v_cmp_gt_u32_e32 vcc, s33, v51
	s_and_saveexec_b64 s[0:1], vcc
	s_cbranch_execz .LBB1627_264
; %bb.263:
	flat_store_short v[4:5], v50 offset:1536
.LBB1627_264:
	s_or_b64 exec, exec, s[0:1]
	;; [unrolled: 8-line block ×6, first 2 shown]
	v_or_b32_e32 v32, 0x800, v0
	v_cmp_gt_u32_e32 vcc, s33, v32
	s_and_saveexec_b64 s[0:1], vcc
	s_cbranch_execz .LBB1627_274
; %bb.273:
	v_add_co_u32_e32 v32, vcc, 0x1000, v4
	s_nop 1
	v_addc_co_u32_e32 v33, vcc, 0, v5, vcc
	flat_store_short v[32:33], v21
.LBB1627_274:
	s_or_b64 exec, exec, s[0:1]
	v_or_b32_e32 v21, 0x900, v0
	v_cmp_gt_u32_e32 vcc, s33, v21
	s_and_saveexec_b64 s[0:1], vcc
	s_cbranch_execz .LBB1627_276
; %bb.275:
	v_add_co_u32_e32 v32, vcc, 0x1000, v4
	s_nop 1
	v_addc_co_u32_e32 v33, vcc, 0, v5, vcc
	flat_store_short v[32:33], v20 offset:512
.LBB1627_276:
	s_or_b64 exec, exec, s[0:1]
	v_or_b32_e32 v20, 0xa00, v0
	v_cmp_gt_u32_e32 vcc, s33, v20
	s_and_saveexec_b64 s[0:1], vcc
	s_cbranch_execz .LBB1627_278
; %bb.277:
	v_add_co_u32_e32 v20, vcc, 0x1000, v4
	s_nop 1
	v_addc_co_u32_e32 v21, vcc, 0, v5, vcc
	flat_store_short v[20:21], v19 offset:1024
.LBB1627_278:
	;; [unrolled: 11-line block ×7, first 2 shown]
	s_or_b64 exec, exec, s[0:1]
	v_or_b32_e32 v14, 0x1000, v0
	v_cmp_gt_u32_e32 vcc, s33, v14
	s_and_saveexec_b64 s[0:1], vcc
	s_cbranch_execz .LBB1627_290
; %bb.289:
	v_add_co_u32_e32 v14, vcc, 0x2000, v4
	s_nop 1
	v_addc_co_u32_e32 v15, vcc, 0, v5, vcc
	flat_store_short v[14:15], v13
.LBB1627_290:
	s_or_b64 exec, exec, s[0:1]
	v_or_b32_e32 v13, 0x1100, v0
	v_cmp_gt_u32_e32 vcc, s33, v13
	s_and_saveexec_b64 s[0:1], vcc
	s_cbranch_execz .LBB1627_292
; %bb.291:
	v_add_co_u32_e32 v14, vcc, 0x2000, v4
	s_nop 1
	v_addc_co_u32_e32 v15, vcc, 0, v5, vcc
	flat_store_short v[14:15], v12 offset:512
.LBB1627_292:
	s_or_b64 exec, exec, s[0:1]
	v_or_b32_e32 v12, 0x1200, v0
	v_cmp_gt_u32_e32 vcc, s33, v12
	s_and_saveexec_b64 s[0:1], vcc
	s_cbranch_execz .LBB1627_294
; %bb.293:
	v_add_co_u32_e32 v12, vcc, 0x2000, v4
	s_nop 1
	v_addc_co_u32_e32 v13, vcc, 0, v5, vcc
	flat_store_short v[12:13], v11 offset:1024
.LBB1627_294:
	;; [unrolled: 11-line block ×6, first 2 shown]
	s_or_b64 exec, exec, s[0:1]
	v_mov_b32_e32 v1, v3
	v_or_b32_e32 v3, 0x1700, v0
	v_cmp_gt_u32_e64 s[0:1], s33, v3
	s_branch .LBB1627_305
.LBB1627_303:
	s_mov_b64 s[0:1], 0
                                        ; implicit-def: $vgpr7
	s_cbranch_execz .LBB1627_305
; %bb.304:
	s_mov_b32 s4, 0x5040100
	v_perm_b32 v11, v31, v29, s4
	v_perm_b32 v10, v27, v26, s4
	;; [unrolled: 1-line block ×4, first 2 shown]
	s_waitcnt lgkmcnt(0)
	s_barrier
	ds_write_b128 v6, v[8:11]
	v_perm_b32 v11, v41, v39, s4
	v_perm_b32 v10, v37, v36, s4
	;; [unrolled: 1-line block ×4, first 2 shown]
	ds_write_b128 v6, v[8:11] offset:16
	v_perm_b32 v11, v47, v46, s4
	v_perm_b32 v10, v45, v44, s4
	;; [unrolled: 1-line block ×4, first 2 shown]
	s_movk_i32 s4, 0xffd2
	v_mov_b32_e32 v1, 0
	v_mad_i32_i24 v3, v0, s4, v6
	ds_write_b128 v6, v[8:11] offset:32
	s_waitcnt lgkmcnt(0)
	s_barrier
	ds_read_u16 v4, v3
	ds_read_u16 v5, v3 offset:512
	ds_read_u16 v6, v3 offset:1024
	;; [unrolled: 1-line block ×23, first 2 shown]
	v_mov_b32_e32 v3, v1
	v_lshl_add_u64 v[2:3], s[2:3], 0, v[2:3]
	s_movk_i32 s4, 0x1000
	s_waitcnt lgkmcnt(0)
	flat_store_short v[2:3], v4
	flat_store_short v[2:3], v5 offset:512
	flat_store_short v[2:3], v6 offset:1024
	;; [unrolled: 1-line block ×7, first 2 shown]
	v_add_co_u32_e32 v4, vcc, s4, v2
	s_or_b64 s[0:1], s[0:1], exec
	s_nop 0
	v_addc_co_u32_e32 v5, vcc, 0, v3, vcc
	v_add_co_u32_e32 v2, vcc, 0x2000, v2
	flat_store_short v[4:5], v13
	flat_store_short v[4:5], v14 offset:512
	flat_store_short v[4:5], v15 offset:1024
	;; [unrolled: 1-line block ×7, first 2 shown]
	v_addc_co_u32_e32 v3, vcc, 0, v3, vcc
	flat_store_short v[2:3], v21
	flat_store_short v[2:3], v22 offset:512
	flat_store_short v[2:3], v23 offset:1024
	;; [unrolled: 1-line block ×6, first 2 shown]
.LBB1627_305:
	s_and_saveexec_b64 s[4:5], s[0:1]
	s_cbranch_execz .LBB1627_307
; %bb.306:
	v_lshl_add_u64 v[0:1], v[0:1], 1, s[2:3]
	v_add_co_u32_e32 v0, vcc, 0x2000, v0
	s_nop 1
	v_addc_co_u32_e32 v1, vcc, 0, v1, vcc
	flat_store_short v[0:1], v7 offset:3584
	s_endpgm
.LBB1627_307:
	s_endpgm
	.section	.rodata,"a",@progbits
	.p2align	6, 0x0
	.amdhsa_kernel _ZN7rocprim17ROCPRIM_400000_NS6detail17trampoline_kernelINS0_14default_configENS1_27scan_by_key_config_selectorIisEEZZNS1_16scan_by_key_implILNS1_25lookback_scan_determinismE0ELb1ES3_N6thrust23THRUST_200600_302600_NS6detail15normal_iteratorINS9_10device_ptrIiEEEENSB_INSC_IsEEEESG_sNS9_4plusIvEENS9_8equal_toIvEEsEE10hipError_tPvRmT2_T3_T4_T5_mT6_T7_P12ihipStream_tbENKUlT_T0_E_clISt17integral_constantIbLb1EES10_IbLb0EEEEDaSW_SX_EUlSW_E_NS1_11comp_targetILNS1_3genE5ELNS1_11target_archE942ELNS1_3gpuE9ELNS1_3repE0EEENS1_30default_config_static_selectorELNS0_4arch9wavefront6targetE1EEEvT1_
		.amdhsa_group_segment_fixed_size 26624
		.amdhsa_private_segment_fixed_size 0
		.amdhsa_kernarg_size 112
		.amdhsa_user_sgpr_count 2
		.amdhsa_user_sgpr_dispatch_ptr 0
		.amdhsa_user_sgpr_queue_ptr 0
		.amdhsa_user_sgpr_kernarg_segment_ptr 1
		.amdhsa_user_sgpr_dispatch_id 0
		.amdhsa_user_sgpr_kernarg_preload_length 0
		.amdhsa_user_sgpr_kernarg_preload_offset 0
		.amdhsa_user_sgpr_private_segment_size 0
		.amdhsa_uses_dynamic_stack 0
		.amdhsa_enable_private_segment 0
		.amdhsa_system_sgpr_workgroup_id_x 1
		.amdhsa_system_sgpr_workgroup_id_y 0
		.amdhsa_system_sgpr_workgroup_id_z 0
		.amdhsa_system_sgpr_workgroup_info 0
		.amdhsa_system_vgpr_workitem_id 0
		.amdhsa_next_free_vgpr 58
		.amdhsa_next_free_sgpr 92
		.amdhsa_accum_offset 60
		.amdhsa_reserve_vcc 1
		.amdhsa_float_round_mode_32 0
		.amdhsa_float_round_mode_16_64 0
		.amdhsa_float_denorm_mode_32 3
		.amdhsa_float_denorm_mode_16_64 3
		.amdhsa_dx10_clamp 1
		.amdhsa_ieee_mode 1
		.amdhsa_fp16_overflow 0
		.amdhsa_tg_split 0
		.amdhsa_exception_fp_ieee_invalid_op 0
		.amdhsa_exception_fp_denorm_src 0
		.amdhsa_exception_fp_ieee_div_zero 0
		.amdhsa_exception_fp_ieee_overflow 0
		.amdhsa_exception_fp_ieee_underflow 0
		.amdhsa_exception_fp_ieee_inexact 0
		.amdhsa_exception_int_div_zero 0
	.end_amdhsa_kernel
	.section	.text._ZN7rocprim17ROCPRIM_400000_NS6detail17trampoline_kernelINS0_14default_configENS1_27scan_by_key_config_selectorIisEEZZNS1_16scan_by_key_implILNS1_25lookback_scan_determinismE0ELb1ES3_N6thrust23THRUST_200600_302600_NS6detail15normal_iteratorINS9_10device_ptrIiEEEENSB_INSC_IsEEEESG_sNS9_4plusIvEENS9_8equal_toIvEEsEE10hipError_tPvRmT2_T3_T4_T5_mT6_T7_P12ihipStream_tbENKUlT_T0_E_clISt17integral_constantIbLb1EES10_IbLb0EEEEDaSW_SX_EUlSW_E_NS1_11comp_targetILNS1_3genE5ELNS1_11target_archE942ELNS1_3gpuE9ELNS1_3repE0EEENS1_30default_config_static_selectorELNS0_4arch9wavefront6targetE1EEEvT1_,"axG",@progbits,_ZN7rocprim17ROCPRIM_400000_NS6detail17trampoline_kernelINS0_14default_configENS1_27scan_by_key_config_selectorIisEEZZNS1_16scan_by_key_implILNS1_25lookback_scan_determinismE0ELb1ES3_N6thrust23THRUST_200600_302600_NS6detail15normal_iteratorINS9_10device_ptrIiEEEENSB_INSC_IsEEEESG_sNS9_4plusIvEENS9_8equal_toIvEEsEE10hipError_tPvRmT2_T3_T4_T5_mT6_T7_P12ihipStream_tbENKUlT_T0_E_clISt17integral_constantIbLb1EES10_IbLb0EEEEDaSW_SX_EUlSW_E_NS1_11comp_targetILNS1_3genE5ELNS1_11target_archE942ELNS1_3gpuE9ELNS1_3repE0EEENS1_30default_config_static_selectorELNS0_4arch9wavefront6targetE1EEEvT1_,comdat
.Lfunc_end1627:
	.size	_ZN7rocprim17ROCPRIM_400000_NS6detail17trampoline_kernelINS0_14default_configENS1_27scan_by_key_config_selectorIisEEZZNS1_16scan_by_key_implILNS1_25lookback_scan_determinismE0ELb1ES3_N6thrust23THRUST_200600_302600_NS6detail15normal_iteratorINS9_10device_ptrIiEEEENSB_INSC_IsEEEESG_sNS9_4plusIvEENS9_8equal_toIvEEsEE10hipError_tPvRmT2_T3_T4_T5_mT6_T7_P12ihipStream_tbENKUlT_T0_E_clISt17integral_constantIbLb1EES10_IbLb0EEEEDaSW_SX_EUlSW_E_NS1_11comp_targetILNS1_3genE5ELNS1_11target_archE942ELNS1_3gpuE9ELNS1_3repE0EEENS1_30default_config_static_selectorELNS0_4arch9wavefront6targetE1EEEvT1_, .Lfunc_end1627-_ZN7rocprim17ROCPRIM_400000_NS6detail17trampoline_kernelINS0_14default_configENS1_27scan_by_key_config_selectorIisEEZZNS1_16scan_by_key_implILNS1_25lookback_scan_determinismE0ELb1ES3_N6thrust23THRUST_200600_302600_NS6detail15normal_iteratorINS9_10device_ptrIiEEEENSB_INSC_IsEEEESG_sNS9_4plusIvEENS9_8equal_toIvEEsEE10hipError_tPvRmT2_T3_T4_T5_mT6_T7_P12ihipStream_tbENKUlT_T0_E_clISt17integral_constantIbLb1EES10_IbLb0EEEEDaSW_SX_EUlSW_E_NS1_11comp_targetILNS1_3genE5ELNS1_11target_archE942ELNS1_3gpuE9ELNS1_3repE0EEENS1_30default_config_static_selectorELNS0_4arch9wavefront6targetE1EEEvT1_
                                        ; -- End function
	.section	.AMDGPU.csdata,"",@progbits
; Kernel info:
; codeLenInByte = 16476
; NumSgprs: 98
; NumVgprs: 58
; NumAgprs: 0
; TotalNumVgprs: 58
; ScratchSize: 0
; MemoryBound: 0
; FloatMode: 240
; IeeeMode: 1
; LDSByteSize: 26624 bytes/workgroup (compile time only)
; SGPRBlocks: 12
; VGPRBlocks: 7
; NumSGPRsForWavesPerEU: 98
; NumVGPRsForWavesPerEU: 58
; AccumOffset: 60
; Occupancy: 2
; WaveLimiterHint : 1
; COMPUTE_PGM_RSRC2:SCRATCH_EN: 0
; COMPUTE_PGM_RSRC2:USER_SGPR: 2
; COMPUTE_PGM_RSRC2:TRAP_HANDLER: 0
; COMPUTE_PGM_RSRC2:TGID_X_EN: 1
; COMPUTE_PGM_RSRC2:TGID_Y_EN: 0
; COMPUTE_PGM_RSRC2:TGID_Z_EN: 0
; COMPUTE_PGM_RSRC2:TIDIG_COMP_CNT: 0
; COMPUTE_PGM_RSRC3_GFX90A:ACCUM_OFFSET: 14
; COMPUTE_PGM_RSRC3_GFX90A:TG_SPLIT: 0
	.section	.text._ZN7rocprim17ROCPRIM_400000_NS6detail17trampoline_kernelINS0_14default_configENS1_27scan_by_key_config_selectorIisEEZZNS1_16scan_by_key_implILNS1_25lookback_scan_determinismE0ELb1ES3_N6thrust23THRUST_200600_302600_NS6detail15normal_iteratorINS9_10device_ptrIiEEEENSB_INSC_IsEEEESG_sNS9_4plusIvEENS9_8equal_toIvEEsEE10hipError_tPvRmT2_T3_T4_T5_mT6_T7_P12ihipStream_tbENKUlT_T0_E_clISt17integral_constantIbLb1EES10_IbLb0EEEEDaSW_SX_EUlSW_E_NS1_11comp_targetILNS1_3genE4ELNS1_11target_archE910ELNS1_3gpuE8ELNS1_3repE0EEENS1_30default_config_static_selectorELNS0_4arch9wavefront6targetE1EEEvT1_,"axG",@progbits,_ZN7rocprim17ROCPRIM_400000_NS6detail17trampoline_kernelINS0_14default_configENS1_27scan_by_key_config_selectorIisEEZZNS1_16scan_by_key_implILNS1_25lookback_scan_determinismE0ELb1ES3_N6thrust23THRUST_200600_302600_NS6detail15normal_iteratorINS9_10device_ptrIiEEEENSB_INSC_IsEEEESG_sNS9_4plusIvEENS9_8equal_toIvEEsEE10hipError_tPvRmT2_T3_T4_T5_mT6_T7_P12ihipStream_tbENKUlT_T0_E_clISt17integral_constantIbLb1EES10_IbLb0EEEEDaSW_SX_EUlSW_E_NS1_11comp_targetILNS1_3genE4ELNS1_11target_archE910ELNS1_3gpuE8ELNS1_3repE0EEENS1_30default_config_static_selectorELNS0_4arch9wavefront6targetE1EEEvT1_,comdat
	.protected	_ZN7rocprim17ROCPRIM_400000_NS6detail17trampoline_kernelINS0_14default_configENS1_27scan_by_key_config_selectorIisEEZZNS1_16scan_by_key_implILNS1_25lookback_scan_determinismE0ELb1ES3_N6thrust23THRUST_200600_302600_NS6detail15normal_iteratorINS9_10device_ptrIiEEEENSB_INSC_IsEEEESG_sNS9_4plusIvEENS9_8equal_toIvEEsEE10hipError_tPvRmT2_T3_T4_T5_mT6_T7_P12ihipStream_tbENKUlT_T0_E_clISt17integral_constantIbLb1EES10_IbLb0EEEEDaSW_SX_EUlSW_E_NS1_11comp_targetILNS1_3genE4ELNS1_11target_archE910ELNS1_3gpuE8ELNS1_3repE0EEENS1_30default_config_static_selectorELNS0_4arch9wavefront6targetE1EEEvT1_ ; -- Begin function _ZN7rocprim17ROCPRIM_400000_NS6detail17trampoline_kernelINS0_14default_configENS1_27scan_by_key_config_selectorIisEEZZNS1_16scan_by_key_implILNS1_25lookback_scan_determinismE0ELb1ES3_N6thrust23THRUST_200600_302600_NS6detail15normal_iteratorINS9_10device_ptrIiEEEENSB_INSC_IsEEEESG_sNS9_4plusIvEENS9_8equal_toIvEEsEE10hipError_tPvRmT2_T3_T4_T5_mT6_T7_P12ihipStream_tbENKUlT_T0_E_clISt17integral_constantIbLb1EES10_IbLb0EEEEDaSW_SX_EUlSW_E_NS1_11comp_targetILNS1_3genE4ELNS1_11target_archE910ELNS1_3gpuE8ELNS1_3repE0EEENS1_30default_config_static_selectorELNS0_4arch9wavefront6targetE1EEEvT1_
	.globl	_ZN7rocprim17ROCPRIM_400000_NS6detail17trampoline_kernelINS0_14default_configENS1_27scan_by_key_config_selectorIisEEZZNS1_16scan_by_key_implILNS1_25lookback_scan_determinismE0ELb1ES3_N6thrust23THRUST_200600_302600_NS6detail15normal_iteratorINS9_10device_ptrIiEEEENSB_INSC_IsEEEESG_sNS9_4plusIvEENS9_8equal_toIvEEsEE10hipError_tPvRmT2_T3_T4_T5_mT6_T7_P12ihipStream_tbENKUlT_T0_E_clISt17integral_constantIbLb1EES10_IbLb0EEEEDaSW_SX_EUlSW_E_NS1_11comp_targetILNS1_3genE4ELNS1_11target_archE910ELNS1_3gpuE8ELNS1_3repE0EEENS1_30default_config_static_selectorELNS0_4arch9wavefront6targetE1EEEvT1_
	.p2align	8
	.type	_ZN7rocprim17ROCPRIM_400000_NS6detail17trampoline_kernelINS0_14default_configENS1_27scan_by_key_config_selectorIisEEZZNS1_16scan_by_key_implILNS1_25lookback_scan_determinismE0ELb1ES3_N6thrust23THRUST_200600_302600_NS6detail15normal_iteratorINS9_10device_ptrIiEEEENSB_INSC_IsEEEESG_sNS9_4plusIvEENS9_8equal_toIvEEsEE10hipError_tPvRmT2_T3_T4_T5_mT6_T7_P12ihipStream_tbENKUlT_T0_E_clISt17integral_constantIbLb1EES10_IbLb0EEEEDaSW_SX_EUlSW_E_NS1_11comp_targetILNS1_3genE4ELNS1_11target_archE910ELNS1_3gpuE8ELNS1_3repE0EEENS1_30default_config_static_selectorELNS0_4arch9wavefront6targetE1EEEvT1_,@function
_ZN7rocprim17ROCPRIM_400000_NS6detail17trampoline_kernelINS0_14default_configENS1_27scan_by_key_config_selectorIisEEZZNS1_16scan_by_key_implILNS1_25lookback_scan_determinismE0ELb1ES3_N6thrust23THRUST_200600_302600_NS6detail15normal_iteratorINS9_10device_ptrIiEEEENSB_INSC_IsEEEESG_sNS9_4plusIvEENS9_8equal_toIvEEsEE10hipError_tPvRmT2_T3_T4_T5_mT6_T7_P12ihipStream_tbENKUlT_T0_E_clISt17integral_constantIbLb1EES10_IbLb0EEEEDaSW_SX_EUlSW_E_NS1_11comp_targetILNS1_3genE4ELNS1_11target_archE910ELNS1_3gpuE8ELNS1_3repE0EEENS1_30default_config_static_selectorELNS0_4arch9wavefront6targetE1EEEvT1_: ; @_ZN7rocprim17ROCPRIM_400000_NS6detail17trampoline_kernelINS0_14default_configENS1_27scan_by_key_config_selectorIisEEZZNS1_16scan_by_key_implILNS1_25lookback_scan_determinismE0ELb1ES3_N6thrust23THRUST_200600_302600_NS6detail15normal_iteratorINS9_10device_ptrIiEEEENSB_INSC_IsEEEESG_sNS9_4plusIvEENS9_8equal_toIvEEsEE10hipError_tPvRmT2_T3_T4_T5_mT6_T7_P12ihipStream_tbENKUlT_T0_E_clISt17integral_constantIbLb1EES10_IbLb0EEEEDaSW_SX_EUlSW_E_NS1_11comp_targetILNS1_3genE4ELNS1_11target_archE910ELNS1_3gpuE8ELNS1_3repE0EEENS1_30default_config_static_selectorELNS0_4arch9wavefront6targetE1EEEvT1_
; %bb.0:
	.section	.rodata,"a",@progbits
	.p2align	6, 0x0
	.amdhsa_kernel _ZN7rocprim17ROCPRIM_400000_NS6detail17trampoline_kernelINS0_14default_configENS1_27scan_by_key_config_selectorIisEEZZNS1_16scan_by_key_implILNS1_25lookback_scan_determinismE0ELb1ES3_N6thrust23THRUST_200600_302600_NS6detail15normal_iteratorINS9_10device_ptrIiEEEENSB_INSC_IsEEEESG_sNS9_4plusIvEENS9_8equal_toIvEEsEE10hipError_tPvRmT2_T3_T4_T5_mT6_T7_P12ihipStream_tbENKUlT_T0_E_clISt17integral_constantIbLb1EES10_IbLb0EEEEDaSW_SX_EUlSW_E_NS1_11comp_targetILNS1_3genE4ELNS1_11target_archE910ELNS1_3gpuE8ELNS1_3repE0EEENS1_30default_config_static_selectorELNS0_4arch9wavefront6targetE1EEEvT1_
		.amdhsa_group_segment_fixed_size 0
		.amdhsa_private_segment_fixed_size 0
		.amdhsa_kernarg_size 112
		.amdhsa_user_sgpr_count 2
		.amdhsa_user_sgpr_dispatch_ptr 0
		.amdhsa_user_sgpr_queue_ptr 0
		.amdhsa_user_sgpr_kernarg_segment_ptr 1
		.amdhsa_user_sgpr_dispatch_id 0
		.amdhsa_user_sgpr_kernarg_preload_length 0
		.amdhsa_user_sgpr_kernarg_preload_offset 0
		.amdhsa_user_sgpr_private_segment_size 0
		.amdhsa_uses_dynamic_stack 0
		.amdhsa_enable_private_segment 0
		.amdhsa_system_sgpr_workgroup_id_x 1
		.amdhsa_system_sgpr_workgroup_id_y 0
		.amdhsa_system_sgpr_workgroup_id_z 0
		.amdhsa_system_sgpr_workgroup_info 0
		.amdhsa_system_vgpr_workitem_id 0
		.amdhsa_next_free_vgpr 1
		.amdhsa_next_free_sgpr 0
		.amdhsa_accum_offset 4
		.amdhsa_reserve_vcc 0
		.amdhsa_float_round_mode_32 0
		.amdhsa_float_round_mode_16_64 0
		.amdhsa_float_denorm_mode_32 3
		.amdhsa_float_denorm_mode_16_64 3
		.amdhsa_dx10_clamp 1
		.amdhsa_ieee_mode 1
		.amdhsa_fp16_overflow 0
		.amdhsa_tg_split 0
		.amdhsa_exception_fp_ieee_invalid_op 0
		.amdhsa_exception_fp_denorm_src 0
		.amdhsa_exception_fp_ieee_div_zero 0
		.amdhsa_exception_fp_ieee_overflow 0
		.amdhsa_exception_fp_ieee_underflow 0
		.amdhsa_exception_fp_ieee_inexact 0
		.amdhsa_exception_int_div_zero 0
	.end_amdhsa_kernel
	.section	.text._ZN7rocprim17ROCPRIM_400000_NS6detail17trampoline_kernelINS0_14default_configENS1_27scan_by_key_config_selectorIisEEZZNS1_16scan_by_key_implILNS1_25lookback_scan_determinismE0ELb1ES3_N6thrust23THRUST_200600_302600_NS6detail15normal_iteratorINS9_10device_ptrIiEEEENSB_INSC_IsEEEESG_sNS9_4plusIvEENS9_8equal_toIvEEsEE10hipError_tPvRmT2_T3_T4_T5_mT6_T7_P12ihipStream_tbENKUlT_T0_E_clISt17integral_constantIbLb1EES10_IbLb0EEEEDaSW_SX_EUlSW_E_NS1_11comp_targetILNS1_3genE4ELNS1_11target_archE910ELNS1_3gpuE8ELNS1_3repE0EEENS1_30default_config_static_selectorELNS0_4arch9wavefront6targetE1EEEvT1_,"axG",@progbits,_ZN7rocprim17ROCPRIM_400000_NS6detail17trampoline_kernelINS0_14default_configENS1_27scan_by_key_config_selectorIisEEZZNS1_16scan_by_key_implILNS1_25lookback_scan_determinismE0ELb1ES3_N6thrust23THRUST_200600_302600_NS6detail15normal_iteratorINS9_10device_ptrIiEEEENSB_INSC_IsEEEESG_sNS9_4plusIvEENS9_8equal_toIvEEsEE10hipError_tPvRmT2_T3_T4_T5_mT6_T7_P12ihipStream_tbENKUlT_T0_E_clISt17integral_constantIbLb1EES10_IbLb0EEEEDaSW_SX_EUlSW_E_NS1_11comp_targetILNS1_3genE4ELNS1_11target_archE910ELNS1_3gpuE8ELNS1_3repE0EEENS1_30default_config_static_selectorELNS0_4arch9wavefront6targetE1EEEvT1_,comdat
.Lfunc_end1628:
	.size	_ZN7rocprim17ROCPRIM_400000_NS6detail17trampoline_kernelINS0_14default_configENS1_27scan_by_key_config_selectorIisEEZZNS1_16scan_by_key_implILNS1_25lookback_scan_determinismE0ELb1ES3_N6thrust23THRUST_200600_302600_NS6detail15normal_iteratorINS9_10device_ptrIiEEEENSB_INSC_IsEEEESG_sNS9_4plusIvEENS9_8equal_toIvEEsEE10hipError_tPvRmT2_T3_T4_T5_mT6_T7_P12ihipStream_tbENKUlT_T0_E_clISt17integral_constantIbLb1EES10_IbLb0EEEEDaSW_SX_EUlSW_E_NS1_11comp_targetILNS1_3genE4ELNS1_11target_archE910ELNS1_3gpuE8ELNS1_3repE0EEENS1_30default_config_static_selectorELNS0_4arch9wavefront6targetE1EEEvT1_, .Lfunc_end1628-_ZN7rocprim17ROCPRIM_400000_NS6detail17trampoline_kernelINS0_14default_configENS1_27scan_by_key_config_selectorIisEEZZNS1_16scan_by_key_implILNS1_25lookback_scan_determinismE0ELb1ES3_N6thrust23THRUST_200600_302600_NS6detail15normal_iteratorINS9_10device_ptrIiEEEENSB_INSC_IsEEEESG_sNS9_4plusIvEENS9_8equal_toIvEEsEE10hipError_tPvRmT2_T3_T4_T5_mT6_T7_P12ihipStream_tbENKUlT_T0_E_clISt17integral_constantIbLb1EES10_IbLb0EEEEDaSW_SX_EUlSW_E_NS1_11comp_targetILNS1_3genE4ELNS1_11target_archE910ELNS1_3gpuE8ELNS1_3repE0EEENS1_30default_config_static_selectorELNS0_4arch9wavefront6targetE1EEEvT1_
                                        ; -- End function
	.section	.AMDGPU.csdata,"",@progbits
; Kernel info:
; codeLenInByte = 0
; NumSgprs: 6
; NumVgprs: 0
; NumAgprs: 0
; TotalNumVgprs: 0
; ScratchSize: 0
; MemoryBound: 0
; FloatMode: 240
; IeeeMode: 1
; LDSByteSize: 0 bytes/workgroup (compile time only)
; SGPRBlocks: 0
; VGPRBlocks: 0
; NumSGPRsForWavesPerEU: 6
; NumVGPRsForWavesPerEU: 1
; AccumOffset: 4
; Occupancy: 8
; WaveLimiterHint : 0
; COMPUTE_PGM_RSRC2:SCRATCH_EN: 0
; COMPUTE_PGM_RSRC2:USER_SGPR: 2
; COMPUTE_PGM_RSRC2:TRAP_HANDLER: 0
; COMPUTE_PGM_RSRC2:TGID_X_EN: 1
; COMPUTE_PGM_RSRC2:TGID_Y_EN: 0
; COMPUTE_PGM_RSRC2:TGID_Z_EN: 0
; COMPUTE_PGM_RSRC2:TIDIG_COMP_CNT: 0
; COMPUTE_PGM_RSRC3_GFX90A:ACCUM_OFFSET: 0
; COMPUTE_PGM_RSRC3_GFX90A:TG_SPLIT: 0
	.section	.text._ZN7rocprim17ROCPRIM_400000_NS6detail17trampoline_kernelINS0_14default_configENS1_27scan_by_key_config_selectorIisEEZZNS1_16scan_by_key_implILNS1_25lookback_scan_determinismE0ELb1ES3_N6thrust23THRUST_200600_302600_NS6detail15normal_iteratorINS9_10device_ptrIiEEEENSB_INSC_IsEEEESG_sNS9_4plusIvEENS9_8equal_toIvEEsEE10hipError_tPvRmT2_T3_T4_T5_mT6_T7_P12ihipStream_tbENKUlT_T0_E_clISt17integral_constantIbLb1EES10_IbLb0EEEEDaSW_SX_EUlSW_E_NS1_11comp_targetILNS1_3genE3ELNS1_11target_archE908ELNS1_3gpuE7ELNS1_3repE0EEENS1_30default_config_static_selectorELNS0_4arch9wavefront6targetE1EEEvT1_,"axG",@progbits,_ZN7rocprim17ROCPRIM_400000_NS6detail17trampoline_kernelINS0_14default_configENS1_27scan_by_key_config_selectorIisEEZZNS1_16scan_by_key_implILNS1_25lookback_scan_determinismE0ELb1ES3_N6thrust23THRUST_200600_302600_NS6detail15normal_iteratorINS9_10device_ptrIiEEEENSB_INSC_IsEEEESG_sNS9_4plusIvEENS9_8equal_toIvEEsEE10hipError_tPvRmT2_T3_T4_T5_mT6_T7_P12ihipStream_tbENKUlT_T0_E_clISt17integral_constantIbLb1EES10_IbLb0EEEEDaSW_SX_EUlSW_E_NS1_11comp_targetILNS1_3genE3ELNS1_11target_archE908ELNS1_3gpuE7ELNS1_3repE0EEENS1_30default_config_static_selectorELNS0_4arch9wavefront6targetE1EEEvT1_,comdat
	.protected	_ZN7rocprim17ROCPRIM_400000_NS6detail17trampoline_kernelINS0_14default_configENS1_27scan_by_key_config_selectorIisEEZZNS1_16scan_by_key_implILNS1_25lookback_scan_determinismE0ELb1ES3_N6thrust23THRUST_200600_302600_NS6detail15normal_iteratorINS9_10device_ptrIiEEEENSB_INSC_IsEEEESG_sNS9_4plusIvEENS9_8equal_toIvEEsEE10hipError_tPvRmT2_T3_T4_T5_mT6_T7_P12ihipStream_tbENKUlT_T0_E_clISt17integral_constantIbLb1EES10_IbLb0EEEEDaSW_SX_EUlSW_E_NS1_11comp_targetILNS1_3genE3ELNS1_11target_archE908ELNS1_3gpuE7ELNS1_3repE0EEENS1_30default_config_static_selectorELNS0_4arch9wavefront6targetE1EEEvT1_ ; -- Begin function _ZN7rocprim17ROCPRIM_400000_NS6detail17trampoline_kernelINS0_14default_configENS1_27scan_by_key_config_selectorIisEEZZNS1_16scan_by_key_implILNS1_25lookback_scan_determinismE0ELb1ES3_N6thrust23THRUST_200600_302600_NS6detail15normal_iteratorINS9_10device_ptrIiEEEENSB_INSC_IsEEEESG_sNS9_4plusIvEENS9_8equal_toIvEEsEE10hipError_tPvRmT2_T3_T4_T5_mT6_T7_P12ihipStream_tbENKUlT_T0_E_clISt17integral_constantIbLb1EES10_IbLb0EEEEDaSW_SX_EUlSW_E_NS1_11comp_targetILNS1_3genE3ELNS1_11target_archE908ELNS1_3gpuE7ELNS1_3repE0EEENS1_30default_config_static_selectorELNS0_4arch9wavefront6targetE1EEEvT1_
	.globl	_ZN7rocprim17ROCPRIM_400000_NS6detail17trampoline_kernelINS0_14default_configENS1_27scan_by_key_config_selectorIisEEZZNS1_16scan_by_key_implILNS1_25lookback_scan_determinismE0ELb1ES3_N6thrust23THRUST_200600_302600_NS6detail15normal_iteratorINS9_10device_ptrIiEEEENSB_INSC_IsEEEESG_sNS9_4plusIvEENS9_8equal_toIvEEsEE10hipError_tPvRmT2_T3_T4_T5_mT6_T7_P12ihipStream_tbENKUlT_T0_E_clISt17integral_constantIbLb1EES10_IbLb0EEEEDaSW_SX_EUlSW_E_NS1_11comp_targetILNS1_3genE3ELNS1_11target_archE908ELNS1_3gpuE7ELNS1_3repE0EEENS1_30default_config_static_selectorELNS0_4arch9wavefront6targetE1EEEvT1_
	.p2align	8
	.type	_ZN7rocprim17ROCPRIM_400000_NS6detail17trampoline_kernelINS0_14default_configENS1_27scan_by_key_config_selectorIisEEZZNS1_16scan_by_key_implILNS1_25lookback_scan_determinismE0ELb1ES3_N6thrust23THRUST_200600_302600_NS6detail15normal_iteratorINS9_10device_ptrIiEEEENSB_INSC_IsEEEESG_sNS9_4plusIvEENS9_8equal_toIvEEsEE10hipError_tPvRmT2_T3_T4_T5_mT6_T7_P12ihipStream_tbENKUlT_T0_E_clISt17integral_constantIbLb1EES10_IbLb0EEEEDaSW_SX_EUlSW_E_NS1_11comp_targetILNS1_3genE3ELNS1_11target_archE908ELNS1_3gpuE7ELNS1_3repE0EEENS1_30default_config_static_selectorELNS0_4arch9wavefront6targetE1EEEvT1_,@function
_ZN7rocprim17ROCPRIM_400000_NS6detail17trampoline_kernelINS0_14default_configENS1_27scan_by_key_config_selectorIisEEZZNS1_16scan_by_key_implILNS1_25lookback_scan_determinismE0ELb1ES3_N6thrust23THRUST_200600_302600_NS6detail15normal_iteratorINS9_10device_ptrIiEEEENSB_INSC_IsEEEESG_sNS9_4plusIvEENS9_8equal_toIvEEsEE10hipError_tPvRmT2_T3_T4_T5_mT6_T7_P12ihipStream_tbENKUlT_T0_E_clISt17integral_constantIbLb1EES10_IbLb0EEEEDaSW_SX_EUlSW_E_NS1_11comp_targetILNS1_3genE3ELNS1_11target_archE908ELNS1_3gpuE7ELNS1_3repE0EEENS1_30default_config_static_selectorELNS0_4arch9wavefront6targetE1EEEvT1_: ; @_ZN7rocprim17ROCPRIM_400000_NS6detail17trampoline_kernelINS0_14default_configENS1_27scan_by_key_config_selectorIisEEZZNS1_16scan_by_key_implILNS1_25lookback_scan_determinismE0ELb1ES3_N6thrust23THRUST_200600_302600_NS6detail15normal_iteratorINS9_10device_ptrIiEEEENSB_INSC_IsEEEESG_sNS9_4plusIvEENS9_8equal_toIvEEsEE10hipError_tPvRmT2_T3_T4_T5_mT6_T7_P12ihipStream_tbENKUlT_T0_E_clISt17integral_constantIbLb1EES10_IbLb0EEEEDaSW_SX_EUlSW_E_NS1_11comp_targetILNS1_3genE3ELNS1_11target_archE908ELNS1_3gpuE7ELNS1_3repE0EEENS1_30default_config_static_selectorELNS0_4arch9wavefront6targetE1EEEvT1_
; %bb.0:
	.section	.rodata,"a",@progbits
	.p2align	6, 0x0
	.amdhsa_kernel _ZN7rocprim17ROCPRIM_400000_NS6detail17trampoline_kernelINS0_14default_configENS1_27scan_by_key_config_selectorIisEEZZNS1_16scan_by_key_implILNS1_25lookback_scan_determinismE0ELb1ES3_N6thrust23THRUST_200600_302600_NS6detail15normal_iteratorINS9_10device_ptrIiEEEENSB_INSC_IsEEEESG_sNS9_4plusIvEENS9_8equal_toIvEEsEE10hipError_tPvRmT2_T3_T4_T5_mT6_T7_P12ihipStream_tbENKUlT_T0_E_clISt17integral_constantIbLb1EES10_IbLb0EEEEDaSW_SX_EUlSW_E_NS1_11comp_targetILNS1_3genE3ELNS1_11target_archE908ELNS1_3gpuE7ELNS1_3repE0EEENS1_30default_config_static_selectorELNS0_4arch9wavefront6targetE1EEEvT1_
		.amdhsa_group_segment_fixed_size 0
		.amdhsa_private_segment_fixed_size 0
		.amdhsa_kernarg_size 112
		.amdhsa_user_sgpr_count 2
		.amdhsa_user_sgpr_dispatch_ptr 0
		.amdhsa_user_sgpr_queue_ptr 0
		.amdhsa_user_sgpr_kernarg_segment_ptr 1
		.amdhsa_user_sgpr_dispatch_id 0
		.amdhsa_user_sgpr_kernarg_preload_length 0
		.amdhsa_user_sgpr_kernarg_preload_offset 0
		.amdhsa_user_sgpr_private_segment_size 0
		.amdhsa_uses_dynamic_stack 0
		.amdhsa_enable_private_segment 0
		.amdhsa_system_sgpr_workgroup_id_x 1
		.amdhsa_system_sgpr_workgroup_id_y 0
		.amdhsa_system_sgpr_workgroup_id_z 0
		.amdhsa_system_sgpr_workgroup_info 0
		.amdhsa_system_vgpr_workitem_id 0
		.amdhsa_next_free_vgpr 1
		.amdhsa_next_free_sgpr 0
		.amdhsa_accum_offset 4
		.amdhsa_reserve_vcc 0
		.amdhsa_float_round_mode_32 0
		.amdhsa_float_round_mode_16_64 0
		.amdhsa_float_denorm_mode_32 3
		.amdhsa_float_denorm_mode_16_64 3
		.amdhsa_dx10_clamp 1
		.amdhsa_ieee_mode 1
		.amdhsa_fp16_overflow 0
		.amdhsa_tg_split 0
		.amdhsa_exception_fp_ieee_invalid_op 0
		.amdhsa_exception_fp_denorm_src 0
		.amdhsa_exception_fp_ieee_div_zero 0
		.amdhsa_exception_fp_ieee_overflow 0
		.amdhsa_exception_fp_ieee_underflow 0
		.amdhsa_exception_fp_ieee_inexact 0
		.amdhsa_exception_int_div_zero 0
	.end_amdhsa_kernel
	.section	.text._ZN7rocprim17ROCPRIM_400000_NS6detail17trampoline_kernelINS0_14default_configENS1_27scan_by_key_config_selectorIisEEZZNS1_16scan_by_key_implILNS1_25lookback_scan_determinismE0ELb1ES3_N6thrust23THRUST_200600_302600_NS6detail15normal_iteratorINS9_10device_ptrIiEEEENSB_INSC_IsEEEESG_sNS9_4plusIvEENS9_8equal_toIvEEsEE10hipError_tPvRmT2_T3_T4_T5_mT6_T7_P12ihipStream_tbENKUlT_T0_E_clISt17integral_constantIbLb1EES10_IbLb0EEEEDaSW_SX_EUlSW_E_NS1_11comp_targetILNS1_3genE3ELNS1_11target_archE908ELNS1_3gpuE7ELNS1_3repE0EEENS1_30default_config_static_selectorELNS0_4arch9wavefront6targetE1EEEvT1_,"axG",@progbits,_ZN7rocprim17ROCPRIM_400000_NS6detail17trampoline_kernelINS0_14default_configENS1_27scan_by_key_config_selectorIisEEZZNS1_16scan_by_key_implILNS1_25lookback_scan_determinismE0ELb1ES3_N6thrust23THRUST_200600_302600_NS6detail15normal_iteratorINS9_10device_ptrIiEEEENSB_INSC_IsEEEESG_sNS9_4plusIvEENS9_8equal_toIvEEsEE10hipError_tPvRmT2_T3_T4_T5_mT6_T7_P12ihipStream_tbENKUlT_T0_E_clISt17integral_constantIbLb1EES10_IbLb0EEEEDaSW_SX_EUlSW_E_NS1_11comp_targetILNS1_3genE3ELNS1_11target_archE908ELNS1_3gpuE7ELNS1_3repE0EEENS1_30default_config_static_selectorELNS0_4arch9wavefront6targetE1EEEvT1_,comdat
.Lfunc_end1629:
	.size	_ZN7rocprim17ROCPRIM_400000_NS6detail17trampoline_kernelINS0_14default_configENS1_27scan_by_key_config_selectorIisEEZZNS1_16scan_by_key_implILNS1_25lookback_scan_determinismE0ELb1ES3_N6thrust23THRUST_200600_302600_NS6detail15normal_iteratorINS9_10device_ptrIiEEEENSB_INSC_IsEEEESG_sNS9_4plusIvEENS9_8equal_toIvEEsEE10hipError_tPvRmT2_T3_T4_T5_mT6_T7_P12ihipStream_tbENKUlT_T0_E_clISt17integral_constantIbLb1EES10_IbLb0EEEEDaSW_SX_EUlSW_E_NS1_11comp_targetILNS1_3genE3ELNS1_11target_archE908ELNS1_3gpuE7ELNS1_3repE0EEENS1_30default_config_static_selectorELNS0_4arch9wavefront6targetE1EEEvT1_, .Lfunc_end1629-_ZN7rocprim17ROCPRIM_400000_NS6detail17trampoline_kernelINS0_14default_configENS1_27scan_by_key_config_selectorIisEEZZNS1_16scan_by_key_implILNS1_25lookback_scan_determinismE0ELb1ES3_N6thrust23THRUST_200600_302600_NS6detail15normal_iteratorINS9_10device_ptrIiEEEENSB_INSC_IsEEEESG_sNS9_4plusIvEENS9_8equal_toIvEEsEE10hipError_tPvRmT2_T3_T4_T5_mT6_T7_P12ihipStream_tbENKUlT_T0_E_clISt17integral_constantIbLb1EES10_IbLb0EEEEDaSW_SX_EUlSW_E_NS1_11comp_targetILNS1_3genE3ELNS1_11target_archE908ELNS1_3gpuE7ELNS1_3repE0EEENS1_30default_config_static_selectorELNS0_4arch9wavefront6targetE1EEEvT1_
                                        ; -- End function
	.section	.AMDGPU.csdata,"",@progbits
; Kernel info:
; codeLenInByte = 0
; NumSgprs: 6
; NumVgprs: 0
; NumAgprs: 0
; TotalNumVgprs: 0
; ScratchSize: 0
; MemoryBound: 0
; FloatMode: 240
; IeeeMode: 1
; LDSByteSize: 0 bytes/workgroup (compile time only)
; SGPRBlocks: 0
; VGPRBlocks: 0
; NumSGPRsForWavesPerEU: 6
; NumVGPRsForWavesPerEU: 1
; AccumOffset: 4
; Occupancy: 8
; WaveLimiterHint : 0
; COMPUTE_PGM_RSRC2:SCRATCH_EN: 0
; COMPUTE_PGM_RSRC2:USER_SGPR: 2
; COMPUTE_PGM_RSRC2:TRAP_HANDLER: 0
; COMPUTE_PGM_RSRC2:TGID_X_EN: 1
; COMPUTE_PGM_RSRC2:TGID_Y_EN: 0
; COMPUTE_PGM_RSRC2:TGID_Z_EN: 0
; COMPUTE_PGM_RSRC2:TIDIG_COMP_CNT: 0
; COMPUTE_PGM_RSRC3_GFX90A:ACCUM_OFFSET: 0
; COMPUTE_PGM_RSRC3_GFX90A:TG_SPLIT: 0
	.section	.text._ZN7rocprim17ROCPRIM_400000_NS6detail17trampoline_kernelINS0_14default_configENS1_27scan_by_key_config_selectorIisEEZZNS1_16scan_by_key_implILNS1_25lookback_scan_determinismE0ELb1ES3_N6thrust23THRUST_200600_302600_NS6detail15normal_iteratorINS9_10device_ptrIiEEEENSB_INSC_IsEEEESG_sNS9_4plusIvEENS9_8equal_toIvEEsEE10hipError_tPvRmT2_T3_T4_T5_mT6_T7_P12ihipStream_tbENKUlT_T0_E_clISt17integral_constantIbLb1EES10_IbLb0EEEEDaSW_SX_EUlSW_E_NS1_11comp_targetILNS1_3genE2ELNS1_11target_archE906ELNS1_3gpuE6ELNS1_3repE0EEENS1_30default_config_static_selectorELNS0_4arch9wavefront6targetE1EEEvT1_,"axG",@progbits,_ZN7rocprim17ROCPRIM_400000_NS6detail17trampoline_kernelINS0_14default_configENS1_27scan_by_key_config_selectorIisEEZZNS1_16scan_by_key_implILNS1_25lookback_scan_determinismE0ELb1ES3_N6thrust23THRUST_200600_302600_NS6detail15normal_iteratorINS9_10device_ptrIiEEEENSB_INSC_IsEEEESG_sNS9_4plusIvEENS9_8equal_toIvEEsEE10hipError_tPvRmT2_T3_T4_T5_mT6_T7_P12ihipStream_tbENKUlT_T0_E_clISt17integral_constantIbLb1EES10_IbLb0EEEEDaSW_SX_EUlSW_E_NS1_11comp_targetILNS1_3genE2ELNS1_11target_archE906ELNS1_3gpuE6ELNS1_3repE0EEENS1_30default_config_static_selectorELNS0_4arch9wavefront6targetE1EEEvT1_,comdat
	.protected	_ZN7rocprim17ROCPRIM_400000_NS6detail17trampoline_kernelINS0_14default_configENS1_27scan_by_key_config_selectorIisEEZZNS1_16scan_by_key_implILNS1_25lookback_scan_determinismE0ELb1ES3_N6thrust23THRUST_200600_302600_NS6detail15normal_iteratorINS9_10device_ptrIiEEEENSB_INSC_IsEEEESG_sNS9_4plusIvEENS9_8equal_toIvEEsEE10hipError_tPvRmT2_T3_T4_T5_mT6_T7_P12ihipStream_tbENKUlT_T0_E_clISt17integral_constantIbLb1EES10_IbLb0EEEEDaSW_SX_EUlSW_E_NS1_11comp_targetILNS1_3genE2ELNS1_11target_archE906ELNS1_3gpuE6ELNS1_3repE0EEENS1_30default_config_static_selectorELNS0_4arch9wavefront6targetE1EEEvT1_ ; -- Begin function _ZN7rocprim17ROCPRIM_400000_NS6detail17trampoline_kernelINS0_14default_configENS1_27scan_by_key_config_selectorIisEEZZNS1_16scan_by_key_implILNS1_25lookback_scan_determinismE0ELb1ES3_N6thrust23THRUST_200600_302600_NS6detail15normal_iteratorINS9_10device_ptrIiEEEENSB_INSC_IsEEEESG_sNS9_4plusIvEENS9_8equal_toIvEEsEE10hipError_tPvRmT2_T3_T4_T5_mT6_T7_P12ihipStream_tbENKUlT_T0_E_clISt17integral_constantIbLb1EES10_IbLb0EEEEDaSW_SX_EUlSW_E_NS1_11comp_targetILNS1_3genE2ELNS1_11target_archE906ELNS1_3gpuE6ELNS1_3repE0EEENS1_30default_config_static_selectorELNS0_4arch9wavefront6targetE1EEEvT1_
	.globl	_ZN7rocprim17ROCPRIM_400000_NS6detail17trampoline_kernelINS0_14default_configENS1_27scan_by_key_config_selectorIisEEZZNS1_16scan_by_key_implILNS1_25lookback_scan_determinismE0ELb1ES3_N6thrust23THRUST_200600_302600_NS6detail15normal_iteratorINS9_10device_ptrIiEEEENSB_INSC_IsEEEESG_sNS9_4plusIvEENS9_8equal_toIvEEsEE10hipError_tPvRmT2_T3_T4_T5_mT6_T7_P12ihipStream_tbENKUlT_T0_E_clISt17integral_constantIbLb1EES10_IbLb0EEEEDaSW_SX_EUlSW_E_NS1_11comp_targetILNS1_3genE2ELNS1_11target_archE906ELNS1_3gpuE6ELNS1_3repE0EEENS1_30default_config_static_selectorELNS0_4arch9wavefront6targetE1EEEvT1_
	.p2align	8
	.type	_ZN7rocprim17ROCPRIM_400000_NS6detail17trampoline_kernelINS0_14default_configENS1_27scan_by_key_config_selectorIisEEZZNS1_16scan_by_key_implILNS1_25lookback_scan_determinismE0ELb1ES3_N6thrust23THRUST_200600_302600_NS6detail15normal_iteratorINS9_10device_ptrIiEEEENSB_INSC_IsEEEESG_sNS9_4plusIvEENS9_8equal_toIvEEsEE10hipError_tPvRmT2_T3_T4_T5_mT6_T7_P12ihipStream_tbENKUlT_T0_E_clISt17integral_constantIbLb1EES10_IbLb0EEEEDaSW_SX_EUlSW_E_NS1_11comp_targetILNS1_3genE2ELNS1_11target_archE906ELNS1_3gpuE6ELNS1_3repE0EEENS1_30default_config_static_selectorELNS0_4arch9wavefront6targetE1EEEvT1_,@function
_ZN7rocprim17ROCPRIM_400000_NS6detail17trampoline_kernelINS0_14default_configENS1_27scan_by_key_config_selectorIisEEZZNS1_16scan_by_key_implILNS1_25lookback_scan_determinismE0ELb1ES3_N6thrust23THRUST_200600_302600_NS6detail15normal_iteratorINS9_10device_ptrIiEEEENSB_INSC_IsEEEESG_sNS9_4plusIvEENS9_8equal_toIvEEsEE10hipError_tPvRmT2_T3_T4_T5_mT6_T7_P12ihipStream_tbENKUlT_T0_E_clISt17integral_constantIbLb1EES10_IbLb0EEEEDaSW_SX_EUlSW_E_NS1_11comp_targetILNS1_3genE2ELNS1_11target_archE906ELNS1_3gpuE6ELNS1_3repE0EEENS1_30default_config_static_selectorELNS0_4arch9wavefront6targetE1EEEvT1_: ; @_ZN7rocprim17ROCPRIM_400000_NS6detail17trampoline_kernelINS0_14default_configENS1_27scan_by_key_config_selectorIisEEZZNS1_16scan_by_key_implILNS1_25lookback_scan_determinismE0ELb1ES3_N6thrust23THRUST_200600_302600_NS6detail15normal_iteratorINS9_10device_ptrIiEEEENSB_INSC_IsEEEESG_sNS9_4plusIvEENS9_8equal_toIvEEsEE10hipError_tPvRmT2_T3_T4_T5_mT6_T7_P12ihipStream_tbENKUlT_T0_E_clISt17integral_constantIbLb1EES10_IbLb0EEEEDaSW_SX_EUlSW_E_NS1_11comp_targetILNS1_3genE2ELNS1_11target_archE906ELNS1_3gpuE6ELNS1_3repE0EEENS1_30default_config_static_selectorELNS0_4arch9wavefront6targetE1EEEvT1_
; %bb.0:
	.section	.rodata,"a",@progbits
	.p2align	6, 0x0
	.amdhsa_kernel _ZN7rocprim17ROCPRIM_400000_NS6detail17trampoline_kernelINS0_14default_configENS1_27scan_by_key_config_selectorIisEEZZNS1_16scan_by_key_implILNS1_25lookback_scan_determinismE0ELb1ES3_N6thrust23THRUST_200600_302600_NS6detail15normal_iteratorINS9_10device_ptrIiEEEENSB_INSC_IsEEEESG_sNS9_4plusIvEENS9_8equal_toIvEEsEE10hipError_tPvRmT2_T3_T4_T5_mT6_T7_P12ihipStream_tbENKUlT_T0_E_clISt17integral_constantIbLb1EES10_IbLb0EEEEDaSW_SX_EUlSW_E_NS1_11comp_targetILNS1_3genE2ELNS1_11target_archE906ELNS1_3gpuE6ELNS1_3repE0EEENS1_30default_config_static_selectorELNS0_4arch9wavefront6targetE1EEEvT1_
		.amdhsa_group_segment_fixed_size 0
		.amdhsa_private_segment_fixed_size 0
		.amdhsa_kernarg_size 112
		.amdhsa_user_sgpr_count 2
		.amdhsa_user_sgpr_dispatch_ptr 0
		.amdhsa_user_sgpr_queue_ptr 0
		.amdhsa_user_sgpr_kernarg_segment_ptr 1
		.amdhsa_user_sgpr_dispatch_id 0
		.amdhsa_user_sgpr_kernarg_preload_length 0
		.amdhsa_user_sgpr_kernarg_preload_offset 0
		.amdhsa_user_sgpr_private_segment_size 0
		.amdhsa_uses_dynamic_stack 0
		.amdhsa_enable_private_segment 0
		.amdhsa_system_sgpr_workgroup_id_x 1
		.amdhsa_system_sgpr_workgroup_id_y 0
		.amdhsa_system_sgpr_workgroup_id_z 0
		.amdhsa_system_sgpr_workgroup_info 0
		.amdhsa_system_vgpr_workitem_id 0
		.amdhsa_next_free_vgpr 1
		.amdhsa_next_free_sgpr 0
		.amdhsa_accum_offset 4
		.amdhsa_reserve_vcc 0
		.amdhsa_float_round_mode_32 0
		.amdhsa_float_round_mode_16_64 0
		.amdhsa_float_denorm_mode_32 3
		.amdhsa_float_denorm_mode_16_64 3
		.amdhsa_dx10_clamp 1
		.amdhsa_ieee_mode 1
		.amdhsa_fp16_overflow 0
		.amdhsa_tg_split 0
		.amdhsa_exception_fp_ieee_invalid_op 0
		.amdhsa_exception_fp_denorm_src 0
		.amdhsa_exception_fp_ieee_div_zero 0
		.amdhsa_exception_fp_ieee_overflow 0
		.amdhsa_exception_fp_ieee_underflow 0
		.amdhsa_exception_fp_ieee_inexact 0
		.amdhsa_exception_int_div_zero 0
	.end_amdhsa_kernel
	.section	.text._ZN7rocprim17ROCPRIM_400000_NS6detail17trampoline_kernelINS0_14default_configENS1_27scan_by_key_config_selectorIisEEZZNS1_16scan_by_key_implILNS1_25lookback_scan_determinismE0ELb1ES3_N6thrust23THRUST_200600_302600_NS6detail15normal_iteratorINS9_10device_ptrIiEEEENSB_INSC_IsEEEESG_sNS9_4plusIvEENS9_8equal_toIvEEsEE10hipError_tPvRmT2_T3_T4_T5_mT6_T7_P12ihipStream_tbENKUlT_T0_E_clISt17integral_constantIbLb1EES10_IbLb0EEEEDaSW_SX_EUlSW_E_NS1_11comp_targetILNS1_3genE2ELNS1_11target_archE906ELNS1_3gpuE6ELNS1_3repE0EEENS1_30default_config_static_selectorELNS0_4arch9wavefront6targetE1EEEvT1_,"axG",@progbits,_ZN7rocprim17ROCPRIM_400000_NS6detail17trampoline_kernelINS0_14default_configENS1_27scan_by_key_config_selectorIisEEZZNS1_16scan_by_key_implILNS1_25lookback_scan_determinismE0ELb1ES3_N6thrust23THRUST_200600_302600_NS6detail15normal_iteratorINS9_10device_ptrIiEEEENSB_INSC_IsEEEESG_sNS9_4plusIvEENS9_8equal_toIvEEsEE10hipError_tPvRmT2_T3_T4_T5_mT6_T7_P12ihipStream_tbENKUlT_T0_E_clISt17integral_constantIbLb1EES10_IbLb0EEEEDaSW_SX_EUlSW_E_NS1_11comp_targetILNS1_3genE2ELNS1_11target_archE906ELNS1_3gpuE6ELNS1_3repE0EEENS1_30default_config_static_selectorELNS0_4arch9wavefront6targetE1EEEvT1_,comdat
.Lfunc_end1630:
	.size	_ZN7rocprim17ROCPRIM_400000_NS6detail17trampoline_kernelINS0_14default_configENS1_27scan_by_key_config_selectorIisEEZZNS1_16scan_by_key_implILNS1_25lookback_scan_determinismE0ELb1ES3_N6thrust23THRUST_200600_302600_NS6detail15normal_iteratorINS9_10device_ptrIiEEEENSB_INSC_IsEEEESG_sNS9_4plusIvEENS9_8equal_toIvEEsEE10hipError_tPvRmT2_T3_T4_T5_mT6_T7_P12ihipStream_tbENKUlT_T0_E_clISt17integral_constantIbLb1EES10_IbLb0EEEEDaSW_SX_EUlSW_E_NS1_11comp_targetILNS1_3genE2ELNS1_11target_archE906ELNS1_3gpuE6ELNS1_3repE0EEENS1_30default_config_static_selectorELNS0_4arch9wavefront6targetE1EEEvT1_, .Lfunc_end1630-_ZN7rocprim17ROCPRIM_400000_NS6detail17trampoline_kernelINS0_14default_configENS1_27scan_by_key_config_selectorIisEEZZNS1_16scan_by_key_implILNS1_25lookback_scan_determinismE0ELb1ES3_N6thrust23THRUST_200600_302600_NS6detail15normal_iteratorINS9_10device_ptrIiEEEENSB_INSC_IsEEEESG_sNS9_4plusIvEENS9_8equal_toIvEEsEE10hipError_tPvRmT2_T3_T4_T5_mT6_T7_P12ihipStream_tbENKUlT_T0_E_clISt17integral_constantIbLb1EES10_IbLb0EEEEDaSW_SX_EUlSW_E_NS1_11comp_targetILNS1_3genE2ELNS1_11target_archE906ELNS1_3gpuE6ELNS1_3repE0EEENS1_30default_config_static_selectorELNS0_4arch9wavefront6targetE1EEEvT1_
                                        ; -- End function
	.section	.AMDGPU.csdata,"",@progbits
; Kernel info:
; codeLenInByte = 0
; NumSgprs: 6
; NumVgprs: 0
; NumAgprs: 0
; TotalNumVgprs: 0
; ScratchSize: 0
; MemoryBound: 0
; FloatMode: 240
; IeeeMode: 1
; LDSByteSize: 0 bytes/workgroup (compile time only)
; SGPRBlocks: 0
; VGPRBlocks: 0
; NumSGPRsForWavesPerEU: 6
; NumVGPRsForWavesPerEU: 1
; AccumOffset: 4
; Occupancy: 8
; WaveLimiterHint : 0
; COMPUTE_PGM_RSRC2:SCRATCH_EN: 0
; COMPUTE_PGM_RSRC2:USER_SGPR: 2
; COMPUTE_PGM_RSRC2:TRAP_HANDLER: 0
; COMPUTE_PGM_RSRC2:TGID_X_EN: 1
; COMPUTE_PGM_RSRC2:TGID_Y_EN: 0
; COMPUTE_PGM_RSRC2:TGID_Z_EN: 0
; COMPUTE_PGM_RSRC2:TIDIG_COMP_CNT: 0
; COMPUTE_PGM_RSRC3_GFX90A:ACCUM_OFFSET: 0
; COMPUTE_PGM_RSRC3_GFX90A:TG_SPLIT: 0
	.section	.text._ZN7rocprim17ROCPRIM_400000_NS6detail17trampoline_kernelINS0_14default_configENS1_27scan_by_key_config_selectorIisEEZZNS1_16scan_by_key_implILNS1_25lookback_scan_determinismE0ELb1ES3_N6thrust23THRUST_200600_302600_NS6detail15normal_iteratorINS9_10device_ptrIiEEEENSB_INSC_IsEEEESG_sNS9_4plusIvEENS9_8equal_toIvEEsEE10hipError_tPvRmT2_T3_T4_T5_mT6_T7_P12ihipStream_tbENKUlT_T0_E_clISt17integral_constantIbLb1EES10_IbLb0EEEEDaSW_SX_EUlSW_E_NS1_11comp_targetILNS1_3genE10ELNS1_11target_archE1200ELNS1_3gpuE4ELNS1_3repE0EEENS1_30default_config_static_selectorELNS0_4arch9wavefront6targetE1EEEvT1_,"axG",@progbits,_ZN7rocprim17ROCPRIM_400000_NS6detail17trampoline_kernelINS0_14default_configENS1_27scan_by_key_config_selectorIisEEZZNS1_16scan_by_key_implILNS1_25lookback_scan_determinismE0ELb1ES3_N6thrust23THRUST_200600_302600_NS6detail15normal_iteratorINS9_10device_ptrIiEEEENSB_INSC_IsEEEESG_sNS9_4plusIvEENS9_8equal_toIvEEsEE10hipError_tPvRmT2_T3_T4_T5_mT6_T7_P12ihipStream_tbENKUlT_T0_E_clISt17integral_constantIbLb1EES10_IbLb0EEEEDaSW_SX_EUlSW_E_NS1_11comp_targetILNS1_3genE10ELNS1_11target_archE1200ELNS1_3gpuE4ELNS1_3repE0EEENS1_30default_config_static_selectorELNS0_4arch9wavefront6targetE1EEEvT1_,comdat
	.protected	_ZN7rocprim17ROCPRIM_400000_NS6detail17trampoline_kernelINS0_14default_configENS1_27scan_by_key_config_selectorIisEEZZNS1_16scan_by_key_implILNS1_25lookback_scan_determinismE0ELb1ES3_N6thrust23THRUST_200600_302600_NS6detail15normal_iteratorINS9_10device_ptrIiEEEENSB_INSC_IsEEEESG_sNS9_4plusIvEENS9_8equal_toIvEEsEE10hipError_tPvRmT2_T3_T4_T5_mT6_T7_P12ihipStream_tbENKUlT_T0_E_clISt17integral_constantIbLb1EES10_IbLb0EEEEDaSW_SX_EUlSW_E_NS1_11comp_targetILNS1_3genE10ELNS1_11target_archE1200ELNS1_3gpuE4ELNS1_3repE0EEENS1_30default_config_static_selectorELNS0_4arch9wavefront6targetE1EEEvT1_ ; -- Begin function _ZN7rocprim17ROCPRIM_400000_NS6detail17trampoline_kernelINS0_14default_configENS1_27scan_by_key_config_selectorIisEEZZNS1_16scan_by_key_implILNS1_25lookback_scan_determinismE0ELb1ES3_N6thrust23THRUST_200600_302600_NS6detail15normal_iteratorINS9_10device_ptrIiEEEENSB_INSC_IsEEEESG_sNS9_4plusIvEENS9_8equal_toIvEEsEE10hipError_tPvRmT2_T3_T4_T5_mT6_T7_P12ihipStream_tbENKUlT_T0_E_clISt17integral_constantIbLb1EES10_IbLb0EEEEDaSW_SX_EUlSW_E_NS1_11comp_targetILNS1_3genE10ELNS1_11target_archE1200ELNS1_3gpuE4ELNS1_3repE0EEENS1_30default_config_static_selectorELNS0_4arch9wavefront6targetE1EEEvT1_
	.globl	_ZN7rocprim17ROCPRIM_400000_NS6detail17trampoline_kernelINS0_14default_configENS1_27scan_by_key_config_selectorIisEEZZNS1_16scan_by_key_implILNS1_25lookback_scan_determinismE0ELb1ES3_N6thrust23THRUST_200600_302600_NS6detail15normal_iteratorINS9_10device_ptrIiEEEENSB_INSC_IsEEEESG_sNS9_4plusIvEENS9_8equal_toIvEEsEE10hipError_tPvRmT2_T3_T4_T5_mT6_T7_P12ihipStream_tbENKUlT_T0_E_clISt17integral_constantIbLb1EES10_IbLb0EEEEDaSW_SX_EUlSW_E_NS1_11comp_targetILNS1_3genE10ELNS1_11target_archE1200ELNS1_3gpuE4ELNS1_3repE0EEENS1_30default_config_static_selectorELNS0_4arch9wavefront6targetE1EEEvT1_
	.p2align	8
	.type	_ZN7rocprim17ROCPRIM_400000_NS6detail17trampoline_kernelINS0_14default_configENS1_27scan_by_key_config_selectorIisEEZZNS1_16scan_by_key_implILNS1_25lookback_scan_determinismE0ELb1ES3_N6thrust23THRUST_200600_302600_NS6detail15normal_iteratorINS9_10device_ptrIiEEEENSB_INSC_IsEEEESG_sNS9_4plusIvEENS9_8equal_toIvEEsEE10hipError_tPvRmT2_T3_T4_T5_mT6_T7_P12ihipStream_tbENKUlT_T0_E_clISt17integral_constantIbLb1EES10_IbLb0EEEEDaSW_SX_EUlSW_E_NS1_11comp_targetILNS1_3genE10ELNS1_11target_archE1200ELNS1_3gpuE4ELNS1_3repE0EEENS1_30default_config_static_selectorELNS0_4arch9wavefront6targetE1EEEvT1_,@function
_ZN7rocprim17ROCPRIM_400000_NS6detail17trampoline_kernelINS0_14default_configENS1_27scan_by_key_config_selectorIisEEZZNS1_16scan_by_key_implILNS1_25lookback_scan_determinismE0ELb1ES3_N6thrust23THRUST_200600_302600_NS6detail15normal_iteratorINS9_10device_ptrIiEEEENSB_INSC_IsEEEESG_sNS9_4plusIvEENS9_8equal_toIvEEsEE10hipError_tPvRmT2_T3_T4_T5_mT6_T7_P12ihipStream_tbENKUlT_T0_E_clISt17integral_constantIbLb1EES10_IbLb0EEEEDaSW_SX_EUlSW_E_NS1_11comp_targetILNS1_3genE10ELNS1_11target_archE1200ELNS1_3gpuE4ELNS1_3repE0EEENS1_30default_config_static_selectorELNS0_4arch9wavefront6targetE1EEEvT1_: ; @_ZN7rocprim17ROCPRIM_400000_NS6detail17trampoline_kernelINS0_14default_configENS1_27scan_by_key_config_selectorIisEEZZNS1_16scan_by_key_implILNS1_25lookback_scan_determinismE0ELb1ES3_N6thrust23THRUST_200600_302600_NS6detail15normal_iteratorINS9_10device_ptrIiEEEENSB_INSC_IsEEEESG_sNS9_4plusIvEENS9_8equal_toIvEEsEE10hipError_tPvRmT2_T3_T4_T5_mT6_T7_P12ihipStream_tbENKUlT_T0_E_clISt17integral_constantIbLb1EES10_IbLb0EEEEDaSW_SX_EUlSW_E_NS1_11comp_targetILNS1_3genE10ELNS1_11target_archE1200ELNS1_3gpuE4ELNS1_3repE0EEENS1_30default_config_static_selectorELNS0_4arch9wavefront6targetE1EEEvT1_
; %bb.0:
	.section	.rodata,"a",@progbits
	.p2align	6, 0x0
	.amdhsa_kernel _ZN7rocprim17ROCPRIM_400000_NS6detail17trampoline_kernelINS0_14default_configENS1_27scan_by_key_config_selectorIisEEZZNS1_16scan_by_key_implILNS1_25lookback_scan_determinismE0ELb1ES3_N6thrust23THRUST_200600_302600_NS6detail15normal_iteratorINS9_10device_ptrIiEEEENSB_INSC_IsEEEESG_sNS9_4plusIvEENS9_8equal_toIvEEsEE10hipError_tPvRmT2_T3_T4_T5_mT6_T7_P12ihipStream_tbENKUlT_T0_E_clISt17integral_constantIbLb1EES10_IbLb0EEEEDaSW_SX_EUlSW_E_NS1_11comp_targetILNS1_3genE10ELNS1_11target_archE1200ELNS1_3gpuE4ELNS1_3repE0EEENS1_30default_config_static_selectorELNS0_4arch9wavefront6targetE1EEEvT1_
		.amdhsa_group_segment_fixed_size 0
		.amdhsa_private_segment_fixed_size 0
		.amdhsa_kernarg_size 112
		.amdhsa_user_sgpr_count 2
		.amdhsa_user_sgpr_dispatch_ptr 0
		.amdhsa_user_sgpr_queue_ptr 0
		.amdhsa_user_sgpr_kernarg_segment_ptr 1
		.amdhsa_user_sgpr_dispatch_id 0
		.amdhsa_user_sgpr_kernarg_preload_length 0
		.amdhsa_user_sgpr_kernarg_preload_offset 0
		.amdhsa_user_sgpr_private_segment_size 0
		.amdhsa_uses_dynamic_stack 0
		.amdhsa_enable_private_segment 0
		.amdhsa_system_sgpr_workgroup_id_x 1
		.amdhsa_system_sgpr_workgroup_id_y 0
		.amdhsa_system_sgpr_workgroup_id_z 0
		.amdhsa_system_sgpr_workgroup_info 0
		.amdhsa_system_vgpr_workitem_id 0
		.amdhsa_next_free_vgpr 1
		.amdhsa_next_free_sgpr 0
		.amdhsa_accum_offset 4
		.amdhsa_reserve_vcc 0
		.amdhsa_float_round_mode_32 0
		.amdhsa_float_round_mode_16_64 0
		.amdhsa_float_denorm_mode_32 3
		.amdhsa_float_denorm_mode_16_64 3
		.amdhsa_dx10_clamp 1
		.amdhsa_ieee_mode 1
		.amdhsa_fp16_overflow 0
		.amdhsa_tg_split 0
		.amdhsa_exception_fp_ieee_invalid_op 0
		.amdhsa_exception_fp_denorm_src 0
		.amdhsa_exception_fp_ieee_div_zero 0
		.amdhsa_exception_fp_ieee_overflow 0
		.amdhsa_exception_fp_ieee_underflow 0
		.amdhsa_exception_fp_ieee_inexact 0
		.amdhsa_exception_int_div_zero 0
	.end_amdhsa_kernel
	.section	.text._ZN7rocprim17ROCPRIM_400000_NS6detail17trampoline_kernelINS0_14default_configENS1_27scan_by_key_config_selectorIisEEZZNS1_16scan_by_key_implILNS1_25lookback_scan_determinismE0ELb1ES3_N6thrust23THRUST_200600_302600_NS6detail15normal_iteratorINS9_10device_ptrIiEEEENSB_INSC_IsEEEESG_sNS9_4plusIvEENS9_8equal_toIvEEsEE10hipError_tPvRmT2_T3_T4_T5_mT6_T7_P12ihipStream_tbENKUlT_T0_E_clISt17integral_constantIbLb1EES10_IbLb0EEEEDaSW_SX_EUlSW_E_NS1_11comp_targetILNS1_3genE10ELNS1_11target_archE1200ELNS1_3gpuE4ELNS1_3repE0EEENS1_30default_config_static_selectorELNS0_4arch9wavefront6targetE1EEEvT1_,"axG",@progbits,_ZN7rocprim17ROCPRIM_400000_NS6detail17trampoline_kernelINS0_14default_configENS1_27scan_by_key_config_selectorIisEEZZNS1_16scan_by_key_implILNS1_25lookback_scan_determinismE0ELb1ES3_N6thrust23THRUST_200600_302600_NS6detail15normal_iteratorINS9_10device_ptrIiEEEENSB_INSC_IsEEEESG_sNS9_4plusIvEENS9_8equal_toIvEEsEE10hipError_tPvRmT2_T3_T4_T5_mT6_T7_P12ihipStream_tbENKUlT_T0_E_clISt17integral_constantIbLb1EES10_IbLb0EEEEDaSW_SX_EUlSW_E_NS1_11comp_targetILNS1_3genE10ELNS1_11target_archE1200ELNS1_3gpuE4ELNS1_3repE0EEENS1_30default_config_static_selectorELNS0_4arch9wavefront6targetE1EEEvT1_,comdat
.Lfunc_end1631:
	.size	_ZN7rocprim17ROCPRIM_400000_NS6detail17trampoline_kernelINS0_14default_configENS1_27scan_by_key_config_selectorIisEEZZNS1_16scan_by_key_implILNS1_25lookback_scan_determinismE0ELb1ES3_N6thrust23THRUST_200600_302600_NS6detail15normal_iteratorINS9_10device_ptrIiEEEENSB_INSC_IsEEEESG_sNS9_4plusIvEENS9_8equal_toIvEEsEE10hipError_tPvRmT2_T3_T4_T5_mT6_T7_P12ihipStream_tbENKUlT_T0_E_clISt17integral_constantIbLb1EES10_IbLb0EEEEDaSW_SX_EUlSW_E_NS1_11comp_targetILNS1_3genE10ELNS1_11target_archE1200ELNS1_3gpuE4ELNS1_3repE0EEENS1_30default_config_static_selectorELNS0_4arch9wavefront6targetE1EEEvT1_, .Lfunc_end1631-_ZN7rocprim17ROCPRIM_400000_NS6detail17trampoline_kernelINS0_14default_configENS1_27scan_by_key_config_selectorIisEEZZNS1_16scan_by_key_implILNS1_25lookback_scan_determinismE0ELb1ES3_N6thrust23THRUST_200600_302600_NS6detail15normal_iteratorINS9_10device_ptrIiEEEENSB_INSC_IsEEEESG_sNS9_4plusIvEENS9_8equal_toIvEEsEE10hipError_tPvRmT2_T3_T4_T5_mT6_T7_P12ihipStream_tbENKUlT_T0_E_clISt17integral_constantIbLb1EES10_IbLb0EEEEDaSW_SX_EUlSW_E_NS1_11comp_targetILNS1_3genE10ELNS1_11target_archE1200ELNS1_3gpuE4ELNS1_3repE0EEENS1_30default_config_static_selectorELNS0_4arch9wavefront6targetE1EEEvT1_
                                        ; -- End function
	.section	.AMDGPU.csdata,"",@progbits
; Kernel info:
; codeLenInByte = 0
; NumSgprs: 6
; NumVgprs: 0
; NumAgprs: 0
; TotalNumVgprs: 0
; ScratchSize: 0
; MemoryBound: 0
; FloatMode: 240
; IeeeMode: 1
; LDSByteSize: 0 bytes/workgroup (compile time only)
; SGPRBlocks: 0
; VGPRBlocks: 0
; NumSGPRsForWavesPerEU: 6
; NumVGPRsForWavesPerEU: 1
; AccumOffset: 4
; Occupancy: 8
; WaveLimiterHint : 0
; COMPUTE_PGM_RSRC2:SCRATCH_EN: 0
; COMPUTE_PGM_RSRC2:USER_SGPR: 2
; COMPUTE_PGM_RSRC2:TRAP_HANDLER: 0
; COMPUTE_PGM_RSRC2:TGID_X_EN: 1
; COMPUTE_PGM_RSRC2:TGID_Y_EN: 0
; COMPUTE_PGM_RSRC2:TGID_Z_EN: 0
; COMPUTE_PGM_RSRC2:TIDIG_COMP_CNT: 0
; COMPUTE_PGM_RSRC3_GFX90A:ACCUM_OFFSET: 0
; COMPUTE_PGM_RSRC3_GFX90A:TG_SPLIT: 0
	.section	.text._ZN7rocprim17ROCPRIM_400000_NS6detail17trampoline_kernelINS0_14default_configENS1_27scan_by_key_config_selectorIisEEZZNS1_16scan_by_key_implILNS1_25lookback_scan_determinismE0ELb1ES3_N6thrust23THRUST_200600_302600_NS6detail15normal_iteratorINS9_10device_ptrIiEEEENSB_INSC_IsEEEESG_sNS9_4plusIvEENS9_8equal_toIvEEsEE10hipError_tPvRmT2_T3_T4_T5_mT6_T7_P12ihipStream_tbENKUlT_T0_E_clISt17integral_constantIbLb1EES10_IbLb0EEEEDaSW_SX_EUlSW_E_NS1_11comp_targetILNS1_3genE9ELNS1_11target_archE1100ELNS1_3gpuE3ELNS1_3repE0EEENS1_30default_config_static_selectorELNS0_4arch9wavefront6targetE1EEEvT1_,"axG",@progbits,_ZN7rocprim17ROCPRIM_400000_NS6detail17trampoline_kernelINS0_14default_configENS1_27scan_by_key_config_selectorIisEEZZNS1_16scan_by_key_implILNS1_25lookback_scan_determinismE0ELb1ES3_N6thrust23THRUST_200600_302600_NS6detail15normal_iteratorINS9_10device_ptrIiEEEENSB_INSC_IsEEEESG_sNS9_4plusIvEENS9_8equal_toIvEEsEE10hipError_tPvRmT2_T3_T4_T5_mT6_T7_P12ihipStream_tbENKUlT_T0_E_clISt17integral_constantIbLb1EES10_IbLb0EEEEDaSW_SX_EUlSW_E_NS1_11comp_targetILNS1_3genE9ELNS1_11target_archE1100ELNS1_3gpuE3ELNS1_3repE0EEENS1_30default_config_static_selectorELNS0_4arch9wavefront6targetE1EEEvT1_,comdat
	.protected	_ZN7rocprim17ROCPRIM_400000_NS6detail17trampoline_kernelINS0_14default_configENS1_27scan_by_key_config_selectorIisEEZZNS1_16scan_by_key_implILNS1_25lookback_scan_determinismE0ELb1ES3_N6thrust23THRUST_200600_302600_NS6detail15normal_iteratorINS9_10device_ptrIiEEEENSB_INSC_IsEEEESG_sNS9_4plusIvEENS9_8equal_toIvEEsEE10hipError_tPvRmT2_T3_T4_T5_mT6_T7_P12ihipStream_tbENKUlT_T0_E_clISt17integral_constantIbLb1EES10_IbLb0EEEEDaSW_SX_EUlSW_E_NS1_11comp_targetILNS1_3genE9ELNS1_11target_archE1100ELNS1_3gpuE3ELNS1_3repE0EEENS1_30default_config_static_selectorELNS0_4arch9wavefront6targetE1EEEvT1_ ; -- Begin function _ZN7rocprim17ROCPRIM_400000_NS6detail17trampoline_kernelINS0_14default_configENS1_27scan_by_key_config_selectorIisEEZZNS1_16scan_by_key_implILNS1_25lookback_scan_determinismE0ELb1ES3_N6thrust23THRUST_200600_302600_NS6detail15normal_iteratorINS9_10device_ptrIiEEEENSB_INSC_IsEEEESG_sNS9_4plusIvEENS9_8equal_toIvEEsEE10hipError_tPvRmT2_T3_T4_T5_mT6_T7_P12ihipStream_tbENKUlT_T0_E_clISt17integral_constantIbLb1EES10_IbLb0EEEEDaSW_SX_EUlSW_E_NS1_11comp_targetILNS1_3genE9ELNS1_11target_archE1100ELNS1_3gpuE3ELNS1_3repE0EEENS1_30default_config_static_selectorELNS0_4arch9wavefront6targetE1EEEvT1_
	.globl	_ZN7rocprim17ROCPRIM_400000_NS6detail17trampoline_kernelINS0_14default_configENS1_27scan_by_key_config_selectorIisEEZZNS1_16scan_by_key_implILNS1_25lookback_scan_determinismE0ELb1ES3_N6thrust23THRUST_200600_302600_NS6detail15normal_iteratorINS9_10device_ptrIiEEEENSB_INSC_IsEEEESG_sNS9_4plusIvEENS9_8equal_toIvEEsEE10hipError_tPvRmT2_T3_T4_T5_mT6_T7_P12ihipStream_tbENKUlT_T0_E_clISt17integral_constantIbLb1EES10_IbLb0EEEEDaSW_SX_EUlSW_E_NS1_11comp_targetILNS1_3genE9ELNS1_11target_archE1100ELNS1_3gpuE3ELNS1_3repE0EEENS1_30default_config_static_selectorELNS0_4arch9wavefront6targetE1EEEvT1_
	.p2align	8
	.type	_ZN7rocprim17ROCPRIM_400000_NS6detail17trampoline_kernelINS0_14default_configENS1_27scan_by_key_config_selectorIisEEZZNS1_16scan_by_key_implILNS1_25lookback_scan_determinismE0ELb1ES3_N6thrust23THRUST_200600_302600_NS6detail15normal_iteratorINS9_10device_ptrIiEEEENSB_INSC_IsEEEESG_sNS9_4plusIvEENS9_8equal_toIvEEsEE10hipError_tPvRmT2_T3_T4_T5_mT6_T7_P12ihipStream_tbENKUlT_T0_E_clISt17integral_constantIbLb1EES10_IbLb0EEEEDaSW_SX_EUlSW_E_NS1_11comp_targetILNS1_3genE9ELNS1_11target_archE1100ELNS1_3gpuE3ELNS1_3repE0EEENS1_30default_config_static_selectorELNS0_4arch9wavefront6targetE1EEEvT1_,@function
_ZN7rocprim17ROCPRIM_400000_NS6detail17trampoline_kernelINS0_14default_configENS1_27scan_by_key_config_selectorIisEEZZNS1_16scan_by_key_implILNS1_25lookback_scan_determinismE0ELb1ES3_N6thrust23THRUST_200600_302600_NS6detail15normal_iteratorINS9_10device_ptrIiEEEENSB_INSC_IsEEEESG_sNS9_4plusIvEENS9_8equal_toIvEEsEE10hipError_tPvRmT2_T3_T4_T5_mT6_T7_P12ihipStream_tbENKUlT_T0_E_clISt17integral_constantIbLb1EES10_IbLb0EEEEDaSW_SX_EUlSW_E_NS1_11comp_targetILNS1_3genE9ELNS1_11target_archE1100ELNS1_3gpuE3ELNS1_3repE0EEENS1_30default_config_static_selectorELNS0_4arch9wavefront6targetE1EEEvT1_: ; @_ZN7rocprim17ROCPRIM_400000_NS6detail17trampoline_kernelINS0_14default_configENS1_27scan_by_key_config_selectorIisEEZZNS1_16scan_by_key_implILNS1_25lookback_scan_determinismE0ELb1ES3_N6thrust23THRUST_200600_302600_NS6detail15normal_iteratorINS9_10device_ptrIiEEEENSB_INSC_IsEEEESG_sNS9_4plusIvEENS9_8equal_toIvEEsEE10hipError_tPvRmT2_T3_T4_T5_mT6_T7_P12ihipStream_tbENKUlT_T0_E_clISt17integral_constantIbLb1EES10_IbLb0EEEEDaSW_SX_EUlSW_E_NS1_11comp_targetILNS1_3genE9ELNS1_11target_archE1100ELNS1_3gpuE3ELNS1_3repE0EEENS1_30default_config_static_selectorELNS0_4arch9wavefront6targetE1EEEvT1_
; %bb.0:
	.section	.rodata,"a",@progbits
	.p2align	6, 0x0
	.amdhsa_kernel _ZN7rocprim17ROCPRIM_400000_NS6detail17trampoline_kernelINS0_14default_configENS1_27scan_by_key_config_selectorIisEEZZNS1_16scan_by_key_implILNS1_25lookback_scan_determinismE0ELb1ES3_N6thrust23THRUST_200600_302600_NS6detail15normal_iteratorINS9_10device_ptrIiEEEENSB_INSC_IsEEEESG_sNS9_4plusIvEENS9_8equal_toIvEEsEE10hipError_tPvRmT2_T3_T4_T5_mT6_T7_P12ihipStream_tbENKUlT_T0_E_clISt17integral_constantIbLb1EES10_IbLb0EEEEDaSW_SX_EUlSW_E_NS1_11comp_targetILNS1_3genE9ELNS1_11target_archE1100ELNS1_3gpuE3ELNS1_3repE0EEENS1_30default_config_static_selectorELNS0_4arch9wavefront6targetE1EEEvT1_
		.amdhsa_group_segment_fixed_size 0
		.amdhsa_private_segment_fixed_size 0
		.amdhsa_kernarg_size 112
		.amdhsa_user_sgpr_count 2
		.amdhsa_user_sgpr_dispatch_ptr 0
		.amdhsa_user_sgpr_queue_ptr 0
		.amdhsa_user_sgpr_kernarg_segment_ptr 1
		.amdhsa_user_sgpr_dispatch_id 0
		.amdhsa_user_sgpr_kernarg_preload_length 0
		.amdhsa_user_sgpr_kernarg_preload_offset 0
		.amdhsa_user_sgpr_private_segment_size 0
		.amdhsa_uses_dynamic_stack 0
		.amdhsa_enable_private_segment 0
		.amdhsa_system_sgpr_workgroup_id_x 1
		.amdhsa_system_sgpr_workgroup_id_y 0
		.amdhsa_system_sgpr_workgroup_id_z 0
		.amdhsa_system_sgpr_workgroup_info 0
		.amdhsa_system_vgpr_workitem_id 0
		.amdhsa_next_free_vgpr 1
		.amdhsa_next_free_sgpr 0
		.amdhsa_accum_offset 4
		.amdhsa_reserve_vcc 0
		.amdhsa_float_round_mode_32 0
		.amdhsa_float_round_mode_16_64 0
		.amdhsa_float_denorm_mode_32 3
		.amdhsa_float_denorm_mode_16_64 3
		.amdhsa_dx10_clamp 1
		.amdhsa_ieee_mode 1
		.amdhsa_fp16_overflow 0
		.amdhsa_tg_split 0
		.amdhsa_exception_fp_ieee_invalid_op 0
		.amdhsa_exception_fp_denorm_src 0
		.amdhsa_exception_fp_ieee_div_zero 0
		.amdhsa_exception_fp_ieee_overflow 0
		.amdhsa_exception_fp_ieee_underflow 0
		.amdhsa_exception_fp_ieee_inexact 0
		.amdhsa_exception_int_div_zero 0
	.end_amdhsa_kernel
	.section	.text._ZN7rocprim17ROCPRIM_400000_NS6detail17trampoline_kernelINS0_14default_configENS1_27scan_by_key_config_selectorIisEEZZNS1_16scan_by_key_implILNS1_25lookback_scan_determinismE0ELb1ES3_N6thrust23THRUST_200600_302600_NS6detail15normal_iteratorINS9_10device_ptrIiEEEENSB_INSC_IsEEEESG_sNS9_4plusIvEENS9_8equal_toIvEEsEE10hipError_tPvRmT2_T3_T4_T5_mT6_T7_P12ihipStream_tbENKUlT_T0_E_clISt17integral_constantIbLb1EES10_IbLb0EEEEDaSW_SX_EUlSW_E_NS1_11comp_targetILNS1_3genE9ELNS1_11target_archE1100ELNS1_3gpuE3ELNS1_3repE0EEENS1_30default_config_static_selectorELNS0_4arch9wavefront6targetE1EEEvT1_,"axG",@progbits,_ZN7rocprim17ROCPRIM_400000_NS6detail17trampoline_kernelINS0_14default_configENS1_27scan_by_key_config_selectorIisEEZZNS1_16scan_by_key_implILNS1_25lookback_scan_determinismE0ELb1ES3_N6thrust23THRUST_200600_302600_NS6detail15normal_iteratorINS9_10device_ptrIiEEEENSB_INSC_IsEEEESG_sNS9_4plusIvEENS9_8equal_toIvEEsEE10hipError_tPvRmT2_T3_T4_T5_mT6_T7_P12ihipStream_tbENKUlT_T0_E_clISt17integral_constantIbLb1EES10_IbLb0EEEEDaSW_SX_EUlSW_E_NS1_11comp_targetILNS1_3genE9ELNS1_11target_archE1100ELNS1_3gpuE3ELNS1_3repE0EEENS1_30default_config_static_selectorELNS0_4arch9wavefront6targetE1EEEvT1_,comdat
.Lfunc_end1632:
	.size	_ZN7rocprim17ROCPRIM_400000_NS6detail17trampoline_kernelINS0_14default_configENS1_27scan_by_key_config_selectorIisEEZZNS1_16scan_by_key_implILNS1_25lookback_scan_determinismE0ELb1ES3_N6thrust23THRUST_200600_302600_NS6detail15normal_iteratorINS9_10device_ptrIiEEEENSB_INSC_IsEEEESG_sNS9_4plusIvEENS9_8equal_toIvEEsEE10hipError_tPvRmT2_T3_T4_T5_mT6_T7_P12ihipStream_tbENKUlT_T0_E_clISt17integral_constantIbLb1EES10_IbLb0EEEEDaSW_SX_EUlSW_E_NS1_11comp_targetILNS1_3genE9ELNS1_11target_archE1100ELNS1_3gpuE3ELNS1_3repE0EEENS1_30default_config_static_selectorELNS0_4arch9wavefront6targetE1EEEvT1_, .Lfunc_end1632-_ZN7rocprim17ROCPRIM_400000_NS6detail17trampoline_kernelINS0_14default_configENS1_27scan_by_key_config_selectorIisEEZZNS1_16scan_by_key_implILNS1_25lookback_scan_determinismE0ELb1ES3_N6thrust23THRUST_200600_302600_NS6detail15normal_iteratorINS9_10device_ptrIiEEEENSB_INSC_IsEEEESG_sNS9_4plusIvEENS9_8equal_toIvEEsEE10hipError_tPvRmT2_T3_T4_T5_mT6_T7_P12ihipStream_tbENKUlT_T0_E_clISt17integral_constantIbLb1EES10_IbLb0EEEEDaSW_SX_EUlSW_E_NS1_11comp_targetILNS1_3genE9ELNS1_11target_archE1100ELNS1_3gpuE3ELNS1_3repE0EEENS1_30default_config_static_selectorELNS0_4arch9wavefront6targetE1EEEvT1_
                                        ; -- End function
	.section	.AMDGPU.csdata,"",@progbits
; Kernel info:
; codeLenInByte = 0
; NumSgprs: 6
; NumVgprs: 0
; NumAgprs: 0
; TotalNumVgprs: 0
; ScratchSize: 0
; MemoryBound: 0
; FloatMode: 240
; IeeeMode: 1
; LDSByteSize: 0 bytes/workgroup (compile time only)
; SGPRBlocks: 0
; VGPRBlocks: 0
; NumSGPRsForWavesPerEU: 6
; NumVGPRsForWavesPerEU: 1
; AccumOffset: 4
; Occupancy: 8
; WaveLimiterHint : 0
; COMPUTE_PGM_RSRC2:SCRATCH_EN: 0
; COMPUTE_PGM_RSRC2:USER_SGPR: 2
; COMPUTE_PGM_RSRC2:TRAP_HANDLER: 0
; COMPUTE_PGM_RSRC2:TGID_X_EN: 1
; COMPUTE_PGM_RSRC2:TGID_Y_EN: 0
; COMPUTE_PGM_RSRC2:TGID_Z_EN: 0
; COMPUTE_PGM_RSRC2:TIDIG_COMP_CNT: 0
; COMPUTE_PGM_RSRC3_GFX90A:ACCUM_OFFSET: 0
; COMPUTE_PGM_RSRC3_GFX90A:TG_SPLIT: 0
	.section	.text._ZN7rocprim17ROCPRIM_400000_NS6detail17trampoline_kernelINS0_14default_configENS1_27scan_by_key_config_selectorIisEEZZNS1_16scan_by_key_implILNS1_25lookback_scan_determinismE0ELb1ES3_N6thrust23THRUST_200600_302600_NS6detail15normal_iteratorINS9_10device_ptrIiEEEENSB_INSC_IsEEEESG_sNS9_4plusIvEENS9_8equal_toIvEEsEE10hipError_tPvRmT2_T3_T4_T5_mT6_T7_P12ihipStream_tbENKUlT_T0_E_clISt17integral_constantIbLb1EES10_IbLb0EEEEDaSW_SX_EUlSW_E_NS1_11comp_targetILNS1_3genE8ELNS1_11target_archE1030ELNS1_3gpuE2ELNS1_3repE0EEENS1_30default_config_static_selectorELNS0_4arch9wavefront6targetE1EEEvT1_,"axG",@progbits,_ZN7rocprim17ROCPRIM_400000_NS6detail17trampoline_kernelINS0_14default_configENS1_27scan_by_key_config_selectorIisEEZZNS1_16scan_by_key_implILNS1_25lookback_scan_determinismE0ELb1ES3_N6thrust23THRUST_200600_302600_NS6detail15normal_iteratorINS9_10device_ptrIiEEEENSB_INSC_IsEEEESG_sNS9_4plusIvEENS9_8equal_toIvEEsEE10hipError_tPvRmT2_T3_T4_T5_mT6_T7_P12ihipStream_tbENKUlT_T0_E_clISt17integral_constantIbLb1EES10_IbLb0EEEEDaSW_SX_EUlSW_E_NS1_11comp_targetILNS1_3genE8ELNS1_11target_archE1030ELNS1_3gpuE2ELNS1_3repE0EEENS1_30default_config_static_selectorELNS0_4arch9wavefront6targetE1EEEvT1_,comdat
	.protected	_ZN7rocprim17ROCPRIM_400000_NS6detail17trampoline_kernelINS0_14default_configENS1_27scan_by_key_config_selectorIisEEZZNS1_16scan_by_key_implILNS1_25lookback_scan_determinismE0ELb1ES3_N6thrust23THRUST_200600_302600_NS6detail15normal_iteratorINS9_10device_ptrIiEEEENSB_INSC_IsEEEESG_sNS9_4plusIvEENS9_8equal_toIvEEsEE10hipError_tPvRmT2_T3_T4_T5_mT6_T7_P12ihipStream_tbENKUlT_T0_E_clISt17integral_constantIbLb1EES10_IbLb0EEEEDaSW_SX_EUlSW_E_NS1_11comp_targetILNS1_3genE8ELNS1_11target_archE1030ELNS1_3gpuE2ELNS1_3repE0EEENS1_30default_config_static_selectorELNS0_4arch9wavefront6targetE1EEEvT1_ ; -- Begin function _ZN7rocprim17ROCPRIM_400000_NS6detail17trampoline_kernelINS0_14default_configENS1_27scan_by_key_config_selectorIisEEZZNS1_16scan_by_key_implILNS1_25lookback_scan_determinismE0ELb1ES3_N6thrust23THRUST_200600_302600_NS6detail15normal_iteratorINS9_10device_ptrIiEEEENSB_INSC_IsEEEESG_sNS9_4plusIvEENS9_8equal_toIvEEsEE10hipError_tPvRmT2_T3_T4_T5_mT6_T7_P12ihipStream_tbENKUlT_T0_E_clISt17integral_constantIbLb1EES10_IbLb0EEEEDaSW_SX_EUlSW_E_NS1_11comp_targetILNS1_3genE8ELNS1_11target_archE1030ELNS1_3gpuE2ELNS1_3repE0EEENS1_30default_config_static_selectorELNS0_4arch9wavefront6targetE1EEEvT1_
	.globl	_ZN7rocprim17ROCPRIM_400000_NS6detail17trampoline_kernelINS0_14default_configENS1_27scan_by_key_config_selectorIisEEZZNS1_16scan_by_key_implILNS1_25lookback_scan_determinismE0ELb1ES3_N6thrust23THRUST_200600_302600_NS6detail15normal_iteratorINS9_10device_ptrIiEEEENSB_INSC_IsEEEESG_sNS9_4plusIvEENS9_8equal_toIvEEsEE10hipError_tPvRmT2_T3_T4_T5_mT6_T7_P12ihipStream_tbENKUlT_T0_E_clISt17integral_constantIbLb1EES10_IbLb0EEEEDaSW_SX_EUlSW_E_NS1_11comp_targetILNS1_3genE8ELNS1_11target_archE1030ELNS1_3gpuE2ELNS1_3repE0EEENS1_30default_config_static_selectorELNS0_4arch9wavefront6targetE1EEEvT1_
	.p2align	8
	.type	_ZN7rocprim17ROCPRIM_400000_NS6detail17trampoline_kernelINS0_14default_configENS1_27scan_by_key_config_selectorIisEEZZNS1_16scan_by_key_implILNS1_25lookback_scan_determinismE0ELb1ES3_N6thrust23THRUST_200600_302600_NS6detail15normal_iteratorINS9_10device_ptrIiEEEENSB_INSC_IsEEEESG_sNS9_4plusIvEENS9_8equal_toIvEEsEE10hipError_tPvRmT2_T3_T4_T5_mT6_T7_P12ihipStream_tbENKUlT_T0_E_clISt17integral_constantIbLb1EES10_IbLb0EEEEDaSW_SX_EUlSW_E_NS1_11comp_targetILNS1_3genE8ELNS1_11target_archE1030ELNS1_3gpuE2ELNS1_3repE0EEENS1_30default_config_static_selectorELNS0_4arch9wavefront6targetE1EEEvT1_,@function
_ZN7rocprim17ROCPRIM_400000_NS6detail17trampoline_kernelINS0_14default_configENS1_27scan_by_key_config_selectorIisEEZZNS1_16scan_by_key_implILNS1_25lookback_scan_determinismE0ELb1ES3_N6thrust23THRUST_200600_302600_NS6detail15normal_iteratorINS9_10device_ptrIiEEEENSB_INSC_IsEEEESG_sNS9_4plusIvEENS9_8equal_toIvEEsEE10hipError_tPvRmT2_T3_T4_T5_mT6_T7_P12ihipStream_tbENKUlT_T0_E_clISt17integral_constantIbLb1EES10_IbLb0EEEEDaSW_SX_EUlSW_E_NS1_11comp_targetILNS1_3genE8ELNS1_11target_archE1030ELNS1_3gpuE2ELNS1_3repE0EEENS1_30default_config_static_selectorELNS0_4arch9wavefront6targetE1EEEvT1_: ; @_ZN7rocprim17ROCPRIM_400000_NS6detail17trampoline_kernelINS0_14default_configENS1_27scan_by_key_config_selectorIisEEZZNS1_16scan_by_key_implILNS1_25lookback_scan_determinismE0ELb1ES3_N6thrust23THRUST_200600_302600_NS6detail15normal_iteratorINS9_10device_ptrIiEEEENSB_INSC_IsEEEESG_sNS9_4plusIvEENS9_8equal_toIvEEsEE10hipError_tPvRmT2_T3_T4_T5_mT6_T7_P12ihipStream_tbENKUlT_T0_E_clISt17integral_constantIbLb1EES10_IbLb0EEEEDaSW_SX_EUlSW_E_NS1_11comp_targetILNS1_3genE8ELNS1_11target_archE1030ELNS1_3gpuE2ELNS1_3repE0EEENS1_30default_config_static_selectorELNS0_4arch9wavefront6targetE1EEEvT1_
; %bb.0:
	.section	.rodata,"a",@progbits
	.p2align	6, 0x0
	.amdhsa_kernel _ZN7rocprim17ROCPRIM_400000_NS6detail17trampoline_kernelINS0_14default_configENS1_27scan_by_key_config_selectorIisEEZZNS1_16scan_by_key_implILNS1_25lookback_scan_determinismE0ELb1ES3_N6thrust23THRUST_200600_302600_NS6detail15normal_iteratorINS9_10device_ptrIiEEEENSB_INSC_IsEEEESG_sNS9_4plusIvEENS9_8equal_toIvEEsEE10hipError_tPvRmT2_T3_T4_T5_mT6_T7_P12ihipStream_tbENKUlT_T0_E_clISt17integral_constantIbLb1EES10_IbLb0EEEEDaSW_SX_EUlSW_E_NS1_11comp_targetILNS1_3genE8ELNS1_11target_archE1030ELNS1_3gpuE2ELNS1_3repE0EEENS1_30default_config_static_selectorELNS0_4arch9wavefront6targetE1EEEvT1_
		.amdhsa_group_segment_fixed_size 0
		.amdhsa_private_segment_fixed_size 0
		.amdhsa_kernarg_size 112
		.amdhsa_user_sgpr_count 2
		.amdhsa_user_sgpr_dispatch_ptr 0
		.amdhsa_user_sgpr_queue_ptr 0
		.amdhsa_user_sgpr_kernarg_segment_ptr 1
		.amdhsa_user_sgpr_dispatch_id 0
		.amdhsa_user_sgpr_kernarg_preload_length 0
		.amdhsa_user_sgpr_kernarg_preload_offset 0
		.amdhsa_user_sgpr_private_segment_size 0
		.amdhsa_uses_dynamic_stack 0
		.amdhsa_enable_private_segment 0
		.amdhsa_system_sgpr_workgroup_id_x 1
		.amdhsa_system_sgpr_workgroup_id_y 0
		.amdhsa_system_sgpr_workgroup_id_z 0
		.amdhsa_system_sgpr_workgroup_info 0
		.amdhsa_system_vgpr_workitem_id 0
		.amdhsa_next_free_vgpr 1
		.amdhsa_next_free_sgpr 0
		.amdhsa_accum_offset 4
		.amdhsa_reserve_vcc 0
		.amdhsa_float_round_mode_32 0
		.amdhsa_float_round_mode_16_64 0
		.amdhsa_float_denorm_mode_32 3
		.amdhsa_float_denorm_mode_16_64 3
		.amdhsa_dx10_clamp 1
		.amdhsa_ieee_mode 1
		.amdhsa_fp16_overflow 0
		.amdhsa_tg_split 0
		.amdhsa_exception_fp_ieee_invalid_op 0
		.amdhsa_exception_fp_denorm_src 0
		.amdhsa_exception_fp_ieee_div_zero 0
		.amdhsa_exception_fp_ieee_overflow 0
		.amdhsa_exception_fp_ieee_underflow 0
		.amdhsa_exception_fp_ieee_inexact 0
		.amdhsa_exception_int_div_zero 0
	.end_amdhsa_kernel
	.section	.text._ZN7rocprim17ROCPRIM_400000_NS6detail17trampoline_kernelINS0_14default_configENS1_27scan_by_key_config_selectorIisEEZZNS1_16scan_by_key_implILNS1_25lookback_scan_determinismE0ELb1ES3_N6thrust23THRUST_200600_302600_NS6detail15normal_iteratorINS9_10device_ptrIiEEEENSB_INSC_IsEEEESG_sNS9_4plusIvEENS9_8equal_toIvEEsEE10hipError_tPvRmT2_T3_T4_T5_mT6_T7_P12ihipStream_tbENKUlT_T0_E_clISt17integral_constantIbLb1EES10_IbLb0EEEEDaSW_SX_EUlSW_E_NS1_11comp_targetILNS1_3genE8ELNS1_11target_archE1030ELNS1_3gpuE2ELNS1_3repE0EEENS1_30default_config_static_selectorELNS0_4arch9wavefront6targetE1EEEvT1_,"axG",@progbits,_ZN7rocprim17ROCPRIM_400000_NS6detail17trampoline_kernelINS0_14default_configENS1_27scan_by_key_config_selectorIisEEZZNS1_16scan_by_key_implILNS1_25lookback_scan_determinismE0ELb1ES3_N6thrust23THRUST_200600_302600_NS6detail15normal_iteratorINS9_10device_ptrIiEEEENSB_INSC_IsEEEESG_sNS9_4plusIvEENS9_8equal_toIvEEsEE10hipError_tPvRmT2_T3_T4_T5_mT6_T7_P12ihipStream_tbENKUlT_T0_E_clISt17integral_constantIbLb1EES10_IbLb0EEEEDaSW_SX_EUlSW_E_NS1_11comp_targetILNS1_3genE8ELNS1_11target_archE1030ELNS1_3gpuE2ELNS1_3repE0EEENS1_30default_config_static_selectorELNS0_4arch9wavefront6targetE1EEEvT1_,comdat
.Lfunc_end1633:
	.size	_ZN7rocprim17ROCPRIM_400000_NS6detail17trampoline_kernelINS0_14default_configENS1_27scan_by_key_config_selectorIisEEZZNS1_16scan_by_key_implILNS1_25lookback_scan_determinismE0ELb1ES3_N6thrust23THRUST_200600_302600_NS6detail15normal_iteratorINS9_10device_ptrIiEEEENSB_INSC_IsEEEESG_sNS9_4plusIvEENS9_8equal_toIvEEsEE10hipError_tPvRmT2_T3_T4_T5_mT6_T7_P12ihipStream_tbENKUlT_T0_E_clISt17integral_constantIbLb1EES10_IbLb0EEEEDaSW_SX_EUlSW_E_NS1_11comp_targetILNS1_3genE8ELNS1_11target_archE1030ELNS1_3gpuE2ELNS1_3repE0EEENS1_30default_config_static_selectorELNS0_4arch9wavefront6targetE1EEEvT1_, .Lfunc_end1633-_ZN7rocprim17ROCPRIM_400000_NS6detail17trampoline_kernelINS0_14default_configENS1_27scan_by_key_config_selectorIisEEZZNS1_16scan_by_key_implILNS1_25lookback_scan_determinismE0ELb1ES3_N6thrust23THRUST_200600_302600_NS6detail15normal_iteratorINS9_10device_ptrIiEEEENSB_INSC_IsEEEESG_sNS9_4plusIvEENS9_8equal_toIvEEsEE10hipError_tPvRmT2_T3_T4_T5_mT6_T7_P12ihipStream_tbENKUlT_T0_E_clISt17integral_constantIbLb1EES10_IbLb0EEEEDaSW_SX_EUlSW_E_NS1_11comp_targetILNS1_3genE8ELNS1_11target_archE1030ELNS1_3gpuE2ELNS1_3repE0EEENS1_30default_config_static_selectorELNS0_4arch9wavefront6targetE1EEEvT1_
                                        ; -- End function
	.section	.AMDGPU.csdata,"",@progbits
; Kernel info:
; codeLenInByte = 0
; NumSgprs: 6
; NumVgprs: 0
; NumAgprs: 0
; TotalNumVgprs: 0
; ScratchSize: 0
; MemoryBound: 0
; FloatMode: 240
; IeeeMode: 1
; LDSByteSize: 0 bytes/workgroup (compile time only)
; SGPRBlocks: 0
; VGPRBlocks: 0
; NumSGPRsForWavesPerEU: 6
; NumVGPRsForWavesPerEU: 1
; AccumOffset: 4
; Occupancy: 8
; WaveLimiterHint : 0
; COMPUTE_PGM_RSRC2:SCRATCH_EN: 0
; COMPUTE_PGM_RSRC2:USER_SGPR: 2
; COMPUTE_PGM_RSRC2:TRAP_HANDLER: 0
; COMPUTE_PGM_RSRC2:TGID_X_EN: 1
; COMPUTE_PGM_RSRC2:TGID_Y_EN: 0
; COMPUTE_PGM_RSRC2:TGID_Z_EN: 0
; COMPUTE_PGM_RSRC2:TIDIG_COMP_CNT: 0
; COMPUTE_PGM_RSRC3_GFX90A:ACCUM_OFFSET: 0
; COMPUTE_PGM_RSRC3_GFX90A:TG_SPLIT: 0
	.section	.text._ZN7rocprim17ROCPRIM_400000_NS6detail17trampoline_kernelINS0_14default_configENS1_27scan_by_key_config_selectorIisEEZZNS1_16scan_by_key_implILNS1_25lookback_scan_determinismE0ELb1ES3_N6thrust23THRUST_200600_302600_NS6detail15normal_iteratorINS9_10device_ptrIiEEEENSB_INSC_IsEEEESG_sNS9_4plusIvEENS9_8equal_toIvEEsEE10hipError_tPvRmT2_T3_T4_T5_mT6_T7_P12ihipStream_tbENKUlT_T0_E_clISt17integral_constantIbLb0EES10_IbLb1EEEEDaSW_SX_EUlSW_E_NS1_11comp_targetILNS1_3genE0ELNS1_11target_archE4294967295ELNS1_3gpuE0ELNS1_3repE0EEENS1_30default_config_static_selectorELNS0_4arch9wavefront6targetE1EEEvT1_,"axG",@progbits,_ZN7rocprim17ROCPRIM_400000_NS6detail17trampoline_kernelINS0_14default_configENS1_27scan_by_key_config_selectorIisEEZZNS1_16scan_by_key_implILNS1_25lookback_scan_determinismE0ELb1ES3_N6thrust23THRUST_200600_302600_NS6detail15normal_iteratorINS9_10device_ptrIiEEEENSB_INSC_IsEEEESG_sNS9_4plusIvEENS9_8equal_toIvEEsEE10hipError_tPvRmT2_T3_T4_T5_mT6_T7_P12ihipStream_tbENKUlT_T0_E_clISt17integral_constantIbLb0EES10_IbLb1EEEEDaSW_SX_EUlSW_E_NS1_11comp_targetILNS1_3genE0ELNS1_11target_archE4294967295ELNS1_3gpuE0ELNS1_3repE0EEENS1_30default_config_static_selectorELNS0_4arch9wavefront6targetE1EEEvT1_,comdat
	.protected	_ZN7rocprim17ROCPRIM_400000_NS6detail17trampoline_kernelINS0_14default_configENS1_27scan_by_key_config_selectorIisEEZZNS1_16scan_by_key_implILNS1_25lookback_scan_determinismE0ELb1ES3_N6thrust23THRUST_200600_302600_NS6detail15normal_iteratorINS9_10device_ptrIiEEEENSB_INSC_IsEEEESG_sNS9_4plusIvEENS9_8equal_toIvEEsEE10hipError_tPvRmT2_T3_T4_T5_mT6_T7_P12ihipStream_tbENKUlT_T0_E_clISt17integral_constantIbLb0EES10_IbLb1EEEEDaSW_SX_EUlSW_E_NS1_11comp_targetILNS1_3genE0ELNS1_11target_archE4294967295ELNS1_3gpuE0ELNS1_3repE0EEENS1_30default_config_static_selectorELNS0_4arch9wavefront6targetE1EEEvT1_ ; -- Begin function _ZN7rocprim17ROCPRIM_400000_NS6detail17trampoline_kernelINS0_14default_configENS1_27scan_by_key_config_selectorIisEEZZNS1_16scan_by_key_implILNS1_25lookback_scan_determinismE0ELb1ES3_N6thrust23THRUST_200600_302600_NS6detail15normal_iteratorINS9_10device_ptrIiEEEENSB_INSC_IsEEEESG_sNS9_4plusIvEENS9_8equal_toIvEEsEE10hipError_tPvRmT2_T3_T4_T5_mT6_T7_P12ihipStream_tbENKUlT_T0_E_clISt17integral_constantIbLb0EES10_IbLb1EEEEDaSW_SX_EUlSW_E_NS1_11comp_targetILNS1_3genE0ELNS1_11target_archE4294967295ELNS1_3gpuE0ELNS1_3repE0EEENS1_30default_config_static_selectorELNS0_4arch9wavefront6targetE1EEEvT1_
	.globl	_ZN7rocprim17ROCPRIM_400000_NS6detail17trampoline_kernelINS0_14default_configENS1_27scan_by_key_config_selectorIisEEZZNS1_16scan_by_key_implILNS1_25lookback_scan_determinismE0ELb1ES3_N6thrust23THRUST_200600_302600_NS6detail15normal_iteratorINS9_10device_ptrIiEEEENSB_INSC_IsEEEESG_sNS9_4plusIvEENS9_8equal_toIvEEsEE10hipError_tPvRmT2_T3_T4_T5_mT6_T7_P12ihipStream_tbENKUlT_T0_E_clISt17integral_constantIbLb0EES10_IbLb1EEEEDaSW_SX_EUlSW_E_NS1_11comp_targetILNS1_3genE0ELNS1_11target_archE4294967295ELNS1_3gpuE0ELNS1_3repE0EEENS1_30default_config_static_selectorELNS0_4arch9wavefront6targetE1EEEvT1_
	.p2align	8
	.type	_ZN7rocprim17ROCPRIM_400000_NS6detail17trampoline_kernelINS0_14default_configENS1_27scan_by_key_config_selectorIisEEZZNS1_16scan_by_key_implILNS1_25lookback_scan_determinismE0ELb1ES3_N6thrust23THRUST_200600_302600_NS6detail15normal_iteratorINS9_10device_ptrIiEEEENSB_INSC_IsEEEESG_sNS9_4plusIvEENS9_8equal_toIvEEsEE10hipError_tPvRmT2_T3_T4_T5_mT6_T7_P12ihipStream_tbENKUlT_T0_E_clISt17integral_constantIbLb0EES10_IbLb1EEEEDaSW_SX_EUlSW_E_NS1_11comp_targetILNS1_3genE0ELNS1_11target_archE4294967295ELNS1_3gpuE0ELNS1_3repE0EEENS1_30default_config_static_selectorELNS0_4arch9wavefront6targetE1EEEvT1_,@function
_ZN7rocprim17ROCPRIM_400000_NS6detail17trampoline_kernelINS0_14default_configENS1_27scan_by_key_config_selectorIisEEZZNS1_16scan_by_key_implILNS1_25lookback_scan_determinismE0ELb1ES3_N6thrust23THRUST_200600_302600_NS6detail15normal_iteratorINS9_10device_ptrIiEEEENSB_INSC_IsEEEESG_sNS9_4plusIvEENS9_8equal_toIvEEsEE10hipError_tPvRmT2_T3_T4_T5_mT6_T7_P12ihipStream_tbENKUlT_T0_E_clISt17integral_constantIbLb0EES10_IbLb1EEEEDaSW_SX_EUlSW_E_NS1_11comp_targetILNS1_3genE0ELNS1_11target_archE4294967295ELNS1_3gpuE0ELNS1_3repE0EEENS1_30default_config_static_selectorELNS0_4arch9wavefront6targetE1EEEvT1_: ; @_ZN7rocprim17ROCPRIM_400000_NS6detail17trampoline_kernelINS0_14default_configENS1_27scan_by_key_config_selectorIisEEZZNS1_16scan_by_key_implILNS1_25lookback_scan_determinismE0ELb1ES3_N6thrust23THRUST_200600_302600_NS6detail15normal_iteratorINS9_10device_ptrIiEEEENSB_INSC_IsEEEESG_sNS9_4plusIvEENS9_8equal_toIvEEsEE10hipError_tPvRmT2_T3_T4_T5_mT6_T7_P12ihipStream_tbENKUlT_T0_E_clISt17integral_constantIbLb0EES10_IbLb1EEEEDaSW_SX_EUlSW_E_NS1_11comp_targetILNS1_3genE0ELNS1_11target_archE4294967295ELNS1_3gpuE0ELNS1_3repE0EEENS1_30default_config_static_selectorELNS0_4arch9wavefront6targetE1EEEvT1_
; %bb.0:
	.section	.rodata,"a",@progbits
	.p2align	6, 0x0
	.amdhsa_kernel _ZN7rocprim17ROCPRIM_400000_NS6detail17trampoline_kernelINS0_14default_configENS1_27scan_by_key_config_selectorIisEEZZNS1_16scan_by_key_implILNS1_25lookback_scan_determinismE0ELb1ES3_N6thrust23THRUST_200600_302600_NS6detail15normal_iteratorINS9_10device_ptrIiEEEENSB_INSC_IsEEEESG_sNS9_4plusIvEENS9_8equal_toIvEEsEE10hipError_tPvRmT2_T3_T4_T5_mT6_T7_P12ihipStream_tbENKUlT_T0_E_clISt17integral_constantIbLb0EES10_IbLb1EEEEDaSW_SX_EUlSW_E_NS1_11comp_targetILNS1_3genE0ELNS1_11target_archE4294967295ELNS1_3gpuE0ELNS1_3repE0EEENS1_30default_config_static_selectorELNS0_4arch9wavefront6targetE1EEEvT1_
		.amdhsa_group_segment_fixed_size 0
		.amdhsa_private_segment_fixed_size 0
		.amdhsa_kernarg_size 112
		.amdhsa_user_sgpr_count 2
		.amdhsa_user_sgpr_dispatch_ptr 0
		.amdhsa_user_sgpr_queue_ptr 0
		.amdhsa_user_sgpr_kernarg_segment_ptr 1
		.amdhsa_user_sgpr_dispatch_id 0
		.amdhsa_user_sgpr_kernarg_preload_length 0
		.amdhsa_user_sgpr_kernarg_preload_offset 0
		.amdhsa_user_sgpr_private_segment_size 0
		.amdhsa_uses_dynamic_stack 0
		.amdhsa_enable_private_segment 0
		.amdhsa_system_sgpr_workgroup_id_x 1
		.amdhsa_system_sgpr_workgroup_id_y 0
		.amdhsa_system_sgpr_workgroup_id_z 0
		.amdhsa_system_sgpr_workgroup_info 0
		.amdhsa_system_vgpr_workitem_id 0
		.amdhsa_next_free_vgpr 1
		.amdhsa_next_free_sgpr 0
		.amdhsa_accum_offset 4
		.amdhsa_reserve_vcc 0
		.amdhsa_float_round_mode_32 0
		.amdhsa_float_round_mode_16_64 0
		.amdhsa_float_denorm_mode_32 3
		.amdhsa_float_denorm_mode_16_64 3
		.amdhsa_dx10_clamp 1
		.amdhsa_ieee_mode 1
		.amdhsa_fp16_overflow 0
		.amdhsa_tg_split 0
		.amdhsa_exception_fp_ieee_invalid_op 0
		.amdhsa_exception_fp_denorm_src 0
		.amdhsa_exception_fp_ieee_div_zero 0
		.amdhsa_exception_fp_ieee_overflow 0
		.amdhsa_exception_fp_ieee_underflow 0
		.amdhsa_exception_fp_ieee_inexact 0
		.amdhsa_exception_int_div_zero 0
	.end_amdhsa_kernel
	.section	.text._ZN7rocprim17ROCPRIM_400000_NS6detail17trampoline_kernelINS0_14default_configENS1_27scan_by_key_config_selectorIisEEZZNS1_16scan_by_key_implILNS1_25lookback_scan_determinismE0ELb1ES3_N6thrust23THRUST_200600_302600_NS6detail15normal_iteratorINS9_10device_ptrIiEEEENSB_INSC_IsEEEESG_sNS9_4plusIvEENS9_8equal_toIvEEsEE10hipError_tPvRmT2_T3_T4_T5_mT6_T7_P12ihipStream_tbENKUlT_T0_E_clISt17integral_constantIbLb0EES10_IbLb1EEEEDaSW_SX_EUlSW_E_NS1_11comp_targetILNS1_3genE0ELNS1_11target_archE4294967295ELNS1_3gpuE0ELNS1_3repE0EEENS1_30default_config_static_selectorELNS0_4arch9wavefront6targetE1EEEvT1_,"axG",@progbits,_ZN7rocprim17ROCPRIM_400000_NS6detail17trampoline_kernelINS0_14default_configENS1_27scan_by_key_config_selectorIisEEZZNS1_16scan_by_key_implILNS1_25lookback_scan_determinismE0ELb1ES3_N6thrust23THRUST_200600_302600_NS6detail15normal_iteratorINS9_10device_ptrIiEEEENSB_INSC_IsEEEESG_sNS9_4plusIvEENS9_8equal_toIvEEsEE10hipError_tPvRmT2_T3_T4_T5_mT6_T7_P12ihipStream_tbENKUlT_T0_E_clISt17integral_constantIbLb0EES10_IbLb1EEEEDaSW_SX_EUlSW_E_NS1_11comp_targetILNS1_3genE0ELNS1_11target_archE4294967295ELNS1_3gpuE0ELNS1_3repE0EEENS1_30default_config_static_selectorELNS0_4arch9wavefront6targetE1EEEvT1_,comdat
.Lfunc_end1634:
	.size	_ZN7rocprim17ROCPRIM_400000_NS6detail17trampoline_kernelINS0_14default_configENS1_27scan_by_key_config_selectorIisEEZZNS1_16scan_by_key_implILNS1_25lookback_scan_determinismE0ELb1ES3_N6thrust23THRUST_200600_302600_NS6detail15normal_iteratorINS9_10device_ptrIiEEEENSB_INSC_IsEEEESG_sNS9_4plusIvEENS9_8equal_toIvEEsEE10hipError_tPvRmT2_T3_T4_T5_mT6_T7_P12ihipStream_tbENKUlT_T0_E_clISt17integral_constantIbLb0EES10_IbLb1EEEEDaSW_SX_EUlSW_E_NS1_11comp_targetILNS1_3genE0ELNS1_11target_archE4294967295ELNS1_3gpuE0ELNS1_3repE0EEENS1_30default_config_static_selectorELNS0_4arch9wavefront6targetE1EEEvT1_, .Lfunc_end1634-_ZN7rocprim17ROCPRIM_400000_NS6detail17trampoline_kernelINS0_14default_configENS1_27scan_by_key_config_selectorIisEEZZNS1_16scan_by_key_implILNS1_25lookback_scan_determinismE0ELb1ES3_N6thrust23THRUST_200600_302600_NS6detail15normal_iteratorINS9_10device_ptrIiEEEENSB_INSC_IsEEEESG_sNS9_4plusIvEENS9_8equal_toIvEEsEE10hipError_tPvRmT2_T3_T4_T5_mT6_T7_P12ihipStream_tbENKUlT_T0_E_clISt17integral_constantIbLb0EES10_IbLb1EEEEDaSW_SX_EUlSW_E_NS1_11comp_targetILNS1_3genE0ELNS1_11target_archE4294967295ELNS1_3gpuE0ELNS1_3repE0EEENS1_30default_config_static_selectorELNS0_4arch9wavefront6targetE1EEEvT1_
                                        ; -- End function
	.section	.AMDGPU.csdata,"",@progbits
; Kernel info:
; codeLenInByte = 0
; NumSgprs: 6
; NumVgprs: 0
; NumAgprs: 0
; TotalNumVgprs: 0
; ScratchSize: 0
; MemoryBound: 0
; FloatMode: 240
; IeeeMode: 1
; LDSByteSize: 0 bytes/workgroup (compile time only)
; SGPRBlocks: 0
; VGPRBlocks: 0
; NumSGPRsForWavesPerEU: 6
; NumVGPRsForWavesPerEU: 1
; AccumOffset: 4
; Occupancy: 8
; WaveLimiterHint : 0
; COMPUTE_PGM_RSRC2:SCRATCH_EN: 0
; COMPUTE_PGM_RSRC2:USER_SGPR: 2
; COMPUTE_PGM_RSRC2:TRAP_HANDLER: 0
; COMPUTE_PGM_RSRC2:TGID_X_EN: 1
; COMPUTE_PGM_RSRC2:TGID_Y_EN: 0
; COMPUTE_PGM_RSRC2:TGID_Z_EN: 0
; COMPUTE_PGM_RSRC2:TIDIG_COMP_CNT: 0
; COMPUTE_PGM_RSRC3_GFX90A:ACCUM_OFFSET: 0
; COMPUTE_PGM_RSRC3_GFX90A:TG_SPLIT: 0
	.section	.text._ZN7rocprim17ROCPRIM_400000_NS6detail17trampoline_kernelINS0_14default_configENS1_27scan_by_key_config_selectorIisEEZZNS1_16scan_by_key_implILNS1_25lookback_scan_determinismE0ELb1ES3_N6thrust23THRUST_200600_302600_NS6detail15normal_iteratorINS9_10device_ptrIiEEEENSB_INSC_IsEEEESG_sNS9_4plusIvEENS9_8equal_toIvEEsEE10hipError_tPvRmT2_T3_T4_T5_mT6_T7_P12ihipStream_tbENKUlT_T0_E_clISt17integral_constantIbLb0EES10_IbLb1EEEEDaSW_SX_EUlSW_E_NS1_11comp_targetILNS1_3genE10ELNS1_11target_archE1201ELNS1_3gpuE5ELNS1_3repE0EEENS1_30default_config_static_selectorELNS0_4arch9wavefront6targetE1EEEvT1_,"axG",@progbits,_ZN7rocprim17ROCPRIM_400000_NS6detail17trampoline_kernelINS0_14default_configENS1_27scan_by_key_config_selectorIisEEZZNS1_16scan_by_key_implILNS1_25lookback_scan_determinismE0ELb1ES3_N6thrust23THRUST_200600_302600_NS6detail15normal_iteratorINS9_10device_ptrIiEEEENSB_INSC_IsEEEESG_sNS9_4plusIvEENS9_8equal_toIvEEsEE10hipError_tPvRmT2_T3_T4_T5_mT6_T7_P12ihipStream_tbENKUlT_T0_E_clISt17integral_constantIbLb0EES10_IbLb1EEEEDaSW_SX_EUlSW_E_NS1_11comp_targetILNS1_3genE10ELNS1_11target_archE1201ELNS1_3gpuE5ELNS1_3repE0EEENS1_30default_config_static_selectorELNS0_4arch9wavefront6targetE1EEEvT1_,comdat
	.protected	_ZN7rocprim17ROCPRIM_400000_NS6detail17trampoline_kernelINS0_14default_configENS1_27scan_by_key_config_selectorIisEEZZNS1_16scan_by_key_implILNS1_25lookback_scan_determinismE0ELb1ES3_N6thrust23THRUST_200600_302600_NS6detail15normal_iteratorINS9_10device_ptrIiEEEENSB_INSC_IsEEEESG_sNS9_4plusIvEENS9_8equal_toIvEEsEE10hipError_tPvRmT2_T3_T4_T5_mT6_T7_P12ihipStream_tbENKUlT_T0_E_clISt17integral_constantIbLb0EES10_IbLb1EEEEDaSW_SX_EUlSW_E_NS1_11comp_targetILNS1_3genE10ELNS1_11target_archE1201ELNS1_3gpuE5ELNS1_3repE0EEENS1_30default_config_static_selectorELNS0_4arch9wavefront6targetE1EEEvT1_ ; -- Begin function _ZN7rocprim17ROCPRIM_400000_NS6detail17trampoline_kernelINS0_14default_configENS1_27scan_by_key_config_selectorIisEEZZNS1_16scan_by_key_implILNS1_25lookback_scan_determinismE0ELb1ES3_N6thrust23THRUST_200600_302600_NS6detail15normal_iteratorINS9_10device_ptrIiEEEENSB_INSC_IsEEEESG_sNS9_4plusIvEENS9_8equal_toIvEEsEE10hipError_tPvRmT2_T3_T4_T5_mT6_T7_P12ihipStream_tbENKUlT_T0_E_clISt17integral_constantIbLb0EES10_IbLb1EEEEDaSW_SX_EUlSW_E_NS1_11comp_targetILNS1_3genE10ELNS1_11target_archE1201ELNS1_3gpuE5ELNS1_3repE0EEENS1_30default_config_static_selectorELNS0_4arch9wavefront6targetE1EEEvT1_
	.globl	_ZN7rocprim17ROCPRIM_400000_NS6detail17trampoline_kernelINS0_14default_configENS1_27scan_by_key_config_selectorIisEEZZNS1_16scan_by_key_implILNS1_25lookback_scan_determinismE0ELb1ES3_N6thrust23THRUST_200600_302600_NS6detail15normal_iteratorINS9_10device_ptrIiEEEENSB_INSC_IsEEEESG_sNS9_4plusIvEENS9_8equal_toIvEEsEE10hipError_tPvRmT2_T3_T4_T5_mT6_T7_P12ihipStream_tbENKUlT_T0_E_clISt17integral_constantIbLb0EES10_IbLb1EEEEDaSW_SX_EUlSW_E_NS1_11comp_targetILNS1_3genE10ELNS1_11target_archE1201ELNS1_3gpuE5ELNS1_3repE0EEENS1_30default_config_static_selectorELNS0_4arch9wavefront6targetE1EEEvT1_
	.p2align	8
	.type	_ZN7rocprim17ROCPRIM_400000_NS6detail17trampoline_kernelINS0_14default_configENS1_27scan_by_key_config_selectorIisEEZZNS1_16scan_by_key_implILNS1_25lookback_scan_determinismE0ELb1ES3_N6thrust23THRUST_200600_302600_NS6detail15normal_iteratorINS9_10device_ptrIiEEEENSB_INSC_IsEEEESG_sNS9_4plusIvEENS9_8equal_toIvEEsEE10hipError_tPvRmT2_T3_T4_T5_mT6_T7_P12ihipStream_tbENKUlT_T0_E_clISt17integral_constantIbLb0EES10_IbLb1EEEEDaSW_SX_EUlSW_E_NS1_11comp_targetILNS1_3genE10ELNS1_11target_archE1201ELNS1_3gpuE5ELNS1_3repE0EEENS1_30default_config_static_selectorELNS0_4arch9wavefront6targetE1EEEvT1_,@function
_ZN7rocprim17ROCPRIM_400000_NS6detail17trampoline_kernelINS0_14default_configENS1_27scan_by_key_config_selectorIisEEZZNS1_16scan_by_key_implILNS1_25lookback_scan_determinismE0ELb1ES3_N6thrust23THRUST_200600_302600_NS6detail15normal_iteratorINS9_10device_ptrIiEEEENSB_INSC_IsEEEESG_sNS9_4plusIvEENS9_8equal_toIvEEsEE10hipError_tPvRmT2_T3_T4_T5_mT6_T7_P12ihipStream_tbENKUlT_T0_E_clISt17integral_constantIbLb0EES10_IbLb1EEEEDaSW_SX_EUlSW_E_NS1_11comp_targetILNS1_3genE10ELNS1_11target_archE1201ELNS1_3gpuE5ELNS1_3repE0EEENS1_30default_config_static_selectorELNS0_4arch9wavefront6targetE1EEEvT1_: ; @_ZN7rocprim17ROCPRIM_400000_NS6detail17trampoline_kernelINS0_14default_configENS1_27scan_by_key_config_selectorIisEEZZNS1_16scan_by_key_implILNS1_25lookback_scan_determinismE0ELb1ES3_N6thrust23THRUST_200600_302600_NS6detail15normal_iteratorINS9_10device_ptrIiEEEENSB_INSC_IsEEEESG_sNS9_4plusIvEENS9_8equal_toIvEEsEE10hipError_tPvRmT2_T3_T4_T5_mT6_T7_P12ihipStream_tbENKUlT_T0_E_clISt17integral_constantIbLb0EES10_IbLb1EEEEDaSW_SX_EUlSW_E_NS1_11comp_targetILNS1_3genE10ELNS1_11target_archE1201ELNS1_3gpuE5ELNS1_3repE0EEENS1_30default_config_static_selectorELNS0_4arch9wavefront6targetE1EEEvT1_
; %bb.0:
	.section	.rodata,"a",@progbits
	.p2align	6, 0x0
	.amdhsa_kernel _ZN7rocprim17ROCPRIM_400000_NS6detail17trampoline_kernelINS0_14default_configENS1_27scan_by_key_config_selectorIisEEZZNS1_16scan_by_key_implILNS1_25lookback_scan_determinismE0ELb1ES3_N6thrust23THRUST_200600_302600_NS6detail15normal_iteratorINS9_10device_ptrIiEEEENSB_INSC_IsEEEESG_sNS9_4plusIvEENS9_8equal_toIvEEsEE10hipError_tPvRmT2_T3_T4_T5_mT6_T7_P12ihipStream_tbENKUlT_T0_E_clISt17integral_constantIbLb0EES10_IbLb1EEEEDaSW_SX_EUlSW_E_NS1_11comp_targetILNS1_3genE10ELNS1_11target_archE1201ELNS1_3gpuE5ELNS1_3repE0EEENS1_30default_config_static_selectorELNS0_4arch9wavefront6targetE1EEEvT1_
		.amdhsa_group_segment_fixed_size 0
		.amdhsa_private_segment_fixed_size 0
		.amdhsa_kernarg_size 112
		.amdhsa_user_sgpr_count 2
		.amdhsa_user_sgpr_dispatch_ptr 0
		.amdhsa_user_sgpr_queue_ptr 0
		.amdhsa_user_sgpr_kernarg_segment_ptr 1
		.amdhsa_user_sgpr_dispatch_id 0
		.amdhsa_user_sgpr_kernarg_preload_length 0
		.amdhsa_user_sgpr_kernarg_preload_offset 0
		.amdhsa_user_sgpr_private_segment_size 0
		.amdhsa_uses_dynamic_stack 0
		.amdhsa_enable_private_segment 0
		.amdhsa_system_sgpr_workgroup_id_x 1
		.amdhsa_system_sgpr_workgroup_id_y 0
		.amdhsa_system_sgpr_workgroup_id_z 0
		.amdhsa_system_sgpr_workgroup_info 0
		.amdhsa_system_vgpr_workitem_id 0
		.amdhsa_next_free_vgpr 1
		.amdhsa_next_free_sgpr 0
		.amdhsa_accum_offset 4
		.amdhsa_reserve_vcc 0
		.amdhsa_float_round_mode_32 0
		.amdhsa_float_round_mode_16_64 0
		.amdhsa_float_denorm_mode_32 3
		.amdhsa_float_denorm_mode_16_64 3
		.amdhsa_dx10_clamp 1
		.amdhsa_ieee_mode 1
		.amdhsa_fp16_overflow 0
		.amdhsa_tg_split 0
		.amdhsa_exception_fp_ieee_invalid_op 0
		.amdhsa_exception_fp_denorm_src 0
		.amdhsa_exception_fp_ieee_div_zero 0
		.amdhsa_exception_fp_ieee_overflow 0
		.amdhsa_exception_fp_ieee_underflow 0
		.amdhsa_exception_fp_ieee_inexact 0
		.amdhsa_exception_int_div_zero 0
	.end_amdhsa_kernel
	.section	.text._ZN7rocprim17ROCPRIM_400000_NS6detail17trampoline_kernelINS0_14default_configENS1_27scan_by_key_config_selectorIisEEZZNS1_16scan_by_key_implILNS1_25lookback_scan_determinismE0ELb1ES3_N6thrust23THRUST_200600_302600_NS6detail15normal_iteratorINS9_10device_ptrIiEEEENSB_INSC_IsEEEESG_sNS9_4plusIvEENS9_8equal_toIvEEsEE10hipError_tPvRmT2_T3_T4_T5_mT6_T7_P12ihipStream_tbENKUlT_T0_E_clISt17integral_constantIbLb0EES10_IbLb1EEEEDaSW_SX_EUlSW_E_NS1_11comp_targetILNS1_3genE10ELNS1_11target_archE1201ELNS1_3gpuE5ELNS1_3repE0EEENS1_30default_config_static_selectorELNS0_4arch9wavefront6targetE1EEEvT1_,"axG",@progbits,_ZN7rocprim17ROCPRIM_400000_NS6detail17trampoline_kernelINS0_14default_configENS1_27scan_by_key_config_selectorIisEEZZNS1_16scan_by_key_implILNS1_25lookback_scan_determinismE0ELb1ES3_N6thrust23THRUST_200600_302600_NS6detail15normal_iteratorINS9_10device_ptrIiEEEENSB_INSC_IsEEEESG_sNS9_4plusIvEENS9_8equal_toIvEEsEE10hipError_tPvRmT2_T3_T4_T5_mT6_T7_P12ihipStream_tbENKUlT_T0_E_clISt17integral_constantIbLb0EES10_IbLb1EEEEDaSW_SX_EUlSW_E_NS1_11comp_targetILNS1_3genE10ELNS1_11target_archE1201ELNS1_3gpuE5ELNS1_3repE0EEENS1_30default_config_static_selectorELNS0_4arch9wavefront6targetE1EEEvT1_,comdat
.Lfunc_end1635:
	.size	_ZN7rocprim17ROCPRIM_400000_NS6detail17trampoline_kernelINS0_14default_configENS1_27scan_by_key_config_selectorIisEEZZNS1_16scan_by_key_implILNS1_25lookback_scan_determinismE0ELb1ES3_N6thrust23THRUST_200600_302600_NS6detail15normal_iteratorINS9_10device_ptrIiEEEENSB_INSC_IsEEEESG_sNS9_4plusIvEENS9_8equal_toIvEEsEE10hipError_tPvRmT2_T3_T4_T5_mT6_T7_P12ihipStream_tbENKUlT_T0_E_clISt17integral_constantIbLb0EES10_IbLb1EEEEDaSW_SX_EUlSW_E_NS1_11comp_targetILNS1_3genE10ELNS1_11target_archE1201ELNS1_3gpuE5ELNS1_3repE0EEENS1_30default_config_static_selectorELNS0_4arch9wavefront6targetE1EEEvT1_, .Lfunc_end1635-_ZN7rocprim17ROCPRIM_400000_NS6detail17trampoline_kernelINS0_14default_configENS1_27scan_by_key_config_selectorIisEEZZNS1_16scan_by_key_implILNS1_25lookback_scan_determinismE0ELb1ES3_N6thrust23THRUST_200600_302600_NS6detail15normal_iteratorINS9_10device_ptrIiEEEENSB_INSC_IsEEEESG_sNS9_4plusIvEENS9_8equal_toIvEEsEE10hipError_tPvRmT2_T3_T4_T5_mT6_T7_P12ihipStream_tbENKUlT_T0_E_clISt17integral_constantIbLb0EES10_IbLb1EEEEDaSW_SX_EUlSW_E_NS1_11comp_targetILNS1_3genE10ELNS1_11target_archE1201ELNS1_3gpuE5ELNS1_3repE0EEENS1_30default_config_static_selectorELNS0_4arch9wavefront6targetE1EEEvT1_
                                        ; -- End function
	.section	.AMDGPU.csdata,"",@progbits
; Kernel info:
; codeLenInByte = 0
; NumSgprs: 6
; NumVgprs: 0
; NumAgprs: 0
; TotalNumVgprs: 0
; ScratchSize: 0
; MemoryBound: 0
; FloatMode: 240
; IeeeMode: 1
; LDSByteSize: 0 bytes/workgroup (compile time only)
; SGPRBlocks: 0
; VGPRBlocks: 0
; NumSGPRsForWavesPerEU: 6
; NumVGPRsForWavesPerEU: 1
; AccumOffset: 4
; Occupancy: 8
; WaveLimiterHint : 0
; COMPUTE_PGM_RSRC2:SCRATCH_EN: 0
; COMPUTE_PGM_RSRC2:USER_SGPR: 2
; COMPUTE_PGM_RSRC2:TRAP_HANDLER: 0
; COMPUTE_PGM_RSRC2:TGID_X_EN: 1
; COMPUTE_PGM_RSRC2:TGID_Y_EN: 0
; COMPUTE_PGM_RSRC2:TGID_Z_EN: 0
; COMPUTE_PGM_RSRC2:TIDIG_COMP_CNT: 0
; COMPUTE_PGM_RSRC3_GFX90A:ACCUM_OFFSET: 0
; COMPUTE_PGM_RSRC3_GFX90A:TG_SPLIT: 0
	.section	.text._ZN7rocprim17ROCPRIM_400000_NS6detail17trampoline_kernelINS0_14default_configENS1_27scan_by_key_config_selectorIisEEZZNS1_16scan_by_key_implILNS1_25lookback_scan_determinismE0ELb1ES3_N6thrust23THRUST_200600_302600_NS6detail15normal_iteratorINS9_10device_ptrIiEEEENSB_INSC_IsEEEESG_sNS9_4plusIvEENS9_8equal_toIvEEsEE10hipError_tPvRmT2_T3_T4_T5_mT6_T7_P12ihipStream_tbENKUlT_T0_E_clISt17integral_constantIbLb0EES10_IbLb1EEEEDaSW_SX_EUlSW_E_NS1_11comp_targetILNS1_3genE5ELNS1_11target_archE942ELNS1_3gpuE9ELNS1_3repE0EEENS1_30default_config_static_selectorELNS0_4arch9wavefront6targetE1EEEvT1_,"axG",@progbits,_ZN7rocprim17ROCPRIM_400000_NS6detail17trampoline_kernelINS0_14default_configENS1_27scan_by_key_config_selectorIisEEZZNS1_16scan_by_key_implILNS1_25lookback_scan_determinismE0ELb1ES3_N6thrust23THRUST_200600_302600_NS6detail15normal_iteratorINS9_10device_ptrIiEEEENSB_INSC_IsEEEESG_sNS9_4plusIvEENS9_8equal_toIvEEsEE10hipError_tPvRmT2_T3_T4_T5_mT6_T7_P12ihipStream_tbENKUlT_T0_E_clISt17integral_constantIbLb0EES10_IbLb1EEEEDaSW_SX_EUlSW_E_NS1_11comp_targetILNS1_3genE5ELNS1_11target_archE942ELNS1_3gpuE9ELNS1_3repE0EEENS1_30default_config_static_selectorELNS0_4arch9wavefront6targetE1EEEvT1_,comdat
	.protected	_ZN7rocprim17ROCPRIM_400000_NS6detail17trampoline_kernelINS0_14default_configENS1_27scan_by_key_config_selectorIisEEZZNS1_16scan_by_key_implILNS1_25lookback_scan_determinismE0ELb1ES3_N6thrust23THRUST_200600_302600_NS6detail15normal_iteratorINS9_10device_ptrIiEEEENSB_INSC_IsEEEESG_sNS9_4plusIvEENS9_8equal_toIvEEsEE10hipError_tPvRmT2_T3_T4_T5_mT6_T7_P12ihipStream_tbENKUlT_T0_E_clISt17integral_constantIbLb0EES10_IbLb1EEEEDaSW_SX_EUlSW_E_NS1_11comp_targetILNS1_3genE5ELNS1_11target_archE942ELNS1_3gpuE9ELNS1_3repE0EEENS1_30default_config_static_selectorELNS0_4arch9wavefront6targetE1EEEvT1_ ; -- Begin function _ZN7rocprim17ROCPRIM_400000_NS6detail17trampoline_kernelINS0_14default_configENS1_27scan_by_key_config_selectorIisEEZZNS1_16scan_by_key_implILNS1_25lookback_scan_determinismE0ELb1ES3_N6thrust23THRUST_200600_302600_NS6detail15normal_iteratorINS9_10device_ptrIiEEEENSB_INSC_IsEEEESG_sNS9_4plusIvEENS9_8equal_toIvEEsEE10hipError_tPvRmT2_T3_T4_T5_mT6_T7_P12ihipStream_tbENKUlT_T0_E_clISt17integral_constantIbLb0EES10_IbLb1EEEEDaSW_SX_EUlSW_E_NS1_11comp_targetILNS1_3genE5ELNS1_11target_archE942ELNS1_3gpuE9ELNS1_3repE0EEENS1_30default_config_static_selectorELNS0_4arch9wavefront6targetE1EEEvT1_
	.globl	_ZN7rocprim17ROCPRIM_400000_NS6detail17trampoline_kernelINS0_14default_configENS1_27scan_by_key_config_selectorIisEEZZNS1_16scan_by_key_implILNS1_25lookback_scan_determinismE0ELb1ES3_N6thrust23THRUST_200600_302600_NS6detail15normal_iteratorINS9_10device_ptrIiEEEENSB_INSC_IsEEEESG_sNS9_4plusIvEENS9_8equal_toIvEEsEE10hipError_tPvRmT2_T3_T4_T5_mT6_T7_P12ihipStream_tbENKUlT_T0_E_clISt17integral_constantIbLb0EES10_IbLb1EEEEDaSW_SX_EUlSW_E_NS1_11comp_targetILNS1_3genE5ELNS1_11target_archE942ELNS1_3gpuE9ELNS1_3repE0EEENS1_30default_config_static_selectorELNS0_4arch9wavefront6targetE1EEEvT1_
	.p2align	8
	.type	_ZN7rocprim17ROCPRIM_400000_NS6detail17trampoline_kernelINS0_14default_configENS1_27scan_by_key_config_selectorIisEEZZNS1_16scan_by_key_implILNS1_25lookback_scan_determinismE0ELb1ES3_N6thrust23THRUST_200600_302600_NS6detail15normal_iteratorINS9_10device_ptrIiEEEENSB_INSC_IsEEEESG_sNS9_4plusIvEENS9_8equal_toIvEEsEE10hipError_tPvRmT2_T3_T4_T5_mT6_T7_P12ihipStream_tbENKUlT_T0_E_clISt17integral_constantIbLb0EES10_IbLb1EEEEDaSW_SX_EUlSW_E_NS1_11comp_targetILNS1_3genE5ELNS1_11target_archE942ELNS1_3gpuE9ELNS1_3repE0EEENS1_30default_config_static_selectorELNS0_4arch9wavefront6targetE1EEEvT1_,@function
_ZN7rocprim17ROCPRIM_400000_NS6detail17trampoline_kernelINS0_14default_configENS1_27scan_by_key_config_selectorIisEEZZNS1_16scan_by_key_implILNS1_25lookback_scan_determinismE0ELb1ES3_N6thrust23THRUST_200600_302600_NS6detail15normal_iteratorINS9_10device_ptrIiEEEENSB_INSC_IsEEEESG_sNS9_4plusIvEENS9_8equal_toIvEEsEE10hipError_tPvRmT2_T3_T4_T5_mT6_T7_P12ihipStream_tbENKUlT_T0_E_clISt17integral_constantIbLb0EES10_IbLb1EEEEDaSW_SX_EUlSW_E_NS1_11comp_targetILNS1_3genE5ELNS1_11target_archE942ELNS1_3gpuE9ELNS1_3repE0EEENS1_30default_config_static_selectorELNS0_4arch9wavefront6targetE1EEEvT1_: ; @_ZN7rocprim17ROCPRIM_400000_NS6detail17trampoline_kernelINS0_14default_configENS1_27scan_by_key_config_selectorIisEEZZNS1_16scan_by_key_implILNS1_25lookback_scan_determinismE0ELb1ES3_N6thrust23THRUST_200600_302600_NS6detail15normal_iteratorINS9_10device_ptrIiEEEENSB_INSC_IsEEEESG_sNS9_4plusIvEENS9_8equal_toIvEEsEE10hipError_tPvRmT2_T3_T4_T5_mT6_T7_P12ihipStream_tbENKUlT_T0_E_clISt17integral_constantIbLb0EES10_IbLb1EEEEDaSW_SX_EUlSW_E_NS1_11comp_targetILNS1_3genE5ELNS1_11target_archE942ELNS1_3gpuE9ELNS1_3repE0EEENS1_30default_config_static_selectorELNS0_4arch9wavefront6targetE1EEEvT1_
; %bb.0:
	s_load_dword s74, s[0:1], 0x20
	s_load_dwordx4 s[64:67], s[0:1], 0x28
	s_load_dwordx2 s[72:73], s[0:1], 0x38
	v_cmp_eq_u32_e64 s[52:53], 0, v0
	s_and_saveexec_b64 s[2:3], s[52:53]
	s_cbranch_execz .LBB1636_4
; %bb.1:
	s_mov_b64 s[6:7], exec
	v_mbcnt_lo_u32_b32 v1, s6, 0
	v_mbcnt_hi_u32_b32 v1, s7, v1
	v_cmp_eq_u32_e32 vcc, 0, v1
                                        ; implicit-def: $vgpr2
	s_and_saveexec_b64 s[4:5], vcc
	s_cbranch_execz .LBB1636_3
; %bb.2:
	s_load_dwordx2 s[8:9], s[0:1], 0x68
	s_bcnt1_i32_b64 s6, s[6:7]
	v_mov_b32_e32 v2, 0
	v_mov_b32_e32 v3, s6
	s_waitcnt lgkmcnt(0)
	global_atomic_add v2, v2, v3, s[8:9] sc0
.LBB1636_3:
	s_or_b64 exec, exec, s[4:5]
	s_waitcnt vmcnt(0)
	v_readfirstlane_b32 s4, v2
	v_mov_b32_e32 v2, 0
	s_nop 0
	v_add_u32_e32 v1, s4, v1
	ds_write_b32 v2, v1
.LBB1636_4:
	s_or_b64 exec, exec, s[2:3]
	s_load_dwordx8 s[56:63], s[0:1], 0x0
	s_load_dword s2, s[0:1], 0x40
	s_load_dwordx4 s[68:71], s[0:1], 0x48
	v_mov_b32_e32 v3, 0
	s_waitcnt lgkmcnt(0)
	s_lshl_b64 s[0:1], s[58:59], 2
	s_barrier
	ds_read_b32 v2, v3
	s_add_u32 s0, s56, s0
	s_addc_u32 s1, s57, s1
	s_lshl_b64 s[54:55], s[58:59], 1
	s_add_u32 s4, s60, s54
	s_mul_i32 s3, s73, s2
	s_mul_hi_u32 s6, s72, s2
	s_addc_u32 s5, s61, s55
	s_add_i32 s3, s6, s3
	s_movk_i32 s6, 0x1800
	s_waitcnt lgkmcnt(0)
	v_mul_lo_u32 v4, v2, s6
	v_mov_b32_e32 v5, v3
	v_lshlrev_b64 v[50:51], 1, v[4:5]
	s_mul_i32 s2, s72, s2
	v_lshl_add_u64 v[52:53], s[4:5], 0, v[50:51]
	s_add_u32 s4, s68, -1
	v_readfirstlane_b32 s67, v2
	v_lshl_add_u64 v[2:3], s[2:3], 0, v[2:3]
	s_addc_u32 s5, s69, -1
	v_lshlrev_b64 v[6:7], 2, v[4:5]
	v_cmp_le_u64_e64 s[2:3], s[4:5], v[2:3]
	v_lshl_add_u64 v[54:55], s[0:1], 0, v[6:7]
	s_mov_b64 s[0:1], -1
	s_and_b64 vcc, exec, s[2:3]
	s_mul_i32 s33, s4, 0xffffe800
	s_barrier
	s_barrier
	s_cbranch_vccz .LBB1636_130
; %bb.5:
	flat_load_dword v2, v[54:55]
	s_add_i32 s68, s33, s66
	v_cmp_gt_u32_e32 vcc, s68, v0
	s_waitcnt vmcnt(0) lgkmcnt(0)
	v_mov_b32_e32 v3, v2
	s_and_saveexec_b64 s[0:1], vcc
	s_cbranch_execz .LBB1636_7
; %bb.6:
	v_lshlrev_b32_e32 v4, 2, v0
	v_mov_b32_e32 v5, 0
	v_lshl_add_u64 v[4:5], v[54:55], 0, v[4:5]
	flat_load_dword v3, v[4:5]
.LBB1636_7:
	s_or_b64 exec, exec, s[0:1]
	v_or_b32_e32 v1, 0x100, v0
	v_cmp_gt_u32_e64 s[4:5], s68, v1
	v_mov_b32_e32 v19, v2
	s_and_saveexec_b64 s[0:1], s[4:5]
	s_cbranch_execz .LBB1636_9
; %bb.8:
	v_lshlrev_b32_e32 v4, 2, v0
	v_mov_b32_e32 v5, 0
	v_lshl_add_u64 v[4:5], v[54:55], 0, v[4:5]
	flat_load_dword v19, v[4:5] offset:1024
.LBB1636_9:
	s_or_b64 exec, exec, s[0:1]
	v_or_b32_e32 v1, 0x200, v0
	v_cmp_gt_u32_e64 s[6:7], s68, v1
	v_mov_b32_e32 v20, v2
	s_and_saveexec_b64 s[0:1], s[6:7]
	s_cbranch_execz .LBB1636_11
; %bb.10:
	v_lshlrev_b32_e32 v4, 2, v0
	v_mov_b32_e32 v5, 0
	v_lshl_add_u64 v[4:5], v[54:55], 0, v[4:5]
	flat_load_dword v20, v[4:5] offset:2048
.LBB1636_11:
	;; [unrolled: 12-line block ×3, first 2 shown]
	s_or_b64 exec, exec, s[0:1]
	v_or_b32_e32 v1, 0x400, v0
	v_cmp_gt_u32_e64 s[10:11], s68, v1
	v_mov_b32_e32 v22, v2
	s_and_saveexec_b64 s[0:1], s[10:11]
	s_cbranch_execz .LBB1636_15
; %bb.14:
	v_lshlrev_b32_e32 v4, 2, v1
	v_mov_b32_e32 v5, 0
	v_lshl_add_u64 v[4:5], v[54:55], 0, v[4:5]
	flat_load_dword v22, v[4:5]
.LBB1636_15:
	s_or_b64 exec, exec, s[0:1]
	v_or_b32_e32 v1, 0x500, v0
	v_cmp_gt_u32_e64 s[12:13], s68, v1
	v_mov_b32_e32 v23, v2
	s_and_saveexec_b64 s[0:1], s[12:13]
	s_cbranch_execz .LBB1636_17
; %bb.16:
	v_lshlrev_b32_e32 v4, 2, v1
	v_mov_b32_e32 v5, 0
	v_lshl_add_u64 v[4:5], v[54:55], 0, v[4:5]
	flat_load_dword v23, v[4:5]
.LBB1636_17:
	s_or_b64 exec, exec, s[0:1]
	v_or_b32_e32 v1, 0x600, v0
	v_cmp_gt_u32_e64 s[14:15], s68, v1
	v_mov_b32_e32 v24, v2
	s_and_saveexec_b64 s[0:1], s[14:15]
	s_cbranch_execz .LBB1636_19
; %bb.18:
	v_lshlrev_b32_e32 v4, 2, v1
	v_mov_b32_e32 v5, 0
	v_lshl_add_u64 v[4:5], v[54:55], 0, v[4:5]
	flat_load_dword v24, v[4:5]
.LBB1636_19:
	s_or_b64 exec, exec, s[0:1]
	v_or_b32_e32 v1, 0x700, v0
	v_cmp_gt_u32_e64 s[16:17], s68, v1
	v_mov_b32_e32 v25, v2
	s_and_saveexec_b64 s[0:1], s[16:17]
	s_cbranch_execz .LBB1636_21
; %bb.20:
	v_lshlrev_b32_e32 v4, 2, v1
	v_mov_b32_e32 v5, 0
	v_lshl_add_u64 v[4:5], v[54:55], 0, v[4:5]
	flat_load_dword v25, v[4:5]
.LBB1636_21:
	s_or_b64 exec, exec, s[0:1]
	v_or_b32_e32 v1, 0x800, v0
	v_cmp_gt_u32_e64 s[18:19], s68, v1
	v_mov_b32_e32 v26, v2
	s_and_saveexec_b64 s[0:1], s[18:19]
	s_cbranch_execz .LBB1636_23
; %bb.22:
	v_lshlrev_b32_e32 v4, 2, v1
	v_mov_b32_e32 v5, 0
	v_lshl_add_u64 v[4:5], v[54:55], 0, v[4:5]
	flat_load_dword v26, v[4:5]
.LBB1636_23:
	s_or_b64 exec, exec, s[0:1]
	v_or_b32_e32 v4, 0x900, v0
	v_cmp_gt_u32_e64 s[20:21], s68, v4
	v_mov_b32_e32 v27, v2
	s_and_saveexec_b64 s[0:1], s[20:21]
	s_cbranch_execz .LBB1636_25
; %bb.24:
	v_lshlrev_b32_e32 v6, 2, v4
	v_mov_b32_e32 v7, 0
	v_lshl_add_u64 v[6:7], v[54:55], 0, v[6:7]
	flat_load_dword v27, v[6:7]
.LBB1636_25:
	s_or_b64 exec, exec, s[0:1]
	v_or_b32_e32 v5, 0xa00, v0
	v_cmp_gt_u32_e64 s[22:23], s68, v5
	v_mov_b32_e32 v28, v2
	s_and_saveexec_b64 s[0:1], s[22:23]
	s_cbranch_execz .LBB1636_27
; %bb.26:
	v_lshlrev_b32_e32 v6, 2, v5
	v_mov_b32_e32 v7, 0
	v_lshl_add_u64 v[6:7], v[54:55], 0, v[6:7]
	flat_load_dword v28, v[6:7]
.LBB1636_27:
	s_or_b64 exec, exec, s[0:1]
	v_or_b32_e32 v6, 0xb00, v0
	v_cmp_gt_u32_e64 s[24:25], s68, v6
	v_mov_b32_e32 v29, v2
	s_and_saveexec_b64 s[0:1], s[24:25]
	s_cbranch_execz .LBB1636_29
; %bb.28:
	v_lshlrev_b32_e32 v8, 2, v6
	v_mov_b32_e32 v9, 0
	v_lshl_add_u64 v[8:9], v[54:55], 0, v[8:9]
	flat_load_dword v29, v[8:9]
.LBB1636_29:
	s_or_b64 exec, exec, s[0:1]
	v_or_b32_e32 v7, 0xc00, v0
	v_cmp_gt_u32_e64 s[26:27], s68, v7
	v_mov_b32_e32 v30, v2
	s_and_saveexec_b64 s[0:1], s[26:27]
	s_cbranch_execz .LBB1636_31
; %bb.30:
	v_lshlrev_b32_e32 v8, 2, v7
	v_mov_b32_e32 v9, 0
	v_lshl_add_u64 v[8:9], v[54:55], 0, v[8:9]
	flat_load_dword v30, v[8:9]
.LBB1636_31:
	s_or_b64 exec, exec, s[0:1]
	v_or_b32_e32 v8, 0xd00, v0
	v_cmp_gt_u32_e64 s[28:29], s68, v8
	v_mov_b32_e32 v31, v2
	s_and_saveexec_b64 s[0:1], s[28:29]
	s_cbranch_execz .LBB1636_33
; %bb.32:
	v_lshlrev_b32_e32 v10, 2, v8
	v_mov_b32_e32 v11, 0
	v_lshl_add_u64 v[10:11], v[54:55], 0, v[10:11]
	flat_load_dword v31, v[10:11]
.LBB1636_33:
	s_or_b64 exec, exec, s[0:1]
	v_or_b32_e32 v9, 0xe00, v0
	v_cmp_gt_u32_e64 s[30:31], s68, v9
	v_mov_b32_e32 v32, v2
	s_and_saveexec_b64 s[0:1], s[30:31]
	s_cbranch_execz .LBB1636_35
; %bb.34:
	v_lshlrev_b32_e32 v10, 2, v9
	v_mov_b32_e32 v11, 0
	v_lshl_add_u64 v[10:11], v[54:55], 0, v[10:11]
	flat_load_dword v32, v[10:11]
.LBB1636_35:
	s_or_b64 exec, exec, s[0:1]
	v_or_b32_e32 v10, 0xf00, v0
	v_cmp_gt_u32_e64 s[34:35], s68, v10
	v_mov_b32_e32 v33, v2
	s_and_saveexec_b64 s[0:1], s[34:35]
	s_cbranch_execz .LBB1636_37
; %bb.36:
	v_lshlrev_b32_e32 v12, 2, v10
	v_mov_b32_e32 v13, 0
	v_lshl_add_u64 v[12:13], v[54:55], 0, v[12:13]
	flat_load_dword v33, v[12:13]
.LBB1636_37:
	s_or_b64 exec, exec, s[0:1]
	v_or_b32_e32 v11, 0x1000, v0
	v_cmp_gt_u32_e64 s[36:37], s68, v11
	v_mov_b32_e32 v34, v2
	s_and_saveexec_b64 s[0:1], s[36:37]
	s_cbranch_execz .LBB1636_39
; %bb.38:
	v_lshlrev_b32_e32 v12, 2, v11
	v_mov_b32_e32 v13, 0
	v_lshl_add_u64 v[12:13], v[54:55], 0, v[12:13]
	flat_load_dword v34, v[12:13]
.LBB1636_39:
	s_or_b64 exec, exec, s[0:1]
	v_or_b32_e32 v12, 0x1100, v0
	v_cmp_gt_u32_e64 s[38:39], s68, v12
	v_mov_b32_e32 v35, v2
	s_and_saveexec_b64 s[0:1], s[38:39]
	s_cbranch_execz .LBB1636_41
; %bb.40:
	v_lshlrev_b32_e32 v14, 2, v12
	v_mov_b32_e32 v15, 0
	v_lshl_add_u64 v[14:15], v[54:55], 0, v[14:15]
	flat_load_dword v35, v[14:15]
.LBB1636_41:
	s_or_b64 exec, exec, s[0:1]
	v_or_b32_e32 v13, 0x1200, v0
	v_cmp_gt_u32_e64 s[40:41], s68, v13
	v_mov_b32_e32 v36, v2
	s_and_saveexec_b64 s[0:1], s[40:41]
	s_cbranch_execz .LBB1636_43
; %bb.42:
	v_lshlrev_b32_e32 v14, 2, v13
	v_mov_b32_e32 v15, 0
	v_lshl_add_u64 v[14:15], v[54:55], 0, v[14:15]
	flat_load_dword v36, v[14:15]
.LBB1636_43:
	s_or_b64 exec, exec, s[0:1]
	v_or_b32_e32 v14, 0x1300, v0
	v_cmp_gt_u32_e64 s[42:43], s68, v14
	v_mov_b32_e32 v37, v2
	s_and_saveexec_b64 s[0:1], s[42:43]
	s_cbranch_execz .LBB1636_45
; %bb.44:
	v_lshlrev_b32_e32 v16, 2, v14
	v_mov_b32_e32 v17, 0
	v_lshl_add_u64 v[16:17], v[54:55], 0, v[16:17]
	flat_load_dword v37, v[16:17]
.LBB1636_45:
	s_or_b64 exec, exec, s[0:1]
	v_or_b32_e32 v15, 0x1400, v0
	v_cmp_gt_u32_e64 s[44:45], s68, v15
	v_mov_b32_e32 v38, v2
	s_and_saveexec_b64 s[0:1], s[44:45]
	s_cbranch_execz .LBB1636_47
; %bb.46:
	v_lshlrev_b32_e32 v16, 2, v15
	v_mov_b32_e32 v17, 0
	v_lshl_add_u64 v[16:17], v[54:55], 0, v[16:17]
	flat_load_dword v38, v[16:17]
.LBB1636_47:
	s_or_b64 exec, exec, s[0:1]
	v_or_b32_e32 v16, 0x1500, v0
	v_cmp_gt_u32_e64 s[46:47], s68, v16
	v_mov_b32_e32 v39, v2
	s_and_saveexec_b64 s[0:1], s[46:47]
	s_cbranch_execz .LBB1636_49
; %bb.48:
	v_lshlrev_b32_e32 v40, 2, v16
	v_mov_b32_e32 v41, 0
	v_lshl_add_u64 v[40:41], v[54:55], 0, v[40:41]
	flat_load_dword v39, v[40:41]
.LBB1636_49:
	s_or_b64 exec, exec, s[0:1]
	v_or_b32_e32 v17, 0x1600, v0
	v_cmp_gt_u32_e64 s[48:49], s68, v17
	v_mov_b32_e32 v40, v2
	s_and_saveexec_b64 s[0:1], s[48:49]
	s_cbranch_execz .LBB1636_51
; %bb.50:
	v_lshlrev_b32_e32 v40, 2, v17
	v_mov_b32_e32 v41, 0
	v_lshl_add_u64 v[40:41], v[54:55], 0, v[40:41]
	flat_load_dword v40, v[40:41]
.LBB1636_51:
	s_or_b64 exec, exec, s[0:1]
	v_or_b32_e32 v18, 0x1700, v0
	v_cmp_gt_u32_e64 s[50:51], s68, v18
	s_and_saveexec_b64 s[0:1], s[50:51]
	s_cbranch_execz .LBB1636_53
; %bb.52:
	v_lshlrev_b32_e32 v42, 2, v18
	v_mov_b32_e32 v43, 0
	v_lshl_add_u64 v[42:43], v[54:55], 0, v[42:43]
	flat_load_dword v2, v[42:43]
.LBB1636_53:
	s_or_b64 exec, exec, s[0:1]
	v_lshlrev_b32_e32 v46, 2, v0
	s_waitcnt vmcnt(0) lgkmcnt(0)
	ds_write2st64_b32 v46, v3, v19 offset1:4
	ds_write2st64_b32 v46, v20, v21 offset0:8 offset1:12
	ds_write2st64_b32 v46, v22, v23 offset0:16 offset1:20
	;; [unrolled: 1-line block ×11, first 2 shown]
	s_waitcnt lgkmcnt(0)
	s_barrier
	flat_load_dword v58, v[54:55]
	s_movk_i32 s0, 0x5c
	v_mad_u32_u24 v2, v0, s0, v46
	s_movk_i32 s0, 0xffa4
	v_mad_i32_i24 v19, v0, s0, v2
	s_movk_i32 s0, 0xff
	v_cmp_ne_u32_e64 s[0:1], s0, v0
	ds_read_b128 v[42:45], v2
	ds_read_b128 v[38:41], v2 offset:16
	ds_read_b128 v[34:37], v2 offset:32
	;; [unrolled: 1-line block ×5, first 2 shown]
	s_waitcnt lgkmcnt(0)
	ds_write_b32 v19, v42 offset:25600
	s_waitcnt lgkmcnt(0)
	s_barrier
	s_and_saveexec_b64 s[56:57], s[0:1]
	s_cbranch_execz .LBB1636_55
; %bb.54:
	s_waitcnt vmcnt(0)
	ds_read_b32 v58, v46 offset:25604
.LBB1636_55:
	s_or_b64 exec, exec, s[56:57]
	v_mov_b32_e32 v3, 0
	s_waitcnt lgkmcnt(0)
	s_barrier
	s_waitcnt lgkmcnt(0)
                                        ; implicit-def: $vgpr2
	s_and_saveexec_b64 s[0:1], vcc
	s_cbranch_execz .LBB1636_205
; %bb.56:
	v_lshlrev_b32_e32 v2, 1, v0
	v_lshl_add_u64 v[2:3], v[52:53], 0, v[2:3]
	flat_load_ushort v2, v[2:3]
	s_or_b64 exec, exec, s[0:1]
                                        ; implicit-def: $vgpr3
	s_and_saveexec_b64 s[0:1], s[4:5]
	s_cbranch_execnz .LBB1636_206
.LBB1636_57:
	s_or_b64 exec, exec, s[0:1]
                                        ; implicit-def: $vgpr20
	s_and_saveexec_b64 s[0:1], s[6:7]
	s_cbranch_execz .LBB1636_207
.LBB1636_58:
	v_lshlrev_b32_e32 v20, 1, v0
	v_mov_b32_e32 v21, 0
	v_lshl_add_u64 v[20:21], v[52:53], 0, v[20:21]
	flat_load_ushort v20, v[20:21] offset:1024
	s_or_b64 exec, exec, s[0:1]
                                        ; implicit-def: $vgpr21
	s_and_saveexec_b64 s[0:1], s[8:9]
	s_cbranch_execnz .LBB1636_208
.LBB1636_59:
	s_or_b64 exec, exec, s[0:1]
                                        ; implicit-def: $vgpr46
	s_and_saveexec_b64 s[0:1], s[10:11]
	s_cbranch_execz .LBB1636_209
.LBB1636_60:
	v_lshlrev_b32_e32 v46, 1, v0
	v_mov_b32_e32 v47, 0
	v_lshl_add_u64 v[46:47], v[52:53], 0, v[46:47]
	flat_load_ushort v46, v[46:47] offset:2048
	s_or_b64 exec, exec, s[0:1]
                                        ; implicit-def: $vgpr47
	s_and_saveexec_b64 s[0:1], s[12:13]
	s_cbranch_execnz .LBB1636_210
.LBB1636_61:
	s_or_b64 exec, exec, s[0:1]
                                        ; implicit-def: $vgpr48
	s_and_saveexec_b64 s[0:1], s[14:15]
	s_cbranch_execz .LBB1636_211
.LBB1636_62:
	v_lshlrev_b32_e32 v48, 1, v0
	v_mov_b32_e32 v49, 0
	v_lshl_add_u64 v[48:49], v[52:53], 0, v[48:49]
	flat_load_ushort v48, v[48:49] offset:3072
	s_or_b64 exec, exec, s[0:1]
                                        ; implicit-def: $vgpr49
	s_and_saveexec_b64 s[0:1], s[16:17]
	s_cbranch_execnz .LBB1636_212
.LBB1636_63:
	s_or_b64 exec, exec, s[0:1]
                                        ; implicit-def: $vgpr56
	s_and_saveexec_b64 s[0:1], s[18:19]
	s_cbranch_execz .LBB1636_213
.LBB1636_64:
	v_lshlrev_b32_e32 v56, 1, v1
	v_mov_b32_e32 v57, 0
	v_lshl_add_u64 v[56:57], v[52:53], 0, v[56:57]
	flat_load_ushort v56, v[56:57]
	s_or_b64 exec, exec, s[0:1]
                                        ; implicit-def: $vgpr1
	s_and_saveexec_b64 s[0:1], s[20:21]
	s_cbranch_execnz .LBB1636_214
.LBB1636_65:
	s_or_b64 exec, exec, s[0:1]
                                        ; implicit-def: $vgpr4
	s_and_saveexec_b64 s[0:1], s[22:23]
	s_cbranch_execz .LBB1636_215
.LBB1636_66:
	v_lshlrev_b32_e32 v4, 1, v5
	v_mov_b32_e32 v5, 0
	v_lshl_add_u64 v[4:5], v[52:53], 0, v[4:5]
	flat_load_ushort v4, v[4:5]
	s_or_b64 exec, exec, s[0:1]
                                        ; implicit-def: $vgpr5
	s_and_saveexec_b64 s[0:1], s[24:25]
	s_cbranch_execnz .LBB1636_216
.LBB1636_67:
	s_or_b64 exec, exec, s[0:1]
                                        ; implicit-def: $vgpr6
	s_and_saveexec_b64 s[0:1], s[26:27]
	s_cbranch_execz .LBB1636_217
.LBB1636_68:
	v_lshlrev_b32_e32 v6, 1, v7
	v_mov_b32_e32 v7, 0
	v_lshl_add_u64 v[6:7], v[52:53], 0, v[6:7]
	flat_load_ushort v6, v[6:7]
	s_or_b64 exec, exec, s[0:1]
                                        ; implicit-def: $vgpr7
	s_and_saveexec_b64 s[0:1], s[28:29]
	s_cbranch_execnz .LBB1636_218
.LBB1636_69:
	s_or_b64 exec, exec, s[0:1]
                                        ; implicit-def: $vgpr8
	s_and_saveexec_b64 s[0:1], s[30:31]
	s_cbranch_execz .LBB1636_219
.LBB1636_70:
	v_lshlrev_b32_e32 v8, 1, v9
	v_mov_b32_e32 v9, 0
	v_lshl_add_u64 v[8:9], v[52:53], 0, v[8:9]
	flat_load_ushort v8, v[8:9]
	s_or_b64 exec, exec, s[0:1]
                                        ; implicit-def: $vgpr9
	s_and_saveexec_b64 s[0:1], s[34:35]
	s_cbranch_execnz .LBB1636_220
.LBB1636_71:
	s_or_b64 exec, exec, s[0:1]
                                        ; implicit-def: $vgpr10
	s_and_saveexec_b64 s[0:1], s[36:37]
	s_cbranch_execz .LBB1636_221
.LBB1636_72:
	v_lshlrev_b32_e32 v10, 1, v11
	v_mov_b32_e32 v11, 0
	v_lshl_add_u64 v[10:11], v[52:53], 0, v[10:11]
	flat_load_ushort v10, v[10:11]
	s_or_b64 exec, exec, s[0:1]
                                        ; implicit-def: $vgpr11
	s_and_saveexec_b64 s[0:1], s[38:39]
	s_cbranch_execnz .LBB1636_222
.LBB1636_73:
	s_or_b64 exec, exec, s[0:1]
                                        ; implicit-def: $vgpr12
	s_and_saveexec_b64 s[0:1], s[40:41]
	s_cbranch_execz .LBB1636_223
.LBB1636_74:
	v_lshlrev_b32_e32 v12, 1, v13
	v_mov_b32_e32 v13, 0
	v_lshl_add_u64 v[12:13], v[52:53], 0, v[12:13]
	flat_load_ushort v12, v[12:13]
	s_or_b64 exec, exec, s[0:1]
                                        ; implicit-def: $vgpr13
	s_and_saveexec_b64 s[0:1], s[42:43]
	s_cbranch_execnz .LBB1636_224
.LBB1636_75:
	s_or_b64 exec, exec, s[0:1]
                                        ; implicit-def: $vgpr14
	s_and_saveexec_b64 s[0:1], s[44:45]
	s_cbranch_execz .LBB1636_225
.LBB1636_76:
	v_lshlrev_b32_e32 v14, 1, v15
	v_mov_b32_e32 v15, 0
	v_lshl_add_u64 v[14:15], v[52:53], 0, v[14:15]
	flat_load_ushort v14, v[14:15]
	s_or_b64 exec, exec, s[0:1]
                                        ; implicit-def: $vgpr15
	s_and_saveexec_b64 s[0:1], s[46:47]
	s_cbranch_execnz .LBB1636_226
.LBB1636_77:
	s_or_b64 exec, exec, s[0:1]
                                        ; implicit-def: $vgpr16
	s_and_saveexec_b64 s[0:1], s[48:49]
	s_cbranch_execz .LBB1636_79
.LBB1636_78:
	v_lshlrev_b32_e32 v16, 1, v17
	v_mov_b32_e32 v17, 0
	v_lshl_add_u64 v[16:17], v[52:53], 0, v[16:17]
	flat_load_ushort v16, v[16:17]
.LBB1636_79:
	s_or_b64 exec, exec, s[0:1]
	v_mul_u32_u24_e32 v60, 24, v0
                                        ; implicit-def: $vgpr17
	s_and_saveexec_b64 s[0:1], s[50:51]
	s_cbranch_execz .LBB1636_81
; %bb.80:
	v_lshlrev_b32_e32 v62, 1, v18
	v_mov_b32_e32 v63, 0
	v_lshl_add_u64 v[62:63], v[52:53], 0, v[62:63]
	flat_load_ushort v17, v[62:63]
.LBB1636_81:
	s_or_b64 exec, exec, s[0:1]
	v_lshlrev_b32_e32 v18, 1, v0
	s_mov_b32 s4, 0
	v_sub_u32_e32 v61, v19, v18
	s_mov_b32 s5, s4
	s_waitcnt vmcnt(0) lgkmcnt(0)
	ds_write_b16 v61, v2
	ds_write_b16 v61, v3 offset:512
	ds_write_b16 v61, v20 offset:1024
	;; [unrolled: 1-line block ×23, first 2 shown]
	s_mov_b32 s6, s4
	s_mov_b32 s7, s4
	s_mov_b32 s8, s4
	s_mov_b32 s9, s4
	s_mov_b32 s10, s4
	s_mov_b32 s11, s4
	v_mov_b64_e32 v[2:3], s[4:5]
	s_mov_b32 s14, s4
	s_mov_b32 s15, s4
	v_mov_b64_e32 v[8:9], s[10:11]
	s_mov_b32 s12, s4
	s_mov_b32 s13, s4
	v_mov_b64_e32 v[20:21], s[14:15]
	v_mov_b64_e32 v[4:5], s[6:7]
	;; [unrolled: 1-line block ×4, first 2 shown]
	v_cmp_gt_u32_e32 vcc, s68, v60
	s_mov_b64 s[0:1], 0
	v_mov_b64_e32 v[18:19], s[12:13]
	v_mov_b32_e32 v1, 0
	s_mov_b64 s[10:11], 0
	v_mov_b64_e32 v[14:15], v[6:7]
	v_mov_b64_e32 v[12:13], v[4:5]
	;; [unrolled: 1-line block ×3, first 2 shown]
	v_mov_b32_e32 v56, 0
	v_mov_b32_e32 v57, 0
	s_waitcnt lgkmcnt(0)
	s_barrier
	s_waitcnt lgkmcnt(0)
                                        ; implicit-def: $sgpr8_sgpr9
                                        ; implicit-def: $vgpr59
	s_and_saveexec_b64 s[6:7], vcc
	s_cbranch_execz .LBB1636_129
; %bb.82:
	v_mad_u32_u24 v1, v0, 46, v61
	ds_read_u16 v1, v1
	v_mov_b32_e32 v3, s74
	v_cmp_eq_u32_e32 vcc, v42, v43
	s_mov_b32 s8, 0
	v_or_b32_e32 v2, 1, v60
	s_waitcnt lgkmcnt(0)
	v_cndmask_b32_e32 v1, v3, v1, vcc
	v_cmp_ne_u32_e32 vcc, v42, v43
	v_and_b32_e32 v1, 0xffff, v1
	s_mov_b32 s9, s8
	v_cndmask_b32_e64 v3, 0, 1, vcc
	v_lshl_or_b32 v1, v3, 16, v1
	v_cmp_gt_u32_e32 vcc, s68, v2
	s_mov_b32 s10, s8
	s_mov_b32 s11, s8
	;; [unrolled: 1-line block ×6, first 2 shown]
	v_mov_b64_e32 v[2:3], s[8:9]
	s_mov_b32 s18, s8
	s_mov_b32 s19, s8
	v_mov_b64_e32 v[8:9], s[14:15]
	s_mov_b32 s16, s8
	s_mov_b32 s17, s8
	v_mov_b64_e32 v[20:21], s[18:19]
	v_mov_b64_e32 v[4:5], s[10:11]
	;; [unrolled: 1-line block ×4, first 2 shown]
	s_mov_b64 s[22:23], 0
	v_mov_b64_e32 v[18:19], s[16:17]
	v_mov_b32_e32 v56, 0
	v_mov_b64_e32 v[14:15], v[6:7]
	v_mov_b64_e32 v[12:13], v[4:5]
	;; [unrolled: 1-line block ×3, first 2 shown]
	v_mov_b32_e32 v57, 0
                                        ; implicit-def: $sgpr24_sgpr25
                                        ; implicit-def: $vgpr59
	s_and_saveexec_b64 s[20:21], vcc
	s_cbranch_execz .LBB1636_128
; %bb.83:
	v_mul_u32_u24_e32 v2, 46, v0
	v_add_u32_e32 v42, v61, v2
	ds_read_b128 v[46:49], v42 offset:2
	v_mov_b32_e32 v3, s74
	v_cmp_eq_u32_e32 vcc, v43, v44
	v_or_b32_e32 v2, 2, v60
	v_mov_b64_e32 v[20:21], s[18:19]
	s_waitcnt lgkmcnt(0)
	v_cndmask_b32_e32 v3, v3, v46, vcc
	v_cmp_ne_u32_e32 vcc, v43, v44
	v_and_b32_e32 v3, 0xffff, v3
	v_mov_b64_e32 v[18:19], s[16:17]
	v_cndmask_b32_e64 v4, 0, 1, vcc
	v_lshl_or_b32 v56, v4, 16, v3
	v_cmp_gt_u32_e32 vcc, s68, v2
	v_mov_b64_e32 v[2:3], s[8:9]
	v_mov_b64_e32 v[8:9], s[14:15]
	;; [unrolled: 1-line block ×5, first 2 shown]
	v_mov_b32_e32 v57, 0
	v_mov_b64_e32 v[14:15], v[6:7]
	v_mov_b64_e32 v[12:13], v[4:5]
	;; [unrolled: 1-line block ×3, first 2 shown]
                                        ; implicit-def: $sgpr8_sgpr9
                                        ; implicit-def: $vgpr59
	s_and_saveexec_b64 s[16:17], vcc
	s_cbranch_execz .LBB1636_127
; %bb.84:
	v_lshrrev_b32_e32 v2, 16, v46
	v_mov_b32_e32 v4, s74
	v_cmp_eq_u32_e32 vcc, v44, v45
	s_mov_b32 s8, 0
	v_or_b32_e32 v3, 3, v60
	v_cndmask_b32_e32 v2, v4, v2, vcc
	v_cmp_ne_u32_e32 vcc, v44, v45
	v_and_b32_e32 v2, 0xffff, v2
	s_mov_b32 s9, s8
	v_cndmask_b32_e64 v4, 0, 1, vcc
	v_lshl_or_b32 v21, v4, 16, v2
	v_cmp_gt_u32_e32 vcc, s68, v3
	s_mov_b32 s10, s8
	s_mov_b32 s11, s8
	;; [unrolled: 1-line block ×6, first 2 shown]
	v_mov_b64_e32 v[2:3], s[8:9]
	v_mov_b64_e32 v[8:9], s[14:15]
	v_mov_b32_e32 v18, 0
	v_mov_b64_e32 v[4:5], s[10:11]
	v_mov_b64_e32 v[6:7], s[12:13]
	;; [unrolled: 1-line block ×3, first 2 shown]
	v_mov_b32_e32 v19, v18
	v_mov_b32_e32 v20, v18
	v_mov_b64_e32 v[14:15], v[6:7]
	v_mov_b64_e32 v[12:13], v[4:5]
	;; [unrolled: 1-line block ×3, first 2 shown]
	v_mov_b32_e32 v57, v18
                                        ; implicit-def: $sgpr26_sgpr27
                                        ; implicit-def: $vgpr59
	s_and_saveexec_b64 s[18:19], vcc
	s_cbranch_execz .LBB1636_126
; %bb.85:
	v_mov_b32_e32 v3, s74
	v_cmp_eq_u32_e32 vcc, v45, v38
	v_or_b32_e32 v2, 4, v60
	v_mov_b32_e32 v18, 0
	v_cndmask_b32_e32 v3, v3, v47, vcc
	v_cmp_ne_u32_e32 vcc, v45, v38
	v_and_b32_e32 v3, 0xffff, v3
	v_mov_b32_e32 v19, v18
	v_cndmask_b32_e64 v4, 0, 1, vcc
	v_lshl_or_b32 v20, v4, 16, v3
	v_cmp_gt_u32_e32 vcc, s68, v2
	v_mov_b64_e32 v[2:3], s[8:9]
	v_mov_b64_e32 v[8:9], s[14:15]
	;; [unrolled: 1-line block ×5, first 2 shown]
	s_mov_b64 s[24:25], 0
	v_mov_b64_e32 v[14:15], v[6:7]
	v_mov_b64_e32 v[12:13], v[4:5]
	;; [unrolled: 1-line block ×3, first 2 shown]
	v_mov_b32_e32 v57, v18
                                        ; implicit-def: $sgpr8_sgpr9
                                        ; implicit-def: $vgpr59
	s_and_saveexec_b64 s[22:23], vcc
	s_cbranch_execz .LBB1636_125
; %bb.86:
	v_lshrrev_b32_e32 v2, 16, v47
	v_mov_b32_e32 v4, s74
	v_cmp_eq_u32_e32 vcc, v38, v39
	s_mov_b32 s8, 0
	v_or_b32_e32 v3, 5, v60
	v_cndmask_b32_e32 v2, v4, v2, vcc
	v_cmp_ne_u32_e32 vcc, v38, v39
	v_and_b32_e32 v2, 0xffff, v2
	s_mov_b32 s9, s8
	v_cndmask_b32_e64 v4, 0, 1, vcc
	v_lshl_or_b32 v19, v4, 16, v2
	v_cmp_gt_u32_e32 vcc, s68, v3
	s_mov_b32 s10, s8
	s_mov_b32 s11, s8
	;; [unrolled: 1-line block ×6, first 2 shown]
	v_mov_b64_e32 v[2:3], s[8:9]
	v_mov_b64_e32 v[8:9], s[14:15]
	;; [unrolled: 1-line block ×5, first 2 shown]
	v_mov_b32_e32 v18, s8
	s_mov_b64 s[26:27], 0
	v_mov_b32_e32 v57, 0
	v_mov_b64_e32 v[14:15], v[6:7]
	v_mov_b64_e32 v[12:13], v[4:5]
	;; [unrolled: 1-line block ×3, first 2 shown]
                                        ; implicit-def: $sgpr30_sgpr31
                                        ; implicit-def: $vgpr59
	s_and_saveexec_b64 s[24:25], vcc
	s_cbranch_execz .LBB1636_124
; %bb.87:
	v_mov_b32_e32 v3, s74
	v_cmp_eq_u32_e32 vcc, v39, v40
	v_or_b32_e32 v2, 6, v60
	s_mov_b64 s[28:29], 0
	v_cndmask_b32_e32 v3, v3, v48, vcc
	v_cmp_ne_u32_e32 vcc, v39, v40
	v_and_b32_e32 v3, 0xffff, v3
	v_mov_b32_e32 v57, 0
	v_cndmask_b32_e64 v4, 0, 1, vcc
	v_lshl_or_b32 v18, v4, 16, v3
	v_cmp_gt_u32_e32 vcc, s68, v2
	v_mov_b64_e32 v[2:3], s[8:9]
	v_mov_b64_e32 v[8:9], s[14:15]
	;; [unrolled: 1-line block ×8, first 2 shown]
                                        ; implicit-def: $sgpr8_sgpr9
                                        ; implicit-def: $vgpr59
	s_and_saveexec_b64 s[26:27], vcc
	s_cbranch_execz .LBB1636_123
; %bb.88:
	v_lshrrev_b32_e32 v2, 16, v48
	v_mov_b32_e32 v4, s74
	v_cmp_eq_u32_e32 vcc, v40, v41
	s_mov_b32 s8, 0
	v_or_b32_e32 v3, 7, v60
	v_cndmask_b32_e32 v2, v4, v2, vcc
	v_cmp_ne_u32_e32 vcc, v40, v41
	v_and_b32_e32 v2, 0xffff, v2
	s_mov_b32 s9, s8
	v_cndmask_b32_e64 v4, 0, 1, vcc
	v_lshl_or_b32 v57, v4, 16, v2
	v_cmp_gt_u32_e32 vcc, s68, v3
	s_mov_b32 s10, s8
	s_mov_b32 s11, s8
	s_mov_b32 s12, s8
	s_mov_b32 s13, s8
	s_mov_b32 s14, s8
	s_mov_b32 s15, s8
	v_mov_b64_e32 v[2:3], s[8:9]
	v_mov_b64_e32 v[8:9], s[14:15]
	;; [unrolled: 1-line block ×5, first 2 shown]
	s_mov_b64 s[30:31], 0
	v_mov_b64_e32 v[14:15], v[6:7]
	v_mov_b64_e32 v[12:13], v[4:5]
	;; [unrolled: 1-line block ×3, first 2 shown]
                                        ; implicit-def: $sgpr36_sgpr37
                                        ; implicit-def: $vgpr59
	s_and_saveexec_b64 s[28:29], vcc
	s_cbranch_execz .LBB1636_122
; %bb.89:
	v_mov_b32_e32 v3, s74
	v_cmp_eq_u32_e32 vcc, v41, v34
	v_add_u32_e32 v2, 8, v60
	v_mov_b64_e32 v[16:17], s[14:15]
	v_cndmask_b32_e32 v3, v3, v49, vcc
	v_cmp_ne_u32_e32 vcc, v41, v34
	v_and_b32_e32 v3, 0xffff, v3
	s_mov_b64 s[34:35], 0
	v_cndmask_b32_e64 v4, 0, 1, vcc
	v_cmp_gt_u32_e32 vcc, s68, v2
	v_mov_b32_e32 v2, 0
	v_lshl_or_b32 v9, v4, 16, v3
	v_mov_b32_e32 v3, v2
	v_mov_b32_e32 v4, v2
	;; [unrolled: 1-line block ×6, first 2 shown]
	v_mov_b64_e32 v[14:15], s[12:13]
	v_mov_b64_e32 v[12:13], s[10:11]
	;; [unrolled: 1-line block ×3, first 2 shown]
                                        ; implicit-def: $sgpr8_sgpr9
                                        ; implicit-def: $vgpr59
	s_and_saveexec_b64 s[30:31], vcc
	s_cbranch_execz .LBB1636_121
; %bb.90:
	v_lshrrev_b32_e32 v3, 16, v49
	v_mov_b32_e32 v5, s74
	v_cmp_eq_u32_e32 vcc, v34, v35
	s_mov_b32 s8, 0
	s_mov_b32 s14, s8
	v_cndmask_b32_e32 v3, v5, v3, vcc
	v_cmp_ne_u32_e32 vcc, v34, v35
	s_mov_b32 s15, s8
	v_add_u32_e32 v4, 9, v60
	v_and_b32_e32 v3, 0xffff, v3
	v_cndmask_b32_e64 v5, 0, 1, vcc
	s_mov_b32 s9, s8
	s_mov_b32 s10, s8
	;; [unrolled: 1-line block ×5, first 2 shown]
	v_mov_b64_e32 v[16:17], s[14:15]
	v_lshl_or_b32 v8, v5, 16, v3
	v_cmp_gt_u32_e32 vcc, s68, v4
	v_mov_b32_e32 v3, v2
	v_mov_b32_e32 v4, v2
	;; [unrolled: 1-line block ×5, first 2 shown]
	s_mov_b64 s[36:37], 0
	v_mov_b64_e32 v[14:15], s[12:13]
	v_mov_b64_e32 v[12:13], s[10:11]
	;; [unrolled: 1-line block ×3, first 2 shown]
                                        ; implicit-def: $sgpr40_sgpr41
                                        ; implicit-def: $vgpr59
	s_and_saveexec_b64 s[34:35], vcc
	s_cbranch_execz .LBB1636_120
; %bb.91:
	ds_read_b128 v[38:41], v42 offset:18
	v_mov_b32_e32 v3, s74
	v_cmp_eq_u32_e32 vcc, v35, v36
	v_add_u32_e32 v2, 10, v60
	v_mov_b64_e32 v[16:17], s[14:15]
	s_waitcnt lgkmcnt(0)
	v_cndmask_b32_e32 v3, v3, v38, vcc
	v_cmp_ne_u32_e32 vcc, v35, v36
	v_and_b32_e32 v3, 0xffff, v3
	s_mov_b64 s[38:39], 0
	v_cndmask_b32_e64 v4, 0, 1, vcc
	v_cmp_gt_u32_e32 vcc, s68, v2
	v_mov_b32_e32 v2, 0
	v_lshl_or_b32 v7, v4, 16, v3
	v_mov_b32_e32 v3, v2
	v_mov_b32_e32 v4, v2
	;; [unrolled: 1-line block ×4, first 2 shown]
	v_mov_b64_e32 v[14:15], s[12:13]
	v_mov_b64_e32 v[12:13], s[10:11]
	;; [unrolled: 1-line block ×3, first 2 shown]
                                        ; implicit-def: $sgpr8_sgpr9
                                        ; implicit-def: $vgpr59
	s_and_saveexec_b64 s[36:37], vcc
	s_cbranch_execz .LBB1636_119
; %bb.92:
	v_lshrrev_b32_e32 v3, 16, v38
	v_mov_b32_e32 v5, s74
	v_cmp_eq_u32_e32 vcc, v36, v37
	s_mov_b32 s8, 0
	s_mov_b32 s14, s8
	v_cndmask_b32_e32 v3, v5, v3, vcc
	v_cmp_ne_u32_e32 vcc, v36, v37
	s_mov_b32 s15, s8
	v_add_u32_e32 v4, 11, v60
	v_and_b32_e32 v3, 0xffff, v3
	v_cndmask_b32_e64 v5, 0, 1, vcc
	s_mov_b32 s9, s8
	s_mov_b32 s10, s8
	;; [unrolled: 1-line block ×5, first 2 shown]
	v_mov_b64_e32 v[16:17], s[14:15]
	v_lshl_or_b32 v6, v5, 16, v3
	v_cmp_gt_u32_e32 vcc, s68, v4
	v_mov_b32_e32 v3, v2
	v_mov_b32_e32 v4, v2
	;; [unrolled: 1-line block ×3, first 2 shown]
	s_mov_b64 s[40:41], 0
	v_mov_b64_e32 v[14:15], s[12:13]
	v_mov_b64_e32 v[12:13], s[10:11]
	;; [unrolled: 1-line block ×3, first 2 shown]
                                        ; implicit-def: $sgpr44_sgpr45
                                        ; implicit-def: $vgpr59
	s_and_saveexec_b64 s[38:39], vcc
	s_cbranch_execz .LBB1636_118
; %bb.93:
	v_mov_b32_e32 v3, s74
	v_cmp_eq_u32_e32 vcc, v37, v30
	v_add_u32_e32 v2, 12, v60
	v_mov_b64_e32 v[16:17], s[14:15]
	v_cndmask_b32_e32 v3, v3, v39, vcc
	v_cmp_ne_u32_e32 vcc, v37, v30
	v_and_b32_e32 v3, 0xffff, v3
	s_mov_b64 s[42:43], 0
	v_cndmask_b32_e64 v4, 0, 1, vcc
	v_cmp_gt_u32_e32 vcc, s68, v2
	v_mov_b32_e32 v2, 0
	v_lshl_or_b32 v5, v4, 16, v3
	v_mov_b32_e32 v3, v2
	v_mov_b32_e32 v4, v2
	v_mov_b64_e32 v[14:15], s[12:13]
	v_mov_b64_e32 v[12:13], s[10:11]
	;; [unrolled: 1-line block ×3, first 2 shown]
                                        ; implicit-def: $sgpr8_sgpr9
                                        ; implicit-def: $vgpr59
	s_and_saveexec_b64 s[40:41], vcc
	s_cbranch_execz .LBB1636_117
; %bb.94:
	v_lshrrev_b32_e32 v3, 16, v39
	v_mov_b32_e32 v4, s74
	v_cmp_eq_u32_e32 vcc, v30, v31
	s_mov_b32 s8, 0
	v_add_u32_e32 v10, 13, v60
	v_cndmask_b32_e32 v3, v4, v3, vcc
	v_cmp_ne_u32_e32 vcc, v30, v31
	s_mov_b32 s14, s8
	s_mov_b32 s15, s8
	v_and_b32_e32 v3, 0xffff, v3
	v_cndmask_b32_e64 v4, 0, 1, vcc
	v_cmp_gt_u32_e32 vcc, s68, v10
	s_mov_b32 s9, s8
	s_mov_b32 s10, s8
	;; [unrolled: 1-line block ×5, first 2 shown]
	v_mov_b64_e32 v[16:17], s[14:15]
	v_lshl_or_b32 v4, v4, 16, v3
	v_mov_b32_e32 v3, v2
	s_mov_b64 s[44:45], 0
	v_mov_b64_e32 v[14:15], s[12:13]
	v_mov_b64_e32 v[12:13], s[10:11]
	;; [unrolled: 1-line block ×3, first 2 shown]
                                        ; implicit-def: $sgpr46_sgpr47
                                        ; implicit-def: $vgpr59
	s_and_saveexec_b64 s[42:43], vcc
	s_cbranch_execz .LBB1636_116
; %bb.95:
	v_mov_b32_e32 v3, s74
	v_cmp_eq_u32_e32 vcc, v31, v32
	v_add_u32_e32 v2, 14, v60
                                        ; implicit-def: $vgpr59
	s_nop 0
	v_cndmask_b32_e32 v3, v3, v40, vcc
	v_cmp_ne_u32_e32 vcc, v31, v32
	v_and_b32_e32 v3, 0xffff, v3
	s_nop 0
	v_cndmask_b32_e64 v10, 0, 1, vcc
	v_lshl_or_b32 v3, v10, 16, v3
	v_mov_b64_e32 v[16:17], s[14:15]
	v_cmp_gt_u32_e32 vcc, s68, v2
	v_mov_b32_e32 v2, s8
	v_mov_b64_e32 v[14:15], s[12:13]
	v_mov_b64_e32 v[12:13], s[10:11]
	;; [unrolled: 1-line block ×3, first 2 shown]
                                        ; implicit-def: $sgpr10_sgpr11
	s_and_saveexec_b64 s[8:9], vcc
	s_cbranch_execz .LBB1636_115
; %bb.96:
	v_lshrrev_b32_e32 v2, 16, v40
	v_mov_b32_e32 v11, s74
	v_cmp_eq_u32_e32 vcc, v32, v33
	s_mov_b32 s44, 0
	v_add_u32_e32 v10, 15, v60
	v_cndmask_b32_e32 v2, v11, v2, vcc
	v_cmp_ne_u32_e32 vcc, v32, v33
	v_and_b32_e32 v2, 0xffff, v2
	s_mov_b32 s45, s44
	v_cndmask_b32_e64 v11, 0, 1, vcc
	v_lshl_or_b32 v2, v11, 16, v2
	v_cmp_gt_u32_e32 vcc, s68, v10
	s_mov_b32 s46, s44
	s_mov_b32 s47, s44
	;; [unrolled: 1-line block ×6, first 2 shown]
	v_mov_b64_e32 v[10:11], s[44:45]
	s_mov_b64 s[12:13], 0
	v_mov_b64_e32 v[12:13], s[46:47]
	v_mov_b64_e32 v[14:15], s[48:49]
	;; [unrolled: 1-line block ×3, first 2 shown]
                                        ; implicit-def: $sgpr44_sgpr45
                                        ; implicit-def: $vgpr59
	s_and_saveexec_b64 s[10:11], vcc
	s_cbranch_execz .LBB1636_114
; %bb.97:
	v_mov_b32_e32 v10, s74
	v_cmp_eq_u32_e32 vcc, v33, v26
	v_add_u32_e32 v11, 16, v60
	s_mov_b64 s[14:15], 0
	v_cndmask_b32_e32 v10, v10, v41, vcc
	v_cmp_ne_u32_e32 vcc, v33, v26
	v_and_b32_e32 v10, 0xffff, v10
                                        ; implicit-def: $sgpr46_sgpr47
                                        ; implicit-def: $vgpr59
	s_nop 0
	v_cndmask_b32_e64 v12, 0, 1, vcc
	v_lshl_or_b32 v10, v12, 16, v10
	v_mov_b32_e32 v12, 0
	v_cmp_gt_u32_e32 vcc, s68, v11
	v_mov_b32_e32 v11, v12
	v_mov_b32_e32 v13, v12
	;; [unrolled: 1-line block ×6, first 2 shown]
	s_and_saveexec_b64 s[12:13], vcc
	s_cbranch_execz .LBB1636_113
; %bb.98:
	v_lshrrev_b32_e32 v11, 16, v41
	v_mov_b32_e32 v14, s74
	v_cmp_eq_u32_e32 vcc, v26, v27
	v_add_u32_e32 v13, 17, v60
	v_mov_b32_e32 v15, v12
	v_cndmask_b32_e32 v11, v14, v11, vcc
	v_cmp_ne_u32_e32 vcc, v26, v27
	v_and_b32_e32 v11, 0xffff, v11
	v_mov_b32_e32 v16, v12
	v_cndmask_b32_e64 v14, 0, 1, vcc
	v_lshl_or_b32 v11, v14, 16, v11
	v_cmp_gt_u32_e32 vcc, s68, v13
	v_mov_b32_e32 v13, v12
	v_mov_b32_e32 v14, v12
	;; [unrolled: 1-line block ×3, first 2 shown]
	s_mov_b64 s[44:45], 0
                                        ; implicit-def: $sgpr48_sgpr49
                                        ; implicit-def: $vgpr59
	s_and_saveexec_b64 s[14:15], vcc
	s_cbranch_execz .LBB1636_112
; %bb.99:
	ds_read_b96 v[30:32], v42 offset:34
	v_mov_b32_e32 v12, s74
	v_cmp_eq_u32_e32 vcc, v27, v28
	v_add_u32_e32 v13, 18, v60
	s_mov_b64 s[46:47], 0
	s_waitcnt lgkmcnt(0)
	v_cndmask_b32_e32 v12, v12, v30, vcc
	v_cmp_ne_u32_e32 vcc, v27, v28
	v_and_b32_e32 v12, 0xffff, v12
                                        ; implicit-def: $sgpr50_sgpr51
                                        ; implicit-def: $vgpr59
	s_nop 0
	v_cndmask_b32_e64 v14, 0, 1, vcc
	v_lshl_or_b32 v12, v14, 16, v12
	v_mov_b32_e32 v14, 0
	v_cmp_gt_u32_e32 vcc, s68, v13
	v_mov_b32_e32 v13, v14
	v_mov_b32_e32 v15, v14
	;; [unrolled: 1-line block ×4, first 2 shown]
	s_and_saveexec_b64 s[44:45], vcc
	s_cbranch_execz .LBB1636_111
; %bb.100:
	v_lshrrev_b32_e32 v13, 16, v30
	v_mov_b32_e32 v16, s74
	v_cmp_eq_u32_e32 vcc, v28, v29
	v_add_u32_e32 v15, 19, v60
	v_mov_b32_e32 v17, v14
	v_cndmask_b32_e32 v13, v16, v13, vcc
	v_cmp_ne_u32_e32 vcc, v28, v29
	v_and_b32_e32 v13, 0xffff, v13
	s_mov_b64 s[48:49], 0
	v_cndmask_b32_e64 v16, 0, 1, vcc
	v_lshl_or_b32 v13, v16, 16, v13
	v_cmp_gt_u32_e32 vcc, s68, v15
	v_mov_b32_e32 v15, v14
	v_mov_b32_e32 v16, v14
                                        ; implicit-def: $sgpr56_sgpr57
                                        ; implicit-def: $vgpr59
	s_and_saveexec_b64 s[46:47], vcc
	s_cbranch_execz .LBB1636_110
; %bb.101:
	v_mov_b32_e32 v14, s74
	v_cmp_eq_u32_e32 vcc, v29, v22
	v_add_u32_e32 v15, 20, v60
	s_mov_b64 s[50:51], 0
	v_cndmask_b32_e32 v14, v14, v31, vcc
	v_cmp_ne_u32_e32 vcc, v29, v22
	v_and_b32_e32 v14, 0xffff, v14
                                        ; implicit-def: $sgpr58_sgpr59
                                        ; implicit-def: $vgpr59
	s_nop 0
	v_cndmask_b32_e64 v16, 0, 1, vcc
	v_lshl_or_b32 v14, v16, 16, v14
	v_mov_b32_e32 v16, 0
	v_cmp_gt_u32_e32 vcc, s68, v15
	v_mov_b32_e32 v15, v16
	v_mov_b32_e32 v17, v16
	s_and_saveexec_b64 s[48:49], vcc
	s_cbranch_execz .LBB1636_109
; %bb.102:
	v_lshrrev_b32_e32 v15, 16, v31
	v_mov_b32_e32 v26, s74
	v_cmp_eq_u32_e32 vcc, v22, v23
	v_add_u32_e32 v17, 21, v60
	s_mov_b32 s5, 0
	v_cndmask_b32_e32 v15, v26, v15, vcc
	v_cmp_ne_u32_e32 vcc, v22, v23
	v_and_b32_e32 v15, 0xffff, v15
	s_mov_b64 s[56:57], 0
	v_cndmask_b32_e64 v22, 0, 1, vcc
	v_lshl_or_b32 v15, v22, 16, v15
	v_cmp_gt_u32_e32 vcc, s68, v17
	v_mov_b32_e32 v17, v16
                                        ; implicit-def: $sgpr60_sgpr61
                                        ; implicit-def: $vgpr59
	s_and_saveexec_b64 s[50:51], vcc
	s_cbranch_execz .LBB1636_108
; %bb.103:
	v_mov_b32_e32 v16, s74
	v_cmp_eq_u32_e32 vcc, v23, v24
	v_add_u32_e32 v17, 22, v60
	s_mov_b64 s[58:59], 0
	v_cndmask_b32_e32 v16, v16, v32, vcc
	v_cmp_ne_u32_e32 vcc, v23, v24
	v_and_b32_e32 v16, 0xffff, v16
                                        ; implicit-def: $sgpr60_sgpr61
                                        ; implicit-def: $vgpr59
	s_nop 0
	v_cndmask_b32_e64 v22, 0, 1, vcc
	v_lshl_or_b32 v16, v22, 16, v16
	v_cmp_gt_u32_e32 vcc, s68, v17
	v_mov_b32_e32 v17, s5
	s_and_saveexec_b64 s[56:57], vcc
	s_cbranch_execz .LBB1636_107
; %bb.104:
	v_lshrrev_b32_e32 v17, 16, v32
	v_mov_b32_e32 v23, s74
	v_cmp_eq_u32_e32 vcc, v24, v25
	v_add_u32_e32 v22, 23, v60
                                        ; implicit-def: $sgpr60_sgpr61
                                        ; implicit-def: $vgpr59
	s_nop 0
	v_cndmask_b32_e32 v17, v23, v17, vcc
	v_cmp_ne_u32_e32 vcc, v24, v25
	v_and_b32_e32 v17, 0xffff, v17
	s_nop 0
	v_cndmask_b32_e64 v23, 0, 1, vcc
	v_lshl_or_b32 v17, v23, 16, v17
	v_cmp_gt_u32_e32 vcc, s68, v22
	s_and_saveexec_b64 s[68:69], vcc
	s_xor_b64 s[68:69], exec, s[68:69]
	s_cbranch_execz .LBB1636_106
; %bb.105:
	ds_read_u16 v22, v42 offset:46
	v_mov_b32_e32 v23, s74
	v_cmp_ne_u32_e32 vcc, v25, v58
	s_mov_b64 s[58:59], exec
	s_and_b64 s[60:61], vcc, exec
	s_waitcnt lgkmcnt(0)
	v_cndmask_b32_e32 v59, v22, v23, vcc
.LBB1636_106:
	s_or_b64 exec, exec, s[68:69]
	s_and_b64 s[60:61], s[60:61], exec
	s_and_b64 s[58:59], s[58:59], exec
.LBB1636_107:
	s_or_b64 exec, exec, s[56:57]
	s_and_b64 s[60:61], s[60:61], exec
	s_and_b64 s[56:57], s[58:59], exec
.LBB1636_108:
	s_or_b64 exec, exec, s[50:51]
	s_and_b64 s[58:59], s[60:61], exec
	s_and_b64 s[50:51], s[56:57], exec
.LBB1636_109:
	s_or_b64 exec, exec, s[48:49]
	s_and_b64 s[56:57], s[58:59], exec
	s_and_b64 s[48:49], s[50:51], exec
.LBB1636_110:
	s_or_b64 exec, exec, s[46:47]
	s_and_b64 s[50:51], s[56:57], exec
	s_and_b64 s[46:47], s[48:49], exec
.LBB1636_111:
	s_or_b64 exec, exec, s[44:45]
	s_and_b64 s[48:49], s[50:51], exec
	s_and_b64 s[44:45], s[46:47], exec
.LBB1636_112:
	s_or_b64 exec, exec, s[14:15]
	s_and_b64 s[46:47], s[48:49], exec
	s_and_b64 s[14:15], s[44:45], exec
.LBB1636_113:
	s_or_b64 exec, exec, s[12:13]
	s_and_b64 s[44:45], s[46:47], exec
	s_and_b64 s[12:13], s[14:15], exec
.LBB1636_114:
	s_or_b64 exec, exec, s[10:11]
	s_and_b64 s[10:11], s[44:45], exec
	s_and_b64 s[44:45], s[12:13], exec
.LBB1636_115:
	s_or_b64 exec, exec, s[8:9]
	s_and_b64 s[46:47], s[10:11], exec
	s_and_b64 s[44:45], s[44:45], exec
.LBB1636_116:
	s_or_b64 exec, exec, s[42:43]
	s_and_b64 s[8:9], s[46:47], exec
	s_and_b64 s[42:43], s[44:45], exec
.LBB1636_117:
	s_or_b64 exec, exec, s[40:41]
	s_and_b64 s[44:45], s[8:9], exec
	s_and_b64 s[40:41], s[42:43], exec
.LBB1636_118:
	s_or_b64 exec, exec, s[38:39]
	s_and_b64 s[8:9], s[44:45], exec
	s_and_b64 s[38:39], s[40:41], exec
.LBB1636_119:
	s_or_b64 exec, exec, s[36:37]
	s_and_b64 s[40:41], s[8:9], exec
	s_and_b64 s[36:37], s[38:39], exec
.LBB1636_120:
	s_or_b64 exec, exec, s[34:35]
	s_and_b64 s[8:9], s[40:41], exec
	s_and_b64 s[34:35], s[36:37], exec
.LBB1636_121:
	s_or_b64 exec, exec, s[30:31]
	s_and_b64 s[36:37], s[8:9], exec
	s_and_b64 s[30:31], s[34:35], exec
.LBB1636_122:
	s_or_b64 exec, exec, s[28:29]
	s_and_b64 s[8:9], s[36:37], exec
	s_and_b64 s[28:29], s[30:31], exec
.LBB1636_123:
	s_or_b64 exec, exec, s[26:27]
	s_and_b64 s[30:31], s[8:9], exec
	s_and_b64 s[26:27], s[28:29], exec
.LBB1636_124:
	s_or_b64 exec, exec, s[24:25]
	s_and_b64 s[8:9], s[30:31], exec
	s_and_b64 s[24:25], s[26:27], exec
.LBB1636_125:
	s_or_b64 exec, exec, s[22:23]
	s_and_b64 s[26:27], s[8:9], exec
	s_and_b64 s[22:23], s[24:25], exec
.LBB1636_126:
	s_or_b64 exec, exec, s[18:19]
	s_and_b64 s[8:9], s[26:27], exec
	s_and_b64 s[22:23], s[22:23], exec
.LBB1636_127:
	s_or_b64 exec, exec, s[16:17]
	s_and_b64 s[24:25], s[8:9], exec
	s_and_b64 s[22:23], s[22:23], exec
.LBB1636_128:
	s_or_b64 exec, exec, s[20:21]
	s_and_b64 s[8:9], s[24:25], exec
	s_and_b64 s[10:11], s[22:23], exec
.LBB1636_129:
	s_or_b64 exec, exec, s[6:7]
	s_and_b64 vcc, exec, s[0:1]
	s_cbranch_vccnz .LBB1636_131
	s_branch .LBB1636_136
.LBB1636_130:
	s_mov_b64 s[10:11], 0
                                        ; implicit-def: $sgpr8_sgpr9
                                        ; implicit-def: $vgpr18_vgpr19_vgpr20_vgpr21
                                        ; implicit-def: $vgpr2_vgpr3_vgpr4_vgpr5_vgpr6_vgpr7_vgpr8_vgpr9
                                        ; implicit-def: $vgpr10_vgpr11_vgpr12_vgpr13_vgpr14_vgpr15_vgpr16_vgpr17
                                        ; implicit-def: $vgpr59
                                        ; implicit-def: $vgpr1
                                        ; implicit-def: $vgpr56
                                        ; implicit-def: $vgpr57
                                        ; implicit-def: $sgpr4
	s_and_b64 vcc, exec, s[0:1]
	s_cbranch_vccz .LBB1636_136
.LBB1636_131:
	v_mov_b32_e32 v7, 0
	v_lshlrev_b32_e32 v6, 2, v0
	v_lshl_add_u64 v[2:3], v[54:55], 0, v[6:7]
	v_add_co_u32_e32 v4, vcc, 0x1000, v2
	s_movk_i32 s0, 0x5c
	s_nop 0
	v_addc_co_u32_e32 v5, vcc, 0, v3, vcc
	flat_load_dword v1, v[2:3]
	flat_load_dword v10, v[2:3] offset:1024
	flat_load_dword v11, v[2:3] offset:2048
	;; [unrolled: 1-line block ×3, first 2 shown]
	flat_load_dword v13, v[4:5]
	flat_load_dword v14, v[4:5] offset:1024
	flat_load_dword v15, v[4:5] offset:2048
	;; [unrolled: 1-line block ×3, first 2 shown]
	v_add_co_u32_e32 v4, vcc, 0x2000, v2
	s_movk_i32 s5, 0x1000
	s_nop 0
	v_addc_co_u32_e32 v5, vcc, 0, v3, vcc
	v_add_co_u32_e32 v8, vcc, 0x3000, v2
	s_movk_i32 s4, 0x2000
	s_nop 0
	v_addc_co_u32_e32 v9, vcc, 0, v3, vcc
	flat_load_dword v17, v[4:5]
	flat_load_dword v18, v[4:5] offset:1024
	flat_load_dword v19, v[4:5] offset:2048
	;; [unrolled: 1-line block ×3, first 2 shown]
	flat_load_dword v21, v[8:9]
	flat_load_dword v22, v[8:9] offset:1024
	flat_load_dword v23, v[8:9] offset:2048
	;; [unrolled: 1-line block ×3, first 2 shown]
	v_add_co_u32_e32 v4, vcc, 0x4000, v2
	s_nop 1
	v_addc_co_u32_e32 v5, vcc, 0, v3, vcc
	v_add_co_u32_e32 v2, vcc, 0x5000, v2
	s_nop 1
	v_addc_co_u32_e32 v3, vcc, 0, v3, vcc
	flat_load_dword v8, v[4:5]
	flat_load_dword v9, v[4:5] offset:1024
	flat_load_dword v25, v[4:5] offset:2048
	flat_load_dword v26, v[4:5] offset:3072
	flat_load_dword v27, v[2:3]
	flat_load_dword v28, v[2:3] offset:1024
	flat_load_dword v29, v[2:3] offset:2048
	;; [unrolled: 1-line block ×3, first 2 shown]
	v_add_co_u32_e32 v2, vcc, 0x6000, v54
	s_waitcnt vmcnt(0) lgkmcnt(0)
	ds_write2st64_b32 v6, v1, v10 offset1:4
	ds_write2st64_b32 v6, v11, v12 offset0:8 offset1:12
	ds_write2st64_b32 v6, v13, v14 offset0:16 offset1:20
	;; [unrolled: 1-line block ×11, first 2 shown]
	v_addc_co_u32_e32 v3, vcc, 0, v55, vcc
	s_waitcnt lgkmcnt(0)
	s_barrier
	flat_load_dword v40, v[2:3]
	v_mad_u32_u24 v1, v0, s0, v6
	s_movk_i32 s0, 0xffa4
	ds_read2_b32 v[22:23], v1 offset0:6 offset1:23
	ds_read_b64 v[18:19], v1
	ds_read2_b64 v[2:5], v1 offset0:1 offset1:2
	ds_read2_b32 v[32:33], v1 offset0:13 offset1:14
	ds_read2_b32 v[34:35], v1 offset0:11 offset1:12
	;; [unrolled: 1-line block ×8, first 2 shown]
	v_mad_i32_i24 v1, v0, s0, v1
	s_movk_i32 s0, 0xff
	v_cmp_ne_u32_e32 vcc, s0, v0
	s_waitcnt lgkmcnt(0)
	ds_write_b32 v1, v18 offset:25600
	s_waitcnt lgkmcnt(0)
	s_barrier
	s_and_saveexec_b64 s[0:1], vcc
	s_cbranch_execz .LBB1636_133
; %bb.132:
	s_waitcnt vmcnt(0)
	ds_read_b32 v40, v6 offset:25604
.LBB1636_133:
	s_or_b64 exec, exec, s[0:1]
	v_lshlrev_b32_e32 v6, 1, v0
	v_lshl_add_u64 v[8:9], v[52:53], 0, v[6:7]
	v_add_co_u32_e32 v10, vcc, s5, v8
	s_waitcnt lgkmcnt(0)
	s_nop 0
	v_addc_co_u32_e32 v11, vcc, 0, v9, vcc
	s_barrier
	flat_load_ushort v7, v[8:9]
	flat_load_ushort v12, v[8:9] offset:512
	flat_load_ushort v13, v[8:9] offset:1024
	;; [unrolled: 1-line block ×7, first 2 shown]
	v_add_co_u32_e32 v8, vcc, s4, v8
	flat_load_ushort v21, v[10:11]
	flat_load_ushort v41, v[10:11] offset:512
	flat_load_ushort v42, v[10:11] offset:1024
	;; [unrolled: 1-line block ×7, first 2 shown]
	v_addc_co_u32_e32 v9, vcc, 0, v9, vcc
	flat_load_ushort v10, v[8:9]
	flat_load_ushort v11, v[8:9] offset:512
	flat_load_ushort v48, v[8:9] offset:1024
	;; [unrolled: 1-line block ×7, first 2 shown]
	v_sub_u32_e32 v1, v1, v6
	v_mad_u32_u24 v56, v0, 46, v1
	v_cmp_eq_u32_e32 vcc, v18, v19
	v_mov_b32_e32 v18, s74
	s_waitcnt vmcnt(0) lgkmcnt(0)
	ds_write_b16 v1, v7
	ds_write_b16 v1, v12 offset:512
	ds_write_b16 v1, v13 offset:1024
	;; [unrolled: 1-line block ×23, first 2 shown]
	s_waitcnt lgkmcnt(0)
	s_barrier
	ds_read_b96 v[14:16], v56 offset:2
	ds_read_b128 v[6:9], v56 offset:14
	ds_read_b128 v[10:13], v56 offset:30
	ds_read_u16 v41, v56 offset:46
	v_mov_b32_e32 v17, 0x10000
	s_and_saveexec_b64 s[0:1], vcc
	s_cbranch_execz .LBB1636_135
; %bb.134:
	v_mul_u32_u24_e32 v17, 46, v0
	v_add_u32_e32 v1, v1, v17
	ds_read_u16 v18, v1
	v_mov_b32_e32 v17, 0
.LBB1636_135:
	s_or_b64 exec, exec, s[0:1]
	v_mov_b32_e32 v47, s74
	v_cmp_eq_u32_e32 vcc, v19, v2
	s_waitcnt lgkmcnt(3)
	v_lshrrev_b32_e32 v21, 16, v14
	s_waitcnt lgkmcnt(0)
	v_or_b32_sdwa v1, v17, v18 dst_sel:DWORD dst_unused:UNUSED_PAD src0_sel:DWORD src1_sel:WORD_0
	v_cndmask_b32_e32 v14, v47, v14, vcc
	v_cmp_ne_u32_e32 vcc, v19, v2
	v_and_b32_e32 v14, 0xffff, v14
	v_lshrrev_b32_e32 v20, 16, v15
	v_cndmask_b32_e64 v17, 0, 1, vcc
	v_cmp_eq_u32_e32 vcc, v2, v3
	v_lshl_or_b32 v56, v17, 16, v14
	v_lshrrev_b32_e32 v42, 16, v16
	v_cndmask_b32_e32 v14, v47, v21, vcc
	v_cmp_eq_u32_e32 vcc, v4, v5
	v_and_b32_e32 v14, 0xffff, v14
	v_lshrrev_b32_e32 v46, 16, v6
	v_cndmask_b32_e32 v17, v47, v20, vcc
	v_cmp_eq_u32_e32 vcc, v3, v4
	v_and_b32_e32 v17, 0xffff, v17
	;; [unrolled: 4-line block ×3, first 2 shown]
	v_lshrrev_b32_e32 v44, 16, v8
	v_cndmask_b32_e32 v16, v47, v16, vcc
	v_cmp_ne_u32_e32 vcc, v3, v4
	v_lshrrev_b32_e32 v43, 16, v9
	v_and_b32_e32 v16, 0xffff, v16
	v_cndmask_b32_e64 v18, 0, 1, vcc
	v_cmp_ne_u32_e32 vcc, v5, v22
	v_lshl_or_b32 v20, v18, 16, v15
	v_cmp_ne_u32_e64 s[8:9], v23, v40
	v_cndmask_b32_e64 v15, 0, 1, vcc
	v_cmp_ne_u32_e32 vcc, v2, v3
	v_lshl_or_b32 v18, v15, 16, v16
	v_lshrrev_b32_e32 v16, 16, v11
	v_cndmask_b32_e64 v2, 0, 1, vcc
	v_cmp_ne_u32_e32 vcc, v4, v5
	v_lshl_or_b32 v21, v2, 16, v14
	v_cndmask_b32_e64 v59, v41, v47, s[8:9]
	v_cndmask_b32_e64 v2, 0, 1, vcc
	v_cmp_eq_u32_e32 vcc, v22, v38
	v_lshl_or_b32 v19, v2, 16, v17
	v_lshrrev_b32_e32 v17, 16, v10
	v_cndmask_b32_e32 v2, v47, v42, vcc
	v_cmp_ne_u32_e32 vcc, v22, v38
	v_and_b32_e32 v2, 0xffff, v2
	s_mov_b64 s[10:11], -1
	v_cndmask_b32_e64 v3, 0, 1, vcc
	v_cmp_eq_u32_e32 vcc, v39, v36
	v_lshl_or_b32 v57, v3, 16, v2
                                        ; implicit-def: $sgpr4
	s_nop 0
	v_cndmask_b32_e32 v2, v47, v46, vcc
	v_cmp_eq_u32_e32 vcc, v37, v34
	v_and_b32_e32 v2, 0xffff, v2
	s_nop 0
	v_cndmask_b32_e32 v3, v47, v45, vcc
	v_cmp_eq_u32_e32 vcc, v35, v32
	v_and_b32_e32 v15, 0xffff, v3
	;; [unrolled: 4-line block ×7, first 2 shown]
	s_nop 0
	v_cndmask_b32_e32 v9, v47, v9, vcc
	v_cmp_ne_u32_e32 vcc, v38, v39
	v_and_b32_e32 v3, 0xffff, v9
	s_nop 0
	v_cndmask_b32_e64 v8, 0, 1, vcc
	v_cmp_ne_u32_e32 vcc, v36, v37
	v_lshl_or_b32 v9, v8, 16, v6
	s_nop 0
	v_cndmask_b32_e64 v6, 0, 1, vcc
	v_cmp_ne_u32_e32 vcc, v34, v35
	v_lshl_or_b32 v7, v6, 16, v7
	;; [unrolled: 4-line block ×6, first 2 shown]
	v_lshrrev_b32_e32 v15, 16, v12
	v_cndmask_b32_e64 v2, 0, 1, vcc
	v_cmp_ne_u32_e32 vcc, v33, v26
	v_lshl_or_b32 v4, v2, 16, v4
	s_nop 0
	v_cndmask_b32_e64 v2, 0, 1, vcc
	v_lshl_or_b32 v2, v2, 16, v14
	v_lshrrev_b32_e32 v14, 16, v13
	v_cmp_eq_u32_e32 vcc, v31, v23
	s_nop 1
	v_cndmask_b32_e32 v14, v47, v14, vcc
	v_cmp_eq_u32_e32 vcc, v29, v30
	s_nop 1
	v_cndmask_b32_e32 v15, v47, v15, vcc
	v_cmp_eq_u32_e32 vcc, v25, v28
	v_and_b32_e32 v15, 0xffff, v15
	s_nop 0
	v_cndmask_b32_e32 v16, v47, v16, vcc
	v_cmp_eq_u32_e32 vcc, v27, v24
	v_and_b32_e32 v32, 0xffff, v16
	;; [unrolled: 4-line block ×3, first 2 shown]
	v_and_b32_e32 v17, 0xffff, v14
	v_cndmask_b32_e32 v13, v47, v13, vcc
	v_cmp_eq_u32_e32 vcc, v28, v29
	v_and_b32_e32 v13, 0xffff, v13
	s_nop 0
	v_cndmask_b32_e32 v12, v47, v12, vcc
	v_cmp_eq_u32_e32 vcc, v24, v25
	v_and_b32_e32 v12, 0xffff, v12
	s_nop 0
	;; [unrolled: 4-line block ×3, first 2 shown]
	v_cndmask_b32_e32 v10, v47, v10, vcc
	v_cmp_ne_u32_e32 vcc, v30, v31
	v_and_b32_e32 v10, 0xffff, v10
	s_nop 0
	v_cndmask_b32_e64 v14, 0, 1, vcc
	v_cmp_ne_u32_e32 vcc, v28, v29
	v_lshl_or_b32 v16, v14, 16, v13
	s_nop 0
	v_cndmask_b32_e64 v13, 0, 1, vcc
	v_cmp_ne_u32_e32 vcc, v24, v25
	v_lshl_or_b32 v14, v13, 16, v12
	;; [unrolled: 4-line block ×7, first 2 shown]
	s_nop 0
	v_cndmask_b32_e64 v11, 0, 1, vcc
	v_lshl_or_b32 v11, v11, 16, v22
.LBB1636_136:
	v_mov_b32_e32 v32, s4
	s_and_saveexec_b64 s[0:1], s[10:11]
; %bb.137:
	v_mov_b32_e32 v22, 0x10000
	v_cndmask_b32_e64 v22, 0, v22, s[8:9]
	v_or_b32_sdwa v32, v22, v59 dst_sel:DWORD dst_unused:UNUSED_PAD src0_sel:DWORD src1_sel:WORD_0
; %bb.138:
	s_or_b64 exec, exec, s[0:1]
	s_cmp_lg_u32 s67, 0
	v_mbcnt_lo_u32_b32 v33, -1, 0
	s_barrier
	s_cbranch_scc0 .LBB1636_227
; %bb.139:
	s_mov_b32 s0, 0x10000
	v_cmp_gt_u32_e64 s[4:5], s0, v56
	v_cmp_gt_u32_e64 s[6:7], s0, v21
	v_cmp_gt_u32_e64 s[8:9], s0, v20
	v_cndmask_b32_e64 v22, 0, v1, s[4:5]
	v_add_u16_e32 v22, v22, v56
	v_cndmask_b32_e64 v22, 0, v22, s[6:7]
	v_add_u16_e32 v22, v22, v21
	v_cndmask_b32_e64 v22, 0, v22, s[8:9]
	v_add_u16_e32 v22, v22, v20
	v_cmp_gt_u32_e64 s[10:11], s0, v19
	v_cmp_gt_u32_e64 s[12:13], s0, v18
	v_cmp_gt_u32_e64 s[14:15], s0, v57
	v_cndmask_b32_e64 v22, 0, v22, s[10:11]
	v_add_u16_e32 v22, v22, v19
	v_cndmask_b32_e64 v22, 0, v22, s[12:13]
	v_add_u16_e32 v22, v22, v18
	v_cndmask_b32_e64 v22, 0, v22, s[14:15]
	v_add_u16_e32 v22, v22, v57
	;; [unrolled: 9-line block ×5, first 2 shown]
	v_cmp_gt_u32_e64 s[36:37], s0, v11
	v_cmp_gt_u32_e64 s[38:39], s0, v12
	v_or3_b32 v25, v32, v17, v16
	v_cndmask_b32_e64 v22, 0, v22, s[36:37]
	v_add_u16_e32 v22, v22, v11
	v_cndmask_b32_e64 v22, 0, v22, s[38:39]
	v_add_u16_e32 v22, v22, v12
	v_cmp_gt_u32_e64 s[40:41], s0, v13
	v_or3_b32 v25, v25, v15, v14
	v_or3_b32 v25, v25, v13, v12
	v_cndmask_b32_e64 v22, 0, v22, s[40:41]
	v_add_u16_e32 v22, v22, v13
	v_cmp_gt_u32_e64 s[42:43], s0, v14
	v_or3_b32 v25, v25, v11, v10
	v_or3_b32 v25, v25, v2, v3
	;; [unrolled: 5-line block ×5, first 2 shown]
	v_cndmask_b32_e64 v22, 0, v22, s[48:49]
	v_add_u16_e32 v22, v22, v17
	v_cmp_gt_u32_e32 vcc, s0, v32
	v_and_b32_e32 v25, 0x10000, v25
	v_and_b32_e32 v23, 0x10000, v1
	v_cndmask_b32_e32 v24, 0, v22, vcc
	v_mov_b32_e32 v26, 0x10000
	v_cmp_ne_u32_e32 vcc, 0, v25
	v_add_u16_e32 v22, v24, v32
	v_add_u16_e32 v24, v24, v32
	v_cndmask_b32_e32 v26, v23, v26, vcc
	v_mbcnt_hi_u32_b32 v25, -1, v33
	v_and_b32_e32 v27, 15, v25
	v_or_b32_e32 v24, v26, v24
	v_lshrrev_b32_e32 v23, 16, v26
	v_cmp_ne_u32_e32 vcc, 0, v27
	v_mov_b32_dpp v28, v24 row_shr:1 row_mask:0xf bank_mask:0xf
	s_and_saveexec_b64 s[0:1], vcc
	s_cbranch_execz .LBB1636_141
; %bb.140:
	v_cmp_eq_u32_e32 vcc, 0, v26
	v_and_b32_e32 v23, 0x10000, v26
	v_mov_b32_e32 v26, 1
	v_cndmask_b32_e32 v24, 0, v28, vcc
	v_and_b32_sdwa v26, v28, v26 dst_sel:DWORD dst_unused:UNUSED_PAD src0_sel:WORD_1 src1_sel:DWORD
	v_cmp_ne_u32_e32 vcc, 0, v23
	v_add_u16_e32 v29, v24, v22
	v_add_u16_e32 v22, v24, v22
	v_cndmask_b32_e64 v23, v26, 1, vcc
	v_lshlrev_b32_e32 v26, 16, v23
	v_or_b32_e32 v24, v26, v22
	v_mov_b32_e32 v22, v29
.LBB1636_141:
	s_or_b64 exec, exec, s[0:1]
	v_lshrrev_b32_e32 v26, 16, v24
	v_mov_b32_dpp v28, v24 row_shr:2 row_mask:0xf bank_mask:0xf
	v_cmp_lt_u32_e32 vcc, 1, v27
	s_and_saveexec_b64 s[0:1], vcc
	s_cbranch_execz .LBB1636_143
; %bb.142:
	s_mov_b32 s50, 0x10000
	v_cmp_gt_u32_e32 vcc, s50, v24
	v_and_b32_e32 v23, 0x10000, v24
	v_mov_b32_e32 v24, 1
	v_cndmask_b32_e32 v26, 0, v28, vcc
	v_and_b32_sdwa v24, v28, v24 dst_sel:DWORD dst_unused:UNUSED_PAD src0_sel:WORD_1 src1_sel:DWORD
	v_cmp_ne_u32_e32 vcc, 0, v23
	v_add_u16_e32 v29, v26, v22
	v_add_u16_e32 v22, v26, v22
	v_cndmask_b32_e64 v23, v24, 1, vcc
	v_lshlrev_b32_e32 v24, 16, v23
	v_or_b32_e32 v24, v24, v22
	v_mov_b32_e32 v26, v23
	v_mov_b32_e32 v22, v29
.LBB1636_143:
	s_or_b64 exec, exec, s[0:1]
	v_mov_b32_dpp v28, v24 row_shr:4 row_mask:0xf bank_mask:0xf
	v_cmp_lt_u32_e32 vcc, 3, v27
	s_and_saveexec_b64 s[0:1], vcc
	s_cbranch_execz .LBB1636_145
; %bb.144:
	v_cmp_eq_u16_e32 vcc, 0, v26
	v_and_b32_e32 v23, 1, v26
	v_mov_b32_e32 v26, 1
	v_cndmask_b32_e32 v24, 0, v28, vcc
	v_and_b32_sdwa v26, v28, v26 dst_sel:DWORD dst_unused:UNUSED_PAD src0_sel:WORD_1 src1_sel:DWORD
	v_cmp_eq_u32_e32 vcc, 1, v23
	v_add_u16_e32 v29, v24, v22
	v_add_u16_e32 v22, v24, v22
	v_cndmask_b32_e64 v23, v26, 1, vcc
	v_lshlrev_b32_e32 v26, 16, v23
	v_or_b32_e32 v24, v26, v22
	v_mov_b32_e32 v26, v23
	v_mov_b32_e32 v22, v29
.LBB1636_145:
	s_or_b64 exec, exec, s[0:1]
	v_mov_b32_dpp v28, v24 row_shr:8 row_mask:0xf bank_mask:0xf
	v_cmp_lt_u32_e32 vcc, 7, v27
	s_and_saveexec_b64 s[0:1], vcc
	s_cbranch_execz .LBB1636_147
; %bb.146:
	v_cmp_eq_u16_e32 vcc, 0, v26
	v_and_b32_e32 v23, 1, v26
	v_mov_b32_e32 v26, 1
	v_cndmask_b32_e32 v24, 0, v28, vcc
	v_and_b32_sdwa v26, v28, v26 dst_sel:DWORD dst_unused:UNUSED_PAD src0_sel:WORD_1 src1_sel:DWORD
	v_cmp_eq_u32_e32 vcc, 1, v23
	v_add_u16_e32 v27, v24, v22
	v_add_u16_e32 v22, v24, v22
	v_cndmask_b32_e64 v23, v26, 1, vcc
	v_lshlrev_b32_e32 v26, 16, v23
	v_or_b32_e32 v24, v26, v22
	v_mov_b32_e32 v26, v23
	v_mov_b32_e32 v22, v27
.LBB1636_147:
	s_or_b64 exec, exec, s[0:1]
	v_and_b32_e32 v28, 16, v25
	v_mov_b32_dpp v27, v24 row_bcast:15 row_mask:0xf bank_mask:0xf
	v_cmp_ne_u32_e32 vcc, 0, v28
	s_and_saveexec_b64 s[0:1], vcc
	s_cbranch_execz .LBB1636_149
; %bb.148:
	v_cmp_eq_u16_e32 vcc, 0, v26
	v_and_b32_e32 v23, 1, v26
	v_mov_b32_e32 v26, 1
	v_cndmask_b32_e32 v24, 0, v27, vcc
	v_and_b32_sdwa v26, v27, v26 dst_sel:DWORD dst_unused:UNUSED_PAD src0_sel:WORD_1 src1_sel:DWORD
	v_cmp_eq_u32_e32 vcc, 1, v23
	v_add_u16_e32 v28, v24, v22
	v_add_u16_e32 v22, v24, v22
	v_cndmask_b32_e64 v23, v26, 1, vcc
	v_lshlrev_b32_e32 v26, 16, v23
	v_or_b32_e32 v24, v26, v22
	v_mov_b32_e32 v26, v23
	v_mov_b32_e32 v22, v28
.LBB1636_149:
	s_or_b64 exec, exec, s[0:1]
	v_mov_b32_dpp v24, v24 row_bcast:31 row_mask:0xf bank_mask:0xf
	v_cmp_lt_u32_e32 vcc, 31, v25
	s_and_saveexec_b64 s[0:1], vcc
; %bb.150:
	v_cmp_eq_u16_e32 vcc, 0, v26
	s_nop 1
	v_cndmask_b32_e32 v23, 0, v24, vcc
	v_add_u16_e32 v22, v23, v22
	v_and_b32_e32 v23, 1, v26
	v_mov_b32_e32 v26, 1
	v_and_b32_sdwa v24, v24, v26 dst_sel:DWORD dst_unused:UNUSED_PAD src0_sel:WORD_1 src1_sel:DWORD
	v_cmp_eq_u32_e32 vcc, 1, v23
	s_nop 1
	v_cndmask_b32_e64 v23, v24, 1, vcc
; %bb.151:
	s_or_b64 exec, exec, s[0:1]
	v_or_b32_e32 v26, 63, v0
	v_lshrrev_b32_e32 v24, 6, v0
	v_cmp_eq_u32_e32 vcc, v26, v0
	s_and_saveexec_b64 s[0:1], vcc
	s_cbranch_execz .LBB1636_153
; %bb.152:
	v_lshlrev_b32_e32 v26, 2, v24
	ds_write_b16 v26, v22
	ds_write_b8 v26, v23 offset:2
.LBB1636_153:
	s_or_b64 exec, exec, s[0:1]
	v_cmp_gt_u32_e32 vcc, 4, v0
	s_waitcnt lgkmcnt(0)
	s_barrier
	s_and_saveexec_b64 s[0:1], vcc
	s_cbranch_execz .LBB1636_159
; %bb.154:
	v_lshlrev_b32_e32 v26, 2, v0
	ds_read_b32 v27, v26
	v_and_b32_e32 v30, 3, v25
	v_cmp_ne_u32_e32 vcc, 0, v30
	s_waitcnt lgkmcnt(0)
	v_lshrrev_b32_e32 v29, 16, v27
	v_mov_b32_dpp v31, v27 row_shr:1 row_mask:0xf bank_mask:0xf
	v_mov_b32_e32 v28, v27
	s_and_saveexec_b64 s[50:51], vcc
	s_cbranch_execz .LBB1636_156
; %bb.155:
	v_mov_b32_e32 v28, 0
	v_cmp_eq_u16_sdwa vcc, v29, v28 src0_sel:BYTE_0 src1_sel:DWORD
	v_and_b32_e32 v29, 0x10000, v27
	v_mov_b32_e32 v36, 1
	v_cndmask_b32_e32 v35, 0, v31, vcc
	v_and_b32_sdwa v31, v31, v36 dst_sel:DWORD dst_unused:UNUSED_PAD src0_sel:WORD_1 src1_sel:DWORD
	v_cmp_ne_u32_e32 vcc, 0, v29
	v_and_b32_e32 v34, 0xff000000, v27
	v_add_u16_e32 v28, v35, v27
	v_cndmask_b32_e64 v29, v31, 1, vcc
	v_lshlrev_b32_e32 v31, 16, v29
	v_add_u16_e32 v27, v35, v27
	v_or3_b32 v27, v31, v34, v27
.LBB1636_156:
	s_or_b64 exec, exec, s[50:51]
	s_nop 0
	v_mov_b32_dpp v31, v27 row_shr:2 row_mask:0xf bank_mask:0xf
	v_cmp_lt_u32_e32 vcc, 1, v30
	s_and_saveexec_b64 s[50:51], vcc
; %bb.157:
	v_and_b32_e32 v29, 0xff0000, v27
	v_cmp_eq_u32_e32 vcc, 0, v29
	v_and_b32_e32 v27, 0x10000, v27
	s_nop 0
	v_cndmask_b32_e32 v29, 0, v31, vcc
	v_add_u16_e32 v28, v29, v28
	v_mov_b32_e32 v29, 1
	v_and_b32_sdwa v29, v31, v29 dst_sel:DWORD dst_unused:UNUSED_PAD src0_sel:WORD_1 src1_sel:DWORD
	v_cmp_eq_u32_e32 vcc, 0, v27
	s_nop 1
	v_cndmask_b32_e32 v29, 1, v29, vcc
; %bb.158:
	s_or_b64 exec, exec, s[50:51]
	ds_write_b16 v26, v28
	ds_write_b8 v26, v29 offset:2
.LBB1636_159:
	s_or_b64 exec, exec, s[0:1]
	v_cmp_gt_u32_e32 vcc, 64, v0
	v_cmp_lt_u32_e64 s[0:1], 63, v0
	v_mov_b32_e32 v34, 0
	v_mov_b32_e32 v35, 0
	s_waitcnt lgkmcnt(0)
	s_barrier
	s_and_saveexec_b64 s[50:51], s[0:1]
	s_cbranch_execz .LBB1636_161
; %bb.160:
	v_lshl_add_u32 v24, v24, 2, -4
	ds_read_u16 v34, v24
	ds_read_u8 v35, v24 offset:2
	v_and_b32_e32 v26, 1, v23
	v_cmp_eq_u16_e64 s[0:1], 0, v23
	s_waitcnt lgkmcnt(1)
	s_nop 0
	v_cndmask_b32_e64 v23, 0, v34, s[0:1]
	v_cmp_eq_u32_e64 s[0:1], 1, v26
	v_add_u16_e32 v22, v23, v22
	s_waitcnt lgkmcnt(0)
	v_cndmask_b32_e64 v23, v35, 1, s[0:1]
.LBB1636_161:
	s_or_b64 exec, exec, s[50:51]
	v_and_b32_e32 v23, 0xff, v23
	v_and_b32_e32 v22, 0xffff, v22
	v_lshl_or_b32 v22, v23, 16, v22
	v_add_u32_e32 v23, -1, v25
	v_and_b32_e32 v24, 64, v25
	v_cmp_lt_i32_e64 s[0:1], v23, v24
	v_cmp_eq_u32_e64 s[50:51], 0, v25
	s_nop 0
	v_cndmask_b32_e64 v23, v23, v25, s[0:1]
	v_lshlrev_b32_e32 v23, 2, v23
	ds_bpermute_b32 v36, v23, v22
	s_and_saveexec_b64 s[0:1], vcc
	s_cbranch_execz .LBB1636_204
; %bb.162:
	v_mov_b32_e32 v29, 0
	ds_read_b32 v22, v29 offset:12
	s_and_saveexec_b64 s[56:57], s[50:51]
	s_cbranch_execz .LBB1636_164
; %bb.163:
	s_add_i32 s58, s67, 64
	s_mov_b32 s59, 0
	s_lshl_b64 s[58:59], s[58:59], 3
	s_add_u32 s58, s64, s58
	v_mov_b32_e32 v23, 1
	s_addc_u32 s59, s65, s59
	s_waitcnt lgkmcnt(0)
	global_store_dwordx2 v29, v[22:23], s[58:59] sc1
.LBB1636_164:
	s_or_b64 exec, exec, s[56:57]
	v_xad_u32 v24, v25, -1, s67
	v_add_u32_e32 v28, 64, v24
	v_lshl_add_u64 v[30:31], v[28:29], 3, s[64:65]
	global_load_dwordx2 v[26:27], v[30:31], off sc1
	s_waitcnt vmcnt(0)
	v_cmp_eq_u16_sdwa s[58:59], v27, v29 src0_sel:BYTE_0 src1_sel:DWORD
	s_and_saveexec_b64 s[56:57], s[58:59]
	s_cbranch_execz .LBB1636_168
; %bb.165:
	s_mov_b64 s[58:59], 0
	v_mov_b32_e32 v23, 0
.LBB1636_166:                           ; =>This Inner Loop Header: Depth=1
	global_load_dwordx2 v[26:27], v[30:31], off sc1
	s_waitcnt vmcnt(0)
	v_cmp_ne_u16_sdwa s[60:61], v27, v23 src0_sel:BYTE_0 src1_sel:DWORD
	s_or_b64 s[58:59], s[60:61], s[58:59]
	s_andn2_b64 exec, exec, s[58:59]
	s_cbranch_execnz .LBB1636_166
; %bb.167:
	s_or_b64 exec, exec, s[58:59]
.LBB1636_168:
	s_or_b64 exec, exec, s[56:57]
	v_mov_b32_e32 v23, 2
	v_cmp_eq_u16_sdwa s[56:57], v27, v23 src0_sel:BYTE_0 src1_sel:DWORD
	v_lshlrev_b64 v[28:29], v25, -1
	v_and_b32_e32 v48, 0xffffff, v26
	v_and_b32_e32 v23, s57, v29
	v_or_b32_e32 v23, 0x80000000, v23
	v_ffbl_b32_e32 v23, v23
	v_add_u32_e32 v31, 32, v23
	v_and_b32_e32 v23, 63, v25
	v_cmp_ne_u32_e32 vcc, 63, v23
	v_and_b32_e32 v30, s56, v28
	v_ffbl_b32_e32 v30, v30
	v_addc_co_u32_e32 v37, vcc, 0, v25, vcc
	v_lshlrev_b32_e32 v37, 2, v37
	ds_bpermute_b32 v38, v37, v48
	v_min_u32_e32 v31, v30, v31
	v_lshrrev_b32_e32 v30, 16, v26
	v_cmp_lt_u32_e32 vcc, v23, v31
	v_bfe_u32 v46, v26, 16, 8
	s_and_saveexec_b64 s[56:57], vcc
	s_cbranch_execz .LBB1636_170
; %bb.169:
	v_and_b32_e32 v30, 0xff0000, v26
	v_cmp_eq_u32_e32 vcc, 0, v30
	v_and_b32_e32 v30, 0x10000, v30
	v_mov_b32_e32 v41, 1
	s_waitcnt lgkmcnt(0)
	v_cndmask_b32_e32 v39, 0, v38, vcc
	v_and_b32_sdwa v38, v38, v41 dst_sel:DWORD dst_unused:UNUSED_PAD src0_sel:WORD_1 src1_sel:DWORD
	v_cmp_ne_u32_e32 vcc, 0, v30
	v_add_u16_e32 v40, v39, v26
	v_add_u16_e32 v26, v39, v26
	v_cndmask_b32_e64 v30, v38, 1, vcc
	v_lshlrev_b32_e32 v38, 16, v30
	v_or_b32_e32 v48, v38, v26
	v_mov_b32_e32 v26, v40
	v_mov_b32_e32 v46, v30
.LBB1636_170:
	s_or_b64 exec, exec, s[56:57]
	v_cmp_gt_u32_e32 vcc, 62, v23
	v_add_u32_e32 v39, 2, v23
	s_waitcnt lgkmcnt(0)
	v_cndmask_b32_e64 v38, 0, 1, vcc
	v_lshlrev_b32_e32 v38, 1, v38
	v_add_lshl_u32 v38, v38, v25, 2
	ds_bpermute_b32 v40, v38, v48
	v_cmp_le_u32_e32 vcc, v39, v31
	s_and_saveexec_b64 s[56:57], vcc
	s_cbranch_execz .LBB1636_172
; %bb.171:
	v_cmp_eq_u16_e32 vcc, 0, v46
	v_and_b32_e32 v30, 1, v46
	v_mov_b32_e32 v43, 1
	s_waitcnt lgkmcnt(0)
	v_cndmask_b32_e32 v41, 0, v40, vcc
	v_and_b32_sdwa v40, v40, v43 dst_sel:DWORD dst_unused:UNUSED_PAD src0_sel:WORD_1 src1_sel:DWORD
	v_cmp_eq_u32_e32 vcc, 1, v30
	v_add_u16_e32 v42, v41, v26
	v_add_u16_e32 v26, v41, v26
	v_cndmask_b32_e64 v30, v40, 1, vcc
	v_lshlrev_b32_e32 v40, 16, v30
	v_or_b32_e32 v48, v40, v26
	v_mov_b32_e32 v26, v42
	v_mov_b32_e32 v46, v30
.LBB1636_172:
	s_or_b64 exec, exec, s[56:57]
	v_cmp_gt_u32_e32 vcc, 60, v23
	v_add_u32_e32 v41, 4, v23
	s_waitcnt lgkmcnt(0)
	v_cndmask_b32_e64 v40, 0, 1, vcc
	v_lshlrev_b32_e32 v40, 2, v40
	v_add_lshl_u32 v40, v40, v25, 2
	ds_bpermute_b32 v42, v40, v48
	v_cmp_le_u32_e32 vcc, v41, v31
	s_and_saveexec_b64 s[56:57], vcc
	s_cbranch_execz .LBB1636_174
; %bb.173:
	v_cmp_eq_u16_e32 vcc, 0, v46
	v_and_b32_e32 v30, 1, v46
	v_mov_b32_e32 v45, 1
	s_waitcnt lgkmcnt(0)
	v_cndmask_b32_e32 v43, 0, v42, vcc
	v_and_b32_sdwa v42, v42, v45 dst_sel:DWORD dst_unused:UNUSED_PAD src0_sel:WORD_1 src1_sel:DWORD
	v_cmp_eq_u32_e32 vcc, 1, v30
	v_add_u16_e32 v44, v43, v26
	v_add_u16_e32 v26, v43, v26
	v_cndmask_b32_e64 v30, v42, 1, vcc
	v_lshlrev_b32_e32 v42, 16, v30
	v_or_b32_e32 v48, v42, v26
	v_mov_b32_e32 v26, v44
	v_mov_b32_e32 v46, v30
.LBB1636_174:
	;; [unrolled: 27-line block ×4, first 2 shown]
	s_or_b64 exec, exec, s[56:57]
	v_cmp_gt_u32_e32 vcc, 32, v23
	s_waitcnt lgkmcnt(0)
	s_nop 0
	v_cndmask_b32_e64 v47, 0, 1, vcc
	v_lshlrev_b32_e32 v47, 5, v47
	v_add_lshl_u32 v47, v47, v25, 2
	ds_bpermute_b32 v25, v47, v48
	v_add_u32_e32 v48, 32, v23
	v_cmp_le_u32_e32 vcc, v48, v31
	s_and_saveexec_b64 s[56:57], vcc
	s_cbranch_execz .LBB1636_180
; %bb.179:
	v_cmp_eq_u16_e32 vcc, 0, v46
	v_mov_b32_e32 v31, 1
	s_waitcnt lgkmcnt(0)
	v_cndmask_b32_e32 v30, 0, v25, vcc
	v_add_u16_e32 v26, v30, v26
	v_and_b32_e32 v30, 1, v46
	v_and_b32_sdwa v25, v25, v31 dst_sel:DWORD dst_unused:UNUSED_PAD src0_sel:WORD_1 src1_sel:DWORD
	v_cmp_eq_u32_e32 vcc, 1, v30
	s_nop 1
	v_cndmask_b32_e64 v30, v25, 1, vcc
.LBB1636_180:
	s_or_b64 exec, exec, s[56:57]
	s_waitcnt lgkmcnt(0)
	v_mov_b32_e32 v25, 0
	v_mov_b32_e32 v52, 2
	;; [unrolled: 1-line block ×3, first 2 shown]
	s_branch .LBB1636_182
.LBB1636_181:                           ;   in Loop: Header=BB1636_182 Depth=1
	s_or_b64 exec, exec, s[56:57]
	v_cmp_eq_u16_sdwa vcc, v46, v25 src0_sel:BYTE_0 src1_sel:DWORD
	v_and_b32_e32 v30, 1, v46
	v_and_b32_e32 v31, 1, v31
	v_cndmask_b32_e32 v26, 0, v26, vcc
	v_cmp_eq_u32_e32 vcc, 1, v30
	v_subrev_u32_e32 v24, 64, v24
	v_add_u16_e32 v26, v26, v49
	v_cndmask_b32_e64 v30, v31, 1, vcc
.LBB1636_182:                           ; =>This Loop Header: Depth=1
                                        ;     Child Loop BB1636_185 Depth 2
	v_cmp_ne_u16_sdwa s[56:57], v27, v52 src0_sel:BYTE_0 src1_sel:DWORD
	v_mov_b32_e32 v46, v30
	v_mov_b32_e32 v49, v26
	v_cndmask_b32_e64 v27, 0, 1, s[56:57]
	;;#ASMSTART
	;;#ASMEND
	s_nop 0
	v_cmp_ne_u32_e32 vcc, 0, v27
	s_cmp_lg_u64 vcc, exec
	s_cbranch_scc1 .LBB1636_199
; %bb.183:                              ;   in Loop: Header=BB1636_182 Depth=1
	v_lshl_add_u64 v[30:31], v[24:25], 3, s[64:65]
	global_load_dwordx2 v[26:27], v[30:31], off sc1
	s_waitcnt vmcnt(0)
	v_cmp_eq_u16_sdwa s[58:59], v27, v25 src0_sel:BYTE_0 src1_sel:DWORD
	s_and_saveexec_b64 s[56:57], s[58:59]
	s_cbranch_execz .LBB1636_187
; %bb.184:                              ;   in Loop: Header=BB1636_182 Depth=1
	s_mov_b64 s[58:59], 0
.LBB1636_185:                           ;   Parent Loop BB1636_182 Depth=1
                                        ; =>  This Inner Loop Header: Depth=2
	global_load_dwordx2 v[26:27], v[30:31], off sc1
	s_waitcnt vmcnt(0)
	v_cmp_ne_u16_sdwa s[60:61], v27, v25 src0_sel:BYTE_0 src1_sel:DWORD
	s_or_b64 s[58:59], s[60:61], s[58:59]
	s_andn2_b64 exec, exec, s[58:59]
	s_cbranch_execnz .LBB1636_185
; %bb.186:                              ;   in Loop: Header=BB1636_182 Depth=1
	s_or_b64 exec, exec, s[58:59]
.LBB1636_187:                           ;   in Loop: Header=BB1636_182 Depth=1
	s_or_b64 exec, exec, s[56:57]
	v_cmp_eq_u16_sdwa s[56:57], v27, v52 src0_sel:BYTE_0 src1_sel:DWORD
	s_waitcnt lgkmcnt(0)
	v_and_b32_e32 v55, 0xffffff, v26
	ds_bpermute_b32 v58, v37, v55
	v_and_b32_e32 v30, s57, v29
	v_or_b32_e32 v30, 0x80000000, v30
	v_and_b32_e32 v31, s56, v28
	v_ffbl_b32_e32 v30, v30
	v_add_u32_e32 v30, 32, v30
	v_ffbl_b32_e32 v31, v31
	v_min_u32_e32 v30, v31, v30
	v_lshrrev_b32_e32 v31, 16, v26
	v_cmp_lt_u32_e32 vcc, v23, v30
	v_bfe_u32 v54, v26, 16, 8
	s_and_saveexec_b64 s[56:57], vcc
	s_cbranch_execz .LBB1636_189
; %bb.188:                              ;   in Loop: Header=BB1636_182 Depth=1
	v_and_b32_e32 v31, 0xff0000, v26
	v_cmp_eq_u32_e32 vcc, 0, v31
	v_and_b32_e32 v31, 0x10000, v31
	s_waitcnt lgkmcnt(0)
	v_and_b32_sdwa v55, v58, v53 dst_sel:DWORD dst_unused:UNUSED_PAD src0_sel:WORD_1 src1_sel:DWORD
	v_cndmask_b32_e32 v54, 0, v58, vcc
	v_cmp_ne_u32_e32 vcc, 0, v31
	v_add_u16_e32 v59, v54, v26
	v_add_u16_e32 v26, v54, v26
	v_cndmask_b32_e64 v31, v55, 1, vcc
	v_lshlrev_b32_e32 v55, 16, v31
	v_or_b32_e32 v55, v55, v26
	v_mov_b32_e32 v26, v59
	v_mov_b32_e32 v54, v31
.LBB1636_189:                           ;   in Loop: Header=BB1636_182 Depth=1
	s_or_b64 exec, exec, s[56:57]
	s_waitcnt lgkmcnt(0)
	ds_bpermute_b32 v58, v38, v55
	v_cmp_le_u32_e32 vcc, v39, v30
	s_and_saveexec_b64 s[56:57], vcc
	s_cbranch_execz .LBB1636_191
; %bb.190:                              ;   in Loop: Header=BB1636_182 Depth=1
	v_cmp_eq_u16_e32 vcc, 0, v54
	v_and_b32_e32 v31, 1, v54
	s_waitcnt lgkmcnt(0)
	v_and_b32_sdwa v54, v58, v53 dst_sel:DWORD dst_unused:UNUSED_PAD src0_sel:WORD_1 src1_sel:DWORD
	v_cndmask_b32_e32 v55, 0, v58, vcc
	v_cmp_eq_u32_e32 vcc, 1, v31
	v_add_u16_e32 v59, v55, v26
	v_add_u16_e32 v26, v55, v26
	v_cndmask_b32_e64 v31, v54, 1, vcc
	v_lshlrev_b32_e32 v54, 16, v31
	v_or_b32_e32 v55, v54, v26
	v_mov_b32_e32 v26, v59
	v_mov_b32_e32 v54, v31
.LBB1636_191:                           ;   in Loop: Header=BB1636_182 Depth=1
	s_or_b64 exec, exec, s[56:57]
	s_waitcnt lgkmcnt(0)
	ds_bpermute_b32 v58, v40, v55
	v_cmp_le_u32_e32 vcc, v41, v30
	s_and_saveexec_b64 s[56:57], vcc
	s_cbranch_execz .LBB1636_193
; %bb.192:                              ;   in Loop: Header=BB1636_182 Depth=1
	v_cmp_eq_u16_e32 vcc, 0, v54
	v_and_b32_e32 v31, 1, v54
	s_waitcnt lgkmcnt(0)
	v_and_b32_sdwa v54, v58, v53 dst_sel:DWORD dst_unused:UNUSED_PAD src0_sel:WORD_1 src1_sel:DWORD
	v_cndmask_b32_e32 v55, 0, v58, vcc
	v_cmp_eq_u32_e32 vcc, 1, v31
	v_add_u16_e32 v59, v55, v26
	v_add_u16_e32 v26, v55, v26
	v_cndmask_b32_e64 v31, v54, 1, vcc
	v_lshlrev_b32_e32 v54, 16, v31
	v_or_b32_e32 v55, v54, v26
	v_mov_b32_e32 v26, v59
	v_mov_b32_e32 v54, v31
.LBB1636_193:                           ;   in Loop: Header=BB1636_182 Depth=1
	;; [unrolled: 21-line block ×4, first 2 shown]
	s_or_b64 exec, exec, s[56:57]
	ds_bpermute_b32 v55, v47, v55
	v_cmp_le_u32_e32 vcc, v48, v30
	s_and_saveexec_b64 s[56:57], vcc
	s_cbranch_execz .LBB1636_181
; %bb.198:                              ;   in Loop: Header=BB1636_182 Depth=1
	v_cmp_eq_u16_e32 vcc, 0, v54
	s_waitcnt lgkmcnt(0)
	v_lshrrev_b32_e32 v31, 16, v55
	v_cndmask_b32_e32 v30, 0, v55, vcc
	v_add_u16_e32 v26, v30, v26
	v_and_b32_e32 v30, 1, v54
	v_cmp_eq_u32_e32 vcc, 1, v30
	s_nop 1
	v_cndmask_b32_e64 v31, v31, 1, vcc
	s_branch .LBB1636_181
.LBB1636_199:                           ;   in Loop: Header=BB1636_182 Depth=1
                                        ; implicit-def: $vgpr30
                                        ; implicit-def: $vgpr26
	s_cbranch_execz .LBB1636_182
; %bb.200:
	s_and_saveexec_b64 s[56:57], s[50:51]
	s_cbranch_execz .LBB1636_202
; %bb.201:
	v_and_b32_e32 v23, 0xff0000, v22
	s_mov_b32 s59, 0
	v_cmp_eq_u32_e32 vcc, 0, v23
	v_and_b32_e32 v24, 0x10000, v22
	v_mov_b32_e32 v25, 1
	s_add_i32 s58, s67, 64
	v_cndmask_b32_e32 v23, 0, v49, vcc
	v_and_b32_sdwa v25, v46, v25 dst_sel:WORD_1 dst_unused:UNUSED_PAD src0_sel:DWORD src1_sel:DWORD
	v_mov_b32_e32 v26, 0x10000
	v_cmp_eq_u32_e32 vcc, 0, v24
	s_lshl_b64 s[58:59], s[58:59], 3
	s_add_u32 s58, s64, s58
	v_cndmask_b32_e32 v24, v26, v25, vcc
	v_add_u16_e32 v22, v23, v22
	s_addc_u32 s59, s65, s59
	v_mov_b32_e32 v25, 0
	v_or_b32_e32 v22, v24, v22
	v_mov_b32_e32 v23, 2
	global_store_dwordx2 v25, v[22:23], s[58:59] sc1
.LBB1636_202:
	s_or_b64 exec, exec, s[56:57]
	s_and_b64 exec, exec, s[52:53]
	s_cbranch_execz .LBB1636_204
; %bb.203:
	v_mov_b32_e32 v22, 0
	ds_write_b16 v22, v49 offset:12
	ds_write_b8 v22, v46 offset:14
.LBB1636_204:
	s_or_b64 exec, exec, s[0:1]
	v_mov_b32_e32 v22, 0
	s_waitcnt lgkmcnt(0)
	s_barrier
	ds_read_b32 v23, v22 offset:12
	v_lshrrev_b32_e32 v24, 16, v36
	v_cndmask_b32_e64 v24, v24, v35, s[50:51]
	v_cmp_eq_u16_sdwa vcc, v24, v22 src0_sel:BYTE_0 src1_sel:DWORD
	v_cndmask_b32_e64 v25, v36, v34, s[50:51]
	s_waitcnt lgkmcnt(0)
	v_cndmask_b32_e32 v22, 0, v23, vcc
	v_add_u16_e32 v22, v22, v25
	v_cndmask_b32_e64 v24, v22, v23, s[52:53]
	v_and_b32_e32 v22, 0xff0000, v1
	v_cmp_eq_u32_e32 vcc, 0, v22
	s_nop 1
	v_cndmask_b32_e32 v22, 0, v24, vcc
	v_add_u16_e32 v22, v22, v1
	v_cndmask_b32_e64 v23, 0, v22, s[4:5]
	v_add_u16_e32 v23, v23, v56
	v_cndmask_b32_e64 v25, 0, v23, s[6:7]
	;; [unrolled: 2-line block ×22, first 2 shown]
	v_add_u16_e32 v47, v47, v17
	s_branch .LBB1636_255
.LBB1636_205:
	s_or_b64 exec, exec, s[0:1]
                                        ; implicit-def: $vgpr3
	s_and_saveexec_b64 s[0:1], s[4:5]
	s_cbranch_execz .LBB1636_57
.LBB1636_206:
	v_lshlrev_b32_e32 v20, 1, v0
	v_mov_b32_e32 v21, 0
	v_lshl_add_u64 v[20:21], v[52:53], 0, v[20:21]
	flat_load_ushort v3, v[20:21] offset:512
	s_or_b64 exec, exec, s[0:1]
                                        ; implicit-def: $vgpr20
	s_and_saveexec_b64 s[0:1], s[6:7]
	s_cbranch_execnz .LBB1636_58
.LBB1636_207:
	s_or_b64 exec, exec, s[0:1]
                                        ; implicit-def: $vgpr21
	s_and_saveexec_b64 s[0:1], s[8:9]
	s_cbranch_execz .LBB1636_59
.LBB1636_208:
	v_lshlrev_b32_e32 v46, 1, v0
	v_mov_b32_e32 v47, 0
	v_lshl_add_u64 v[46:47], v[52:53], 0, v[46:47]
	flat_load_ushort v21, v[46:47] offset:1536
	s_or_b64 exec, exec, s[0:1]
                                        ; implicit-def: $vgpr46
	s_and_saveexec_b64 s[0:1], s[10:11]
	s_cbranch_execnz .LBB1636_60
.LBB1636_209:
	s_or_b64 exec, exec, s[0:1]
                                        ; implicit-def: $vgpr47
	s_and_saveexec_b64 s[0:1], s[12:13]
	s_cbranch_execz .LBB1636_61
.LBB1636_210:
	v_lshlrev_b32_e32 v48, 1, v0
	v_mov_b32_e32 v49, 0
	v_lshl_add_u64 v[48:49], v[52:53], 0, v[48:49]
	flat_load_ushort v47, v[48:49] offset:2560
	s_or_b64 exec, exec, s[0:1]
                                        ; implicit-def: $vgpr48
	s_and_saveexec_b64 s[0:1], s[14:15]
	s_cbranch_execnz .LBB1636_62
.LBB1636_211:
	s_or_b64 exec, exec, s[0:1]
                                        ; implicit-def: $vgpr49
	s_and_saveexec_b64 s[0:1], s[16:17]
	s_cbranch_execz .LBB1636_63
.LBB1636_212:
	v_lshlrev_b32_e32 v56, 1, v0
	v_mov_b32_e32 v57, 0
	v_lshl_add_u64 v[56:57], v[52:53], 0, v[56:57]
	flat_load_ushort v49, v[56:57] offset:3584
	s_or_b64 exec, exec, s[0:1]
                                        ; implicit-def: $vgpr56
	s_and_saveexec_b64 s[0:1], s[18:19]
	s_cbranch_execnz .LBB1636_64
.LBB1636_213:
	s_or_b64 exec, exec, s[0:1]
                                        ; implicit-def: $vgpr1
	s_and_saveexec_b64 s[0:1], s[20:21]
	s_cbranch_execz .LBB1636_65
.LBB1636_214:
	v_lshlrev_b32_e32 v60, 1, v4
	v_mov_b32_e32 v61, 0
	v_lshl_add_u64 v[60:61], v[52:53], 0, v[60:61]
	flat_load_ushort v1, v[60:61]
	s_or_b64 exec, exec, s[0:1]
                                        ; implicit-def: $vgpr4
	s_and_saveexec_b64 s[0:1], s[22:23]
	s_cbranch_execnz .LBB1636_66
.LBB1636_215:
	s_or_b64 exec, exec, s[0:1]
                                        ; implicit-def: $vgpr5
	s_and_saveexec_b64 s[0:1], s[24:25]
	s_cbranch_execz .LBB1636_67
.LBB1636_216:
	v_lshlrev_b32_e32 v60, 1, v6
	v_mov_b32_e32 v61, 0
	v_lshl_add_u64 v[60:61], v[52:53], 0, v[60:61]
	flat_load_ushort v5, v[60:61]
	s_or_b64 exec, exec, s[0:1]
                                        ; implicit-def: $vgpr6
	s_and_saveexec_b64 s[0:1], s[26:27]
	s_cbranch_execnz .LBB1636_68
.LBB1636_217:
	s_or_b64 exec, exec, s[0:1]
                                        ; implicit-def: $vgpr7
	s_and_saveexec_b64 s[0:1], s[28:29]
	s_cbranch_execz .LBB1636_69
.LBB1636_218:
	v_lshlrev_b32_e32 v60, 1, v8
	v_mov_b32_e32 v61, 0
	v_lshl_add_u64 v[60:61], v[52:53], 0, v[60:61]
	flat_load_ushort v7, v[60:61]
	s_or_b64 exec, exec, s[0:1]
                                        ; implicit-def: $vgpr8
	s_and_saveexec_b64 s[0:1], s[30:31]
	s_cbranch_execnz .LBB1636_70
.LBB1636_219:
	s_or_b64 exec, exec, s[0:1]
                                        ; implicit-def: $vgpr9
	s_and_saveexec_b64 s[0:1], s[34:35]
	s_cbranch_execz .LBB1636_71
.LBB1636_220:
	v_lshlrev_b32_e32 v60, 1, v10
	v_mov_b32_e32 v61, 0
	v_lshl_add_u64 v[60:61], v[52:53], 0, v[60:61]
	flat_load_ushort v9, v[60:61]
	s_or_b64 exec, exec, s[0:1]
                                        ; implicit-def: $vgpr10
	s_and_saveexec_b64 s[0:1], s[36:37]
	s_cbranch_execnz .LBB1636_72
.LBB1636_221:
	s_or_b64 exec, exec, s[0:1]
                                        ; implicit-def: $vgpr11
	s_and_saveexec_b64 s[0:1], s[38:39]
	s_cbranch_execz .LBB1636_73
.LBB1636_222:
	v_lshlrev_b32_e32 v60, 1, v12
	v_mov_b32_e32 v61, 0
	v_lshl_add_u64 v[60:61], v[52:53], 0, v[60:61]
	flat_load_ushort v11, v[60:61]
	s_or_b64 exec, exec, s[0:1]
                                        ; implicit-def: $vgpr12
	s_and_saveexec_b64 s[0:1], s[40:41]
	s_cbranch_execnz .LBB1636_74
.LBB1636_223:
	s_or_b64 exec, exec, s[0:1]
                                        ; implicit-def: $vgpr13
	s_and_saveexec_b64 s[0:1], s[42:43]
	s_cbranch_execz .LBB1636_75
.LBB1636_224:
	v_lshlrev_b32_e32 v60, 1, v14
	v_mov_b32_e32 v61, 0
	v_lshl_add_u64 v[60:61], v[52:53], 0, v[60:61]
	flat_load_ushort v13, v[60:61]
	s_or_b64 exec, exec, s[0:1]
                                        ; implicit-def: $vgpr14
	s_and_saveexec_b64 s[0:1], s[44:45]
	s_cbranch_execnz .LBB1636_76
.LBB1636_225:
	s_or_b64 exec, exec, s[0:1]
                                        ; implicit-def: $vgpr15
	s_and_saveexec_b64 s[0:1], s[46:47]
	s_cbranch_execz .LBB1636_77
.LBB1636_226:
	v_lshlrev_b32_e32 v60, 1, v16
	v_mov_b32_e32 v61, 0
	v_lshl_add_u64 v[60:61], v[52:53], 0, v[60:61]
	flat_load_ushort v15, v[60:61]
	s_or_b64 exec, exec, s[0:1]
                                        ; implicit-def: $vgpr16
	s_and_saveexec_b64 s[0:1], s[48:49]
	s_cbranch_execz .LBB1636_79
	s_branch .LBB1636_78
.LBB1636_227:
                                        ; implicit-def: $vgpr24
                                        ; implicit-def: $vgpr22
                                        ; implicit-def: $vgpr23
                                        ; implicit-def: $vgpr25
                                        ; implicit-def: $vgpr26
                                        ; implicit-def: $vgpr27
                                        ; implicit-def: $vgpr29
                                        ; implicit-def: $vgpr31
                                        ; implicit-def: $vgpr28
                                        ; implicit-def: $vgpr30
                                        ; implicit-def: $vgpr34
                                        ; implicit-def: $vgpr35
                                        ; implicit-def: $vgpr36
                                        ; implicit-def: $vgpr37
                                        ; implicit-def: $vgpr39
                                        ; implicit-def: $vgpr41
                                        ; implicit-def: $vgpr38
                                        ; implicit-def: $vgpr40
                                        ; implicit-def: $vgpr42
                                        ; implicit-def: $vgpr43
                                        ; implicit-def: $vgpr44
                                        ; implicit-def: $vgpr45
                                        ; implicit-def: $vgpr46
                                        ; implicit-def: $vgpr47
	s_cbranch_execz .LBB1636_255
; %bb.228:
	s_cmp_lg_u64 s[72:73], 0
	s_cselect_b32 s1, s71, 0
	s_cselect_b32 s0, s70, 0
	s_cmp_eq_u64 s[0:1], 0
	v_mov_b32_e32 v47, s74
	s_cbranch_scc1 .LBB1636_230
; %bb.229:
	v_mov_b32_e32 v22, 0
	global_load_ushort v47, v22, s[0:1]
.LBB1636_230:
	s_mov_b32 s50, 0x10000
	v_cmp_gt_u32_e32 vcc, s50, v56
	v_cmp_gt_u32_e64 s[4:5], s50, v21
	v_cmp_gt_u32_e64 s[6:7], s50, v20
	v_cndmask_b32_e32 v22, 0, v1, vcc
	v_add_u16_e32 v22, v22, v56
	v_cndmask_b32_e64 v22, 0, v22, s[4:5]
	v_add_u16_e32 v22, v22, v21
	v_cndmask_b32_e64 v22, 0, v22, s[6:7]
	v_add_u16_e32 v22, v22, v20
	v_cmp_gt_u32_e64 s[8:9], s50, v19
	v_cmp_gt_u32_e64 s[10:11], s50, v18
	v_cmp_gt_u32_e64 s[12:13], s50, v57
	v_cndmask_b32_e64 v22, 0, v22, s[8:9]
	v_add_u16_e32 v22, v22, v19
	v_cndmask_b32_e64 v22, 0, v22, s[10:11]
	v_add_u16_e32 v22, v22, v18
	v_cndmask_b32_e64 v22, 0, v22, s[12:13]
	v_add_u16_e32 v22, v22, v57
	v_cmp_gt_u32_e64 s[14:15], s50, v9
	v_cmp_gt_u32_e64 s[16:17], s50, v8
	v_cmp_gt_u32_e64 s[18:19], s50, v7
	v_cndmask_b32_e64 v22, 0, v22, s[14:15]
	v_add_u16_e32 v22, v22, v9
	v_cndmask_b32_e64 v22, 0, v22, s[16:17]
	v_add_u16_e32 v22, v22, v8
	v_cndmask_b32_e64 v22, 0, v22, s[18:19]
	v_add_u16_e32 v22, v22, v7
	v_cmp_gt_u32_e64 s[20:21], s50, v6
	v_cmp_gt_u32_e64 s[22:23], s50, v5
	v_cmp_gt_u32_e64 s[24:25], s50, v4
	v_cndmask_b32_e64 v22, 0, v22, s[20:21]
	v_add_u16_e32 v22, v22, v6
	v_cndmask_b32_e64 v22, 0, v22, s[22:23]
	v_add_u16_e32 v22, v22, v5
	v_cndmask_b32_e64 v22, 0, v22, s[24:25]
	v_add_u16_e32 v22, v22, v4
	v_cmp_gt_u32_e64 s[26:27], s50, v3
	v_cmp_gt_u32_e64 s[28:29], s50, v2
	v_cmp_gt_u32_e64 s[30:31], s50, v10
	v_cndmask_b32_e64 v22, 0, v22, s[26:27]
	v_add_u16_e32 v22, v22, v3
	v_cndmask_b32_e64 v22, 0, v22, s[28:29]
	v_add_u16_e32 v22, v22, v2
	v_cndmask_b32_e64 v22, 0, v22, s[30:31]
	v_add_u16_e32 v22, v22, v10
	v_cmp_gt_u32_e64 s[34:35], s50, v11
	v_cmp_gt_u32_e64 s[36:37], s50, v12
	v_cmp_gt_u32_e64 s[38:39], s50, v13
	v_cndmask_b32_e64 v22, 0, v22, s[34:35]
	v_add_u16_e32 v22, v22, v11
	v_cndmask_b32_e64 v22, 0, v22, s[36:37]
	v_add_u16_e32 v22, v22, v12
	v_cndmask_b32_e64 v22, 0, v22, s[38:39]
	v_add_u16_e32 v22, v22, v13
	v_cmp_gt_u32_e64 s[40:41], s50, v14
	v_bfe_u32 v25, v19, 16, 1
	v_cmp_gt_u32_e64 s[42:43], s50, v15
	v_cndmask_b32_e64 v22, 0, v22, s[40:41]
	v_add_u16_e32 v22, v22, v14
	v_lshlrev_b16_e32 v26, 1, v25
	v_mov_b32_e32 v25, 1
	v_cndmask_b32_e64 v22, 0, v22, s[42:43]
	v_and_b32_sdwa v27, v18, v25 dst_sel:DWORD dst_unused:UNUSED_PAD src0_sel:WORD_1 src1_sel:DWORD
	v_add_u16_e32 v22, v22, v15
	v_cmp_gt_u32_e64 s[44:45], s50, v16
	v_or_b32_e32 v26, v27, v26
	v_bfe_u32 v27, v21, 16, 1
	v_and_b32_sdwa v28, v20, v25 dst_sel:DWORD dst_unused:UNUSED_PAD src0_sel:WORD_1 src1_sel:DWORD
	v_cndmask_b32_e64 v22, 0, v22, s[44:45]
	v_lshlrev_b16_e32 v27, 3, v27
	v_lshlrev_b16_e32 v28, 2, v28
	v_add_u16_e32 v22, v22, v16
	v_cmp_gt_u32_e64 s[46:47], s50, v17
	v_or_b32_e32 v27, v27, v28
	v_or_b32_e32 v26, v26, v27
	v_cndmask_b32_e64 v22, 0, v22, s[46:47]
	v_and_b32_e32 v27, 0x10000, v57
	v_add_u16_e32 v22, v22, v17
	v_cmp_gt_u32_e64 s[50:51], s50, v32
	v_and_b32_e32 v28, 0x10000, v32
	v_cmp_ne_u32_e64 s[0:1], 0, v27
	v_cndmask_b32_e64 v27, 0, v22, s[50:51]
	v_cmp_ne_u32_e64 s[50:51], 0, v28
	v_or_b32_e32 v28, v16, v8
	v_or_b32_e32 v29, v17, v9
	;; [unrolled: 1-line block ×7, first 2 shown]
	v_bfe_u32 v31, v31, 16, 1
	v_bfe_u32 v29, v29, 16, 1
	v_and_b32_sdwa v28, v28, v25 dst_sel:DWORD dst_unused:UNUSED_PAD src0_sel:WORD_1 src1_sel:DWORD
	v_or_b32_e32 v36, v10, v2
	v_bfe_u32 v37, v37, 16, 1
	v_bfe_u32 v35, v35, 16, 1
	v_and_b32_sdwa v34, v34, v25 dst_sel:DWORD dst_unused:UNUSED_PAD src0_sel:WORD_1 src1_sel:DWORD
	v_lshlrev_b16_e32 v31, 1, v31
	v_and_b32_sdwa v30, v30, v25 dst_sel:DWORD dst_unused:UNUSED_PAD src0_sel:WORD_1 src1_sel:DWORD
	v_lshlrev_b16_e32 v29, 3, v29
	v_lshlrev_b16_e32 v28, 2, v28
	;; [unrolled: 1-line block ×3, first 2 shown]
	v_and_b32_sdwa v36, v36, v25 dst_sel:DWORD dst_unused:UNUSED_PAD src0_sel:WORD_1 src1_sel:DWORD
	v_lshlrev_b16_e32 v35, 3, v35
	v_lshlrev_b16_e32 v34, 2, v34
	v_or_b32_e32 v30, v30, v31
	v_or_b32_e32 v28, v29, v28
	v_or_b32_e32 v36, v36, v37
	v_or_b32_e32 v34, v35, v34
	v_or_b32_e32 v28, v30, v28
	v_or_b32_e32 v34, v36, v34
	v_lshlrev_b16_e32 v28, 4, v28
	v_or_b32_e32 v28, v34, v28
	v_or_b32_e32 v26, v28, v26
	v_mov_b32_e32 v28, 0
	v_cmp_ne_u16_sdwa s[56:57], v26, v28 src0_sel:BYTE_0 src1_sel:DWORD
	v_and_b32_e32 v24, 0x10000, v56
	s_or_b64 s[50:51], s[50:51], s[56:57]
	v_cmp_ne_u32_e64 s[48:49], 0, v24
	s_or_b64 s[0:1], s[50:51], s[0:1]
	v_mov_b32_e32 v23, 0x10000
	v_and_b32_e32 v24, 0x10000, v1
	s_or_b64 s[0:1], s[0:1], s[48:49]
	v_cndmask_b32_e64 v28, v24, v23, s[0:1]
	v_add_u16_e32 v26, v27, v32
	v_mbcnt_hi_u32_b32 v23, -1, v33
	v_add_u16_e32 v22, v27, v32
	v_and_b32_e32 v27, 15, v23
	v_or_b32_e32 v26, v28, v26
	v_lshrrev_b32_e32 v24, 16, v28
	v_cmp_ne_u32_e64 s[0:1], 0, v27
	v_mov_b32_dpp v29, v26 row_shr:1 row_mask:0xf bank_mask:0xf
	s_and_saveexec_b64 s[48:49], s[0:1]
; %bb.231:
	v_cmp_eq_u32_e64 s[0:1], 0, v28
	v_and_b32_e32 v24, 0x10000, v28
	v_and_b32_sdwa v25, v29, v25 dst_sel:DWORD dst_unused:UNUSED_PAD src0_sel:WORD_1 src1_sel:DWORD
	v_cndmask_b32_e64 v26, 0, v29, s[0:1]
	v_cmp_ne_u32_e64 s[0:1], 0, v24
	v_add_u16_e32 v30, v26, v22
	v_add_u16_e32 v22, v26, v22
	v_cndmask_b32_e64 v24, v25, 1, s[0:1]
	v_lshlrev_b32_e32 v25, 16, v24
	v_or_b32_e32 v26, v25, v22
	v_mov_b32_e32 v22, v30
; %bb.232:
	s_or_b64 exec, exec, s[48:49]
	v_lshrrev_b32_e32 v25, 16, v26
	v_mov_b32_dpp v28, v26 row_shr:2 row_mask:0xf bank_mask:0xf
	v_cmp_lt_u32_e64 s[0:1], 1, v27
	s_and_saveexec_b64 s[48:49], s[0:1]
	s_cbranch_execz .LBB1636_234
; %bb.233:
	s_mov_b32 s0, 0x10000
	v_cmp_gt_u32_e64 s[0:1], s0, v26
	v_and_b32_e32 v24, 0x10000, v26
	v_mov_b32_e32 v26, 1
	v_cndmask_b32_e64 v25, 0, v28, s[0:1]
	v_and_b32_sdwa v26, v28, v26 dst_sel:DWORD dst_unused:UNUSED_PAD src0_sel:WORD_1 src1_sel:DWORD
	v_cmp_ne_u32_e64 s[0:1], 0, v24
	v_add_u16_e32 v29, v25, v22
	v_add_u16_e32 v22, v25, v22
	v_cndmask_b32_e64 v24, v26, 1, s[0:1]
	v_lshlrev_b32_e32 v26, 16, v24
	v_or_b32_e32 v26, v26, v22
	v_mov_b32_e32 v25, v24
	v_mov_b32_e32 v22, v29
.LBB1636_234:
	s_or_b64 exec, exec, s[48:49]
	v_mov_b32_dpp v28, v26 row_shr:4 row_mask:0xf bank_mask:0xf
	v_cmp_lt_u32_e64 s[0:1], 3, v27
	s_and_saveexec_b64 s[48:49], s[0:1]
	s_cbranch_execz .LBB1636_236
; %bb.235:
	v_cmp_eq_u16_e64 s[0:1], 0, v25
	v_and_b32_e32 v24, 1, v25
	v_mov_b32_e32 v25, 1
	v_cndmask_b32_e64 v26, 0, v28, s[0:1]
	v_and_b32_sdwa v25, v28, v25 dst_sel:DWORD dst_unused:UNUSED_PAD src0_sel:WORD_1 src1_sel:DWORD
	v_cmp_eq_u32_e64 s[0:1], 1, v24
	v_add_u16_e32 v29, v26, v22
	v_add_u16_e32 v22, v26, v22
	v_cndmask_b32_e64 v24, v25, 1, s[0:1]
	v_lshlrev_b32_e32 v25, 16, v24
	v_or_b32_e32 v26, v25, v22
	v_mov_b32_e32 v25, v24
	v_mov_b32_e32 v22, v29
.LBB1636_236:
	s_or_b64 exec, exec, s[48:49]
	v_mov_b32_dpp v28, v26 row_shr:8 row_mask:0xf bank_mask:0xf
	v_cmp_lt_u32_e64 s[0:1], 7, v27
	s_and_saveexec_b64 s[48:49], s[0:1]
	s_cbranch_execz .LBB1636_238
; %bb.237:
	v_cmp_eq_u16_e64 s[0:1], 0, v25
	v_and_b32_e32 v24, 1, v25
	v_mov_b32_e32 v25, 1
	v_cndmask_b32_e64 v26, 0, v28, s[0:1]
	v_and_b32_sdwa v25, v28, v25 dst_sel:DWORD dst_unused:UNUSED_PAD src0_sel:WORD_1 src1_sel:DWORD
	v_cmp_eq_u32_e64 s[0:1], 1, v24
	v_add_u16_e32 v27, v26, v22
	v_add_u16_e32 v22, v26, v22
	v_cndmask_b32_e64 v24, v25, 1, s[0:1]
	v_lshlrev_b32_e32 v25, 16, v24
	v_or_b32_e32 v26, v25, v22
	v_mov_b32_e32 v25, v24
	v_mov_b32_e32 v22, v27
.LBB1636_238:
	s_or_b64 exec, exec, s[48:49]
	v_and_b32_e32 v28, 16, v23
	v_mov_b32_dpp v27, v26 row_bcast:15 row_mask:0xf bank_mask:0xf
	v_cmp_ne_u32_e64 s[0:1], 0, v28
	s_and_saveexec_b64 s[48:49], s[0:1]
	s_cbranch_execz .LBB1636_240
; %bb.239:
	v_cmp_eq_u16_e64 s[0:1], 0, v25
	v_and_b32_e32 v24, 1, v25
	v_mov_b32_e32 v25, 1
	v_cndmask_b32_e64 v26, 0, v27, s[0:1]
	v_and_b32_sdwa v25, v27, v25 dst_sel:DWORD dst_unused:UNUSED_PAD src0_sel:WORD_1 src1_sel:DWORD
	v_cmp_eq_u32_e64 s[0:1], 1, v24
	v_add_u16_e32 v28, v26, v22
	v_add_u16_e32 v22, v26, v22
	v_cndmask_b32_e64 v24, v25, 1, s[0:1]
	v_lshlrev_b32_e32 v25, 16, v24
	v_or_b32_e32 v26, v25, v22
	v_mov_b32_e32 v25, v24
	v_mov_b32_e32 v22, v28
.LBB1636_240:
	s_or_b64 exec, exec, s[48:49]
	v_mov_b32_dpp v26, v26 row_bcast:31 row_mask:0xf bank_mask:0xf
	v_cmp_lt_u32_e64 s[0:1], 31, v23
	s_and_saveexec_b64 s[48:49], s[0:1]
; %bb.241:
	v_cmp_eq_u16_e64 s[0:1], 0, v25
	s_nop 1
	v_cndmask_b32_e64 v24, 0, v26, s[0:1]
	v_add_u16_e32 v22, v24, v22
	v_and_b32_e32 v24, 1, v25
	v_mov_b32_e32 v25, 1
	v_and_b32_sdwa v25, v26, v25 dst_sel:DWORD dst_unused:UNUSED_PAD src0_sel:WORD_1 src1_sel:DWORD
	v_cmp_eq_u32_e64 s[0:1], 1, v24
	s_nop 1
	v_cndmask_b32_e64 v24, v25, 1, s[0:1]
; %bb.242:
	s_or_b64 exec, exec, s[48:49]
	v_or_b32_e32 v26, 63, v0
	v_lshrrev_b32_e32 v25, 6, v0
	v_cmp_eq_u32_e64 s[0:1], v26, v0
	s_and_saveexec_b64 s[48:49], s[0:1]
	s_cbranch_execz .LBB1636_244
; %bb.243:
	v_lshlrev_b32_e32 v26, 2, v25
	ds_write_b16 v26, v22
	ds_write_b8 v26, v24 offset:2
.LBB1636_244:
	s_or_b64 exec, exec, s[48:49]
	v_cmp_gt_u32_e64 s[0:1], 4, v0
	s_waitcnt lgkmcnt(0)
	s_barrier
	s_and_saveexec_b64 s[48:49], s[0:1]
	s_cbranch_execz .LBB1636_250
; %bb.245:
	v_lshlrev_b32_e32 v26, 2, v0
	ds_read_b32 v27, v26
	v_and_b32_e32 v30, 3, v23
	v_cmp_ne_u32_e64 s[0:1], 0, v30
	s_waitcnt lgkmcnt(0)
	v_lshrrev_b32_e32 v29, 16, v27
	v_mov_b32_dpp v31, v27 row_shr:1 row_mask:0xf bank_mask:0xf
	v_mov_b32_e32 v28, v27
	s_and_saveexec_b64 s[50:51], s[0:1]
	s_cbranch_execz .LBB1636_247
; %bb.246:
	v_mov_b32_e32 v28, 0
	v_cmp_eq_u16_sdwa s[0:1], v29, v28 src0_sel:BYTE_0 src1_sel:DWORD
	v_and_b32_e32 v29, 0x10000, v27
	v_mov_b32_e32 v34, 1
	v_cndmask_b32_e64 v33, 0, v31, s[0:1]
	v_and_b32_sdwa v31, v31, v34 dst_sel:DWORD dst_unused:UNUSED_PAD src0_sel:WORD_1 src1_sel:DWORD
	v_cmp_ne_u32_e64 s[0:1], 0, v29
	v_and_b32_e32 v32, 0xff000000, v27
	v_add_u16_e32 v28, v33, v27
	v_cndmask_b32_e64 v29, v31, 1, s[0:1]
	v_lshlrev_b32_e32 v31, 16, v29
	v_add_u16_e32 v27, v33, v27
	v_or3_b32 v27, v31, v32, v27
.LBB1636_247:
	s_or_b64 exec, exec, s[50:51]
	s_nop 0
	v_mov_b32_dpp v31, v27 row_shr:2 row_mask:0xf bank_mask:0xf
	v_cmp_lt_u32_e64 s[0:1], 1, v30
	s_and_saveexec_b64 s[50:51], s[0:1]
; %bb.248:
	v_and_b32_e32 v29, 0xff0000, v27
	v_cmp_eq_u32_e64 s[0:1], 0, v29
	v_and_b32_e32 v27, 0x10000, v27
	s_nop 0
	v_cndmask_b32_e64 v29, 0, v31, s[0:1]
	v_add_u16_e32 v28, v29, v28
	v_mov_b32_e32 v29, 1
	v_and_b32_sdwa v29, v31, v29 dst_sel:DWORD dst_unused:UNUSED_PAD src0_sel:WORD_1 src1_sel:DWORD
	v_cmp_eq_u32_e64 s[0:1], 0, v27
	s_nop 1
	v_cndmask_b32_e64 v29, 1, v29, s[0:1]
; %bb.249:
	s_or_b64 exec, exec, s[50:51]
	ds_write_b16 v26, v28
	ds_write_b8 v26, v29 offset:2
.LBB1636_250:
	s_or_b64 exec, exec, s[48:49]
	v_cmp_lt_u32_e64 s[0:1], 63, v0
	v_mov_b32_e32 v27, 0
	s_waitcnt vmcnt(0)
	v_mov_b32_e32 v26, v47
	s_waitcnt lgkmcnt(0)
	s_barrier
	s_and_saveexec_b64 s[48:49], s[0:1]
	s_cbranch_execz .LBB1636_252
; %bb.251:
	v_lshl_add_u32 v25, v25, 2, -4
	ds_read_u8 v27, v25 offset:2
	ds_read_u16 v25, v25
	s_waitcnt lgkmcnt(1)
	v_cmp_eq_u16_e64 s[0:1], 0, v27
	s_nop 1
	v_cndmask_b32_e64 v26, 0, v47, s[0:1]
	s_waitcnt lgkmcnt(0)
	v_add_u16_e32 v26, v26, v25
.LBB1636_252:
	s_or_b64 exec, exec, s[48:49]
	v_cmp_eq_u16_e64 s[0:1], 0, v24
	v_and_b32_e32 v24, 1, v24
	v_lshlrev_b32_e32 v27, 16, v27
	v_cndmask_b32_e64 v25, 0, v26, s[0:1]
	v_mov_b32_e32 v28, 0x10000
	v_cmp_eq_u32_e64 s[0:1], 1, v24
	v_add_u16_e32 v22, v25, v22
	v_and_b32_e32 v25, 64, v23
	v_cndmask_b32_e64 v24, v27, v28, s[0:1]
	v_or_b32_e32 v22, v24, v22
	v_add_u32_e32 v24, -1, v23
	v_cmp_lt_i32_e64 s[0:1], v24, v25
	s_nop 1
	v_cndmask_b32_e64 v24, v24, v23, s[0:1]
	v_lshlrev_b32_e32 v24, 2, v24
	ds_bpermute_b32 v22, v24, v22
	v_cmp_eq_u32_e64 s[0:1], 0, v23
	v_and_b32_e32 v23, 0xff0000, v1
	s_waitcnt lgkmcnt(0)
	v_cndmask_b32_e64 v24, v22, v26, s[0:1]
	v_cndmask_b32_e64 v22, v24, v47, s[52:53]
	v_cmp_eq_u32_e64 s[0:1], 0, v23
	s_nop 1
	v_cndmask_b32_e64 v22, 0, v22, s[0:1]
	v_add_u16_e32 v22, v22, v1
	v_cndmask_b32_e32 v1, 0, v22, vcc
	v_add_u16_e32 v23, v1, v56
	v_cndmask_b32_e64 v1, 0, v23, s[4:5]
	v_add_u16_e32 v25, v1, v21
	v_cndmask_b32_e64 v1, 0, v25, s[6:7]
	v_add_u16_e32 v26, v1, v20
	v_cndmask_b32_e64 v1, 0, v26, s[8:9]
	v_add_u16_e32 v27, v1, v19
	v_cndmask_b32_e64 v1, 0, v27, s[10:11]
	v_add_u16_e32 v29, v1, v18
	v_cndmask_b32_e64 v1, 0, v29, s[12:13]
	v_add_u16_e32 v31, v1, v57
	v_cndmask_b32_e64 v1, 0, v31, s[14:15]
	v_add_u16_e32 v28, v1, v9
	v_cndmask_b32_e64 v1, 0, v28, s[16:17]
	v_add_u16_e32 v30, v1, v8
	v_cndmask_b32_e64 v1, 0, v30, s[18:19]
	v_add_u16_e32 v34, v1, v7
	v_cndmask_b32_e64 v1, 0, v34, s[20:21]
	v_add_u16_e32 v35, v1, v6
	v_cndmask_b32_e64 v1, 0, v35, s[22:23]
	v_add_u16_e32 v36, v1, v5
	v_cndmask_b32_e64 v1, 0, v36, s[24:25]
	v_add_u16_e32 v37, v1, v4
	v_cndmask_b32_e64 v1, 0, v37, s[26:27]
	v_add_u16_e32 v39, v1, v3
	v_cndmask_b32_e64 v1, 0, v39, s[28:29]
	v_add_u16_e32 v41, v1, v2
	v_cndmask_b32_e64 v1, 0, v41, s[30:31]
	v_add_u16_e32 v38, v1, v10
	v_cndmask_b32_e64 v1, 0, v38, s[34:35]
	v_add_u16_e32 v40, v1, v11
	v_cndmask_b32_e64 v1, 0, v40, s[36:37]
	v_add_u16_e32 v42, v1, v12
	v_cndmask_b32_e64 v1, 0, v42, s[38:39]
	v_add_u16_e32 v43, v1, v13
	v_cndmask_b32_e64 v1, 0, v43, s[40:41]
	v_add_u16_e32 v44, v1, v14
	v_cndmask_b32_e64 v1, 0, v44, s[42:43]
	v_add_u16_e32 v45, v1, v15
	v_cndmask_b32_e64 v1, 0, v45, s[44:45]
	v_add_u16_e32 v46, v1, v16
	v_cndmask_b32_e64 v1, 0, v46, s[46:47]
	s_and_saveexec_b64 s[0:1], s[52:53]
	s_cbranch_execz .LBB1636_254
; %bb.253:
	v_mov_b32_e32 v4, 0
	ds_read_u8 v2, v4 offset:14
	ds_read_u16 v5, v4 offset:12
	v_mov_b32_e32 v3, 2
	v_mov_b32_e32 v24, v47
	s_waitcnt lgkmcnt(1)
	v_cmp_eq_u32_e32 vcc, 0, v2
	v_lshlrev_b32_e32 v6, 16, v2
	s_nop 0
	v_cndmask_b32_e32 v2, 0, v47, vcc
	s_waitcnt lgkmcnt(0)
	v_add_u32_e32 v2, v2, v5
	v_or_b32_sdwa v2, v6, v2 dst_sel:DWORD dst_unused:UNUSED_PAD src0_sel:DWORD src1_sel:WORD_0
	global_store_dwordx2 v4, v[2:3], s[64:65] offset:512 sc1
.LBB1636_254:
	s_or_b64 exec, exec, s[0:1]
	v_add_u16_e32 v47, v1, v17
.LBB1636_255:
	s_add_u32 s0, s62, s54
	s_addc_u32 s1, s63, s55
	v_mul_u32_u24_e32 v1, 24, v0
	v_lshl_add_u64 v[2:3], s[0:1], 0, v[50:51]
	s_and_b64 vcc, exec, s[2:3]
	v_lshlrev_b32_e32 v8, 1, v1
	v_lshlrev_b32_e32 v4, 1, v0
	s_cbranch_vccz .LBB1636_303
; %bb.256:
	s_mov_b32 s0, 0x5040100
	v_perm_b32 v13, v31, v29, s0
	v_perm_b32 v12, v27, v26, s0
	;; [unrolled: 1-line block ×4, first 2 shown]
	s_barrier
	ds_write_b128 v8, v[10:13]
	v_perm_b32 v13, v41, v39, s0
	v_perm_b32 v12, v37, v36, s0
	;; [unrolled: 1-line block ×4, first 2 shown]
	ds_write_b128 v8, v[10:13] offset:16
	v_perm_b32 v13, v47, v46, s0
	v_perm_b32 v12, v45, v44, s0
	;; [unrolled: 1-line block ×4, first 2 shown]
	s_movk_i32 s0, 0xffd2
	v_mad_i32_i24 v5, v0, s0, v8
	ds_write_b128 v8, v[10:13] offset:32
	s_waitcnt lgkmcnt(0)
	s_barrier
	ds_read_u16 v54, v5 offset:512
	ds_read_u16 v53, v5 offset:1024
	;; [unrolled: 1-line block ×23, first 2 shown]
	s_add_i32 s33, s33, s66
	v_mov_b32_e32 v5, 0
	v_lshl_add_u64 v[6:7], v[2:3], 0, v[4:5]
	v_cmp_gt_u32_e32 vcc, s33, v0
	s_and_saveexec_b64 s[0:1], vcc
	s_cbranch_execz .LBB1636_258
; %bb.257:
	v_mul_i32_i24_e32 v55, 0xffffffd2, v0
	v_add_u32_e32 v55, v8, v55
	ds_read_u16 v55, v55
	s_waitcnt lgkmcnt(0)
	flat_store_short v[6:7], v55
.LBB1636_258:
	s_or_b64 exec, exec, s[0:1]
	v_or_b32_e32 v55, 0x100, v0
	v_cmp_gt_u32_e32 vcc, s33, v55
	s_and_saveexec_b64 s[0:1], vcc
	s_cbranch_execz .LBB1636_260
; %bb.259:
	s_waitcnt lgkmcnt(0)
	flat_store_short v[6:7], v54 offset:512
.LBB1636_260:
	s_or_b64 exec, exec, s[0:1]
	s_waitcnt lgkmcnt(0)
	v_or_b32_e32 v54, 0x200, v0
	v_cmp_gt_u32_e32 vcc, s33, v54
	s_and_saveexec_b64 s[0:1], vcc
	s_cbranch_execz .LBB1636_262
; %bb.261:
	flat_store_short v[6:7], v53 offset:1024
.LBB1636_262:
	s_or_b64 exec, exec, s[0:1]
	v_or_b32_e32 v53, 0x300, v0
	v_cmp_gt_u32_e32 vcc, s33, v53
	s_and_saveexec_b64 s[0:1], vcc
	s_cbranch_execz .LBB1636_264
; %bb.263:
	flat_store_short v[6:7], v52 offset:1536
.LBB1636_264:
	s_or_b64 exec, exec, s[0:1]
	;; [unrolled: 8-line block ×6, first 2 shown]
	v_or_b32_e32 v48, 0x800, v0
	v_cmp_gt_u32_e32 vcc, s33, v48
	s_and_saveexec_b64 s[0:1], vcc
	s_cbranch_execz .LBB1636_274
; %bb.273:
	v_add_co_u32_e32 v48, vcc, 0x1000, v6
	s_nop 1
	v_addc_co_u32_e32 v49, vcc, 0, v7, vcc
	flat_store_short v[48:49], v33
.LBB1636_274:
	s_or_b64 exec, exec, s[0:1]
	v_or_b32_e32 v33, 0x900, v0
	v_cmp_gt_u32_e32 vcc, s33, v33
	s_and_saveexec_b64 s[0:1], vcc
	s_cbranch_execz .LBB1636_276
; %bb.275:
	v_add_co_u32_e32 v48, vcc, 0x1000, v6
	s_nop 1
	v_addc_co_u32_e32 v49, vcc, 0, v7, vcc
	flat_store_short v[48:49], v32 offset:512
.LBB1636_276:
	s_or_b64 exec, exec, s[0:1]
	v_or_b32_e32 v32, 0xa00, v0
	v_cmp_gt_u32_e32 vcc, s33, v32
	s_and_saveexec_b64 s[0:1], vcc
	s_cbranch_execz .LBB1636_278
; %bb.277:
	v_add_co_u32_e32 v32, vcc, 0x1000, v6
	s_nop 1
	v_addc_co_u32_e32 v33, vcc, 0, v7, vcc
	flat_store_short v[32:33], v21 offset:1024
.LBB1636_278:
	;; [unrolled: 11-line block ×7, first 2 shown]
	s_or_b64 exec, exec, s[0:1]
	v_or_b32_e32 v16, 0x1000, v0
	v_cmp_gt_u32_e32 vcc, s33, v16
	s_and_saveexec_b64 s[0:1], vcc
	s_cbranch_execz .LBB1636_290
; %bb.289:
	v_add_co_u32_e32 v16, vcc, 0x2000, v6
	s_nop 1
	v_addc_co_u32_e32 v17, vcc, 0, v7, vcc
	flat_store_short v[16:17], v15
.LBB1636_290:
	s_or_b64 exec, exec, s[0:1]
	v_or_b32_e32 v15, 0x1100, v0
	v_cmp_gt_u32_e32 vcc, s33, v15
	s_and_saveexec_b64 s[0:1], vcc
	s_cbranch_execz .LBB1636_292
; %bb.291:
	v_add_co_u32_e32 v16, vcc, 0x2000, v6
	s_nop 1
	v_addc_co_u32_e32 v17, vcc, 0, v7, vcc
	flat_store_short v[16:17], v14 offset:512
.LBB1636_292:
	s_or_b64 exec, exec, s[0:1]
	v_or_b32_e32 v14, 0x1200, v0
	v_cmp_gt_u32_e32 vcc, s33, v14
	s_and_saveexec_b64 s[0:1], vcc
	s_cbranch_execz .LBB1636_294
; %bb.293:
	v_add_co_u32_e32 v14, vcc, 0x2000, v6
	s_nop 1
	v_addc_co_u32_e32 v15, vcc, 0, v7, vcc
	flat_store_short v[14:15], v13 offset:1024
.LBB1636_294:
	;; [unrolled: 11-line block ×6, first 2 shown]
	s_or_b64 exec, exec, s[0:1]
	v_mov_b32_e32 v1, v5
	v_or_b32_e32 v5, 0x1700, v0
	v_cmp_gt_u32_e64 s[0:1], s33, v5
	s_branch .LBB1636_305
.LBB1636_303:
	s_mov_b64 s[0:1], 0
                                        ; implicit-def: $vgpr9
	s_cbranch_execz .LBB1636_305
; %bb.304:
	s_mov_b32 s2, 0x5040100
	v_perm_b32 v13, v31, v29, s2
	v_perm_b32 v12, v27, v26, s2
	;; [unrolled: 1-line block ×4, first 2 shown]
	s_waitcnt lgkmcnt(0)
	s_barrier
	ds_write_b128 v8, v[10:13]
	v_perm_b32 v13, v41, v39, s2
	v_perm_b32 v12, v37, v36, s2
	;; [unrolled: 1-line block ×4, first 2 shown]
	ds_write_b128 v8, v[10:13] offset:16
	v_perm_b32 v13, v47, v46, s2
	v_perm_b32 v12, v45, v44, s2
	;; [unrolled: 1-line block ×4, first 2 shown]
	s_movk_i32 s2, 0xffd2
	v_mov_b32_e32 v1, 0
	v_mad_i32_i24 v5, v0, s2, v8
	ds_write_b128 v8, v[10:13] offset:32
	s_waitcnt lgkmcnt(0)
	s_barrier
	ds_read_u16 v6, v5
	ds_read_u16 v7, v5 offset:512
	ds_read_u16 v8, v5 offset:1024
	;; [unrolled: 1-line block ×23, first 2 shown]
	v_mov_b32_e32 v5, v1
	v_lshl_add_u64 v[4:5], v[2:3], 0, v[4:5]
	s_movk_i32 s2, 0x1000
	s_waitcnt lgkmcnt(0)
	flat_store_short v[4:5], v6
	flat_store_short v[4:5], v7 offset:512
	flat_store_short v[4:5], v8 offset:1024
	;; [unrolled: 1-line block ×7, first 2 shown]
	v_add_co_u32_e32 v6, vcc, s2, v4
	s_or_b64 s[0:1], s[0:1], exec
	s_nop 0
	v_addc_co_u32_e32 v7, vcc, 0, v5, vcc
	v_add_co_u32_e32 v4, vcc, 0x2000, v4
	flat_store_short v[6:7], v15
	flat_store_short v[6:7], v16 offset:512
	flat_store_short v[6:7], v17 offset:1024
	;; [unrolled: 1-line block ×7, first 2 shown]
	v_addc_co_u32_e32 v5, vcc, 0, v5, vcc
	flat_store_short v[4:5], v23
	flat_store_short v[4:5], v24 offset:512
	flat_store_short v[4:5], v25 offset:1024
	;; [unrolled: 1-line block ×6, first 2 shown]
.LBB1636_305:
	s_and_saveexec_b64 s[2:3], s[0:1]
	s_cbranch_execz .LBB1636_307
; %bb.306:
	v_lshl_add_u64 v[0:1], v[0:1], 1, v[2:3]
	v_add_co_u32_e32 v0, vcc, 0x2000, v0
	s_nop 1
	v_addc_co_u32_e32 v1, vcc, 0, v1, vcc
	flat_store_short v[0:1], v9 offset:3584
	s_endpgm
.LBB1636_307:
	s_endpgm
	.section	.rodata,"a",@progbits
	.p2align	6, 0x0
	.amdhsa_kernel _ZN7rocprim17ROCPRIM_400000_NS6detail17trampoline_kernelINS0_14default_configENS1_27scan_by_key_config_selectorIisEEZZNS1_16scan_by_key_implILNS1_25lookback_scan_determinismE0ELb1ES3_N6thrust23THRUST_200600_302600_NS6detail15normal_iteratorINS9_10device_ptrIiEEEENSB_INSC_IsEEEESG_sNS9_4plusIvEENS9_8equal_toIvEEsEE10hipError_tPvRmT2_T3_T4_T5_mT6_T7_P12ihipStream_tbENKUlT_T0_E_clISt17integral_constantIbLb0EES10_IbLb1EEEEDaSW_SX_EUlSW_E_NS1_11comp_targetILNS1_3genE5ELNS1_11target_archE942ELNS1_3gpuE9ELNS1_3repE0EEENS1_30default_config_static_selectorELNS0_4arch9wavefront6targetE1EEEvT1_
		.amdhsa_group_segment_fixed_size 26624
		.amdhsa_private_segment_fixed_size 0
		.amdhsa_kernarg_size 112
		.amdhsa_user_sgpr_count 2
		.amdhsa_user_sgpr_dispatch_ptr 0
		.amdhsa_user_sgpr_queue_ptr 0
		.amdhsa_user_sgpr_kernarg_segment_ptr 1
		.amdhsa_user_sgpr_dispatch_id 0
		.amdhsa_user_sgpr_kernarg_preload_length 0
		.amdhsa_user_sgpr_kernarg_preload_offset 0
		.amdhsa_user_sgpr_private_segment_size 0
		.amdhsa_uses_dynamic_stack 0
		.amdhsa_enable_private_segment 0
		.amdhsa_system_sgpr_workgroup_id_x 1
		.amdhsa_system_sgpr_workgroup_id_y 0
		.amdhsa_system_sgpr_workgroup_id_z 0
		.amdhsa_system_sgpr_workgroup_info 0
		.amdhsa_system_vgpr_workitem_id 0
		.amdhsa_next_free_vgpr 64
		.amdhsa_next_free_sgpr 75
		.amdhsa_accum_offset 64
		.amdhsa_reserve_vcc 1
		.amdhsa_float_round_mode_32 0
		.amdhsa_float_round_mode_16_64 0
		.amdhsa_float_denorm_mode_32 3
		.amdhsa_float_denorm_mode_16_64 3
		.amdhsa_dx10_clamp 1
		.amdhsa_ieee_mode 1
		.amdhsa_fp16_overflow 0
		.amdhsa_tg_split 0
		.amdhsa_exception_fp_ieee_invalid_op 0
		.amdhsa_exception_fp_denorm_src 0
		.amdhsa_exception_fp_ieee_div_zero 0
		.amdhsa_exception_fp_ieee_overflow 0
		.amdhsa_exception_fp_ieee_underflow 0
		.amdhsa_exception_fp_ieee_inexact 0
		.amdhsa_exception_int_div_zero 0
	.end_amdhsa_kernel
	.section	.text._ZN7rocprim17ROCPRIM_400000_NS6detail17trampoline_kernelINS0_14default_configENS1_27scan_by_key_config_selectorIisEEZZNS1_16scan_by_key_implILNS1_25lookback_scan_determinismE0ELb1ES3_N6thrust23THRUST_200600_302600_NS6detail15normal_iteratorINS9_10device_ptrIiEEEENSB_INSC_IsEEEESG_sNS9_4plusIvEENS9_8equal_toIvEEsEE10hipError_tPvRmT2_T3_T4_T5_mT6_T7_P12ihipStream_tbENKUlT_T0_E_clISt17integral_constantIbLb0EES10_IbLb1EEEEDaSW_SX_EUlSW_E_NS1_11comp_targetILNS1_3genE5ELNS1_11target_archE942ELNS1_3gpuE9ELNS1_3repE0EEENS1_30default_config_static_selectorELNS0_4arch9wavefront6targetE1EEEvT1_,"axG",@progbits,_ZN7rocprim17ROCPRIM_400000_NS6detail17trampoline_kernelINS0_14default_configENS1_27scan_by_key_config_selectorIisEEZZNS1_16scan_by_key_implILNS1_25lookback_scan_determinismE0ELb1ES3_N6thrust23THRUST_200600_302600_NS6detail15normal_iteratorINS9_10device_ptrIiEEEENSB_INSC_IsEEEESG_sNS9_4plusIvEENS9_8equal_toIvEEsEE10hipError_tPvRmT2_T3_T4_T5_mT6_T7_P12ihipStream_tbENKUlT_T0_E_clISt17integral_constantIbLb0EES10_IbLb1EEEEDaSW_SX_EUlSW_E_NS1_11comp_targetILNS1_3genE5ELNS1_11target_archE942ELNS1_3gpuE9ELNS1_3repE0EEENS1_30default_config_static_selectorELNS0_4arch9wavefront6targetE1EEEvT1_,comdat
.Lfunc_end1636:
	.size	_ZN7rocprim17ROCPRIM_400000_NS6detail17trampoline_kernelINS0_14default_configENS1_27scan_by_key_config_selectorIisEEZZNS1_16scan_by_key_implILNS1_25lookback_scan_determinismE0ELb1ES3_N6thrust23THRUST_200600_302600_NS6detail15normal_iteratorINS9_10device_ptrIiEEEENSB_INSC_IsEEEESG_sNS9_4plusIvEENS9_8equal_toIvEEsEE10hipError_tPvRmT2_T3_T4_T5_mT6_T7_P12ihipStream_tbENKUlT_T0_E_clISt17integral_constantIbLb0EES10_IbLb1EEEEDaSW_SX_EUlSW_E_NS1_11comp_targetILNS1_3genE5ELNS1_11target_archE942ELNS1_3gpuE9ELNS1_3repE0EEENS1_30default_config_static_selectorELNS0_4arch9wavefront6targetE1EEEvT1_, .Lfunc_end1636-_ZN7rocprim17ROCPRIM_400000_NS6detail17trampoline_kernelINS0_14default_configENS1_27scan_by_key_config_selectorIisEEZZNS1_16scan_by_key_implILNS1_25lookback_scan_determinismE0ELb1ES3_N6thrust23THRUST_200600_302600_NS6detail15normal_iteratorINS9_10device_ptrIiEEEENSB_INSC_IsEEEESG_sNS9_4plusIvEENS9_8equal_toIvEEsEE10hipError_tPvRmT2_T3_T4_T5_mT6_T7_P12ihipStream_tbENKUlT_T0_E_clISt17integral_constantIbLb0EES10_IbLb1EEEEDaSW_SX_EUlSW_E_NS1_11comp_targetILNS1_3genE5ELNS1_11target_archE942ELNS1_3gpuE9ELNS1_3repE0EEENS1_30default_config_static_selectorELNS0_4arch9wavefront6targetE1EEEvT1_
                                        ; -- End function
	.section	.AMDGPU.csdata,"",@progbits
; Kernel info:
; codeLenInByte = 16524
; NumSgprs: 81
; NumVgprs: 64
; NumAgprs: 0
; TotalNumVgprs: 64
; ScratchSize: 0
; MemoryBound: 0
; FloatMode: 240
; IeeeMode: 1
; LDSByteSize: 26624 bytes/workgroup (compile time only)
; SGPRBlocks: 10
; VGPRBlocks: 7
; NumSGPRsForWavesPerEU: 81
; NumVGPRsForWavesPerEU: 64
; AccumOffset: 64
; Occupancy: 2
; WaveLimiterHint : 1
; COMPUTE_PGM_RSRC2:SCRATCH_EN: 0
; COMPUTE_PGM_RSRC2:USER_SGPR: 2
; COMPUTE_PGM_RSRC2:TRAP_HANDLER: 0
; COMPUTE_PGM_RSRC2:TGID_X_EN: 1
; COMPUTE_PGM_RSRC2:TGID_Y_EN: 0
; COMPUTE_PGM_RSRC2:TGID_Z_EN: 0
; COMPUTE_PGM_RSRC2:TIDIG_COMP_CNT: 0
; COMPUTE_PGM_RSRC3_GFX90A:ACCUM_OFFSET: 15
; COMPUTE_PGM_RSRC3_GFX90A:TG_SPLIT: 0
	.section	.text._ZN7rocprim17ROCPRIM_400000_NS6detail17trampoline_kernelINS0_14default_configENS1_27scan_by_key_config_selectorIisEEZZNS1_16scan_by_key_implILNS1_25lookback_scan_determinismE0ELb1ES3_N6thrust23THRUST_200600_302600_NS6detail15normal_iteratorINS9_10device_ptrIiEEEENSB_INSC_IsEEEESG_sNS9_4plusIvEENS9_8equal_toIvEEsEE10hipError_tPvRmT2_T3_T4_T5_mT6_T7_P12ihipStream_tbENKUlT_T0_E_clISt17integral_constantIbLb0EES10_IbLb1EEEEDaSW_SX_EUlSW_E_NS1_11comp_targetILNS1_3genE4ELNS1_11target_archE910ELNS1_3gpuE8ELNS1_3repE0EEENS1_30default_config_static_selectorELNS0_4arch9wavefront6targetE1EEEvT1_,"axG",@progbits,_ZN7rocprim17ROCPRIM_400000_NS6detail17trampoline_kernelINS0_14default_configENS1_27scan_by_key_config_selectorIisEEZZNS1_16scan_by_key_implILNS1_25lookback_scan_determinismE0ELb1ES3_N6thrust23THRUST_200600_302600_NS6detail15normal_iteratorINS9_10device_ptrIiEEEENSB_INSC_IsEEEESG_sNS9_4plusIvEENS9_8equal_toIvEEsEE10hipError_tPvRmT2_T3_T4_T5_mT6_T7_P12ihipStream_tbENKUlT_T0_E_clISt17integral_constantIbLb0EES10_IbLb1EEEEDaSW_SX_EUlSW_E_NS1_11comp_targetILNS1_3genE4ELNS1_11target_archE910ELNS1_3gpuE8ELNS1_3repE0EEENS1_30default_config_static_selectorELNS0_4arch9wavefront6targetE1EEEvT1_,comdat
	.protected	_ZN7rocprim17ROCPRIM_400000_NS6detail17trampoline_kernelINS0_14default_configENS1_27scan_by_key_config_selectorIisEEZZNS1_16scan_by_key_implILNS1_25lookback_scan_determinismE0ELb1ES3_N6thrust23THRUST_200600_302600_NS6detail15normal_iteratorINS9_10device_ptrIiEEEENSB_INSC_IsEEEESG_sNS9_4plusIvEENS9_8equal_toIvEEsEE10hipError_tPvRmT2_T3_T4_T5_mT6_T7_P12ihipStream_tbENKUlT_T0_E_clISt17integral_constantIbLb0EES10_IbLb1EEEEDaSW_SX_EUlSW_E_NS1_11comp_targetILNS1_3genE4ELNS1_11target_archE910ELNS1_3gpuE8ELNS1_3repE0EEENS1_30default_config_static_selectorELNS0_4arch9wavefront6targetE1EEEvT1_ ; -- Begin function _ZN7rocprim17ROCPRIM_400000_NS6detail17trampoline_kernelINS0_14default_configENS1_27scan_by_key_config_selectorIisEEZZNS1_16scan_by_key_implILNS1_25lookback_scan_determinismE0ELb1ES3_N6thrust23THRUST_200600_302600_NS6detail15normal_iteratorINS9_10device_ptrIiEEEENSB_INSC_IsEEEESG_sNS9_4plusIvEENS9_8equal_toIvEEsEE10hipError_tPvRmT2_T3_T4_T5_mT6_T7_P12ihipStream_tbENKUlT_T0_E_clISt17integral_constantIbLb0EES10_IbLb1EEEEDaSW_SX_EUlSW_E_NS1_11comp_targetILNS1_3genE4ELNS1_11target_archE910ELNS1_3gpuE8ELNS1_3repE0EEENS1_30default_config_static_selectorELNS0_4arch9wavefront6targetE1EEEvT1_
	.globl	_ZN7rocprim17ROCPRIM_400000_NS6detail17trampoline_kernelINS0_14default_configENS1_27scan_by_key_config_selectorIisEEZZNS1_16scan_by_key_implILNS1_25lookback_scan_determinismE0ELb1ES3_N6thrust23THRUST_200600_302600_NS6detail15normal_iteratorINS9_10device_ptrIiEEEENSB_INSC_IsEEEESG_sNS9_4plusIvEENS9_8equal_toIvEEsEE10hipError_tPvRmT2_T3_T4_T5_mT6_T7_P12ihipStream_tbENKUlT_T0_E_clISt17integral_constantIbLb0EES10_IbLb1EEEEDaSW_SX_EUlSW_E_NS1_11comp_targetILNS1_3genE4ELNS1_11target_archE910ELNS1_3gpuE8ELNS1_3repE0EEENS1_30default_config_static_selectorELNS0_4arch9wavefront6targetE1EEEvT1_
	.p2align	8
	.type	_ZN7rocprim17ROCPRIM_400000_NS6detail17trampoline_kernelINS0_14default_configENS1_27scan_by_key_config_selectorIisEEZZNS1_16scan_by_key_implILNS1_25lookback_scan_determinismE0ELb1ES3_N6thrust23THRUST_200600_302600_NS6detail15normal_iteratorINS9_10device_ptrIiEEEENSB_INSC_IsEEEESG_sNS9_4plusIvEENS9_8equal_toIvEEsEE10hipError_tPvRmT2_T3_T4_T5_mT6_T7_P12ihipStream_tbENKUlT_T0_E_clISt17integral_constantIbLb0EES10_IbLb1EEEEDaSW_SX_EUlSW_E_NS1_11comp_targetILNS1_3genE4ELNS1_11target_archE910ELNS1_3gpuE8ELNS1_3repE0EEENS1_30default_config_static_selectorELNS0_4arch9wavefront6targetE1EEEvT1_,@function
_ZN7rocprim17ROCPRIM_400000_NS6detail17trampoline_kernelINS0_14default_configENS1_27scan_by_key_config_selectorIisEEZZNS1_16scan_by_key_implILNS1_25lookback_scan_determinismE0ELb1ES3_N6thrust23THRUST_200600_302600_NS6detail15normal_iteratorINS9_10device_ptrIiEEEENSB_INSC_IsEEEESG_sNS9_4plusIvEENS9_8equal_toIvEEsEE10hipError_tPvRmT2_T3_T4_T5_mT6_T7_P12ihipStream_tbENKUlT_T0_E_clISt17integral_constantIbLb0EES10_IbLb1EEEEDaSW_SX_EUlSW_E_NS1_11comp_targetILNS1_3genE4ELNS1_11target_archE910ELNS1_3gpuE8ELNS1_3repE0EEENS1_30default_config_static_selectorELNS0_4arch9wavefront6targetE1EEEvT1_: ; @_ZN7rocprim17ROCPRIM_400000_NS6detail17trampoline_kernelINS0_14default_configENS1_27scan_by_key_config_selectorIisEEZZNS1_16scan_by_key_implILNS1_25lookback_scan_determinismE0ELb1ES3_N6thrust23THRUST_200600_302600_NS6detail15normal_iteratorINS9_10device_ptrIiEEEENSB_INSC_IsEEEESG_sNS9_4plusIvEENS9_8equal_toIvEEsEE10hipError_tPvRmT2_T3_T4_T5_mT6_T7_P12ihipStream_tbENKUlT_T0_E_clISt17integral_constantIbLb0EES10_IbLb1EEEEDaSW_SX_EUlSW_E_NS1_11comp_targetILNS1_3genE4ELNS1_11target_archE910ELNS1_3gpuE8ELNS1_3repE0EEENS1_30default_config_static_selectorELNS0_4arch9wavefront6targetE1EEEvT1_
; %bb.0:
	.section	.rodata,"a",@progbits
	.p2align	6, 0x0
	.amdhsa_kernel _ZN7rocprim17ROCPRIM_400000_NS6detail17trampoline_kernelINS0_14default_configENS1_27scan_by_key_config_selectorIisEEZZNS1_16scan_by_key_implILNS1_25lookback_scan_determinismE0ELb1ES3_N6thrust23THRUST_200600_302600_NS6detail15normal_iteratorINS9_10device_ptrIiEEEENSB_INSC_IsEEEESG_sNS9_4plusIvEENS9_8equal_toIvEEsEE10hipError_tPvRmT2_T3_T4_T5_mT6_T7_P12ihipStream_tbENKUlT_T0_E_clISt17integral_constantIbLb0EES10_IbLb1EEEEDaSW_SX_EUlSW_E_NS1_11comp_targetILNS1_3genE4ELNS1_11target_archE910ELNS1_3gpuE8ELNS1_3repE0EEENS1_30default_config_static_selectorELNS0_4arch9wavefront6targetE1EEEvT1_
		.amdhsa_group_segment_fixed_size 0
		.amdhsa_private_segment_fixed_size 0
		.amdhsa_kernarg_size 112
		.amdhsa_user_sgpr_count 2
		.amdhsa_user_sgpr_dispatch_ptr 0
		.amdhsa_user_sgpr_queue_ptr 0
		.amdhsa_user_sgpr_kernarg_segment_ptr 1
		.amdhsa_user_sgpr_dispatch_id 0
		.amdhsa_user_sgpr_kernarg_preload_length 0
		.amdhsa_user_sgpr_kernarg_preload_offset 0
		.amdhsa_user_sgpr_private_segment_size 0
		.amdhsa_uses_dynamic_stack 0
		.amdhsa_enable_private_segment 0
		.amdhsa_system_sgpr_workgroup_id_x 1
		.amdhsa_system_sgpr_workgroup_id_y 0
		.amdhsa_system_sgpr_workgroup_id_z 0
		.amdhsa_system_sgpr_workgroup_info 0
		.amdhsa_system_vgpr_workitem_id 0
		.amdhsa_next_free_vgpr 1
		.amdhsa_next_free_sgpr 0
		.amdhsa_accum_offset 4
		.amdhsa_reserve_vcc 0
		.amdhsa_float_round_mode_32 0
		.amdhsa_float_round_mode_16_64 0
		.amdhsa_float_denorm_mode_32 3
		.amdhsa_float_denorm_mode_16_64 3
		.amdhsa_dx10_clamp 1
		.amdhsa_ieee_mode 1
		.amdhsa_fp16_overflow 0
		.amdhsa_tg_split 0
		.amdhsa_exception_fp_ieee_invalid_op 0
		.amdhsa_exception_fp_denorm_src 0
		.amdhsa_exception_fp_ieee_div_zero 0
		.amdhsa_exception_fp_ieee_overflow 0
		.amdhsa_exception_fp_ieee_underflow 0
		.amdhsa_exception_fp_ieee_inexact 0
		.amdhsa_exception_int_div_zero 0
	.end_amdhsa_kernel
	.section	.text._ZN7rocprim17ROCPRIM_400000_NS6detail17trampoline_kernelINS0_14default_configENS1_27scan_by_key_config_selectorIisEEZZNS1_16scan_by_key_implILNS1_25lookback_scan_determinismE0ELb1ES3_N6thrust23THRUST_200600_302600_NS6detail15normal_iteratorINS9_10device_ptrIiEEEENSB_INSC_IsEEEESG_sNS9_4plusIvEENS9_8equal_toIvEEsEE10hipError_tPvRmT2_T3_T4_T5_mT6_T7_P12ihipStream_tbENKUlT_T0_E_clISt17integral_constantIbLb0EES10_IbLb1EEEEDaSW_SX_EUlSW_E_NS1_11comp_targetILNS1_3genE4ELNS1_11target_archE910ELNS1_3gpuE8ELNS1_3repE0EEENS1_30default_config_static_selectorELNS0_4arch9wavefront6targetE1EEEvT1_,"axG",@progbits,_ZN7rocprim17ROCPRIM_400000_NS6detail17trampoline_kernelINS0_14default_configENS1_27scan_by_key_config_selectorIisEEZZNS1_16scan_by_key_implILNS1_25lookback_scan_determinismE0ELb1ES3_N6thrust23THRUST_200600_302600_NS6detail15normal_iteratorINS9_10device_ptrIiEEEENSB_INSC_IsEEEESG_sNS9_4plusIvEENS9_8equal_toIvEEsEE10hipError_tPvRmT2_T3_T4_T5_mT6_T7_P12ihipStream_tbENKUlT_T0_E_clISt17integral_constantIbLb0EES10_IbLb1EEEEDaSW_SX_EUlSW_E_NS1_11comp_targetILNS1_3genE4ELNS1_11target_archE910ELNS1_3gpuE8ELNS1_3repE0EEENS1_30default_config_static_selectorELNS0_4arch9wavefront6targetE1EEEvT1_,comdat
.Lfunc_end1637:
	.size	_ZN7rocprim17ROCPRIM_400000_NS6detail17trampoline_kernelINS0_14default_configENS1_27scan_by_key_config_selectorIisEEZZNS1_16scan_by_key_implILNS1_25lookback_scan_determinismE0ELb1ES3_N6thrust23THRUST_200600_302600_NS6detail15normal_iteratorINS9_10device_ptrIiEEEENSB_INSC_IsEEEESG_sNS9_4plusIvEENS9_8equal_toIvEEsEE10hipError_tPvRmT2_T3_T4_T5_mT6_T7_P12ihipStream_tbENKUlT_T0_E_clISt17integral_constantIbLb0EES10_IbLb1EEEEDaSW_SX_EUlSW_E_NS1_11comp_targetILNS1_3genE4ELNS1_11target_archE910ELNS1_3gpuE8ELNS1_3repE0EEENS1_30default_config_static_selectorELNS0_4arch9wavefront6targetE1EEEvT1_, .Lfunc_end1637-_ZN7rocprim17ROCPRIM_400000_NS6detail17trampoline_kernelINS0_14default_configENS1_27scan_by_key_config_selectorIisEEZZNS1_16scan_by_key_implILNS1_25lookback_scan_determinismE0ELb1ES3_N6thrust23THRUST_200600_302600_NS6detail15normal_iteratorINS9_10device_ptrIiEEEENSB_INSC_IsEEEESG_sNS9_4plusIvEENS9_8equal_toIvEEsEE10hipError_tPvRmT2_T3_T4_T5_mT6_T7_P12ihipStream_tbENKUlT_T0_E_clISt17integral_constantIbLb0EES10_IbLb1EEEEDaSW_SX_EUlSW_E_NS1_11comp_targetILNS1_3genE4ELNS1_11target_archE910ELNS1_3gpuE8ELNS1_3repE0EEENS1_30default_config_static_selectorELNS0_4arch9wavefront6targetE1EEEvT1_
                                        ; -- End function
	.section	.AMDGPU.csdata,"",@progbits
; Kernel info:
; codeLenInByte = 0
; NumSgprs: 6
; NumVgprs: 0
; NumAgprs: 0
; TotalNumVgprs: 0
; ScratchSize: 0
; MemoryBound: 0
; FloatMode: 240
; IeeeMode: 1
; LDSByteSize: 0 bytes/workgroup (compile time only)
; SGPRBlocks: 0
; VGPRBlocks: 0
; NumSGPRsForWavesPerEU: 6
; NumVGPRsForWavesPerEU: 1
; AccumOffset: 4
; Occupancy: 8
; WaveLimiterHint : 0
; COMPUTE_PGM_RSRC2:SCRATCH_EN: 0
; COMPUTE_PGM_RSRC2:USER_SGPR: 2
; COMPUTE_PGM_RSRC2:TRAP_HANDLER: 0
; COMPUTE_PGM_RSRC2:TGID_X_EN: 1
; COMPUTE_PGM_RSRC2:TGID_Y_EN: 0
; COMPUTE_PGM_RSRC2:TGID_Z_EN: 0
; COMPUTE_PGM_RSRC2:TIDIG_COMP_CNT: 0
; COMPUTE_PGM_RSRC3_GFX90A:ACCUM_OFFSET: 0
; COMPUTE_PGM_RSRC3_GFX90A:TG_SPLIT: 0
	.section	.text._ZN7rocprim17ROCPRIM_400000_NS6detail17trampoline_kernelINS0_14default_configENS1_27scan_by_key_config_selectorIisEEZZNS1_16scan_by_key_implILNS1_25lookback_scan_determinismE0ELb1ES3_N6thrust23THRUST_200600_302600_NS6detail15normal_iteratorINS9_10device_ptrIiEEEENSB_INSC_IsEEEESG_sNS9_4plusIvEENS9_8equal_toIvEEsEE10hipError_tPvRmT2_T3_T4_T5_mT6_T7_P12ihipStream_tbENKUlT_T0_E_clISt17integral_constantIbLb0EES10_IbLb1EEEEDaSW_SX_EUlSW_E_NS1_11comp_targetILNS1_3genE3ELNS1_11target_archE908ELNS1_3gpuE7ELNS1_3repE0EEENS1_30default_config_static_selectorELNS0_4arch9wavefront6targetE1EEEvT1_,"axG",@progbits,_ZN7rocprim17ROCPRIM_400000_NS6detail17trampoline_kernelINS0_14default_configENS1_27scan_by_key_config_selectorIisEEZZNS1_16scan_by_key_implILNS1_25lookback_scan_determinismE0ELb1ES3_N6thrust23THRUST_200600_302600_NS6detail15normal_iteratorINS9_10device_ptrIiEEEENSB_INSC_IsEEEESG_sNS9_4plusIvEENS9_8equal_toIvEEsEE10hipError_tPvRmT2_T3_T4_T5_mT6_T7_P12ihipStream_tbENKUlT_T0_E_clISt17integral_constantIbLb0EES10_IbLb1EEEEDaSW_SX_EUlSW_E_NS1_11comp_targetILNS1_3genE3ELNS1_11target_archE908ELNS1_3gpuE7ELNS1_3repE0EEENS1_30default_config_static_selectorELNS0_4arch9wavefront6targetE1EEEvT1_,comdat
	.protected	_ZN7rocprim17ROCPRIM_400000_NS6detail17trampoline_kernelINS0_14default_configENS1_27scan_by_key_config_selectorIisEEZZNS1_16scan_by_key_implILNS1_25lookback_scan_determinismE0ELb1ES3_N6thrust23THRUST_200600_302600_NS6detail15normal_iteratorINS9_10device_ptrIiEEEENSB_INSC_IsEEEESG_sNS9_4plusIvEENS9_8equal_toIvEEsEE10hipError_tPvRmT2_T3_T4_T5_mT6_T7_P12ihipStream_tbENKUlT_T0_E_clISt17integral_constantIbLb0EES10_IbLb1EEEEDaSW_SX_EUlSW_E_NS1_11comp_targetILNS1_3genE3ELNS1_11target_archE908ELNS1_3gpuE7ELNS1_3repE0EEENS1_30default_config_static_selectorELNS0_4arch9wavefront6targetE1EEEvT1_ ; -- Begin function _ZN7rocprim17ROCPRIM_400000_NS6detail17trampoline_kernelINS0_14default_configENS1_27scan_by_key_config_selectorIisEEZZNS1_16scan_by_key_implILNS1_25lookback_scan_determinismE0ELb1ES3_N6thrust23THRUST_200600_302600_NS6detail15normal_iteratorINS9_10device_ptrIiEEEENSB_INSC_IsEEEESG_sNS9_4plusIvEENS9_8equal_toIvEEsEE10hipError_tPvRmT2_T3_T4_T5_mT6_T7_P12ihipStream_tbENKUlT_T0_E_clISt17integral_constantIbLb0EES10_IbLb1EEEEDaSW_SX_EUlSW_E_NS1_11comp_targetILNS1_3genE3ELNS1_11target_archE908ELNS1_3gpuE7ELNS1_3repE0EEENS1_30default_config_static_selectorELNS0_4arch9wavefront6targetE1EEEvT1_
	.globl	_ZN7rocprim17ROCPRIM_400000_NS6detail17trampoline_kernelINS0_14default_configENS1_27scan_by_key_config_selectorIisEEZZNS1_16scan_by_key_implILNS1_25lookback_scan_determinismE0ELb1ES3_N6thrust23THRUST_200600_302600_NS6detail15normal_iteratorINS9_10device_ptrIiEEEENSB_INSC_IsEEEESG_sNS9_4plusIvEENS9_8equal_toIvEEsEE10hipError_tPvRmT2_T3_T4_T5_mT6_T7_P12ihipStream_tbENKUlT_T0_E_clISt17integral_constantIbLb0EES10_IbLb1EEEEDaSW_SX_EUlSW_E_NS1_11comp_targetILNS1_3genE3ELNS1_11target_archE908ELNS1_3gpuE7ELNS1_3repE0EEENS1_30default_config_static_selectorELNS0_4arch9wavefront6targetE1EEEvT1_
	.p2align	8
	.type	_ZN7rocprim17ROCPRIM_400000_NS6detail17trampoline_kernelINS0_14default_configENS1_27scan_by_key_config_selectorIisEEZZNS1_16scan_by_key_implILNS1_25lookback_scan_determinismE0ELb1ES3_N6thrust23THRUST_200600_302600_NS6detail15normal_iteratorINS9_10device_ptrIiEEEENSB_INSC_IsEEEESG_sNS9_4plusIvEENS9_8equal_toIvEEsEE10hipError_tPvRmT2_T3_T4_T5_mT6_T7_P12ihipStream_tbENKUlT_T0_E_clISt17integral_constantIbLb0EES10_IbLb1EEEEDaSW_SX_EUlSW_E_NS1_11comp_targetILNS1_3genE3ELNS1_11target_archE908ELNS1_3gpuE7ELNS1_3repE0EEENS1_30default_config_static_selectorELNS0_4arch9wavefront6targetE1EEEvT1_,@function
_ZN7rocprim17ROCPRIM_400000_NS6detail17trampoline_kernelINS0_14default_configENS1_27scan_by_key_config_selectorIisEEZZNS1_16scan_by_key_implILNS1_25lookback_scan_determinismE0ELb1ES3_N6thrust23THRUST_200600_302600_NS6detail15normal_iteratorINS9_10device_ptrIiEEEENSB_INSC_IsEEEESG_sNS9_4plusIvEENS9_8equal_toIvEEsEE10hipError_tPvRmT2_T3_T4_T5_mT6_T7_P12ihipStream_tbENKUlT_T0_E_clISt17integral_constantIbLb0EES10_IbLb1EEEEDaSW_SX_EUlSW_E_NS1_11comp_targetILNS1_3genE3ELNS1_11target_archE908ELNS1_3gpuE7ELNS1_3repE0EEENS1_30default_config_static_selectorELNS0_4arch9wavefront6targetE1EEEvT1_: ; @_ZN7rocprim17ROCPRIM_400000_NS6detail17trampoline_kernelINS0_14default_configENS1_27scan_by_key_config_selectorIisEEZZNS1_16scan_by_key_implILNS1_25lookback_scan_determinismE0ELb1ES3_N6thrust23THRUST_200600_302600_NS6detail15normal_iteratorINS9_10device_ptrIiEEEENSB_INSC_IsEEEESG_sNS9_4plusIvEENS9_8equal_toIvEEsEE10hipError_tPvRmT2_T3_T4_T5_mT6_T7_P12ihipStream_tbENKUlT_T0_E_clISt17integral_constantIbLb0EES10_IbLb1EEEEDaSW_SX_EUlSW_E_NS1_11comp_targetILNS1_3genE3ELNS1_11target_archE908ELNS1_3gpuE7ELNS1_3repE0EEENS1_30default_config_static_selectorELNS0_4arch9wavefront6targetE1EEEvT1_
; %bb.0:
	.section	.rodata,"a",@progbits
	.p2align	6, 0x0
	.amdhsa_kernel _ZN7rocprim17ROCPRIM_400000_NS6detail17trampoline_kernelINS0_14default_configENS1_27scan_by_key_config_selectorIisEEZZNS1_16scan_by_key_implILNS1_25lookback_scan_determinismE0ELb1ES3_N6thrust23THRUST_200600_302600_NS6detail15normal_iteratorINS9_10device_ptrIiEEEENSB_INSC_IsEEEESG_sNS9_4plusIvEENS9_8equal_toIvEEsEE10hipError_tPvRmT2_T3_T4_T5_mT6_T7_P12ihipStream_tbENKUlT_T0_E_clISt17integral_constantIbLb0EES10_IbLb1EEEEDaSW_SX_EUlSW_E_NS1_11comp_targetILNS1_3genE3ELNS1_11target_archE908ELNS1_3gpuE7ELNS1_3repE0EEENS1_30default_config_static_selectorELNS0_4arch9wavefront6targetE1EEEvT1_
		.amdhsa_group_segment_fixed_size 0
		.amdhsa_private_segment_fixed_size 0
		.amdhsa_kernarg_size 112
		.amdhsa_user_sgpr_count 2
		.amdhsa_user_sgpr_dispatch_ptr 0
		.amdhsa_user_sgpr_queue_ptr 0
		.amdhsa_user_sgpr_kernarg_segment_ptr 1
		.amdhsa_user_sgpr_dispatch_id 0
		.amdhsa_user_sgpr_kernarg_preload_length 0
		.amdhsa_user_sgpr_kernarg_preload_offset 0
		.amdhsa_user_sgpr_private_segment_size 0
		.amdhsa_uses_dynamic_stack 0
		.amdhsa_enable_private_segment 0
		.amdhsa_system_sgpr_workgroup_id_x 1
		.amdhsa_system_sgpr_workgroup_id_y 0
		.amdhsa_system_sgpr_workgroup_id_z 0
		.amdhsa_system_sgpr_workgroup_info 0
		.amdhsa_system_vgpr_workitem_id 0
		.amdhsa_next_free_vgpr 1
		.amdhsa_next_free_sgpr 0
		.amdhsa_accum_offset 4
		.amdhsa_reserve_vcc 0
		.amdhsa_float_round_mode_32 0
		.amdhsa_float_round_mode_16_64 0
		.amdhsa_float_denorm_mode_32 3
		.amdhsa_float_denorm_mode_16_64 3
		.amdhsa_dx10_clamp 1
		.amdhsa_ieee_mode 1
		.amdhsa_fp16_overflow 0
		.amdhsa_tg_split 0
		.amdhsa_exception_fp_ieee_invalid_op 0
		.amdhsa_exception_fp_denorm_src 0
		.amdhsa_exception_fp_ieee_div_zero 0
		.amdhsa_exception_fp_ieee_overflow 0
		.amdhsa_exception_fp_ieee_underflow 0
		.amdhsa_exception_fp_ieee_inexact 0
		.amdhsa_exception_int_div_zero 0
	.end_amdhsa_kernel
	.section	.text._ZN7rocprim17ROCPRIM_400000_NS6detail17trampoline_kernelINS0_14default_configENS1_27scan_by_key_config_selectorIisEEZZNS1_16scan_by_key_implILNS1_25lookback_scan_determinismE0ELb1ES3_N6thrust23THRUST_200600_302600_NS6detail15normal_iteratorINS9_10device_ptrIiEEEENSB_INSC_IsEEEESG_sNS9_4plusIvEENS9_8equal_toIvEEsEE10hipError_tPvRmT2_T3_T4_T5_mT6_T7_P12ihipStream_tbENKUlT_T0_E_clISt17integral_constantIbLb0EES10_IbLb1EEEEDaSW_SX_EUlSW_E_NS1_11comp_targetILNS1_3genE3ELNS1_11target_archE908ELNS1_3gpuE7ELNS1_3repE0EEENS1_30default_config_static_selectorELNS0_4arch9wavefront6targetE1EEEvT1_,"axG",@progbits,_ZN7rocprim17ROCPRIM_400000_NS6detail17trampoline_kernelINS0_14default_configENS1_27scan_by_key_config_selectorIisEEZZNS1_16scan_by_key_implILNS1_25lookback_scan_determinismE0ELb1ES3_N6thrust23THRUST_200600_302600_NS6detail15normal_iteratorINS9_10device_ptrIiEEEENSB_INSC_IsEEEESG_sNS9_4plusIvEENS9_8equal_toIvEEsEE10hipError_tPvRmT2_T3_T4_T5_mT6_T7_P12ihipStream_tbENKUlT_T0_E_clISt17integral_constantIbLb0EES10_IbLb1EEEEDaSW_SX_EUlSW_E_NS1_11comp_targetILNS1_3genE3ELNS1_11target_archE908ELNS1_3gpuE7ELNS1_3repE0EEENS1_30default_config_static_selectorELNS0_4arch9wavefront6targetE1EEEvT1_,comdat
.Lfunc_end1638:
	.size	_ZN7rocprim17ROCPRIM_400000_NS6detail17trampoline_kernelINS0_14default_configENS1_27scan_by_key_config_selectorIisEEZZNS1_16scan_by_key_implILNS1_25lookback_scan_determinismE0ELb1ES3_N6thrust23THRUST_200600_302600_NS6detail15normal_iteratorINS9_10device_ptrIiEEEENSB_INSC_IsEEEESG_sNS9_4plusIvEENS9_8equal_toIvEEsEE10hipError_tPvRmT2_T3_T4_T5_mT6_T7_P12ihipStream_tbENKUlT_T0_E_clISt17integral_constantIbLb0EES10_IbLb1EEEEDaSW_SX_EUlSW_E_NS1_11comp_targetILNS1_3genE3ELNS1_11target_archE908ELNS1_3gpuE7ELNS1_3repE0EEENS1_30default_config_static_selectorELNS0_4arch9wavefront6targetE1EEEvT1_, .Lfunc_end1638-_ZN7rocprim17ROCPRIM_400000_NS6detail17trampoline_kernelINS0_14default_configENS1_27scan_by_key_config_selectorIisEEZZNS1_16scan_by_key_implILNS1_25lookback_scan_determinismE0ELb1ES3_N6thrust23THRUST_200600_302600_NS6detail15normal_iteratorINS9_10device_ptrIiEEEENSB_INSC_IsEEEESG_sNS9_4plusIvEENS9_8equal_toIvEEsEE10hipError_tPvRmT2_T3_T4_T5_mT6_T7_P12ihipStream_tbENKUlT_T0_E_clISt17integral_constantIbLb0EES10_IbLb1EEEEDaSW_SX_EUlSW_E_NS1_11comp_targetILNS1_3genE3ELNS1_11target_archE908ELNS1_3gpuE7ELNS1_3repE0EEENS1_30default_config_static_selectorELNS0_4arch9wavefront6targetE1EEEvT1_
                                        ; -- End function
	.section	.AMDGPU.csdata,"",@progbits
; Kernel info:
; codeLenInByte = 0
; NumSgprs: 6
; NumVgprs: 0
; NumAgprs: 0
; TotalNumVgprs: 0
; ScratchSize: 0
; MemoryBound: 0
; FloatMode: 240
; IeeeMode: 1
; LDSByteSize: 0 bytes/workgroup (compile time only)
; SGPRBlocks: 0
; VGPRBlocks: 0
; NumSGPRsForWavesPerEU: 6
; NumVGPRsForWavesPerEU: 1
; AccumOffset: 4
; Occupancy: 8
; WaveLimiterHint : 0
; COMPUTE_PGM_RSRC2:SCRATCH_EN: 0
; COMPUTE_PGM_RSRC2:USER_SGPR: 2
; COMPUTE_PGM_RSRC2:TRAP_HANDLER: 0
; COMPUTE_PGM_RSRC2:TGID_X_EN: 1
; COMPUTE_PGM_RSRC2:TGID_Y_EN: 0
; COMPUTE_PGM_RSRC2:TGID_Z_EN: 0
; COMPUTE_PGM_RSRC2:TIDIG_COMP_CNT: 0
; COMPUTE_PGM_RSRC3_GFX90A:ACCUM_OFFSET: 0
; COMPUTE_PGM_RSRC3_GFX90A:TG_SPLIT: 0
	.section	.text._ZN7rocprim17ROCPRIM_400000_NS6detail17trampoline_kernelINS0_14default_configENS1_27scan_by_key_config_selectorIisEEZZNS1_16scan_by_key_implILNS1_25lookback_scan_determinismE0ELb1ES3_N6thrust23THRUST_200600_302600_NS6detail15normal_iteratorINS9_10device_ptrIiEEEENSB_INSC_IsEEEESG_sNS9_4plusIvEENS9_8equal_toIvEEsEE10hipError_tPvRmT2_T3_T4_T5_mT6_T7_P12ihipStream_tbENKUlT_T0_E_clISt17integral_constantIbLb0EES10_IbLb1EEEEDaSW_SX_EUlSW_E_NS1_11comp_targetILNS1_3genE2ELNS1_11target_archE906ELNS1_3gpuE6ELNS1_3repE0EEENS1_30default_config_static_selectorELNS0_4arch9wavefront6targetE1EEEvT1_,"axG",@progbits,_ZN7rocprim17ROCPRIM_400000_NS6detail17trampoline_kernelINS0_14default_configENS1_27scan_by_key_config_selectorIisEEZZNS1_16scan_by_key_implILNS1_25lookback_scan_determinismE0ELb1ES3_N6thrust23THRUST_200600_302600_NS6detail15normal_iteratorINS9_10device_ptrIiEEEENSB_INSC_IsEEEESG_sNS9_4plusIvEENS9_8equal_toIvEEsEE10hipError_tPvRmT2_T3_T4_T5_mT6_T7_P12ihipStream_tbENKUlT_T0_E_clISt17integral_constantIbLb0EES10_IbLb1EEEEDaSW_SX_EUlSW_E_NS1_11comp_targetILNS1_3genE2ELNS1_11target_archE906ELNS1_3gpuE6ELNS1_3repE0EEENS1_30default_config_static_selectorELNS0_4arch9wavefront6targetE1EEEvT1_,comdat
	.protected	_ZN7rocprim17ROCPRIM_400000_NS6detail17trampoline_kernelINS0_14default_configENS1_27scan_by_key_config_selectorIisEEZZNS1_16scan_by_key_implILNS1_25lookback_scan_determinismE0ELb1ES3_N6thrust23THRUST_200600_302600_NS6detail15normal_iteratorINS9_10device_ptrIiEEEENSB_INSC_IsEEEESG_sNS9_4plusIvEENS9_8equal_toIvEEsEE10hipError_tPvRmT2_T3_T4_T5_mT6_T7_P12ihipStream_tbENKUlT_T0_E_clISt17integral_constantIbLb0EES10_IbLb1EEEEDaSW_SX_EUlSW_E_NS1_11comp_targetILNS1_3genE2ELNS1_11target_archE906ELNS1_3gpuE6ELNS1_3repE0EEENS1_30default_config_static_selectorELNS0_4arch9wavefront6targetE1EEEvT1_ ; -- Begin function _ZN7rocprim17ROCPRIM_400000_NS6detail17trampoline_kernelINS0_14default_configENS1_27scan_by_key_config_selectorIisEEZZNS1_16scan_by_key_implILNS1_25lookback_scan_determinismE0ELb1ES3_N6thrust23THRUST_200600_302600_NS6detail15normal_iteratorINS9_10device_ptrIiEEEENSB_INSC_IsEEEESG_sNS9_4plusIvEENS9_8equal_toIvEEsEE10hipError_tPvRmT2_T3_T4_T5_mT6_T7_P12ihipStream_tbENKUlT_T0_E_clISt17integral_constantIbLb0EES10_IbLb1EEEEDaSW_SX_EUlSW_E_NS1_11comp_targetILNS1_3genE2ELNS1_11target_archE906ELNS1_3gpuE6ELNS1_3repE0EEENS1_30default_config_static_selectorELNS0_4arch9wavefront6targetE1EEEvT1_
	.globl	_ZN7rocprim17ROCPRIM_400000_NS6detail17trampoline_kernelINS0_14default_configENS1_27scan_by_key_config_selectorIisEEZZNS1_16scan_by_key_implILNS1_25lookback_scan_determinismE0ELb1ES3_N6thrust23THRUST_200600_302600_NS6detail15normal_iteratorINS9_10device_ptrIiEEEENSB_INSC_IsEEEESG_sNS9_4plusIvEENS9_8equal_toIvEEsEE10hipError_tPvRmT2_T3_T4_T5_mT6_T7_P12ihipStream_tbENKUlT_T0_E_clISt17integral_constantIbLb0EES10_IbLb1EEEEDaSW_SX_EUlSW_E_NS1_11comp_targetILNS1_3genE2ELNS1_11target_archE906ELNS1_3gpuE6ELNS1_3repE0EEENS1_30default_config_static_selectorELNS0_4arch9wavefront6targetE1EEEvT1_
	.p2align	8
	.type	_ZN7rocprim17ROCPRIM_400000_NS6detail17trampoline_kernelINS0_14default_configENS1_27scan_by_key_config_selectorIisEEZZNS1_16scan_by_key_implILNS1_25lookback_scan_determinismE0ELb1ES3_N6thrust23THRUST_200600_302600_NS6detail15normal_iteratorINS9_10device_ptrIiEEEENSB_INSC_IsEEEESG_sNS9_4plusIvEENS9_8equal_toIvEEsEE10hipError_tPvRmT2_T3_T4_T5_mT6_T7_P12ihipStream_tbENKUlT_T0_E_clISt17integral_constantIbLb0EES10_IbLb1EEEEDaSW_SX_EUlSW_E_NS1_11comp_targetILNS1_3genE2ELNS1_11target_archE906ELNS1_3gpuE6ELNS1_3repE0EEENS1_30default_config_static_selectorELNS0_4arch9wavefront6targetE1EEEvT1_,@function
_ZN7rocprim17ROCPRIM_400000_NS6detail17trampoline_kernelINS0_14default_configENS1_27scan_by_key_config_selectorIisEEZZNS1_16scan_by_key_implILNS1_25lookback_scan_determinismE0ELb1ES3_N6thrust23THRUST_200600_302600_NS6detail15normal_iteratorINS9_10device_ptrIiEEEENSB_INSC_IsEEEESG_sNS9_4plusIvEENS9_8equal_toIvEEsEE10hipError_tPvRmT2_T3_T4_T5_mT6_T7_P12ihipStream_tbENKUlT_T0_E_clISt17integral_constantIbLb0EES10_IbLb1EEEEDaSW_SX_EUlSW_E_NS1_11comp_targetILNS1_3genE2ELNS1_11target_archE906ELNS1_3gpuE6ELNS1_3repE0EEENS1_30default_config_static_selectorELNS0_4arch9wavefront6targetE1EEEvT1_: ; @_ZN7rocprim17ROCPRIM_400000_NS6detail17trampoline_kernelINS0_14default_configENS1_27scan_by_key_config_selectorIisEEZZNS1_16scan_by_key_implILNS1_25lookback_scan_determinismE0ELb1ES3_N6thrust23THRUST_200600_302600_NS6detail15normal_iteratorINS9_10device_ptrIiEEEENSB_INSC_IsEEEESG_sNS9_4plusIvEENS9_8equal_toIvEEsEE10hipError_tPvRmT2_T3_T4_T5_mT6_T7_P12ihipStream_tbENKUlT_T0_E_clISt17integral_constantIbLb0EES10_IbLb1EEEEDaSW_SX_EUlSW_E_NS1_11comp_targetILNS1_3genE2ELNS1_11target_archE906ELNS1_3gpuE6ELNS1_3repE0EEENS1_30default_config_static_selectorELNS0_4arch9wavefront6targetE1EEEvT1_
; %bb.0:
	.section	.rodata,"a",@progbits
	.p2align	6, 0x0
	.amdhsa_kernel _ZN7rocprim17ROCPRIM_400000_NS6detail17trampoline_kernelINS0_14default_configENS1_27scan_by_key_config_selectorIisEEZZNS1_16scan_by_key_implILNS1_25lookback_scan_determinismE0ELb1ES3_N6thrust23THRUST_200600_302600_NS6detail15normal_iteratorINS9_10device_ptrIiEEEENSB_INSC_IsEEEESG_sNS9_4plusIvEENS9_8equal_toIvEEsEE10hipError_tPvRmT2_T3_T4_T5_mT6_T7_P12ihipStream_tbENKUlT_T0_E_clISt17integral_constantIbLb0EES10_IbLb1EEEEDaSW_SX_EUlSW_E_NS1_11comp_targetILNS1_3genE2ELNS1_11target_archE906ELNS1_3gpuE6ELNS1_3repE0EEENS1_30default_config_static_selectorELNS0_4arch9wavefront6targetE1EEEvT1_
		.amdhsa_group_segment_fixed_size 0
		.amdhsa_private_segment_fixed_size 0
		.amdhsa_kernarg_size 112
		.amdhsa_user_sgpr_count 2
		.amdhsa_user_sgpr_dispatch_ptr 0
		.amdhsa_user_sgpr_queue_ptr 0
		.amdhsa_user_sgpr_kernarg_segment_ptr 1
		.amdhsa_user_sgpr_dispatch_id 0
		.amdhsa_user_sgpr_kernarg_preload_length 0
		.amdhsa_user_sgpr_kernarg_preload_offset 0
		.amdhsa_user_sgpr_private_segment_size 0
		.amdhsa_uses_dynamic_stack 0
		.amdhsa_enable_private_segment 0
		.amdhsa_system_sgpr_workgroup_id_x 1
		.amdhsa_system_sgpr_workgroup_id_y 0
		.amdhsa_system_sgpr_workgroup_id_z 0
		.amdhsa_system_sgpr_workgroup_info 0
		.amdhsa_system_vgpr_workitem_id 0
		.amdhsa_next_free_vgpr 1
		.amdhsa_next_free_sgpr 0
		.amdhsa_accum_offset 4
		.amdhsa_reserve_vcc 0
		.amdhsa_float_round_mode_32 0
		.amdhsa_float_round_mode_16_64 0
		.amdhsa_float_denorm_mode_32 3
		.amdhsa_float_denorm_mode_16_64 3
		.amdhsa_dx10_clamp 1
		.amdhsa_ieee_mode 1
		.amdhsa_fp16_overflow 0
		.amdhsa_tg_split 0
		.amdhsa_exception_fp_ieee_invalid_op 0
		.amdhsa_exception_fp_denorm_src 0
		.amdhsa_exception_fp_ieee_div_zero 0
		.amdhsa_exception_fp_ieee_overflow 0
		.amdhsa_exception_fp_ieee_underflow 0
		.amdhsa_exception_fp_ieee_inexact 0
		.amdhsa_exception_int_div_zero 0
	.end_amdhsa_kernel
	.section	.text._ZN7rocprim17ROCPRIM_400000_NS6detail17trampoline_kernelINS0_14default_configENS1_27scan_by_key_config_selectorIisEEZZNS1_16scan_by_key_implILNS1_25lookback_scan_determinismE0ELb1ES3_N6thrust23THRUST_200600_302600_NS6detail15normal_iteratorINS9_10device_ptrIiEEEENSB_INSC_IsEEEESG_sNS9_4plusIvEENS9_8equal_toIvEEsEE10hipError_tPvRmT2_T3_T4_T5_mT6_T7_P12ihipStream_tbENKUlT_T0_E_clISt17integral_constantIbLb0EES10_IbLb1EEEEDaSW_SX_EUlSW_E_NS1_11comp_targetILNS1_3genE2ELNS1_11target_archE906ELNS1_3gpuE6ELNS1_3repE0EEENS1_30default_config_static_selectorELNS0_4arch9wavefront6targetE1EEEvT1_,"axG",@progbits,_ZN7rocprim17ROCPRIM_400000_NS6detail17trampoline_kernelINS0_14default_configENS1_27scan_by_key_config_selectorIisEEZZNS1_16scan_by_key_implILNS1_25lookback_scan_determinismE0ELb1ES3_N6thrust23THRUST_200600_302600_NS6detail15normal_iteratorINS9_10device_ptrIiEEEENSB_INSC_IsEEEESG_sNS9_4plusIvEENS9_8equal_toIvEEsEE10hipError_tPvRmT2_T3_T4_T5_mT6_T7_P12ihipStream_tbENKUlT_T0_E_clISt17integral_constantIbLb0EES10_IbLb1EEEEDaSW_SX_EUlSW_E_NS1_11comp_targetILNS1_3genE2ELNS1_11target_archE906ELNS1_3gpuE6ELNS1_3repE0EEENS1_30default_config_static_selectorELNS0_4arch9wavefront6targetE1EEEvT1_,comdat
.Lfunc_end1639:
	.size	_ZN7rocprim17ROCPRIM_400000_NS6detail17trampoline_kernelINS0_14default_configENS1_27scan_by_key_config_selectorIisEEZZNS1_16scan_by_key_implILNS1_25lookback_scan_determinismE0ELb1ES3_N6thrust23THRUST_200600_302600_NS6detail15normal_iteratorINS9_10device_ptrIiEEEENSB_INSC_IsEEEESG_sNS9_4plusIvEENS9_8equal_toIvEEsEE10hipError_tPvRmT2_T3_T4_T5_mT6_T7_P12ihipStream_tbENKUlT_T0_E_clISt17integral_constantIbLb0EES10_IbLb1EEEEDaSW_SX_EUlSW_E_NS1_11comp_targetILNS1_3genE2ELNS1_11target_archE906ELNS1_3gpuE6ELNS1_3repE0EEENS1_30default_config_static_selectorELNS0_4arch9wavefront6targetE1EEEvT1_, .Lfunc_end1639-_ZN7rocprim17ROCPRIM_400000_NS6detail17trampoline_kernelINS0_14default_configENS1_27scan_by_key_config_selectorIisEEZZNS1_16scan_by_key_implILNS1_25lookback_scan_determinismE0ELb1ES3_N6thrust23THRUST_200600_302600_NS6detail15normal_iteratorINS9_10device_ptrIiEEEENSB_INSC_IsEEEESG_sNS9_4plusIvEENS9_8equal_toIvEEsEE10hipError_tPvRmT2_T3_T4_T5_mT6_T7_P12ihipStream_tbENKUlT_T0_E_clISt17integral_constantIbLb0EES10_IbLb1EEEEDaSW_SX_EUlSW_E_NS1_11comp_targetILNS1_3genE2ELNS1_11target_archE906ELNS1_3gpuE6ELNS1_3repE0EEENS1_30default_config_static_selectorELNS0_4arch9wavefront6targetE1EEEvT1_
                                        ; -- End function
	.section	.AMDGPU.csdata,"",@progbits
; Kernel info:
; codeLenInByte = 0
; NumSgprs: 6
; NumVgprs: 0
; NumAgprs: 0
; TotalNumVgprs: 0
; ScratchSize: 0
; MemoryBound: 0
; FloatMode: 240
; IeeeMode: 1
; LDSByteSize: 0 bytes/workgroup (compile time only)
; SGPRBlocks: 0
; VGPRBlocks: 0
; NumSGPRsForWavesPerEU: 6
; NumVGPRsForWavesPerEU: 1
; AccumOffset: 4
; Occupancy: 8
; WaveLimiterHint : 0
; COMPUTE_PGM_RSRC2:SCRATCH_EN: 0
; COMPUTE_PGM_RSRC2:USER_SGPR: 2
; COMPUTE_PGM_RSRC2:TRAP_HANDLER: 0
; COMPUTE_PGM_RSRC2:TGID_X_EN: 1
; COMPUTE_PGM_RSRC2:TGID_Y_EN: 0
; COMPUTE_PGM_RSRC2:TGID_Z_EN: 0
; COMPUTE_PGM_RSRC2:TIDIG_COMP_CNT: 0
; COMPUTE_PGM_RSRC3_GFX90A:ACCUM_OFFSET: 0
; COMPUTE_PGM_RSRC3_GFX90A:TG_SPLIT: 0
	.section	.text._ZN7rocprim17ROCPRIM_400000_NS6detail17trampoline_kernelINS0_14default_configENS1_27scan_by_key_config_selectorIisEEZZNS1_16scan_by_key_implILNS1_25lookback_scan_determinismE0ELb1ES3_N6thrust23THRUST_200600_302600_NS6detail15normal_iteratorINS9_10device_ptrIiEEEENSB_INSC_IsEEEESG_sNS9_4plusIvEENS9_8equal_toIvEEsEE10hipError_tPvRmT2_T3_T4_T5_mT6_T7_P12ihipStream_tbENKUlT_T0_E_clISt17integral_constantIbLb0EES10_IbLb1EEEEDaSW_SX_EUlSW_E_NS1_11comp_targetILNS1_3genE10ELNS1_11target_archE1200ELNS1_3gpuE4ELNS1_3repE0EEENS1_30default_config_static_selectorELNS0_4arch9wavefront6targetE1EEEvT1_,"axG",@progbits,_ZN7rocprim17ROCPRIM_400000_NS6detail17trampoline_kernelINS0_14default_configENS1_27scan_by_key_config_selectorIisEEZZNS1_16scan_by_key_implILNS1_25lookback_scan_determinismE0ELb1ES3_N6thrust23THRUST_200600_302600_NS6detail15normal_iteratorINS9_10device_ptrIiEEEENSB_INSC_IsEEEESG_sNS9_4plusIvEENS9_8equal_toIvEEsEE10hipError_tPvRmT2_T3_T4_T5_mT6_T7_P12ihipStream_tbENKUlT_T0_E_clISt17integral_constantIbLb0EES10_IbLb1EEEEDaSW_SX_EUlSW_E_NS1_11comp_targetILNS1_3genE10ELNS1_11target_archE1200ELNS1_3gpuE4ELNS1_3repE0EEENS1_30default_config_static_selectorELNS0_4arch9wavefront6targetE1EEEvT1_,comdat
	.protected	_ZN7rocprim17ROCPRIM_400000_NS6detail17trampoline_kernelINS0_14default_configENS1_27scan_by_key_config_selectorIisEEZZNS1_16scan_by_key_implILNS1_25lookback_scan_determinismE0ELb1ES3_N6thrust23THRUST_200600_302600_NS6detail15normal_iteratorINS9_10device_ptrIiEEEENSB_INSC_IsEEEESG_sNS9_4plusIvEENS9_8equal_toIvEEsEE10hipError_tPvRmT2_T3_T4_T5_mT6_T7_P12ihipStream_tbENKUlT_T0_E_clISt17integral_constantIbLb0EES10_IbLb1EEEEDaSW_SX_EUlSW_E_NS1_11comp_targetILNS1_3genE10ELNS1_11target_archE1200ELNS1_3gpuE4ELNS1_3repE0EEENS1_30default_config_static_selectorELNS0_4arch9wavefront6targetE1EEEvT1_ ; -- Begin function _ZN7rocprim17ROCPRIM_400000_NS6detail17trampoline_kernelINS0_14default_configENS1_27scan_by_key_config_selectorIisEEZZNS1_16scan_by_key_implILNS1_25lookback_scan_determinismE0ELb1ES3_N6thrust23THRUST_200600_302600_NS6detail15normal_iteratorINS9_10device_ptrIiEEEENSB_INSC_IsEEEESG_sNS9_4plusIvEENS9_8equal_toIvEEsEE10hipError_tPvRmT2_T3_T4_T5_mT6_T7_P12ihipStream_tbENKUlT_T0_E_clISt17integral_constantIbLb0EES10_IbLb1EEEEDaSW_SX_EUlSW_E_NS1_11comp_targetILNS1_3genE10ELNS1_11target_archE1200ELNS1_3gpuE4ELNS1_3repE0EEENS1_30default_config_static_selectorELNS0_4arch9wavefront6targetE1EEEvT1_
	.globl	_ZN7rocprim17ROCPRIM_400000_NS6detail17trampoline_kernelINS0_14default_configENS1_27scan_by_key_config_selectorIisEEZZNS1_16scan_by_key_implILNS1_25lookback_scan_determinismE0ELb1ES3_N6thrust23THRUST_200600_302600_NS6detail15normal_iteratorINS9_10device_ptrIiEEEENSB_INSC_IsEEEESG_sNS9_4plusIvEENS9_8equal_toIvEEsEE10hipError_tPvRmT2_T3_T4_T5_mT6_T7_P12ihipStream_tbENKUlT_T0_E_clISt17integral_constantIbLb0EES10_IbLb1EEEEDaSW_SX_EUlSW_E_NS1_11comp_targetILNS1_3genE10ELNS1_11target_archE1200ELNS1_3gpuE4ELNS1_3repE0EEENS1_30default_config_static_selectorELNS0_4arch9wavefront6targetE1EEEvT1_
	.p2align	8
	.type	_ZN7rocprim17ROCPRIM_400000_NS6detail17trampoline_kernelINS0_14default_configENS1_27scan_by_key_config_selectorIisEEZZNS1_16scan_by_key_implILNS1_25lookback_scan_determinismE0ELb1ES3_N6thrust23THRUST_200600_302600_NS6detail15normal_iteratorINS9_10device_ptrIiEEEENSB_INSC_IsEEEESG_sNS9_4plusIvEENS9_8equal_toIvEEsEE10hipError_tPvRmT2_T3_T4_T5_mT6_T7_P12ihipStream_tbENKUlT_T0_E_clISt17integral_constantIbLb0EES10_IbLb1EEEEDaSW_SX_EUlSW_E_NS1_11comp_targetILNS1_3genE10ELNS1_11target_archE1200ELNS1_3gpuE4ELNS1_3repE0EEENS1_30default_config_static_selectorELNS0_4arch9wavefront6targetE1EEEvT1_,@function
_ZN7rocprim17ROCPRIM_400000_NS6detail17trampoline_kernelINS0_14default_configENS1_27scan_by_key_config_selectorIisEEZZNS1_16scan_by_key_implILNS1_25lookback_scan_determinismE0ELb1ES3_N6thrust23THRUST_200600_302600_NS6detail15normal_iteratorINS9_10device_ptrIiEEEENSB_INSC_IsEEEESG_sNS9_4plusIvEENS9_8equal_toIvEEsEE10hipError_tPvRmT2_T3_T4_T5_mT6_T7_P12ihipStream_tbENKUlT_T0_E_clISt17integral_constantIbLb0EES10_IbLb1EEEEDaSW_SX_EUlSW_E_NS1_11comp_targetILNS1_3genE10ELNS1_11target_archE1200ELNS1_3gpuE4ELNS1_3repE0EEENS1_30default_config_static_selectorELNS0_4arch9wavefront6targetE1EEEvT1_: ; @_ZN7rocprim17ROCPRIM_400000_NS6detail17trampoline_kernelINS0_14default_configENS1_27scan_by_key_config_selectorIisEEZZNS1_16scan_by_key_implILNS1_25lookback_scan_determinismE0ELb1ES3_N6thrust23THRUST_200600_302600_NS6detail15normal_iteratorINS9_10device_ptrIiEEEENSB_INSC_IsEEEESG_sNS9_4plusIvEENS9_8equal_toIvEEsEE10hipError_tPvRmT2_T3_T4_T5_mT6_T7_P12ihipStream_tbENKUlT_T0_E_clISt17integral_constantIbLb0EES10_IbLb1EEEEDaSW_SX_EUlSW_E_NS1_11comp_targetILNS1_3genE10ELNS1_11target_archE1200ELNS1_3gpuE4ELNS1_3repE0EEENS1_30default_config_static_selectorELNS0_4arch9wavefront6targetE1EEEvT1_
; %bb.0:
	.section	.rodata,"a",@progbits
	.p2align	6, 0x0
	.amdhsa_kernel _ZN7rocprim17ROCPRIM_400000_NS6detail17trampoline_kernelINS0_14default_configENS1_27scan_by_key_config_selectorIisEEZZNS1_16scan_by_key_implILNS1_25lookback_scan_determinismE0ELb1ES3_N6thrust23THRUST_200600_302600_NS6detail15normal_iteratorINS9_10device_ptrIiEEEENSB_INSC_IsEEEESG_sNS9_4plusIvEENS9_8equal_toIvEEsEE10hipError_tPvRmT2_T3_T4_T5_mT6_T7_P12ihipStream_tbENKUlT_T0_E_clISt17integral_constantIbLb0EES10_IbLb1EEEEDaSW_SX_EUlSW_E_NS1_11comp_targetILNS1_3genE10ELNS1_11target_archE1200ELNS1_3gpuE4ELNS1_3repE0EEENS1_30default_config_static_selectorELNS0_4arch9wavefront6targetE1EEEvT1_
		.amdhsa_group_segment_fixed_size 0
		.amdhsa_private_segment_fixed_size 0
		.amdhsa_kernarg_size 112
		.amdhsa_user_sgpr_count 2
		.amdhsa_user_sgpr_dispatch_ptr 0
		.amdhsa_user_sgpr_queue_ptr 0
		.amdhsa_user_sgpr_kernarg_segment_ptr 1
		.amdhsa_user_sgpr_dispatch_id 0
		.amdhsa_user_sgpr_kernarg_preload_length 0
		.amdhsa_user_sgpr_kernarg_preload_offset 0
		.amdhsa_user_sgpr_private_segment_size 0
		.amdhsa_uses_dynamic_stack 0
		.amdhsa_enable_private_segment 0
		.amdhsa_system_sgpr_workgroup_id_x 1
		.amdhsa_system_sgpr_workgroup_id_y 0
		.amdhsa_system_sgpr_workgroup_id_z 0
		.amdhsa_system_sgpr_workgroup_info 0
		.amdhsa_system_vgpr_workitem_id 0
		.amdhsa_next_free_vgpr 1
		.amdhsa_next_free_sgpr 0
		.amdhsa_accum_offset 4
		.amdhsa_reserve_vcc 0
		.amdhsa_float_round_mode_32 0
		.amdhsa_float_round_mode_16_64 0
		.amdhsa_float_denorm_mode_32 3
		.amdhsa_float_denorm_mode_16_64 3
		.amdhsa_dx10_clamp 1
		.amdhsa_ieee_mode 1
		.amdhsa_fp16_overflow 0
		.amdhsa_tg_split 0
		.amdhsa_exception_fp_ieee_invalid_op 0
		.amdhsa_exception_fp_denorm_src 0
		.amdhsa_exception_fp_ieee_div_zero 0
		.amdhsa_exception_fp_ieee_overflow 0
		.amdhsa_exception_fp_ieee_underflow 0
		.amdhsa_exception_fp_ieee_inexact 0
		.amdhsa_exception_int_div_zero 0
	.end_amdhsa_kernel
	.section	.text._ZN7rocprim17ROCPRIM_400000_NS6detail17trampoline_kernelINS0_14default_configENS1_27scan_by_key_config_selectorIisEEZZNS1_16scan_by_key_implILNS1_25lookback_scan_determinismE0ELb1ES3_N6thrust23THRUST_200600_302600_NS6detail15normal_iteratorINS9_10device_ptrIiEEEENSB_INSC_IsEEEESG_sNS9_4plusIvEENS9_8equal_toIvEEsEE10hipError_tPvRmT2_T3_T4_T5_mT6_T7_P12ihipStream_tbENKUlT_T0_E_clISt17integral_constantIbLb0EES10_IbLb1EEEEDaSW_SX_EUlSW_E_NS1_11comp_targetILNS1_3genE10ELNS1_11target_archE1200ELNS1_3gpuE4ELNS1_3repE0EEENS1_30default_config_static_selectorELNS0_4arch9wavefront6targetE1EEEvT1_,"axG",@progbits,_ZN7rocprim17ROCPRIM_400000_NS6detail17trampoline_kernelINS0_14default_configENS1_27scan_by_key_config_selectorIisEEZZNS1_16scan_by_key_implILNS1_25lookback_scan_determinismE0ELb1ES3_N6thrust23THRUST_200600_302600_NS6detail15normal_iteratorINS9_10device_ptrIiEEEENSB_INSC_IsEEEESG_sNS9_4plusIvEENS9_8equal_toIvEEsEE10hipError_tPvRmT2_T3_T4_T5_mT6_T7_P12ihipStream_tbENKUlT_T0_E_clISt17integral_constantIbLb0EES10_IbLb1EEEEDaSW_SX_EUlSW_E_NS1_11comp_targetILNS1_3genE10ELNS1_11target_archE1200ELNS1_3gpuE4ELNS1_3repE0EEENS1_30default_config_static_selectorELNS0_4arch9wavefront6targetE1EEEvT1_,comdat
.Lfunc_end1640:
	.size	_ZN7rocprim17ROCPRIM_400000_NS6detail17trampoline_kernelINS0_14default_configENS1_27scan_by_key_config_selectorIisEEZZNS1_16scan_by_key_implILNS1_25lookback_scan_determinismE0ELb1ES3_N6thrust23THRUST_200600_302600_NS6detail15normal_iteratorINS9_10device_ptrIiEEEENSB_INSC_IsEEEESG_sNS9_4plusIvEENS9_8equal_toIvEEsEE10hipError_tPvRmT2_T3_T4_T5_mT6_T7_P12ihipStream_tbENKUlT_T0_E_clISt17integral_constantIbLb0EES10_IbLb1EEEEDaSW_SX_EUlSW_E_NS1_11comp_targetILNS1_3genE10ELNS1_11target_archE1200ELNS1_3gpuE4ELNS1_3repE0EEENS1_30default_config_static_selectorELNS0_4arch9wavefront6targetE1EEEvT1_, .Lfunc_end1640-_ZN7rocprim17ROCPRIM_400000_NS6detail17trampoline_kernelINS0_14default_configENS1_27scan_by_key_config_selectorIisEEZZNS1_16scan_by_key_implILNS1_25lookback_scan_determinismE0ELb1ES3_N6thrust23THRUST_200600_302600_NS6detail15normal_iteratorINS9_10device_ptrIiEEEENSB_INSC_IsEEEESG_sNS9_4plusIvEENS9_8equal_toIvEEsEE10hipError_tPvRmT2_T3_T4_T5_mT6_T7_P12ihipStream_tbENKUlT_T0_E_clISt17integral_constantIbLb0EES10_IbLb1EEEEDaSW_SX_EUlSW_E_NS1_11comp_targetILNS1_3genE10ELNS1_11target_archE1200ELNS1_3gpuE4ELNS1_3repE0EEENS1_30default_config_static_selectorELNS0_4arch9wavefront6targetE1EEEvT1_
                                        ; -- End function
	.section	.AMDGPU.csdata,"",@progbits
; Kernel info:
; codeLenInByte = 0
; NumSgprs: 6
; NumVgprs: 0
; NumAgprs: 0
; TotalNumVgprs: 0
; ScratchSize: 0
; MemoryBound: 0
; FloatMode: 240
; IeeeMode: 1
; LDSByteSize: 0 bytes/workgroup (compile time only)
; SGPRBlocks: 0
; VGPRBlocks: 0
; NumSGPRsForWavesPerEU: 6
; NumVGPRsForWavesPerEU: 1
; AccumOffset: 4
; Occupancy: 8
; WaveLimiterHint : 0
; COMPUTE_PGM_RSRC2:SCRATCH_EN: 0
; COMPUTE_PGM_RSRC2:USER_SGPR: 2
; COMPUTE_PGM_RSRC2:TRAP_HANDLER: 0
; COMPUTE_PGM_RSRC2:TGID_X_EN: 1
; COMPUTE_PGM_RSRC2:TGID_Y_EN: 0
; COMPUTE_PGM_RSRC2:TGID_Z_EN: 0
; COMPUTE_PGM_RSRC2:TIDIG_COMP_CNT: 0
; COMPUTE_PGM_RSRC3_GFX90A:ACCUM_OFFSET: 0
; COMPUTE_PGM_RSRC3_GFX90A:TG_SPLIT: 0
	.section	.text._ZN7rocprim17ROCPRIM_400000_NS6detail17trampoline_kernelINS0_14default_configENS1_27scan_by_key_config_selectorIisEEZZNS1_16scan_by_key_implILNS1_25lookback_scan_determinismE0ELb1ES3_N6thrust23THRUST_200600_302600_NS6detail15normal_iteratorINS9_10device_ptrIiEEEENSB_INSC_IsEEEESG_sNS9_4plusIvEENS9_8equal_toIvEEsEE10hipError_tPvRmT2_T3_T4_T5_mT6_T7_P12ihipStream_tbENKUlT_T0_E_clISt17integral_constantIbLb0EES10_IbLb1EEEEDaSW_SX_EUlSW_E_NS1_11comp_targetILNS1_3genE9ELNS1_11target_archE1100ELNS1_3gpuE3ELNS1_3repE0EEENS1_30default_config_static_selectorELNS0_4arch9wavefront6targetE1EEEvT1_,"axG",@progbits,_ZN7rocprim17ROCPRIM_400000_NS6detail17trampoline_kernelINS0_14default_configENS1_27scan_by_key_config_selectorIisEEZZNS1_16scan_by_key_implILNS1_25lookback_scan_determinismE0ELb1ES3_N6thrust23THRUST_200600_302600_NS6detail15normal_iteratorINS9_10device_ptrIiEEEENSB_INSC_IsEEEESG_sNS9_4plusIvEENS9_8equal_toIvEEsEE10hipError_tPvRmT2_T3_T4_T5_mT6_T7_P12ihipStream_tbENKUlT_T0_E_clISt17integral_constantIbLb0EES10_IbLb1EEEEDaSW_SX_EUlSW_E_NS1_11comp_targetILNS1_3genE9ELNS1_11target_archE1100ELNS1_3gpuE3ELNS1_3repE0EEENS1_30default_config_static_selectorELNS0_4arch9wavefront6targetE1EEEvT1_,comdat
	.protected	_ZN7rocprim17ROCPRIM_400000_NS6detail17trampoline_kernelINS0_14default_configENS1_27scan_by_key_config_selectorIisEEZZNS1_16scan_by_key_implILNS1_25lookback_scan_determinismE0ELb1ES3_N6thrust23THRUST_200600_302600_NS6detail15normal_iteratorINS9_10device_ptrIiEEEENSB_INSC_IsEEEESG_sNS9_4plusIvEENS9_8equal_toIvEEsEE10hipError_tPvRmT2_T3_T4_T5_mT6_T7_P12ihipStream_tbENKUlT_T0_E_clISt17integral_constantIbLb0EES10_IbLb1EEEEDaSW_SX_EUlSW_E_NS1_11comp_targetILNS1_3genE9ELNS1_11target_archE1100ELNS1_3gpuE3ELNS1_3repE0EEENS1_30default_config_static_selectorELNS0_4arch9wavefront6targetE1EEEvT1_ ; -- Begin function _ZN7rocprim17ROCPRIM_400000_NS6detail17trampoline_kernelINS0_14default_configENS1_27scan_by_key_config_selectorIisEEZZNS1_16scan_by_key_implILNS1_25lookback_scan_determinismE0ELb1ES3_N6thrust23THRUST_200600_302600_NS6detail15normal_iteratorINS9_10device_ptrIiEEEENSB_INSC_IsEEEESG_sNS9_4plusIvEENS9_8equal_toIvEEsEE10hipError_tPvRmT2_T3_T4_T5_mT6_T7_P12ihipStream_tbENKUlT_T0_E_clISt17integral_constantIbLb0EES10_IbLb1EEEEDaSW_SX_EUlSW_E_NS1_11comp_targetILNS1_3genE9ELNS1_11target_archE1100ELNS1_3gpuE3ELNS1_3repE0EEENS1_30default_config_static_selectorELNS0_4arch9wavefront6targetE1EEEvT1_
	.globl	_ZN7rocprim17ROCPRIM_400000_NS6detail17trampoline_kernelINS0_14default_configENS1_27scan_by_key_config_selectorIisEEZZNS1_16scan_by_key_implILNS1_25lookback_scan_determinismE0ELb1ES3_N6thrust23THRUST_200600_302600_NS6detail15normal_iteratorINS9_10device_ptrIiEEEENSB_INSC_IsEEEESG_sNS9_4plusIvEENS9_8equal_toIvEEsEE10hipError_tPvRmT2_T3_T4_T5_mT6_T7_P12ihipStream_tbENKUlT_T0_E_clISt17integral_constantIbLb0EES10_IbLb1EEEEDaSW_SX_EUlSW_E_NS1_11comp_targetILNS1_3genE9ELNS1_11target_archE1100ELNS1_3gpuE3ELNS1_3repE0EEENS1_30default_config_static_selectorELNS0_4arch9wavefront6targetE1EEEvT1_
	.p2align	8
	.type	_ZN7rocprim17ROCPRIM_400000_NS6detail17trampoline_kernelINS0_14default_configENS1_27scan_by_key_config_selectorIisEEZZNS1_16scan_by_key_implILNS1_25lookback_scan_determinismE0ELb1ES3_N6thrust23THRUST_200600_302600_NS6detail15normal_iteratorINS9_10device_ptrIiEEEENSB_INSC_IsEEEESG_sNS9_4plusIvEENS9_8equal_toIvEEsEE10hipError_tPvRmT2_T3_T4_T5_mT6_T7_P12ihipStream_tbENKUlT_T0_E_clISt17integral_constantIbLb0EES10_IbLb1EEEEDaSW_SX_EUlSW_E_NS1_11comp_targetILNS1_3genE9ELNS1_11target_archE1100ELNS1_3gpuE3ELNS1_3repE0EEENS1_30default_config_static_selectorELNS0_4arch9wavefront6targetE1EEEvT1_,@function
_ZN7rocprim17ROCPRIM_400000_NS6detail17trampoline_kernelINS0_14default_configENS1_27scan_by_key_config_selectorIisEEZZNS1_16scan_by_key_implILNS1_25lookback_scan_determinismE0ELb1ES3_N6thrust23THRUST_200600_302600_NS6detail15normal_iteratorINS9_10device_ptrIiEEEENSB_INSC_IsEEEESG_sNS9_4plusIvEENS9_8equal_toIvEEsEE10hipError_tPvRmT2_T3_T4_T5_mT6_T7_P12ihipStream_tbENKUlT_T0_E_clISt17integral_constantIbLb0EES10_IbLb1EEEEDaSW_SX_EUlSW_E_NS1_11comp_targetILNS1_3genE9ELNS1_11target_archE1100ELNS1_3gpuE3ELNS1_3repE0EEENS1_30default_config_static_selectorELNS0_4arch9wavefront6targetE1EEEvT1_: ; @_ZN7rocprim17ROCPRIM_400000_NS6detail17trampoline_kernelINS0_14default_configENS1_27scan_by_key_config_selectorIisEEZZNS1_16scan_by_key_implILNS1_25lookback_scan_determinismE0ELb1ES3_N6thrust23THRUST_200600_302600_NS6detail15normal_iteratorINS9_10device_ptrIiEEEENSB_INSC_IsEEEESG_sNS9_4plusIvEENS9_8equal_toIvEEsEE10hipError_tPvRmT2_T3_T4_T5_mT6_T7_P12ihipStream_tbENKUlT_T0_E_clISt17integral_constantIbLb0EES10_IbLb1EEEEDaSW_SX_EUlSW_E_NS1_11comp_targetILNS1_3genE9ELNS1_11target_archE1100ELNS1_3gpuE3ELNS1_3repE0EEENS1_30default_config_static_selectorELNS0_4arch9wavefront6targetE1EEEvT1_
; %bb.0:
	.section	.rodata,"a",@progbits
	.p2align	6, 0x0
	.amdhsa_kernel _ZN7rocprim17ROCPRIM_400000_NS6detail17trampoline_kernelINS0_14default_configENS1_27scan_by_key_config_selectorIisEEZZNS1_16scan_by_key_implILNS1_25lookback_scan_determinismE0ELb1ES3_N6thrust23THRUST_200600_302600_NS6detail15normal_iteratorINS9_10device_ptrIiEEEENSB_INSC_IsEEEESG_sNS9_4plusIvEENS9_8equal_toIvEEsEE10hipError_tPvRmT2_T3_T4_T5_mT6_T7_P12ihipStream_tbENKUlT_T0_E_clISt17integral_constantIbLb0EES10_IbLb1EEEEDaSW_SX_EUlSW_E_NS1_11comp_targetILNS1_3genE9ELNS1_11target_archE1100ELNS1_3gpuE3ELNS1_3repE0EEENS1_30default_config_static_selectorELNS0_4arch9wavefront6targetE1EEEvT1_
		.amdhsa_group_segment_fixed_size 0
		.amdhsa_private_segment_fixed_size 0
		.amdhsa_kernarg_size 112
		.amdhsa_user_sgpr_count 2
		.amdhsa_user_sgpr_dispatch_ptr 0
		.amdhsa_user_sgpr_queue_ptr 0
		.amdhsa_user_sgpr_kernarg_segment_ptr 1
		.amdhsa_user_sgpr_dispatch_id 0
		.amdhsa_user_sgpr_kernarg_preload_length 0
		.amdhsa_user_sgpr_kernarg_preload_offset 0
		.amdhsa_user_sgpr_private_segment_size 0
		.amdhsa_uses_dynamic_stack 0
		.amdhsa_enable_private_segment 0
		.amdhsa_system_sgpr_workgroup_id_x 1
		.amdhsa_system_sgpr_workgroup_id_y 0
		.amdhsa_system_sgpr_workgroup_id_z 0
		.amdhsa_system_sgpr_workgroup_info 0
		.amdhsa_system_vgpr_workitem_id 0
		.amdhsa_next_free_vgpr 1
		.amdhsa_next_free_sgpr 0
		.amdhsa_accum_offset 4
		.amdhsa_reserve_vcc 0
		.amdhsa_float_round_mode_32 0
		.amdhsa_float_round_mode_16_64 0
		.amdhsa_float_denorm_mode_32 3
		.amdhsa_float_denorm_mode_16_64 3
		.amdhsa_dx10_clamp 1
		.amdhsa_ieee_mode 1
		.amdhsa_fp16_overflow 0
		.amdhsa_tg_split 0
		.amdhsa_exception_fp_ieee_invalid_op 0
		.amdhsa_exception_fp_denorm_src 0
		.amdhsa_exception_fp_ieee_div_zero 0
		.amdhsa_exception_fp_ieee_overflow 0
		.amdhsa_exception_fp_ieee_underflow 0
		.amdhsa_exception_fp_ieee_inexact 0
		.amdhsa_exception_int_div_zero 0
	.end_amdhsa_kernel
	.section	.text._ZN7rocprim17ROCPRIM_400000_NS6detail17trampoline_kernelINS0_14default_configENS1_27scan_by_key_config_selectorIisEEZZNS1_16scan_by_key_implILNS1_25lookback_scan_determinismE0ELb1ES3_N6thrust23THRUST_200600_302600_NS6detail15normal_iteratorINS9_10device_ptrIiEEEENSB_INSC_IsEEEESG_sNS9_4plusIvEENS9_8equal_toIvEEsEE10hipError_tPvRmT2_T3_T4_T5_mT6_T7_P12ihipStream_tbENKUlT_T0_E_clISt17integral_constantIbLb0EES10_IbLb1EEEEDaSW_SX_EUlSW_E_NS1_11comp_targetILNS1_3genE9ELNS1_11target_archE1100ELNS1_3gpuE3ELNS1_3repE0EEENS1_30default_config_static_selectorELNS0_4arch9wavefront6targetE1EEEvT1_,"axG",@progbits,_ZN7rocprim17ROCPRIM_400000_NS6detail17trampoline_kernelINS0_14default_configENS1_27scan_by_key_config_selectorIisEEZZNS1_16scan_by_key_implILNS1_25lookback_scan_determinismE0ELb1ES3_N6thrust23THRUST_200600_302600_NS6detail15normal_iteratorINS9_10device_ptrIiEEEENSB_INSC_IsEEEESG_sNS9_4plusIvEENS9_8equal_toIvEEsEE10hipError_tPvRmT2_T3_T4_T5_mT6_T7_P12ihipStream_tbENKUlT_T0_E_clISt17integral_constantIbLb0EES10_IbLb1EEEEDaSW_SX_EUlSW_E_NS1_11comp_targetILNS1_3genE9ELNS1_11target_archE1100ELNS1_3gpuE3ELNS1_3repE0EEENS1_30default_config_static_selectorELNS0_4arch9wavefront6targetE1EEEvT1_,comdat
.Lfunc_end1641:
	.size	_ZN7rocprim17ROCPRIM_400000_NS6detail17trampoline_kernelINS0_14default_configENS1_27scan_by_key_config_selectorIisEEZZNS1_16scan_by_key_implILNS1_25lookback_scan_determinismE0ELb1ES3_N6thrust23THRUST_200600_302600_NS6detail15normal_iteratorINS9_10device_ptrIiEEEENSB_INSC_IsEEEESG_sNS9_4plusIvEENS9_8equal_toIvEEsEE10hipError_tPvRmT2_T3_T4_T5_mT6_T7_P12ihipStream_tbENKUlT_T0_E_clISt17integral_constantIbLb0EES10_IbLb1EEEEDaSW_SX_EUlSW_E_NS1_11comp_targetILNS1_3genE9ELNS1_11target_archE1100ELNS1_3gpuE3ELNS1_3repE0EEENS1_30default_config_static_selectorELNS0_4arch9wavefront6targetE1EEEvT1_, .Lfunc_end1641-_ZN7rocprim17ROCPRIM_400000_NS6detail17trampoline_kernelINS0_14default_configENS1_27scan_by_key_config_selectorIisEEZZNS1_16scan_by_key_implILNS1_25lookback_scan_determinismE0ELb1ES3_N6thrust23THRUST_200600_302600_NS6detail15normal_iteratorINS9_10device_ptrIiEEEENSB_INSC_IsEEEESG_sNS9_4plusIvEENS9_8equal_toIvEEsEE10hipError_tPvRmT2_T3_T4_T5_mT6_T7_P12ihipStream_tbENKUlT_T0_E_clISt17integral_constantIbLb0EES10_IbLb1EEEEDaSW_SX_EUlSW_E_NS1_11comp_targetILNS1_3genE9ELNS1_11target_archE1100ELNS1_3gpuE3ELNS1_3repE0EEENS1_30default_config_static_selectorELNS0_4arch9wavefront6targetE1EEEvT1_
                                        ; -- End function
	.section	.AMDGPU.csdata,"",@progbits
; Kernel info:
; codeLenInByte = 0
; NumSgprs: 6
; NumVgprs: 0
; NumAgprs: 0
; TotalNumVgprs: 0
; ScratchSize: 0
; MemoryBound: 0
; FloatMode: 240
; IeeeMode: 1
; LDSByteSize: 0 bytes/workgroup (compile time only)
; SGPRBlocks: 0
; VGPRBlocks: 0
; NumSGPRsForWavesPerEU: 6
; NumVGPRsForWavesPerEU: 1
; AccumOffset: 4
; Occupancy: 8
; WaveLimiterHint : 0
; COMPUTE_PGM_RSRC2:SCRATCH_EN: 0
; COMPUTE_PGM_RSRC2:USER_SGPR: 2
; COMPUTE_PGM_RSRC2:TRAP_HANDLER: 0
; COMPUTE_PGM_RSRC2:TGID_X_EN: 1
; COMPUTE_PGM_RSRC2:TGID_Y_EN: 0
; COMPUTE_PGM_RSRC2:TGID_Z_EN: 0
; COMPUTE_PGM_RSRC2:TIDIG_COMP_CNT: 0
; COMPUTE_PGM_RSRC3_GFX90A:ACCUM_OFFSET: 0
; COMPUTE_PGM_RSRC3_GFX90A:TG_SPLIT: 0
	.section	.text._ZN7rocprim17ROCPRIM_400000_NS6detail17trampoline_kernelINS0_14default_configENS1_27scan_by_key_config_selectorIisEEZZNS1_16scan_by_key_implILNS1_25lookback_scan_determinismE0ELb1ES3_N6thrust23THRUST_200600_302600_NS6detail15normal_iteratorINS9_10device_ptrIiEEEENSB_INSC_IsEEEESG_sNS9_4plusIvEENS9_8equal_toIvEEsEE10hipError_tPvRmT2_T3_T4_T5_mT6_T7_P12ihipStream_tbENKUlT_T0_E_clISt17integral_constantIbLb0EES10_IbLb1EEEEDaSW_SX_EUlSW_E_NS1_11comp_targetILNS1_3genE8ELNS1_11target_archE1030ELNS1_3gpuE2ELNS1_3repE0EEENS1_30default_config_static_selectorELNS0_4arch9wavefront6targetE1EEEvT1_,"axG",@progbits,_ZN7rocprim17ROCPRIM_400000_NS6detail17trampoline_kernelINS0_14default_configENS1_27scan_by_key_config_selectorIisEEZZNS1_16scan_by_key_implILNS1_25lookback_scan_determinismE0ELb1ES3_N6thrust23THRUST_200600_302600_NS6detail15normal_iteratorINS9_10device_ptrIiEEEENSB_INSC_IsEEEESG_sNS9_4plusIvEENS9_8equal_toIvEEsEE10hipError_tPvRmT2_T3_T4_T5_mT6_T7_P12ihipStream_tbENKUlT_T0_E_clISt17integral_constantIbLb0EES10_IbLb1EEEEDaSW_SX_EUlSW_E_NS1_11comp_targetILNS1_3genE8ELNS1_11target_archE1030ELNS1_3gpuE2ELNS1_3repE0EEENS1_30default_config_static_selectorELNS0_4arch9wavefront6targetE1EEEvT1_,comdat
	.protected	_ZN7rocprim17ROCPRIM_400000_NS6detail17trampoline_kernelINS0_14default_configENS1_27scan_by_key_config_selectorIisEEZZNS1_16scan_by_key_implILNS1_25lookback_scan_determinismE0ELb1ES3_N6thrust23THRUST_200600_302600_NS6detail15normal_iteratorINS9_10device_ptrIiEEEENSB_INSC_IsEEEESG_sNS9_4plusIvEENS9_8equal_toIvEEsEE10hipError_tPvRmT2_T3_T4_T5_mT6_T7_P12ihipStream_tbENKUlT_T0_E_clISt17integral_constantIbLb0EES10_IbLb1EEEEDaSW_SX_EUlSW_E_NS1_11comp_targetILNS1_3genE8ELNS1_11target_archE1030ELNS1_3gpuE2ELNS1_3repE0EEENS1_30default_config_static_selectorELNS0_4arch9wavefront6targetE1EEEvT1_ ; -- Begin function _ZN7rocprim17ROCPRIM_400000_NS6detail17trampoline_kernelINS0_14default_configENS1_27scan_by_key_config_selectorIisEEZZNS1_16scan_by_key_implILNS1_25lookback_scan_determinismE0ELb1ES3_N6thrust23THRUST_200600_302600_NS6detail15normal_iteratorINS9_10device_ptrIiEEEENSB_INSC_IsEEEESG_sNS9_4plusIvEENS9_8equal_toIvEEsEE10hipError_tPvRmT2_T3_T4_T5_mT6_T7_P12ihipStream_tbENKUlT_T0_E_clISt17integral_constantIbLb0EES10_IbLb1EEEEDaSW_SX_EUlSW_E_NS1_11comp_targetILNS1_3genE8ELNS1_11target_archE1030ELNS1_3gpuE2ELNS1_3repE0EEENS1_30default_config_static_selectorELNS0_4arch9wavefront6targetE1EEEvT1_
	.globl	_ZN7rocprim17ROCPRIM_400000_NS6detail17trampoline_kernelINS0_14default_configENS1_27scan_by_key_config_selectorIisEEZZNS1_16scan_by_key_implILNS1_25lookback_scan_determinismE0ELb1ES3_N6thrust23THRUST_200600_302600_NS6detail15normal_iteratorINS9_10device_ptrIiEEEENSB_INSC_IsEEEESG_sNS9_4plusIvEENS9_8equal_toIvEEsEE10hipError_tPvRmT2_T3_T4_T5_mT6_T7_P12ihipStream_tbENKUlT_T0_E_clISt17integral_constantIbLb0EES10_IbLb1EEEEDaSW_SX_EUlSW_E_NS1_11comp_targetILNS1_3genE8ELNS1_11target_archE1030ELNS1_3gpuE2ELNS1_3repE0EEENS1_30default_config_static_selectorELNS0_4arch9wavefront6targetE1EEEvT1_
	.p2align	8
	.type	_ZN7rocprim17ROCPRIM_400000_NS6detail17trampoline_kernelINS0_14default_configENS1_27scan_by_key_config_selectorIisEEZZNS1_16scan_by_key_implILNS1_25lookback_scan_determinismE0ELb1ES3_N6thrust23THRUST_200600_302600_NS6detail15normal_iteratorINS9_10device_ptrIiEEEENSB_INSC_IsEEEESG_sNS9_4plusIvEENS9_8equal_toIvEEsEE10hipError_tPvRmT2_T3_T4_T5_mT6_T7_P12ihipStream_tbENKUlT_T0_E_clISt17integral_constantIbLb0EES10_IbLb1EEEEDaSW_SX_EUlSW_E_NS1_11comp_targetILNS1_3genE8ELNS1_11target_archE1030ELNS1_3gpuE2ELNS1_3repE0EEENS1_30default_config_static_selectorELNS0_4arch9wavefront6targetE1EEEvT1_,@function
_ZN7rocprim17ROCPRIM_400000_NS6detail17trampoline_kernelINS0_14default_configENS1_27scan_by_key_config_selectorIisEEZZNS1_16scan_by_key_implILNS1_25lookback_scan_determinismE0ELb1ES3_N6thrust23THRUST_200600_302600_NS6detail15normal_iteratorINS9_10device_ptrIiEEEENSB_INSC_IsEEEESG_sNS9_4plusIvEENS9_8equal_toIvEEsEE10hipError_tPvRmT2_T3_T4_T5_mT6_T7_P12ihipStream_tbENKUlT_T0_E_clISt17integral_constantIbLb0EES10_IbLb1EEEEDaSW_SX_EUlSW_E_NS1_11comp_targetILNS1_3genE8ELNS1_11target_archE1030ELNS1_3gpuE2ELNS1_3repE0EEENS1_30default_config_static_selectorELNS0_4arch9wavefront6targetE1EEEvT1_: ; @_ZN7rocprim17ROCPRIM_400000_NS6detail17trampoline_kernelINS0_14default_configENS1_27scan_by_key_config_selectorIisEEZZNS1_16scan_by_key_implILNS1_25lookback_scan_determinismE0ELb1ES3_N6thrust23THRUST_200600_302600_NS6detail15normal_iteratorINS9_10device_ptrIiEEEENSB_INSC_IsEEEESG_sNS9_4plusIvEENS9_8equal_toIvEEsEE10hipError_tPvRmT2_T3_T4_T5_mT6_T7_P12ihipStream_tbENKUlT_T0_E_clISt17integral_constantIbLb0EES10_IbLb1EEEEDaSW_SX_EUlSW_E_NS1_11comp_targetILNS1_3genE8ELNS1_11target_archE1030ELNS1_3gpuE2ELNS1_3repE0EEENS1_30default_config_static_selectorELNS0_4arch9wavefront6targetE1EEEvT1_
; %bb.0:
	.section	.rodata,"a",@progbits
	.p2align	6, 0x0
	.amdhsa_kernel _ZN7rocprim17ROCPRIM_400000_NS6detail17trampoline_kernelINS0_14default_configENS1_27scan_by_key_config_selectorIisEEZZNS1_16scan_by_key_implILNS1_25lookback_scan_determinismE0ELb1ES3_N6thrust23THRUST_200600_302600_NS6detail15normal_iteratorINS9_10device_ptrIiEEEENSB_INSC_IsEEEESG_sNS9_4plusIvEENS9_8equal_toIvEEsEE10hipError_tPvRmT2_T3_T4_T5_mT6_T7_P12ihipStream_tbENKUlT_T0_E_clISt17integral_constantIbLb0EES10_IbLb1EEEEDaSW_SX_EUlSW_E_NS1_11comp_targetILNS1_3genE8ELNS1_11target_archE1030ELNS1_3gpuE2ELNS1_3repE0EEENS1_30default_config_static_selectorELNS0_4arch9wavefront6targetE1EEEvT1_
		.amdhsa_group_segment_fixed_size 0
		.amdhsa_private_segment_fixed_size 0
		.amdhsa_kernarg_size 112
		.amdhsa_user_sgpr_count 2
		.amdhsa_user_sgpr_dispatch_ptr 0
		.amdhsa_user_sgpr_queue_ptr 0
		.amdhsa_user_sgpr_kernarg_segment_ptr 1
		.amdhsa_user_sgpr_dispatch_id 0
		.amdhsa_user_sgpr_kernarg_preload_length 0
		.amdhsa_user_sgpr_kernarg_preload_offset 0
		.amdhsa_user_sgpr_private_segment_size 0
		.amdhsa_uses_dynamic_stack 0
		.amdhsa_enable_private_segment 0
		.amdhsa_system_sgpr_workgroup_id_x 1
		.amdhsa_system_sgpr_workgroup_id_y 0
		.amdhsa_system_sgpr_workgroup_id_z 0
		.amdhsa_system_sgpr_workgroup_info 0
		.amdhsa_system_vgpr_workitem_id 0
		.amdhsa_next_free_vgpr 1
		.amdhsa_next_free_sgpr 0
		.amdhsa_accum_offset 4
		.amdhsa_reserve_vcc 0
		.amdhsa_float_round_mode_32 0
		.amdhsa_float_round_mode_16_64 0
		.amdhsa_float_denorm_mode_32 3
		.amdhsa_float_denorm_mode_16_64 3
		.amdhsa_dx10_clamp 1
		.amdhsa_ieee_mode 1
		.amdhsa_fp16_overflow 0
		.amdhsa_tg_split 0
		.amdhsa_exception_fp_ieee_invalid_op 0
		.amdhsa_exception_fp_denorm_src 0
		.amdhsa_exception_fp_ieee_div_zero 0
		.amdhsa_exception_fp_ieee_overflow 0
		.amdhsa_exception_fp_ieee_underflow 0
		.amdhsa_exception_fp_ieee_inexact 0
		.amdhsa_exception_int_div_zero 0
	.end_amdhsa_kernel
	.section	.text._ZN7rocprim17ROCPRIM_400000_NS6detail17trampoline_kernelINS0_14default_configENS1_27scan_by_key_config_selectorIisEEZZNS1_16scan_by_key_implILNS1_25lookback_scan_determinismE0ELb1ES3_N6thrust23THRUST_200600_302600_NS6detail15normal_iteratorINS9_10device_ptrIiEEEENSB_INSC_IsEEEESG_sNS9_4plusIvEENS9_8equal_toIvEEsEE10hipError_tPvRmT2_T3_T4_T5_mT6_T7_P12ihipStream_tbENKUlT_T0_E_clISt17integral_constantIbLb0EES10_IbLb1EEEEDaSW_SX_EUlSW_E_NS1_11comp_targetILNS1_3genE8ELNS1_11target_archE1030ELNS1_3gpuE2ELNS1_3repE0EEENS1_30default_config_static_selectorELNS0_4arch9wavefront6targetE1EEEvT1_,"axG",@progbits,_ZN7rocprim17ROCPRIM_400000_NS6detail17trampoline_kernelINS0_14default_configENS1_27scan_by_key_config_selectorIisEEZZNS1_16scan_by_key_implILNS1_25lookback_scan_determinismE0ELb1ES3_N6thrust23THRUST_200600_302600_NS6detail15normal_iteratorINS9_10device_ptrIiEEEENSB_INSC_IsEEEESG_sNS9_4plusIvEENS9_8equal_toIvEEsEE10hipError_tPvRmT2_T3_T4_T5_mT6_T7_P12ihipStream_tbENKUlT_T0_E_clISt17integral_constantIbLb0EES10_IbLb1EEEEDaSW_SX_EUlSW_E_NS1_11comp_targetILNS1_3genE8ELNS1_11target_archE1030ELNS1_3gpuE2ELNS1_3repE0EEENS1_30default_config_static_selectorELNS0_4arch9wavefront6targetE1EEEvT1_,comdat
.Lfunc_end1642:
	.size	_ZN7rocprim17ROCPRIM_400000_NS6detail17trampoline_kernelINS0_14default_configENS1_27scan_by_key_config_selectorIisEEZZNS1_16scan_by_key_implILNS1_25lookback_scan_determinismE0ELb1ES3_N6thrust23THRUST_200600_302600_NS6detail15normal_iteratorINS9_10device_ptrIiEEEENSB_INSC_IsEEEESG_sNS9_4plusIvEENS9_8equal_toIvEEsEE10hipError_tPvRmT2_T3_T4_T5_mT6_T7_P12ihipStream_tbENKUlT_T0_E_clISt17integral_constantIbLb0EES10_IbLb1EEEEDaSW_SX_EUlSW_E_NS1_11comp_targetILNS1_3genE8ELNS1_11target_archE1030ELNS1_3gpuE2ELNS1_3repE0EEENS1_30default_config_static_selectorELNS0_4arch9wavefront6targetE1EEEvT1_, .Lfunc_end1642-_ZN7rocprim17ROCPRIM_400000_NS6detail17trampoline_kernelINS0_14default_configENS1_27scan_by_key_config_selectorIisEEZZNS1_16scan_by_key_implILNS1_25lookback_scan_determinismE0ELb1ES3_N6thrust23THRUST_200600_302600_NS6detail15normal_iteratorINS9_10device_ptrIiEEEENSB_INSC_IsEEEESG_sNS9_4plusIvEENS9_8equal_toIvEEsEE10hipError_tPvRmT2_T3_T4_T5_mT6_T7_P12ihipStream_tbENKUlT_T0_E_clISt17integral_constantIbLb0EES10_IbLb1EEEEDaSW_SX_EUlSW_E_NS1_11comp_targetILNS1_3genE8ELNS1_11target_archE1030ELNS1_3gpuE2ELNS1_3repE0EEENS1_30default_config_static_selectorELNS0_4arch9wavefront6targetE1EEEvT1_
                                        ; -- End function
	.section	.AMDGPU.csdata,"",@progbits
; Kernel info:
; codeLenInByte = 0
; NumSgprs: 6
; NumVgprs: 0
; NumAgprs: 0
; TotalNumVgprs: 0
; ScratchSize: 0
; MemoryBound: 0
; FloatMode: 240
; IeeeMode: 1
; LDSByteSize: 0 bytes/workgroup (compile time only)
; SGPRBlocks: 0
; VGPRBlocks: 0
; NumSGPRsForWavesPerEU: 6
; NumVGPRsForWavesPerEU: 1
; AccumOffset: 4
; Occupancy: 8
; WaveLimiterHint : 0
; COMPUTE_PGM_RSRC2:SCRATCH_EN: 0
; COMPUTE_PGM_RSRC2:USER_SGPR: 2
; COMPUTE_PGM_RSRC2:TRAP_HANDLER: 0
; COMPUTE_PGM_RSRC2:TGID_X_EN: 1
; COMPUTE_PGM_RSRC2:TGID_Y_EN: 0
; COMPUTE_PGM_RSRC2:TGID_Z_EN: 0
; COMPUTE_PGM_RSRC2:TIDIG_COMP_CNT: 0
; COMPUTE_PGM_RSRC3_GFX90A:ACCUM_OFFSET: 0
; COMPUTE_PGM_RSRC3_GFX90A:TG_SPLIT: 0
	.section	.text._ZN6thrust23THRUST_200600_302600_NS11hip_rocprim14__parallel_for6kernelILj256ENS1_20__uninitialized_fill7functorINS0_10device_ptrIfEEfEEmLj1EEEvT0_T1_SA_,"axG",@progbits,_ZN6thrust23THRUST_200600_302600_NS11hip_rocprim14__parallel_for6kernelILj256ENS1_20__uninitialized_fill7functorINS0_10device_ptrIfEEfEEmLj1EEEvT0_T1_SA_,comdat
	.protected	_ZN6thrust23THRUST_200600_302600_NS11hip_rocprim14__parallel_for6kernelILj256ENS1_20__uninitialized_fill7functorINS0_10device_ptrIfEEfEEmLj1EEEvT0_T1_SA_ ; -- Begin function _ZN6thrust23THRUST_200600_302600_NS11hip_rocprim14__parallel_for6kernelILj256ENS1_20__uninitialized_fill7functorINS0_10device_ptrIfEEfEEmLj1EEEvT0_T1_SA_
	.globl	_ZN6thrust23THRUST_200600_302600_NS11hip_rocprim14__parallel_for6kernelILj256ENS1_20__uninitialized_fill7functorINS0_10device_ptrIfEEfEEmLj1EEEvT0_T1_SA_
	.p2align	8
	.type	_ZN6thrust23THRUST_200600_302600_NS11hip_rocprim14__parallel_for6kernelILj256ENS1_20__uninitialized_fill7functorINS0_10device_ptrIfEEfEEmLj1EEEvT0_T1_SA_,@function
_ZN6thrust23THRUST_200600_302600_NS11hip_rocprim14__parallel_for6kernelILj256ENS1_20__uninitialized_fill7functorINS0_10device_ptrIfEEfEEmLj1EEEvT0_T1_SA_: ; @_ZN6thrust23THRUST_200600_302600_NS11hip_rocprim14__parallel_for6kernelILj256ENS1_20__uninitialized_fill7functorINS0_10device_ptrIfEEfEEmLj1EEEvT0_T1_SA_
; %bb.0:
	s_load_dwordx4 s[4:7], s[0:1], 0x10
	s_lshl_b32 s2, s2, 8
	v_mov_b64_e32 v[2:3], 0x100
	s_waitcnt lgkmcnt(0)
	s_add_u32 s2, s2, s6
	s_addc_u32 s3, 0, s7
	s_sub_u32 s4, s4, s2
	s_subb_u32 s5, s5, s3
	v_cmp_lt_u64_e32 vcc, s[4:5], v[2:3]
	s_cbranch_vccz .LBB1643_2
; %bb.1:
	v_cmp_gt_u32_e32 vcc, s4, v0
	s_and_b64 s[4:5], vcc, exec
	s_cbranch_execz .LBB1643_3
	s_branch .LBB1643_4
.LBB1643_2:
	s_mov_b64 s[4:5], 0
.LBB1643_3:
	s_or_b64 s[4:5], s[4:5], exec
.LBB1643_4:
	s_and_saveexec_b64 s[6:7], s[4:5]
	s_cbranch_execnz .LBB1643_6
; %bb.5:
	s_endpgm
.LBB1643_6:
	s_load_dwordx2 s[4:5], s[0:1], 0x0
	s_load_dword s6, s[0:1], 0x8
	s_lshl_b64 s[0:1], s[2:3], 2
	v_mov_b32_e32 v1, 0
	s_waitcnt lgkmcnt(0)
	s_add_u32 s0, s4, s0
	s_addc_u32 s1, s5, s1
	v_lshl_add_u64 v[0:1], v[0:1], 2, s[0:1]
	v_mov_b32_e32 v2, s6
	flat_store_dword v[0:1], v2
	s_endpgm
	.section	.rodata,"a",@progbits
	.p2align	6, 0x0
	.amdhsa_kernel _ZN6thrust23THRUST_200600_302600_NS11hip_rocprim14__parallel_for6kernelILj256ENS1_20__uninitialized_fill7functorINS0_10device_ptrIfEEfEEmLj1EEEvT0_T1_SA_
		.amdhsa_group_segment_fixed_size 0
		.amdhsa_private_segment_fixed_size 0
		.amdhsa_kernarg_size 32
		.amdhsa_user_sgpr_count 2
		.amdhsa_user_sgpr_dispatch_ptr 0
		.amdhsa_user_sgpr_queue_ptr 0
		.amdhsa_user_sgpr_kernarg_segment_ptr 1
		.amdhsa_user_sgpr_dispatch_id 0
		.amdhsa_user_sgpr_kernarg_preload_length 0
		.amdhsa_user_sgpr_kernarg_preload_offset 0
		.amdhsa_user_sgpr_private_segment_size 0
		.amdhsa_uses_dynamic_stack 0
		.amdhsa_enable_private_segment 0
		.amdhsa_system_sgpr_workgroup_id_x 1
		.amdhsa_system_sgpr_workgroup_id_y 0
		.amdhsa_system_sgpr_workgroup_id_z 0
		.amdhsa_system_sgpr_workgroup_info 0
		.amdhsa_system_vgpr_workitem_id 0
		.amdhsa_next_free_vgpr 4
		.amdhsa_next_free_sgpr 8
		.amdhsa_accum_offset 4
		.amdhsa_reserve_vcc 1
		.amdhsa_float_round_mode_32 0
		.amdhsa_float_round_mode_16_64 0
		.amdhsa_float_denorm_mode_32 3
		.amdhsa_float_denorm_mode_16_64 3
		.amdhsa_dx10_clamp 1
		.amdhsa_ieee_mode 1
		.amdhsa_fp16_overflow 0
		.amdhsa_tg_split 0
		.amdhsa_exception_fp_ieee_invalid_op 0
		.amdhsa_exception_fp_denorm_src 0
		.amdhsa_exception_fp_ieee_div_zero 0
		.amdhsa_exception_fp_ieee_overflow 0
		.amdhsa_exception_fp_ieee_underflow 0
		.amdhsa_exception_fp_ieee_inexact 0
		.amdhsa_exception_int_div_zero 0
	.end_amdhsa_kernel
	.section	.text._ZN6thrust23THRUST_200600_302600_NS11hip_rocprim14__parallel_for6kernelILj256ENS1_20__uninitialized_fill7functorINS0_10device_ptrIfEEfEEmLj1EEEvT0_T1_SA_,"axG",@progbits,_ZN6thrust23THRUST_200600_302600_NS11hip_rocprim14__parallel_for6kernelILj256ENS1_20__uninitialized_fill7functorINS0_10device_ptrIfEEfEEmLj1EEEvT0_T1_SA_,comdat
.Lfunc_end1643:
	.size	_ZN6thrust23THRUST_200600_302600_NS11hip_rocprim14__parallel_for6kernelILj256ENS1_20__uninitialized_fill7functorINS0_10device_ptrIfEEfEEmLj1EEEvT0_T1_SA_, .Lfunc_end1643-_ZN6thrust23THRUST_200600_302600_NS11hip_rocprim14__parallel_for6kernelILj256ENS1_20__uninitialized_fill7functorINS0_10device_ptrIfEEfEEmLj1EEEvT0_T1_SA_
                                        ; -- End function
	.section	.AMDGPU.csdata,"",@progbits
; Kernel info:
; codeLenInByte = 144
; NumSgprs: 14
; NumVgprs: 4
; NumAgprs: 0
; TotalNumVgprs: 4
; ScratchSize: 0
; MemoryBound: 0
; FloatMode: 240
; IeeeMode: 1
; LDSByteSize: 0 bytes/workgroup (compile time only)
; SGPRBlocks: 1
; VGPRBlocks: 0
; NumSGPRsForWavesPerEU: 14
; NumVGPRsForWavesPerEU: 4
; AccumOffset: 4
; Occupancy: 8
; WaveLimiterHint : 0
; COMPUTE_PGM_RSRC2:SCRATCH_EN: 0
; COMPUTE_PGM_RSRC2:USER_SGPR: 2
; COMPUTE_PGM_RSRC2:TRAP_HANDLER: 0
; COMPUTE_PGM_RSRC2:TGID_X_EN: 1
; COMPUTE_PGM_RSRC2:TGID_Y_EN: 0
; COMPUTE_PGM_RSRC2:TGID_Z_EN: 0
; COMPUTE_PGM_RSRC2:TIDIG_COMP_CNT: 0
; COMPUTE_PGM_RSRC3_GFX90A:ACCUM_OFFSET: 0
; COMPUTE_PGM_RSRC3_GFX90A:TG_SPLIT: 0
	.section	.text._ZN7rocprim17ROCPRIM_400000_NS6detail17trampoline_kernelINS0_14default_configENS1_27scan_by_key_config_selectorIijEEZZNS1_16scan_by_key_implILNS1_25lookback_scan_determinismE0ELb0ES3_N6thrust23THRUST_200600_302600_NS6detail15normal_iteratorINS9_10device_ptrIiEEEENSB_INSC_IjEEEENSB_INSC_IfEEEEjNS9_4plusIvEENS9_8equal_toIvEEjEE10hipError_tPvRmT2_T3_T4_T5_mT6_T7_P12ihipStream_tbENKUlT_T0_E_clISt17integral_constantIbLb0EES13_EEDaSY_SZ_EUlSY_E_NS1_11comp_targetILNS1_3genE0ELNS1_11target_archE4294967295ELNS1_3gpuE0ELNS1_3repE0EEENS1_30default_config_static_selectorELNS0_4arch9wavefront6targetE1EEEvT1_,"axG",@progbits,_ZN7rocprim17ROCPRIM_400000_NS6detail17trampoline_kernelINS0_14default_configENS1_27scan_by_key_config_selectorIijEEZZNS1_16scan_by_key_implILNS1_25lookback_scan_determinismE0ELb0ES3_N6thrust23THRUST_200600_302600_NS6detail15normal_iteratorINS9_10device_ptrIiEEEENSB_INSC_IjEEEENSB_INSC_IfEEEEjNS9_4plusIvEENS9_8equal_toIvEEjEE10hipError_tPvRmT2_T3_T4_T5_mT6_T7_P12ihipStream_tbENKUlT_T0_E_clISt17integral_constantIbLb0EES13_EEDaSY_SZ_EUlSY_E_NS1_11comp_targetILNS1_3genE0ELNS1_11target_archE4294967295ELNS1_3gpuE0ELNS1_3repE0EEENS1_30default_config_static_selectorELNS0_4arch9wavefront6targetE1EEEvT1_,comdat
	.protected	_ZN7rocprim17ROCPRIM_400000_NS6detail17trampoline_kernelINS0_14default_configENS1_27scan_by_key_config_selectorIijEEZZNS1_16scan_by_key_implILNS1_25lookback_scan_determinismE0ELb0ES3_N6thrust23THRUST_200600_302600_NS6detail15normal_iteratorINS9_10device_ptrIiEEEENSB_INSC_IjEEEENSB_INSC_IfEEEEjNS9_4plusIvEENS9_8equal_toIvEEjEE10hipError_tPvRmT2_T3_T4_T5_mT6_T7_P12ihipStream_tbENKUlT_T0_E_clISt17integral_constantIbLb0EES13_EEDaSY_SZ_EUlSY_E_NS1_11comp_targetILNS1_3genE0ELNS1_11target_archE4294967295ELNS1_3gpuE0ELNS1_3repE0EEENS1_30default_config_static_selectorELNS0_4arch9wavefront6targetE1EEEvT1_ ; -- Begin function _ZN7rocprim17ROCPRIM_400000_NS6detail17trampoline_kernelINS0_14default_configENS1_27scan_by_key_config_selectorIijEEZZNS1_16scan_by_key_implILNS1_25lookback_scan_determinismE0ELb0ES3_N6thrust23THRUST_200600_302600_NS6detail15normal_iteratorINS9_10device_ptrIiEEEENSB_INSC_IjEEEENSB_INSC_IfEEEEjNS9_4plusIvEENS9_8equal_toIvEEjEE10hipError_tPvRmT2_T3_T4_T5_mT6_T7_P12ihipStream_tbENKUlT_T0_E_clISt17integral_constantIbLb0EES13_EEDaSY_SZ_EUlSY_E_NS1_11comp_targetILNS1_3genE0ELNS1_11target_archE4294967295ELNS1_3gpuE0ELNS1_3repE0EEENS1_30default_config_static_selectorELNS0_4arch9wavefront6targetE1EEEvT1_
	.globl	_ZN7rocprim17ROCPRIM_400000_NS6detail17trampoline_kernelINS0_14default_configENS1_27scan_by_key_config_selectorIijEEZZNS1_16scan_by_key_implILNS1_25lookback_scan_determinismE0ELb0ES3_N6thrust23THRUST_200600_302600_NS6detail15normal_iteratorINS9_10device_ptrIiEEEENSB_INSC_IjEEEENSB_INSC_IfEEEEjNS9_4plusIvEENS9_8equal_toIvEEjEE10hipError_tPvRmT2_T3_T4_T5_mT6_T7_P12ihipStream_tbENKUlT_T0_E_clISt17integral_constantIbLb0EES13_EEDaSY_SZ_EUlSY_E_NS1_11comp_targetILNS1_3genE0ELNS1_11target_archE4294967295ELNS1_3gpuE0ELNS1_3repE0EEENS1_30default_config_static_selectorELNS0_4arch9wavefront6targetE1EEEvT1_
	.p2align	8
	.type	_ZN7rocprim17ROCPRIM_400000_NS6detail17trampoline_kernelINS0_14default_configENS1_27scan_by_key_config_selectorIijEEZZNS1_16scan_by_key_implILNS1_25lookback_scan_determinismE0ELb0ES3_N6thrust23THRUST_200600_302600_NS6detail15normal_iteratorINS9_10device_ptrIiEEEENSB_INSC_IjEEEENSB_INSC_IfEEEEjNS9_4plusIvEENS9_8equal_toIvEEjEE10hipError_tPvRmT2_T3_T4_T5_mT6_T7_P12ihipStream_tbENKUlT_T0_E_clISt17integral_constantIbLb0EES13_EEDaSY_SZ_EUlSY_E_NS1_11comp_targetILNS1_3genE0ELNS1_11target_archE4294967295ELNS1_3gpuE0ELNS1_3repE0EEENS1_30default_config_static_selectorELNS0_4arch9wavefront6targetE1EEEvT1_,@function
_ZN7rocprim17ROCPRIM_400000_NS6detail17trampoline_kernelINS0_14default_configENS1_27scan_by_key_config_selectorIijEEZZNS1_16scan_by_key_implILNS1_25lookback_scan_determinismE0ELb0ES3_N6thrust23THRUST_200600_302600_NS6detail15normal_iteratorINS9_10device_ptrIiEEEENSB_INSC_IjEEEENSB_INSC_IfEEEEjNS9_4plusIvEENS9_8equal_toIvEEjEE10hipError_tPvRmT2_T3_T4_T5_mT6_T7_P12ihipStream_tbENKUlT_T0_E_clISt17integral_constantIbLb0EES13_EEDaSY_SZ_EUlSY_E_NS1_11comp_targetILNS1_3genE0ELNS1_11target_archE4294967295ELNS1_3gpuE0ELNS1_3repE0EEENS1_30default_config_static_selectorELNS0_4arch9wavefront6targetE1EEEvT1_: ; @_ZN7rocprim17ROCPRIM_400000_NS6detail17trampoline_kernelINS0_14default_configENS1_27scan_by_key_config_selectorIijEEZZNS1_16scan_by_key_implILNS1_25lookback_scan_determinismE0ELb0ES3_N6thrust23THRUST_200600_302600_NS6detail15normal_iteratorINS9_10device_ptrIiEEEENSB_INSC_IjEEEENSB_INSC_IfEEEEjNS9_4plusIvEENS9_8equal_toIvEEjEE10hipError_tPvRmT2_T3_T4_T5_mT6_T7_P12ihipStream_tbENKUlT_T0_E_clISt17integral_constantIbLb0EES13_EEDaSY_SZ_EUlSY_E_NS1_11comp_targetILNS1_3genE0ELNS1_11target_archE4294967295ELNS1_3gpuE0ELNS1_3repE0EEENS1_30default_config_static_selectorELNS0_4arch9wavefront6targetE1EEEvT1_
; %bb.0:
	.section	.rodata,"a",@progbits
	.p2align	6, 0x0
	.amdhsa_kernel _ZN7rocprim17ROCPRIM_400000_NS6detail17trampoline_kernelINS0_14default_configENS1_27scan_by_key_config_selectorIijEEZZNS1_16scan_by_key_implILNS1_25lookback_scan_determinismE0ELb0ES3_N6thrust23THRUST_200600_302600_NS6detail15normal_iteratorINS9_10device_ptrIiEEEENSB_INSC_IjEEEENSB_INSC_IfEEEEjNS9_4plusIvEENS9_8equal_toIvEEjEE10hipError_tPvRmT2_T3_T4_T5_mT6_T7_P12ihipStream_tbENKUlT_T0_E_clISt17integral_constantIbLb0EES13_EEDaSY_SZ_EUlSY_E_NS1_11comp_targetILNS1_3genE0ELNS1_11target_archE4294967295ELNS1_3gpuE0ELNS1_3repE0EEENS1_30default_config_static_selectorELNS0_4arch9wavefront6targetE1EEEvT1_
		.amdhsa_group_segment_fixed_size 0
		.amdhsa_private_segment_fixed_size 0
		.amdhsa_kernarg_size 112
		.amdhsa_user_sgpr_count 2
		.amdhsa_user_sgpr_dispatch_ptr 0
		.amdhsa_user_sgpr_queue_ptr 0
		.amdhsa_user_sgpr_kernarg_segment_ptr 1
		.amdhsa_user_sgpr_dispatch_id 0
		.amdhsa_user_sgpr_kernarg_preload_length 0
		.amdhsa_user_sgpr_kernarg_preload_offset 0
		.amdhsa_user_sgpr_private_segment_size 0
		.amdhsa_uses_dynamic_stack 0
		.amdhsa_enable_private_segment 0
		.amdhsa_system_sgpr_workgroup_id_x 1
		.amdhsa_system_sgpr_workgroup_id_y 0
		.amdhsa_system_sgpr_workgroup_id_z 0
		.amdhsa_system_sgpr_workgroup_info 0
		.amdhsa_system_vgpr_workitem_id 0
		.amdhsa_next_free_vgpr 1
		.amdhsa_next_free_sgpr 0
		.amdhsa_accum_offset 4
		.amdhsa_reserve_vcc 0
		.amdhsa_float_round_mode_32 0
		.amdhsa_float_round_mode_16_64 0
		.amdhsa_float_denorm_mode_32 3
		.amdhsa_float_denorm_mode_16_64 3
		.amdhsa_dx10_clamp 1
		.amdhsa_ieee_mode 1
		.amdhsa_fp16_overflow 0
		.amdhsa_tg_split 0
		.amdhsa_exception_fp_ieee_invalid_op 0
		.amdhsa_exception_fp_denorm_src 0
		.amdhsa_exception_fp_ieee_div_zero 0
		.amdhsa_exception_fp_ieee_overflow 0
		.amdhsa_exception_fp_ieee_underflow 0
		.amdhsa_exception_fp_ieee_inexact 0
		.amdhsa_exception_int_div_zero 0
	.end_amdhsa_kernel
	.section	.text._ZN7rocprim17ROCPRIM_400000_NS6detail17trampoline_kernelINS0_14default_configENS1_27scan_by_key_config_selectorIijEEZZNS1_16scan_by_key_implILNS1_25lookback_scan_determinismE0ELb0ES3_N6thrust23THRUST_200600_302600_NS6detail15normal_iteratorINS9_10device_ptrIiEEEENSB_INSC_IjEEEENSB_INSC_IfEEEEjNS9_4plusIvEENS9_8equal_toIvEEjEE10hipError_tPvRmT2_T3_T4_T5_mT6_T7_P12ihipStream_tbENKUlT_T0_E_clISt17integral_constantIbLb0EES13_EEDaSY_SZ_EUlSY_E_NS1_11comp_targetILNS1_3genE0ELNS1_11target_archE4294967295ELNS1_3gpuE0ELNS1_3repE0EEENS1_30default_config_static_selectorELNS0_4arch9wavefront6targetE1EEEvT1_,"axG",@progbits,_ZN7rocprim17ROCPRIM_400000_NS6detail17trampoline_kernelINS0_14default_configENS1_27scan_by_key_config_selectorIijEEZZNS1_16scan_by_key_implILNS1_25lookback_scan_determinismE0ELb0ES3_N6thrust23THRUST_200600_302600_NS6detail15normal_iteratorINS9_10device_ptrIiEEEENSB_INSC_IjEEEENSB_INSC_IfEEEEjNS9_4plusIvEENS9_8equal_toIvEEjEE10hipError_tPvRmT2_T3_T4_T5_mT6_T7_P12ihipStream_tbENKUlT_T0_E_clISt17integral_constantIbLb0EES13_EEDaSY_SZ_EUlSY_E_NS1_11comp_targetILNS1_3genE0ELNS1_11target_archE4294967295ELNS1_3gpuE0ELNS1_3repE0EEENS1_30default_config_static_selectorELNS0_4arch9wavefront6targetE1EEEvT1_,comdat
.Lfunc_end1644:
	.size	_ZN7rocprim17ROCPRIM_400000_NS6detail17trampoline_kernelINS0_14default_configENS1_27scan_by_key_config_selectorIijEEZZNS1_16scan_by_key_implILNS1_25lookback_scan_determinismE0ELb0ES3_N6thrust23THRUST_200600_302600_NS6detail15normal_iteratorINS9_10device_ptrIiEEEENSB_INSC_IjEEEENSB_INSC_IfEEEEjNS9_4plusIvEENS9_8equal_toIvEEjEE10hipError_tPvRmT2_T3_T4_T5_mT6_T7_P12ihipStream_tbENKUlT_T0_E_clISt17integral_constantIbLb0EES13_EEDaSY_SZ_EUlSY_E_NS1_11comp_targetILNS1_3genE0ELNS1_11target_archE4294967295ELNS1_3gpuE0ELNS1_3repE0EEENS1_30default_config_static_selectorELNS0_4arch9wavefront6targetE1EEEvT1_, .Lfunc_end1644-_ZN7rocprim17ROCPRIM_400000_NS6detail17trampoline_kernelINS0_14default_configENS1_27scan_by_key_config_selectorIijEEZZNS1_16scan_by_key_implILNS1_25lookback_scan_determinismE0ELb0ES3_N6thrust23THRUST_200600_302600_NS6detail15normal_iteratorINS9_10device_ptrIiEEEENSB_INSC_IjEEEENSB_INSC_IfEEEEjNS9_4plusIvEENS9_8equal_toIvEEjEE10hipError_tPvRmT2_T3_T4_T5_mT6_T7_P12ihipStream_tbENKUlT_T0_E_clISt17integral_constantIbLb0EES13_EEDaSY_SZ_EUlSY_E_NS1_11comp_targetILNS1_3genE0ELNS1_11target_archE4294967295ELNS1_3gpuE0ELNS1_3repE0EEENS1_30default_config_static_selectorELNS0_4arch9wavefront6targetE1EEEvT1_
                                        ; -- End function
	.section	.AMDGPU.csdata,"",@progbits
; Kernel info:
; codeLenInByte = 0
; NumSgprs: 6
; NumVgprs: 0
; NumAgprs: 0
; TotalNumVgprs: 0
; ScratchSize: 0
; MemoryBound: 0
; FloatMode: 240
; IeeeMode: 1
; LDSByteSize: 0 bytes/workgroup (compile time only)
; SGPRBlocks: 0
; VGPRBlocks: 0
; NumSGPRsForWavesPerEU: 6
; NumVGPRsForWavesPerEU: 1
; AccumOffset: 4
; Occupancy: 8
; WaveLimiterHint : 0
; COMPUTE_PGM_RSRC2:SCRATCH_EN: 0
; COMPUTE_PGM_RSRC2:USER_SGPR: 2
; COMPUTE_PGM_RSRC2:TRAP_HANDLER: 0
; COMPUTE_PGM_RSRC2:TGID_X_EN: 1
; COMPUTE_PGM_RSRC2:TGID_Y_EN: 0
; COMPUTE_PGM_RSRC2:TGID_Z_EN: 0
; COMPUTE_PGM_RSRC2:TIDIG_COMP_CNT: 0
; COMPUTE_PGM_RSRC3_GFX90A:ACCUM_OFFSET: 0
; COMPUTE_PGM_RSRC3_GFX90A:TG_SPLIT: 0
	.section	.text._ZN7rocprim17ROCPRIM_400000_NS6detail17trampoline_kernelINS0_14default_configENS1_27scan_by_key_config_selectorIijEEZZNS1_16scan_by_key_implILNS1_25lookback_scan_determinismE0ELb0ES3_N6thrust23THRUST_200600_302600_NS6detail15normal_iteratorINS9_10device_ptrIiEEEENSB_INSC_IjEEEENSB_INSC_IfEEEEjNS9_4plusIvEENS9_8equal_toIvEEjEE10hipError_tPvRmT2_T3_T4_T5_mT6_T7_P12ihipStream_tbENKUlT_T0_E_clISt17integral_constantIbLb0EES13_EEDaSY_SZ_EUlSY_E_NS1_11comp_targetILNS1_3genE10ELNS1_11target_archE1201ELNS1_3gpuE5ELNS1_3repE0EEENS1_30default_config_static_selectorELNS0_4arch9wavefront6targetE1EEEvT1_,"axG",@progbits,_ZN7rocprim17ROCPRIM_400000_NS6detail17trampoline_kernelINS0_14default_configENS1_27scan_by_key_config_selectorIijEEZZNS1_16scan_by_key_implILNS1_25lookback_scan_determinismE0ELb0ES3_N6thrust23THRUST_200600_302600_NS6detail15normal_iteratorINS9_10device_ptrIiEEEENSB_INSC_IjEEEENSB_INSC_IfEEEEjNS9_4plusIvEENS9_8equal_toIvEEjEE10hipError_tPvRmT2_T3_T4_T5_mT6_T7_P12ihipStream_tbENKUlT_T0_E_clISt17integral_constantIbLb0EES13_EEDaSY_SZ_EUlSY_E_NS1_11comp_targetILNS1_3genE10ELNS1_11target_archE1201ELNS1_3gpuE5ELNS1_3repE0EEENS1_30default_config_static_selectorELNS0_4arch9wavefront6targetE1EEEvT1_,comdat
	.protected	_ZN7rocprim17ROCPRIM_400000_NS6detail17trampoline_kernelINS0_14default_configENS1_27scan_by_key_config_selectorIijEEZZNS1_16scan_by_key_implILNS1_25lookback_scan_determinismE0ELb0ES3_N6thrust23THRUST_200600_302600_NS6detail15normal_iteratorINS9_10device_ptrIiEEEENSB_INSC_IjEEEENSB_INSC_IfEEEEjNS9_4plusIvEENS9_8equal_toIvEEjEE10hipError_tPvRmT2_T3_T4_T5_mT6_T7_P12ihipStream_tbENKUlT_T0_E_clISt17integral_constantIbLb0EES13_EEDaSY_SZ_EUlSY_E_NS1_11comp_targetILNS1_3genE10ELNS1_11target_archE1201ELNS1_3gpuE5ELNS1_3repE0EEENS1_30default_config_static_selectorELNS0_4arch9wavefront6targetE1EEEvT1_ ; -- Begin function _ZN7rocprim17ROCPRIM_400000_NS6detail17trampoline_kernelINS0_14default_configENS1_27scan_by_key_config_selectorIijEEZZNS1_16scan_by_key_implILNS1_25lookback_scan_determinismE0ELb0ES3_N6thrust23THRUST_200600_302600_NS6detail15normal_iteratorINS9_10device_ptrIiEEEENSB_INSC_IjEEEENSB_INSC_IfEEEEjNS9_4plusIvEENS9_8equal_toIvEEjEE10hipError_tPvRmT2_T3_T4_T5_mT6_T7_P12ihipStream_tbENKUlT_T0_E_clISt17integral_constantIbLb0EES13_EEDaSY_SZ_EUlSY_E_NS1_11comp_targetILNS1_3genE10ELNS1_11target_archE1201ELNS1_3gpuE5ELNS1_3repE0EEENS1_30default_config_static_selectorELNS0_4arch9wavefront6targetE1EEEvT1_
	.globl	_ZN7rocprim17ROCPRIM_400000_NS6detail17trampoline_kernelINS0_14default_configENS1_27scan_by_key_config_selectorIijEEZZNS1_16scan_by_key_implILNS1_25lookback_scan_determinismE0ELb0ES3_N6thrust23THRUST_200600_302600_NS6detail15normal_iteratorINS9_10device_ptrIiEEEENSB_INSC_IjEEEENSB_INSC_IfEEEEjNS9_4plusIvEENS9_8equal_toIvEEjEE10hipError_tPvRmT2_T3_T4_T5_mT6_T7_P12ihipStream_tbENKUlT_T0_E_clISt17integral_constantIbLb0EES13_EEDaSY_SZ_EUlSY_E_NS1_11comp_targetILNS1_3genE10ELNS1_11target_archE1201ELNS1_3gpuE5ELNS1_3repE0EEENS1_30default_config_static_selectorELNS0_4arch9wavefront6targetE1EEEvT1_
	.p2align	8
	.type	_ZN7rocprim17ROCPRIM_400000_NS6detail17trampoline_kernelINS0_14default_configENS1_27scan_by_key_config_selectorIijEEZZNS1_16scan_by_key_implILNS1_25lookback_scan_determinismE0ELb0ES3_N6thrust23THRUST_200600_302600_NS6detail15normal_iteratorINS9_10device_ptrIiEEEENSB_INSC_IjEEEENSB_INSC_IfEEEEjNS9_4plusIvEENS9_8equal_toIvEEjEE10hipError_tPvRmT2_T3_T4_T5_mT6_T7_P12ihipStream_tbENKUlT_T0_E_clISt17integral_constantIbLb0EES13_EEDaSY_SZ_EUlSY_E_NS1_11comp_targetILNS1_3genE10ELNS1_11target_archE1201ELNS1_3gpuE5ELNS1_3repE0EEENS1_30default_config_static_selectorELNS0_4arch9wavefront6targetE1EEEvT1_,@function
_ZN7rocprim17ROCPRIM_400000_NS6detail17trampoline_kernelINS0_14default_configENS1_27scan_by_key_config_selectorIijEEZZNS1_16scan_by_key_implILNS1_25lookback_scan_determinismE0ELb0ES3_N6thrust23THRUST_200600_302600_NS6detail15normal_iteratorINS9_10device_ptrIiEEEENSB_INSC_IjEEEENSB_INSC_IfEEEEjNS9_4plusIvEENS9_8equal_toIvEEjEE10hipError_tPvRmT2_T3_T4_T5_mT6_T7_P12ihipStream_tbENKUlT_T0_E_clISt17integral_constantIbLb0EES13_EEDaSY_SZ_EUlSY_E_NS1_11comp_targetILNS1_3genE10ELNS1_11target_archE1201ELNS1_3gpuE5ELNS1_3repE0EEENS1_30default_config_static_selectorELNS0_4arch9wavefront6targetE1EEEvT1_: ; @_ZN7rocprim17ROCPRIM_400000_NS6detail17trampoline_kernelINS0_14default_configENS1_27scan_by_key_config_selectorIijEEZZNS1_16scan_by_key_implILNS1_25lookback_scan_determinismE0ELb0ES3_N6thrust23THRUST_200600_302600_NS6detail15normal_iteratorINS9_10device_ptrIiEEEENSB_INSC_IjEEEENSB_INSC_IfEEEEjNS9_4plusIvEENS9_8equal_toIvEEjEE10hipError_tPvRmT2_T3_T4_T5_mT6_T7_P12ihipStream_tbENKUlT_T0_E_clISt17integral_constantIbLb0EES13_EEDaSY_SZ_EUlSY_E_NS1_11comp_targetILNS1_3genE10ELNS1_11target_archE1201ELNS1_3gpuE5ELNS1_3repE0EEENS1_30default_config_static_selectorELNS0_4arch9wavefront6targetE1EEEvT1_
; %bb.0:
	.section	.rodata,"a",@progbits
	.p2align	6, 0x0
	.amdhsa_kernel _ZN7rocprim17ROCPRIM_400000_NS6detail17trampoline_kernelINS0_14default_configENS1_27scan_by_key_config_selectorIijEEZZNS1_16scan_by_key_implILNS1_25lookback_scan_determinismE0ELb0ES3_N6thrust23THRUST_200600_302600_NS6detail15normal_iteratorINS9_10device_ptrIiEEEENSB_INSC_IjEEEENSB_INSC_IfEEEEjNS9_4plusIvEENS9_8equal_toIvEEjEE10hipError_tPvRmT2_T3_T4_T5_mT6_T7_P12ihipStream_tbENKUlT_T0_E_clISt17integral_constantIbLb0EES13_EEDaSY_SZ_EUlSY_E_NS1_11comp_targetILNS1_3genE10ELNS1_11target_archE1201ELNS1_3gpuE5ELNS1_3repE0EEENS1_30default_config_static_selectorELNS0_4arch9wavefront6targetE1EEEvT1_
		.amdhsa_group_segment_fixed_size 0
		.amdhsa_private_segment_fixed_size 0
		.amdhsa_kernarg_size 112
		.amdhsa_user_sgpr_count 2
		.amdhsa_user_sgpr_dispatch_ptr 0
		.amdhsa_user_sgpr_queue_ptr 0
		.amdhsa_user_sgpr_kernarg_segment_ptr 1
		.amdhsa_user_sgpr_dispatch_id 0
		.amdhsa_user_sgpr_kernarg_preload_length 0
		.amdhsa_user_sgpr_kernarg_preload_offset 0
		.amdhsa_user_sgpr_private_segment_size 0
		.amdhsa_uses_dynamic_stack 0
		.amdhsa_enable_private_segment 0
		.amdhsa_system_sgpr_workgroup_id_x 1
		.amdhsa_system_sgpr_workgroup_id_y 0
		.amdhsa_system_sgpr_workgroup_id_z 0
		.amdhsa_system_sgpr_workgroup_info 0
		.amdhsa_system_vgpr_workitem_id 0
		.amdhsa_next_free_vgpr 1
		.amdhsa_next_free_sgpr 0
		.amdhsa_accum_offset 4
		.amdhsa_reserve_vcc 0
		.amdhsa_float_round_mode_32 0
		.amdhsa_float_round_mode_16_64 0
		.amdhsa_float_denorm_mode_32 3
		.amdhsa_float_denorm_mode_16_64 3
		.amdhsa_dx10_clamp 1
		.amdhsa_ieee_mode 1
		.amdhsa_fp16_overflow 0
		.amdhsa_tg_split 0
		.amdhsa_exception_fp_ieee_invalid_op 0
		.amdhsa_exception_fp_denorm_src 0
		.amdhsa_exception_fp_ieee_div_zero 0
		.amdhsa_exception_fp_ieee_overflow 0
		.amdhsa_exception_fp_ieee_underflow 0
		.amdhsa_exception_fp_ieee_inexact 0
		.amdhsa_exception_int_div_zero 0
	.end_amdhsa_kernel
	.section	.text._ZN7rocprim17ROCPRIM_400000_NS6detail17trampoline_kernelINS0_14default_configENS1_27scan_by_key_config_selectorIijEEZZNS1_16scan_by_key_implILNS1_25lookback_scan_determinismE0ELb0ES3_N6thrust23THRUST_200600_302600_NS6detail15normal_iteratorINS9_10device_ptrIiEEEENSB_INSC_IjEEEENSB_INSC_IfEEEEjNS9_4plusIvEENS9_8equal_toIvEEjEE10hipError_tPvRmT2_T3_T4_T5_mT6_T7_P12ihipStream_tbENKUlT_T0_E_clISt17integral_constantIbLb0EES13_EEDaSY_SZ_EUlSY_E_NS1_11comp_targetILNS1_3genE10ELNS1_11target_archE1201ELNS1_3gpuE5ELNS1_3repE0EEENS1_30default_config_static_selectorELNS0_4arch9wavefront6targetE1EEEvT1_,"axG",@progbits,_ZN7rocprim17ROCPRIM_400000_NS6detail17trampoline_kernelINS0_14default_configENS1_27scan_by_key_config_selectorIijEEZZNS1_16scan_by_key_implILNS1_25lookback_scan_determinismE0ELb0ES3_N6thrust23THRUST_200600_302600_NS6detail15normal_iteratorINS9_10device_ptrIiEEEENSB_INSC_IjEEEENSB_INSC_IfEEEEjNS9_4plusIvEENS9_8equal_toIvEEjEE10hipError_tPvRmT2_T3_T4_T5_mT6_T7_P12ihipStream_tbENKUlT_T0_E_clISt17integral_constantIbLb0EES13_EEDaSY_SZ_EUlSY_E_NS1_11comp_targetILNS1_3genE10ELNS1_11target_archE1201ELNS1_3gpuE5ELNS1_3repE0EEENS1_30default_config_static_selectorELNS0_4arch9wavefront6targetE1EEEvT1_,comdat
.Lfunc_end1645:
	.size	_ZN7rocprim17ROCPRIM_400000_NS6detail17trampoline_kernelINS0_14default_configENS1_27scan_by_key_config_selectorIijEEZZNS1_16scan_by_key_implILNS1_25lookback_scan_determinismE0ELb0ES3_N6thrust23THRUST_200600_302600_NS6detail15normal_iteratorINS9_10device_ptrIiEEEENSB_INSC_IjEEEENSB_INSC_IfEEEEjNS9_4plusIvEENS9_8equal_toIvEEjEE10hipError_tPvRmT2_T3_T4_T5_mT6_T7_P12ihipStream_tbENKUlT_T0_E_clISt17integral_constantIbLb0EES13_EEDaSY_SZ_EUlSY_E_NS1_11comp_targetILNS1_3genE10ELNS1_11target_archE1201ELNS1_3gpuE5ELNS1_3repE0EEENS1_30default_config_static_selectorELNS0_4arch9wavefront6targetE1EEEvT1_, .Lfunc_end1645-_ZN7rocprim17ROCPRIM_400000_NS6detail17trampoline_kernelINS0_14default_configENS1_27scan_by_key_config_selectorIijEEZZNS1_16scan_by_key_implILNS1_25lookback_scan_determinismE0ELb0ES3_N6thrust23THRUST_200600_302600_NS6detail15normal_iteratorINS9_10device_ptrIiEEEENSB_INSC_IjEEEENSB_INSC_IfEEEEjNS9_4plusIvEENS9_8equal_toIvEEjEE10hipError_tPvRmT2_T3_T4_T5_mT6_T7_P12ihipStream_tbENKUlT_T0_E_clISt17integral_constantIbLb0EES13_EEDaSY_SZ_EUlSY_E_NS1_11comp_targetILNS1_3genE10ELNS1_11target_archE1201ELNS1_3gpuE5ELNS1_3repE0EEENS1_30default_config_static_selectorELNS0_4arch9wavefront6targetE1EEEvT1_
                                        ; -- End function
	.section	.AMDGPU.csdata,"",@progbits
; Kernel info:
; codeLenInByte = 0
; NumSgprs: 6
; NumVgprs: 0
; NumAgprs: 0
; TotalNumVgprs: 0
; ScratchSize: 0
; MemoryBound: 0
; FloatMode: 240
; IeeeMode: 1
; LDSByteSize: 0 bytes/workgroup (compile time only)
; SGPRBlocks: 0
; VGPRBlocks: 0
; NumSGPRsForWavesPerEU: 6
; NumVGPRsForWavesPerEU: 1
; AccumOffset: 4
; Occupancy: 8
; WaveLimiterHint : 0
; COMPUTE_PGM_RSRC2:SCRATCH_EN: 0
; COMPUTE_PGM_RSRC2:USER_SGPR: 2
; COMPUTE_PGM_RSRC2:TRAP_HANDLER: 0
; COMPUTE_PGM_RSRC2:TGID_X_EN: 1
; COMPUTE_PGM_RSRC2:TGID_Y_EN: 0
; COMPUTE_PGM_RSRC2:TGID_Z_EN: 0
; COMPUTE_PGM_RSRC2:TIDIG_COMP_CNT: 0
; COMPUTE_PGM_RSRC3_GFX90A:ACCUM_OFFSET: 0
; COMPUTE_PGM_RSRC3_GFX90A:TG_SPLIT: 0
	.section	.text._ZN7rocprim17ROCPRIM_400000_NS6detail17trampoline_kernelINS0_14default_configENS1_27scan_by_key_config_selectorIijEEZZNS1_16scan_by_key_implILNS1_25lookback_scan_determinismE0ELb0ES3_N6thrust23THRUST_200600_302600_NS6detail15normal_iteratorINS9_10device_ptrIiEEEENSB_INSC_IjEEEENSB_INSC_IfEEEEjNS9_4plusIvEENS9_8equal_toIvEEjEE10hipError_tPvRmT2_T3_T4_T5_mT6_T7_P12ihipStream_tbENKUlT_T0_E_clISt17integral_constantIbLb0EES13_EEDaSY_SZ_EUlSY_E_NS1_11comp_targetILNS1_3genE5ELNS1_11target_archE942ELNS1_3gpuE9ELNS1_3repE0EEENS1_30default_config_static_selectorELNS0_4arch9wavefront6targetE1EEEvT1_,"axG",@progbits,_ZN7rocprim17ROCPRIM_400000_NS6detail17trampoline_kernelINS0_14default_configENS1_27scan_by_key_config_selectorIijEEZZNS1_16scan_by_key_implILNS1_25lookback_scan_determinismE0ELb0ES3_N6thrust23THRUST_200600_302600_NS6detail15normal_iteratorINS9_10device_ptrIiEEEENSB_INSC_IjEEEENSB_INSC_IfEEEEjNS9_4plusIvEENS9_8equal_toIvEEjEE10hipError_tPvRmT2_T3_T4_T5_mT6_T7_P12ihipStream_tbENKUlT_T0_E_clISt17integral_constantIbLb0EES13_EEDaSY_SZ_EUlSY_E_NS1_11comp_targetILNS1_3genE5ELNS1_11target_archE942ELNS1_3gpuE9ELNS1_3repE0EEENS1_30default_config_static_selectorELNS0_4arch9wavefront6targetE1EEEvT1_,comdat
	.protected	_ZN7rocprim17ROCPRIM_400000_NS6detail17trampoline_kernelINS0_14default_configENS1_27scan_by_key_config_selectorIijEEZZNS1_16scan_by_key_implILNS1_25lookback_scan_determinismE0ELb0ES3_N6thrust23THRUST_200600_302600_NS6detail15normal_iteratorINS9_10device_ptrIiEEEENSB_INSC_IjEEEENSB_INSC_IfEEEEjNS9_4plusIvEENS9_8equal_toIvEEjEE10hipError_tPvRmT2_T3_T4_T5_mT6_T7_P12ihipStream_tbENKUlT_T0_E_clISt17integral_constantIbLb0EES13_EEDaSY_SZ_EUlSY_E_NS1_11comp_targetILNS1_3genE5ELNS1_11target_archE942ELNS1_3gpuE9ELNS1_3repE0EEENS1_30default_config_static_selectorELNS0_4arch9wavefront6targetE1EEEvT1_ ; -- Begin function _ZN7rocprim17ROCPRIM_400000_NS6detail17trampoline_kernelINS0_14default_configENS1_27scan_by_key_config_selectorIijEEZZNS1_16scan_by_key_implILNS1_25lookback_scan_determinismE0ELb0ES3_N6thrust23THRUST_200600_302600_NS6detail15normal_iteratorINS9_10device_ptrIiEEEENSB_INSC_IjEEEENSB_INSC_IfEEEEjNS9_4plusIvEENS9_8equal_toIvEEjEE10hipError_tPvRmT2_T3_T4_T5_mT6_T7_P12ihipStream_tbENKUlT_T0_E_clISt17integral_constantIbLb0EES13_EEDaSY_SZ_EUlSY_E_NS1_11comp_targetILNS1_3genE5ELNS1_11target_archE942ELNS1_3gpuE9ELNS1_3repE0EEENS1_30default_config_static_selectorELNS0_4arch9wavefront6targetE1EEEvT1_
	.globl	_ZN7rocprim17ROCPRIM_400000_NS6detail17trampoline_kernelINS0_14default_configENS1_27scan_by_key_config_selectorIijEEZZNS1_16scan_by_key_implILNS1_25lookback_scan_determinismE0ELb0ES3_N6thrust23THRUST_200600_302600_NS6detail15normal_iteratorINS9_10device_ptrIiEEEENSB_INSC_IjEEEENSB_INSC_IfEEEEjNS9_4plusIvEENS9_8equal_toIvEEjEE10hipError_tPvRmT2_T3_T4_T5_mT6_T7_P12ihipStream_tbENKUlT_T0_E_clISt17integral_constantIbLb0EES13_EEDaSY_SZ_EUlSY_E_NS1_11comp_targetILNS1_3genE5ELNS1_11target_archE942ELNS1_3gpuE9ELNS1_3repE0EEENS1_30default_config_static_selectorELNS0_4arch9wavefront6targetE1EEEvT1_
	.p2align	8
	.type	_ZN7rocprim17ROCPRIM_400000_NS6detail17trampoline_kernelINS0_14default_configENS1_27scan_by_key_config_selectorIijEEZZNS1_16scan_by_key_implILNS1_25lookback_scan_determinismE0ELb0ES3_N6thrust23THRUST_200600_302600_NS6detail15normal_iteratorINS9_10device_ptrIiEEEENSB_INSC_IjEEEENSB_INSC_IfEEEEjNS9_4plusIvEENS9_8equal_toIvEEjEE10hipError_tPvRmT2_T3_T4_T5_mT6_T7_P12ihipStream_tbENKUlT_T0_E_clISt17integral_constantIbLb0EES13_EEDaSY_SZ_EUlSY_E_NS1_11comp_targetILNS1_3genE5ELNS1_11target_archE942ELNS1_3gpuE9ELNS1_3repE0EEENS1_30default_config_static_selectorELNS0_4arch9wavefront6targetE1EEEvT1_,@function
_ZN7rocprim17ROCPRIM_400000_NS6detail17trampoline_kernelINS0_14default_configENS1_27scan_by_key_config_selectorIijEEZZNS1_16scan_by_key_implILNS1_25lookback_scan_determinismE0ELb0ES3_N6thrust23THRUST_200600_302600_NS6detail15normal_iteratorINS9_10device_ptrIiEEEENSB_INSC_IjEEEENSB_INSC_IfEEEEjNS9_4plusIvEENS9_8equal_toIvEEjEE10hipError_tPvRmT2_T3_T4_T5_mT6_T7_P12ihipStream_tbENKUlT_T0_E_clISt17integral_constantIbLb0EES13_EEDaSY_SZ_EUlSY_E_NS1_11comp_targetILNS1_3genE5ELNS1_11target_archE942ELNS1_3gpuE9ELNS1_3repE0EEENS1_30default_config_static_selectorELNS0_4arch9wavefront6targetE1EEEvT1_: ; @_ZN7rocprim17ROCPRIM_400000_NS6detail17trampoline_kernelINS0_14default_configENS1_27scan_by_key_config_selectorIijEEZZNS1_16scan_by_key_implILNS1_25lookback_scan_determinismE0ELb0ES3_N6thrust23THRUST_200600_302600_NS6detail15normal_iteratorINS9_10device_ptrIiEEEENSB_INSC_IjEEEENSB_INSC_IfEEEEjNS9_4plusIvEENS9_8equal_toIvEEjEE10hipError_tPvRmT2_T3_T4_T5_mT6_T7_P12ihipStream_tbENKUlT_T0_E_clISt17integral_constantIbLb0EES13_EEDaSY_SZ_EUlSY_E_NS1_11comp_targetILNS1_3genE5ELNS1_11target_archE942ELNS1_3gpuE9ELNS1_3repE0EEENS1_30default_config_static_selectorELNS0_4arch9wavefront6targetE1EEEvT1_
; %bb.0:
	s_load_dwordx8 s[52:59], s[0:1], 0x0
	s_load_dwordx4 s[68:71], s[0:1], 0x28
	s_load_dwordx2 s[74:75], s[0:1], 0x38
	s_load_dword s3, s[0:1], 0x40
	s_load_dwordx8 s[60:67], s[0:1], 0x48
	s_waitcnt lgkmcnt(0)
	s_lshl_b64 s[72:73], s[54:55], 2
	s_add_u32 s4, s52, s72
	s_addc_u32 s5, s53, s73
	s_add_u32 s6, s56, s72
	s_mul_i32 s0, s75, s3
	s_mul_hi_u32 s1, s74, s3
	s_addc_u32 s7, s57, s73
	s_add_i32 s8, s1, s0
	s_cmp_lg_u64 s[64:65], 0
	s_mul_i32 s0, s2, 0x1700
	s_mov_b32 s1, 0
	s_cselect_b64 s[64:65], -1, 0
	s_lshl_b64 s[56:57], s[0:1], 2
	s_add_u32 s54, s4, s56
	s_addc_u32 s55, s5, s57
	s_add_u32 s52, s6, s56
	s_mul_i32 s3, s74, s3
	s_addc_u32 s53, s7, s57
	s_add_u32 s76, s3, s2
	s_addc_u32 s77, s8, 0
	s_add_u32 s4, s60, -1
	s_addc_u32 s5, s61, -1
	v_mov_b64_e32 v[2:3], s[4:5]
	v_cmp_ge_u64_e64 s[0:1], s[76:77], v[2:3]
	s_mov_b64 s[10:11], 0
	s_mov_b64 s[6:7], -1
	s_and_b64 vcc, exec, s[0:1]
	s_mul_i32 s33, s4, 0xffffe900
	s_barrier
	s_cbranch_vccz .LBB1646_122
; %bb.1:
	v_mov_b64_e32 v[2:3], s[54:55]
	flat_load_dword v1, v[2:3]
	s_add_i32 s3, s33, s70
	v_cmp_gt_u32_e64 s[50:51], s3, v0
	s_waitcnt vmcnt(0) lgkmcnt(0)
	v_mov_b32_e32 v4, v1
	s_and_saveexec_b64 s[4:5], s[50:51]
	s_cbranch_execz .LBB1646_3
; %bb.2:
	v_lshlrev_b32_e32 v2, 2, v0
	v_mov_b32_e32 v3, 0
	v_lshl_add_u64 v[2:3], s[54:55], 0, v[2:3]
	flat_load_dword v4, v[2:3]
.LBB1646_3:
	s_or_b64 exec, exec, s[4:5]
	v_or_b32_e32 v2, 0x100, v0
	v_cmp_gt_u32_e64 s[4:5], s3, v2
	v_mov_b32_e32 v5, v1
	s_and_saveexec_b64 s[6:7], s[4:5]
	s_cbranch_execz .LBB1646_5
; %bb.4:
	v_lshlrev_b32_e32 v2, 2, v0
	v_mov_b32_e32 v3, 0
	v_lshl_add_u64 v[2:3], s[54:55], 0, v[2:3]
	flat_load_dword v5, v[2:3] offset:1024
.LBB1646_5:
	s_or_b64 exec, exec, s[6:7]
	v_or_b32_e32 v2, 0x200, v0
	v_cmp_gt_u32_e64 s[6:7], s3, v2
	v_mov_b32_e32 v6, v1
	s_and_saveexec_b64 s[8:9], s[6:7]
	s_cbranch_execz .LBB1646_7
; %bb.6:
	v_lshlrev_b32_e32 v2, 2, v0
	v_mov_b32_e32 v3, 0
	v_lshl_add_u64 v[2:3], s[54:55], 0, v[2:3]
	flat_load_dword v6, v[2:3] offset:2048
.LBB1646_7:
	;; [unrolled: 12-line block ×3, first 2 shown]
	s_or_b64 exec, exec, s[10:11]
	v_or_b32_e32 v2, 0x400, v0
	v_cmp_gt_u32_e64 s[10:11], s3, v2
	v_lshlrev_b32_e32 v2, 2, v2
	v_mov_b32_e32 v3, v1
	s_and_saveexec_b64 s[12:13], s[10:11]
	s_cbranch_execz .LBB1646_11
; %bb.10:
	v_mov_b32_e32 v3, 0
	v_lshl_add_u64 v[8:9], s[54:55], 0, v[2:3]
	flat_load_dword v3, v[8:9]
.LBB1646_11:
	s_or_b64 exec, exec, s[12:13]
	v_or_b32_e32 v8, 0x500, v0
	v_cmp_gt_u32_e64 s[12:13], s3, v8
	v_lshlrev_b32_e32 v10, 2, v8
	v_mov_b32_e32 v8, v1
	s_and_saveexec_b64 s[14:15], s[12:13]
	s_cbranch_execz .LBB1646_13
; %bb.12:
	v_mov_b32_e32 v11, 0
	v_lshl_add_u64 v[8:9], s[54:55], 0, v[10:11]
	flat_load_dword v8, v[8:9]
.LBB1646_13:
	s_or_b64 exec, exec, s[14:15]
	v_or_b32_e32 v9, 0x600, v0
	v_cmp_gt_u32_e64 s[14:15], s3, v9
	v_lshlrev_b32_e32 v12, 2, v9
	v_mov_b32_e32 v9, v1
	s_and_saveexec_b64 s[16:17], s[14:15]
	s_cbranch_execz .LBB1646_15
; %bb.14:
	v_mov_b32_e32 v13, 0
	v_lshl_add_u64 v[14:15], s[54:55], 0, v[12:13]
	flat_load_dword v9, v[14:15]
.LBB1646_15:
	s_or_b64 exec, exec, s[16:17]
	v_or_b32_e32 v11, 0x700, v0
	v_cmp_gt_u32_e64 s[16:17], s3, v11
	v_lshlrev_b32_e32 v14, 2, v11
	v_mov_b32_e32 v11, v1
	s_and_saveexec_b64 s[18:19], s[16:17]
	s_cbranch_execz .LBB1646_17
; %bb.16:
	v_mov_b32_e32 v15, 0
	v_lshl_add_u64 v[16:17], s[54:55], 0, v[14:15]
	flat_load_dword v11, v[16:17]
.LBB1646_17:
	s_or_b64 exec, exec, s[18:19]
	v_or_b32_e32 v13, 0x800, v0
	v_cmp_gt_u32_e64 s[18:19], s3, v13
	v_lshlrev_b32_e32 v16, 2, v13
	v_mov_b32_e32 v13, v1
	s_and_saveexec_b64 s[20:21], s[18:19]
	s_cbranch_execz .LBB1646_19
; %bb.18:
	v_mov_b32_e32 v17, 0
	v_lshl_add_u64 v[18:19], s[54:55], 0, v[16:17]
	flat_load_dword v13, v[18:19]
.LBB1646_19:
	s_or_b64 exec, exec, s[20:21]
	v_or_b32_e32 v15, 0x900, v0
	v_cmp_gt_u32_e64 s[20:21], s3, v15
	v_lshlrev_b32_e32 v18, 2, v15
	v_mov_b32_e32 v15, v1
	s_and_saveexec_b64 s[22:23], s[20:21]
	s_cbranch_execz .LBB1646_21
; %bb.20:
	v_mov_b32_e32 v19, 0
	v_lshl_add_u64 v[20:21], s[54:55], 0, v[18:19]
	flat_load_dword v15, v[20:21]
.LBB1646_21:
	s_or_b64 exec, exec, s[22:23]
	v_or_b32_e32 v17, 0xa00, v0
	v_cmp_gt_u32_e64 s[22:23], s3, v17
	v_lshlrev_b32_e32 v20, 2, v17
	v_mov_b32_e32 v17, v1
	s_and_saveexec_b64 s[24:25], s[22:23]
	s_cbranch_execz .LBB1646_23
; %bb.22:
	v_mov_b32_e32 v21, 0
	v_lshl_add_u64 v[22:23], s[54:55], 0, v[20:21]
	flat_load_dword v17, v[22:23]
.LBB1646_23:
	s_or_b64 exec, exec, s[24:25]
	v_or_b32_e32 v19, 0xb00, v0
	v_cmp_gt_u32_e64 s[24:25], s3, v19
	v_lshlrev_b32_e32 v22, 2, v19
	v_mov_b32_e32 v19, v1
	s_and_saveexec_b64 s[26:27], s[24:25]
	s_cbranch_execz .LBB1646_25
; %bb.24:
	v_mov_b32_e32 v23, 0
	v_lshl_add_u64 v[24:25], s[54:55], 0, v[22:23]
	flat_load_dword v19, v[24:25]
.LBB1646_25:
	s_or_b64 exec, exec, s[26:27]
	v_or_b32_e32 v21, 0xc00, v0
	v_cmp_gt_u32_e64 s[26:27], s3, v21
	v_lshlrev_b32_e32 v24, 2, v21
	v_mov_b32_e32 v21, v1
	s_and_saveexec_b64 s[28:29], s[26:27]
	s_cbranch_execz .LBB1646_27
; %bb.26:
	v_mov_b32_e32 v25, 0
	v_lshl_add_u64 v[26:27], s[54:55], 0, v[24:25]
	flat_load_dword v21, v[26:27]
.LBB1646_27:
	s_or_b64 exec, exec, s[28:29]
	v_or_b32_e32 v23, 0xd00, v0
	v_cmp_gt_u32_e64 s[28:29], s3, v23
	v_lshlrev_b32_e32 v26, 2, v23
	v_mov_b32_e32 v23, v1
	s_and_saveexec_b64 s[30:31], s[28:29]
	s_cbranch_execz .LBB1646_29
; %bb.28:
	v_mov_b32_e32 v27, 0
	v_lshl_add_u64 v[28:29], s[54:55], 0, v[26:27]
	flat_load_dword v23, v[28:29]
.LBB1646_29:
	s_or_b64 exec, exec, s[30:31]
	v_or_b32_e32 v25, 0xe00, v0
	v_cmp_gt_u32_e64 s[30:31], s3, v25
	v_lshlrev_b32_e32 v28, 2, v25
	v_mov_b32_e32 v25, v1
	s_and_saveexec_b64 s[34:35], s[30:31]
	s_cbranch_execz .LBB1646_31
; %bb.30:
	v_mov_b32_e32 v29, 0
	v_lshl_add_u64 v[30:31], s[54:55], 0, v[28:29]
	flat_load_dword v25, v[30:31]
.LBB1646_31:
	s_or_b64 exec, exec, s[34:35]
	v_or_b32_e32 v27, 0xf00, v0
	v_cmp_gt_u32_e64 s[34:35], s3, v27
	v_lshlrev_b32_e32 v30, 2, v27
	v_mov_b32_e32 v27, v1
	s_and_saveexec_b64 s[36:37], s[34:35]
	s_cbranch_execz .LBB1646_33
; %bb.32:
	v_mov_b32_e32 v31, 0
	v_lshl_add_u64 v[32:33], s[54:55], 0, v[30:31]
	flat_load_dword v27, v[32:33]
.LBB1646_33:
	s_or_b64 exec, exec, s[36:37]
	v_or_b32_e32 v29, 0x1000, v0
	v_cmp_gt_u32_e64 s[36:37], s3, v29
	v_lshlrev_b32_e32 v32, 2, v29
	v_mov_b32_e32 v29, v1
	s_and_saveexec_b64 s[38:39], s[36:37]
	s_cbranch_execz .LBB1646_35
; %bb.34:
	v_mov_b32_e32 v33, 0
	v_lshl_add_u64 v[34:35], s[54:55], 0, v[32:33]
	flat_load_dword v29, v[34:35]
.LBB1646_35:
	s_or_b64 exec, exec, s[38:39]
	v_or_b32_e32 v31, 0x1100, v0
	v_cmp_gt_u32_e64 s[38:39], s3, v31
	v_lshlrev_b32_e32 v34, 2, v31
	v_mov_b32_e32 v31, v1
	s_and_saveexec_b64 s[40:41], s[38:39]
	s_cbranch_execz .LBB1646_37
; %bb.36:
	v_mov_b32_e32 v35, 0
	v_lshl_add_u64 v[36:37], s[54:55], 0, v[34:35]
	flat_load_dword v31, v[36:37]
.LBB1646_37:
	s_or_b64 exec, exec, s[40:41]
	v_or_b32_e32 v33, 0x1200, v0
	v_cmp_gt_u32_e64 s[40:41], s3, v33
	v_lshlrev_b32_e32 v36, 2, v33
	v_mov_b32_e32 v33, v1
	s_and_saveexec_b64 s[42:43], s[40:41]
	s_cbranch_execz .LBB1646_39
; %bb.38:
	v_mov_b32_e32 v37, 0
	v_lshl_add_u64 v[38:39], s[54:55], 0, v[36:37]
	flat_load_dword v33, v[38:39]
.LBB1646_39:
	s_or_b64 exec, exec, s[42:43]
	v_or_b32_e32 v35, 0x1300, v0
	v_cmp_gt_u32_e64 s[42:43], s3, v35
	v_lshlrev_b32_e32 v38, 2, v35
	v_mov_b32_e32 v35, v1
	s_and_saveexec_b64 s[44:45], s[42:43]
	s_cbranch_execz .LBB1646_41
; %bb.40:
	v_mov_b32_e32 v39, 0
	v_lshl_add_u64 v[40:41], s[54:55], 0, v[38:39]
	flat_load_dword v35, v[40:41]
.LBB1646_41:
	s_or_b64 exec, exec, s[44:45]
	v_or_b32_e32 v37, 0x1400, v0
	v_cmp_gt_u32_e64 s[44:45], s3, v37
	v_lshlrev_b32_e32 v40, 2, v37
	v_mov_b32_e32 v37, v1
	s_and_saveexec_b64 s[46:47], s[44:45]
	s_cbranch_execz .LBB1646_43
; %bb.42:
	v_mov_b32_e32 v41, 0
	v_lshl_add_u64 v[42:43], s[54:55], 0, v[40:41]
	flat_load_dword v37, v[42:43]
.LBB1646_43:
	s_or_b64 exec, exec, s[46:47]
	v_or_b32_e32 v39, 0x1500, v0
	v_cmp_gt_u32_e64 s[46:47], s3, v39
	v_lshlrev_b32_e32 v42, 2, v39
	v_mov_b32_e32 v39, v1
	s_and_saveexec_b64 s[48:49], s[46:47]
	s_cbranch_execz .LBB1646_45
; %bb.44:
	v_mov_b32_e32 v43, 0
	v_lshl_add_u64 v[44:45], s[54:55], 0, v[42:43]
	flat_load_dword v39, v[44:45]
.LBB1646_45:
	s_or_b64 exec, exec, s[48:49]
	v_or_b32_e32 v41, 0x1600, v0
	v_cmp_gt_u32_e64 s[48:49], s3, v41
	v_lshlrev_b32_e32 v46, 2, v41
	s_and_saveexec_b64 s[60:61], s[48:49]
	s_cbranch_execz .LBB1646_47
; %bb.46:
	v_mov_b32_e32 v47, 0
	v_lshl_add_u64 v[44:45], s[54:55], 0, v[46:47]
	flat_load_dword v1, v[44:45]
.LBB1646_47:
	s_or_b64 exec, exec, s[60:61]
	v_lshlrev_b32_e32 v44, 2, v0
	s_movk_i32 s60, 0x58
	s_waitcnt vmcnt(0) lgkmcnt(0)
	ds_write2st64_b32 v44, v4, v5 offset1:4
	ds_write2st64_b32 v44, v6, v7 offset0:8 offset1:12
	ds_write2st64_b32 v44, v3, v8 offset0:16 offset1:20
	;; [unrolled: 1-line block ×10, first 2 shown]
	ds_write_b32 v44, v1 offset:22528
	v_mad_u32_u24 v1, v0, s60, v44
	s_waitcnt lgkmcnt(0)
	s_barrier
	ds_read2_b32 v[68:69], v1 offset1:1
	ds_read2_b32 v[66:67], v1 offset0:2 offset1:3
	ds_read2_b32 v[64:65], v1 offset0:4 offset1:5
	;; [unrolled: 1-line block ×10, first 2 shown]
	ds_read_b32 v72, v1 offset:88
	s_cmp_eq_u64 s[76:77], 0
	s_mov_b64 s[60:61], s[54:55]
	s_cbranch_scc1 .LBB1646_51
; %bb.48:
	s_andn2_b64 vcc, exec, s[64:65]
	s_cbranch_vccnz .LBB1646_263
; %bb.49:
	s_lshl_b64 s[60:61], s[76:77], 2
	s_add_u32 s60, s66, s60
	s_addc_u32 s61, s67, s61
	s_add_u32 s60, s60, -4
	s_addc_u32 s61, s61, -1
	s_cbranch_execnz .LBB1646_51
.LBB1646_50:
	s_add_u32 s60, s54, -4
	s_addc_u32 s61, s55, -1
.LBB1646_51:
	v_mov_b64_e32 v[48:49], s[60:61]
	flat_load_dword v70, v[48:49]
	s_movk_i32 s60, 0xffa8
	v_mad_i32_i24 v3, v0, s60, v1
	v_cmp_ne_u32_e32 vcc, 0, v0
	s_waitcnt lgkmcnt(0)
	ds_write_b32 v3, v72 offset:23552
	s_waitcnt lgkmcnt(0)
	s_barrier
	s_and_saveexec_b64 s[60:61], vcc
	s_cbranch_execz .LBB1646_53
; %bb.52:
	v_mul_i32_i24_e32 v3, 0xffffffa8, v0
	v_add_u32_e32 v3, v1, v3
	s_waitcnt vmcnt(0)
	ds_read_b32 v70, v3 offset:23548
.LBB1646_53:
	s_or_b64 exec, exec, s[60:61]
	v_mov_b32_e32 v45, 0
	s_waitcnt lgkmcnt(0)
	s_barrier
	s_waitcnt lgkmcnt(0)
                                        ; implicit-def: $vgpr48
	s_and_saveexec_b64 s[60:61], s[50:51]
	s_cbranch_execnz .LBB1646_239
; %bb.54:
	s_or_b64 exec, exec, s[60:61]
                                        ; implicit-def: $vgpr49
	s_and_saveexec_b64 s[50:51], s[4:5]
	s_cbranch_execnz .LBB1646_240
.LBB1646_55:
	s_or_b64 exec, exec, s[50:51]
                                        ; implicit-def: $vgpr50
	s_and_saveexec_b64 s[4:5], s[6:7]
	s_cbranch_execnz .LBB1646_241
.LBB1646_56:
	s_or_b64 exec, exec, s[4:5]
                                        ; implicit-def: $vgpr45
	s_and_saveexec_b64 s[4:5], s[8:9]
	s_cbranch_execnz .LBB1646_242
.LBB1646_57:
	s_or_b64 exec, exec, s[4:5]
                                        ; implicit-def: $vgpr3
	s_and_saveexec_b64 s[4:5], s[10:11]
	s_cbranch_execnz .LBB1646_243
.LBB1646_58:
	s_or_b64 exec, exec, s[4:5]
                                        ; implicit-def: $vgpr2
	s_and_saveexec_b64 s[4:5], s[12:13]
	s_cbranch_execnz .LBB1646_244
.LBB1646_59:
	s_or_b64 exec, exec, s[4:5]
                                        ; implicit-def: $vgpr10
	s_and_saveexec_b64 s[4:5], s[14:15]
	s_cbranch_execnz .LBB1646_245
.LBB1646_60:
	s_or_b64 exec, exec, s[4:5]
                                        ; implicit-def: $vgpr11
	s_and_saveexec_b64 s[4:5], s[16:17]
	s_cbranch_execnz .LBB1646_246
.LBB1646_61:
	s_or_b64 exec, exec, s[4:5]
                                        ; implicit-def: $vgpr12
	s_and_saveexec_b64 s[4:5], s[18:19]
	s_cbranch_execnz .LBB1646_247
.LBB1646_62:
	s_or_b64 exec, exec, s[4:5]
                                        ; implicit-def: $vgpr13
	s_and_saveexec_b64 s[4:5], s[20:21]
	s_cbranch_execnz .LBB1646_248
.LBB1646_63:
	s_or_b64 exec, exec, s[4:5]
                                        ; implicit-def: $vgpr14
	s_and_saveexec_b64 s[4:5], s[22:23]
	s_cbranch_execnz .LBB1646_249
.LBB1646_64:
	s_or_b64 exec, exec, s[4:5]
                                        ; implicit-def: $vgpr15
	s_and_saveexec_b64 s[4:5], s[24:25]
	s_cbranch_execnz .LBB1646_250
.LBB1646_65:
	s_or_b64 exec, exec, s[4:5]
                                        ; implicit-def: $vgpr16
	s_and_saveexec_b64 s[4:5], s[26:27]
	s_cbranch_execnz .LBB1646_251
.LBB1646_66:
	s_or_b64 exec, exec, s[4:5]
                                        ; implicit-def: $vgpr17
	s_and_saveexec_b64 s[4:5], s[28:29]
	s_cbranch_execnz .LBB1646_252
.LBB1646_67:
	s_or_b64 exec, exec, s[4:5]
                                        ; implicit-def: $vgpr18
	s_and_saveexec_b64 s[4:5], s[30:31]
	s_cbranch_execnz .LBB1646_253
.LBB1646_68:
	s_or_b64 exec, exec, s[4:5]
                                        ; implicit-def: $vgpr19
	s_and_saveexec_b64 s[4:5], s[34:35]
	s_cbranch_execnz .LBB1646_254
.LBB1646_69:
	s_or_b64 exec, exec, s[4:5]
                                        ; implicit-def: $vgpr20
	s_and_saveexec_b64 s[4:5], s[36:37]
	s_cbranch_execnz .LBB1646_255
.LBB1646_70:
	s_or_b64 exec, exec, s[4:5]
                                        ; implicit-def: $vgpr21
	s_and_saveexec_b64 s[4:5], s[38:39]
	s_cbranch_execnz .LBB1646_256
.LBB1646_71:
	s_or_b64 exec, exec, s[4:5]
                                        ; implicit-def: $vgpr22
	s_and_saveexec_b64 s[4:5], s[40:41]
	s_cbranch_execnz .LBB1646_257
.LBB1646_72:
	s_or_b64 exec, exec, s[4:5]
                                        ; implicit-def: $vgpr23
	s_and_saveexec_b64 s[4:5], s[42:43]
	s_cbranch_execnz .LBB1646_258
.LBB1646_73:
	s_or_b64 exec, exec, s[4:5]
                                        ; implicit-def: $vgpr24
	s_and_saveexec_b64 s[4:5], s[44:45]
	s_cbranch_execnz .LBB1646_259
.LBB1646_74:
	s_or_b64 exec, exec, s[4:5]
                                        ; implicit-def: $vgpr25
	s_and_saveexec_b64 s[4:5], s[46:47]
	s_cbranch_execnz .LBB1646_260
.LBB1646_75:
	s_or_b64 exec, exec, s[4:5]
                                        ; implicit-def: $vgpr26
	s_and_saveexec_b64 s[4:5], s[48:49]
	s_cbranch_execz .LBB1646_77
.LBB1646_76:
	v_mov_b32_e32 v47, 0
	v_lshl_add_u64 v[26:27], s[52:53], 0, v[46:47]
	flat_load_dword v26, v[26:27]
.LBB1646_77:
	s_or_b64 exec, exec, s[4:5]
	v_mul_u32_u24_e32 v73, 23, v0
	s_waitcnt vmcnt(0) lgkmcnt(0)
	ds_write2st64_b32 v44, v48, v49 offset1:4
	ds_write2st64_b32 v44, v50, v45 offset0:8 offset1:12
	ds_write2st64_b32 v44, v3, v2 offset0:16 offset1:20
	;; [unrolled: 1-line block ×10, first 2 shown]
	ds_write_b32 v44, v26 offset:22528
	v_mov_b64_e32 v[10:11], 0
	v_cmp_gt_u32_e32 vcc, s3, v73
	s_mov_b64 s[10:11], 0
	s_mov_b64 s[6:7], 0
	v_mov_b64_e32 v[12:13], v[10:11]
	v_mov_b64_e32 v[14:15], v[10:11]
	;; [unrolled: 1-line block ×21, first 2 shown]
	s_waitcnt lgkmcnt(0)
	s_barrier
	s_waitcnt lgkmcnt(0)
                                        ; implicit-def: $sgpr4_sgpr5
                                        ; implicit-def: $vgpr3
	s_and_saveexec_b64 s[8:9], vcc
	s_cbranch_execz .LBB1646_121
; %bb.78:
	ds_read_b32 v10, v1
	v_add_u32_e32 v2, 1, v73
	v_cmp_ne_u32_e32 vcc, v70, v68
	v_mov_b64_e32 v[12:13], 0
	s_mov_b64 s[12:13], 0
	v_cndmask_b32_e64 v11, 0, 1, vcc
	v_cmp_gt_u32_e32 vcc, s3, v2
	s_mov_b64 s[4:5], 0
	v_mov_b64_e32 v[14:15], v[12:13]
	v_mov_b64_e32 v[16:17], v[12:13]
	;; [unrolled: 1-line block ×20, first 2 shown]
                                        ; implicit-def: $sgpr14_sgpr15
                                        ; implicit-def: $vgpr3
	s_and_saveexec_b64 s[10:11], vcc
	s_cbranch_execz .LBB1646_120
; %bb.79:
	ds_read2_b32 v[70:71], v1 offset0:1 offset1:2
	v_add_u32_e32 v2, 2, v73
	v_cmp_ne_u32_e32 vcc, v68, v69
	v_mov_b64_e32 v[14:15], 0
	s_mov_b64 s[16:17], 0
	v_cndmask_b32_e64 v13, 0, 1, vcc
	v_cmp_gt_u32_e32 vcc, s3, v2
	s_waitcnt lgkmcnt(0)
	v_mov_b32_e32 v12, v70
	v_mov_b64_e32 v[16:17], v[14:15]
	v_mov_b64_e32 v[18:19], v[14:15]
	;; [unrolled: 1-line block ×19, first 2 shown]
                                        ; implicit-def: $sgpr14_sgpr15
                                        ; implicit-def: $vgpr3
	s_and_saveexec_b64 s[12:13], vcc
	s_cbranch_execz .LBB1646_119
; %bb.80:
	v_add_u32_e32 v2, 3, v73
	v_cmp_ne_u32_e32 vcc, v69, v66
	v_mov_b64_e32 v[16:17], 0
	v_mov_b32_e32 v14, v71
	v_cndmask_b32_e64 v15, 0, 1, vcc
	v_cmp_gt_u32_e32 vcc, s3, v2
	v_mov_b64_e32 v[18:19], v[16:17]
	v_mov_b64_e32 v[20:21], v[16:17]
	;; [unrolled: 1-line block ×18, first 2 shown]
                                        ; implicit-def: $sgpr18_sgpr19
                                        ; implicit-def: $vgpr3
	s_and_saveexec_b64 s[14:15], vcc
	s_cbranch_execz .LBB1646_118
; %bb.81:
	ds_read2_b32 v[68:69], v1 offset0:3 offset1:4
	v_add_u32_e32 v2, 4, v73
	v_cmp_ne_u32_e32 vcc, v66, v67
	v_mov_b64_e32 v[18:19], 0
	s_mov_b64 s[20:21], 0
	v_cndmask_b32_e64 v17, 0, 1, vcc
	v_cmp_gt_u32_e32 vcc, s3, v2
	s_waitcnt lgkmcnt(0)
	v_mov_b32_e32 v16, v68
	v_mov_b64_e32 v[20:21], v[18:19]
	v_mov_b64_e32 v[22:23], v[18:19]
	;; [unrolled: 1-line block ×17, first 2 shown]
                                        ; implicit-def: $sgpr18_sgpr19
                                        ; implicit-def: $vgpr3
	s_and_saveexec_b64 s[16:17], vcc
	s_cbranch_execz .LBB1646_117
; %bb.82:
	v_add_u32_e32 v2, 5, v73
	v_cmp_ne_u32_e32 vcc, v67, v64
	v_mov_b64_e32 v[20:21], 0
	v_mov_b32_e32 v18, v69
	v_cndmask_b32_e64 v19, 0, 1, vcc
	v_cmp_gt_u32_e32 vcc, s3, v2
	v_mov_b64_e32 v[22:23], v[20:21]
	v_mov_b64_e32 v[24:25], v[20:21]
	;; [unrolled: 1-line block ×16, first 2 shown]
                                        ; implicit-def: $sgpr22_sgpr23
                                        ; implicit-def: $vgpr3
	s_and_saveexec_b64 s[18:19], vcc
	s_cbranch_execz .LBB1646_116
; %bb.83:
	ds_read2_b32 v[66:67], v1 offset0:5 offset1:6
	v_add_u32_e32 v2, 6, v73
	v_cmp_ne_u32_e32 vcc, v64, v65
	v_mov_b64_e32 v[22:23], 0
	s_mov_b64 s[24:25], 0
	v_cndmask_b32_e64 v21, 0, 1, vcc
	v_cmp_gt_u32_e32 vcc, s3, v2
	s_waitcnt lgkmcnt(0)
	v_mov_b32_e32 v20, v66
	v_mov_b64_e32 v[24:25], v[22:23]
	v_mov_b64_e32 v[26:27], v[22:23]
	;; [unrolled: 1-line block ×15, first 2 shown]
                                        ; implicit-def: $sgpr22_sgpr23
                                        ; implicit-def: $vgpr3
	s_and_saveexec_b64 s[20:21], vcc
	s_cbranch_execz .LBB1646_115
; %bb.84:
	v_add_u32_e32 v2, 7, v73
	v_cmp_ne_u32_e32 vcc, v65, v62
	v_mov_b64_e32 v[24:25], 0
	v_mov_b32_e32 v22, v67
	v_cndmask_b32_e64 v23, 0, 1, vcc
	v_cmp_gt_u32_e32 vcc, s3, v2
	v_mov_b64_e32 v[26:27], v[24:25]
	v_mov_b64_e32 v[28:29], v[24:25]
	v_mov_b64_e32 v[30:31], v[24:25]
	v_mov_b64_e32 v[32:33], v[24:25]
	v_mov_b64_e32 v[34:35], v[24:25]
	v_mov_b64_e32 v[36:37], v[24:25]
	v_mov_b64_e32 v[38:39], v[24:25]
	v_mov_b64_e32 v[40:41], v[24:25]
	v_mov_b64_e32 v[42:43], v[24:25]
	v_mov_b64_e32 v[44:45], v[24:25]
	v_mov_b64_e32 v[46:47], v[24:25]
	v_mov_b64_e32 v[48:49], v[24:25]
	v_mov_b64_e32 v[50:51], v[24:25]
	v_mov_b64_e32 v[52:53], v[24:25]
                                        ; implicit-def: $sgpr26_sgpr27
                                        ; implicit-def: $vgpr3
	s_and_saveexec_b64 s[22:23], vcc
	s_cbranch_execz .LBB1646_114
; %bb.85:
	ds_read2_b32 v[64:65], v1 offset0:7 offset1:8
	v_add_u32_e32 v2, 8, v73
	v_cmp_ne_u32_e32 vcc, v62, v63
	v_mov_b64_e32 v[26:27], 0
	s_mov_b64 s[28:29], 0
	v_cndmask_b32_e64 v25, 0, 1, vcc
	v_cmp_gt_u32_e32 vcc, s3, v2
	s_waitcnt lgkmcnt(0)
	v_mov_b32_e32 v24, v64
	v_mov_b64_e32 v[28:29], v[26:27]
	v_mov_b64_e32 v[30:31], v[26:27]
	;; [unrolled: 1-line block ×13, first 2 shown]
                                        ; implicit-def: $sgpr26_sgpr27
                                        ; implicit-def: $vgpr3
	s_and_saveexec_b64 s[24:25], vcc
	s_cbranch_execz .LBB1646_113
; %bb.86:
	v_add_u32_e32 v2, 9, v73
	v_cmp_ne_u32_e32 vcc, v63, v60
	v_mov_b64_e32 v[28:29], 0
	v_mov_b32_e32 v26, v65
	v_cndmask_b32_e64 v27, 0, 1, vcc
	v_cmp_gt_u32_e32 vcc, s3, v2
	v_mov_b64_e32 v[30:31], v[28:29]
	v_mov_b64_e32 v[32:33], v[28:29]
	;; [unrolled: 1-line block ×12, first 2 shown]
                                        ; implicit-def: $sgpr30_sgpr31
                                        ; implicit-def: $vgpr3
	s_and_saveexec_b64 s[26:27], vcc
	s_cbranch_execz .LBB1646_112
; %bb.87:
	ds_read2_b32 v[62:63], v1 offset0:9 offset1:10
	v_add_u32_e32 v2, 10, v73
	v_cmp_ne_u32_e32 vcc, v60, v61
	v_mov_b64_e32 v[30:31], 0
	s_mov_b64 s[34:35], 0
	v_cndmask_b32_e64 v29, 0, 1, vcc
	v_cmp_gt_u32_e32 vcc, s3, v2
	s_waitcnt lgkmcnt(0)
	v_mov_b32_e32 v28, v62
	v_mov_b64_e32 v[32:33], v[30:31]
	v_mov_b64_e32 v[34:35], v[30:31]
	v_mov_b64_e32 v[36:37], v[30:31]
	v_mov_b64_e32 v[38:39], v[30:31]
	v_mov_b64_e32 v[40:41], v[30:31]
	v_mov_b64_e32 v[42:43], v[30:31]
	v_mov_b64_e32 v[44:45], v[30:31]
	v_mov_b64_e32 v[46:47], v[30:31]
	v_mov_b64_e32 v[48:49], v[30:31]
	v_mov_b64_e32 v[50:51], v[30:31]
	v_mov_b64_e32 v[52:53], v[30:31]
                                        ; implicit-def: $sgpr30_sgpr31
                                        ; implicit-def: $vgpr3
	s_and_saveexec_b64 s[28:29], vcc
	s_cbranch_execz .LBB1646_111
; %bb.88:
	v_add_u32_e32 v2, 11, v73
	v_cmp_ne_u32_e32 vcc, v61, v58
	v_mov_b64_e32 v[32:33], 0
	v_mov_b32_e32 v30, v63
	v_cndmask_b32_e64 v31, 0, 1, vcc
	v_cmp_gt_u32_e32 vcc, s3, v2
	v_mov_b64_e32 v[34:35], v[32:33]
	v_mov_b64_e32 v[36:37], v[32:33]
	;; [unrolled: 1-line block ×10, first 2 shown]
                                        ; implicit-def: $sgpr36_sgpr37
                                        ; implicit-def: $vgpr3
	s_and_saveexec_b64 s[30:31], vcc
	s_cbranch_execz .LBB1646_110
; %bb.89:
	ds_read2_b32 v[60:61], v1 offset0:11 offset1:12
	v_add_u32_e32 v2, 12, v73
	v_cmp_ne_u32_e32 vcc, v58, v59
	v_mov_b64_e32 v[34:35], 0
	s_mov_b64 s[38:39], 0
	v_cndmask_b32_e64 v33, 0, 1, vcc
	v_cmp_gt_u32_e32 vcc, s3, v2
	s_waitcnt lgkmcnt(0)
	v_mov_b32_e32 v32, v60
	v_mov_b64_e32 v[36:37], v[34:35]
	v_mov_b64_e32 v[38:39], v[34:35]
	;; [unrolled: 1-line block ×9, first 2 shown]
                                        ; implicit-def: $sgpr36_sgpr37
                                        ; implicit-def: $vgpr3
	s_and_saveexec_b64 s[34:35], vcc
	s_cbranch_execz .LBB1646_109
; %bb.90:
	v_add_u32_e32 v2, 13, v73
	v_cmp_ne_u32_e32 vcc, v59, v56
	v_mov_b64_e32 v[36:37], 0
	v_mov_b32_e32 v34, v61
	v_cndmask_b32_e64 v35, 0, 1, vcc
	v_cmp_gt_u32_e32 vcc, s3, v2
	v_mov_b64_e32 v[38:39], v[36:37]
	v_mov_b64_e32 v[40:41], v[36:37]
	;; [unrolled: 1-line block ×8, first 2 shown]
                                        ; implicit-def: $sgpr40_sgpr41
                                        ; implicit-def: $vgpr3
	s_and_saveexec_b64 s[36:37], vcc
	s_cbranch_execz .LBB1646_108
; %bb.91:
	ds_read2_b32 v[58:59], v1 offset0:13 offset1:14
	v_add_u32_e32 v2, 14, v73
	v_cmp_ne_u32_e32 vcc, v56, v57
	v_mov_b64_e32 v[38:39], 0
	s_mov_b64 s[42:43], 0
	v_cndmask_b32_e64 v37, 0, 1, vcc
	v_cmp_gt_u32_e32 vcc, s3, v2
	s_waitcnt lgkmcnt(0)
	v_mov_b32_e32 v36, v58
	v_mov_b64_e32 v[40:41], v[38:39]
	v_mov_b64_e32 v[42:43], v[38:39]
	;; [unrolled: 1-line block ×7, first 2 shown]
                                        ; implicit-def: $sgpr40_sgpr41
                                        ; implicit-def: $vgpr3
	s_and_saveexec_b64 s[38:39], vcc
	s_cbranch_execz .LBB1646_107
; %bb.92:
	v_add_u32_e32 v2, 15, v73
	v_cmp_ne_u32_e32 vcc, v57, v54
	v_mov_b64_e32 v[40:41], 0
	v_mov_b32_e32 v38, v59
	v_cndmask_b32_e64 v39, 0, 1, vcc
	v_cmp_gt_u32_e32 vcc, s3, v2
	v_mov_b64_e32 v[42:43], v[40:41]
	v_mov_b64_e32 v[44:45], v[40:41]
	;; [unrolled: 1-line block ×6, first 2 shown]
                                        ; implicit-def: $sgpr44_sgpr45
                                        ; implicit-def: $vgpr3
	s_and_saveexec_b64 s[40:41], vcc
	s_cbranch_execz .LBB1646_106
; %bb.93:
	ds_read2_b32 v[56:57], v1 offset0:15 offset1:16
	v_add_u32_e32 v2, 16, v73
	v_cmp_ne_u32_e32 vcc, v54, v55
	v_mov_b64_e32 v[42:43], 0
	s_mov_b64 s[46:47], 0
	v_cndmask_b32_e64 v41, 0, 1, vcc
	v_cmp_gt_u32_e32 vcc, s3, v2
	s_waitcnt lgkmcnt(0)
	v_mov_b32_e32 v40, v56
	v_mov_b64_e32 v[44:45], v[42:43]
	v_mov_b64_e32 v[46:47], v[42:43]
	;; [unrolled: 1-line block ×5, first 2 shown]
                                        ; implicit-def: $sgpr44_sgpr45
                                        ; implicit-def: $vgpr3
	s_and_saveexec_b64 s[42:43], vcc
	s_cbranch_execz .LBB1646_105
; %bb.94:
	v_add_u32_e32 v2, 17, v73
	v_cmp_ne_u32_e32 vcc, v55, v8
	v_mov_b64_e32 v[44:45], 0
	v_mov_b32_e32 v42, v57
	v_cndmask_b32_e64 v43, 0, 1, vcc
	v_cmp_gt_u32_e32 vcc, s3, v2
	v_mov_b64_e32 v[46:47], v[44:45]
	v_mov_b64_e32 v[48:49], v[44:45]
	;; [unrolled: 1-line block ×4, first 2 shown]
                                        ; implicit-def: $sgpr48_sgpr49
                                        ; implicit-def: $vgpr3
	s_and_saveexec_b64 s[44:45], vcc
	s_cbranch_execz .LBB1646_104
; %bb.95:
	ds_read2_b32 v[54:55], v1 offset0:17 offset1:18
	v_add_u32_e32 v2, 18, v73
	v_cmp_ne_u32_e32 vcc, v8, v9
	v_mov_b64_e32 v[46:47], 0
	s_mov_b64 s[50:51], 0
	v_cndmask_b32_e64 v45, 0, 1, vcc
	v_cmp_gt_u32_e32 vcc, s3, v2
	s_waitcnt lgkmcnt(0)
	v_mov_b32_e32 v44, v54
	v_mov_b64_e32 v[48:49], v[46:47]
	v_mov_b64_e32 v[50:51], v[46:47]
	;; [unrolled: 1-line block ×3, first 2 shown]
                                        ; implicit-def: $sgpr48_sgpr49
                                        ; implicit-def: $vgpr3
	s_and_saveexec_b64 s[46:47], vcc
	s_cbranch_execz .LBB1646_103
; %bb.96:
	v_add_u32_e32 v2, 19, v73
	v_cmp_ne_u32_e32 vcc, v9, v6
	v_mov_b64_e32 v[48:49], 0
	v_mov_b32_e32 v46, v55
	v_cndmask_b32_e64 v47, 0, 1, vcc
	v_cmp_gt_u32_e32 vcc, s3, v2
	v_mov_b64_e32 v[50:51], v[48:49]
	v_mov_b64_e32 v[52:53], v[48:49]
                                        ; implicit-def: $sgpr60_sgpr61
                                        ; implicit-def: $vgpr3
	s_and_saveexec_b64 s[48:49], vcc
	s_cbranch_execz .LBB1646_102
; %bb.97:
	ds_read2_b32 v[8:9], v1 offset0:19 offset1:20
	v_add_u32_e32 v2, 20, v73
	v_cmp_ne_u32_e32 vcc, v6, v7
	v_mov_b64_e32 v[50:51], 0
	s_mov_b64 s[60:61], 0
	v_cndmask_b32_e64 v49, 0, 1, vcc
	v_cmp_gt_u32_e32 vcc, s3, v2
	s_waitcnt lgkmcnt(0)
	v_mov_b32_e32 v48, v8
	v_mov_b64_e32 v[52:53], v[50:51]
                                        ; implicit-def: $sgpr78_sgpr79
                                        ; implicit-def: $vgpr3
	s_and_saveexec_b64 s[50:51], vcc
	s_cbranch_execz .LBB1646_101
; %bb.98:
	v_add_u32_e32 v2, 21, v73
	v_cmp_ne_u32_e32 vcc, v7, v4
	v_mov_b32_e32 v50, v9
	v_mov_b64_e32 v[52:53], 0
	v_cndmask_b32_e64 v51, 0, 1, vcc
	v_cmp_gt_u32_e32 vcc, s3, v2
                                        ; implicit-def: $sgpr78_sgpr79
                                        ; implicit-def: $vgpr3
	s_and_saveexec_b64 s[4:5], vcc
	s_xor_b64 s[80:81], exec, s[4:5]
	s_cbranch_execz .LBB1646_100
; %bb.99:
	ds_read2_b32 v[2:3], v1 offset0:21 offset1:22
	v_add_u32_e32 v1, 22, v73
	v_cmp_ne_u32_e64 s[4:5], v4, v5
	v_cmp_ne_u32_e32 vcc, v5, v72
	s_and_b64 s[78:79], vcc, exec
	v_cndmask_b32_e64 v53, 0, 1, s[4:5]
	v_cmp_gt_u32_e64 s[4:5], s3, v1
	s_waitcnt lgkmcnt(0)
	v_mov_b32_e32 v52, v2
	s_and_b64 s[60:61], s[4:5], exec
.LBB1646_100:
	s_or_b64 exec, exec, s[80:81]
	s_and_b64 s[78:79], s[78:79], exec
	s_and_b64 s[4:5], s[60:61], exec
.LBB1646_101:
	s_or_b64 exec, exec, s[50:51]
	s_and_b64 s[60:61], s[78:79], exec
	s_and_b64 s[50:51], s[4:5], exec
.LBB1646_102:
	s_or_b64 exec, exec, s[48:49]
	s_and_b64 s[48:49], s[60:61], exec
	s_and_b64 s[4:5], s[50:51], exec
.LBB1646_103:
	s_or_b64 exec, exec, s[46:47]
	s_and_b64 s[48:49], s[48:49], exec
	s_and_b64 s[46:47], s[4:5], exec
.LBB1646_104:
	s_or_b64 exec, exec, s[44:45]
	s_and_b64 s[44:45], s[48:49], exec
	s_and_b64 s[4:5], s[46:47], exec
.LBB1646_105:
	s_or_b64 exec, exec, s[42:43]
	s_and_b64 s[44:45], s[44:45], exec
	s_and_b64 s[42:43], s[4:5], exec
.LBB1646_106:
	s_or_b64 exec, exec, s[40:41]
	s_and_b64 s[40:41], s[44:45], exec
	s_and_b64 s[4:5], s[42:43], exec
.LBB1646_107:
	s_or_b64 exec, exec, s[38:39]
	s_and_b64 s[40:41], s[40:41], exec
	s_and_b64 s[38:39], s[4:5], exec
.LBB1646_108:
	s_or_b64 exec, exec, s[36:37]
	s_and_b64 s[36:37], s[40:41], exec
	s_and_b64 s[4:5], s[38:39], exec
.LBB1646_109:
	s_or_b64 exec, exec, s[34:35]
	s_and_b64 s[36:37], s[36:37], exec
	s_and_b64 s[34:35], s[4:5], exec
.LBB1646_110:
	s_or_b64 exec, exec, s[30:31]
	s_and_b64 s[30:31], s[36:37], exec
	s_and_b64 s[4:5], s[34:35], exec
.LBB1646_111:
	s_or_b64 exec, exec, s[28:29]
	s_and_b64 s[30:31], s[30:31], exec
	s_and_b64 s[28:29], s[4:5], exec
.LBB1646_112:
	s_or_b64 exec, exec, s[26:27]
	s_and_b64 s[26:27], s[30:31], exec
	s_and_b64 s[4:5], s[28:29], exec
.LBB1646_113:
	s_or_b64 exec, exec, s[24:25]
	s_and_b64 s[26:27], s[26:27], exec
	s_and_b64 s[24:25], s[4:5], exec
.LBB1646_114:
	s_or_b64 exec, exec, s[22:23]
	s_and_b64 s[22:23], s[26:27], exec
	s_and_b64 s[4:5], s[24:25], exec
.LBB1646_115:
	s_or_b64 exec, exec, s[20:21]
	s_and_b64 s[22:23], s[22:23], exec
	s_and_b64 s[20:21], s[4:5], exec
.LBB1646_116:
	s_or_b64 exec, exec, s[18:19]
	s_and_b64 s[18:19], s[22:23], exec
	s_and_b64 s[4:5], s[20:21], exec
.LBB1646_117:
	s_or_b64 exec, exec, s[16:17]
	s_and_b64 s[18:19], s[18:19], exec
	s_and_b64 s[16:17], s[4:5], exec
.LBB1646_118:
	s_or_b64 exec, exec, s[14:15]
	s_and_b64 s[14:15], s[18:19], exec
	s_and_b64 s[4:5], s[16:17], exec
.LBB1646_119:
	s_or_b64 exec, exec, s[12:13]
	s_and_b64 s[14:15], s[14:15], exec
	s_and_b64 s[12:13], s[4:5], exec
.LBB1646_120:
	s_or_b64 exec, exec, s[10:11]
	s_and_b64 s[4:5], s[14:15], exec
	s_and_b64 s[10:11], s[12:13], exec
.LBB1646_121:
	s_or_b64 exec, exec, s[8:9]
	s_mov_b64 s[8:9], 0
	s_and_b64 vcc, exec, s[6:7]
	v_lshlrev_b32_e32 v54, 2, v0
	s_cbranch_vccnz .LBB1646_123
	s_branch .LBB1646_131
.LBB1646_122:
                                        ; implicit-def: $sgpr4_sgpr5
                                        ; implicit-def: $vgpr3
                                        ; implicit-def: $vgpr10_vgpr11
                                        ; implicit-def: $vgpr12_vgpr13
                                        ; implicit-def: $vgpr14_vgpr15
                                        ; implicit-def: $vgpr16_vgpr17
                                        ; implicit-def: $vgpr18_vgpr19
                                        ; implicit-def: $vgpr20_vgpr21
                                        ; implicit-def: $vgpr22_vgpr23
                                        ; implicit-def: $vgpr24_vgpr25
                                        ; implicit-def: $vgpr26_vgpr27
                                        ; implicit-def: $vgpr28_vgpr29
                                        ; implicit-def: $vgpr30_vgpr31
                                        ; implicit-def: $vgpr32_vgpr33
                                        ; implicit-def: $vgpr34_vgpr35
                                        ; implicit-def: $vgpr36_vgpr37
                                        ; implicit-def: $vgpr38_vgpr39
                                        ; implicit-def: $vgpr40_vgpr41
                                        ; implicit-def: $vgpr42_vgpr43
                                        ; implicit-def: $vgpr44_vgpr45
                                        ; implicit-def: $vgpr46_vgpr47
                                        ; implicit-def: $vgpr48_vgpr49
                                        ; implicit-def: $vgpr50_vgpr51
                                        ; implicit-def: $vgpr52_vgpr53
                                        ; implicit-def: $sgpr8_sgpr9
	s_and_b64 vcc, exec, s[6:7]
	v_lshlrev_b32_e32 v54, 2, v0
	s_cbranch_vccz .LBB1646_131
.LBB1646_123:
	v_mov_b32_e32 v55, 0
	v_lshl_add_u64 v[2:3], s[54:55], 0, v[54:55]
	v_add_co_u32_e32 v4, vcc, 0x1000, v2
	s_movk_i32 s3, 0x58
	s_nop 0
	v_addc_co_u32_e32 v5, vcc, 0, v3, vcc
	flat_load_dword v8, v[2:3]
	flat_load_dword v9, v[2:3] offset:1024
	s_waitcnt lgkmcnt(0)
	flat_load_dword v10, v[2:3] offset:2048
	flat_load_dword v11, v[2:3] offset:3072
	flat_load_dword v12, v[4:5]
	flat_load_dword v13, v[4:5] offset:1024
	flat_load_dword v14, v[4:5] offset:2048
	;; [unrolled: 1-line block ×3, first 2 shown]
	v_add_co_u32_e32 v4, vcc, 0x2000, v2
	v_mad_u32_u24 v1, v0, s3, v54
	s_nop 0
	v_addc_co_u32_e32 v5, vcc, 0, v3, vcc
	v_add_co_u32_e32 v6, vcc, 0x3000, v2
	s_cmp_eq_u64 s[76:77], 0
	s_nop 0
	v_addc_co_u32_e32 v7, vcc, 0, v3, vcc
	flat_load_dword v16, v[4:5]
	flat_load_dword v17, v[4:5] offset:1024
	flat_load_dword v18, v[4:5] offset:2048
	flat_load_dword v19, v[4:5] offset:3072
	flat_load_dword v20, v[6:7]
	flat_load_dword v21, v[6:7] offset:1024
	flat_load_dword v22, v[6:7] offset:2048
	flat_load_dword v23, v[6:7] offset:3072
	v_add_co_u32_e32 v4, vcc, 0x4000, v2
	s_nop 1
	v_addc_co_u32_e32 v5, vcc, 0, v3, vcc
	v_add_co_u32_e32 v2, vcc, 0x5000, v2
	s_nop 1
	v_addc_co_u32_e32 v3, vcc, 0, v3, vcc
	flat_load_dword v6, v[4:5]
	flat_load_dword v7, v[4:5] offset:1024
	flat_load_dword v24, v[4:5] offset:2048
	;; [unrolled: 1-line block ×3, first 2 shown]
	flat_load_dword v26, v[2:3]
	flat_load_dword v27, v[2:3] offset:1024
	flat_load_dword v28, v[2:3] offset:2048
	s_waitcnt vmcnt(0)
	ds_write2st64_b32 v54, v8, v9 offset1:4
	s_waitcnt lgkmcnt(0)
	ds_write2st64_b32 v54, v10, v11 offset0:8 offset1:12
	ds_write2st64_b32 v54, v12, v13 offset0:16 offset1:20
	;; [unrolled: 1-line block ×10, first 2 shown]
	ds_write_b32 v54, v28 offset:22528
	s_waitcnt lgkmcnt(0)
	s_barrier
	ds_read2_b32 v[2:3], v1 offset1:1
	ds_read2_b32 v[18:19], v1 offset0:2 offset1:3
	ds_read2_b32 v[22:23], v1 offset0:4 offset1:5
	ds_read2_b32 v[26:27], v1 offset0:6 offset1:7
	ds_read2_b32 v[30:31], v1 offset0:8 offset1:9
	ds_read2_b32 v[34:35], v1 offset0:10 offset1:11
	ds_read2_b32 v[38:39], v1 offset0:12 offset1:13
	ds_read2_b32 v[42:43], v1 offset0:14 offset1:15
	ds_read2_b32 v[8:9], v1 offset0:16 offset1:17
	ds_read2_b32 v[6:7], v1 offset0:18 offset1:19
	ds_read2_b32 v[4:5], v1 offset0:20 offset1:21
	ds_read_b32 v10, v1 offset:88
	s_cbranch_scc1 .LBB1646_128
; %bb.124:
	s_andn2_b64 vcc, exec, s[64:65]
	s_cbranch_vccnz .LBB1646_264
; %bb.125:
	s_lshl_b64 s[4:5], s[76:77], 2
	s_add_u32 s3, s66, s4
	s_addc_u32 s5, s67, s5
	s_add_u32 s4, s3, -4
	s_addc_u32 s5, s5, -1
	s_cbranch_execnz .LBB1646_127
.LBB1646_126:
	s_add_u32 s4, s54, -4
	s_addc_u32 s5, s55, -1
.LBB1646_127:
	s_mov_b64 s[54:55], s[4:5]
.LBB1646_128:
	v_mov_b64_e32 v[12:13], s[54:55]
	flat_load_dword v11, v[12:13]
	s_movk_i32 s3, 0xffa8
	v_mad_i32_i24 v12, v0, s3, v1
	v_cmp_ne_u32_e32 vcc, 0, v0
	s_waitcnt lgkmcnt(0)
	ds_write_b32 v12, v10 offset:23552
	s_waitcnt lgkmcnt(0)
	s_barrier
	s_and_saveexec_b64 s[4:5], vcc
	s_cbranch_execz .LBB1646_130
; %bb.129:
	s_waitcnt vmcnt(0)
	v_mul_i32_i24_e32 v11, 0xffffffa8, v0
	v_add_u32_e32 v11, v1, v11
	ds_read_b32 v11, v11 offset:23548
.LBB1646_130:
	s_or_b64 exec, exec, s[4:5]
	v_mov_b32_e32 v55, 0
	v_lshl_add_u64 v[12:13], s[52:53], 0, v[54:55]
	s_movk_i32 s3, 0x1000
	v_add_co_u32_e32 v14, vcc, s3, v12
	s_movk_i32 s3, 0x2000
	s_nop 0
	v_addc_co_u32_e32 v15, vcc, 0, v13, vcc
	s_waitcnt lgkmcnt(0)
	s_barrier
	flat_load_dword v20, v[12:13]
	flat_load_dword v21, v[12:13] offset:1024
	flat_load_dword v24, v[12:13] offset:2048
	flat_load_dword v25, v[12:13] offset:3072
	flat_load_dword v28, v[14:15]
	flat_load_dword v29, v[14:15] offset:1024
	flat_load_dword v32, v[14:15] offset:2048
	;; [unrolled: 1-line block ×3, first 2 shown]
	v_add_co_u32_e32 v14, vcc, s3, v12
	s_movk_i32 s3, 0x3000
	s_nop 0
	v_addc_co_u32_e32 v15, vcc, 0, v13, vcc
	v_add_co_u32_e32 v16, vcc, s3, v12
	s_movk_i32 s3, 0x4000
	s_nop 0
	v_addc_co_u32_e32 v17, vcc, 0, v13, vcc
	flat_load_dword v36, v[14:15]
	flat_load_dword v37, v[14:15] offset:1024
	flat_load_dword v40, v[14:15] offset:2048
	;; [unrolled: 1-line block ×3, first 2 shown]
	flat_load_dword v44, v[16:17]
	flat_load_dword v45, v[16:17] offset:1024
	flat_load_dword v46, v[16:17] offset:2048
	;; [unrolled: 1-line block ×3, first 2 shown]
	v_add_co_u32_e32 v14, vcc, s3, v12
	s_movk_i32 s3, 0x5000
	s_nop 0
	v_addc_co_u32_e32 v15, vcc, 0, v13, vcc
	v_add_co_u32_e32 v12, vcc, s3, v12
	v_cmp_ne_u32_e64 s[4:5], v5, v10
	s_nop 0
	v_addc_co_u32_e32 v13, vcc, 0, v13, vcc
	flat_load_dword v16, v[14:15]
	flat_load_dword v17, v[14:15] offset:1024
	flat_load_dword v48, v[14:15] offset:2048
	;; [unrolled: 1-line block ×3, first 2 shown]
	flat_load_dword v50, v[12:13]
	flat_load_dword v51, v[12:13] offset:1024
	flat_load_dword v52, v[12:13] offset:2048
	s_waitcnt vmcnt(0)
	v_cmp_ne_u32_e32 vcc, v11, v2
	s_mov_b64 s[10:11], -1
                                        ; implicit-def: $sgpr8_sgpr9
	s_waitcnt lgkmcnt(0)
	ds_write2st64_b32 v54, v20, v21 offset1:4
	ds_write2st64_b32 v54, v24, v25 offset0:8 offset1:12
	ds_write2st64_b32 v54, v28, v29 offset0:16 offset1:20
	;; [unrolled: 1-line block ×10, first 2 shown]
	ds_write_b32 v54, v52 offset:22528
	v_cndmask_b32_e64 v11, 0, 1, vcc
	v_cmp_ne_u32_e32 vcc, v2, v3
	s_waitcnt lgkmcnt(0)
	s_barrier
	v_cndmask_b32_e64 v13, 0, 1, vcc
	v_cmp_ne_u32_e32 vcc, v3, v18
	ds_read2_b32 v[16:17], v1 offset1:1
	ds_read2_b32 v[20:21], v1 offset0:2 offset1:3
	ds_read2_b32 v[24:25], v1 offset0:4 offset1:5
	;; [unrolled: 1-line block ×10, first 2 shown]
	ds_read_b32 v3, v1 offset:88
	v_cndmask_b32_e64 v15, 0, 1, vcc
	v_cmp_ne_u32_e32 vcc, v18, v19
	s_waitcnt lgkmcnt(11)
	v_mov_b32_e32 v12, v17
	v_mov_b32_e32 v10, v16
	v_cndmask_b32_e64 v17, 0, 1, vcc
	v_cmp_ne_u32_e32 vcc, v19, v22
	s_waitcnt lgkmcnt(10)
	v_mov_b32_e32 v16, v21
	v_mov_b32_e32 v14, v20
	;; [unrolled: 5-line block ×5, first 2 shown]
	v_cndmask_b32_e64 v25, 0, 1, vcc
	v_cmp_ne_u32_e32 vcc, v27, v30
	s_waitcnt lgkmcnt(6)
	v_mov_b32_e32 v32, v37
	s_waitcnt lgkmcnt(2)
	v_mov_b32_e32 v48, v51
	v_cndmask_b32_e64 v27, 0, 1, vcc
	v_cmp_ne_u32_e32 vcc, v30, v31
	v_mov_b32_e32 v30, v36
	v_mov_b32_e32 v36, v41
	v_cndmask_b32_e64 v29, 0, 1, vcc
	v_cmp_ne_u32_e32 vcc, v31, v34
	s_waitcnt lgkmcnt(1)
	v_mov_b32_e32 v52, v57
	v_cndmask_b32_e64 v31, 0, 1, vcc
	v_cmp_ne_u32_e32 vcc, v34, v35
	v_mov_b32_e32 v34, v40
	v_mov_b32_e32 v40, v45
	v_cndmask_b32_e64 v33, 0, 1, vcc
	v_cmp_ne_u32_e32 vcc, v35, v38
	s_nop 1
	v_cndmask_b32_e64 v35, 0, 1, vcc
	v_cmp_ne_u32_e32 vcc, v38, v39
	v_mov_b32_e32 v38, v44
	v_mov_b32_e32 v44, v47
	v_cndmask_b32_e64 v37, 0, 1, vcc
	v_cmp_ne_u32_e32 vcc, v39, v42
	s_nop 1
	v_cndmask_b32_e64 v39, 0, 1, vcc
	v_cmp_ne_u32_e32 vcc, v42, v43
	v_mov_b32_e32 v42, v46
	v_mov_b32_e32 v46, v50
	v_cndmask_b32_e64 v41, 0, 1, vcc
	v_cmp_ne_u32_e32 vcc, v43, v8
	v_mov_b32_e32 v50, v56
	s_nop 0
	v_cndmask_b32_e64 v43, 0, 1, vcc
	v_cmp_ne_u32_e32 vcc, v8, v9
	s_nop 1
	v_cndmask_b32_e64 v45, 0, 1, vcc
	v_cmp_ne_u32_e32 vcc, v9, v6
	;; [unrolled: 3-line block ×5, first 2 shown]
	s_nop 1
	v_cndmask_b32_e64 v53, 0, 1, vcc
.LBB1646_131:
	v_mov_b64_e32 v[56:57], s[8:9]
	s_and_saveexec_b64 s[6:7], s[10:11]
	s_cbranch_execz .LBB1646_133
; %bb.132:
	v_cndmask_b32_e64 v57, 0, 1, s[4:5]
	s_waitcnt lgkmcnt(0)
	v_mov_b32_e32 v56, v3
.LBB1646_133:
	s_or_b64 exec, exec, s[6:7]
	s_mov_b32 s46, 0
	s_cmp_lg_u32 s2, 0
	v_or_b32_e32 v55, v57, v53
	v_lshrrev_b32_e32 v1, 5, v0
	v_cmp_gt_u32_e32 vcc, 64, v0
	s_waitcnt lgkmcnt(0)
	s_barrier
	s_cbranch_scc0 .LBB1646_168
; %bb.134:
	s_mov_b32 s47, 1
	v_cmp_gt_u64_e64 s[52:53], s[46:47], v[12:13]
	v_cmp_gt_u64_e64 s[4:5], s[46:47], v[14:15]
	v_cmp_gt_u64_e64 s[6:7], s[46:47], v[16:17]
	v_cndmask_b32_e64 v2, 0, v10, s[52:53]
	v_add_u32_e32 v2, v2, v12
	v_cndmask_b32_e64 v2, 0, v2, s[4:5]
	v_add_u32_e32 v2, v2, v14
	v_cndmask_b32_e64 v2, 0, v2, s[6:7]
	v_add_u32_e32 v2, v2, v16
	v_cmp_gt_u64_e64 s[8:9], s[46:47], v[18:19]
	v_cmp_gt_u64_e64 s[10:11], s[46:47], v[20:21]
	v_cmp_gt_u64_e64 s[12:13], s[46:47], v[22:23]
	v_cndmask_b32_e64 v2, 0, v2, s[8:9]
	v_add_u32_e32 v2, v2, v18
	v_cndmask_b32_e64 v2, 0, v2, s[10:11]
	v_add_u32_e32 v2, v2, v20
	v_cndmask_b32_e64 v2, 0, v2, s[12:13]
	v_add_u32_e32 v2, v2, v22
	;; [unrolled: 9-line block ×7, first 2 shown]
	v_cmp_gt_u64_e64 s[46:47], s[46:47], v[56:57]
	s_nop 1
	v_cndmask_b32_e64 v2, 0, v2, s[46:47]
	v_add_u32_e32 v62, v2, v56
	v_or3_b32 v2, v55, v51, v49
	v_or3_b32 v2, v2, v47, v45
	;; [unrolled: 1-line block ×10, first 2 shown]
	v_and_b32_e32 v2, 1, v2
	v_cmp_eq_u32_e64 s[48:49], 1, v2
	v_add_lshl_u32 v2, v1, v0, 3
	s_nop 0
	v_cndmask_b32_e64 v63, v11, 1, s[48:49]
	ds_write_b32 v2, v62
	ds_write_b8 v2, v63 offset:4
	s_waitcnt lgkmcnt(0)
	s_barrier
	s_and_saveexec_b64 s[50:51], vcc
	s_cbranch_execz .LBB1646_146
; %bb.135:
	v_lshrrev_b32_e32 v2, 3, v0
	v_add_lshl_u32 v4, v2, v54, 3
	ds_read2_b32 v[6:7], v4 offset0:2 offset1:4
	ds_read_b64 v[2:3], v4
	ds_read_u8 v8, v4 offset:12
	ds_read_u8 v9, v4 offset:20
	ds_read_b32 v58, v4 offset:24
	ds_read_u8 v59, v4 offset:28
	v_mov_b32_e32 v60, 0
	s_waitcnt lgkmcnt(3)
	v_cmp_eq_u16_sdwa s[48:49], v8, v60 src0_sel:BYTE_0 src1_sel:DWORD
	v_and_b32_e32 v5, 1, v3
	s_nop 0
	v_cndmask_b32_e64 v61, 0, v2, s[48:49]
	v_add_u32_e32 v6, v61, v6
	s_waitcnt lgkmcnt(2)
	v_cmp_eq_u16_sdwa s[48:49], v9, v60 src0_sel:BYTE_0 src1_sel:DWORD
	s_nop 1
	v_cndmask_b32_e64 v6, 0, v6, s[48:49]
	v_add_u32_e32 v6, v6, v7
	s_waitcnt lgkmcnt(0)
	v_cmp_eq_u16_e64 s[48:49], 0, v59
	s_nop 1
	v_cndmask_b32_e64 v6, 0, v6, s[48:49]
	v_add_u32_e32 v7, v6, v58
	v_or_b32_e32 v6, v59, v9
	v_or_b32_e32 v6, v6, v8
	v_and_b32_e32 v6, 1, v6
	v_cmp_eq_u32_e64 s[48:49], 1, v6
	v_mbcnt_lo_u32_b32 v8, -1, 0
	v_and_b32_e32 v6, 0xffffff00, v3
	v_cndmask_b32_e64 v9, v5, 1, s[48:49]
	v_mbcnt_hi_u32_b32 v8, -1, v8
	v_and_b32_e32 v59, 15, v8
	v_or_b32_sdwa v58, v6, v9 dst_sel:DWORD dst_unused:UNUSED_PAD src0_sel:DWORD src1_sel:WORD_0
	v_mov_b32_dpp v60, v7 row_shr:1 row_mask:0xf bank_mask:0xf
	v_cmp_ne_u32_e64 s[48:49], 0, v59
	v_mov_b32_dpp v61, v58 row_shr:1 row_mask:0xf bank_mask:0xf
	s_and_saveexec_b64 s[54:55], s[48:49]
; %bb.136:
	v_and_b32_e32 v58, 1, v9
	v_and_b32_e32 v61, 1, v61
	v_cmp_eq_u32_e64 s[48:49], 1, v58
	s_nop 1
	v_cndmask_b32_e64 v61, v61, 1, s[48:49]
	v_cmp_eq_u16_e64 s[48:49], 0, v9
	v_or_b32_sdwa v58, v6, v61 dst_sel:DWORD dst_unused:UNUSED_PAD src0_sel:DWORD src1_sel:WORD_0
	s_nop 0
	v_cndmask_b32_e64 v9, 0, v60, s[48:49]
	v_add_u32_e32 v7, v9, v7
	v_mov_b32_e32 v9, v61
; %bb.137:
	s_or_b64 exec, exec, s[54:55]
	v_mov_b32_dpp v60, v7 row_shr:2 row_mask:0xf bank_mask:0xf
	v_mov_b32_dpp v61, v58 row_shr:2 row_mask:0xf bank_mask:0xf
	v_cmp_lt_u32_e64 s[48:49], 1, v59
	s_and_saveexec_b64 s[54:55], s[48:49]
; %bb.138:
	v_and_b32_e32 v58, 1, v9
	v_and_b32_e32 v61, 1, v61
	v_cmp_eq_u32_e64 s[48:49], 1, v58
	s_nop 1
	v_cndmask_b32_e64 v61, v61, 1, s[48:49]
	v_cmp_eq_u16_e64 s[48:49], 0, v9
	v_or_b32_sdwa v58, v6, v61 dst_sel:DWORD dst_unused:UNUSED_PAD src0_sel:DWORD src1_sel:WORD_0
	s_nop 0
	v_cndmask_b32_e64 v9, 0, v60, s[48:49]
	v_add_u32_e32 v7, v9, v7
	v_mov_b32_e32 v9, v61
; %bb.139:
	s_or_b64 exec, exec, s[54:55]
	v_mov_b32_dpp v60, v7 row_shr:4 row_mask:0xf bank_mask:0xf
	v_mov_b32_dpp v61, v58 row_shr:4 row_mask:0xf bank_mask:0xf
	v_cmp_lt_u32_e64 s[48:49], 3, v59
	s_and_saveexec_b64 s[54:55], s[48:49]
; %bb.140:
	v_and_b32_e32 v58, 1, v9
	v_and_b32_e32 v61, 1, v61
	v_cmp_eq_u32_e64 s[48:49], 1, v58
	s_nop 1
	v_cndmask_b32_e64 v61, v61, 1, s[48:49]
	v_cmp_eq_u16_e64 s[48:49], 0, v9
	v_or_b32_sdwa v58, v6, v61 dst_sel:DWORD dst_unused:UNUSED_PAD src0_sel:DWORD src1_sel:WORD_0
	s_nop 0
	v_cndmask_b32_e64 v9, 0, v60, s[48:49]
	v_add_u32_e32 v7, v9, v7
	v_mov_b32_e32 v9, v61
; %bb.141:
	s_or_b64 exec, exec, s[54:55]
	v_mov_b32_dpp v60, v7 row_shr:8 row_mask:0xf bank_mask:0xf
	v_mov_b32_dpp v61, v58 row_shr:8 row_mask:0xf bank_mask:0xf
	v_cmp_lt_u32_e64 s[48:49], 7, v59
	s_and_saveexec_b64 s[54:55], s[48:49]
; %bb.142:
	v_and_b32_e32 v58, 1, v9
	v_and_b32_e32 v59, 1, v61
	v_cmp_eq_u32_e64 s[48:49], 1, v58
	s_nop 1
	v_cndmask_b32_e64 v59, v59, 1, s[48:49]
	v_cmp_eq_u16_e64 s[48:49], 0, v9
	v_or_b32_sdwa v58, v6, v59 dst_sel:DWORD dst_unused:UNUSED_PAD src0_sel:DWORD src1_sel:WORD_0
	s_nop 0
	v_cndmask_b32_e64 v9, 0, v60, s[48:49]
	v_add_u32_e32 v7, v9, v7
	v_mov_b32_e32 v9, v59
; %bb.143:
	s_or_b64 exec, exec, s[54:55]
	v_and_b32_e32 v61, 16, v8
	v_mov_b32_dpp v59, v7 row_bcast:15 row_mask:0xf bank_mask:0xf
	v_mov_b32_dpp v60, v58 row_bcast:15 row_mask:0xf bank_mask:0xf
	v_cmp_ne_u32_e64 s[48:49], 0, v61
	s_and_saveexec_b64 s[54:55], s[48:49]
; %bb.144:
	v_and_b32_e32 v58, 1, v9
	v_and_b32_e32 v60, 1, v60
	v_cmp_eq_u32_e64 s[48:49], 1, v58
	s_nop 1
	v_cndmask_b32_e64 v60, v60, 1, s[48:49]
	v_cmp_eq_u16_e64 s[48:49], 0, v9
	v_or_b32_sdwa v58, v6, v60 dst_sel:DWORD dst_unused:UNUSED_PAD src0_sel:DWORD src1_sel:WORD_0
	s_nop 0
	v_cndmask_b32_e64 v9, 0, v59, s[48:49]
	v_add_u32_e32 v7, v9, v7
	v_mov_b32_e32 v9, v60
; %bb.145:
	s_or_b64 exec, exec, s[54:55]
	v_mov_b32_dpp v58, v58 row_bcast:31 row_mask:0xf bank_mask:0xf
	v_and_b32_e32 v60, 1, v9
	v_and_b32_e32 v58, 1, v58
	v_cmp_eq_u32_e64 s[48:49], 1, v60
	v_mov_b32_e32 v60, 0
	v_cmp_eq_u16_sdwa s[54:55], v9, v60 src0_sel:BYTE_0 src1_sel:DWORD
	v_cndmask_b32_e64 v58, v58, 1, s[48:49]
	v_cmp_lt_u32_e64 s[48:49], 31, v8
	v_mov_b32_dpp v59, v7 row_bcast:31 row_mask:0xf bank_mask:0xf
	s_movk_i32 s3, 0xff
	v_cndmask_b32_e64 v9, v9, v58, s[48:49]
	s_and_b64 s[48:49], s[48:49], s[54:55]
	v_cndmask_b32_e64 v58, 0, v59, s[48:49]
	v_add_u32_e32 v7, v58, v7
	v_add_u32_e32 v58, -1, v8
	v_and_b32_e32 v59, 64, v8
	v_cmp_lt_i32_e64 s[48:49], v58, v59
	v_and_or_b32 v6, v9, s3, v6
	s_nop 0
	v_cndmask_b32_e64 v8, v58, v8, s[48:49]
	v_lshlrev_b32_e32 v8, 2, v8
	ds_bpermute_b32 v7, v8, v7
	ds_bpermute_b32 v6, v8, v6
	v_cmp_eq_u16_sdwa s[48:49], v3, v60 src0_sel:BYTE_0 src1_sel:DWORD
	; wave barrier
	s_waitcnt lgkmcnt(1)
	s_nop 0
	v_cndmask_b32_e64 v3, 0, v7, s[48:49]
	v_add_u32_e32 v2, v3, v2
	s_waitcnt lgkmcnt(0)
	v_and_b32_e32 v3, 1, v6
	v_cmp_eq_u32_e64 s[48:49], 1, v5
	s_nop 1
	v_cndmask_b32_e64 v3, v3, 1, s[48:49]
	v_cmp_eq_u32_e64 s[48:49], 0, v0
	s_nop 1
	v_cndmask_b32_e64 v5, v2, v62, s[48:49]
	v_cndmask_b32_e64 v6, v3, v63, s[48:49]
	ds_write_b32 v4, v5
	ds_write_b8 v4, v6 offset:4
	; wave barrier
	ds_read_u8 v7, v4 offset:12
	ds_read2_b32 v[2:3], v4 offset0:2 offset1:4
	ds_read_u8 v8, v4 offset:20
	ds_read_b32 v9, v4 offset:24
	ds_read_u8 v58, v4 offset:28
	s_waitcnt lgkmcnt(4)
	v_cmp_eq_u16_e64 s[48:49], 0, v7
	s_nop 1
	v_cndmask_b32_e64 v5, 0, v5, s[48:49]
	s_waitcnt lgkmcnt(3)
	v_add_u32_e32 v2, v5, v2
	v_and_b32_e32 v5, 1, v7
	v_cmp_eq_u32_e64 s[48:49], 1, v5
	s_nop 1
	v_cndmask_b32_e64 v5, v6, 1, s[48:49]
	s_waitcnt lgkmcnt(2)
	v_cmp_eq_u16_e64 s[48:49], 0, v8
	ds_write_b8 v4, v5 offset:12
	s_nop 0
	v_cndmask_b32_e64 v6, 0, v2, s[48:49]
	v_add_u32_e32 v3, v6, v3
	v_and_b32_e32 v6, 1, v8
	v_cmp_eq_u32_e64 s[48:49], 1, v6
	s_nop 1
	v_cndmask_b32_e64 v5, v5, 1, s[48:49]
	s_waitcnt lgkmcnt(1)
	v_cmp_eq_u16_e64 s[48:49], 0, v58
	ds_write2_b32 v4, v2, v3 offset0:2 offset1:4
	ds_write_b8 v4, v5 offset:20
	v_cndmask_b32_e64 v2, 0, v3, s[48:49]
	v_and_b32_e32 v3, 1, v58
	v_add_u32_e32 v2, v2, v9
	v_cmp_eq_u32_e64 s[48:49], 1, v3
	s_nop 1
	v_cndmask_b32_e64 v3, v5, 1, s[48:49]
	ds_write_b32 v4, v2 offset:24
	ds_write_b8 v4, v3 offset:28
.LBB1646_146:
	s_or_b64 exec, exec, s[50:51]
	v_cmp_eq_u32_e64 s[48:49], 0, v0
	v_cmp_ne_u32_e64 s[50:51], 0, v0
	s_waitcnt lgkmcnt(0)
	s_barrier
	s_and_saveexec_b64 s[54:55], s[50:51]
	s_cbranch_execz .LBB1646_148
; %bb.147:
	v_add_u32_e32 v2, -1, v0
	v_lshrrev_b32_e32 v3, 5, v2
	v_add_lshl_u32 v2, v3, v2, 3
	ds_read_b32 v62, v2
	ds_read_u8 v63, v2 offset:4
.LBB1646_148:
	s_or_b64 exec, exec, s[54:55]
	s_and_saveexec_b64 s[60:61], vcc
	s_cbranch_execz .LBB1646_167
; %bb.149:
	v_mov_b32_e32 v5, 0
	ds_read_b64 v[2:3], v5 offset:2096
	v_mbcnt_lo_u32_b32 v4, -1, 0
	v_mbcnt_hi_u32_b32 v73, -1, v4
	s_mov_b32 s65, 0
	v_cmp_eq_u32_e64 s[50:51], 0, v73
	s_waitcnt lgkmcnt(0)
	v_readfirstlane_b32 s3, v3
	s_and_saveexec_b64 s[54:55], s[50:51]
	s_cbranch_execz .LBB1646_151
; %bb.150:
	s_add_i32 s64, s2, 64
	s_lshl_b64 s[66:67], s[64:65], 4
	s_add_u32 s66, s68, s66
	s_addc_u32 s67, s69, s67
	s_and_b32 s77, s3, 0xff000000
	s_mov_b32 s76, s65
	s_and_b32 s79, s3, 0xff0000
	s_mov_b32 s78, s65
	s_or_b64 s[76:77], s[78:79], s[76:77]
	s_and_b32 s79, s3, 0xff00
	s_or_b64 s[76:77], s[76:77], s[78:79]
	s_and_b32 s79, s3, 0xff
	s_or_b64 s[64:65], s[76:77], s[78:79]
	v_mov_b32_e32 v3, s65
	v_mov_b32_e32 v4, 1
	v_mov_b64_e32 v[6:7], s[66:67]
	;;#ASMSTART
	global_store_dwordx4 v[6:7], v[2:5] off sc1	
s_waitcnt vmcnt(0)
	;;#ASMEND
.LBB1646_151:
	s_or_b64 exec, exec, s[54:55]
	v_xad_u32 v58, v73, -1, s2
	v_add_u32_e32 v4, 64, v58
	v_lshl_add_u64 v[60:61], v[4:5], 4, s[68:69]
	;;#ASMSTART
	global_load_dwordx4 v[6:9], v[60:61] off sc1	
s_waitcnt vmcnt(0)
	;;#ASMEND
	s_nop 0
	v_and_b32_e32 v3, 0xff0000, v6
	v_and_b32_e32 v4, 0xff000000, v6
	;; [unrolled: 1-line block ×3, first 2 shown]
	v_or_b32_sdwa v3, v6, v3 dst_sel:DWORD dst_unused:UNUSED_PAD src0_sel:WORD_0 src1_sel:DWORD
	v_or3_b32 v7, 0, 0, v7
	v_or3_b32 v6, v3, v4, 0
	v_cmp_eq_u16_sdwa s[64:65], v8, v5 src0_sel:BYTE_0 src1_sel:DWORD
	s_and_saveexec_b64 s[54:55], s[64:65]
	s_cbranch_execz .LBB1646_155
; %bb.152:
	s_mov_b64 s[64:65], 0
	v_mov_b32_e32 v3, 0
.LBB1646_153:                           ; =>This Inner Loop Header: Depth=1
	;;#ASMSTART
	global_load_dwordx4 v[6:9], v[60:61] off sc1	
s_waitcnt vmcnt(0)
	;;#ASMEND
	s_nop 0
	v_cmp_ne_u16_sdwa s[66:67], v8, v3 src0_sel:BYTE_0 src1_sel:DWORD
	s_or_b64 s[64:65], s[66:67], s[64:65]
	s_andn2_b64 exec, exec, s[64:65]
	s_cbranch_execnz .LBB1646_153
; %bb.154:
	s_or_b64 exec, exec, s[64:65]
	v_and_b32_e32 v7, 0xff, v7
.LBB1646_155:
	s_or_b64 exec, exec, s[54:55]
	v_mov_b32_e32 v3, 2
	v_cmp_eq_u16_sdwa s[54:55], v8, v3 src0_sel:BYTE_0 src1_sel:DWORD
	v_lshlrev_b64 v[4:5], v73, -1
	v_and_b32_e32 v64, 63, v73
	v_and_b32_e32 v9, s55, v5
	v_or_b32_e32 v9, 0x80000000, v9
	v_and_b32_e32 v59, s54, v4
	v_ffbl_b32_e32 v9, v9
	v_add_u32_e32 v9, 32, v9
	v_ffbl_b32_e32 v59, v59
	v_cmp_ne_u32_e32 vcc, 63, v64
	v_min_u32_e32 v9, v59, v9
	s_mov_b32 s64, 0
	v_addc_co_u32_e32 v59, vcc, 0, v73, vcc
	v_lshlrev_b32_e32 v65, 2, v59
	ds_bpermute_b32 v59, v65, v7
	ds_bpermute_b32 v60, v65, v6
	v_and_b32_e32 v61, 1, v7
	s_mov_b32 s65, 1
	v_cmp_eq_u32_e32 vcc, 1, v61
	s_waitcnt lgkmcnt(1)
	v_and_b32_e32 v59, 1, v59
	v_cmp_lt_u32_e64 s[54:55], v64, v9
	v_cndmask_b32_e64 v59, v59, 1, vcc
	v_cmp_gt_u64_e32 vcc, s[64:65], v[6:7]
	s_and_b64 vcc, s[54:55], vcc
	v_and_b32_e32 v61, 0xffff, v59
	v_cndmask_b32_e64 v68, v7, v59, s[54:55]
	s_waitcnt lgkmcnt(0)
	v_cndmask_b32_e32 v59, 0, v60, vcc
	v_cmp_gt_u32_e32 vcc, 62, v64
	v_cndmask_b32_e64 v7, v7, v61, s[54:55]
	v_add_u32_e32 v6, v59, v6
	v_cndmask_b32_e64 v60, 0, 1, vcc
	v_lshlrev_b32_e32 v60, 1, v60
	v_add_lshl_u32 v66, v60, v73, 2
	ds_bpermute_b32 v60, v66, v7
	ds_bpermute_b32 v61, v66, v6
	v_and_b32_e32 v59, 1, v68
	v_cmp_eq_u32_e32 vcc, 1, v59
	v_mov_b32_e32 v59, 0
	s_waitcnt lgkmcnt(1)
	v_and_b32_e32 v60, 1, v60
	v_add_u32_e32 v67, 2, v64
	v_cndmask_b32_e64 v60, v60, 1, vcc
	v_cmp_eq_u16_sdwa vcc, v68, v59 src0_sel:BYTE_0 src1_sel:DWORD
	v_and_b32_e32 v69, 0xffff, v60
	v_add_u32_e32 v77, 32, v64
	s_waitcnt lgkmcnt(0)
	v_cndmask_b32_e32 v61, 0, v61, vcc
	v_cmp_gt_u32_e32 vcc, v67, v9
	s_nop 1
	v_cndmask_b32_e32 v60, v60, v68, vcc
	v_cndmask_b32_e64 v61, v61, 0, vcc
	v_cndmask_b32_e32 v7, v69, v7, vcc
	v_cmp_gt_u32_e32 vcc, 60, v64
	v_add_u32_e32 v6, v61, v6
	v_and_b32_e32 v71, 1, v60
	v_cndmask_b32_e64 v68, 0, 1, vcc
	v_lshlrev_b32_e32 v68, 2, v68
	v_add_lshl_u32 v68, v68, v73, 2
	ds_bpermute_b32 v70, v68, v7
	ds_bpermute_b32 v61, v68, v6
	v_cmp_eq_u32_e32 vcc, 1, v71
	v_add_u32_e32 v69, 4, v64
	s_waitcnt lgkmcnt(1)
	v_and_b32_e32 v70, 1, v70
	v_cndmask_b32_e64 v70, v70, 1, vcc
	v_cmp_eq_u16_sdwa vcc, v60, v59 src0_sel:BYTE_0 src1_sel:DWORD
	v_and_b32_e32 v71, 0xffff, v70
	s_waitcnt lgkmcnt(0)
	v_cndmask_b32_e32 v61, 0, v61, vcc
	v_cmp_gt_u32_e32 vcc, v69, v9
	s_nop 1
	v_cndmask_b32_e32 v60, v70, v60, vcc
	v_cndmask_b32_e64 v61, v61, 0, vcc
	v_cndmask_b32_e32 v7, v71, v7, vcc
	v_cmp_gt_u32_e32 vcc, 56, v64
	v_add_u32_e32 v6, v61, v6
	v_and_b32_e32 v74, 1, v60
	v_cndmask_b32_e64 v70, 0, 1, vcc
	v_lshlrev_b32_e32 v70, 3, v70
	v_add_lshl_u32 v70, v70, v73, 2
	ds_bpermute_b32 v72, v70, v7
	ds_bpermute_b32 v61, v70, v6
	v_cmp_eq_u32_e32 vcc, 1, v74
	v_add_u32_e32 v71, 8, v64
	s_waitcnt lgkmcnt(1)
	v_and_b32_e32 v72, 1, v72
	v_cndmask_b32_e64 v72, v72, 1, vcc
	v_cmp_eq_u16_sdwa vcc, v60, v59 src0_sel:BYTE_0 src1_sel:DWORD
	v_and_b32_e32 v74, 0xffff, v72
	s_waitcnt lgkmcnt(0)
	v_cndmask_b32_e32 v61, 0, v61, vcc
	v_cmp_gt_u32_e32 vcc, v71, v9
	s_nop 1
	v_cndmask_b32_e32 v60, v72, v60, vcc
	v_cndmask_b32_e64 v61, v61, 0, vcc
	v_cndmask_b32_e32 v7, v74, v7, vcc
	v_cmp_gt_u32_e32 vcc, 48, v64
	v_add_u32_e32 v6, v61, v6
	v_and_b32_e32 v76, 1, v60
	v_cndmask_b32_e64 v72, 0, 1, vcc
	v_lshlrev_b32_e32 v72, 4, v72
	v_add_lshl_u32 v72, v72, v73, 2
	ds_bpermute_b32 v75, v72, v7
	ds_bpermute_b32 v61, v72, v6
	v_cmp_eq_u32_e32 vcc, 1, v76
	v_add_u32_e32 v74, 16, v64
	s_waitcnt lgkmcnt(1)
	v_and_b32_e32 v75, 1, v75
	v_cndmask_b32_e64 v75, v75, 1, vcc
	v_cmp_eq_u16_sdwa vcc, v60, v59 src0_sel:BYTE_0 src1_sel:DWORD
	v_and_b32_e32 v76, 0xffff, v75
	s_waitcnt lgkmcnt(0)
	v_cndmask_b32_e32 v61, 0, v61, vcc
	v_cmp_gt_u32_e32 vcc, v74, v9
	s_nop 1
	v_cndmask_b32_e32 v60, v75, v60, vcc
	v_cndmask_b32_e64 v61, v61, 0, vcc
	v_cndmask_b32_e32 v7, v76, v7, vcc
	v_cmp_gt_u32_e32 vcc, 32, v64
	v_add_u32_e32 v6, v61, v6
	s_nop 0
	v_cndmask_b32_e64 v75, 0, 1, vcc
	v_lshlrev_b32_e32 v75, 5, v75
	v_add_lshl_u32 v76, v75, v73, 2
	ds_bpermute_b32 v7, v76, v7
	ds_bpermute_b32 v61, v76, v6
	v_and_b32_e32 v73, 1, v60
	v_cmp_eq_u32_e32 vcc, 1, v73
	s_waitcnt lgkmcnt(1)
	v_and_b32_e32 v7, 1, v7
	v_cndmask_b32_e64 v7, v7, 1, vcc
	v_cmp_eq_u16_sdwa vcc, v60, v59 src0_sel:BYTE_0 src1_sel:DWORD
	s_waitcnt lgkmcnt(0)
	s_nop 0
	v_cndmask_b32_e32 v61, 0, v61, vcc
	v_cmp_gt_u32_e32 vcc, v77, v9
	s_nop 1
	v_cndmask_b32_e64 v9, v61, 0, vcc
	v_cndmask_b32_e32 v7, v7, v60, vcc
	v_add_u32_e32 v6, v9, v6
	s_branch .LBB1646_157
.LBB1646_156:                           ;   in Loop: Header=BB1646_157 Depth=1
	s_or_b64 exec, exec, s[54:55]
	v_cmp_eq_u16_sdwa s[54:55], v8, v3 src0_sel:BYTE_0 src1_sel:DWORD
	ds_bpermute_b32 v61, v65, v7
	v_and_b32_e32 v78, 1, v7
	v_and_b32_e32 v9, s55, v5
	v_or_b32_e32 v9, 0x80000000, v9
	v_and_b32_e32 v60, s54, v4
	v_ffbl_b32_e32 v9, v9
	v_add_u32_e32 v9, 32, v9
	v_ffbl_b32_e32 v60, v60
	v_min_u32_e32 v9, v60, v9
	ds_bpermute_b32 v60, v65, v6
	s_waitcnt lgkmcnt(1)
	v_and_b32_e32 v61, 1, v61
	v_cmp_eq_u32_e32 vcc, 1, v78
	v_cmp_lt_u32_e64 s[54:55], v64, v9
	v_subrev_u32_e32 v58, 64, v58
	v_cndmask_b32_e64 v61, v61, 1, vcc
	v_cmp_gt_u64_e32 vcc, s[64:65], v[6:7]
	v_and_b32_e32 v78, 0xffff, v61
	v_cndmask_b32_e64 v61, v7, v61, s[54:55]
	v_cndmask_b32_e64 v7, v7, v78, s[54:55]
	s_and_b64 vcc, s[54:55], vcc
	ds_bpermute_b32 v78, v66, v7
	s_waitcnt lgkmcnt(1)
	v_cndmask_b32_e32 v60, 0, v60, vcc
	v_add_u32_e32 v6, v60, v6
	ds_bpermute_b32 v60, v66, v6
	v_and_b32_e32 v79, 1, v61
	s_waitcnt lgkmcnt(1)
	v_and_b32_e32 v78, 1, v78
	v_cmp_eq_u32_e32 vcc, 1, v79
	s_nop 1
	v_cndmask_b32_e64 v78, v78, 1, vcc
	v_cmp_eq_u16_sdwa vcc, v61, v59 src0_sel:BYTE_0 src1_sel:DWORD
	v_and_b32_e32 v79, 0xffff, v78
	s_waitcnt lgkmcnt(0)
	v_cndmask_b32_e32 v60, 0, v60, vcc
	v_cmp_gt_u32_e32 vcc, v67, v9
	s_nop 1
	v_cndmask_b32_e32 v7, v79, v7, vcc
	v_cndmask_b32_e32 v61, v78, v61, vcc
	ds_bpermute_b32 v78, v68, v7
	v_cndmask_b32_e64 v60, v60, 0, vcc
	v_add_u32_e32 v6, v60, v6
	ds_bpermute_b32 v60, v68, v6
	v_and_b32_e32 v79, 1, v61
	s_waitcnt lgkmcnt(1)
	v_and_b32_e32 v78, 1, v78
	v_cmp_eq_u32_e32 vcc, 1, v79
	s_nop 1
	v_cndmask_b32_e64 v78, v78, 1, vcc
	v_cmp_eq_u16_sdwa vcc, v61, v59 src0_sel:BYTE_0 src1_sel:DWORD
	v_and_b32_e32 v79, 0xffff, v78
	s_waitcnt lgkmcnt(0)
	v_cndmask_b32_e32 v60, 0, v60, vcc
	v_cmp_gt_u32_e32 vcc, v69, v9
	s_nop 1
	v_cndmask_b32_e32 v7, v79, v7, vcc
	v_cndmask_b32_e32 v61, v78, v61, vcc
	ds_bpermute_b32 v78, v70, v7
	v_cndmask_b32_e64 v60, v60, 0, vcc
	;; [unrolled: 18-line block ×3, first 2 shown]
	v_add_u32_e32 v6, v60, v6
	ds_bpermute_b32 v60, v72, v6
	v_and_b32_e32 v79, 1, v61
	s_waitcnt lgkmcnt(1)
	v_and_b32_e32 v78, 1, v78
	v_cmp_eq_u32_e32 vcc, 1, v79
	s_nop 1
	v_cndmask_b32_e64 v78, v78, 1, vcc
	v_cmp_eq_u16_sdwa vcc, v61, v59 src0_sel:BYTE_0 src1_sel:DWORD
	v_and_b32_e32 v79, 0xffff, v78
	s_waitcnt lgkmcnt(0)
	v_cndmask_b32_e32 v60, 0, v60, vcc
	v_cmp_gt_u32_e32 vcc, v74, v9
	s_nop 1
	v_cndmask_b32_e64 v60, v60, 0, vcc
	v_cndmask_b32_e32 v7, v79, v7, vcc
	ds_bpermute_b32 v7, v76, v7
	v_add_u32_e32 v6, v60, v6
	ds_bpermute_b32 v60, v76, v6
	v_cndmask_b32_e32 v61, v78, v61, vcc
	v_and_b32_e32 v78, 1, v61
	v_cmp_eq_u32_e32 vcc, 1, v78
	s_waitcnt lgkmcnt(1)
	s_nop 0
	v_cndmask_b32_e64 v7, v7, 1, vcc
	v_cmp_eq_u16_sdwa vcc, v61, v59 src0_sel:BYTE_0 src1_sel:DWORD
	s_waitcnt lgkmcnt(0)
	s_nop 0
	v_cndmask_b32_e32 v60, 0, v60, vcc
	v_cmp_gt_u32_e32 vcc, v77, v9
	s_nop 1
	v_cndmask_b32_e64 v9, v60, 0, vcc
	v_cndmask_b32_e32 v7, v7, v61, vcc
	v_add_u32_e32 v6, v9, v6
	v_cmp_eq_u16_sdwa vcc, v73, v59 src0_sel:BYTE_0 src1_sel:DWORD
	v_and_b32_e32 v9, 1, v73
	v_and_b32_e32 v7, 1, v7
	v_cndmask_b32_e32 v6, 0, v6, vcc
	v_cmp_eq_u32_e32 vcc, 1, v9
	v_add_u32_e32 v6, v6, v75
	s_nop 0
	v_cndmask_b32_e64 v7, v7, 1, vcc
.LBB1646_157:                           ; =>This Loop Header: Depth=1
                                        ;     Child Loop BB1646_160 Depth 2
	v_cmp_ne_u16_sdwa s[54:55], v8, v3 src0_sel:BYTE_0 src1_sel:DWORD
	v_mov_b32_e32 v73, v7
	v_mov_b32_e32 v75, v6
	v_cndmask_b32_e64 v7, 0, 1, s[54:55]
	;;#ASMSTART
	;;#ASMEND
	s_nop 0
	v_cmp_ne_u32_e32 vcc, 0, v7
	s_cmp_lg_u64 vcc, exec
	s_cbranch_scc1 .LBB1646_162
; %bb.158:                              ;   in Loop: Header=BB1646_157 Depth=1
	v_lshl_add_u64 v[60:61], v[58:59], 4, s[68:69]
	;;#ASMSTART
	global_load_dwordx4 v[6:9], v[60:61] off sc1	
s_waitcnt vmcnt(0)
	;;#ASMEND
	s_nop 0
	v_and_b32_e32 v9, 0xff0000, v6
	v_and_b32_e32 v78, 0xff000000, v6
	;; [unrolled: 1-line block ×3, first 2 shown]
	v_or_b32_sdwa v6, v6, v9 dst_sel:DWORD dst_unused:UNUSED_PAD src0_sel:WORD_0 src1_sel:DWORD
	v_or3_b32 v7, 0, 0, v7
	v_or3_b32 v6, v6, v78, 0
	v_cmp_eq_u16_sdwa s[66:67], v8, v59 src0_sel:BYTE_0 src1_sel:DWORD
	s_and_saveexec_b64 s[54:55], s[66:67]
	s_cbranch_execz .LBB1646_156
; %bb.159:                              ;   in Loop: Header=BB1646_157 Depth=1
	s_mov_b64 s[66:67], 0
.LBB1646_160:                           ;   Parent Loop BB1646_157 Depth=1
                                        ; =>  This Inner Loop Header: Depth=2
	;;#ASMSTART
	global_load_dwordx4 v[6:9], v[60:61] off sc1	
s_waitcnt vmcnt(0)
	;;#ASMEND
	s_nop 0
	v_cmp_ne_u16_sdwa s[76:77], v8, v59 src0_sel:BYTE_0 src1_sel:DWORD
	s_or_b64 s[66:67], s[76:77], s[66:67]
	s_andn2_b64 exec, exec, s[66:67]
	s_cbranch_execnz .LBB1646_160
; %bb.161:                              ;   in Loop: Header=BB1646_157 Depth=1
	s_or_b64 exec, exec, s[66:67]
	v_and_b32_e32 v7, 0xff, v7
	s_branch .LBB1646_156
.LBB1646_162:                           ;   in Loop: Header=BB1646_157 Depth=1
                                        ; implicit-def: $vgpr7
                                        ; implicit-def: $vgpr6
                                        ; implicit-def: $vgpr8
	s_cbranch_execz .LBB1646_157
; %bb.163:
	s_and_saveexec_b64 s[54:55], s[50:51]
	s_cbranch_execz .LBB1646_165
; %bb.164:
	s_and_b32 s50, s3, 0xff
	s_cmp_eq_u32 s50, 0
	s_cselect_b64 vcc, -1, 0
	s_bitcmp1_b32 s3, 0
	s_mov_b32 s51, 0
	s_cselect_b64 s[64:65], -1, 0
	s_add_i32 s50, s2, 64
	s_lshl_b64 s[2:3], s[50:51], 4
	v_cndmask_b32_e32 v3, 0, v75, vcc
	s_add_u32 s2, s68, s2
	v_add_u32_e32 v2, v3, v2
	v_and_b32_e32 v3, 1, v73
	s_addc_u32 s3, s69, s3
	v_mov_b32_e32 v5, 0
	v_cndmask_b32_e64 v3, v3, 1, s[64:65]
	v_mov_b32_e32 v4, 2
	v_mov_b64_e32 v[6:7], s[2:3]
	;;#ASMSTART
	global_store_dwordx4 v[6:7], v[2:5] off sc1	
s_waitcnt vmcnt(0)
	;;#ASMEND
.LBB1646_165:
	s_or_b64 exec, exec, s[54:55]
	s_and_b64 exec, exec, s[48:49]
	s_cbranch_execz .LBB1646_167
; %bb.166:
	v_mov_b32_e32 v2, 0
	ds_write_b32 v2, v75
	ds_write_b8 v2, v73 offset:4
.LBB1646_167:
	s_or_b64 exec, exec, s[60:61]
	s_mov_b32 s2, 0
	v_mov_b32_e32 v2, 0
	s_mov_b32 s3, 1
	s_waitcnt lgkmcnt(0)
	s_barrier
	ds_read_b32 v3, v2
	v_cmp_gt_u64_e32 vcc, s[2:3], v[10:11]
	v_and_b32_e32 v5, 1, v11
	v_and_b32_e32 v6, 1, v63
	v_cndmask_b32_e32 v4, 0, v62, vcc
	v_cmp_eq_u32_e32 vcc, 1, v5
	v_cndmask_b32_e64 v4, v4, 0, s[48:49]
	s_nop 0
	v_cndmask_b32_e64 v5, v6, 1, vcc
	v_cndmask_b32_e64 v5, v5, v11, s[48:49]
	v_cmp_eq_u16_sdwa vcc, v5, v2 src0_sel:BYTE_0 src1_sel:DWORD
	s_waitcnt lgkmcnt(0)
	s_nop 0
	v_cndmask_b32_e32 v2, 0, v3, vcc
	v_add3_u32 v80, v4, v10, v2
	v_cndmask_b32_e64 v2, 0, v80, s[52:53]
	v_add_u32_e32 v58, v2, v12
	v_cndmask_b32_e64 v2, 0, v58, s[4:5]
	v_add_u32_e32 v59, v2, v14
	;; [unrolled: 2-line block ×22, first 2 shown]
	s_branch .LBB1646_188
.LBB1646_168:
                                        ; implicit-def: $vgpr78
                                        ; implicit-def: $vgpr77
                                        ; implicit-def: $vgpr76
                                        ; implicit-def: $vgpr75
                                        ; implicit-def: $vgpr74
                                        ; implicit-def: $vgpr73
                                        ; implicit-def: $vgpr72
                                        ; implicit-def: $vgpr71
                                        ; implicit-def: $vgpr70
                                        ; implicit-def: $vgpr69
                                        ; implicit-def: $vgpr68
                                        ; implicit-def: $vgpr67
                                        ; implicit-def: $vgpr66
                                        ; implicit-def: $vgpr65
                                        ; implicit-def: $vgpr64
                                        ; implicit-def: $vgpr63
                                        ; implicit-def: $vgpr62
                                        ; implicit-def: $vgpr61
                                        ; implicit-def: $vgpr60
                                        ; implicit-def: $vgpr59
                                        ; implicit-def: $vgpr58
                                        ; implicit-def: $vgpr80
                                        ; implicit-def: $vgpr79
	s_cbranch_execz .LBB1646_188
; %bb.169:
	s_cmp_lg_u64 s[74:75], 0
	s_cselect_b32 s5, s63, 0
	s_cselect_b32 s4, s62, 0
	s_cmp_lg_u64 s[4:5], 0
	s_cselect_b64 s[6:7], -1, 0
	v_cmp_eq_u32_e32 vcc, 0, v0
	s_mov_b32 s48, 0
	v_cmp_ne_u32_e64 s[2:3], 0, v0
	s_and_b64 s[8:9], vcc, s[6:7]
	s_and_saveexec_b64 s[6:7], s[8:9]
	s_cbranch_execz .LBB1646_171
; %bb.170:
	v_mov_b32_e32 v2, 0
	global_load_dword v4, v2, s[4:5]
	global_load_ubyte v5, v2, s[4:5] offset:4
	s_mov_b32 s49, 1
	v_and_b32_e32 v3, 1, v11
	v_cmp_gt_u64_e64 s[4:5], s[48:49], v[10:11]
	s_waitcnt vmcnt(0)
	v_and_b32_e32 v5, 1, v5
	v_cndmask_b32_e64 v4, 0, v4, s[4:5]
	v_cmp_eq_u64_e64 s[4:5], 0, v[2:3]
	v_add_u32_e32 v10, v4, v10
	s_nop 0
	v_cndmask_b32_e64 v11, 1, v5, s[4:5]
.LBB1646_171:
	s_or_b64 exec, exec, s[6:7]
	s_mov_b32 s49, 1
	v_cmp_gt_u64_e64 s[4:5], s[48:49], v[12:13]
	v_cmp_gt_u64_e64 s[6:7], s[48:49], v[14:15]
	v_cmp_gt_u64_e64 s[8:9], s[48:49], v[16:17]
	v_cndmask_b32_e64 v2, 0, v10, s[4:5]
	v_add_u32_e32 v58, v2, v12
	v_cndmask_b32_e64 v2, 0, v58, s[6:7]
	v_add_u32_e32 v59, v2, v14
	v_cndmask_b32_e64 v2, 0, v59, s[8:9]
	v_add_u32_e32 v60, v2, v16
	v_cmp_gt_u64_e64 s[10:11], s[48:49], v[18:19]
	v_cmp_gt_u64_e64 s[12:13], s[48:49], v[20:21]
	v_cmp_gt_u64_e64 s[14:15], s[48:49], v[22:23]
	v_cndmask_b32_e64 v2, 0, v60, s[10:11]
	v_add_u32_e32 v61, v2, v18
	v_cndmask_b32_e64 v2, 0, v61, s[12:13]
	v_add_u32_e32 v62, v2, v20
	v_cndmask_b32_e64 v2, 0, v62, s[14:15]
	v_add_u32_e32 v63, v2, v22
	;; [unrolled: 9-line block ×7, first 2 shown]
	v_cmp_gt_u64_e64 s[48:49], s[48:49], v[56:57]
	v_add_lshl_u32 v1, v1, v0, 3
	s_nop 0
	v_cndmask_b32_e64 v2, 0, v78, s[48:49]
	v_add_u32_e32 v79, v2, v56
	v_or3_b32 v2, v55, v51, v49
	v_or3_b32 v2, v2, v47, v45
	;; [unrolled: 1-line block ×10, first 2 shown]
	v_and_b32_e32 v2, 1, v2
	v_cmp_eq_u32_e64 s[50:51], 1, v2
	s_nop 1
	v_cndmask_b32_e64 v4, v11, 1, s[50:51]
	v_cmp_gt_u32_e64 s[50:51], 64, v0
	ds_write_b32 v1, v79
	ds_write_b8 v1, v4 offset:4
	s_waitcnt lgkmcnt(0)
	s_barrier
	s_and_saveexec_b64 s[52:53], s[50:51]
	s_cbranch_execz .LBB1646_183
; %bb.172:
	v_lshrrev_b32_e32 v1, 3, v0
	v_add_lshl_u32 v1, v1, v54, 3
	ds_read2_b32 v[6:7], v1 offset0:2 offset1:4
	ds_read_b64 v[2:3], v1
	ds_read_u8 v8, v1 offset:12
	ds_read_u8 v9, v1 offset:20
	ds_read_b32 v13, v1 offset:24
	ds_read_u8 v15, v1 offset:28
	v_mov_b32_e32 v17, 0
	s_waitcnt lgkmcnt(3)
	v_cmp_eq_u16_sdwa s[50:51], v8, v17 src0_sel:BYTE_0 src1_sel:DWORD
	v_and_b32_e32 v5, 1, v3
	s_nop 0
	v_cndmask_b32_e64 v19, 0, v2, s[50:51]
	v_add_u32_e32 v6, v19, v6
	s_waitcnt lgkmcnt(2)
	v_cmp_eq_u16_sdwa s[50:51], v9, v17 src0_sel:BYTE_0 src1_sel:DWORD
	s_nop 1
	v_cndmask_b32_e64 v6, 0, v6, s[50:51]
	v_add_u32_e32 v6, v6, v7
	s_waitcnt lgkmcnt(0)
	v_cmp_eq_u16_e64 s[50:51], 0, v15
	s_nop 1
	v_cndmask_b32_e64 v6, 0, v6, s[50:51]
	v_add_u32_e32 v7, v6, v13
	v_or_b32_e32 v6, v15, v9
	v_or_b32_e32 v6, v6, v8
	v_and_b32_e32 v6, 1, v6
	v_cmp_eq_u32_e64 s[50:51], 1, v6
	v_mbcnt_lo_u32_b32 v8, -1, 0
	v_and_b32_e32 v6, 0xffffff00, v3
	v_cndmask_b32_e64 v9, v5, 1, s[50:51]
	v_mbcnt_hi_u32_b32 v8, -1, v8
	v_and_b32_e32 v15, 15, v8
	v_or_b32_sdwa v13, v6, v9 dst_sel:DWORD dst_unused:UNUSED_PAD src0_sel:DWORD src1_sel:WORD_0
	v_mov_b32_dpp v17, v7 row_shr:1 row_mask:0xf bank_mask:0xf
	v_cmp_ne_u32_e64 s[50:51], 0, v15
	v_mov_b32_dpp v19, v13 row_shr:1 row_mask:0xf bank_mask:0xf
	s_and_saveexec_b64 s[54:55], s[50:51]
; %bb.173:
	v_and_b32_e32 v13, 1, v9
	v_and_b32_e32 v19, 1, v19
	v_cmp_eq_u32_e64 s[50:51], 1, v13
	s_nop 1
	v_cndmask_b32_e64 v19, v19, 1, s[50:51]
	v_cmp_eq_u16_e64 s[50:51], 0, v9
	v_or_b32_sdwa v13, v6, v19 dst_sel:DWORD dst_unused:UNUSED_PAD src0_sel:DWORD src1_sel:WORD_0
	s_nop 0
	v_cndmask_b32_e64 v9, 0, v17, s[50:51]
	v_add_u32_e32 v7, v9, v7
	v_mov_b32_e32 v9, v19
; %bb.174:
	s_or_b64 exec, exec, s[54:55]
	v_mov_b32_dpp v17, v7 row_shr:2 row_mask:0xf bank_mask:0xf
	v_mov_b32_dpp v19, v13 row_shr:2 row_mask:0xf bank_mask:0xf
	v_cmp_lt_u32_e64 s[50:51], 1, v15
	s_and_saveexec_b64 s[54:55], s[50:51]
; %bb.175:
	v_and_b32_e32 v13, 1, v9
	v_and_b32_e32 v19, 1, v19
	v_cmp_eq_u32_e64 s[50:51], 1, v13
	s_nop 1
	v_cndmask_b32_e64 v19, v19, 1, s[50:51]
	v_cmp_eq_u16_e64 s[50:51], 0, v9
	v_or_b32_sdwa v13, v6, v19 dst_sel:DWORD dst_unused:UNUSED_PAD src0_sel:DWORD src1_sel:WORD_0
	s_nop 0
	v_cndmask_b32_e64 v9, 0, v17, s[50:51]
	v_add_u32_e32 v7, v9, v7
	v_mov_b32_e32 v9, v19
; %bb.176:
	s_or_b64 exec, exec, s[54:55]
	v_mov_b32_dpp v17, v7 row_shr:4 row_mask:0xf bank_mask:0xf
	v_mov_b32_dpp v19, v13 row_shr:4 row_mask:0xf bank_mask:0xf
	v_cmp_lt_u32_e64 s[50:51], 3, v15
	;; [unrolled: 18-line block ×3, first 2 shown]
	s_and_saveexec_b64 s[54:55], s[50:51]
; %bb.179:
	v_and_b32_e32 v13, 1, v9
	v_and_b32_e32 v15, 1, v19
	v_cmp_eq_u32_e64 s[50:51], 1, v13
	s_nop 1
	v_cndmask_b32_e64 v15, v15, 1, s[50:51]
	v_cmp_eq_u16_e64 s[50:51], 0, v9
	v_or_b32_sdwa v13, v6, v15 dst_sel:DWORD dst_unused:UNUSED_PAD src0_sel:DWORD src1_sel:WORD_0
	s_nop 0
	v_cndmask_b32_e64 v9, 0, v17, s[50:51]
	v_add_u32_e32 v7, v9, v7
	v_mov_b32_e32 v9, v15
; %bb.180:
	s_or_b64 exec, exec, s[54:55]
	v_and_b32_e32 v19, 16, v8
	v_mov_b32_dpp v15, v7 row_bcast:15 row_mask:0xf bank_mask:0xf
	v_mov_b32_dpp v17, v13 row_bcast:15 row_mask:0xf bank_mask:0xf
	v_cmp_ne_u32_e64 s[50:51], 0, v19
	s_and_saveexec_b64 s[54:55], s[50:51]
; %bb.181:
	v_and_b32_e32 v13, 1, v9
	v_and_b32_e32 v17, 1, v17
	v_cmp_eq_u32_e64 s[50:51], 1, v13
	s_nop 1
	v_cndmask_b32_e64 v17, v17, 1, s[50:51]
	v_cmp_eq_u16_e64 s[50:51], 0, v9
	v_or_b32_sdwa v13, v6, v17 dst_sel:DWORD dst_unused:UNUSED_PAD src0_sel:DWORD src1_sel:WORD_0
	s_nop 0
	v_cndmask_b32_e64 v9, 0, v15, s[50:51]
	v_add_u32_e32 v7, v9, v7
	v_mov_b32_e32 v9, v17
; %bb.182:
	s_or_b64 exec, exec, s[54:55]
	v_mov_b32_dpp v13, v13 row_bcast:31 row_mask:0xf bank_mask:0xf
	v_and_b32_e32 v17, 1, v9
	v_and_b32_e32 v13, 1, v13
	v_cmp_eq_u32_e64 s[50:51], 1, v17
	v_mov_b32_e32 v17, 0
	v_cmp_eq_u16_sdwa s[54:55], v9, v17 src0_sel:BYTE_0 src1_sel:DWORD
	v_cndmask_b32_e64 v13, v13, 1, s[50:51]
	v_cmp_lt_u32_e64 s[50:51], 31, v8
	v_mov_b32_dpp v15, v7 row_bcast:31 row_mask:0xf bank_mask:0xf
	s_movk_i32 s60, 0xff
	v_cndmask_b32_e64 v9, v9, v13, s[50:51]
	s_and_b64 s[50:51], s[50:51], s[54:55]
	v_cndmask_b32_e64 v13, 0, v15, s[50:51]
	v_add_u32_e32 v7, v13, v7
	v_add_u32_e32 v13, -1, v8
	v_and_b32_e32 v15, 64, v8
	v_cmp_lt_i32_e64 s[50:51], v13, v15
	v_and_or_b32 v6, v9, s60, v6
	s_nop 0
	v_cndmask_b32_e64 v8, v13, v8, s[50:51]
	v_lshlrev_b32_e32 v8, 2, v8
	ds_bpermute_b32 v7, v8, v7
	ds_bpermute_b32 v6, v8, v6
	v_cmp_eq_u16_sdwa s[50:51], v3, v17 src0_sel:BYTE_0 src1_sel:DWORD
	; wave barrier
	s_waitcnt lgkmcnt(1)
	s_nop 0
	v_cndmask_b32_e64 v3, 0, v7, s[50:51]
	v_add_u32_e32 v2, v3, v2
	s_waitcnt lgkmcnt(0)
	v_and_b32_e32 v3, 1, v6
	v_cmp_eq_u32_e64 s[50:51], 1, v5
	v_cndmask_b32_e32 v5, v2, v79, vcc
	s_nop 0
	v_cndmask_b32_e64 v3, v3, 1, s[50:51]
	v_cndmask_b32_e32 v4, v3, v4, vcc
	ds_write_b32 v1, v5
	ds_write_b8 v1, v4 offset:4
	; wave barrier
	ds_read_u8 v6, v1 offset:12
	ds_read2_b32 v[2:3], v1 offset0:2 offset1:4
	ds_read_u8 v7, v1 offset:20
	ds_read_b32 v8, v1 offset:24
	ds_read_u8 v9, v1 offset:28
	s_waitcnt lgkmcnt(4)
	v_cmp_eq_u16_e64 s[50:51], 0, v6
	s_nop 1
	v_cndmask_b32_e64 v5, 0, v5, s[50:51]
	s_waitcnt lgkmcnt(3)
	v_add_u32_e32 v2, v5, v2
	v_and_b32_e32 v5, 1, v6
	v_cmp_eq_u32_e64 s[50:51], 1, v5
	s_nop 1
	v_cndmask_b32_e64 v4, v4, 1, s[50:51]
	s_waitcnt lgkmcnt(2)
	v_cmp_eq_u16_e64 s[50:51], 0, v7
	ds_write_b8 v1, v4 offset:12
	s_nop 0
	v_cndmask_b32_e64 v5, 0, v2, s[50:51]
	v_add_u32_e32 v3, v5, v3
	v_and_b32_e32 v5, 1, v7
	v_cmp_eq_u32_e64 s[50:51], 1, v5
	s_nop 1
	v_cndmask_b32_e64 v4, v4, 1, s[50:51]
	s_waitcnt lgkmcnt(1)
	v_cmp_eq_u16_e64 s[50:51], 0, v9
	ds_write2_b32 v1, v2, v3 offset0:2 offset1:4
	ds_write_b8 v1, v4 offset:20
	v_cndmask_b32_e64 v2, 0, v3, s[50:51]
	v_and_b32_e32 v3, 1, v9
	v_add_u32_e32 v2, v2, v8
	v_cmp_eq_u32_e64 s[50:51], 1, v3
	s_nop 1
	v_cndmask_b32_e64 v3, v4, 1, s[50:51]
	ds_write_b32 v1, v2 offset:24
	ds_write_b8 v1, v3 offset:28
.LBB1646_183:
	s_or_b64 exec, exec, s[52:53]
	v_mov_b32_e32 v1, v79
	s_waitcnt lgkmcnt(0)
	s_barrier
	s_and_saveexec_b64 s[50:51], s[2:3]
	s_cbranch_execnz .LBB1646_261
; %bb.184:
	s_or_b64 exec, exec, s[50:51]
	s_and_saveexec_b64 s[50:51], s[2:3]
	s_cbranch_execnz .LBB1646_262
.LBB1646_185:
	s_or_b64 exec, exec, s[50:51]
	s_and_saveexec_b64 s[2:3], vcc
	s_cbranch_execz .LBB1646_187
.LBB1646_186:
	v_mov_b32_e32 v5, 0
	ds_read_b32 v2, v5 offset:2096
	ds_read_u8 v3, v5 offset:2100
	s_add_u32 s4, s68, 0x400
	s_addc_u32 s5, s69, 0
	v_mov_b32_e32 v4, 2
	v_mov_b64_e32 v[6:7], s[4:5]
	s_waitcnt lgkmcnt(0)
	;;#ASMSTART
	global_store_dwordx4 v[6:7], v[2:5] off sc1	
s_waitcnt vmcnt(0)
	;;#ASMEND
.LBB1646_187:
	s_or_b64 exec, exec, s[2:3]
	v_mov_b32_e32 v80, v10
.LBB1646_188:
	s_add_u32 s2, s58, s72
	s_addc_u32 s3, s59, s73
	s_add_u32 s2, s2, s56
	s_addc_u32 s3, s3, s57
	s_and_b64 vcc, exec, s[0:1]
	s_cbranch_vccz .LBB1646_234
; %bb.189:
	s_movk_i32 s0, 0x5c
	v_mul_i32_i24_e32 v26, 0xffffffa8, v0
	s_waitcnt lgkmcnt(0)
	v_mul_u32_u24_e32 v1, 0x5c, v0
	v_mad_u32_u24 v2, v0, s0, v26
	s_barrier
	ds_write2_b32 v1, v80, v58 offset1:1
	ds_write2_b32 v1, v59, v60 offset0:2 offset1:3
	ds_write2_b32 v1, v61, v62 offset0:4 offset1:5
	;; [unrolled: 1-line block ×10, first 2 shown]
	ds_write_b32 v1, v79 offset:88
	s_waitcnt lgkmcnt(0)
	s_barrier
	ds_read2st64_b32 v[24:25], v2 offset0:4 offset1:8
	ds_read2st64_b32 v[22:23], v2 offset0:12 offset1:16
	;; [unrolled: 1-line block ×11, first 2 shown]
	s_add_i32 s33, s33, s70
	v_mov_b32_e32 v55, 0
	v_lshl_add_u64 v[4:5], s[2:3], 0, v[54:55]
	v_cmp_gt_u32_e32 vcc, s33, v0
	s_and_saveexec_b64 s[0:1], vcc
	s_cbranch_execz .LBB1646_191
; %bb.190:
	v_add_u32_e32 v1, v1, v26
	ds_read_b32 v1, v1
	s_waitcnt lgkmcnt(0)
	v_cvt_f32_u32_e32 v1, v1
	flat_store_dword v[4:5], v1
.LBB1646_191:
	s_or_b64 exec, exec, s[0:1]
	v_or_b32_e32 v1, 0x100, v0
	v_cmp_gt_u32_e32 vcc, s33, v1
	s_and_saveexec_b64 s[0:1], vcc
	s_cbranch_execz .LBB1646_193
; %bb.192:
	s_waitcnt lgkmcnt(0)
	v_cvt_f32_u32_e32 v1, v24
	flat_store_dword v[4:5], v1 offset:1024
.LBB1646_193:
	s_or_b64 exec, exec, s[0:1]
	v_or_b32_e32 v1, 0x200, v0
	v_cmp_gt_u32_e32 vcc, s33, v1
	s_and_saveexec_b64 s[0:1], vcc
	s_cbranch_execz .LBB1646_195
; %bb.194:
	s_waitcnt lgkmcnt(0)
	v_cvt_f32_u32_e32 v1, v25
	flat_store_dword v[4:5], v1 offset:2048
.LBB1646_195:
	s_or_b64 exec, exec, s[0:1]
	v_or_b32_e32 v1, 0x300, v0
	v_cmp_gt_u32_e32 vcc, s33, v1
	s_and_saveexec_b64 s[0:1], vcc
	s_cbranch_execz .LBB1646_197
; %bb.196:
	s_waitcnt lgkmcnt(0)
	v_cvt_f32_u32_e32 v1, v22
	flat_store_dword v[4:5], v1 offset:3072
.LBB1646_197:
	s_or_b64 exec, exec, s[0:1]
	v_or_b32_e32 v1, 0x400, v0
	v_cmp_gt_u32_e32 vcc, s33, v1
	s_and_saveexec_b64 s[0:1], vcc
	s_cbranch_execz .LBB1646_199
; %bb.198:
	s_waitcnt lgkmcnt(0)
	v_cvt_f32_u32_e32 v1, v23
	v_add_co_u32_e32 v22, vcc, 0x1000, v4
	s_nop 1
	v_addc_co_u32_e32 v23, vcc, 0, v5, vcc
	flat_store_dword v[22:23], v1
.LBB1646_199:
	s_or_b64 exec, exec, s[0:1]
	v_or_b32_e32 v1, 0x500, v0
	v_cmp_gt_u32_e32 vcc, s33, v1
	s_and_saveexec_b64 s[0:1], vcc
	s_cbranch_execz .LBB1646_201
; %bb.200:
	s_waitcnt lgkmcnt(0)
	v_cvt_f32_u32_e32 v1, v20
	v_add_co_u32_e32 v22, vcc, 0x1000, v4
	s_nop 1
	v_addc_co_u32_e32 v23, vcc, 0, v5, vcc
	flat_store_dword v[22:23], v1 offset:1024
.LBB1646_201:
	s_or_b64 exec, exec, s[0:1]
	v_or_b32_e32 v1, 0x600, v0
	v_cmp_gt_u32_e32 vcc, s33, v1
	s_and_saveexec_b64 s[0:1], vcc
	s_cbranch_execz .LBB1646_203
; %bb.202:
	s_waitcnt lgkmcnt(0)
	v_cvt_f32_u32_e32 v1, v21
	v_add_co_u32_e32 v20, vcc, 0x1000, v4
	s_nop 1
	v_addc_co_u32_e32 v21, vcc, 0, v5, vcc
	flat_store_dword v[20:21], v1 offset:2048
.LBB1646_203:
	s_or_b64 exec, exec, s[0:1]
	v_or_b32_e32 v1, 0x700, v0
	v_cmp_gt_u32_e32 vcc, s33, v1
	s_and_saveexec_b64 s[0:1], vcc
	s_cbranch_execz .LBB1646_205
; %bb.204:
	s_waitcnt lgkmcnt(0)
	v_cvt_f32_u32_e32 v1, v18
	v_add_co_u32_e32 v20, vcc, 0x1000, v4
	s_nop 1
	v_addc_co_u32_e32 v21, vcc, 0, v5, vcc
	flat_store_dword v[20:21], v1 offset:3072
.LBB1646_205:
	s_or_b64 exec, exec, s[0:1]
	v_or_b32_e32 v1, 0x800, v0
	v_cmp_gt_u32_e32 vcc, s33, v1
	s_and_saveexec_b64 s[0:1], vcc
	s_cbranch_execz .LBB1646_207
; %bb.206:
	s_waitcnt lgkmcnt(0)
	v_cvt_f32_u32_e32 v1, v19
	v_add_co_u32_e32 v18, vcc, 0x2000, v4
	s_nop 1
	v_addc_co_u32_e32 v19, vcc, 0, v5, vcc
	flat_store_dword v[18:19], v1
.LBB1646_207:
	s_or_b64 exec, exec, s[0:1]
	v_or_b32_e32 v1, 0x900, v0
	v_cmp_gt_u32_e32 vcc, s33, v1
	s_and_saveexec_b64 s[0:1], vcc
	s_cbranch_execz .LBB1646_209
; %bb.208:
	s_waitcnt lgkmcnt(0)
	v_cvt_f32_u32_e32 v1, v16
	v_add_co_u32_e32 v18, vcc, 0x2000, v4
	s_nop 1
	v_addc_co_u32_e32 v19, vcc, 0, v5, vcc
	flat_store_dword v[18:19], v1 offset:1024
.LBB1646_209:
	s_or_b64 exec, exec, s[0:1]
	v_or_b32_e32 v1, 0xa00, v0
	v_cmp_gt_u32_e32 vcc, s33, v1
	s_and_saveexec_b64 s[0:1], vcc
	s_cbranch_execz .LBB1646_211
; %bb.210:
	s_waitcnt lgkmcnt(0)
	v_cvt_f32_u32_e32 v1, v17
	v_add_co_u32_e32 v16, vcc, 0x2000, v4
	s_nop 1
	v_addc_co_u32_e32 v17, vcc, 0, v5, vcc
	flat_store_dword v[16:17], v1 offset:2048
.LBB1646_211:
	s_or_b64 exec, exec, s[0:1]
	v_or_b32_e32 v1, 0xb00, v0
	v_cmp_gt_u32_e32 vcc, s33, v1
	s_and_saveexec_b64 s[0:1], vcc
	s_cbranch_execz .LBB1646_213
; %bb.212:
	s_waitcnt lgkmcnt(0)
	v_cvt_f32_u32_e32 v1, v14
	v_add_co_u32_e32 v16, vcc, 0x2000, v4
	s_nop 1
	v_addc_co_u32_e32 v17, vcc, 0, v5, vcc
	flat_store_dword v[16:17], v1 offset:3072
.LBB1646_213:
	;; [unrolled: 52-line block ×4, first 2 shown]
	s_or_b64 exec, exec, s[0:1]
	v_or_b32_e32 v1, 0x1400, v0
	v_cmp_gt_u32_e32 vcc, s33, v1
	s_and_saveexec_b64 s[0:1], vcc
	s_cbranch_execz .LBB1646_231
; %bb.230:
	s_waitcnt lgkmcnt(0)
	v_cvt_f32_u32_e32 v1, v7
	v_add_co_u32_e32 v6, vcc, 0x5000, v4
	s_nop 1
	v_addc_co_u32_e32 v7, vcc, 0, v5, vcc
	flat_store_dword v[6:7], v1
.LBB1646_231:
	s_or_b64 exec, exec, s[0:1]
	v_or_b32_e32 v1, 0x1500, v0
	v_cmp_gt_u32_e32 vcc, s33, v1
	s_and_saveexec_b64 s[0:1], vcc
	s_cbranch_execz .LBB1646_233
; %bb.232:
	s_waitcnt lgkmcnt(0)
	v_cvt_f32_u32_e32 v1, v2
	v_add_co_u32_e32 v4, vcc, 0x5000, v4
	s_nop 1
	v_addc_co_u32_e32 v5, vcc, 0, v5, vcc
	flat_store_dword v[4:5], v1 offset:1024
.LBB1646_233:
	s_or_b64 exec, exec, s[0:1]
	s_waitcnt lgkmcnt(0)
	v_or_b32_e32 v2, 0x1600, v0
	v_mov_b32_e32 v1, v55
	v_cmp_gt_u32_e64 s[0:1], s33, v2
	s_branch .LBB1646_236
.LBB1646_234:
	s_mov_b64 s[0:1], 0
                                        ; implicit-def: $vgpr3
	s_cbranch_execz .LBB1646_236
; %bb.235:
	s_movk_i32 s4, 0x5c
	v_mul_i32_i24_e32 v2, 0xffffffa8, v0
	s_waitcnt lgkmcnt(0)
	v_mul_u32_u24_e32 v1, 0x5c, v0
	v_mad_u32_u24 v2, v0, s4, v2
	s_barrier
	ds_write2_b32 v1, v80, v58 offset1:1
	ds_write2_b32 v1, v59, v60 offset0:2 offset1:3
	ds_write2_b32 v1, v61, v62 offset0:4 offset1:5
	;; [unrolled: 1-line block ×10, first 2 shown]
	ds_write_b32 v1, v79 offset:88
	s_waitcnt lgkmcnt(0)
	s_barrier
	ds_read2st64_b32 v[4:5], v2 offset1:4
	ds_read2st64_b32 v[6:7], v2 offset0:8 offset1:12
	ds_read2st64_b32 v[8:9], v2 offset0:16 offset1:20
	;; [unrolled: 1-line block ×10, first 2 shown]
	ds_read_b32 v3, v2 offset:22528
	s_waitcnt lgkmcnt(0)
	v_cvt_f32_u32_e32 v2, v4
	v_mov_b32_e32 v1, 0
	v_cvt_f32_u32_e32 v4, v5
	v_mov_b32_e32 v55, v1
	v_cvt_f32_u32_e32 v5, v6
	v_lshl_add_u64 v[26:27], s[2:3], 0, v[54:55]
	v_cvt_f32_u32_e32 v6, v7
	flat_store_dword v[26:27], v2
	flat_store_dword v[26:27], v4 offset:1024
	flat_store_dword v[26:27], v5 offset:2048
	flat_store_dword v[26:27], v6 offset:3072
	v_cvt_f32_u32_e32 v2, v8
	s_movk_i32 s4, 0x1000
	v_cvt_f32_u32_e32 v6, v9
	v_add_co_u32_e32 v4, vcc, s4, v26
	v_cvt_f32_u32_e32 v7, v10
	s_nop 0
	v_addc_co_u32_e32 v5, vcc, 0, v27, vcc
	v_cvt_f32_u32_e32 v8, v11
	flat_store_dword v[4:5], v2
	flat_store_dword v[4:5], v6 offset:1024
	flat_store_dword v[4:5], v7 offset:2048
	flat_store_dword v[4:5], v8 offset:3072
	v_cvt_f32_u32_e32 v2, v12
	s_movk_i32 s4, 0x2000
	v_cvt_f32_u32_e32 v6, v13
	v_add_co_u32_e32 v4, vcc, s4, v26
	v_cvt_f32_u32_e32 v7, v14
	s_nop 0
	v_addc_co_u32_e32 v5, vcc, 0, v27, vcc
	;; [unrolled: 12-line block ×4, first 2 shown]
	v_cvt_f32_u32_e32 v8, v23
	flat_store_dword v[4:5], v2
	flat_store_dword v[4:5], v6 offset:1024
	flat_store_dword v[4:5], v7 offset:2048
	;; [unrolled: 1-line block ×3, first 2 shown]
	v_cvt_f32_u32_e32 v2, v24
	v_cvt_f32_u32_e32 v6, v25
	v_add_co_u32_e32 v4, vcc, 0x5000, v26
	s_or_b64 s[0:1], s[0:1], exec
	s_nop 0
	v_addc_co_u32_e32 v5, vcc, 0, v27, vcc
	flat_store_dword v[4:5], v2
	flat_store_dword v[4:5], v6 offset:1024
.LBB1646_236:
	s_and_saveexec_b64 s[4:5], s[0:1]
	s_cbranch_execnz .LBB1646_238
; %bb.237:
	s_endpgm
.LBB1646_238:
	v_cvt_f32_u32_e32 v2, v3
	s_waitcnt lgkmcnt(0)
	v_lshl_add_u64 v[0:1], v[0:1], 2, s[2:3]
	v_add_co_u32_e32 v0, vcc, 0x5000, v0
	s_nop 1
	v_addc_co_u32_e32 v1, vcc, 0, v1, vcc
	flat_store_dword v[0:1], v2 offset:2048
	s_endpgm
.LBB1646_239:
	v_lshl_add_u64 v[48:49], s[52:53], 0, v[44:45]
	flat_load_dword v48, v[48:49]
	s_or_b64 exec, exec, s[60:61]
                                        ; implicit-def: $vgpr49
	s_and_saveexec_b64 s[50:51], s[4:5]
	s_cbranch_execz .LBB1646_55
.LBB1646_240:
	v_mov_b32_e32 v45, 0
	v_lshl_add_u64 v[50:51], s[52:53], 0, v[44:45]
	flat_load_dword v49, v[50:51] offset:1024
	s_or_b64 exec, exec, s[50:51]
                                        ; implicit-def: $vgpr50
	s_and_saveexec_b64 s[4:5], s[6:7]
	s_cbranch_execz .LBB1646_56
.LBB1646_241:
	v_mov_b32_e32 v45, 0
	v_lshl_add_u64 v[50:51], s[52:53], 0, v[44:45]
	flat_load_dword v50, v[50:51] offset:2048
	s_or_b64 exec, exec, s[4:5]
                                        ; implicit-def: $vgpr45
	s_and_saveexec_b64 s[4:5], s[8:9]
	s_cbranch_execz .LBB1646_57
.LBB1646_242:
	v_mov_b32_e32 v45, 0
	v_lshl_add_u64 v[52:53], s[52:53], 0, v[44:45]
	flat_load_dword v45, v[52:53] offset:3072
	s_or_b64 exec, exec, s[4:5]
                                        ; implicit-def: $vgpr3
	s_and_saveexec_b64 s[4:5], s[10:11]
	s_cbranch_execz .LBB1646_58
.LBB1646_243:
	v_mov_b32_e32 v3, 0
	v_lshl_add_u64 v[2:3], s[52:53], 0, v[2:3]
	flat_load_dword v3, v[2:3]
	s_or_b64 exec, exec, s[4:5]
                                        ; implicit-def: $vgpr2
	s_and_saveexec_b64 s[4:5], s[12:13]
	s_cbranch_execz .LBB1646_59
.LBB1646_244:
	v_mov_b32_e32 v11, 0
	v_lshl_add_u64 v[10:11], s[52:53], 0, v[10:11]
	flat_load_dword v2, v[10:11]
	s_or_b64 exec, exec, s[4:5]
                                        ; implicit-def: $vgpr10
	s_and_saveexec_b64 s[4:5], s[14:15]
	s_cbranch_execz .LBB1646_60
.LBB1646_245:
	v_mov_b32_e32 v13, 0
	v_lshl_add_u64 v[10:11], s[52:53], 0, v[12:13]
	flat_load_dword v10, v[10:11]
	s_or_b64 exec, exec, s[4:5]
                                        ; implicit-def: $vgpr11
	s_and_saveexec_b64 s[4:5], s[16:17]
	s_cbranch_execz .LBB1646_61
.LBB1646_246:
	v_mov_b32_e32 v15, 0
	v_lshl_add_u64 v[12:13], s[52:53], 0, v[14:15]
	flat_load_dword v11, v[12:13]
	s_or_b64 exec, exec, s[4:5]
                                        ; implicit-def: $vgpr12
	s_and_saveexec_b64 s[4:5], s[18:19]
	s_cbranch_execz .LBB1646_62
.LBB1646_247:
	v_mov_b32_e32 v17, 0
	v_lshl_add_u64 v[12:13], s[52:53], 0, v[16:17]
	flat_load_dword v12, v[12:13]
	s_or_b64 exec, exec, s[4:5]
                                        ; implicit-def: $vgpr13
	s_and_saveexec_b64 s[4:5], s[20:21]
	s_cbranch_execz .LBB1646_63
.LBB1646_248:
	v_mov_b32_e32 v19, 0
	v_lshl_add_u64 v[14:15], s[52:53], 0, v[18:19]
	flat_load_dword v13, v[14:15]
	s_or_b64 exec, exec, s[4:5]
                                        ; implicit-def: $vgpr14
	s_and_saveexec_b64 s[4:5], s[22:23]
	s_cbranch_execz .LBB1646_64
.LBB1646_249:
	v_mov_b32_e32 v21, 0
	v_lshl_add_u64 v[14:15], s[52:53], 0, v[20:21]
	flat_load_dword v14, v[14:15]
	s_or_b64 exec, exec, s[4:5]
                                        ; implicit-def: $vgpr15
	s_and_saveexec_b64 s[4:5], s[24:25]
	s_cbranch_execz .LBB1646_65
.LBB1646_250:
	v_mov_b32_e32 v23, 0
	v_lshl_add_u64 v[16:17], s[52:53], 0, v[22:23]
	flat_load_dword v15, v[16:17]
	s_or_b64 exec, exec, s[4:5]
                                        ; implicit-def: $vgpr16
	s_and_saveexec_b64 s[4:5], s[26:27]
	s_cbranch_execz .LBB1646_66
.LBB1646_251:
	v_mov_b32_e32 v25, 0
	v_lshl_add_u64 v[16:17], s[52:53], 0, v[24:25]
	flat_load_dword v16, v[16:17]
	s_or_b64 exec, exec, s[4:5]
                                        ; implicit-def: $vgpr17
	s_and_saveexec_b64 s[4:5], s[28:29]
	s_cbranch_execz .LBB1646_67
.LBB1646_252:
	v_mov_b32_e32 v27, 0
	v_lshl_add_u64 v[18:19], s[52:53], 0, v[26:27]
	flat_load_dword v17, v[18:19]
	s_or_b64 exec, exec, s[4:5]
                                        ; implicit-def: $vgpr18
	s_and_saveexec_b64 s[4:5], s[30:31]
	s_cbranch_execz .LBB1646_68
.LBB1646_253:
	v_mov_b32_e32 v29, 0
	v_lshl_add_u64 v[18:19], s[52:53], 0, v[28:29]
	flat_load_dword v18, v[18:19]
	s_or_b64 exec, exec, s[4:5]
                                        ; implicit-def: $vgpr19
	s_and_saveexec_b64 s[4:5], s[34:35]
	s_cbranch_execz .LBB1646_69
.LBB1646_254:
	v_mov_b32_e32 v31, 0
	v_lshl_add_u64 v[20:21], s[52:53], 0, v[30:31]
	flat_load_dword v19, v[20:21]
	s_or_b64 exec, exec, s[4:5]
                                        ; implicit-def: $vgpr20
	s_and_saveexec_b64 s[4:5], s[36:37]
	s_cbranch_execz .LBB1646_70
.LBB1646_255:
	v_mov_b32_e32 v33, 0
	v_lshl_add_u64 v[20:21], s[52:53], 0, v[32:33]
	flat_load_dword v20, v[20:21]
	s_or_b64 exec, exec, s[4:5]
                                        ; implicit-def: $vgpr21
	s_and_saveexec_b64 s[4:5], s[38:39]
	s_cbranch_execz .LBB1646_71
.LBB1646_256:
	v_mov_b32_e32 v35, 0
	v_lshl_add_u64 v[22:23], s[52:53], 0, v[34:35]
	flat_load_dword v21, v[22:23]
	s_or_b64 exec, exec, s[4:5]
                                        ; implicit-def: $vgpr22
	s_and_saveexec_b64 s[4:5], s[40:41]
	s_cbranch_execz .LBB1646_72
.LBB1646_257:
	v_mov_b32_e32 v37, 0
	v_lshl_add_u64 v[22:23], s[52:53], 0, v[36:37]
	flat_load_dword v22, v[22:23]
	s_or_b64 exec, exec, s[4:5]
                                        ; implicit-def: $vgpr23
	s_and_saveexec_b64 s[4:5], s[42:43]
	s_cbranch_execz .LBB1646_73
.LBB1646_258:
	v_mov_b32_e32 v39, 0
	v_lshl_add_u64 v[24:25], s[52:53], 0, v[38:39]
	flat_load_dword v23, v[24:25]
	s_or_b64 exec, exec, s[4:5]
                                        ; implicit-def: $vgpr24
	s_and_saveexec_b64 s[4:5], s[44:45]
	s_cbranch_execz .LBB1646_74
.LBB1646_259:
	v_mov_b32_e32 v41, 0
	v_lshl_add_u64 v[24:25], s[52:53], 0, v[40:41]
	flat_load_dword v24, v[24:25]
	s_or_b64 exec, exec, s[4:5]
                                        ; implicit-def: $vgpr25
	s_and_saveexec_b64 s[4:5], s[46:47]
	s_cbranch_execz .LBB1646_75
.LBB1646_260:
	v_mov_b32_e32 v43, 0
	v_lshl_add_u64 v[26:27], s[52:53], 0, v[42:43]
	flat_load_dword v25, v[26:27]
	s_or_b64 exec, exec, s[4:5]
                                        ; implicit-def: $vgpr26
	s_and_saveexec_b64 s[4:5], s[48:49]
	s_cbranch_execnz .LBB1646_76
	s_branch .LBB1646_77
.LBB1646_261:
	v_add_u32_e32 v1, -1, v0
	v_lshrrev_b32_e32 v2, 5, v1
	v_add_lshl_u32 v1, v2, v1, 3
	ds_read_b32 v1, v1
	s_or_b64 exec, exec, s[50:51]
	s_and_saveexec_b64 s[50:51], s[2:3]
	s_cbranch_execz .LBB1646_185
.LBB1646_262:
	v_and_b32_e32 v3, 0xff, v11
	v_mov_b32_e32 v2, 0
	v_cmp_eq_u64_e64 s[2:3], 0, v[2:3]
	;;#ASMSTART
	;;#ASMEND
	s_waitcnt lgkmcnt(0)
	s_nop 0
	v_cndmask_b32_e64 v1, 0, v1, s[2:3]
	v_add_u32_e32 v10, v1, v10
	v_cndmask_b32_e64 v1, 0, v10, s[4:5]
	v_add_u32_e32 v58, v1, v12
	;; [unrolled: 2-line block ×23, first 2 shown]
	s_or_b64 exec, exec, s[50:51]
	s_and_saveexec_b64 s[2:3], vcc
	s_cbranch_execnz .LBB1646_186
	s_branch .LBB1646_187
.LBB1646_263:
                                        ; implicit-def: $sgpr60_sgpr61
	s_branch .LBB1646_50
.LBB1646_264:
                                        ; implicit-def: $sgpr4_sgpr5
	s_branch .LBB1646_126
	.section	.rodata,"a",@progbits
	.p2align	6, 0x0
	.amdhsa_kernel _ZN7rocprim17ROCPRIM_400000_NS6detail17trampoline_kernelINS0_14default_configENS1_27scan_by_key_config_selectorIijEEZZNS1_16scan_by_key_implILNS1_25lookback_scan_determinismE0ELb0ES3_N6thrust23THRUST_200600_302600_NS6detail15normal_iteratorINS9_10device_ptrIiEEEENSB_INSC_IjEEEENSB_INSC_IfEEEEjNS9_4plusIvEENS9_8equal_toIvEEjEE10hipError_tPvRmT2_T3_T4_T5_mT6_T7_P12ihipStream_tbENKUlT_T0_E_clISt17integral_constantIbLb0EES13_EEDaSY_SZ_EUlSY_E_NS1_11comp_targetILNS1_3genE5ELNS1_11target_archE942ELNS1_3gpuE9ELNS1_3repE0EEENS1_30default_config_static_selectorELNS0_4arch9wavefront6targetE1EEEvT1_
		.amdhsa_group_segment_fixed_size 25600
		.amdhsa_private_segment_fixed_size 0
		.amdhsa_kernarg_size 112
		.amdhsa_user_sgpr_count 2
		.amdhsa_user_sgpr_dispatch_ptr 0
		.amdhsa_user_sgpr_queue_ptr 0
		.amdhsa_user_sgpr_kernarg_segment_ptr 1
		.amdhsa_user_sgpr_dispatch_id 0
		.amdhsa_user_sgpr_kernarg_preload_length 0
		.amdhsa_user_sgpr_kernarg_preload_offset 0
		.amdhsa_user_sgpr_private_segment_size 0
		.amdhsa_uses_dynamic_stack 0
		.amdhsa_enable_private_segment 0
		.amdhsa_system_sgpr_workgroup_id_x 1
		.amdhsa_system_sgpr_workgroup_id_y 0
		.amdhsa_system_sgpr_workgroup_id_z 0
		.amdhsa_system_sgpr_workgroup_info 0
		.amdhsa_system_vgpr_workitem_id 0
		.amdhsa_next_free_vgpr 81
		.amdhsa_next_free_sgpr 82
		.amdhsa_accum_offset 84
		.amdhsa_reserve_vcc 1
		.amdhsa_float_round_mode_32 0
		.amdhsa_float_round_mode_16_64 0
		.amdhsa_float_denorm_mode_32 3
		.amdhsa_float_denorm_mode_16_64 3
		.amdhsa_dx10_clamp 1
		.amdhsa_ieee_mode 1
		.amdhsa_fp16_overflow 0
		.amdhsa_tg_split 0
		.amdhsa_exception_fp_ieee_invalid_op 0
		.amdhsa_exception_fp_denorm_src 0
		.amdhsa_exception_fp_ieee_div_zero 0
		.amdhsa_exception_fp_ieee_overflow 0
		.amdhsa_exception_fp_ieee_underflow 0
		.amdhsa_exception_fp_ieee_inexact 0
		.amdhsa_exception_int_div_zero 0
	.end_amdhsa_kernel
	.section	.text._ZN7rocprim17ROCPRIM_400000_NS6detail17trampoline_kernelINS0_14default_configENS1_27scan_by_key_config_selectorIijEEZZNS1_16scan_by_key_implILNS1_25lookback_scan_determinismE0ELb0ES3_N6thrust23THRUST_200600_302600_NS6detail15normal_iteratorINS9_10device_ptrIiEEEENSB_INSC_IjEEEENSB_INSC_IfEEEEjNS9_4plusIvEENS9_8equal_toIvEEjEE10hipError_tPvRmT2_T3_T4_T5_mT6_T7_P12ihipStream_tbENKUlT_T0_E_clISt17integral_constantIbLb0EES13_EEDaSY_SZ_EUlSY_E_NS1_11comp_targetILNS1_3genE5ELNS1_11target_archE942ELNS1_3gpuE9ELNS1_3repE0EEENS1_30default_config_static_selectorELNS0_4arch9wavefront6targetE1EEEvT1_,"axG",@progbits,_ZN7rocprim17ROCPRIM_400000_NS6detail17trampoline_kernelINS0_14default_configENS1_27scan_by_key_config_selectorIijEEZZNS1_16scan_by_key_implILNS1_25lookback_scan_determinismE0ELb0ES3_N6thrust23THRUST_200600_302600_NS6detail15normal_iteratorINS9_10device_ptrIiEEEENSB_INSC_IjEEEENSB_INSC_IfEEEEjNS9_4plusIvEENS9_8equal_toIvEEjEE10hipError_tPvRmT2_T3_T4_T5_mT6_T7_P12ihipStream_tbENKUlT_T0_E_clISt17integral_constantIbLb0EES13_EEDaSY_SZ_EUlSY_E_NS1_11comp_targetILNS1_3genE5ELNS1_11target_archE942ELNS1_3gpuE9ELNS1_3repE0EEENS1_30default_config_static_selectorELNS0_4arch9wavefront6targetE1EEEvT1_,comdat
.Lfunc_end1646:
	.size	_ZN7rocprim17ROCPRIM_400000_NS6detail17trampoline_kernelINS0_14default_configENS1_27scan_by_key_config_selectorIijEEZZNS1_16scan_by_key_implILNS1_25lookback_scan_determinismE0ELb0ES3_N6thrust23THRUST_200600_302600_NS6detail15normal_iteratorINS9_10device_ptrIiEEEENSB_INSC_IjEEEENSB_INSC_IfEEEEjNS9_4plusIvEENS9_8equal_toIvEEjEE10hipError_tPvRmT2_T3_T4_T5_mT6_T7_P12ihipStream_tbENKUlT_T0_E_clISt17integral_constantIbLb0EES13_EEDaSY_SZ_EUlSY_E_NS1_11comp_targetILNS1_3genE5ELNS1_11target_archE942ELNS1_3gpuE9ELNS1_3repE0EEENS1_30default_config_static_selectorELNS0_4arch9wavefront6targetE1EEEvT1_, .Lfunc_end1646-_ZN7rocprim17ROCPRIM_400000_NS6detail17trampoline_kernelINS0_14default_configENS1_27scan_by_key_config_selectorIijEEZZNS1_16scan_by_key_implILNS1_25lookback_scan_determinismE0ELb0ES3_N6thrust23THRUST_200600_302600_NS6detail15normal_iteratorINS9_10device_ptrIiEEEENSB_INSC_IjEEEENSB_INSC_IfEEEEjNS9_4plusIvEENS9_8equal_toIvEEjEE10hipError_tPvRmT2_T3_T4_T5_mT6_T7_P12ihipStream_tbENKUlT_T0_E_clISt17integral_constantIbLb0EES13_EEDaSY_SZ_EUlSY_E_NS1_11comp_targetILNS1_3genE5ELNS1_11target_archE942ELNS1_3gpuE9ELNS1_3repE0EEENS1_30default_config_static_selectorELNS0_4arch9wavefront6targetE1EEEvT1_
                                        ; -- End function
	.section	.AMDGPU.csdata,"",@progbits
; Kernel info:
; codeLenInByte = 15612
; NumSgprs: 88
; NumVgprs: 81
; NumAgprs: 0
; TotalNumVgprs: 81
; ScratchSize: 0
; MemoryBound: 0
; FloatMode: 240
; IeeeMode: 1
; LDSByteSize: 25600 bytes/workgroup (compile time only)
; SGPRBlocks: 10
; VGPRBlocks: 10
; NumSGPRsForWavesPerEU: 88
; NumVGPRsForWavesPerEU: 81
; AccumOffset: 84
; Occupancy: 2
; WaveLimiterHint : 1
; COMPUTE_PGM_RSRC2:SCRATCH_EN: 0
; COMPUTE_PGM_RSRC2:USER_SGPR: 2
; COMPUTE_PGM_RSRC2:TRAP_HANDLER: 0
; COMPUTE_PGM_RSRC2:TGID_X_EN: 1
; COMPUTE_PGM_RSRC2:TGID_Y_EN: 0
; COMPUTE_PGM_RSRC2:TGID_Z_EN: 0
; COMPUTE_PGM_RSRC2:TIDIG_COMP_CNT: 0
; COMPUTE_PGM_RSRC3_GFX90A:ACCUM_OFFSET: 20
; COMPUTE_PGM_RSRC3_GFX90A:TG_SPLIT: 0
	.section	.text._ZN7rocprim17ROCPRIM_400000_NS6detail17trampoline_kernelINS0_14default_configENS1_27scan_by_key_config_selectorIijEEZZNS1_16scan_by_key_implILNS1_25lookback_scan_determinismE0ELb0ES3_N6thrust23THRUST_200600_302600_NS6detail15normal_iteratorINS9_10device_ptrIiEEEENSB_INSC_IjEEEENSB_INSC_IfEEEEjNS9_4plusIvEENS9_8equal_toIvEEjEE10hipError_tPvRmT2_T3_T4_T5_mT6_T7_P12ihipStream_tbENKUlT_T0_E_clISt17integral_constantIbLb0EES13_EEDaSY_SZ_EUlSY_E_NS1_11comp_targetILNS1_3genE4ELNS1_11target_archE910ELNS1_3gpuE8ELNS1_3repE0EEENS1_30default_config_static_selectorELNS0_4arch9wavefront6targetE1EEEvT1_,"axG",@progbits,_ZN7rocprim17ROCPRIM_400000_NS6detail17trampoline_kernelINS0_14default_configENS1_27scan_by_key_config_selectorIijEEZZNS1_16scan_by_key_implILNS1_25lookback_scan_determinismE0ELb0ES3_N6thrust23THRUST_200600_302600_NS6detail15normal_iteratorINS9_10device_ptrIiEEEENSB_INSC_IjEEEENSB_INSC_IfEEEEjNS9_4plusIvEENS9_8equal_toIvEEjEE10hipError_tPvRmT2_T3_T4_T5_mT6_T7_P12ihipStream_tbENKUlT_T0_E_clISt17integral_constantIbLb0EES13_EEDaSY_SZ_EUlSY_E_NS1_11comp_targetILNS1_3genE4ELNS1_11target_archE910ELNS1_3gpuE8ELNS1_3repE0EEENS1_30default_config_static_selectorELNS0_4arch9wavefront6targetE1EEEvT1_,comdat
	.protected	_ZN7rocprim17ROCPRIM_400000_NS6detail17trampoline_kernelINS0_14default_configENS1_27scan_by_key_config_selectorIijEEZZNS1_16scan_by_key_implILNS1_25lookback_scan_determinismE0ELb0ES3_N6thrust23THRUST_200600_302600_NS6detail15normal_iteratorINS9_10device_ptrIiEEEENSB_INSC_IjEEEENSB_INSC_IfEEEEjNS9_4plusIvEENS9_8equal_toIvEEjEE10hipError_tPvRmT2_T3_T4_T5_mT6_T7_P12ihipStream_tbENKUlT_T0_E_clISt17integral_constantIbLb0EES13_EEDaSY_SZ_EUlSY_E_NS1_11comp_targetILNS1_3genE4ELNS1_11target_archE910ELNS1_3gpuE8ELNS1_3repE0EEENS1_30default_config_static_selectorELNS0_4arch9wavefront6targetE1EEEvT1_ ; -- Begin function _ZN7rocprim17ROCPRIM_400000_NS6detail17trampoline_kernelINS0_14default_configENS1_27scan_by_key_config_selectorIijEEZZNS1_16scan_by_key_implILNS1_25lookback_scan_determinismE0ELb0ES3_N6thrust23THRUST_200600_302600_NS6detail15normal_iteratorINS9_10device_ptrIiEEEENSB_INSC_IjEEEENSB_INSC_IfEEEEjNS9_4plusIvEENS9_8equal_toIvEEjEE10hipError_tPvRmT2_T3_T4_T5_mT6_T7_P12ihipStream_tbENKUlT_T0_E_clISt17integral_constantIbLb0EES13_EEDaSY_SZ_EUlSY_E_NS1_11comp_targetILNS1_3genE4ELNS1_11target_archE910ELNS1_3gpuE8ELNS1_3repE0EEENS1_30default_config_static_selectorELNS0_4arch9wavefront6targetE1EEEvT1_
	.globl	_ZN7rocprim17ROCPRIM_400000_NS6detail17trampoline_kernelINS0_14default_configENS1_27scan_by_key_config_selectorIijEEZZNS1_16scan_by_key_implILNS1_25lookback_scan_determinismE0ELb0ES3_N6thrust23THRUST_200600_302600_NS6detail15normal_iteratorINS9_10device_ptrIiEEEENSB_INSC_IjEEEENSB_INSC_IfEEEEjNS9_4plusIvEENS9_8equal_toIvEEjEE10hipError_tPvRmT2_T3_T4_T5_mT6_T7_P12ihipStream_tbENKUlT_T0_E_clISt17integral_constantIbLb0EES13_EEDaSY_SZ_EUlSY_E_NS1_11comp_targetILNS1_3genE4ELNS1_11target_archE910ELNS1_3gpuE8ELNS1_3repE0EEENS1_30default_config_static_selectorELNS0_4arch9wavefront6targetE1EEEvT1_
	.p2align	8
	.type	_ZN7rocprim17ROCPRIM_400000_NS6detail17trampoline_kernelINS0_14default_configENS1_27scan_by_key_config_selectorIijEEZZNS1_16scan_by_key_implILNS1_25lookback_scan_determinismE0ELb0ES3_N6thrust23THRUST_200600_302600_NS6detail15normal_iteratorINS9_10device_ptrIiEEEENSB_INSC_IjEEEENSB_INSC_IfEEEEjNS9_4plusIvEENS9_8equal_toIvEEjEE10hipError_tPvRmT2_T3_T4_T5_mT6_T7_P12ihipStream_tbENKUlT_T0_E_clISt17integral_constantIbLb0EES13_EEDaSY_SZ_EUlSY_E_NS1_11comp_targetILNS1_3genE4ELNS1_11target_archE910ELNS1_3gpuE8ELNS1_3repE0EEENS1_30default_config_static_selectorELNS0_4arch9wavefront6targetE1EEEvT1_,@function
_ZN7rocprim17ROCPRIM_400000_NS6detail17trampoline_kernelINS0_14default_configENS1_27scan_by_key_config_selectorIijEEZZNS1_16scan_by_key_implILNS1_25lookback_scan_determinismE0ELb0ES3_N6thrust23THRUST_200600_302600_NS6detail15normal_iteratorINS9_10device_ptrIiEEEENSB_INSC_IjEEEENSB_INSC_IfEEEEjNS9_4plusIvEENS9_8equal_toIvEEjEE10hipError_tPvRmT2_T3_T4_T5_mT6_T7_P12ihipStream_tbENKUlT_T0_E_clISt17integral_constantIbLb0EES13_EEDaSY_SZ_EUlSY_E_NS1_11comp_targetILNS1_3genE4ELNS1_11target_archE910ELNS1_3gpuE8ELNS1_3repE0EEENS1_30default_config_static_selectorELNS0_4arch9wavefront6targetE1EEEvT1_: ; @_ZN7rocprim17ROCPRIM_400000_NS6detail17trampoline_kernelINS0_14default_configENS1_27scan_by_key_config_selectorIijEEZZNS1_16scan_by_key_implILNS1_25lookback_scan_determinismE0ELb0ES3_N6thrust23THRUST_200600_302600_NS6detail15normal_iteratorINS9_10device_ptrIiEEEENSB_INSC_IjEEEENSB_INSC_IfEEEEjNS9_4plusIvEENS9_8equal_toIvEEjEE10hipError_tPvRmT2_T3_T4_T5_mT6_T7_P12ihipStream_tbENKUlT_T0_E_clISt17integral_constantIbLb0EES13_EEDaSY_SZ_EUlSY_E_NS1_11comp_targetILNS1_3genE4ELNS1_11target_archE910ELNS1_3gpuE8ELNS1_3repE0EEENS1_30default_config_static_selectorELNS0_4arch9wavefront6targetE1EEEvT1_
; %bb.0:
	.section	.rodata,"a",@progbits
	.p2align	6, 0x0
	.amdhsa_kernel _ZN7rocprim17ROCPRIM_400000_NS6detail17trampoline_kernelINS0_14default_configENS1_27scan_by_key_config_selectorIijEEZZNS1_16scan_by_key_implILNS1_25lookback_scan_determinismE0ELb0ES3_N6thrust23THRUST_200600_302600_NS6detail15normal_iteratorINS9_10device_ptrIiEEEENSB_INSC_IjEEEENSB_INSC_IfEEEEjNS9_4plusIvEENS9_8equal_toIvEEjEE10hipError_tPvRmT2_T3_T4_T5_mT6_T7_P12ihipStream_tbENKUlT_T0_E_clISt17integral_constantIbLb0EES13_EEDaSY_SZ_EUlSY_E_NS1_11comp_targetILNS1_3genE4ELNS1_11target_archE910ELNS1_3gpuE8ELNS1_3repE0EEENS1_30default_config_static_selectorELNS0_4arch9wavefront6targetE1EEEvT1_
		.amdhsa_group_segment_fixed_size 0
		.amdhsa_private_segment_fixed_size 0
		.amdhsa_kernarg_size 112
		.amdhsa_user_sgpr_count 2
		.amdhsa_user_sgpr_dispatch_ptr 0
		.amdhsa_user_sgpr_queue_ptr 0
		.amdhsa_user_sgpr_kernarg_segment_ptr 1
		.amdhsa_user_sgpr_dispatch_id 0
		.amdhsa_user_sgpr_kernarg_preload_length 0
		.amdhsa_user_sgpr_kernarg_preload_offset 0
		.amdhsa_user_sgpr_private_segment_size 0
		.amdhsa_uses_dynamic_stack 0
		.amdhsa_enable_private_segment 0
		.amdhsa_system_sgpr_workgroup_id_x 1
		.amdhsa_system_sgpr_workgroup_id_y 0
		.amdhsa_system_sgpr_workgroup_id_z 0
		.amdhsa_system_sgpr_workgroup_info 0
		.amdhsa_system_vgpr_workitem_id 0
		.amdhsa_next_free_vgpr 1
		.amdhsa_next_free_sgpr 0
		.amdhsa_accum_offset 4
		.amdhsa_reserve_vcc 0
		.amdhsa_float_round_mode_32 0
		.amdhsa_float_round_mode_16_64 0
		.amdhsa_float_denorm_mode_32 3
		.amdhsa_float_denorm_mode_16_64 3
		.amdhsa_dx10_clamp 1
		.amdhsa_ieee_mode 1
		.amdhsa_fp16_overflow 0
		.amdhsa_tg_split 0
		.amdhsa_exception_fp_ieee_invalid_op 0
		.amdhsa_exception_fp_denorm_src 0
		.amdhsa_exception_fp_ieee_div_zero 0
		.amdhsa_exception_fp_ieee_overflow 0
		.amdhsa_exception_fp_ieee_underflow 0
		.amdhsa_exception_fp_ieee_inexact 0
		.amdhsa_exception_int_div_zero 0
	.end_amdhsa_kernel
	.section	.text._ZN7rocprim17ROCPRIM_400000_NS6detail17trampoline_kernelINS0_14default_configENS1_27scan_by_key_config_selectorIijEEZZNS1_16scan_by_key_implILNS1_25lookback_scan_determinismE0ELb0ES3_N6thrust23THRUST_200600_302600_NS6detail15normal_iteratorINS9_10device_ptrIiEEEENSB_INSC_IjEEEENSB_INSC_IfEEEEjNS9_4plusIvEENS9_8equal_toIvEEjEE10hipError_tPvRmT2_T3_T4_T5_mT6_T7_P12ihipStream_tbENKUlT_T0_E_clISt17integral_constantIbLb0EES13_EEDaSY_SZ_EUlSY_E_NS1_11comp_targetILNS1_3genE4ELNS1_11target_archE910ELNS1_3gpuE8ELNS1_3repE0EEENS1_30default_config_static_selectorELNS0_4arch9wavefront6targetE1EEEvT1_,"axG",@progbits,_ZN7rocprim17ROCPRIM_400000_NS6detail17trampoline_kernelINS0_14default_configENS1_27scan_by_key_config_selectorIijEEZZNS1_16scan_by_key_implILNS1_25lookback_scan_determinismE0ELb0ES3_N6thrust23THRUST_200600_302600_NS6detail15normal_iteratorINS9_10device_ptrIiEEEENSB_INSC_IjEEEENSB_INSC_IfEEEEjNS9_4plusIvEENS9_8equal_toIvEEjEE10hipError_tPvRmT2_T3_T4_T5_mT6_T7_P12ihipStream_tbENKUlT_T0_E_clISt17integral_constantIbLb0EES13_EEDaSY_SZ_EUlSY_E_NS1_11comp_targetILNS1_3genE4ELNS1_11target_archE910ELNS1_3gpuE8ELNS1_3repE0EEENS1_30default_config_static_selectorELNS0_4arch9wavefront6targetE1EEEvT1_,comdat
.Lfunc_end1647:
	.size	_ZN7rocprim17ROCPRIM_400000_NS6detail17trampoline_kernelINS0_14default_configENS1_27scan_by_key_config_selectorIijEEZZNS1_16scan_by_key_implILNS1_25lookback_scan_determinismE0ELb0ES3_N6thrust23THRUST_200600_302600_NS6detail15normal_iteratorINS9_10device_ptrIiEEEENSB_INSC_IjEEEENSB_INSC_IfEEEEjNS9_4plusIvEENS9_8equal_toIvEEjEE10hipError_tPvRmT2_T3_T4_T5_mT6_T7_P12ihipStream_tbENKUlT_T0_E_clISt17integral_constantIbLb0EES13_EEDaSY_SZ_EUlSY_E_NS1_11comp_targetILNS1_3genE4ELNS1_11target_archE910ELNS1_3gpuE8ELNS1_3repE0EEENS1_30default_config_static_selectorELNS0_4arch9wavefront6targetE1EEEvT1_, .Lfunc_end1647-_ZN7rocprim17ROCPRIM_400000_NS6detail17trampoline_kernelINS0_14default_configENS1_27scan_by_key_config_selectorIijEEZZNS1_16scan_by_key_implILNS1_25lookback_scan_determinismE0ELb0ES3_N6thrust23THRUST_200600_302600_NS6detail15normal_iteratorINS9_10device_ptrIiEEEENSB_INSC_IjEEEENSB_INSC_IfEEEEjNS9_4plusIvEENS9_8equal_toIvEEjEE10hipError_tPvRmT2_T3_T4_T5_mT6_T7_P12ihipStream_tbENKUlT_T0_E_clISt17integral_constantIbLb0EES13_EEDaSY_SZ_EUlSY_E_NS1_11comp_targetILNS1_3genE4ELNS1_11target_archE910ELNS1_3gpuE8ELNS1_3repE0EEENS1_30default_config_static_selectorELNS0_4arch9wavefront6targetE1EEEvT1_
                                        ; -- End function
	.section	.AMDGPU.csdata,"",@progbits
; Kernel info:
; codeLenInByte = 0
; NumSgprs: 6
; NumVgprs: 0
; NumAgprs: 0
; TotalNumVgprs: 0
; ScratchSize: 0
; MemoryBound: 0
; FloatMode: 240
; IeeeMode: 1
; LDSByteSize: 0 bytes/workgroup (compile time only)
; SGPRBlocks: 0
; VGPRBlocks: 0
; NumSGPRsForWavesPerEU: 6
; NumVGPRsForWavesPerEU: 1
; AccumOffset: 4
; Occupancy: 8
; WaveLimiterHint : 0
; COMPUTE_PGM_RSRC2:SCRATCH_EN: 0
; COMPUTE_PGM_RSRC2:USER_SGPR: 2
; COMPUTE_PGM_RSRC2:TRAP_HANDLER: 0
; COMPUTE_PGM_RSRC2:TGID_X_EN: 1
; COMPUTE_PGM_RSRC2:TGID_Y_EN: 0
; COMPUTE_PGM_RSRC2:TGID_Z_EN: 0
; COMPUTE_PGM_RSRC2:TIDIG_COMP_CNT: 0
; COMPUTE_PGM_RSRC3_GFX90A:ACCUM_OFFSET: 0
; COMPUTE_PGM_RSRC3_GFX90A:TG_SPLIT: 0
	.section	.text._ZN7rocprim17ROCPRIM_400000_NS6detail17trampoline_kernelINS0_14default_configENS1_27scan_by_key_config_selectorIijEEZZNS1_16scan_by_key_implILNS1_25lookback_scan_determinismE0ELb0ES3_N6thrust23THRUST_200600_302600_NS6detail15normal_iteratorINS9_10device_ptrIiEEEENSB_INSC_IjEEEENSB_INSC_IfEEEEjNS9_4plusIvEENS9_8equal_toIvEEjEE10hipError_tPvRmT2_T3_T4_T5_mT6_T7_P12ihipStream_tbENKUlT_T0_E_clISt17integral_constantIbLb0EES13_EEDaSY_SZ_EUlSY_E_NS1_11comp_targetILNS1_3genE3ELNS1_11target_archE908ELNS1_3gpuE7ELNS1_3repE0EEENS1_30default_config_static_selectorELNS0_4arch9wavefront6targetE1EEEvT1_,"axG",@progbits,_ZN7rocprim17ROCPRIM_400000_NS6detail17trampoline_kernelINS0_14default_configENS1_27scan_by_key_config_selectorIijEEZZNS1_16scan_by_key_implILNS1_25lookback_scan_determinismE0ELb0ES3_N6thrust23THRUST_200600_302600_NS6detail15normal_iteratorINS9_10device_ptrIiEEEENSB_INSC_IjEEEENSB_INSC_IfEEEEjNS9_4plusIvEENS9_8equal_toIvEEjEE10hipError_tPvRmT2_T3_T4_T5_mT6_T7_P12ihipStream_tbENKUlT_T0_E_clISt17integral_constantIbLb0EES13_EEDaSY_SZ_EUlSY_E_NS1_11comp_targetILNS1_3genE3ELNS1_11target_archE908ELNS1_3gpuE7ELNS1_3repE0EEENS1_30default_config_static_selectorELNS0_4arch9wavefront6targetE1EEEvT1_,comdat
	.protected	_ZN7rocprim17ROCPRIM_400000_NS6detail17trampoline_kernelINS0_14default_configENS1_27scan_by_key_config_selectorIijEEZZNS1_16scan_by_key_implILNS1_25lookback_scan_determinismE0ELb0ES3_N6thrust23THRUST_200600_302600_NS6detail15normal_iteratorINS9_10device_ptrIiEEEENSB_INSC_IjEEEENSB_INSC_IfEEEEjNS9_4plusIvEENS9_8equal_toIvEEjEE10hipError_tPvRmT2_T3_T4_T5_mT6_T7_P12ihipStream_tbENKUlT_T0_E_clISt17integral_constantIbLb0EES13_EEDaSY_SZ_EUlSY_E_NS1_11comp_targetILNS1_3genE3ELNS1_11target_archE908ELNS1_3gpuE7ELNS1_3repE0EEENS1_30default_config_static_selectorELNS0_4arch9wavefront6targetE1EEEvT1_ ; -- Begin function _ZN7rocprim17ROCPRIM_400000_NS6detail17trampoline_kernelINS0_14default_configENS1_27scan_by_key_config_selectorIijEEZZNS1_16scan_by_key_implILNS1_25lookback_scan_determinismE0ELb0ES3_N6thrust23THRUST_200600_302600_NS6detail15normal_iteratorINS9_10device_ptrIiEEEENSB_INSC_IjEEEENSB_INSC_IfEEEEjNS9_4plusIvEENS9_8equal_toIvEEjEE10hipError_tPvRmT2_T3_T4_T5_mT6_T7_P12ihipStream_tbENKUlT_T0_E_clISt17integral_constantIbLb0EES13_EEDaSY_SZ_EUlSY_E_NS1_11comp_targetILNS1_3genE3ELNS1_11target_archE908ELNS1_3gpuE7ELNS1_3repE0EEENS1_30default_config_static_selectorELNS0_4arch9wavefront6targetE1EEEvT1_
	.globl	_ZN7rocprim17ROCPRIM_400000_NS6detail17trampoline_kernelINS0_14default_configENS1_27scan_by_key_config_selectorIijEEZZNS1_16scan_by_key_implILNS1_25lookback_scan_determinismE0ELb0ES3_N6thrust23THRUST_200600_302600_NS6detail15normal_iteratorINS9_10device_ptrIiEEEENSB_INSC_IjEEEENSB_INSC_IfEEEEjNS9_4plusIvEENS9_8equal_toIvEEjEE10hipError_tPvRmT2_T3_T4_T5_mT6_T7_P12ihipStream_tbENKUlT_T0_E_clISt17integral_constantIbLb0EES13_EEDaSY_SZ_EUlSY_E_NS1_11comp_targetILNS1_3genE3ELNS1_11target_archE908ELNS1_3gpuE7ELNS1_3repE0EEENS1_30default_config_static_selectorELNS0_4arch9wavefront6targetE1EEEvT1_
	.p2align	8
	.type	_ZN7rocprim17ROCPRIM_400000_NS6detail17trampoline_kernelINS0_14default_configENS1_27scan_by_key_config_selectorIijEEZZNS1_16scan_by_key_implILNS1_25lookback_scan_determinismE0ELb0ES3_N6thrust23THRUST_200600_302600_NS6detail15normal_iteratorINS9_10device_ptrIiEEEENSB_INSC_IjEEEENSB_INSC_IfEEEEjNS9_4plusIvEENS9_8equal_toIvEEjEE10hipError_tPvRmT2_T3_T4_T5_mT6_T7_P12ihipStream_tbENKUlT_T0_E_clISt17integral_constantIbLb0EES13_EEDaSY_SZ_EUlSY_E_NS1_11comp_targetILNS1_3genE3ELNS1_11target_archE908ELNS1_3gpuE7ELNS1_3repE0EEENS1_30default_config_static_selectorELNS0_4arch9wavefront6targetE1EEEvT1_,@function
_ZN7rocprim17ROCPRIM_400000_NS6detail17trampoline_kernelINS0_14default_configENS1_27scan_by_key_config_selectorIijEEZZNS1_16scan_by_key_implILNS1_25lookback_scan_determinismE0ELb0ES3_N6thrust23THRUST_200600_302600_NS6detail15normal_iteratorINS9_10device_ptrIiEEEENSB_INSC_IjEEEENSB_INSC_IfEEEEjNS9_4plusIvEENS9_8equal_toIvEEjEE10hipError_tPvRmT2_T3_T4_T5_mT6_T7_P12ihipStream_tbENKUlT_T0_E_clISt17integral_constantIbLb0EES13_EEDaSY_SZ_EUlSY_E_NS1_11comp_targetILNS1_3genE3ELNS1_11target_archE908ELNS1_3gpuE7ELNS1_3repE0EEENS1_30default_config_static_selectorELNS0_4arch9wavefront6targetE1EEEvT1_: ; @_ZN7rocprim17ROCPRIM_400000_NS6detail17trampoline_kernelINS0_14default_configENS1_27scan_by_key_config_selectorIijEEZZNS1_16scan_by_key_implILNS1_25lookback_scan_determinismE0ELb0ES3_N6thrust23THRUST_200600_302600_NS6detail15normal_iteratorINS9_10device_ptrIiEEEENSB_INSC_IjEEEENSB_INSC_IfEEEEjNS9_4plusIvEENS9_8equal_toIvEEjEE10hipError_tPvRmT2_T3_T4_T5_mT6_T7_P12ihipStream_tbENKUlT_T0_E_clISt17integral_constantIbLb0EES13_EEDaSY_SZ_EUlSY_E_NS1_11comp_targetILNS1_3genE3ELNS1_11target_archE908ELNS1_3gpuE7ELNS1_3repE0EEENS1_30default_config_static_selectorELNS0_4arch9wavefront6targetE1EEEvT1_
; %bb.0:
	.section	.rodata,"a",@progbits
	.p2align	6, 0x0
	.amdhsa_kernel _ZN7rocprim17ROCPRIM_400000_NS6detail17trampoline_kernelINS0_14default_configENS1_27scan_by_key_config_selectorIijEEZZNS1_16scan_by_key_implILNS1_25lookback_scan_determinismE0ELb0ES3_N6thrust23THRUST_200600_302600_NS6detail15normal_iteratorINS9_10device_ptrIiEEEENSB_INSC_IjEEEENSB_INSC_IfEEEEjNS9_4plusIvEENS9_8equal_toIvEEjEE10hipError_tPvRmT2_T3_T4_T5_mT6_T7_P12ihipStream_tbENKUlT_T0_E_clISt17integral_constantIbLb0EES13_EEDaSY_SZ_EUlSY_E_NS1_11comp_targetILNS1_3genE3ELNS1_11target_archE908ELNS1_3gpuE7ELNS1_3repE0EEENS1_30default_config_static_selectorELNS0_4arch9wavefront6targetE1EEEvT1_
		.amdhsa_group_segment_fixed_size 0
		.amdhsa_private_segment_fixed_size 0
		.amdhsa_kernarg_size 112
		.amdhsa_user_sgpr_count 2
		.amdhsa_user_sgpr_dispatch_ptr 0
		.amdhsa_user_sgpr_queue_ptr 0
		.amdhsa_user_sgpr_kernarg_segment_ptr 1
		.amdhsa_user_sgpr_dispatch_id 0
		.amdhsa_user_sgpr_kernarg_preload_length 0
		.amdhsa_user_sgpr_kernarg_preload_offset 0
		.amdhsa_user_sgpr_private_segment_size 0
		.amdhsa_uses_dynamic_stack 0
		.amdhsa_enable_private_segment 0
		.amdhsa_system_sgpr_workgroup_id_x 1
		.amdhsa_system_sgpr_workgroup_id_y 0
		.amdhsa_system_sgpr_workgroup_id_z 0
		.amdhsa_system_sgpr_workgroup_info 0
		.amdhsa_system_vgpr_workitem_id 0
		.amdhsa_next_free_vgpr 1
		.amdhsa_next_free_sgpr 0
		.amdhsa_accum_offset 4
		.amdhsa_reserve_vcc 0
		.amdhsa_float_round_mode_32 0
		.amdhsa_float_round_mode_16_64 0
		.amdhsa_float_denorm_mode_32 3
		.amdhsa_float_denorm_mode_16_64 3
		.amdhsa_dx10_clamp 1
		.amdhsa_ieee_mode 1
		.amdhsa_fp16_overflow 0
		.amdhsa_tg_split 0
		.amdhsa_exception_fp_ieee_invalid_op 0
		.amdhsa_exception_fp_denorm_src 0
		.amdhsa_exception_fp_ieee_div_zero 0
		.amdhsa_exception_fp_ieee_overflow 0
		.amdhsa_exception_fp_ieee_underflow 0
		.amdhsa_exception_fp_ieee_inexact 0
		.amdhsa_exception_int_div_zero 0
	.end_amdhsa_kernel
	.section	.text._ZN7rocprim17ROCPRIM_400000_NS6detail17trampoline_kernelINS0_14default_configENS1_27scan_by_key_config_selectorIijEEZZNS1_16scan_by_key_implILNS1_25lookback_scan_determinismE0ELb0ES3_N6thrust23THRUST_200600_302600_NS6detail15normal_iteratorINS9_10device_ptrIiEEEENSB_INSC_IjEEEENSB_INSC_IfEEEEjNS9_4plusIvEENS9_8equal_toIvEEjEE10hipError_tPvRmT2_T3_T4_T5_mT6_T7_P12ihipStream_tbENKUlT_T0_E_clISt17integral_constantIbLb0EES13_EEDaSY_SZ_EUlSY_E_NS1_11comp_targetILNS1_3genE3ELNS1_11target_archE908ELNS1_3gpuE7ELNS1_3repE0EEENS1_30default_config_static_selectorELNS0_4arch9wavefront6targetE1EEEvT1_,"axG",@progbits,_ZN7rocprim17ROCPRIM_400000_NS6detail17trampoline_kernelINS0_14default_configENS1_27scan_by_key_config_selectorIijEEZZNS1_16scan_by_key_implILNS1_25lookback_scan_determinismE0ELb0ES3_N6thrust23THRUST_200600_302600_NS6detail15normal_iteratorINS9_10device_ptrIiEEEENSB_INSC_IjEEEENSB_INSC_IfEEEEjNS9_4plusIvEENS9_8equal_toIvEEjEE10hipError_tPvRmT2_T3_T4_T5_mT6_T7_P12ihipStream_tbENKUlT_T0_E_clISt17integral_constantIbLb0EES13_EEDaSY_SZ_EUlSY_E_NS1_11comp_targetILNS1_3genE3ELNS1_11target_archE908ELNS1_3gpuE7ELNS1_3repE0EEENS1_30default_config_static_selectorELNS0_4arch9wavefront6targetE1EEEvT1_,comdat
.Lfunc_end1648:
	.size	_ZN7rocprim17ROCPRIM_400000_NS6detail17trampoline_kernelINS0_14default_configENS1_27scan_by_key_config_selectorIijEEZZNS1_16scan_by_key_implILNS1_25lookback_scan_determinismE0ELb0ES3_N6thrust23THRUST_200600_302600_NS6detail15normal_iteratorINS9_10device_ptrIiEEEENSB_INSC_IjEEEENSB_INSC_IfEEEEjNS9_4plusIvEENS9_8equal_toIvEEjEE10hipError_tPvRmT2_T3_T4_T5_mT6_T7_P12ihipStream_tbENKUlT_T0_E_clISt17integral_constantIbLb0EES13_EEDaSY_SZ_EUlSY_E_NS1_11comp_targetILNS1_3genE3ELNS1_11target_archE908ELNS1_3gpuE7ELNS1_3repE0EEENS1_30default_config_static_selectorELNS0_4arch9wavefront6targetE1EEEvT1_, .Lfunc_end1648-_ZN7rocprim17ROCPRIM_400000_NS6detail17trampoline_kernelINS0_14default_configENS1_27scan_by_key_config_selectorIijEEZZNS1_16scan_by_key_implILNS1_25lookback_scan_determinismE0ELb0ES3_N6thrust23THRUST_200600_302600_NS6detail15normal_iteratorINS9_10device_ptrIiEEEENSB_INSC_IjEEEENSB_INSC_IfEEEEjNS9_4plusIvEENS9_8equal_toIvEEjEE10hipError_tPvRmT2_T3_T4_T5_mT6_T7_P12ihipStream_tbENKUlT_T0_E_clISt17integral_constantIbLb0EES13_EEDaSY_SZ_EUlSY_E_NS1_11comp_targetILNS1_3genE3ELNS1_11target_archE908ELNS1_3gpuE7ELNS1_3repE0EEENS1_30default_config_static_selectorELNS0_4arch9wavefront6targetE1EEEvT1_
                                        ; -- End function
	.section	.AMDGPU.csdata,"",@progbits
; Kernel info:
; codeLenInByte = 0
; NumSgprs: 6
; NumVgprs: 0
; NumAgprs: 0
; TotalNumVgprs: 0
; ScratchSize: 0
; MemoryBound: 0
; FloatMode: 240
; IeeeMode: 1
; LDSByteSize: 0 bytes/workgroup (compile time only)
; SGPRBlocks: 0
; VGPRBlocks: 0
; NumSGPRsForWavesPerEU: 6
; NumVGPRsForWavesPerEU: 1
; AccumOffset: 4
; Occupancy: 8
; WaveLimiterHint : 0
; COMPUTE_PGM_RSRC2:SCRATCH_EN: 0
; COMPUTE_PGM_RSRC2:USER_SGPR: 2
; COMPUTE_PGM_RSRC2:TRAP_HANDLER: 0
; COMPUTE_PGM_RSRC2:TGID_X_EN: 1
; COMPUTE_PGM_RSRC2:TGID_Y_EN: 0
; COMPUTE_PGM_RSRC2:TGID_Z_EN: 0
; COMPUTE_PGM_RSRC2:TIDIG_COMP_CNT: 0
; COMPUTE_PGM_RSRC3_GFX90A:ACCUM_OFFSET: 0
; COMPUTE_PGM_RSRC3_GFX90A:TG_SPLIT: 0
	.section	.text._ZN7rocprim17ROCPRIM_400000_NS6detail17trampoline_kernelINS0_14default_configENS1_27scan_by_key_config_selectorIijEEZZNS1_16scan_by_key_implILNS1_25lookback_scan_determinismE0ELb0ES3_N6thrust23THRUST_200600_302600_NS6detail15normal_iteratorINS9_10device_ptrIiEEEENSB_INSC_IjEEEENSB_INSC_IfEEEEjNS9_4plusIvEENS9_8equal_toIvEEjEE10hipError_tPvRmT2_T3_T4_T5_mT6_T7_P12ihipStream_tbENKUlT_T0_E_clISt17integral_constantIbLb0EES13_EEDaSY_SZ_EUlSY_E_NS1_11comp_targetILNS1_3genE2ELNS1_11target_archE906ELNS1_3gpuE6ELNS1_3repE0EEENS1_30default_config_static_selectorELNS0_4arch9wavefront6targetE1EEEvT1_,"axG",@progbits,_ZN7rocprim17ROCPRIM_400000_NS6detail17trampoline_kernelINS0_14default_configENS1_27scan_by_key_config_selectorIijEEZZNS1_16scan_by_key_implILNS1_25lookback_scan_determinismE0ELb0ES3_N6thrust23THRUST_200600_302600_NS6detail15normal_iteratorINS9_10device_ptrIiEEEENSB_INSC_IjEEEENSB_INSC_IfEEEEjNS9_4plusIvEENS9_8equal_toIvEEjEE10hipError_tPvRmT2_T3_T4_T5_mT6_T7_P12ihipStream_tbENKUlT_T0_E_clISt17integral_constantIbLb0EES13_EEDaSY_SZ_EUlSY_E_NS1_11comp_targetILNS1_3genE2ELNS1_11target_archE906ELNS1_3gpuE6ELNS1_3repE0EEENS1_30default_config_static_selectorELNS0_4arch9wavefront6targetE1EEEvT1_,comdat
	.protected	_ZN7rocprim17ROCPRIM_400000_NS6detail17trampoline_kernelINS0_14default_configENS1_27scan_by_key_config_selectorIijEEZZNS1_16scan_by_key_implILNS1_25lookback_scan_determinismE0ELb0ES3_N6thrust23THRUST_200600_302600_NS6detail15normal_iteratorINS9_10device_ptrIiEEEENSB_INSC_IjEEEENSB_INSC_IfEEEEjNS9_4plusIvEENS9_8equal_toIvEEjEE10hipError_tPvRmT2_T3_T4_T5_mT6_T7_P12ihipStream_tbENKUlT_T0_E_clISt17integral_constantIbLb0EES13_EEDaSY_SZ_EUlSY_E_NS1_11comp_targetILNS1_3genE2ELNS1_11target_archE906ELNS1_3gpuE6ELNS1_3repE0EEENS1_30default_config_static_selectorELNS0_4arch9wavefront6targetE1EEEvT1_ ; -- Begin function _ZN7rocprim17ROCPRIM_400000_NS6detail17trampoline_kernelINS0_14default_configENS1_27scan_by_key_config_selectorIijEEZZNS1_16scan_by_key_implILNS1_25lookback_scan_determinismE0ELb0ES3_N6thrust23THRUST_200600_302600_NS6detail15normal_iteratorINS9_10device_ptrIiEEEENSB_INSC_IjEEEENSB_INSC_IfEEEEjNS9_4plusIvEENS9_8equal_toIvEEjEE10hipError_tPvRmT2_T3_T4_T5_mT6_T7_P12ihipStream_tbENKUlT_T0_E_clISt17integral_constantIbLb0EES13_EEDaSY_SZ_EUlSY_E_NS1_11comp_targetILNS1_3genE2ELNS1_11target_archE906ELNS1_3gpuE6ELNS1_3repE0EEENS1_30default_config_static_selectorELNS0_4arch9wavefront6targetE1EEEvT1_
	.globl	_ZN7rocprim17ROCPRIM_400000_NS6detail17trampoline_kernelINS0_14default_configENS1_27scan_by_key_config_selectorIijEEZZNS1_16scan_by_key_implILNS1_25lookback_scan_determinismE0ELb0ES3_N6thrust23THRUST_200600_302600_NS6detail15normal_iteratorINS9_10device_ptrIiEEEENSB_INSC_IjEEEENSB_INSC_IfEEEEjNS9_4plusIvEENS9_8equal_toIvEEjEE10hipError_tPvRmT2_T3_T4_T5_mT6_T7_P12ihipStream_tbENKUlT_T0_E_clISt17integral_constantIbLb0EES13_EEDaSY_SZ_EUlSY_E_NS1_11comp_targetILNS1_3genE2ELNS1_11target_archE906ELNS1_3gpuE6ELNS1_3repE0EEENS1_30default_config_static_selectorELNS0_4arch9wavefront6targetE1EEEvT1_
	.p2align	8
	.type	_ZN7rocprim17ROCPRIM_400000_NS6detail17trampoline_kernelINS0_14default_configENS1_27scan_by_key_config_selectorIijEEZZNS1_16scan_by_key_implILNS1_25lookback_scan_determinismE0ELb0ES3_N6thrust23THRUST_200600_302600_NS6detail15normal_iteratorINS9_10device_ptrIiEEEENSB_INSC_IjEEEENSB_INSC_IfEEEEjNS9_4plusIvEENS9_8equal_toIvEEjEE10hipError_tPvRmT2_T3_T4_T5_mT6_T7_P12ihipStream_tbENKUlT_T0_E_clISt17integral_constantIbLb0EES13_EEDaSY_SZ_EUlSY_E_NS1_11comp_targetILNS1_3genE2ELNS1_11target_archE906ELNS1_3gpuE6ELNS1_3repE0EEENS1_30default_config_static_selectorELNS0_4arch9wavefront6targetE1EEEvT1_,@function
_ZN7rocprim17ROCPRIM_400000_NS6detail17trampoline_kernelINS0_14default_configENS1_27scan_by_key_config_selectorIijEEZZNS1_16scan_by_key_implILNS1_25lookback_scan_determinismE0ELb0ES3_N6thrust23THRUST_200600_302600_NS6detail15normal_iteratorINS9_10device_ptrIiEEEENSB_INSC_IjEEEENSB_INSC_IfEEEEjNS9_4plusIvEENS9_8equal_toIvEEjEE10hipError_tPvRmT2_T3_T4_T5_mT6_T7_P12ihipStream_tbENKUlT_T0_E_clISt17integral_constantIbLb0EES13_EEDaSY_SZ_EUlSY_E_NS1_11comp_targetILNS1_3genE2ELNS1_11target_archE906ELNS1_3gpuE6ELNS1_3repE0EEENS1_30default_config_static_selectorELNS0_4arch9wavefront6targetE1EEEvT1_: ; @_ZN7rocprim17ROCPRIM_400000_NS6detail17trampoline_kernelINS0_14default_configENS1_27scan_by_key_config_selectorIijEEZZNS1_16scan_by_key_implILNS1_25lookback_scan_determinismE0ELb0ES3_N6thrust23THRUST_200600_302600_NS6detail15normal_iteratorINS9_10device_ptrIiEEEENSB_INSC_IjEEEENSB_INSC_IfEEEEjNS9_4plusIvEENS9_8equal_toIvEEjEE10hipError_tPvRmT2_T3_T4_T5_mT6_T7_P12ihipStream_tbENKUlT_T0_E_clISt17integral_constantIbLb0EES13_EEDaSY_SZ_EUlSY_E_NS1_11comp_targetILNS1_3genE2ELNS1_11target_archE906ELNS1_3gpuE6ELNS1_3repE0EEENS1_30default_config_static_selectorELNS0_4arch9wavefront6targetE1EEEvT1_
; %bb.0:
	.section	.rodata,"a",@progbits
	.p2align	6, 0x0
	.amdhsa_kernel _ZN7rocprim17ROCPRIM_400000_NS6detail17trampoline_kernelINS0_14default_configENS1_27scan_by_key_config_selectorIijEEZZNS1_16scan_by_key_implILNS1_25lookback_scan_determinismE0ELb0ES3_N6thrust23THRUST_200600_302600_NS6detail15normal_iteratorINS9_10device_ptrIiEEEENSB_INSC_IjEEEENSB_INSC_IfEEEEjNS9_4plusIvEENS9_8equal_toIvEEjEE10hipError_tPvRmT2_T3_T4_T5_mT6_T7_P12ihipStream_tbENKUlT_T0_E_clISt17integral_constantIbLb0EES13_EEDaSY_SZ_EUlSY_E_NS1_11comp_targetILNS1_3genE2ELNS1_11target_archE906ELNS1_3gpuE6ELNS1_3repE0EEENS1_30default_config_static_selectorELNS0_4arch9wavefront6targetE1EEEvT1_
		.amdhsa_group_segment_fixed_size 0
		.amdhsa_private_segment_fixed_size 0
		.amdhsa_kernarg_size 112
		.amdhsa_user_sgpr_count 2
		.amdhsa_user_sgpr_dispatch_ptr 0
		.amdhsa_user_sgpr_queue_ptr 0
		.amdhsa_user_sgpr_kernarg_segment_ptr 1
		.amdhsa_user_sgpr_dispatch_id 0
		.amdhsa_user_sgpr_kernarg_preload_length 0
		.amdhsa_user_sgpr_kernarg_preload_offset 0
		.amdhsa_user_sgpr_private_segment_size 0
		.amdhsa_uses_dynamic_stack 0
		.amdhsa_enable_private_segment 0
		.amdhsa_system_sgpr_workgroup_id_x 1
		.amdhsa_system_sgpr_workgroup_id_y 0
		.amdhsa_system_sgpr_workgroup_id_z 0
		.amdhsa_system_sgpr_workgroup_info 0
		.amdhsa_system_vgpr_workitem_id 0
		.amdhsa_next_free_vgpr 1
		.amdhsa_next_free_sgpr 0
		.amdhsa_accum_offset 4
		.amdhsa_reserve_vcc 0
		.amdhsa_float_round_mode_32 0
		.amdhsa_float_round_mode_16_64 0
		.amdhsa_float_denorm_mode_32 3
		.amdhsa_float_denorm_mode_16_64 3
		.amdhsa_dx10_clamp 1
		.amdhsa_ieee_mode 1
		.amdhsa_fp16_overflow 0
		.amdhsa_tg_split 0
		.amdhsa_exception_fp_ieee_invalid_op 0
		.amdhsa_exception_fp_denorm_src 0
		.amdhsa_exception_fp_ieee_div_zero 0
		.amdhsa_exception_fp_ieee_overflow 0
		.amdhsa_exception_fp_ieee_underflow 0
		.amdhsa_exception_fp_ieee_inexact 0
		.amdhsa_exception_int_div_zero 0
	.end_amdhsa_kernel
	.section	.text._ZN7rocprim17ROCPRIM_400000_NS6detail17trampoline_kernelINS0_14default_configENS1_27scan_by_key_config_selectorIijEEZZNS1_16scan_by_key_implILNS1_25lookback_scan_determinismE0ELb0ES3_N6thrust23THRUST_200600_302600_NS6detail15normal_iteratorINS9_10device_ptrIiEEEENSB_INSC_IjEEEENSB_INSC_IfEEEEjNS9_4plusIvEENS9_8equal_toIvEEjEE10hipError_tPvRmT2_T3_T4_T5_mT6_T7_P12ihipStream_tbENKUlT_T0_E_clISt17integral_constantIbLb0EES13_EEDaSY_SZ_EUlSY_E_NS1_11comp_targetILNS1_3genE2ELNS1_11target_archE906ELNS1_3gpuE6ELNS1_3repE0EEENS1_30default_config_static_selectorELNS0_4arch9wavefront6targetE1EEEvT1_,"axG",@progbits,_ZN7rocprim17ROCPRIM_400000_NS6detail17trampoline_kernelINS0_14default_configENS1_27scan_by_key_config_selectorIijEEZZNS1_16scan_by_key_implILNS1_25lookback_scan_determinismE0ELb0ES3_N6thrust23THRUST_200600_302600_NS6detail15normal_iteratorINS9_10device_ptrIiEEEENSB_INSC_IjEEEENSB_INSC_IfEEEEjNS9_4plusIvEENS9_8equal_toIvEEjEE10hipError_tPvRmT2_T3_T4_T5_mT6_T7_P12ihipStream_tbENKUlT_T0_E_clISt17integral_constantIbLb0EES13_EEDaSY_SZ_EUlSY_E_NS1_11comp_targetILNS1_3genE2ELNS1_11target_archE906ELNS1_3gpuE6ELNS1_3repE0EEENS1_30default_config_static_selectorELNS0_4arch9wavefront6targetE1EEEvT1_,comdat
.Lfunc_end1649:
	.size	_ZN7rocprim17ROCPRIM_400000_NS6detail17trampoline_kernelINS0_14default_configENS1_27scan_by_key_config_selectorIijEEZZNS1_16scan_by_key_implILNS1_25lookback_scan_determinismE0ELb0ES3_N6thrust23THRUST_200600_302600_NS6detail15normal_iteratorINS9_10device_ptrIiEEEENSB_INSC_IjEEEENSB_INSC_IfEEEEjNS9_4plusIvEENS9_8equal_toIvEEjEE10hipError_tPvRmT2_T3_T4_T5_mT6_T7_P12ihipStream_tbENKUlT_T0_E_clISt17integral_constantIbLb0EES13_EEDaSY_SZ_EUlSY_E_NS1_11comp_targetILNS1_3genE2ELNS1_11target_archE906ELNS1_3gpuE6ELNS1_3repE0EEENS1_30default_config_static_selectorELNS0_4arch9wavefront6targetE1EEEvT1_, .Lfunc_end1649-_ZN7rocprim17ROCPRIM_400000_NS6detail17trampoline_kernelINS0_14default_configENS1_27scan_by_key_config_selectorIijEEZZNS1_16scan_by_key_implILNS1_25lookback_scan_determinismE0ELb0ES3_N6thrust23THRUST_200600_302600_NS6detail15normal_iteratorINS9_10device_ptrIiEEEENSB_INSC_IjEEEENSB_INSC_IfEEEEjNS9_4plusIvEENS9_8equal_toIvEEjEE10hipError_tPvRmT2_T3_T4_T5_mT6_T7_P12ihipStream_tbENKUlT_T0_E_clISt17integral_constantIbLb0EES13_EEDaSY_SZ_EUlSY_E_NS1_11comp_targetILNS1_3genE2ELNS1_11target_archE906ELNS1_3gpuE6ELNS1_3repE0EEENS1_30default_config_static_selectorELNS0_4arch9wavefront6targetE1EEEvT1_
                                        ; -- End function
	.section	.AMDGPU.csdata,"",@progbits
; Kernel info:
; codeLenInByte = 0
; NumSgprs: 6
; NumVgprs: 0
; NumAgprs: 0
; TotalNumVgprs: 0
; ScratchSize: 0
; MemoryBound: 0
; FloatMode: 240
; IeeeMode: 1
; LDSByteSize: 0 bytes/workgroup (compile time only)
; SGPRBlocks: 0
; VGPRBlocks: 0
; NumSGPRsForWavesPerEU: 6
; NumVGPRsForWavesPerEU: 1
; AccumOffset: 4
; Occupancy: 8
; WaveLimiterHint : 0
; COMPUTE_PGM_RSRC2:SCRATCH_EN: 0
; COMPUTE_PGM_RSRC2:USER_SGPR: 2
; COMPUTE_PGM_RSRC2:TRAP_HANDLER: 0
; COMPUTE_PGM_RSRC2:TGID_X_EN: 1
; COMPUTE_PGM_RSRC2:TGID_Y_EN: 0
; COMPUTE_PGM_RSRC2:TGID_Z_EN: 0
; COMPUTE_PGM_RSRC2:TIDIG_COMP_CNT: 0
; COMPUTE_PGM_RSRC3_GFX90A:ACCUM_OFFSET: 0
; COMPUTE_PGM_RSRC3_GFX90A:TG_SPLIT: 0
	.section	.text._ZN7rocprim17ROCPRIM_400000_NS6detail17trampoline_kernelINS0_14default_configENS1_27scan_by_key_config_selectorIijEEZZNS1_16scan_by_key_implILNS1_25lookback_scan_determinismE0ELb0ES3_N6thrust23THRUST_200600_302600_NS6detail15normal_iteratorINS9_10device_ptrIiEEEENSB_INSC_IjEEEENSB_INSC_IfEEEEjNS9_4plusIvEENS9_8equal_toIvEEjEE10hipError_tPvRmT2_T3_T4_T5_mT6_T7_P12ihipStream_tbENKUlT_T0_E_clISt17integral_constantIbLb0EES13_EEDaSY_SZ_EUlSY_E_NS1_11comp_targetILNS1_3genE10ELNS1_11target_archE1200ELNS1_3gpuE4ELNS1_3repE0EEENS1_30default_config_static_selectorELNS0_4arch9wavefront6targetE1EEEvT1_,"axG",@progbits,_ZN7rocprim17ROCPRIM_400000_NS6detail17trampoline_kernelINS0_14default_configENS1_27scan_by_key_config_selectorIijEEZZNS1_16scan_by_key_implILNS1_25lookback_scan_determinismE0ELb0ES3_N6thrust23THRUST_200600_302600_NS6detail15normal_iteratorINS9_10device_ptrIiEEEENSB_INSC_IjEEEENSB_INSC_IfEEEEjNS9_4plusIvEENS9_8equal_toIvEEjEE10hipError_tPvRmT2_T3_T4_T5_mT6_T7_P12ihipStream_tbENKUlT_T0_E_clISt17integral_constantIbLb0EES13_EEDaSY_SZ_EUlSY_E_NS1_11comp_targetILNS1_3genE10ELNS1_11target_archE1200ELNS1_3gpuE4ELNS1_3repE0EEENS1_30default_config_static_selectorELNS0_4arch9wavefront6targetE1EEEvT1_,comdat
	.protected	_ZN7rocprim17ROCPRIM_400000_NS6detail17trampoline_kernelINS0_14default_configENS1_27scan_by_key_config_selectorIijEEZZNS1_16scan_by_key_implILNS1_25lookback_scan_determinismE0ELb0ES3_N6thrust23THRUST_200600_302600_NS6detail15normal_iteratorINS9_10device_ptrIiEEEENSB_INSC_IjEEEENSB_INSC_IfEEEEjNS9_4plusIvEENS9_8equal_toIvEEjEE10hipError_tPvRmT2_T3_T4_T5_mT6_T7_P12ihipStream_tbENKUlT_T0_E_clISt17integral_constantIbLb0EES13_EEDaSY_SZ_EUlSY_E_NS1_11comp_targetILNS1_3genE10ELNS1_11target_archE1200ELNS1_3gpuE4ELNS1_3repE0EEENS1_30default_config_static_selectorELNS0_4arch9wavefront6targetE1EEEvT1_ ; -- Begin function _ZN7rocprim17ROCPRIM_400000_NS6detail17trampoline_kernelINS0_14default_configENS1_27scan_by_key_config_selectorIijEEZZNS1_16scan_by_key_implILNS1_25lookback_scan_determinismE0ELb0ES3_N6thrust23THRUST_200600_302600_NS6detail15normal_iteratorINS9_10device_ptrIiEEEENSB_INSC_IjEEEENSB_INSC_IfEEEEjNS9_4plusIvEENS9_8equal_toIvEEjEE10hipError_tPvRmT2_T3_T4_T5_mT6_T7_P12ihipStream_tbENKUlT_T0_E_clISt17integral_constantIbLb0EES13_EEDaSY_SZ_EUlSY_E_NS1_11comp_targetILNS1_3genE10ELNS1_11target_archE1200ELNS1_3gpuE4ELNS1_3repE0EEENS1_30default_config_static_selectorELNS0_4arch9wavefront6targetE1EEEvT1_
	.globl	_ZN7rocprim17ROCPRIM_400000_NS6detail17trampoline_kernelINS0_14default_configENS1_27scan_by_key_config_selectorIijEEZZNS1_16scan_by_key_implILNS1_25lookback_scan_determinismE0ELb0ES3_N6thrust23THRUST_200600_302600_NS6detail15normal_iteratorINS9_10device_ptrIiEEEENSB_INSC_IjEEEENSB_INSC_IfEEEEjNS9_4plusIvEENS9_8equal_toIvEEjEE10hipError_tPvRmT2_T3_T4_T5_mT6_T7_P12ihipStream_tbENKUlT_T0_E_clISt17integral_constantIbLb0EES13_EEDaSY_SZ_EUlSY_E_NS1_11comp_targetILNS1_3genE10ELNS1_11target_archE1200ELNS1_3gpuE4ELNS1_3repE0EEENS1_30default_config_static_selectorELNS0_4arch9wavefront6targetE1EEEvT1_
	.p2align	8
	.type	_ZN7rocprim17ROCPRIM_400000_NS6detail17trampoline_kernelINS0_14default_configENS1_27scan_by_key_config_selectorIijEEZZNS1_16scan_by_key_implILNS1_25lookback_scan_determinismE0ELb0ES3_N6thrust23THRUST_200600_302600_NS6detail15normal_iteratorINS9_10device_ptrIiEEEENSB_INSC_IjEEEENSB_INSC_IfEEEEjNS9_4plusIvEENS9_8equal_toIvEEjEE10hipError_tPvRmT2_T3_T4_T5_mT6_T7_P12ihipStream_tbENKUlT_T0_E_clISt17integral_constantIbLb0EES13_EEDaSY_SZ_EUlSY_E_NS1_11comp_targetILNS1_3genE10ELNS1_11target_archE1200ELNS1_3gpuE4ELNS1_3repE0EEENS1_30default_config_static_selectorELNS0_4arch9wavefront6targetE1EEEvT1_,@function
_ZN7rocprim17ROCPRIM_400000_NS6detail17trampoline_kernelINS0_14default_configENS1_27scan_by_key_config_selectorIijEEZZNS1_16scan_by_key_implILNS1_25lookback_scan_determinismE0ELb0ES3_N6thrust23THRUST_200600_302600_NS6detail15normal_iteratorINS9_10device_ptrIiEEEENSB_INSC_IjEEEENSB_INSC_IfEEEEjNS9_4plusIvEENS9_8equal_toIvEEjEE10hipError_tPvRmT2_T3_T4_T5_mT6_T7_P12ihipStream_tbENKUlT_T0_E_clISt17integral_constantIbLb0EES13_EEDaSY_SZ_EUlSY_E_NS1_11comp_targetILNS1_3genE10ELNS1_11target_archE1200ELNS1_3gpuE4ELNS1_3repE0EEENS1_30default_config_static_selectorELNS0_4arch9wavefront6targetE1EEEvT1_: ; @_ZN7rocprim17ROCPRIM_400000_NS6detail17trampoline_kernelINS0_14default_configENS1_27scan_by_key_config_selectorIijEEZZNS1_16scan_by_key_implILNS1_25lookback_scan_determinismE0ELb0ES3_N6thrust23THRUST_200600_302600_NS6detail15normal_iteratorINS9_10device_ptrIiEEEENSB_INSC_IjEEEENSB_INSC_IfEEEEjNS9_4plusIvEENS9_8equal_toIvEEjEE10hipError_tPvRmT2_T3_T4_T5_mT6_T7_P12ihipStream_tbENKUlT_T0_E_clISt17integral_constantIbLb0EES13_EEDaSY_SZ_EUlSY_E_NS1_11comp_targetILNS1_3genE10ELNS1_11target_archE1200ELNS1_3gpuE4ELNS1_3repE0EEENS1_30default_config_static_selectorELNS0_4arch9wavefront6targetE1EEEvT1_
; %bb.0:
	.section	.rodata,"a",@progbits
	.p2align	6, 0x0
	.amdhsa_kernel _ZN7rocprim17ROCPRIM_400000_NS6detail17trampoline_kernelINS0_14default_configENS1_27scan_by_key_config_selectorIijEEZZNS1_16scan_by_key_implILNS1_25lookback_scan_determinismE0ELb0ES3_N6thrust23THRUST_200600_302600_NS6detail15normal_iteratorINS9_10device_ptrIiEEEENSB_INSC_IjEEEENSB_INSC_IfEEEEjNS9_4plusIvEENS9_8equal_toIvEEjEE10hipError_tPvRmT2_T3_T4_T5_mT6_T7_P12ihipStream_tbENKUlT_T0_E_clISt17integral_constantIbLb0EES13_EEDaSY_SZ_EUlSY_E_NS1_11comp_targetILNS1_3genE10ELNS1_11target_archE1200ELNS1_3gpuE4ELNS1_3repE0EEENS1_30default_config_static_selectorELNS0_4arch9wavefront6targetE1EEEvT1_
		.amdhsa_group_segment_fixed_size 0
		.amdhsa_private_segment_fixed_size 0
		.amdhsa_kernarg_size 112
		.amdhsa_user_sgpr_count 2
		.amdhsa_user_sgpr_dispatch_ptr 0
		.amdhsa_user_sgpr_queue_ptr 0
		.amdhsa_user_sgpr_kernarg_segment_ptr 1
		.amdhsa_user_sgpr_dispatch_id 0
		.amdhsa_user_sgpr_kernarg_preload_length 0
		.amdhsa_user_sgpr_kernarg_preload_offset 0
		.amdhsa_user_sgpr_private_segment_size 0
		.amdhsa_uses_dynamic_stack 0
		.amdhsa_enable_private_segment 0
		.amdhsa_system_sgpr_workgroup_id_x 1
		.amdhsa_system_sgpr_workgroup_id_y 0
		.amdhsa_system_sgpr_workgroup_id_z 0
		.amdhsa_system_sgpr_workgroup_info 0
		.amdhsa_system_vgpr_workitem_id 0
		.amdhsa_next_free_vgpr 1
		.amdhsa_next_free_sgpr 0
		.amdhsa_accum_offset 4
		.amdhsa_reserve_vcc 0
		.amdhsa_float_round_mode_32 0
		.amdhsa_float_round_mode_16_64 0
		.amdhsa_float_denorm_mode_32 3
		.amdhsa_float_denorm_mode_16_64 3
		.amdhsa_dx10_clamp 1
		.amdhsa_ieee_mode 1
		.amdhsa_fp16_overflow 0
		.amdhsa_tg_split 0
		.amdhsa_exception_fp_ieee_invalid_op 0
		.amdhsa_exception_fp_denorm_src 0
		.amdhsa_exception_fp_ieee_div_zero 0
		.amdhsa_exception_fp_ieee_overflow 0
		.amdhsa_exception_fp_ieee_underflow 0
		.amdhsa_exception_fp_ieee_inexact 0
		.amdhsa_exception_int_div_zero 0
	.end_amdhsa_kernel
	.section	.text._ZN7rocprim17ROCPRIM_400000_NS6detail17trampoline_kernelINS0_14default_configENS1_27scan_by_key_config_selectorIijEEZZNS1_16scan_by_key_implILNS1_25lookback_scan_determinismE0ELb0ES3_N6thrust23THRUST_200600_302600_NS6detail15normal_iteratorINS9_10device_ptrIiEEEENSB_INSC_IjEEEENSB_INSC_IfEEEEjNS9_4plusIvEENS9_8equal_toIvEEjEE10hipError_tPvRmT2_T3_T4_T5_mT6_T7_P12ihipStream_tbENKUlT_T0_E_clISt17integral_constantIbLb0EES13_EEDaSY_SZ_EUlSY_E_NS1_11comp_targetILNS1_3genE10ELNS1_11target_archE1200ELNS1_3gpuE4ELNS1_3repE0EEENS1_30default_config_static_selectorELNS0_4arch9wavefront6targetE1EEEvT1_,"axG",@progbits,_ZN7rocprim17ROCPRIM_400000_NS6detail17trampoline_kernelINS0_14default_configENS1_27scan_by_key_config_selectorIijEEZZNS1_16scan_by_key_implILNS1_25lookback_scan_determinismE0ELb0ES3_N6thrust23THRUST_200600_302600_NS6detail15normal_iteratorINS9_10device_ptrIiEEEENSB_INSC_IjEEEENSB_INSC_IfEEEEjNS9_4plusIvEENS9_8equal_toIvEEjEE10hipError_tPvRmT2_T3_T4_T5_mT6_T7_P12ihipStream_tbENKUlT_T0_E_clISt17integral_constantIbLb0EES13_EEDaSY_SZ_EUlSY_E_NS1_11comp_targetILNS1_3genE10ELNS1_11target_archE1200ELNS1_3gpuE4ELNS1_3repE0EEENS1_30default_config_static_selectorELNS0_4arch9wavefront6targetE1EEEvT1_,comdat
.Lfunc_end1650:
	.size	_ZN7rocprim17ROCPRIM_400000_NS6detail17trampoline_kernelINS0_14default_configENS1_27scan_by_key_config_selectorIijEEZZNS1_16scan_by_key_implILNS1_25lookback_scan_determinismE0ELb0ES3_N6thrust23THRUST_200600_302600_NS6detail15normal_iteratorINS9_10device_ptrIiEEEENSB_INSC_IjEEEENSB_INSC_IfEEEEjNS9_4plusIvEENS9_8equal_toIvEEjEE10hipError_tPvRmT2_T3_T4_T5_mT6_T7_P12ihipStream_tbENKUlT_T0_E_clISt17integral_constantIbLb0EES13_EEDaSY_SZ_EUlSY_E_NS1_11comp_targetILNS1_3genE10ELNS1_11target_archE1200ELNS1_3gpuE4ELNS1_3repE0EEENS1_30default_config_static_selectorELNS0_4arch9wavefront6targetE1EEEvT1_, .Lfunc_end1650-_ZN7rocprim17ROCPRIM_400000_NS6detail17trampoline_kernelINS0_14default_configENS1_27scan_by_key_config_selectorIijEEZZNS1_16scan_by_key_implILNS1_25lookback_scan_determinismE0ELb0ES3_N6thrust23THRUST_200600_302600_NS6detail15normal_iteratorINS9_10device_ptrIiEEEENSB_INSC_IjEEEENSB_INSC_IfEEEEjNS9_4plusIvEENS9_8equal_toIvEEjEE10hipError_tPvRmT2_T3_T4_T5_mT6_T7_P12ihipStream_tbENKUlT_T0_E_clISt17integral_constantIbLb0EES13_EEDaSY_SZ_EUlSY_E_NS1_11comp_targetILNS1_3genE10ELNS1_11target_archE1200ELNS1_3gpuE4ELNS1_3repE0EEENS1_30default_config_static_selectorELNS0_4arch9wavefront6targetE1EEEvT1_
                                        ; -- End function
	.section	.AMDGPU.csdata,"",@progbits
; Kernel info:
; codeLenInByte = 0
; NumSgprs: 6
; NumVgprs: 0
; NumAgprs: 0
; TotalNumVgprs: 0
; ScratchSize: 0
; MemoryBound: 0
; FloatMode: 240
; IeeeMode: 1
; LDSByteSize: 0 bytes/workgroup (compile time only)
; SGPRBlocks: 0
; VGPRBlocks: 0
; NumSGPRsForWavesPerEU: 6
; NumVGPRsForWavesPerEU: 1
; AccumOffset: 4
; Occupancy: 8
; WaveLimiterHint : 0
; COMPUTE_PGM_RSRC2:SCRATCH_EN: 0
; COMPUTE_PGM_RSRC2:USER_SGPR: 2
; COMPUTE_PGM_RSRC2:TRAP_HANDLER: 0
; COMPUTE_PGM_RSRC2:TGID_X_EN: 1
; COMPUTE_PGM_RSRC2:TGID_Y_EN: 0
; COMPUTE_PGM_RSRC2:TGID_Z_EN: 0
; COMPUTE_PGM_RSRC2:TIDIG_COMP_CNT: 0
; COMPUTE_PGM_RSRC3_GFX90A:ACCUM_OFFSET: 0
; COMPUTE_PGM_RSRC3_GFX90A:TG_SPLIT: 0
	.section	.text._ZN7rocprim17ROCPRIM_400000_NS6detail17trampoline_kernelINS0_14default_configENS1_27scan_by_key_config_selectorIijEEZZNS1_16scan_by_key_implILNS1_25lookback_scan_determinismE0ELb0ES3_N6thrust23THRUST_200600_302600_NS6detail15normal_iteratorINS9_10device_ptrIiEEEENSB_INSC_IjEEEENSB_INSC_IfEEEEjNS9_4plusIvEENS9_8equal_toIvEEjEE10hipError_tPvRmT2_T3_T4_T5_mT6_T7_P12ihipStream_tbENKUlT_T0_E_clISt17integral_constantIbLb0EES13_EEDaSY_SZ_EUlSY_E_NS1_11comp_targetILNS1_3genE9ELNS1_11target_archE1100ELNS1_3gpuE3ELNS1_3repE0EEENS1_30default_config_static_selectorELNS0_4arch9wavefront6targetE1EEEvT1_,"axG",@progbits,_ZN7rocprim17ROCPRIM_400000_NS6detail17trampoline_kernelINS0_14default_configENS1_27scan_by_key_config_selectorIijEEZZNS1_16scan_by_key_implILNS1_25lookback_scan_determinismE0ELb0ES3_N6thrust23THRUST_200600_302600_NS6detail15normal_iteratorINS9_10device_ptrIiEEEENSB_INSC_IjEEEENSB_INSC_IfEEEEjNS9_4plusIvEENS9_8equal_toIvEEjEE10hipError_tPvRmT2_T3_T4_T5_mT6_T7_P12ihipStream_tbENKUlT_T0_E_clISt17integral_constantIbLb0EES13_EEDaSY_SZ_EUlSY_E_NS1_11comp_targetILNS1_3genE9ELNS1_11target_archE1100ELNS1_3gpuE3ELNS1_3repE0EEENS1_30default_config_static_selectorELNS0_4arch9wavefront6targetE1EEEvT1_,comdat
	.protected	_ZN7rocprim17ROCPRIM_400000_NS6detail17trampoline_kernelINS0_14default_configENS1_27scan_by_key_config_selectorIijEEZZNS1_16scan_by_key_implILNS1_25lookback_scan_determinismE0ELb0ES3_N6thrust23THRUST_200600_302600_NS6detail15normal_iteratorINS9_10device_ptrIiEEEENSB_INSC_IjEEEENSB_INSC_IfEEEEjNS9_4plusIvEENS9_8equal_toIvEEjEE10hipError_tPvRmT2_T3_T4_T5_mT6_T7_P12ihipStream_tbENKUlT_T0_E_clISt17integral_constantIbLb0EES13_EEDaSY_SZ_EUlSY_E_NS1_11comp_targetILNS1_3genE9ELNS1_11target_archE1100ELNS1_3gpuE3ELNS1_3repE0EEENS1_30default_config_static_selectorELNS0_4arch9wavefront6targetE1EEEvT1_ ; -- Begin function _ZN7rocprim17ROCPRIM_400000_NS6detail17trampoline_kernelINS0_14default_configENS1_27scan_by_key_config_selectorIijEEZZNS1_16scan_by_key_implILNS1_25lookback_scan_determinismE0ELb0ES3_N6thrust23THRUST_200600_302600_NS6detail15normal_iteratorINS9_10device_ptrIiEEEENSB_INSC_IjEEEENSB_INSC_IfEEEEjNS9_4plusIvEENS9_8equal_toIvEEjEE10hipError_tPvRmT2_T3_T4_T5_mT6_T7_P12ihipStream_tbENKUlT_T0_E_clISt17integral_constantIbLb0EES13_EEDaSY_SZ_EUlSY_E_NS1_11comp_targetILNS1_3genE9ELNS1_11target_archE1100ELNS1_3gpuE3ELNS1_3repE0EEENS1_30default_config_static_selectorELNS0_4arch9wavefront6targetE1EEEvT1_
	.globl	_ZN7rocprim17ROCPRIM_400000_NS6detail17trampoline_kernelINS0_14default_configENS1_27scan_by_key_config_selectorIijEEZZNS1_16scan_by_key_implILNS1_25lookback_scan_determinismE0ELb0ES3_N6thrust23THRUST_200600_302600_NS6detail15normal_iteratorINS9_10device_ptrIiEEEENSB_INSC_IjEEEENSB_INSC_IfEEEEjNS9_4plusIvEENS9_8equal_toIvEEjEE10hipError_tPvRmT2_T3_T4_T5_mT6_T7_P12ihipStream_tbENKUlT_T0_E_clISt17integral_constantIbLb0EES13_EEDaSY_SZ_EUlSY_E_NS1_11comp_targetILNS1_3genE9ELNS1_11target_archE1100ELNS1_3gpuE3ELNS1_3repE0EEENS1_30default_config_static_selectorELNS0_4arch9wavefront6targetE1EEEvT1_
	.p2align	8
	.type	_ZN7rocprim17ROCPRIM_400000_NS6detail17trampoline_kernelINS0_14default_configENS1_27scan_by_key_config_selectorIijEEZZNS1_16scan_by_key_implILNS1_25lookback_scan_determinismE0ELb0ES3_N6thrust23THRUST_200600_302600_NS6detail15normal_iteratorINS9_10device_ptrIiEEEENSB_INSC_IjEEEENSB_INSC_IfEEEEjNS9_4plusIvEENS9_8equal_toIvEEjEE10hipError_tPvRmT2_T3_T4_T5_mT6_T7_P12ihipStream_tbENKUlT_T0_E_clISt17integral_constantIbLb0EES13_EEDaSY_SZ_EUlSY_E_NS1_11comp_targetILNS1_3genE9ELNS1_11target_archE1100ELNS1_3gpuE3ELNS1_3repE0EEENS1_30default_config_static_selectorELNS0_4arch9wavefront6targetE1EEEvT1_,@function
_ZN7rocprim17ROCPRIM_400000_NS6detail17trampoline_kernelINS0_14default_configENS1_27scan_by_key_config_selectorIijEEZZNS1_16scan_by_key_implILNS1_25lookback_scan_determinismE0ELb0ES3_N6thrust23THRUST_200600_302600_NS6detail15normal_iteratorINS9_10device_ptrIiEEEENSB_INSC_IjEEEENSB_INSC_IfEEEEjNS9_4plusIvEENS9_8equal_toIvEEjEE10hipError_tPvRmT2_T3_T4_T5_mT6_T7_P12ihipStream_tbENKUlT_T0_E_clISt17integral_constantIbLb0EES13_EEDaSY_SZ_EUlSY_E_NS1_11comp_targetILNS1_3genE9ELNS1_11target_archE1100ELNS1_3gpuE3ELNS1_3repE0EEENS1_30default_config_static_selectorELNS0_4arch9wavefront6targetE1EEEvT1_: ; @_ZN7rocprim17ROCPRIM_400000_NS6detail17trampoline_kernelINS0_14default_configENS1_27scan_by_key_config_selectorIijEEZZNS1_16scan_by_key_implILNS1_25lookback_scan_determinismE0ELb0ES3_N6thrust23THRUST_200600_302600_NS6detail15normal_iteratorINS9_10device_ptrIiEEEENSB_INSC_IjEEEENSB_INSC_IfEEEEjNS9_4plusIvEENS9_8equal_toIvEEjEE10hipError_tPvRmT2_T3_T4_T5_mT6_T7_P12ihipStream_tbENKUlT_T0_E_clISt17integral_constantIbLb0EES13_EEDaSY_SZ_EUlSY_E_NS1_11comp_targetILNS1_3genE9ELNS1_11target_archE1100ELNS1_3gpuE3ELNS1_3repE0EEENS1_30default_config_static_selectorELNS0_4arch9wavefront6targetE1EEEvT1_
; %bb.0:
	.section	.rodata,"a",@progbits
	.p2align	6, 0x0
	.amdhsa_kernel _ZN7rocprim17ROCPRIM_400000_NS6detail17trampoline_kernelINS0_14default_configENS1_27scan_by_key_config_selectorIijEEZZNS1_16scan_by_key_implILNS1_25lookback_scan_determinismE0ELb0ES3_N6thrust23THRUST_200600_302600_NS6detail15normal_iteratorINS9_10device_ptrIiEEEENSB_INSC_IjEEEENSB_INSC_IfEEEEjNS9_4plusIvEENS9_8equal_toIvEEjEE10hipError_tPvRmT2_T3_T4_T5_mT6_T7_P12ihipStream_tbENKUlT_T0_E_clISt17integral_constantIbLb0EES13_EEDaSY_SZ_EUlSY_E_NS1_11comp_targetILNS1_3genE9ELNS1_11target_archE1100ELNS1_3gpuE3ELNS1_3repE0EEENS1_30default_config_static_selectorELNS0_4arch9wavefront6targetE1EEEvT1_
		.amdhsa_group_segment_fixed_size 0
		.amdhsa_private_segment_fixed_size 0
		.amdhsa_kernarg_size 112
		.amdhsa_user_sgpr_count 2
		.amdhsa_user_sgpr_dispatch_ptr 0
		.amdhsa_user_sgpr_queue_ptr 0
		.amdhsa_user_sgpr_kernarg_segment_ptr 1
		.amdhsa_user_sgpr_dispatch_id 0
		.amdhsa_user_sgpr_kernarg_preload_length 0
		.amdhsa_user_sgpr_kernarg_preload_offset 0
		.amdhsa_user_sgpr_private_segment_size 0
		.amdhsa_uses_dynamic_stack 0
		.amdhsa_enable_private_segment 0
		.amdhsa_system_sgpr_workgroup_id_x 1
		.amdhsa_system_sgpr_workgroup_id_y 0
		.amdhsa_system_sgpr_workgroup_id_z 0
		.amdhsa_system_sgpr_workgroup_info 0
		.amdhsa_system_vgpr_workitem_id 0
		.amdhsa_next_free_vgpr 1
		.amdhsa_next_free_sgpr 0
		.amdhsa_accum_offset 4
		.amdhsa_reserve_vcc 0
		.amdhsa_float_round_mode_32 0
		.amdhsa_float_round_mode_16_64 0
		.amdhsa_float_denorm_mode_32 3
		.amdhsa_float_denorm_mode_16_64 3
		.amdhsa_dx10_clamp 1
		.amdhsa_ieee_mode 1
		.amdhsa_fp16_overflow 0
		.amdhsa_tg_split 0
		.amdhsa_exception_fp_ieee_invalid_op 0
		.amdhsa_exception_fp_denorm_src 0
		.amdhsa_exception_fp_ieee_div_zero 0
		.amdhsa_exception_fp_ieee_overflow 0
		.amdhsa_exception_fp_ieee_underflow 0
		.amdhsa_exception_fp_ieee_inexact 0
		.amdhsa_exception_int_div_zero 0
	.end_amdhsa_kernel
	.section	.text._ZN7rocprim17ROCPRIM_400000_NS6detail17trampoline_kernelINS0_14default_configENS1_27scan_by_key_config_selectorIijEEZZNS1_16scan_by_key_implILNS1_25lookback_scan_determinismE0ELb0ES3_N6thrust23THRUST_200600_302600_NS6detail15normal_iteratorINS9_10device_ptrIiEEEENSB_INSC_IjEEEENSB_INSC_IfEEEEjNS9_4plusIvEENS9_8equal_toIvEEjEE10hipError_tPvRmT2_T3_T4_T5_mT6_T7_P12ihipStream_tbENKUlT_T0_E_clISt17integral_constantIbLb0EES13_EEDaSY_SZ_EUlSY_E_NS1_11comp_targetILNS1_3genE9ELNS1_11target_archE1100ELNS1_3gpuE3ELNS1_3repE0EEENS1_30default_config_static_selectorELNS0_4arch9wavefront6targetE1EEEvT1_,"axG",@progbits,_ZN7rocprim17ROCPRIM_400000_NS6detail17trampoline_kernelINS0_14default_configENS1_27scan_by_key_config_selectorIijEEZZNS1_16scan_by_key_implILNS1_25lookback_scan_determinismE0ELb0ES3_N6thrust23THRUST_200600_302600_NS6detail15normal_iteratorINS9_10device_ptrIiEEEENSB_INSC_IjEEEENSB_INSC_IfEEEEjNS9_4plusIvEENS9_8equal_toIvEEjEE10hipError_tPvRmT2_T3_T4_T5_mT6_T7_P12ihipStream_tbENKUlT_T0_E_clISt17integral_constantIbLb0EES13_EEDaSY_SZ_EUlSY_E_NS1_11comp_targetILNS1_3genE9ELNS1_11target_archE1100ELNS1_3gpuE3ELNS1_3repE0EEENS1_30default_config_static_selectorELNS0_4arch9wavefront6targetE1EEEvT1_,comdat
.Lfunc_end1651:
	.size	_ZN7rocprim17ROCPRIM_400000_NS6detail17trampoline_kernelINS0_14default_configENS1_27scan_by_key_config_selectorIijEEZZNS1_16scan_by_key_implILNS1_25lookback_scan_determinismE0ELb0ES3_N6thrust23THRUST_200600_302600_NS6detail15normal_iteratorINS9_10device_ptrIiEEEENSB_INSC_IjEEEENSB_INSC_IfEEEEjNS9_4plusIvEENS9_8equal_toIvEEjEE10hipError_tPvRmT2_T3_T4_T5_mT6_T7_P12ihipStream_tbENKUlT_T0_E_clISt17integral_constantIbLb0EES13_EEDaSY_SZ_EUlSY_E_NS1_11comp_targetILNS1_3genE9ELNS1_11target_archE1100ELNS1_3gpuE3ELNS1_3repE0EEENS1_30default_config_static_selectorELNS0_4arch9wavefront6targetE1EEEvT1_, .Lfunc_end1651-_ZN7rocprim17ROCPRIM_400000_NS6detail17trampoline_kernelINS0_14default_configENS1_27scan_by_key_config_selectorIijEEZZNS1_16scan_by_key_implILNS1_25lookback_scan_determinismE0ELb0ES3_N6thrust23THRUST_200600_302600_NS6detail15normal_iteratorINS9_10device_ptrIiEEEENSB_INSC_IjEEEENSB_INSC_IfEEEEjNS9_4plusIvEENS9_8equal_toIvEEjEE10hipError_tPvRmT2_T3_T4_T5_mT6_T7_P12ihipStream_tbENKUlT_T0_E_clISt17integral_constantIbLb0EES13_EEDaSY_SZ_EUlSY_E_NS1_11comp_targetILNS1_3genE9ELNS1_11target_archE1100ELNS1_3gpuE3ELNS1_3repE0EEENS1_30default_config_static_selectorELNS0_4arch9wavefront6targetE1EEEvT1_
                                        ; -- End function
	.section	.AMDGPU.csdata,"",@progbits
; Kernel info:
; codeLenInByte = 0
; NumSgprs: 6
; NumVgprs: 0
; NumAgprs: 0
; TotalNumVgprs: 0
; ScratchSize: 0
; MemoryBound: 0
; FloatMode: 240
; IeeeMode: 1
; LDSByteSize: 0 bytes/workgroup (compile time only)
; SGPRBlocks: 0
; VGPRBlocks: 0
; NumSGPRsForWavesPerEU: 6
; NumVGPRsForWavesPerEU: 1
; AccumOffset: 4
; Occupancy: 8
; WaveLimiterHint : 0
; COMPUTE_PGM_RSRC2:SCRATCH_EN: 0
; COMPUTE_PGM_RSRC2:USER_SGPR: 2
; COMPUTE_PGM_RSRC2:TRAP_HANDLER: 0
; COMPUTE_PGM_RSRC2:TGID_X_EN: 1
; COMPUTE_PGM_RSRC2:TGID_Y_EN: 0
; COMPUTE_PGM_RSRC2:TGID_Z_EN: 0
; COMPUTE_PGM_RSRC2:TIDIG_COMP_CNT: 0
; COMPUTE_PGM_RSRC3_GFX90A:ACCUM_OFFSET: 0
; COMPUTE_PGM_RSRC3_GFX90A:TG_SPLIT: 0
	.section	.text._ZN7rocprim17ROCPRIM_400000_NS6detail17trampoline_kernelINS0_14default_configENS1_27scan_by_key_config_selectorIijEEZZNS1_16scan_by_key_implILNS1_25lookback_scan_determinismE0ELb0ES3_N6thrust23THRUST_200600_302600_NS6detail15normal_iteratorINS9_10device_ptrIiEEEENSB_INSC_IjEEEENSB_INSC_IfEEEEjNS9_4plusIvEENS9_8equal_toIvEEjEE10hipError_tPvRmT2_T3_T4_T5_mT6_T7_P12ihipStream_tbENKUlT_T0_E_clISt17integral_constantIbLb0EES13_EEDaSY_SZ_EUlSY_E_NS1_11comp_targetILNS1_3genE8ELNS1_11target_archE1030ELNS1_3gpuE2ELNS1_3repE0EEENS1_30default_config_static_selectorELNS0_4arch9wavefront6targetE1EEEvT1_,"axG",@progbits,_ZN7rocprim17ROCPRIM_400000_NS6detail17trampoline_kernelINS0_14default_configENS1_27scan_by_key_config_selectorIijEEZZNS1_16scan_by_key_implILNS1_25lookback_scan_determinismE0ELb0ES3_N6thrust23THRUST_200600_302600_NS6detail15normal_iteratorINS9_10device_ptrIiEEEENSB_INSC_IjEEEENSB_INSC_IfEEEEjNS9_4plusIvEENS9_8equal_toIvEEjEE10hipError_tPvRmT2_T3_T4_T5_mT6_T7_P12ihipStream_tbENKUlT_T0_E_clISt17integral_constantIbLb0EES13_EEDaSY_SZ_EUlSY_E_NS1_11comp_targetILNS1_3genE8ELNS1_11target_archE1030ELNS1_3gpuE2ELNS1_3repE0EEENS1_30default_config_static_selectorELNS0_4arch9wavefront6targetE1EEEvT1_,comdat
	.protected	_ZN7rocprim17ROCPRIM_400000_NS6detail17trampoline_kernelINS0_14default_configENS1_27scan_by_key_config_selectorIijEEZZNS1_16scan_by_key_implILNS1_25lookback_scan_determinismE0ELb0ES3_N6thrust23THRUST_200600_302600_NS6detail15normal_iteratorINS9_10device_ptrIiEEEENSB_INSC_IjEEEENSB_INSC_IfEEEEjNS9_4plusIvEENS9_8equal_toIvEEjEE10hipError_tPvRmT2_T3_T4_T5_mT6_T7_P12ihipStream_tbENKUlT_T0_E_clISt17integral_constantIbLb0EES13_EEDaSY_SZ_EUlSY_E_NS1_11comp_targetILNS1_3genE8ELNS1_11target_archE1030ELNS1_3gpuE2ELNS1_3repE0EEENS1_30default_config_static_selectorELNS0_4arch9wavefront6targetE1EEEvT1_ ; -- Begin function _ZN7rocprim17ROCPRIM_400000_NS6detail17trampoline_kernelINS0_14default_configENS1_27scan_by_key_config_selectorIijEEZZNS1_16scan_by_key_implILNS1_25lookback_scan_determinismE0ELb0ES3_N6thrust23THRUST_200600_302600_NS6detail15normal_iteratorINS9_10device_ptrIiEEEENSB_INSC_IjEEEENSB_INSC_IfEEEEjNS9_4plusIvEENS9_8equal_toIvEEjEE10hipError_tPvRmT2_T3_T4_T5_mT6_T7_P12ihipStream_tbENKUlT_T0_E_clISt17integral_constantIbLb0EES13_EEDaSY_SZ_EUlSY_E_NS1_11comp_targetILNS1_3genE8ELNS1_11target_archE1030ELNS1_3gpuE2ELNS1_3repE0EEENS1_30default_config_static_selectorELNS0_4arch9wavefront6targetE1EEEvT1_
	.globl	_ZN7rocprim17ROCPRIM_400000_NS6detail17trampoline_kernelINS0_14default_configENS1_27scan_by_key_config_selectorIijEEZZNS1_16scan_by_key_implILNS1_25lookback_scan_determinismE0ELb0ES3_N6thrust23THRUST_200600_302600_NS6detail15normal_iteratorINS9_10device_ptrIiEEEENSB_INSC_IjEEEENSB_INSC_IfEEEEjNS9_4plusIvEENS9_8equal_toIvEEjEE10hipError_tPvRmT2_T3_T4_T5_mT6_T7_P12ihipStream_tbENKUlT_T0_E_clISt17integral_constantIbLb0EES13_EEDaSY_SZ_EUlSY_E_NS1_11comp_targetILNS1_3genE8ELNS1_11target_archE1030ELNS1_3gpuE2ELNS1_3repE0EEENS1_30default_config_static_selectorELNS0_4arch9wavefront6targetE1EEEvT1_
	.p2align	8
	.type	_ZN7rocprim17ROCPRIM_400000_NS6detail17trampoline_kernelINS0_14default_configENS1_27scan_by_key_config_selectorIijEEZZNS1_16scan_by_key_implILNS1_25lookback_scan_determinismE0ELb0ES3_N6thrust23THRUST_200600_302600_NS6detail15normal_iteratorINS9_10device_ptrIiEEEENSB_INSC_IjEEEENSB_INSC_IfEEEEjNS9_4plusIvEENS9_8equal_toIvEEjEE10hipError_tPvRmT2_T3_T4_T5_mT6_T7_P12ihipStream_tbENKUlT_T0_E_clISt17integral_constantIbLb0EES13_EEDaSY_SZ_EUlSY_E_NS1_11comp_targetILNS1_3genE8ELNS1_11target_archE1030ELNS1_3gpuE2ELNS1_3repE0EEENS1_30default_config_static_selectorELNS0_4arch9wavefront6targetE1EEEvT1_,@function
_ZN7rocprim17ROCPRIM_400000_NS6detail17trampoline_kernelINS0_14default_configENS1_27scan_by_key_config_selectorIijEEZZNS1_16scan_by_key_implILNS1_25lookback_scan_determinismE0ELb0ES3_N6thrust23THRUST_200600_302600_NS6detail15normal_iteratorINS9_10device_ptrIiEEEENSB_INSC_IjEEEENSB_INSC_IfEEEEjNS9_4plusIvEENS9_8equal_toIvEEjEE10hipError_tPvRmT2_T3_T4_T5_mT6_T7_P12ihipStream_tbENKUlT_T0_E_clISt17integral_constantIbLb0EES13_EEDaSY_SZ_EUlSY_E_NS1_11comp_targetILNS1_3genE8ELNS1_11target_archE1030ELNS1_3gpuE2ELNS1_3repE0EEENS1_30default_config_static_selectorELNS0_4arch9wavefront6targetE1EEEvT1_: ; @_ZN7rocprim17ROCPRIM_400000_NS6detail17trampoline_kernelINS0_14default_configENS1_27scan_by_key_config_selectorIijEEZZNS1_16scan_by_key_implILNS1_25lookback_scan_determinismE0ELb0ES3_N6thrust23THRUST_200600_302600_NS6detail15normal_iteratorINS9_10device_ptrIiEEEENSB_INSC_IjEEEENSB_INSC_IfEEEEjNS9_4plusIvEENS9_8equal_toIvEEjEE10hipError_tPvRmT2_T3_T4_T5_mT6_T7_P12ihipStream_tbENKUlT_T0_E_clISt17integral_constantIbLb0EES13_EEDaSY_SZ_EUlSY_E_NS1_11comp_targetILNS1_3genE8ELNS1_11target_archE1030ELNS1_3gpuE2ELNS1_3repE0EEENS1_30default_config_static_selectorELNS0_4arch9wavefront6targetE1EEEvT1_
; %bb.0:
	.section	.rodata,"a",@progbits
	.p2align	6, 0x0
	.amdhsa_kernel _ZN7rocprim17ROCPRIM_400000_NS6detail17trampoline_kernelINS0_14default_configENS1_27scan_by_key_config_selectorIijEEZZNS1_16scan_by_key_implILNS1_25lookback_scan_determinismE0ELb0ES3_N6thrust23THRUST_200600_302600_NS6detail15normal_iteratorINS9_10device_ptrIiEEEENSB_INSC_IjEEEENSB_INSC_IfEEEEjNS9_4plusIvEENS9_8equal_toIvEEjEE10hipError_tPvRmT2_T3_T4_T5_mT6_T7_P12ihipStream_tbENKUlT_T0_E_clISt17integral_constantIbLb0EES13_EEDaSY_SZ_EUlSY_E_NS1_11comp_targetILNS1_3genE8ELNS1_11target_archE1030ELNS1_3gpuE2ELNS1_3repE0EEENS1_30default_config_static_selectorELNS0_4arch9wavefront6targetE1EEEvT1_
		.amdhsa_group_segment_fixed_size 0
		.amdhsa_private_segment_fixed_size 0
		.amdhsa_kernarg_size 112
		.amdhsa_user_sgpr_count 2
		.amdhsa_user_sgpr_dispatch_ptr 0
		.amdhsa_user_sgpr_queue_ptr 0
		.amdhsa_user_sgpr_kernarg_segment_ptr 1
		.amdhsa_user_sgpr_dispatch_id 0
		.amdhsa_user_sgpr_kernarg_preload_length 0
		.amdhsa_user_sgpr_kernarg_preload_offset 0
		.amdhsa_user_sgpr_private_segment_size 0
		.amdhsa_uses_dynamic_stack 0
		.amdhsa_enable_private_segment 0
		.amdhsa_system_sgpr_workgroup_id_x 1
		.amdhsa_system_sgpr_workgroup_id_y 0
		.amdhsa_system_sgpr_workgroup_id_z 0
		.amdhsa_system_sgpr_workgroup_info 0
		.amdhsa_system_vgpr_workitem_id 0
		.amdhsa_next_free_vgpr 1
		.amdhsa_next_free_sgpr 0
		.amdhsa_accum_offset 4
		.amdhsa_reserve_vcc 0
		.amdhsa_float_round_mode_32 0
		.amdhsa_float_round_mode_16_64 0
		.amdhsa_float_denorm_mode_32 3
		.amdhsa_float_denorm_mode_16_64 3
		.amdhsa_dx10_clamp 1
		.amdhsa_ieee_mode 1
		.amdhsa_fp16_overflow 0
		.amdhsa_tg_split 0
		.amdhsa_exception_fp_ieee_invalid_op 0
		.amdhsa_exception_fp_denorm_src 0
		.amdhsa_exception_fp_ieee_div_zero 0
		.amdhsa_exception_fp_ieee_overflow 0
		.amdhsa_exception_fp_ieee_underflow 0
		.amdhsa_exception_fp_ieee_inexact 0
		.amdhsa_exception_int_div_zero 0
	.end_amdhsa_kernel
	.section	.text._ZN7rocprim17ROCPRIM_400000_NS6detail17trampoline_kernelINS0_14default_configENS1_27scan_by_key_config_selectorIijEEZZNS1_16scan_by_key_implILNS1_25lookback_scan_determinismE0ELb0ES3_N6thrust23THRUST_200600_302600_NS6detail15normal_iteratorINS9_10device_ptrIiEEEENSB_INSC_IjEEEENSB_INSC_IfEEEEjNS9_4plusIvEENS9_8equal_toIvEEjEE10hipError_tPvRmT2_T3_T4_T5_mT6_T7_P12ihipStream_tbENKUlT_T0_E_clISt17integral_constantIbLb0EES13_EEDaSY_SZ_EUlSY_E_NS1_11comp_targetILNS1_3genE8ELNS1_11target_archE1030ELNS1_3gpuE2ELNS1_3repE0EEENS1_30default_config_static_selectorELNS0_4arch9wavefront6targetE1EEEvT1_,"axG",@progbits,_ZN7rocprim17ROCPRIM_400000_NS6detail17trampoline_kernelINS0_14default_configENS1_27scan_by_key_config_selectorIijEEZZNS1_16scan_by_key_implILNS1_25lookback_scan_determinismE0ELb0ES3_N6thrust23THRUST_200600_302600_NS6detail15normal_iteratorINS9_10device_ptrIiEEEENSB_INSC_IjEEEENSB_INSC_IfEEEEjNS9_4plusIvEENS9_8equal_toIvEEjEE10hipError_tPvRmT2_T3_T4_T5_mT6_T7_P12ihipStream_tbENKUlT_T0_E_clISt17integral_constantIbLb0EES13_EEDaSY_SZ_EUlSY_E_NS1_11comp_targetILNS1_3genE8ELNS1_11target_archE1030ELNS1_3gpuE2ELNS1_3repE0EEENS1_30default_config_static_selectorELNS0_4arch9wavefront6targetE1EEEvT1_,comdat
.Lfunc_end1652:
	.size	_ZN7rocprim17ROCPRIM_400000_NS6detail17trampoline_kernelINS0_14default_configENS1_27scan_by_key_config_selectorIijEEZZNS1_16scan_by_key_implILNS1_25lookback_scan_determinismE0ELb0ES3_N6thrust23THRUST_200600_302600_NS6detail15normal_iteratorINS9_10device_ptrIiEEEENSB_INSC_IjEEEENSB_INSC_IfEEEEjNS9_4plusIvEENS9_8equal_toIvEEjEE10hipError_tPvRmT2_T3_T4_T5_mT6_T7_P12ihipStream_tbENKUlT_T0_E_clISt17integral_constantIbLb0EES13_EEDaSY_SZ_EUlSY_E_NS1_11comp_targetILNS1_3genE8ELNS1_11target_archE1030ELNS1_3gpuE2ELNS1_3repE0EEENS1_30default_config_static_selectorELNS0_4arch9wavefront6targetE1EEEvT1_, .Lfunc_end1652-_ZN7rocprim17ROCPRIM_400000_NS6detail17trampoline_kernelINS0_14default_configENS1_27scan_by_key_config_selectorIijEEZZNS1_16scan_by_key_implILNS1_25lookback_scan_determinismE0ELb0ES3_N6thrust23THRUST_200600_302600_NS6detail15normal_iteratorINS9_10device_ptrIiEEEENSB_INSC_IjEEEENSB_INSC_IfEEEEjNS9_4plusIvEENS9_8equal_toIvEEjEE10hipError_tPvRmT2_T3_T4_T5_mT6_T7_P12ihipStream_tbENKUlT_T0_E_clISt17integral_constantIbLb0EES13_EEDaSY_SZ_EUlSY_E_NS1_11comp_targetILNS1_3genE8ELNS1_11target_archE1030ELNS1_3gpuE2ELNS1_3repE0EEENS1_30default_config_static_selectorELNS0_4arch9wavefront6targetE1EEEvT1_
                                        ; -- End function
	.section	.AMDGPU.csdata,"",@progbits
; Kernel info:
; codeLenInByte = 0
; NumSgprs: 6
; NumVgprs: 0
; NumAgprs: 0
; TotalNumVgprs: 0
; ScratchSize: 0
; MemoryBound: 0
; FloatMode: 240
; IeeeMode: 1
; LDSByteSize: 0 bytes/workgroup (compile time only)
; SGPRBlocks: 0
; VGPRBlocks: 0
; NumSGPRsForWavesPerEU: 6
; NumVGPRsForWavesPerEU: 1
; AccumOffset: 4
; Occupancy: 8
; WaveLimiterHint : 0
; COMPUTE_PGM_RSRC2:SCRATCH_EN: 0
; COMPUTE_PGM_RSRC2:USER_SGPR: 2
; COMPUTE_PGM_RSRC2:TRAP_HANDLER: 0
; COMPUTE_PGM_RSRC2:TGID_X_EN: 1
; COMPUTE_PGM_RSRC2:TGID_Y_EN: 0
; COMPUTE_PGM_RSRC2:TGID_Z_EN: 0
; COMPUTE_PGM_RSRC2:TIDIG_COMP_CNT: 0
; COMPUTE_PGM_RSRC3_GFX90A:ACCUM_OFFSET: 0
; COMPUTE_PGM_RSRC3_GFX90A:TG_SPLIT: 0
	.section	.text._ZN7rocprim17ROCPRIM_400000_NS6detail17trampoline_kernelINS0_14default_configENS1_27scan_by_key_config_selectorIijEEZZNS1_16scan_by_key_implILNS1_25lookback_scan_determinismE0ELb0ES3_N6thrust23THRUST_200600_302600_NS6detail15normal_iteratorINS9_10device_ptrIiEEEENSB_INSC_IjEEEENSB_INSC_IfEEEEjNS9_4plusIvEENS9_8equal_toIvEEjEE10hipError_tPvRmT2_T3_T4_T5_mT6_T7_P12ihipStream_tbENKUlT_T0_E_clISt17integral_constantIbLb1EES13_EEDaSY_SZ_EUlSY_E_NS1_11comp_targetILNS1_3genE0ELNS1_11target_archE4294967295ELNS1_3gpuE0ELNS1_3repE0EEENS1_30default_config_static_selectorELNS0_4arch9wavefront6targetE1EEEvT1_,"axG",@progbits,_ZN7rocprim17ROCPRIM_400000_NS6detail17trampoline_kernelINS0_14default_configENS1_27scan_by_key_config_selectorIijEEZZNS1_16scan_by_key_implILNS1_25lookback_scan_determinismE0ELb0ES3_N6thrust23THRUST_200600_302600_NS6detail15normal_iteratorINS9_10device_ptrIiEEEENSB_INSC_IjEEEENSB_INSC_IfEEEEjNS9_4plusIvEENS9_8equal_toIvEEjEE10hipError_tPvRmT2_T3_T4_T5_mT6_T7_P12ihipStream_tbENKUlT_T0_E_clISt17integral_constantIbLb1EES13_EEDaSY_SZ_EUlSY_E_NS1_11comp_targetILNS1_3genE0ELNS1_11target_archE4294967295ELNS1_3gpuE0ELNS1_3repE0EEENS1_30default_config_static_selectorELNS0_4arch9wavefront6targetE1EEEvT1_,comdat
	.protected	_ZN7rocprim17ROCPRIM_400000_NS6detail17trampoline_kernelINS0_14default_configENS1_27scan_by_key_config_selectorIijEEZZNS1_16scan_by_key_implILNS1_25lookback_scan_determinismE0ELb0ES3_N6thrust23THRUST_200600_302600_NS6detail15normal_iteratorINS9_10device_ptrIiEEEENSB_INSC_IjEEEENSB_INSC_IfEEEEjNS9_4plusIvEENS9_8equal_toIvEEjEE10hipError_tPvRmT2_T3_T4_T5_mT6_T7_P12ihipStream_tbENKUlT_T0_E_clISt17integral_constantIbLb1EES13_EEDaSY_SZ_EUlSY_E_NS1_11comp_targetILNS1_3genE0ELNS1_11target_archE4294967295ELNS1_3gpuE0ELNS1_3repE0EEENS1_30default_config_static_selectorELNS0_4arch9wavefront6targetE1EEEvT1_ ; -- Begin function _ZN7rocprim17ROCPRIM_400000_NS6detail17trampoline_kernelINS0_14default_configENS1_27scan_by_key_config_selectorIijEEZZNS1_16scan_by_key_implILNS1_25lookback_scan_determinismE0ELb0ES3_N6thrust23THRUST_200600_302600_NS6detail15normal_iteratorINS9_10device_ptrIiEEEENSB_INSC_IjEEEENSB_INSC_IfEEEEjNS9_4plusIvEENS9_8equal_toIvEEjEE10hipError_tPvRmT2_T3_T4_T5_mT6_T7_P12ihipStream_tbENKUlT_T0_E_clISt17integral_constantIbLb1EES13_EEDaSY_SZ_EUlSY_E_NS1_11comp_targetILNS1_3genE0ELNS1_11target_archE4294967295ELNS1_3gpuE0ELNS1_3repE0EEENS1_30default_config_static_selectorELNS0_4arch9wavefront6targetE1EEEvT1_
	.globl	_ZN7rocprim17ROCPRIM_400000_NS6detail17trampoline_kernelINS0_14default_configENS1_27scan_by_key_config_selectorIijEEZZNS1_16scan_by_key_implILNS1_25lookback_scan_determinismE0ELb0ES3_N6thrust23THRUST_200600_302600_NS6detail15normal_iteratorINS9_10device_ptrIiEEEENSB_INSC_IjEEEENSB_INSC_IfEEEEjNS9_4plusIvEENS9_8equal_toIvEEjEE10hipError_tPvRmT2_T3_T4_T5_mT6_T7_P12ihipStream_tbENKUlT_T0_E_clISt17integral_constantIbLb1EES13_EEDaSY_SZ_EUlSY_E_NS1_11comp_targetILNS1_3genE0ELNS1_11target_archE4294967295ELNS1_3gpuE0ELNS1_3repE0EEENS1_30default_config_static_selectorELNS0_4arch9wavefront6targetE1EEEvT1_
	.p2align	8
	.type	_ZN7rocprim17ROCPRIM_400000_NS6detail17trampoline_kernelINS0_14default_configENS1_27scan_by_key_config_selectorIijEEZZNS1_16scan_by_key_implILNS1_25lookback_scan_determinismE0ELb0ES3_N6thrust23THRUST_200600_302600_NS6detail15normal_iteratorINS9_10device_ptrIiEEEENSB_INSC_IjEEEENSB_INSC_IfEEEEjNS9_4plusIvEENS9_8equal_toIvEEjEE10hipError_tPvRmT2_T3_T4_T5_mT6_T7_P12ihipStream_tbENKUlT_T0_E_clISt17integral_constantIbLb1EES13_EEDaSY_SZ_EUlSY_E_NS1_11comp_targetILNS1_3genE0ELNS1_11target_archE4294967295ELNS1_3gpuE0ELNS1_3repE0EEENS1_30default_config_static_selectorELNS0_4arch9wavefront6targetE1EEEvT1_,@function
_ZN7rocprim17ROCPRIM_400000_NS6detail17trampoline_kernelINS0_14default_configENS1_27scan_by_key_config_selectorIijEEZZNS1_16scan_by_key_implILNS1_25lookback_scan_determinismE0ELb0ES3_N6thrust23THRUST_200600_302600_NS6detail15normal_iteratorINS9_10device_ptrIiEEEENSB_INSC_IjEEEENSB_INSC_IfEEEEjNS9_4plusIvEENS9_8equal_toIvEEjEE10hipError_tPvRmT2_T3_T4_T5_mT6_T7_P12ihipStream_tbENKUlT_T0_E_clISt17integral_constantIbLb1EES13_EEDaSY_SZ_EUlSY_E_NS1_11comp_targetILNS1_3genE0ELNS1_11target_archE4294967295ELNS1_3gpuE0ELNS1_3repE0EEENS1_30default_config_static_selectorELNS0_4arch9wavefront6targetE1EEEvT1_: ; @_ZN7rocprim17ROCPRIM_400000_NS6detail17trampoline_kernelINS0_14default_configENS1_27scan_by_key_config_selectorIijEEZZNS1_16scan_by_key_implILNS1_25lookback_scan_determinismE0ELb0ES3_N6thrust23THRUST_200600_302600_NS6detail15normal_iteratorINS9_10device_ptrIiEEEENSB_INSC_IjEEEENSB_INSC_IfEEEEjNS9_4plusIvEENS9_8equal_toIvEEjEE10hipError_tPvRmT2_T3_T4_T5_mT6_T7_P12ihipStream_tbENKUlT_T0_E_clISt17integral_constantIbLb1EES13_EEDaSY_SZ_EUlSY_E_NS1_11comp_targetILNS1_3genE0ELNS1_11target_archE4294967295ELNS1_3gpuE0ELNS1_3repE0EEENS1_30default_config_static_selectorELNS0_4arch9wavefront6targetE1EEEvT1_
; %bb.0:
	.section	.rodata,"a",@progbits
	.p2align	6, 0x0
	.amdhsa_kernel _ZN7rocprim17ROCPRIM_400000_NS6detail17trampoline_kernelINS0_14default_configENS1_27scan_by_key_config_selectorIijEEZZNS1_16scan_by_key_implILNS1_25lookback_scan_determinismE0ELb0ES3_N6thrust23THRUST_200600_302600_NS6detail15normal_iteratorINS9_10device_ptrIiEEEENSB_INSC_IjEEEENSB_INSC_IfEEEEjNS9_4plusIvEENS9_8equal_toIvEEjEE10hipError_tPvRmT2_T3_T4_T5_mT6_T7_P12ihipStream_tbENKUlT_T0_E_clISt17integral_constantIbLb1EES13_EEDaSY_SZ_EUlSY_E_NS1_11comp_targetILNS1_3genE0ELNS1_11target_archE4294967295ELNS1_3gpuE0ELNS1_3repE0EEENS1_30default_config_static_selectorELNS0_4arch9wavefront6targetE1EEEvT1_
		.amdhsa_group_segment_fixed_size 0
		.amdhsa_private_segment_fixed_size 0
		.amdhsa_kernarg_size 112
		.amdhsa_user_sgpr_count 2
		.amdhsa_user_sgpr_dispatch_ptr 0
		.amdhsa_user_sgpr_queue_ptr 0
		.amdhsa_user_sgpr_kernarg_segment_ptr 1
		.amdhsa_user_sgpr_dispatch_id 0
		.amdhsa_user_sgpr_kernarg_preload_length 0
		.amdhsa_user_sgpr_kernarg_preload_offset 0
		.amdhsa_user_sgpr_private_segment_size 0
		.amdhsa_uses_dynamic_stack 0
		.amdhsa_enable_private_segment 0
		.amdhsa_system_sgpr_workgroup_id_x 1
		.amdhsa_system_sgpr_workgroup_id_y 0
		.amdhsa_system_sgpr_workgroup_id_z 0
		.amdhsa_system_sgpr_workgroup_info 0
		.amdhsa_system_vgpr_workitem_id 0
		.amdhsa_next_free_vgpr 1
		.amdhsa_next_free_sgpr 0
		.amdhsa_accum_offset 4
		.amdhsa_reserve_vcc 0
		.amdhsa_float_round_mode_32 0
		.amdhsa_float_round_mode_16_64 0
		.amdhsa_float_denorm_mode_32 3
		.amdhsa_float_denorm_mode_16_64 3
		.amdhsa_dx10_clamp 1
		.amdhsa_ieee_mode 1
		.amdhsa_fp16_overflow 0
		.amdhsa_tg_split 0
		.amdhsa_exception_fp_ieee_invalid_op 0
		.amdhsa_exception_fp_denorm_src 0
		.amdhsa_exception_fp_ieee_div_zero 0
		.amdhsa_exception_fp_ieee_overflow 0
		.amdhsa_exception_fp_ieee_underflow 0
		.amdhsa_exception_fp_ieee_inexact 0
		.amdhsa_exception_int_div_zero 0
	.end_amdhsa_kernel
	.section	.text._ZN7rocprim17ROCPRIM_400000_NS6detail17trampoline_kernelINS0_14default_configENS1_27scan_by_key_config_selectorIijEEZZNS1_16scan_by_key_implILNS1_25lookback_scan_determinismE0ELb0ES3_N6thrust23THRUST_200600_302600_NS6detail15normal_iteratorINS9_10device_ptrIiEEEENSB_INSC_IjEEEENSB_INSC_IfEEEEjNS9_4plusIvEENS9_8equal_toIvEEjEE10hipError_tPvRmT2_T3_T4_T5_mT6_T7_P12ihipStream_tbENKUlT_T0_E_clISt17integral_constantIbLb1EES13_EEDaSY_SZ_EUlSY_E_NS1_11comp_targetILNS1_3genE0ELNS1_11target_archE4294967295ELNS1_3gpuE0ELNS1_3repE0EEENS1_30default_config_static_selectorELNS0_4arch9wavefront6targetE1EEEvT1_,"axG",@progbits,_ZN7rocprim17ROCPRIM_400000_NS6detail17trampoline_kernelINS0_14default_configENS1_27scan_by_key_config_selectorIijEEZZNS1_16scan_by_key_implILNS1_25lookback_scan_determinismE0ELb0ES3_N6thrust23THRUST_200600_302600_NS6detail15normal_iteratorINS9_10device_ptrIiEEEENSB_INSC_IjEEEENSB_INSC_IfEEEEjNS9_4plusIvEENS9_8equal_toIvEEjEE10hipError_tPvRmT2_T3_T4_T5_mT6_T7_P12ihipStream_tbENKUlT_T0_E_clISt17integral_constantIbLb1EES13_EEDaSY_SZ_EUlSY_E_NS1_11comp_targetILNS1_3genE0ELNS1_11target_archE4294967295ELNS1_3gpuE0ELNS1_3repE0EEENS1_30default_config_static_selectorELNS0_4arch9wavefront6targetE1EEEvT1_,comdat
.Lfunc_end1653:
	.size	_ZN7rocprim17ROCPRIM_400000_NS6detail17trampoline_kernelINS0_14default_configENS1_27scan_by_key_config_selectorIijEEZZNS1_16scan_by_key_implILNS1_25lookback_scan_determinismE0ELb0ES3_N6thrust23THRUST_200600_302600_NS6detail15normal_iteratorINS9_10device_ptrIiEEEENSB_INSC_IjEEEENSB_INSC_IfEEEEjNS9_4plusIvEENS9_8equal_toIvEEjEE10hipError_tPvRmT2_T3_T4_T5_mT6_T7_P12ihipStream_tbENKUlT_T0_E_clISt17integral_constantIbLb1EES13_EEDaSY_SZ_EUlSY_E_NS1_11comp_targetILNS1_3genE0ELNS1_11target_archE4294967295ELNS1_3gpuE0ELNS1_3repE0EEENS1_30default_config_static_selectorELNS0_4arch9wavefront6targetE1EEEvT1_, .Lfunc_end1653-_ZN7rocprim17ROCPRIM_400000_NS6detail17trampoline_kernelINS0_14default_configENS1_27scan_by_key_config_selectorIijEEZZNS1_16scan_by_key_implILNS1_25lookback_scan_determinismE0ELb0ES3_N6thrust23THRUST_200600_302600_NS6detail15normal_iteratorINS9_10device_ptrIiEEEENSB_INSC_IjEEEENSB_INSC_IfEEEEjNS9_4plusIvEENS9_8equal_toIvEEjEE10hipError_tPvRmT2_T3_T4_T5_mT6_T7_P12ihipStream_tbENKUlT_T0_E_clISt17integral_constantIbLb1EES13_EEDaSY_SZ_EUlSY_E_NS1_11comp_targetILNS1_3genE0ELNS1_11target_archE4294967295ELNS1_3gpuE0ELNS1_3repE0EEENS1_30default_config_static_selectorELNS0_4arch9wavefront6targetE1EEEvT1_
                                        ; -- End function
	.section	.AMDGPU.csdata,"",@progbits
; Kernel info:
; codeLenInByte = 0
; NumSgprs: 6
; NumVgprs: 0
; NumAgprs: 0
; TotalNumVgprs: 0
; ScratchSize: 0
; MemoryBound: 0
; FloatMode: 240
; IeeeMode: 1
; LDSByteSize: 0 bytes/workgroup (compile time only)
; SGPRBlocks: 0
; VGPRBlocks: 0
; NumSGPRsForWavesPerEU: 6
; NumVGPRsForWavesPerEU: 1
; AccumOffset: 4
; Occupancy: 8
; WaveLimiterHint : 0
; COMPUTE_PGM_RSRC2:SCRATCH_EN: 0
; COMPUTE_PGM_RSRC2:USER_SGPR: 2
; COMPUTE_PGM_RSRC2:TRAP_HANDLER: 0
; COMPUTE_PGM_RSRC2:TGID_X_EN: 1
; COMPUTE_PGM_RSRC2:TGID_Y_EN: 0
; COMPUTE_PGM_RSRC2:TGID_Z_EN: 0
; COMPUTE_PGM_RSRC2:TIDIG_COMP_CNT: 0
; COMPUTE_PGM_RSRC3_GFX90A:ACCUM_OFFSET: 0
; COMPUTE_PGM_RSRC3_GFX90A:TG_SPLIT: 0
	.section	.text._ZN7rocprim17ROCPRIM_400000_NS6detail17trampoline_kernelINS0_14default_configENS1_27scan_by_key_config_selectorIijEEZZNS1_16scan_by_key_implILNS1_25lookback_scan_determinismE0ELb0ES3_N6thrust23THRUST_200600_302600_NS6detail15normal_iteratorINS9_10device_ptrIiEEEENSB_INSC_IjEEEENSB_INSC_IfEEEEjNS9_4plusIvEENS9_8equal_toIvEEjEE10hipError_tPvRmT2_T3_T4_T5_mT6_T7_P12ihipStream_tbENKUlT_T0_E_clISt17integral_constantIbLb1EES13_EEDaSY_SZ_EUlSY_E_NS1_11comp_targetILNS1_3genE10ELNS1_11target_archE1201ELNS1_3gpuE5ELNS1_3repE0EEENS1_30default_config_static_selectorELNS0_4arch9wavefront6targetE1EEEvT1_,"axG",@progbits,_ZN7rocprim17ROCPRIM_400000_NS6detail17trampoline_kernelINS0_14default_configENS1_27scan_by_key_config_selectorIijEEZZNS1_16scan_by_key_implILNS1_25lookback_scan_determinismE0ELb0ES3_N6thrust23THRUST_200600_302600_NS6detail15normal_iteratorINS9_10device_ptrIiEEEENSB_INSC_IjEEEENSB_INSC_IfEEEEjNS9_4plusIvEENS9_8equal_toIvEEjEE10hipError_tPvRmT2_T3_T4_T5_mT6_T7_P12ihipStream_tbENKUlT_T0_E_clISt17integral_constantIbLb1EES13_EEDaSY_SZ_EUlSY_E_NS1_11comp_targetILNS1_3genE10ELNS1_11target_archE1201ELNS1_3gpuE5ELNS1_3repE0EEENS1_30default_config_static_selectorELNS0_4arch9wavefront6targetE1EEEvT1_,comdat
	.protected	_ZN7rocprim17ROCPRIM_400000_NS6detail17trampoline_kernelINS0_14default_configENS1_27scan_by_key_config_selectorIijEEZZNS1_16scan_by_key_implILNS1_25lookback_scan_determinismE0ELb0ES3_N6thrust23THRUST_200600_302600_NS6detail15normal_iteratorINS9_10device_ptrIiEEEENSB_INSC_IjEEEENSB_INSC_IfEEEEjNS9_4plusIvEENS9_8equal_toIvEEjEE10hipError_tPvRmT2_T3_T4_T5_mT6_T7_P12ihipStream_tbENKUlT_T0_E_clISt17integral_constantIbLb1EES13_EEDaSY_SZ_EUlSY_E_NS1_11comp_targetILNS1_3genE10ELNS1_11target_archE1201ELNS1_3gpuE5ELNS1_3repE0EEENS1_30default_config_static_selectorELNS0_4arch9wavefront6targetE1EEEvT1_ ; -- Begin function _ZN7rocprim17ROCPRIM_400000_NS6detail17trampoline_kernelINS0_14default_configENS1_27scan_by_key_config_selectorIijEEZZNS1_16scan_by_key_implILNS1_25lookback_scan_determinismE0ELb0ES3_N6thrust23THRUST_200600_302600_NS6detail15normal_iteratorINS9_10device_ptrIiEEEENSB_INSC_IjEEEENSB_INSC_IfEEEEjNS9_4plusIvEENS9_8equal_toIvEEjEE10hipError_tPvRmT2_T3_T4_T5_mT6_T7_P12ihipStream_tbENKUlT_T0_E_clISt17integral_constantIbLb1EES13_EEDaSY_SZ_EUlSY_E_NS1_11comp_targetILNS1_3genE10ELNS1_11target_archE1201ELNS1_3gpuE5ELNS1_3repE0EEENS1_30default_config_static_selectorELNS0_4arch9wavefront6targetE1EEEvT1_
	.globl	_ZN7rocprim17ROCPRIM_400000_NS6detail17trampoline_kernelINS0_14default_configENS1_27scan_by_key_config_selectorIijEEZZNS1_16scan_by_key_implILNS1_25lookback_scan_determinismE0ELb0ES3_N6thrust23THRUST_200600_302600_NS6detail15normal_iteratorINS9_10device_ptrIiEEEENSB_INSC_IjEEEENSB_INSC_IfEEEEjNS9_4plusIvEENS9_8equal_toIvEEjEE10hipError_tPvRmT2_T3_T4_T5_mT6_T7_P12ihipStream_tbENKUlT_T0_E_clISt17integral_constantIbLb1EES13_EEDaSY_SZ_EUlSY_E_NS1_11comp_targetILNS1_3genE10ELNS1_11target_archE1201ELNS1_3gpuE5ELNS1_3repE0EEENS1_30default_config_static_selectorELNS0_4arch9wavefront6targetE1EEEvT1_
	.p2align	8
	.type	_ZN7rocprim17ROCPRIM_400000_NS6detail17trampoline_kernelINS0_14default_configENS1_27scan_by_key_config_selectorIijEEZZNS1_16scan_by_key_implILNS1_25lookback_scan_determinismE0ELb0ES3_N6thrust23THRUST_200600_302600_NS6detail15normal_iteratorINS9_10device_ptrIiEEEENSB_INSC_IjEEEENSB_INSC_IfEEEEjNS9_4plusIvEENS9_8equal_toIvEEjEE10hipError_tPvRmT2_T3_T4_T5_mT6_T7_P12ihipStream_tbENKUlT_T0_E_clISt17integral_constantIbLb1EES13_EEDaSY_SZ_EUlSY_E_NS1_11comp_targetILNS1_3genE10ELNS1_11target_archE1201ELNS1_3gpuE5ELNS1_3repE0EEENS1_30default_config_static_selectorELNS0_4arch9wavefront6targetE1EEEvT1_,@function
_ZN7rocprim17ROCPRIM_400000_NS6detail17trampoline_kernelINS0_14default_configENS1_27scan_by_key_config_selectorIijEEZZNS1_16scan_by_key_implILNS1_25lookback_scan_determinismE0ELb0ES3_N6thrust23THRUST_200600_302600_NS6detail15normal_iteratorINS9_10device_ptrIiEEEENSB_INSC_IjEEEENSB_INSC_IfEEEEjNS9_4plusIvEENS9_8equal_toIvEEjEE10hipError_tPvRmT2_T3_T4_T5_mT6_T7_P12ihipStream_tbENKUlT_T0_E_clISt17integral_constantIbLb1EES13_EEDaSY_SZ_EUlSY_E_NS1_11comp_targetILNS1_3genE10ELNS1_11target_archE1201ELNS1_3gpuE5ELNS1_3repE0EEENS1_30default_config_static_selectorELNS0_4arch9wavefront6targetE1EEEvT1_: ; @_ZN7rocprim17ROCPRIM_400000_NS6detail17trampoline_kernelINS0_14default_configENS1_27scan_by_key_config_selectorIijEEZZNS1_16scan_by_key_implILNS1_25lookback_scan_determinismE0ELb0ES3_N6thrust23THRUST_200600_302600_NS6detail15normal_iteratorINS9_10device_ptrIiEEEENSB_INSC_IjEEEENSB_INSC_IfEEEEjNS9_4plusIvEENS9_8equal_toIvEEjEE10hipError_tPvRmT2_T3_T4_T5_mT6_T7_P12ihipStream_tbENKUlT_T0_E_clISt17integral_constantIbLb1EES13_EEDaSY_SZ_EUlSY_E_NS1_11comp_targetILNS1_3genE10ELNS1_11target_archE1201ELNS1_3gpuE5ELNS1_3repE0EEENS1_30default_config_static_selectorELNS0_4arch9wavefront6targetE1EEEvT1_
; %bb.0:
	.section	.rodata,"a",@progbits
	.p2align	6, 0x0
	.amdhsa_kernel _ZN7rocprim17ROCPRIM_400000_NS6detail17trampoline_kernelINS0_14default_configENS1_27scan_by_key_config_selectorIijEEZZNS1_16scan_by_key_implILNS1_25lookback_scan_determinismE0ELb0ES3_N6thrust23THRUST_200600_302600_NS6detail15normal_iteratorINS9_10device_ptrIiEEEENSB_INSC_IjEEEENSB_INSC_IfEEEEjNS9_4plusIvEENS9_8equal_toIvEEjEE10hipError_tPvRmT2_T3_T4_T5_mT6_T7_P12ihipStream_tbENKUlT_T0_E_clISt17integral_constantIbLb1EES13_EEDaSY_SZ_EUlSY_E_NS1_11comp_targetILNS1_3genE10ELNS1_11target_archE1201ELNS1_3gpuE5ELNS1_3repE0EEENS1_30default_config_static_selectorELNS0_4arch9wavefront6targetE1EEEvT1_
		.amdhsa_group_segment_fixed_size 0
		.amdhsa_private_segment_fixed_size 0
		.amdhsa_kernarg_size 112
		.amdhsa_user_sgpr_count 2
		.amdhsa_user_sgpr_dispatch_ptr 0
		.amdhsa_user_sgpr_queue_ptr 0
		.amdhsa_user_sgpr_kernarg_segment_ptr 1
		.amdhsa_user_sgpr_dispatch_id 0
		.amdhsa_user_sgpr_kernarg_preload_length 0
		.amdhsa_user_sgpr_kernarg_preload_offset 0
		.amdhsa_user_sgpr_private_segment_size 0
		.amdhsa_uses_dynamic_stack 0
		.amdhsa_enable_private_segment 0
		.amdhsa_system_sgpr_workgroup_id_x 1
		.amdhsa_system_sgpr_workgroup_id_y 0
		.amdhsa_system_sgpr_workgroup_id_z 0
		.amdhsa_system_sgpr_workgroup_info 0
		.amdhsa_system_vgpr_workitem_id 0
		.amdhsa_next_free_vgpr 1
		.amdhsa_next_free_sgpr 0
		.amdhsa_accum_offset 4
		.amdhsa_reserve_vcc 0
		.amdhsa_float_round_mode_32 0
		.amdhsa_float_round_mode_16_64 0
		.amdhsa_float_denorm_mode_32 3
		.amdhsa_float_denorm_mode_16_64 3
		.amdhsa_dx10_clamp 1
		.amdhsa_ieee_mode 1
		.amdhsa_fp16_overflow 0
		.amdhsa_tg_split 0
		.amdhsa_exception_fp_ieee_invalid_op 0
		.amdhsa_exception_fp_denorm_src 0
		.amdhsa_exception_fp_ieee_div_zero 0
		.amdhsa_exception_fp_ieee_overflow 0
		.amdhsa_exception_fp_ieee_underflow 0
		.amdhsa_exception_fp_ieee_inexact 0
		.amdhsa_exception_int_div_zero 0
	.end_amdhsa_kernel
	.section	.text._ZN7rocprim17ROCPRIM_400000_NS6detail17trampoline_kernelINS0_14default_configENS1_27scan_by_key_config_selectorIijEEZZNS1_16scan_by_key_implILNS1_25lookback_scan_determinismE0ELb0ES3_N6thrust23THRUST_200600_302600_NS6detail15normal_iteratorINS9_10device_ptrIiEEEENSB_INSC_IjEEEENSB_INSC_IfEEEEjNS9_4plusIvEENS9_8equal_toIvEEjEE10hipError_tPvRmT2_T3_T4_T5_mT6_T7_P12ihipStream_tbENKUlT_T0_E_clISt17integral_constantIbLb1EES13_EEDaSY_SZ_EUlSY_E_NS1_11comp_targetILNS1_3genE10ELNS1_11target_archE1201ELNS1_3gpuE5ELNS1_3repE0EEENS1_30default_config_static_selectorELNS0_4arch9wavefront6targetE1EEEvT1_,"axG",@progbits,_ZN7rocprim17ROCPRIM_400000_NS6detail17trampoline_kernelINS0_14default_configENS1_27scan_by_key_config_selectorIijEEZZNS1_16scan_by_key_implILNS1_25lookback_scan_determinismE0ELb0ES3_N6thrust23THRUST_200600_302600_NS6detail15normal_iteratorINS9_10device_ptrIiEEEENSB_INSC_IjEEEENSB_INSC_IfEEEEjNS9_4plusIvEENS9_8equal_toIvEEjEE10hipError_tPvRmT2_T3_T4_T5_mT6_T7_P12ihipStream_tbENKUlT_T0_E_clISt17integral_constantIbLb1EES13_EEDaSY_SZ_EUlSY_E_NS1_11comp_targetILNS1_3genE10ELNS1_11target_archE1201ELNS1_3gpuE5ELNS1_3repE0EEENS1_30default_config_static_selectorELNS0_4arch9wavefront6targetE1EEEvT1_,comdat
.Lfunc_end1654:
	.size	_ZN7rocprim17ROCPRIM_400000_NS6detail17trampoline_kernelINS0_14default_configENS1_27scan_by_key_config_selectorIijEEZZNS1_16scan_by_key_implILNS1_25lookback_scan_determinismE0ELb0ES3_N6thrust23THRUST_200600_302600_NS6detail15normal_iteratorINS9_10device_ptrIiEEEENSB_INSC_IjEEEENSB_INSC_IfEEEEjNS9_4plusIvEENS9_8equal_toIvEEjEE10hipError_tPvRmT2_T3_T4_T5_mT6_T7_P12ihipStream_tbENKUlT_T0_E_clISt17integral_constantIbLb1EES13_EEDaSY_SZ_EUlSY_E_NS1_11comp_targetILNS1_3genE10ELNS1_11target_archE1201ELNS1_3gpuE5ELNS1_3repE0EEENS1_30default_config_static_selectorELNS0_4arch9wavefront6targetE1EEEvT1_, .Lfunc_end1654-_ZN7rocprim17ROCPRIM_400000_NS6detail17trampoline_kernelINS0_14default_configENS1_27scan_by_key_config_selectorIijEEZZNS1_16scan_by_key_implILNS1_25lookback_scan_determinismE0ELb0ES3_N6thrust23THRUST_200600_302600_NS6detail15normal_iteratorINS9_10device_ptrIiEEEENSB_INSC_IjEEEENSB_INSC_IfEEEEjNS9_4plusIvEENS9_8equal_toIvEEjEE10hipError_tPvRmT2_T3_T4_T5_mT6_T7_P12ihipStream_tbENKUlT_T0_E_clISt17integral_constantIbLb1EES13_EEDaSY_SZ_EUlSY_E_NS1_11comp_targetILNS1_3genE10ELNS1_11target_archE1201ELNS1_3gpuE5ELNS1_3repE0EEENS1_30default_config_static_selectorELNS0_4arch9wavefront6targetE1EEEvT1_
                                        ; -- End function
	.section	.AMDGPU.csdata,"",@progbits
; Kernel info:
; codeLenInByte = 0
; NumSgprs: 6
; NumVgprs: 0
; NumAgprs: 0
; TotalNumVgprs: 0
; ScratchSize: 0
; MemoryBound: 0
; FloatMode: 240
; IeeeMode: 1
; LDSByteSize: 0 bytes/workgroup (compile time only)
; SGPRBlocks: 0
; VGPRBlocks: 0
; NumSGPRsForWavesPerEU: 6
; NumVGPRsForWavesPerEU: 1
; AccumOffset: 4
; Occupancy: 8
; WaveLimiterHint : 0
; COMPUTE_PGM_RSRC2:SCRATCH_EN: 0
; COMPUTE_PGM_RSRC2:USER_SGPR: 2
; COMPUTE_PGM_RSRC2:TRAP_HANDLER: 0
; COMPUTE_PGM_RSRC2:TGID_X_EN: 1
; COMPUTE_PGM_RSRC2:TGID_Y_EN: 0
; COMPUTE_PGM_RSRC2:TGID_Z_EN: 0
; COMPUTE_PGM_RSRC2:TIDIG_COMP_CNT: 0
; COMPUTE_PGM_RSRC3_GFX90A:ACCUM_OFFSET: 0
; COMPUTE_PGM_RSRC3_GFX90A:TG_SPLIT: 0
	.section	.text._ZN7rocprim17ROCPRIM_400000_NS6detail17trampoline_kernelINS0_14default_configENS1_27scan_by_key_config_selectorIijEEZZNS1_16scan_by_key_implILNS1_25lookback_scan_determinismE0ELb0ES3_N6thrust23THRUST_200600_302600_NS6detail15normal_iteratorINS9_10device_ptrIiEEEENSB_INSC_IjEEEENSB_INSC_IfEEEEjNS9_4plusIvEENS9_8equal_toIvEEjEE10hipError_tPvRmT2_T3_T4_T5_mT6_T7_P12ihipStream_tbENKUlT_T0_E_clISt17integral_constantIbLb1EES13_EEDaSY_SZ_EUlSY_E_NS1_11comp_targetILNS1_3genE5ELNS1_11target_archE942ELNS1_3gpuE9ELNS1_3repE0EEENS1_30default_config_static_selectorELNS0_4arch9wavefront6targetE1EEEvT1_,"axG",@progbits,_ZN7rocprim17ROCPRIM_400000_NS6detail17trampoline_kernelINS0_14default_configENS1_27scan_by_key_config_selectorIijEEZZNS1_16scan_by_key_implILNS1_25lookback_scan_determinismE0ELb0ES3_N6thrust23THRUST_200600_302600_NS6detail15normal_iteratorINS9_10device_ptrIiEEEENSB_INSC_IjEEEENSB_INSC_IfEEEEjNS9_4plusIvEENS9_8equal_toIvEEjEE10hipError_tPvRmT2_T3_T4_T5_mT6_T7_P12ihipStream_tbENKUlT_T0_E_clISt17integral_constantIbLb1EES13_EEDaSY_SZ_EUlSY_E_NS1_11comp_targetILNS1_3genE5ELNS1_11target_archE942ELNS1_3gpuE9ELNS1_3repE0EEENS1_30default_config_static_selectorELNS0_4arch9wavefront6targetE1EEEvT1_,comdat
	.protected	_ZN7rocprim17ROCPRIM_400000_NS6detail17trampoline_kernelINS0_14default_configENS1_27scan_by_key_config_selectorIijEEZZNS1_16scan_by_key_implILNS1_25lookback_scan_determinismE0ELb0ES3_N6thrust23THRUST_200600_302600_NS6detail15normal_iteratorINS9_10device_ptrIiEEEENSB_INSC_IjEEEENSB_INSC_IfEEEEjNS9_4plusIvEENS9_8equal_toIvEEjEE10hipError_tPvRmT2_T3_T4_T5_mT6_T7_P12ihipStream_tbENKUlT_T0_E_clISt17integral_constantIbLb1EES13_EEDaSY_SZ_EUlSY_E_NS1_11comp_targetILNS1_3genE5ELNS1_11target_archE942ELNS1_3gpuE9ELNS1_3repE0EEENS1_30default_config_static_selectorELNS0_4arch9wavefront6targetE1EEEvT1_ ; -- Begin function _ZN7rocprim17ROCPRIM_400000_NS6detail17trampoline_kernelINS0_14default_configENS1_27scan_by_key_config_selectorIijEEZZNS1_16scan_by_key_implILNS1_25lookback_scan_determinismE0ELb0ES3_N6thrust23THRUST_200600_302600_NS6detail15normal_iteratorINS9_10device_ptrIiEEEENSB_INSC_IjEEEENSB_INSC_IfEEEEjNS9_4plusIvEENS9_8equal_toIvEEjEE10hipError_tPvRmT2_T3_T4_T5_mT6_T7_P12ihipStream_tbENKUlT_T0_E_clISt17integral_constantIbLb1EES13_EEDaSY_SZ_EUlSY_E_NS1_11comp_targetILNS1_3genE5ELNS1_11target_archE942ELNS1_3gpuE9ELNS1_3repE0EEENS1_30default_config_static_selectorELNS0_4arch9wavefront6targetE1EEEvT1_
	.globl	_ZN7rocprim17ROCPRIM_400000_NS6detail17trampoline_kernelINS0_14default_configENS1_27scan_by_key_config_selectorIijEEZZNS1_16scan_by_key_implILNS1_25lookback_scan_determinismE0ELb0ES3_N6thrust23THRUST_200600_302600_NS6detail15normal_iteratorINS9_10device_ptrIiEEEENSB_INSC_IjEEEENSB_INSC_IfEEEEjNS9_4plusIvEENS9_8equal_toIvEEjEE10hipError_tPvRmT2_T3_T4_T5_mT6_T7_P12ihipStream_tbENKUlT_T0_E_clISt17integral_constantIbLb1EES13_EEDaSY_SZ_EUlSY_E_NS1_11comp_targetILNS1_3genE5ELNS1_11target_archE942ELNS1_3gpuE9ELNS1_3repE0EEENS1_30default_config_static_selectorELNS0_4arch9wavefront6targetE1EEEvT1_
	.p2align	8
	.type	_ZN7rocprim17ROCPRIM_400000_NS6detail17trampoline_kernelINS0_14default_configENS1_27scan_by_key_config_selectorIijEEZZNS1_16scan_by_key_implILNS1_25lookback_scan_determinismE0ELb0ES3_N6thrust23THRUST_200600_302600_NS6detail15normal_iteratorINS9_10device_ptrIiEEEENSB_INSC_IjEEEENSB_INSC_IfEEEEjNS9_4plusIvEENS9_8equal_toIvEEjEE10hipError_tPvRmT2_T3_T4_T5_mT6_T7_P12ihipStream_tbENKUlT_T0_E_clISt17integral_constantIbLb1EES13_EEDaSY_SZ_EUlSY_E_NS1_11comp_targetILNS1_3genE5ELNS1_11target_archE942ELNS1_3gpuE9ELNS1_3repE0EEENS1_30default_config_static_selectorELNS0_4arch9wavefront6targetE1EEEvT1_,@function
_ZN7rocprim17ROCPRIM_400000_NS6detail17trampoline_kernelINS0_14default_configENS1_27scan_by_key_config_selectorIijEEZZNS1_16scan_by_key_implILNS1_25lookback_scan_determinismE0ELb0ES3_N6thrust23THRUST_200600_302600_NS6detail15normal_iteratorINS9_10device_ptrIiEEEENSB_INSC_IjEEEENSB_INSC_IfEEEEjNS9_4plusIvEENS9_8equal_toIvEEjEE10hipError_tPvRmT2_T3_T4_T5_mT6_T7_P12ihipStream_tbENKUlT_T0_E_clISt17integral_constantIbLb1EES13_EEDaSY_SZ_EUlSY_E_NS1_11comp_targetILNS1_3genE5ELNS1_11target_archE942ELNS1_3gpuE9ELNS1_3repE0EEENS1_30default_config_static_selectorELNS0_4arch9wavefront6targetE1EEEvT1_: ; @_ZN7rocprim17ROCPRIM_400000_NS6detail17trampoline_kernelINS0_14default_configENS1_27scan_by_key_config_selectorIijEEZZNS1_16scan_by_key_implILNS1_25lookback_scan_determinismE0ELb0ES3_N6thrust23THRUST_200600_302600_NS6detail15normal_iteratorINS9_10device_ptrIiEEEENSB_INSC_IjEEEENSB_INSC_IfEEEEjNS9_4plusIvEENS9_8equal_toIvEEjEE10hipError_tPvRmT2_T3_T4_T5_mT6_T7_P12ihipStream_tbENKUlT_T0_E_clISt17integral_constantIbLb1EES13_EEDaSY_SZ_EUlSY_E_NS1_11comp_targetILNS1_3genE5ELNS1_11target_archE942ELNS1_3gpuE9ELNS1_3repE0EEENS1_30default_config_static_selectorELNS0_4arch9wavefront6targetE1EEEvT1_
; %bb.0:
	s_load_dwordx4 s[72:75], s[0:1], 0x28
	s_load_dwordx2 s[76:77], s[0:1], 0x38
	v_cmp_ne_u32_e64 s[4:5], 0, v0
	v_cmp_eq_u32_e64 s[54:55], 0, v0
	s_and_saveexec_b64 s[2:3], s[54:55]
	s_cbranch_execz .LBB1655_4
; %bb.1:
	s_mov_b64 s[8:9], exec
	v_mbcnt_lo_u32_b32 v1, s8, 0
	v_mbcnt_hi_u32_b32 v1, s9, v1
	v_cmp_eq_u32_e32 vcc, 0, v1
                                        ; implicit-def: $vgpr2
	s_and_saveexec_b64 s[6:7], vcc
	s_cbranch_execz .LBB1655_3
; %bb.2:
	s_load_dwordx2 s[10:11], s[0:1], 0x68
	s_bcnt1_i32_b64 s8, s[8:9]
	v_mov_b32_e32 v2, 0
	v_mov_b32_e32 v3, s8
	s_waitcnt lgkmcnt(0)
	global_atomic_add v2, v2, v3, s[10:11] sc0
.LBB1655_3:
	s_or_b64 exec, exec, s[6:7]
	s_waitcnt vmcnt(0)
	v_readfirstlane_b32 s6, v2
	v_mov_b32_e32 v2, 0
	s_nop 0
	v_add_u32_e32 v1, s6, v1
	ds_write_b32 v2, v1
.LBB1655_4:
	s_or_b64 exec, exec, s[2:3]
	s_load_dwordx8 s[56:63], s[0:1], 0x0
	s_load_dword s2, s[0:1], 0x40
	s_load_dwordx8 s[64:71], s[0:1], 0x48
	v_mov_b32_e32 v1, 0
	s_waitcnt lgkmcnt(0)
	s_barrier
	ds_read_b32 v1, v1
	s_lshl_b64 s[58:59], s[58:59], 2
	s_add_u32 s3, s56, s58
	s_addc_u32 s6, s57, s59
	s_add_u32 s7, s60, s58
	s_mul_i32 s0, s77, s2
	s_mul_hi_u32 s1, s76, s2
	s_addc_u32 s8, s61, s59
	s_add_i32 s9, s1, s0
	s_waitcnt lgkmcnt(0)
	v_readfirstlane_b32 s75, v1
	s_cmp_lg_u64 s[68:69], 0
	s_mov_b32 s1, 0
	s_mul_i32 s0, s75, 0x1700
	s_cselect_b64 s[78:79], -1, 0
	s_lshl_b64 s[56:57], s[0:1], 2
	s_add_u32 s68, s3, s56
	s_addc_u32 s69, s6, s57
	s_add_u32 s60, s7, s56
	s_mul_i32 s2, s76, s2
	s_addc_u32 s61, s8, s57
	s_add_u32 s80, s2, s75
	s_addc_u32 s81, s9, 0
	s_add_u32 s0, s64, -1
	s_addc_u32 s1, s65, -1
	v_mov_b64_e32 v[2:3], s[0:1]
	v_cmp_ge_u64_e64 s[2:3], s[80:81], v[2:3]
	s_mov_b64 s[10:11], 0
	s_mov_b64 s[6:7], -1
	s_and_b64 vcc, exec, s[2:3]
	s_mul_i32 s33, s0, 0xffffe900
	s_barrier
	s_barrier
	s_cbranch_vccz .LBB1655_126
; %bb.5:
	v_mov_b64_e32 v[2:3], s[68:69]
	flat_load_dword v1, v[2:3]
	s_add_i32 s84, s33, s74
	v_cmp_gt_u32_e64 s[6:7], s84, v0
	s_waitcnt vmcnt(0) lgkmcnt(0)
	v_mov_b32_e32 v3, v1
	s_and_saveexec_b64 s[0:1], s[6:7]
	s_cbranch_execz .LBB1655_7
; %bb.6:
	v_lshlrev_b32_e32 v2, 2, v0
	v_mov_b32_e32 v3, 0
	v_lshl_add_u64 v[2:3], s[68:69], 0, v[2:3]
	flat_load_dword v3, v[2:3]
.LBB1655_7:
	s_or_b64 exec, exec, s[0:1]
	v_or_b32_e32 v2, 0x100, v0
	v_cmp_gt_u32_e64 s[8:9], s84, v2
	v_mov_b32_e32 v4, v1
	s_and_saveexec_b64 s[0:1], s[8:9]
	s_cbranch_execz .LBB1655_9
; %bb.8:
	v_lshlrev_b32_e32 v4, 2, v0
	v_mov_b32_e32 v5, 0
	v_lshl_add_u64 v[4:5], s[68:69], 0, v[4:5]
	flat_load_dword v4, v[4:5] offset:1024
.LBB1655_9:
	s_or_b64 exec, exec, s[0:1]
	v_or_b32_e32 v2, 0x200, v0
	v_cmp_gt_u32_e64 s[10:11], s84, v2
	v_mov_b32_e32 v5, v1
	s_and_saveexec_b64 s[0:1], s[10:11]
	s_cbranch_execz .LBB1655_11
; %bb.10:
	v_lshlrev_b32_e32 v6, 2, v0
	v_mov_b32_e32 v7, 0
	v_lshl_add_u64 v[6:7], s[68:69], 0, v[6:7]
	flat_load_dword v5, v[6:7] offset:2048
.LBB1655_11:
	;; [unrolled: 12-line block ×3, first 2 shown]
	s_or_b64 exec, exec, s[0:1]
	v_or_b32_e32 v10, 0x400, v0
	v_cmp_gt_u32_e64 s[14:15], s84, v10
	v_mov_b32_e32 v7, v1
	s_and_saveexec_b64 s[0:1], s[14:15]
	s_cbranch_execz .LBB1655_15
; %bb.14:
	v_lshlrev_b32_e32 v8, 2, v10
	v_mov_b32_e32 v9, 0
	v_lshl_add_u64 v[8:9], s[68:69], 0, v[8:9]
	flat_load_dword v7, v[8:9]
.LBB1655_15:
	s_or_b64 exec, exec, s[0:1]
	v_or_b32_e32 v11, 0x500, v0
	v_cmp_gt_u32_e64 s[16:17], s84, v11
	v_mov_b32_e32 v8, v1
	s_and_saveexec_b64 s[0:1], s[16:17]
	s_cbranch_execz .LBB1655_17
; %bb.16:
	v_lshlrev_b32_e32 v8, 2, v11
	v_mov_b32_e32 v9, 0
	v_lshl_add_u64 v[8:9], s[68:69], 0, v[8:9]
	flat_load_dword v8, v[8:9]
.LBB1655_17:
	;; [unrolled: 12-line block ×18, first 2 shown]
	s_or_b64 exec, exec, s[0:1]
	v_or_b32_e32 v28, 0x1600, v0
	v_cmp_gt_u32_e64 s[52:53], s84, v28
	s_and_saveexec_b64 s[0:1], s[52:53]
	s_cbranch_execz .LBB1655_51
; %bb.50:
	v_lshlrev_b32_e32 v44, 2, v28
	v_mov_b32_e32 v45, 0
	v_lshl_add_u64 v[44:45], s[68:69], 0, v[44:45]
	flat_load_dword v1, v[44:45]
.LBB1655_51:
	s_or_b64 exec, exec, s[0:1]
	v_lshlrev_b32_e32 v2, 2, v0
	s_movk_i32 s0, 0x58
	s_waitcnt vmcnt(0) lgkmcnt(0)
	ds_write2st64_b32 v2, v3, v4 offset1:4
	ds_write2st64_b32 v2, v5, v6 offset0:8 offset1:12
	ds_write2st64_b32 v2, v7, v8 offset0:16 offset1:20
	;; [unrolled: 1-line block ×10, first 2 shown]
	ds_write_b32 v2, v1 offset:22528
	v_mad_u32_u24 v1, v0, s0, v2
	s_waitcnt lgkmcnt(0)
	s_barrier
	ds_read2_b32 v[68:69], v1 offset1:1
	ds_read2_b32 v[66:67], v1 offset0:2 offset1:3
	ds_read2_b32 v[64:65], v1 offset0:4 offset1:5
	;; [unrolled: 1-line block ×10, first 2 shown]
	ds_read_b32 v72, v1 offset:88
	s_cmp_eq_u64 s[80:81], 0
	s_mov_b64 s[0:1], s[68:69]
	s_cbranch_scc1 .LBB1655_55
; %bb.52:
	s_andn2_b64 vcc, exec, s[78:79]
	s_cbranch_vccnz .LBB1655_271
; %bb.53:
	s_lshl_b64 s[0:1], s[80:81], 2
	s_add_u32 s0, s70, s0
	s_addc_u32 s1, s71, s1
	s_add_u32 s0, s0, -4
	s_addc_u32 s1, s1, -1
	s_cbranch_execnz .LBB1655_55
.LBB1655_54:
	s_add_u32 s0, s68, -4
	s_addc_u32 s1, s69, -1
.LBB1655_55:
	v_mov_b64_e32 v[30:31], s[0:1]
	flat_load_dword v70, v[30:31]
	s_movk_i32 s0, 0xffa8
	v_mad_i32_i24 v3, v0, s0, v1
	s_waitcnt lgkmcnt(0)
	ds_write_b32 v3, v72 offset:23552
	s_waitcnt lgkmcnt(0)
	s_barrier
	s_and_saveexec_b64 s[0:1], s[4:5]
	s_cbranch_execz .LBB1655_57
; %bb.56:
	v_mul_i32_i24_e32 v3, 0xffffffa8, v0
	v_add_u32_e32 v3, v1, v3
	s_waitcnt vmcnt(0)
	ds_read_b32 v70, v3 offset:23548
.LBB1655_57:
	s_or_b64 exec, exec, s[0:1]
	v_mov_b32_e32 v3, 0
	s_waitcnt lgkmcnt(0)
	s_barrier
	s_waitcnt lgkmcnt(0)
                                        ; implicit-def: $vgpr29
	s_and_saveexec_b64 s[0:1], s[6:7]
	s_cbranch_execnz .LBB1655_247
; %bb.58:
	s_or_b64 exec, exec, s[0:1]
                                        ; implicit-def: $vgpr30
	s_and_saveexec_b64 s[0:1], s[8:9]
	s_cbranch_execnz .LBB1655_248
.LBB1655_59:
	s_or_b64 exec, exec, s[0:1]
                                        ; implicit-def: $vgpr31
	s_and_saveexec_b64 s[0:1], s[10:11]
	s_cbranch_execnz .LBB1655_249
.LBB1655_60:
	s_or_b64 exec, exec, s[0:1]
                                        ; implicit-def: $vgpr3
	s_and_saveexec_b64 s[0:1], s[12:13]
	s_cbranch_execnz .LBB1655_250
.LBB1655_61:
	s_or_b64 exec, exec, s[0:1]
                                        ; implicit-def: $vgpr32
	s_and_saveexec_b64 s[0:1], s[14:15]
	s_cbranch_execnz .LBB1655_251
.LBB1655_62:
	s_or_b64 exec, exec, s[0:1]
                                        ; implicit-def: $vgpr10
	s_and_saveexec_b64 s[0:1], s[16:17]
	s_cbranch_execnz .LBB1655_252
.LBB1655_63:
	s_or_b64 exec, exec, s[0:1]
                                        ; implicit-def: $vgpr11
	s_and_saveexec_b64 s[0:1], s[18:19]
	s_cbranch_execnz .LBB1655_253
.LBB1655_64:
	s_or_b64 exec, exec, s[0:1]
                                        ; implicit-def: $vgpr12
	s_and_saveexec_b64 s[0:1], s[20:21]
	s_cbranch_execnz .LBB1655_254
.LBB1655_65:
	s_or_b64 exec, exec, s[0:1]
                                        ; implicit-def: $vgpr13
	s_and_saveexec_b64 s[0:1], s[22:23]
	s_cbranch_execnz .LBB1655_255
.LBB1655_66:
	s_or_b64 exec, exec, s[0:1]
                                        ; implicit-def: $vgpr14
	s_and_saveexec_b64 s[0:1], s[24:25]
	s_cbranch_execnz .LBB1655_256
.LBB1655_67:
	s_or_b64 exec, exec, s[0:1]
                                        ; implicit-def: $vgpr15
	s_and_saveexec_b64 s[0:1], s[26:27]
	s_cbranch_execnz .LBB1655_257
.LBB1655_68:
	s_or_b64 exec, exec, s[0:1]
                                        ; implicit-def: $vgpr16
	s_and_saveexec_b64 s[0:1], s[28:29]
	s_cbranch_execnz .LBB1655_258
.LBB1655_69:
	s_or_b64 exec, exec, s[0:1]
                                        ; implicit-def: $vgpr17
	s_and_saveexec_b64 s[0:1], s[30:31]
	s_cbranch_execnz .LBB1655_259
.LBB1655_70:
	s_or_b64 exec, exec, s[0:1]
                                        ; implicit-def: $vgpr18
	s_and_saveexec_b64 s[0:1], s[34:35]
	s_cbranch_execnz .LBB1655_260
.LBB1655_71:
	s_or_b64 exec, exec, s[0:1]
                                        ; implicit-def: $vgpr19
	s_and_saveexec_b64 s[0:1], s[36:37]
	s_cbranch_execnz .LBB1655_261
.LBB1655_72:
	s_or_b64 exec, exec, s[0:1]
                                        ; implicit-def: $vgpr20
	s_and_saveexec_b64 s[0:1], s[38:39]
	s_cbranch_execnz .LBB1655_262
.LBB1655_73:
	s_or_b64 exec, exec, s[0:1]
                                        ; implicit-def: $vgpr21
	s_and_saveexec_b64 s[0:1], s[40:41]
	s_cbranch_execnz .LBB1655_263
.LBB1655_74:
	s_or_b64 exec, exec, s[0:1]
                                        ; implicit-def: $vgpr22
	s_and_saveexec_b64 s[0:1], s[42:43]
	s_cbranch_execnz .LBB1655_264
.LBB1655_75:
	s_or_b64 exec, exec, s[0:1]
                                        ; implicit-def: $vgpr23
	s_and_saveexec_b64 s[0:1], s[44:45]
	s_cbranch_execnz .LBB1655_265
.LBB1655_76:
	s_or_b64 exec, exec, s[0:1]
                                        ; implicit-def: $vgpr24
	s_and_saveexec_b64 s[0:1], s[46:47]
	s_cbranch_execnz .LBB1655_266
.LBB1655_77:
	s_or_b64 exec, exec, s[0:1]
                                        ; implicit-def: $vgpr25
	s_and_saveexec_b64 s[0:1], s[48:49]
	s_cbranch_execnz .LBB1655_267
.LBB1655_78:
	s_or_b64 exec, exec, s[0:1]
                                        ; implicit-def: $vgpr26
	s_and_saveexec_b64 s[0:1], s[50:51]
	s_cbranch_execnz .LBB1655_268
.LBB1655_79:
	s_or_b64 exec, exec, s[0:1]
                                        ; implicit-def: $vgpr27
	s_and_saveexec_b64 s[0:1], s[52:53]
	s_cbranch_execz .LBB1655_81
.LBB1655_80:
	v_lshlrev_b32_e32 v34, 2, v28
	v_mov_b32_e32 v35, 0
	v_lshl_add_u64 v[34:35], s[60:61], 0, v[34:35]
	flat_load_dword v27, v[34:35]
.LBB1655_81:
	s_or_b64 exec, exec, s[0:1]
	v_mul_u32_u24_e32 v73, 23, v0
	s_waitcnt vmcnt(0) lgkmcnt(0)
	ds_write2st64_b32 v2, v29, v30 offset1:4
	ds_write2st64_b32 v2, v31, v3 offset0:8 offset1:12
	ds_write2st64_b32 v2, v32, v10 offset0:16 offset1:20
	;; [unrolled: 1-line block ×10, first 2 shown]
	ds_write_b32 v2, v27 offset:22528
	v_mov_b64_e32 v[10:11], 0
	v_cmp_gt_u32_e32 vcc, s84, v73
	s_mov_b64 s[10:11], 0
	s_mov_b64 s[6:7], 0
	v_mov_b64_e32 v[12:13], v[10:11]
	v_mov_b64_e32 v[14:15], v[10:11]
	;; [unrolled: 1-line block ×21, first 2 shown]
	s_waitcnt lgkmcnt(0)
	s_barrier
	s_waitcnt lgkmcnt(0)
                                        ; implicit-def: $sgpr0_sgpr1
                                        ; implicit-def: $vgpr3
	s_and_saveexec_b64 s[8:9], vcc
	s_cbranch_execz .LBB1655_125
; %bb.82:
	ds_read_b32 v10, v1
	v_add_u32_e32 v2, 1, v73
	v_cmp_ne_u32_e32 vcc, v70, v68
	v_mov_b64_e32 v[12:13], 0
	s_mov_b64 s[12:13], 0
	v_cndmask_b32_e64 v11, 0, 1, vcc
	v_cmp_gt_u32_e32 vcc, s84, v2
	s_mov_b64 s[0:1], 0
	v_mov_b64_e32 v[14:15], v[12:13]
	v_mov_b64_e32 v[16:17], v[12:13]
	v_mov_b64_e32 v[18:19], v[12:13]
	v_mov_b64_e32 v[20:21], v[12:13]
	v_mov_b64_e32 v[22:23], v[12:13]
	v_mov_b64_e32 v[24:25], v[12:13]
	v_mov_b64_e32 v[26:27], v[12:13]
	v_mov_b64_e32 v[28:29], v[12:13]
	v_mov_b64_e32 v[30:31], v[12:13]
	v_mov_b64_e32 v[32:33], v[12:13]
	v_mov_b64_e32 v[34:35], v[12:13]
	v_mov_b64_e32 v[36:37], v[12:13]
	v_mov_b64_e32 v[38:39], v[12:13]
	v_mov_b64_e32 v[40:41], v[12:13]
	v_mov_b64_e32 v[42:43], v[12:13]
	v_mov_b64_e32 v[44:45], v[12:13]
	v_mov_b64_e32 v[46:47], v[12:13]
	v_mov_b64_e32 v[48:49], v[12:13]
	v_mov_b64_e32 v[50:51], v[12:13]
	v_mov_b64_e32 v[52:53], v[12:13]
                                        ; implicit-def: $sgpr14_sgpr15
                                        ; implicit-def: $vgpr3
	s_and_saveexec_b64 s[10:11], vcc
	s_cbranch_execz .LBB1655_124
; %bb.83:
	ds_read2_b32 v[70:71], v1 offset0:1 offset1:2
	v_add_u32_e32 v2, 2, v73
	v_cmp_ne_u32_e32 vcc, v68, v69
	v_mov_b64_e32 v[14:15], 0
	s_mov_b64 s[16:17], 0
	v_cndmask_b32_e64 v13, 0, 1, vcc
	v_cmp_gt_u32_e32 vcc, s84, v2
	s_waitcnt lgkmcnt(0)
	v_mov_b32_e32 v12, v70
	v_mov_b64_e32 v[16:17], v[14:15]
	v_mov_b64_e32 v[18:19], v[14:15]
	;; [unrolled: 1-line block ×19, first 2 shown]
                                        ; implicit-def: $sgpr14_sgpr15
                                        ; implicit-def: $vgpr3
	s_and_saveexec_b64 s[12:13], vcc
	s_cbranch_execz .LBB1655_123
; %bb.84:
	v_add_u32_e32 v2, 3, v73
	v_cmp_ne_u32_e32 vcc, v69, v66
	v_mov_b64_e32 v[16:17], 0
	v_mov_b32_e32 v14, v71
	v_cndmask_b32_e64 v15, 0, 1, vcc
	v_cmp_gt_u32_e32 vcc, s84, v2
	v_mov_b64_e32 v[18:19], v[16:17]
	v_mov_b64_e32 v[20:21], v[16:17]
	;; [unrolled: 1-line block ×18, first 2 shown]
                                        ; implicit-def: $sgpr18_sgpr19
                                        ; implicit-def: $vgpr3
	s_and_saveexec_b64 s[14:15], vcc
	s_cbranch_execz .LBB1655_122
; %bb.85:
	ds_read2_b32 v[68:69], v1 offset0:3 offset1:4
	v_add_u32_e32 v2, 4, v73
	v_cmp_ne_u32_e32 vcc, v66, v67
	v_mov_b64_e32 v[18:19], 0
	s_mov_b64 s[20:21], 0
	v_cndmask_b32_e64 v17, 0, 1, vcc
	v_cmp_gt_u32_e32 vcc, s84, v2
	s_waitcnt lgkmcnt(0)
	v_mov_b32_e32 v16, v68
	v_mov_b64_e32 v[20:21], v[18:19]
	v_mov_b64_e32 v[22:23], v[18:19]
	;; [unrolled: 1-line block ×17, first 2 shown]
                                        ; implicit-def: $sgpr18_sgpr19
                                        ; implicit-def: $vgpr3
	s_and_saveexec_b64 s[16:17], vcc
	s_cbranch_execz .LBB1655_121
; %bb.86:
	v_add_u32_e32 v2, 5, v73
	v_cmp_ne_u32_e32 vcc, v67, v64
	v_mov_b64_e32 v[20:21], 0
	v_mov_b32_e32 v18, v69
	v_cndmask_b32_e64 v19, 0, 1, vcc
	v_cmp_gt_u32_e32 vcc, s84, v2
	v_mov_b64_e32 v[22:23], v[20:21]
	v_mov_b64_e32 v[24:25], v[20:21]
	;; [unrolled: 1-line block ×16, first 2 shown]
                                        ; implicit-def: $sgpr22_sgpr23
                                        ; implicit-def: $vgpr3
	s_and_saveexec_b64 s[18:19], vcc
	s_cbranch_execz .LBB1655_120
; %bb.87:
	ds_read2_b32 v[66:67], v1 offset0:5 offset1:6
	v_add_u32_e32 v2, 6, v73
	v_cmp_ne_u32_e32 vcc, v64, v65
	v_mov_b64_e32 v[22:23], 0
	s_mov_b64 s[24:25], 0
	v_cndmask_b32_e64 v21, 0, 1, vcc
	v_cmp_gt_u32_e32 vcc, s84, v2
	s_waitcnt lgkmcnt(0)
	v_mov_b32_e32 v20, v66
	v_mov_b64_e32 v[24:25], v[22:23]
	v_mov_b64_e32 v[26:27], v[22:23]
	;; [unrolled: 1-line block ×15, first 2 shown]
                                        ; implicit-def: $sgpr22_sgpr23
                                        ; implicit-def: $vgpr3
	s_and_saveexec_b64 s[20:21], vcc
	s_cbranch_execz .LBB1655_119
; %bb.88:
	v_add_u32_e32 v2, 7, v73
	v_cmp_ne_u32_e32 vcc, v65, v62
	v_mov_b64_e32 v[24:25], 0
	v_mov_b32_e32 v22, v67
	v_cndmask_b32_e64 v23, 0, 1, vcc
	v_cmp_gt_u32_e32 vcc, s84, v2
	v_mov_b64_e32 v[26:27], v[24:25]
	v_mov_b64_e32 v[28:29], v[24:25]
	v_mov_b64_e32 v[30:31], v[24:25]
	v_mov_b64_e32 v[32:33], v[24:25]
	v_mov_b64_e32 v[34:35], v[24:25]
	v_mov_b64_e32 v[36:37], v[24:25]
	v_mov_b64_e32 v[38:39], v[24:25]
	v_mov_b64_e32 v[40:41], v[24:25]
	v_mov_b64_e32 v[42:43], v[24:25]
	v_mov_b64_e32 v[44:45], v[24:25]
	v_mov_b64_e32 v[46:47], v[24:25]
	v_mov_b64_e32 v[48:49], v[24:25]
	v_mov_b64_e32 v[50:51], v[24:25]
	v_mov_b64_e32 v[52:53], v[24:25]
                                        ; implicit-def: $sgpr26_sgpr27
                                        ; implicit-def: $vgpr3
	s_and_saveexec_b64 s[22:23], vcc
	s_cbranch_execz .LBB1655_118
; %bb.89:
	ds_read2_b32 v[64:65], v1 offset0:7 offset1:8
	v_add_u32_e32 v2, 8, v73
	v_cmp_ne_u32_e32 vcc, v62, v63
	v_mov_b64_e32 v[26:27], 0
	s_mov_b64 s[28:29], 0
	v_cndmask_b32_e64 v25, 0, 1, vcc
	v_cmp_gt_u32_e32 vcc, s84, v2
	s_waitcnt lgkmcnt(0)
	v_mov_b32_e32 v24, v64
	v_mov_b64_e32 v[28:29], v[26:27]
	v_mov_b64_e32 v[30:31], v[26:27]
	;; [unrolled: 1-line block ×13, first 2 shown]
                                        ; implicit-def: $sgpr26_sgpr27
                                        ; implicit-def: $vgpr3
	s_and_saveexec_b64 s[24:25], vcc
	s_cbranch_execz .LBB1655_117
; %bb.90:
	v_add_u32_e32 v2, 9, v73
	v_cmp_ne_u32_e32 vcc, v63, v60
	v_mov_b64_e32 v[28:29], 0
	v_mov_b32_e32 v26, v65
	v_cndmask_b32_e64 v27, 0, 1, vcc
	v_cmp_gt_u32_e32 vcc, s84, v2
	v_mov_b64_e32 v[30:31], v[28:29]
	v_mov_b64_e32 v[32:33], v[28:29]
	;; [unrolled: 1-line block ×12, first 2 shown]
                                        ; implicit-def: $sgpr30_sgpr31
                                        ; implicit-def: $vgpr3
	s_and_saveexec_b64 s[26:27], vcc
	s_cbranch_execz .LBB1655_116
; %bb.91:
	ds_read2_b32 v[62:63], v1 offset0:9 offset1:10
	v_add_u32_e32 v2, 10, v73
	v_cmp_ne_u32_e32 vcc, v60, v61
	v_mov_b64_e32 v[30:31], 0
	s_mov_b64 s[34:35], 0
	v_cndmask_b32_e64 v29, 0, 1, vcc
	v_cmp_gt_u32_e32 vcc, s84, v2
	s_waitcnt lgkmcnt(0)
	v_mov_b32_e32 v28, v62
	v_mov_b64_e32 v[32:33], v[30:31]
	v_mov_b64_e32 v[34:35], v[30:31]
	;; [unrolled: 1-line block ×11, first 2 shown]
                                        ; implicit-def: $sgpr30_sgpr31
                                        ; implicit-def: $vgpr3
	s_and_saveexec_b64 s[28:29], vcc
	s_cbranch_execz .LBB1655_115
; %bb.92:
	v_add_u32_e32 v2, 11, v73
	v_cmp_ne_u32_e32 vcc, v61, v58
	v_mov_b64_e32 v[32:33], 0
	v_mov_b32_e32 v30, v63
	v_cndmask_b32_e64 v31, 0, 1, vcc
	v_cmp_gt_u32_e32 vcc, s84, v2
	v_mov_b64_e32 v[34:35], v[32:33]
	v_mov_b64_e32 v[36:37], v[32:33]
	;; [unrolled: 1-line block ×10, first 2 shown]
                                        ; implicit-def: $sgpr36_sgpr37
                                        ; implicit-def: $vgpr3
	s_and_saveexec_b64 s[30:31], vcc
	s_cbranch_execz .LBB1655_114
; %bb.93:
	ds_read2_b32 v[60:61], v1 offset0:11 offset1:12
	v_add_u32_e32 v2, 12, v73
	v_cmp_ne_u32_e32 vcc, v58, v59
	v_mov_b64_e32 v[34:35], 0
	s_mov_b64 s[38:39], 0
	v_cndmask_b32_e64 v33, 0, 1, vcc
	v_cmp_gt_u32_e32 vcc, s84, v2
	s_waitcnt lgkmcnt(0)
	v_mov_b32_e32 v32, v60
	v_mov_b64_e32 v[36:37], v[34:35]
	v_mov_b64_e32 v[38:39], v[34:35]
	;; [unrolled: 1-line block ×9, first 2 shown]
                                        ; implicit-def: $sgpr36_sgpr37
                                        ; implicit-def: $vgpr3
	s_and_saveexec_b64 s[34:35], vcc
	s_cbranch_execz .LBB1655_113
; %bb.94:
	v_add_u32_e32 v2, 13, v73
	v_cmp_ne_u32_e32 vcc, v59, v56
	v_mov_b64_e32 v[36:37], 0
	v_mov_b32_e32 v34, v61
	v_cndmask_b32_e64 v35, 0, 1, vcc
	v_cmp_gt_u32_e32 vcc, s84, v2
	v_mov_b64_e32 v[38:39], v[36:37]
	v_mov_b64_e32 v[40:41], v[36:37]
	;; [unrolled: 1-line block ×8, first 2 shown]
                                        ; implicit-def: $sgpr40_sgpr41
                                        ; implicit-def: $vgpr3
	s_and_saveexec_b64 s[36:37], vcc
	s_cbranch_execz .LBB1655_112
; %bb.95:
	ds_read2_b32 v[58:59], v1 offset0:13 offset1:14
	v_add_u32_e32 v2, 14, v73
	v_cmp_ne_u32_e32 vcc, v56, v57
	v_mov_b64_e32 v[38:39], 0
	s_mov_b64 s[42:43], 0
	v_cndmask_b32_e64 v37, 0, 1, vcc
	v_cmp_gt_u32_e32 vcc, s84, v2
	s_waitcnt lgkmcnt(0)
	v_mov_b32_e32 v36, v58
	v_mov_b64_e32 v[40:41], v[38:39]
	v_mov_b64_e32 v[42:43], v[38:39]
	v_mov_b64_e32 v[44:45], v[38:39]
	v_mov_b64_e32 v[46:47], v[38:39]
	v_mov_b64_e32 v[48:49], v[38:39]
	v_mov_b64_e32 v[50:51], v[38:39]
	v_mov_b64_e32 v[52:53], v[38:39]
                                        ; implicit-def: $sgpr40_sgpr41
                                        ; implicit-def: $vgpr3
	s_and_saveexec_b64 s[38:39], vcc
	s_cbranch_execz .LBB1655_111
; %bb.96:
	v_add_u32_e32 v2, 15, v73
	v_cmp_ne_u32_e32 vcc, v57, v54
	v_mov_b64_e32 v[40:41], 0
	v_mov_b32_e32 v38, v59
	v_cndmask_b32_e64 v39, 0, 1, vcc
	v_cmp_gt_u32_e32 vcc, s84, v2
	v_mov_b64_e32 v[42:43], v[40:41]
	v_mov_b64_e32 v[44:45], v[40:41]
	;; [unrolled: 1-line block ×6, first 2 shown]
                                        ; implicit-def: $sgpr44_sgpr45
                                        ; implicit-def: $vgpr3
	s_and_saveexec_b64 s[40:41], vcc
	s_cbranch_execz .LBB1655_110
; %bb.97:
	ds_read2_b32 v[56:57], v1 offset0:15 offset1:16
	v_add_u32_e32 v2, 16, v73
	v_cmp_ne_u32_e32 vcc, v54, v55
	v_mov_b64_e32 v[42:43], 0
	s_mov_b64 s[46:47], 0
	v_cndmask_b32_e64 v41, 0, 1, vcc
	v_cmp_gt_u32_e32 vcc, s84, v2
	s_waitcnt lgkmcnt(0)
	v_mov_b32_e32 v40, v56
	v_mov_b64_e32 v[44:45], v[42:43]
	v_mov_b64_e32 v[46:47], v[42:43]
	;; [unrolled: 1-line block ×5, first 2 shown]
                                        ; implicit-def: $sgpr44_sgpr45
                                        ; implicit-def: $vgpr3
	s_and_saveexec_b64 s[42:43], vcc
	s_cbranch_execz .LBB1655_109
; %bb.98:
	v_add_u32_e32 v2, 17, v73
	v_cmp_ne_u32_e32 vcc, v55, v8
	v_mov_b64_e32 v[44:45], 0
	v_mov_b32_e32 v42, v57
	v_cndmask_b32_e64 v43, 0, 1, vcc
	v_cmp_gt_u32_e32 vcc, s84, v2
	v_mov_b64_e32 v[46:47], v[44:45]
	v_mov_b64_e32 v[48:49], v[44:45]
	;; [unrolled: 1-line block ×4, first 2 shown]
                                        ; implicit-def: $sgpr48_sgpr49
                                        ; implicit-def: $vgpr3
	s_and_saveexec_b64 s[44:45], vcc
	s_cbranch_execz .LBB1655_108
; %bb.99:
	ds_read2_b32 v[54:55], v1 offset0:17 offset1:18
	v_add_u32_e32 v2, 18, v73
	v_cmp_ne_u32_e32 vcc, v8, v9
	v_mov_b64_e32 v[46:47], 0
	s_mov_b64 s[50:51], 0
	v_cndmask_b32_e64 v45, 0, 1, vcc
	v_cmp_gt_u32_e32 vcc, s84, v2
	s_waitcnt lgkmcnt(0)
	v_mov_b32_e32 v44, v54
	v_mov_b64_e32 v[48:49], v[46:47]
	v_mov_b64_e32 v[50:51], v[46:47]
	;; [unrolled: 1-line block ×3, first 2 shown]
                                        ; implicit-def: $sgpr48_sgpr49
                                        ; implicit-def: $vgpr3
	s_and_saveexec_b64 s[46:47], vcc
	s_cbranch_execz .LBB1655_107
; %bb.100:
	v_add_u32_e32 v2, 19, v73
	v_cmp_ne_u32_e32 vcc, v9, v6
	v_mov_b64_e32 v[48:49], 0
	v_mov_b32_e32 v46, v55
	v_cndmask_b32_e64 v47, 0, 1, vcc
	v_cmp_gt_u32_e32 vcc, s84, v2
	v_mov_b64_e32 v[50:51], v[48:49]
	v_mov_b64_e32 v[52:53], v[48:49]
                                        ; implicit-def: $sgpr52_sgpr53
                                        ; implicit-def: $vgpr3
	s_and_saveexec_b64 s[48:49], vcc
	s_cbranch_execz .LBB1655_106
; %bb.101:
	ds_read2_b32 v[8:9], v1 offset0:19 offset1:20
	v_add_u32_e32 v2, 20, v73
	v_cmp_ne_u32_e32 vcc, v6, v7
	v_mov_b64_e32 v[50:51], 0
	s_mov_b64 s[52:53], 0
	v_cndmask_b32_e64 v49, 0, 1, vcc
	v_cmp_gt_u32_e32 vcc, s84, v2
	s_waitcnt lgkmcnt(0)
	v_mov_b32_e32 v48, v8
	v_mov_b64_e32 v[52:53], v[50:51]
                                        ; implicit-def: $sgpr64_sgpr65
                                        ; implicit-def: $vgpr3
	s_and_saveexec_b64 s[50:51], vcc
	s_cbranch_execz .LBB1655_105
; %bb.102:
	v_add_u32_e32 v2, 21, v73
	v_cmp_ne_u32_e32 vcc, v7, v4
	v_mov_b32_e32 v50, v9
	v_mov_b64_e32 v[52:53], 0
	v_cndmask_b32_e64 v51, 0, 1, vcc
	v_cmp_gt_u32_e32 vcc, s84, v2
                                        ; implicit-def: $sgpr64_sgpr65
                                        ; implicit-def: $vgpr3
	s_and_saveexec_b64 s[0:1], vcc
	s_xor_b64 s[82:83], exec, s[0:1]
	s_cbranch_execz .LBB1655_104
; %bb.103:
	ds_read2_b32 v[2:3], v1 offset0:21 offset1:22
	v_add_u32_e32 v1, 22, v73
	v_cmp_ne_u32_e64 s[0:1], v4, v5
	v_cmp_ne_u32_e32 vcc, v5, v72
	s_and_b64 s[64:65], vcc, exec
	v_cndmask_b32_e64 v53, 0, 1, s[0:1]
	v_cmp_gt_u32_e64 s[0:1], s84, v1
	s_waitcnt lgkmcnt(0)
	v_mov_b32_e32 v52, v2
	s_and_b64 s[52:53], s[0:1], exec
.LBB1655_104:
	s_or_b64 exec, exec, s[82:83]
	s_and_b64 s[64:65], s[64:65], exec
	s_and_b64 s[0:1], s[52:53], exec
.LBB1655_105:
	s_or_b64 exec, exec, s[50:51]
	s_and_b64 s[52:53], s[64:65], exec
	s_and_b64 s[50:51], s[0:1], exec
.LBB1655_106:
	s_or_b64 exec, exec, s[48:49]
	s_and_b64 s[48:49], s[52:53], exec
	s_and_b64 s[0:1], s[50:51], exec
.LBB1655_107:
	s_or_b64 exec, exec, s[46:47]
	s_and_b64 s[48:49], s[48:49], exec
	s_and_b64 s[46:47], s[0:1], exec
.LBB1655_108:
	s_or_b64 exec, exec, s[44:45]
	s_and_b64 s[44:45], s[48:49], exec
	s_and_b64 s[0:1], s[46:47], exec
.LBB1655_109:
	s_or_b64 exec, exec, s[42:43]
	s_and_b64 s[44:45], s[44:45], exec
	s_and_b64 s[42:43], s[0:1], exec
.LBB1655_110:
	s_or_b64 exec, exec, s[40:41]
	s_and_b64 s[40:41], s[44:45], exec
	s_and_b64 s[0:1], s[42:43], exec
.LBB1655_111:
	s_or_b64 exec, exec, s[38:39]
	s_and_b64 s[40:41], s[40:41], exec
	s_and_b64 s[38:39], s[0:1], exec
.LBB1655_112:
	s_or_b64 exec, exec, s[36:37]
	s_and_b64 s[36:37], s[40:41], exec
	s_and_b64 s[0:1], s[38:39], exec
.LBB1655_113:
	s_or_b64 exec, exec, s[34:35]
	s_and_b64 s[36:37], s[36:37], exec
	s_and_b64 s[34:35], s[0:1], exec
.LBB1655_114:
	s_or_b64 exec, exec, s[30:31]
	s_and_b64 s[30:31], s[36:37], exec
	s_and_b64 s[0:1], s[34:35], exec
.LBB1655_115:
	s_or_b64 exec, exec, s[28:29]
	s_and_b64 s[30:31], s[30:31], exec
	s_and_b64 s[28:29], s[0:1], exec
.LBB1655_116:
	s_or_b64 exec, exec, s[26:27]
	s_and_b64 s[26:27], s[30:31], exec
	s_and_b64 s[0:1], s[28:29], exec
.LBB1655_117:
	s_or_b64 exec, exec, s[24:25]
	s_and_b64 s[26:27], s[26:27], exec
	s_and_b64 s[24:25], s[0:1], exec
.LBB1655_118:
	s_or_b64 exec, exec, s[22:23]
	s_and_b64 s[22:23], s[26:27], exec
	s_and_b64 s[0:1], s[24:25], exec
.LBB1655_119:
	s_or_b64 exec, exec, s[20:21]
	s_and_b64 s[22:23], s[22:23], exec
	s_and_b64 s[20:21], s[0:1], exec
.LBB1655_120:
	s_or_b64 exec, exec, s[18:19]
	s_and_b64 s[18:19], s[22:23], exec
	s_and_b64 s[0:1], s[20:21], exec
.LBB1655_121:
	s_or_b64 exec, exec, s[16:17]
	s_and_b64 s[18:19], s[18:19], exec
	s_and_b64 s[16:17], s[0:1], exec
.LBB1655_122:
	s_or_b64 exec, exec, s[14:15]
	s_and_b64 s[14:15], s[18:19], exec
	s_and_b64 s[0:1], s[16:17], exec
.LBB1655_123:
	s_or_b64 exec, exec, s[12:13]
	s_and_b64 s[14:15], s[14:15], exec
	s_and_b64 s[12:13], s[0:1], exec
.LBB1655_124:
	s_or_b64 exec, exec, s[10:11]
	s_and_b64 s[0:1], s[14:15], exec
	s_and_b64 s[10:11], s[12:13], exec
.LBB1655_125:
	s_or_b64 exec, exec, s[8:9]
	s_mov_b64 s[8:9], 0
	s_and_b64 vcc, exec, s[6:7]
	v_lshlrev_b32_e32 v54, 2, v0
	s_cbranch_vccnz .LBB1655_127
	s_branch .LBB1655_135
.LBB1655_126:
                                        ; implicit-def: $sgpr0_sgpr1
                                        ; implicit-def: $vgpr3
                                        ; implicit-def: $vgpr10_vgpr11
                                        ; implicit-def: $vgpr12_vgpr13
                                        ; implicit-def: $vgpr14_vgpr15
                                        ; implicit-def: $vgpr16_vgpr17
                                        ; implicit-def: $vgpr18_vgpr19
                                        ; implicit-def: $vgpr20_vgpr21
                                        ; implicit-def: $vgpr22_vgpr23
                                        ; implicit-def: $vgpr24_vgpr25
                                        ; implicit-def: $vgpr26_vgpr27
                                        ; implicit-def: $vgpr28_vgpr29
                                        ; implicit-def: $vgpr30_vgpr31
                                        ; implicit-def: $vgpr32_vgpr33
                                        ; implicit-def: $vgpr34_vgpr35
                                        ; implicit-def: $vgpr36_vgpr37
                                        ; implicit-def: $vgpr38_vgpr39
                                        ; implicit-def: $vgpr40_vgpr41
                                        ; implicit-def: $vgpr42_vgpr43
                                        ; implicit-def: $vgpr44_vgpr45
                                        ; implicit-def: $vgpr46_vgpr47
                                        ; implicit-def: $vgpr48_vgpr49
                                        ; implicit-def: $vgpr50_vgpr51
                                        ; implicit-def: $vgpr52_vgpr53
                                        ; implicit-def: $sgpr8_sgpr9
	s_and_b64 vcc, exec, s[6:7]
	v_lshlrev_b32_e32 v54, 2, v0
	s_cbranch_vccz .LBB1655_135
.LBB1655_127:
	v_mov_b32_e32 v55, 0
	v_lshl_add_u64 v[2:3], s[68:69], 0, v[54:55]
	v_add_co_u32_e32 v4, vcc, 0x1000, v2
	s_movk_i32 s0, 0x58
	s_nop 0
	v_addc_co_u32_e32 v5, vcc, 0, v3, vcc
	flat_load_dword v8, v[2:3]
	flat_load_dword v9, v[2:3] offset:1024
	s_waitcnt lgkmcnt(0)
	flat_load_dword v10, v[2:3] offset:2048
	flat_load_dword v11, v[2:3] offset:3072
	flat_load_dword v12, v[4:5]
	flat_load_dword v13, v[4:5] offset:1024
	flat_load_dword v14, v[4:5] offset:2048
	;; [unrolled: 1-line block ×3, first 2 shown]
	v_add_co_u32_e32 v4, vcc, 0x2000, v2
	v_mad_u32_u24 v1, v0, s0, v54
	s_nop 0
	v_addc_co_u32_e32 v5, vcc, 0, v3, vcc
	v_add_co_u32_e32 v6, vcc, 0x3000, v2
	s_cmp_eq_u64 s[80:81], 0
	s_nop 0
	v_addc_co_u32_e32 v7, vcc, 0, v3, vcc
	flat_load_dword v16, v[4:5]
	flat_load_dword v17, v[4:5] offset:1024
	flat_load_dword v18, v[4:5] offset:2048
	;; [unrolled: 1-line block ×3, first 2 shown]
	flat_load_dword v20, v[6:7]
	flat_load_dword v21, v[6:7] offset:1024
	flat_load_dword v22, v[6:7] offset:2048
	;; [unrolled: 1-line block ×3, first 2 shown]
	v_add_co_u32_e32 v4, vcc, 0x4000, v2
	s_nop 1
	v_addc_co_u32_e32 v5, vcc, 0, v3, vcc
	v_add_co_u32_e32 v2, vcc, 0x5000, v2
	s_nop 1
	v_addc_co_u32_e32 v3, vcc, 0, v3, vcc
	flat_load_dword v6, v[4:5]
	flat_load_dword v7, v[4:5] offset:1024
	flat_load_dword v24, v[4:5] offset:2048
	;; [unrolled: 1-line block ×3, first 2 shown]
	flat_load_dword v26, v[2:3]
	flat_load_dword v27, v[2:3] offset:1024
	flat_load_dword v28, v[2:3] offset:2048
	s_waitcnt vmcnt(0)
	ds_write2st64_b32 v54, v8, v9 offset1:4
	s_waitcnt lgkmcnt(0)
	ds_write2st64_b32 v54, v10, v11 offset0:8 offset1:12
	ds_write2st64_b32 v54, v12, v13 offset0:16 offset1:20
	ds_write2st64_b32 v54, v14, v15 offset0:24 offset1:28
	ds_write2st64_b32 v54, v16, v17 offset0:32 offset1:36
	ds_write2st64_b32 v54, v18, v19 offset0:40 offset1:44
	ds_write2st64_b32 v54, v20, v21 offset0:48 offset1:52
	ds_write2st64_b32 v54, v22, v23 offset0:56 offset1:60
	ds_write2st64_b32 v54, v6, v7 offset0:64 offset1:68
	ds_write2st64_b32 v54, v24, v25 offset0:72 offset1:76
	ds_write2st64_b32 v54, v26, v27 offset0:80 offset1:84
	ds_write_b32 v54, v28 offset:22528
	s_waitcnt lgkmcnt(0)
	s_barrier
	ds_read2_b32 v[2:3], v1 offset1:1
	ds_read2_b32 v[18:19], v1 offset0:2 offset1:3
	ds_read2_b32 v[22:23], v1 offset0:4 offset1:5
	ds_read2_b32 v[26:27], v1 offset0:6 offset1:7
	ds_read2_b32 v[30:31], v1 offset0:8 offset1:9
	ds_read2_b32 v[34:35], v1 offset0:10 offset1:11
	ds_read2_b32 v[38:39], v1 offset0:12 offset1:13
	ds_read2_b32 v[42:43], v1 offset0:14 offset1:15
	ds_read2_b32 v[8:9], v1 offset0:16 offset1:17
	ds_read2_b32 v[6:7], v1 offset0:18 offset1:19
	ds_read2_b32 v[4:5], v1 offset0:20 offset1:21
	ds_read_b32 v10, v1 offset:88
	s_cbranch_scc1 .LBB1655_132
; %bb.128:
	s_andn2_b64 vcc, exec, s[78:79]
	s_cbranch_vccnz .LBB1655_272
; %bb.129:
	s_lshl_b64 s[0:1], s[80:81], 2
	s_add_u32 s0, s70, s0
	s_addc_u32 s1, s71, s1
	s_add_u32 s0, s0, -4
	s_addc_u32 s1, s1, -1
	s_cbranch_execnz .LBB1655_131
.LBB1655_130:
	s_add_u32 s0, s68, -4
	s_addc_u32 s1, s69, -1
.LBB1655_131:
	s_mov_b64 s[68:69], s[0:1]
.LBB1655_132:
	v_mov_b64_e32 v[12:13], s[68:69]
	flat_load_dword v11, v[12:13]
	s_movk_i32 s0, 0xffa8
	v_mad_i32_i24 v12, v0, s0, v1
	s_waitcnt lgkmcnt(0)
	ds_write_b32 v12, v10 offset:23552
	s_waitcnt lgkmcnt(0)
	s_barrier
	s_and_saveexec_b64 s[0:1], s[4:5]
	s_cbranch_execz .LBB1655_134
; %bb.133:
	s_waitcnt vmcnt(0)
	v_mul_i32_i24_e32 v11, 0xffffffa8, v0
	v_add_u32_e32 v11, v1, v11
	ds_read_b32 v11, v11 offset:23548
.LBB1655_134:
	s_or_b64 exec, exec, s[0:1]
	v_mov_b32_e32 v55, 0
	v_lshl_add_u64 v[12:13], s[60:61], 0, v[54:55]
	s_movk_i32 s0, 0x1000
	v_add_co_u32_e32 v14, vcc, s0, v12
	s_movk_i32 s0, 0x2000
	s_nop 0
	v_addc_co_u32_e32 v15, vcc, 0, v13, vcc
	s_waitcnt lgkmcnt(0)
	s_barrier
	flat_load_dword v20, v[12:13]
	flat_load_dword v21, v[12:13] offset:1024
	flat_load_dword v24, v[12:13] offset:2048
	;; [unrolled: 1-line block ×3, first 2 shown]
	flat_load_dword v28, v[14:15]
	flat_load_dword v29, v[14:15] offset:1024
	flat_load_dword v32, v[14:15] offset:2048
	;; [unrolled: 1-line block ×3, first 2 shown]
	v_add_co_u32_e32 v14, vcc, s0, v12
	s_movk_i32 s0, 0x3000
	s_nop 0
	v_addc_co_u32_e32 v15, vcc, 0, v13, vcc
	v_add_co_u32_e32 v16, vcc, s0, v12
	s_movk_i32 s0, 0x4000
	s_nop 0
	v_addc_co_u32_e32 v17, vcc, 0, v13, vcc
	flat_load_dword v36, v[14:15]
	flat_load_dword v37, v[14:15] offset:1024
	flat_load_dword v40, v[14:15] offset:2048
	;; [unrolled: 1-line block ×3, first 2 shown]
	flat_load_dword v44, v[16:17]
	flat_load_dword v45, v[16:17] offset:1024
	flat_load_dword v46, v[16:17] offset:2048
	flat_load_dword v47, v[16:17] offset:3072
	v_add_co_u32_e32 v14, vcc, s0, v12
	s_movk_i32 s0, 0x5000
	s_nop 0
	v_addc_co_u32_e32 v15, vcc, 0, v13, vcc
	v_add_co_u32_e32 v12, vcc, s0, v12
	v_cmp_ne_u32_e64 s[0:1], v5, v10
	s_nop 0
	v_addc_co_u32_e32 v13, vcc, 0, v13, vcc
	flat_load_dword v16, v[14:15]
	flat_load_dword v17, v[14:15] offset:1024
	flat_load_dword v48, v[14:15] offset:2048
	;; [unrolled: 1-line block ×3, first 2 shown]
	flat_load_dword v50, v[12:13]
	flat_load_dword v51, v[12:13] offset:1024
	flat_load_dword v52, v[12:13] offset:2048
	s_waitcnt vmcnt(0)
	v_cmp_ne_u32_e32 vcc, v11, v2
	s_mov_b64 s[10:11], -1
                                        ; implicit-def: $sgpr8_sgpr9
	s_waitcnt lgkmcnt(0)
	ds_write2st64_b32 v54, v20, v21 offset1:4
	ds_write2st64_b32 v54, v24, v25 offset0:8 offset1:12
	ds_write2st64_b32 v54, v28, v29 offset0:16 offset1:20
	;; [unrolled: 1-line block ×10, first 2 shown]
	ds_write_b32 v54, v52 offset:22528
	v_cndmask_b32_e64 v11, 0, 1, vcc
	v_cmp_ne_u32_e32 vcc, v2, v3
	s_waitcnt lgkmcnt(0)
	s_barrier
	v_cndmask_b32_e64 v13, 0, 1, vcc
	v_cmp_ne_u32_e32 vcc, v3, v18
	ds_read2_b32 v[16:17], v1 offset1:1
	ds_read2_b32 v[20:21], v1 offset0:2 offset1:3
	ds_read2_b32 v[24:25], v1 offset0:4 offset1:5
	;; [unrolled: 1-line block ×10, first 2 shown]
	ds_read_b32 v3, v1 offset:88
	v_cndmask_b32_e64 v15, 0, 1, vcc
	v_cmp_ne_u32_e32 vcc, v18, v19
	s_waitcnt lgkmcnt(11)
	v_mov_b32_e32 v12, v17
	v_mov_b32_e32 v10, v16
	v_cndmask_b32_e64 v17, 0, 1, vcc
	v_cmp_ne_u32_e32 vcc, v19, v22
	s_waitcnt lgkmcnt(10)
	v_mov_b32_e32 v16, v21
	v_mov_b32_e32 v14, v20
	;; [unrolled: 5-line block ×5, first 2 shown]
	v_cndmask_b32_e64 v25, 0, 1, vcc
	v_cmp_ne_u32_e32 vcc, v27, v30
	s_waitcnt lgkmcnt(6)
	v_mov_b32_e32 v32, v37
	s_waitcnt lgkmcnt(2)
	v_mov_b32_e32 v48, v51
	v_cndmask_b32_e64 v27, 0, 1, vcc
	v_cmp_ne_u32_e32 vcc, v30, v31
	v_mov_b32_e32 v30, v36
	v_mov_b32_e32 v36, v41
	v_cndmask_b32_e64 v29, 0, 1, vcc
	v_cmp_ne_u32_e32 vcc, v31, v34
	s_waitcnt lgkmcnt(1)
	v_mov_b32_e32 v52, v57
	v_cndmask_b32_e64 v31, 0, 1, vcc
	v_cmp_ne_u32_e32 vcc, v34, v35
	v_mov_b32_e32 v34, v40
	v_mov_b32_e32 v40, v45
	v_cndmask_b32_e64 v33, 0, 1, vcc
	v_cmp_ne_u32_e32 vcc, v35, v38
	s_nop 1
	v_cndmask_b32_e64 v35, 0, 1, vcc
	v_cmp_ne_u32_e32 vcc, v38, v39
	v_mov_b32_e32 v38, v44
	v_mov_b32_e32 v44, v47
	v_cndmask_b32_e64 v37, 0, 1, vcc
	v_cmp_ne_u32_e32 vcc, v39, v42
	s_nop 1
	v_cndmask_b32_e64 v39, 0, 1, vcc
	v_cmp_ne_u32_e32 vcc, v42, v43
	v_mov_b32_e32 v42, v46
	v_mov_b32_e32 v46, v50
	v_cndmask_b32_e64 v41, 0, 1, vcc
	v_cmp_ne_u32_e32 vcc, v43, v8
	v_mov_b32_e32 v50, v56
	s_nop 0
	v_cndmask_b32_e64 v43, 0, 1, vcc
	v_cmp_ne_u32_e32 vcc, v8, v9
	s_nop 1
	v_cndmask_b32_e64 v45, 0, 1, vcc
	v_cmp_ne_u32_e32 vcc, v9, v6
	s_nop 1
	v_cndmask_b32_e64 v47, 0, 1, vcc
	v_cmp_ne_u32_e32 vcc, v6, v7
	s_nop 1
	v_cndmask_b32_e64 v49, 0, 1, vcc
	v_cmp_ne_u32_e32 vcc, v7, v4
	s_nop 1
	v_cndmask_b32_e64 v51, 0, 1, vcc
	v_cmp_ne_u32_e32 vcc, v4, v5
	s_nop 1
	v_cndmask_b32_e64 v53, 0, 1, vcc
.LBB1655_135:
	v_mov_b64_e32 v[56:57], s[8:9]
	s_and_saveexec_b64 s[6:7], s[10:11]
	s_cbranch_execz .LBB1655_137
; %bb.136:
	v_cndmask_b32_e64 v57, 0, 1, s[0:1]
	s_waitcnt lgkmcnt(0)
	v_mov_b32_e32 v56, v3
.LBB1655_137:
	s_or_b64 exec, exec, s[6:7]
	s_mov_b32 s0, 0
	s_cmp_lg_u32 s75, 0
	v_or_b32_e32 v55, v57, v53
	v_lshrrev_b32_e32 v1, 5, v0
	v_cmp_gt_u32_e32 vcc, 64, v0
	s_waitcnt lgkmcnt(0)
	s_barrier
	s_cbranch_scc0 .LBB1655_176
; %bb.138:
	s_mov_b32 s1, 1
	v_cmp_gt_u64_e64 s[6:7], s[0:1], v[12:13]
	v_cmp_gt_u64_e64 s[8:9], s[0:1], v[14:15]
	v_cmp_gt_u64_e64 s[10:11], s[0:1], v[16:17]
	v_cndmask_b32_e64 v2, 0, v10, s[6:7]
	v_add_u32_e32 v2, v2, v12
	v_cndmask_b32_e64 v2, 0, v2, s[8:9]
	v_add_u32_e32 v2, v2, v14
	v_cndmask_b32_e64 v2, 0, v2, s[10:11]
	v_add_u32_e32 v2, v2, v16
	v_cmp_gt_u64_e64 s[12:13], s[0:1], v[18:19]
	v_cmp_gt_u64_e64 s[14:15], s[0:1], v[20:21]
	v_cmp_gt_u64_e64 s[16:17], s[0:1], v[22:23]
	v_cndmask_b32_e64 v2, 0, v2, s[12:13]
	v_add_u32_e32 v2, v2, v18
	v_cndmask_b32_e64 v2, 0, v2, s[14:15]
	v_add_u32_e32 v2, v2, v20
	v_cndmask_b32_e64 v2, 0, v2, s[16:17]
	v_add_u32_e32 v2, v2, v22
	;; [unrolled: 9-line block ×7, first 2 shown]
	v_cmp_gt_u64_e64 s[50:51], s[0:1], v[56:57]
	s_nop 1
	v_cndmask_b32_e64 v2, 0, v2, s[50:51]
	v_add_u32_e32 v62, v2, v56
	v_or3_b32 v2, v55, v51, v49
	v_or3_b32 v2, v2, v47, v45
	;; [unrolled: 1-line block ×10, first 2 shown]
	v_and_b32_e32 v2, 1, v2
	v_cmp_eq_u32_e64 s[0:1], 1, v2
	v_add_lshl_u32 v2, v1, v0, 3
	s_nop 0
	v_cndmask_b32_e64 v63, v11, 1, s[0:1]
	ds_write_b32 v2, v62
	ds_write_b8 v2, v63 offset:4
	s_waitcnt lgkmcnt(0)
	s_barrier
	s_and_saveexec_b64 s[52:53], vcc
	s_cbranch_execz .LBB1655_150
; %bb.139:
	v_lshrrev_b32_e32 v2, 3, v0
	v_add_lshl_u32 v4, v2, v54, 3
	ds_read2_b32 v[6:7], v4 offset0:2 offset1:4
	ds_read_b64 v[2:3], v4
	ds_read_u8 v8, v4 offset:12
	ds_read_u8 v9, v4 offset:20
	ds_read_b32 v58, v4 offset:24
	ds_read_u8 v59, v4 offset:28
	v_mov_b32_e32 v60, 0
	s_waitcnt lgkmcnt(3)
	v_cmp_eq_u16_sdwa s[0:1], v8, v60 src0_sel:BYTE_0 src1_sel:DWORD
	v_and_b32_e32 v5, 1, v3
	s_nop 0
	v_cndmask_b32_e64 v61, 0, v2, s[0:1]
	v_add_u32_e32 v6, v61, v6
	s_waitcnt lgkmcnt(2)
	v_cmp_eq_u16_sdwa s[0:1], v9, v60 src0_sel:BYTE_0 src1_sel:DWORD
	s_nop 1
	v_cndmask_b32_e64 v6, 0, v6, s[0:1]
	v_add_u32_e32 v6, v6, v7
	s_waitcnt lgkmcnt(0)
	v_cmp_eq_u16_e64 s[0:1], 0, v59
	s_nop 1
	v_cndmask_b32_e64 v6, 0, v6, s[0:1]
	v_add_u32_e32 v7, v6, v58
	v_or_b32_e32 v6, v59, v9
	v_or_b32_e32 v6, v6, v8
	v_and_b32_e32 v6, 1, v6
	v_cmp_eq_u32_e64 s[0:1], 1, v6
	v_mbcnt_lo_u32_b32 v8, -1, 0
	v_and_b32_e32 v6, 0xffffff00, v3
	v_cndmask_b32_e64 v9, v5, 1, s[0:1]
	v_mbcnt_hi_u32_b32 v8, -1, v8
	v_and_b32_e32 v59, 15, v8
	v_or_b32_sdwa v58, v6, v9 dst_sel:DWORD dst_unused:UNUSED_PAD src0_sel:DWORD src1_sel:WORD_0
	v_mov_b32_dpp v60, v7 row_shr:1 row_mask:0xf bank_mask:0xf
	v_cmp_ne_u32_e64 s[0:1], 0, v59
	v_mov_b32_dpp v61, v58 row_shr:1 row_mask:0xf bank_mask:0xf
	s_and_saveexec_b64 s[60:61], s[0:1]
; %bb.140:
	v_and_b32_e32 v58, 1, v9
	v_and_b32_e32 v61, 1, v61
	v_cmp_eq_u32_e64 s[0:1], 1, v58
	s_nop 1
	v_cndmask_b32_e64 v61, v61, 1, s[0:1]
	v_cmp_eq_u16_e64 s[0:1], 0, v9
	v_or_b32_sdwa v58, v6, v61 dst_sel:DWORD dst_unused:UNUSED_PAD src0_sel:DWORD src1_sel:WORD_0
	s_nop 0
	v_cndmask_b32_e64 v9, 0, v60, s[0:1]
	v_add_u32_e32 v7, v9, v7
	v_mov_b32_e32 v9, v61
; %bb.141:
	s_or_b64 exec, exec, s[60:61]
	v_mov_b32_dpp v60, v7 row_shr:2 row_mask:0xf bank_mask:0xf
	v_mov_b32_dpp v61, v58 row_shr:2 row_mask:0xf bank_mask:0xf
	v_cmp_lt_u32_e64 s[0:1], 1, v59
	s_and_saveexec_b64 s[60:61], s[0:1]
; %bb.142:
	v_and_b32_e32 v58, 1, v9
	v_and_b32_e32 v61, 1, v61
	v_cmp_eq_u32_e64 s[0:1], 1, v58
	s_nop 1
	v_cndmask_b32_e64 v61, v61, 1, s[0:1]
	v_cmp_eq_u16_e64 s[0:1], 0, v9
	v_or_b32_sdwa v58, v6, v61 dst_sel:DWORD dst_unused:UNUSED_PAD src0_sel:DWORD src1_sel:WORD_0
	s_nop 0
	v_cndmask_b32_e64 v9, 0, v60, s[0:1]
	v_add_u32_e32 v7, v9, v7
	v_mov_b32_e32 v9, v61
; %bb.143:
	s_or_b64 exec, exec, s[60:61]
	v_mov_b32_dpp v60, v7 row_shr:4 row_mask:0xf bank_mask:0xf
	v_mov_b32_dpp v61, v58 row_shr:4 row_mask:0xf bank_mask:0xf
	v_cmp_lt_u32_e64 s[0:1], 3, v59
	s_and_saveexec_b64 s[60:61], s[0:1]
; %bb.144:
	v_and_b32_e32 v58, 1, v9
	v_and_b32_e32 v61, 1, v61
	v_cmp_eq_u32_e64 s[0:1], 1, v58
	s_nop 1
	v_cndmask_b32_e64 v61, v61, 1, s[0:1]
	v_cmp_eq_u16_e64 s[0:1], 0, v9
	v_or_b32_sdwa v58, v6, v61 dst_sel:DWORD dst_unused:UNUSED_PAD src0_sel:DWORD src1_sel:WORD_0
	s_nop 0
	v_cndmask_b32_e64 v9, 0, v60, s[0:1]
	v_add_u32_e32 v7, v9, v7
	v_mov_b32_e32 v9, v61
; %bb.145:
	s_or_b64 exec, exec, s[60:61]
	v_mov_b32_dpp v60, v7 row_shr:8 row_mask:0xf bank_mask:0xf
	v_mov_b32_dpp v61, v58 row_shr:8 row_mask:0xf bank_mask:0xf
	v_cmp_lt_u32_e64 s[0:1], 7, v59
	s_and_saveexec_b64 s[60:61], s[0:1]
; %bb.146:
	v_and_b32_e32 v58, 1, v9
	v_and_b32_e32 v59, 1, v61
	v_cmp_eq_u32_e64 s[0:1], 1, v58
	s_nop 1
	v_cndmask_b32_e64 v59, v59, 1, s[0:1]
	v_cmp_eq_u16_e64 s[0:1], 0, v9
	v_or_b32_sdwa v58, v6, v59 dst_sel:DWORD dst_unused:UNUSED_PAD src0_sel:DWORD src1_sel:WORD_0
	s_nop 0
	v_cndmask_b32_e64 v9, 0, v60, s[0:1]
	v_add_u32_e32 v7, v9, v7
	v_mov_b32_e32 v9, v59
; %bb.147:
	s_or_b64 exec, exec, s[60:61]
	v_and_b32_e32 v61, 16, v8
	v_mov_b32_dpp v59, v7 row_bcast:15 row_mask:0xf bank_mask:0xf
	v_mov_b32_dpp v60, v58 row_bcast:15 row_mask:0xf bank_mask:0xf
	v_cmp_ne_u32_e64 s[0:1], 0, v61
	s_and_saveexec_b64 s[60:61], s[0:1]
; %bb.148:
	v_and_b32_e32 v58, 1, v9
	v_and_b32_e32 v60, 1, v60
	v_cmp_eq_u32_e64 s[0:1], 1, v58
	s_nop 1
	v_cndmask_b32_e64 v60, v60, 1, s[0:1]
	v_cmp_eq_u16_e64 s[0:1], 0, v9
	v_or_b32_sdwa v58, v6, v60 dst_sel:DWORD dst_unused:UNUSED_PAD src0_sel:DWORD src1_sel:WORD_0
	s_nop 0
	v_cndmask_b32_e64 v9, 0, v59, s[0:1]
	v_add_u32_e32 v7, v9, v7
	v_mov_b32_e32 v9, v60
; %bb.149:
	s_or_b64 exec, exec, s[60:61]
	v_mov_b32_dpp v58, v58 row_bcast:31 row_mask:0xf bank_mask:0xf
	v_and_b32_e32 v60, 1, v9
	v_and_b32_e32 v58, 1, v58
	v_cmp_eq_u32_e64 s[0:1], 1, v60
	v_mov_b32_e32 v60, 0
	v_cmp_eq_u16_sdwa s[60:61], v9, v60 src0_sel:BYTE_0 src1_sel:DWORD
	v_cndmask_b32_e64 v58, v58, 1, s[0:1]
	v_cmp_lt_u32_e64 s[0:1], 31, v8
	v_mov_b32_dpp v59, v7 row_bcast:31 row_mask:0xf bank_mask:0xf
	s_movk_i32 s64, 0xff
	v_cndmask_b32_e64 v9, v9, v58, s[0:1]
	s_and_b64 s[0:1], s[0:1], s[60:61]
	v_cndmask_b32_e64 v58, 0, v59, s[0:1]
	v_add_u32_e32 v7, v58, v7
	v_add_u32_e32 v58, -1, v8
	v_and_b32_e32 v59, 64, v8
	v_cmp_lt_i32_e64 s[0:1], v58, v59
	v_and_or_b32 v6, v9, s64, v6
	s_nop 0
	v_cndmask_b32_e64 v8, v58, v8, s[0:1]
	v_lshlrev_b32_e32 v8, 2, v8
	ds_bpermute_b32 v7, v8, v7
	ds_bpermute_b32 v6, v8, v6
	v_cmp_eq_u16_sdwa s[0:1], v3, v60 src0_sel:BYTE_0 src1_sel:DWORD
	; wave barrier
	s_waitcnt lgkmcnt(1)
	s_nop 0
	v_cndmask_b32_e64 v3, 0, v7, s[0:1]
	v_add_u32_e32 v2, v3, v2
	s_waitcnt lgkmcnt(0)
	v_and_b32_e32 v3, 1, v6
	v_cmp_eq_u32_e64 s[0:1], 1, v5
	v_cndmask_b32_e64 v5, v2, v62, s[54:55]
	s_nop 0
	v_cndmask_b32_e64 v3, v3, 1, s[0:1]
	v_cndmask_b32_e64 v6, v3, v63, s[54:55]
	ds_write_b32 v4, v5
	ds_write_b8 v4, v6 offset:4
	; wave barrier
	ds_read_u8 v7, v4 offset:12
	ds_read2_b32 v[2:3], v4 offset0:2 offset1:4
	ds_read_u8 v8, v4 offset:20
	ds_read_b32 v9, v4 offset:24
	ds_read_u8 v58, v4 offset:28
	s_waitcnt lgkmcnt(4)
	v_cmp_eq_u16_e64 s[0:1], 0, v7
	s_nop 1
	v_cndmask_b32_e64 v5, 0, v5, s[0:1]
	s_waitcnt lgkmcnt(3)
	v_add_u32_e32 v2, v5, v2
	v_and_b32_e32 v5, 1, v7
	v_cmp_eq_u32_e64 s[0:1], 1, v5
	s_nop 1
	v_cndmask_b32_e64 v5, v6, 1, s[0:1]
	s_waitcnt lgkmcnt(2)
	v_cmp_eq_u16_e64 s[0:1], 0, v8
	ds_write_b8 v4, v5 offset:12
	s_nop 0
	v_cndmask_b32_e64 v6, 0, v2, s[0:1]
	v_add_u32_e32 v3, v6, v3
	v_and_b32_e32 v6, 1, v8
	v_cmp_eq_u32_e64 s[0:1], 1, v6
	s_nop 1
	v_cndmask_b32_e64 v5, v5, 1, s[0:1]
	s_waitcnt lgkmcnt(1)
	v_cmp_eq_u16_e64 s[0:1], 0, v58
	ds_write2_b32 v4, v2, v3 offset0:2 offset1:4
	ds_write_b8 v4, v5 offset:20
	v_cndmask_b32_e64 v2, 0, v3, s[0:1]
	v_and_b32_e32 v3, 1, v58
	v_add_u32_e32 v2, v2, v9
	v_cmp_eq_u32_e64 s[0:1], 1, v3
	s_nop 1
	v_cndmask_b32_e64 v3, v5, 1, s[0:1]
	ds_write_b32 v4, v2 offset:24
	ds_write_b8 v4, v3 offset:28
.LBB1655_150:
	s_or_b64 exec, exec, s[52:53]
	s_waitcnt lgkmcnt(0)
	s_barrier
	s_and_saveexec_b64 s[0:1], s[4:5]
	s_cbranch_execz .LBB1655_152
; %bb.151:
	v_add_u32_e32 v2, -1, v0
	v_lshrrev_b32_e32 v3, 5, v2
	v_add_lshl_u32 v2, v3, v2, 3
	ds_read_b32 v62, v2
	ds_read_u8 v63, v2 offset:4
.LBB1655_152:
	s_or_b64 exec, exec, s[0:1]
	s_and_saveexec_b64 s[60:61], vcc
	s_cbranch_execz .LBB1655_175
; %bb.153:
	v_mov_b32_e32 v5, 0
	ds_read_b64 v[2:3], v5 offset:2096
	v_mbcnt_lo_u32_b32 v4, -1, 0
	v_mbcnt_hi_u32_b32 v73, -1, v4
	s_mov_b32 s65, 0
	v_cmp_eq_u32_e64 s[52:53], 0, v73
	s_waitcnt lgkmcnt(0)
	v_readfirstlane_b32 s70, v3
	s_and_saveexec_b64 s[0:1], s[52:53]
	s_cbranch_execz .LBB1655_155
; %bb.154:
	s_add_i32 s64, s75, 64
	s_lshl_b64 s[68:69], s[64:65], 4
	s_add_u32 s68, s72, s68
	s_addc_u32 s69, s73, s69
	s_and_b32 s79, s70, 0xff000000
	s_mov_b32 s78, s65
	s_and_b32 s81, s70, 0xff0000
	s_mov_b32 s80, s65
	s_or_b64 s[78:79], s[80:81], s[78:79]
	s_and_b32 s81, s70, 0xff00
	s_or_b64 s[78:79], s[78:79], s[80:81]
	s_and_b32 s81, s70, 0xff
	s_or_b64 s[64:65], s[78:79], s[80:81]
	v_mov_b32_e32 v3, s65
	v_mov_b32_e32 v4, 1
	v_mov_b64_e32 v[6:7], s[68:69]
	;;#ASMSTART
	global_store_dwordx4 v[6:7], v[2:5] off sc1	
s_waitcnt vmcnt(0)
	;;#ASMEND
.LBB1655_155:
	s_or_b64 exec, exec, s[0:1]
	v_xad_u32 v58, v73, -1, s75
	v_add_u32_e32 v4, 64, v58
	v_lshl_add_u64 v[60:61], v[4:5], 4, s[72:73]
	;;#ASMSTART
	global_load_dwordx4 v[6:9], v[60:61] off sc1	
s_waitcnt vmcnt(0)
	;;#ASMEND
	s_nop 0
	v_and_b32_e32 v3, 0xff0000, v6
	v_and_b32_e32 v4, 0xff000000, v6
	;; [unrolled: 1-line block ×3, first 2 shown]
	v_or_b32_sdwa v3, v6, v3 dst_sel:DWORD dst_unused:UNUSED_PAD src0_sel:WORD_0 src1_sel:DWORD
	v_or3_b32 v7, 0, 0, v7
	v_or3_b32 v6, v3, v4, 0
	v_cmp_eq_u16_sdwa s[64:65], v8, v5 src0_sel:BYTE_0 src1_sel:DWORD
	s_and_saveexec_b64 s[0:1], s[64:65]
	s_cbranch_execz .LBB1655_161
; %bb.156:
	s_mov_b32 s68, 1
	s_mov_b64 s[64:65], 0
	v_mov_b32_e32 v3, 0
.LBB1655_157:                           ; =>This Loop Header: Depth=1
                                        ;     Child Loop BB1655_158 Depth 2
	s_max_u32 s69, s68, 1
.LBB1655_158:                           ;   Parent Loop BB1655_157 Depth=1
                                        ; =>  This Inner Loop Header: Depth=2
	s_add_i32 s69, s69, -1
	s_cmp_eq_u32 s69, 0
	s_sleep 1
	s_cbranch_scc0 .LBB1655_158
; %bb.159:                              ;   in Loop: Header=BB1655_157 Depth=1
	s_cmp_lt_u32 s68, 32
	s_cselect_b64 s[78:79], -1, 0
	s_cmp_lg_u64 s[78:79], 0
	s_addc_u32 s68, s68, 0
	;;#ASMSTART
	global_load_dwordx4 v[6:9], v[60:61] off sc1	
s_waitcnt vmcnt(0)
	;;#ASMEND
	s_nop 0
	v_cmp_ne_u16_sdwa s[78:79], v8, v3 src0_sel:BYTE_0 src1_sel:DWORD
	s_or_b64 s[64:65], s[78:79], s[64:65]
	s_andn2_b64 exec, exec, s[64:65]
	s_cbranch_execnz .LBB1655_157
; %bb.160:
	s_or_b64 exec, exec, s[64:65]
	v_and_b32_e32 v7, 0xff, v7
.LBB1655_161:
	s_or_b64 exec, exec, s[0:1]
	v_mov_b32_e32 v3, 2
	v_cmp_eq_u16_sdwa s[0:1], v8, v3 src0_sel:BYTE_0 src1_sel:DWORD
	v_lshlrev_b64 v[4:5], v73, -1
	v_and_b32_e32 v64, 63, v73
	v_and_b32_e32 v9, s1, v5
	v_or_b32_e32 v9, 0x80000000, v9
	v_and_b32_e32 v59, s0, v4
	v_ffbl_b32_e32 v9, v9
	v_add_u32_e32 v9, 32, v9
	v_ffbl_b32_e32 v59, v59
	v_cmp_ne_u32_e32 vcc, 63, v64
	v_min_u32_e32 v9, v59, v9
	s_mov_b32 s64, 0
	v_addc_co_u32_e32 v59, vcc, 0, v73, vcc
	v_lshlrev_b32_e32 v65, 2, v59
	ds_bpermute_b32 v59, v65, v7
	ds_bpermute_b32 v60, v65, v6
	v_and_b32_e32 v61, 1, v7
	s_mov_b32 s65, 1
	v_cmp_eq_u32_e32 vcc, 1, v61
	s_waitcnt lgkmcnt(1)
	v_and_b32_e32 v59, 1, v59
	v_cmp_lt_u32_e64 s[0:1], v64, v9
	v_cndmask_b32_e64 v59, v59, 1, vcc
	v_cmp_gt_u64_e32 vcc, s[64:65], v[6:7]
	s_and_b64 vcc, s[0:1], vcc
	v_and_b32_e32 v61, 0xffff, v59
	v_cndmask_b32_e64 v68, v7, v59, s[0:1]
	s_waitcnt lgkmcnt(0)
	v_cndmask_b32_e32 v59, 0, v60, vcc
	v_cmp_gt_u32_e32 vcc, 62, v64
	v_cndmask_b32_e64 v7, v7, v61, s[0:1]
	v_add_u32_e32 v6, v59, v6
	v_cndmask_b32_e64 v60, 0, 1, vcc
	v_lshlrev_b32_e32 v60, 1, v60
	v_add_lshl_u32 v66, v60, v73, 2
	ds_bpermute_b32 v60, v66, v7
	ds_bpermute_b32 v61, v66, v6
	v_and_b32_e32 v59, 1, v68
	v_cmp_eq_u32_e32 vcc, 1, v59
	v_mov_b32_e32 v59, 0
	s_waitcnt lgkmcnt(1)
	v_and_b32_e32 v60, 1, v60
	v_add_u32_e32 v67, 2, v64
	v_cndmask_b32_e64 v60, v60, 1, vcc
	v_cmp_eq_u16_sdwa vcc, v68, v59 src0_sel:BYTE_0 src1_sel:DWORD
	v_and_b32_e32 v69, 0xffff, v60
	v_add_u32_e32 v77, 32, v64
	s_waitcnt lgkmcnt(0)
	v_cndmask_b32_e32 v61, 0, v61, vcc
	v_cmp_gt_u32_e32 vcc, v67, v9
	s_nop 1
	v_cndmask_b32_e32 v60, v60, v68, vcc
	v_cndmask_b32_e64 v61, v61, 0, vcc
	v_cndmask_b32_e32 v7, v69, v7, vcc
	v_cmp_gt_u32_e32 vcc, 60, v64
	v_add_u32_e32 v6, v61, v6
	v_and_b32_e32 v71, 1, v60
	v_cndmask_b32_e64 v68, 0, 1, vcc
	v_lshlrev_b32_e32 v68, 2, v68
	v_add_lshl_u32 v68, v68, v73, 2
	ds_bpermute_b32 v70, v68, v7
	ds_bpermute_b32 v61, v68, v6
	v_cmp_eq_u32_e32 vcc, 1, v71
	v_add_u32_e32 v69, 4, v64
	s_waitcnt lgkmcnt(1)
	v_and_b32_e32 v70, 1, v70
	v_cndmask_b32_e64 v70, v70, 1, vcc
	v_cmp_eq_u16_sdwa vcc, v60, v59 src0_sel:BYTE_0 src1_sel:DWORD
	v_and_b32_e32 v71, 0xffff, v70
	s_waitcnt lgkmcnt(0)
	v_cndmask_b32_e32 v61, 0, v61, vcc
	v_cmp_gt_u32_e32 vcc, v69, v9
	s_nop 1
	v_cndmask_b32_e32 v60, v70, v60, vcc
	v_cndmask_b32_e64 v61, v61, 0, vcc
	v_cndmask_b32_e32 v7, v71, v7, vcc
	v_cmp_gt_u32_e32 vcc, 56, v64
	v_add_u32_e32 v6, v61, v6
	v_and_b32_e32 v74, 1, v60
	v_cndmask_b32_e64 v70, 0, 1, vcc
	v_lshlrev_b32_e32 v70, 3, v70
	v_add_lshl_u32 v70, v70, v73, 2
	ds_bpermute_b32 v72, v70, v7
	ds_bpermute_b32 v61, v70, v6
	v_cmp_eq_u32_e32 vcc, 1, v74
	v_add_u32_e32 v71, 8, v64
	s_waitcnt lgkmcnt(1)
	v_and_b32_e32 v72, 1, v72
	v_cndmask_b32_e64 v72, v72, 1, vcc
	v_cmp_eq_u16_sdwa vcc, v60, v59 src0_sel:BYTE_0 src1_sel:DWORD
	v_and_b32_e32 v74, 0xffff, v72
	;; [unrolled: 22-line block ×3, first 2 shown]
	s_waitcnt lgkmcnt(0)
	v_cndmask_b32_e32 v61, 0, v61, vcc
	v_cmp_gt_u32_e32 vcc, v74, v9
	s_nop 1
	v_cndmask_b32_e32 v60, v75, v60, vcc
	v_cndmask_b32_e64 v61, v61, 0, vcc
	v_cndmask_b32_e32 v7, v76, v7, vcc
	v_cmp_gt_u32_e32 vcc, 32, v64
	v_add_u32_e32 v6, v61, v6
	s_nop 0
	v_cndmask_b32_e64 v75, 0, 1, vcc
	v_lshlrev_b32_e32 v75, 5, v75
	v_add_lshl_u32 v76, v75, v73, 2
	ds_bpermute_b32 v7, v76, v7
	ds_bpermute_b32 v61, v76, v6
	v_and_b32_e32 v73, 1, v60
	v_cmp_eq_u32_e32 vcc, 1, v73
	s_waitcnt lgkmcnt(1)
	v_and_b32_e32 v7, 1, v7
	v_cndmask_b32_e64 v7, v7, 1, vcc
	v_cmp_eq_u16_sdwa vcc, v60, v59 src0_sel:BYTE_0 src1_sel:DWORD
	s_waitcnt lgkmcnt(0)
	s_nop 0
	v_cndmask_b32_e32 v61, 0, v61, vcc
	v_cmp_gt_u32_e32 vcc, v77, v9
	s_nop 1
	v_cndmask_b32_e64 v9, v61, 0, vcc
	v_cndmask_b32_e32 v7, v7, v60, vcc
	v_add_u32_e32 v6, v9, v6
	s_branch .LBB1655_163
.LBB1655_162:                           ;   in Loop: Header=BB1655_163 Depth=1
	s_or_b64 exec, exec, s[0:1]
	v_cmp_eq_u16_sdwa s[0:1], v8, v3 src0_sel:BYTE_0 src1_sel:DWORD
	ds_bpermute_b32 v61, v65, v7
	v_and_b32_e32 v78, 1, v7
	v_and_b32_e32 v9, s1, v5
	v_or_b32_e32 v9, 0x80000000, v9
	v_and_b32_e32 v60, s0, v4
	v_ffbl_b32_e32 v9, v9
	v_add_u32_e32 v9, 32, v9
	v_ffbl_b32_e32 v60, v60
	v_min_u32_e32 v9, v60, v9
	ds_bpermute_b32 v60, v65, v6
	s_waitcnt lgkmcnt(1)
	v_and_b32_e32 v61, 1, v61
	v_cmp_eq_u32_e32 vcc, 1, v78
	v_cmp_lt_u32_e64 s[0:1], v64, v9
	v_subrev_u32_e32 v58, 64, v58
	v_cndmask_b32_e64 v61, v61, 1, vcc
	v_cmp_gt_u64_e32 vcc, s[64:65], v[6:7]
	v_and_b32_e32 v78, 0xffff, v61
	v_cndmask_b32_e64 v61, v7, v61, s[0:1]
	v_cndmask_b32_e64 v7, v7, v78, s[0:1]
	s_and_b64 vcc, s[0:1], vcc
	ds_bpermute_b32 v78, v66, v7
	s_waitcnt lgkmcnt(1)
	v_cndmask_b32_e32 v60, 0, v60, vcc
	v_add_u32_e32 v6, v60, v6
	ds_bpermute_b32 v60, v66, v6
	v_and_b32_e32 v79, 1, v61
	s_waitcnt lgkmcnt(1)
	v_and_b32_e32 v78, 1, v78
	v_cmp_eq_u32_e32 vcc, 1, v79
	s_nop 1
	v_cndmask_b32_e64 v78, v78, 1, vcc
	v_cmp_eq_u16_sdwa vcc, v61, v59 src0_sel:BYTE_0 src1_sel:DWORD
	v_and_b32_e32 v79, 0xffff, v78
	s_waitcnt lgkmcnt(0)
	v_cndmask_b32_e32 v60, 0, v60, vcc
	v_cmp_gt_u32_e32 vcc, v67, v9
	s_nop 1
	v_cndmask_b32_e32 v7, v79, v7, vcc
	v_cndmask_b32_e32 v61, v78, v61, vcc
	ds_bpermute_b32 v78, v68, v7
	v_cndmask_b32_e64 v60, v60, 0, vcc
	v_add_u32_e32 v6, v60, v6
	ds_bpermute_b32 v60, v68, v6
	v_and_b32_e32 v79, 1, v61
	s_waitcnt lgkmcnt(1)
	v_and_b32_e32 v78, 1, v78
	v_cmp_eq_u32_e32 vcc, 1, v79
	s_nop 1
	v_cndmask_b32_e64 v78, v78, 1, vcc
	v_cmp_eq_u16_sdwa vcc, v61, v59 src0_sel:BYTE_0 src1_sel:DWORD
	v_and_b32_e32 v79, 0xffff, v78
	s_waitcnt lgkmcnt(0)
	v_cndmask_b32_e32 v60, 0, v60, vcc
	v_cmp_gt_u32_e32 vcc, v69, v9
	s_nop 1
	v_cndmask_b32_e32 v7, v79, v7, vcc
	v_cndmask_b32_e32 v61, v78, v61, vcc
	ds_bpermute_b32 v78, v70, v7
	v_cndmask_b32_e64 v60, v60, 0, vcc
	;; [unrolled: 18-line block ×3, first 2 shown]
	v_add_u32_e32 v6, v60, v6
	ds_bpermute_b32 v60, v72, v6
	v_and_b32_e32 v79, 1, v61
	s_waitcnt lgkmcnt(1)
	v_and_b32_e32 v78, 1, v78
	v_cmp_eq_u32_e32 vcc, 1, v79
	s_nop 1
	v_cndmask_b32_e64 v78, v78, 1, vcc
	v_cmp_eq_u16_sdwa vcc, v61, v59 src0_sel:BYTE_0 src1_sel:DWORD
	v_and_b32_e32 v79, 0xffff, v78
	s_waitcnt lgkmcnt(0)
	v_cndmask_b32_e32 v60, 0, v60, vcc
	v_cmp_gt_u32_e32 vcc, v74, v9
	s_nop 1
	v_cndmask_b32_e64 v60, v60, 0, vcc
	v_cndmask_b32_e32 v7, v79, v7, vcc
	ds_bpermute_b32 v7, v76, v7
	v_add_u32_e32 v6, v60, v6
	ds_bpermute_b32 v60, v76, v6
	v_cndmask_b32_e32 v61, v78, v61, vcc
	v_and_b32_e32 v78, 1, v61
	v_cmp_eq_u32_e32 vcc, 1, v78
	s_waitcnt lgkmcnt(1)
	s_nop 0
	v_cndmask_b32_e64 v7, v7, 1, vcc
	v_cmp_eq_u16_sdwa vcc, v61, v59 src0_sel:BYTE_0 src1_sel:DWORD
	s_waitcnt lgkmcnt(0)
	s_nop 0
	v_cndmask_b32_e32 v60, 0, v60, vcc
	v_cmp_gt_u32_e32 vcc, v77, v9
	s_nop 1
	v_cndmask_b32_e64 v9, v60, 0, vcc
	v_cndmask_b32_e32 v7, v7, v61, vcc
	v_add_u32_e32 v6, v9, v6
	v_cmp_eq_u16_sdwa vcc, v73, v59 src0_sel:BYTE_0 src1_sel:DWORD
	v_and_b32_e32 v9, 1, v73
	v_and_b32_e32 v7, 1, v7
	v_cndmask_b32_e32 v6, 0, v6, vcc
	v_cmp_eq_u32_e32 vcc, 1, v9
	v_add_u32_e32 v6, v6, v75
	s_nop 0
	v_cndmask_b32_e64 v7, v7, 1, vcc
.LBB1655_163:                           ; =>This Loop Header: Depth=1
                                        ;     Child Loop BB1655_166 Depth 2
                                        ;       Child Loop BB1655_167 Depth 3
	v_cmp_ne_u16_sdwa s[0:1], v8, v3 src0_sel:BYTE_0 src1_sel:DWORD
	v_mov_b32_e32 v73, v7
	v_mov_b32_e32 v75, v6
	v_cndmask_b32_e64 v7, 0, 1, s[0:1]
	;;#ASMSTART
	;;#ASMEND
	s_nop 0
	v_cmp_ne_u32_e32 vcc, 0, v7
	s_cmp_lg_u64 vcc, exec
	s_cbranch_scc1 .LBB1655_170
; %bb.164:                              ;   in Loop: Header=BB1655_163 Depth=1
	v_lshl_add_u64 v[60:61], v[58:59], 4, s[72:73]
	;;#ASMSTART
	global_load_dwordx4 v[6:9], v[60:61] off sc1	
s_waitcnt vmcnt(0)
	;;#ASMEND
	s_nop 0
	v_and_b32_e32 v9, 0xff0000, v6
	v_and_b32_e32 v78, 0xff000000, v6
	v_and_b32_e32 v7, 0xff, v7
	v_or_b32_sdwa v6, v6, v9 dst_sel:DWORD dst_unused:UNUSED_PAD src0_sel:WORD_0 src1_sel:DWORD
	v_or3_b32 v7, 0, 0, v7
	v_or3_b32 v6, v6, v78, 0
	v_cmp_eq_u16_sdwa s[68:69], v8, v59 src0_sel:BYTE_0 src1_sel:DWORD
	s_and_saveexec_b64 s[0:1], s[68:69]
	s_cbranch_execz .LBB1655_162
; %bb.165:                              ;   in Loop: Header=BB1655_163 Depth=1
	s_mov_b32 s71, 1
	s_mov_b64 s[68:69], 0
.LBB1655_166:                           ;   Parent Loop BB1655_163 Depth=1
                                        ; =>  This Loop Header: Depth=2
                                        ;       Child Loop BB1655_167 Depth 3
	s_max_u32 s78, s71, 1
.LBB1655_167:                           ;   Parent Loop BB1655_163 Depth=1
                                        ;     Parent Loop BB1655_166 Depth=2
                                        ; =>    This Inner Loop Header: Depth=3
	s_add_i32 s78, s78, -1
	s_cmp_eq_u32 s78, 0
	s_sleep 1
	s_cbranch_scc0 .LBB1655_167
; %bb.168:                              ;   in Loop: Header=BB1655_166 Depth=2
	s_cmp_lt_u32 s71, 32
	s_cselect_b64 s[78:79], -1, 0
	s_cmp_lg_u64 s[78:79], 0
	s_addc_u32 s71, s71, 0
	;;#ASMSTART
	global_load_dwordx4 v[6:9], v[60:61] off sc1	
s_waitcnt vmcnt(0)
	;;#ASMEND
	s_nop 0
	v_cmp_ne_u16_sdwa s[78:79], v8, v59 src0_sel:BYTE_0 src1_sel:DWORD
	s_or_b64 s[68:69], s[78:79], s[68:69]
	s_andn2_b64 exec, exec, s[68:69]
	s_cbranch_execnz .LBB1655_166
; %bb.169:                              ;   in Loop: Header=BB1655_163 Depth=1
	s_or_b64 exec, exec, s[68:69]
	v_and_b32_e32 v7, 0xff, v7
	s_branch .LBB1655_162
.LBB1655_170:                           ;   in Loop: Header=BB1655_163 Depth=1
                                        ; implicit-def: $vgpr7
                                        ; implicit-def: $vgpr6
                                        ; implicit-def: $vgpr8
	s_cbranch_execz .LBB1655_163
; %bb.171:
	s_and_saveexec_b64 s[0:1], s[52:53]
	s_cbranch_execz .LBB1655_173
; %bb.172:
	s_and_b32 s52, s70, 0xff
	s_cmp_eq_u32 s52, 0
	s_cselect_b64 vcc, -1, 0
	s_bitcmp1_b32 s70, 0
	s_mov_b32 s53, 0
	s_cselect_b64 s[64:65], -1, 0
	s_add_i32 s52, s75, 64
	s_lshl_b64 s[52:53], s[52:53], 4
	v_cndmask_b32_e32 v3, 0, v75, vcc
	s_add_u32 s52, s72, s52
	v_add_u32_e32 v2, v3, v2
	v_and_b32_e32 v3, 1, v73
	s_addc_u32 s53, s73, s53
	v_mov_b32_e32 v5, 0
	v_cndmask_b32_e64 v3, v3, 1, s[64:65]
	v_mov_b32_e32 v4, 2
	v_mov_b64_e32 v[6:7], s[52:53]
	;;#ASMSTART
	global_store_dwordx4 v[6:7], v[2:5] off sc1	
s_waitcnt vmcnt(0)
	;;#ASMEND
.LBB1655_173:
	s_or_b64 exec, exec, s[0:1]
	s_and_b64 exec, exec, s[54:55]
	s_cbranch_execz .LBB1655_175
; %bb.174:
	v_mov_b32_e32 v2, 0
	ds_write_b32 v2, v75
	ds_write_b8 v2, v73 offset:4
.LBB1655_175:
	s_or_b64 exec, exec, s[60:61]
	s_mov_b32 s0, 0
	v_mov_b32_e32 v2, 0
	s_mov_b32 s1, 1
	s_waitcnt lgkmcnt(0)
	s_barrier
	ds_read_b32 v3, v2
	v_cmp_gt_u64_e32 vcc, s[0:1], v[10:11]
	v_and_b32_e32 v5, 1, v11
	v_and_b32_e32 v6, 1, v63
	v_cndmask_b32_e32 v4, 0, v62, vcc
	v_cmp_eq_u32_e32 vcc, 1, v5
	v_cndmask_b32_e64 v4, v4, 0, s[54:55]
	s_nop 0
	v_cndmask_b32_e64 v5, v6, 1, vcc
	v_cndmask_b32_e64 v5, v5, v11, s[54:55]
	v_cmp_eq_u16_sdwa vcc, v5, v2 src0_sel:BYTE_0 src1_sel:DWORD
	s_waitcnt lgkmcnt(0)
	s_nop 0
	v_cndmask_b32_e32 v2, 0, v3, vcc
	v_add3_u32 v80, v4, v10, v2
	v_cndmask_b32_e64 v2, 0, v80, s[6:7]
	v_add_u32_e32 v58, v2, v12
	v_cndmask_b32_e64 v2, 0, v58, s[8:9]
	v_add_u32_e32 v59, v2, v14
	;; [unrolled: 2-line block ×22, first 2 shown]
	s_branch .LBB1655_196
.LBB1655_176:
                                        ; implicit-def: $vgpr78
                                        ; implicit-def: $vgpr77
                                        ; implicit-def: $vgpr76
                                        ; implicit-def: $vgpr75
                                        ; implicit-def: $vgpr74
                                        ; implicit-def: $vgpr73
                                        ; implicit-def: $vgpr72
                                        ; implicit-def: $vgpr71
                                        ; implicit-def: $vgpr70
                                        ; implicit-def: $vgpr69
                                        ; implicit-def: $vgpr68
                                        ; implicit-def: $vgpr67
                                        ; implicit-def: $vgpr66
                                        ; implicit-def: $vgpr65
                                        ; implicit-def: $vgpr64
                                        ; implicit-def: $vgpr63
                                        ; implicit-def: $vgpr62
                                        ; implicit-def: $vgpr61
                                        ; implicit-def: $vgpr60
                                        ; implicit-def: $vgpr59
                                        ; implicit-def: $vgpr58
                                        ; implicit-def: $vgpr80
                                        ; implicit-def: $vgpr79
	s_cbranch_execz .LBB1655_196
; %bb.177:
	s_cmp_lg_u64 s[76:77], 0
	s_cselect_b32 s9, s67, 0
	s_cselect_b32 s8, s66, 0
	s_cmp_lg_u64 s[8:9], 0
	s_cselect_b64 s[6:7], -1, 0
	s_mov_b32 s0, 0
	s_and_b64 s[10:11], s[54:55], s[6:7]
	s_and_saveexec_b64 s[6:7], s[10:11]
	s_cbranch_execz .LBB1655_179
; %bb.178:
	v_mov_b32_e32 v2, 0
	global_load_dword v4, v2, s[8:9]
	global_load_ubyte v5, v2, s[8:9] offset:4
	s_mov_b32 s1, 1
	v_and_b32_e32 v3, 1, v11
	v_cmp_gt_u64_e32 vcc, s[0:1], v[10:11]
	s_waitcnt vmcnt(0)
	v_and_b32_e32 v5, 1, v5
	v_cndmask_b32_e32 v4, 0, v4, vcc
	v_cmp_eq_u64_e32 vcc, 0, v[2:3]
	v_add_u32_e32 v10, v4, v10
	s_nop 0
	v_cndmask_b32_e32 v11, 1, v5, vcc
.LBB1655_179:
	s_or_b64 exec, exec, s[6:7]
	s_mov_b32 s1, 1
	v_cmp_gt_u64_e32 vcc, s[0:1], v[12:13]
	v_cmp_gt_u64_e64 s[6:7], s[0:1], v[14:15]
	v_cmp_gt_u64_e64 s[8:9], s[0:1], v[16:17]
	v_cndmask_b32_e32 v2, 0, v10, vcc
	v_add_u32_e32 v58, v2, v12
	v_cndmask_b32_e64 v2, 0, v58, s[6:7]
	v_add_u32_e32 v59, v2, v14
	v_cndmask_b32_e64 v2, 0, v59, s[8:9]
	v_add_u32_e32 v60, v2, v16
	v_cmp_gt_u64_e64 s[10:11], s[0:1], v[18:19]
	v_cmp_gt_u64_e64 s[12:13], s[0:1], v[20:21]
	v_cmp_gt_u64_e64 s[14:15], s[0:1], v[22:23]
	v_cndmask_b32_e64 v2, 0, v60, s[10:11]
	v_add_u32_e32 v61, v2, v18
	v_cndmask_b32_e64 v2, 0, v61, s[12:13]
	v_add_u32_e32 v62, v2, v20
	v_cndmask_b32_e64 v2, 0, v62, s[14:15]
	v_add_u32_e32 v63, v2, v22
	v_cmp_gt_u64_e64 s[16:17], s[0:1], v[24:25]
	v_cmp_gt_u64_e64 s[18:19], s[0:1], v[26:27]
	v_cmp_gt_u64_e64 s[20:21], s[0:1], v[28:29]
	v_cndmask_b32_e64 v2, 0, v63, s[16:17]
	;; [unrolled: 9-line block ×6, first 2 shown]
	v_add_u32_e32 v76, v2, v48
	v_cndmask_b32_e64 v2, 0, v76, s[44:45]
	v_add_u32_e32 v77, v2, v50
	v_cndmask_b32_e64 v2, 0, v77, s[46:47]
	v_add_u32_e32 v78, v2, v52
	v_cmp_gt_u64_e64 s[48:49], s[0:1], v[56:57]
	v_add_lshl_u32 v1, v1, v0, 3
	s_nop 0
	v_cndmask_b32_e64 v2, 0, v78, s[48:49]
	v_add_u32_e32 v79, v2, v56
	v_or3_b32 v2, v55, v51, v49
	v_or3_b32 v2, v2, v47, v45
	;; [unrolled: 1-line block ×10, first 2 shown]
	v_and_b32_e32 v2, 1, v2
	v_cmp_eq_u32_e64 s[0:1], 1, v2
	s_nop 1
	v_cndmask_b32_e64 v4, v11, 1, s[0:1]
	v_cmp_gt_u32_e64 s[0:1], 64, v0
	ds_write_b32 v1, v79
	ds_write_b8 v1, v4 offset:4
	s_waitcnt lgkmcnt(0)
	s_barrier
	s_and_saveexec_b64 s[50:51], s[0:1]
	s_cbranch_execz .LBB1655_191
; %bb.180:
	v_lshrrev_b32_e32 v1, 3, v0
	v_add_lshl_u32 v1, v1, v54, 3
	ds_read2_b32 v[6:7], v1 offset0:2 offset1:4
	ds_read_b64 v[2:3], v1
	ds_read_u8 v8, v1 offset:12
	ds_read_u8 v9, v1 offset:20
	ds_read_b32 v13, v1 offset:24
	ds_read_u8 v15, v1 offset:28
	v_mov_b32_e32 v17, 0
	s_waitcnt lgkmcnt(3)
	v_cmp_eq_u16_sdwa s[0:1], v8, v17 src0_sel:BYTE_0 src1_sel:DWORD
	v_and_b32_e32 v5, 1, v3
	s_nop 0
	v_cndmask_b32_e64 v19, 0, v2, s[0:1]
	v_add_u32_e32 v6, v19, v6
	s_waitcnt lgkmcnt(2)
	v_cmp_eq_u16_sdwa s[0:1], v9, v17 src0_sel:BYTE_0 src1_sel:DWORD
	s_nop 1
	v_cndmask_b32_e64 v6, 0, v6, s[0:1]
	v_add_u32_e32 v6, v6, v7
	s_waitcnt lgkmcnt(0)
	v_cmp_eq_u16_e64 s[0:1], 0, v15
	s_nop 1
	v_cndmask_b32_e64 v6, 0, v6, s[0:1]
	v_add_u32_e32 v7, v6, v13
	v_or_b32_e32 v6, v15, v9
	v_or_b32_e32 v6, v6, v8
	v_and_b32_e32 v6, 1, v6
	v_cmp_eq_u32_e64 s[0:1], 1, v6
	v_mbcnt_lo_u32_b32 v8, -1, 0
	v_and_b32_e32 v6, 0xffffff00, v3
	v_cndmask_b32_e64 v9, v5, 1, s[0:1]
	v_mbcnt_hi_u32_b32 v8, -1, v8
	v_and_b32_e32 v15, 15, v8
	v_or_b32_sdwa v13, v6, v9 dst_sel:DWORD dst_unused:UNUSED_PAD src0_sel:DWORD src1_sel:WORD_0
	v_mov_b32_dpp v17, v7 row_shr:1 row_mask:0xf bank_mask:0xf
	v_cmp_ne_u32_e64 s[0:1], 0, v15
	v_mov_b32_dpp v19, v13 row_shr:1 row_mask:0xf bank_mask:0xf
	s_and_saveexec_b64 s[52:53], s[0:1]
; %bb.181:
	v_and_b32_e32 v13, 1, v9
	v_and_b32_e32 v19, 1, v19
	v_cmp_eq_u32_e64 s[0:1], 1, v13
	s_nop 1
	v_cndmask_b32_e64 v19, v19, 1, s[0:1]
	v_cmp_eq_u16_e64 s[0:1], 0, v9
	v_or_b32_sdwa v13, v6, v19 dst_sel:DWORD dst_unused:UNUSED_PAD src0_sel:DWORD src1_sel:WORD_0
	s_nop 0
	v_cndmask_b32_e64 v9, 0, v17, s[0:1]
	v_add_u32_e32 v7, v9, v7
	v_mov_b32_e32 v9, v19
; %bb.182:
	s_or_b64 exec, exec, s[52:53]
	v_mov_b32_dpp v17, v7 row_shr:2 row_mask:0xf bank_mask:0xf
	v_mov_b32_dpp v19, v13 row_shr:2 row_mask:0xf bank_mask:0xf
	v_cmp_lt_u32_e64 s[0:1], 1, v15
	s_and_saveexec_b64 s[52:53], s[0:1]
; %bb.183:
	v_and_b32_e32 v13, 1, v9
	v_and_b32_e32 v19, 1, v19
	v_cmp_eq_u32_e64 s[0:1], 1, v13
	s_nop 1
	v_cndmask_b32_e64 v19, v19, 1, s[0:1]
	v_cmp_eq_u16_e64 s[0:1], 0, v9
	v_or_b32_sdwa v13, v6, v19 dst_sel:DWORD dst_unused:UNUSED_PAD src0_sel:DWORD src1_sel:WORD_0
	s_nop 0
	v_cndmask_b32_e64 v9, 0, v17, s[0:1]
	v_add_u32_e32 v7, v9, v7
	v_mov_b32_e32 v9, v19
; %bb.184:
	s_or_b64 exec, exec, s[52:53]
	v_mov_b32_dpp v17, v7 row_shr:4 row_mask:0xf bank_mask:0xf
	v_mov_b32_dpp v19, v13 row_shr:4 row_mask:0xf bank_mask:0xf
	v_cmp_lt_u32_e64 s[0:1], 3, v15
	;; [unrolled: 18-line block ×3, first 2 shown]
	s_and_saveexec_b64 s[52:53], s[0:1]
; %bb.187:
	v_and_b32_e32 v13, 1, v9
	v_and_b32_e32 v15, 1, v19
	v_cmp_eq_u32_e64 s[0:1], 1, v13
	s_nop 1
	v_cndmask_b32_e64 v15, v15, 1, s[0:1]
	v_cmp_eq_u16_e64 s[0:1], 0, v9
	v_or_b32_sdwa v13, v6, v15 dst_sel:DWORD dst_unused:UNUSED_PAD src0_sel:DWORD src1_sel:WORD_0
	s_nop 0
	v_cndmask_b32_e64 v9, 0, v17, s[0:1]
	v_add_u32_e32 v7, v9, v7
	v_mov_b32_e32 v9, v15
; %bb.188:
	s_or_b64 exec, exec, s[52:53]
	v_and_b32_e32 v19, 16, v8
	v_mov_b32_dpp v15, v7 row_bcast:15 row_mask:0xf bank_mask:0xf
	v_mov_b32_dpp v17, v13 row_bcast:15 row_mask:0xf bank_mask:0xf
	v_cmp_ne_u32_e64 s[0:1], 0, v19
	s_and_saveexec_b64 s[52:53], s[0:1]
; %bb.189:
	v_and_b32_e32 v13, 1, v9
	v_and_b32_e32 v17, 1, v17
	v_cmp_eq_u32_e64 s[0:1], 1, v13
	s_nop 1
	v_cndmask_b32_e64 v17, v17, 1, s[0:1]
	v_cmp_eq_u16_e64 s[0:1], 0, v9
	v_or_b32_sdwa v13, v6, v17 dst_sel:DWORD dst_unused:UNUSED_PAD src0_sel:DWORD src1_sel:WORD_0
	s_nop 0
	v_cndmask_b32_e64 v9, 0, v15, s[0:1]
	v_add_u32_e32 v7, v9, v7
	v_mov_b32_e32 v9, v17
; %bb.190:
	s_or_b64 exec, exec, s[52:53]
	v_mov_b32_dpp v13, v13 row_bcast:31 row_mask:0xf bank_mask:0xf
	v_and_b32_e32 v17, 1, v9
	v_and_b32_e32 v13, 1, v13
	v_cmp_eq_u32_e64 s[0:1], 1, v17
	v_mov_b32_e32 v17, 0
	v_cmp_eq_u16_sdwa s[52:53], v9, v17 src0_sel:BYTE_0 src1_sel:DWORD
	v_cndmask_b32_e64 v13, v13, 1, s[0:1]
	v_cmp_lt_u32_e64 s[0:1], 31, v8
	v_mov_b32_dpp v15, v7 row_bcast:31 row_mask:0xf bank_mask:0xf
	s_movk_i32 s60, 0xff
	v_cndmask_b32_e64 v9, v9, v13, s[0:1]
	s_and_b64 s[0:1], s[0:1], s[52:53]
	v_cndmask_b32_e64 v13, 0, v15, s[0:1]
	v_add_u32_e32 v7, v13, v7
	v_add_u32_e32 v13, -1, v8
	v_and_b32_e32 v15, 64, v8
	v_cmp_lt_i32_e64 s[0:1], v13, v15
	v_and_or_b32 v6, v9, s60, v6
	s_nop 0
	v_cndmask_b32_e64 v8, v13, v8, s[0:1]
	v_lshlrev_b32_e32 v8, 2, v8
	ds_bpermute_b32 v7, v8, v7
	ds_bpermute_b32 v6, v8, v6
	v_cmp_eq_u16_sdwa s[0:1], v3, v17 src0_sel:BYTE_0 src1_sel:DWORD
	; wave barrier
	s_waitcnt lgkmcnt(1)
	s_nop 0
	v_cndmask_b32_e64 v3, 0, v7, s[0:1]
	v_add_u32_e32 v2, v3, v2
	s_waitcnt lgkmcnt(0)
	v_and_b32_e32 v3, 1, v6
	v_cmp_eq_u32_e64 s[0:1], 1, v5
	v_cndmask_b32_e64 v5, v2, v79, s[54:55]
	s_nop 0
	v_cndmask_b32_e64 v3, v3, 1, s[0:1]
	v_cndmask_b32_e64 v4, v3, v4, s[54:55]
	ds_write_b32 v1, v5
	ds_write_b8 v1, v4 offset:4
	; wave barrier
	ds_read_u8 v6, v1 offset:12
	ds_read2_b32 v[2:3], v1 offset0:2 offset1:4
	ds_read_u8 v7, v1 offset:20
	ds_read_b32 v8, v1 offset:24
	ds_read_u8 v9, v1 offset:28
	s_waitcnt lgkmcnt(4)
	v_cmp_eq_u16_e64 s[0:1], 0, v6
	s_nop 1
	v_cndmask_b32_e64 v5, 0, v5, s[0:1]
	s_waitcnt lgkmcnt(3)
	v_add_u32_e32 v2, v5, v2
	v_and_b32_e32 v5, 1, v6
	v_cmp_eq_u32_e64 s[0:1], 1, v5
	s_nop 1
	v_cndmask_b32_e64 v4, v4, 1, s[0:1]
	s_waitcnt lgkmcnt(2)
	v_cmp_eq_u16_e64 s[0:1], 0, v7
	ds_write_b8 v1, v4 offset:12
	s_nop 0
	v_cndmask_b32_e64 v5, 0, v2, s[0:1]
	v_add_u32_e32 v3, v5, v3
	v_and_b32_e32 v5, 1, v7
	v_cmp_eq_u32_e64 s[0:1], 1, v5
	s_nop 1
	v_cndmask_b32_e64 v4, v4, 1, s[0:1]
	s_waitcnt lgkmcnt(1)
	v_cmp_eq_u16_e64 s[0:1], 0, v9
	ds_write2_b32 v1, v2, v3 offset0:2 offset1:4
	ds_write_b8 v1, v4 offset:20
	v_cndmask_b32_e64 v2, 0, v3, s[0:1]
	v_and_b32_e32 v3, 1, v9
	v_add_u32_e32 v2, v2, v8
	v_cmp_eq_u32_e64 s[0:1], 1, v3
	s_nop 1
	v_cndmask_b32_e64 v3, v4, 1, s[0:1]
	ds_write_b32 v1, v2 offset:24
	ds_write_b8 v1, v3 offset:28
.LBB1655_191:
	s_or_b64 exec, exec, s[50:51]
	v_mov_b32_e32 v1, v79
	s_waitcnt lgkmcnt(0)
	s_barrier
	s_and_saveexec_b64 s[0:1], s[4:5]
	s_cbranch_execnz .LBB1655_269
; %bb.192:
	s_or_b64 exec, exec, s[0:1]
	s_and_saveexec_b64 s[50:51], s[4:5]
	s_cbranch_execnz .LBB1655_270
.LBB1655_193:
	s_or_b64 exec, exec, s[50:51]
	s_and_saveexec_b64 s[0:1], s[54:55]
	s_cbranch_execz .LBB1655_195
.LBB1655_194:
	v_mov_b32_e32 v5, 0
	ds_read_b32 v2, v5 offset:2096
	ds_read_u8 v3, v5 offset:2100
	s_add_u32 s4, s72, 0x400
	s_addc_u32 s5, s73, 0
	v_mov_b32_e32 v4, 2
	v_mov_b64_e32 v[6:7], s[4:5]
	s_waitcnt lgkmcnt(0)
	;;#ASMSTART
	global_store_dwordx4 v[6:7], v[2:5] off sc1	
s_waitcnt vmcnt(0)
	;;#ASMEND
.LBB1655_195:
	s_or_b64 exec, exec, s[0:1]
	v_mov_b32_e32 v80, v10
.LBB1655_196:
	s_add_u32 s0, s62, s58
	s_addc_u32 s1, s63, s59
	s_add_u32 s0, s0, s56
	s_addc_u32 s1, s1, s57
	s_and_b64 vcc, exec, s[2:3]
	s_cbranch_vccz .LBB1655_242
; %bb.197:
	s_movk_i32 s2, 0x5c
	v_mul_i32_i24_e32 v26, 0xffffffa8, v0
	s_waitcnt lgkmcnt(0)
	v_mul_u32_u24_e32 v1, 0x5c, v0
	v_mad_u32_u24 v2, v0, s2, v26
	s_barrier
	ds_write2_b32 v1, v80, v58 offset1:1
	ds_write2_b32 v1, v59, v60 offset0:2 offset1:3
	ds_write2_b32 v1, v61, v62 offset0:4 offset1:5
	;; [unrolled: 1-line block ×10, first 2 shown]
	ds_write_b32 v1, v79 offset:88
	s_waitcnt lgkmcnt(0)
	s_barrier
	ds_read2st64_b32 v[24:25], v2 offset0:4 offset1:8
	ds_read2st64_b32 v[22:23], v2 offset0:12 offset1:16
	;; [unrolled: 1-line block ×11, first 2 shown]
	s_add_i32 s33, s33, s74
	v_mov_b32_e32 v55, 0
	v_lshl_add_u64 v[4:5], s[0:1], 0, v[54:55]
	v_cmp_gt_u32_e32 vcc, s33, v0
	s_and_saveexec_b64 s[2:3], vcc
	s_cbranch_execz .LBB1655_199
; %bb.198:
	v_add_u32_e32 v1, v1, v26
	ds_read_b32 v1, v1
	s_waitcnt lgkmcnt(0)
	v_cvt_f32_u32_e32 v1, v1
	flat_store_dword v[4:5], v1
.LBB1655_199:
	s_or_b64 exec, exec, s[2:3]
	v_or_b32_e32 v1, 0x100, v0
	v_cmp_gt_u32_e32 vcc, s33, v1
	s_and_saveexec_b64 s[2:3], vcc
	s_cbranch_execz .LBB1655_201
; %bb.200:
	s_waitcnt lgkmcnt(0)
	v_cvt_f32_u32_e32 v1, v24
	flat_store_dword v[4:5], v1 offset:1024
.LBB1655_201:
	s_or_b64 exec, exec, s[2:3]
	v_or_b32_e32 v1, 0x200, v0
	v_cmp_gt_u32_e32 vcc, s33, v1
	s_and_saveexec_b64 s[2:3], vcc
	s_cbranch_execz .LBB1655_203
; %bb.202:
	s_waitcnt lgkmcnt(0)
	v_cvt_f32_u32_e32 v1, v25
	flat_store_dword v[4:5], v1 offset:2048
.LBB1655_203:
	;; [unrolled: 10-line block ×3, first 2 shown]
	s_or_b64 exec, exec, s[2:3]
	v_or_b32_e32 v1, 0x400, v0
	v_cmp_gt_u32_e32 vcc, s33, v1
	s_and_saveexec_b64 s[2:3], vcc
	s_cbranch_execz .LBB1655_207
; %bb.206:
	s_waitcnt lgkmcnt(0)
	v_cvt_f32_u32_e32 v1, v23
	v_add_co_u32_e32 v22, vcc, 0x1000, v4
	s_nop 1
	v_addc_co_u32_e32 v23, vcc, 0, v5, vcc
	flat_store_dword v[22:23], v1
.LBB1655_207:
	s_or_b64 exec, exec, s[2:3]
	v_or_b32_e32 v1, 0x500, v0
	v_cmp_gt_u32_e32 vcc, s33, v1
	s_and_saveexec_b64 s[2:3], vcc
	s_cbranch_execz .LBB1655_209
; %bb.208:
	s_waitcnt lgkmcnt(0)
	v_cvt_f32_u32_e32 v1, v20
	v_add_co_u32_e32 v22, vcc, 0x1000, v4
	s_nop 1
	v_addc_co_u32_e32 v23, vcc, 0, v5, vcc
	flat_store_dword v[22:23], v1 offset:1024
.LBB1655_209:
	s_or_b64 exec, exec, s[2:3]
	v_or_b32_e32 v1, 0x600, v0
	v_cmp_gt_u32_e32 vcc, s33, v1
	s_and_saveexec_b64 s[2:3], vcc
	s_cbranch_execz .LBB1655_211
; %bb.210:
	s_waitcnt lgkmcnt(0)
	v_cvt_f32_u32_e32 v1, v21
	v_add_co_u32_e32 v20, vcc, 0x1000, v4
	s_nop 1
	v_addc_co_u32_e32 v21, vcc, 0, v5, vcc
	flat_store_dword v[20:21], v1 offset:2048
.LBB1655_211:
	s_or_b64 exec, exec, s[2:3]
	v_or_b32_e32 v1, 0x700, v0
	v_cmp_gt_u32_e32 vcc, s33, v1
	s_and_saveexec_b64 s[2:3], vcc
	s_cbranch_execz .LBB1655_213
; %bb.212:
	s_waitcnt lgkmcnt(0)
	v_cvt_f32_u32_e32 v1, v18
	v_add_co_u32_e32 v20, vcc, 0x1000, v4
	s_nop 1
	v_addc_co_u32_e32 v21, vcc, 0, v5, vcc
	flat_store_dword v[20:21], v1 offset:3072
.LBB1655_213:
	s_or_b64 exec, exec, s[2:3]
	v_or_b32_e32 v1, 0x800, v0
	v_cmp_gt_u32_e32 vcc, s33, v1
	s_and_saveexec_b64 s[2:3], vcc
	s_cbranch_execz .LBB1655_215
; %bb.214:
	s_waitcnt lgkmcnt(0)
	v_cvt_f32_u32_e32 v1, v19
	v_add_co_u32_e32 v18, vcc, 0x2000, v4
	s_nop 1
	v_addc_co_u32_e32 v19, vcc, 0, v5, vcc
	flat_store_dword v[18:19], v1
.LBB1655_215:
	s_or_b64 exec, exec, s[2:3]
	v_or_b32_e32 v1, 0x900, v0
	v_cmp_gt_u32_e32 vcc, s33, v1
	s_and_saveexec_b64 s[2:3], vcc
	s_cbranch_execz .LBB1655_217
; %bb.216:
	s_waitcnt lgkmcnt(0)
	v_cvt_f32_u32_e32 v1, v16
	v_add_co_u32_e32 v18, vcc, 0x2000, v4
	s_nop 1
	v_addc_co_u32_e32 v19, vcc, 0, v5, vcc
	flat_store_dword v[18:19], v1 offset:1024
.LBB1655_217:
	s_or_b64 exec, exec, s[2:3]
	v_or_b32_e32 v1, 0xa00, v0
	v_cmp_gt_u32_e32 vcc, s33, v1
	s_and_saveexec_b64 s[2:3], vcc
	s_cbranch_execz .LBB1655_219
; %bb.218:
	s_waitcnt lgkmcnt(0)
	v_cvt_f32_u32_e32 v1, v17
	v_add_co_u32_e32 v16, vcc, 0x2000, v4
	s_nop 1
	v_addc_co_u32_e32 v17, vcc, 0, v5, vcc
	flat_store_dword v[16:17], v1 offset:2048
.LBB1655_219:
	s_or_b64 exec, exec, s[2:3]
	v_or_b32_e32 v1, 0xb00, v0
	v_cmp_gt_u32_e32 vcc, s33, v1
	s_and_saveexec_b64 s[2:3], vcc
	s_cbranch_execz .LBB1655_221
; %bb.220:
	s_waitcnt lgkmcnt(0)
	v_cvt_f32_u32_e32 v1, v14
	v_add_co_u32_e32 v16, vcc, 0x2000, v4
	s_nop 1
	v_addc_co_u32_e32 v17, vcc, 0, v5, vcc
	flat_store_dword v[16:17], v1 offset:3072
.LBB1655_221:
	;; [unrolled: 52-line block ×4, first 2 shown]
	s_or_b64 exec, exec, s[2:3]
	v_or_b32_e32 v1, 0x1400, v0
	v_cmp_gt_u32_e32 vcc, s33, v1
	s_and_saveexec_b64 s[2:3], vcc
	s_cbranch_execz .LBB1655_239
; %bb.238:
	s_waitcnt lgkmcnt(0)
	v_cvt_f32_u32_e32 v1, v7
	v_add_co_u32_e32 v6, vcc, 0x5000, v4
	s_nop 1
	v_addc_co_u32_e32 v7, vcc, 0, v5, vcc
	flat_store_dword v[6:7], v1
.LBB1655_239:
	s_or_b64 exec, exec, s[2:3]
	v_or_b32_e32 v1, 0x1500, v0
	v_cmp_gt_u32_e32 vcc, s33, v1
	s_and_saveexec_b64 s[2:3], vcc
	s_cbranch_execz .LBB1655_241
; %bb.240:
	s_waitcnt lgkmcnt(0)
	v_cvt_f32_u32_e32 v1, v2
	v_add_co_u32_e32 v4, vcc, 0x5000, v4
	s_nop 1
	v_addc_co_u32_e32 v5, vcc, 0, v5, vcc
	flat_store_dword v[4:5], v1 offset:1024
.LBB1655_241:
	s_or_b64 exec, exec, s[2:3]
	s_waitcnt lgkmcnt(0)
	v_or_b32_e32 v2, 0x1600, v0
	v_mov_b32_e32 v1, v55
	v_cmp_gt_u32_e64 s[2:3], s33, v2
	s_branch .LBB1655_244
.LBB1655_242:
	s_mov_b64 s[2:3], 0
                                        ; implicit-def: $vgpr3
	s_cbranch_execz .LBB1655_244
; %bb.243:
	s_movk_i32 s4, 0x5c
	v_mul_i32_i24_e32 v2, 0xffffffa8, v0
	s_waitcnt lgkmcnt(0)
	v_mul_u32_u24_e32 v1, 0x5c, v0
	v_mad_u32_u24 v2, v0, s4, v2
	s_barrier
	ds_write2_b32 v1, v80, v58 offset1:1
	ds_write2_b32 v1, v59, v60 offset0:2 offset1:3
	ds_write2_b32 v1, v61, v62 offset0:4 offset1:5
	ds_write2_b32 v1, v63, v64 offset0:6 offset1:7
	ds_write2_b32 v1, v65, v66 offset0:8 offset1:9
	ds_write2_b32 v1, v67, v68 offset0:10 offset1:11
	ds_write2_b32 v1, v69, v70 offset0:12 offset1:13
	ds_write2_b32 v1, v71, v72 offset0:14 offset1:15
	ds_write2_b32 v1, v73, v74 offset0:16 offset1:17
	ds_write2_b32 v1, v75, v76 offset0:18 offset1:19
	ds_write2_b32 v1, v77, v78 offset0:20 offset1:21
	ds_write_b32 v1, v79 offset:88
	s_waitcnt lgkmcnt(0)
	s_barrier
	ds_read2st64_b32 v[4:5], v2 offset1:4
	ds_read2st64_b32 v[6:7], v2 offset0:8 offset1:12
	ds_read2st64_b32 v[8:9], v2 offset0:16 offset1:20
	;; [unrolled: 1-line block ×10, first 2 shown]
	ds_read_b32 v3, v2 offset:22528
	s_waitcnt lgkmcnt(0)
	v_cvt_f32_u32_e32 v2, v4
	v_mov_b32_e32 v1, 0
	v_cvt_f32_u32_e32 v4, v5
	v_mov_b32_e32 v55, v1
	v_cvt_f32_u32_e32 v5, v6
	v_lshl_add_u64 v[26:27], s[0:1], 0, v[54:55]
	v_cvt_f32_u32_e32 v6, v7
	flat_store_dword v[26:27], v2
	flat_store_dword v[26:27], v4 offset:1024
	flat_store_dword v[26:27], v5 offset:2048
	flat_store_dword v[26:27], v6 offset:3072
	v_cvt_f32_u32_e32 v2, v8
	s_movk_i32 s4, 0x1000
	v_cvt_f32_u32_e32 v6, v9
	v_add_co_u32_e32 v4, vcc, s4, v26
	v_cvt_f32_u32_e32 v7, v10
	s_nop 0
	v_addc_co_u32_e32 v5, vcc, 0, v27, vcc
	v_cvt_f32_u32_e32 v8, v11
	flat_store_dword v[4:5], v2
	flat_store_dword v[4:5], v6 offset:1024
	flat_store_dword v[4:5], v7 offset:2048
	flat_store_dword v[4:5], v8 offset:3072
	v_cvt_f32_u32_e32 v2, v12
	s_movk_i32 s4, 0x2000
	v_cvt_f32_u32_e32 v6, v13
	v_add_co_u32_e32 v4, vcc, s4, v26
	v_cvt_f32_u32_e32 v7, v14
	s_nop 0
	v_addc_co_u32_e32 v5, vcc, 0, v27, vcc
	;; [unrolled: 12-line block ×4, first 2 shown]
	v_cvt_f32_u32_e32 v8, v23
	flat_store_dword v[4:5], v2
	flat_store_dword v[4:5], v6 offset:1024
	flat_store_dword v[4:5], v7 offset:2048
	;; [unrolled: 1-line block ×3, first 2 shown]
	v_cvt_f32_u32_e32 v2, v24
	v_cvt_f32_u32_e32 v6, v25
	v_add_co_u32_e32 v4, vcc, 0x5000, v26
	s_or_b64 s[2:3], s[2:3], exec
	s_nop 0
	v_addc_co_u32_e32 v5, vcc, 0, v27, vcc
	flat_store_dword v[4:5], v2
	flat_store_dword v[4:5], v6 offset:1024
.LBB1655_244:
	s_and_saveexec_b64 s[4:5], s[2:3]
	s_cbranch_execnz .LBB1655_246
; %bb.245:
	s_endpgm
.LBB1655_246:
	v_cvt_f32_u32_e32 v2, v3
	s_waitcnt lgkmcnt(0)
	v_lshl_add_u64 v[0:1], v[0:1], 2, s[0:1]
	v_add_co_u32_e32 v0, vcc, 0x5000, v0
	s_nop 1
	v_addc_co_u32_e32 v1, vcc, 0, v1, vcc
	flat_store_dword v[0:1], v2 offset:2048
	s_endpgm
.LBB1655_247:
	v_lshl_add_u64 v[30:31], s[60:61], 0, v[2:3]
	flat_load_dword v29, v[30:31]
	s_or_b64 exec, exec, s[0:1]
                                        ; implicit-def: $vgpr30
	s_and_saveexec_b64 s[0:1], s[8:9]
	s_cbranch_execz .LBB1655_59
.LBB1655_248:
	v_mov_b32_e32 v3, 0
	v_lshl_add_u64 v[30:31], s[60:61], 0, v[2:3]
	flat_load_dword v30, v[30:31] offset:1024
	s_or_b64 exec, exec, s[0:1]
                                        ; implicit-def: $vgpr31
	s_and_saveexec_b64 s[0:1], s[10:11]
	s_cbranch_execz .LBB1655_60
.LBB1655_249:
	v_mov_b32_e32 v3, 0
	v_lshl_add_u64 v[32:33], s[60:61], 0, v[2:3]
	flat_load_dword v31, v[32:33] offset:2048
	s_or_b64 exec, exec, s[0:1]
                                        ; implicit-def: $vgpr3
	s_and_saveexec_b64 s[0:1], s[12:13]
	s_cbranch_execz .LBB1655_61
.LBB1655_250:
	v_mov_b32_e32 v3, 0
	v_lshl_add_u64 v[32:33], s[60:61], 0, v[2:3]
	flat_load_dword v3, v[32:33] offset:3072
	s_or_b64 exec, exec, s[0:1]
                                        ; implicit-def: $vgpr32
	s_and_saveexec_b64 s[0:1], s[14:15]
	s_cbranch_execz .LBB1655_62
.LBB1655_251:
	v_lshlrev_b32_e32 v32, 2, v10
	v_mov_b32_e32 v33, 0
	v_lshl_add_u64 v[32:33], s[60:61], 0, v[32:33]
	flat_load_dword v32, v[32:33]
	s_or_b64 exec, exec, s[0:1]
                                        ; implicit-def: $vgpr10
	s_and_saveexec_b64 s[0:1], s[16:17]
	s_cbranch_execz .LBB1655_63
.LBB1655_252:
	v_lshlrev_b32_e32 v10, 2, v11
	v_mov_b32_e32 v11, 0
	v_lshl_add_u64 v[10:11], s[60:61], 0, v[10:11]
	flat_load_dword v10, v[10:11]
	s_or_b64 exec, exec, s[0:1]
                                        ; implicit-def: $vgpr11
	s_and_saveexec_b64 s[0:1], s[18:19]
	s_cbranch_execz .LBB1655_64
.LBB1655_253:
	v_lshlrev_b32_e32 v34, 2, v12
	v_mov_b32_e32 v35, 0
	v_lshl_add_u64 v[34:35], s[60:61], 0, v[34:35]
	flat_load_dword v11, v[34:35]
	s_or_b64 exec, exec, s[0:1]
                                        ; implicit-def: $vgpr12
	s_and_saveexec_b64 s[0:1], s[20:21]
	s_cbranch_execz .LBB1655_65
.LBB1655_254:
	v_lshlrev_b32_e32 v12, 2, v13
	v_mov_b32_e32 v13, 0
	v_lshl_add_u64 v[12:13], s[60:61], 0, v[12:13]
	flat_load_dword v12, v[12:13]
	s_or_b64 exec, exec, s[0:1]
                                        ; implicit-def: $vgpr13
	s_and_saveexec_b64 s[0:1], s[22:23]
	s_cbranch_execz .LBB1655_66
.LBB1655_255:
	v_lshlrev_b32_e32 v34, 2, v14
	v_mov_b32_e32 v35, 0
	v_lshl_add_u64 v[34:35], s[60:61], 0, v[34:35]
	flat_load_dword v13, v[34:35]
	s_or_b64 exec, exec, s[0:1]
                                        ; implicit-def: $vgpr14
	s_and_saveexec_b64 s[0:1], s[24:25]
	s_cbranch_execz .LBB1655_67
.LBB1655_256:
	v_lshlrev_b32_e32 v14, 2, v15
	v_mov_b32_e32 v15, 0
	v_lshl_add_u64 v[14:15], s[60:61], 0, v[14:15]
	flat_load_dword v14, v[14:15]
	s_or_b64 exec, exec, s[0:1]
                                        ; implicit-def: $vgpr15
	s_and_saveexec_b64 s[0:1], s[26:27]
	s_cbranch_execz .LBB1655_68
.LBB1655_257:
	v_lshlrev_b32_e32 v34, 2, v16
	v_mov_b32_e32 v35, 0
	v_lshl_add_u64 v[34:35], s[60:61], 0, v[34:35]
	flat_load_dword v15, v[34:35]
	s_or_b64 exec, exec, s[0:1]
                                        ; implicit-def: $vgpr16
	s_and_saveexec_b64 s[0:1], s[28:29]
	s_cbranch_execz .LBB1655_69
.LBB1655_258:
	v_lshlrev_b32_e32 v16, 2, v17
	v_mov_b32_e32 v17, 0
	v_lshl_add_u64 v[16:17], s[60:61], 0, v[16:17]
	flat_load_dword v16, v[16:17]
	s_or_b64 exec, exec, s[0:1]
                                        ; implicit-def: $vgpr17
	s_and_saveexec_b64 s[0:1], s[30:31]
	s_cbranch_execz .LBB1655_70
.LBB1655_259:
	v_lshlrev_b32_e32 v34, 2, v18
	v_mov_b32_e32 v35, 0
	v_lshl_add_u64 v[34:35], s[60:61], 0, v[34:35]
	flat_load_dword v17, v[34:35]
	s_or_b64 exec, exec, s[0:1]
                                        ; implicit-def: $vgpr18
	s_and_saveexec_b64 s[0:1], s[34:35]
	s_cbranch_execz .LBB1655_71
.LBB1655_260:
	v_lshlrev_b32_e32 v18, 2, v19
	v_mov_b32_e32 v19, 0
	v_lshl_add_u64 v[18:19], s[60:61], 0, v[18:19]
	flat_load_dword v18, v[18:19]
	s_or_b64 exec, exec, s[0:1]
                                        ; implicit-def: $vgpr19
	s_and_saveexec_b64 s[0:1], s[36:37]
	s_cbranch_execz .LBB1655_72
.LBB1655_261:
	v_lshlrev_b32_e32 v34, 2, v20
	v_mov_b32_e32 v35, 0
	v_lshl_add_u64 v[34:35], s[60:61], 0, v[34:35]
	flat_load_dword v19, v[34:35]
	s_or_b64 exec, exec, s[0:1]
                                        ; implicit-def: $vgpr20
	s_and_saveexec_b64 s[0:1], s[38:39]
	s_cbranch_execz .LBB1655_73
.LBB1655_262:
	v_lshlrev_b32_e32 v20, 2, v21
	v_mov_b32_e32 v21, 0
	v_lshl_add_u64 v[20:21], s[60:61], 0, v[20:21]
	flat_load_dword v20, v[20:21]
	s_or_b64 exec, exec, s[0:1]
                                        ; implicit-def: $vgpr21
	s_and_saveexec_b64 s[0:1], s[40:41]
	s_cbranch_execz .LBB1655_74
.LBB1655_263:
	v_lshlrev_b32_e32 v34, 2, v22
	v_mov_b32_e32 v35, 0
	v_lshl_add_u64 v[34:35], s[60:61], 0, v[34:35]
	flat_load_dword v21, v[34:35]
	s_or_b64 exec, exec, s[0:1]
                                        ; implicit-def: $vgpr22
	s_and_saveexec_b64 s[0:1], s[42:43]
	s_cbranch_execz .LBB1655_75
.LBB1655_264:
	v_lshlrev_b32_e32 v22, 2, v23
	v_mov_b32_e32 v23, 0
	v_lshl_add_u64 v[22:23], s[60:61], 0, v[22:23]
	flat_load_dword v22, v[22:23]
	s_or_b64 exec, exec, s[0:1]
                                        ; implicit-def: $vgpr23
	s_and_saveexec_b64 s[0:1], s[44:45]
	s_cbranch_execz .LBB1655_76
.LBB1655_265:
	v_lshlrev_b32_e32 v34, 2, v24
	v_mov_b32_e32 v35, 0
	v_lshl_add_u64 v[34:35], s[60:61], 0, v[34:35]
	flat_load_dword v23, v[34:35]
	s_or_b64 exec, exec, s[0:1]
                                        ; implicit-def: $vgpr24
	s_and_saveexec_b64 s[0:1], s[46:47]
	s_cbranch_execz .LBB1655_77
.LBB1655_266:
	v_lshlrev_b32_e32 v24, 2, v25
	v_mov_b32_e32 v25, 0
	v_lshl_add_u64 v[24:25], s[60:61], 0, v[24:25]
	flat_load_dword v24, v[24:25]
	s_or_b64 exec, exec, s[0:1]
                                        ; implicit-def: $vgpr25
	s_and_saveexec_b64 s[0:1], s[48:49]
	s_cbranch_execz .LBB1655_78
.LBB1655_267:
	v_lshlrev_b32_e32 v34, 2, v26
	v_mov_b32_e32 v35, 0
	v_lshl_add_u64 v[34:35], s[60:61], 0, v[34:35]
	flat_load_dword v25, v[34:35]
	s_or_b64 exec, exec, s[0:1]
                                        ; implicit-def: $vgpr26
	s_and_saveexec_b64 s[0:1], s[50:51]
	s_cbranch_execz .LBB1655_79
.LBB1655_268:
	v_lshlrev_b32_e32 v26, 2, v27
	v_mov_b32_e32 v27, 0
	v_lshl_add_u64 v[26:27], s[60:61], 0, v[26:27]
	flat_load_dword v26, v[26:27]
	s_or_b64 exec, exec, s[0:1]
                                        ; implicit-def: $vgpr27
	s_and_saveexec_b64 s[0:1], s[52:53]
	s_cbranch_execnz .LBB1655_80
	s_branch .LBB1655_81
.LBB1655_269:
	v_add_u32_e32 v1, -1, v0
	v_lshrrev_b32_e32 v2, 5, v1
	v_add_lshl_u32 v1, v2, v1, 3
	ds_read_b32 v1, v1
	s_or_b64 exec, exec, s[0:1]
	s_and_saveexec_b64 s[50:51], s[4:5]
	s_cbranch_execz .LBB1655_193
.LBB1655_270:
	v_and_b32_e32 v3, 0xff, v11
	v_mov_b32_e32 v2, 0
	v_cmp_eq_u64_e64 s[0:1], 0, v[2:3]
	;;#ASMSTART
	;;#ASMEND
	s_waitcnt lgkmcnt(0)
	s_nop 0
	v_cndmask_b32_e64 v1, 0, v1, s[0:1]
	v_add_u32_e32 v10, v1, v10
	v_cndmask_b32_e32 v1, 0, v10, vcc
	v_add_u32_e32 v58, v1, v12
	v_cndmask_b32_e64 v1, 0, v58, s[6:7]
	v_add_u32_e32 v59, v1, v14
	v_cndmask_b32_e64 v1, 0, v59, s[8:9]
	;; [unrolled: 2-line block ×21, first 2 shown]
	v_add_u32_e32 v79, v1, v56
	s_or_b64 exec, exec, s[50:51]
	s_and_saveexec_b64 s[0:1], s[54:55]
	s_cbranch_execnz .LBB1655_194
	s_branch .LBB1655_195
.LBB1655_271:
                                        ; implicit-def: $sgpr0_sgpr1
	s_branch .LBB1655_54
.LBB1655_272:
                                        ; implicit-def: $sgpr0_sgpr1
	s_branch .LBB1655_130
	.section	.rodata,"a",@progbits
	.p2align	6, 0x0
	.amdhsa_kernel _ZN7rocprim17ROCPRIM_400000_NS6detail17trampoline_kernelINS0_14default_configENS1_27scan_by_key_config_selectorIijEEZZNS1_16scan_by_key_implILNS1_25lookback_scan_determinismE0ELb0ES3_N6thrust23THRUST_200600_302600_NS6detail15normal_iteratorINS9_10device_ptrIiEEEENSB_INSC_IjEEEENSB_INSC_IfEEEEjNS9_4plusIvEENS9_8equal_toIvEEjEE10hipError_tPvRmT2_T3_T4_T5_mT6_T7_P12ihipStream_tbENKUlT_T0_E_clISt17integral_constantIbLb1EES13_EEDaSY_SZ_EUlSY_E_NS1_11comp_targetILNS1_3genE5ELNS1_11target_archE942ELNS1_3gpuE9ELNS1_3repE0EEENS1_30default_config_static_selectorELNS0_4arch9wavefront6targetE1EEEvT1_
		.amdhsa_group_segment_fixed_size 25600
		.amdhsa_private_segment_fixed_size 0
		.amdhsa_kernarg_size 112
		.amdhsa_user_sgpr_count 2
		.amdhsa_user_sgpr_dispatch_ptr 0
		.amdhsa_user_sgpr_queue_ptr 0
		.amdhsa_user_sgpr_kernarg_segment_ptr 1
		.amdhsa_user_sgpr_dispatch_id 0
		.amdhsa_user_sgpr_kernarg_preload_length 0
		.amdhsa_user_sgpr_kernarg_preload_offset 0
		.amdhsa_user_sgpr_private_segment_size 0
		.amdhsa_uses_dynamic_stack 0
		.amdhsa_enable_private_segment 0
		.amdhsa_system_sgpr_workgroup_id_x 1
		.amdhsa_system_sgpr_workgroup_id_y 0
		.amdhsa_system_sgpr_workgroup_id_z 0
		.amdhsa_system_sgpr_workgroup_info 0
		.amdhsa_system_vgpr_workitem_id 0
		.amdhsa_next_free_vgpr 81
		.amdhsa_next_free_sgpr 85
		.amdhsa_accum_offset 84
		.amdhsa_reserve_vcc 1
		.amdhsa_float_round_mode_32 0
		.amdhsa_float_round_mode_16_64 0
		.amdhsa_float_denorm_mode_32 3
		.amdhsa_float_denorm_mode_16_64 3
		.amdhsa_dx10_clamp 1
		.amdhsa_ieee_mode 1
		.amdhsa_fp16_overflow 0
		.amdhsa_tg_split 0
		.amdhsa_exception_fp_ieee_invalid_op 0
		.amdhsa_exception_fp_denorm_src 0
		.amdhsa_exception_fp_ieee_div_zero 0
		.amdhsa_exception_fp_ieee_overflow 0
		.amdhsa_exception_fp_ieee_underflow 0
		.amdhsa_exception_fp_ieee_inexact 0
		.amdhsa_exception_int_div_zero 0
	.end_amdhsa_kernel
	.section	.text._ZN7rocprim17ROCPRIM_400000_NS6detail17trampoline_kernelINS0_14default_configENS1_27scan_by_key_config_selectorIijEEZZNS1_16scan_by_key_implILNS1_25lookback_scan_determinismE0ELb0ES3_N6thrust23THRUST_200600_302600_NS6detail15normal_iteratorINS9_10device_ptrIiEEEENSB_INSC_IjEEEENSB_INSC_IfEEEEjNS9_4plusIvEENS9_8equal_toIvEEjEE10hipError_tPvRmT2_T3_T4_T5_mT6_T7_P12ihipStream_tbENKUlT_T0_E_clISt17integral_constantIbLb1EES13_EEDaSY_SZ_EUlSY_E_NS1_11comp_targetILNS1_3genE5ELNS1_11target_archE942ELNS1_3gpuE9ELNS1_3repE0EEENS1_30default_config_static_selectorELNS0_4arch9wavefront6targetE1EEEvT1_,"axG",@progbits,_ZN7rocprim17ROCPRIM_400000_NS6detail17trampoline_kernelINS0_14default_configENS1_27scan_by_key_config_selectorIijEEZZNS1_16scan_by_key_implILNS1_25lookback_scan_determinismE0ELb0ES3_N6thrust23THRUST_200600_302600_NS6detail15normal_iteratorINS9_10device_ptrIiEEEENSB_INSC_IjEEEENSB_INSC_IfEEEEjNS9_4plusIvEENS9_8equal_toIvEEjEE10hipError_tPvRmT2_T3_T4_T5_mT6_T7_P12ihipStream_tbENKUlT_T0_E_clISt17integral_constantIbLb1EES13_EEDaSY_SZ_EUlSY_E_NS1_11comp_targetILNS1_3genE5ELNS1_11target_archE942ELNS1_3gpuE9ELNS1_3repE0EEENS1_30default_config_static_selectorELNS0_4arch9wavefront6targetE1EEEvT1_,comdat
.Lfunc_end1655:
	.size	_ZN7rocprim17ROCPRIM_400000_NS6detail17trampoline_kernelINS0_14default_configENS1_27scan_by_key_config_selectorIijEEZZNS1_16scan_by_key_implILNS1_25lookback_scan_determinismE0ELb0ES3_N6thrust23THRUST_200600_302600_NS6detail15normal_iteratorINS9_10device_ptrIiEEEENSB_INSC_IjEEEENSB_INSC_IfEEEEjNS9_4plusIvEENS9_8equal_toIvEEjEE10hipError_tPvRmT2_T3_T4_T5_mT6_T7_P12ihipStream_tbENKUlT_T0_E_clISt17integral_constantIbLb1EES13_EEDaSY_SZ_EUlSY_E_NS1_11comp_targetILNS1_3genE5ELNS1_11target_archE942ELNS1_3gpuE9ELNS1_3repE0EEENS1_30default_config_static_selectorELNS0_4arch9wavefront6targetE1EEEvT1_, .Lfunc_end1655-_ZN7rocprim17ROCPRIM_400000_NS6detail17trampoline_kernelINS0_14default_configENS1_27scan_by_key_config_selectorIijEEZZNS1_16scan_by_key_implILNS1_25lookback_scan_determinismE0ELb0ES3_N6thrust23THRUST_200600_302600_NS6detail15normal_iteratorINS9_10device_ptrIiEEEENSB_INSC_IjEEEENSB_INSC_IfEEEEjNS9_4plusIvEENS9_8equal_toIvEEjEE10hipError_tPvRmT2_T3_T4_T5_mT6_T7_P12ihipStream_tbENKUlT_T0_E_clISt17integral_constantIbLb1EES13_EEDaSY_SZ_EUlSY_E_NS1_11comp_targetILNS1_3genE5ELNS1_11target_archE942ELNS1_3gpuE9ELNS1_3repE0EEENS1_30default_config_static_selectorELNS0_4arch9wavefront6targetE1EEEvT1_
                                        ; -- End function
	.section	.AMDGPU.csdata,"",@progbits
; Kernel info:
; codeLenInByte = 15852
; NumSgprs: 91
; NumVgprs: 81
; NumAgprs: 0
; TotalNumVgprs: 81
; ScratchSize: 0
; MemoryBound: 0
; FloatMode: 240
; IeeeMode: 1
; LDSByteSize: 25600 bytes/workgroup (compile time only)
; SGPRBlocks: 11
; VGPRBlocks: 10
; NumSGPRsForWavesPerEU: 91
; NumVGPRsForWavesPerEU: 81
; AccumOffset: 84
; Occupancy: 2
; WaveLimiterHint : 1
; COMPUTE_PGM_RSRC2:SCRATCH_EN: 0
; COMPUTE_PGM_RSRC2:USER_SGPR: 2
; COMPUTE_PGM_RSRC2:TRAP_HANDLER: 0
; COMPUTE_PGM_RSRC2:TGID_X_EN: 1
; COMPUTE_PGM_RSRC2:TGID_Y_EN: 0
; COMPUTE_PGM_RSRC2:TGID_Z_EN: 0
; COMPUTE_PGM_RSRC2:TIDIG_COMP_CNT: 0
; COMPUTE_PGM_RSRC3_GFX90A:ACCUM_OFFSET: 20
; COMPUTE_PGM_RSRC3_GFX90A:TG_SPLIT: 0
	.section	.text._ZN7rocprim17ROCPRIM_400000_NS6detail17trampoline_kernelINS0_14default_configENS1_27scan_by_key_config_selectorIijEEZZNS1_16scan_by_key_implILNS1_25lookback_scan_determinismE0ELb0ES3_N6thrust23THRUST_200600_302600_NS6detail15normal_iteratorINS9_10device_ptrIiEEEENSB_INSC_IjEEEENSB_INSC_IfEEEEjNS9_4plusIvEENS9_8equal_toIvEEjEE10hipError_tPvRmT2_T3_T4_T5_mT6_T7_P12ihipStream_tbENKUlT_T0_E_clISt17integral_constantIbLb1EES13_EEDaSY_SZ_EUlSY_E_NS1_11comp_targetILNS1_3genE4ELNS1_11target_archE910ELNS1_3gpuE8ELNS1_3repE0EEENS1_30default_config_static_selectorELNS0_4arch9wavefront6targetE1EEEvT1_,"axG",@progbits,_ZN7rocprim17ROCPRIM_400000_NS6detail17trampoline_kernelINS0_14default_configENS1_27scan_by_key_config_selectorIijEEZZNS1_16scan_by_key_implILNS1_25lookback_scan_determinismE0ELb0ES3_N6thrust23THRUST_200600_302600_NS6detail15normal_iteratorINS9_10device_ptrIiEEEENSB_INSC_IjEEEENSB_INSC_IfEEEEjNS9_4plusIvEENS9_8equal_toIvEEjEE10hipError_tPvRmT2_T3_T4_T5_mT6_T7_P12ihipStream_tbENKUlT_T0_E_clISt17integral_constantIbLb1EES13_EEDaSY_SZ_EUlSY_E_NS1_11comp_targetILNS1_3genE4ELNS1_11target_archE910ELNS1_3gpuE8ELNS1_3repE0EEENS1_30default_config_static_selectorELNS0_4arch9wavefront6targetE1EEEvT1_,comdat
	.protected	_ZN7rocprim17ROCPRIM_400000_NS6detail17trampoline_kernelINS0_14default_configENS1_27scan_by_key_config_selectorIijEEZZNS1_16scan_by_key_implILNS1_25lookback_scan_determinismE0ELb0ES3_N6thrust23THRUST_200600_302600_NS6detail15normal_iteratorINS9_10device_ptrIiEEEENSB_INSC_IjEEEENSB_INSC_IfEEEEjNS9_4plusIvEENS9_8equal_toIvEEjEE10hipError_tPvRmT2_T3_T4_T5_mT6_T7_P12ihipStream_tbENKUlT_T0_E_clISt17integral_constantIbLb1EES13_EEDaSY_SZ_EUlSY_E_NS1_11comp_targetILNS1_3genE4ELNS1_11target_archE910ELNS1_3gpuE8ELNS1_3repE0EEENS1_30default_config_static_selectorELNS0_4arch9wavefront6targetE1EEEvT1_ ; -- Begin function _ZN7rocprim17ROCPRIM_400000_NS6detail17trampoline_kernelINS0_14default_configENS1_27scan_by_key_config_selectorIijEEZZNS1_16scan_by_key_implILNS1_25lookback_scan_determinismE0ELb0ES3_N6thrust23THRUST_200600_302600_NS6detail15normal_iteratorINS9_10device_ptrIiEEEENSB_INSC_IjEEEENSB_INSC_IfEEEEjNS9_4plusIvEENS9_8equal_toIvEEjEE10hipError_tPvRmT2_T3_T4_T5_mT6_T7_P12ihipStream_tbENKUlT_T0_E_clISt17integral_constantIbLb1EES13_EEDaSY_SZ_EUlSY_E_NS1_11comp_targetILNS1_3genE4ELNS1_11target_archE910ELNS1_3gpuE8ELNS1_3repE0EEENS1_30default_config_static_selectorELNS0_4arch9wavefront6targetE1EEEvT1_
	.globl	_ZN7rocprim17ROCPRIM_400000_NS6detail17trampoline_kernelINS0_14default_configENS1_27scan_by_key_config_selectorIijEEZZNS1_16scan_by_key_implILNS1_25lookback_scan_determinismE0ELb0ES3_N6thrust23THRUST_200600_302600_NS6detail15normal_iteratorINS9_10device_ptrIiEEEENSB_INSC_IjEEEENSB_INSC_IfEEEEjNS9_4plusIvEENS9_8equal_toIvEEjEE10hipError_tPvRmT2_T3_T4_T5_mT6_T7_P12ihipStream_tbENKUlT_T0_E_clISt17integral_constantIbLb1EES13_EEDaSY_SZ_EUlSY_E_NS1_11comp_targetILNS1_3genE4ELNS1_11target_archE910ELNS1_3gpuE8ELNS1_3repE0EEENS1_30default_config_static_selectorELNS0_4arch9wavefront6targetE1EEEvT1_
	.p2align	8
	.type	_ZN7rocprim17ROCPRIM_400000_NS6detail17trampoline_kernelINS0_14default_configENS1_27scan_by_key_config_selectorIijEEZZNS1_16scan_by_key_implILNS1_25lookback_scan_determinismE0ELb0ES3_N6thrust23THRUST_200600_302600_NS6detail15normal_iteratorINS9_10device_ptrIiEEEENSB_INSC_IjEEEENSB_INSC_IfEEEEjNS9_4plusIvEENS9_8equal_toIvEEjEE10hipError_tPvRmT2_T3_T4_T5_mT6_T7_P12ihipStream_tbENKUlT_T0_E_clISt17integral_constantIbLb1EES13_EEDaSY_SZ_EUlSY_E_NS1_11comp_targetILNS1_3genE4ELNS1_11target_archE910ELNS1_3gpuE8ELNS1_3repE0EEENS1_30default_config_static_selectorELNS0_4arch9wavefront6targetE1EEEvT1_,@function
_ZN7rocprim17ROCPRIM_400000_NS6detail17trampoline_kernelINS0_14default_configENS1_27scan_by_key_config_selectorIijEEZZNS1_16scan_by_key_implILNS1_25lookback_scan_determinismE0ELb0ES3_N6thrust23THRUST_200600_302600_NS6detail15normal_iteratorINS9_10device_ptrIiEEEENSB_INSC_IjEEEENSB_INSC_IfEEEEjNS9_4plusIvEENS9_8equal_toIvEEjEE10hipError_tPvRmT2_T3_T4_T5_mT6_T7_P12ihipStream_tbENKUlT_T0_E_clISt17integral_constantIbLb1EES13_EEDaSY_SZ_EUlSY_E_NS1_11comp_targetILNS1_3genE4ELNS1_11target_archE910ELNS1_3gpuE8ELNS1_3repE0EEENS1_30default_config_static_selectorELNS0_4arch9wavefront6targetE1EEEvT1_: ; @_ZN7rocprim17ROCPRIM_400000_NS6detail17trampoline_kernelINS0_14default_configENS1_27scan_by_key_config_selectorIijEEZZNS1_16scan_by_key_implILNS1_25lookback_scan_determinismE0ELb0ES3_N6thrust23THRUST_200600_302600_NS6detail15normal_iteratorINS9_10device_ptrIiEEEENSB_INSC_IjEEEENSB_INSC_IfEEEEjNS9_4plusIvEENS9_8equal_toIvEEjEE10hipError_tPvRmT2_T3_T4_T5_mT6_T7_P12ihipStream_tbENKUlT_T0_E_clISt17integral_constantIbLb1EES13_EEDaSY_SZ_EUlSY_E_NS1_11comp_targetILNS1_3genE4ELNS1_11target_archE910ELNS1_3gpuE8ELNS1_3repE0EEENS1_30default_config_static_selectorELNS0_4arch9wavefront6targetE1EEEvT1_
; %bb.0:
	.section	.rodata,"a",@progbits
	.p2align	6, 0x0
	.amdhsa_kernel _ZN7rocprim17ROCPRIM_400000_NS6detail17trampoline_kernelINS0_14default_configENS1_27scan_by_key_config_selectorIijEEZZNS1_16scan_by_key_implILNS1_25lookback_scan_determinismE0ELb0ES3_N6thrust23THRUST_200600_302600_NS6detail15normal_iteratorINS9_10device_ptrIiEEEENSB_INSC_IjEEEENSB_INSC_IfEEEEjNS9_4plusIvEENS9_8equal_toIvEEjEE10hipError_tPvRmT2_T3_T4_T5_mT6_T7_P12ihipStream_tbENKUlT_T0_E_clISt17integral_constantIbLb1EES13_EEDaSY_SZ_EUlSY_E_NS1_11comp_targetILNS1_3genE4ELNS1_11target_archE910ELNS1_3gpuE8ELNS1_3repE0EEENS1_30default_config_static_selectorELNS0_4arch9wavefront6targetE1EEEvT1_
		.amdhsa_group_segment_fixed_size 0
		.amdhsa_private_segment_fixed_size 0
		.amdhsa_kernarg_size 112
		.amdhsa_user_sgpr_count 2
		.amdhsa_user_sgpr_dispatch_ptr 0
		.amdhsa_user_sgpr_queue_ptr 0
		.amdhsa_user_sgpr_kernarg_segment_ptr 1
		.amdhsa_user_sgpr_dispatch_id 0
		.amdhsa_user_sgpr_kernarg_preload_length 0
		.amdhsa_user_sgpr_kernarg_preload_offset 0
		.amdhsa_user_sgpr_private_segment_size 0
		.amdhsa_uses_dynamic_stack 0
		.amdhsa_enable_private_segment 0
		.amdhsa_system_sgpr_workgroup_id_x 1
		.amdhsa_system_sgpr_workgroup_id_y 0
		.amdhsa_system_sgpr_workgroup_id_z 0
		.amdhsa_system_sgpr_workgroup_info 0
		.amdhsa_system_vgpr_workitem_id 0
		.amdhsa_next_free_vgpr 1
		.amdhsa_next_free_sgpr 0
		.amdhsa_accum_offset 4
		.amdhsa_reserve_vcc 0
		.amdhsa_float_round_mode_32 0
		.amdhsa_float_round_mode_16_64 0
		.amdhsa_float_denorm_mode_32 3
		.amdhsa_float_denorm_mode_16_64 3
		.amdhsa_dx10_clamp 1
		.amdhsa_ieee_mode 1
		.amdhsa_fp16_overflow 0
		.amdhsa_tg_split 0
		.amdhsa_exception_fp_ieee_invalid_op 0
		.amdhsa_exception_fp_denorm_src 0
		.amdhsa_exception_fp_ieee_div_zero 0
		.amdhsa_exception_fp_ieee_overflow 0
		.amdhsa_exception_fp_ieee_underflow 0
		.amdhsa_exception_fp_ieee_inexact 0
		.amdhsa_exception_int_div_zero 0
	.end_amdhsa_kernel
	.section	.text._ZN7rocprim17ROCPRIM_400000_NS6detail17trampoline_kernelINS0_14default_configENS1_27scan_by_key_config_selectorIijEEZZNS1_16scan_by_key_implILNS1_25lookback_scan_determinismE0ELb0ES3_N6thrust23THRUST_200600_302600_NS6detail15normal_iteratorINS9_10device_ptrIiEEEENSB_INSC_IjEEEENSB_INSC_IfEEEEjNS9_4plusIvEENS9_8equal_toIvEEjEE10hipError_tPvRmT2_T3_T4_T5_mT6_T7_P12ihipStream_tbENKUlT_T0_E_clISt17integral_constantIbLb1EES13_EEDaSY_SZ_EUlSY_E_NS1_11comp_targetILNS1_3genE4ELNS1_11target_archE910ELNS1_3gpuE8ELNS1_3repE0EEENS1_30default_config_static_selectorELNS0_4arch9wavefront6targetE1EEEvT1_,"axG",@progbits,_ZN7rocprim17ROCPRIM_400000_NS6detail17trampoline_kernelINS0_14default_configENS1_27scan_by_key_config_selectorIijEEZZNS1_16scan_by_key_implILNS1_25lookback_scan_determinismE0ELb0ES3_N6thrust23THRUST_200600_302600_NS6detail15normal_iteratorINS9_10device_ptrIiEEEENSB_INSC_IjEEEENSB_INSC_IfEEEEjNS9_4plusIvEENS9_8equal_toIvEEjEE10hipError_tPvRmT2_T3_T4_T5_mT6_T7_P12ihipStream_tbENKUlT_T0_E_clISt17integral_constantIbLb1EES13_EEDaSY_SZ_EUlSY_E_NS1_11comp_targetILNS1_3genE4ELNS1_11target_archE910ELNS1_3gpuE8ELNS1_3repE0EEENS1_30default_config_static_selectorELNS0_4arch9wavefront6targetE1EEEvT1_,comdat
.Lfunc_end1656:
	.size	_ZN7rocprim17ROCPRIM_400000_NS6detail17trampoline_kernelINS0_14default_configENS1_27scan_by_key_config_selectorIijEEZZNS1_16scan_by_key_implILNS1_25lookback_scan_determinismE0ELb0ES3_N6thrust23THRUST_200600_302600_NS6detail15normal_iteratorINS9_10device_ptrIiEEEENSB_INSC_IjEEEENSB_INSC_IfEEEEjNS9_4plusIvEENS9_8equal_toIvEEjEE10hipError_tPvRmT2_T3_T4_T5_mT6_T7_P12ihipStream_tbENKUlT_T0_E_clISt17integral_constantIbLb1EES13_EEDaSY_SZ_EUlSY_E_NS1_11comp_targetILNS1_3genE4ELNS1_11target_archE910ELNS1_3gpuE8ELNS1_3repE0EEENS1_30default_config_static_selectorELNS0_4arch9wavefront6targetE1EEEvT1_, .Lfunc_end1656-_ZN7rocprim17ROCPRIM_400000_NS6detail17trampoline_kernelINS0_14default_configENS1_27scan_by_key_config_selectorIijEEZZNS1_16scan_by_key_implILNS1_25lookback_scan_determinismE0ELb0ES3_N6thrust23THRUST_200600_302600_NS6detail15normal_iteratorINS9_10device_ptrIiEEEENSB_INSC_IjEEEENSB_INSC_IfEEEEjNS9_4plusIvEENS9_8equal_toIvEEjEE10hipError_tPvRmT2_T3_T4_T5_mT6_T7_P12ihipStream_tbENKUlT_T0_E_clISt17integral_constantIbLb1EES13_EEDaSY_SZ_EUlSY_E_NS1_11comp_targetILNS1_3genE4ELNS1_11target_archE910ELNS1_3gpuE8ELNS1_3repE0EEENS1_30default_config_static_selectorELNS0_4arch9wavefront6targetE1EEEvT1_
                                        ; -- End function
	.section	.AMDGPU.csdata,"",@progbits
; Kernel info:
; codeLenInByte = 0
; NumSgprs: 6
; NumVgprs: 0
; NumAgprs: 0
; TotalNumVgprs: 0
; ScratchSize: 0
; MemoryBound: 0
; FloatMode: 240
; IeeeMode: 1
; LDSByteSize: 0 bytes/workgroup (compile time only)
; SGPRBlocks: 0
; VGPRBlocks: 0
; NumSGPRsForWavesPerEU: 6
; NumVGPRsForWavesPerEU: 1
; AccumOffset: 4
; Occupancy: 8
; WaveLimiterHint : 0
; COMPUTE_PGM_RSRC2:SCRATCH_EN: 0
; COMPUTE_PGM_RSRC2:USER_SGPR: 2
; COMPUTE_PGM_RSRC2:TRAP_HANDLER: 0
; COMPUTE_PGM_RSRC2:TGID_X_EN: 1
; COMPUTE_PGM_RSRC2:TGID_Y_EN: 0
; COMPUTE_PGM_RSRC2:TGID_Z_EN: 0
; COMPUTE_PGM_RSRC2:TIDIG_COMP_CNT: 0
; COMPUTE_PGM_RSRC3_GFX90A:ACCUM_OFFSET: 0
; COMPUTE_PGM_RSRC3_GFX90A:TG_SPLIT: 0
	.section	.text._ZN7rocprim17ROCPRIM_400000_NS6detail17trampoline_kernelINS0_14default_configENS1_27scan_by_key_config_selectorIijEEZZNS1_16scan_by_key_implILNS1_25lookback_scan_determinismE0ELb0ES3_N6thrust23THRUST_200600_302600_NS6detail15normal_iteratorINS9_10device_ptrIiEEEENSB_INSC_IjEEEENSB_INSC_IfEEEEjNS9_4plusIvEENS9_8equal_toIvEEjEE10hipError_tPvRmT2_T3_T4_T5_mT6_T7_P12ihipStream_tbENKUlT_T0_E_clISt17integral_constantIbLb1EES13_EEDaSY_SZ_EUlSY_E_NS1_11comp_targetILNS1_3genE3ELNS1_11target_archE908ELNS1_3gpuE7ELNS1_3repE0EEENS1_30default_config_static_selectorELNS0_4arch9wavefront6targetE1EEEvT1_,"axG",@progbits,_ZN7rocprim17ROCPRIM_400000_NS6detail17trampoline_kernelINS0_14default_configENS1_27scan_by_key_config_selectorIijEEZZNS1_16scan_by_key_implILNS1_25lookback_scan_determinismE0ELb0ES3_N6thrust23THRUST_200600_302600_NS6detail15normal_iteratorINS9_10device_ptrIiEEEENSB_INSC_IjEEEENSB_INSC_IfEEEEjNS9_4plusIvEENS9_8equal_toIvEEjEE10hipError_tPvRmT2_T3_T4_T5_mT6_T7_P12ihipStream_tbENKUlT_T0_E_clISt17integral_constantIbLb1EES13_EEDaSY_SZ_EUlSY_E_NS1_11comp_targetILNS1_3genE3ELNS1_11target_archE908ELNS1_3gpuE7ELNS1_3repE0EEENS1_30default_config_static_selectorELNS0_4arch9wavefront6targetE1EEEvT1_,comdat
	.protected	_ZN7rocprim17ROCPRIM_400000_NS6detail17trampoline_kernelINS0_14default_configENS1_27scan_by_key_config_selectorIijEEZZNS1_16scan_by_key_implILNS1_25lookback_scan_determinismE0ELb0ES3_N6thrust23THRUST_200600_302600_NS6detail15normal_iteratorINS9_10device_ptrIiEEEENSB_INSC_IjEEEENSB_INSC_IfEEEEjNS9_4plusIvEENS9_8equal_toIvEEjEE10hipError_tPvRmT2_T3_T4_T5_mT6_T7_P12ihipStream_tbENKUlT_T0_E_clISt17integral_constantIbLb1EES13_EEDaSY_SZ_EUlSY_E_NS1_11comp_targetILNS1_3genE3ELNS1_11target_archE908ELNS1_3gpuE7ELNS1_3repE0EEENS1_30default_config_static_selectorELNS0_4arch9wavefront6targetE1EEEvT1_ ; -- Begin function _ZN7rocprim17ROCPRIM_400000_NS6detail17trampoline_kernelINS0_14default_configENS1_27scan_by_key_config_selectorIijEEZZNS1_16scan_by_key_implILNS1_25lookback_scan_determinismE0ELb0ES3_N6thrust23THRUST_200600_302600_NS6detail15normal_iteratorINS9_10device_ptrIiEEEENSB_INSC_IjEEEENSB_INSC_IfEEEEjNS9_4plusIvEENS9_8equal_toIvEEjEE10hipError_tPvRmT2_T3_T4_T5_mT6_T7_P12ihipStream_tbENKUlT_T0_E_clISt17integral_constantIbLb1EES13_EEDaSY_SZ_EUlSY_E_NS1_11comp_targetILNS1_3genE3ELNS1_11target_archE908ELNS1_3gpuE7ELNS1_3repE0EEENS1_30default_config_static_selectorELNS0_4arch9wavefront6targetE1EEEvT1_
	.globl	_ZN7rocprim17ROCPRIM_400000_NS6detail17trampoline_kernelINS0_14default_configENS1_27scan_by_key_config_selectorIijEEZZNS1_16scan_by_key_implILNS1_25lookback_scan_determinismE0ELb0ES3_N6thrust23THRUST_200600_302600_NS6detail15normal_iteratorINS9_10device_ptrIiEEEENSB_INSC_IjEEEENSB_INSC_IfEEEEjNS9_4plusIvEENS9_8equal_toIvEEjEE10hipError_tPvRmT2_T3_T4_T5_mT6_T7_P12ihipStream_tbENKUlT_T0_E_clISt17integral_constantIbLb1EES13_EEDaSY_SZ_EUlSY_E_NS1_11comp_targetILNS1_3genE3ELNS1_11target_archE908ELNS1_3gpuE7ELNS1_3repE0EEENS1_30default_config_static_selectorELNS0_4arch9wavefront6targetE1EEEvT1_
	.p2align	8
	.type	_ZN7rocprim17ROCPRIM_400000_NS6detail17trampoline_kernelINS0_14default_configENS1_27scan_by_key_config_selectorIijEEZZNS1_16scan_by_key_implILNS1_25lookback_scan_determinismE0ELb0ES3_N6thrust23THRUST_200600_302600_NS6detail15normal_iteratorINS9_10device_ptrIiEEEENSB_INSC_IjEEEENSB_INSC_IfEEEEjNS9_4plusIvEENS9_8equal_toIvEEjEE10hipError_tPvRmT2_T3_T4_T5_mT6_T7_P12ihipStream_tbENKUlT_T0_E_clISt17integral_constantIbLb1EES13_EEDaSY_SZ_EUlSY_E_NS1_11comp_targetILNS1_3genE3ELNS1_11target_archE908ELNS1_3gpuE7ELNS1_3repE0EEENS1_30default_config_static_selectorELNS0_4arch9wavefront6targetE1EEEvT1_,@function
_ZN7rocprim17ROCPRIM_400000_NS6detail17trampoline_kernelINS0_14default_configENS1_27scan_by_key_config_selectorIijEEZZNS1_16scan_by_key_implILNS1_25lookback_scan_determinismE0ELb0ES3_N6thrust23THRUST_200600_302600_NS6detail15normal_iteratorINS9_10device_ptrIiEEEENSB_INSC_IjEEEENSB_INSC_IfEEEEjNS9_4plusIvEENS9_8equal_toIvEEjEE10hipError_tPvRmT2_T3_T4_T5_mT6_T7_P12ihipStream_tbENKUlT_T0_E_clISt17integral_constantIbLb1EES13_EEDaSY_SZ_EUlSY_E_NS1_11comp_targetILNS1_3genE3ELNS1_11target_archE908ELNS1_3gpuE7ELNS1_3repE0EEENS1_30default_config_static_selectorELNS0_4arch9wavefront6targetE1EEEvT1_: ; @_ZN7rocprim17ROCPRIM_400000_NS6detail17trampoline_kernelINS0_14default_configENS1_27scan_by_key_config_selectorIijEEZZNS1_16scan_by_key_implILNS1_25lookback_scan_determinismE0ELb0ES3_N6thrust23THRUST_200600_302600_NS6detail15normal_iteratorINS9_10device_ptrIiEEEENSB_INSC_IjEEEENSB_INSC_IfEEEEjNS9_4plusIvEENS9_8equal_toIvEEjEE10hipError_tPvRmT2_T3_T4_T5_mT6_T7_P12ihipStream_tbENKUlT_T0_E_clISt17integral_constantIbLb1EES13_EEDaSY_SZ_EUlSY_E_NS1_11comp_targetILNS1_3genE3ELNS1_11target_archE908ELNS1_3gpuE7ELNS1_3repE0EEENS1_30default_config_static_selectorELNS0_4arch9wavefront6targetE1EEEvT1_
; %bb.0:
	.section	.rodata,"a",@progbits
	.p2align	6, 0x0
	.amdhsa_kernel _ZN7rocprim17ROCPRIM_400000_NS6detail17trampoline_kernelINS0_14default_configENS1_27scan_by_key_config_selectorIijEEZZNS1_16scan_by_key_implILNS1_25lookback_scan_determinismE0ELb0ES3_N6thrust23THRUST_200600_302600_NS6detail15normal_iteratorINS9_10device_ptrIiEEEENSB_INSC_IjEEEENSB_INSC_IfEEEEjNS9_4plusIvEENS9_8equal_toIvEEjEE10hipError_tPvRmT2_T3_T4_T5_mT6_T7_P12ihipStream_tbENKUlT_T0_E_clISt17integral_constantIbLb1EES13_EEDaSY_SZ_EUlSY_E_NS1_11comp_targetILNS1_3genE3ELNS1_11target_archE908ELNS1_3gpuE7ELNS1_3repE0EEENS1_30default_config_static_selectorELNS0_4arch9wavefront6targetE1EEEvT1_
		.amdhsa_group_segment_fixed_size 0
		.amdhsa_private_segment_fixed_size 0
		.amdhsa_kernarg_size 112
		.amdhsa_user_sgpr_count 2
		.amdhsa_user_sgpr_dispatch_ptr 0
		.amdhsa_user_sgpr_queue_ptr 0
		.amdhsa_user_sgpr_kernarg_segment_ptr 1
		.amdhsa_user_sgpr_dispatch_id 0
		.amdhsa_user_sgpr_kernarg_preload_length 0
		.amdhsa_user_sgpr_kernarg_preload_offset 0
		.amdhsa_user_sgpr_private_segment_size 0
		.amdhsa_uses_dynamic_stack 0
		.amdhsa_enable_private_segment 0
		.amdhsa_system_sgpr_workgroup_id_x 1
		.amdhsa_system_sgpr_workgroup_id_y 0
		.amdhsa_system_sgpr_workgroup_id_z 0
		.amdhsa_system_sgpr_workgroup_info 0
		.amdhsa_system_vgpr_workitem_id 0
		.amdhsa_next_free_vgpr 1
		.amdhsa_next_free_sgpr 0
		.amdhsa_accum_offset 4
		.amdhsa_reserve_vcc 0
		.amdhsa_float_round_mode_32 0
		.amdhsa_float_round_mode_16_64 0
		.amdhsa_float_denorm_mode_32 3
		.amdhsa_float_denorm_mode_16_64 3
		.amdhsa_dx10_clamp 1
		.amdhsa_ieee_mode 1
		.amdhsa_fp16_overflow 0
		.amdhsa_tg_split 0
		.amdhsa_exception_fp_ieee_invalid_op 0
		.amdhsa_exception_fp_denorm_src 0
		.amdhsa_exception_fp_ieee_div_zero 0
		.amdhsa_exception_fp_ieee_overflow 0
		.amdhsa_exception_fp_ieee_underflow 0
		.amdhsa_exception_fp_ieee_inexact 0
		.amdhsa_exception_int_div_zero 0
	.end_amdhsa_kernel
	.section	.text._ZN7rocprim17ROCPRIM_400000_NS6detail17trampoline_kernelINS0_14default_configENS1_27scan_by_key_config_selectorIijEEZZNS1_16scan_by_key_implILNS1_25lookback_scan_determinismE0ELb0ES3_N6thrust23THRUST_200600_302600_NS6detail15normal_iteratorINS9_10device_ptrIiEEEENSB_INSC_IjEEEENSB_INSC_IfEEEEjNS9_4plusIvEENS9_8equal_toIvEEjEE10hipError_tPvRmT2_T3_T4_T5_mT6_T7_P12ihipStream_tbENKUlT_T0_E_clISt17integral_constantIbLb1EES13_EEDaSY_SZ_EUlSY_E_NS1_11comp_targetILNS1_3genE3ELNS1_11target_archE908ELNS1_3gpuE7ELNS1_3repE0EEENS1_30default_config_static_selectorELNS0_4arch9wavefront6targetE1EEEvT1_,"axG",@progbits,_ZN7rocprim17ROCPRIM_400000_NS6detail17trampoline_kernelINS0_14default_configENS1_27scan_by_key_config_selectorIijEEZZNS1_16scan_by_key_implILNS1_25lookback_scan_determinismE0ELb0ES3_N6thrust23THRUST_200600_302600_NS6detail15normal_iteratorINS9_10device_ptrIiEEEENSB_INSC_IjEEEENSB_INSC_IfEEEEjNS9_4plusIvEENS9_8equal_toIvEEjEE10hipError_tPvRmT2_T3_T4_T5_mT6_T7_P12ihipStream_tbENKUlT_T0_E_clISt17integral_constantIbLb1EES13_EEDaSY_SZ_EUlSY_E_NS1_11comp_targetILNS1_3genE3ELNS1_11target_archE908ELNS1_3gpuE7ELNS1_3repE0EEENS1_30default_config_static_selectorELNS0_4arch9wavefront6targetE1EEEvT1_,comdat
.Lfunc_end1657:
	.size	_ZN7rocprim17ROCPRIM_400000_NS6detail17trampoline_kernelINS0_14default_configENS1_27scan_by_key_config_selectorIijEEZZNS1_16scan_by_key_implILNS1_25lookback_scan_determinismE0ELb0ES3_N6thrust23THRUST_200600_302600_NS6detail15normal_iteratorINS9_10device_ptrIiEEEENSB_INSC_IjEEEENSB_INSC_IfEEEEjNS9_4plusIvEENS9_8equal_toIvEEjEE10hipError_tPvRmT2_T3_T4_T5_mT6_T7_P12ihipStream_tbENKUlT_T0_E_clISt17integral_constantIbLb1EES13_EEDaSY_SZ_EUlSY_E_NS1_11comp_targetILNS1_3genE3ELNS1_11target_archE908ELNS1_3gpuE7ELNS1_3repE0EEENS1_30default_config_static_selectorELNS0_4arch9wavefront6targetE1EEEvT1_, .Lfunc_end1657-_ZN7rocprim17ROCPRIM_400000_NS6detail17trampoline_kernelINS0_14default_configENS1_27scan_by_key_config_selectorIijEEZZNS1_16scan_by_key_implILNS1_25lookback_scan_determinismE0ELb0ES3_N6thrust23THRUST_200600_302600_NS6detail15normal_iteratorINS9_10device_ptrIiEEEENSB_INSC_IjEEEENSB_INSC_IfEEEEjNS9_4plusIvEENS9_8equal_toIvEEjEE10hipError_tPvRmT2_T3_T4_T5_mT6_T7_P12ihipStream_tbENKUlT_T0_E_clISt17integral_constantIbLb1EES13_EEDaSY_SZ_EUlSY_E_NS1_11comp_targetILNS1_3genE3ELNS1_11target_archE908ELNS1_3gpuE7ELNS1_3repE0EEENS1_30default_config_static_selectorELNS0_4arch9wavefront6targetE1EEEvT1_
                                        ; -- End function
	.section	.AMDGPU.csdata,"",@progbits
; Kernel info:
; codeLenInByte = 0
; NumSgprs: 6
; NumVgprs: 0
; NumAgprs: 0
; TotalNumVgprs: 0
; ScratchSize: 0
; MemoryBound: 0
; FloatMode: 240
; IeeeMode: 1
; LDSByteSize: 0 bytes/workgroup (compile time only)
; SGPRBlocks: 0
; VGPRBlocks: 0
; NumSGPRsForWavesPerEU: 6
; NumVGPRsForWavesPerEU: 1
; AccumOffset: 4
; Occupancy: 8
; WaveLimiterHint : 0
; COMPUTE_PGM_RSRC2:SCRATCH_EN: 0
; COMPUTE_PGM_RSRC2:USER_SGPR: 2
; COMPUTE_PGM_RSRC2:TRAP_HANDLER: 0
; COMPUTE_PGM_RSRC2:TGID_X_EN: 1
; COMPUTE_PGM_RSRC2:TGID_Y_EN: 0
; COMPUTE_PGM_RSRC2:TGID_Z_EN: 0
; COMPUTE_PGM_RSRC2:TIDIG_COMP_CNT: 0
; COMPUTE_PGM_RSRC3_GFX90A:ACCUM_OFFSET: 0
; COMPUTE_PGM_RSRC3_GFX90A:TG_SPLIT: 0
	.section	.text._ZN7rocprim17ROCPRIM_400000_NS6detail17trampoline_kernelINS0_14default_configENS1_27scan_by_key_config_selectorIijEEZZNS1_16scan_by_key_implILNS1_25lookback_scan_determinismE0ELb0ES3_N6thrust23THRUST_200600_302600_NS6detail15normal_iteratorINS9_10device_ptrIiEEEENSB_INSC_IjEEEENSB_INSC_IfEEEEjNS9_4plusIvEENS9_8equal_toIvEEjEE10hipError_tPvRmT2_T3_T4_T5_mT6_T7_P12ihipStream_tbENKUlT_T0_E_clISt17integral_constantIbLb1EES13_EEDaSY_SZ_EUlSY_E_NS1_11comp_targetILNS1_3genE2ELNS1_11target_archE906ELNS1_3gpuE6ELNS1_3repE0EEENS1_30default_config_static_selectorELNS0_4arch9wavefront6targetE1EEEvT1_,"axG",@progbits,_ZN7rocprim17ROCPRIM_400000_NS6detail17trampoline_kernelINS0_14default_configENS1_27scan_by_key_config_selectorIijEEZZNS1_16scan_by_key_implILNS1_25lookback_scan_determinismE0ELb0ES3_N6thrust23THRUST_200600_302600_NS6detail15normal_iteratorINS9_10device_ptrIiEEEENSB_INSC_IjEEEENSB_INSC_IfEEEEjNS9_4plusIvEENS9_8equal_toIvEEjEE10hipError_tPvRmT2_T3_T4_T5_mT6_T7_P12ihipStream_tbENKUlT_T0_E_clISt17integral_constantIbLb1EES13_EEDaSY_SZ_EUlSY_E_NS1_11comp_targetILNS1_3genE2ELNS1_11target_archE906ELNS1_3gpuE6ELNS1_3repE0EEENS1_30default_config_static_selectorELNS0_4arch9wavefront6targetE1EEEvT1_,comdat
	.protected	_ZN7rocprim17ROCPRIM_400000_NS6detail17trampoline_kernelINS0_14default_configENS1_27scan_by_key_config_selectorIijEEZZNS1_16scan_by_key_implILNS1_25lookback_scan_determinismE0ELb0ES3_N6thrust23THRUST_200600_302600_NS6detail15normal_iteratorINS9_10device_ptrIiEEEENSB_INSC_IjEEEENSB_INSC_IfEEEEjNS9_4plusIvEENS9_8equal_toIvEEjEE10hipError_tPvRmT2_T3_T4_T5_mT6_T7_P12ihipStream_tbENKUlT_T0_E_clISt17integral_constantIbLb1EES13_EEDaSY_SZ_EUlSY_E_NS1_11comp_targetILNS1_3genE2ELNS1_11target_archE906ELNS1_3gpuE6ELNS1_3repE0EEENS1_30default_config_static_selectorELNS0_4arch9wavefront6targetE1EEEvT1_ ; -- Begin function _ZN7rocprim17ROCPRIM_400000_NS6detail17trampoline_kernelINS0_14default_configENS1_27scan_by_key_config_selectorIijEEZZNS1_16scan_by_key_implILNS1_25lookback_scan_determinismE0ELb0ES3_N6thrust23THRUST_200600_302600_NS6detail15normal_iteratorINS9_10device_ptrIiEEEENSB_INSC_IjEEEENSB_INSC_IfEEEEjNS9_4plusIvEENS9_8equal_toIvEEjEE10hipError_tPvRmT2_T3_T4_T5_mT6_T7_P12ihipStream_tbENKUlT_T0_E_clISt17integral_constantIbLb1EES13_EEDaSY_SZ_EUlSY_E_NS1_11comp_targetILNS1_3genE2ELNS1_11target_archE906ELNS1_3gpuE6ELNS1_3repE0EEENS1_30default_config_static_selectorELNS0_4arch9wavefront6targetE1EEEvT1_
	.globl	_ZN7rocprim17ROCPRIM_400000_NS6detail17trampoline_kernelINS0_14default_configENS1_27scan_by_key_config_selectorIijEEZZNS1_16scan_by_key_implILNS1_25lookback_scan_determinismE0ELb0ES3_N6thrust23THRUST_200600_302600_NS6detail15normal_iteratorINS9_10device_ptrIiEEEENSB_INSC_IjEEEENSB_INSC_IfEEEEjNS9_4plusIvEENS9_8equal_toIvEEjEE10hipError_tPvRmT2_T3_T4_T5_mT6_T7_P12ihipStream_tbENKUlT_T0_E_clISt17integral_constantIbLb1EES13_EEDaSY_SZ_EUlSY_E_NS1_11comp_targetILNS1_3genE2ELNS1_11target_archE906ELNS1_3gpuE6ELNS1_3repE0EEENS1_30default_config_static_selectorELNS0_4arch9wavefront6targetE1EEEvT1_
	.p2align	8
	.type	_ZN7rocprim17ROCPRIM_400000_NS6detail17trampoline_kernelINS0_14default_configENS1_27scan_by_key_config_selectorIijEEZZNS1_16scan_by_key_implILNS1_25lookback_scan_determinismE0ELb0ES3_N6thrust23THRUST_200600_302600_NS6detail15normal_iteratorINS9_10device_ptrIiEEEENSB_INSC_IjEEEENSB_INSC_IfEEEEjNS9_4plusIvEENS9_8equal_toIvEEjEE10hipError_tPvRmT2_T3_T4_T5_mT6_T7_P12ihipStream_tbENKUlT_T0_E_clISt17integral_constantIbLb1EES13_EEDaSY_SZ_EUlSY_E_NS1_11comp_targetILNS1_3genE2ELNS1_11target_archE906ELNS1_3gpuE6ELNS1_3repE0EEENS1_30default_config_static_selectorELNS0_4arch9wavefront6targetE1EEEvT1_,@function
_ZN7rocprim17ROCPRIM_400000_NS6detail17trampoline_kernelINS0_14default_configENS1_27scan_by_key_config_selectorIijEEZZNS1_16scan_by_key_implILNS1_25lookback_scan_determinismE0ELb0ES3_N6thrust23THRUST_200600_302600_NS6detail15normal_iteratorINS9_10device_ptrIiEEEENSB_INSC_IjEEEENSB_INSC_IfEEEEjNS9_4plusIvEENS9_8equal_toIvEEjEE10hipError_tPvRmT2_T3_T4_T5_mT6_T7_P12ihipStream_tbENKUlT_T0_E_clISt17integral_constantIbLb1EES13_EEDaSY_SZ_EUlSY_E_NS1_11comp_targetILNS1_3genE2ELNS1_11target_archE906ELNS1_3gpuE6ELNS1_3repE0EEENS1_30default_config_static_selectorELNS0_4arch9wavefront6targetE1EEEvT1_: ; @_ZN7rocprim17ROCPRIM_400000_NS6detail17trampoline_kernelINS0_14default_configENS1_27scan_by_key_config_selectorIijEEZZNS1_16scan_by_key_implILNS1_25lookback_scan_determinismE0ELb0ES3_N6thrust23THRUST_200600_302600_NS6detail15normal_iteratorINS9_10device_ptrIiEEEENSB_INSC_IjEEEENSB_INSC_IfEEEEjNS9_4plusIvEENS9_8equal_toIvEEjEE10hipError_tPvRmT2_T3_T4_T5_mT6_T7_P12ihipStream_tbENKUlT_T0_E_clISt17integral_constantIbLb1EES13_EEDaSY_SZ_EUlSY_E_NS1_11comp_targetILNS1_3genE2ELNS1_11target_archE906ELNS1_3gpuE6ELNS1_3repE0EEENS1_30default_config_static_selectorELNS0_4arch9wavefront6targetE1EEEvT1_
; %bb.0:
	.section	.rodata,"a",@progbits
	.p2align	6, 0x0
	.amdhsa_kernel _ZN7rocprim17ROCPRIM_400000_NS6detail17trampoline_kernelINS0_14default_configENS1_27scan_by_key_config_selectorIijEEZZNS1_16scan_by_key_implILNS1_25lookback_scan_determinismE0ELb0ES3_N6thrust23THRUST_200600_302600_NS6detail15normal_iteratorINS9_10device_ptrIiEEEENSB_INSC_IjEEEENSB_INSC_IfEEEEjNS9_4plusIvEENS9_8equal_toIvEEjEE10hipError_tPvRmT2_T3_T4_T5_mT6_T7_P12ihipStream_tbENKUlT_T0_E_clISt17integral_constantIbLb1EES13_EEDaSY_SZ_EUlSY_E_NS1_11comp_targetILNS1_3genE2ELNS1_11target_archE906ELNS1_3gpuE6ELNS1_3repE0EEENS1_30default_config_static_selectorELNS0_4arch9wavefront6targetE1EEEvT1_
		.amdhsa_group_segment_fixed_size 0
		.amdhsa_private_segment_fixed_size 0
		.amdhsa_kernarg_size 112
		.amdhsa_user_sgpr_count 2
		.amdhsa_user_sgpr_dispatch_ptr 0
		.amdhsa_user_sgpr_queue_ptr 0
		.amdhsa_user_sgpr_kernarg_segment_ptr 1
		.amdhsa_user_sgpr_dispatch_id 0
		.amdhsa_user_sgpr_kernarg_preload_length 0
		.amdhsa_user_sgpr_kernarg_preload_offset 0
		.amdhsa_user_sgpr_private_segment_size 0
		.amdhsa_uses_dynamic_stack 0
		.amdhsa_enable_private_segment 0
		.amdhsa_system_sgpr_workgroup_id_x 1
		.amdhsa_system_sgpr_workgroup_id_y 0
		.amdhsa_system_sgpr_workgroup_id_z 0
		.amdhsa_system_sgpr_workgroup_info 0
		.amdhsa_system_vgpr_workitem_id 0
		.amdhsa_next_free_vgpr 1
		.amdhsa_next_free_sgpr 0
		.amdhsa_accum_offset 4
		.amdhsa_reserve_vcc 0
		.amdhsa_float_round_mode_32 0
		.amdhsa_float_round_mode_16_64 0
		.amdhsa_float_denorm_mode_32 3
		.amdhsa_float_denorm_mode_16_64 3
		.amdhsa_dx10_clamp 1
		.amdhsa_ieee_mode 1
		.amdhsa_fp16_overflow 0
		.amdhsa_tg_split 0
		.amdhsa_exception_fp_ieee_invalid_op 0
		.amdhsa_exception_fp_denorm_src 0
		.amdhsa_exception_fp_ieee_div_zero 0
		.amdhsa_exception_fp_ieee_overflow 0
		.amdhsa_exception_fp_ieee_underflow 0
		.amdhsa_exception_fp_ieee_inexact 0
		.amdhsa_exception_int_div_zero 0
	.end_amdhsa_kernel
	.section	.text._ZN7rocprim17ROCPRIM_400000_NS6detail17trampoline_kernelINS0_14default_configENS1_27scan_by_key_config_selectorIijEEZZNS1_16scan_by_key_implILNS1_25lookback_scan_determinismE0ELb0ES3_N6thrust23THRUST_200600_302600_NS6detail15normal_iteratorINS9_10device_ptrIiEEEENSB_INSC_IjEEEENSB_INSC_IfEEEEjNS9_4plusIvEENS9_8equal_toIvEEjEE10hipError_tPvRmT2_T3_T4_T5_mT6_T7_P12ihipStream_tbENKUlT_T0_E_clISt17integral_constantIbLb1EES13_EEDaSY_SZ_EUlSY_E_NS1_11comp_targetILNS1_3genE2ELNS1_11target_archE906ELNS1_3gpuE6ELNS1_3repE0EEENS1_30default_config_static_selectorELNS0_4arch9wavefront6targetE1EEEvT1_,"axG",@progbits,_ZN7rocprim17ROCPRIM_400000_NS6detail17trampoline_kernelINS0_14default_configENS1_27scan_by_key_config_selectorIijEEZZNS1_16scan_by_key_implILNS1_25lookback_scan_determinismE0ELb0ES3_N6thrust23THRUST_200600_302600_NS6detail15normal_iteratorINS9_10device_ptrIiEEEENSB_INSC_IjEEEENSB_INSC_IfEEEEjNS9_4plusIvEENS9_8equal_toIvEEjEE10hipError_tPvRmT2_T3_T4_T5_mT6_T7_P12ihipStream_tbENKUlT_T0_E_clISt17integral_constantIbLb1EES13_EEDaSY_SZ_EUlSY_E_NS1_11comp_targetILNS1_3genE2ELNS1_11target_archE906ELNS1_3gpuE6ELNS1_3repE0EEENS1_30default_config_static_selectorELNS0_4arch9wavefront6targetE1EEEvT1_,comdat
.Lfunc_end1658:
	.size	_ZN7rocprim17ROCPRIM_400000_NS6detail17trampoline_kernelINS0_14default_configENS1_27scan_by_key_config_selectorIijEEZZNS1_16scan_by_key_implILNS1_25lookback_scan_determinismE0ELb0ES3_N6thrust23THRUST_200600_302600_NS6detail15normal_iteratorINS9_10device_ptrIiEEEENSB_INSC_IjEEEENSB_INSC_IfEEEEjNS9_4plusIvEENS9_8equal_toIvEEjEE10hipError_tPvRmT2_T3_T4_T5_mT6_T7_P12ihipStream_tbENKUlT_T0_E_clISt17integral_constantIbLb1EES13_EEDaSY_SZ_EUlSY_E_NS1_11comp_targetILNS1_3genE2ELNS1_11target_archE906ELNS1_3gpuE6ELNS1_3repE0EEENS1_30default_config_static_selectorELNS0_4arch9wavefront6targetE1EEEvT1_, .Lfunc_end1658-_ZN7rocprim17ROCPRIM_400000_NS6detail17trampoline_kernelINS0_14default_configENS1_27scan_by_key_config_selectorIijEEZZNS1_16scan_by_key_implILNS1_25lookback_scan_determinismE0ELb0ES3_N6thrust23THRUST_200600_302600_NS6detail15normal_iteratorINS9_10device_ptrIiEEEENSB_INSC_IjEEEENSB_INSC_IfEEEEjNS9_4plusIvEENS9_8equal_toIvEEjEE10hipError_tPvRmT2_T3_T4_T5_mT6_T7_P12ihipStream_tbENKUlT_T0_E_clISt17integral_constantIbLb1EES13_EEDaSY_SZ_EUlSY_E_NS1_11comp_targetILNS1_3genE2ELNS1_11target_archE906ELNS1_3gpuE6ELNS1_3repE0EEENS1_30default_config_static_selectorELNS0_4arch9wavefront6targetE1EEEvT1_
                                        ; -- End function
	.section	.AMDGPU.csdata,"",@progbits
; Kernel info:
; codeLenInByte = 0
; NumSgprs: 6
; NumVgprs: 0
; NumAgprs: 0
; TotalNumVgprs: 0
; ScratchSize: 0
; MemoryBound: 0
; FloatMode: 240
; IeeeMode: 1
; LDSByteSize: 0 bytes/workgroup (compile time only)
; SGPRBlocks: 0
; VGPRBlocks: 0
; NumSGPRsForWavesPerEU: 6
; NumVGPRsForWavesPerEU: 1
; AccumOffset: 4
; Occupancy: 8
; WaveLimiterHint : 0
; COMPUTE_PGM_RSRC2:SCRATCH_EN: 0
; COMPUTE_PGM_RSRC2:USER_SGPR: 2
; COMPUTE_PGM_RSRC2:TRAP_HANDLER: 0
; COMPUTE_PGM_RSRC2:TGID_X_EN: 1
; COMPUTE_PGM_RSRC2:TGID_Y_EN: 0
; COMPUTE_PGM_RSRC2:TGID_Z_EN: 0
; COMPUTE_PGM_RSRC2:TIDIG_COMP_CNT: 0
; COMPUTE_PGM_RSRC3_GFX90A:ACCUM_OFFSET: 0
; COMPUTE_PGM_RSRC3_GFX90A:TG_SPLIT: 0
	.section	.text._ZN7rocprim17ROCPRIM_400000_NS6detail17trampoline_kernelINS0_14default_configENS1_27scan_by_key_config_selectorIijEEZZNS1_16scan_by_key_implILNS1_25lookback_scan_determinismE0ELb0ES3_N6thrust23THRUST_200600_302600_NS6detail15normal_iteratorINS9_10device_ptrIiEEEENSB_INSC_IjEEEENSB_INSC_IfEEEEjNS9_4plusIvEENS9_8equal_toIvEEjEE10hipError_tPvRmT2_T3_T4_T5_mT6_T7_P12ihipStream_tbENKUlT_T0_E_clISt17integral_constantIbLb1EES13_EEDaSY_SZ_EUlSY_E_NS1_11comp_targetILNS1_3genE10ELNS1_11target_archE1200ELNS1_3gpuE4ELNS1_3repE0EEENS1_30default_config_static_selectorELNS0_4arch9wavefront6targetE1EEEvT1_,"axG",@progbits,_ZN7rocprim17ROCPRIM_400000_NS6detail17trampoline_kernelINS0_14default_configENS1_27scan_by_key_config_selectorIijEEZZNS1_16scan_by_key_implILNS1_25lookback_scan_determinismE0ELb0ES3_N6thrust23THRUST_200600_302600_NS6detail15normal_iteratorINS9_10device_ptrIiEEEENSB_INSC_IjEEEENSB_INSC_IfEEEEjNS9_4plusIvEENS9_8equal_toIvEEjEE10hipError_tPvRmT2_T3_T4_T5_mT6_T7_P12ihipStream_tbENKUlT_T0_E_clISt17integral_constantIbLb1EES13_EEDaSY_SZ_EUlSY_E_NS1_11comp_targetILNS1_3genE10ELNS1_11target_archE1200ELNS1_3gpuE4ELNS1_3repE0EEENS1_30default_config_static_selectorELNS0_4arch9wavefront6targetE1EEEvT1_,comdat
	.protected	_ZN7rocprim17ROCPRIM_400000_NS6detail17trampoline_kernelINS0_14default_configENS1_27scan_by_key_config_selectorIijEEZZNS1_16scan_by_key_implILNS1_25lookback_scan_determinismE0ELb0ES3_N6thrust23THRUST_200600_302600_NS6detail15normal_iteratorINS9_10device_ptrIiEEEENSB_INSC_IjEEEENSB_INSC_IfEEEEjNS9_4plusIvEENS9_8equal_toIvEEjEE10hipError_tPvRmT2_T3_T4_T5_mT6_T7_P12ihipStream_tbENKUlT_T0_E_clISt17integral_constantIbLb1EES13_EEDaSY_SZ_EUlSY_E_NS1_11comp_targetILNS1_3genE10ELNS1_11target_archE1200ELNS1_3gpuE4ELNS1_3repE0EEENS1_30default_config_static_selectorELNS0_4arch9wavefront6targetE1EEEvT1_ ; -- Begin function _ZN7rocprim17ROCPRIM_400000_NS6detail17trampoline_kernelINS0_14default_configENS1_27scan_by_key_config_selectorIijEEZZNS1_16scan_by_key_implILNS1_25lookback_scan_determinismE0ELb0ES3_N6thrust23THRUST_200600_302600_NS6detail15normal_iteratorINS9_10device_ptrIiEEEENSB_INSC_IjEEEENSB_INSC_IfEEEEjNS9_4plusIvEENS9_8equal_toIvEEjEE10hipError_tPvRmT2_T3_T4_T5_mT6_T7_P12ihipStream_tbENKUlT_T0_E_clISt17integral_constantIbLb1EES13_EEDaSY_SZ_EUlSY_E_NS1_11comp_targetILNS1_3genE10ELNS1_11target_archE1200ELNS1_3gpuE4ELNS1_3repE0EEENS1_30default_config_static_selectorELNS0_4arch9wavefront6targetE1EEEvT1_
	.globl	_ZN7rocprim17ROCPRIM_400000_NS6detail17trampoline_kernelINS0_14default_configENS1_27scan_by_key_config_selectorIijEEZZNS1_16scan_by_key_implILNS1_25lookback_scan_determinismE0ELb0ES3_N6thrust23THRUST_200600_302600_NS6detail15normal_iteratorINS9_10device_ptrIiEEEENSB_INSC_IjEEEENSB_INSC_IfEEEEjNS9_4plusIvEENS9_8equal_toIvEEjEE10hipError_tPvRmT2_T3_T4_T5_mT6_T7_P12ihipStream_tbENKUlT_T0_E_clISt17integral_constantIbLb1EES13_EEDaSY_SZ_EUlSY_E_NS1_11comp_targetILNS1_3genE10ELNS1_11target_archE1200ELNS1_3gpuE4ELNS1_3repE0EEENS1_30default_config_static_selectorELNS0_4arch9wavefront6targetE1EEEvT1_
	.p2align	8
	.type	_ZN7rocprim17ROCPRIM_400000_NS6detail17trampoline_kernelINS0_14default_configENS1_27scan_by_key_config_selectorIijEEZZNS1_16scan_by_key_implILNS1_25lookback_scan_determinismE0ELb0ES3_N6thrust23THRUST_200600_302600_NS6detail15normal_iteratorINS9_10device_ptrIiEEEENSB_INSC_IjEEEENSB_INSC_IfEEEEjNS9_4plusIvEENS9_8equal_toIvEEjEE10hipError_tPvRmT2_T3_T4_T5_mT6_T7_P12ihipStream_tbENKUlT_T0_E_clISt17integral_constantIbLb1EES13_EEDaSY_SZ_EUlSY_E_NS1_11comp_targetILNS1_3genE10ELNS1_11target_archE1200ELNS1_3gpuE4ELNS1_3repE0EEENS1_30default_config_static_selectorELNS0_4arch9wavefront6targetE1EEEvT1_,@function
_ZN7rocprim17ROCPRIM_400000_NS6detail17trampoline_kernelINS0_14default_configENS1_27scan_by_key_config_selectorIijEEZZNS1_16scan_by_key_implILNS1_25lookback_scan_determinismE0ELb0ES3_N6thrust23THRUST_200600_302600_NS6detail15normal_iteratorINS9_10device_ptrIiEEEENSB_INSC_IjEEEENSB_INSC_IfEEEEjNS9_4plusIvEENS9_8equal_toIvEEjEE10hipError_tPvRmT2_T3_T4_T5_mT6_T7_P12ihipStream_tbENKUlT_T0_E_clISt17integral_constantIbLb1EES13_EEDaSY_SZ_EUlSY_E_NS1_11comp_targetILNS1_3genE10ELNS1_11target_archE1200ELNS1_3gpuE4ELNS1_3repE0EEENS1_30default_config_static_selectorELNS0_4arch9wavefront6targetE1EEEvT1_: ; @_ZN7rocprim17ROCPRIM_400000_NS6detail17trampoline_kernelINS0_14default_configENS1_27scan_by_key_config_selectorIijEEZZNS1_16scan_by_key_implILNS1_25lookback_scan_determinismE0ELb0ES3_N6thrust23THRUST_200600_302600_NS6detail15normal_iteratorINS9_10device_ptrIiEEEENSB_INSC_IjEEEENSB_INSC_IfEEEEjNS9_4plusIvEENS9_8equal_toIvEEjEE10hipError_tPvRmT2_T3_T4_T5_mT6_T7_P12ihipStream_tbENKUlT_T0_E_clISt17integral_constantIbLb1EES13_EEDaSY_SZ_EUlSY_E_NS1_11comp_targetILNS1_3genE10ELNS1_11target_archE1200ELNS1_3gpuE4ELNS1_3repE0EEENS1_30default_config_static_selectorELNS0_4arch9wavefront6targetE1EEEvT1_
; %bb.0:
	.section	.rodata,"a",@progbits
	.p2align	6, 0x0
	.amdhsa_kernel _ZN7rocprim17ROCPRIM_400000_NS6detail17trampoline_kernelINS0_14default_configENS1_27scan_by_key_config_selectorIijEEZZNS1_16scan_by_key_implILNS1_25lookback_scan_determinismE0ELb0ES3_N6thrust23THRUST_200600_302600_NS6detail15normal_iteratorINS9_10device_ptrIiEEEENSB_INSC_IjEEEENSB_INSC_IfEEEEjNS9_4plusIvEENS9_8equal_toIvEEjEE10hipError_tPvRmT2_T3_T4_T5_mT6_T7_P12ihipStream_tbENKUlT_T0_E_clISt17integral_constantIbLb1EES13_EEDaSY_SZ_EUlSY_E_NS1_11comp_targetILNS1_3genE10ELNS1_11target_archE1200ELNS1_3gpuE4ELNS1_3repE0EEENS1_30default_config_static_selectorELNS0_4arch9wavefront6targetE1EEEvT1_
		.amdhsa_group_segment_fixed_size 0
		.amdhsa_private_segment_fixed_size 0
		.amdhsa_kernarg_size 112
		.amdhsa_user_sgpr_count 2
		.amdhsa_user_sgpr_dispatch_ptr 0
		.amdhsa_user_sgpr_queue_ptr 0
		.amdhsa_user_sgpr_kernarg_segment_ptr 1
		.amdhsa_user_sgpr_dispatch_id 0
		.amdhsa_user_sgpr_kernarg_preload_length 0
		.amdhsa_user_sgpr_kernarg_preload_offset 0
		.amdhsa_user_sgpr_private_segment_size 0
		.amdhsa_uses_dynamic_stack 0
		.amdhsa_enable_private_segment 0
		.amdhsa_system_sgpr_workgroup_id_x 1
		.amdhsa_system_sgpr_workgroup_id_y 0
		.amdhsa_system_sgpr_workgroup_id_z 0
		.amdhsa_system_sgpr_workgroup_info 0
		.amdhsa_system_vgpr_workitem_id 0
		.amdhsa_next_free_vgpr 1
		.amdhsa_next_free_sgpr 0
		.amdhsa_accum_offset 4
		.amdhsa_reserve_vcc 0
		.amdhsa_float_round_mode_32 0
		.amdhsa_float_round_mode_16_64 0
		.amdhsa_float_denorm_mode_32 3
		.amdhsa_float_denorm_mode_16_64 3
		.amdhsa_dx10_clamp 1
		.amdhsa_ieee_mode 1
		.amdhsa_fp16_overflow 0
		.amdhsa_tg_split 0
		.amdhsa_exception_fp_ieee_invalid_op 0
		.amdhsa_exception_fp_denorm_src 0
		.amdhsa_exception_fp_ieee_div_zero 0
		.amdhsa_exception_fp_ieee_overflow 0
		.amdhsa_exception_fp_ieee_underflow 0
		.amdhsa_exception_fp_ieee_inexact 0
		.amdhsa_exception_int_div_zero 0
	.end_amdhsa_kernel
	.section	.text._ZN7rocprim17ROCPRIM_400000_NS6detail17trampoline_kernelINS0_14default_configENS1_27scan_by_key_config_selectorIijEEZZNS1_16scan_by_key_implILNS1_25lookback_scan_determinismE0ELb0ES3_N6thrust23THRUST_200600_302600_NS6detail15normal_iteratorINS9_10device_ptrIiEEEENSB_INSC_IjEEEENSB_INSC_IfEEEEjNS9_4plusIvEENS9_8equal_toIvEEjEE10hipError_tPvRmT2_T3_T4_T5_mT6_T7_P12ihipStream_tbENKUlT_T0_E_clISt17integral_constantIbLb1EES13_EEDaSY_SZ_EUlSY_E_NS1_11comp_targetILNS1_3genE10ELNS1_11target_archE1200ELNS1_3gpuE4ELNS1_3repE0EEENS1_30default_config_static_selectorELNS0_4arch9wavefront6targetE1EEEvT1_,"axG",@progbits,_ZN7rocprim17ROCPRIM_400000_NS6detail17trampoline_kernelINS0_14default_configENS1_27scan_by_key_config_selectorIijEEZZNS1_16scan_by_key_implILNS1_25lookback_scan_determinismE0ELb0ES3_N6thrust23THRUST_200600_302600_NS6detail15normal_iteratorINS9_10device_ptrIiEEEENSB_INSC_IjEEEENSB_INSC_IfEEEEjNS9_4plusIvEENS9_8equal_toIvEEjEE10hipError_tPvRmT2_T3_T4_T5_mT6_T7_P12ihipStream_tbENKUlT_T0_E_clISt17integral_constantIbLb1EES13_EEDaSY_SZ_EUlSY_E_NS1_11comp_targetILNS1_3genE10ELNS1_11target_archE1200ELNS1_3gpuE4ELNS1_3repE0EEENS1_30default_config_static_selectorELNS0_4arch9wavefront6targetE1EEEvT1_,comdat
.Lfunc_end1659:
	.size	_ZN7rocprim17ROCPRIM_400000_NS6detail17trampoline_kernelINS0_14default_configENS1_27scan_by_key_config_selectorIijEEZZNS1_16scan_by_key_implILNS1_25lookback_scan_determinismE0ELb0ES3_N6thrust23THRUST_200600_302600_NS6detail15normal_iteratorINS9_10device_ptrIiEEEENSB_INSC_IjEEEENSB_INSC_IfEEEEjNS9_4plusIvEENS9_8equal_toIvEEjEE10hipError_tPvRmT2_T3_T4_T5_mT6_T7_P12ihipStream_tbENKUlT_T0_E_clISt17integral_constantIbLb1EES13_EEDaSY_SZ_EUlSY_E_NS1_11comp_targetILNS1_3genE10ELNS1_11target_archE1200ELNS1_3gpuE4ELNS1_3repE0EEENS1_30default_config_static_selectorELNS0_4arch9wavefront6targetE1EEEvT1_, .Lfunc_end1659-_ZN7rocprim17ROCPRIM_400000_NS6detail17trampoline_kernelINS0_14default_configENS1_27scan_by_key_config_selectorIijEEZZNS1_16scan_by_key_implILNS1_25lookback_scan_determinismE0ELb0ES3_N6thrust23THRUST_200600_302600_NS6detail15normal_iteratorINS9_10device_ptrIiEEEENSB_INSC_IjEEEENSB_INSC_IfEEEEjNS9_4plusIvEENS9_8equal_toIvEEjEE10hipError_tPvRmT2_T3_T4_T5_mT6_T7_P12ihipStream_tbENKUlT_T0_E_clISt17integral_constantIbLb1EES13_EEDaSY_SZ_EUlSY_E_NS1_11comp_targetILNS1_3genE10ELNS1_11target_archE1200ELNS1_3gpuE4ELNS1_3repE0EEENS1_30default_config_static_selectorELNS0_4arch9wavefront6targetE1EEEvT1_
                                        ; -- End function
	.section	.AMDGPU.csdata,"",@progbits
; Kernel info:
; codeLenInByte = 0
; NumSgprs: 6
; NumVgprs: 0
; NumAgprs: 0
; TotalNumVgprs: 0
; ScratchSize: 0
; MemoryBound: 0
; FloatMode: 240
; IeeeMode: 1
; LDSByteSize: 0 bytes/workgroup (compile time only)
; SGPRBlocks: 0
; VGPRBlocks: 0
; NumSGPRsForWavesPerEU: 6
; NumVGPRsForWavesPerEU: 1
; AccumOffset: 4
; Occupancy: 8
; WaveLimiterHint : 0
; COMPUTE_PGM_RSRC2:SCRATCH_EN: 0
; COMPUTE_PGM_RSRC2:USER_SGPR: 2
; COMPUTE_PGM_RSRC2:TRAP_HANDLER: 0
; COMPUTE_PGM_RSRC2:TGID_X_EN: 1
; COMPUTE_PGM_RSRC2:TGID_Y_EN: 0
; COMPUTE_PGM_RSRC2:TGID_Z_EN: 0
; COMPUTE_PGM_RSRC2:TIDIG_COMP_CNT: 0
; COMPUTE_PGM_RSRC3_GFX90A:ACCUM_OFFSET: 0
; COMPUTE_PGM_RSRC3_GFX90A:TG_SPLIT: 0
	.section	.text._ZN7rocprim17ROCPRIM_400000_NS6detail17trampoline_kernelINS0_14default_configENS1_27scan_by_key_config_selectorIijEEZZNS1_16scan_by_key_implILNS1_25lookback_scan_determinismE0ELb0ES3_N6thrust23THRUST_200600_302600_NS6detail15normal_iteratorINS9_10device_ptrIiEEEENSB_INSC_IjEEEENSB_INSC_IfEEEEjNS9_4plusIvEENS9_8equal_toIvEEjEE10hipError_tPvRmT2_T3_T4_T5_mT6_T7_P12ihipStream_tbENKUlT_T0_E_clISt17integral_constantIbLb1EES13_EEDaSY_SZ_EUlSY_E_NS1_11comp_targetILNS1_3genE9ELNS1_11target_archE1100ELNS1_3gpuE3ELNS1_3repE0EEENS1_30default_config_static_selectorELNS0_4arch9wavefront6targetE1EEEvT1_,"axG",@progbits,_ZN7rocprim17ROCPRIM_400000_NS6detail17trampoline_kernelINS0_14default_configENS1_27scan_by_key_config_selectorIijEEZZNS1_16scan_by_key_implILNS1_25lookback_scan_determinismE0ELb0ES3_N6thrust23THRUST_200600_302600_NS6detail15normal_iteratorINS9_10device_ptrIiEEEENSB_INSC_IjEEEENSB_INSC_IfEEEEjNS9_4plusIvEENS9_8equal_toIvEEjEE10hipError_tPvRmT2_T3_T4_T5_mT6_T7_P12ihipStream_tbENKUlT_T0_E_clISt17integral_constantIbLb1EES13_EEDaSY_SZ_EUlSY_E_NS1_11comp_targetILNS1_3genE9ELNS1_11target_archE1100ELNS1_3gpuE3ELNS1_3repE0EEENS1_30default_config_static_selectorELNS0_4arch9wavefront6targetE1EEEvT1_,comdat
	.protected	_ZN7rocprim17ROCPRIM_400000_NS6detail17trampoline_kernelINS0_14default_configENS1_27scan_by_key_config_selectorIijEEZZNS1_16scan_by_key_implILNS1_25lookback_scan_determinismE0ELb0ES3_N6thrust23THRUST_200600_302600_NS6detail15normal_iteratorINS9_10device_ptrIiEEEENSB_INSC_IjEEEENSB_INSC_IfEEEEjNS9_4plusIvEENS9_8equal_toIvEEjEE10hipError_tPvRmT2_T3_T4_T5_mT6_T7_P12ihipStream_tbENKUlT_T0_E_clISt17integral_constantIbLb1EES13_EEDaSY_SZ_EUlSY_E_NS1_11comp_targetILNS1_3genE9ELNS1_11target_archE1100ELNS1_3gpuE3ELNS1_3repE0EEENS1_30default_config_static_selectorELNS0_4arch9wavefront6targetE1EEEvT1_ ; -- Begin function _ZN7rocprim17ROCPRIM_400000_NS6detail17trampoline_kernelINS0_14default_configENS1_27scan_by_key_config_selectorIijEEZZNS1_16scan_by_key_implILNS1_25lookback_scan_determinismE0ELb0ES3_N6thrust23THRUST_200600_302600_NS6detail15normal_iteratorINS9_10device_ptrIiEEEENSB_INSC_IjEEEENSB_INSC_IfEEEEjNS9_4plusIvEENS9_8equal_toIvEEjEE10hipError_tPvRmT2_T3_T4_T5_mT6_T7_P12ihipStream_tbENKUlT_T0_E_clISt17integral_constantIbLb1EES13_EEDaSY_SZ_EUlSY_E_NS1_11comp_targetILNS1_3genE9ELNS1_11target_archE1100ELNS1_3gpuE3ELNS1_3repE0EEENS1_30default_config_static_selectorELNS0_4arch9wavefront6targetE1EEEvT1_
	.globl	_ZN7rocprim17ROCPRIM_400000_NS6detail17trampoline_kernelINS0_14default_configENS1_27scan_by_key_config_selectorIijEEZZNS1_16scan_by_key_implILNS1_25lookback_scan_determinismE0ELb0ES3_N6thrust23THRUST_200600_302600_NS6detail15normal_iteratorINS9_10device_ptrIiEEEENSB_INSC_IjEEEENSB_INSC_IfEEEEjNS9_4plusIvEENS9_8equal_toIvEEjEE10hipError_tPvRmT2_T3_T4_T5_mT6_T7_P12ihipStream_tbENKUlT_T0_E_clISt17integral_constantIbLb1EES13_EEDaSY_SZ_EUlSY_E_NS1_11comp_targetILNS1_3genE9ELNS1_11target_archE1100ELNS1_3gpuE3ELNS1_3repE0EEENS1_30default_config_static_selectorELNS0_4arch9wavefront6targetE1EEEvT1_
	.p2align	8
	.type	_ZN7rocprim17ROCPRIM_400000_NS6detail17trampoline_kernelINS0_14default_configENS1_27scan_by_key_config_selectorIijEEZZNS1_16scan_by_key_implILNS1_25lookback_scan_determinismE0ELb0ES3_N6thrust23THRUST_200600_302600_NS6detail15normal_iteratorINS9_10device_ptrIiEEEENSB_INSC_IjEEEENSB_INSC_IfEEEEjNS9_4plusIvEENS9_8equal_toIvEEjEE10hipError_tPvRmT2_T3_T4_T5_mT6_T7_P12ihipStream_tbENKUlT_T0_E_clISt17integral_constantIbLb1EES13_EEDaSY_SZ_EUlSY_E_NS1_11comp_targetILNS1_3genE9ELNS1_11target_archE1100ELNS1_3gpuE3ELNS1_3repE0EEENS1_30default_config_static_selectorELNS0_4arch9wavefront6targetE1EEEvT1_,@function
_ZN7rocprim17ROCPRIM_400000_NS6detail17trampoline_kernelINS0_14default_configENS1_27scan_by_key_config_selectorIijEEZZNS1_16scan_by_key_implILNS1_25lookback_scan_determinismE0ELb0ES3_N6thrust23THRUST_200600_302600_NS6detail15normal_iteratorINS9_10device_ptrIiEEEENSB_INSC_IjEEEENSB_INSC_IfEEEEjNS9_4plusIvEENS9_8equal_toIvEEjEE10hipError_tPvRmT2_T3_T4_T5_mT6_T7_P12ihipStream_tbENKUlT_T0_E_clISt17integral_constantIbLb1EES13_EEDaSY_SZ_EUlSY_E_NS1_11comp_targetILNS1_3genE9ELNS1_11target_archE1100ELNS1_3gpuE3ELNS1_3repE0EEENS1_30default_config_static_selectorELNS0_4arch9wavefront6targetE1EEEvT1_: ; @_ZN7rocprim17ROCPRIM_400000_NS6detail17trampoline_kernelINS0_14default_configENS1_27scan_by_key_config_selectorIijEEZZNS1_16scan_by_key_implILNS1_25lookback_scan_determinismE0ELb0ES3_N6thrust23THRUST_200600_302600_NS6detail15normal_iteratorINS9_10device_ptrIiEEEENSB_INSC_IjEEEENSB_INSC_IfEEEEjNS9_4plusIvEENS9_8equal_toIvEEjEE10hipError_tPvRmT2_T3_T4_T5_mT6_T7_P12ihipStream_tbENKUlT_T0_E_clISt17integral_constantIbLb1EES13_EEDaSY_SZ_EUlSY_E_NS1_11comp_targetILNS1_3genE9ELNS1_11target_archE1100ELNS1_3gpuE3ELNS1_3repE0EEENS1_30default_config_static_selectorELNS0_4arch9wavefront6targetE1EEEvT1_
; %bb.0:
	.section	.rodata,"a",@progbits
	.p2align	6, 0x0
	.amdhsa_kernel _ZN7rocprim17ROCPRIM_400000_NS6detail17trampoline_kernelINS0_14default_configENS1_27scan_by_key_config_selectorIijEEZZNS1_16scan_by_key_implILNS1_25lookback_scan_determinismE0ELb0ES3_N6thrust23THRUST_200600_302600_NS6detail15normal_iteratorINS9_10device_ptrIiEEEENSB_INSC_IjEEEENSB_INSC_IfEEEEjNS9_4plusIvEENS9_8equal_toIvEEjEE10hipError_tPvRmT2_T3_T4_T5_mT6_T7_P12ihipStream_tbENKUlT_T0_E_clISt17integral_constantIbLb1EES13_EEDaSY_SZ_EUlSY_E_NS1_11comp_targetILNS1_3genE9ELNS1_11target_archE1100ELNS1_3gpuE3ELNS1_3repE0EEENS1_30default_config_static_selectorELNS0_4arch9wavefront6targetE1EEEvT1_
		.amdhsa_group_segment_fixed_size 0
		.amdhsa_private_segment_fixed_size 0
		.amdhsa_kernarg_size 112
		.amdhsa_user_sgpr_count 2
		.amdhsa_user_sgpr_dispatch_ptr 0
		.amdhsa_user_sgpr_queue_ptr 0
		.amdhsa_user_sgpr_kernarg_segment_ptr 1
		.amdhsa_user_sgpr_dispatch_id 0
		.amdhsa_user_sgpr_kernarg_preload_length 0
		.amdhsa_user_sgpr_kernarg_preload_offset 0
		.amdhsa_user_sgpr_private_segment_size 0
		.amdhsa_uses_dynamic_stack 0
		.amdhsa_enable_private_segment 0
		.amdhsa_system_sgpr_workgroup_id_x 1
		.amdhsa_system_sgpr_workgroup_id_y 0
		.amdhsa_system_sgpr_workgroup_id_z 0
		.amdhsa_system_sgpr_workgroup_info 0
		.amdhsa_system_vgpr_workitem_id 0
		.amdhsa_next_free_vgpr 1
		.amdhsa_next_free_sgpr 0
		.amdhsa_accum_offset 4
		.amdhsa_reserve_vcc 0
		.amdhsa_float_round_mode_32 0
		.amdhsa_float_round_mode_16_64 0
		.amdhsa_float_denorm_mode_32 3
		.amdhsa_float_denorm_mode_16_64 3
		.amdhsa_dx10_clamp 1
		.amdhsa_ieee_mode 1
		.amdhsa_fp16_overflow 0
		.amdhsa_tg_split 0
		.amdhsa_exception_fp_ieee_invalid_op 0
		.amdhsa_exception_fp_denorm_src 0
		.amdhsa_exception_fp_ieee_div_zero 0
		.amdhsa_exception_fp_ieee_overflow 0
		.amdhsa_exception_fp_ieee_underflow 0
		.amdhsa_exception_fp_ieee_inexact 0
		.amdhsa_exception_int_div_zero 0
	.end_amdhsa_kernel
	.section	.text._ZN7rocprim17ROCPRIM_400000_NS6detail17trampoline_kernelINS0_14default_configENS1_27scan_by_key_config_selectorIijEEZZNS1_16scan_by_key_implILNS1_25lookback_scan_determinismE0ELb0ES3_N6thrust23THRUST_200600_302600_NS6detail15normal_iteratorINS9_10device_ptrIiEEEENSB_INSC_IjEEEENSB_INSC_IfEEEEjNS9_4plusIvEENS9_8equal_toIvEEjEE10hipError_tPvRmT2_T3_T4_T5_mT6_T7_P12ihipStream_tbENKUlT_T0_E_clISt17integral_constantIbLb1EES13_EEDaSY_SZ_EUlSY_E_NS1_11comp_targetILNS1_3genE9ELNS1_11target_archE1100ELNS1_3gpuE3ELNS1_3repE0EEENS1_30default_config_static_selectorELNS0_4arch9wavefront6targetE1EEEvT1_,"axG",@progbits,_ZN7rocprim17ROCPRIM_400000_NS6detail17trampoline_kernelINS0_14default_configENS1_27scan_by_key_config_selectorIijEEZZNS1_16scan_by_key_implILNS1_25lookback_scan_determinismE0ELb0ES3_N6thrust23THRUST_200600_302600_NS6detail15normal_iteratorINS9_10device_ptrIiEEEENSB_INSC_IjEEEENSB_INSC_IfEEEEjNS9_4plusIvEENS9_8equal_toIvEEjEE10hipError_tPvRmT2_T3_T4_T5_mT6_T7_P12ihipStream_tbENKUlT_T0_E_clISt17integral_constantIbLb1EES13_EEDaSY_SZ_EUlSY_E_NS1_11comp_targetILNS1_3genE9ELNS1_11target_archE1100ELNS1_3gpuE3ELNS1_3repE0EEENS1_30default_config_static_selectorELNS0_4arch9wavefront6targetE1EEEvT1_,comdat
.Lfunc_end1660:
	.size	_ZN7rocprim17ROCPRIM_400000_NS6detail17trampoline_kernelINS0_14default_configENS1_27scan_by_key_config_selectorIijEEZZNS1_16scan_by_key_implILNS1_25lookback_scan_determinismE0ELb0ES3_N6thrust23THRUST_200600_302600_NS6detail15normal_iteratorINS9_10device_ptrIiEEEENSB_INSC_IjEEEENSB_INSC_IfEEEEjNS9_4plusIvEENS9_8equal_toIvEEjEE10hipError_tPvRmT2_T3_T4_T5_mT6_T7_P12ihipStream_tbENKUlT_T0_E_clISt17integral_constantIbLb1EES13_EEDaSY_SZ_EUlSY_E_NS1_11comp_targetILNS1_3genE9ELNS1_11target_archE1100ELNS1_3gpuE3ELNS1_3repE0EEENS1_30default_config_static_selectorELNS0_4arch9wavefront6targetE1EEEvT1_, .Lfunc_end1660-_ZN7rocprim17ROCPRIM_400000_NS6detail17trampoline_kernelINS0_14default_configENS1_27scan_by_key_config_selectorIijEEZZNS1_16scan_by_key_implILNS1_25lookback_scan_determinismE0ELb0ES3_N6thrust23THRUST_200600_302600_NS6detail15normal_iteratorINS9_10device_ptrIiEEEENSB_INSC_IjEEEENSB_INSC_IfEEEEjNS9_4plusIvEENS9_8equal_toIvEEjEE10hipError_tPvRmT2_T3_T4_T5_mT6_T7_P12ihipStream_tbENKUlT_T0_E_clISt17integral_constantIbLb1EES13_EEDaSY_SZ_EUlSY_E_NS1_11comp_targetILNS1_3genE9ELNS1_11target_archE1100ELNS1_3gpuE3ELNS1_3repE0EEENS1_30default_config_static_selectorELNS0_4arch9wavefront6targetE1EEEvT1_
                                        ; -- End function
	.section	.AMDGPU.csdata,"",@progbits
; Kernel info:
; codeLenInByte = 0
; NumSgprs: 6
; NumVgprs: 0
; NumAgprs: 0
; TotalNumVgprs: 0
; ScratchSize: 0
; MemoryBound: 0
; FloatMode: 240
; IeeeMode: 1
; LDSByteSize: 0 bytes/workgroup (compile time only)
; SGPRBlocks: 0
; VGPRBlocks: 0
; NumSGPRsForWavesPerEU: 6
; NumVGPRsForWavesPerEU: 1
; AccumOffset: 4
; Occupancy: 8
; WaveLimiterHint : 0
; COMPUTE_PGM_RSRC2:SCRATCH_EN: 0
; COMPUTE_PGM_RSRC2:USER_SGPR: 2
; COMPUTE_PGM_RSRC2:TRAP_HANDLER: 0
; COMPUTE_PGM_RSRC2:TGID_X_EN: 1
; COMPUTE_PGM_RSRC2:TGID_Y_EN: 0
; COMPUTE_PGM_RSRC2:TGID_Z_EN: 0
; COMPUTE_PGM_RSRC2:TIDIG_COMP_CNT: 0
; COMPUTE_PGM_RSRC3_GFX90A:ACCUM_OFFSET: 0
; COMPUTE_PGM_RSRC3_GFX90A:TG_SPLIT: 0
	.section	.text._ZN7rocprim17ROCPRIM_400000_NS6detail17trampoline_kernelINS0_14default_configENS1_27scan_by_key_config_selectorIijEEZZNS1_16scan_by_key_implILNS1_25lookback_scan_determinismE0ELb0ES3_N6thrust23THRUST_200600_302600_NS6detail15normal_iteratorINS9_10device_ptrIiEEEENSB_INSC_IjEEEENSB_INSC_IfEEEEjNS9_4plusIvEENS9_8equal_toIvEEjEE10hipError_tPvRmT2_T3_T4_T5_mT6_T7_P12ihipStream_tbENKUlT_T0_E_clISt17integral_constantIbLb1EES13_EEDaSY_SZ_EUlSY_E_NS1_11comp_targetILNS1_3genE8ELNS1_11target_archE1030ELNS1_3gpuE2ELNS1_3repE0EEENS1_30default_config_static_selectorELNS0_4arch9wavefront6targetE1EEEvT1_,"axG",@progbits,_ZN7rocprim17ROCPRIM_400000_NS6detail17trampoline_kernelINS0_14default_configENS1_27scan_by_key_config_selectorIijEEZZNS1_16scan_by_key_implILNS1_25lookback_scan_determinismE0ELb0ES3_N6thrust23THRUST_200600_302600_NS6detail15normal_iteratorINS9_10device_ptrIiEEEENSB_INSC_IjEEEENSB_INSC_IfEEEEjNS9_4plusIvEENS9_8equal_toIvEEjEE10hipError_tPvRmT2_T3_T4_T5_mT6_T7_P12ihipStream_tbENKUlT_T0_E_clISt17integral_constantIbLb1EES13_EEDaSY_SZ_EUlSY_E_NS1_11comp_targetILNS1_3genE8ELNS1_11target_archE1030ELNS1_3gpuE2ELNS1_3repE0EEENS1_30default_config_static_selectorELNS0_4arch9wavefront6targetE1EEEvT1_,comdat
	.protected	_ZN7rocprim17ROCPRIM_400000_NS6detail17trampoline_kernelINS0_14default_configENS1_27scan_by_key_config_selectorIijEEZZNS1_16scan_by_key_implILNS1_25lookback_scan_determinismE0ELb0ES3_N6thrust23THRUST_200600_302600_NS6detail15normal_iteratorINS9_10device_ptrIiEEEENSB_INSC_IjEEEENSB_INSC_IfEEEEjNS9_4plusIvEENS9_8equal_toIvEEjEE10hipError_tPvRmT2_T3_T4_T5_mT6_T7_P12ihipStream_tbENKUlT_T0_E_clISt17integral_constantIbLb1EES13_EEDaSY_SZ_EUlSY_E_NS1_11comp_targetILNS1_3genE8ELNS1_11target_archE1030ELNS1_3gpuE2ELNS1_3repE0EEENS1_30default_config_static_selectorELNS0_4arch9wavefront6targetE1EEEvT1_ ; -- Begin function _ZN7rocprim17ROCPRIM_400000_NS6detail17trampoline_kernelINS0_14default_configENS1_27scan_by_key_config_selectorIijEEZZNS1_16scan_by_key_implILNS1_25lookback_scan_determinismE0ELb0ES3_N6thrust23THRUST_200600_302600_NS6detail15normal_iteratorINS9_10device_ptrIiEEEENSB_INSC_IjEEEENSB_INSC_IfEEEEjNS9_4plusIvEENS9_8equal_toIvEEjEE10hipError_tPvRmT2_T3_T4_T5_mT6_T7_P12ihipStream_tbENKUlT_T0_E_clISt17integral_constantIbLb1EES13_EEDaSY_SZ_EUlSY_E_NS1_11comp_targetILNS1_3genE8ELNS1_11target_archE1030ELNS1_3gpuE2ELNS1_3repE0EEENS1_30default_config_static_selectorELNS0_4arch9wavefront6targetE1EEEvT1_
	.globl	_ZN7rocprim17ROCPRIM_400000_NS6detail17trampoline_kernelINS0_14default_configENS1_27scan_by_key_config_selectorIijEEZZNS1_16scan_by_key_implILNS1_25lookback_scan_determinismE0ELb0ES3_N6thrust23THRUST_200600_302600_NS6detail15normal_iteratorINS9_10device_ptrIiEEEENSB_INSC_IjEEEENSB_INSC_IfEEEEjNS9_4plusIvEENS9_8equal_toIvEEjEE10hipError_tPvRmT2_T3_T4_T5_mT6_T7_P12ihipStream_tbENKUlT_T0_E_clISt17integral_constantIbLb1EES13_EEDaSY_SZ_EUlSY_E_NS1_11comp_targetILNS1_3genE8ELNS1_11target_archE1030ELNS1_3gpuE2ELNS1_3repE0EEENS1_30default_config_static_selectorELNS0_4arch9wavefront6targetE1EEEvT1_
	.p2align	8
	.type	_ZN7rocprim17ROCPRIM_400000_NS6detail17trampoline_kernelINS0_14default_configENS1_27scan_by_key_config_selectorIijEEZZNS1_16scan_by_key_implILNS1_25lookback_scan_determinismE0ELb0ES3_N6thrust23THRUST_200600_302600_NS6detail15normal_iteratorINS9_10device_ptrIiEEEENSB_INSC_IjEEEENSB_INSC_IfEEEEjNS9_4plusIvEENS9_8equal_toIvEEjEE10hipError_tPvRmT2_T3_T4_T5_mT6_T7_P12ihipStream_tbENKUlT_T0_E_clISt17integral_constantIbLb1EES13_EEDaSY_SZ_EUlSY_E_NS1_11comp_targetILNS1_3genE8ELNS1_11target_archE1030ELNS1_3gpuE2ELNS1_3repE0EEENS1_30default_config_static_selectorELNS0_4arch9wavefront6targetE1EEEvT1_,@function
_ZN7rocprim17ROCPRIM_400000_NS6detail17trampoline_kernelINS0_14default_configENS1_27scan_by_key_config_selectorIijEEZZNS1_16scan_by_key_implILNS1_25lookback_scan_determinismE0ELb0ES3_N6thrust23THRUST_200600_302600_NS6detail15normal_iteratorINS9_10device_ptrIiEEEENSB_INSC_IjEEEENSB_INSC_IfEEEEjNS9_4plusIvEENS9_8equal_toIvEEjEE10hipError_tPvRmT2_T3_T4_T5_mT6_T7_P12ihipStream_tbENKUlT_T0_E_clISt17integral_constantIbLb1EES13_EEDaSY_SZ_EUlSY_E_NS1_11comp_targetILNS1_3genE8ELNS1_11target_archE1030ELNS1_3gpuE2ELNS1_3repE0EEENS1_30default_config_static_selectorELNS0_4arch9wavefront6targetE1EEEvT1_: ; @_ZN7rocprim17ROCPRIM_400000_NS6detail17trampoline_kernelINS0_14default_configENS1_27scan_by_key_config_selectorIijEEZZNS1_16scan_by_key_implILNS1_25lookback_scan_determinismE0ELb0ES3_N6thrust23THRUST_200600_302600_NS6detail15normal_iteratorINS9_10device_ptrIiEEEENSB_INSC_IjEEEENSB_INSC_IfEEEEjNS9_4plusIvEENS9_8equal_toIvEEjEE10hipError_tPvRmT2_T3_T4_T5_mT6_T7_P12ihipStream_tbENKUlT_T0_E_clISt17integral_constantIbLb1EES13_EEDaSY_SZ_EUlSY_E_NS1_11comp_targetILNS1_3genE8ELNS1_11target_archE1030ELNS1_3gpuE2ELNS1_3repE0EEENS1_30default_config_static_selectorELNS0_4arch9wavefront6targetE1EEEvT1_
; %bb.0:
	.section	.rodata,"a",@progbits
	.p2align	6, 0x0
	.amdhsa_kernel _ZN7rocprim17ROCPRIM_400000_NS6detail17trampoline_kernelINS0_14default_configENS1_27scan_by_key_config_selectorIijEEZZNS1_16scan_by_key_implILNS1_25lookback_scan_determinismE0ELb0ES3_N6thrust23THRUST_200600_302600_NS6detail15normal_iteratorINS9_10device_ptrIiEEEENSB_INSC_IjEEEENSB_INSC_IfEEEEjNS9_4plusIvEENS9_8equal_toIvEEjEE10hipError_tPvRmT2_T3_T4_T5_mT6_T7_P12ihipStream_tbENKUlT_T0_E_clISt17integral_constantIbLb1EES13_EEDaSY_SZ_EUlSY_E_NS1_11comp_targetILNS1_3genE8ELNS1_11target_archE1030ELNS1_3gpuE2ELNS1_3repE0EEENS1_30default_config_static_selectorELNS0_4arch9wavefront6targetE1EEEvT1_
		.amdhsa_group_segment_fixed_size 0
		.amdhsa_private_segment_fixed_size 0
		.amdhsa_kernarg_size 112
		.amdhsa_user_sgpr_count 2
		.amdhsa_user_sgpr_dispatch_ptr 0
		.amdhsa_user_sgpr_queue_ptr 0
		.amdhsa_user_sgpr_kernarg_segment_ptr 1
		.amdhsa_user_sgpr_dispatch_id 0
		.amdhsa_user_sgpr_kernarg_preload_length 0
		.amdhsa_user_sgpr_kernarg_preload_offset 0
		.amdhsa_user_sgpr_private_segment_size 0
		.amdhsa_uses_dynamic_stack 0
		.amdhsa_enable_private_segment 0
		.amdhsa_system_sgpr_workgroup_id_x 1
		.amdhsa_system_sgpr_workgroup_id_y 0
		.amdhsa_system_sgpr_workgroup_id_z 0
		.amdhsa_system_sgpr_workgroup_info 0
		.amdhsa_system_vgpr_workitem_id 0
		.amdhsa_next_free_vgpr 1
		.amdhsa_next_free_sgpr 0
		.amdhsa_accum_offset 4
		.amdhsa_reserve_vcc 0
		.amdhsa_float_round_mode_32 0
		.amdhsa_float_round_mode_16_64 0
		.amdhsa_float_denorm_mode_32 3
		.amdhsa_float_denorm_mode_16_64 3
		.amdhsa_dx10_clamp 1
		.amdhsa_ieee_mode 1
		.amdhsa_fp16_overflow 0
		.amdhsa_tg_split 0
		.amdhsa_exception_fp_ieee_invalid_op 0
		.amdhsa_exception_fp_denorm_src 0
		.amdhsa_exception_fp_ieee_div_zero 0
		.amdhsa_exception_fp_ieee_overflow 0
		.amdhsa_exception_fp_ieee_underflow 0
		.amdhsa_exception_fp_ieee_inexact 0
		.amdhsa_exception_int_div_zero 0
	.end_amdhsa_kernel
	.section	.text._ZN7rocprim17ROCPRIM_400000_NS6detail17trampoline_kernelINS0_14default_configENS1_27scan_by_key_config_selectorIijEEZZNS1_16scan_by_key_implILNS1_25lookback_scan_determinismE0ELb0ES3_N6thrust23THRUST_200600_302600_NS6detail15normal_iteratorINS9_10device_ptrIiEEEENSB_INSC_IjEEEENSB_INSC_IfEEEEjNS9_4plusIvEENS9_8equal_toIvEEjEE10hipError_tPvRmT2_T3_T4_T5_mT6_T7_P12ihipStream_tbENKUlT_T0_E_clISt17integral_constantIbLb1EES13_EEDaSY_SZ_EUlSY_E_NS1_11comp_targetILNS1_3genE8ELNS1_11target_archE1030ELNS1_3gpuE2ELNS1_3repE0EEENS1_30default_config_static_selectorELNS0_4arch9wavefront6targetE1EEEvT1_,"axG",@progbits,_ZN7rocprim17ROCPRIM_400000_NS6detail17trampoline_kernelINS0_14default_configENS1_27scan_by_key_config_selectorIijEEZZNS1_16scan_by_key_implILNS1_25lookback_scan_determinismE0ELb0ES3_N6thrust23THRUST_200600_302600_NS6detail15normal_iteratorINS9_10device_ptrIiEEEENSB_INSC_IjEEEENSB_INSC_IfEEEEjNS9_4plusIvEENS9_8equal_toIvEEjEE10hipError_tPvRmT2_T3_T4_T5_mT6_T7_P12ihipStream_tbENKUlT_T0_E_clISt17integral_constantIbLb1EES13_EEDaSY_SZ_EUlSY_E_NS1_11comp_targetILNS1_3genE8ELNS1_11target_archE1030ELNS1_3gpuE2ELNS1_3repE0EEENS1_30default_config_static_selectorELNS0_4arch9wavefront6targetE1EEEvT1_,comdat
.Lfunc_end1661:
	.size	_ZN7rocprim17ROCPRIM_400000_NS6detail17trampoline_kernelINS0_14default_configENS1_27scan_by_key_config_selectorIijEEZZNS1_16scan_by_key_implILNS1_25lookback_scan_determinismE0ELb0ES3_N6thrust23THRUST_200600_302600_NS6detail15normal_iteratorINS9_10device_ptrIiEEEENSB_INSC_IjEEEENSB_INSC_IfEEEEjNS9_4plusIvEENS9_8equal_toIvEEjEE10hipError_tPvRmT2_T3_T4_T5_mT6_T7_P12ihipStream_tbENKUlT_T0_E_clISt17integral_constantIbLb1EES13_EEDaSY_SZ_EUlSY_E_NS1_11comp_targetILNS1_3genE8ELNS1_11target_archE1030ELNS1_3gpuE2ELNS1_3repE0EEENS1_30default_config_static_selectorELNS0_4arch9wavefront6targetE1EEEvT1_, .Lfunc_end1661-_ZN7rocprim17ROCPRIM_400000_NS6detail17trampoline_kernelINS0_14default_configENS1_27scan_by_key_config_selectorIijEEZZNS1_16scan_by_key_implILNS1_25lookback_scan_determinismE0ELb0ES3_N6thrust23THRUST_200600_302600_NS6detail15normal_iteratorINS9_10device_ptrIiEEEENSB_INSC_IjEEEENSB_INSC_IfEEEEjNS9_4plusIvEENS9_8equal_toIvEEjEE10hipError_tPvRmT2_T3_T4_T5_mT6_T7_P12ihipStream_tbENKUlT_T0_E_clISt17integral_constantIbLb1EES13_EEDaSY_SZ_EUlSY_E_NS1_11comp_targetILNS1_3genE8ELNS1_11target_archE1030ELNS1_3gpuE2ELNS1_3repE0EEENS1_30default_config_static_selectorELNS0_4arch9wavefront6targetE1EEEvT1_
                                        ; -- End function
	.section	.AMDGPU.csdata,"",@progbits
; Kernel info:
; codeLenInByte = 0
; NumSgprs: 6
; NumVgprs: 0
; NumAgprs: 0
; TotalNumVgprs: 0
; ScratchSize: 0
; MemoryBound: 0
; FloatMode: 240
; IeeeMode: 1
; LDSByteSize: 0 bytes/workgroup (compile time only)
; SGPRBlocks: 0
; VGPRBlocks: 0
; NumSGPRsForWavesPerEU: 6
; NumVGPRsForWavesPerEU: 1
; AccumOffset: 4
; Occupancy: 8
; WaveLimiterHint : 0
; COMPUTE_PGM_RSRC2:SCRATCH_EN: 0
; COMPUTE_PGM_RSRC2:USER_SGPR: 2
; COMPUTE_PGM_RSRC2:TRAP_HANDLER: 0
; COMPUTE_PGM_RSRC2:TGID_X_EN: 1
; COMPUTE_PGM_RSRC2:TGID_Y_EN: 0
; COMPUTE_PGM_RSRC2:TGID_Z_EN: 0
; COMPUTE_PGM_RSRC2:TIDIG_COMP_CNT: 0
; COMPUTE_PGM_RSRC3_GFX90A:ACCUM_OFFSET: 0
; COMPUTE_PGM_RSRC3_GFX90A:TG_SPLIT: 0
	.section	.text._ZN7rocprim17ROCPRIM_400000_NS6detail17trampoline_kernelINS0_14default_configENS1_27scan_by_key_config_selectorIijEEZZNS1_16scan_by_key_implILNS1_25lookback_scan_determinismE0ELb0ES3_N6thrust23THRUST_200600_302600_NS6detail15normal_iteratorINS9_10device_ptrIiEEEENSB_INSC_IjEEEENSB_INSC_IfEEEEjNS9_4plusIvEENS9_8equal_toIvEEjEE10hipError_tPvRmT2_T3_T4_T5_mT6_T7_P12ihipStream_tbENKUlT_T0_E_clISt17integral_constantIbLb1EES12_IbLb0EEEEDaSY_SZ_EUlSY_E_NS1_11comp_targetILNS1_3genE0ELNS1_11target_archE4294967295ELNS1_3gpuE0ELNS1_3repE0EEENS1_30default_config_static_selectorELNS0_4arch9wavefront6targetE1EEEvT1_,"axG",@progbits,_ZN7rocprim17ROCPRIM_400000_NS6detail17trampoline_kernelINS0_14default_configENS1_27scan_by_key_config_selectorIijEEZZNS1_16scan_by_key_implILNS1_25lookback_scan_determinismE0ELb0ES3_N6thrust23THRUST_200600_302600_NS6detail15normal_iteratorINS9_10device_ptrIiEEEENSB_INSC_IjEEEENSB_INSC_IfEEEEjNS9_4plusIvEENS9_8equal_toIvEEjEE10hipError_tPvRmT2_T3_T4_T5_mT6_T7_P12ihipStream_tbENKUlT_T0_E_clISt17integral_constantIbLb1EES12_IbLb0EEEEDaSY_SZ_EUlSY_E_NS1_11comp_targetILNS1_3genE0ELNS1_11target_archE4294967295ELNS1_3gpuE0ELNS1_3repE0EEENS1_30default_config_static_selectorELNS0_4arch9wavefront6targetE1EEEvT1_,comdat
	.protected	_ZN7rocprim17ROCPRIM_400000_NS6detail17trampoline_kernelINS0_14default_configENS1_27scan_by_key_config_selectorIijEEZZNS1_16scan_by_key_implILNS1_25lookback_scan_determinismE0ELb0ES3_N6thrust23THRUST_200600_302600_NS6detail15normal_iteratorINS9_10device_ptrIiEEEENSB_INSC_IjEEEENSB_INSC_IfEEEEjNS9_4plusIvEENS9_8equal_toIvEEjEE10hipError_tPvRmT2_T3_T4_T5_mT6_T7_P12ihipStream_tbENKUlT_T0_E_clISt17integral_constantIbLb1EES12_IbLb0EEEEDaSY_SZ_EUlSY_E_NS1_11comp_targetILNS1_3genE0ELNS1_11target_archE4294967295ELNS1_3gpuE0ELNS1_3repE0EEENS1_30default_config_static_selectorELNS0_4arch9wavefront6targetE1EEEvT1_ ; -- Begin function _ZN7rocprim17ROCPRIM_400000_NS6detail17trampoline_kernelINS0_14default_configENS1_27scan_by_key_config_selectorIijEEZZNS1_16scan_by_key_implILNS1_25lookback_scan_determinismE0ELb0ES3_N6thrust23THRUST_200600_302600_NS6detail15normal_iteratorINS9_10device_ptrIiEEEENSB_INSC_IjEEEENSB_INSC_IfEEEEjNS9_4plusIvEENS9_8equal_toIvEEjEE10hipError_tPvRmT2_T3_T4_T5_mT6_T7_P12ihipStream_tbENKUlT_T0_E_clISt17integral_constantIbLb1EES12_IbLb0EEEEDaSY_SZ_EUlSY_E_NS1_11comp_targetILNS1_3genE0ELNS1_11target_archE4294967295ELNS1_3gpuE0ELNS1_3repE0EEENS1_30default_config_static_selectorELNS0_4arch9wavefront6targetE1EEEvT1_
	.globl	_ZN7rocprim17ROCPRIM_400000_NS6detail17trampoline_kernelINS0_14default_configENS1_27scan_by_key_config_selectorIijEEZZNS1_16scan_by_key_implILNS1_25lookback_scan_determinismE0ELb0ES3_N6thrust23THRUST_200600_302600_NS6detail15normal_iteratorINS9_10device_ptrIiEEEENSB_INSC_IjEEEENSB_INSC_IfEEEEjNS9_4plusIvEENS9_8equal_toIvEEjEE10hipError_tPvRmT2_T3_T4_T5_mT6_T7_P12ihipStream_tbENKUlT_T0_E_clISt17integral_constantIbLb1EES12_IbLb0EEEEDaSY_SZ_EUlSY_E_NS1_11comp_targetILNS1_3genE0ELNS1_11target_archE4294967295ELNS1_3gpuE0ELNS1_3repE0EEENS1_30default_config_static_selectorELNS0_4arch9wavefront6targetE1EEEvT1_
	.p2align	8
	.type	_ZN7rocprim17ROCPRIM_400000_NS6detail17trampoline_kernelINS0_14default_configENS1_27scan_by_key_config_selectorIijEEZZNS1_16scan_by_key_implILNS1_25lookback_scan_determinismE0ELb0ES3_N6thrust23THRUST_200600_302600_NS6detail15normal_iteratorINS9_10device_ptrIiEEEENSB_INSC_IjEEEENSB_INSC_IfEEEEjNS9_4plusIvEENS9_8equal_toIvEEjEE10hipError_tPvRmT2_T3_T4_T5_mT6_T7_P12ihipStream_tbENKUlT_T0_E_clISt17integral_constantIbLb1EES12_IbLb0EEEEDaSY_SZ_EUlSY_E_NS1_11comp_targetILNS1_3genE0ELNS1_11target_archE4294967295ELNS1_3gpuE0ELNS1_3repE0EEENS1_30default_config_static_selectorELNS0_4arch9wavefront6targetE1EEEvT1_,@function
_ZN7rocprim17ROCPRIM_400000_NS6detail17trampoline_kernelINS0_14default_configENS1_27scan_by_key_config_selectorIijEEZZNS1_16scan_by_key_implILNS1_25lookback_scan_determinismE0ELb0ES3_N6thrust23THRUST_200600_302600_NS6detail15normal_iteratorINS9_10device_ptrIiEEEENSB_INSC_IjEEEENSB_INSC_IfEEEEjNS9_4plusIvEENS9_8equal_toIvEEjEE10hipError_tPvRmT2_T3_T4_T5_mT6_T7_P12ihipStream_tbENKUlT_T0_E_clISt17integral_constantIbLb1EES12_IbLb0EEEEDaSY_SZ_EUlSY_E_NS1_11comp_targetILNS1_3genE0ELNS1_11target_archE4294967295ELNS1_3gpuE0ELNS1_3repE0EEENS1_30default_config_static_selectorELNS0_4arch9wavefront6targetE1EEEvT1_: ; @_ZN7rocprim17ROCPRIM_400000_NS6detail17trampoline_kernelINS0_14default_configENS1_27scan_by_key_config_selectorIijEEZZNS1_16scan_by_key_implILNS1_25lookback_scan_determinismE0ELb0ES3_N6thrust23THRUST_200600_302600_NS6detail15normal_iteratorINS9_10device_ptrIiEEEENSB_INSC_IjEEEENSB_INSC_IfEEEEjNS9_4plusIvEENS9_8equal_toIvEEjEE10hipError_tPvRmT2_T3_T4_T5_mT6_T7_P12ihipStream_tbENKUlT_T0_E_clISt17integral_constantIbLb1EES12_IbLb0EEEEDaSY_SZ_EUlSY_E_NS1_11comp_targetILNS1_3genE0ELNS1_11target_archE4294967295ELNS1_3gpuE0ELNS1_3repE0EEENS1_30default_config_static_selectorELNS0_4arch9wavefront6targetE1EEEvT1_
; %bb.0:
	.section	.rodata,"a",@progbits
	.p2align	6, 0x0
	.amdhsa_kernel _ZN7rocprim17ROCPRIM_400000_NS6detail17trampoline_kernelINS0_14default_configENS1_27scan_by_key_config_selectorIijEEZZNS1_16scan_by_key_implILNS1_25lookback_scan_determinismE0ELb0ES3_N6thrust23THRUST_200600_302600_NS6detail15normal_iteratorINS9_10device_ptrIiEEEENSB_INSC_IjEEEENSB_INSC_IfEEEEjNS9_4plusIvEENS9_8equal_toIvEEjEE10hipError_tPvRmT2_T3_T4_T5_mT6_T7_P12ihipStream_tbENKUlT_T0_E_clISt17integral_constantIbLb1EES12_IbLb0EEEEDaSY_SZ_EUlSY_E_NS1_11comp_targetILNS1_3genE0ELNS1_11target_archE4294967295ELNS1_3gpuE0ELNS1_3repE0EEENS1_30default_config_static_selectorELNS0_4arch9wavefront6targetE1EEEvT1_
		.amdhsa_group_segment_fixed_size 0
		.amdhsa_private_segment_fixed_size 0
		.amdhsa_kernarg_size 112
		.amdhsa_user_sgpr_count 2
		.amdhsa_user_sgpr_dispatch_ptr 0
		.amdhsa_user_sgpr_queue_ptr 0
		.amdhsa_user_sgpr_kernarg_segment_ptr 1
		.amdhsa_user_sgpr_dispatch_id 0
		.amdhsa_user_sgpr_kernarg_preload_length 0
		.amdhsa_user_sgpr_kernarg_preload_offset 0
		.amdhsa_user_sgpr_private_segment_size 0
		.amdhsa_uses_dynamic_stack 0
		.amdhsa_enable_private_segment 0
		.amdhsa_system_sgpr_workgroup_id_x 1
		.amdhsa_system_sgpr_workgroup_id_y 0
		.amdhsa_system_sgpr_workgroup_id_z 0
		.amdhsa_system_sgpr_workgroup_info 0
		.amdhsa_system_vgpr_workitem_id 0
		.amdhsa_next_free_vgpr 1
		.amdhsa_next_free_sgpr 0
		.amdhsa_accum_offset 4
		.amdhsa_reserve_vcc 0
		.amdhsa_float_round_mode_32 0
		.amdhsa_float_round_mode_16_64 0
		.amdhsa_float_denorm_mode_32 3
		.amdhsa_float_denorm_mode_16_64 3
		.amdhsa_dx10_clamp 1
		.amdhsa_ieee_mode 1
		.amdhsa_fp16_overflow 0
		.amdhsa_tg_split 0
		.amdhsa_exception_fp_ieee_invalid_op 0
		.amdhsa_exception_fp_denorm_src 0
		.amdhsa_exception_fp_ieee_div_zero 0
		.amdhsa_exception_fp_ieee_overflow 0
		.amdhsa_exception_fp_ieee_underflow 0
		.amdhsa_exception_fp_ieee_inexact 0
		.amdhsa_exception_int_div_zero 0
	.end_amdhsa_kernel
	.section	.text._ZN7rocprim17ROCPRIM_400000_NS6detail17trampoline_kernelINS0_14default_configENS1_27scan_by_key_config_selectorIijEEZZNS1_16scan_by_key_implILNS1_25lookback_scan_determinismE0ELb0ES3_N6thrust23THRUST_200600_302600_NS6detail15normal_iteratorINS9_10device_ptrIiEEEENSB_INSC_IjEEEENSB_INSC_IfEEEEjNS9_4plusIvEENS9_8equal_toIvEEjEE10hipError_tPvRmT2_T3_T4_T5_mT6_T7_P12ihipStream_tbENKUlT_T0_E_clISt17integral_constantIbLb1EES12_IbLb0EEEEDaSY_SZ_EUlSY_E_NS1_11comp_targetILNS1_3genE0ELNS1_11target_archE4294967295ELNS1_3gpuE0ELNS1_3repE0EEENS1_30default_config_static_selectorELNS0_4arch9wavefront6targetE1EEEvT1_,"axG",@progbits,_ZN7rocprim17ROCPRIM_400000_NS6detail17trampoline_kernelINS0_14default_configENS1_27scan_by_key_config_selectorIijEEZZNS1_16scan_by_key_implILNS1_25lookback_scan_determinismE0ELb0ES3_N6thrust23THRUST_200600_302600_NS6detail15normal_iteratorINS9_10device_ptrIiEEEENSB_INSC_IjEEEENSB_INSC_IfEEEEjNS9_4plusIvEENS9_8equal_toIvEEjEE10hipError_tPvRmT2_T3_T4_T5_mT6_T7_P12ihipStream_tbENKUlT_T0_E_clISt17integral_constantIbLb1EES12_IbLb0EEEEDaSY_SZ_EUlSY_E_NS1_11comp_targetILNS1_3genE0ELNS1_11target_archE4294967295ELNS1_3gpuE0ELNS1_3repE0EEENS1_30default_config_static_selectorELNS0_4arch9wavefront6targetE1EEEvT1_,comdat
.Lfunc_end1662:
	.size	_ZN7rocprim17ROCPRIM_400000_NS6detail17trampoline_kernelINS0_14default_configENS1_27scan_by_key_config_selectorIijEEZZNS1_16scan_by_key_implILNS1_25lookback_scan_determinismE0ELb0ES3_N6thrust23THRUST_200600_302600_NS6detail15normal_iteratorINS9_10device_ptrIiEEEENSB_INSC_IjEEEENSB_INSC_IfEEEEjNS9_4plusIvEENS9_8equal_toIvEEjEE10hipError_tPvRmT2_T3_T4_T5_mT6_T7_P12ihipStream_tbENKUlT_T0_E_clISt17integral_constantIbLb1EES12_IbLb0EEEEDaSY_SZ_EUlSY_E_NS1_11comp_targetILNS1_3genE0ELNS1_11target_archE4294967295ELNS1_3gpuE0ELNS1_3repE0EEENS1_30default_config_static_selectorELNS0_4arch9wavefront6targetE1EEEvT1_, .Lfunc_end1662-_ZN7rocprim17ROCPRIM_400000_NS6detail17trampoline_kernelINS0_14default_configENS1_27scan_by_key_config_selectorIijEEZZNS1_16scan_by_key_implILNS1_25lookback_scan_determinismE0ELb0ES3_N6thrust23THRUST_200600_302600_NS6detail15normal_iteratorINS9_10device_ptrIiEEEENSB_INSC_IjEEEENSB_INSC_IfEEEEjNS9_4plusIvEENS9_8equal_toIvEEjEE10hipError_tPvRmT2_T3_T4_T5_mT6_T7_P12ihipStream_tbENKUlT_T0_E_clISt17integral_constantIbLb1EES12_IbLb0EEEEDaSY_SZ_EUlSY_E_NS1_11comp_targetILNS1_3genE0ELNS1_11target_archE4294967295ELNS1_3gpuE0ELNS1_3repE0EEENS1_30default_config_static_selectorELNS0_4arch9wavefront6targetE1EEEvT1_
                                        ; -- End function
	.section	.AMDGPU.csdata,"",@progbits
; Kernel info:
; codeLenInByte = 0
; NumSgprs: 6
; NumVgprs: 0
; NumAgprs: 0
; TotalNumVgprs: 0
; ScratchSize: 0
; MemoryBound: 0
; FloatMode: 240
; IeeeMode: 1
; LDSByteSize: 0 bytes/workgroup (compile time only)
; SGPRBlocks: 0
; VGPRBlocks: 0
; NumSGPRsForWavesPerEU: 6
; NumVGPRsForWavesPerEU: 1
; AccumOffset: 4
; Occupancy: 8
; WaveLimiterHint : 0
; COMPUTE_PGM_RSRC2:SCRATCH_EN: 0
; COMPUTE_PGM_RSRC2:USER_SGPR: 2
; COMPUTE_PGM_RSRC2:TRAP_HANDLER: 0
; COMPUTE_PGM_RSRC2:TGID_X_EN: 1
; COMPUTE_PGM_RSRC2:TGID_Y_EN: 0
; COMPUTE_PGM_RSRC2:TGID_Z_EN: 0
; COMPUTE_PGM_RSRC2:TIDIG_COMP_CNT: 0
; COMPUTE_PGM_RSRC3_GFX90A:ACCUM_OFFSET: 0
; COMPUTE_PGM_RSRC3_GFX90A:TG_SPLIT: 0
	.section	.text._ZN7rocprim17ROCPRIM_400000_NS6detail17trampoline_kernelINS0_14default_configENS1_27scan_by_key_config_selectorIijEEZZNS1_16scan_by_key_implILNS1_25lookback_scan_determinismE0ELb0ES3_N6thrust23THRUST_200600_302600_NS6detail15normal_iteratorINS9_10device_ptrIiEEEENSB_INSC_IjEEEENSB_INSC_IfEEEEjNS9_4plusIvEENS9_8equal_toIvEEjEE10hipError_tPvRmT2_T3_T4_T5_mT6_T7_P12ihipStream_tbENKUlT_T0_E_clISt17integral_constantIbLb1EES12_IbLb0EEEEDaSY_SZ_EUlSY_E_NS1_11comp_targetILNS1_3genE10ELNS1_11target_archE1201ELNS1_3gpuE5ELNS1_3repE0EEENS1_30default_config_static_selectorELNS0_4arch9wavefront6targetE1EEEvT1_,"axG",@progbits,_ZN7rocprim17ROCPRIM_400000_NS6detail17trampoline_kernelINS0_14default_configENS1_27scan_by_key_config_selectorIijEEZZNS1_16scan_by_key_implILNS1_25lookback_scan_determinismE0ELb0ES3_N6thrust23THRUST_200600_302600_NS6detail15normal_iteratorINS9_10device_ptrIiEEEENSB_INSC_IjEEEENSB_INSC_IfEEEEjNS9_4plusIvEENS9_8equal_toIvEEjEE10hipError_tPvRmT2_T3_T4_T5_mT6_T7_P12ihipStream_tbENKUlT_T0_E_clISt17integral_constantIbLb1EES12_IbLb0EEEEDaSY_SZ_EUlSY_E_NS1_11comp_targetILNS1_3genE10ELNS1_11target_archE1201ELNS1_3gpuE5ELNS1_3repE0EEENS1_30default_config_static_selectorELNS0_4arch9wavefront6targetE1EEEvT1_,comdat
	.protected	_ZN7rocprim17ROCPRIM_400000_NS6detail17trampoline_kernelINS0_14default_configENS1_27scan_by_key_config_selectorIijEEZZNS1_16scan_by_key_implILNS1_25lookback_scan_determinismE0ELb0ES3_N6thrust23THRUST_200600_302600_NS6detail15normal_iteratorINS9_10device_ptrIiEEEENSB_INSC_IjEEEENSB_INSC_IfEEEEjNS9_4plusIvEENS9_8equal_toIvEEjEE10hipError_tPvRmT2_T3_T4_T5_mT6_T7_P12ihipStream_tbENKUlT_T0_E_clISt17integral_constantIbLb1EES12_IbLb0EEEEDaSY_SZ_EUlSY_E_NS1_11comp_targetILNS1_3genE10ELNS1_11target_archE1201ELNS1_3gpuE5ELNS1_3repE0EEENS1_30default_config_static_selectorELNS0_4arch9wavefront6targetE1EEEvT1_ ; -- Begin function _ZN7rocprim17ROCPRIM_400000_NS6detail17trampoline_kernelINS0_14default_configENS1_27scan_by_key_config_selectorIijEEZZNS1_16scan_by_key_implILNS1_25lookback_scan_determinismE0ELb0ES3_N6thrust23THRUST_200600_302600_NS6detail15normal_iteratorINS9_10device_ptrIiEEEENSB_INSC_IjEEEENSB_INSC_IfEEEEjNS9_4plusIvEENS9_8equal_toIvEEjEE10hipError_tPvRmT2_T3_T4_T5_mT6_T7_P12ihipStream_tbENKUlT_T0_E_clISt17integral_constantIbLb1EES12_IbLb0EEEEDaSY_SZ_EUlSY_E_NS1_11comp_targetILNS1_3genE10ELNS1_11target_archE1201ELNS1_3gpuE5ELNS1_3repE0EEENS1_30default_config_static_selectorELNS0_4arch9wavefront6targetE1EEEvT1_
	.globl	_ZN7rocprim17ROCPRIM_400000_NS6detail17trampoline_kernelINS0_14default_configENS1_27scan_by_key_config_selectorIijEEZZNS1_16scan_by_key_implILNS1_25lookback_scan_determinismE0ELb0ES3_N6thrust23THRUST_200600_302600_NS6detail15normal_iteratorINS9_10device_ptrIiEEEENSB_INSC_IjEEEENSB_INSC_IfEEEEjNS9_4plusIvEENS9_8equal_toIvEEjEE10hipError_tPvRmT2_T3_T4_T5_mT6_T7_P12ihipStream_tbENKUlT_T0_E_clISt17integral_constantIbLb1EES12_IbLb0EEEEDaSY_SZ_EUlSY_E_NS1_11comp_targetILNS1_3genE10ELNS1_11target_archE1201ELNS1_3gpuE5ELNS1_3repE0EEENS1_30default_config_static_selectorELNS0_4arch9wavefront6targetE1EEEvT1_
	.p2align	8
	.type	_ZN7rocprim17ROCPRIM_400000_NS6detail17trampoline_kernelINS0_14default_configENS1_27scan_by_key_config_selectorIijEEZZNS1_16scan_by_key_implILNS1_25lookback_scan_determinismE0ELb0ES3_N6thrust23THRUST_200600_302600_NS6detail15normal_iteratorINS9_10device_ptrIiEEEENSB_INSC_IjEEEENSB_INSC_IfEEEEjNS9_4plusIvEENS9_8equal_toIvEEjEE10hipError_tPvRmT2_T3_T4_T5_mT6_T7_P12ihipStream_tbENKUlT_T0_E_clISt17integral_constantIbLb1EES12_IbLb0EEEEDaSY_SZ_EUlSY_E_NS1_11comp_targetILNS1_3genE10ELNS1_11target_archE1201ELNS1_3gpuE5ELNS1_3repE0EEENS1_30default_config_static_selectorELNS0_4arch9wavefront6targetE1EEEvT1_,@function
_ZN7rocprim17ROCPRIM_400000_NS6detail17trampoline_kernelINS0_14default_configENS1_27scan_by_key_config_selectorIijEEZZNS1_16scan_by_key_implILNS1_25lookback_scan_determinismE0ELb0ES3_N6thrust23THRUST_200600_302600_NS6detail15normal_iteratorINS9_10device_ptrIiEEEENSB_INSC_IjEEEENSB_INSC_IfEEEEjNS9_4plusIvEENS9_8equal_toIvEEjEE10hipError_tPvRmT2_T3_T4_T5_mT6_T7_P12ihipStream_tbENKUlT_T0_E_clISt17integral_constantIbLb1EES12_IbLb0EEEEDaSY_SZ_EUlSY_E_NS1_11comp_targetILNS1_3genE10ELNS1_11target_archE1201ELNS1_3gpuE5ELNS1_3repE0EEENS1_30default_config_static_selectorELNS0_4arch9wavefront6targetE1EEEvT1_: ; @_ZN7rocprim17ROCPRIM_400000_NS6detail17trampoline_kernelINS0_14default_configENS1_27scan_by_key_config_selectorIijEEZZNS1_16scan_by_key_implILNS1_25lookback_scan_determinismE0ELb0ES3_N6thrust23THRUST_200600_302600_NS6detail15normal_iteratorINS9_10device_ptrIiEEEENSB_INSC_IjEEEENSB_INSC_IfEEEEjNS9_4plusIvEENS9_8equal_toIvEEjEE10hipError_tPvRmT2_T3_T4_T5_mT6_T7_P12ihipStream_tbENKUlT_T0_E_clISt17integral_constantIbLb1EES12_IbLb0EEEEDaSY_SZ_EUlSY_E_NS1_11comp_targetILNS1_3genE10ELNS1_11target_archE1201ELNS1_3gpuE5ELNS1_3repE0EEENS1_30default_config_static_selectorELNS0_4arch9wavefront6targetE1EEEvT1_
; %bb.0:
	.section	.rodata,"a",@progbits
	.p2align	6, 0x0
	.amdhsa_kernel _ZN7rocprim17ROCPRIM_400000_NS6detail17trampoline_kernelINS0_14default_configENS1_27scan_by_key_config_selectorIijEEZZNS1_16scan_by_key_implILNS1_25lookback_scan_determinismE0ELb0ES3_N6thrust23THRUST_200600_302600_NS6detail15normal_iteratorINS9_10device_ptrIiEEEENSB_INSC_IjEEEENSB_INSC_IfEEEEjNS9_4plusIvEENS9_8equal_toIvEEjEE10hipError_tPvRmT2_T3_T4_T5_mT6_T7_P12ihipStream_tbENKUlT_T0_E_clISt17integral_constantIbLb1EES12_IbLb0EEEEDaSY_SZ_EUlSY_E_NS1_11comp_targetILNS1_3genE10ELNS1_11target_archE1201ELNS1_3gpuE5ELNS1_3repE0EEENS1_30default_config_static_selectorELNS0_4arch9wavefront6targetE1EEEvT1_
		.amdhsa_group_segment_fixed_size 0
		.amdhsa_private_segment_fixed_size 0
		.amdhsa_kernarg_size 112
		.amdhsa_user_sgpr_count 2
		.amdhsa_user_sgpr_dispatch_ptr 0
		.amdhsa_user_sgpr_queue_ptr 0
		.amdhsa_user_sgpr_kernarg_segment_ptr 1
		.amdhsa_user_sgpr_dispatch_id 0
		.amdhsa_user_sgpr_kernarg_preload_length 0
		.amdhsa_user_sgpr_kernarg_preload_offset 0
		.amdhsa_user_sgpr_private_segment_size 0
		.amdhsa_uses_dynamic_stack 0
		.amdhsa_enable_private_segment 0
		.amdhsa_system_sgpr_workgroup_id_x 1
		.amdhsa_system_sgpr_workgroup_id_y 0
		.amdhsa_system_sgpr_workgroup_id_z 0
		.amdhsa_system_sgpr_workgroup_info 0
		.amdhsa_system_vgpr_workitem_id 0
		.amdhsa_next_free_vgpr 1
		.amdhsa_next_free_sgpr 0
		.amdhsa_accum_offset 4
		.amdhsa_reserve_vcc 0
		.amdhsa_float_round_mode_32 0
		.amdhsa_float_round_mode_16_64 0
		.amdhsa_float_denorm_mode_32 3
		.amdhsa_float_denorm_mode_16_64 3
		.amdhsa_dx10_clamp 1
		.amdhsa_ieee_mode 1
		.amdhsa_fp16_overflow 0
		.amdhsa_tg_split 0
		.amdhsa_exception_fp_ieee_invalid_op 0
		.amdhsa_exception_fp_denorm_src 0
		.amdhsa_exception_fp_ieee_div_zero 0
		.amdhsa_exception_fp_ieee_overflow 0
		.amdhsa_exception_fp_ieee_underflow 0
		.amdhsa_exception_fp_ieee_inexact 0
		.amdhsa_exception_int_div_zero 0
	.end_amdhsa_kernel
	.section	.text._ZN7rocprim17ROCPRIM_400000_NS6detail17trampoline_kernelINS0_14default_configENS1_27scan_by_key_config_selectorIijEEZZNS1_16scan_by_key_implILNS1_25lookback_scan_determinismE0ELb0ES3_N6thrust23THRUST_200600_302600_NS6detail15normal_iteratorINS9_10device_ptrIiEEEENSB_INSC_IjEEEENSB_INSC_IfEEEEjNS9_4plusIvEENS9_8equal_toIvEEjEE10hipError_tPvRmT2_T3_T4_T5_mT6_T7_P12ihipStream_tbENKUlT_T0_E_clISt17integral_constantIbLb1EES12_IbLb0EEEEDaSY_SZ_EUlSY_E_NS1_11comp_targetILNS1_3genE10ELNS1_11target_archE1201ELNS1_3gpuE5ELNS1_3repE0EEENS1_30default_config_static_selectorELNS0_4arch9wavefront6targetE1EEEvT1_,"axG",@progbits,_ZN7rocprim17ROCPRIM_400000_NS6detail17trampoline_kernelINS0_14default_configENS1_27scan_by_key_config_selectorIijEEZZNS1_16scan_by_key_implILNS1_25lookback_scan_determinismE0ELb0ES3_N6thrust23THRUST_200600_302600_NS6detail15normal_iteratorINS9_10device_ptrIiEEEENSB_INSC_IjEEEENSB_INSC_IfEEEEjNS9_4plusIvEENS9_8equal_toIvEEjEE10hipError_tPvRmT2_T3_T4_T5_mT6_T7_P12ihipStream_tbENKUlT_T0_E_clISt17integral_constantIbLb1EES12_IbLb0EEEEDaSY_SZ_EUlSY_E_NS1_11comp_targetILNS1_3genE10ELNS1_11target_archE1201ELNS1_3gpuE5ELNS1_3repE0EEENS1_30default_config_static_selectorELNS0_4arch9wavefront6targetE1EEEvT1_,comdat
.Lfunc_end1663:
	.size	_ZN7rocprim17ROCPRIM_400000_NS6detail17trampoline_kernelINS0_14default_configENS1_27scan_by_key_config_selectorIijEEZZNS1_16scan_by_key_implILNS1_25lookback_scan_determinismE0ELb0ES3_N6thrust23THRUST_200600_302600_NS6detail15normal_iteratorINS9_10device_ptrIiEEEENSB_INSC_IjEEEENSB_INSC_IfEEEEjNS9_4plusIvEENS9_8equal_toIvEEjEE10hipError_tPvRmT2_T3_T4_T5_mT6_T7_P12ihipStream_tbENKUlT_T0_E_clISt17integral_constantIbLb1EES12_IbLb0EEEEDaSY_SZ_EUlSY_E_NS1_11comp_targetILNS1_3genE10ELNS1_11target_archE1201ELNS1_3gpuE5ELNS1_3repE0EEENS1_30default_config_static_selectorELNS0_4arch9wavefront6targetE1EEEvT1_, .Lfunc_end1663-_ZN7rocprim17ROCPRIM_400000_NS6detail17trampoline_kernelINS0_14default_configENS1_27scan_by_key_config_selectorIijEEZZNS1_16scan_by_key_implILNS1_25lookback_scan_determinismE0ELb0ES3_N6thrust23THRUST_200600_302600_NS6detail15normal_iteratorINS9_10device_ptrIiEEEENSB_INSC_IjEEEENSB_INSC_IfEEEEjNS9_4plusIvEENS9_8equal_toIvEEjEE10hipError_tPvRmT2_T3_T4_T5_mT6_T7_P12ihipStream_tbENKUlT_T0_E_clISt17integral_constantIbLb1EES12_IbLb0EEEEDaSY_SZ_EUlSY_E_NS1_11comp_targetILNS1_3genE10ELNS1_11target_archE1201ELNS1_3gpuE5ELNS1_3repE0EEENS1_30default_config_static_selectorELNS0_4arch9wavefront6targetE1EEEvT1_
                                        ; -- End function
	.section	.AMDGPU.csdata,"",@progbits
; Kernel info:
; codeLenInByte = 0
; NumSgprs: 6
; NumVgprs: 0
; NumAgprs: 0
; TotalNumVgprs: 0
; ScratchSize: 0
; MemoryBound: 0
; FloatMode: 240
; IeeeMode: 1
; LDSByteSize: 0 bytes/workgroup (compile time only)
; SGPRBlocks: 0
; VGPRBlocks: 0
; NumSGPRsForWavesPerEU: 6
; NumVGPRsForWavesPerEU: 1
; AccumOffset: 4
; Occupancy: 8
; WaveLimiterHint : 0
; COMPUTE_PGM_RSRC2:SCRATCH_EN: 0
; COMPUTE_PGM_RSRC2:USER_SGPR: 2
; COMPUTE_PGM_RSRC2:TRAP_HANDLER: 0
; COMPUTE_PGM_RSRC2:TGID_X_EN: 1
; COMPUTE_PGM_RSRC2:TGID_Y_EN: 0
; COMPUTE_PGM_RSRC2:TGID_Z_EN: 0
; COMPUTE_PGM_RSRC2:TIDIG_COMP_CNT: 0
; COMPUTE_PGM_RSRC3_GFX90A:ACCUM_OFFSET: 0
; COMPUTE_PGM_RSRC3_GFX90A:TG_SPLIT: 0
	.section	.text._ZN7rocprim17ROCPRIM_400000_NS6detail17trampoline_kernelINS0_14default_configENS1_27scan_by_key_config_selectorIijEEZZNS1_16scan_by_key_implILNS1_25lookback_scan_determinismE0ELb0ES3_N6thrust23THRUST_200600_302600_NS6detail15normal_iteratorINS9_10device_ptrIiEEEENSB_INSC_IjEEEENSB_INSC_IfEEEEjNS9_4plusIvEENS9_8equal_toIvEEjEE10hipError_tPvRmT2_T3_T4_T5_mT6_T7_P12ihipStream_tbENKUlT_T0_E_clISt17integral_constantIbLb1EES12_IbLb0EEEEDaSY_SZ_EUlSY_E_NS1_11comp_targetILNS1_3genE5ELNS1_11target_archE942ELNS1_3gpuE9ELNS1_3repE0EEENS1_30default_config_static_selectorELNS0_4arch9wavefront6targetE1EEEvT1_,"axG",@progbits,_ZN7rocprim17ROCPRIM_400000_NS6detail17trampoline_kernelINS0_14default_configENS1_27scan_by_key_config_selectorIijEEZZNS1_16scan_by_key_implILNS1_25lookback_scan_determinismE0ELb0ES3_N6thrust23THRUST_200600_302600_NS6detail15normal_iteratorINS9_10device_ptrIiEEEENSB_INSC_IjEEEENSB_INSC_IfEEEEjNS9_4plusIvEENS9_8equal_toIvEEjEE10hipError_tPvRmT2_T3_T4_T5_mT6_T7_P12ihipStream_tbENKUlT_T0_E_clISt17integral_constantIbLb1EES12_IbLb0EEEEDaSY_SZ_EUlSY_E_NS1_11comp_targetILNS1_3genE5ELNS1_11target_archE942ELNS1_3gpuE9ELNS1_3repE0EEENS1_30default_config_static_selectorELNS0_4arch9wavefront6targetE1EEEvT1_,comdat
	.protected	_ZN7rocprim17ROCPRIM_400000_NS6detail17trampoline_kernelINS0_14default_configENS1_27scan_by_key_config_selectorIijEEZZNS1_16scan_by_key_implILNS1_25lookback_scan_determinismE0ELb0ES3_N6thrust23THRUST_200600_302600_NS6detail15normal_iteratorINS9_10device_ptrIiEEEENSB_INSC_IjEEEENSB_INSC_IfEEEEjNS9_4plusIvEENS9_8equal_toIvEEjEE10hipError_tPvRmT2_T3_T4_T5_mT6_T7_P12ihipStream_tbENKUlT_T0_E_clISt17integral_constantIbLb1EES12_IbLb0EEEEDaSY_SZ_EUlSY_E_NS1_11comp_targetILNS1_3genE5ELNS1_11target_archE942ELNS1_3gpuE9ELNS1_3repE0EEENS1_30default_config_static_selectorELNS0_4arch9wavefront6targetE1EEEvT1_ ; -- Begin function _ZN7rocprim17ROCPRIM_400000_NS6detail17trampoline_kernelINS0_14default_configENS1_27scan_by_key_config_selectorIijEEZZNS1_16scan_by_key_implILNS1_25lookback_scan_determinismE0ELb0ES3_N6thrust23THRUST_200600_302600_NS6detail15normal_iteratorINS9_10device_ptrIiEEEENSB_INSC_IjEEEENSB_INSC_IfEEEEjNS9_4plusIvEENS9_8equal_toIvEEjEE10hipError_tPvRmT2_T3_T4_T5_mT6_T7_P12ihipStream_tbENKUlT_T0_E_clISt17integral_constantIbLb1EES12_IbLb0EEEEDaSY_SZ_EUlSY_E_NS1_11comp_targetILNS1_3genE5ELNS1_11target_archE942ELNS1_3gpuE9ELNS1_3repE0EEENS1_30default_config_static_selectorELNS0_4arch9wavefront6targetE1EEEvT1_
	.globl	_ZN7rocprim17ROCPRIM_400000_NS6detail17trampoline_kernelINS0_14default_configENS1_27scan_by_key_config_selectorIijEEZZNS1_16scan_by_key_implILNS1_25lookback_scan_determinismE0ELb0ES3_N6thrust23THRUST_200600_302600_NS6detail15normal_iteratorINS9_10device_ptrIiEEEENSB_INSC_IjEEEENSB_INSC_IfEEEEjNS9_4plusIvEENS9_8equal_toIvEEjEE10hipError_tPvRmT2_T3_T4_T5_mT6_T7_P12ihipStream_tbENKUlT_T0_E_clISt17integral_constantIbLb1EES12_IbLb0EEEEDaSY_SZ_EUlSY_E_NS1_11comp_targetILNS1_3genE5ELNS1_11target_archE942ELNS1_3gpuE9ELNS1_3repE0EEENS1_30default_config_static_selectorELNS0_4arch9wavefront6targetE1EEEvT1_
	.p2align	8
	.type	_ZN7rocprim17ROCPRIM_400000_NS6detail17trampoline_kernelINS0_14default_configENS1_27scan_by_key_config_selectorIijEEZZNS1_16scan_by_key_implILNS1_25lookback_scan_determinismE0ELb0ES3_N6thrust23THRUST_200600_302600_NS6detail15normal_iteratorINS9_10device_ptrIiEEEENSB_INSC_IjEEEENSB_INSC_IfEEEEjNS9_4plusIvEENS9_8equal_toIvEEjEE10hipError_tPvRmT2_T3_T4_T5_mT6_T7_P12ihipStream_tbENKUlT_T0_E_clISt17integral_constantIbLb1EES12_IbLb0EEEEDaSY_SZ_EUlSY_E_NS1_11comp_targetILNS1_3genE5ELNS1_11target_archE942ELNS1_3gpuE9ELNS1_3repE0EEENS1_30default_config_static_selectorELNS0_4arch9wavefront6targetE1EEEvT1_,@function
_ZN7rocprim17ROCPRIM_400000_NS6detail17trampoline_kernelINS0_14default_configENS1_27scan_by_key_config_selectorIijEEZZNS1_16scan_by_key_implILNS1_25lookback_scan_determinismE0ELb0ES3_N6thrust23THRUST_200600_302600_NS6detail15normal_iteratorINS9_10device_ptrIiEEEENSB_INSC_IjEEEENSB_INSC_IfEEEEjNS9_4plusIvEENS9_8equal_toIvEEjEE10hipError_tPvRmT2_T3_T4_T5_mT6_T7_P12ihipStream_tbENKUlT_T0_E_clISt17integral_constantIbLb1EES12_IbLb0EEEEDaSY_SZ_EUlSY_E_NS1_11comp_targetILNS1_3genE5ELNS1_11target_archE942ELNS1_3gpuE9ELNS1_3repE0EEENS1_30default_config_static_selectorELNS0_4arch9wavefront6targetE1EEEvT1_: ; @_ZN7rocprim17ROCPRIM_400000_NS6detail17trampoline_kernelINS0_14default_configENS1_27scan_by_key_config_selectorIijEEZZNS1_16scan_by_key_implILNS1_25lookback_scan_determinismE0ELb0ES3_N6thrust23THRUST_200600_302600_NS6detail15normal_iteratorINS9_10device_ptrIiEEEENSB_INSC_IjEEEENSB_INSC_IfEEEEjNS9_4plusIvEENS9_8equal_toIvEEjEE10hipError_tPvRmT2_T3_T4_T5_mT6_T7_P12ihipStream_tbENKUlT_T0_E_clISt17integral_constantIbLb1EES12_IbLb0EEEEDaSY_SZ_EUlSY_E_NS1_11comp_targetILNS1_3genE5ELNS1_11target_archE942ELNS1_3gpuE9ELNS1_3repE0EEENS1_30default_config_static_selectorELNS0_4arch9wavefront6targetE1EEEvT1_
; %bb.0:
	s_load_dwordx8 s[52:59], s[0:1], 0x0
	s_load_dwordx4 s[68:71], s[0:1], 0x28
	s_load_dwordx2 s[74:75], s[0:1], 0x38
	s_load_dword s3, s[0:1], 0x40
	s_load_dwordx8 s[60:67], s[0:1], 0x48
	s_waitcnt lgkmcnt(0)
	s_lshl_b64 s[72:73], s[54:55], 2
	s_add_u32 s4, s52, s72
	s_addc_u32 s5, s53, s73
	s_add_u32 s6, s56, s72
	s_mul_i32 s0, s75, s3
	s_mul_hi_u32 s1, s74, s3
	s_addc_u32 s7, s57, s73
	s_add_i32 s8, s1, s0
	s_cmp_lg_u64 s[64:65], 0
	s_mul_i32 s0, s2, 0x1700
	s_mov_b32 s1, 0
	s_cselect_b64 s[64:65], -1, 0
	s_lshl_b64 s[56:57], s[0:1], 2
	s_add_u32 s54, s4, s56
	s_addc_u32 s55, s5, s57
	s_add_u32 s52, s6, s56
	s_mul_i32 s3, s74, s3
	s_addc_u32 s53, s7, s57
	s_add_u32 s76, s3, s2
	s_addc_u32 s77, s8, 0
	s_add_u32 s4, s60, -1
	s_addc_u32 s5, s61, -1
	v_mov_b64_e32 v[2:3], s[4:5]
	v_cmp_ge_u64_e64 s[0:1], s[76:77], v[2:3]
	s_mov_b64 s[10:11], 0
	s_mov_b64 s[6:7], -1
	s_and_b64 vcc, exec, s[0:1]
	s_mul_i32 s33, s4, 0xffffe900
	s_barrier
	s_cbranch_vccz .LBB1664_122
; %bb.1:
	v_mov_b64_e32 v[2:3], s[54:55]
	flat_load_dword v1, v[2:3]
	s_add_i32 s3, s33, s70
	v_cmp_gt_u32_e64 s[50:51], s3, v0
	s_waitcnt vmcnt(0) lgkmcnt(0)
	v_mov_b32_e32 v3, v1
	s_and_saveexec_b64 s[4:5], s[50:51]
	s_cbranch_execz .LBB1664_3
; %bb.2:
	v_lshlrev_b32_e32 v2, 2, v0
	v_mov_b32_e32 v3, 0
	v_lshl_add_u64 v[2:3], s[54:55], 0, v[2:3]
	flat_load_dword v3, v[2:3]
.LBB1664_3:
	s_or_b64 exec, exec, s[4:5]
	v_or_b32_e32 v2, 0x100, v0
	v_cmp_gt_u32_e64 s[4:5], s3, v2
	v_mov_b32_e32 v4, v1
	s_and_saveexec_b64 s[6:7], s[4:5]
	s_cbranch_execz .LBB1664_5
; %bb.4:
	v_lshlrev_b32_e32 v4, 2, v0
	v_mov_b32_e32 v5, 0
	v_lshl_add_u64 v[4:5], s[54:55], 0, v[4:5]
	flat_load_dword v4, v[4:5] offset:1024
.LBB1664_5:
	s_or_b64 exec, exec, s[6:7]
	v_or_b32_e32 v2, 0x200, v0
	v_cmp_gt_u32_e64 s[6:7], s3, v2
	v_mov_b32_e32 v5, v1
	s_and_saveexec_b64 s[8:9], s[6:7]
	s_cbranch_execz .LBB1664_7
; %bb.6:
	v_lshlrev_b32_e32 v6, 2, v0
	v_mov_b32_e32 v7, 0
	v_lshl_add_u64 v[6:7], s[54:55], 0, v[6:7]
	flat_load_dword v5, v[6:7] offset:2048
.LBB1664_7:
	;; [unrolled: 12-line block ×3, first 2 shown]
	s_or_b64 exec, exec, s[10:11]
	v_or_b32_e32 v10, 0x400, v0
	v_cmp_gt_u32_e64 s[10:11], s3, v10
	v_mov_b32_e32 v7, v1
	s_and_saveexec_b64 s[12:13], s[10:11]
	s_cbranch_execz .LBB1664_11
; %bb.10:
	v_lshlrev_b32_e32 v8, 2, v10
	v_mov_b32_e32 v9, 0
	v_lshl_add_u64 v[8:9], s[54:55], 0, v[8:9]
	flat_load_dword v7, v[8:9]
.LBB1664_11:
	s_or_b64 exec, exec, s[12:13]
	v_or_b32_e32 v11, 0x500, v0
	v_cmp_gt_u32_e64 s[12:13], s3, v11
	v_mov_b32_e32 v8, v1
	s_and_saveexec_b64 s[14:15], s[12:13]
	s_cbranch_execz .LBB1664_13
; %bb.12:
	v_lshlrev_b32_e32 v8, 2, v11
	v_mov_b32_e32 v9, 0
	v_lshl_add_u64 v[8:9], s[54:55], 0, v[8:9]
	flat_load_dword v8, v[8:9]
.LBB1664_13:
	;; [unrolled: 12-line block ×18, first 2 shown]
	s_or_b64 exec, exec, s[48:49]
	v_or_b32_e32 v28, 0x1600, v0
	v_cmp_gt_u32_e64 s[48:49], s3, v28
	s_and_saveexec_b64 s[60:61], s[48:49]
	s_cbranch_execz .LBB1664_47
; %bb.46:
	v_lshlrev_b32_e32 v44, 2, v28
	v_mov_b32_e32 v45, 0
	v_lshl_add_u64 v[44:45], s[54:55], 0, v[44:45]
	flat_load_dword v1, v[44:45]
.LBB1664_47:
	s_or_b64 exec, exec, s[60:61]
	v_lshlrev_b32_e32 v2, 2, v0
	s_movk_i32 s60, 0x58
	s_waitcnt vmcnt(0) lgkmcnt(0)
	ds_write2st64_b32 v2, v3, v4 offset1:4
	ds_write2st64_b32 v2, v5, v6 offset0:8 offset1:12
	ds_write2st64_b32 v2, v7, v8 offset0:16 offset1:20
	;; [unrolled: 1-line block ×10, first 2 shown]
	ds_write_b32 v2, v1 offset:22528
	v_mad_u32_u24 v1, v0, s60, v2
	s_waitcnt lgkmcnt(0)
	s_barrier
	ds_read2_b32 v[68:69], v1 offset1:1
	ds_read2_b32 v[66:67], v1 offset0:2 offset1:3
	ds_read2_b32 v[64:65], v1 offset0:4 offset1:5
	;; [unrolled: 1-line block ×10, first 2 shown]
	ds_read_b32 v72, v1 offset:88
	s_cmp_eq_u64 s[76:77], 0
	s_mov_b64 s[60:61], s[54:55]
	s_cbranch_scc1 .LBB1664_51
; %bb.48:
	s_andn2_b64 vcc, exec, s[64:65]
	s_cbranch_vccnz .LBB1664_267
; %bb.49:
	s_lshl_b64 s[60:61], s[76:77], 2
	s_add_u32 s60, s66, s60
	s_addc_u32 s61, s67, s61
	s_add_u32 s60, s60, -4
	s_addc_u32 s61, s61, -1
	s_cbranch_execnz .LBB1664_51
.LBB1664_50:
	s_add_u32 s60, s54, -4
	s_addc_u32 s61, s55, -1
.LBB1664_51:
	v_mov_b64_e32 v[30:31], s[60:61]
	flat_load_dword v70, v[30:31]
	s_movk_i32 s60, 0xffa8
	v_mad_i32_i24 v3, v0, s60, v1
	v_cmp_ne_u32_e32 vcc, 0, v0
	s_waitcnt lgkmcnt(0)
	ds_write_b32 v3, v72 offset:23552
	s_waitcnt lgkmcnt(0)
	s_barrier
	s_and_saveexec_b64 s[60:61], vcc
	s_cbranch_execz .LBB1664_53
; %bb.52:
	v_mul_i32_i24_e32 v3, 0xffffffa8, v0
	v_add_u32_e32 v3, v1, v3
	s_waitcnt vmcnt(0)
	ds_read_b32 v70, v3 offset:23548
.LBB1664_53:
	s_or_b64 exec, exec, s[60:61]
	v_mov_b32_e32 v3, 0
	s_waitcnt lgkmcnt(0)
	s_barrier
	s_waitcnt lgkmcnt(0)
                                        ; implicit-def: $vgpr29
	s_and_saveexec_b64 s[60:61], s[50:51]
	s_cbranch_execnz .LBB1664_243
; %bb.54:
	s_or_b64 exec, exec, s[60:61]
                                        ; implicit-def: $vgpr30
	s_and_saveexec_b64 s[50:51], s[4:5]
	s_cbranch_execnz .LBB1664_244
.LBB1664_55:
	s_or_b64 exec, exec, s[50:51]
                                        ; implicit-def: $vgpr31
	s_and_saveexec_b64 s[4:5], s[6:7]
	s_cbranch_execnz .LBB1664_245
.LBB1664_56:
	s_or_b64 exec, exec, s[4:5]
                                        ; implicit-def: $vgpr3
	s_and_saveexec_b64 s[4:5], s[8:9]
	s_cbranch_execnz .LBB1664_246
.LBB1664_57:
	s_or_b64 exec, exec, s[4:5]
                                        ; implicit-def: $vgpr32
	s_and_saveexec_b64 s[4:5], s[10:11]
	s_cbranch_execnz .LBB1664_247
.LBB1664_58:
	s_or_b64 exec, exec, s[4:5]
                                        ; implicit-def: $vgpr10
	s_and_saveexec_b64 s[4:5], s[12:13]
	s_cbranch_execnz .LBB1664_248
.LBB1664_59:
	s_or_b64 exec, exec, s[4:5]
                                        ; implicit-def: $vgpr11
	s_and_saveexec_b64 s[4:5], s[14:15]
	s_cbranch_execnz .LBB1664_249
.LBB1664_60:
	s_or_b64 exec, exec, s[4:5]
                                        ; implicit-def: $vgpr12
	s_and_saveexec_b64 s[4:5], s[16:17]
	s_cbranch_execnz .LBB1664_250
.LBB1664_61:
	s_or_b64 exec, exec, s[4:5]
                                        ; implicit-def: $vgpr13
	s_and_saveexec_b64 s[4:5], s[18:19]
	s_cbranch_execnz .LBB1664_251
.LBB1664_62:
	s_or_b64 exec, exec, s[4:5]
                                        ; implicit-def: $vgpr14
	s_and_saveexec_b64 s[4:5], s[20:21]
	s_cbranch_execnz .LBB1664_252
.LBB1664_63:
	s_or_b64 exec, exec, s[4:5]
                                        ; implicit-def: $vgpr15
	s_and_saveexec_b64 s[4:5], s[22:23]
	s_cbranch_execnz .LBB1664_253
.LBB1664_64:
	s_or_b64 exec, exec, s[4:5]
                                        ; implicit-def: $vgpr16
	s_and_saveexec_b64 s[4:5], s[24:25]
	s_cbranch_execnz .LBB1664_254
.LBB1664_65:
	s_or_b64 exec, exec, s[4:5]
                                        ; implicit-def: $vgpr17
	s_and_saveexec_b64 s[4:5], s[26:27]
	s_cbranch_execnz .LBB1664_255
.LBB1664_66:
	s_or_b64 exec, exec, s[4:5]
                                        ; implicit-def: $vgpr18
	s_and_saveexec_b64 s[4:5], s[28:29]
	s_cbranch_execnz .LBB1664_256
.LBB1664_67:
	s_or_b64 exec, exec, s[4:5]
                                        ; implicit-def: $vgpr19
	s_and_saveexec_b64 s[4:5], s[30:31]
	s_cbranch_execnz .LBB1664_257
.LBB1664_68:
	s_or_b64 exec, exec, s[4:5]
                                        ; implicit-def: $vgpr20
	s_and_saveexec_b64 s[4:5], s[34:35]
	s_cbranch_execnz .LBB1664_258
.LBB1664_69:
	s_or_b64 exec, exec, s[4:5]
                                        ; implicit-def: $vgpr21
	s_and_saveexec_b64 s[4:5], s[36:37]
	s_cbranch_execnz .LBB1664_259
.LBB1664_70:
	s_or_b64 exec, exec, s[4:5]
                                        ; implicit-def: $vgpr22
	s_and_saveexec_b64 s[4:5], s[38:39]
	s_cbranch_execnz .LBB1664_260
.LBB1664_71:
	s_or_b64 exec, exec, s[4:5]
                                        ; implicit-def: $vgpr23
	s_and_saveexec_b64 s[4:5], s[40:41]
	s_cbranch_execnz .LBB1664_261
.LBB1664_72:
	s_or_b64 exec, exec, s[4:5]
                                        ; implicit-def: $vgpr24
	s_and_saveexec_b64 s[4:5], s[42:43]
	s_cbranch_execnz .LBB1664_262
.LBB1664_73:
	s_or_b64 exec, exec, s[4:5]
                                        ; implicit-def: $vgpr25
	s_and_saveexec_b64 s[4:5], s[44:45]
	s_cbranch_execnz .LBB1664_263
.LBB1664_74:
	s_or_b64 exec, exec, s[4:5]
                                        ; implicit-def: $vgpr26
	s_and_saveexec_b64 s[4:5], s[46:47]
	s_cbranch_execnz .LBB1664_264
.LBB1664_75:
	s_or_b64 exec, exec, s[4:5]
                                        ; implicit-def: $vgpr27
	s_and_saveexec_b64 s[4:5], s[48:49]
	s_cbranch_execz .LBB1664_77
.LBB1664_76:
	v_lshlrev_b32_e32 v34, 2, v28
	v_mov_b32_e32 v35, 0
	v_lshl_add_u64 v[34:35], s[52:53], 0, v[34:35]
	flat_load_dword v27, v[34:35]
.LBB1664_77:
	s_or_b64 exec, exec, s[4:5]
	v_mul_u32_u24_e32 v73, 23, v0
	s_waitcnt vmcnt(0) lgkmcnt(0)
	ds_write2st64_b32 v2, v29, v30 offset1:4
	ds_write2st64_b32 v2, v31, v3 offset0:8 offset1:12
	ds_write2st64_b32 v2, v32, v10 offset0:16 offset1:20
	;; [unrolled: 1-line block ×10, first 2 shown]
	ds_write_b32 v2, v27 offset:22528
	v_mov_b64_e32 v[10:11], 0
	v_cmp_gt_u32_e32 vcc, s3, v73
	s_mov_b64 s[10:11], 0
	s_mov_b64 s[6:7], 0
	v_mov_b64_e32 v[12:13], v[10:11]
	v_mov_b64_e32 v[14:15], v[10:11]
	;; [unrolled: 1-line block ×21, first 2 shown]
	s_waitcnt lgkmcnt(0)
	s_barrier
	s_waitcnt lgkmcnt(0)
                                        ; implicit-def: $sgpr4_sgpr5
                                        ; implicit-def: $vgpr3
	s_and_saveexec_b64 s[8:9], vcc
	s_cbranch_execz .LBB1664_121
; %bb.78:
	ds_read_b32 v10, v1
	v_add_u32_e32 v2, 1, v73
	v_cmp_ne_u32_e32 vcc, v70, v68
	v_mov_b64_e32 v[12:13], 0
	s_mov_b64 s[12:13], 0
	v_cndmask_b32_e64 v11, 0, 1, vcc
	v_cmp_gt_u32_e32 vcc, s3, v2
	s_mov_b64 s[4:5], 0
	v_mov_b64_e32 v[14:15], v[12:13]
	v_mov_b64_e32 v[16:17], v[12:13]
	;; [unrolled: 1-line block ×20, first 2 shown]
                                        ; implicit-def: $sgpr14_sgpr15
                                        ; implicit-def: $vgpr3
	s_and_saveexec_b64 s[10:11], vcc
	s_cbranch_execz .LBB1664_120
; %bb.79:
	ds_read2_b32 v[70:71], v1 offset0:1 offset1:2
	v_add_u32_e32 v2, 2, v73
	v_cmp_ne_u32_e32 vcc, v68, v69
	v_mov_b64_e32 v[14:15], 0
	s_mov_b64 s[16:17], 0
	v_cndmask_b32_e64 v13, 0, 1, vcc
	v_cmp_gt_u32_e32 vcc, s3, v2
	s_waitcnt lgkmcnt(0)
	v_mov_b32_e32 v12, v70
	v_mov_b64_e32 v[16:17], v[14:15]
	v_mov_b64_e32 v[18:19], v[14:15]
	;; [unrolled: 1-line block ×19, first 2 shown]
                                        ; implicit-def: $sgpr14_sgpr15
                                        ; implicit-def: $vgpr3
	s_and_saveexec_b64 s[12:13], vcc
	s_cbranch_execz .LBB1664_119
; %bb.80:
	v_add_u32_e32 v2, 3, v73
	v_cmp_ne_u32_e32 vcc, v69, v66
	v_mov_b64_e32 v[16:17], 0
	v_mov_b32_e32 v14, v71
	v_cndmask_b32_e64 v15, 0, 1, vcc
	v_cmp_gt_u32_e32 vcc, s3, v2
	v_mov_b64_e32 v[18:19], v[16:17]
	v_mov_b64_e32 v[20:21], v[16:17]
	;; [unrolled: 1-line block ×18, first 2 shown]
                                        ; implicit-def: $sgpr18_sgpr19
                                        ; implicit-def: $vgpr3
	s_and_saveexec_b64 s[14:15], vcc
	s_cbranch_execz .LBB1664_118
; %bb.81:
	ds_read2_b32 v[68:69], v1 offset0:3 offset1:4
	v_add_u32_e32 v2, 4, v73
	v_cmp_ne_u32_e32 vcc, v66, v67
	v_mov_b64_e32 v[18:19], 0
	s_mov_b64 s[20:21], 0
	v_cndmask_b32_e64 v17, 0, 1, vcc
	v_cmp_gt_u32_e32 vcc, s3, v2
	s_waitcnt lgkmcnt(0)
	v_mov_b32_e32 v16, v68
	v_mov_b64_e32 v[20:21], v[18:19]
	v_mov_b64_e32 v[22:23], v[18:19]
	;; [unrolled: 1-line block ×17, first 2 shown]
                                        ; implicit-def: $sgpr18_sgpr19
                                        ; implicit-def: $vgpr3
	s_and_saveexec_b64 s[16:17], vcc
	s_cbranch_execz .LBB1664_117
; %bb.82:
	v_add_u32_e32 v2, 5, v73
	v_cmp_ne_u32_e32 vcc, v67, v64
	v_mov_b64_e32 v[20:21], 0
	v_mov_b32_e32 v18, v69
	v_cndmask_b32_e64 v19, 0, 1, vcc
	v_cmp_gt_u32_e32 vcc, s3, v2
	v_mov_b64_e32 v[22:23], v[20:21]
	v_mov_b64_e32 v[24:25], v[20:21]
	;; [unrolled: 1-line block ×16, first 2 shown]
                                        ; implicit-def: $sgpr22_sgpr23
                                        ; implicit-def: $vgpr3
	s_and_saveexec_b64 s[18:19], vcc
	s_cbranch_execz .LBB1664_116
; %bb.83:
	ds_read2_b32 v[66:67], v1 offset0:5 offset1:6
	v_add_u32_e32 v2, 6, v73
	v_cmp_ne_u32_e32 vcc, v64, v65
	v_mov_b64_e32 v[22:23], 0
	s_mov_b64 s[24:25], 0
	v_cndmask_b32_e64 v21, 0, 1, vcc
	v_cmp_gt_u32_e32 vcc, s3, v2
	s_waitcnt lgkmcnt(0)
	v_mov_b32_e32 v20, v66
	v_mov_b64_e32 v[24:25], v[22:23]
	v_mov_b64_e32 v[26:27], v[22:23]
	;; [unrolled: 1-line block ×15, first 2 shown]
                                        ; implicit-def: $sgpr22_sgpr23
                                        ; implicit-def: $vgpr3
	s_and_saveexec_b64 s[20:21], vcc
	s_cbranch_execz .LBB1664_115
; %bb.84:
	v_add_u32_e32 v2, 7, v73
	v_cmp_ne_u32_e32 vcc, v65, v62
	v_mov_b64_e32 v[24:25], 0
	v_mov_b32_e32 v22, v67
	v_cndmask_b32_e64 v23, 0, 1, vcc
	v_cmp_gt_u32_e32 vcc, s3, v2
	v_mov_b64_e32 v[26:27], v[24:25]
	v_mov_b64_e32 v[28:29], v[24:25]
	;; [unrolled: 1-line block ×14, first 2 shown]
                                        ; implicit-def: $sgpr26_sgpr27
                                        ; implicit-def: $vgpr3
	s_and_saveexec_b64 s[22:23], vcc
	s_cbranch_execz .LBB1664_114
; %bb.85:
	ds_read2_b32 v[64:65], v1 offset0:7 offset1:8
	v_add_u32_e32 v2, 8, v73
	v_cmp_ne_u32_e32 vcc, v62, v63
	v_mov_b64_e32 v[26:27], 0
	s_mov_b64 s[28:29], 0
	v_cndmask_b32_e64 v25, 0, 1, vcc
	v_cmp_gt_u32_e32 vcc, s3, v2
	s_waitcnt lgkmcnt(0)
	v_mov_b32_e32 v24, v64
	v_mov_b64_e32 v[28:29], v[26:27]
	v_mov_b64_e32 v[30:31], v[26:27]
	;; [unrolled: 1-line block ×13, first 2 shown]
                                        ; implicit-def: $sgpr26_sgpr27
                                        ; implicit-def: $vgpr3
	s_and_saveexec_b64 s[24:25], vcc
	s_cbranch_execz .LBB1664_113
; %bb.86:
	v_add_u32_e32 v2, 9, v73
	v_cmp_ne_u32_e32 vcc, v63, v60
	v_mov_b64_e32 v[28:29], 0
	v_mov_b32_e32 v26, v65
	v_cndmask_b32_e64 v27, 0, 1, vcc
	v_cmp_gt_u32_e32 vcc, s3, v2
	v_mov_b64_e32 v[30:31], v[28:29]
	v_mov_b64_e32 v[32:33], v[28:29]
	;; [unrolled: 1-line block ×12, first 2 shown]
                                        ; implicit-def: $sgpr30_sgpr31
                                        ; implicit-def: $vgpr3
	s_and_saveexec_b64 s[26:27], vcc
	s_cbranch_execz .LBB1664_112
; %bb.87:
	ds_read2_b32 v[62:63], v1 offset0:9 offset1:10
	v_add_u32_e32 v2, 10, v73
	v_cmp_ne_u32_e32 vcc, v60, v61
	v_mov_b64_e32 v[30:31], 0
	s_mov_b64 s[34:35], 0
	v_cndmask_b32_e64 v29, 0, 1, vcc
	v_cmp_gt_u32_e32 vcc, s3, v2
	s_waitcnt lgkmcnt(0)
	v_mov_b32_e32 v28, v62
	v_mov_b64_e32 v[32:33], v[30:31]
	v_mov_b64_e32 v[34:35], v[30:31]
	v_mov_b64_e32 v[36:37], v[30:31]
	v_mov_b64_e32 v[38:39], v[30:31]
	v_mov_b64_e32 v[40:41], v[30:31]
	v_mov_b64_e32 v[42:43], v[30:31]
	v_mov_b64_e32 v[44:45], v[30:31]
	v_mov_b64_e32 v[46:47], v[30:31]
	v_mov_b64_e32 v[48:49], v[30:31]
	v_mov_b64_e32 v[50:51], v[30:31]
	v_mov_b64_e32 v[52:53], v[30:31]
                                        ; implicit-def: $sgpr30_sgpr31
                                        ; implicit-def: $vgpr3
	s_and_saveexec_b64 s[28:29], vcc
	s_cbranch_execz .LBB1664_111
; %bb.88:
	v_add_u32_e32 v2, 11, v73
	v_cmp_ne_u32_e32 vcc, v61, v58
	v_mov_b64_e32 v[32:33], 0
	v_mov_b32_e32 v30, v63
	v_cndmask_b32_e64 v31, 0, 1, vcc
	v_cmp_gt_u32_e32 vcc, s3, v2
	v_mov_b64_e32 v[34:35], v[32:33]
	v_mov_b64_e32 v[36:37], v[32:33]
	;; [unrolled: 1-line block ×10, first 2 shown]
                                        ; implicit-def: $sgpr36_sgpr37
                                        ; implicit-def: $vgpr3
	s_and_saveexec_b64 s[30:31], vcc
	s_cbranch_execz .LBB1664_110
; %bb.89:
	ds_read2_b32 v[60:61], v1 offset0:11 offset1:12
	v_add_u32_e32 v2, 12, v73
	v_cmp_ne_u32_e32 vcc, v58, v59
	v_mov_b64_e32 v[34:35], 0
	s_mov_b64 s[38:39], 0
	v_cndmask_b32_e64 v33, 0, 1, vcc
	v_cmp_gt_u32_e32 vcc, s3, v2
	s_waitcnt lgkmcnt(0)
	v_mov_b32_e32 v32, v60
	v_mov_b64_e32 v[36:37], v[34:35]
	v_mov_b64_e32 v[38:39], v[34:35]
	;; [unrolled: 1-line block ×9, first 2 shown]
                                        ; implicit-def: $sgpr36_sgpr37
                                        ; implicit-def: $vgpr3
	s_and_saveexec_b64 s[34:35], vcc
	s_cbranch_execz .LBB1664_109
; %bb.90:
	v_add_u32_e32 v2, 13, v73
	v_cmp_ne_u32_e32 vcc, v59, v56
	v_mov_b64_e32 v[36:37], 0
	v_mov_b32_e32 v34, v61
	v_cndmask_b32_e64 v35, 0, 1, vcc
	v_cmp_gt_u32_e32 vcc, s3, v2
	v_mov_b64_e32 v[38:39], v[36:37]
	v_mov_b64_e32 v[40:41], v[36:37]
	;; [unrolled: 1-line block ×8, first 2 shown]
                                        ; implicit-def: $sgpr40_sgpr41
                                        ; implicit-def: $vgpr3
	s_and_saveexec_b64 s[36:37], vcc
	s_cbranch_execz .LBB1664_108
; %bb.91:
	ds_read2_b32 v[58:59], v1 offset0:13 offset1:14
	v_add_u32_e32 v2, 14, v73
	v_cmp_ne_u32_e32 vcc, v56, v57
	v_mov_b64_e32 v[38:39], 0
	s_mov_b64 s[42:43], 0
	v_cndmask_b32_e64 v37, 0, 1, vcc
	v_cmp_gt_u32_e32 vcc, s3, v2
	s_waitcnt lgkmcnt(0)
	v_mov_b32_e32 v36, v58
	v_mov_b64_e32 v[40:41], v[38:39]
	v_mov_b64_e32 v[42:43], v[38:39]
	;; [unrolled: 1-line block ×7, first 2 shown]
                                        ; implicit-def: $sgpr40_sgpr41
                                        ; implicit-def: $vgpr3
	s_and_saveexec_b64 s[38:39], vcc
	s_cbranch_execz .LBB1664_107
; %bb.92:
	v_add_u32_e32 v2, 15, v73
	v_cmp_ne_u32_e32 vcc, v57, v54
	v_mov_b64_e32 v[40:41], 0
	v_mov_b32_e32 v38, v59
	v_cndmask_b32_e64 v39, 0, 1, vcc
	v_cmp_gt_u32_e32 vcc, s3, v2
	v_mov_b64_e32 v[42:43], v[40:41]
	v_mov_b64_e32 v[44:45], v[40:41]
	;; [unrolled: 1-line block ×6, first 2 shown]
                                        ; implicit-def: $sgpr44_sgpr45
                                        ; implicit-def: $vgpr3
	s_and_saveexec_b64 s[40:41], vcc
	s_cbranch_execz .LBB1664_106
; %bb.93:
	ds_read2_b32 v[56:57], v1 offset0:15 offset1:16
	v_add_u32_e32 v2, 16, v73
	v_cmp_ne_u32_e32 vcc, v54, v55
	v_mov_b64_e32 v[42:43], 0
	s_mov_b64 s[46:47], 0
	v_cndmask_b32_e64 v41, 0, 1, vcc
	v_cmp_gt_u32_e32 vcc, s3, v2
	s_waitcnt lgkmcnt(0)
	v_mov_b32_e32 v40, v56
	v_mov_b64_e32 v[44:45], v[42:43]
	v_mov_b64_e32 v[46:47], v[42:43]
	;; [unrolled: 1-line block ×5, first 2 shown]
                                        ; implicit-def: $sgpr44_sgpr45
                                        ; implicit-def: $vgpr3
	s_and_saveexec_b64 s[42:43], vcc
	s_cbranch_execz .LBB1664_105
; %bb.94:
	v_add_u32_e32 v2, 17, v73
	v_cmp_ne_u32_e32 vcc, v55, v8
	v_mov_b64_e32 v[44:45], 0
	v_mov_b32_e32 v42, v57
	v_cndmask_b32_e64 v43, 0, 1, vcc
	v_cmp_gt_u32_e32 vcc, s3, v2
	v_mov_b64_e32 v[46:47], v[44:45]
	v_mov_b64_e32 v[48:49], v[44:45]
	;; [unrolled: 1-line block ×4, first 2 shown]
                                        ; implicit-def: $sgpr48_sgpr49
                                        ; implicit-def: $vgpr3
	s_and_saveexec_b64 s[44:45], vcc
	s_cbranch_execz .LBB1664_104
; %bb.95:
	ds_read2_b32 v[54:55], v1 offset0:17 offset1:18
	v_add_u32_e32 v2, 18, v73
	v_cmp_ne_u32_e32 vcc, v8, v9
	v_mov_b64_e32 v[46:47], 0
	s_mov_b64 s[50:51], 0
	v_cndmask_b32_e64 v45, 0, 1, vcc
	v_cmp_gt_u32_e32 vcc, s3, v2
	s_waitcnt lgkmcnt(0)
	v_mov_b32_e32 v44, v54
	v_mov_b64_e32 v[48:49], v[46:47]
	v_mov_b64_e32 v[50:51], v[46:47]
	;; [unrolled: 1-line block ×3, first 2 shown]
                                        ; implicit-def: $sgpr48_sgpr49
                                        ; implicit-def: $vgpr3
	s_and_saveexec_b64 s[46:47], vcc
	s_cbranch_execz .LBB1664_103
; %bb.96:
	v_add_u32_e32 v2, 19, v73
	v_cmp_ne_u32_e32 vcc, v9, v6
	v_mov_b64_e32 v[48:49], 0
	v_mov_b32_e32 v46, v55
	v_cndmask_b32_e64 v47, 0, 1, vcc
	v_cmp_gt_u32_e32 vcc, s3, v2
	v_mov_b64_e32 v[50:51], v[48:49]
	v_mov_b64_e32 v[52:53], v[48:49]
                                        ; implicit-def: $sgpr60_sgpr61
                                        ; implicit-def: $vgpr3
	s_and_saveexec_b64 s[48:49], vcc
	s_cbranch_execz .LBB1664_102
; %bb.97:
	ds_read2_b32 v[8:9], v1 offset0:19 offset1:20
	v_add_u32_e32 v2, 20, v73
	v_cmp_ne_u32_e32 vcc, v6, v7
	v_mov_b64_e32 v[50:51], 0
	s_mov_b64 s[60:61], 0
	v_cndmask_b32_e64 v49, 0, 1, vcc
	v_cmp_gt_u32_e32 vcc, s3, v2
	s_waitcnt lgkmcnt(0)
	v_mov_b32_e32 v48, v8
	v_mov_b64_e32 v[52:53], v[50:51]
                                        ; implicit-def: $sgpr78_sgpr79
                                        ; implicit-def: $vgpr3
	s_and_saveexec_b64 s[50:51], vcc
	s_cbranch_execz .LBB1664_101
; %bb.98:
	v_add_u32_e32 v2, 21, v73
	v_cmp_ne_u32_e32 vcc, v7, v4
	v_mov_b32_e32 v50, v9
	v_mov_b64_e32 v[52:53], 0
	v_cndmask_b32_e64 v51, 0, 1, vcc
	v_cmp_gt_u32_e32 vcc, s3, v2
                                        ; implicit-def: $sgpr78_sgpr79
                                        ; implicit-def: $vgpr3
	s_and_saveexec_b64 s[4:5], vcc
	s_xor_b64 s[80:81], exec, s[4:5]
	s_cbranch_execz .LBB1664_100
; %bb.99:
	ds_read2_b32 v[2:3], v1 offset0:21 offset1:22
	v_add_u32_e32 v1, 22, v73
	v_cmp_ne_u32_e64 s[4:5], v4, v5
	v_cmp_ne_u32_e32 vcc, v5, v72
	s_and_b64 s[78:79], vcc, exec
	v_cndmask_b32_e64 v53, 0, 1, s[4:5]
	v_cmp_gt_u32_e64 s[4:5], s3, v1
	s_waitcnt lgkmcnt(0)
	v_mov_b32_e32 v52, v2
	s_and_b64 s[60:61], s[4:5], exec
.LBB1664_100:
	s_or_b64 exec, exec, s[80:81]
	s_and_b64 s[78:79], s[78:79], exec
	s_and_b64 s[4:5], s[60:61], exec
.LBB1664_101:
	s_or_b64 exec, exec, s[50:51]
	s_and_b64 s[60:61], s[78:79], exec
	s_and_b64 s[50:51], s[4:5], exec
.LBB1664_102:
	s_or_b64 exec, exec, s[48:49]
	s_and_b64 s[48:49], s[60:61], exec
	s_and_b64 s[4:5], s[50:51], exec
.LBB1664_103:
	s_or_b64 exec, exec, s[46:47]
	s_and_b64 s[48:49], s[48:49], exec
	s_and_b64 s[46:47], s[4:5], exec
.LBB1664_104:
	s_or_b64 exec, exec, s[44:45]
	s_and_b64 s[44:45], s[48:49], exec
	s_and_b64 s[4:5], s[46:47], exec
.LBB1664_105:
	s_or_b64 exec, exec, s[42:43]
	s_and_b64 s[44:45], s[44:45], exec
	s_and_b64 s[42:43], s[4:5], exec
.LBB1664_106:
	s_or_b64 exec, exec, s[40:41]
	s_and_b64 s[40:41], s[44:45], exec
	s_and_b64 s[4:5], s[42:43], exec
.LBB1664_107:
	s_or_b64 exec, exec, s[38:39]
	s_and_b64 s[40:41], s[40:41], exec
	s_and_b64 s[38:39], s[4:5], exec
.LBB1664_108:
	s_or_b64 exec, exec, s[36:37]
	s_and_b64 s[36:37], s[40:41], exec
	s_and_b64 s[4:5], s[38:39], exec
.LBB1664_109:
	s_or_b64 exec, exec, s[34:35]
	s_and_b64 s[36:37], s[36:37], exec
	s_and_b64 s[34:35], s[4:5], exec
.LBB1664_110:
	s_or_b64 exec, exec, s[30:31]
	s_and_b64 s[30:31], s[36:37], exec
	s_and_b64 s[4:5], s[34:35], exec
.LBB1664_111:
	s_or_b64 exec, exec, s[28:29]
	s_and_b64 s[30:31], s[30:31], exec
	s_and_b64 s[28:29], s[4:5], exec
.LBB1664_112:
	s_or_b64 exec, exec, s[26:27]
	s_and_b64 s[26:27], s[30:31], exec
	s_and_b64 s[4:5], s[28:29], exec
.LBB1664_113:
	s_or_b64 exec, exec, s[24:25]
	s_and_b64 s[26:27], s[26:27], exec
	s_and_b64 s[24:25], s[4:5], exec
.LBB1664_114:
	s_or_b64 exec, exec, s[22:23]
	s_and_b64 s[22:23], s[26:27], exec
	s_and_b64 s[4:5], s[24:25], exec
.LBB1664_115:
	s_or_b64 exec, exec, s[20:21]
	s_and_b64 s[22:23], s[22:23], exec
	s_and_b64 s[20:21], s[4:5], exec
.LBB1664_116:
	s_or_b64 exec, exec, s[18:19]
	s_and_b64 s[18:19], s[22:23], exec
	s_and_b64 s[4:5], s[20:21], exec
.LBB1664_117:
	s_or_b64 exec, exec, s[16:17]
	s_and_b64 s[18:19], s[18:19], exec
	s_and_b64 s[16:17], s[4:5], exec
.LBB1664_118:
	s_or_b64 exec, exec, s[14:15]
	s_and_b64 s[14:15], s[18:19], exec
	s_and_b64 s[4:5], s[16:17], exec
.LBB1664_119:
	s_or_b64 exec, exec, s[12:13]
	s_and_b64 s[14:15], s[14:15], exec
	s_and_b64 s[12:13], s[4:5], exec
.LBB1664_120:
	s_or_b64 exec, exec, s[10:11]
	s_and_b64 s[4:5], s[14:15], exec
	s_and_b64 s[10:11], s[12:13], exec
.LBB1664_121:
	s_or_b64 exec, exec, s[8:9]
	s_mov_b64 s[8:9], 0
	s_and_b64 vcc, exec, s[6:7]
	v_lshlrev_b32_e32 v54, 2, v0
	s_cbranch_vccnz .LBB1664_123
	s_branch .LBB1664_131
.LBB1664_122:
                                        ; implicit-def: $sgpr4_sgpr5
                                        ; implicit-def: $vgpr3
                                        ; implicit-def: $vgpr10_vgpr11
                                        ; implicit-def: $vgpr12_vgpr13
                                        ; implicit-def: $vgpr14_vgpr15
                                        ; implicit-def: $vgpr16_vgpr17
                                        ; implicit-def: $vgpr18_vgpr19
                                        ; implicit-def: $vgpr20_vgpr21
                                        ; implicit-def: $vgpr22_vgpr23
                                        ; implicit-def: $vgpr24_vgpr25
                                        ; implicit-def: $vgpr26_vgpr27
                                        ; implicit-def: $vgpr28_vgpr29
                                        ; implicit-def: $vgpr30_vgpr31
                                        ; implicit-def: $vgpr32_vgpr33
                                        ; implicit-def: $vgpr34_vgpr35
                                        ; implicit-def: $vgpr36_vgpr37
                                        ; implicit-def: $vgpr38_vgpr39
                                        ; implicit-def: $vgpr40_vgpr41
                                        ; implicit-def: $vgpr42_vgpr43
                                        ; implicit-def: $vgpr44_vgpr45
                                        ; implicit-def: $vgpr46_vgpr47
                                        ; implicit-def: $vgpr48_vgpr49
                                        ; implicit-def: $vgpr50_vgpr51
                                        ; implicit-def: $vgpr52_vgpr53
                                        ; implicit-def: $sgpr8_sgpr9
	s_and_b64 vcc, exec, s[6:7]
	v_lshlrev_b32_e32 v54, 2, v0
	s_cbranch_vccz .LBB1664_131
.LBB1664_123:
	v_mov_b32_e32 v55, 0
	v_lshl_add_u64 v[2:3], s[54:55], 0, v[54:55]
	v_add_co_u32_e32 v4, vcc, 0x1000, v2
	s_movk_i32 s3, 0x58
	s_nop 0
	v_addc_co_u32_e32 v5, vcc, 0, v3, vcc
	flat_load_dword v8, v[2:3]
	flat_load_dword v9, v[2:3] offset:1024
	s_waitcnt lgkmcnt(0)
	flat_load_dword v10, v[2:3] offset:2048
	flat_load_dword v11, v[2:3] offset:3072
	flat_load_dword v12, v[4:5]
	flat_load_dword v13, v[4:5] offset:1024
	flat_load_dword v14, v[4:5] offset:2048
	;; [unrolled: 1-line block ×3, first 2 shown]
	v_add_co_u32_e32 v4, vcc, 0x2000, v2
	v_mad_u32_u24 v1, v0, s3, v54
	s_nop 0
	v_addc_co_u32_e32 v5, vcc, 0, v3, vcc
	v_add_co_u32_e32 v6, vcc, 0x3000, v2
	s_cmp_eq_u64 s[76:77], 0
	s_nop 0
	v_addc_co_u32_e32 v7, vcc, 0, v3, vcc
	flat_load_dword v16, v[4:5]
	flat_load_dword v17, v[4:5] offset:1024
	flat_load_dword v18, v[4:5] offset:2048
	flat_load_dword v19, v[4:5] offset:3072
	flat_load_dword v20, v[6:7]
	flat_load_dword v21, v[6:7] offset:1024
	flat_load_dword v22, v[6:7] offset:2048
	;; [unrolled: 1-line block ×3, first 2 shown]
	v_add_co_u32_e32 v4, vcc, 0x4000, v2
	s_nop 1
	v_addc_co_u32_e32 v5, vcc, 0, v3, vcc
	v_add_co_u32_e32 v2, vcc, 0x5000, v2
	s_nop 1
	v_addc_co_u32_e32 v3, vcc, 0, v3, vcc
	flat_load_dword v6, v[4:5]
	flat_load_dword v7, v[4:5] offset:1024
	flat_load_dword v24, v[4:5] offset:2048
	;; [unrolled: 1-line block ×3, first 2 shown]
	flat_load_dword v26, v[2:3]
	flat_load_dword v27, v[2:3] offset:1024
	flat_load_dword v28, v[2:3] offset:2048
	s_waitcnt vmcnt(0)
	ds_write2st64_b32 v54, v8, v9 offset1:4
	s_waitcnt lgkmcnt(0)
	ds_write2st64_b32 v54, v10, v11 offset0:8 offset1:12
	ds_write2st64_b32 v54, v12, v13 offset0:16 offset1:20
	;; [unrolled: 1-line block ×10, first 2 shown]
	ds_write_b32 v54, v28 offset:22528
	s_waitcnt lgkmcnt(0)
	s_barrier
	ds_read2_b32 v[2:3], v1 offset1:1
	ds_read2_b32 v[18:19], v1 offset0:2 offset1:3
	ds_read2_b32 v[22:23], v1 offset0:4 offset1:5
	;; [unrolled: 1-line block ×10, first 2 shown]
	ds_read_b32 v10, v1 offset:88
	s_cbranch_scc1 .LBB1664_128
; %bb.124:
	s_andn2_b64 vcc, exec, s[64:65]
	s_cbranch_vccnz .LBB1664_268
; %bb.125:
	s_lshl_b64 s[4:5], s[76:77], 2
	s_add_u32 s3, s66, s4
	s_addc_u32 s5, s67, s5
	s_add_u32 s4, s3, -4
	s_addc_u32 s5, s5, -1
	s_cbranch_execnz .LBB1664_127
.LBB1664_126:
	s_add_u32 s4, s54, -4
	s_addc_u32 s5, s55, -1
.LBB1664_127:
	s_mov_b64 s[54:55], s[4:5]
.LBB1664_128:
	v_mov_b64_e32 v[12:13], s[54:55]
	flat_load_dword v11, v[12:13]
	s_movk_i32 s3, 0xffa8
	v_mad_i32_i24 v12, v0, s3, v1
	v_cmp_ne_u32_e32 vcc, 0, v0
	s_waitcnt lgkmcnt(0)
	ds_write_b32 v12, v10 offset:23552
	s_waitcnt lgkmcnt(0)
	s_barrier
	s_and_saveexec_b64 s[4:5], vcc
	s_cbranch_execz .LBB1664_130
; %bb.129:
	s_waitcnt vmcnt(0)
	v_mul_i32_i24_e32 v11, 0xffffffa8, v0
	v_add_u32_e32 v11, v1, v11
	ds_read_b32 v11, v11 offset:23548
.LBB1664_130:
	s_or_b64 exec, exec, s[4:5]
	v_mov_b32_e32 v55, 0
	v_lshl_add_u64 v[12:13], s[52:53], 0, v[54:55]
	s_movk_i32 s3, 0x1000
	v_add_co_u32_e32 v14, vcc, s3, v12
	s_movk_i32 s3, 0x2000
	s_nop 0
	v_addc_co_u32_e32 v15, vcc, 0, v13, vcc
	s_waitcnt lgkmcnt(0)
	s_barrier
	flat_load_dword v20, v[12:13]
	flat_load_dword v21, v[12:13] offset:1024
	flat_load_dword v24, v[12:13] offset:2048
	flat_load_dword v25, v[12:13] offset:3072
	flat_load_dword v28, v[14:15]
	flat_load_dword v29, v[14:15] offset:1024
	flat_load_dword v32, v[14:15] offset:2048
	;; [unrolled: 1-line block ×3, first 2 shown]
	v_add_co_u32_e32 v14, vcc, s3, v12
	s_movk_i32 s3, 0x3000
	s_nop 0
	v_addc_co_u32_e32 v15, vcc, 0, v13, vcc
	v_add_co_u32_e32 v16, vcc, s3, v12
	s_movk_i32 s3, 0x4000
	s_nop 0
	v_addc_co_u32_e32 v17, vcc, 0, v13, vcc
	flat_load_dword v36, v[14:15]
	flat_load_dword v37, v[14:15] offset:1024
	flat_load_dword v40, v[14:15] offset:2048
	flat_load_dword v41, v[14:15] offset:3072
	flat_load_dword v44, v[16:17]
	flat_load_dword v45, v[16:17] offset:1024
	flat_load_dword v46, v[16:17] offset:2048
	;; [unrolled: 1-line block ×3, first 2 shown]
	v_add_co_u32_e32 v14, vcc, s3, v12
	s_movk_i32 s3, 0x5000
	s_nop 0
	v_addc_co_u32_e32 v15, vcc, 0, v13, vcc
	v_add_co_u32_e32 v12, vcc, s3, v12
	v_cmp_ne_u32_e64 s[4:5], v5, v10
	s_nop 0
	v_addc_co_u32_e32 v13, vcc, 0, v13, vcc
	flat_load_dword v16, v[14:15]
	flat_load_dword v17, v[14:15] offset:1024
	flat_load_dword v48, v[14:15] offset:2048
	;; [unrolled: 1-line block ×3, first 2 shown]
	flat_load_dword v50, v[12:13]
	flat_load_dword v51, v[12:13] offset:1024
	flat_load_dword v52, v[12:13] offset:2048
	s_waitcnt vmcnt(0)
	v_cmp_ne_u32_e32 vcc, v11, v2
	s_mov_b64 s[10:11], -1
                                        ; implicit-def: $sgpr8_sgpr9
	s_waitcnt lgkmcnt(0)
	ds_write2st64_b32 v54, v20, v21 offset1:4
	ds_write2st64_b32 v54, v24, v25 offset0:8 offset1:12
	ds_write2st64_b32 v54, v28, v29 offset0:16 offset1:20
	;; [unrolled: 1-line block ×10, first 2 shown]
	ds_write_b32 v54, v52 offset:22528
	v_cndmask_b32_e64 v11, 0, 1, vcc
	v_cmp_ne_u32_e32 vcc, v2, v3
	s_waitcnt lgkmcnt(0)
	s_barrier
	v_cndmask_b32_e64 v13, 0, 1, vcc
	v_cmp_ne_u32_e32 vcc, v3, v18
	ds_read2_b32 v[16:17], v1 offset1:1
	ds_read2_b32 v[20:21], v1 offset0:2 offset1:3
	ds_read2_b32 v[24:25], v1 offset0:4 offset1:5
	;; [unrolled: 1-line block ×10, first 2 shown]
	ds_read_b32 v3, v1 offset:88
	v_cndmask_b32_e64 v15, 0, 1, vcc
	v_cmp_ne_u32_e32 vcc, v18, v19
	s_waitcnt lgkmcnt(11)
	v_mov_b32_e32 v12, v17
	v_mov_b32_e32 v10, v16
	v_cndmask_b32_e64 v17, 0, 1, vcc
	v_cmp_ne_u32_e32 vcc, v19, v22
	s_waitcnt lgkmcnt(10)
	v_mov_b32_e32 v16, v21
	v_mov_b32_e32 v14, v20
	;; [unrolled: 5-line block ×5, first 2 shown]
	v_cndmask_b32_e64 v25, 0, 1, vcc
	v_cmp_ne_u32_e32 vcc, v27, v30
	s_waitcnt lgkmcnt(6)
	v_mov_b32_e32 v32, v37
	s_waitcnt lgkmcnt(2)
	v_mov_b32_e32 v48, v51
	v_cndmask_b32_e64 v27, 0, 1, vcc
	v_cmp_ne_u32_e32 vcc, v30, v31
	v_mov_b32_e32 v30, v36
	v_mov_b32_e32 v36, v41
	v_cndmask_b32_e64 v29, 0, 1, vcc
	v_cmp_ne_u32_e32 vcc, v31, v34
	s_waitcnt lgkmcnt(1)
	v_mov_b32_e32 v52, v57
	v_cndmask_b32_e64 v31, 0, 1, vcc
	v_cmp_ne_u32_e32 vcc, v34, v35
	v_mov_b32_e32 v34, v40
	v_mov_b32_e32 v40, v45
	v_cndmask_b32_e64 v33, 0, 1, vcc
	v_cmp_ne_u32_e32 vcc, v35, v38
	s_nop 1
	v_cndmask_b32_e64 v35, 0, 1, vcc
	v_cmp_ne_u32_e32 vcc, v38, v39
	v_mov_b32_e32 v38, v44
	v_mov_b32_e32 v44, v47
	v_cndmask_b32_e64 v37, 0, 1, vcc
	v_cmp_ne_u32_e32 vcc, v39, v42
	s_nop 1
	v_cndmask_b32_e64 v39, 0, 1, vcc
	v_cmp_ne_u32_e32 vcc, v42, v43
	v_mov_b32_e32 v42, v46
	v_mov_b32_e32 v46, v50
	v_cndmask_b32_e64 v41, 0, 1, vcc
	v_cmp_ne_u32_e32 vcc, v43, v8
	v_mov_b32_e32 v50, v56
	s_nop 0
	v_cndmask_b32_e64 v43, 0, 1, vcc
	v_cmp_ne_u32_e32 vcc, v8, v9
	s_nop 1
	v_cndmask_b32_e64 v45, 0, 1, vcc
	v_cmp_ne_u32_e32 vcc, v9, v6
	;; [unrolled: 3-line block ×5, first 2 shown]
	s_nop 1
	v_cndmask_b32_e64 v53, 0, 1, vcc
.LBB1664_131:
	v_mov_b64_e32 v[56:57], s[8:9]
	s_and_saveexec_b64 s[6:7], s[10:11]
	s_cbranch_execz .LBB1664_133
; %bb.132:
	v_cndmask_b32_e64 v57, 0, 1, s[4:5]
	s_waitcnt lgkmcnt(0)
	v_mov_b32_e32 v56, v3
.LBB1664_133:
	s_or_b64 exec, exec, s[6:7]
	s_mov_b32 s46, 0
	s_cmp_lg_u32 s2, 0
	v_or_b32_e32 v55, v57, v53
	v_lshrrev_b32_e32 v1, 5, v0
	v_cmp_gt_u32_e32 vcc, 64, v0
	s_waitcnt lgkmcnt(0)
	s_barrier
	s_cbranch_scc0 .LBB1664_172
; %bb.134:
	s_mov_b32 s47, 1
	v_cmp_gt_u64_e64 s[52:53], s[46:47], v[12:13]
	v_cmp_gt_u64_e64 s[4:5], s[46:47], v[14:15]
	v_cmp_gt_u64_e64 s[6:7], s[46:47], v[16:17]
	v_cndmask_b32_e64 v2, 0, v10, s[52:53]
	v_add_u32_e32 v2, v2, v12
	v_cndmask_b32_e64 v2, 0, v2, s[4:5]
	v_add_u32_e32 v2, v2, v14
	v_cndmask_b32_e64 v2, 0, v2, s[6:7]
	v_add_u32_e32 v2, v2, v16
	v_cmp_gt_u64_e64 s[8:9], s[46:47], v[18:19]
	v_cmp_gt_u64_e64 s[10:11], s[46:47], v[20:21]
	v_cmp_gt_u64_e64 s[12:13], s[46:47], v[22:23]
	v_cndmask_b32_e64 v2, 0, v2, s[8:9]
	v_add_u32_e32 v2, v2, v18
	v_cndmask_b32_e64 v2, 0, v2, s[10:11]
	v_add_u32_e32 v2, v2, v20
	v_cndmask_b32_e64 v2, 0, v2, s[12:13]
	v_add_u32_e32 v2, v2, v22
	;; [unrolled: 9-line block ×7, first 2 shown]
	v_cmp_gt_u64_e64 s[46:47], s[46:47], v[56:57]
	s_nop 1
	v_cndmask_b32_e64 v2, 0, v2, s[46:47]
	v_add_u32_e32 v62, v2, v56
	v_or3_b32 v2, v55, v51, v49
	v_or3_b32 v2, v2, v47, v45
	;; [unrolled: 1-line block ×10, first 2 shown]
	v_and_b32_e32 v2, 1, v2
	v_cmp_eq_u32_e64 s[48:49], 1, v2
	v_add_lshl_u32 v2, v1, v0, 3
	s_nop 0
	v_cndmask_b32_e64 v63, v11, 1, s[48:49]
	ds_write_b32 v2, v62
	ds_write_b8 v2, v63 offset:4
	s_waitcnt lgkmcnt(0)
	s_barrier
	s_and_saveexec_b64 s[50:51], vcc
	s_cbranch_execz .LBB1664_146
; %bb.135:
	v_lshrrev_b32_e32 v2, 3, v0
	v_add_lshl_u32 v4, v2, v54, 3
	ds_read2_b32 v[6:7], v4 offset0:2 offset1:4
	ds_read_b64 v[2:3], v4
	ds_read_u8 v8, v4 offset:12
	ds_read_u8 v9, v4 offset:20
	ds_read_b32 v58, v4 offset:24
	ds_read_u8 v59, v4 offset:28
	v_mov_b32_e32 v60, 0
	s_waitcnt lgkmcnt(3)
	v_cmp_eq_u16_sdwa s[48:49], v8, v60 src0_sel:BYTE_0 src1_sel:DWORD
	v_and_b32_e32 v5, 1, v3
	s_nop 0
	v_cndmask_b32_e64 v61, 0, v2, s[48:49]
	v_add_u32_e32 v6, v61, v6
	s_waitcnt lgkmcnt(2)
	v_cmp_eq_u16_sdwa s[48:49], v9, v60 src0_sel:BYTE_0 src1_sel:DWORD
	s_nop 1
	v_cndmask_b32_e64 v6, 0, v6, s[48:49]
	v_add_u32_e32 v6, v6, v7
	s_waitcnt lgkmcnt(0)
	v_cmp_eq_u16_e64 s[48:49], 0, v59
	s_nop 1
	v_cndmask_b32_e64 v6, 0, v6, s[48:49]
	v_add_u32_e32 v7, v6, v58
	v_or_b32_e32 v6, v59, v9
	v_or_b32_e32 v6, v6, v8
	v_and_b32_e32 v6, 1, v6
	v_cmp_eq_u32_e64 s[48:49], 1, v6
	v_mbcnt_lo_u32_b32 v8, -1, 0
	v_and_b32_e32 v6, 0xffffff00, v3
	v_cndmask_b32_e64 v9, v5, 1, s[48:49]
	v_mbcnt_hi_u32_b32 v8, -1, v8
	v_and_b32_e32 v59, 15, v8
	v_or_b32_sdwa v58, v6, v9 dst_sel:DWORD dst_unused:UNUSED_PAD src0_sel:DWORD src1_sel:WORD_0
	v_mov_b32_dpp v60, v7 row_shr:1 row_mask:0xf bank_mask:0xf
	v_cmp_ne_u32_e64 s[48:49], 0, v59
	v_mov_b32_dpp v61, v58 row_shr:1 row_mask:0xf bank_mask:0xf
	s_and_saveexec_b64 s[54:55], s[48:49]
; %bb.136:
	v_and_b32_e32 v58, 1, v9
	v_and_b32_e32 v61, 1, v61
	v_cmp_eq_u32_e64 s[48:49], 1, v58
	s_nop 1
	v_cndmask_b32_e64 v61, v61, 1, s[48:49]
	v_cmp_eq_u16_e64 s[48:49], 0, v9
	v_or_b32_sdwa v58, v6, v61 dst_sel:DWORD dst_unused:UNUSED_PAD src0_sel:DWORD src1_sel:WORD_0
	s_nop 0
	v_cndmask_b32_e64 v9, 0, v60, s[48:49]
	v_add_u32_e32 v7, v9, v7
	v_mov_b32_e32 v9, v61
; %bb.137:
	s_or_b64 exec, exec, s[54:55]
	v_mov_b32_dpp v60, v7 row_shr:2 row_mask:0xf bank_mask:0xf
	v_mov_b32_dpp v61, v58 row_shr:2 row_mask:0xf bank_mask:0xf
	v_cmp_lt_u32_e64 s[48:49], 1, v59
	s_and_saveexec_b64 s[54:55], s[48:49]
; %bb.138:
	v_and_b32_e32 v58, 1, v9
	v_and_b32_e32 v61, 1, v61
	v_cmp_eq_u32_e64 s[48:49], 1, v58
	s_nop 1
	v_cndmask_b32_e64 v61, v61, 1, s[48:49]
	v_cmp_eq_u16_e64 s[48:49], 0, v9
	v_or_b32_sdwa v58, v6, v61 dst_sel:DWORD dst_unused:UNUSED_PAD src0_sel:DWORD src1_sel:WORD_0
	s_nop 0
	v_cndmask_b32_e64 v9, 0, v60, s[48:49]
	v_add_u32_e32 v7, v9, v7
	v_mov_b32_e32 v9, v61
; %bb.139:
	s_or_b64 exec, exec, s[54:55]
	v_mov_b32_dpp v60, v7 row_shr:4 row_mask:0xf bank_mask:0xf
	v_mov_b32_dpp v61, v58 row_shr:4 row_mask:0xf bank_mask:0xf
	v_cmp_lt_u32_e64 s[48:49], 3, v59
	;; [unrolled: 18-line block ×3, first 2 shown]
	s_and_saveexec_b64 s[54:55], s[48:49]
; %bb.142:
	v_and_b32_e32 v58, 1, v9
	v_and_b32_e32 v59, 1, v61
	v_cmp_eq_u32_e64 s[48:49], 1, v58
	s_nop 1
	v_cndmask_b32_e64 v59, v59, 1, s[48:49]
	v_cmp_eq_u16_e64 s[48:49], 0, v9
	v_or_b32_sdwa v58, v6, v59 dst_sel:DWORD dst_unused:UNUSED_PAD src0_sel:DWORD src1_sel:WORD_0
	s_nop 0
	v_cndmask_b32_e64 v9, 0, v60, s[48:49]
	v_add_u32_e32 v7, v9, v7
	v_mov_b32_e32 v9, v59
; %bb.143:
	s_or_b64 exec, exec, s[54:55]
	v_and_b32_e32 v61, 16, v8
	v_mov_b32_dpp v59, v7 row_bcast:15 row_mask:0xf bank_mask:0xf
	v_mov_b32_dpp v60, v58 row_bcast:15 row_mask:0xf bank_mask:0xf
	v_cmp_ne_u32_e64 s[48:49], 0, v61
	s_and_saveexec_b64 s[54:55], s[48:49]
; %bb.144:
	v_and_b32_e32 v58, 1, v9
	v_and_b32_e32 v60, 1, v60
	v_cmp_eq_u32_e64 s[48:49], 1, v58
	s_nop 1
	v_cndmask_b32_e64 v60, v60, 1, s[48:49]
	v_cmp_eq_u16_e64 s[48:49], 0, v9
	v_or_b32_sdwa v58, v6, v60 dst_sel:DWORD dst_unused:UNUSED_PAD src0_sel:DWORD src1_sel:WORD_0
	s_nop 0
	v_cndmask_b32_e64 v9, 0, v59, s[48:49]
	v_add_u32_e32 v7, v9, v7
	v_mov_b32_e32 v9, v60
; %bb.145:
	s_or_b64 exec, exec, s[54:55]
	v_mov_b32_dpp v58, v58 row_bcast:31 row_mask:0xf bank_mask:0xf
	v_and_b32_e32 v60, 1, v9
	v_and_b32_e32 v58, 1, v58
	v_cmp_eq_u32_e64 s[48:49], 1, v60
	v_mov_b32_e32 v60, 0
	v_cmp_eq_u16_sdwa s[54:55], v9, v60 src0_sel:BYTE_0 src1_sel:DWORD
	v_cndmask_b32_e64 v58, v58, 1, s[48:49]
	v_cmp_lt_u32_e64 s[48:49], 31, v8
	v_mov_b32_dpp v59, v7 row_bcast:31 row_mask:0xf bank_mask:0xf
	s_movk_i32 s3, 0xff
	v_cndmask_b32_e64 v9, v9, v58, s[48:49]
	s_and_b64 s[48:49], s[48:49], s[54:55]
	v_cndmask_b32_e64 v58, 0, v59, s[48:49]
	v_add_u32_e32 v7, v58, v7
	v_add_u32_e32 v58, -1, v8
	v_and_b32_e32 v59, 64, v8
	v_cmp_lt_i32_e64 s[48:49], v58, v59
	v_and_or_b32 v6, v9, s3, v6
	s_nop 0
	v_cndmask_b32_e64 v8, v58, v8, s[48:49]
	v_lshlrev_b32_e32 v8, 2, v8
	ds_bpermute_b32 v7, v8, v7
	ds_bpermute_b32 v6, v8, v6
	v_cmp_eq_u16_sdwa s[48:49], v3, v60 src0_sel:BYTE_0 src1_sel:DWORD
	; wave barrier
	s_waitcnt lgkmcnt(1)
	s_nop 0
	v_cndmask_b32_e64 v3, 0, v7, s[48:49]
	v_add_u32_e32 v2, v3, v2
	s_waitcnt lgkmcnt(0)
	v_and_b32_e32 v3, 1, v6
	v_cmp_eq_u32_e64 s[48:49], 1, v5
	s_nop 1
	v_cndmask_b32_e64 v3, v3, 1, s[48:49]
	v_cmp_eq_u32_e64 s[48:49], 0, v0
	s_nop 1
	v_cndmask_b32_e64 v5, v2, v62, s[48:49]
	v_cndmask_b32_e64 v6, v3, v63, s[48:49]
	ds_write_b32 v4, v5
	ds_write_b8 v4, v6 offset:4
	; wave barrier
	ds_read_u8 v7, v4 offset:12
	ds_read2_b32 v[2:3], v4 offset0:2 offset1:4
	ds_read_u8 v8, v4 offset:20
	ds_read_b32 v9, v4 offset:24
	ds_read_u8 v58, v4 offset:28
	s_waitcnt lgkmcnt(4)
	v_cmp_eq_u16_e64 s[48:49], 0, v7
	s_nop 1
	v_cndmask_b32_e64 v5, 0, v5, s[48:49]
	s_waitcnt lgkmcnt(3)
	v_add_u32_e32 v2, v5, v2
	v_and_b32_e32 v5, 1, v7
	v_cmp_eq_u32_e64 s[48:49], 1, v5
	s_nop 1
	v_cndmask_b32_e64 v5, v6, 1, s[48:49]
	s_waitcnt lgkmcnt(2)
	v_cmp_eq_u16_e64 s[48:49], 0, v8
	ds_write_b8 v4, v5 offset:12
	s_nop 0
	v_cndmask_b32_e64 v6, 0, v2, s[48:49]
	v_add_u32_e32 v3, v6, v3
	v_and_b32_e32 v6, 1, v8
	v_cmp_eq_u32_e64 s[48:49], 1, v6
	s_nop 1
	v_cndmask_b32_e64 v5, v5, 1, s[48:49]
	s_waitcnt lgkmcnt(1)
	v_cmp_eq_u16_e64 s[48:49], 0, v58
	ds_write2_b32 v4, v2, v3 offset0:2 offset1:4
	ds_write_b8 v4, v5 offset:20
	v_cndmask_b32_e64 v2, 0, v3, s[48:49]
	v_and_b32_e32 v3, 1, v58
	v_add_u32_e32 v2, v2, v9
	v_cmp_eq_u32_e64 s[48:49], 1, v3
	s_nop 1
	v_cndmask_b32_e64 v3, v5, 1, s[48:49]
	ds_write_b32 v4, v2 offset:24
	ds_write_b8 v4, v3 offset:28
.LBB1664_146:
	s_or_b64 exec, exec, s[50:51]
	v_cmp_eq_u32_e64 s[48:49], 0, v0
	v_cmp_ne_u32_e64 s[50:51], 0, v0
	s_waitcnt lgkmcnt(0)
	s_barrier
	s_and_saveexec_b64 s[54:55], s[50:51]
	s_cbranch_execz .LBB1664_148
; %bb.147:
	v_add_u32_e32 v2, -1, v0
	v_lshrrev_b32_e32 v3, 5, v2
	v_add_lshl_u32 v2, v3, v2, 3
	ds_read_b32 v62, v2
	ds_read_u8 v63, v2 offset:4
.LBB1664_148:
	s_or_b64 exec, exec, s[54:55]
	s_and_saveexec_b64 s[60:61], vcc
	s_cbranch_execz .LBB1664_171
; %bb.149:
	v_mov_b32_e32 v5, 0
	ds_read_b64 v[2:3], v5 offset:2096
	v_mbcnt_lo_u32_b32 v4, -1, 0
	v_mbcnt_hi_u32_b32 v73, -1, v4
	s_mov_b32 s65, 0
	v_cmp_eq_u32_e64 s[50:51], 0, v73
	s_waitcnt lgkmcnt(0)
	v_readfirstlane_b32 s3, v3
	s_and_saveexec_b64 s[54:55], s[50:51]
	s_cbranch_execz .LBB1664_151
; %bb.150:
	s_add_i32 s64, s2, 64
	s_lshl_b64 s[66:67], s[64:65], 4
	s_add_u32 s66, s68, s66
	s_addc_u32 s67, s69, s67
	s_and_b32 s77, s3, 0xff000000
	s_mov_b32 s76, s65
	s_and_b32 s79, s3, 0xff0000
	s_mov_b32 s78, s65
	s_or_b64 s[76:77], s[78:79], s[76:77]
	s_and_b32 s79, s3, 0xff00
	s_or_b64 s[76:77], s[76:77], s[78:79]
	s_and_b32 s79, s3, 0xff
	s_or_b64 s[64:65], s[76:77], s[78:79]
	v_mov_b32_e32 v3, s65
	v_mov_b32_e32 v4, 1
	v_mov_b64_e32 v[6:7], s[66:67]
	;;#ASMSTART
	global_store_dwordx4 v[6:7], v[2:5] off sc1	
s_waitcnt vmcnt(0)
	;;#ASMEND
.LBB1664_151:
	s_or_b64 exec, exec, s[54:55]
	v_xad_u32 v58, v73, -1, s2
	v_add_u32_e32 v4, 64, v58
	v_lshl_add_u64 v[60:61], v[4:5], 4, s[68:69]
	;;#ASMSTART
	global_load_dwordx4 v[6:9], v[60:61] off sc1	
s_waitcnt vmcnt(0)
	;;#ASMEND
	s_nop 0
	v_and_b32_e32 v3, 0xff0000, v6
	v_and_b32_e32 v4, 0xff000000, v6
	;; [unrolled: 1-line block ×3, first 2 shown]
	v_or_b32_sdwa v3, v6, v3 dst_sel:DWORD dst_unused:UNUSED_PAD src0_sel:WORD_0 src1_sel:DWORD
	v_or3_b32 v7, 0, 0, v7
	v_or3_b32 v6, v3, v4, 0
	v_cmp_eq_u16_sdwa s[64:65], v8, v5 src0_sel:BYTE_0 src1_sel:DWORD
	s_and_saveexec_b64 s[54:55], s[64:65]
	s_cbranch_execz .LBB1664_157
; %bb.152:
	s_mov_b32 s66, 1
	s_mov_b64 s[64:65], 0
	v_mov_b32_e32 v3, 0
.LBB1664_153:                           ; =>This Loop Header: Depth=1
                                        ;     Child Loop BB1664_154 Depth 2
	s_max_u32 s67, s66, 1
.LBB1664_154:                           ;   Parent Loop BB1664_153 Depth=1
                                        ; =>  This Inner Loop Header: Depth=2
	s_add_i32 s67, s67, -1
	s_cmp_eq_u32 s67, 0
	s_sleep 1
	s_cbranch_scc0 .LBB1664_154
; %bb.155:                              ;   in Loop: Header=BB1664_153 Depth=1
	s_cmp_lt_u32 s66, 32
	s_cselect_b64 s[76:77], -1, 0
	s_cmp_lg_u64 s[76:77], 0
	s_addc_u32 s66, s66, 0
	;;#ASMSTART
	global_load_dwordx4 v[6:9], v[60:61] off sc1	
s_waitcnt vmcnt(0)
	;;#ASMEND
	s_nop 0
	v_cmp_ne_u16_sdwa s[76:77], v8, v3 src0_sel:BYTE_0 src1_sel:DWORD
	s_or_b64 s[64:65], s[76:77], s[64:65]
	s_andn2_b64 exec, exec, s[64:65]
	s_cbranch_execnz .LBB1664_153
; %bb.156:
	s_or_b64 exec, exec, s[64:65]
	v_and_b32_e32 v7, 0xff, v7
.LBB1664_157:
	s_or_b64 exec, exec, s[54:55]
	v_mov_b32_e32 v3, 2
	v_cmp_eq_u16_sdwa s[54:55], v8, v3 src0_sel:BYTE_0 src1_sel:DWORD
	v_lshlrev_b64 v[4:5], v73, -1
	v_and_b32_e32 v64, 63, v73
	v_and_b32_e32 v9, s55, v5
	v_or_b32_e32 v9, 0x80000000, v9
	v_and_b32_e32 v59, s54, v4
	v_ffbl_b32_e32 v9, v9
	v_add_u32_e32 v9, 32, v9
	v_ffbl_b32_e32 v59, v59
	v_cmp_ne_u32_e32 vcc, 63, v64
	v_min_u32_e32 v9, v59, v9
	s_mov_b32 s64, 0
	v_addc_co_u32_e32 v59, vcc, 0, v73, vcc
	v_lshlrev_b32_e32 v65, 2, v59
	ds_bpermute_b32 v59, v65, v7
	ds_bpermute_b32 v60, v65, v6
	v_and_b32_e32 v61, 1, v7
	s_mov_b32 s65, 1
	v_cmp_eq_u32_e32 vcc, 1, v61
	s_waitcnt lgkmcnt(1)
	v_and_b32_e32 v59, 1, v59
	v_cmp_lt_u32_e64 s[54:55], v64, v9
	v_cndmask_b32_e64 v59, v59, 1, vcc
	v_cmp_gt_u64_e32 vcc, s[64:65], v[6:7]
	s_and_b64 vcc, s[54:55], vcc
	v_and_b32_e32 v61, 0xffff, v59
	v_cndmask_b32_e64 v68, v7, v59, s[54:55]
	s_waitcnt lgkmcnt(0)
	v_cndmask_b32_e32 v59, 0, v60, vcc
	v_cmp_gt_u32_e32 vcc, 62, v64
	v_cndmask_b32_e64 v7, v7, v61, s[54:55]
	v_add_u32_e32 v6, v59, v6
	v_cndmask_b32_e64 v60, 0, 1, vcc
	v_lshlrev_b32_e32 v60, 1, v60
	v_add_lshl_u32 v66, v60, v73, 2
	ds_bpermute_b32 v60, v66, v7
	ds_bpermute_b32 v61, v66, v6
	v_and_b32_e32 v59, 1, v68
	v_cmp_eq_u32_e32 vcc, 1, v59
	v_mov_b32_e32 v59, 0
	s_waitcnt lgkmcnt(1)
	v_and_b32_e32 v60, 1, v60
	v_add_u32_e32 v67, 2, v64
	v_cndmask_b32_e64 v60, v60, 1, vcc
	v_cmp_eq_u16_sdwa vcc, v68, v59 src0_sel:BYTE_0 src1_sel:DWORD
	v_and_b32_e32 v69, 0xffff, v60
	v_add_u32_e32 v77, 32, v64
	s_waitcnt lgkmcnt(0)
	v_cndmask_b32_e32 v61, 0, v61, vcc
	v_cmp_gt_u32_e32 vcc, v67, v9
	s_nop 1
	v_cndmask_b32_e32 v60, v60, v68, vcc
	v_cndmask_b32_e64 v61, v61, 0, vcc
	v_cndmask_b32_e32 v7, v69, v7, vcc
	v_cmp_gt_u32_e32 vcc, 60, v64
	v_add_u32_e32 v6, v61, v6
	v_and_b32_e32 v71, 1, v60
	v_cndmask_b32_e64 v68, 0, 1, vcc
	v_lshlrev_b32_e32 v68, 2, v68
	v_add_lshl_u32 v68, v68, v73, 2
	ds_bpermute_b32 v70, v68, v7
	ds_bpermute_b32 v61, v68, v6
	v_cmp_eq_u32_e32 vcc, 1, v71
	v_add_u32_e32 v69, 4, v64
	s_waitcnt lgkmcnt(1)
	v_and_b32_e32 v70, 1, v70
	v_cndmask_b32_e64 v70, v70, 1, vcc
	v_cmp_eq_u16_sdwa vcc, v60, v59 src0_sel:BYTE_0 src1_sel:DWORD
	v_and_b32_e32 v71, 0xffff, v70
	s_waitcnt lgkmcnt(0)
	v_cndmask_b32_e32 v61, 0, v61, vcc
	v_cmp_gt_u32_e32 vcc, v69, v9
	s_nop 1
	v_cndmask_b32_e32 v60, v70, v60, vcc
	v_cndmask_b32_e64 v61, v61, 0, vcc
	v_cndmask_b32_e32 v7, v71, v7, vcc
	v_cmp_gt_u32_e32 vcc, 56, v64
	v_add_u32_e32 v6, v61, v6
	v_and_b32_e32 v74, 1, v60
	v_cndmask_b32_e64 v70, 0, 1, vcc
	v_lshlrev_b32_e32 v70, 3, v70
	v_add_lshl_u32 v70, v70, v73, 2
	ds_bpermute_b32 v72, v70, v7
	ds_bpermute_b32 v61, v70, v6
	v_cmp_eq_u32_e32 vcc, 1, v74
	v_add_u32_e32 v71, 8, v64
	s_waitcnt lgkmcnt(1)
	v_and_b32_e32 v72, 1, v72
	v_cndmask_b32_e64 v72, v72, 1, vcc
	v_cmp_eq_u16_sdwa vcc, v60, v59 src0_sel:BYTE_0 src1_sel:DWORD
	v_and_b32_e32 v74, 0xffff, v72
	;; [unrolled: 22-line block ×3, first 2 shown]
	s_waitcnt lgkmcnt(0)
	v_cndmask_b32_e32 v61, 0, v61, vcc
	v_cmp_gt_u32_e32 vcc, v74, v9
	s_nop 1
	v_cndmask_b32_e32 v60, v75, v60, vcc
	v_cndmask_b32_e64 v61, v61, 0, vcc
	v_cndmask_b32_e32 v7, v76, v7, vcc
	v_cmp_gt_u32_e32 vcc, 32, v64
	v_add_u32_e32 v6, v61, v6
	s_nop 0
	v_cndmask_b32_e64 v75, 0, 1, vcc
	v_lshlrev_b32_e32 v75, 5, v75
	v_add_lshl_u32 v76, v75, v73, 2
	ds_bpermute_b32 v7, v76, v7
	ds_bpermute_b32 v61, v76, v6
	v_and_b32_e32 v73, 1, v60
	v_cmp_eq_u32_e32 vcc, 1, v73
	s_waitcnt lgkmcnt(1)
	v_and_b32_e32 v7, 1, v7
	v_cndmask_b32_e64 v7, v7, 1, vcc
	v_cmp_eq_u16_sdwa vcc, v60, v59 src0_sel:BYTE_0 src1_sel:DWORD
	s_waitcnt lgkmcnt(0)
	s_nop 0
	v_cndmask_b32_e32 v61, 0, v61, vcc
	v_cmp_gt_u32_e32 vcc, v77, v9
	s_nop 1
	v_cndmask_b32_e64 v9, v61, 0, vcc
	v_cndmask_b32_e32 v7, v7, v60, vcc
	v_add_u32_e32 v6, v9, v6
	s_branch .LBB1664_159
.LBB1664_158:                           ;   in Loop: Header=BB1664_159 Depth=1
	s_or_b64 exec, exec, s[54:55]
	v_cmp_eq_u16_sdwa s[54:55], v8, v3 src0_sel:BYTE_0 src1_sel:DWORD
	ds_bpermute_b32 v61, v65, v7
	v_and_b32_e32 v78, 1, v7
	v_and_b32_e32 v9, s55, v5
	v_or_b32_e32 v9, 0x80000000, v9
	v_and_b32_e32 v60, s54, v4
	v_ffbl_b32_e32 v9, v9
	v_add_u32_e32 v9, 32, v9
	v_ffbl_b32_e32 v60, v60
	v_min_u32_e32 v9, v60, v9
	ds_bpermute_b32 v60, v65, v6
	s_waitcnt lgkmcnt(1)
	v_and_b32_e32 v61, 1, v61
	v_cmp_eq_u32_e32 vcc, 1, v78
	v_cmp_lt_u32_e64 s[54:55], v64, v9
	v_subrev_u32_e32 v58, 64, v58
	v_cndmask_b32_e64 v61, v61, 1, vcc
	v_cmp_gt_u64_e32 vcc, s[64:65], v[6:7]
	v_and_b32_e32 v78, 0xffff, v61
	v_cndmask_b32_e64 v61, v7, v61, s[54:55]
	v_cndmask_b32_e64 v7, v7, v78, s[54:55]
	s_and_b64 vcc, s[54:55], vcc
	ds_bpermute_b32 v78, v66, v7
	s_waitcnt lgkmcnt(1)
	v_cndmask_b32_e32 v60, 0, v60, vcc
	v_add_u32_e32 v6, v60, v6
	ds_bpermute_b32 v60, v66, v6
	v_and_b32_e32 v79, 1, v61
	s_waitcnt lgkmcnt(1)
	v_and_b32_e32 v78, 1, v78
	v_cmp_eq_u32_e32 vcc, 1, v79
	s_nop 1
	v_cndmask_b32_e64 v78, v78, 1, vcc
	v_cmp_eq_u16_sdwa vcc, v61, v59 src0_sel:BYTE_0 src1_sel:DWORD
	v_and_b32_e32 v79, 0xffff, v78
	s_waitcnt lgkmcnt(0)
	v_cndmask_b32_e32 v60, 0, v60, vcc
	v_cmp_gt_u32_e32 vcc, v67, v9
	s_nop 1
	v_cndmask_b32_e32 v7, v79, v7, vcc
	v_cndmask_b32_e32 v61, v78, v61, vcc
	ds_bpermute_b32 v78, v68, v7
	v_cndmask_b32_e64 v60, v60, 0, vcc
	v_add_u32_e32 v6, v60, v6
	ds_bpermute_b32 v60, v68, v6
	v_and_b32_e32 v79, 1, v61
	s_waitcnt lgkmcnt(1)
	v_and_b32_e32 v78, 1, v78
	v_cmp_eq_u32_e32 vcc, 1, v79
	s_nop 1
	v_cndmask_b32_e64 v78, v78, 1, vcc
	v_cmp_eq_u16_sdwa vcc, v61, v59 src0_sel:BYTE_0 src1_sel:DWORD
	v_and_b32_e32 v79, 0xffff, v78
	s_waitcnt lgkmcnt(0)
	v_cndmask_b32_e32 v60, 0, v60, vcc
	v_cmp_gt_u32_e32 vcc, v69, v9
	s_nop 1
	v_cndmask_b32_e32 v7, v79, v7, vcc
	v_cndmask_b32_e32 v61, v78, v61, vcc
	ds_bpermute_b32 v78, v70, v7
	v_cndmask_b32_e64 v60, v60, 0, vcc
	;; [unrolled: 18-line block ×3, first 2 shown]
	v_add_u32_e32 v6, v60, v6
	ds_bpermute_b32 v60, v72, v6
	v_and_b32_e32 v79, 1, v61
	s_waitcnt lgkmcnt(1)
	v_and_b32_e32 v78, 1, v78
	v_cmp_eq_u32_e32 vcc, 1, v79
	s_nop 1
	v_cndmask_b32_e64 v78, v78, 1, vcc
	v_cmp_eq_u16_sdwa vcc, v61, v59 src0_sel:BYTE_0 src1_sel:DWORD
	v_and_b32_e32 v79, 0xffff, v78
	s_waitcnt lgkmcnt(0)
	v_cndmask_b32_e32 v60, 0, v60, vcc
	v_cmp_gt_u32_e32 vcc, v74, v9
	s_nop 1
	v_cndmask_b32_e64 v60, v60, 0, vcc
	v_cndmask_b32_e32 v7, v79, v7, vcc
	ds_bpermute_b32 v7, v76, v7
	v_add_u32_e32 v6, v60, v6
	ds_bpermute_b32 v60, v76, v6
	v_cndmask_b32_e32 v61, v78, v61, vcc
	v_and_b32_e32 v78, 1, v61
	v_cmp_eq_u32_e32 vcc, 1, v78
	s_waitcnt lgkmcnt(1)
	s_nop 0
	v_cndmask_b32_e64 v7, v7, 1, vcc
	v_cmp_eq_u16_sdwa vcc, v61, v59 src0_sel:BYTE_0 src1_sel:DWORD
	s_waitcnt lgkmcnt(0)
	s_nop 0
	v_cndmask_b32_e32 v60, 0, v60, vcc
	v_cmp_gt_u32_e32 vcc, v77, v9
	s_nop 1
	v_cndmask_b32_e64 v9, v60, 0, vcc
	v_cndmask_b32_e32 v7, v7, v61, vcc
	v_add_u32_e32 v6, v9, v6
	v_cmp_eq_u16_sdwa vcc, v73, v59 src0_sel:BYTE_0 src1_sel:DWORD
	v_and_b32_e32 v9, 1, v73
	v_and_b32_e32 v7, 1, v7
	v_cndmask_b32_e32 v6, 0, v6, vcc
	v_cmp_eq_u32_e32 vcc, 1, v9
	v_add_u32_e32 v6, v6, v75
	s_nop 0
	v_cndmask_b32_e64 v7, v7, 1, vcc
.LBB1664_159:                           ; =>This Loop Header: Depth=1
                                        ;     Child Loop BB1664_162 Depth 2
                                        ;       Child Loop BB1664_163 Depth 3
	v_cmp_ne_u16_sdwa s[54:55], v8, v3 src0_sel:BYTE_0 src1_sel:DWORD
	v_mov_b32_e32 v73, v7
	v_mov_b32_e32 v75, v6
	v_cndmask_b32_e64 v7, 0, 1, s[54:55]
	;;#ASMSTART
	;;#ASMEND
	s_nop 0
	v_cmp_ne_u32_e32 vcc, 0, v7
	s_cmp_lg_u64 vcc, exec
	s_cbranch_scc1 .LBB1664_166
; %bb.160:                              ;   in Loop: Header=BB1664_159 Depth=1
	v_lshl_add_u64 v[60:61], v[58:59], 4, s[68:69]
	;;#ASMSTART
	global_load_dwordx4 v[6:9], v[60:61] off sc1	
s_waitcnt vmcnt(0)
	;;#ASMEND
	s_nop 0
	v_and_b32_e32 v9, 0xff0000, v6
	v_and_b32_e32 v78, 0xff000000, v6
	;; [unrolled: 1-line block ×3, first 2 shown]
	v_or_b32_sdwa v6, v6, v9 dst_sel:DWORD dst_unused:UNUSED_PAD src0_sel:WORD_0 src1_sel:DWORD
	v_or3_b32 v7, 0, 0, v7
	v_or3_b32 v6, v6, v78, 0
	v_cmp_eq_u16_sdwa s[66:67], v8, v59 src0_sel:BYTE_0 src1_sel:DWORD
	s_and_saveexec_b64 s[54:55], s[66:67]
	s_cbranch_execz .LBB1664_158
; %bb.161:                              ;   in Loop: Header=BB1664_159 Depth=1
	s_mov_b32 s71, 1
	s_mov_b64 s[66:67], 0
.LBB1664_162:                           ;   Parent Loop BB1664_159 Depth=1
                                        ; =>  This Loop Header: Depth=2
                                        ;       Child Loop BB1664_163 Depth 3
	s_max_u32 s76, s71, 1
.LBB1664_163:                           ;   Parent Loop BB1664_159 Depth=1
                                        ;     Parent Loop BB1664_162 Depth=2
                                        ; =>    This Inner Loop Header: Depth=3
	s_add_i32 s76, s76, -1
	s_cmp_eq_u32 s76, 0
	s_sleep 1
	s_cbranch_scc0 .LBB1664_163
; %bb.164:                              ;   in Loop: Header=BB1664_162 Depth=2
	s_cmp_lt_u32 s71, 32
	s_cselect_b64 s[76:77], -1, 0
	s_cmp_lg_u64 s[76:77], 0
	s_addc_u32 s71, s71, 0
	;;#ASMSTART
	global_load_dwordx4 v[6:9], v[60:61] off sc1	
s_waitcnt vmcnt(0)
	;;#ASMEND
	s_nop 0
	v_cmp_ne_u16_sdwa s[76:77], v8, v59 src0_sel:BYTE_0 src1_sel:DWORD
	s_or_b64 s[66:67], s[76:77], s[66:67]
	s_andn2_b64 exec, exec, s[66:67]
	s_cbranch_execnz .LBB1664_162
; %bb.165:                              ;   in Loop: Header=BB1664_159 Depth=1
	s_or_b64 exec, exec, s[66:67]
	v_and_b32_e32 v7, 0xff, v7
	s_branch .LBB1664_158
.LBB1664_166:                           ;   in Loop: Header=BB1664_159 Depth=1
                                        ; implicit-def: $vgpr7
                                        ; implicit-def: $vgpr6
                                        ; implicit-def: $vgpr8
	s_cbranch_execz .LBB1664_159
; %bb.167:
	s_and_saveexec_b64 s[54:55], s[50:51]
	s_cbranch_execz .LBB1664_169
; %bb.168:
	s_and_b32 s50, s3, 0xff
	s_cmp_eq_u32 s50, 0
	s_cselect_b64 vcc, -1, 0
	s_bitcmp1_b32 s3, 0
	s_mov_b32 s51, 0
	s_cselect_b64 s[64:65], -1, 0
	s_add_i32 s50, s2, 64
	s_lshl_b64 s[2:3], s[50:51], 4
	v_cndmask_b32_e32 v3, 0, v75, vcc
	s_add_u32 s2, s68, s2
	v_add_u32_e32 v2, v3, v2
	v_and_b32_e32 v3, 1, v73
	s_addc_u32 s3, s69, s3
	v_mov_b32_e32 v5, 0
	v_cndmask_b32_e64 v3, v3, 1, s[64:65]
	v_mov_b32_e32 v4, 2
	v_mov_b64_e32 v[6:7], s[2:3]
	;;#ASMSTART
	global_store_dwordx4 v[6:7], v[2:5] off sc1	
s_waitcnt vmcnt(0)
	;;#ASMEND
.LBB1664_169:
	s_or_b64 exec, exec, s[54:55]
	s_and_b64 exec, exec, s[48:49]
	s_cbranch_execz .LBB1664_171
; %bb.170:
	v_mov_b32_e32 v2, 0
	ds_write_b32 v2, v75
	ds_write_b8 v2, v73 offset:4
.LBB1664_171:
	s_or_b64 exec, exec, s[60:61]
	s_mov_b32 s2, 0
	v_mov_b32_e32 v2, 0
	s_mov_b32 s3, 1
	s_waitcnt lgkmcnt(0)
	s_barrier
	ds_read_b32 v3, v2
	v_cmp_gt_u64_e32 vcc, s[2:3], v[10:11]
	v_and_b32_e32 v5, 1, v11
	v_and_b32_e32 v6, 1, v63
	v_cndmask_b32_e32 v4, 0, v62, vcc
	v_cmp_eq_u32_e32 vcc, 1, v5
	v_cndmask_b32_e64 v4, v4, 0, s[48:49]
	s_nop 0
	v_cndmask_b32_e64 v5, v6, 1, vcc
	v_cndmask_b32_e64 v5, v5, v11, s[48:49]
	v_cmp_eq_u16_sdwa vcc, v5, v2 src0_sel:BYTE_0 src1_sel:DWORD
	s_waitcnt lgkmcnt(0)
	s_nop 0
	v_cndmask_b32_e32 v2, 0, v3, vcc
	v_add3_u32 v80, v4, v10, v2
	v_cndmask_b32_e64 v2, 0, v80, s[52:53]
	v_add_u32_e32 v58, v2, v12
	v_cndmask_b32_e64 v2, 0, v58, s[4:5]
	v_add_u32_e32 v59, v2, v14
	v_cndmask_b32_e64 v2, 0, v59, s[6:7]
	v_add_u32_e32 v60, v2, v16
	v_cndmask_b32_e64 v2, 0, v60, s[8:9]
	v_add_u32_e32 v61, v2, v18
	v_cndmask_b32_e64 v2, 0, v61, s[10:11]
	v_add_u32_e32 v62, v2, v20
	v_cndmask_b32_e64 v2, 0, v62, s[12:13]
	v_add_u32_e32 v63, v2, v22
	v_cndmask_b32_e64 v2, 0, v63, s[14:15]
	v_add_u32_e32 v64, v2, v24
	v_cndmask_b32_e64 v2, 0, v64, s[16:17]
	v_add_u32_e32 v65, v2, v26
	v_cndmask_b32_e64 v2, 0, v65, s[18:19]
	v_add_u32_e32 v66, v2, v28
	v_cndmask_b32_e64 v2, 0, v66, s[20:21]
	v_add_u32_e32 v67, v2, v30
	v_cndmask_b32_e64 v2, 0, v67, s[22:23]
	v_add_u32_e32 v68, v2, v32
	v_cndmask_b32_e64 v2, 0, v68, s[24:25]
	v_add_u32_e32 v69, v2, v34
	v_cndmask_b32_e64 v2, 0, v69, s[26:27]
	v_add_u32_e32 v70, v2, v36
	v_cndmask_b32_e64 v2, 0, v70, s[28:29]
	v_add_u32_e32 v71, v2, v38
	v_cndmask_b32_e64 v2, 0, v71, s[30:31]
	v_add_u32_e32 v72, v2, v40
	v_cndmask_b32_e64 v2, 0, v72, s[34:35]
	v_add_u32_e32 v73, v2, v42
	v_cndmask_b32_e64 v2, 0, v73, s[36:37]
	v_add_u32_e32 v74, v2, v44
	v_cndmask_b32_e64 v2, 0, v74, s[38:39]
	v_add_u32_e32 v75, v2, v46
	v_cndmask_b32_e64 v2, 0, v75, s[40:41]
	v_add_u32_e32 v76, v2, v48
	v_cndmask_b32_e64 v2, 0, v76, s[42:43]
	v_add_u32_e32 v77, v2, v50
	v_cndmask_b32_e64 v2, 0, v77, s[44:45]
	v_add_u32_e32 v78, v2, v52
	v_cndmask_b32_e64 v2, 0, v78, s[46:47]
	v_add_u32_e32 v79, v2, v56
	s_branch .LBB1664_192
.LBB1664_172:
                                        ; implicit-def: $vgpr78
                                        ; implicit-def: $vgpr77
                                        ; implicit-def: $vgpr76
                                        ; implicit-def: $vgpr75
                                        ; implicit-def: $vgpr74
                                        ; implicit-def: $vgpr73
                                        ; implicit-def: $vgpr72
                                        ; implicit-def: $vgpr71
                                        ; implicit-def: $vgpr70
                                        ; implicit-def: $vgpr69
                                        ; implicit-def: $vgpr68
                                        ; implicit-def: $vgpr67
                                        ; implicit-def: $vgpr66
                                        ; implicit-def: $vgpr65
                                        ; implicit-def: $vgpr64
                                        ; implicit-def: $vgpr63
                                        ; implicit-def: $vgpr62
                                        ; implicit-def: $vgpr61
                                        ; implicit-def: $vgpr60
                                        ; implicit-def: $vgpr59
                                        ; implicit-def: $vgpr58
                                        ; implicit-def: $vgpr80
                                        ; implicit-def: $vgpr79
	s_cbranch_execz .LBB1664_192
; %bb.173:
	s_cmp_lg_u64 s[74:75], 0
	s_cselect_b32 s5, s63, 0
	s_cselect_b32 s4, s62, 0
	s_cmp_lg_u64 s[4:5], 0
	s_cselect_b64 s[6:7], -1, 0
	v_cmp_eq_u32_e32 vcc, 0, v0
	s_mov_b32 s48, 0
	v_cmp_ne_u32_e64 s[2:3], 0, v0
	s_and_b64 s[8:9], vcc, s[6:7]
	s_and_saveexec_b64 s[6:7], s[8:9]
	s_cbranch_execz .LBB1664_175
; %bb.174:
	v_mov_b32_e32 v2, 0
	global_load_dword v4, v2, s[4:5]
	global_load_ubyte v5, v2, s[4:5] offset:4
	s_mov_b32 s49, 1
	v_and_b32_e32 v3, 1, v11
	v_cmp_gt_u64_e64 s[4:5], s[48:49], v[10:11]
	s_waitcnt vmcnt(0)
	v_and_b32_e32 v5, 1, v5
	v_cndmask_b32_e64 v4, 0, v4, s[4:5]
	v_cmp_eq_u64_e64 s[4:5], 0, v[2:3]
	v_add_u32_e32 v10, v4, v10
	s_nop 0
	v_cndmask_b32_e64 v11, 1, v5, s[4:5]
.LBB1664_175:
	s_or_b64 exec, exec, s[6:7]
	s_mov_b32 s49, 1
	v_cmp_gt_u64_e64 s[4:5], s[48:49], v[12:13]
	v_cmp_gt_u64_e64 s[6:7], s[48:49], v[14:15]
	v_cmp_gt_u64_e64 s[8:9], s[48:49], v[16:17]
	v_cndmask_b32_e64 v2, 0, v10, s[4:5]
	v_add_u32_e32 v58, v2, v12
	v_cndmask_b32_e64 v2, 0, v58, s[6:7]
	v_add_u32_e32 v59, v2, v14
	v_cndmask_b32_e64 v2, 0, v59, s[8:9]
	v_add_u32_e32 v60, v2, v16
	v_cmp_gt_u64_e64 s[10:11], s[48:49], v[18:19]
	v_cmp_gt_u64_e64 s[12:13], s[48:49], v[20:21]
	v_cmp_gt_u64_e64 s[14:15], s[48:49], v[22:23]
	v_cndmask_b32_e64 v2, 0, v60, s[10:11]
	v_add_u32_e32 v61, v2, v18
	v_cndmask_b32_e64 v2, 0, v61, s[12:13]
	v_add_u32_e32 v62, v2, v20
	v_cndmask_b32_e64 v2, 0, v62, s[14:15]
	v_add_u32_e32 v63, v2, v22
	;; [unrolled: 9-line block ×7, first 2 shown]
	v_cmp_gt_u64_e64 s[48:49], s[48:49], v[56:57]
	v_add_lshl_u32 v1, v1, v0, 3
	s_nop 0
	v_cndmask_b32_e64 v2, 0, v78, s[48:49]
	v_add_u32_e32 v79, v2, v56
	v_or3_b32 v2, v55, v51, v49
	v_or3_b32 v2, v2, v47, v45
	;; [unrolled: 1-line block ×10, first 2 shown]
	v_and_b32_e32 v2, 1, v2
	v_cmp_eq_u32_e64 s[50:51], 1, v2
	s_nop 1
	v_cndmask_b32_e64 v4, v11, 1, s[50:51]
	v_cmp_gt_u32_e64 s[50:51], 64, v0
	ds_write_b32 v1, v79
	ds_write_b8 v1, v4 offset:4
	s_waitcnt lgkmcnt(0)
	s_barrier
	s_and_saveexec_b64 s[52:53], s[50:51]
	s_cbranch_execz .LBB1664_187
; %bb.176:
	v_lshrrev_b32_e32 v1, 3, v0
	v_add_lshl_u32 v1, v1, v54, 3
	ds_read2_b32 v[6:7], v1 offset0:2 offset1:4
	ds_read_b64 v[2:3], v1
	ds_read_u8 v8, v1 offset:12
	ds_read_u8 v9, v1 offset:20
	ds_read_b32 v13, v1 offset:24
	ds_read_u8 v15, v1 offset:28
	v_mov_b32_e32 v17, 0
	s_waitcnt lgkmcnt(3)
	v_cmp_eq_u16_sdwa s[50:51], v8, v17 src0_sel:BYTE_0 src1_sel:DWORD
	v_and_b32_e32 v5, 1, v3
	s_nop 0
	v_cndmask_b32_e64 v19, 0, v2, s[50:51]
	v_add_u32_e32 v6, v19, v6
	s_waitcnt lgkmcnt(2)
	v_cmp_eq_u16_sdwa s[50:51], v9, v17 src0_sel:BYTE_0 src1_sel:DWORD
	s_nop 1
	v_cndmask_b32_e64 v6, 0, v6, s[50:51]
	v_add_u32_e32 v6, v6, v7
	s_waitcnt lgkmcnt(0)
	v_cmp_eq_u16_e64 s[50:51], 0, v15
	s_nop 1
	v_cndmask_b32_e64 v6, 0, v6, s[50:51]
	v_add_u32_e32 v7, v6, v13
	v_or_b32_e32 v6, v15, v9
	v_or_b32_e32 v6, v6, v8
	v_and_b32_e32 v6, 1, v6
	v_cmp_eq_u32_e64 s[50:51], 1, v6
	v_mbcnt_lo_u32_b32 v8, -1, 0
	v_and_b32_e32 v6, 0xffffff00, v3
	v_cndmask_b32_e64 v9, v5, 1, s[50:51]
	v_mbcnt_hi_u32_b32 v8, -1, v8
	v_and_b32_e32 v15, 15, v8
	v_or_b32_sdwa v13, v6, v9 dst_sel:DWORD dst_unused:UNUSED_PAD src0_sel:DWORD src1_sel:WORD_0
	v_mov_b32_dpp v17, v7 row_shr:1 row_mask:0xf bank_mask:0xf
	v_cmp_ne_u32_e64 s[50:51], 0, v15
	v_mov_b32_dpp v19, v13 row_shr:1 row_mask:0xf bank_mask:0xf
	s_and_saveexec_b64 s[54:55], s[50:51]
; %bb.177:
	v_and_b32_e32 v13, 1, v9
	v_and_b32_e32 v19, 1, v19
	v_cmp_eq_u32_e64 s[50:51], 1, v13
	s_nop 1
	v_cndmask_b32_e64 v19, v19, 1, s[50:51]
	v_cmp_eq_u16_e64 s[50:51], 0, v9
	v_or_b32_sdwa v13, v6, v19 dst_sel:DWORD dst_unused:UNUSED_PAD src0_sel:DWORD src1_sel:WORD_0
	s_nop 0
	v_cndmask_b32_e64 v9, 0, v17, s[50:51]
	v_add_u32_e32 v7, v9, v7
	v_mov_b32_e32 v9, v19
; %bb.178:
	s_or_b64 exec, exec, s[54:55]
	v_mov_b32_dpp v17, v7 row_shr:2 row_mask:0xf bank_mask:0xf
	v_mov_b32_dpp v19, v13 row_shr:2 row_mask:0xf bank_mask:0xf
	v_cmp_lt_u32_e64 s[50:51], 1, v15
	s_and_saveexec_b64 s[54:55], s[50:51]
; %bb.179:
	v_and_b32_e32 v13, 1, v9
	v_and_b32_e32 v19, 1, v19
	v_cmp_eq_u32_e64 s[50:51], 1, v13
	s_nop 1
	v_cndmask_b32_e64 v19, v19, 1, s[50:51]
	v_cmp_eq_u16_e64 s[50:51], 0, v9
	v_or_b32_sdwa v13, v6, v19 dst_sel:DWORD dst_unused:UNUSED_PAD src0_sel:DWORD src1_sel:WORD_0
	s_nop 0
	v_cndmask_b32_e64 v9, 0, v17, s[50:51]
	v_add_u32_e32 v7, v9, v7
	v_mov_b32_e32 v9, v19
; %bb.180:
	s_or_b64 exec, exec, s[54:55]
	v_mov_b32_dpp v17, v7 row_shr:4 row_mask:0xf bank_mask:0xf
	v_mov_b32_dpp v19, v13 row_shr:4 row_mask:0xf bank_mask:0xf
	v_cmp_lt_u32_e64 s[50:51], 3, v15
	;; [unrolled: 18-line block ×3, first 2 shown]
	s_and_saveexec_b64 s[54:55], s[50:51]
; %bb.183:
	v_and_b32_e32 v13, 1, v9
	v_and_b32_e32 v15, 1, v19
	v_cmp_eq_u32_e64 s[50:51], 1, v13
	s_nop 1
	v_cndmask_b32_e64 v15, v15, 1, s[50:51]
	v_cmp_eq_u16_e64 s[50:51], 0, v9
	v_or_b32_sdwa v13, v6, v15 dst_sel:DWORD dst_unused:UNUSED_PAD src0_sel:DWORD src1_sel:WORD_0
	s_nop 0
	v_cndmask_b32_e64 v9, 0, v17, s[50:51]
	v_add_u32_e32 v7, v9, v7
	v_mov_b32_e32 v9, v15
; %bb.184:
	s_or_b64 exec, exec, s[54:55]
	v_and_b32_e32 v19, 16, v8
	v_mov_b32_dpp v15, v7 row_bcast:15 row_mask:0xf bank_mask:0xf
	v_mov_b32_dpp v17, v13 row_bcast:15 row_mask:0xf bank_mask:0xf
	v_cmp_ne_u32_e64 s[50:51], 0, v19
	s_and_saveexec_b64 s[54:55], s[50:51]
; %bb.185:
	v_and_b32_e32 v13, 1, v9
	v_and_b32_e32 v17, 1, v17
	v_cmp_eq_u32_e64 s[50:51], 1, v13
	s_nop 1
	v_cndmask_b32_e64 v17, v17, 1, s[50:51]
	v_cmp_eq_u16_e64 s[50:51], 0, v9
	v_or_b32_sdwa v13, v6, v17 dst_sel:DWORD dst_unused:UNUSED_PAD src0_sel:DWORD src1_sel:WORD_0
	s_nop 0
	v_cndmask_b32_e64 v9, 0, v15, s[50:51]
	v_add_u32_e32 v7, v9, v7
	v_mov_b32_e32 v9, v17
; %bb.186:
	s_or_b64 exec, exec, s[54:55]
	v_mov_b32_dpp v13, v13 row_bcast:31 row_mask:0xf bank_mask:0xf
	v_and_b32_e32 v17, 1, v9
	v_and_b32_e32 v13, 1, v13
	v_cmp_eq_u32_e64 s[50:51], 1, v17
	v_mov_b32_e32 v17, 0
	v_cmp_eq_u16_sdwa s[54:55], v9, v17 src0_sel:BYTE_0 src1_sel:DWORD
	v_cndmask_b32_e64 v13, v13, 1, s[50:51]
	v_cmp_lt_u32_e64 s[50:51], 31, v8
	v_mov_b32_dpp v15, v7 row_bcast:31 row_mask:0xf bank_mask:0xf
	s_movk_i32 s60, 0xff
	v_cndmask_b32_e64 v9, v9, v13, s[50:51]
	s_and_b64 s[50:51], s[50:51], s[54:55]
	v_cndmask_b32_e64 v13, 0, v15, s[50:51]
	v_add_u32_e32 v7, v13, v7
	v_add_u32_e32 v13, -1, v8
	v_and_b32_e32 v15, 64, v8
	v_cmp_lt_i32_e64 s[50:51], v13, v15
	v_and_or_b32 v6, v9, s60, v6
	s_nop 0
	v_cndmask_b32_e64 v8, v13, v8, s[50:51]
	v_lshlrev_b32_e32 v8, 2, v8
	ds_bpermute_b32 v7, v8, v7
	ds_bpermute_b32 v6, v8, v6
	v_cmp_eq_u16_sdwa s[50:51], v3, v17 src0_sel:BYTE_0 src1_sel:DWORD
	; wave barrier
	s_waitcnt lgkmcnt(1)
	s_nop 0
	v_cndmask_b32_e64 v3, 0, v7, s[50:51]
	v_add_u32_e32 v2, v3, v2
	s_waitcnt lgkmcnt(0)
	v_and_b32_e32 v3, 1, v6
	v_cmp_eq_u32_e64 s[50:51], 1, v5
	v_cndmask_b32_e32 v5, v2, v79, vcc
	s_nop 0
	v_cndmask_b32_e64 v3, v3, 1, s[50:51]
	v_cndmask_b32_e32 v4, v3, v4, vcc
	ds_write_b32 v1, v5
	ds_write_b8 v1, v4 offset:4
	; wave barrier
	ds_read_u8 v6, v1 offset:12
	ds_read2_b32 v[2:3], v1 offset0:2 offset1:4
	ds_read_u8 v7, v1 offset:20
	ds_read_b32 v8, v1 offset:24
	ds_read_u8 v9, v1 offset:28
	s_waitcnt lgkmcnt(4)
	v_cmp_eq_u16_e64 s[50:51], 0, v6
	s_nop 1
	v_cndmask_b32_e64 v5, 0, v5, s[50:51]
	s_waitcnt lgkmcnt(3)
	v_add_u32_e32 v2, v5, v2
	v_and_b32_e32 v5, 1, v6
	v_cmp_eq_u32_e64 s[50:51], 1, v5
	s_nop 1
	v_cndmask_b32_e64 v4, v4, 1, s[50:51]
	s_waitcnt lgkmcnt(2)
	v_cmp_eq_u16_e64 s[50:51], 0, v7
	ds_write_b8 v1, v4 offset:12
	s_nop 0
	v_cndmask_b32_e64 v5, 0, v2, s[50:51]
	v_add_u32_e32 v3, v5, v3
	v_and_b32_e32 v5, 1, v7
	v_cmp_eq_u32_e64 s[50:51], 1, v5
	s_nop 1
	v_cndmask_b32_e64 v4, v4, 1, s[50:51]
	s_waitcnt lgkmcnt(1)
	v_cmp_eq_u16_e64 s[50:51], 0, v9
	ds_write2_b32 v1, v2, v3 offset0:2 offset1:4
	ds_write_b8 v1, v4 offset:20
	v_cndmask_b32_e64 v2, 0, v3, s[50:51]
	v_and_b32_e32 v3, 1, v9
	v_add_u32_e32 v2, v2, v8
	v_cmp_eq_u32_e64 s[50:51], 1, v3
	s_nop 1
	v_cndmask_b32_e64 v3, v4, 1, s[50:51]
	ds_write_b32 v1, v2 offset:24
	ds_write_b8 v1, v3 offset:28
.LBB1664_187:
	s_or_b64 exec, exec, s[52:53]
	v_mov_b32_e32 v1, v79
	s_waitcnt lgkmcnt(0)
	s_barrier
	s_and_saveexec_b64 s[50:51], s[2:3]
	s_cbranch_execnz .LBB1664_265
; %bb.188:
	s_or_b64 exec, exec, s[50:51]
	s_and_saveexec_b64 s[50:51], s[2:3]
	s_cbranch_execnz .LBB1664_266
.LBB1664_189:
	s_or_b64 exec, exec, s[50:51]
	s_and_saveexec_b64 s[2:3], vcc
	s_cbranch_execz .LBB1664_191
.LBB1664_190:
	v_mov_b32_e32 v5, 0
	ds_read_b32 v2, v5 offset:2096
	ds_read_u8 v3, v5 offset:2100
	s_add_u32 s4, s68, 0x400
	s_addc_u32 s5, s69, 0
	v_mov_b32_e32 v4, 2
	v_mov_b64_e32 v[6:7], s[4:5]
	s_waitcnt lgkmcnt(0)
	;;#ASMSTART
	global_store_dwordx4 v[6:7], v[2:5] off sc1	
s_waitcnt vmcnt(0)
	;;#ASMEND
.LBB1664_191:
	s_or_b64 exec, exec, s[2:3]
	v_mov_b32_e32 v80, v10
.LBB1664_192:
	s_add_u32 s2, s58, s72
	s_addc_u32 s3, s59, s73
	s_add_u32 s2, s2, s56
	s_addc_u32 s3, s3, s57
	s_and_b64 vcc, exec, s[0:1]
	s_cbranch_vccz .LBB1664_238
; %bb.193:
	s_movk_i32 s0, 0x5c
	v_mul_i32_i24_e32 v26, 0xffffffa8, v0
	s_waitcnt lgkmcnt(0)
	v_mul_u32_u24_e32 v1, 0x5c, v0
	v_mad_u32_u24 v2, v0, s0, v26
	s_barrier
	ds_write2_b32 v1, v80, v58 offset1:1
	ds_write2_b32 v1, v59, v60 offset0:2 offset1:3
	ds_write2_b32 v1, v61, v62 offset0:4 offset1:5
	;; [unrolled: 1-line block ×10, first 2 shown]
	ds_write_b32 v1, v79 offset:88
	s_waitcnt lgkmcnt(0)
	s_barrier
	ds_read2st64_b32 v[24:25], v2 offset0:4 offset1:8
	ds_read2st64_b32 v[22:23], v2 offset0:12 offset1:16
	;; [unrolled: 1-line block ×11, first 2 shown]
	s_add_i32 s33, s33, s70
	v_mov_b32_e32 v55, 0
	v_lshl_add_u64 v[4:5], s[2:3], 0, v[54:55]
	v_cmp_gt_u32_e32 vcc, s33, v0
	s_and_saveexec_b64 s[0:1], vcc
	s_cbranch_execz .LBB1664_195
; %bb.194:
	v_add_u32_e32 v1, v1, v26
	ds_read_b32 v1, v1
	s_waitcnt lgkmcnt(0)
	v_cvt_f32_u32_e32 v1, v1
	flat_store_dword v[4:5], v1
.LBB1664_195:
	s_or_b64 exec, exec, s[0:1]
	v_or_b32_e32 v1, 0x100, v0
	v_cmp_gt_u32_e32 vcc, s33, v1
	s_and_saveexec_b64 s[0:1], vcc
	s_cbranch_execz .LBB1664_197
; %bb.196:
	s_waitcnt lgkmcnt(0)
	v_cvt_f32_u32_e32 v1, v24
	flat_store_dword v[4:5], v1 offset:1024
.LBB1664_197:
	s_or_b64 exec, exec, s[0:1]
	v_or_b32_e32 v1, 0x200, v0
	v_cmp_gt_u32_e32 vcc, s33, v1
	s_and_saveexec_b64 s[0:1], vcc
	s_cbranch_execz .LBB1664_199
; %bb.198:
	s_waitcnt lgkmcnt(0)
	v_cvt_f32_u32_e32 v1, v25
	flat_store_dword v[4:5], v1 offset:2048
.LBB1664_199:
	;; [unrolled: 10-line block ×3, first 2 shown]
	s_or_b64 exec, exec, s[0:1]
	v_or_b32_e32 v1, 0x400, v0
	v_cmp_gt_u32_e32 vcc, s33, v1
	s_and_saveexec_b64 s[0:1], vcc
	s_cbranch_execz .LBB1664_203
; %bb.202:
	s_waitcnt lgkmcnt(0)
	v_cvt_f32_u32_e32 v1, v23
	v_add_co_u32_e32 v22, vcc, 0x1000, v4
	s_nop 1
	v_addc_co_u32_e32 v23, vcc, 0, v5, vcc
	flat_store_dword v[22:23], v1
.LBB1664_203:
	s_or_b64 exec, exec, s[0:1]
	v_or_b32_e32 v1, 0x500, v0
	v_cmp_gt_u32_e32 vcc, s33, v1
	s_and_saveexec_b64 s[0:1], vcc
	s_cbranch_execz .LBB1664_205
; %bb.204:
	s_waitcnt lgkmcnt(0)
	v_cvt_f32_u32_e32 v1, v20
	v_add_co_u32_e32 v22, vcc, 0x1000, v4
	s_nop 1
	v_addc_co_u32_e32 v23, vcc, 0, v5, vcc
	flat_store_dword v[22:23], v1 offset:1024
.LBB1664_205:
	s_or_b64 exec, exec, s[0:1]
	v_or_b32_e32 v1, 0x600, v0
	v_cmp_gt_u32_e32 vcc, s33, v1
	s_and_saveexec_b64 s[0:1], vcc
	s_cbranch_execz .LBB1664_207
; %bb.206:
	s_waitcnt lgkmcnt(0)
	v_cvt_f32_u32_e32 v1, v21
	v_add_co_u32_e32 v20, vcc, 0x1000, v4
	s_nop 1
	v_addc_co_u32_e32 v21, vcc, 0, v5, vcc
	flat_store_dword v[20:21], v1 offset:2048
.LBB1664_207:
	s_or_b64 exec, exec, s[0:1]
	v_or_b32_e32 v1, 0x700, v0
	v_cmp_gt_u32_e32 vcc, s33, v1
	s_and_saveexec_b64 s[0:1], vcc
	s_cbranch_execz .LBB1664_209
; %bb.208:
	s_waitcnt lgkmcnt(0)
	v_cvt_f32_u32_e32 v1, v18
	v_add_co_u32_e32 v20, vcc, 0x1000, v4
	s_nop 1
	v_addc_co_u32_e32 v21, vcc, 0, v5, vcc
	flat_store_dword v[20:21], v1 offset:3072
.LBB1664_209:
	s_or_b64 exec, exec, s[0:1]
	v_or_b32_e32 v1, 0x800, v0
	v_cmp_gt_u32_e32 vcc, s33, v1
	s_and_saveexec_b64 s[0:1], vcc
	s_cbranch_execz .LBB1664_211
; %bb.210:
	s_waitcnt lgkmcnt(0)
	v_cvt_f32_u32_e32 v1, v19
	v_add_co_u32_e32 v18, vcc, 0x2000, v4
	s_nop 1
	v_addc_co_u32_e32 v19, vcc, 0, v5, vcc
	flat_store_dword v[18:19], v1
.LBB1664_211:
	s_or_b64 exec, exec, s[0:1]
	v_or_b32_e32 v1, 0x900, v0
	v_cmp_gt_u32_e32 vcc, s33, v1
	s_and_saveexec_b64 s[0:1], vcc
	s_cbranch_execz .LBB1664_213
; %bb.212:
	s_waitcnt lgkmcnt(0)
	v_cvt_f32_u32_e32 v1, v16
	v_add_co_u32_e32 v18, vcc, 0x2000, v4
	s_nop 1
	v_addc_co_u32_e32 v19, vcc, 0, v5, vcc
	flat_store_dword v[18:19], v1 offset:1024
.LBB1664_213:
	s_or_b64 exec, exec, s[0:1]
	v_or_b32_e32 v1, 0xa00, v0
	v_cmp_gt_u32_e32 vcc, s33, v1
	s_and_saveexec_b64 s[0:1], vcc
	s_cbranch_execz .LBB1664_215
; %bb.214:
	s_waitcnt lgkmcnt(0)
	v_cvt_f32_u32_e32 v1, v17
	v_add_co_u32_e32 v16, vcc, 0x2000, v4
	s_nop 1
	v_addc_co_u32_e32 v17, vcc, 0, v5, vcc
	flat_store_dword v[16:17], v1 offset:2048
.LBB1664_215:
	s_or_b64 exec, exec, s[0:1]
	v_or_b32_e32 v1, 0xb00, v0
	v_cmp_gt_u32_e32 vcc, s33, v1
	s_and_saveexec_b64 s[0:1], vcc
	s_cbranch_execz .LBB1664_217
; %bb.216:
	s_waitcnt lgkmcnt(0)
	v_cvt_f32_u32_e32 v1, v14
	v_add_co_u32_e32 v16, vcc, 0x2000, v4
	s_nop 1
	v_addc_co_u32_e32 v17, vcc, 0, v5, vcc
	flat_store_dword v[16:17], v1 offset:3072
.LBB1664_217:
	;; [unrolled: 52-line block ×4, first 2 shown]
	s_or_b64 exec, exec, s[0:1]
	v_or_b32_e32 v1, 0x1400, v0
	v_cmp_gt_u32_e32 vcc, s33, v1
	s_and_saveexec_b64 s[0:1], vcc
	s_cbranch_execz .LBB1664_235
; %bb.234:
	s_waitcnt lgkmcnt(0)
	v_cvt_f32_u32_e32 v1, v7
	v_add_co_u32_e32 v6, vcc, 0x5000, v4
	s_nop 1
	v_addc_co_u32_e32 v7, vcc, 0, v5, vcc
	flat_store_dword v[6:7], v1
.LBB1664_235:
	s_or_b64 exec, exec, s[0:1]
	v_or_b32_e32 v1, 0x1500, v0
	v_cmp_gt_u32_e32 vcc, s33, v1
	s_and_saveexec_b64 s[0:1], vcc
	s_cbranch_execz .LBB1664_237
; %bb.236:
	s_waitcnt lgkmcnt(0)
	v_cvt_f32_u32_e32 v1, v2
	v_add_co_u32_e32 v4, vcc, 0x5000, v4
	s_nop 1
	v_addc_co_u32_e32 v5, vcc, 0, v5, vcc
	flat_store_dword v[4:5], v1 offset:1024
.LBB1664_237:
	s_or_b64 exec, exec, s[0:1]
	s_waitcnt lgkmcnt(0)
	v_or_b32_e32 v2, 0x1600, v0
	v_mov_b32_e32 v1, v55
	v_cmp_gt_u32_e64 s[0:1], s33, v2
	s_branch .LBB1664_240
.LBB1664_238:
	s_mov_b64 s[0:1], 0
                                        ; implicit-def: $vgpr3
	s_cbranch_execz .LBB1664_240
; %bb.239:
	s_movk_i32 s4, 0x5c
	v_mul_i32_i24_e32 v2, 0xffffffa8, v0
	s_waitcnt lgkmcnt(0)
	v_mul_u32_u24_e32 v1, 0x5c, v0
	v_mad_u32_u24 v2, v0, s4, v2
	s_barrier
	ds_write2_b32 v1, v80, v58 offset1:1
	ds_write2_b32 v1, v59, v60 offset0:2 offset1:3
	ds_write2_b32 v1, v61, v62 offset0:4 offset1:5
	;; [unrolled: 1-line block ×10, first 2 shown]
	ds_write_b32 v1, v79 offset:88
	s_waitcnt lgkmcnt(0)
	s_barrier
	ds_read2st64_b32 v[4:5], v2 offset1:4
	ds_read2st64_b32 v[6:7], v2 offset0:8 offset1:12
	ds_read2st64_b32 v[8:9], v2 offset0:16 offset1:20
	;; [unrolled: 1-line block ×10, first 2 shown]
	ds_read_b32 v3, v2 offset:22528
	s_waitcnt lgkmcnt(0)
	v_cvt_f32_u32_e32 v2, v4
	v_mov_b32_e32 v1, 0
	v_cvt_f32_u32_e32 v4, v5
	v_mov_b32_e32 v55, v1
	v_cvt_f32_u32_e32 v5, v6
	v_lshl_add_u64 v[26:27], s[2:3], 0, v[54:55]
	v_cvt_f32_u32_e32 v6, v7
	flat_store_dword v[26:27], v2
	flat_store_dword v[26:27], v4 offset:1024
	flat_store_dword v[26:27], v5 offset:2048
	flat_store_dword v[26:27], v6 offset:3072
	v_cvt_f32_u32_e32 v2, v8
	s_movk_i32 s4, 0x1000
	v_cvt_f32_u32_e32 v6, v9
	v_add_co_u32_e32 v4, vcc, s4, v26
	v_cvt_f32_u32_e32 v7, v10
	s_nop 0
	v_addc_co_u32_e32 v5, vcc, 0, v27, vcc
	v_cvt_f32_u32_e32 v8, v11
	flat_store_dword v[4:5], v2
	flat_store_dword v[4:5], v6 offset:1024
	flat_store_dword v[4:5], v7 offset:2048
	flat_store_dword v[4:5], v8 offset:3072
	v_cvt_f32_u32_e32 v2, v12
	s_movk_i32 s4, 0x2000
	v_cvt_f32_u32_e32 v6, v13
	v_add_co_u32_e32 v4, vcc, s4, v26
	v_cvt_f32_u32_e32 v7, v14
	s_nop 0
	v_addc_co_u32_e32 v5, vcc, 0, v27, vcc
	;; [unrolled: 12-line block ×4, first 2 shown]
	v_cvt_f32_u32_e32 v8, v23
	flat_store_dword v[4:5], v2
	flat_store_dword v[4:5], v6 offset:1024
	flat_store_dword v[4:5], v7 offset:2048
	;; [unrolled: 1-line block ×3, first 2 shown]
	v_cvt_f32_u32_e32 v2, v24
	v_cvt_f32_u32_e32 v6, v25
	v_add_co_u32_e32 v4, vcc, 0x5000, v26
	s_or_b64 s[0:1], s[0:1], exec
	s_nop 0
	v_addc_co_u32_e32 v5, vcc, 0, v27, vcc
	flat_store_dword v[4:5], v2
	flat_store_dword v[4:5], v6 offset:1024
.LBB1664_240:
	s_and_saveexec_b64 s[4:5], s[0:1]
	s_cbranch_execnz .LBB1664_242
; %bb.241:
	s_endpgm
.LBB1664_242:
	v_cvt_f32_u32_e32 v2, v3
	s_waitcnt lgkmcnt(0)
	v_lshl_add_u64 v[0:1], v[0:1], 2, s[2:3]
	v_add_co_u32_e32 v0, vcc, 0x5000, v0
	s_nop 1
	v_addc_co_u32_e32 v1, vcc, 0, v1, vcc
	flat_store_dword v[0:1], v2 offset:2048
	s_endpgm
.LBB1664_243:
	v_lshl_add_u64 v[30:31], s[52:53], 0, v[2:3]
	flat_load_dword v29, v[30:31]
	s_or_b64 exec, exec, s[60:61]
                                        ; implicit-def: $vgpr30
	s_and_saveexec_b64 s[50:51], s[4:5]
	s_cbranch_execz .LBB1664_55
.LBB1664_244:
	v_mov_b32_e32 v3, 0
	v_lshl_add_u64 v[30:31], s[52:53], 0, v[2:3]
	flat_load_dword v30, v[30:31] offset:1024
	s_or_b64 exec, exec, s[50:51]
                                        ; implicit-def: $vgpr31
	s_and_saveexec_b64 s[4:5], s[6:7]
	s_cbranch_execz .LBB1664_56
.LBB1664_245:
	v_mov_b32_e32 v3, 0
	v_lshl_add_u64 v[32:33], s[52:53], 0, v[2:3]
	flat_load_dword v31, v[32:33] offset:2048
	s_or_b64 exec, exec, s[4:5]
                                        ; implicit-def: $vgpr3
	s_and_saveexec_b64 s[4:5], s[8:9]
	s_cbranch_execz .LBB1664_57
.LBB1664_246:
	v_mov_b32_e32 v3, 0
	v_lshl_add_u64 v[32:33], s[52:53], 0, v[2:3]
	flat_load_dword v3, v[32:33] offset:3072
	s_or_b64 exec, exec, s[4:5]
                                        ; implicit-def: $vgpr32
	s_and_saveexec_b64 s[4:5], s[10:11]
	s_cbranch_execz .LBB1664_58
.LBB1664_247:
	v_lshlrev_b32_e32 v32, 2, v10
	v_mov_b32_e32 v33, 0
	v_lshl_add_u64 v[32:33], s[52:53], 0, v[32:33]
	flat_load_dword v32, v[32:33]
	s_or_b64 exec, exec, s[4:5]
                                        ; implicit-def: $vgpr10
	s_and_saveexec_b64 s[4:5], s[12:13]
	s_cbranch_execz .LBB1664_59
.LBB1664_248:
	v_lshlrev_b32_e32 v10, 2, v11
	v_mov_b32_e32 v11, 0
	v_lshl_add_u64 v[10:11], s[52:53], 0, v[10:11]
	flat_load_dword v10, v[10:11]
	s_or_b64 exec, exec, s[4:5]
                                        ; implicit-def: $vgpr11
	s_and_saveexec_b64 s[4:5], s[14:15]
	s_cbranch_execz .LBB1664_60
.LBB1664_249:
	v_lshlrev_b32_e32 v34, 2, v12
	v_mov_b32_e32 v35, 0
	v_lshl_add_u64 v[34:35], s[52:53], 0, v[34:35]
	flat_load_dword v11, v[34:35]
	s_or_b64 exec, exec, s[4:5]
                                        ; implicit-def: $vgpr12
	s_and_saveexec_b64 s[4:5], s[16:17]
	s_cbranch_execz .LBB1664_61
.LBB1664_250:
	v_lshlrev_b32_e32 v12, 2, v13
	v_mov_b32_e32 v13, 0
	v_lshl_add_u64 v[12:13], s[52:53], 0, v[12:13]
	flat_load_dword v12, v[12:13]
	s_or_b64 exec, exec, s[4:5]
                                        ; implicit-def: $vgpr13
	s_and_saveexec_b64 s[4:5], s[18:19]
	s_cbranch_execz .LBB1664_62
.LBB1664_251:
	v_lshlrev_b32_e32 v34, 2, v14
	v_mov_b32_e32 v35, 0
	v_lshl_add_u64 v[34:35], s[52:53], 0, v[34:35]
	flat_load_dword v13, v[34:35]
	s_or_b64 exec, exec, s[4:5]
                                        ; implicit-def: $vgpr14
	s_and_saveexec_b64 s[4:5], s[20:21]
	s_cbranch_execz .LBB1664_63
.LBB1664_252:
	v_lshlrev_b32_e32 v14, 2, v15
	v_mov_b32_e32 v15, 0
	v_lshl_add_u64 v[14:15], s[52:53], 0, v[14:15]
	flat_load_dword v14, v[14:15]
	s_or_b64 exec, exec, s[4:5]
                                        ; implicit-def: $vgpr15
	s_and_saveexec_b64 s[4:5], s[22:23]
	s_cbranch_execz .LBB1664_64
.LBB1664_253:
	v_lshlrev_b32_e32 v34, 2, v16
	v_mov_b32_e32 v35, 0
	v_lshl_add_u64 v[34:35], s[52:53], 0, v[34:35]
	flat_load_dword v15, v[34:35]
	s_or_b64 exec, exec, s[4:5]
                                        ; implicit-def: $vgpr16
	s_and_saveexec_b64 s[4:5], s[24:25]
	s_cbranch_execz .LBB1664_65
.LBB1664_254:
	v_lshlrev_b32_e32 v16, 2, v17
	v_mov_b32_e32 v17, 0
	v_lshl_add_u64 v[16:17], s[52:53], 0, v[16:17]
	flat_load_dword v16, v[16:17]
	s_or_b64 exec, exec, s[4:5]
                                        ; implicit-def: $vgpr17
	s_and_saveexec_b64 s[4:5], s[26:27]
	s_cbranch_execz .LBB1664_66
.LBB1664_255:
	v_lshlrev_b32_e32 v34, 2, v18
	v_mov_b32_e32 v35, 0
	v_lshl_add_u64 v[34:35], s[52:53], 0, v[34:35]
	flat_load_dword v17, v[34:35]
	s_or_b64 exec, exec, s[4:5]
                                        ; implicit-def: $vgpr18
	s_and_saveexec_b64 s[4:5], s[28:29]
	s_cbranch_execz .LBB1664_67
.LBB1664_256:
	v_lshlrev_b32_e32 v18, 2, v19
	v_mov_b32_e32 v19, 0
	v_lshl_add_u64 v[18:19], s[52:53], 0, v[18:19]
	flat_load_dword v18, v[18:19]
	s_or_b64 exec, exec, s[4:5]
                                        ; implicit-def: $vgpr19
	s_and_saveexec_b64 s[4:5], s[30:31]
	s_cbranch_execz .LBB1664_68
.LBB1664_257:
	v_lshlrev_b32_e32 v34, 2, v20
	v_mov_b32_e32 v35, 0
	v_lshl_add_u64 v[34:35], s[52:53], 0, v[34:35]
	flat_load_dword v19, v[34:35]
	s_or_b64 exec, exec, s[4:5]
                                        ; implicit-def: $vgpr20
	s_and_saveexec_b64 s[4:5], s[34:35]
	s_cbranch_execz .LBB1664_69
.LBB1664_258:
	v_lshlrev_b32_e32 v20, 2, v21
	v_mov_b32_e32 v21, 0
	v_lshl_add_u64 v[20:21], s[52:53], 0, v[20:21]
	flat_load_dword v20, v[20:21]
	s_or_b64 exec, exec, s[4:5]
                                        ; implicit-def: $vgpr21
	s_and_saveexec_b64 s[4:5], s[36:37]
	s_cbranch_execz .LBB1664_70
.LBB1664_259:
	v_lshlrev_b32_e32 v34, 2, v22
	v_mov_b32_e32 v35, 0
	v_lshl_add_u64 v[34:35], s[52:53], 0, v[34:35]
	flat_load_dword v21, v[34:35]
	s_or_b64 exec, exec, s[4:5]
                                        ; implicit-def: $vgpr22
	s_and_saveexec_b64 s[4:5], s[38:39]
	s_cbranch_execz .LBB1664_71
.LBB1664_260:
	v_lshlrev_b32_e32 v22, 2, v23
	v_mov_b32_e32 v23, 0
	v_lshl_add_u64 v[22:23], s[52:53], 0, v[22:23]
	flat_load_dword v22, v[22:23]
	s_or_b64 exec, exec, s[4:5]
                                        ; implicit-def: $vgpr23
	s_and_saveexec_b64 s[4:5], s[40:41]
	s_cbranch_execz .LBB1664_72
.LBB1664_261:
	v_lshlrev_b32_e32 v34, 2, v24
	v_mov_b32_e32 v35, 0
	v_lshl_add_u64 v[34:35], s[52:53], 0, v[34:35]
	flat_load_dword v23, v[34:35]
	s_or_b64 exec, exec, s[4:5]
                                        ; implicit-def: $vgpr24
	s_and_saveexec_b64 s[4:5], s[42:43]
	s_cbranch_execz .LBB1664_73
.LBB1664_262:
	v_lshlrev_b32_e32 v24, 2, v25
	v_mov_b32_e32 v25, 0
	v_lshl_add_u64 v[24:25], s[52:53], 0, v[24:25]
	flat_load_dword v24, v[24:25]
	s_or_b64 exec, exec, s[4:5]
                                        ; implicit-def: $vgpr25
	s_and_saveexec_b64 s[4:5], s[44:45]
	s_cbranch_execz .LBB1664_74
.LBB1664_263:
	v_lshlrev_b32_e32 v34, 2, v26
	v_mov_b32_e32 v35, 0
	v_lshl_add_u64 v[34:35], s[52:53], 0, v[34:35]
	flat_load_dword v25, v[34:35]
	s_or_b64 exec, exec, s[4:5]
                                        ; implicit-def: $vgpr26
	s_and_saveexec_b64 s[4:5], s[46:47]
	s_cbranch_execz .LBB1664_75
.LBB1664_264:
	v_lshlrev_b32_e32 v26, 2, v27
	v_mov_b32_e32 v27, 0
	v_lshl_add_u64 v[26:27], s[52:53], 0, v[26:27]
	flat_load_dword v26, v[26:27]
	s_or_b64 exec, exec, s[4:5]
                                        ; implicit-def: $vgpr27
	s_and_saveexec_b64 s[4:5], s[48:49]
	s_cbranch_execnz .LBB1664_76
	s_branch .LBB1664_77
.LBB1664_265:
	v_add_u32_e32 v1, -1, v0
	v_lshrrev_b32_e32 v2, 5, v1
	v_add_lshl_u32 v1, v2, v1, 3
	ds_read_b32 v1, v1
	s_or_b64 exec, exec, s[50:51]
	s_and_saveexec_b64 s[50:51], s[2:3]
	s_cbranch_execz .LBB1664_189
.LBB1664_266:
	v_and_b32_e32 v3, 0xff, v11
	v_mov_b32_e32 v2, 0
	v_cmp_eq_u64_e64 s[2:3], 0, v[2:3]
	;;#ASMSTART
	;;#ASMEND
	s_waitcnt lgkmcnt(0)
	s_nop 0
	v_cndmask_b32_e64 v1, 0, v1, s[2:3]
	v_add_u32_e32 v10, v1, v10
	v_cndmask_b32_e64 v1, 0, v10, s[4:5]
	v_add_u32_e32 v58, v1, v12
	v_cndmask_b32_e64 v1, 0, v58, s[6:7]
	v_add_u32_e32 v59, v1, v14
	v_cndmask_b32_e64 v1, 0, v59, s[8:9]
	v_add_u32_e32 v60, v1, v16
	v_cndmask_b32_e64 v1, 0, v60, s[10:11]
	v_add_u32_e32 v61, v1, v18
	v_cndmask_b32_e64 v1, 0, v61, s[12:13]
	v_add_u32_e32 v62, v1, v20
	v_cndmask_b32_e64 v1, 0, v62, s[14:15]
	v_add_u32_e32 v63, v1, v22
	v_cndmask_b32_e64 v1, 0, v63, s[16:17]
	v_add_u32_e32 v64, v1, v24
	v_cndmask_b32_e64 v1, 0, v64, s[18:19]
	v_add_u32_e32 v65, v1, v26
	v_cndmask_b32_e64 v1, 0, v65, s[20:21]
	v_add_u32_e32 v66, v1, v28
	v_cndmask_b32_e64 v1, 0, v66, s[22:23]
	v_add_u32_e32 v67, v1, v30
	v_cndmask_b32_e64 v1, 0, v67, s[24:25]
	v_add_u32_e32 v68, v1, v32
	v_cndmask_b32_e64 v1, 0, v68, s[26:27]
	v_add_u32_e32 v69, v1, v34
	v_cndmask_b32_e64 v1, 0, v69, s[28:29]
	v_add_u32_e32 v70, v1, v36
	v_cndmask_b32_e64 v1, 0, v70, s[30:31]
	v_add_u32_e32 v71, v1, v38
	v_cndmask_b32_e64 v1, 0, v71, s[34:35]
	v_add_u32_e32 v72, v1, v40
	v_cndmask_b32_e64 v1, 0, v72, s[36:37]
	v_add_u32_e32 v73, v1, v42
	v_cndmask_b32_e64 v1, 0, v73, s[38:39]
	v_add_u32_e32 v74, v1, v44
	v_cndmask_b32_e64 v1, 0, v74, s[40:41]
	v_add_u32_e32 v75, v1, v46
	v_cndmask_b32_e64 v1, 0, v75, s[42:43]
	v_add_u32_e32 v76, v1, v48
	v_cndmask_b32_e64 v1, 0, v76, s[44:45]
	v_add_u32_e32 v77, v1, v50
	v_cndmask_b32_e64 v1, 0, v77, s[46:47]
	v_add_u32_e32 v78, v1, v52
	v_cndmask_b32_e64 v1, 0, v78, s[48:49]
	v_add_u32_e32 v79, v1, v56
	s_or_b64 exec, exec, s[50:51]
	s_and_saveexec_b64 s[2:3], vcc
	s_cbranch_execnz .LBB1664_190
	s_branch .LBB1664_191
.LBB1664_267:
                                        ; implicit-def: $sgpr60_sgpr61
	s_branch .LBB1664_50
.LBB1664_268:
                                        ; implicit-def: $sgpr4_sgpr5
	s_branch .LBB1664_126
	.section	.rodata,"a",@progbits
	.p2align	6, 0x0
	.amdhsa_kernel _ZN7rocprim17ROCPRIM_400000_NS6detail17trampoline_kernelINS0_14default_configENS1_27scan_by_key_config_selectorIijEEZZNS1_16scan_by_key_implILNS1_25lookback_scan_determinismE0ELb0ES3_N6thrust23THRUST_200600_302600_NS6detail15normal_iteratorINS9_10device_ptrIiEEEENSB_INSC_IjEEEENSB_INSC_IfEEEEjNS9_4plusIvEENS9_8equal_toIvEEjEE10hipError_tPvRmT2_T3_T4_T5_mT6_T7_P12ihipStream_tbENKUlT_T0_E_clISt17integral_constantIbLb1EES12_IbLb0EEEEDaSY_SZ_EUlSY_E_NS1_11comp_targetILNS1_3genE5ELNS1_11target_archE942ELNS1_3gpuE9ELNS1_3repE0EEENS1_30default_config_static_selectorELNS0_4arch9wavefront6targetE1EEEvT1_
		.amdhsa_group_segment_fixed_size 25600
		.amdhsa_private_segment_fixed_size 0
		.amdhsa_kernarg_size 112
		.amdhsa_user_sgpr_count 2
		.amdhsa_user_sgpr_dispatch_ptr 0
		.amdhsa_user_sgpr_queue_ptr 0
		.amdhsa_user_sgpr_kernarg_segment_ptr 1
		.amdhsa_user_sgpr_dispatch_id 0
		.amdhsa_user_sgpr_kernarg_preload_length 0
		.amdhsa_user_sgpr_kernarg_preload_offset 0
		.amdhsa_user_sgpr_private_segment_size 0
		.amdhsa_uses_dynamic_stack 0
		.amdhsa_enable_private_segment 0
		.amdhsa_system_sgpr_workgroup_id_x 1
		.amdhsa_system_sgpr_workgroup_id_y 0
		.amdhsa_system_sgpr_workgroup_id_z 0
		.amdhsa_system_sgpr_workgroup_info 0
		.amdhsa_system_vgpr_workitem_id 0
		.amdhsa_next_free_vgpr 81
		.amdhsa_next_free_sgpr 82
		.amdhsa_accum_offset 84
		.amdhsa_reserve_vcc 1
		.amdhsa_float_round_mode_32 0
		.amdhsa_float_round_mode_16_64 0
		.amdhsa_float_denorm_mode_32 3
		.amdhsa_float_denorm_mode_16_64 3
		.amdhsa_dx10_clamp 1
		.amdhsa_ieee_mode 1
		.amdhsa_fp16_overflow 0
		.amdhsa_tg_split 0
		.amdhsa_exception_fp_ieee_invalid_op 0
		.amdhsa_exception_fp_denorm_src 0
		.amdhsa_exception_fp_ieee_div_zero 0
		.amdhsa_exception_fp_ieee_overflow 0
		.amdhsa_exception_fp_ieee_underflow 0
		.amdhsa_exception_fp_ieee_inexact 0
		.amdhsa_exception_int_div_zero 0
	.end_amdhsa_kernel
	.section	.text._ZN7rocprim17ROCPRIM_400000_NS6detail17trampoline_kernelINS0_14default_configENS1_27scan_by_key_config_selectorIijEEZZNS1_16scan_by_key_implILNS1_25lookback_scan_determinismE0ELb0ES3_N6thrust23THRUST_200600_302600_NS6detail15normal_iteratorINS9_10device_ptrIiEEEENSB_INSC_IjEEEENSB_INSC_IfEEEEjNS9_4plusIvEENS9_8equal_toIvEEjEE10hipError_tPvRmT2_T3_T4_T5_mT6_T7_P12ihipStream_tbENKUlT_T0_E_clISt17integral_constantIbLb1EES12_IbLb0EEEEDaSY_SZ_EUlSY_E_NS1_11comp_targetILNS1_3genE5ELNS1_11target_archE942ELNS1_3gpuE9ELNS1_3repE0EEENS1_30default_config_static_selectorELNS0_4arch9wavefront6targetE1EEEvT1_,"axG",@progbits,_ZN7rocprim17ROCPRIM_400000_NS6detail17trampoline_kernelINS0_14default_configENS1_27scan_by_key_config_selectorIijEEZZNS1_16scan_by_key_implILNS1_25lookback_scan_determinismE0ELb0ES3_N6thrust23THRUST_200600_302600_NS6detail15normal_iteratorINS9_10device_ptrIiEEEENSB_INSC_IjEEEENSB_INSC_IfEEEEjNS9_4plusIvEENS9_8equal_toIvEEjEE10hipError_tPvRmT2_T3_T4_T5_mT6_T7_P12ihipStream_tbENKUlT_T0_E_clISt17integral_constantIbLb1EES12_IbLb0EEEEDaSY_SZ_EUlSY_E_NS1_11comp_targetILNS1_3genE5ELNS1_11target_archE942ELNS1_3gpuE9ELNS1_3repE0EEENS1_30default_config_static_selectorELNS0_4arch9wavefront6targetE1EEEvT1_,comdat
.Lfunc_end1664:
	.size	_ZN7rocprim17ROCPRIM_400000_NS6detail17trampoline_kernelINS0_14default_configENS1_27scan_by_key_config_selectorIijEEZZNS1_16scan_by_key_implILNS1_25lookback_scan_determinismE0ELb0ES3_N6thrust23THRUST_200600_302600_NS6detail15normal_iteratorINS9_10device_ptrIiEEEENSB_INSC_IjEEEENSB_INSC_IfEEEEjNS9_4plusIvEENS9_8equal_toIvEEjEE10hipError_tPvRmT2_T3_T4_T5_mT6_T7_P12ihipStream_tbENKUlT_T0_E_clISt17integral_constantIbLb1EES12_IbLb0EEEEDaSY_SZ_EUlSY_E_NS1_11comp_targetILNS1_3genE5ELNS1_11target_archE942ELNS1_3gpuE9ELNS1_3repE0EEENS1_30default_config_static_selectorELNS0_4arch9wavefront6targetE1EEEvT1_, .Lfunc_end1664-_ZN7rocprim17ROCPRIM_400000_NS6detail17trampoline_kernelINS0_14default_configENS1_27scan_by_key_config_selectorIijEEZZNS1_16scan_by_key_implILNS1_25lookback_scan_determinismE0ELb0ES3_N6thrust23THRUST_200600_302600_NS6detail15normal_iteratorINS9_10device_ptrIiEEEENSB_INSC_IjEEEENSB_INSC_IfEEEEjNS9_4plusIvEENS9_8equal_toIvEEjEE10hipError_tPvRmT2_T3_T4_T5_mT6_T7_P12ihipStream_tbENKUlT_T0_E_clISt17integral_constantIbLb1EES12_IbLb0EEEEDaSY_SZ_EUlSY_E_NS1_11comp_targetILNS1_3genE5ELNS1_11target_archE942ELNS1_3gpuE9ELNS1_3repE0EEENS1_30default_config_static_selectorELNS0_4arch9wavefront6targetE1EEEvT1_
                                        ; -- End function
	.section	.AMDGPU.csdata,"",@progbits
; Kernel info:
; codeLenInByte = 15768
; NumSgprs: 88
; NumVgprs: 81
; NumAgprs: 0
; TotalNumVgprs: 81
; ScratchSize: 0
; MemoryBound: 0
; FloatMode: 240
; IeeeMode: 1
; LDSByteSize: 25600 bytes/workgroup (compile time only)
; SGPRBlocks: 10
; VGPRBlocks: 10
; NumSGPRsForWavesPerEU: 88
; NumVGPRsForWavesPerEU: 81
; AccumOffset: 84
; Occupancy: 2
; WaveLimiterHint : 1
; COMPUTE_PGM_RSRC2:SCRATCH_EN: 0
; COMPUTE_PGM_RSRC2:USER_SGPR: 2
; COMPUTE_PGM_RSRC2:TRAP_HANDLER: 0
; COMPUTE_PGM_RSRC2:TGID_X_EN: 1
; COMPUTE_PGM_RSRC2:TGID_Y_EN: 0
; COMPUTE_PGM_RSRC2:TGID_Z_EN: 0
; COMPUTE_PGM_RSRC2:TIDIG_COMP_CNT: 0
; COMPUTE_PGM_RSRC3_GFX90A:ACCUM_OFFSET: 20
; COMPUTE_PGM_RSRC3_GFX90A:TG_SPLIT: 0
	.section	.text._ZN7rocprim17ROCPRIM_400000_NS6detail17trampoline_kernelINS0_14default_configENS1_27scan_by_key_config_selectorIijEEZZNS1_16scan_by_key_implILNS1_25lookback_scan_determinismE0ELb0ES3_N6thrust23THRUST_200600_302600_NS6detail15normal_iteratorINS9_10device_ptrIiEEEENSB_INSC_IjEEEENSB_INSC_IfEEEEjNS9_4plusIvEENS9_8equal_toIvEEjEE10hipError_tPvRmT2_T3_T4_T5_mT6_T7_P12ihipStream_tbENKUlT_T0_E_clISt17integral_constantIbLb1EES12_IbLb0EEEEDaSY_SZ_EUlSY_E_NS1_11comp_targetILNS1_3genE4ELNS1_11target_archE910ELNS1_3gpuE8ELNS1_3repE0EEENS1_30default_config_static_selectorELNS0_4arch9wavefront6targetE1EEEvT1_,"axG",@progbits,_ZN7rocprim17ROCPRIM_400000_NS6detail17trampoline_kernelINS0_14default_configENS1_27scan_by_key_config_selectorIijEEZZNS1_16scan_by_key_implILNS1_25lookback_scan_determinismE0ELb0ES3_N6thrust23THRUST_200600_302600_NS6detail15normal_iteratorINS9_10device_ptrIiEEEENSB_INSC_IjEEEENSB_INSC_IfEEEEjNS9_4plusIvEENS9_8equal_toIvEEjEE10hipError_tPvRmT2_T3_T4_T5_mT6_T7_P12ihipStream_tbENKUlT_T0_E_clISt17integral_constantIbLb1EES12_IbLb0EEEEDaSY_SZ_EUlSY_E_NS1_11comp_targetILNS1_3genE4ELNS1_11target_archE910ELNS1_3gpuE8ELNS1_3repE0EEENS1_30default_config_static_selectorELNS0_4arch9wavefront6targetE1EEEvT1_,comdat
	.protected	_ZN7rocprim17ROCPRIM_400000_NS6detail17trampoline_kernelINS0_14default_configENS1_27scan_by_key_config_selectorIijEEZZNS1_16scan_by_key_implILNS1_25lookback_scan_determinismE0ELb0ES3_N6thrust23THRUST_200600_302600_NS6detail15normal_iteratorINS9_10device_ptrIiEEEENSB_INSC_IjEEEENSB_INSC_IfEEEEjNS9_4plusIvEENS9_8equal_toIvEEjEE10hipError_tPvRmT2_T3_T4_T5_mT6_T7_P12ihipStream_tbENKUlT_T0_E_clISt17integral_constantIbLb1EES12_IbLb0EEEEDaSY_SZ_EUlSY_E_NS1_11comp_targetILNS1_3genE4ELNS1_11target_archE910ELNS1_3gpuE8ELNS1_3repE0EEENS1_30default_config_static_selectorELNS0_4arch9wavefront6targetE1EEEvT1_ ; -- Begin function _ZN7rocprim17ROCPRIM_400000_NS6detail17trampoline_kernelINS0_14default_configENS1_27scan_by_key_config_selectorIijEEZZNS1_16scan_by_key_implILNS1_25lookback_scan_determinismE0ELb0ES3_N6thrust23THRUST_200600_302600_NS6detail15normal_iteratorINS9_10device_ptrIiEEEENSB_INSC_IjEEEENSB_INSC_IfEEEEjNS9_4plusIvEENS9_8equal_toIvEEjEE10hipError_tPvRmT2_T3_T4_T5_mT6_T7_P12ihipStream_tbENKUlT_T0_E_clISt17integral_constantIbLb1EES12_IbLb0EEEEDaSY_SZ_EUlSY_E_NS1_11comp_targetILNS1_3genE4ELNS1_11target_archE910ELNS1_3gpuE8ELNS1_3repE0EEENS1_30default_config_static_selectorELNS0_4arch9wavefront6targetE1EEEvT1_
	.globl	_ZN7rocprim17ROCPRIM_400000_NS6detail17trampoline_kernelINS0_14default_configENS1_27scan_by_key_config_selectorIijEEZZNS1_16scan_by_key_implILNS1_25lookback_scan_determinismE0ELb0ES3_N6thrust23THRUST_200600_302600_NS6detail15normal_iteratorINS9_10device_ptrIiEEEENSB_INSC_IjEEEENSB_INSC_IfEEEEjNS9_4plusIvEENS9_8equal_toIvEEjEE10hipError_tPvRmT2_T3_T4_T5_mT6_T7_P12ihipStream_tbENKUlT_T0_E_clISt17integral_constantIbLb1EES12_IbLb0EEEEDaSY_SZ_EUlSY_E_NS1_11comp_targetILNS1_3genE4ELNS1_11target_archE910ELNS1_3gpuE8ELNS1_3repE0EEENS1_30default_config_static_selectorELNS0_4arch9wavefront6targetE1EEEvT1_
	.p2align	8
	.type	_ZN7rocprim17ROCPRIM_400000_NS6detail17trampoline_kernelINS0_14default_configENS1_27scan_by_key_config_selectorIijEEZZNS1_16scan_by_key_implILNS1_25lookback_scan_determinismE0ELb0ES3_N6thrust23THRUST_200600_302600_NS6detail15normal_iteratorINS9_10device_ptrIiEEEENSB_INSC_IjEEEENSB_INSC_IfEEEEjNS9_4plusIvEENS9_8equal_toIvEEjEE10hipError_tPvRmT2_T3_T4_T5_mT6_T7_P12ihipStream_tbENKUlT_T0_E_clISt17integral_constantIbLb1EES12_IbLb0EEEEDaSY_SZ_EUlSY_E_NS1_11comp_targetILNS1_3genE4ELNS1_11target_archE910ELNS1_3gpuE8ELNS1_3repE0EEENS1_30default_config_static_selectorELNS0_4arch9wavefront6targetE1EEEvT1_,@function
_ZN7rocprim17ROCPRIM_400000_NS6detail17trampoline_kernelINS0_14default_configENS1_27scan_by_key_config_selectorIijEEZZNS1_16scan_by_key_implILNS1_25lookback_scan_determinismE0ELb0ES3_N6thrust23THRUST_200600_302600_NS6detail15normal_iteratorINS9_10device_ptrIiEEEENSB_INSC_IjEEEENSB_INSC_IfEEEEjNS9_4plusIvEENS9_8equal_toIvEEjEE10hipError_tPvRmT2_T3_T4_T5_mT6_T7_P12ihipStream_tbENKUlT_T0_E_clISt17integral_constantIbLb1EES12_IbLb0EEEEDaSY_SZ_EUlSY_E_NS1_11comp_targetILNS1_3genE4ELNS1_11target_archE910ELNS1_3gpuE8ELNS1_3repE0EEENS1_30default_config_static_selectorELNS0_4arch9wavefront6targetE1EEEvT1_: ; @_ZN7rocprim17ROCPRIM_400000_NS6detail17trampoline_kernelINS0_14default_configENS1_27scan_by_key_config_selectorIijEEZZNS1_16scan_by_key_implILNS1_25lookback_scan_determinismE0ELb0ES3_N6thrust23THRUST_200600_302600_NS6detail15normal_iteratorINS9_10device_ptrIiEEEENSB_INSC_IjEEEENSB_INSC_IfEEEEjNS9_4plusIvEENS9_8equal_toIvEEjEE10hipError_tPvRmT2_T3_T4_T5_mT6_T7_P12ihipStream_tbENKUlT_T0_E_clISt17integral_constantIbLb1EES12_IbLb0EEEEDaSY_SZ_EUlSY_E_NS1_11comp_targetILNS1_3genE4ELNS1_11target_archE910ELNS1_3gpuE8ELNS1_3repE0EEENS1_30default_config_static_selectorELNS0_4arch9wavefront6targetE1EEEvT1_
; %bb.0:
	.section	.rodata,"a",@progbits
	.p2align	6, 0x0
	.amdhsa_kernel _ZN7rocprim17ROCPRIM_400000_NS6detail17trampoline_kernelINS0_14default_configENS1_27scan_by_key_config_selectorIijEEZZNS1_16scan_by_key_implILNS1_25lookback_scan_determinismE0ELb0ES3_N6thrust23THRUST_200600_302600_NS6detail15normal_iteratorINS9_10device_ptrIiEEEENSB_INSC_IjEEEENSB_INSC_IfEEEEjNS9_4plusIvEENS9_8equal_toIvEEjEE10hipError_tPvRmT2_T3_T4_T5_mT6_T7_P12ihipStream_tbENKUlT_T0_E_clISt17integral_constantIbLb1EES12_IbLb0EEEEDaSY_SZ_EUlSY_E_NS1_11comp_targetILNS1_3genE4ELNS1_11target_archE910ELNS1_3gpuE8ELNS1_3repE0EEENS1_30default_config_static_selectorELNS0_4arch9wavefront6targetE1EEEvT1_
		.amdhsa_group_segment_fixed_size 0
		.amdhsa_private_segment_fixed_size 0
		.amdhsa_kernarg_size 112
		.amdhsa_user_sgpr_count 2
		.amdhsa_user_sgpr_dispatch_ptr 0
		.amdhsa_user_sgpr_queue_ptr 0
		.amdhsa_user_sgpr_kernarg_segment_ptr 1
		.amdhsa_user_sgpr_dispatch_id 0
		.amdhsa_user_sgpr_kernarg_preload_length 0
		.amdhsa_user_sgpr_kernarg_preload_offset 0
		.amdhsa_user_sgpr_private_segment_size 0
		.amdhsa_uses_dynamic_stack 0
		.amdhsa_enable_private_segment 0
		.amdhsa_system_sgpr_workgroup_id_x 1
		.amdhsa_system_sgpr_workgroup_id_y 0
		.amdhsa_system_sgpr_workgroup_id_z 0
		.amdhsa_system_sgpr_workgroup_info 0
		.amdhsa_system_vgpr_workitem_id 0
		.amdhsa_next_free_vgpr 1
		.amdhsa_next_free_sgpr 0
		.amdhsa_accum_offset 4
		.amdhsa_reserve_vcc 0
		.amdhsa_float_round_mode_32 0
		.amdhsa_float_round_mode_16_64 0
		.amdhsa_float_denorm_mode_32 3
		.amdhsa_float_denorm_mode_16_64 3
		.amdhsa_dx10_clamp 1
		.amdhsa_ieee_mode 1
		.amdhsa_fp16_overflow 0
		.amdhsa_tg_split 0
		.amdhsa_exception_fp_ieee_invalid_op 0
		.amdhsa_exception_fp_denorm_src 0
		.amdhsa_exception_fp_ieee_div_zero 0
		.amdhsa_exception_fp_ieee_overflow 0
		.amdhsa_exception_fp_ieee_underflow 0
		.amdhsa_exception_fp_ieee_inexact 0
		.amdhsa_exception_int_div_zero 0
	.end_amdhsa_kernel
	.section	.text._ZN7rocprim17ROCPRIM_400000_NS6detail17trampoline_kernelINS0_14default_configENS1_27scan_by_key_config_selectorIijEEZZNS1_16scan_by_key_implILNS1_25lookback_scan_determinismE0ELb0ES3_N6thrust23THRUST_200600_302600_NS6detail15normal_iteratorINS9_10device_ptrIiEEEENSB_INSC_IjEEEENSB_INSC_IfEEEEjNS9_4plusIvEENS9_8equal_toIvEEjEE10hipError_tPvRmT2_T3_T4_T5_mT6_T7_P12ihipStream_tbENKUlT_T0_E_clISt17integral_constantIbLb1EES12_IbLb0EEEEDaSY_SZ_EUlSY_E_NS1_11comp_targetILNS1_3genE4ELNS1_11target_archE910ELNS1_3gpuE8ELNS1_3repE0EEENS1_30default_config_static_selectorELNS0_4arch9wavefront6targetE1EEEvT1_,"axG",@progbits,_ZN7rocprim17ROCPRIM_400000_NS6detail17trampoline_kernelINS0_14default_configENS1_27scan_by_key_config_selectorIijEEZZNS1_16scan_by_key_implILNS1_25lookback_scan_determinismE0ELb0ES3_N6thrust23THRUST_200600_302600_NS6detail15normal_iteratorINS9_10device_ptrIiEEEENSB_INSC_IjEEEENSB_INSC_IfEEEEjNS9_4plusIvEENS9_8equal_toIvEEjEE10hipError_tPvRmT2_T3_T4_T5_mT6_T7_P12ihipStream_tbENKUlT_T0_E_clISt17integral_constantIbLb1EES12_IbLb0EEEEDaSY_SZ_EUlSY_E_NS1_11comp_targetILNS1_3genE4ELNS1_11target_archE910ELNS1_3gpuE8ELNS1_3repE0EEENS1_30default_config_static_selectorELNS0_4arch9wavefront6targetE1EEEvT1_,comdat
.Lfunc_end1665:
	.size	_ZN7rocprim17ROCPRIM_400000_NS6detail17trampoline_kernelINS0_14default_configENS1_27scan_by_key_config_selectorIijEEZZNS1_16scan_by_key_implILNS1_25lookback_scan_determinismE0ELb0ES3_N6thrust23THRUST_200600_302600_NS6detail15normal_iteratorINS9_10device_ptrIiEEEENSB_INSC_IjEEEENSB_INSC_IfEEEEjNS9_4plusIvEENS9_8equal_toIvEEjEE10hipError_tPvRmT2_T3_T4_T5_mT6_T7_P12ihipStream_tbENKUlT_T0_E_clISt17integral_constantIbLb1EES12_IbLb0EEEEDaSY_SZ_EUlSY_E_NS1_11comp_targetILNS1_3genE4ELNS1_11target_archE910ELNS1_3gpuE8ELNS1_3repE0EEENS1_30default_config_static_selectorELNS0_4arch9wavefront6targetE1EEEvT1_, .Lfunc_end1665-_ZN7rocprim17ROCPRIM_400000_NS6detail17trampoline_kernelINS0_14default_configENS1_27scan_by_key_config_selectorIijEEZZNS1_16scan_by_key_implILNS1_25lookback_scan_determinismE0ELb0ES3_N6thrust23THRUST_200600_302600_NS6detail15normal_iteratorINS9_10device_ptrIiEEEENSB_INSC_IjEEEENSB_INSC_IfEEEEjNS9_4plusIvEENS9_8equal_toIvEEjEE10hipError_tPvRmT2_T3_T4_T5_mT6_T7_P12ihipStream_tbENKUlT_T0_E_clISt17integral_constantIbLb1EES12_IbLb0EEEEDaSY_SZ_EUlSY_E_NS1_11comp_targetILNS1_3genE4ELNS1_11target_archE910ELNS1_3gpuE8ELNS1_3repE0EEENS1_30default_config_static_selectorELNS0_4arch9wavefront6targetE1EEEvT1_
                                        ; -- End function
	.section	.AMDGPU.csdata,"",@progbits
; Kernel info:
; codeLenInByte = 0
; NumSgprs: 6
; NumVgprs: 0
; NumAgprs: 0
; TotalNumVgprs: 0
; ScratchSize: 0
; MemoryBound: 0
; FloatMode: 240
; IeeeMode: 1
; LDSByteSize: 0 bytes/workgroup (compile time only)
; SGPRBlocks: 0
; VGPRBlocks: 0
; NumSGPRsForWavesPerEU: 6
; NumVGPRsForWavesPerEU: 1
; AccumOffset: 4
; Occupancy: 8
; WaveLimiterHint : 0
; COMPUTE_PGM_RSRC2:SCRATCH_EN: 0
; COMPUTE_PGM_RSRC2:USER_SGPR: 2
; COMPUTE_PGM_RSRC2:TRAP_HANDLER: 0
; COMPUTE_PGM_RSRC2:TGID_X_EN: 1
; COMPUTE_PGM_RSRC2:TGID_Y_EN: 0
; COMPUTE_PGM_RSRC2:TGID_Z_EN: 0
; COMPUTE_PGM_RSRC2:TIDIG_COMP_CNT: 0
; COMPUTE_PGM_RSRC3_GFX90A:ACCUM_OFFSET: 0
; COMPUTE_PGM_RSRC3_GFX90A:TG_SPLIT: 0
	.section	.text._ZN7rocprim17ROCPRIM_400000_NS6detail17trampoline_kernelINS0_14default_configENS1_27scan_by_key_config_selectorIijEEZZNS1_16scan_by_key_implILNS1_25lookback_scan_determinismE0ELb0ES3_N6thrust23THRUST_200600_302600_NS6detail15normal_iteratorINS9_10device_ptrIiEEEENSB_INSC_IjEEEENSB_INSC_IfEEEEjNS9_4plusIvEENS9_8equal_toIvEEjEE10hipError_tPvRmT2_T3_T4_T5_mT6_T7_P12ihipStream_tbENKUlT_T0_E_clISt17integral_constantIbLb1EES12_IbLb0EEEEDaSY_SZ_EUlSY_E_NS1_11comp_targetILNS1_3genE3ELNS1_11target_archE908ELNS1_3gpuE7ELNS1_3repE0EEENS1_30default_config_static_selectorELNS0_4arch9wavefront6targetE1EEEvT1_,"axG",@progbits,_ZN7rocprim17ROCPRIM_400000_NS6detail17trampoline_kernelINS0_14default_configENS1_27scan_by_key_config_selectorIijEEZZNS1_16scan_by_key_implILNS1_25lookback_scan_determinismE0ELb0ES3_N6thrust23THRUST_200600_302600_NS6detail15normal_iteratorINS9_10device_ptrIiEEEENSB_INSC_IjEEEENSB_INSC_IfEEEEjNS9_4plusIvEENS9_8equal_toIvEEjEE10hipError_tPvRmT2_T3_T4_T5_mT6_T7_P12ihipStream_tbENKUlT_T0_E_clISt17integral_constantIbLb1EES12_IbLb0EEEEDaSY_SZ_EUlSY_E_NS1_11comp_targetILNS1_3genE3ELNS1_11target_archE908ELNS1_3gpuE7ELNS1_3repE0EEENS1_30default_config_static_selectorELNS0_4arch9wavefront6targetE1EEEvT1_,comdat
	.protected	_ZN7rocprim17ROCPRIM_400000_NS6detail17trampoline_kernelINS0_14default_configENS1_27scan_by_key_config_selectorIijEEZZNS1_16scan_by_key_implILNS1_25lookback_scan_determinismE0ELb0ES3_N6thrust23THRUST_200600_302600_NS6detail15normal_iteratorINS9_10device_ptrIiEEEENSB_INSC_IjEEEENSB_INSC_IfEEEEjNS9_4plusIvEENS9_8equal_toIvEEjEE10hipError_tPvRmT2_T3_T4_T5_mT6_T7_P12ihipStream_tbENKUlT_T0_E_clISt17integral_constantIbLb1EES12_IbLb0EEEEDaSY_SZ_EUlSY_E_NS1_11comp_targetILNS1_3genE3ELNS1_11target_archE908ELNS1_3gpuE7ELNS1_3repE0EEENS1_30default_config_static_selectorELNS0_4arch9wavefront6targetE1EEEvT1_ ; -- Begin function _ZN7rocprim17ROCPRIM_400000_NS6detail17trampoline_kernelINS0_14default_configENS1_27scan_by_key_config_selectorIijEEZZNS1_16scan_by_key_implILNS1_25lookback_scan_determinismE0ELb0ES3_N6thrust23THRUST_200600_302600_NS6detail15normal_iteratorINS9_10device_ptrIiEEEENSB_INSC_IjEEEENSB_INSC_IfEEEEjNS9_4plusIvEENS9_8equal_toIvEEjEE10hipError_tPvRmT2_T3_T4_T5_mT6_T7_P12ihipStream_tbENKUlT_T0_E_clISt17integral_constantIbLb1EES12_IbLb0EEEEDaSY_SZ_EUlSY_E_NS1_11comp_targetILNS1_3genE3ELNS1_11target_archE908ELNS1_3gpuE7ELNS1_3repE0EEENS1_30default_config_static_selectorELNS0_4arch9wavefront6targetE1EEEvT1_
	.globl	_ZN7rocprim17ROCPRIM_400000_NS6detail17trampoline_kernelINS0_14default_configENS1_27scan_by_key_config_selectorIijEEZZNS1_16scan_by_key_implILNS1_25lookback_scan_determinismE0ELb0ES3_N6thrust23THRUST_200600_302600_NS6detail15normal_iteratorINS9_10device_ptrIiEEEENSB_INSC_IjEEEENSB_INSC_IfEEEEjNS9_4plusIvEENS9_8equal_toIvEEjEE10hipError_tPvRmT2_T3_T4_T5_mT6_T7_P12ihipStream_tbENKUlT_T0_E_clISt17integral_constantIbLb1EES12_IbLb0EEEEDaSY_SZ_EUlSY_E_NS1_11comp_targetILNS1_3genE3ELNS1_11target_archE908ELNS1_3gpuE7ELNS1_3repE0EEENS1_30default_config_static_selectorELNS0_4arch9wavefront6targetE1EEEvT1_
	.p2align	8
	.type	_ZN7rocprim17ROCPRIM_400000_NS6detail17trampoline_kernelINS0_14default_configENS1_27scan_by_key_config_selectorIijEEZZNS1_16scan_by_key_implILNS1_25lookback_scan_determinismE0ELb0ES3_N6thrust23THRUST_200600_302600_NS6detail15normal_iteratorINS9_10device_ptrIiEEEENSB_INSC_IjEEEENSB_INSC_IfEEEEjNS9_4plusIvEENS9_8equal_toIvEEjEE10hipError_tPvRmT2_T3_T4_T5_mT6_T7_P12ihipStream_tbENKUlT_T0_E_clISt17integral_constantIbLb1EES12_IbLb0EEEEDaSY_SZ_EUlSY_E_NS1_11comp_targetILNS1_3genE3ELNS1_11target_archE908ELNS1_3gpuE7ELNS1_3repE0EEENS1_30default_config_static_selectorELNS0_4arch9wavefront6targetE1EEEvT1_,@function
_ZN7rocprim17ROCPRIM_400000_NS6detail17trampoline_kernelINS0_14default_configENS1_27scan_by_key_config_selectorIijEEZZNS1_16scan_by_key_implILNS1_25lookback_scan_determinismE0ELb0ES3_N6thrust23THRUST_200600_302600_NS6detail15normal_iteratorINS9_10device_ptrIiEEEENSB_INSC_IjEEEENSB_INSC_IfEEEEjNS9_4plusIvEENS9_8equal_toIvEEjEE10hipError_tPvRmT2_T3_T4_T5_mT6_T7_P12ihipStream_tbENKUlT_T0_E_clISt17integral_constantIbLb1EES12_IbLb0EEEEDaSY_SZ_EUlSY_E_NS1_11comp_targetILNS1_3genE3ELNS1_11target_archE908ELNS1_3gpuE7ELNS1_3repE0EEENS1_30default_config_static_selectorELNS0_4arch9wavefront6targetE1EEEvT1_: ; @_ZN7rocprim17ROCPRIM_400000_NS6detail17trampoline_kernelINS0_14default_configENS1_27scan_by_key_config_selectorIijEEZZNS1_16scan_by_key_implILNS1_25lookback_scan_determinismE0ELb0ES3_N6thrust23THRUST_200600_302600_NS6detail15normal_iteratorINS9_10device_ptrIiEEEENSB_INSC_IjEEEENSB_INSC_IfEEEEjNS9_4plusIvEENS9_8equal_toIvEEjEE10hipError_tPvRmT2_T3_T4_T5_mT6_T7_P12ihipStream_tbENKUlT_T0_E_clISt17integral_constantIbLb1EES12_IbLb0EEEEDaSY_SZ_EUlSY_E_NS1_11comp_targetILNS1_3genE3ELNS1_11target_archE908ELNS1_3gpuE7ELNS1_3repE0EEENS1_30default_config_static_selectorELNS0_4arch9wavefront6targetE1EEEvT1_
; %bb.0:
	.section	.rodata,"a",@progbits
	.p2align	6, 0x0
	.amdhsa_kernel _ZN7rocprim17ROCPRIM_400000_NS6detail17trampoline_kernelINS0_14default_configENS1_27scan_by_key_config_selectorIijEEZZNS1_16scan_by_key_implILNS1_25lookback_scan_determinismE0ELb0ES3_N6thrust23THRUST_200600_302600_NS6detail15normal_iteratorINS9_10device_ptrIiEEEENSB_INSC_IjEEEENSB_INSC_IfEEEEjNS9_4plusIvEENS9_8equal_toIvEEjEE10hipError_tPvRmT2_T3_T4_T5_mT6_T7_P12ihipStream_tbENKUlT_T0_E_clISt17integral_constantIbLb1EES12_IbLb0EEEEDaSY_SZ_EUlSY_E_NS1_11comp_targetILNS1_3genE3ELNS1_11target_archE908ELNS1_3gpuE7ELNS1_3repE0EEENS1_30default_config_static_selectorELNS0_4arch9wavefront6targetE1EEEvT1_
		.amdhsa_group_segment_fixed_size 0
		.amdhsa_private_segment_fixed_size 0
		.amdhsa_kernarg_size 112
		.amdhsa_user_sgpr_count 2
		.amdhsa_user_sgpr_dispatch_ptr 0
		.amdhsa_user_sgpr_queue_ptr 0
		.amdhsa_user_sgpr_kernarg_segment_ptr 1
		.amdhsa_user_sgpr_dispatch_id 0
		.amdhsa_user_sgpr_kernarg_preload_length 0
		.amdhsa_user_sgpr_kernarg_preload_offset 0
		.amdhsa_user_sgpr_private_segment_size 0
		.amdhsa_uses_dynamic_stack 0
		.amdhsa_enable_private_segment 0
		.amdhsa_system_sgpr_workgroup_id_x 1
		.amdhsa_system_sgpr_workgroup_id_y 0
		.amdhsa_system_sgpr_workgroup_id_z 0
		.amdhsa_system_sgpr_workgroup_info 0
		.amdhsa_system_vgpr_workitem_id 0
		.amdhsa_next_free_vgpr 1
		.amdhsa_next_free_sgpr 0
		.amdhsa_accum_offset 4
		.amdhsa_reserve_vcc 0
		.amdhsa_float_round_mode_32 0
		.amdhsa_float_round_mode_16_64 0
		.amdhsa_float_denorm_mode_32 3
		.amdhsa_float_denorm_mode_16_64 3
		.amdhsa_dx10_clamp 1
		.amdhsa_ieee_mode 1
		.amdhsa_fp16_overflow 0
		.amdhsa_tg_split 0
		.amdhsa_exception_fp_ieee_invalid_op 0
		.amdhsa_exception_fp_denorm_src 0
		.amdhsa_exception_fp_ieee_div_zero 0
		.amdhsa_exception_fp_ieee_overflow 0
		.amdhsa_exception_fp_ieee_underflow 0
		.amdhsa_exception_fp_ieee_inexact 0
		.amdhsa_exception_int_div_zero 0
	.end_amdhsa_kernel
	.section	.text._ZN7rocprim17ROCPRIM_400000_NS6detail17trampoline_kernelINS0_14default_configENS1_27scan_by_key_config_selectorIijEEZZNS1_16scan_by_key_implILNS1_25lookback_scan_determinismE0ELb0ES3_N6thrust23THRUST_200600_302600_NS6detail15normal_iteratorINS9_10device_ptrIiEEEENSB_INSC_IjEEEENSB_INSC_IfEEEEjNS9_4plusIvEENS9_8equal_toIvEEjEE10hipError_tPvRmT2_T3_T4_T5_mT6_T7_P12ihipStream_tbENKUlT_T0_E_clISt17integral_constantIbLb1EES12_IbLb0EEEEDaSY_SZ_EUlSY_E_NS1_11comp_targetILNS1_3genE3ELNS1_11target_archE908ELNS1_3gpuE7ELNS1_3repE0EEENS1_30default_config_static_selectorELNS0_4arch9wavefront6targetE1EEEvT1_,"axG",@progbits,_ZN7rocprim17ROCPRIM_400000_NS6detail17trampoline_kernelINS0_14default_configENS1_27scan_by_key_config_selectorIijEEZZNS1_16scan_by_key_implILNS1_25lookback_scan_determinismE0ELb0ES3_N6thrust23THRUST_200600_302600_NS6detail15normal_iteratorINS9_10device_ptrIiEEEENSB_INSC_IjEEEENSB_INSC_IfEEEEjNS9_4plusIvEENS9_8equal_toIvEEjEE10hipError_tPvRmT2_T3_T4_T5_mT6_T7_P12ihipStream_tbENKUlT_T0_E_clISt17integral_constantIbLb1EES12_IbLb0EEEEDaSY_SZ_EUlSY_E_NS1_11comp_targetILNS1_3genE3ELNS1_11target_archE908ELNS1_3gpuE7ELNS1_3repE0EEENS1_30default_config_static_selectorELNS0_4arch9wavefront6targetE1EEEvT1_,comdat
.Lfunc_end1666:
	.size	_ZN7rocprim17ROCPRIM_400000_NS6detail17trampoline_kernelINS0_14default_configENS1_27scan_by_key_config_selectorIijEEZZNS1_16scan_by_key_implILNS1_25lookback_scan_determinismE0ELb0ES3_N6thrust23THRUST_200600_302600_NS6detail15normal_iteratorINS9_10device_ptrIiEEEENSB_INSC_IjEEEENSB_INSC_IfEEEEjNS9_4plusIvEENS9_8equal_toIvEEjEE10hipError_tPvRmT2_T3_T4_T5_mT6_T7_P12ihipStream_tbENKUlT_T0_E_clISt17integral_constantIbLb1EES12_IbLb0EEEEDaSY_SZ_EUlSY_E_NS1_11comp_targetILNS1_3genE3ELNS1_11target_archE908ELNS1_3gpuE7ELNS1_3repE0EEENS1_30default_config_static_selectorELNS0_4arch9wavefront6targetE1EEEvT1_, .Lfunc_end1666-_ZN7rocprim17ROCPRIM_400000_NS6detail17trampoline_kernelINS0_14default_configENS1_27scan_by_key_config_selectorIijEEZZNS1_16scan_by_key_implILNS1_25lookback_scan_determinismE0ELb0ES3_N6thrust23THRUST_200600_302600_NS6detail15normal_iteratorINS9_10device_ptrIiEEEENSB_INSC_IjEEEENSB_INSC_IfEEEEjNS9_4plusIvEENS9_8equal_toIvEEjEE10hipError_tPvRmT2_T3_T4_T5_mT6_T7_P12ihipStream_tbENKUlT_T0_E_clISt17integral_constantIbLb1EES12_IbLb0EEEEDaSY_SZ_EUlSY_E_NS1_11comp_targetILNS1_3genE3ELNS1_11target_archE908ELNS1_3gpuE7ELNS1_3repE0EEENS1_30default_config_static_selectorELNS0_4arch9wavefront6targetE1EEEvT1_
                                        ; -- End function
	.section	.AMDGPU.csdata,"",@progbits
; Kernel info:
; codeLenInByte = 0
; NumSgprs: 6
; NumVgprs: 0
; NumAgprs: 0
; TotalNumVgprs: 0
; ScratchSize: 0
; MemoryBound: 0
; FloatMode: 240
; IeeeMode: 1
; LDSByteSize: 0 bytes/workgroup (compile time only)
; SGPRBlocks: 0
; VGPRBlocks: 0
; NumSGPRsForWavesPerEU: 6
; NumVGPRsForWavesPerEU: 1
; AccumOffset: 4
; Occupancy: 8
; WaveLimiterHint : 0
; COMPUTE_PGM_RSRC2:SCRATCH_EN: 0
; COMPUTE_PGM_RSRC2:USER_SGPR: 2
; COMPUTE_PGM_RSRC2:TRAP_HANDLER: 0
; COMPUTE_PGM_RSRC2:TGID_X_EN: 1
; COMPUTE_PGM_RSRC2:TGID_Y_EN: 0
; COMPUTE_PGM_RSRC2:TGID_Z_EN: 0
; COMPUTE_PGM_RSRC2:TIDIG_COMP_CNT: 0
; COMPUTE_PGM_RSRC3_GFX90A:ACCUM_OFFSET: 0
; COMPUTE_PGM_RSRC3_GFX90A:TG_SPLIT: 0
	.section	.text._ZN7rocprim17ROCPRIM_400000_NS6detail17trampoline_kernelINS0_14default_configENS1_27scan_by_key_config_selectorIijEEZZNS1_16scan_by_key_implILNS1_25lookback_scan_determinismE0ELb0ES3_N6thrust23THRUST_200600_302600_NS6detail15normal_iteratorINS9_10device_ptrIiEEEENSB_INSC_IjEEEENSB_INSC_IfEEEEjNS9_4plusIvEENS9_8equal_toIvEEjEE10hipError_tPvRmT2_T3_T4_T5_mT6_T7_P12ihipStream_tbENKUlT_T0_E_clISt17integral_constantIbLb1EES12_IbLb0EEEEDaSY_SZ_EUlSY_E_NS1_11comp_targetILNS1_3genE2ELNS1_11target_archE906ELNS1_3gpuE6ELNS1_3repE0EEENS1_30default_config_static_selectorELNS0_4arch9wavefront6targetE1EEEvT1_,"axG",@progbits,_ZN7rocprim17ROCPRIM_400000_NS6detail17trampoline_kernelINS0_14default_configENS1_27scan_by_key_config_selectorIijEEZZNS1_16scan_by_key_implILNS1_25lookback_scan_determinismE0ELb0ES3_N6thrust23THRUST_200600_302600_NS6detail15normal_iteratorINS9_10device_ptrIiEEEENSB_INSC_IjEEEENSB_INSC_IfEEEEjNS9_4plusIvEENS9_8equal_toIvEEjEE10hipError_tPvRmT2_T3_T4_T5_mT6_T7_P12ihipStream_tbENKUlT_T0_E_clISt17integral_constantIbLb1EES12_IbLb0EEEEDaSY_SZ_EUlSY_E_NS1_11comp_targetILNS1_3genE2ELNS1_11target_archE906ELNS1_3gpuE6ELNS1_3repE0EEENS1_30default_config_static_selectorELNS0_4arch9wavefront6targetE1EEEvT1_,comdat
	.protected	_ZN7rocprim17ROCPRIM_400000_NS6detail17trampoline_kernelINS0_14default_configENS1_27scan_by_key_config_selectorIijEEZZNS1_16scan_by_key_implILNS1_25lookback_scan_determinismE0ELb0ES3_N6thrust23THRUST_200600_302600_NS6detail15normal_iteratorINS9_10device_ptrIiEEEENSB_INSC_IjEEEENSB_INSC_IfEEEEjNS9_4plusIvEENS9_8equal_toIvEEjEE10hipError_tPvRmT2_T3_T4_T5_mT6_T7_P12ihipStream_tbENKUlT_T0_E_clISt17integral_constantIbLb1EES12_IbLb0EEEEDaSY_SZ_EUlSY_E_NS1_11comp_targetILNS1_3genE2ELNS1_11target_archE906ELNS1_3gpuE6ELNS1_3repE0EEENS1_30default_config_static_selectorELNS0_4arch9wavefront6targetE1EEEvT1_ ; -- Begin function _ZN7rocprim17ROCPRIM_400000_NS6detail17trampoline_kernelINS0_14default_configENS1_27scan_by_key_config_selectorIijEEZZNS1_16scan_by_key_implILNS1_25lookback_scan_determinismE0ELb0ES3_N6thrust23THRUST_200600_302600_NS6detail15normal_iteratorINS9_10device_ptrIiEEEENSB_INSC_IjEEEENSB_INSC_IfEEEEjNS9_4plusIvEENS9_8equal_toIvEEjEE10hipError_tPvRmT2_T3_T4_T5_mT6_T7_P12ihipStream_tbENKUlT_T0_E_clISt17integral_constantIbLb1EES12_IbLb0EEEEDaSY_SZ_EUlSY_E_NS1_11comp_targetILNS1_3genE2ELNS1_11target_archE906ELNS1_3gpuE6ELNS1_3repE0EEENS1_30default_config_static_selectorELNS0_4arch9wavefront6targetE1EEEvT1_
	.globl	_ZN7rocprim17ROCPRIM_400000_NS6detail17trampoline_kernelINS0_14default_configENS1_27scan_by_key_config_selectorIijEEZZNS1_16scan_by_key_implILNS1_25lookback_scan_determinismE0ELb0ES3_N6thrust23THRUST_200600_302600_NS6detail15normal_iteratorINS9_10device_ptrIiEEEENSB_INSC_IjEEEENSB_INSC_IfEEEEjNS9_4plusIvEENS9_8equal_toIvEEjEE10hipError_tPvRmT2_T3_T4_T5_mT6_T7_P12ihipStream_tbENKUlT_T0_E_clISt17integral_constantIbLb1EES12_IbLb0EEEEDaSY_SZ_EUlSY_E_NS1_11comp_targetILNS1_3genE2ELNS1_11target_archE906ELNS1_3gpuE6ELNS1_3repE0EEENS1_30default_config_static_selectorELNS0_4arch9wavefront6targetE1EEEvT1_
	.p2align	8
	.type	_ZN7rocprim17ROCPRIM_400000_NS6detail17trampoline_kernelINS0_14default_configENS1_27scan_by_key_config_selectorIijEEZZNS1_16scan_by_key_implILNS1_25lookback_scan_determinismE0ELb0ES3_N6thrust23THRUST_200600_302600_NS6detail15normal_iteratorINS9_10device_ptrIiEEEENSB_INSC_IjEEEENSB_INSC_IfEEEEjNS9_4plusIvEENS9_8equal_toIvEEjEE10hipError_tPvRmT2_T3_T4_T5_mT6_T7_P12ihipStream_tbENKUlT_T0_E_clISt17integral_constantIbLb1EES12_IbLb0EEEEDaSY_SZ_EUlSY_E_NS1_11comp_targetILNS1_3genE2ELNS1_11target_archE906ELNS1_3gpuE6ELNS1_3repE0EEENS1_30default_config_static_selectorELNS0_4arch9wavefront6targetE1EEEvT1_,@function
_ZN7rocprim17ROCPRIM_400000_NS6detail17trampoline_kernelINS0_14default_configENS1_27scan_by_key_config_selectorIijEEZZNS1_16scan_by_key_implILNS1_25lookback_scan_determinismE0ELb0ES3_N6thrust23THRUST_200600_302600_NS6detail15normal_iteratorINS9_10device_ptrIiEEEENSB_INSC_IjEEEENSB_INSC_IfEEEEjNS9_4plusIvEENS9_8equal_toIvEEjEE10hipError_tPvRmT2_T3_T4_T5_mT6_T7_P12ihipStream_tbENKUlT_T0_E_clISt17integral_constantIbLb1EES12_IbLb0EEEEDaSY_SZ_EUlSY_E_NS1_11comp_targetILNS1_3genE2ELNS1_11target_archE906ELNS1_3gpuE6ELNS1_3repE0EEENS1_30default_config_static_selectorELNS0_4arch9wavefront6targetE1EEEvT1_: ; @_ZN7rocprim17ROCPRIM_400000_NS6detail17trampoline_kernelINS0_14default_configENS1_27scan_by_key_config_selectorIijEEZZNS1_16scan_by_key_implILNS1_25lookback_scan_determinismE0ELb0ES3_N6thrust23THRUST_200600_302600_NS6detail15normal_iteratorINS9_10device_ptrIiEEEENSB_INSC_IjEEEENSB_INSC_IfEEEEjNS9_4plusIvEENS9_8equal_toIvEEjEE10hipError_tPvRmT2_T3_T4_T5_mT6_T7_P12ihipStream_tbENKUlT_T0_E_clISt17integral_constantIbLb1EES12_IbLb0EEEEDaSY_SZ_EUlSY_E_NS1_11comp_targetILNS1_3genE2ELNS1_11target_archE906ELNS1_3gpuE6ELNS1_3repE0EEENS1_30default_config_static_selectorELNS0_4arch9wavefront6targetE1EEEvT1_
; %bb.0:
	.section	.rodata,"a",@progbits
	.p2align	6, 0x0
	.amdhsa_kernel _ZN7rocprim17ROCPRIM_400000_NS6detail17trampoline_kernelINS0_14default_configENS1_27scan_by_key_config_selectorIijEEZZNS1_16scan_by_key_implILNS1_25lookback_scan_determinismE0ELb0ES3_N6thrust23THRUST_200600_302600_NS6detail15normal_iteratorINS9_10device_ptrIiEEEENSB_INSC_IjEEEENSB_INSC_IfEEEEjNS9_4plusIvEENS9_8equal_toIvEEjEE10hipError_tPvRmT2_T3_T4_T5_mT6_T7_P12ihipStream_tbENKUlT_T0_E_clISt17integral_constantIbLb1EES12_IbLb0EEEEDaSY_SZ_EUlSY_E_NS1_11comp_targetILNS1_3genE2ELNS1_11target_archE906ELNS1_3gpuE6ELNS1_3repE0EEENS1_30default_config_static_selectorELNS0_4arch9wavefront6targetE1EEEvT1_
		.amdhsa_group_segment_fixed_size 0
		.amdhsa_private_segment_fixed_size 0
		.amdhsa_kernarg_size 112
		.amdhsa_user_sgpr_count 2
		.amdhsa_user_sgpr_dispatch_ptr 0
		.amdhsa_user_sgpr_queue_ptr 0
		.amdhsa_user_sgpr_kernarg_segment_ptr 1
		.amdhsa_user_sgpr_dispatch_id 0
		.amdhsa_user_sgpr_kernarg_preload_length 0
		.amdhsa_user_sgpr_kernarg_preload_offset 0
		.amdhsa_user_sgpr_private_segment_size 0
		.amdhsa_uses_dynamic_stack 0
		.amdhsa_enable_private_segment 0
		.amdhsa_system_sgpr_workgroup_id_x 1
		.amdhsa_system_sgpr_workgroup_id_y 0
		.amdhsa_system_sgpr_workgroup_id_z 0
		.amdhsa_system_sgpr_workgroup_info 0
		.amdhsa_system_vgpr_workitem_id 0
		.amdhsa_next_free_vgpr 1
		.amdhsa_next_free_sgpr 0
		.amdhsa_accum_offset 4
		.amdhsa_reserve_vcc 0
		.amdhsa_float_round_mode_32 0
		.amdhsa_float_round_mode_16_64 0
		.amdhsa_float_denorm_mode_32 3
		.amdhsa_float_denorm_mode_16_64 3
		.amdhsa_dx10_clamp 1
		.amdhsa_ieee_mode 1
		.amdhsa_fp16_overflow 0
		.amdhsa_tg_split 0
		.amdhsa_exception_fp_ieee_invalid_op 0
		.amdhsa_exception_fp_denorm_src 0
		.amdhsa_exception_fp_ieee_div_zero 0
		.amdhsa_exception_fp_ieee_overflow 0
		.amdhsa_exception_fp_ieee_underflow 0
		.amdhsa_exception_fp_ieee_inexact 0
		.amdhsa_exception_int_div_zero 0
	.end_amdhsa_kernel
	.section	.text._ZN7rocprim17ROCPRIM_400000_NS6detail17trampoline_kernelINS0_14default_configENS1_27scan_by_key_config_selectorIijEEZZNS1_16scan_by_key_implILNS1_25lookback_scan_determinismE0ELb0ES3_N6thrust23THRUST_200600_302600_NS6detail15normal_iteratorINS9_10device_ptrIiEEEENSB_INSC_IjEEEENSB_INSC_IfEEEEjNS9_4plusIvEENS9_8equal_toIvEEjEE10hipError_tPvRmT2_T3_T4_T5_mT6_T7_P12ihipStream_tbENKUlT_T0_E_clISt17integral_constantIbLb1EES12_IbLb0EEEEDaSY_SZ_EUlSY_E_NS1_11comp_targetILNS1_3genE2ELNS1_11target_archE906ELNS1_3gpuE6ELNS1_3repE0EEENS1_30default_config_static_selectorELNS0_4arch9wavefront6targetE1EEEvT1_,"axG",@progbits,_ZN7rocprim17ROCPRIM_400000_NS6detail17trampoline_kernelINS0_14default_configENS1_27scan_by_key_config_selectorIijEEZZNS1_16scan_by_key_implILNS1_25lookback_scan_determinismE0ELb0ES3_N6thrust23THRUST_200600_302600_NS6detail15normal_iteratorINS9_10device_ptrIiEEEENSB_INSC_IjEEEENSB_INSC_IfEEEEjNS9_4plusIvEENS9_8equal_toIvEEjEE10hipError_tPvRmT2_T3_T4_T5_mT6_T7_P12ihipStream_tbENKUlT_T0_E_clISt17integral_constantIbLb1EES12_IbLb0EEEEDaSY_SZ_EUlSY_E_NS1_11comp_targetILNS1_3genE2ELNS1_11target_archE906ELNS1_3gpuE6ELNS1_3repE0EEENS1_30default_config_static_selectorELNS0_4arch9wavefront6targetE1EEEvT1_,comdat
.Lfunc_end1667:
	.size	_ZN7rocprim17ROCPRIM_400000_NS6detail17trampoline_kernelINS0_14default_configENS1_27scan_by_key_config_selectorIijEEZZNS1_16scan_by_key_implILNS1_25lookback_scan_determinismE0ELb0ES3_N6thrust23THRUST_200600_302600_NS6detail15normal_iteratorINS9_10device_ptrIiEEEENSB_INSC_IjEEEENSB_INSC_IfEEEEjNS9_4plusIvEENS9_8equal_toIvEEjEE10hipError_tPvRmT2_T3_T4_T5_mT6_T7_P12ihipStream_tbENKUlT_T0_E_clISt17integral_constantIbLb1EES12_IbLb0EEEEDaSY_SZ_EUlSY_E_NS1_11comp_targetILNS1_3genE2ELNS1_11target_archE906ELNS1_3gpuE6ELNS1_3repE0EEENS1_30default_config_static_selectorELNS0_4arch9wavefront6targetE1EEEvT1_, .Lfunc_end1667-_ZN7rocprim17ROCPRIM_400000_NS6detail17trampoline_kernelINS0_14default_configENS1_27scan_by_key_config_selectorIijEEZZNS1_16scan_by_key_implILNS1_25lookback_scan_determinismE0ELb0ES3_N6thrust23THRUST_200600_302600_NS6detail15normal_iteratorINS9_10device_ptrIiEEEENSB_INSC_IjEEEENSB_INSC_IfEEEEjNS9_4plusIvEENS9_8equal_toIvEEjEE10hipError_tPvRmT2_T3_T4_T5_mT6_T7_P12ihipStream_tbENKUlT_T0_E_clISt17integral_constantIbLb1EES12_IbLb0EEEEDaSY_SZ_EUlSY_E_NS1_11comp_targetILNS1_3genE2ELNS1_11target_archE906ELNS1_3gpuE6ELNS1_3repE0EEENS1_30default_config_static_selectorELNS0_4arch9wavefront6targetE1EEEvT1_
                                        ; -- End function
	.section	.AMDGPU.csdata,"",@progbits
; Kernel info:
; codeLenInByte = 0
; NumSgprs: 6
; NumVgprs: 0
; NumAgprs: 0
; TotalNumVgprs: 0
; ScratchSize: 0
; MemoryBound: 0
; FloatMode: 240
; IeeeMode: 1
; LDSByteSize: 0 bytes/workgroup (compile time only)
; SGPRBlocks: 0
; VGPRBlocks: 0
; NumSGPRsForWavesPerEU: 6
; NumVGPRsForWavesPerEU: 1
; AccumOffset: 4
; Occupancy: 8
; WaveLimiterHint : 0
; COMPUTE_PGM_RSRC2:SCRATCH_EN: 0
; COMPUTE_PGM_RSRC2:USER_SGPR: 2
; COMPUTE_PGM_RSRC2:TRAP_HANDLER: 0
; COMPUTE_PGM_RSRC2:TGID_X_EN: 1
; COMPUTE_PGM_RSRC2:TGID_Y_EN: 0
; COMPUTE_PGM_RSRC2:TGID_Z_EN: 0
; COMPUTE_PGM_RSRC2:TIDIG_COMP_CNT: 0
; COMPUTE_PGM_RSRC3_GFX90A:ACCUM_OFFSET: 0
; COMPUTE_PGM_RSRC3_GFX90A:TG_SPLIT: 0
	.section	.text._ZN7rocprim17ROCPRIM_400000_NS6detail17trampoline_kernelINS0_14default_configENS1_27scan_by_key_config_selectorIijEEZZNS1_16scan_by_key_implILNS1_25lookback_scan_determinismE0ELb0ES3_N6thrust23THRUST_200600_302600_NS6detail15normal_iteratorINS9_10device_ptrIiEEEENSB_INSC_IjEEEENSB_INSC_IfEEEEjNS9_4plusIvEENS9_8equal_toIvEEjEE10hipError_tPvRmT2_T3_T4_T5_mT6_T7_P12ihipStream_tbENKUlT_T0_E_clISt17integral_constantIbLb1EES12_IbLb0EEEEDaSY_SZ_EUlSY_E_NS1_11comp_targetILNS1_3genE10ELNS1_11target_archE1200ELNS1_3gpuE4ELNS1_3repE0EEENS1_30default_config_static_selectorELNS0_4arch9wavefront6targetE1EEEvT1_,"axG",@progbits,_ZN7rocprim17ROCPRIM_400000_NS6detail17trampoline_kernelINS0_14default_configENS1_27scan_by_key_config_selectorIijEEZZNS1_16scan_by_key_implILNS1_25lookback_scan_determinismE0ELb0ES3_N6thrust23THRUST_200600_302600_NS6detail15normal_iteratorINS9_10device_ptrIiEEEENSB_INSC_IjEEEENSB_INSC_IfEEEEjNS9_4plusIvEENS9_8equal_toIvEEjEE10hipError_tPvRmT2_T3_T4_T5_mT6_T7_P12ihipStream_tbENKUlT_T0_E_clISt17integral_constantIbLb1EES12_IbLb0EEEEDaSY_SZ_EUlSY_E_NS1_11comp_targetILNS1_3genE10ELNS1_11target_archE1200ELNS1_3gpuE4ELNS1_3repE0EEENS1_30default_config_static_selectorELNS0_4arch9wavefront6targetE1EEEvT1_,comdat
	.protected	_ZN7rocprim17ROCPRIM_400000_NS6detail17trampoline_kernelINS0_14default_configENS1_27scan_by_key_config_selectorIijEEZZNS1_16scan_by_key_implILNS1_25lookback_scan_determinismE0ELb0ES3_N6thrust23THRUST_200600_302600_NS6detail15normal_iteratorINS9_10device_ptrIiEEEENSB_INSC_IjEEEENSB_INSC_IfEEEEjNS9_4plusIvEENS9_8equal_toIvEEjEE10hipError_tPvRmT2_T3_T4_T5_mT6_T7_P12ihipStream_tbENKUlT_T0_E_clISt17integral_constantIbLb1EES12_IbLb0EEEEDaSY_SZ_EUlSY_E_NS1_11comp_targetILNS1_3genE10ELNS1_11target_archE1200ELNS1_3gpuE4ELNS1_3repE0EEENS1_30default_config_static_selectorELNS0_4arch9wavefront6targetE1EEEvT1_ ; -- Begin function _ZN7rocprim17ROCPRIM_400000_NS6detail17trampoline_kernelINS0_14default_configENS1_27scan_by_key_config_selectorIijEEZZNS1_16scan_by_key_implILNS1_25lookback_scan_determinismE0ELb0ES3_N6thrust23THRUST_200600_302600_NS6detail15normal_iteratorINS9_10device_ptrIiEEEENSB_INSC_IjEEEENSB_INSC_IfEEEEjNS9_4plusIvEENS9_8equal_toIvEEjEE10hipError_tPvRmT2_T3_T4_T5_mT6_T7_P12ihipStream_tbENKUlT_T0_E_clISt17integral_constantIbLb1EES12_IbLb0EEEEDaSY_SZ_EUlSY_E_NS1_11comp_targetILNS1_3genE10ELNS1_11target_archE1200ELNS1_3gpuE4ELNS1_3repE0EEENS1_30default_config_static_selectorELNS0_4arch9wavefront6targetE1EEEvT1_
	.globl	_ZN7rocprim17ROCPRIM_400000_NS6detail17trampoline_kernelINS0_14default_configENS1_27scan_by_key_config_selectorIijEEZZNS1_16scan_by_key_implILNS1_25lookback_scan_determinismE0ELb0ES3_N6thrust23THRUST_200600_302600_NS6detail15normal_iteratorINS9_10device_ptrIiEEEENSB_INSC_IjEEEENSB_INSC_IfEEEEjNS9_4plusIvEENS9_8equal_toIvEEjEE10hipError_tPvRmT2_T3_T4_T5_mT6_T7_P12ihipStream_tbENKUlT_T0_E_clISt17integral_constantIbLb1EES12_IbLb0EEEEDaSY_SZ_EUlSY_E_NS1_11comp_targetILNS1_3genE10ELNS1_11target_archE1200ELNS1_3gpuE4ELNS1_3repE0EEENS1_30default_config_static_selectorELNS0_4arch9wavefront6targetE1EEEvT1_
	.p2align	8
	.type	_ZN7rocprim17ROCPRIM_400000_NS6detail17trampoline_kernelINS0_14default_configENS1_27scan_by_key_config_selectorIijEEZZNS1_16scan_by_key_implILNS1_25lookback_scan_determinismE0ELb0ES3_N6thrust23THRUST_200600_302600_NS6detail15normal_iteratorINS9_10device_ptrIiEEEENSB_INSC_IjEEEENSB_INSC_IfEEEEjNS9_4plusIvEENS9_8equal_toIvEEjEE10hipError_tPvRmT2_T3_T4_T5_mT6_T7_P12ihipStream_tbENKUlT_T0_E_clISt17integral_constantIbLb1EES12_IbLb0EEEEDaSY_SZ_EUlSY_E_NS1_11comp_targetILNS1_3genE10ELNS1_11target_archE1200ELNS1_3gpuE4ELNS1_3repE0EEENS1_30default_config_static_selectorELNS0_4arch9wavefront6targetE1EEEvT1_,@function
_ZN7rocprim17ROCPRIM_400000_NS6detail17trampoline_kernelINS0_14default_configENS1_27scan_by_key_config_selectorIijEEZZNS1_16scan_by_key_implILNS1_25lookback_scan_determinismE0ELb0ES3_N6thrust23THRUST_200600_302600_NS6detail15normal_iteratorINS9_10device_ptrIiEEEENSB_INSC_IjEEEENSB_INSC_IfEEEEjNS9_4plusIvEENS9_8equal_toIvEEjEE10hipError_tPvRmT2_T3_T4_T5_mT6_T7_P12ihipStream_tbENKUlT_T0_E_clISt17integral_constantIbLb1EES12_IbLb0EEEEDaSY_SZ_EUlSY_E_NS1_11comp_targetILNS1_3genE10ELNS1_11target_archE1200ELNS1_3gpuE4ELNS1_3repE0EEENS1_30default_config_static_selectorELNS0_4arch9wavefront6targetE1EEEvT1_: ; @_ZN7rocprim17ROCPRIM_400000_NS6detail17trampoline_kernelINS0_14default_configENS1_27scan_by_key_config_selectorIijEEZZNS1_16scan_by_key_implILNS1_25lookback_scan_determinismE0ELb0ES3_N6thrust23THRUST_200600_302600_NS6detail15normal_iteratorINS9_10device_ptrIiEEEENSB_INSC_IjEEEENSB_INSC_IfEEEEjNS9_4plusIvEENS9_8equal_toIvEEjEE10hipError_tPvRmT2_T3_T4_T5_mT6_T7_P12ihipStream_tbENKUlT_T0_E_clISt17integral_constantIbLb1EES12_IbLb0EEEEDaSY_SZ_EUlSY_E_NS1_11comp_targetILNS1_3genE10ELNS1_11target_archE1200ELNS1_3gpuE4ELNS1_3repE0EEENS1_30default_config_static_selectorELNS0_4arch9wavefront6targetE1EEEvT1_
; %bb.0:
	.section	.rodata,"a",@progbits
	.p2align	6, 0x0
	.amdhsa_kernel _ZN7rocprim17ROCPRIM_400000_NS6detail17trampoline_kernelINS0_14default_configENS1_27scan_by_key_config_selectorIijEEZZNS1_16scan_by_key_implILNS1_25lookback_scan_determinismE0ELb0ES3_N6thrust23THRUST_200600_302600_NS6detail15normal_iteratorINS9_10device_ptrIiEEEENSB_INSC_IjEEEENSB_INSC_IfEEEEjNS9_4plusIvEENS9_8equal_toIvEEjEE10hipError_tPvRmT2_T3_T4_T5_mT6_T7_P12ihipStream_tbENKUlT_T0_E_clISt17integral_constantIbLb1EES12_IbLb0EEEEDaSY_SZ_EUlSY_E_NS1_11comp_targetILNS1_3genE10ELNS1_11target_archE1200ELNS1_3gpuE4ELNS1_3repE0EEENS1_30default_config_static_selectorELNS0_4arch9wavefront6targetE1EEEvT1_
		.amdhsa_group_segment_fixed_size 0
		.amdhsa_private_segment_fixed_size 0
		.amdhsa_kernarg_size 112
		.amdhsa_user_sgpr_count 2
		.amdhsa_user_sgpr_dispatch_ptr 0
		.amdhsa_user_sgpr_queue_ptr 0
		.amdhsa_user_sgpr_kernarg_segment_ptr 1
		.amdhsa_user_sgpr_dispatch_id 0
		.amdhsa_user_sgpr_kernarg_preload_length 0
		.amdhsa_user_sgpr_kernarg_preload_offset 0
		.amdhsa_user_sgpr_private_segment_size 0
		.amdhsa_uses_dynamic_stack 0
		.amdhsa_enable_private_segment 0
		.amdhsa_system_sgpr_workgroup_id_x 1
		.amdhsa_system_sgpr_workgroup_id_y 0
		.amdhsa_system_sgpr_workgroup_id_z 0
		.amdhsa_system_sgpr_workgroup_info 0
		.amdhsa_system_vgpr_workitem_id 0
		.amdhsa_next_free_vgpr 1
		.amdhsa_next_free_sgpr 0
		.amdhsa_accum_offset 4
		.amdhsa_reserve_vcc 0
		.amdhsa_float_round_mode_32 0
		.amdhsa_float_round_mode_16_64 0
		.amdhsa_float_denorm_mode_32 3
		.amdhsa_float_denorm_mode_16_64 3
		.amdhsa_dx10_clamp 1
		.amdhsa_ieee_mode 1
		.amdhsa_fp16_overflow 0
		.amdhsa_tg_split 0
		.amdhsa_exception_fp_ieee_invalid_op 0
		.amdhsa_exception_fp_denorm_src 0
		.amdhsa_exception_fp_ieee_div_zero 0
		.amdhsa_exception_fp_ieee_overflow 0
		.amdhsa_exception_fp_ieee_underflow 0
		.amdhsa_exception_fp_ieee_inexact 0
		.amdhsa_exception_int_div_zero 0
	.end_amdhsa_kernel
	.section	.text._ZN7rocprim17ROCPRIM_400000_NS6detail17trampoline_kernelINS0_14default_configENS1_27scan_by_key_config_selectorIijEEZZNS1_16scan_by_key_implILNS1_25lookback_scan_determinismE0ELb0ES3_N6thrust23THRUST_200600_302600_NS6detail15normal_iteratorINS9_10device_ptrIiEEEENSB_INSC_IjEEEENSB_INSC_IfEEEEjNS9_4plusIvEENS9_8equal_toIvEEjEE10hipError_tPvRmT2_T3_T4_T5_mT6_T7_P12ihipStream_tbENKUlT_T0_E_clISt17integral_constantIbLb1EES12_IbLb0EEEEDaSY_SZ_EUlSY_E_NS1_11comp_targetILNS1_3genE10ELNS1_11target_archE1200ELNS1_3gpuE4ELNS1_3repE0EEENS1_30default_config_static_selectorELNS0_4arch9wavefront6targetE1EEEvT1_,"axG",@progbits,_ZN7rocprim17ROCPRIM_400000_NS6detail17trampoline_kernelINS0_14default_configENS1_27scan_by_key_config_selectorIijEEZZNS1_16scan_by_key_implILNS1_25lookback_scan_determinismE0ELb0ES3_N6thrust23THRUST_200600_302600_NS6detail15normal_iteratorINS9_10device_ptrIiEEEENSB_INSC_IjEEEENSB_INSC_IfEEEEjNS9_4plusIvEENS9_8equal_toIvEEjEE10hipError_tPvRmT2_T3_T4_T5_mT6_T7_P12ihipStream_tbENKUlT_T0_E_clISt17integral_constantIbLb1EES12_IbLb0EEEEDaSY_SZ_EUlSY_E_NS1_11comp_targetILNS1_3genE10ELNS1_11target_archE1200ELNS1_3gpuE4ELNS1_3repE0EEENS1_30default_config_static_selectorELNS0_4arch9wavefront6targetE1EEEvT1_,comdat
.Lfunc_end1668:
	.size	_ZN7rocprim17ROCPRIM_400000_NS6detail17trampoline_kernelINS0_14default_configENS1_27scan_by_key_config_selectorIijEEZZNS1_16scan_by_key_implILNS1_25lookback_scan_determinismE0ELb0ES3_N6thrust23THRUST_200600_302600_NS6detail15normal_iteratorINS9_10device_ptrIiEEEENSB_INSC_IjEEEENSB_INSC_IfEEEEjNS9_4plusIvEENS9_8equal_toIvEEjEE10hipError_tPvRmT2_T3_T4_T5_mT6_T7_P12ihipStream_tbENKUlT_T0_E_clISt17integral_constantIbLb1EES12_IbLb0EEEEDaSY_SZ_EUlSY_E_NS1_11comp_targetILNS1_3genE10ELNS1_11target_archE1200ELNS1_3gpuE4ELNS1_3repE0EEENS1_30default_config_static_selectorELNS0_4arch9wavefront6targetE1EEEvT1_, .Lfunc_end1668-_ZN7rocprim17ROCPRIM_400000_NS6detail17trampoline_kernelINS0_14default_configENS1_27scan_by_key_config_selectorIijEEZZNS1_16scan_by_key_implILNS1_25lookback_scan_determinismE0ELb0ES3_N6thrust23THRUST_200600_302600_NS6detail15normal_iteratorINS9_10device_ptrIiEEEENSB_INSC_IjEEEENSB_INSC_IfEEEEjNS9_4plusIvEENS9_8equal_toIvEEjEE10hipError_tPvRmT2_T3_T4_T5_mT6_T7_P12ihipStream_tbENKUlT_T0_E_clISt17integral_constantIbLb1EES12_IbLb0EEEEDaSY_SZ_EUlSY_E_NS1_11comp_targetILNS1_3genE10ELNS1_11target_archE1200ELNS1_3gpuE4ELNS1_3repE0EEENS1_30default_config_static_selectorELNS0_4arch9wavefront6targetE1EEEvT1_
                                        ; -- End function
	.section	.AMDGPU.csdata,"",@progbits
; Kernel info:
; codeLenInByte = 0
; NumSgprs: 6
; NumVgprs: 0
; NumAgprs: 0
; TotalNumVgprs: 0
; ScratchSize: 0
; MemoryBound: 0
; FloatMode: 240
; IeeeMode: 1
; LDSByteSize: 0 bytes/workgroup (compile time only)
; SGPRBlocks: 0
; VGPRBlocks: 0
; NumSGPRsForWavesPerEU: 6
; NumVGPRsForWavesPerEU: 1
; AccumOffset: 4
; Occupancy: 8
; WaveLimiterHint : 0
; COMPUTE_PGM_RSRC2:SCRATCH_EN: 0
; COMPUTE_PGM_RSRC2:USER_SGPR: 2
; COMPUTE_PGM_RSRC2:TRAP_HANDLER: 0
; COMPUTE_PGM_RSRC2:TGID_X_EN: 1
; COMPUTE_PGM_RSRC2:TGID_Y_EN: 0
; COMPUTE_PGM_RSRC2:TGID_Z_EN: 0
; COMPUTE_PGM_RSRC2:TIDIG_COMP_CNT: 0
; COMPUTE_PGM_RSRC3_GFX90A:ACCUM_OFFSET: 0
; COMPUTE_PGM_RSRC3_GFX90A:TG_SPLIT: 0
	.section	.text._ZN7rocprim17ROCPRIM_400000_NS6detail17trampoline_kernelINS0_14default_configENS1_27scan_by_key_config_selectorIijEEZZNS1_16scan_by_key_implILNS1_25lookback_scan_determinismE0ELb0ES3_N6thrust23THRUST_200600_302600_NS6detail15normal_iteratorINS9_10device_ptrIiEEEENSB_INSC_IjEEEENSB_INSC_IfEEEEjNS9_4plusIvEENS9_8equal_toIvEEjEE10hipError_tPvRmT2_T3_T4_T5_mT6_T7_P12ihipStream_tbENKUlT_T0_E_clISt17integral_constantIbLb1EES12_IbLb0EEEEDaSY_SZ_EUlSY_E_NS1_11comp_targetILNS1_3genE9ELNS1_11target_archE1100ELNS1_3gpuE3ELNS1_3repE0EEENS1_30default_config_static_selectorELNS0_4arch9wavefront6targetE1EEEvT1_,"axG",@progbits,_ZN7rocprim17ROCPRIM_400000_NS6detail17trampoline_kernelINS0_14default_configENS1_27scan_by_key_config_selectorIijEEZZNS1_16scan_by_key_implILNS1_25lookback_scan_determinismE0ELb0ES3_N6thrust23THRUST_200600_302600_NS6detail15normal_iteratorINS9_10device_ptrIiEEEENSB_INSC_IjEEEENSB_INSC_IfEEEEjNS9_4plusIvEENS9_8equal_toIvEEjEE10hipError_tPvRmT2_T3_T4_T5_mT6_T7_P12ihipStream_tbENKUlT_T0_E_clISt17integral_constantIbLb1EES12_IbLb0EEEEDaSY_SZ_EUlSY_E_NS1_11comp_targetILNS1_3genE9ELNS1_11target_archE1100ELNS1_3gpuE3ELNS1_3repE0EEENS1_30default_config_static_selectorELNS0_4arch9wavefront6targetE1EEEvT1_,comdat
	.protected	_ZN7rocprim17ROCPRIM_400000_NS6detail17trampoline_kernelINS0_14default_configENS1_27scan_by_key_config_selectorIijEEZZNS1_16scan_by_key_implILNS1_25lookback_scan_determinismE0ELb0ES3_N6thrust23THRUST_200600_302600_NS6detail15normal_iteratorINS9_10device_ptrIiEEEENSB_INSC_IjEEEENSB_INSC_IfEEEEjNS9_4plusIvEENS9_8equal_toIvEEjEE10hipError_tPvRmT2_T3_T4_T5_mT6_T7_P12ihipStream_tbENKUlT_T0_E_clISt17integral_constantIbLb1EES12_IbLb0EEEEDaSY_SZ_EUlSY_E_NS1_11comp_targetILNS1_3genE9ELNS1_11target_archE1100ELNS1_3gpuE3ELNS1_3repE0EEENS1_30default_config_static_selectorELNS0_4arch9wavefront6targetE1EEEvT1_ ; -- Begin function _ZN7rocprim17ROCPRIM_400000_NS6detail17trampoline_kernelINS0_14default_configENS1_27scan_by_key_config_selectorIijEEZZNS1_16scan_by_key_implILNS1_25lookback_scan_determinismE0ELb0ES3_N6thrust23THRUST_200600_302600_NS6detail15normal_iteratorINS9_10device_ptrIiEEEENSB_INSC_IjEEEENSB_INSC_IfEEEEjNS9_4plusIvEENS9_8equal_toIvEEjEE10hipError_tPvRmT2_T3_T4_T5_mT6_T7_P12ihipStream_tbENKUlT_T0_E_clISt17integral_constantIbLb1EES12_IbLb0EEEEDaSY_SZ_EUlSY_E_NS1_11comp_targetILNS1_3genE9ELNS1_11target_archE1100ELNS1_3gpuE3ELNS1_3repE0EEENS1_30default_config_static_selectorELNS0_4arch9wavefront6targetE1EEEvT1_
	.globl	_ZN7rocprim17ROCPRIM_400000_NS6detail17trampoline_kernelINS0_14default_configENS1_27scan_by_key_config_selectorIijEEZZNS1_16scan_by_key_implILNS1_25lookback_scan_determinismE0ELb0ES3_N6thrust23THRUST_200600_302600_NS6detail15normal_iteratorINS9_10device_ptrIiEEEENSB_INSC_IjEEEENSB_INSC_IfEEEEjNS9_4plusIvEENS9_8equal_toIvEEjEE10hipError_tPvRmT2_T3_T4_T5_mT6_T7_P12ihipStream_tbENKUlT_T0_E_clISt17integral_constantIbLb1EES12_IbLb0EEEEDaSY_SZ_EUlSY_E_NS1_11comp_targetILNS1_3genE9ELNS1_11target_archE1100ELNS1_3gpuE3ELNS1_3repE0EEENS1_30default_config_static_selectorELNS0_4arch9wavefront6targetE1EEEvT1_
	.p2align	8
	.type	_ZN7rocprim17ROCPRIM_400000_NS6detail17trampoline_kernelINS0_14default_configENS1_27scan_by_key_config_selectorIijEEZZNS1_16scan_by_key_implILNS1_25lookback_scan_determinismE0ELb0ES3_N6thrust23THRUST_200600_302600_NS6detail15normal_iteratorINS9_10device_ptrIiEEEENSB_INSC_IjEEEENSB_INSC_IfEEEEjNS9_4plusIvEENS9_8equal_toIvEEjEE10hipError_tPvRmT2_T3_T4_T5_mT6_T7_P12ihipStream_tbENKUlT_T0_E_clISt17integral_constantIbLb1EES12_IbLb0EEEEDaSY_SZ_EUlSY_E_NS1_11comp_targetILNS1_3genE9ELNS1_11target_archE1100ELNS1_3gpuE3ELNS1_3repE0EEENS1_30default_config_static_selectorELNS0_4arch9wavefront6targetE1EEEvT1_,@function
_ZN7rocprim17ROCPRIM_400000_NS6detail17trampoline_kernelINS0_14default_configENS1_27scan_by_key_config_selectorIijEEZZNS1_16scan_by_key_implILNS1_25lookback_scan_determinismE0ELb0ES3_N6thrust23THRUST_200600_302600_NS6detail15normal_iteratorINS9_10device_ptrIiEEEENSB_INSC_IjEEEENSB_INSC_IfEEEEjNS9_4plusIvEENS9_8equal_toIvEEjEE10hipError_tPvRmT2_T3_T4_T5_mT6_T7_P12ihipStream_tbENKUlT_T0_E_clISt17integral_constantIbLb1EES12_IbLb0EEEEDaSY_SZ_EUlSY_E_NS1_11comp_targetILNS1_3genE9ELNS1_11target_archE1100ELNS1_3gpuE3ELNS1_3repE0EEENS1_30default_config_static_selectorELNS0_4arch9wavefront6targetE1EEEvT1_: ; @_ZN7rocprim17ROCPRIM_400000_NS6detail17trampoline_kernelINS0_14default_configENS1_27scan_by_key_config_selectorIijEEZZNS1_16scan_by_key_implILNS1_25lookback_scan_determinismE0ELb0ES3_N6thrust23THRUST_200600_302600_NS6detail15normal_iteratorINS9_10device_ptrIiEEEENSB_INSC_IjEEEENSB_INSC_IfEEEEjNS9_4plusIvEENS9_8equal_toIvEEjEE10hipError_tPvRmT2_T3_T4_T5_mT6_T7_P12ihipStream_tbENKUlT_T0_E_clISt17integral_constantIbLb1EES12_IbLb0EEEEDaSY_SZ_EUlSY_E_NS1_11comp_targetILNS1_3genE9ELNS1_11target_archE1100ELNS1_3gpuE3ELNS1_3repE0EEENS1_30default_config_static_selectorELNS0_4arch9wavefront6targetE1EEEvT1_
; %bb.0:
	.section	.rodata,"a",@progbits
	.p2align	6, 0x0
	.amdhsa_kernel _ZN7rocprim17ROCPRIM_400000_NS6detail17trampoline_kernelINS0_14default_configENS1_27scan_by_key_config_selectorIijEEZZNS1_16scan_by_key_implILNS1_25lookback_scan_determinismE0ELb0ES3_N6thrust23THRUST_200600_302600_NS6detail15normal_iteratorINS9_10device_ptrIiEEEENSB_INSC_IjEEEENSB_INSC_IfEEEEjNS9_4plusIvEENS9_8equal_toIvEEjEE10hipError_tPvRmT2_T3_T4_T5_mT6_T7_P12ihipStream_tbENKUlT_T0_E_clISt17integral_constantIbLb1EES12_IbLb0EEEEDaSY_SZ_EUlSY_E_NS1_11comp_targetILNS1_3genE9ELNS1_11target_archE1100ELNS1_3gpuE3ELNS1_3repE0EEENS1_30default_config_static_selectorELNS0_4arch9wavefront6targetE1EEEvT1_
		.amdhsa_group_segment_fixed_size 0
		.amdhsa_private_segment_fixed_size 0
		.amdhsa_kernarg_size 112
		.amdhsa_user_sgpr_count 2
		.amdhsa_user_sgpr_dispatch_ptr 0
		.amdhsa_user_sgpr_queue_ptr 0
		.amdhsa_user_sgpr_kernarg_segment_ptr 1
		.amdhsa_user_sgpr_dispatch_id 0
		.amdhsa_user_sgpr_kernarg_preload_length 0
		.amdhsa_user_sgpr_kernarg_preload_offset 0
		.amdhsa_user_sgpr_private_segment_size 0
		.amdhsa_uses_dynamic_stack 0
		.amdhsa_enable_private_segment 0
		.amdhsa_system_sgpr_workgroup_id_x 1
		.amdhsa_system_sgpr_workgroup_id_y 0
		.amdhsa_system_sgpr_workgroup_id_z 0
		.amdhsa_system_sgpr_workgroup_info 0
		.amdhsa_system_vgpr_workitem_id 0
		.amdhsa_next_free_vgpr 1
		.amdhsa_next_free_sgpr 0
		.amdhsa_accum_offset 4
		.amdhsa_reserve_vcc 0
		.amdhsa_float_round_mode_32 0
		.amdhsa_float_round_mode_16_64 0
		.amdhsa_float_denorm_mode_32 3
		.amdhsa_float_denorm_mode_16_64 3
		.amdhsa_dx10_clamp 1
		.amdhsa_ieee_mode 1
		.amdhsa_fp16_overflow 0
		.amdhsa_tg_split 0
		.amdhsa_exception_fp_ieee_invalid_op 0
		.amdhsa_exception_fp_denorm_src 0
		.amdhsa_exception_fp_ieee_div_zero 0
		.amdhsa_exception_fp_ieee_overflow 0
		.amdhsa_exception_fp_ieee_underflow 0
		.amdhsa_exception_fp_ieee_inexact 0
		.amdhsa_exception_int_div_zero 0
	.end_amdhsa_kernel
	.section	.text._ZN7rocprim17ROCPRIM_400000_NS6detail17trampoline_kernelINS0_14default_configENS1_27scan_by_key_config_selectorIijEEZZNS1_16scan_by_key_implILNS1_25lookback_scan_determinismE0ELb0ES3_N6thrust23THRUST_200600_302600_NS6detail15normal_iteratorINS9_10device_ptrIiEEEENSB_INSC_IjEEEENSB_INSC_IfEEEEjNS9_4plusIvEENS9_8equal_toIvEEjEE10hipError_tPvRmT2_T3_T4_T5_mT6_T7_P12ihipStream_tbENKUlT_T0_E_clISt17integral_constantIbLb1EES12_IbLb0EEEEDaSY_SZ_EUlSY_E_NS1_11comp_targetILNS1_3genE9ELNS1_11target_archE1100ELNS1_3gpuE3ELNS1_3repE0EEENS1_30default_config_static_selectorELNS0_4arch9wavefront6targetE1EEEvT1_,"axG",@progbits,_ZN7rocprim17ROCPRIM_400000_NS6detail17trampoline_kernelINS0_14default_configENS1_27scan_by_key_config_selectorIijEEZZNS1_16scan_by_key_implILNS1_25lookback_scan_determinismE0ELb0ES3_N6thrust23THRUST_200600_302600_NS6detail15normal_iteratorINS9_10device_ptrIiEEEENSB_INSC_IjEEEENSB_INSC_IfEEEEjNS9_4plusIvEENS9_8equal_toIvEEjEE10hipError_tPvRmT2_T3_T4_T5_mT6_T7_P12ihipStream_tbENKUlT_T0_E_clISt17integral_constantIbLb1EES12_IbLb0EEEEDaSY_SZ_EUlSY_E_NS1_11comp_targetILNS1_3genE9ELNS1_11target_archE1100ELNS1_3gpuE3ELNS1_3repE0EEENS1_30default_config_static_selectorELNS0_4arch9wavefront6targetE1EEEvT1_,comdat
.Lfunc_end1669:
	.size	_ZN7rocprim17ROCPRIM_400000_NS6detail17trampoline_kernelINS0_14default_configENS1_27scan_by_key_config_selectorIijEEZZNS1_16scan_by_key_implILNS1_25lookback_scan_determinismE0ELb0ES3_N6thrust23THRUST_200600_302600_NS6detail15normal_iteratorINS9_10device_ptrIiEEEENSB_INSC_IjEEEENSB_INSC_IfEEEEjNS9_4plusIvEENS9_8equal_toIvEEjEE10hipError_tPvRmT2_T3_T4_T5_mT6_T7_P12ihipStream_tbENKUlT_T0_E_clISt17integral_constantIbLb1EES12_IbLb0EEEEDaSY_SZ_EUlSY_E_NS1_11comp_targetILNS1_3genE9ELNS1_11target_archE1100ELNS1_3gpuE3ELNS1_3repE0EEENS1_30default_config_static_selectorELNS0_4arch9wavefront6targetE1EEEvT1_, .Lfunc_end1669-_ZN7rocprim17ROCPRIM_400000_NS6detail17trampoline_kernelINS0_14default_configENS1_27scan_by_key_config_selectorIijEEZZNS1_16scan_by_key_implILNS1_25lookback_scan_determinismE0ELb0ES3_N6thrust23THRUST_200600_302600_NS6detail15normal_iteratorINS9_10device_ptrIiEEEENSB_INSC_IjEEEENSB_INSC_IfEEEEjNS9_4plusIvEENS9_8equal_toIvEEjEE10hipError_tPvRmT2_T3_T4_T5_mT6_T7_P12ihipStream_tbENKUlT_T0_E_clISt17integral_constantIbLb1EES12_IbLb0EEEEDaSY_SZ_EUlSY_E_NS1_11comp_targetILNS1_3genE9ELNS1_11target_archE1100ELNS1_3gpuE3ELNS1_3repE0EEENS1_30default_config_static_selectorELNS0_4arch9wavefront6targetE1EEEvT1_
                                        ; -- End function
	.section	.AMDGPU.csdata,"",@progbits
; Kernel info:
; codeLenInByte = 0
; NumSgprs: 6
; NumVgprs: 0
; NumAgprs: 0
; TotalNumVgprs: 0
; ScratchSize: 0
; MemoryBound: 0
; FloatMode: 240
; IeeeMode: 1
; LDSByteSize: 0 bytes/workgroup (compile time only)
; SGPRBlocks: 0
; VGPRBlocks: 0
; NumSGPRsForWavesPerEU: 6
; NumVGPRsForWavesPerEU: 1
; AccumOffset: 4
; Occupancy: 8
; WaveLimiterHint : 0
; COMPUTE_PGM_RSRC2:SCRATCH_EN: 0
; COMPUTE_PGM_RSRC2:USER_SGPR: 2
; COMPUTE_PGM_RSRC2:TRAP_HANDLER: 0
; COMPUTE_PGM_RSRC2:TGID_X_EN: 1
; COMPUTE_PGM_RSRC2:TGID_Y_EN: 0
; COMPUTE_PGM_RSRC2:TGID_Z_EN: 0
; COMPUTE_PGM_RSRC2:TIDIG_COMP_CNT: 0
; COMPUTE_PGM_RSRC3_GFX90A:ACCUM_OFFSET: 0
; COMPUTE_PGM_RSRC3_GFX90A:TG_SPLIT: 0
	.section	.text._ZN7rocprim17ROCPRIM_400000_NS6detail17trampoline_kernelINS0_14default_configENS1_27scan_by_key_config_selectorIijEEZZNS1_16scan_by_key_implILNS1_25lookback_scan_determinismE0ELb0ES3_N6thrust23THRUST_200600_302600_NS6detail15normal_iteratorINS9_10device_ptrIiEEEENSB_INSC_IjEEEENSB_INSC_IfEEEEjNS9_4plusIvEENS9_8equal_toIvEEjEE10hipError_tPvRmT2_T3_T4_T5_mT6_T7_P12ihipStream_tbENKUlT_T0_E_clISt17integral_constantIbLb1EES12_IbLb0EEEEDaSY_SZ_EUlSY_E_NS1_11comp_targetILNS1_3genE8ELNS1_11target_archE1030ELNS1_3gpuE2ELNS1_3repE0EEENS1_30default_config_static_selectorELNS0_4arch9wavefront6targetE1EEEvT1_,"axG",@progbits,_ZN7rocprim17ROCPRIM_400000_NS6detail17trampoline_kernelINS0_14default_configENS1_27scan_by_key_config_selectorIijEEZZNS1_16scan_by_key_implILNS1_25lookback_scan_determinismE0ELb0ES3_N6thrust23THRUST_200600_302600_NS6detail15normal_iteratorINS9_10device_ptrIiEEEENSB_INSC_IjEEEENSB_INSC_IfEEEEjNS9_4plusIvEENS9_8equal_toIvEEjEE10hipError_tPvRmT2_T3_T4_T5_mT6_T7_P12ihipStream_tbENKUlT_T0_E_clISt17integral_constantIbLb1EES12_IbLb0EEEEDaSY_SZ_EUlSY_E_NS1_11comp_targetILNS1_3genE8ELNS1_11target_archE1030ELNS1_3gpuE2ELNS1_3repE0EEENS1_30default_config_static_selectorELNS0_4arch9wavefront6targetE1EEEvT1_,comdat
	.protected	_ZN7rocprim17ROCPRIM_400000_NS6detail17trampoline_kernelINS0_14default_configENS1_27scan_by_key_config_selectorIijEEZZNS1_16scan_by_key_implILNS1_25lookback_scan_determinismE0ELb0ES3_N6thrust23THRUST_200600_302600_NS6detail15normal_iteratorINS9_10device_ptrIiEEEENSB_INSC_IjEEEENSB_INSC_IfEEEEjNS9_4plusIvEENS9_8equal_toIvEEjEE10hipError_tPvRmT2_T3_T4_T5_mT6_T7_P12ihipStream_tbENKUlT_T0_E_clISt17integral_constantIbLb1EES12_IbLb0EEEEDaSY_SZ_EUlSY_E_NS1_11comp_targetILNS1_3genE8ELNS1_11target_archE1030ELNS1_3gpuE2ELNS1_3repE0EEENS1_30default_config_static_selectorELNS0_4arch9wavefront6targetE1EEEvT1_ ; -- Begin function _ZN7rocprim17ROCPRIM_400000_NS6detail17trampoline_kernelINS0_14default_configENS1_27scan_by_key_config_selectorIijEEZZNS1_16scan_by_key_implILNS1_25lookback_scan_determinismE0ELb0ES3_N6thrust23THRUST_200600_302600_NS6detail15normal_iteratorINS9_10device_ptrIiEEEENSB_INSC_IjEEEENSB_INSC_IfEEEEjNS9_4plusIvEENS9_8equal_toIvEEjEE10hipError_tPvRmT2_T3_T4_T5_mT6_T7_P12ihipStream_tbENKUlT_T0_E_clISt17integral_constantIbLb1EES12_IbLb0EEEEDaSY_SZ_EUlSY_E_NS1_11comp_targetILNS1_3genE8ELNS1_11target_archE1030ELNS1_3gpuE2ELNS1_3repE0EEENS1_30default_config_static_selectorELNS0_4arch9wavefront6targetE1EEEvT1_
	.globl	_ZN7rocprim17ROCPRIM_400000_NS6detail17trampoline_kernelINS0_14default_configENS1_27scan_by_key_config_selectorIijEEZZNS1_16scan_by_key_implILNS1_25lookback_scan_determinismE0ELb0ES3_N6thrust23THRUST_200600_302600_NS6detail15normal_iteratorINS9_10device_ptrIiEEEENSB_INSC_IjEEEENSB_INSC_IfEEEEjNS9_4plusIvEENS9_8equal_toIvEEjEE10hipError_tPvRmT2_T3_T4_T5_mT6_T7_P12ihipStream_tbENKUlT_T0_E_clISt17integral_constantIbLb1EES12_IbLb0EEEEDaSY_SZ_EUlSY_E_NS1_11comp_targetILNS1_3genE8ELNS1_11target_archE1030ELNS1_3gpuE2ELNS1_3repE0EEENS1_30default_config_static_selectorELNS0_4arch9wavefront6targetE1EEEvT1_
	.p2align	8
	.type	_ZN7rocprim17ROCPRIM_400000_NS6detail17trampoline_kernelINS0_14default_configENS1_27scan_by_key_config_selectorIijEEZZNS1_16scan_by_key_implILNS1_25lookback_scan_determinismE0ELb0ES3_N6thrust23THRUST_200600_302600_NS6detail15normal_iteratorINS9_10device_ptrIiEEEENSB_INSC_IjEEEENSB_INSC_IfEEEEjNS9_4plusIvEENS9_8equal_toIvEEjEE10hipError_tPvRmT2_T3_T4_T5_mT6_T7_P12ihipStream_tbENKUlT_T0_E_clISt17integral_constantIbLb1EES12_IbLb0EEEEDaSY_SZ_EUlSY_E_NS1_11comp_targetILNS1_3genE8ELNS1_11target_archE1030ELNS1_3gpuE2ELNS1_3repE0EEENS1_30default_config_static_selectorELNS0_4arch9wavefront6targetE1EEEvT1_,@function
_ZN7rocprim17ROCPRIM_400000_NS6detail17trampoline_kernelINS0_14default_configENS1_27scan_by_key_config_selectorIijEEZZNS1_16scan_by_key_implILNS1_25lookback_scan_determinismE0ELb0ES3_N6thrust23THRUST_200600_302600_NS6detail15normal_iteratorINS9_10device_ptrIiEEEENSB_INSC_IjEEEENSB_INSC_IfEEEEjNS9_4plusIvEENS9_8equal_toIvEEjEE10hipError_tPvRmT2_T3_T4_T5_mT6_T7_P12ihipStream_tbENKUlT_T0_E_clISt17integral_constantIbLb1EES12_IbLb0EEEEDaSY_SZ_EUlSY_E_NS1_11comp_targetILNS1_3genE8ELNS1_11target_archE1030ELNS1_3gpuE2ELNS1_3repE0EEENS1_30default_config_static_selectorELNS0_4arch9wavefront6targetE1EEEvT1_: ; @_ZN7rocprim17ROCPRIM_400000_NS6detail17trampoline_kernelINS0_14default_configENS1_27scan_by_key_config_selectorIijEEZZNS1_16scan_by_key_implILNS1_25lookback_scan_determinismE0ELb0ES3_N6thrust23THRUST_200600_302600_NS6detail15normal_iteratorINS9_10device_ptrIiEEEENSB_INSC_IjEEEENSB_INSC_IfEEEEjNS9_4plusIvEENS9_8equal_toIvEEjEE10hipError_tPvRmT2_T3_T4_T5_mT6_T7_P12ihipStream_tbENKUlT_T0_E_clISt17integral_constantIbLb1EES12_IbLb0EEEEDaSY_SZ_EUlSY_E_NS1_11comp_targetILNS1_3genE8ELNS1_11target_archE1030ELNS1_3gpuE2ELNS1_3repE0EEENS1_30default_config_static_selectorELNS0_4arch9wavefront6targetE1EEEvT1_
; %bb.0:
	.section	.rodata,"a",@progbits
	.p2align	6, 0x0
	.amdhsa_kernel _ZN7rocprim17ROCPRIM_400000_NS6detail17trampoline_kernelINS0_14default_configENS1_27scan_by_key_config_selectorIijEEZZNS1_16scan_by_key_implILNS1_25lookback_scan_determinismE0ELb0ES3_N6thrust23THRUST_200600_302600_NS6detail15normal_iteratorINS9_10device_ptrIiEEEENSB_INSC_IjEEEENSB_INSC_IfEEEEjNS9_4plusIvEENS9_8equal_toIvEEjEE10hipError_tPvRmT2_T3_T4_T5_mT6_T7_P12ihipStream_tbENKUlT_T0_E_clISt17integral_constantIbLb1EES12_IbLb0EEEEDaSY_SZ_EUlSY_E_NS1_11comp_targetILNS1_3genE8ELNS1_11target_archE1030ELNS1_3gpuE2ELNS1_3repE0EEENS1_30default_config_static_selectorELNS0_4arch9wavefront6targetE1EEEvT1_
		.amdhsa_group_segment_fixed_size 0
		.amdhsa_private_segment_fixed_size 0
		.amdhsa_kernarg_size 112
		.amdhsa_user_sgpr_count 2
		.amdhsa_user_sgpr_dispatch_ptr 0
		.amdhsa_user_sgpr_queue_ptr 0
		.amdhsa_user_sgpr_kernarg_segment_ptr 1
		.amdhsa_user_sgpr_dispatch_id 0
		.amdhsa_user_sgpr_kernarg_preload_length 0
		.amdhsa_user_sgpr_kernarg_preload_offset 0
		.amdhsa_user_sgpr_private_segment_size 0
		.amdhsa_uses_dynamic_stack 0
		.amdhsa_enable_private_segment 0
		.amdhsa_system_sgpr_workgroup_id_x 1
		.amdhsa_system_sgpr_workgroup_id_y 0
		.amdhsa_system_sgpr_workgroup_id_z 0
		.amdhsa_system_sgpr_workgroup_info 0
		.amdhsa_system_vgpr_workitem_id 0
		.amdhsa_next_free_vgpr 1
		.amdhsa_next_free_sgpr 0
		.amdhsa_accum_offset 4
		.amdhsa_reserve_vcc 0
		.amdhsa_float_round_mode_32 0
		.amdhsa_float_round_mode_16_64 0
		.amdhsa_float_denorm_mode_32 3
		.amdhsa_float_denorm_mode_16_64 3
		.amdhsa_dx10_clamp 1
		.amdhsa_ieee_mode 1
		.amdhsa_fp16_overflow 0
		.amdhsa_tg_split 0
		.amdhsa_exception_fp_ieee_invalid_op 0
		.amdhsa_exception_fp_denorm_src 0
		.amdhsa_exception_fp_ieee_div_zero 0
		.amdhsa_exception_fp_ieee_overflow 0
		.amdhsa_exception_fp_ieee_underflow 0
		.amdhsa_exception_fp_ieee_inexact 0
		.amdhsa_exception_int_div_zero 0
	.end_amdhsa_kernel
	.section	.text._ZN7rocprim17ROCPRIM_400000_NS6detail17trampoline_kernelINS0_14default_configENS1_27scan_by_key_config_selectorIijEEZZNS1_16scan_by_key_implILNS1_25lookback_scan_determinismE0ELb0ES3_N6thrust23THRUST_200600_302600_NS6detail15normal_iteratorINS9_10device_ptrIiEEEENSB_INSC_IjEEEENSB_INSC_IfEEEEjNS9_4plusIvEENS9_8equal_toIvEEjEE10hipError_tPvRmT2_T3_T4_T5_mT6_T7_P12ihipStream_tbENKUlT_T0_E_clISt17integral_constantIbLb1EES12_IbLb0EEEEDaSY_SZ_EUlSY_E_NS1_11comp_targetILNS1_3genE8ELNS1_11target_archE1030ELNS1_3gpuE2ELNS1_3repE0EEENS1_30default_config_static_selectorELNS0_4arch9wavefront6targetE1EEEvT1_,"axG",@progbits,_ZN7rocprim17ROCPRIM_400000_NS6detail17trampoline_kernelINS0_14default_configENS1_27scan_by_key_config_selectorIijEEZZNS1_16scan_by_key_implILNS1_25lookback_scan_determinismE0ELb0ES3_N6thrust23THRUST_200600_302600_NS6detail15normal_iteratorINS9_10device_ptrIiEEEENSB_INSC_IjEEEENSB_INSC_IfEEEEjNS9_4plusIvEENS9_8equal_toIvEEjEE10hipError_tPvRmT2_T3_T4_T5_mT6_T7_P12ihipStream_tbENKUlT_T0_E_clISt17integral_constantIbLb1EES12_IbLb0EEEEDaSY_SZ_EUlSY_E_NS1_11comp_targetILNS1_3genE8ELNS1_11target_archE1030ELNS1_3gpuE2ELNS1_3repE0EEENS1_30default_config_static_selectorELNS0_4arch9wavefront6targetE1EEEvT1_,comdat
.Lfunc_end1670:
	.size	_ZN7rocprim17ROCPRIM_400000_NS6detail17trampoline_kernelINS0_14default_configENS1_27scan_by_key_config_selectorIijEEZZNS1_16scan_by_key_implILNS1_25lookback_scan_determinismE0ELb0ES3_N6thrust23THRUST_200600_302600_NS6detail15normal_iteratorINS9_10device_ptrIiEEEENSB_INSC_IjEEEENSB_INSC_IfEEEEjNS9_4plusIvEENS9_8equal_toIvEEjEE10hipError_tPvRmT2_T3_T4_T5_mT6_T7_P12ihipStream_tbENKUlT_T0_E_clISt17integral_constantIbLb1EES12_IbLb0EEEEDaSY_SZ_EUlSY_E_NS1_11comp_targetILNS1_3genE8ELNS1_11target_archE1030ELNS1_3gpuE2ELNS1_3repE0EEENS1_30default_config_static_selectorELNS0_4arch9wavefront6targetE1EEEvT1_, .Lfunc_end1670-_ZN7rocprim17ROCPRIM_400000_NS6detail17trampoline_kernelINS0_14default_configENS1_27scan_by_key_config_selectorIijEEZZNS1_16scan_by_key_implILNS1_25lookback_scan_determinismE0ELb0ES3_N6thrust23THRUST_200600_302600_NS6detail15normal_iteratorINS9_10device_ptrIiEEEENSB_INSC_IjEEEENSB_INSC_IfEEEEjNS9_4plusIvEENS9_8equal_toIvEEjEE10hipError_tPvRmT2_T3_T4_T5_mT6_T7_P12ihipStream_tbENKUlT_T0_E_clISt17integral_constantIbLb1EES12_IbLb0EEEEDaSY_SZ_EUlSY_E_NS1_11comp_targetILNS1_3genE8ELNS1_11target_archE1030ELNS1_3gpuE2ELNS1_3repE0EEENS1_30default_config_static_selectorELNS0_4arch9wavefront6targetE1EEEvT1_
                                        ; -- End function
	.section	.AMDGPU.csdata,"",@progbits
; Kernel info:
; codeLenInByte = 0
; NumSgprs: 6
; NumVgprs: 0
; NumAgprs: 0
; TotalNumVgprs: 0
; ScratchSize: 0
; MemoryBound: 0
; FloatMode: 240
; IeeeMode: 1
; LDSByteSize: 0 bytes/workgroup (compile time only)
; SGPRBlocks: 0
; VGPRBlocks: 0
; NumSGPRsForWavesPerEU: 6
; NumVGPRsForWavesPerEU: 1
; AccumOffset: 4
; Occupancy: 8
; WaveLimiterHint : 0
; COMPUTE_PGM_RSRC2:SCRATCH_EN: 0
; COMPUTE_PGM_RSRC2:USER_SGPR: 2
; COMPUTE_PGM_RSRC2:TRAP_HANDLER: 0
; COMPUTE_PGM_RSRC2:TGID_X_EN: 1
; COMPUTE_PGM_RSRC2:TGID_Y_EN: 0
; COMPUTE_PGM_RSRC2:TGID_Z_EN: 0
; COMPUTE_PGM_RSRC2:TIDIG_COMP_CNT: 0
; COMPUTE_PGM_RSRC3_GFX90A:ACCUM_OFFSET: 0
; COMPUTE_PGM_RSRC3_GFX90A:TG_SPLIT: 0
	.section	.text._ZN7rocprim17ROCPRIM_400000_NS6detail17trampoline_kernelINS0_14default_configENS1_27scan_by_key_config_selectorIijEEZZNS1_16scan_by_key_implILNS1_25lookback_scan_determinismE0ELb0ES3_N6thrust23THRUST_200600_302600_NS6detail15normal_iteratorINS9_10device_ptrIiEEEENSB_INSC_IjEEEENSB_INSC_IfEEEEjNS9_4plusIvEENS9_8equal_toIvEEjEE10hipError_tPvRmT2_T3_T4_T5_mT6_T7_P12ihipStream_tbENKUlT_T0_E_clISt17integral_constantIbLb0EES12_IbLb1EEEEDaSY_SZ_EUlSY_E_NS1_11comp_targetILNS1_3genE0ELNS1_11target_archE4294967295ELNS1_3gpuE0ELNS1_3repE0EEENS1_30default_config_static_selectorELNS0_4arch9wavefront6targetE1EEEvT1_,"axG",@progbits,_ZN7rocprim17ROCPRIM_400000_NS6detail17trampoline_kernelINS0_14default_configENS1_27scan_by_key_config_selectorIijEEZZNS1_16scan_by_key_implILNS1_25lookback_scan_determinismE0ELb0ES3_N6thrust23THRUST_200600_302600_NS6detail15normal_iteratorINS9_10device_ptrIiEEEENSB_INSC_IjEEEENSB_INSC_IfEEEEjNS9_4plusIvEENS9_8equal_toIvEEjEE10hipError_tPvRmT2_T3_T4_T5_mT6_T7_P12ihipStream_tbENKUlT_T0_E_clISt17integral_constantIbLb0EES12_IbLb1EEEEDaSY_SZ_EUlSY_E_NS1_11comp_targetILNS1_3genE0ELNS1_11target_archE4294967295ELNS1_3gpuE0ELNS1_3repE0EEENS1_30default_config_static_selectorELNS0_4arch9wavefront6targetE1EEEvT1_,comdat
	.protected	_ZN7rocprim17ROCPRIM_400000_NS6detail17trampoline_kernelINS0_14default_configENS1_27scan_by_key_config_selectorIijEEZZNS1_16scan_by_key_implILNS1_25lookback_scan_determinismE0ELb0ES3_N6thrust23THRUST_200600_302600_NS6detail15normal_iteratorINS9_10device_ptrIiEEEENSB_INSC_IjEEEENSB_INSC_IfEEEEjNS9_4plusIvEENS9_8equal_toIvEEjEE10hipError_tPvRmT2_T3_T4_T5_mT6_T7_P12ihipStream_tbENKUlT_T0_E_clISt17integral_constantIbLb0EES12_IbLb1EEEEDaSY_SZ_EUlSY_E_NS1_11comp_targetILNS1_3genE0ELNS1_11target_archE4294967295ELNS1_3gpuE0ELNS1_3repE0EEENS1_30default_config_static_selectorELNS0_4arch9wavefront6targetE1EEEvT1_ ; -- Begin function _ZN7rocprim17ROCPRIM_400000_NS6detail17trampoline_kernelINS0_14default_configENS1_27scan_by_key_config_selectorIijEEZZNS1_16scan_by_key_implILNS1_25lookback_scan_determinismE0ELb0ES3_N6thrust23THRUST_200600_302600_NS6detail15normal_iteratorINS9_10device_ptrIiEEEENSB_INSC_IjEEEENSB_INSC_IfEEEEjNS9_4plusIvEENS9_8equal_toIvEEjEE10hipError_tPvRmT2_T3_T4_T5_mT6_T7_P12ihipStream_tbENKUlT_T0_E_clISt17integral_constantIbLb0EES12_IbLb1EEEEDaSY_SZ_EUlSY_E_NS1_11comp_targetILNS1_3genE0ELNS1_11target_archE4294967295ELNS1_3gpuE0ELNS1_3repE0EEENS1_30default_config_static_selectorELNS0_4arch9wavefront6targetE1EEEvT1_
	.globl	_ZN7rocprim17ROCPRIM_400000_NS6detail17trampoline_kernelINS0_14default_configENS1_27scan_by_key_config_selectorIijEEZZNS1_16scan_by_key_implILNS1_25lookback_scan_determinismE0ELb0ES3_N6thrust23THRUST_200600_302600_NS6detail15normal_iteratorINS9_10device_ptrIiEEEENSB_INSC_IjEEEENSB_INSC_IfEEEEjNS9_4plusIvEENS9_8equal_toIvEEjEE10hipError_tPvRmT2_T3_T4_T5_mT6_T7_P12ihipStream_tbENKUlT_T0_E_clISt17integral_constantIbLb0EES12_IbLb1EEEEDaSY_SZ_EUlSY_E_NS1_11comp_targetILNS1_3genE0ELNS1_11target_archE4294967295ELNS1_3gpuE0ELNS1_3repE0EEENS1_30default_config_static_selectorELNS0_4arch9wavefront6targetE1EEEvT1_
	.p2align	8
	.type	_ZN7rocprim17ROCPRIM_400000_NS6detail17trampoline_kernelINS0_14default_configENS1_27scan_by_key_config_selectorIijEEZZNS1_16scan_by_key_implILNS1_25lookback_scan_determinismE0ELb0ES3_N6thrust23THRUST_200600_302600_NS6detail15normal_iteratorINS9_10device_ptrIiEEEENSB_INSC_IjEEEENSB_INSC_IfEEEEjNS9_4plusIvEENS9_8equal_toIvEEjEE10hipError_tPvRmT2_T3_T4_T5_mT6_T7_P12ihipStream_tbENKUlT_T0_E_clISt17integral_constantIbLb0EES12_IbLb1EEEEDaSY_SZ_EUlSY_E_NS1_11comp_targetILNS1_3genE0ELNS1_11target_archE4294967295ELNS1_3gpuE0ELNS1_3repE0EEENS1_30default_config_static_selectorELNS0_4arch9wavefront6targetE1EEEvT1_,@function
_ZN7rocprim17ROCPRIM_400000_NS6detail17trampoline_kernelINS0_14default_configENS1_27scan_by_key_config_selectorIijEEZZNS1_16scan_by_key_implILNS1_25lookback_scan_determinismE0ELb0ES3_N6thrust23THRUST_200600_302600_NS6detail15normal_iteratorINS9_10device_ptrIiEEEENSB_INSC_IjEEEENSB_INSC_IfEEEEjNS9_4plusIvEENS9_8equal_toIvEEjEE10hipError_tPvRmT2_T3_T4_T5_mT6_T7_P12ihipStream_tbENKUlT_T0_E_clISt17integral_constantIbLb0EES12_IbLb1EEEEDaSY_SZ_EUlSY_E_NS1_11comp_targetILNS1_3genE0ELNS1_11target_archE4294967295ELNS1_3gpuE0ELNS1_3repE0EEENS1_30default_config_static_selectorELNS0_4arch9wavefront6targetE1EEEvT1_: ; @_ZN7rocprim17ROCPRIM_400000_NS6detail17trampoline_kernelINS0_14default_configENS1_27scan_by_key_config_selectorIijEEZZNS1_16scan_by_key_implILNS1_25lookback_scan_determinismE0ELb0ES3_N6thrust23THRUST_200600_302600_NS6detail15normal_iteratorINS9_10device_ptrIiEEEENSB_INSC_IjEEEENSB_INSC_IfEEEEjNS9_4plusIvEENS9_8equal_toIvEEjEE10hipError_tPvRmT2_T3_T4_T5_mT6_T7_P12ihipStream_tbENKUlT_T0_E_clISt17integral_constantIbLb0EES12_IbLb1EEEEDaSY_SZ_EUlSY_E_NS1_11comp_targetILNS1_3genE0ELNS1_11target_archE4294967295ELNS1_3gpuE0ELNS1_3repE0EEENS1_30default_config_static_selectorELNS0_4arch9wavefront6targetE1EEEvT1_
; %bb.0:
	.section	.rodata,"a",@progbits
	.p2align	6, 0x0
	.amdhsa_kernel _ZN7rocprim17ROCPRIM_400000_NS6detail17trampoline_kernelINS0_14default_configENS1_27scan_by_key_config_selectorIijEEZZNS1_16scan_by_key_implILNS1_25lookback_scan_determinismE0ELb0ES3_N6thrust23THRUST_200600_302600_NS6detail15normal_iteratorINS9_10device_ptrIiEEEENSB_INSC_IjEEEENSB_INSC_IfEEEEjNS9_4plusIvEENS9_8equal_toIvEEjEE10hipError_tPvRmT2_T3_T4_T5_mT6_T7_P12ihipStream_tbENKUlT_T0_E_clISt17integral_constantIbLb0EES12_IbLb1EEEEDaSY_SZ_EUlSY_E_NS1_11comp_targetILNS1_3genE0ELNS1_11target_archE4294967295ELNS1_3gpuE0ELNS1_3repE0EEENS1_30default_config_static_selectorELNS0_4arch9wavefront6targetE1EEEvT1_
		.amdhsa_group_segment_fixed_size 0
		.amdhsa_private_segment_fixed_size 0
		.amdhsa_kernarg_size 112
		.amdhsa_user_sgpr_count 2
		.amdhsa_user_sgpr_dispatch_ptr 0
		.amdhsa_user_sgpr_queue_ptr 0
		.amdhsa_user_sgpr_kernarg_segment_ptr 1
		.amdhsa_user_sgpr_dispatch_id 0
		.amdhsa_user_sgpr_kernarg_preload_length 0
		.amdhsa_user_sgpr_kernarg_preload_offset 0
		.amdhsa_user_sgpr_private_segment_size 0
		.amdhsa_uses_dynamic_stack 0
		.amdhsa_enable_private_segment 0
		.amdhsa_system_sgpr_workgroup_id_x 1
		.amdhsa_system_sgpr_workgroup_id_y 0
		.amdhsa_system_sgpr_workgroup_id_z 0
		.amdhsa_system_sgpr_workgroup_info 0
		.amdhsa_system_vgpr_workitem_id 0
		.amdhsa_next_free_vgpr 1
		.amdhsa_next_free_sgpr 0
		.amdhsa_accum_offset 4
		.amdhsa_reserve_vcc 0
		.amdhsa_float_round_mode_32 0
		.amdhsa_float_round_mode_16_64 0
		.amdhsa_float_denorm_mode_32 3
		.amdhsa_float_denorm_mode_16_64 3
		.amdhsa_dx10_clamp 1
		.amdhsa_ieee_mode 1
		.amdhsa_fp16_overflow 0
		.amdhsa_tg_split 0
		.amdhsa_exception_fp_ieee_invalid_op 0
		.amdhsa_exception_fp_denorm_src 0
		.amdhsa_exception_fp_ieee_div_zero 0
		.amdhsa_exception_fp_ieee_overflow 0
		.amdhsa_exception_fp_ieee_underflow 0
		.amdhsa_exception_fp_ieee_inexact 0
		.amdhsa_exception_int_div_zero 0
	.end_amdhsa_kernel
	.section	.text._ZN7rocprim17ROCPRIM_400000_NS6detail17trampoline_kernelINS0_14default_configENS1_27scan_by_key_config_selectorIijEEZZNS1_16scan_by_key_implILNS1_25lookback_scan_determinismE0ELb0ES3_N6thrust23THRUST_200600_302600_NS6detail15normal_iteratorINS9_10device_ptrIiEEEENSB_INSC_IjEEEENSB_INSC_IfEEEEjNS9_4plusIvEENS9_8equal_toIvEEjEE10hipError_tPvRmT2_T3_T4_T5_mT6_T7_P12ihipStream_tbENKUlT_T0_E_clISt17integral_constantIbLb0EES12_IbLb1EEEEDaSY_SZ_EUlSY_E_NS1_11comp_targetILNS1_3genE0ELNS1_11target_archE4294967295ELNS1_3gpuE0ELNS1_3repE0EEENS1_30default_config_static_selectorELNS0_4arch9wavefront6targetE1EEEvT1_,"axG",@progbits,_ZN7rocprim17ROCPRIM_400000_NS6detail17trampoline_kernelINS0_14default_configENS1_27scan_by_key_config_selectorIijEEZZNS1_16scan_by_key_implILNS1_25lookback_scan_determinismE0ELb0ES3_N6thrust23THRUST_200600_302600_NS6detail15normal_iteratorINS9_10device_ptrIiEEEENSB_INSC_IjEEEENSB_INSC_IfEEEEjNS9_4plusIvEENS9_8equal_toIvEEjEE10hipError_tPvRmT2_T3_T4_T5_mT6_T7_P12ihipStream_tbENKUlT_T0_E_clISt17integral_constantIbLb0EES12_IbLb1EEEEDaSY_SZ_EUlSY_E_NS1_11comp_targetILNS1_3genE0ELNS1_11target_archE4294967295ELNS1_3gpuE0ELNS1_3repE0EEENS1_30default_config_static_selectorELNS0_4arch9wavefront6targetE1EEEvT1_,comdat
.Lfunc_end1671:
	.size	_ZN7rocprim17ROCPRIM_400000_NS6detail17trampoline_kernelINS0_14default_configENS1_27scan_by_key_config_selectorIijEEZZNS1_16scan_by_key_implILNS1_25lookback_scan_determinismE0ELb0ES3_N6thrust23THRUST_200600_302600_NS6detail15normal_iteratorINS9_10device_ptrIiEEEENSB_INSC_IjEEEENSB_INSC_IfEEEEjNS9_4plusIvEENS9_8equal_toIvEEjEE10hipError_tPvRmT2_T3_T4_T5_mT6_T7_P12ihipStream_tbENKUlT_T0_E_clISt17integral_constantIbLb0EES12_IbLb1EEEEDaSY_SZ_EUlSY_E_NS1_11comp_targetILNS1_3genE0ELNS1_11target_archE4294967295ELNS1_3gpuE0ELNS1_3repE0EEENS1_30default_config_static_selectorELNS0_4arch9wavefront6targetE1EEEvT1_, .Lfunc_end1671-_ZN7rocprim17ROCPRIM_400000_NS6detail17trampoline_kernelINS0_14default_configENS1_27scan_by_key_config_selectorIijEEZZNS1_16scan_by_key_implILNS1_25lookback_scan_determinismE0ELb0ES3_N6thrust23THRUST_200600_302600_NS6detail15normal_iteratorINS9_10device_ptrIiEEEENSB_INSC_IjEEEENSB_INSC_IfEEEEjNS9_4plusIvEENS9_8equal_toIvEEjEE10hipError_tPvRmT2_T3_T4_T5_mT6_T7_P12ihipStream_tbENKUlT_T0_E_clISt17integral_constantIbLb0EES12_IbLb1EEEEDaSY_SZ_EUlSY_E_NS1_11comp_targetILNS1_3genE0ELNS1_11target_archE4294967295ELNS1_3gpuE0ELNS1_3repE0EEENS1_30default_config_static_selectorELNS0_4arch9wavefront6targetE1EEEvT1_
                                        ; -- End function
	.section	.AMDGPU.csdata,"",@progbits
; Kernel info:
; codeLenInByte = 0
; NumSgprs: 6
; NumVgprs: 0
; NumAgprs: 0
; TotalNumVgprs: 0
; ScratchSize: 0
; MemoryBound: 0
; FloatMode: 240
; IeeeMode: 1
; LDSByteSize: 0 bytes/workgroup (compile time only)
; SGPRBlocks: 0
; VGPRBlocks: 0
; NumSGPRsForWavesPerEU: 6
; NumVGPRsForWavesPerEU: 1
; AccumOffset: 4
; Occupancy: 8
; WaveLimiterHint : 0
; COMPUTE_PGM_RSRC2:SCRATCH_EN: 0
; COMPUTE_PGM_RSRC2:USER_SGPR: 2
; COMPUTE_PGM_RSRC2:TRAP_HANDLER: 0
; COMPUTE_PGM_RSRC2:TGID_X_EN: 1
; COMPUTE_PGM_RSRC2:TGID_Y_EN: 0
; COMPUTE_PGM_RSRC2:TGID_Z_EN: 0
; COMPUTE_PGM_RSRC2:TIDIG_COMP_CNT: 0
; COMPUTE_PGM_RSRC3_GFX90A:ACCUM_OFFSET: 0
; COMPUTE_PGM_RSRC3_GFX90A:TG_SPLIT: 0
	.section	.text._ZN7rocprim17ROCPRIM_400000_NS6detail17trampoline_kernelINS0_14default_configENS1_27scan_by_key_config_selectorIijEEZZNS1_16scan_by_key_implILNS1_25lookback_scan_determinismE0ELb0ES3_N6thrust23THRUST_200600_302600_NS6detail15normal_iteratorINS9_10device_ptrIiEEEENSB_INSC_IjEEEENSB_INSC_IfEEEEjNS9_4plusIvEENS9_8equal_toIvEEjEE10hipError_tPvRmT2_T3_T4_T5_mT6_T7_P12ihipStream_tbENKUlT_T0_E_clISt17integral_constantIbLb0EES12_IbLb1EEEEDaSY_SZ_EUlSY_E_NS1_11comp_targetILNS1_3genE10ELNS1_11target_archE1201ELNS1_3gpuE5ELNS1_3repE0EEENS1_30default_config_static_selectorELNS0_4arch9wavefront6targetE1EEEvT1_,"axG",@progbits,_ZN7rocprim17ROCPRIM_400000_NS6detail17trampoline_kernelINS0_14default_configENS1_27scan_by_key_config_selectorIijEEZZNS1_16scan_by_key_implILNS1_25lookback_scan_determinismE0ELb0ES3_N6thrust23THRUST_200600_302600_NS6detail15normal_iteratorINS9_10device_ptrIiEEEENSB_INSC_IjEEEENSB_INSC_IfEEEEjNS9_4plusIvEENS9_8equal_toIvEEjEE10hipError_tPvRmT2_T3_T4_T5_mT6_T7_P12ihipStream_tbENKUlT_T0_E_clISt17integral_constantIbLb0EES12_IbLb1EEEEDaSY_SZ_EUlSY_E_NS1_11comp_targetILNS1_3genE10ELNS1_11target_archE1201ELNS1_3gpuE5ELNS1_3repE0EEENS1_30default_config_static_selectorELNS0_4arch9wavefront6targetE1EEEvT1_,comdat
	.protected	_ZN7rocprim17ROCPRIM_400000_NS6detail17trampoline_kernelINS0_14default_configENS1_27scan_by_key_config_selectorIijEEZZNS1_16scan_by_key_implILNS1_25lookback_scan_determinismE0ELb0ES3_N6thrust23THRUST_200600_302600_NS6detail15normal_iteratorINS9_10device_ptrIiEEEENSB_INSC_IjEEEENSB_INSC_IfEEEEjNS9_4plusIvEENS9_8equal_toIvEEjEE10hipError_tPvRmT2_T3_T4_T5_mT6_T7_P12ihipStream_tbENKUlT_T0_E_clISt17integral_constantIbLb0EES12_IbLb1EEEEDaSY_SZ_EUlSY_E_NS1_11comp_targetILNS1_3genE10ELNS1_11target_archE1201ELNS1_3gpuE5ELNS1_3repE0EEENS1_30default_config_static_selectorELNS0_4arch9wavefront6targetE1EEEvT1_ ; -- Begin function _ZN7rocprim17ROCPRIM_400000_NS6detail17trampoline_kernelINS0_14default_configENS1_27scan_by_key_config_selectorIijEEZZNS1_16scan_by_key_implILNS1_25lookback_scan_determinismE0ELb0ES3_N6thrust23THRUST_200600_302600_NS6detail15normal_iteratorINS9_10device_ptrIiEEEENSB_INSC_IjEEEENSB_INSC_IfEEEEjNS9_4plusIvEENS9_8equal_toIvEEjEE10hipError_tPvRmT2_T3_T4_T5_mT6_T7_P12ihipStream_tbENKUlT_T0_E_clISt17integral_constantIbLb0EES12_IbLb1EEEEDaSY_SZ_EUlSY_E_NS1_11comp_targetILNS1_3genE10ELNS1_11target_archE1201ELNS1_3gpuE5ELNS1_3repE0EEENS1_30default_config_static_selectorELNS0_4arch9wavefront6targetE1EEEvT1_
	.globl	_ZN7rocprim17ROCPRIM_400000_NS6detail17trampoline_kernelINS0_14default_configENS1_27scan_by_key_config_selectorIijEEZZNS1_16scan_by_key_implILNS1_25lookback_scan_determinismE0ELb0ES3_N6thrust23THRUST_200600_302600_NS6detail15normal_iteratorINS9_10device_ptrIiEEEENSB_INSC_IjEEEENSB_INSC_IfEEEEjNS9_4plusIvEENS9_8equal_toIvEEjEE10hipError_tPvRmT2_T3_T4_T5_mT6_T7_P12ihipStream_tbENKUlT_T0_E_clISt17integral_constantIbLb0EES12_IbLb1EEEEDaSY_SZ_EUlSY_E_NS1_11comp_targetILNS1_3genE10ELNS1_11target_archE1201ELNS1_3gpuE5ELNS1_3repE0EEENS1_30default_config_static_selectorELNS0_4arch9wavefront6targetE1EEEvT1_
	.p2align	8
	.type	_ZN7rocprim17ROCPRIM_400000_NS6detail17trampoline_kernelINS0_14default_configENS1_27scan_by_key_config_selectorIijEEZZNS1_16scan_by_key_implILNS1_25lookback_scan_determinismE0ELb0ES3_N6thrust23THRUST_200600_302600_NS6detail15normal_iteratorINS9_10device_ptrIiEEEENSB_INSC_IjEEEENSB_INSC_IfEEEEjNS9_4plusIvEENS9_8equal_toIvEEjEE10hipError_tPvRmT2_T3_T4_T5_mT6_T7_P12ihipStream_tbENKUlT_T0_E_clISt17integral_constantIbLb0EES12_IbLb1EEEEDaSY_SZ_EUlSY_E_NS1_11comp_targetILNS1_3genE10ELNS1_11target_archE1201ELNS1_3gpuE5ELNS1_3repE0EEENS1_30default_config_static_selectorELNS0_4arch9wavefront6targetE1EEEvT1_,@function
_ZN7rocprim17ROCPRIM_400000_NS6detail17trampoline_kernelINS0_14default_configENS1_27scan_by_key_config_selectorIijEEZZNS1_16scan_by_key_implILNS1_25lookback_scan_determinismE0ELb0ES3_N6thrust23THRUST_200600_302600_NS6detail15normal_iteratorINS9_10device_ptrIiEEEENSB_INSC_IjEEEENSB_INSC_IfEEEEjNS9_4plusIvEENS9_8equal_toIvEEjEE10hipError_tPvRmT2_T3_T4_T5_mT6_T7_P12ihipStream_tbENKUlT_T0_E_clISt17integral_constantIbLb0EES12_IbLb1EEEEDaSY_SZ_EUlSY_E_NS1_11comp_targetILNS1_3genE10ELNS1_11target_archE1201ELNS1_3gpuE5ELNS1_3repE0EEENS1_30default_config_static_selectorELNS0_4arch9wavefront6targetE1EEEvT1_: ; @_ZN7rocprim17ROCPRIM_400000_NS6detail17trampoline_kernelINS0_14default_configENS1_27scan_by_key_config_selectorIijEEZZNS1_16scan_by_key_implILNS1_25lookback_scan_determinismE0ELb0ES3_N6thrust23THRUST_200600_302600_NS6detail15normal_iteratorINS9_10device_ptrIiEEEENSB_INSC_IjEEEENSB_INSC_IfEEEEjNS9_4plusIvEENS9_8equal_toIvEEjEE10hipError_tPvRmT2_T3_T4_T5_mT6_T7_P12ihipStream_tbENKUlT_T0_E_clISt17integral_constantIbLb0EES12_IbLb1EEEEDaSY_SZ_EUlSY_E_NS1_11comp_targetILNS1_3genE10ELNS1_11target_archE1201ELNS1_3gpuE5ELNS1_3repE0EEENS1_30default_config_static_selectorELNS0_4arch9wavefront6targetE1EEEvT1_
; %bb.0:
	.section	.rodata,"a",@progbits
	.p2align	6, 0x0
	.amdhsa_kernel _ZN7rocprim17ROCPRIM_400000_NS6detail17trampoline_kernelINS0_14default_configENS1_27scan_by_key_config_selectorIijEEZZNS1_16scan_by_key_implILNS1_25lookback_scan_determinismE0ELb0ES3_N6thrust23THRUST_200600_302600_NS6detail15normal_iteratorINS9_10device_ptrIiEEEENSB_INSC_IjEEEENSB_INSC_IfEEEEjNS9_4plusIvEENS9_8equal_toIvEEjEE10hipError_tPvRmT2_T3_T4_T5_mT6_T7_P12ihipStream_tbENKUlT_T0_E_clISt17integral_constantIbLb0EES12_IbLb1EEEEDaSY_SZ_EUlSY_E_NS1_11comp_targetILNS1_3genE10ELNS1_11target_archE1201ELNS1_3gpuE5ELNS1_3repE0EEENS1_30default_config_static_selectorELNS0_4arch9wavefront6targetE1EEEvT1_
		.amdhsa_group_segment_fixed_size 0
		.amdhsa_private_segment_fixed_size 0
		.amdhsa_kernarg_size 112
		.amdhsa_user_sgpr_count 2
		.amdhsa_user_sgpr_dispatch_ptr 0
		.amdhsa_user_sgpr_queue_ptr 0
		.amdhsa_user_sgpr_kernarg_segment_ptr 1
		.amdhsa_user_sgpr_dispatch_id 0
		.amdhsa_user_sgpr_kernarg_preload_length 0
		.amdhsa_user_sgpr_kernarg_preload_offset 0
		.amdhsa_user_sgpr_private_segment_size 0
		.amdhsa_uses_dynamic_stack 0
		.amdhsa_enable_private_segment 0
		.amdhsa_system_sgpr_workgroup_id_x 1
		.amdhsa_system_sgpr_workgroup_id_y 0
		.amdhsa_system_sgpr_workgroup_id_z 0
		.amdhsa_system_sgpr_workgroup_info 0
		.amdhsa_system_vgpr_workitem_id 0
		.amdhsa_next_free_vgpr 1
		.amdhsa_next_free_sgpr 0
		.amdhsa_accum_offset 4
		.amdhsa_reserve_vcc 0
		.amdhsa_float_round_mode_32 0
		.amdhsa_float_round_mode_16_64 0
		.amdhsa_float_denorm_mode_32 3
		.amdhsa_float_denorm_mode_16_64 3
		.amdhsa_dx10_clamp 1
		.amdhsa_ieee_mode 1
		.amdhsa_fp16_overflow 0
		.amdhsa_tg_split 0
		.amdhsa_exception_fp_ieee_invalid_op 0
		.amdhsa_exception_fp_denorm_src 0
		.amdhsa_exception_fp_ieee_div_zero 0
		.amdhsa_exception_fp_ieee_overflow 0
		.amdhsa_exception_fp_ieee_underflow 0
		.amdhsa_exception_fp_ieee_inexact 0
		.amdhsa_exception_int_div_zero 0
	.end_amdhsa_kernel
	.section	.text._ZN7rocprim17ROCPRIM_400000_NS6detail17trampoline_kernelINS0_14default_configENS1_27scan_by_key_config_selectorIijEEZZNS1_16scan_by_key_implILNS1_25lookback_scan_determinismE0ELb0ES3_N6thrust23THRUST_200600_302600_NS6detail15normal_iteratorINS9_10device_ptrIiEEEENSB_INSC_IjEEEENSB_INSC_IfEEEEjNS9_4plusIvEENS9_8equal_toIvEEjEE10hipError_tPvRmT2_T3_T4_T5_mT6_T7_P12ihipStream_tbENKUlT_T0_E_clISt17integral_constantIbLb0EES12_IbLb1EEEEDaSY_SZ_EUlSY_E_NS1_11comp_targetILNS1_3genE10ELNS1_11target_archE1201ELNS1_3gpuE5ELNS1_3repE0EEENS1_30default_config_static_selectorELNS0_4arch9wavefront6targetE1EEEvT1_,"axG",@progbits,_ZN7rocprim17ROCPRIM_400000_NS6detail17trampoline_kernelINS0_14default_configENS1_27scan_by_key_config_selectorIijEEZZNS1_16scan_by_key_implILNS1_25lookback_scan_determinismE0ELb0ES3_N6thrust23THRUST_200600_302600_NS6detail15normal_iteratorINS9_10device_ptrIiEEEENSB_INSC_IjEEEENSB_INSC_IfEEEEjNS9_4plusIvEENS9_8equal_toIvEEjEE10hipError_tPvRmT2_T3_T4_T5_mT6_T7_P12ihipStream_tbENKUlT_T0_E_clISt17integral_constantIbLb0EES12_IbLb1EEEEDaSY_SZ_EUlSY_E_NS1_11comp_targetILNS1_3genE10ELNS1_11target_archE1201ELNS1_3gpuE5ELNS1_3repE0EEENS1_30default_config_static_selectorELNS0_4arch9wavefront6targetE1EEEvT1_,comdat
.Lfunc_end1672:
	.size	_ZN7rocprim17ROCPRIM_400000_NS6detail17trampoline_kernelINS0_14default_configENS1_27scan_by_key_config_selectorIijEEZZNS1_16scan_by_key_implILNS1_25lookback_scan_determinismE0ELb0ES3_N6thrust23THRUST_200600_302600_NS6detail15normal_iteratorINS9_10device_ptrIiEEEENSB_INSC_IjEEEENSB_INSC_IfEEEEjNS9_4plusIvEENS9_8equal_toIvEEjEE10hipError_tPvRmT2_T3_T4_T5_mT6_T7_P12ihipStream_tbENKUlT_T0_E_clISt17integral_constantIbLb0EES12_IbLb1EEEEDaSY_SZ_EUlSY_E_NS1_11comp_targetILNS1_3genE10ELNS1_11target_archE1201ELNS1_3gpuE5ELNS1_3repE0EEENS1_30default_config_static_selectorELNS0_4arch9wavefront6targetE1EEEvT1_, .Lfunc_end1672-_ZN7rocprim17ROCPRIM_400000_NS6detail17trampoline_kernelINS0_14default_configENS1_27scan_by_key_config_selectorIijEEZZNS1_16scan_by_key_implILNS1_25lookback_scan_determinismE0ELb0ES3_N6thrust23THRUST_200600_302600_NS6detail15normal_iteratorINS9_10device_ptrIiEEEENSB_INSC_IjEEEENSB_INSC_IfEEEEjNS9_4plusIvEENS9_8equal_toIvEEjEE10hipError_tPvRmT2_T3_T4_T5_mT6_T7_P12ihipStream_tbENKUlT_T0_E_clISt17integral_constantIbLb0EES12_IbLb1EEEEDaSY_SZ_EUlSY_E_NS1_11comp_targetILNS1_3genE10ELNS1_11target_archE1201ELNS1_3gpuE5ELNS1_3repE0EEENS1_30default_config_static_selectorELNS0_4arch9wavefront6targetE1EEEvT1_
                                        ; -- End function
	.section	.AMDGPU.csdata,"",@progbits
; Kernel info:
; codeLenInByte = 0
; NumSgprs: 6
; NumVgprs: 0
; NumAgprs: 0
; TotalNumVgprs: 0
; ScratchSize: 0
; MemoryBound: 0
; FloatMode: 240
; IeeeMode: 1
; LDSByteSize: 0 bytes/workgroup (compile time only)
; SGPRBlocks: 0
; VGPRBlocks: 0
; NumSGPRsForWavesPerEU: 6
; NumVGPRsForWavesPerEU: 1
; AccumOffset: 4
; Occupancy: 8
; WaveLimiterHint : 0
; COMPUTE_PGM_RSRC2:SCRATCH_EN: 0
; COMPUTE_PGM_RSRC2:USER_SGPR: 2
; COMPUTE_PGM_RSRC2:TRAP_HANDLER: 0
; COMPUTE_PGM_RSRC2:TGID_X_EN: 1
; COMPUTE_PGM_RSRC2:TGID_Y_EN: 0
; COMPUTE_PGM_RSRC2:TGID_Z_EN: 0
; COMPUTE_PGM_RSRC2:TIDIG_COMP_CNT: 0
; COMPUTE_PGM_RSRC3_GFX90A:ACCUM_OFFSET: 0
; COMPUTE_PGM_RSRC3_GFX90A:TG_SPLIT: 0
	.section	.text._ZN7rocprim17ROCPRIM_400000_NS6detail17trampoline_kernelINS0_14default_configENS1_27scan_by_key_config_selectorIijEEZZNS1_16scan_by_key_implILNS1_25lookback_scan_determinismE0ELb0ES3_N6thrust23THRUST_200600_302600_NS6detail15normal_iteratorINS9_10device_ptrIiEEEENSB_INSC_IjEEEENSB_INSC_IfEEEEjNS9_4plusIvEENS9_8equal_toIvEEjEE10hipError_tPvRmT2_T3_T4_T5_mT6_T7_P12ihipStream_tbENKUlT_T0_E_clISt17integral_constantIbLb0EES12_IbLb1EEEEDaSY_SZ_EUlSY_E_NS1_11comp_targetILNS1_3genE5ELNS1_11target_archE942ELNS1_3gpuE9ELNS1_3repE0EEENS1_30default_config_static_selectorELNS0_4arch9wavefront6targetE1EEEvT1_,"axG",@progbits,_ZN7rocprim17ROCPRIM_400000_NS6detail17trampoline_kernelINS0_14default_configENS1_27scan_by_key_config_selectorIijEEZZNS1_16scan_by_key_implILNS1_25lookback_scan_determinismE0ELb0ES3_N6thrust23THRUST_200600_302600_NS6detail15normal_iteratorINS9_10device_ptrIiEEEENSB_INSC_IjEEEENSB_INSC_IfEEEEjNS9_4plusIvEENS9_8equal_toIvEEjEE10hipError_tPvRmT2_T3_T4_T5_mT6_T7_P12ihipStream_tbENKUlT_T0_E_clISt17integral_constantIbLb0EES12_IbLb1EEEEDaSY_SZ_EUlSY_E_NS1_11comp_targetILNS1_3genE5ELNS1_11target_archE942ELNS1_3gpuE9ELNS1_3repE0EEENS1_30default_config_static_selectorELNS0_4arch9wavefront6targetE1EEEvT1_,comdat
	.protected	_ZN7rocprim17ROCPRIM_400000_NS6detail17trampoline_kernelINS0_14default_configENS1_27scan_by_key_config_selectorIijEEZZNS1_16scan_by_key_implILNS1_25lookback_scan_determinismE0ELb0ES3_N6thrust23THRUST_200600_302600_NS6detail15normal_iteratorINS9_10device_ptrIiEEEENSB_INSC_IjEEEENSB_INSC_IfEEEEjNS9_4plusIvEENS9_8equal_toIvEEjEE10hipError_tPvRmT2_T3_T4_T5_mT6_T7_P12ihipStream_tbENKUlT_T0_E_clISt17integral_constantIbLb0EES12_IbLb1EEEEDaSY_SZ_EUlSY_E_NS1_11comp_targetILNS1_3genE5ELNS1_11target_archE942ELNS1_3gpuE9ELNS1_3repE0EEENS1_30default_config_static_selectorELNS0_4arch9wavefront6targetE1EEEvT1_ ; -- Begin function _ZN7rocprim17ROCPRIM_400000_NS6detail17trampoline_kernelINS0_14default_configENS1_27scan_by_key_config_selectorIijEEZZNS1_16scan_by_key_implILNS1_25lookback_scan_determinismE0ELb0ES3_N6thrust23THRUST_200600_302600_NS6detail15normal_iteratorINS9_10device_ptrIiEEEENSB_INSC_IjEEEENSB_INSC_IfEEEEjNS9_4plusIvEENS9_8equal_toIvEEjEE10hipError_tPvRmT2_T3_T4_T5_mT6_T7_P12ihipStream_tbENKUlT_T0_E_clISt17integral_constantIbLb0EES12_IbLb1EEEEDaSY_SZ_EUlSY_E_NS1_11comp_targetILNS1_3genE5ELNS1_11target_archE942ELNS1_3gpuE9ELNS1_3repE0EEENS1_30default_config_static_selectorELNS0_4arch9wavefront6targetE1EEEvT1_
	.globl	_ZN7rocprim17ROCPRIM_400000_NS6detail17trampoline_kernelINS0_14default_configENS1_27scan_by_key_config_selectorIijEEZZNS1_16scan_by_key_implILNS1_25lookback_scan_determinismE0ELb0ES3_N6thrust23THRUST_200600_302600_NS6detail15normal_iteratorINS9_10device_ptrIiEEEENSB_INSC_IjEEEENSB_INSC_IfEEEEjNS9_4plusIvEENS9_8equal_toIvEEjEE10hipError_tPvRmT2_T3_T4_T5_mT6_T7_P12ihipStream_tbENKUlT_T0_E_clISt17integral_constantIbLb0EES12_IbLb1EEEEDaSY_SZ_EUlSY_E_NS1_11comp_targetILNS1_3genE5ELNS1_11target_archE942ELNS1_3gpuE9ELNS1_3repE0EEENS1_30default_config_static_selectorELNS0_4arch9wavefront6targetE1EEEvT1_
	.p2align	8
	.type	_ZN7rocprim17ROCPRIM_400000_NS6detail17trampoline_kernelINS0_14default_configENS1_27scan_by_key_config_selectorIijEEZZNS1_16scan_by_key_implILNS1_25lookback_scan_determinismE0ELb0ES3_N6thrust23THRUST_200600_302600_NS6detail15normal_iteratorINS9_10device_ptrIiEEEENSB_INSC_IjEEEENSB_INSC_IfEEEEjNS9_4plusIvEENS9_8equal_toIvEEjEE10hipError_tPvRmT2_T3_T4_T5_mT6_T7_P12ihipStream_tbENKUlT_T0_E_clISt17integral_constantIbLb0EES12_IbLb1EEEEDaSY_SZ_EUlSY_E_NS1_11comp_targetILNS1_3genE5ELNS1_11target_archE942ELNS1_3gpuE9ELNS1_3repE0EEENS1_30default_config_static_selectorELNS0_4arch9wavefront6targetE1EEEvT1_,@function
_ZN7rocprim17ROCPRIM_400000_NS6detail17trampoline_kernelINS0_14default_configENS1_27scan_by_key_config_selectorIijEEZZNS1_16scan_by_key_implILNS1_25lookback_scan_determinismE0ELb0ES3_N6thrust23THRUST_200600_302600_NS6detail15normal_iteratorINS9_10device_ptrIiEEEENSB_INSC_IjEEEENSB_INSC_IfEEEEjNS9_4plusIvEENS9_8equal_toIvEEjEE10hipError_tPvRmT2_T3_T4_T5_mT6_T7_P12ihipStream_tbENKUlT_T0_E_clISt17integral_constantIbLb0EES12_IbLb1EEEEDaSY_SZ_EUlSY_E_NS1_11comp_targetILNS1_3genE5ELNS1_11target_archE942ELNS1_3gpuE9ELNS1_3repE0EEENS1_30default_config_static_selectorELNS0_4arch9wavefront6targetE1EEEvT1_: ; @_ZN7rocprim17ROCPRIM_400000_NS6detail17trampoline_kernelINS0_14default_configENS1_27scan_by_key_config_selectorIijEEZZNS1_16scan_by_key_implILNS1_25lookback_scan_determinismE0ELb0ES3_N6thrust23THRUST_200600_302600_NS6detail15normal_iteratorINS9_10device_ptrIiEEEENSB_INSC_IjEEEENSB_INSC_IfEEEEjNS9_4plusIvEENS9_8equal_toIvEEjEE10hipError_tPvRmT2_T3_T4_T5_mT6_T7_P12ihipStream_tbENKUlT_T0_E_clISt17integral_constantIbLb0EES12_IbLb1EEEEDaSY_SZ_EUlSY_E_NS1_11comp_targetILNS1_3genE5ELNS1_11target_archE942ELNS1_3gpuE9ELNS1_3repE0EEENS1_30default_config_static_selectorELNS0_4arch9wavefront6targetE1EEEvT1_
; %bb.0:
	s_load_dwordx4 s[72:75], s[0:1], 0x28
	s_load_dwordx2 s[76:77], s[0:1], 0x38
	v_cmp_ne_u32_e64 s[4:5], 0, v0
	v_cmp_eq_u32_e64 s[54:55], 0, v0
	s_and_saveexec_b64 s[2:3], s[54:55]
	s_cbranch_execz .LBB1673_4
; %bb.1:
	s_mov_b64 s[8:9], exec
	v_mbcnt_lo_u32_b32 v1, s8, 0
	v_mbcnt_hi_u32_b32 v1, s9, v1
	v_cmp_eq_u32_e32 vcc, 0, v1
                                        ; implicit-def: $vgpr2
	s_and_saveexec_b64 s[6:7], vcc
	s_cbranch_execz .LBB1673_3
; %bb.2:
	s_load_dwordx2 s[10:11], s[0:1], 0x68
	s_bcnt1_i32_b64 s8, s[8:9]
	v_mov_b32_e32 v2, 0
	v_mov_b32_e32 v3, s8
	s_waitcnt lgkmcnt(0)
	global_atomic_add v2, v2, v3, s[10:11] sc0
.LBB1673_3:
	s_or_b64 exec, exec, s[6:7]
	s_waitcnt vmcnt(0)
	v_readfirstlane_b32 s6, v2
	v_mov_b32_e32 v2, 0
	s_nop 0
	v_add_u32_e32 v1, s6, v1
	ds_write_b32 v2, v1
.LBB1673_4:
	s_or_b64 exec, exec, s[2:3]
	s_load_dwordx8 s[56:63], s[0:1], 0x0
	s_load_dword s2, s[0:1], 0x40
	s_load_dwordx8 s[64:71], s[0:1], 0x48
	v_mov_b32_e32 v1, 0
	s_waitcnt lgkmcnt(0)
	s_barrier
	ds_read_b32 v1, v1
	s_lshl_b64 s[58:59], s[58:59], 2
	s_add_u32 s3, s56, s58
	s_addc_u32 s6, s57, s59
	s_add_u32 s7, s60, s58
	s_mul_i32 s0, s77, s2
	s_mul_hi_u32 s1, s76, s2
	s_addc_u32 s8, s61, s59
	s_add_i32 s9, s1, s0
	s_waitcnt lgkmcnt(0)
	v_readfirstlane_b32 s75, v1
	s_cmp_lg_u64 s[68:69], 0
	s_mov_b32 s1, 0
	s_mul_i32 s0, s75, 0x1700
	s_cselect_b64 s[78:79], -1, 0
	s_lshl_b64 s[56:57], s[0:1], 2
	s_add_u32 s68, s3, s56
	s_addc_u32 s69, s6, s57
	s_add_u32 s60, s7, s56
	s_mul_i32 s2, s76, s2
	s_addc_u32 s61, s8, s57
	s_add_u32 s80, s2, s75
	s_addc_u32 s81, s9, 0
	s_add_u32 s0, s64, -1
	s_addc_u32 s1, s65, -1
	v_mov_b64_e32 v[2:3], s[0:1]
	v_cmp_ge_u64_e64 s[2:3], s[80:81], v[2:3]
	s_mov_b64 s[10:11], 0
	s_mov_b64 s[6:7], -1
	s_and_b64 vcc, exec, s[2:3]
	s_mul_i32 s33, s0, 0xffffe900
	s_barrier
	s_barrier
	s_cbranch_vccz .LBB1673_126
; %bb.5:
	v_mov_b64_e32 v[2:3], s[68:69]
	flat_load_dword v1, v[2:3]
	s_add_i32 s84, s33, s74
	v_cmp_gt_u32_e64 s[6:7], s84, v0
	s_waitcnt vmcnt(0) lgkmcnt(0)
	v_mov_b32_e32 v4, v1
	s_and_saveexec_b64 s[0:1], s[6:7]
	s_cbranch_execz .LBB1673_7
; %bb.6:
	v_lshlrev_b32_e32 v2, 2, v0
	v_mov_b32_e32 v3, 0
	v_lshl_add_u64 v[2:3], s[68:69], 0, v[2:3]
	flat_load_dword v4, v[2:3]
.LBB1673_7:
	s_or_b64 exec, exec, s[0:1]
	v_or_b32_e32 v2, 0x100, v0
	v_cmp_gt_u32_e64 s[8:9], s84, v2
	v_mov_b32_e32 v5, v1
	s_and_saveexec_b64 s[0:1], s[8:9]
	s_cbranch_execz .LBB1673_9
; %bb.8:
	v_lshlrev_b32_e32 v2, 2, v0
	v_mov_b32_e32 v3, 0
	v_lshl_add_u64 v[2:3], s[68:69], 0, v[2:3]
	flat_load_dword v5, v[2:3] offset:1024
.LBB1673_9:
	s_or_b64 exec, exec, s[0:1]
	v_or_b32_e32 v2, 0x200, v0
	v_cmp_gt_u32_e64 s[10:11], s84, v2
	v_mov_b32_e32 v6, v1
	s_and_saveexec_b64 s[0:1], s[10:11]
	s_cbranch_execz .LBB1673_11
; %bb.10:
	v_lshlrev_b32_e32 v2, 2, v0
	v_mov_b32_e32 v3, 0
	v_lshl_add_u64 v[2:3], s[68:69], 0, v[2:3]
	flat_load_dword v6, v[2:3] offset:2048
.LBB1673_11:
	;; [unrolled: 12-line block ×3, first 2 shown]
	s_or_b64 exec, exec, s[0:1]
	v_or_b32_e32 v2, 0x400, v0
	v_cmp_gt_u32_e64 s[14:15], s84, v2
	v_lshlrev_b32_e32 v2, 2, v2
	v_mov_b32_e32 v3, v1
	s_and_saveexec_b64 s[0:1], s[14:15]
	s_cbranch_execz .LBB1673_15
; %bb.14:
	v_mov_b32_e32 v3, 0
	v_lshl_add_u64 v[8:9], s[68:69], 0, v[2:3]
	flat_load_dword v3, v[8:9]
.LBB1673_15:
	s_or_b64 exec, exec, s[0:1]
	v_or_b32_e32 v8, 0x500, v0
	v_cmp_gt_u32_e64 s[16:17], s84, v8
	v_lshlrev_b32_e32 v10, 2, v8
	v_mov_b32_e32 v8, v1
	s_and_saveexec_b64 s[0:1], s[16:17]
	s_cbranch_execz .LBB1673_17
; %bb.16:
	v_mov_b32_e32 v11, 0
	v_lshl_add_u64 v[8:9], s[68:69], 0, v[10:11]
	flat_load_dword v8, v[8:9]
.LBB1673_17:
	;; [unrolled: 12-line block ×18, first 2 shown]
	s_or_b64 exec, exec, s[0:1]
	v_or_b32_e32 v41, 0x1600, v0
	v_cmp_gt_u32_e64 s[52:53], s84, v41
	v_lshlrev_b32_e32 v46, 2, v41
	s_and_saveexec_b64 s[0:1], s[52:53]
	s_cbranch_execz .LBB1673_51
; %bb.50:
	v_mov_b32_e32 v47, 0
	v_lshl_add_u64 v[44:45], s[68:69], 0, v[46:47]
	flat_load_dword v1, v[44:45]
.LBB1673_51:
	s_or_b64 exec, exec, s[0:1]
	v_lshlrev_b32_e32 v44, 2, v0
	s_movk_i32 s0, 0x58
	s_waitcnt vmcnt(0) lgkmcnt(0)
	ds_write2st64_b32 v44, v4, v5 offset1:4
	ds_write2st64_b32 v44, v6, v7 offset0:8 offset1:12
	ds_write2st64_b32 v44, v3, v8 offset0:16 offset1:20
	;; [unrolled: 1-line block ×10, first 2 shown]
	ds_write_b32 v44, v1 offset:22528
	v_mad_u32_u24 v1, v0, s0, v44
	s_waitcnt lgkmcnt(0)
	s_barrier
	ds_read2_b32 v[68:69], v1 offset1:1
	ds_read2_b32 v[66:67], v1 offset0:2 offset1:3
	ds_read2_b32 v[64:65], v1 offset0:4 offset1:5
	;; [unrolled: 1-line block ×10, first 2 shown]
	ds_read_b32 v72, v1 offset:88
	s_cmp_eq_u64 s[80:81], 0
	s_mov_b64 s[0:1], s[68:69]
	s_cbranch_scc1 .LBB1673_55
; %bb.52:
	s_andn2_b64 vcc, exec, s[78:79]
	s_cbranch_vccnz .LBB1673_267
; %bb.53:
	s_lshl_b64 s[0:1], s[80:81], 2
	s_add_u32 s0, s70, s0
	s_addc_u32 s1, s71, s1
	s_add_u32 s0, s0, -4
	s_addc_u32 s1, s1, -1
	s_cbranch_execnz .LBB1673_55
.LBB1673_54:
	s_add_u32 s0, s68, -4
	s_addc_u32 s1, s69, -1
.LBB1673_55:
	v_mov_b64_e32 v[48:49], s[0:1]
	flat_load_dword v70, v[48:49]
	s_movk_i32 s0, 0xffa8
	v_mad_i32_i24 v3, v0, s0, v1
	s_waitcnt lgkmcnt(0)
	ds_write_b32 v3, v72 offset:23552
	s_waitcnt lgkmcnt(0)
	s_barrier
	s_and_saveexec_b64 s[0:1], s[4:5]
	s_cbranch_execz .LBB1673_57
; %bb.56:
	v_mul_i32_i24_e32 v3, 0xffffffa8, v0
	v_add_u32_e32 v3, v1, v3
	s_waitcnt vmcnt(0)
	ds_read_b32 v70, v3 offset:23548
.LBB1673_57:
	s_or_b64 exec, exec, s[0:1]
	v_mov_b32_e32 v45, 0
	s_waitcnt lgkmcnt(0)
	s_barrier
	s_waitcnt lgkmcnt(0)
                                        ; implicit-def: $vgpr48
	s_and_saveexec_b64 s[0:1], s[6:7]
	s_cbranch_execnz .LBB1673_243
; %bb.58:
	s_or_b64 exec, exec, s[0:1]
                                        ; implicit-def: $vgpr49
	s_and_saveexec_b64 s[0:1], s[8:9]
	s_cbranch_execnz .LBB1673_244
.LBB1673_59:
	s_or_b64 exec, exec, s[0:1]
                                        ; implicit-def: $vgpr50
	s_and_saveexec_b64 s[0:1], s[10:11]
	s_cbranch_execnz .LBB1673_245
.LBB1673_60:
	s_or_b64 exec, exec, s[0:1]
                                        ; implicit-def: $vgpr45
	s_and_saveexec_b64 s[0:1], s[12:13]
	s_cbranch_execnz .LBB1673_246
.LBB1673_61:
	s_or_b64 exec, exec, s[0:1]
                                        ; implicit-def: $vgpr3
	s_and_saveexec_b64 s[0:1], s[14:15]
	s_cbranch_execnz .LBB1673_247
.LBB1673_62:
	s_or_b64 exec, exec, s[0:1]
                                        ; implicit-def: $vgpr2
	s_and_saveexec_b64 s[0:1], s[16:17]
	s_cbranch_execnz .LBB1673_248
.LBB1673_63:
	s_or_b64 exec, exec, s[0:1]
                                        ; implicit-def: $vgpr10
	s_and_saveexec_b64 s[0:1], s[18:19]
	s_cbranch_execnz .LBB1673_249
.LBB1673_64:
	s_or_b64 exec, exec, s[0:1]
                                        ; implicit-def: $vgpr11
	s_and_saveexec_b64 s[0:1], s[20:21]
	s_cbranch_execnz .LBB1673_250
.LBB1673_65:
	s_or_b64 exec, exec, s[0:1]
                                        ; implicit-def: $vgpr12
	s_and_saveexec_b64 s[0:1], s[22:23]
	s_cbranch_execnz .LBB1673_251
.LBB1673_66:
	s_or_b64 exec, exec, s[0:1]
                                        ; implicit-def: $vgpr13
	s_and_saveexec_b64 s[0:1], s[24:25]
	s_cbranch_execnz .LBB1673_252
.LBB1673_67:
	s_or_b64 exec, exec, s[0:1]
                                        ; implicit-def: $vgpr14
	s_and_saveexec_b64 s[0:1], s[26:27]
	s_cbranch_execnz .LBB1673_253
.LBB1673_68:
	s_or_b64 exec, exec, s[0:1]
                                        ; implicit-def: $vgpr15
	s_and_saveexec_b64 s[0:1], s[28:29]
	s_cbranch_execnz .LBB1673_254
.LBB1673_69:
	s_or_b64 exec, exec, s[0:1]
                                        ; implicit-def: $vgpr16
	s_and_saveexec_b64 s[0:1], s[30:31]
	s_cbranch_execnz .LBB1673_255
.LBB1673_70:
	s_or_b64 exec, exec, s[0:1]
                                        ; implicit-def: $vgpr17
	s_and_saveexec_b64 s[0:1], s[34:35]
	s_cbranch_execnz .LBB1673_256
.LBB1673_71:
	s_or_b64 exec, exec, s[0:1]
                                        ; implicit-def: $vgpr18
	s_and_saveexec_b64 s[0:1], s[36:37]
	s_cbranch_execnz .LBB1673_257
.LBB1673_72:
	s_or_b64 exec, exec, s[0:1]
                                        ; implicit-def: $vgpr19
	s_and_saveexec_b64 s[0:1], s[38:39]
	s_cbranch_execnz .LBB1673_258
.LBB1673_73:
	s_or_b64 exec, exec, s[0:1]
                                        ; implicit-def: $vgpr20
	s_and_saveexec_b64 s[0:1], s[40:41]
	s_cbranch_execnz .LBB1673_259
.LBB1673_74:
	s_or_b64 exec, exec, s[0:1]
                                        ; implicit-def: $vgpr21
	s_and_saveexec_b64 s[0:1], s[42:43]
	s_cbranch_execnz .LBB1673_260
.LBB1673_75:
	s_or_b64 exec, exec, s[0:1]
                                        ; implicit-def: $vgpr22
	s_and_saveexec_b64 s[0:1], s[44:45]
	s_cbranch_execnz .LBB1673_261
.LBB1673_76:
	s_or_b64 exec, exec, s[0:1]
                                        ; implicit-def: $vgpr23
	s_and_saveexec_b64 s[0:1], s[46:47]
	s_cbranch_execnz .LBB1673_262
.LBB1673_77:
	s_or_b64 exec, exec, s[0:1]
                                        ; implicit-def: $vgpr24
	s_and_saveexec_b64 s[0:1], s[48:49]
	s_cbranch_execnz .LBB1673_263
.LBB1673_78:
	s_or_b64 exec, exec, s[0:1]
                                        ; implicit-def: $vgpr25
	s_and_saveexec_b64 s[0:1], s[50:51]
	s_cbranch_execnz .LBB1673_264
.LBB1673_79:
	s_or_b64 exec, exec, s[0:1]
                                        ; implicit-def: $vgpr26
	s_and_saveexec_b64 s[0:1], s[52:53]
	s_cbranch_execz .LBB1673_81
.LBB1673_80:
	v_mov_b32_e32 v47, 0
	v_lshl_add_u64 v[26:27], s[60:61], 0, v[46:47]
	flat_load_dword v26, v[26:27]
.LBB1673_81:
	s_or_b64 exec, exec, s[0:1]
	v_mul_u32_u24_e32 v73, 23, v0
	s_waitcnt vmcnt(0) lgkmcnt(0)
	ds_write2st64_b32 v44, v48, v49 offset1:4
	ds_write2st64_b32 v44, v50, v45 offset0:8 offset1:12
	ds_write2st64_b32 v44, v3, v2 offset0:16 offset1:20
	;; [unrolled: 1-line block ×10, first 2 shown]
	ds_write_b32 v44, v26 offset:22528
	v_mov_b64_e32 v[10:11], 0
	v_cmp_gt_u32_e32 vcc, s84, v73
	s_mov_b64 s[10:11], 0
	s_mov_b64 s[6:7], 0
	v_mov_b64_e32 v[12:13], v[10:11]
	v_mov_b64_e32 v[14:15], v[10:11]
	;; [unrolled: 1-line block ×21, first 2 shown]
	s_waitcnt lgkmcnt(0)
	s_barrier
	s_waitcnt lgkmcnt(0)
                                        ; implicit-def: $sgpr0_sgpr1
                                        ; implicit-def: $vgpr3
	s_and_saveexec_b64 s[8:9], vcc
	s_cbranch_execz .LBB1673_125
; %bb.82:
	ds_read_b32 v10, v1
	v_add_u32_e32 v2, 1, v73
	v_cmp_ne_u32_e32 vcc, v70, v68
	v_mov_b64_e32 v[12:13], 0
	s_mov_b64 s[12:13], 0
	v_cndmask_b32_e64 v11, 0, 1, vcc
	v_cmp_gt_u32_e32 vcc, s84, v2
	s_mov_b64 s[0:1], 0
	v_mov_b64_e32 v[14:15], v[12:13]
	v_mov_b64_e32 v[16:17], v[12:13]
	;; [unrolled: 1-line block ×20, first 2 shown]
                                        ; implicit-def: $sgpr14_sgpr15
                                        ; implicit-def: $vgpr3
	s_and_saveexec_b64 s[10:11], vcc
	s_cbranch_execz .LBB1673_124
; %bb.83:
	ds_read2_b32 v[70:71], v1 offset0:1 offset1:2
	v_add_u32_e32 v2, 2, v73
	v_cmp_ne_u32_e32 vcc, v68, v69
	v_mov_b64_e32 v[14:15], 0
	s_mov_b64 s[16:17], 0
	v_cndmask_b32_e64 v13, 0, 1, vcc
	v_cmp_gt_u32_e32 vcc, s84, v2
	s_waitcnt lgkmcnt(0)
	v_mov_b32_e32 v12, v70
	v_mov_b64_e32 v[16:17], v[14:15]
	v_mov_b64_e32 v[18:19], v[14:15]
	v_mov_b64_e32 v[20:21], v[14:15]
	v_mov_b64_e32 v[22:23], v[14:15]
	v_mov_b64_e32 v[24:25], v[14:15]
	v_mov_b64_e32 v[26:27], v[14:15]
	v_mov_b64_e32 v[28:29], v[14:15]
	v_mov_b64_e32 v[30:31], v[14:15]
	v_mov_b64_e32 v[32:33], v[14:15]
	v_mov_b64_e32 v[34:35], v[14:15]
	v_mov_b64_e32 v[36:37], v[14:15]
	v_mov_b64_e32 v[38:39], v[14:15]
	v_mov_b64_e32 v[40:41], v[14:15]
	v_mov_b64_e32 v[42:43], v[14:15]
	v_mov_b64_e32 v[44:45], v[14:15]
	v_mov_b64_e32 v[46:47], v[14:15]
	v_mov_b64_e32 v[48:49], v[14:15]
	v_mov_b64_e32 v[50:51], v[14:15]
	v_mov_b64_e32 v[52:53], v[14:15]
                                        ; implicit-def: $sgpr14_sgpr15
                                        ; implicit-def: $vgpr3
	s_and_saveexec_b64 s[12:13], vcc
	s_cbranch_execz .LBB1673_123
; %bb.84:
	v_add_u32_e32 v2, 3, v73
	v_cmp_ne_u32_e32 vcc, v69, v66
	v_mov_b64_e32 v[16:17], 0
	v_mov_b32_e32 v14, v71
	v_cndmask_b32_e64 v15, 0, 1, vcc
	v_cmp_gt_u32_e32 vcc, s84, v2
	v_mov_b64_e32 v[18:19], v[16:17]
	v_mov_b64_e32 v[20:21], v[16:17]
	;; [unrolled: 1-line block ×18, first 2 shown]
                                        ; implicit-def: $sgpr18_sgpr19
                                        ; implicit-def: $vgpr3
	s_and_saveexec_b64 s[14:15], vcc
	s_cbranch_execz .LBB1673_122
; %bb.85:
	ds_read2_b32 v[68:69], v1 offset0:3 offset1:4
	v_add_u32_e32 v2, 4, v73
	v_cmp_ne_u32_e32 vcc, v66, v67
	v_mov_b64_e32 v[18:19], 0
	s_mov_b64 s[20:21], 0
	v_cndmask_b32_e64 v17, 0, 1, vcc
	v_cmp_gt_u32_e32 vcc, s84, v2
	s_waitcnt lgkmcnt(0)
	v_mov_b32_e32 v16, v68
	v_mov_b64_e32 v[20:21], v[18:19]
	v_mov_b64_e32 v[22:23], v[18:19]
	;; [unrolled: 1-line block ×17, first 2 shown]
                                        ; implicit-def: $sgpr18_sgpr19
                                        ; implicit-def: $vgpr3
	s_and_saveexec_b64 s[16:17], vcc
	s_cbranch_execz .LBB1673_121
; %bb.86:
	v_add_u32_e32 v2, 5, v73
	v_cmp_ne_u32_e32 vcc, v67, v64
	v_mov_b64_e32 v[20:21], 0
	v_mov_b32_e32 v18, v69
	v_cndmask_b32_e64 v19, 0, 1, vcc
	v_cmp_gt_u32_e32 vcc, s84, v2
	v_mov_b64_e32 v[22:23], v[20:21]
	v_mov_b64_e32 v[24:25], v[20:21]
	;; [unrolled: 1-line block ×16, first 2 shown]
                                        ; implicit-def: $sgpr22_sgpr23
                                        ; implicit-def: $vgpr3
	s_and_saveexec_b64 s[18:19], vcc
	s_cbranch_execz .LBB1673_120
; %bb.87:
	ds_read2_b32 v[66:67], v1 offset0:5 offset1:6
	v_add_u32_e32 v2, 6, v73
	v_cmp_ne_u32_e32 vcc, v64, v65
	v_mov_b64_e32 v[22:23], 0
	s_mov_b64 s[24:25], 0
	v_cndmask_b32_e64 v21, 0, 1, vcc
	v_cmp_gt_u32_e32 vcc, s84, v2
	s_waitcnt lgkmcnt(0)
	v_mov_b32_e32 v20, v66
	v_mov_b64_e32 v[24:25], v[22:23]
	v_mov_b64_e32 v[26:27], v[22:23]
	;; [unrolled: 1-line block ×15, first 2 shown]
                                        ; implicit-def: $sgpr22_sgpr23
                                        ; implicit-def: $vgpr3
	s_and_saveexec_b64 s[20:21], vcc
	s_cbranch_execz .LBB1673_119
; %bb.88:
	v_add_u32_e32 v2, 7, v73
	v_cmp_ne_u32_e32 vcc, v65, v62
	v_mov_b64_e32 v[24:25], 0
	v_mov_b32_e32 v22, v67
	v_cndmask_b32_e64 v23, 0, 1, vcc
	v_cmp_gt_u32_e32 vcc, s84, v2
	v_mov_b64_e32 v[26:27], v[24:25]
	v_mov_b64_e32 v[28:29], v[24:25]
	;; [unrolled: 1-line block ×14, first 2 shown]
                                        ; implicit-def: $sgpr26_sgpr27
                                        ; implicit-def: $vgpr3
	s_and_saveexec_b64 s[22:23], vcc
	s_cbranch_execz .LBB1673_118
; %bb.89:
	ds_read2_b32 v[64:65], v1 offset0:7 offset1:8
	v_add_u32_e32 v2, 8, v73
	v_cmp_ne_u32_e32 vcc, v62, v63
	v_mov_b64_e32 v[26:27], 0
	s_mov_b64 s[28:29], 0
	v_cndmask_b32_e64 v25, 0, 1, vcc
	v_cmp_gt_u32_e32 vcc, s84, v2
	s_waitcnt lgkmcnt(0)
	v_mov_b32_e32 v24, v64
	v_mov_b64_e32 v[28:29], v[26:27]
	v_mov_b64_e32 v[30:31], v[26:27]
	;; [unrolled: 1-line block ×13, first 2 shown]
                                        ; implicit-def: $sgpr26_sgpr27
                                        ; implicit-def: $vgpr3
	s_and_saveexec_b64 s[24:25], vcc
	s_cbranch_execz .LBB1673_117
; %bb.90:
	v_add_u32_e32 v2, 9, v73
	v_cmp_ne_u32_e32 vcc, v63, v60
	v_mov_b64_e32 v[28:29], 0
	v_mov_b32_e32 v26, v65
	v_cndmask_b32_e64 v27, 0, 1, vcc
	v_cmp_gt_u32_e32 vcc, s84, v2
	v_mov_b64_e32 v[30:31], v[28:29]
	v_mov_b64_e32 v[32:33], v[28:29]
	;; [unrolled: 1-line block ×12, first 2 shown]
                                        ; implicit-def: $sgpr30_sgpr31
                                        ; implicit-def: $vgpr3
	s_and_saveexec_b64 s[26:27], vcc
	s_cbranch_execz .LBB1673_116
; %bb.91:
	ds_read2_b32 v[62:63], v1 offset0:9 offset1:10
	v_add_u32_e32 v2, 10, v73
	v_cmp_ne_u32_e32 vcc, v60, v61
	v_mov_b64_e32 v[30:31], 0
	s_mov_b64 s[34:35], 0
	v_cndmask_b32_e64 v29, 0, 1, vcc
	v_cmp_gt_u32_e32 vcc, s84, v2
	s_waitcnt lgkmcnt(0)
	v_mov_b32_e32 v28, v62
	v_mov_b64_e32 v[32:33], v[30:31]
	v_mov_b64_e32 v[34:35], v[30:31]
	v_mov_b64_e32 v[36:37], v[30:31]
	v_mov_b64_e32 v[38:39], v[30:31]
	v_mov_b64_e32 v[40:41], v[30:31]
	v_mov_b64_e32 v[42:43], v[30:31]
	v_mov_b64_e32 v[44:45], v[30:31]
	v_mov_b64_e32 v[46:47], v[30:31]
	v_mov_b64_e32 v[48:49], v[30:31]
	v_mov_b64_e32 v[50:51], v[30:31]
	v_mov_b64_e32 v[52:53], v[30:31]
                                        ; implicit-def: $sgpr30_sgpr31
                                        ; implicit-def: $vgpr3
	s_and_saveexec_b64 s[28:29], vcc
	s_cbranch_execz .LBB1673_115
; %bb.92:
	v_add_u32_e32 v2, 11, v73
	v_cmp_ne_u32_e32 vcc, v61, v58
	v_mov_b64_e32 v[32:33], 0
	v_mov_b32_e32 v30, v63
	v_cndmask_b32_e64 v31, 0, 1, vcc
	v_cmp_gt_u32_e32 vcc, s84, v2
	v_mov_b64_e32 v[34:35], v[32:33]
	v_mov_b64_e32 v[36:37], v[32:33]
	;; [unrolled: 1-line block ×10, first 2 shown]
                                        ; implicit-def: $sgpr36_sgpr37
                                        ; implicit-def: $vgpr3
	s_and_saveexec_b64 s[30:31], vcc
	s_cbranch_execz .LBB1673_114
; %bb.93:
	ds_read2_b32 v[60:61], v1 offset0:11 offset1:12
	v_add_u32_e32 v2, 12, v73
	v_cmp_ne_u32_e32 vcc, v58, v59
	v_mov_b64_e32 v[34:35], 0
	s_mov_b64 s[38:39], 0
	v_cndmask_b32_e64 v33, 0, 1, vcc
	v_cmp_gt_u32_e32 vcc, s84, v2
	s_waitcnt lgkmcnt(0)
	v_mov_b32_e32 v32, v60
	v_mov_b64_e32 v[36:37], v[34:35]
	v_mov_b64_e32 v[38:39], v[34:35]
	v_mov_b64_e32 v[40:41], v[34:35]
	v_mov_b64_e32 v[42:43], v[34:35]
	v_mov_b64_e32 v[44:45], v[34:35]
	v_mov_b64_e32 v[46:47], v[34:35]
	v_mov_b64_e32 v[48:49], v[34:35]
	v_mov_b64_e32 v[50:51], v[34:35]
	v_mov_b64_e32 v[52:53], v[34:35]
                                        ; implicit-def: $sgpr36_sgpr37
                                        ; implicit-def: $vgpr3
	s_and_saveexec_b64 s[34:35], vcc
	s_cbranch_execz .LBB1673_113
; %bb.94:
	v_add_u32_e32 v2, 13, v73
	v_cmp_ne_u32_e32 vcc, v59, v56
	v_mov_b64_e32 v[36:37], 0
	v_mov_b32_e32 v34, v61
	v_cndmask_b32_e64 v35, 0, 1, vcc
	v_cmp_gt_u32_e32 vcc, s84, v2
	v_mov_b64_e32 v[38:39], v[36:37]
	v_mov_b64_e32 v[40:41], v[36:37]
	;; [unrolled: 1-line block ×8, first 2 shown]
                                        ; implicit-def: $sgpr40_sgpr41
                                        ; implicit-def: $vgpr3
	s_and_saveexec_b64 s[36:37], vcc
	s_cbranch_execz .LBB1673_112
; %bb.95:
	ds_read2_b32 v[58:59], v1 offset0:13 offset1:14
	v_add_u32_e32 v2, 14, v73
	v_cmp_ne_u32_e32 vcc, v56, v57
	v_mov_b64_e32 v[38:39], 0
	s_mov_b64 s[42:43], 0
	v_cndmask_b32_e64 v37, 0, 1, vcc
	v_cmp_gt_u32_e32 vcc, s84, v2
	s_waitcnt lgkmcnt(0)
	v_mov_b32_e32 v36, v58
	v_mov_b64_e32 v[40:41], v[38:39]
	v_mov_b64_e32 v[42:43], v[38:39]
	v_mov_b64_e32 v[44:45], v[38:39]
	v_mov_b64_e32 v[46:47], v[38:39]
	v_mov_b64_e32 v[48:49], v[38:39]
	v_mov_b64_e32 v[50:51], v[38:39]
	v_mov_b64_e32 v[52:53], v[38:39]
                                        ; implicit-def: $sgpr40_sgpr41
                                        ; implicit-def: $vgpr3
	s_and_saveexec_b64 s[38:39], vcc
	s_cbranch_execz .LBB1673_111
; %bb.96:
	v_add_u32_e32 v2, 15, v73
	v_cmp_ne_u32_e32 vcc, v57, v54
	v_mov_b64_e32 v[40:41], 0
	v_mov_b32_e32 v38, v59
	v_cndmask_b32_e64 v39, 0, 1, vcc
	v_cmp_gt_u32_e32 vcc, s84, v2
	v_mov_b64_e32 v[42:43], v[40:41]
	v_mov_b64_e32 v[44:45], v[40:41]
	v_mov_b64_e32 v[46:47], v[40:41]
	v_mov_b64_e32 v[48:49], v[40:41]
	v_mov_b64_e32 v[50:51], v[40:41]
	v_mov_b64_e32 v[52:53], v[40:41]
                                        ; implicit-def: $sgpr44_sgpr45
                                        ; implicit-def: $vgpr3
	s_and_saveexec_b64 s[40:41], vcc
	s_cbranch_execz .LBB1673_110
; %bb.97:
	ds_read2_b32 v[56:57], v1 offset0:15 offset1:16
	v_add_u32_e32 v2, 16, v73
	v_cmp_ne_u32_e32 vcc, v54, v55
	v_mov_b64_e32 v[42:43], 0
	s_mov_b64 s[46:47], 0
	v_cndmask_b32_e64 v41, 0, 1, vcc
	v_cmp_gt_u32_e32 vcc, s84, v2
	s_waitcnt lgkmcnt(0)
	v_mov_b32_e32 v40, v56
	v_mov_b64_e32 v[44:45], v[42:43]
	v_mov_b64_e32 v[46:47], v[42:43]
	;; [unrolled: 1-line block ×5, first 2 shown]
                                        ; implicit-def: $sgpr44_sgpr45
                                        ; implicit-def: $vgpr3
	s_and_saveexec_b64 s[42:43], vcc
	s_cbranch_execz .LBB1673_109
; %bb.98:
	v_add_u32_e32 v2, 17, v73
	v_cmp_ne_u32_e32 vcc, v55, v8
	v_mov_b64_e32 v[44:45], 0
	v_mov_b32_e32 v42, v57
	v_cndmask_b32_e64 v43, 0, 1, vcc
	v_cmp_gt_u32_e32 vcc, s84, v2
	v_mov_b64_e32 v[46:47], v[44:45]
	v_mov_b64_e32 v[48:49], v[44:45]
	;; [unrolled: 1-line block ×4, first 2 shown]
                                        ; implicit-def: $sgpr48_sgpr49
                                        ; implicit-def: $vgpr3
	s_and_saveexec_b64 s[44:45], vcc
	s_cbranch_execz .LBB1673_108
; %bb.99:
	ds_read2_b32 v[54:55], v1 offset0:17 offset1:18
	v_add_u32_e32 v2, 18, v73
	v_cmp_ne_u32_e32 vcc, v8, v9
	v_mov_b64_e32 v[46:47], 0
	s_mov_b64 s[50:51], 0
	v_cndmask_b32_e64 v45, 0, 1, vcc
	v_cmp_gt_u32_e32 vcc, s84, v2
	s_waitcnt lgkmcnt(0)
	v_mov_b32_e32 v44, v54
	v_mov_b64_e32 v[48:49], v[46:47]
	v_mov_b64_e32 v[50:51], v[46:47]
	;; [unrolled: 1-line block ×3, first 2 shown]
                                        ; implicit-def: $sgpr48_sgpr49
                                        ; implicit-def: $vgpr3
	s_and_saveexec_b64 s[46:47], vcc
	s_cbranch_execz .LBB1673_107
; %bb.100:
	v_add_u32_e32 v2, 19, v73
	v_cmp_ne_u32_e32 vcc, v9, v6
	v_mov_b64_e32 v[48:49], 0
	v_mov_b32_e32 v46, v55
	v_cndmask_b32_e64 v47, 0, 1, vcc
	v_cmp_gt_u32_e32 vcc, s84, v2
	v_mov_b64_e32 v[50:51], v[48:49]
	v_mov_b64_e32 v[52:53], v[48:49]
                                        ; implicit-def: $sgpr52_sgpr53
                                        ; implicit-def: $vgpr3
	s_and_saveexec_b64 s[48:49], vcc
	s_cbranch_execz .LBB1673_106
; %bb.101:
	ds_read2_b32 v[8:9], v1 offset0:19 offset1:20
	v_add_u32_e32 v2, 20, v73
	v_cmp_ne_u32_e32 vcc, v6, v7
	v_mov_b64_e32 v[50:51], 0
	s_mov_b64 s[52:53], 0
	v_cndmask_b32_e64 v49, 0, 1, vcc
	v_cmp_gt_u32_e32 vcc, s84, v2
	s_waitcnt lgkmcnt(0)
	v_mov_b32_e32 v48, v8
	v_mov_b64_e32 v[52:53], v[50:51]
                                        ; implicit-def: $sgpr64_sgpr65
                                        ; implicit-def: $vgpr3
	s_and_saveexec_b64 s[50:51], vcc
	s_cbranch_execz .LBB1673_105
; %bb.102:
	v_add_u32_e32 v2, 21, v73
	v_cmp_ne_u32_e32 vcc, v7, v4
	v_mov_b32_e32 v50, v9
	v_mov_b64_e32 v[52:53], 0
	v_cndmask_b32_e64 v51, 0, 1, vcc
	v_cmp_gt_u32_e32 vcc, s84, v2
                                        ; implicit-def: $sgpr64_sgpr65
                                        ; implicit-def: $vgpr3
	s_and_saveexec_b64 s[0:1], vcc
	s_xor_b64 s[82:83], exec, s[0:1]
	s_cbranch_execz .LBB1673_104
; %bb.103:
	ds_read2_b32 v[2:3], v1 offset0:21 offset1:22
	v_add_u32_e32 v1, 22, v73
	v_cmp_ne_u32_e64 s[0:1], v4, v5
	v_cmp_ne_u32_e32 vcc, v5, v72
	s_and_b64 s[64:65], vcc, exec
	v_cndmask_b32_e64 v53, 0, 1, s[0:1]
	v_cmp_gt_u32_e64 s[0:1], s84, v1
	s_waitcnt lgkmcnt(0)
	v_mov_b32_e32 v52, v2
	s_and_b64 s[52:53], s[0:1], exec
.LBB1673_104:
	s_or_b64 exec, exec, s[82:83]
	s_and_b64 s[64:65], s[64:65], exec
	s_and_b64 s[0:1], s[52:53], exec
.LBB1673_105:
	s_or_b64 exec, exec, s[50:51]
	s_and_b64 s[52:53], s[64:65], exec
	s_and_b64 s[50:51], s[0:1], exec
.LBB1673_106:
	s_or_b64 exec, exec, s[48:49]
	s_and_b64 s[48:49], s[52:53], exec
	s_and_b64 s[0:1], s[50:51], exec
.LBB1673_107:
	s_or_b64 exec, exec, s[46:47]
	s_and_b64 s[48:49], s[48:49], exec
	s_and_b64 s[46:47], s[0:1], exec
.LBB1673_108:
	s_or_b64 exec, exec, s[44:45]
	s_and_b64 s[44:45], s[48:49], exec
	s_and_b64 s[0:1], s[46:47], exec
.LBB1673_109:
	s_or_b64 exec, exec, s[42:43]
	s_and_b64 s[44:45], s[44:45], exec
	s_and_b64 s[42:43], s[0:1], exec
.LBB1673_110:
	s_or_b64 exec, exec, s[40:41]
	s_and_b64 s[40:41], s[44:45], exec
	s_and_b64 s[0:1], s[42:43], exec
.LBB1673_111:
	s_or_b64 exec, exec, s[38:39]
	s_and_b64 s[40:41], s[40:41], exec
	s_and_b64 s[38:39], s[0:1], exec
.LBB1673_112:
	s_or_b64 exec, exec, s[36:37]
	s_and_b64 s[36:37], s[40:41], exec
	s_and_b64 s[0:1], s[38:39], exec
.LBB1673_113:
	s_or_b64 exec, exec, s[34:35]
	s_and_b64 s[36:37], s[36:37], exec
	s_and_b64 s[34:35], s[0:1], exec
.LBB1673_114:
	s_or_b64 exec, exec, s[30:31]
	s_and_b64 s[30:31], s[36:37], exec
	s_and_b64 s[0:1], s[34:35], exec
.LBB1673_115:
	s_or_b64 exec, exec, s[28:29]
	s_and_b64 s[30:31], s[30:31], exec
	s_and_b64 s[28:29], s[0:1], exec
.LBB1673_116:
	s_or_b64 exec, exec, s[26:27]
	s_and_b64 s[26:27], s[30:31], exec
	s_and_b64 s[0:1], s[28:29], exec
.LBB1673_117:
	s_or_b64 exec, exec, s[24:25]
	s_and_b64 s[26:27], s[26:27], exec
	s_and_b64 s[24:25], s[0:1], exec
.LBB1673_118:
	s_or_b64 exec, exec, s[22:23]
	s_and_b64 s[22:23], s[26:27], exec
	s_and_b64 s[0:1], s[24:25], exec
.LBB1673_119:
	s_or_b64 exec, exec, s[20:21]
	s_and_b64 s[22:23], s[22:23], exec
	s_and_b64 s[20:21], s[0:1], exec
.LBB1673_120:
	s_or_b64 exec, exec, s[18:19]
	s_and_b64 s[18:19], s[22:23], exec
	s_and_b64 s[0:1], s[20:21], exec
.LBB1673_121:
	s_or_b64 exec, exec, s[16:17]
	s_and_b64 s[18:19], s[18:19], exec
	s_and_b64 s[16:17], s[0:1], exec
.LBB1673_122:
	s_or_b64 exec, exec, s[14:15]
	s_and_b64 s[14:15], s[18:19], exec
	s_and_b64 s[0:1], s[16:17], exec
.LBB1673_123:
	s_or_b64 exec, exec, s[12:13]
	s_and_b64 s[14:15], s[14:15], exec
	s_and_b64 s[12:13], s[0:1], exec
.LBB1673_124:
	s_or_b64 exec, exec, s[10:11]
	s_and_b64 s[0:1], s[14:15], exec
	s_and_b64 s[10:11], s[12:13], exec
.LBB1673_125:
	s_or_b64 exec, exec, s[8:9]
	s_mov_b64 s[8:9], 0
	s_and_b64 vcc, exec, s[6:7]
	v_lshlrev_b32_e32 v54, 2, v0
	s_cbranch_vccnz .LBB1673_127
	s_branch .LBB1673_135
.LBB1673_126:
                                        ; implicit-def: $sgpr0_sgpr1
                                        ; implicit-def: $vgpr3
                                        ; implicit-def: $vgpr10_vgpr11
                                        ; implicit-def: $vgpr12_vgpr13
                                        ; implicit-def: $vgpr14_vgpr15
                                        ; implicit-def: $vgpr16_vgpr17
                                        ; implicit-def: $vgpr18_vgpr19
                                        ; implicit-def: $vgpr20_vgpr21
                                        ; implicit-def: $vgpr22_vgpr23
                                        ; implicit-def: $vgpr24_vgpr25
                                        ; implicit-def: $vgpr26_vgpr27
                                        ; implicit-def: $vgpr28_vgpr29
                                        ; implicit-def: $vgpr30_vgpr31
                                        ; implicit-def: $vgpr32_vgpr33
                                        ; implicit-def: $vgpr34_vgpr35
                                        ; implicit-def: $vgpr36_vgpr37
                                        ; implicit-def: $vgpr38_vgpr39
                                        ; implicit-def: $vgpr40_vgpr41
                                        ; implicit-def: $vgpr42_vgpr43
                                        ; implicit-def: $vgpr44_vgpr45
                                        ; implicit-def: $vgpr46_vgpr47
                                        ; implicit-def: $vgpr48_vgpr49
                                        ; implicit-def: $vgpr50_vgpr51
                                        ; implicit-def: $vgpr52_vgpr53
                                        ; implicit-def: $sgpr8_sgpr9
	s_and_b64 vcc, exec, s[6:7]
	v_lshlrev_b32_e32 v54, 2, v0
	s_cbranch_vccz .LBB1673_135
.LBB1673_127:
	v_mov_b32_e32 v55, 0
	v_lshl_add_u64 v[2:3], s[68:69], 0, v[54:55]
	v_add_co_u32_e32 v4, vcc, 0x1000, v2
	s_movk_i32 s0, 0x58
	s_nop 0
	v_addc_co_u32_e32 v5, vcc, 0, v3, vcc
	flat_load_dword v8, v[2:3]
	flat_load_dword v9, v[2:3] offset:1024
	s_waitcnt lgkmcnt(0)
	flat_load_dword v10, v[2:3] offset:2048
	flat_load_dword v11, v[2:3] offset:3072
	flat_load_dword v12, v[4:5]
	flat_load_dword v13, v[4:5] offset:1024
	flat_load_dword v14, v[4:5] offset:2048
	;; [unrolled: 1-line block ×3, first 2 shown]
	v_add_co_u32_e32 v4, vcc, 0x2000, v2
	v_mad_u32_u24 v1, v0, s0, v54
	s_nop 0
	v_addc_co_u32_e32 v5, vcc, 0, v3, vcc
	v_add_co_u32_e32 v6, vcc, 0x3000, v2
	s_cmp_eq_u64 s[80:81], 0
	s_nop 0
	v_addc_co_u32_e32 v7, vcc, 0, v3, vcc
	flat_load_dword v16, v[4:5]
	flat_load_dword v17, v[4:5] offset:1024
	flat_load_dword v18, v[4:5] offset:2048
	;; [unrolled: 1-line block ×3, first 2 shown]
	flat_load_dword v20, v[6:7]
	flat_load_dword v21, v[6:7] offset:1024
	flat_load_dword v22, v[6:7] offset:2048
	;; [unrolled: 1-line block ×3, first 2 shown]
	v_add_co_u32_e32 v4, vcc, 0x4000, v2
	s_nop 1
	v_addc_co_u32_e32 v5, vcc, 0, v3, vcc
	v_add_co_u32_e32 v2, vcc, 0x5000, v2
	s_nop 1
	v_addc_co_u32_e32 v3, vcc, 0, v3, vcc
	flat_load_dword v6, v[4:5]
	flat_load_dword v7, v[4:5] offset:1024
	flat_load_dword v24, v[4:5] offset:2048
	;; [unrolled: 1-line block ×3, first 2 shown]
	flat_load_dword v26, v[2:3]
	flat_load_dword v27, v[2:3] offset:1024
	flat_load_dword v28, v[2:3] offset:2048
	s_waitcnt vmcnt(0)
	ds_write2st64_b32 v54, v8, v9 offset1:4
	s_waitcnt lgkmcnt(0)
	ds_write2st64_b32 v54, v10, v11 offset0:8 offset1:12
	ds_write2st64_b32 v54, v12, v13 offset0:16 offset1:20
	;; [unrolled: 1-line block ×10, first 2 shown]
	ds_write_b32 v54, v28 offset:22528
	s_waitcnt lgkmcnt(0)
	s_barrier
	ds_read2_b32 v[2:3], v1 offset1:1
	ds_read2_b32 v[18:19], v1 offset0:2 offset1:3
	ds_read2_b32 v[22:23], v1 offset0:4 offset1:5
	;; [unrolled: 1-line block ×10, first 2 shown]
	ds_read_b32 v10, v1 offset:88
	s_cbranch_scc1 .LBB1673_132
; %bb.128:
	s_andn2_b64 vcc, exec, s[78:79]
	s_cbranch_vccnz .LBB1673_268
; %bb.129:
	s_lshl_b64 s[0:1], s[80:81], 2
	s_add_u32 s0, s70, s0
	s_addc_u32 s1, s71, s1
	s_add_u32 s0, s0, -4
	s_addc_u32 s1, s1, -1
	s_cbranch_execnz .LBB1673_131
.LBB1673_130:
	s_add_u32 s0, s68, -4
	s_addc_u32 s1, s69, -1
.LBB1673_131:
	s_mov_b64 s[68:69], s[0:1]
.LBB1673_132:
	v_mov_b64_e32 v[12:13], s[68:69]
	flat_load_dword v11, v[12:13]
	s_movk_i32 s0, 0xffa8
	v_mad_i32_i24 v12, v0, s0, v1
	s_waitcnt lgkmcnt(0)
	ds_write_b32 v12, v10 offset:23552
	s_waitcnt lgkmcnt(0)
	s_barrier
	s_and_saveexec_b64 s[0:1], s[4:5]
	s_cbranch_execz .LBB1673_134
; %bb.133:
	s_waitcnt vmcnt(0)
	v_mul_i32_i24_e32 v11, 0xffffffa8, v0
	v_add_u32_e32 v11, v1, v11
	ds_read_b32 v11, v11 offset:23548
.LBB1673_134:
	s_or_b64 exec, exec, s[0:1]
	v_mov_b32_e32 v55, 0
	v_lshl_add_u64 v[12:13], s[60:61], 0, v[54:55]
	s_movk_i32 s0, 0x1000
	v_add_co_u32_e32 v14, vcc, s0, v12
	s_movk_i32 s0, 0x2000
	s_nop 0
	v_addc_co_u32_e32 v15, vcc, 0, v13, vcc
	s_waitcnt lgkmcnt(0)
	s_barrier
	flat_load_dword v20, v[12:13]
	flat_load_dword v21, v[12:13] offset:1024
	flat_load_dword v24, v[12:13] offset:2048
	;; [unrolled: 1-line block ×3, first 2 shown]
	flat_load_dword v28, v[14:15]
	flat_load_dword v29, v[14:15] offset:1024
	flat_load_dword v32, v[14:15] offset:2048
	flat_load_dword v33, v[14:15] offset:3072
	v_add_co_u32_e32 v14, vcc, s0, v12
	s_movk_i32 s0, 0x3000
	s_nop 0
	v_addc_co_u32_e32 v15, vcc, 0, v13, vcc
	v_add_co_u32_e32 v16, vcc, s0, v12
	s_movk_i32 s0, 0x4000
	s_nop 0
	v_addc_co_u32_e32 v17, vcc, 0, v13, vcc
	flat_load_dword v36, v[14:15]
	flat_load_dword v37, v[14:15] offset:1024
	flat_load_dword v40, v[14:15] offset:2048
	flat_load_dword v41, v[14:15] offset:3072
	flat_load_dword v44, v[16:17]
	flat_load_dword v45, v[16:17] offset:1024
	flat_load_dword v46, v[16:17] offset:2048
	;; [unrolled: 1-line block ×3, first 2 shown]
	v_add_co_u32_e32 v14, vcc, s0, v12
	s_movk_i32 s0, 0x5000
	s_nop 0
	v_addc_co_u32_e32 v15, vcc, 0, v13, vcc
	v_add_co_u32_e32 v12, vcc, s0, v12
	v_cmp_ne_u32_e64 s[0:1], v5, v10
	s_nop 0
	v_addc_co_u32_e32 v13, vcc, 0, v13, vcc
	flat_load_dword v16, v[14:15]
	flat_load_dword v17, v[14:15] offset:1024
	flat_load_dword v48, v[14:15] offset:2048
	;; [unrolled: 1-line block ×3, first 2 shown]
	flat_load_dword v50, v[12:13]
	flat_load_dword v51, v[12:13] offset:1024
	flat_load_dword v52, v[12:13] offset:2048
	s_waitcnt vmcnt(0)
	v_cmp_ne_u32_e32 vcc, v11, v2
	s_mov_b64 s[10:11], -1
                                        ; implicit-def: $sgpr8_sgpr9
	s_waitcnt lgkmcnt(0)
	ds_write2st64_b32 v54, v20, v21 offset1:4
	ds_write2st64_b32 v54, v24, v25 offset0:8 offset1:12
	ds_write2st64_b32 v54, v28, v29 offset0:16 offset1:20
	;; [unrolled: 1-line block ×10, first 2 shown]
	ds_write_b32 v54, v52 offset:22528
	v_cndmask_b32_e64 v11, 0, 1, vcc
	v_cmp_ne_u32_e32 vcc, v2, v3
	s_waitcnt lgkmcnt(0)
	s_barrier
	v_cndmask_b32_e64 v13, 0, 1, vcc
	v_cmp_ne_u32_e32 vcc, v3, v18
	ds_read2_b32 v[16:17], v1 offset1:1
	ds_read2_b32 v[20:21], v1 offset0:2 offset1:3
	ds_read2_b32 v[24:25], v1 offset0:4 offset1:5
	;; [unrolled: 1-line block ×10, first 2 shown]
	ds_read_b32 v3, v1 offset:88
	v_cndmask_b32_e64 v15, 0, 1, vcc
	v_cmp_ne_u32_e32 vcc, v18, v19
	s_waitcnt lgkmcnt(11)
	v_mov_b32_e32 v12, v17
	v_mov_b32_e32 v10, v16
	v_cndmask_b32_e64 v17, 0, 1, vcc
	v_cmp_ne_u32_e32 vcc, v19, v22
	s_waitcnt lgkmcnt(10)
	v_mov_b32_e32 v16, v21
	v_mov_b32_e32 v14, v20
	v_cndmask_b32_e64 v19, 0, 1, vcc
	v_cmp_ne_u32_e32 vcc, v22, v23
	s_waitcnt lgkmcnt(9)
	v_mov_b32_e32 v20, v25
	v_mov_b32_e32 v18, v24
	v_cndmask_b32_e64 v21, 0, 1, vcc
	v_cmp_ne_u32_e32 vcc, v23, v26
	s_waitcnt lgkmcnt(8)
	v_mov_b32_e32 v24, v29
	v_mov_b32_e32 v22, v28
	v_cndmask_b32_e64 v23, 0, 1, vcc
	v_cmp_ne_u32_e32 vcc, v26, v27
	s_waitcnt lgkmcnt(7)
	v_mov_b32_e32 v28, v33
	v_mov_b32_e32 v26, v32
	v_cndmask_b32_e64 v25, 0, 1, vcc
	v_cmp_ne_u32_e32 vcc, v27, v30
	s_waitcnt lgkmcnt(6)
	v_mov_b32_e32 v32, v37
	s_waitcnt lgkmcnt(2)
	v_mov_b32_e32 v48, v51
	v_cndmask_b32_e64 v27, 0, 1, vcc
	v_cmp_ne_u32_e32 vcc, v30, v31
	v_mov_b32_e32 v30, v36
	v_mov_b32_e32 v36, v41
	v_cndmask_b32_e64 v29, 0, 1, vcc
	v_cmp_ne_u32_e32 vcc, v31, v34
	s_waitcnt lgkmcnt(1)
	v_mov_b32_e32 v52, v57
	v_cndmask_b32_e64 v31, 0, 1, vcc
	v_cmp_ne_u32_e32 vcc, v34, v35
	v_mov_b32_e32 v34, v40
	v_mov_b32_e32 v40, v45
	v_cndmask_b32_e64 v33, 0, 1, vcc
	v_cmp_ne_u32_e32 vcc, v35, v38
	s_nop 1
	v_cndmask_b32_e64 v35, 0, 1, vcc
	v_cmp_ne_u32_e32 vcc, v38, v39
	v_mov_b32_e32 v38, v44
	v_mov_b32_e32 v44, v47
	v_cndmask_b32_e64 v37, 0, 1, vcc
	v_cmp_ne_u32_e32 vcc, v39, v42
	s_nop 1
	v_cndmask_b32_e64 v39, 0, 1, vcc
	v_cmp_ne_u32_e32 vcc, v42, v43
	v_mov_b32_e32 v42, v46
	v_mov_b32_e32 v46, v50
	v_cndmask_b32_e64 v41, 0, 1, vcc
	v_cmp_ne_u32_e32 vcc, v43, v8
	v_mov_b32_e32 v50, v56
	s_nop 0
	v_cndmask_b32_e64 v43, 0, 1, vcc
	v_cmp_ne_u32_e32 vcc, v8, v9
	s_nop 1
	v_cndmask_b32_e64 v45, 0, 1, vcc
	v_cmp_ne_u32_e32 vcc, v9, v6
	s_nop 1
	v_cndmask_b32_e64 v47, 0, 1, vcc
	v_cmp_ne_u32_e32 vcc, v6, v7
	s_nop 1
	v_cndmask_b32_e64 v49, 0, 1, vcc
	v_cmp_ne_u32_e32 vcc, v7, v4
	s_nop 1
	v_cndmask_b32_e64 v51, 0, 1, vcc
	v_cmp_ne_u32_e32 vcc, v4, v5
	s_nop 1
	v_cndmask_b32_e64 v53, 0, 1, vcc
.LBB1673_135:
	v_mov_b64_e32 v[56:57], s[8:9]
	s_and_saveexec_b64 s[6:7], s[10:11]
	s_cbranch_execz .LBB1673_137
; %bb.136:
	v_cndmask_b32_e64 v57, 0, 1, s[0:1]
	s_waitcnt lgkmcnt(0)
	v_mov_b32_e32 v56, v3
.LBB1673_137:
	s_or_b64 exec, exec, s[6:7]
	s_mov_b32 s0, 0
	s_cmp_lg_u32 s75, 0
	v_or_b32_e32 v55, v57, v53
	v_lshrrev_b32_e32 v1, 5, v0
	v_cmp_gt_u32_e32 vcc, 64, v0
	s_waitcnt lgkmcnt(0)
	s_barrier
	s_cbranch_scc0 .LBB1673_172
; %bb.138:
	s_mov_b32 s1, 1
	v_cmp_gt_u64_e64 s[6:7], s[0:1], v[12:13]
	v_cmp_gt_u64_e64 s[8:9], s[0:1], v[14:15]
	v_cmp_gt_u64_e64 s[10:11], s[0:1], v[16:17]
	v_cndmask_b32_e64 v2, 0, v10, s[6:7]
	v_add_u32_e32 v2, v2, v12
	v_cndmask_b32_e64 v2, 0, v2, s[8:9]
	v_add_u32_e32 v2, v2, v14
	v_cndmask_b32_e64 v2, 0, v2, s[10:11]
	v_add_u32_e32 v2, v2, v16
	v_cmp_gt_u64_e64 s[12:13], s[0:1], v[18:19]
	v_cmp_gt_u64_e64 s[14:15], s[0:1], v[20:21]
	v_cmp_gt_u64_e64 s[16:17], s[0:1], v[22:23]
	v_cndmask_b32_e64 v2, 0, v2, s[12:13]
	v_add_u32_e32 v2, v2, v18
	v_cndmask_b32_e64 v2, 0, v2, s[14:15]
	v_add_u32_e32 v2, v2, v20
	v_cndmask_b32_e64 v2, 0, v2, s[16:17]
	v_add_u32_e32 v2, v2, v22
	;; [unrolled: 9-line block ×7, first 2 shown]
	v_cmp_gt_u64_e64 s[50:51], s[0:1], v[56:57]
	s_nop 1
	v_cndmask_b32_e64 v2, 0, v2, s[50:51]
	v_add_u32_e32 v62, v2, v56
	v_or3_b32 v2, v55, v51, v49
	v_or3_b32 v2, v2, v47, v45
	;; [unrolled: 1-line block ×10, first 2 shown]
	v_and_b32_e32 v2, 1, v2
	v_cmp_eq_u32_e64 s[0:1], 1, v2
	v_add_lshl_u32 v2, v1, v0, 3
	s_nop 0
	v_cndmask_b32_e64 v63, v11, 1, s[0:1]
	ds_write_b32 v2, v62
	ds_write_b8 v2, v63 offset:4
	s_waitcnt lgkmcnt(0)
	s_barrier
	s_and_saveexec_b64 s[52:53], vcc
	s_cbranch_execz .LBB1673_150
; %bb.139:
	v_lshrrev_b32_e32 v2, 3, v0
	v_add_lshl_u32 v4, v2, v54, 3
	ds_read2_b32 v[6:7], v4 offset0:2 offset1:4
	ds_read_b64 v[2:3], v4
	ds_read_u8 v8, v4 offset:12
	ds_read_u8 v9, v4 offset:20
	ds_read_b32 v58, v4 offset:24
	ds_read_u8 v59, v4 offset:28
	v_mov_b32_e32 v60, 0
	s_waitcnt lgkmcnt(3)
	v_cmp_eq_u16_sdwa s[0:1], v8, v60 src0_sel:BYTE_0 src1_sel:DWORD
	v_and_b32_e32 v5, 1, v3
	s_nop 0
	v_cndmask_b32_e64 v61, 0, v2, s[0:1]
	v_add_u32_e32 v6, v61, v6
	s_waitcnt lgkmcnt(2)
	v_cmp_eq_u16_sdwa s[0:1], v9, v60 src0_sel:BYTE_0 src1_sel:DWORD
	s_nop 1
	v_cndmask_b32_e64 v6, 0, v6, s[0:1]
	v_add_u32_e32 v6, v6, v7
	s_waitcnt lgkmcnt(0)
	v_cmp_eq_u16_e64 s[0:1], 0, v59
	s_nop 1
	v_cndmask_b32_e64 v6, 0, v6, s[0:1]
	v_add_u32_e32 v7, v6, v58
	v_or_b32_e32 v6, v59, v9
	v_or_b32_e32 v6, v6, v8
	v_and_b32_e32 v6, 1, v6
	v_cmp_eq_u32_e64 s[0:1], 1, v6
	v_mbcnt_lo_u32_b32 v8, -1, 0
	v_and_b32_e32 v6, 0xffffff00, v3
	v_cndmask_b32_e64 v9, v5, 1, s[0:1]
	v_mbcnt_hi_u32_b32 v8, -1, v8
	v_and_b32_e32 v59, 15, v8
	v_or_b32_sdwa v58, v6, v9 dst_sel:DWORD dst_unused:UNUSED_PAD src0_sel:DWORD src1_sel:WORD_0
	v_mov_b32_dpp v60, v7 row_shr:1 row_mask:0xf bank_mask:0xf
	v_cmp_ne_u32_e64 s[0:1], 0, v59
	v_mov_b32_dpp v61, v58 row_shr:1 row_mask:0xf bank_mask:0xf
	s_and_saveexec_b64 s[60:61], s[0:1]
; %bb.140:
	v_and_b32_e32 v58, 1, v9
	v_and_b32_e32 v61, 1, v61
	v_cmp_eq_u32_e64 s[0:1], 1, v58
	s_nop 1
	v_cndmask_b32_e64 v61, v61, 1, s[0:1]
	v_cmp_eq_u16_e64 s[0:1], 0, v9
	v_or_b32_sdwa v58, v6, v61 dst_sel:DWORD dst_unused:UNUSED_PAD src0_sel:DWORD src1_sel:WORD_0
	s_nop 0
	v_cndmask_b32_e64 v9, 0, v60, s[0:1]
	v_add_u32_e32 v7, v9, v7
	v_mov_b32_e32 v9, v61
; %bb.141:
	s_or_b64 exec, exec, s[60:61]
	v_mov_b32_dpp v60, v7 row_shr:2 row_mask:0xf bank_mask:0xf
	v_mov_b32_dpp v61, v58 row_shr:2 row_mask:0xf bank_mask:0xf
	v_cmp_lt_u32_e64 s[0:1], 1, v59
	s_and_saveexec_b64 s[60:61], s[0:1]
; %bb.142:
	v_and_b32_e32 v58, 1, v9
	v_and_b32_e32 v61, 1, v61
	v_cmp_eq_u32_e64 s[0:1], 1, v58
	s_nop 1
	v_cndmask_b32_e64 v61, v61, 1, s[0:1]
	v_cmp_eq_u16_e64 s[0:1], 0, v9
	v_or_b32_sdwa v58, v6, v61 dst_sel:DWORD dst_unused:UNUSED_PAD src0_sel:DWORD src1_sel:WORD_0
	s_nop 0
	v_cndmask_b32_e64 v9, 0, v60, s[0:1]
	v_add_u32_e32 v7, v9, v7
	v_mov_b32_e32 v9, v61
; %bb.143:
	s_or_b64 exec, exec, s[60:61]
	v_mov_b32_dpp v60, v7 row_shr:4 row_mask:0xf bank_mask:0xf
	v_mov_b32_dpp v61, v58 row_shr:4 row_mask:0xf bank_mask:0xf
	v_cmp_lt_u32_e64 s[0:1], 3, v59
	;; [unrolled: 18-line block ×3, first 2 shown]
	s_and_saveexec_b64 s[60:61], s[0:1]
; %bb.146:
	v_and_b32_e32 v58, 1, v9
	v_and_b32_e32 v59, 1, v61
	v_cmp_eq_u32_e64 s[0:1], 1, v58
	s_nop 1
	v_cndmask_b32_e64 v59, v59, 1, s[0:1]
	v_cmp_eq_u16_e64 s[0:1], 0, v9
	v_or_b32_sdwa v58, v6, v59 dst_sel:DWORD dst_unused:UNUSED_PAD src0_sel:DWORD src1_sel:WORD_0
	s_nop 0
	v_cndmask_b32_e64 v9, 0, v60, s[0:1]
	v_add_u32_e32 v7, v9, v7
	v_mov_b32_e32 v9, v59
; %bb.147:
	s_or_b64 exec, exec, s[60:61]
	v_and_b32_e32 v61, 16, v8
	v_mov_b32_dpp v59, v7 row_bcast:15 row_mask:0xf bank_mask:0xf
	v_mov_b32_dpp v60, v58 row_bcast:15 row_mask:0xf bank_mask:0xf
	v_cmp_ne_u32_e64 s[0:1], 0, v61
	s_and_saveexec_b64 s[60:61], s[0:1]
; %bb.148:
	v_and_b32_e32 v58, 1, v9
	v_and_b32_e32 v60, 1, v60
	v_cmp_eq_u32_e64 s[0:1], 1, v58
	s_nop 1
	v_cndmask_b32_e64 v60, v60, 1, s[0:1]
	v_cmp_eq_u16_e64 s[0:1], 0, v9
	v_or_b32_sdwa v58, v6, v60 dst_sel:DWORD dst_unused:UNUSED_PAD src0_sel:DWORD src1_sel:WORD_0
	s_nop 0
	v_cndmask_b32_e64 v9, 0, v59, s[0:1]
	v_add_u32_e32 v7, v9, v7
	v_mov_b32_e32 v9, v60
; %bb.149:
	s_or_b64 exec, exec, s[60:61]
	v_mov_b32_dpp v58, v58 row_bcast:31 row_mask:0xf bank_mask:0xf
	v_and_b32_e32 v60, 1, v9
	v_and_b32_e32 v58, 1, v58
	v_cmp_eq_u32_e64 s[0:1], 1, v60
	v_mov_b32_e32 v60, 0
	v_cmp_eq_u16_sdwa s[60:61], v9, v60 src0_sel:BYTE_0 src1_sel:DWORD
	v_cndmask_b32_e64 v58, v58, 1, s[0:1]
	v_cmp_lt_u32_e64 s[0:1], 31, v8
	v_mov_b32_dpp v59, v7 row_bcast:31 row_mask:0xf bank_mask:0xf
	s_movk_i32 s64, 0xff
	v_cndmask_b32_e64 v9, v9, v58, s[0:1]
	s_and_b64 s[0:1], s[0:1], s[60:61]
	v_cndmask_b32_e64 v58, 0, v59, s[0:1]
	v_add_u32_e32 v7, v58, v7
	v_add_u32_e32 v58, -1, v8
	v_and_b32_e32 v59, 64, v8
	v_cmp_lt_i32_e64 s[0:1], v58, v59
	v_and_or_b32 v6, v9, s64, v6
	s_nop 0
	v_cndmask_b32_e64 v8, v58, v8, s[0:1]
	v_lshlrev_b32_e32 v8, 2, v8
	ds_bpermute_b32 v7, v8, v7
	ds_bpermute_b32 v6, v8, v6
	v_cmp_eq_u16_sdwa s[0:1], v3, v60 src0_sel:BYTE_0 src1_sel:DWORD
	; wave barrier
	s_waitcnt lgkmcnt(1)
	s_nop 0
	v_cndmask_b32_e64 v3, 0, v7, s[0:1]
	v_add_u32_e32 v2, v3, v2
	s_waitcnt lgkmcnt(0)
	v_and_b32_e32 v3, 1, v6
	v_cmp_eq_u32_e64 s[0:1], 1, v5
	v_cndmask_b32_e64 v5, v2, v62, s[54:55]
	s_nop 0
	v_cndmask_b32_e64 v3, v3, 1, s[0:1]
	v_cndmask_b32_e64 v6, v3, v63, s[54:55]
	ds_write_b32 v4, v5
	ds_write_b8 v4, v6 offset:4
	; wave barrier
	ds_read_u8 v7, v4 offset:12
	ds_read2_b32 v[2:3], v4 offset0:2 offset1:4
	ds_read_u8 v8, v4 offset:20
	ds_read_b32 v9, v4 offset:24
	ds_read_u8 v58, v4 offset:28
	s_waitcnt lgkmcnt(4)
	v_cmp_eq_u16_e64 s[0:1], 0, v7
	s_nop 1
	v_cndmask_b32_e64 v5, 0, v5, s[0:1]
	s_waitcnt lgkmcnt(3)
	v_add_u32_e32 v2, v5, v2
	v_and_b32_e32 v5, 1, v7
	v_cmp_eq_u32_e64 s[0:1], 1, v5
	s_nop 1
	v_cndmask_b32_e64 v5, v6, 1, s[0:1]
	s_waitcnt lgkmcnt(2)
	v_cmp_eq_u16_e64 s[0:1], 0, v8
	ds_write_b8 v4, v5 offset:12
	s_nop 0
	v_cndmask_b32_e64 v6, 0, v2, s[0:1]
	v_add_u32_e32 v3, v6, v3
	v_and_b32_e32 v6, 1, v8
	v_cmp_eq_u32_e64 s[0:1], 1, v6
	s_nop 1
	v_cndmask_b32_e64 v5, v5, 1, s[0:1]
	s_waitcnt lgkmcnt(1)
	v_cmp_eq_u16_e64 s[0:1], 0, v58
	ds_write2_b32 v4, v2, v3 offset0:2 offset1:4
	ds_write_b8 v4, v5 offset:20
	v_cndmask_b32_e64 v2, 0, v3, s[0:1]
	v_and_b32_e32 v3, 1, v58
	v_add_u32_e32 v2, v2, v9
	v_cmp_eq_u32_e64 s[0:1], 1, v3
	s_nop 1
	v_cndmask_b32_e64 v3, v5, 1, s[0:1]
	ds_write_b32 v4, v2 offset:24
	ds_write_b8 v4, v3 offset:28
.LBB1673_150:
	s_or_b64 exec, exec, s[52:53]
	s_waitcnt lgkmcnt(0)
	s_barrier
	s_and_saveexec_b64 s[0:1], s[4:5]
	s_cbranch_execz .LBB1673_152
; %bb.151:
	v_add_u32_e32 v2, -1, v0
	v_lshrrev_b32_e32 v3, 5, v2
	v_add_lshl_u32 v2, v3, v2, 3
	ds_read_b32 v62, v2
	ds_read_u8 v63, v2 offset:4
.LBB1673_152:
	s_or_b64 exec, exec, s[0:1]
	s_and_saveexec_b64 s[60:61], vcc
	s_cbranch_execz .LBB1673_171
; %bb.153:
	v_mov_b32_e32 v5, 0
	ds_read_b64 v[2:3], v5 offset:2096
	v_mbcnt_lo_u32_b32 v4, -1, 0
	v_mbcnt_hi_u32_b32 v73, -1, v4
	s_mov_b32 s65, 0
	v_cmp_eq_u32_e64 s[52:53], 0, v73
	s_waitcnt lgkmcnt(0)
	v_readfirstlane_b32 s70, v3
	s_and_saveexec_b64 s[0:1], s[52:53]
	s_cbranch_execz .LBB1673_155
; %bb.154:
	s_add_i32 s64, s75, 64
	s_lshl_b64 s[68:69], s[64:65], 4
	s_add_u32 s68, s72, s68
	s_addc_u32 s69, s73, s69
	s_and_b32 s79, s70, 0xff000000
	s_mov_b32 s78, s65
	s_and_b32 s81, s70, 0xff0000
	s_mov_b32 s80, s65
	s_or_b64 s[78:79], s[80:81], s[78:79]
	s_and_b32 s81, s70, 0xff00
	s_or_b64 s[78:79], s[78:79], s[80:81]
	s_and_b32 s81, s70, 0xff
	s_or_b64 s[64:65], s[78:79], s[80:81]
	v_mov_b32_e32 v3, s65
	v_mov_b32_e32 v4, 1
	v_mov_b64_e32 v[6:7], s[68:69]
	;;#ASMSTART
	global_store_dwordx4 v[6:7], v[2:5] off sc1	
s_waitcnt vmcnt(0)
	;;#ASMEND
.LBB1673_155:
	s_or_b64 exec, exec, s[0:1]
	v_xad_u32 v58, v73, -1, s75
	v_add_u32_e32 v4, 64, v58
	v_lshl_add_u64 v[60:61], v[4:5], 4, s[72:73]
	;;#ASMSTART
	global_load_dwordx4 v[6:9], v[60:61] off sc1	
s_waitcnt vmcnt(0)
	;;#ASMEND
	s_nop 0
	v_and_b32_e32 v3, 0xff0000, v6
	v_and_b32_e32 v4, 0xff000000, v6
	;; [unrolled: 1-line block ×3, first 2 shown]
	v_or_b32_sdwa v3, v6, v3 dst_sel:DWORD dst_unused:UNUSED_PAD src0_sel:WORD_0 src1_sel:DWORD
	v_or3_b32 v7, 0, 0, v7
	v_or3_b32 v6, v3, v4, 0
	v_cmp_eq_u16_sdwa s[64:65], v8, v5 src0_sel:BYTE_0 src1_sel:DWORD
	s_and_saveexec_b64 s[0:1], s[64:65]
	s_cbranch_execz .LBB1673_159
; %bb.156:
	s_mov_b64 s[64:65], 0
	v_mov_b32_e32 v3, 0
.LBB1673_157:                           ; =>This Inner Loop Header: Depth=1
	;;#ASMSTART
	global_load_dwordx4 v[6:9], v[60:61] off sc1	
s_waitcnt vmcnt(0)
	;;#ASMEND
	s_nop 0
	v_cmp_ne_u16_sdwa s[68:69], v8, v3 src0_sel:BYTE_0 src1_sel:DWORD
	s_or_b64 s[64:65], s[68:69], s[64:65]
	s_andn2_b64 exec, exec, s[64:65]
	s_cbranch_execnz .LBB1673_157
; %bb.158:
	s_or_b64 exec, exec, s[64:65]
	v_and_b32_e32 v7, 0xff, v7
.LBB1673_159:
	s_or_b64 exec, exec, s[0:1]
	v_mov_b32_e32 v3, 2
	v_cmp_eq_u16_sdwa s[0:1], v8, v3 src0_sel:BYTE_0 src1_sel:DWORD
	v_lshlrev_b64 v[4:5], v73, -1
	v_and_b32_e32 v64, 63, v73
	v_and_b32_e32 v9, s1, v5
	v_or_b32_e32 v9, 0x80000000, v9
	v_and_b32_e32 v59, s0, v4
	v_ffbl_b32_e32 v9, v9
	v_add_u32_e32 v9, 32, v9
	v_ffbl_b32_e32 v59, v59
	v_cmp_ne_u32_e32 vcc, 63, v64
	v_min_u32_e32 v9, v59, v9
	s_mov_b32 s64, 0
	v_addc_co_u32_e32 v59, vcc, 0, v73, vcc
	v_lshlrev_b32_e32 v65, 2, v59
	ds_bpermute_b32 v59, v65, v7
	ds_bpermute_b32 v60, v65, v6
	v_and_b32_e32 v61, 1, v7
	s_mov_b32 s65, 1
	v_cmp_eq_u32_e32 vcc, 1, v61
	s_waitcnt lgkmcnt(1)
	v_and_b32_e32 v59, 1, v59
	v_cmp_lt_u32_e64 s[0:1], v64, v9
	v_cndmask_b32_e64 v59, v59, 1, vcc
	v_cmp_gt_u64_e32 vcc, s[64:65], v[6:7]
	s_and_b64 vcc, s[0:1], vcc
	v_and_b32_e32 v61, 0xffff, v59
	v_cndmask_b32_e64 v68, v7, v59, s[0:1]
	s_waitcnt lgkmcnt(0)
	v_cndmask_b32_e32 v59, 0, v60, vcc
	v_cmp_gt_u32_e32 vcc, 62, v64
	v_cndmask_b32_e64 v7, v7, v61, s[0:1]
	v_add_u32_e32 v6, v59, v6
	v_cndmask_b32_e64 v60, 0, 1, vcc
	v_lshlrev_b32_e32 v60, 1, v60
	v_add_lshl_u32 v66, v60, v73, 2
	ds_bpermute_b32 v60, v66, v7
	ds_bpermute_b32 v61, v66, v6
	v_and_b32_e32 v59, 1, v68
	v_cmp_eq_u32_e32 vcc, 1, v59
	v_mov_b32_e32 v59, 0
	s_waitcnt lgkmcnt(1)
	v_and_b32_e32 v60, 1, v60
	v_add_u32_e32 v67, 2, v64
	v_cndmask_b32_e64 v60, v60, 1, vcc
	v_cmp_eq_u16_sdwa vcc, v68, v59 src0_sel:BYTE_0 src1_sel:DWORD
	v_and_b32_e32 v69, 0xffff, v60
	v_add_u32_e32 v77, 32, v64
	s_waitcnt lgkmcnt(0)
	v_cndmask_b32_e32 v61, 0, v61, vcc
	v_cmp_gt_u32_e32 vcc, v67, v9
	s_nop 1
	v_cndmask_b32_e32 v60, v60, v68, vcc
	v_cndmask_b32_e64 v61, v61, 0, vcc
	v_cndmask_b32_e32 v7, v69, v7, vcc
	v_cmp_gt_u32_e32 vcc, 60, v64
	v_add_u32_e32 v6, v61, v6
	v_and_b32_e32 v71, 1, v60
	v_cndmask_b32_e64 v68, 0, 1, vcc
	v_lshlrev_b32_e32 v68, 2, v68
	v_add_lshl_u32 v68, v68, v73, 2
	ds_bpermute_b32 v70, v68, v7
	ds_bpermute_b32 v61, v68, v6
	v_cmp_eq_u32_e32 vcc, 1, v71
	v_add_u32_e32 v69, 4, v64
	s_waitcnt lgkmcnt(1)
	v_and_b32_e32 v70, 1, v70
	v_cndmask_b32_e64 v70, v70, 1, vcc
	v_cmp_eq_u16_sdwa vcc, v60, v59 src0_sel:BYTE_0 src1_sel:DWORD
	v_and_b32_e32 v71, 0xffff, v70
	s_waitcnt lgkmcnt(0)
	v_cndmask_b32_e32 v61, 0, v61, vcc
	v_cmp_gt_u32_e32 vcc, v69, v9
	s_nop 1
	v_cndmask_b32_e32 v60, v70, v60, vcc
	v_cndmask_b32_e64 v61, v61, 0, vcc
	v_cndmask_b32_e32 v7, v71, v7, vcc
	v_cmp_gt_u32_e32 vcc, 56, v64
	v_add_u32_e32 v6, v61, v6
	v_and_b32_e32 v74, 1, v60
	v_cndmask_b32_e64 v70, 0, 1, vcc
	v_lshlrev_b32_e32 v70, 3, v70
	v_add_lshl_u32 v70, v70, v73, 2
	ds_bpermute_b32 v72, v70, v7
	ds_bpermute_b32 v61, v70, v6
	v_cmp_eq_u32_e32 vcc, 1, v74
	v_add_u32_e32 v71, 8, v64
	s_waitcnt lgkmcnt(1)
	v_and_b32_e32 v72, 1, v72
	v_cndmask_b32_e64 v72, v72, 1, vcc
	v_cmp_eq_u16_sdwa vcc, v60, v59 src0_sel:BYTE_0 src1_sel:DWORD
	v_and_b32_e32 v74, 0xffff, v72
	;; [unrolled: 22-line block ×3, first 2 shown]
	s_waitcnt lgkmcnt(0)
	v_cndmask_b32_e32 v61, 0, v61, vcc
	v_cmp_gt_u32_e32 vcc, v74, v9
	s_nop 1
	v_cndmask_b32_e32 v60, v75, v60, vcc
	v_cndmask_b32_e64 v61, v61, 0, vcc
	v_cndmask_b32_e32 v7, v76, v7, vcc
	v_cmp_gt_u32_e32 vcc, 32, v64
	v_add_u32_e32 v6, v61, v6
	s_nop 0
	v_cndmask_b32_e64 v75, 0, 1, vcc
	v_lshlrev_b32_e32 v75, 5, v75
	v_add_lshl_u32 v76, v75, v73, 2
	ds_bpermute_b32 v7, v76, v7
	ds_bpermute_b32 v61, v76, v6
	v_and_b32_e32 v73, 1, v60
	v_cmp_eq_u32_e32 vcc, 1, v73
	s_waitcnt lgkmcnt(1)
	v_and_b32_e32 v7, 1, v7
	v_cndmask_b32_e64 v7, v7, 1, vcc
	v_cmp_eq_u16_sdwa vcc, v60, v59 src0_sel:BYTE_0 src1_sel:DWORD
	s_waitcnt lgkmcnt(0)
	s_nop 0
	v_cndmask_b32_e32 v61, 0, v61, vcc
	v_cmp_gt_u32_e32 vcc, v77, v9
	s_nop 1
	v_cndmask_b32_e64 v9, v61, 0, vcc
	v_cndmask_b32_e32 v7, v7, v60, vcc
	v_add_u32_e32 v6, v9, v6
	s_branch .LBB1673_161
.LBB1673_160:                           ;   in Loop: Header=BB1673_161 Depth=1
	s_or_b64 exec, exec, s[0:1]
	v_cmp_eq_u16_sdwa s[0:1], v8, v3 src0_sel:BYTE_0 src1_sel:DWORD
	ds_bpermute_b32 v61, v65, v7
	v_and_b32_e32 v78, 1, v7
	v_and_b32_e32 v9, s1, v5
	v_or_b32_e32 v9, 0x80000000, v9
	v_and_b32_e32 v60, s0, v4
	v_ffbl_b32_e32 v9, v9
	v_add_u32_e32 v9, 32, v9
	v_ffbl_b32_e32 v60, v60
	v_min_u32_e32 v9, v60, v9
	ds_bpermute_b32 v60, v65, v6
	s_waitcnt lgkmcnt(1)
	v_and_b32_e32 v61, 1, v61
	v_cmp_eq_u32_e32 vcc, 1, v78
	v_cmp_lt_u32_e64 s[0:1], v64, v9
	v_subrev_u32_e32 v58, 64, v58
	v_cndmask_b32_e64 v61, v61, 1, vcc
	v_cmp_gt_u64_e32 vcc, s[64:65], v[6:7]
	v_and_b32_e32 v78, 0xffff, v61
	v_cndmask_b32_e64 v61, v7, v61, s[0:1]
	v_cndmask_b32_e64 v7, v7, v78, s[0:1]
	s_and_b64 vcc, s[0:1], vcc
	ds_bpermute_b32 v78, v66, v7
	s_waitcnt lgkmcnt(1)
	v_cndmask_b32_e32 v60, 0, v60, vcc
	v_add_u32_e32 v6, v60, v6
	ds_bpermute_b32 v60, v66, v6
	v_and_b32_e32 v79, 1, v61
	s_waitcnt lgkmcnt(1)
	v_and_b32_e32 v78, 1, v78
	v_cmp_eq_u32_e32 vcc, 1, v79
	s_nop 1
	v_cndmask_b32_e64 v78, v78, 1, vcc
	v_cmp_eq_u16_sdwa vcc, v61, v59 src0_sel:BYTE_0 src1_sel:DWORD
	v_and_b32_e32 v79, 0xffff, v78
	s_waitcnt lgkmcnt(0)
	v_cndmask_b32_e32 v60, 0, v60, vcc
	v_cmp_gt_u32_e32 vcc, v67, v9
	s_nop 1
	v_cndmask_b32_e32 v7, v79, v7, vcc
	v_cndmask_b32_e32 v61, v78, v61, vcc
	ds_bpermute_b32 v78, v68, v7
	v_cndmask_b32_e64 v60, v60, 0, vcc
	v_add_u32_e32 v6, v60, v6
	ds_bpermute_b32 v60, v68, v6
	v_and_b32_e32 v79, 1, v61
	s_waitcnt lgkmcnt(1)
	v_and_b32_e32 v78, 1, v78
	v_cmp_eq_u32_e32 vcc, 1, v79
	s_nop 1
	v_cndmask_b32_e64 v78, v78, 1, vcc
	v_cmp_eq_u16_sdwa vcc, v61, v59 src0_sel:BYTE_0 src1_sel:DWORD
	v_and_b32_e32 v79, 0xffff, v78
	s_waitcnt lgkmcnt(0)
	v_cndmask_b32_e32 v60, 0, v60, vcc
	v_cmp_gt_u32_e32 vcc, v69, v9
	s_nop 1
	v_cndmask_b32_e32 v7, v79, v7, vcc
	v_cndmask_b32_e32 v61, v78, v61, vcc
	ds_bpermute_b32 v78, v70, v7
	v_cndmask_b32_e64 v60, v60, 0, vcc
	;; [unrolled: 18-line block ×3, first 2 shown]
	v_add_u32_e32 v6, v60, v6
	ds_bpermute_b32 v60, v72, v6
	v_and_b32_e32 v79, 1, v61
	s_waitcnt lgkmcnt(1)
	v_and_b32_e32 v78, 1, v78
	v_cmp_eq_u32_e32 vcc, 1, v79
	s_nop 1
	v_cndmask_b32_e64 v78, v78, 1, vcc
	v_cmp_eq_u16_sdwa vcc, v61, v59 src0_sel:BYTE_0 src1_sel:DWORD
	v_and_b32_e32 v79, 0xffff, v78
	s_waitcnt lgkmcnt(0)
	v_cndmask_b32_e32 v60, 0, v60, vcc
	v_cmp_gt_u32_e32 vcc, v74, v9
	s_nop 1
	v_cndmask_b32_e64 v60, v60, 0, vcc
	v_cndmask_b32_e32 v7, v79, v7, vcc
	ds_bpermute_b32 v7, v76, v7
	v_add_u32_e32 v6, v60, v6
	ds_bpermute_b32 v60, v76, v6
	v_cndmask_b32_e32 v61, v78, v61, vcc
	v_and_b32_e32 v78, 1, v61
	v_cmp_eq_u32_e32 vcc, 1, v78
	s_waitcnt lgkmcnt(1)
	s_nop 0
	v_cndmask_b32_e64 v7, v7, 1, vcc
	v_cmp_eq_u16_sdwa vcc, v61, v59 src0_sel:BYTE_0 src1_sel:DWORD
	s_waitcnt lgkmcnt(0)
	s_nop 0
	v_cndmask_b32_e32 v60, 0, v60, vcc
	v_cmp_gt_u32_e32 vcc, v77, v9
	s_nop 1
	v_cndmask_b32_e64 v9, v60, 0, vcc
	v_cndmask_b32_e32 v7, v7, v61, vcc
	v_add_u32_e32 v6, v9, v6
	v_cmp_eq_u16_sdwa vcc, v73, v59 src0_sel:BYTE_0 src1_sel:DWORD
	v_and_b32_e32 v9, 1, v73
	v_and_b32_e32 v7, 1, v7
	v_cndmask_b32_e32 v6, 0, v6, vcc
	v_cmp_eq_u32_e32 vcc, 1, v9
	v_add_u32_e32 v6, v6, v75
	s_nop 0
	v_cndmask_b32_e64 v7, v7, 1, vcc
.LBB1673_161:                           ; =>This Loop Header: Depth=1
                                        ;     Child Loop BB1673_164 Depth 2
	v_cmp_ne_u16_sdwa s[0:1], v8, v3 src0_sel:BYTE_0 src1_sel:DWORD
	v_mov_b32_e32 v73, v7
	v_mov_b32_e32 v75, v6
	v_cndmask_b32_e64 v7, 0, 1, s[0:1]
	;;#ASMSTART
	;;#ASMEND
	s_nop 0
	v_cmp_ne_u32_e32 vcc, 0, v7
	s_cmp_lg_u64 vcc, exec
	s_cbranch_scc1 .LBB1673_166
; %bb.162:                              ;   in Loop: Header=BB1673_161 Depth=1
	v_lshl_add_u64 v[60:61], v[58:59], 4, s[72:73]
	;;#ASMSTART
	global_load_dwordx4 v[6:9], v[60:61] off sc1	
s_waitcnt vmcnt(0)
	;;#ASMEND
	s_nop 0
	v_and_b32_e32 v9, 0xff0000, v6
	v_and_b32_e32 v78, 0xff000000, v6
	v_and_b32_e32 v7, 0xff, v7
	v_or_b32_sdwa v6, v6, v9 dst_sel:DWORD dst_unused:UNUSED_PAD src0_sel:WORD_0 src1_sel:DWORD
	v_or3_b32 v7, 0, 0, v7
	v_or3_b32 v6, v6, v78, 0
	v_cmp_eq_u16_sdwa s[68:69], v8, v59 src0_sel:BYTE_0 src1_sel:DWORD
	s_and_saveexec_b64 s[0:1], s[68:69]
	s_cbranch_execz .LBB1673_160
; %bb.163:                              ;   in Loop: Header=BB1673_161 Depth=1
	s_mov_b64 s[68:69], 0
.LBB1673_164:                           ;   Parent Loop BB1673_161 Depth=1
                                        ; =>  This Inner Loop Header: Depth=2
	;;#ASMSTART
	global_load_dwordx4 v[6:9], v[60:61] off sc1	
s_waitcnt vmcnt(0)
	;;#ASMEND
	s_nop 0
	v_cmp_ne_u16_sdwa s[78:79], v8, v59 src0_sel:BYTE_0 src1_sel:DWORD
	s_or_b64 s[68:69], s[78:79], s[68:69]
	s_andn2_b64 exec, exec, s[68:69]
	s_cbranch_execnz .LBB1673_164
; %bb.165:                              ;   in Loop: Header=BB1673_161 Depth=1
	s_or_b64 exec, exec, s[68:69]
	v_and_b32_e32 v7, 0xff, v7
	s_branch .LBB1673_160
.LBB1673_166:                           ;   in Loop: Header=BB1673_161 Depth=1
                                        ; implicit-def: $vgpr7
                                        ; implicit-def: $vgpr6
                                        ; implicit-def: $vgpr8
	s_cbranch_execz .LBB1673_161
; %bb.167:
	s_and_saveexec_b64 s[0:1], s[52:53]
	s_cbranch_execz .LBB1673_169
; %bb.168:
	s_and_b32 s52, s70, 0xff
	s_cmp_eq_u32 s52, 0
	s_cselect_b64 vcc, -1, 0
	s_bitcmp1_b32 s70, 0
	s_mov_b32 s53, 0
	s_cselect_b64 s[64:65], -1, 0
	s_add_i32 s52, s75, 64
	s_lshl_b64 s[52:53], s[52:53], 4
	v_cndmask_b32_e32 v3, 0, v75, vcc
	s_add_u32 s52, s72, s52
	v_add_u32_e32 v2, v3, v2
	v_and_b32_e32 v3, 1, v73
	s_addc_u32 s53, s73, s53
	v_mov_b32_e32 v5, 0
	v_cndmask_b32_e64 v3, v3, 1, s[64:65]
	v_mov_b32_e32 v4, 2
	v_mov_b64_e32 v[6:7], s[52:53]
	;;#ASMSTART
	global_store_dwordx4 v[6:7], v[2:5] off sc1	
s_waitcnt vmcnt(0)
	;;#ASMEND
.LBB1673_169:
	s_or_b64 exec, exec, s[0:1]
	s_and_b64 exec, exec, s[54:55]
	s_cbranch_execz .LBB1673_171
; %bb.170:
	v_mov_b32_e32 v2, 0
	ds_write_b32 v2, v75
	ds_write_b8 v2, v73 offset:4
.LBB1673_171:
	s_or_b64 exec, exec, s[60:61]
	s_mov_b32 s0, 0
	v_mov_b32_e32 v2, 0
	s_mov_b32 s1, 1
	s_waitcnt lgkmcnt(0)
	s_barrier
	ds_read_b32 v3, v2
	v_cmp_gt_u64_e32 vcc, s[0:1], v[10:11]
	v_and_b32_e32 v5, 1, v11
	v_and_b32_e32 v6, 1, v63
	v_cndmask_b32_e32 v4, 0, v62, vcc
	v_cmp_eq_u32_e32 vcc, 1, v5
	v_cndmask_b32_e64 v4, v4, 0, s[54:55]
	s_nop 0
	v_cndmask_b32_e64 v5, v6, 1, vcc
	v_cndmask_b32_e64 v5, v5, v11, s[54:55]
	v_cmp_eq_u16_sdwa vcc, v5, v2 src0_sel:BYTE_0 src1_sel:DWORD
	s_waitcnt lgkmcnt(0)
	s_nop 0
	v_cndmask_b32_e32 v2, 0, v3, vcc
	v_add3_u32 v80, v4, v10, v2
	v_cndmask_b32_e64 v2, 0, v80, s[6:7]
	v_add_u32_e32 v58, v2, v12
	v_cndmask_b32_e64 v2, 0, v58, s[8:9]
	v_add_u32_e32 v59, v2, v14
	;; [unrolled: 2-line block ×22, first 2 shown]
	s_branch .LBB1673_192
.LBB1673_172:
                                        ; implicit-def: $vgpr78
                                        ; implicit-def: $vgpr77
                                        ; implicit-def: $vgpr76
                                        ; implicit-def: $vgpr75
                                        ; implicit-def: $vgpr74
                                        ; implicit-def: $vgpr73
                                        ; implicit-def: $vgpr72
                                        ; implicit-def: $vgpr71
                                        ; implicit-def: $vgpr70
                                        ; implicit-def: $vgpr69
                                        ; implicit-def: $vgpr68
                                        ; implicit-def: $vgpr67
                                        ; implicit-def: $vgpr66
                                        ; implicit-def: $vgpr65
                                        ; implicit-def: $vgpr64
                                        ; implicit-def: $vgpr63
                                        ; implicit-def: $vgpr62
                                        ; implicit-def: $vgpr61
                                        ; implicit-def: $vgpr60
                                        ; implicit-def: $vgpr59
                                        ; implicit-def: $vgpr58
                                        ; implicit-def: $vgpr80
                                        ; implicit-def: $vgpr79
	s_cbranch_execz .LBB1673_192
; %bb.173:
	s_cmp_lg_u64 s[76:77], 0
	s_cselect_b32 s9, s67, 0
	s_cselect_b32 s8, s66, 0
	s_cmp_lg_u64 s[8:9], 0
	s_cselect_b64 s[6:7], -1, 0
	s_mov_b32 s0, 0
	s_and_b64 s[10:11], s[54:55], s[6:7]
	s_and_saveexec_b64 s[6:7], s[10:11]
	s_cbranch_execz .LBB1673_175
; %bb.174:
	v_mov_b32_e32 v2, 0
	global_load_dword v4, v2, s[8:9]
	global_load_ubyte v5, v2, s[8:9] offset:4
	s_mov_b32 s1, 1
	v_and_b32_e32 v3, 1, v11
	v_cmp_gt_u64_e32 vcc, s[0:1], v[10:11]
	s_waitcnt vmcnt(0)
	v_and_b32_e32 v5, 1, v5
	v_cndmask_b32_e32 v4, 0, v4, vcc
	v_cmp_eq_u64_e32 vcc, 0, v[2:3]
	v_add_u32_e32 v10, v4, v10
	s_nop 0
	v_cndmask_b32_e32 v11, 1, v5, vcc
.LBB1673_175:
	s_or_b64 exec, exec, s[6:7]
	s_mov_b32 s1, 1
	v_cmp_gt_u64_e32 vcc, s[0:1], v[12:13]
	v_cmp_gt_u64_e64 s[6:7], s[0:1], v[14:15]
	v_cmp_gt_u64_e64 s[8:9], s[0:1], v[16:17]
	v_cndmask_b32_e32 v2, 0, v10, vcc
	v_add_u32_e32 v58, v2, v12
	v_cndmask_b32_e64 v2, 0, v58, s[6:7]
	v_add_u32_e32 v59, v2, v14
	v_cndmask_b32_e64 v2, 0, v59, s[8:9]
	v_add_u32_e32 v60, v2, v16
	v_cmp_gt_u64_e64 s[10:11], s[0:1], v[18:19]
	v_cmp_gt_u64_e64 s[12:13], s[0:1], v[20:21]
	v_cmp_gt_u64_e64 s[14:15], s[0:1], v[22:23]
	v_cndmask_b32_e64 v2, 0, v60, s[10:11]
	v_add_u32_e32 v61, v2, v18
	v_cndmask_b32_e64 v2, 0, v61, s[12:13]
	v_add_u32_e32 v62, v2, v20
	v_cndmask_b32_e64 v2, 0, v62, s[14:15]
	v_add_u32_e32 v63, v2, v22
	v_cmp_gt_u64_e64 s[16:17], s[0:1], v[24:25]
	v_cmp_gt_u64_e64 s[18:19], s[0:1], v[26:27]
	v_cmp_gt_u64_e64 s[20:21], s[0:1], v[28:29]
	v_cndmask_b32_e64 v2, 0, v63, s[16:17]
	;; [unrolled: 9-line block ×6, first 2 shown]
	v_add_u32_e32 v76, v2, v48
	v_cndmask_b32_e64 v2, 0, v76, s[44:45]
	v_add_u32_e32 v77, v2, v50
	v_cndmask_b32_e64 v2, 0, v77, s[46:47]
	v_add_u32_e32 v78, v2, v52
	v_cmp_gt_u64_e64 s[48:49], s[0:1], v[56:57]
	v_add_lshl_u32 v1, v1, v0, 3
	s_nop 0
	v_cndmask_b32_e64 v2, 0, v78, s[48:49]
	v_add_u32_e32 v79, v2, v56
	v_or3_b32 v2, v55, v51, v49
	v_or3_b32 v2, v2, v47, v45
	;; [unrolled: 1-line block ×10, first 2 shown]
	v_and_b32_e32 v2, 1, v2
	v_cmp_eq_u32_e64 s[0:1], 1, v2
	s_nop 1
	v_cndmask_b32_e64 v4, v11, 1, s[0:1]
	v_cmp_gt_u32_e64 s[0:1], 64, v0
	ds_write_b32 v1, v79
	ds_write_b8 v1, v4 offset:4
	s_waitcnt lgkmcnt(0)
	s_barrier
	s_and_saveexec_b64 s[50:51], s[0:1]
	s_cbranch_execz .LBB1673_187
; %bb.176:
	v_lshrrev_b32_e32 v1, 3, v0
	v_add_lshl_u32 v1, v1, v54, 3
	ds_read2_b32 v[6:7], v1 offset0:2 offset1:4
	ds_read_b64 v[2:3], v1
	ds_read_u8 v8, v1 offset:12
	ds_read_u8 v9, v1 offset:20
	ds_read_b32 v13, v1 offset:24
	ds_read_u8 v15, v1 offset:28
	v_mov_b32_e32 v17, 0
	s_waitcnt lgkmcnt(3)
	v_cmp_eq_u16_sdwa s[0:1], v8, v17 src0_sel:BYTE_0 src1_sel:DWORD
	v_and_b32_e32 v5, 1, v3
	s_nop 0
	v_cndmask_b32_e64 v19, 0, v2, s[0:1]
	v_add_u32_e32 v6, v19, v6
	s_waitcnt lgkmcnt(2)
	v_cmp_eq_u16_sdwa s[0:1], v9, v17 src0_sel:BYTE_0 src1_sel:DWORD
	s_nop 1
	v_cndmask_b32_e64 v6, 0, v6, s[0:1]
	v_add_u32_e32 v6, v6, v7
	s_waitcnt lgkmcnt(0)
	v_cmp_eq_u16_e64 s[0:1], 0, v15
	s_nop 1
	v_cndmask_b32_e64 v6, 0, v6, s[0:1]
	v_add_u32_e32 v7, v6, v13
	v_or_b32_e32 v6, v15, v9
	v_or_b32_e32 v6, v6, v8
	v_and_b32_e32 v6, 1, v6
	v_cmp_eq_u32_e64 s[0:1], 1, v6
	v_mbcnt_lo_u32_b32 v8, -1, 0
	v_and_b32_e32 v6, 0xffffff00, v3
	v_cndmask_b32_e64 v9, v5, 1, s[0:1]
	v_mbcnt_hi_u32_b32 v8, -1, v8
	v_and_b32_e32 v15, 15, v8
	v_or_b32_sdwa v13, v6, v9 dst_sel:DWORD dst_unused:UNUSED_PAD src0_sel:DWORD src1_sel:WORD_0
	v_mov_b32_dpp v17, v7 row_shr:1 row_mask:0xf bank_mask:0xf
	v_cmp_ne_u32_e64 s[0:1], 0, v15
	v_mov_b32_dpp v19, v13 row_shr:1 row_mask:0xf bank_mask:0xf
	s_and_saveexec_b64 s[52:53], s[0:1]
; %bb.177:
	v_and_b32_e32 v13, 1, v9
	v_and_b32_e32 v19, 1, v19
	v_cmp_eq_u32_e64 s[0:1], 1, v13
	s_nop 1
	v_cndmask_b32_e64 v19, v19, 1, s[0:1]
	v_cmp_eq_u16_e64 s[0:1], 0, v9
	v_or_b32_sdwa v13, v6, v19 dst_sel:DWORD dst_unused:UNUSED_PAD src0_sel:DWORD src1_sel:WORD_0
	s_nop 0
	v_cndmask_b32_e64 v9, 0, v17, s[0:1]
	v_add_u32_e32 v7, v9, v7
	v_mov_b32_e32 v9, v19
; %bb.178:
	s_or_b64 exec, exec, s[52:53]
	v_mov_b32_dpp v17, v7 row_shr:2 row_mask:0xf bank_mask:0xf
	v_mov_b32_dpp v19, v13 row_shr:2 row_mask:0xf bank_mask:0xf
	v_cmp_lt_u32_e64 s[0:1], 1, v15
	s_and_saveexec_b64 s[52:53], s[0:1]
; %bb.179:
	v_and_b32_e32 v13, 1, v9
	v_and_b32_e32 v19, 1, v19
	v_cmp_eq_u32_e64 s[0:1], 1, v13
	s_nop 1
	v_cndmask_b32_e64 v19, v19, 1, s[0:1]
	v_cmp_eq_u16_e64 s[0:1], 0, v9
	v_or_b32_sdwa v13, v6, v19 dst_sel:DWORD dst_unused:UNUSED_PAD src0_sel:DWORD src1_sel:WORD_0
	s_nop 0
	v_cndmask_b32_e64 v9, 0, v17, s[0:1]
	v_add_u32_e32 v7, v9, v7
	v_mov_b32_e32 v9, v19
; %bb.180:
	s_or_b64 exec, exec, s[52:53]
	v_mov_b32_dpp v17, v7 row_shr:4 row_mask:0xf bank_mask:0xf
	v_mov_b32_dpp v19, v13 row_shr:4 row_mask:0xf bank_mask:0xf
	v_cmp_lt_u32_e64 s[0:1], 3, v15
	;; [unrolled: 18-line block ×3, first 2 shown]
	s_and_saveexec_b64 s[52:53], s[0:1]
; %bb.183:
	v_and_b32_e32 v13, 1, v9
	v_and_b32_e32 v15, 1, v19
	v_cmp_eq_u32_e64 s[0:1], 1, v13
	s_nop 1
	v_cndmask_b32_e64 v15, v15, 1, s[0:1]
	v_cmp_eq_u16_e64 s[0:1], 0, v9
	v_or_b32_sdwa v13, v6, v15 dst_sel:DWORD dst_unused:UNUSED_PAD src0_sel:DWORD src1_sel:WORD_0
	s_nop 0
	v_cndmask_b32_e64 v9, 0, v17, s[0:1]
	v_add_u32_e32 v7, v9, v7
	v_mov_b32_e32 v9, v15
; %bb.184:
	s_or_b64 exec, exec, s[52:53]
	v_and_b32_e32 v19, 16, v8
	v_mov_b32_dpp v15, v7 row_bcast:15 row_mask:0xf bank_mask:0xf
	v_mov_b32_dpp v17, v13 row_bcast:15 row_mask:0xf bank_mask:0xf
	v_cmp_ne_u32_e64 s[0:1], 0, v19
	s_and_saveexec_b64 s[52:53], s[0:1]
; %bb.185:
	v_and_b32_e32 v13, 1, v9
	v_and_b32_e32 v17, 1, v17
	v_cmp_eq_u32_e64 s[0:1], 1, v13
	s_nop 1
	v_cndmask_b32_e64 v17, v17, 1, s[0:1]
	v_cmp_eq_u16_e64 s[0:1], 0, v9
	v_or_b32_sdwa v13, v6, v17 dst_sel:DWORD dst_unused:UNUSED_PAD src0_sel:DWORD src1_sel:WORD_0
	s_nop 0
	v_cndmask_b32_e64 v9, 0, v15, s[0:1]
	v_add_u32_e32 v7, v9, v7
	v_mov_b32_e32 v9, v17
; %bb.186:
	s_or_b64 exec, exec, s[52:53]
	v_mov_b32_dpp v13, v13 row_bcast:31 row_mask:0xf bank_mask:0xf
	v_and_b32_e32 v17, 1, v9
	v_and_b32_e32 v13, 1, v13
	v_cmp_eq_u32_e64 s[0:1], 1, v17
	v_mov_b32_e32 v17, 0
	v_cmp_eq_u16_sdwa s[52:53], v9, v17 src0_sel:BYTE_0 src1_sel:DWORD
	v_cndmask_b32_e64 v13, v13, 1, s[0:1]
	v_cmp_lt_u32_e64 s[0:1], 31, v8
	v_mov_b32_dpp v15, v7 row_bcast:31 row_mask:0xf bank_mask:0xf
	s_movk_i32 s60, 0xff
	v_cndmask_b32_e64 v9, v9, v13, s[0:1]
	s_and_b64 s[0:1], s[0:1], s[52:53]
	v_cndmask_b32_e64 v13, 0, v15, s[0:1]
	v_add_u32_e32 v7, v13, v7
	v_add_u32_e32 v13, -1, v8
	v_and_b32_e32 v15, 64, v8
	v_cmp_lt_i32_e64 s[0:1], v13, v15
	v_and_or_b32 v6, v9, s60, v6
	s_nop 0
	v_cndmask_b32_e64 v8, v13, v8, s[0:1]
	v_lshlrev_b32_e32 v8, 2, v8
	ds_bpermute_b32 v7, v8, v7
	ds_bpermute_b32 v6, v8, v6
	v_cmp_eq_u16_sdwa s[0:1], v3, v17 src0_sel:BYTE_0 src1_sel:DWORD
	; wave barrier
	s_waitcnt lgkmcnt(1)
	s_nop 0
	v_cndmask_b32_e64 v3, 0, v7, s[0:1]
	v_add_u32_e32 v2, v3, v2
	s_waitcnt lgkmcnt(0)
	v_and_b32_e32 v3, 1, v6
	v_cmp_eq_u32_e64 s[0:1], 1, v5
	v_cndmask_b32_e64 v5, v2, v79, s[54:55]
	s_nop 0
	v_cndmask_b32_e64 v3, v3, 1, s[0:1]
	v_cndmask_b32_e64 v4, v3, v4, s[54:55]
	ds_write_b32 v1, v5
	ds_write_b8 v1, v4 offset:4
	; wave barrier
	ds_read_u8 v6, v1 offset:12
	ds_read2_b32 v[2:3], v1 offset0:2 offset1:4
	ds_read_u8 v7, v1 offset:20
	ds_read_b32 v8, v1 offset:24
	ds_read_u8 v9, v1 offset:28
	s_waitcnt lgkmcnt(4)
	v_cmp_eq_u16_e64 s[0:1], 0, v6
	s_nop 1
	v_cndmask_b32_e64 v5, 0, v5, s[0:1]
	s_waitcnt lgkmcnt(3)
	v_add_u32_e32 v2, v5, v2
	v_and_b32_e32 v5, 1, v6
	v_cmp_eq_u32_e64 s[0:1], 1, v5
	s_nop 1
	v_cndmask_b32_e64 v4, v4, 1, s[0:1]
	s_waitcnt lgkmcnt(2)
	v_cmp_eq_u16_e64 s[0:1], 0, v7
	ds_write_b8 v1, v4 offset:12
	s_nop 0
	v_cndmask_b32_e64 v5, 0, v2, s[0:1]
	v_add_u32_e32 v3, v5, v3
	v_and_b32_e32 v5, 1, v7
	v_cmp_eq_u32_e64 s[0:1], 1, v5
	s_nop 1
	v_cndmask_b32_e64 v4, v4, 1, s[0:1]
	s_waitcnt lgkmcnt(1)
	v_cmp_eq_u16_e64 s[0:1], 0, v9
	ds_write2_b32 v1, v2, v3 offset0:2 offset1:4
	ds_write_b8 v1, v4 offset:20
	v_cndmask_b32_e64 v2, 0, v3, s[0:1]
	v_and_b32_e32 v3, 1, v9
	v_add_u32_e32 v2, v2, v8
	v_cmp_eq_u32_e64 s[0:1], 1, v3
	s_nop 1
	v_cndmask_b32_e64 v3, v4, 1, s[0:1]
	ds_write_b32 v1, v2 offset:24
	ds_write_b8 v1, v3 offset:28
.LBB1673_187:
	s_or_b64 exec, exec, s[50:51]
	v_mov_b32_e32 v1, v79
	s_waitcnt lgkmcnt(0)
	s_barrier
	s_and_saveexec_b64 s[0:1], s[4:5]
	s_cbranch_execnz .LBB1673_265
; %bb.188:
	s_or_b64 exec, exec, s[0:1]
	s_and_saveexec_b64 s[50:51], s[4:5]
	s_cbranch_execnz .LBB1673_266
.LBB1673_189:
	s_or_b64 exec, exec, s[50:51]
	s_and_saveexec_b64 s[0:1], s[54:55]
	s_cbranch_execz .LBB1673_191
.LBB1673_190:
	v_mov_b32_e32 v5, 0
	ds_read_b32 v2, v5 offset:2096
	ds_read_u8 v3, v5 offset:2100
	s_add_u32 s4, s72, 0x400
	s_addc_u32 s5, s73, 0
	v_mov_b32_e32 v4, 2
	v_mov_b64_e32 v[6:7], s[4:5]
	s_waitcnt lgkmcnt(0)
	;;#ASMSTART
	global_store_dwordx4 v[6:7], v[2:5] off sc1	
s_waitcnt vmcnt(0)
	;;#ASMEND
.LBB1673_191:
	s_or_b64 exec, exec, s[0:1]
	v_mov_b32_e32 v80, v10
.LBB1673_192:
	s_add_u32 s0, s62, s58
	s_addc_u32 s1, s63, s59
	s_add_u32 s0, s0, s56
	s_addc_u32 s1, s1, s57
	s_and_b64 vcc, exec, s[2:3]
	s_cbranch_vccz .LBB1673_238
; %bb.193:
	s_movk_i32 s2, 0x5c
	v_mul_i32_i24_e32 v26, 0xffffffa8, v0
	s_waitcnt lgkmcnt(0)
	v_mul_u32_u24_e32 v1, 0x5c, v0
	v_mad_u32_u24 v2, v0, s2, v26
	s_barrier
	ds_write2_b32 v1, v80, v58 offset1:1
	ds_write2_b32 v1, v59, v60 offset0:2 offset1:3
	ds_write2_b32 v1, v61, v62 offset0:4 offset1:5
	;; [unrolled: 1-line block ×10, first 2 shown]
	ds_write_b32 v1, v79 offset:88
	s_waitcnt lgkmcnt(0)
	s_barrier
	ds_read2st64_b32 v[24:25], v2 offset0:4 offset1:8
	ds_read2st64_b32 v[22:23], v2 offset0:12 offset1:16
	;; [unrolled: 1-line block ×11, first 2 shown]
	s_add_i32 s33, s33, s74
	v_mov_b32_e32 v55, 0
	v_lshl_add_u64 v[4:5], s[0:1], 0, v[54:55]
	v_cmp_gt_u32_e32 vcc, s33, v0
	s_and_saveexec_b64 s[2:3], vcc
	s_cbranch_execz .LBB1673_195
; %bb.194:
	v_add_u32_e32 v1, v1, v26
	ds_read_b32 v1, v1
	s_waitcnt lgkmcnt(0)
	v_cvt_f32_u32_e32 v1, v1
	flat_store_dword v[4:5], v1
.LBB1673_195:
	s_or_b64 exec, exec, s[2:3]
	v_or_b32_e32 v1, 0x100, v0
	v_cmp_gt_u32_e32 vcc, s33, v1
	s_and_saveexec_b64 s[2:3], vcc
	s_cbranch_execz .LBB1673_197
; %bb.196:
	s_waitcnt lgkmcnt(0)
	v_cvt_f32_u32_e32 v1, v24
	flat_store_dword v[4:5], v1 offset:1024
.LBB1673_197:
	s_or_b64 exec, exec, s[2:3]
	v_or_b32_e32 v1, 0x200, v0
	v_cmp_gt_u32_e32 vcc, s33, v1
	s_and_saveexec_b64 s[2:3], vcc
	s_cbranch_execz .LBB1673_199
; %bb.198:
	s_waitcnt lgkmcnt(0)
	v_cvt_f32_u32_e32 v1, v25
	flat_store_dword v[4:5], v1 offset:2048
.LBB1673_199:
	;; [unrolled: 10-line block ×3, first 2 shown]
	s_or_b64 exec, exec, s[2:3]
	v_or_b32_e32 v1, 0x400, v0
	v_cmp_gt_u32_e32 vcc, s33, v1
	s_and_saveexec_b64 s[2:3], vcc
	s_cbranch_execz .LBB1673_203
; %bb.202:
	s_waitcnt lgkmcnt(0)
	v_cvt_f32_u32_e32 v1, v23
	v_add_co_u32_e32 v22, vcc, 0x1000, v4
	s_nop 1
	v_addc_co_u32_e32 v23, vcc, 0, v5, vcc
	flat_store_dword v[22:23], v1
.LBB1673_203:
	s_or_b64 exec, exec, s[2:3]
	v_or_b32_e32 v1, 0x500, v0
	v_cmp_gt_u32_e32 vcc, s33, v1
	s_and_saveexec_b64 s[2:3], vcc
	s_cbranch_execz .LBB1673_205
; %bb.204:
	s_waitcnt lgkmcnt(0)
	v_cvt_f32_u32_e32 v1, v20
	v_add_co_u32_e32 v22, vcc, 0x1000, v4
	s_nop 1
	v_addc_co_u32_e32 v23, vcc, 0, v5, vcc
	flat_store_dword v[22:23], v1 offset:1024
.LBB1673_205:
	s_or_b64 exec, exec, s[2:3]
	v_or_b32_e32 v1, 0x600, v0
	v_cmp_gt_u32_e32 vcc, s33, v1
	s_and_saveexec_b64 s[2:3], vcc
	s_cbranch_execz .LBB1673_207
; %bb.206:
	s_waitcnt lgkmcnt(0)
	v_cvt_f32_u32_e32 v1, v21
	v_add_co_u32_e32 v20, vcc, 0x1000, v4
	s_nop 1
	v_addc_co_u32_e32 v21, vcc, 0, v5, vcc
	flat_store_dword v[20:21], v1 offset:2048
.LBB1673_207:
	s_or_b64 exec, exec, s[2:3]
	v_or_b32_e32 v1, 0x700, v0
	v_cmp_gt_u32_e32 vcc, s33, v1
	s_and_saveexec_b64 s[2:3], vcc
	s_cbranch_execz .LBB1673_209
; %bb.208:
	s_waitcnt lgkmcnt(0)
	v_cvt_f32_u32_e32 v1, v18
	v_add_co_u32_e32 v20, vcc, 0x1000, v4
	s_nop 1
	v_addc_co_u32_e32 v21, vcc, 0, v5, vcc
	flat_store_dword v[20:21], v1 offset:3072
.LBB1673_209:
	s_or_b64 exec, exec, s[2:3]
	v_or_b32_e32 v1, 0x800, v0
	v_cmp_gt_u32_e32 vcc, s33, v1
	s_and_saveexec_b64 s[2:3], vcc
	s_cbranch_execz .LBB1673_211
; %bb.210:
	s_waitcnt lgkmcnt(0)
	v_cvt_f32_u32_e32 v1, v19
	v_add_co_u32_e32 v18, vcc, 0x2000, v4
	s_nop 1
	v_addc_co_u32_e32 v19, vcc, 0, v5, vcc
	flat_store_dword v[18:19], v1
.LBB1673_211:
	s_or_b64 exec, exec, s[2:3]
	v_or_b32_e32 v1, 0x900, v0
	v_cmp_gt_u32_e32 vcc, s33, v1
	s_and_saveexec_b64 s[2:3], vcc
	s_cbranch_execz .LBB1673_213
; %bb.212:
	s_waitcnt lgkmcnt(0)
	v_cvt_f32_u32_e32 v1, v16
	v_add_co_u32_e32 v18, vcc, 0x2000, v4
	s_nop 1
	v_addc_co_u32_e32 v19, vcc, 0, v5, vcc
	flat_store_dword v[18:19], v1 offset:1024
.LBB1673_213:
	s_or_b64 exec, exec, s[2:3]
	v_or_b32_e32 v1, 0xa00, v0
	v_cmp_gt_u32_e32 vcc, s33, v1
	s_and_saveexec_b64 s[2:3], vcc
	s_cbranch_execz .LBB1673_215
; %bb.214:
	s_waitcnt lgkmcnt(0)
	v_cvt_f32_u32_e32 v1, v17
	v_add_co_u32_e32 v16, vcc, 0x2000, v4
	s_nop 1
	v_addc_co_u32_e32 v17, vcc, 0, v5, vcc
	flat_store_dword v[16:17], v1 offset:2048
.LBB1673_215:
	s_or_b64 exec, exec, s[2:3]
	v_or_b32_e32 v1, 0xb00, v0
	v_cmp_gt_u32_e32 vcc, s33, v1
	s_and_saveexec_b64 s[2:3], vcc
	s_cbranch_execz .LBB1673_217
; %bb.216:
	s_waitcnt lgkmcnt(0)
	v_cvt_f32_u32_e32 v1, v14
	v_add_co_u32_e32 v16, vcc, 0x2000, v4
	s_nop 1
	v_addc_co_u32_e32 v17, vcc, 0, v5, vcc
	flat_store_dword v[16:17], v1 offset:3072
.LBB1673_217:
	;; [unrolled: 52-line block ×4, first 2 shown]
	s_or_b64 exec, exec, s[2:3]
	v_or_b32_e32 v1, 0x1400, v0
	v_cmp_gt_u32_e32 vcc, s33, v1
	s_and_saveexec_b64 s[2:3], vcc
	s_cbranch_execz .LBB1673_235
; %bb.234:
	s_waitcnt lgkmcnt(0)
	v_cvt_f32_u32_e32 v1, v7
	v_add_co_u32_e32 v6, vcc, 0x5000, v4
	s_nop 1
	v_addc_co_u32_e32 v7, vcc, 0, v5, vcc
	flat_store_dword v[6:7], v1
.LBB1673_235:
	s_or_b64 exec, exec, s[2:3]
	v_or_b32_e32 v1, 0x1500, v0
	v_cmp_gt_u32_e32 vcc, s33, v1
	s_and_saveexec_b64 s[2:3], vcc
	s_cbranch_execz .LBB1673_237
; %bb.236:
	s_waitcnt lgkmcnt(0)
	v_cvt_f32_u32_e32 v1, v2
	v_add_co_u32_e32 v4, vcc, 0x5000, v4
	s_nop 1
	v_addc_co_u32_e32 v5, vcc, 0, v5, vcc
	flat_store_dword v[4:5], v1 offset:1024
.LBB1673_237:
	s_or_b64 exec, exec, s[2:3]
	s_waitcnt lgkmcnt(0)
	v_or_b32_e32 v2, 0x1600, v0
	v_mov_b32_e32 v1, v55
	v_cmp_gt_u32_e64 s[2:3], s33, v2
	s_branch .LBB1673_240
.LBB1673_238:
	s_mov_b64 s[2:3], 0
                                        ; implicit-def: $vgpr3
	s_cbranch_execz .LBB1673_240
; %bb.239:
	s_movk_i32 s4, 0x5c
	v_mul_i32_i24_e32 v2, 0xffffffa8, v0
	s_waitcnt lgkmcnt(0)
	v_mul_u32_u24_e32 v1, 0x5c, v0
	v_mad_u32_u24 v2, v0, s4, v2
	s_barrier
	ds_write2_b32 v1, v80, v58 offset1:1
	ds_write2_b32 v1, v59, v60 offset0:2 offset1:3
	ds_write2_b32 v1, v61, v62 offset0:4 offset1:5
	;; [unrolled: 1-line block ×10, first 2 shown]
	ds_write_b32 v1, v79 offset:88
	s_waitcnt lgkmcnt(0)
	s_barrier
	ds_read2st64_b32 v[4:5], v2 offset1:4
	ds_read2st64_b32 v[6:7], v2 offset0:8 offset1:12
	ds_read2st64_b32 v[8:9], v2 offset0:16 offset1:20
	;; [unrolled: 1-line block ×10, first 2 shown]
	ds_read_b32 v3, v2 offset:22528
	s_waitcnt lgkmcnt(0)
	v_cvt_f32_u32_e32 v2, v4
	v_mov_b32_e32 v1, 0
	v_cvt_f32_u32_e32 v4, v5
	v_mov_b32_e32 v55, v1
	v_cvt_f32_u32_e32 v5, v6
	v_lshl_add_u64 v[26:27], s[0:1], 0, v[54:55]
	v_cvt_f32_u32_e32 v6, v7
	flat_store_dword v[26:27], v2
	flat_store_dword v[26:27], v4 offset:1024
	flat_store_dword v[26:27], v5 offset:2048
	flat_store_dword v[26:27], v6 offset:3072
	v_cvt_f32_u32_e32 v2, v8
	s_movk_i32 s4, 0x1000
	v_cvt_f32_u32_e32 v6, v9
	v_add_co_u32_e32 v4, vcc, s4, v26
	v_cvt_f32_u32_e32 v7, v10
	s_nop 0
	v_addc_co_u32_e32 v5, vcc, 0, v27, vcc
	v_cvt_f32_u32_e32 v8, v11
	flat_store_dword v[4:5], v2
	flat_store_dword v[4:5], v6 offset:1024
	flat_store_dword v[4:5], v7 offset:2048
	flat_store_dword v[4:5], v8 offset:3072
	v_cvt_f32_u32_e32 v2, v12
	s_movk_i32 s4, 0x2000
	v_cvt_f32_u32_e32 v6, v13
	v_add_co_u32_e32 v4, vcc, s4, v26
	v_cvt_f32_u32_e32 v7, v14
	s_nop 0
	v_addc_co_u32_e32 v5, vcc, 0, v27, vcc
	;; [unrolled: 12-line block ×4, first 2 shown]
	v_cvt_f32_u32_e32 v8, v23
	flat_store_dword v[4:5], v2
	flat_store_dword v[4:5], v6 offset:1024
	flat_store_dword v[4:5], v7 offset:2048
	;; [unrolled: 1-line block ×3, first 2 shown]
	v_cvt_f32_u32_e32 v2, v24
	v_cvt_f32_u32_e32 v6, v25
	v_add_co_u32_e32 v4, vcc, 0x5000, v26
	s_or_b64 s[2:3], s[2:3], exec
	s_nop 0
	v_addc_co_u32_e32 v5, vcc, 0, v27, vcc
	flat_store_dword v[4:5], v2
	flat_store_dword v[4:5], v6 offset:1024
.LBB1673_240:
	s_and_saveexec_b64 s[4:5], s[2:3]
	s_cbranch_execnz .LBB1673_242
; %bb.241:
	s_endpgm
.LBB1673_242:
	v_cvt_f32_u32_e32 v2, v3
	s_waitcnt lgkmcnt(0)
	v_lshl_add_u64 v[0:1], v[0:1], 2, s[0:1]
	v_add_co_u32_e32 v0, vcc, 0x5000, v0
	s_nop 1
	v_addc_co_u32_e32 v1, vcc, 0, v1, vcc
	flat_store_dword v[0:1], v2 offset:2048
	s_endpgm
.LBB1673_243:
	v_lshl_add_u64 v[48:49], s[60:61], 0, v[44:45]
	flat_load_dword v48, v[48:49]
	s_or_b64 exec, exec, s[0:1]
                                        ; implicit-def: $vgpr49
	s_and_saveexec_b64 s[0:1], s[8:9]
	s_cbranch_execz .LBB1673_59
.LBB1673_244:
	v_mov_b32_e32 v45, 0
	v_lshl_add_u64 v[50:51], s[60:61], 0, v[44:45]
	flat_load_dword v49, v[50:51] offset:1024
	s_or_b64 exec, exec, s[0:1]
                                        ; implicit-def: $vgpr50
	s_and_saveexec_b64 s[0:1], s[10:11]
	s_cbranch_execz .LBB1673_60
.LBB1673_245:
	v_mov_b32_e32 v45, 0
	v_lshl_add_u64 v[50:51], s[60:61], 0, v[44:45]
	flat_load_dword v50, v[50:51] offset:2048
	s_or_b64 exec, exec, s[0:1]
                                        ; implicit-def: $vgpr45
	s_and_saveexec_b64 s[0:1], s[12:13]
	s_cbranch_execz .LBB1673_61
.LBB1673_246:
	v_mov_b32_e32 v45, 0
	v_lshl_add_u64 v[52:53], s[60:61], 0, v[44:45]
	flat_load_dword v45, v[52:53] offset:3072
	s_or_b64 exec, exec, s[0:1]
                                        ; implicit-def: $vgpr3
	s_and_saveexec_b64 s[0:1], s[14:15]
	s_cbranch_execz .LBB1673_62
.LBB1673_247:
	v_mov_b32_e32 v3, 0
	v_lshl_add_u64 v[2:3], s[60:61], 0, v[2:3]
	flat_load_dword v3, v[2:3]
	s_or_b64 exec, exec, s[0:1]
                                        ; implicit-def: $vgpr2
	s_and_saveexec_b64 s[0:1], s[16:17]
	s_cbranch_execz .LBB1673_63
.LBB1673_248:
	v_mov_b32_e32 v11, 0
	v_lshl_add_u64 v[10:11], s[60:61], 0, v[10:11]
	flat_load_dword v2, v[10:11]
	s_or_b64 exec, exec, s[0:1]
                                        ; implicit-def: $vgpr10
	s_and_saveexec_b64 s[0:1], s[18:19]
	s_cbranch_execz .LBB1673_64
.LBB1673_249:
	v_mov_b32_e32 v13, 0
	v_lshl_add_u64 v[10:11], s[60:61], 0, v[12:13]
	flat_load_dword v10, v[10:11]
	s_or_b64 exec, exec, s[0:1]
                                        ; implicit-def: $vgpr11
	s_and_saveexec_b64 s[0:1], s[20:21]
	s_cbranch_execz .LBB1673_65
.LBB1673_250:
	v_mov_b32_e32 v15, 0
	v_lshl_add_u64 v[12:13], s[60:61], 0, v[14:15]
	flat_load_dword v11, v[12:13]
	s_or_b64 exec, exec, s[0:1]
                                        ; implicit-def: $vgpr12
	s_and_saveexec_b64 s[0:1], s[22:23]
	s_cbranch_execz .LBB1673_66
.LBB1673_251:
	v_mov_b32_e32 v17, 0
	v_lshl_add_u64 v[12:13], s[60:61], 0, v[16:17]
	flat_load_dword v12, v[12:13]
	s_or_b64 exec, exec, s[0:1]
                                        ; implicit-def: $vgpr13
	s_and_saveexec_b64 s[0:1], s[24:25]
	s_cbranch_execz .LBB1673_67
.LBB1673_252:
	v_mov_b32_e32 v19, 0
	v_lshl_add_u64 v[14:15], s[60:61], 0, v[18:19]
	flat_load_dword v13, v[14:15]
	s_or_b64 exec, exec, s[0:1]
                                        ; implicit-def: $vgpr14
	s_and_saveexec_b64 s[0:1], s[26:27]
	s_cbranch_execz .LBB1673_68
.LBB1673_253:
	v_mov_b32_e32 v21, 0
	v_lshl_add_u64 v[14:15], s[60:61], 0, v[20:21]
	flat_load_dword v14, v[14:15]
	s_or_b64 exec, exec, s[0:1]
                                        ; implicit-def: $vgpr15
	s_and_saveexec_b64 s[0:1], s[28:29]
	s_cbranch_execz .LBB1673_69
.LBB1673_254:
	v_mov_b32_e32 v23, 0
	v_lshl_add_u64 v[16:17], s[60:61], 0, v[22:23]
	flat_load_dword v15, v[16:17]
	s_or_b64 exec, exec, s[0:1]
                                        ; implicit-def: $vgpr16
	s_and_saveexec_b64 s[0:1], s[30:31]
	s_cbranch_execz .LBB1673_70
.LBB1673_255:
	v_mov_b32_e32 v25, 0
	v_lshl_add_u64 v[16:17], s[60:61], 0, v[24:25]
	flat_load_dword v16, v[16:17]
	s_or_b64 exec, exec, s[0:1]
                                        ; implicit-def: $vgpr17
	s_and_saveexec_b64 s[0:1], s[34:35]
	s_cbranch_execz .LBB1673_71
.LBB1673_256:
	v_mov_b32_e32 v27, 0
	v_lshl_add_u64 v[18:19], s[60:61], 0, v[26:27]
	flat_load_dword v17, v[18:19]
	s_or_b64 exec, exec, s[0:1]
                                        ; implicit-def: $vgpr18
	s_and_saveexec_b64 s[0:1], s[36:37]
	s_cbranch_execz .LBB1673_72
.LBB1673_257:
	v_mov_b32_e32 v29, 0
	v_lshl_add_u64 v[18:19], s[60:61], 0, v[28:29]
	flat_load_dword v18, v[18:19]
	s_or_b64 exec, exec, s[0:1]
                                        ; implicit-def: $vgpr19
	s_and_saveexec_b64 s[0:1], s[38:39]
	s_cbranch_execz .LBB1673_73
.LBB1673_258:
	v_mov_b32_e32 v31, 0
	v_lshl_add_u64 v[20:21], s[60:61], 0, v[30:31]
	flat_load_dword v19, v[20:21]
	s_or_b64 exec, exec, s[0:1]
                                        ; implicit-def: $vgpr20
	s_and_saveexec_b64 s[0:1], s[40:41]
	s_cbranch_execz .LBB1673_74
.LBB1673_259:
	v_mov_b32_e32 v33, 0
	v_lshl_add_u64 v[20:21], s[60:61], 0, v[32:33]
	flat_load_dword v20, v[20:21]
	s_or_b64 exec, exec, s[0:1]
                                        ; implicit-def: $vgpr21
	s_and_saveexec_b64 s[0:1], s[42:43]
	s_cbranch_execz .LBB1673_75
.LBB1673_260:
	v_mov_b32_e32 v35, 0
	v_lshl_add_u64 v[22:23], s[60:61], 0, v[34:35]
	flat_load_dword v21, v[22:23]
	s_or_b64 exec, exec, s[0:1]
                                        ; implicit-def: $vgpr22
	s_and_saveexec_b64 s[0:1], s[44:45]
	s_cbranch_execz .LBB1673_76
.LBB1673_261:
	v_mov_b32_e32 v37, 0
	v_lshl_add_u64 v[22:23], s[60:61], 0, v[36:37]
	flat_load_dword v22, v[22:23]
	s_or_b64 exec, exec, s[0:1]
                                        ; implicit-def: $vgpr23
	s_and_saveexec_b64 s[0:1], s[46:47]
	s_cbranch_execz .LBB1673_77
.LBB1673_262:
	v_mov_b32_e32 v39, 0
	v_lshl_add_u64 v[24:25], s[60:61], 0, v[38:39]
	flat_load_dword v23, v[24:25]
	s_or_b64 exec, exec, s[0:1]
                                        ; implicit-def: $vgpr24
	s_and_saveexec_b64 s[0:1], s[48:49]
	s_cbranch_execz .LBB1673_78
.LBB1673_263:
	v_mov_b32_e32 v41, 0
	v_lshl_add_u64 v[24:25], s[60:61], 0, v[40:41]
	flat_load_dword v24, v[24:25]
	s_or_b64 exec, exec, s[0:1]
                                        ; implicit-def: $vgpr25
	s_and_saveexec_b64 s[0:1], s[50:51]
	s_cbranch_execz .LBB1673_79
.LBB1673_264:
	v_mov_b32_e32 v43, 0
	v_lshl_add_u64 v[26:27], s[60:61], 0, v[42:43]
	flat_load_dword v25, v[26:27]
	s_or_b64 exec, exec, s[0:1]
                                        ; implicit-def: $vgpr26
	s_and_saveexec_b64 s[0:1], s[52:53]
	s_cbranch_execnz .LBB1673_80
	s_branch .LBB1673_81
.LBB1673_265:
	v_add_u32_e32 v1, -1, v0
	v_lshrrev_b32_e32 v2, 5, v1
	v_add_lshl_u32 v1, v2, v1, 3
	ds_read_b32 v1, v1
	s_or_b64 exec, exec, s[0:1]
	s_and_saveexec_b64 s[50:51], s[4:5]
	s_cbranch_execz .LBB1673_189
.LBB1673_266:
	v_and_b32_e32 v3, 0xff, v11
	v_mov_b32_e32 v2, 0
	v_cmp_eq_u64_e64 s[0:1], 0, v[2:3]
	;;#ASMSTART
	;;#ASMEND
	s_waitcnt lgkmcnt(0)
	s_nop 0
	v_cndmask_b32_e64 v1, 0, v1, s[0:1]
	v_add_u32_e32 v10, v1, v10
	v_cndmask_b32_e32 v1, 0, v10, vcc
	v_add_u32_e32 v58, v1, v12
	v_cndmask_b32_e64 v1, 0, v58, s[6:7]
	v_add_u32_e32 v59, v1, v14
	v_cndmask_b32_e64 v1, 0, v59, s[8:9]
	;; [unrolled: 2-line block ×21, first 2 shown]
	v_add_u32_e32 v79, v1, v56
	s_or_b64 exec, exec, s[50:51]
	s_and_saveexec_b64 s[0:1], s[54:55]
	s_cbranch_execnz .LBB1673_190
	s_branch .LBB1673_191
.LBB1673_267:
                                        ; implicit-def: $sgpr0_sgpr1
	s_branch .LBB1673_54
.LBB1673_268:
                                        ; implicit-def: $sgpr0_sgpr1
	s_branch .LBB1673_130
	.section	.rodata,"a",@progbits
	.p2align	6, 0x0
	.amdhsa_kernel _ZN7rocprim17ROCPRIM_400000_NS6detail17trampoline_kernelINS0_14default_configENS1_27scan_by_key_config_selectorIijEEZZNS1_16scan_by_key_implILNS1_25lookback_scan_determinismE0ELb0ES3_N6thrust23THRUST_200600_302600_NS6detail15normal_iteratorINS9_10device_ptrIiEEEENSB_INSC_IjEEEENSB_INSC_IfEEEEjNS9_4plusIvEENS9_8equal_toIvEEjEE10hipError_tPvRmT2_T3_T4_T5_mT6_T7_P12ihipStream_tbENKUlT_T0_E_clISt17integral_constantIbLb0EES12_IbLb1EEEEDaSY_SZ_EUlSY_E_NS1_11comp_targetILNS1_3genE5ELNS1_11target_archE942ELNS1_3gpuE9ELNS1_3repE0EEENS1_30default_config_static_selectorELNS0_4arch9wavefront6targetE1EEEvT1_
		.amdhsa_group_segment_fixed_size 25600
		.amdhsa_private_segment_fixed_size 0
		.amdhsa_kernarg_size 112
		.amdhsa_user_sgpr_count 2
		.amdhsa_user_sgpr_dispatch_ptr 0
		.amdhsa_user_sgpr_queue_ptr 0
		.amdhsa_user_sgpr_kernarg_segment_ptr 1
		.amdhsa_user_sgpr_dispatch_id 0
		.amdhsa_user_sgpr_kernarg_preload_length 0
		.amdhsa_user_sgpr_kernarg_preload_offset 0
		.amdhsa_user_sgpr_private_segment_size 0
		.amdhsa_uses_dynamic_stack 0
		.amdhsa_enable_private_segment 0
		.amdhsa_system_sgpr_workgroup_id_x 1
		.amdhsa_system_sgpr_workgroup_id_y 0
		.amdhsa_system_sgpr_workgroup_id_z 0
		.amdhsa_system_sgpr_workgroup_info 0
		.amdhsa_system_vgpr_workitem_id 0
		.amdhsa_next_free_vgpr 81
		.amdhsa_next_free_sgpr 85
		.amdhsa_accum_offset 84
		.amdhsa_reserve_vcc 1
		.amdhsa_float_round_mode_32 0
		.amdhsa_float_round_mode_16_64 0
		.amdhsa_float_denorm_mode_32 3
		.amdhsa_float_denorm_mode_16_64 3
		.amdhsa_dx10_clamp 1
		.amdhsa_ieee_mode 1
		.amdhsa_fp16_overflow 0
		.amdhsa_tg_split 0
		.amdhsa_exception_fp_ieee_invalid_op 0
		.amdhsa_exception_fp_denorm_src 0
		.amdhsa_exception_fp_ieee_div_zero 0
		.amdhsa_exception_fp_ieee_overflow 0
		.amdhsa_exception_fp_ieee_underflow 0
		.amdhsa_exception_fp_ieee_inexact 0
		.amdhsa_exception_int_div_zero 0
	.end_amdhsa_kernel
	.section	.text._ZN7rocprim17ROCPRIM_400000_NS6detail17trampoline_kernelINS0_14default_configENS1_27scan_by_key_config_selectorIijEEZZNS1_16scan_by_key_implILNS1_25lookback_scan_determinismE0ELb0ES3_N6thrust23THRUST_200600_302600_NS6detail15normal_iteratorINS9_10device_ptrIiEEEENSB_INSC_IjEEEENSB_INSC_IfEEEEjNS9_4plusIvEENS9_8equal_toIvEEjEE10hipError_tPvRmT2_T3_T4_T5_mT6_T7_P12ihipStream_tbENKUlT_T0_E_clISt17integral_constantIbLb0EES12_IbLb1EEEEDaSY_SZ_EUlSY_E_NS1_11comp_targetILNS1_3genE5ELNS1_11target_archE942ELNS1_3gpuE9ELNS1_3repE0EEENS1_30default_config_static_selectorELNS0_4arch9wavefront6targetE1EEEvT1_,"axG",@progbits,_ZN7rocprim17ROCPRIM_400000_NS6detail17trampoline_kernelINS0_14default_configENS1_27scan_by_key_config_selectorIijEEZZNS1_16scan_by_key_implILNS1_25lookback_scan_determinismE0ELb0ES3_N6thrust23THRUST_200600_302600_NS6detail15normal_iteratorINS9_10device_ptrIiEEEENSB_INSC_IjEEEENSB_INSC_IfEEEEjNS9_4plusIvEENS9_8equal_toIvEEjEE10hipError_tPvRmT2_T3_T4_T5_mT6_T7_P12ihipStream_tbENKUlT_T0_E_clISt17integral_constantIbLb0EES12_IbLb1EEEEDaSY_SZ_EUlSY_E_NS1_11comp_targetILNS1_3genE5ELNS1_11target_archE942ELNS1_3gpuE9ELNS1_3repE0EEENS1_30default_config_static_selectorELNS0_4arch9wavefront6targetE1EEEvT1_,comdat
.Lfunc_end1673:
	.size	_ZN7rocprim17ROCPRIM_400000_NS6detail17trampoline_kernelINS0_14default_configENS1_27scan_by_key_config_selectorIijEEZZNS1_16scan_by_key_implILNS1_25lookback_scan_determinismE0ELb0ES3_N6thrust23THRUST_200600_302600_NS6detail15normal_iteratorINS9_10device_ptrIiEEEENSB_INSC_IjEEEENSB_INSC_IfEEEEjNS9_4plusIvEENS9_8equal_toIvEEjEE10hipError_tPvRmT2_T3_T4_T5_mT6_T7_P12ihipStream_tbENKUlT_T0_E_clISt17integral_constantIbLb0EES12_IbLb1EEEEDaSY_SZ_EUlSY_E_NS1_11comp_targetILNS1_3genE5ELNS1_11target_archE942ELNS1_3gpuE9ELNS1_3repE0EEENS1_30default_config_static_selectorELNS0_4arch9wavefront6targetE1EEEvT1_, .Lfunc_end1673-_ZN7rocprim17ROCPRIM_400000_NS6detail17trampoline_kernelINS0_14default_configENS1_27scan_by_key_config_selectorIijEEZZNS1_16scan_by_key_implILNS1_25lookback_scan_determinismE0ELb0ES3_N6thrust23THRUST_200600_302600_NS6detail15normal_iteratorINS9_10device_ptrIiEEEENSB_INSC_IjEEEENSB_INSC_IfEEEEjNS9_4plusIvEENS9_8equal_toIvEEjEE10hipError_tPvRmT2_T3_T4_T5_mT6_T7_P12ihipStream_tbENKUlT_T0_E_clISt17integral_constantIbLb0EES12_IbLb1EEEEDaSY_SZ_EUlSY_E_NS1_11comp_targetILNS1_3genE5ELNS1_11target_archE942ELNS1_3gpuE9ELNS1_3repE0EEENS1_30default_config_static_selectorELNS0_4arch9wavefront6targetE1EEEvT1_
                                        ; -- End function
	.section	.AMDGPU.csdata,"",@progbits
; Kernel info:
; codeLenInByte = 15696
; NumSgprs: 91
; NumVgprs: 81
; NumAgprs: 0
; TotalNumVgprs: 81
; ScratchSize: 0
; MemoryBound: 0
; FloatMode: 240
; IeeeMode: 1
; LDSByteSize: 25600 bytes/workgroup (compile time only)
; SGPRBlocks: 11
; VGPRBlocks: 10
; NumSGPRsForWavesPerEU: 91
; NumVGPRsForWavesPerEU: 81
; AccumOffset: 84
; Occupancy: 2
; WaveLimiterHint : 1
; COMPUTE_PGM_RSRC2:SCRATCH_EN: 0
; COMPUTE_PGM_RSRC2:USER_SGPR: 2
; COMPUTE_PGM_RSRC2:TRAP_HANDLER: 0
; COMPUTE_PGM_RSRC2:TGID_X_EN: 1
; COMPUTE_PGM_RSRC2:TGID_Y_EN: 0
; COMPUTE_PGM_RSRC2:TGID_Z_EN: 0
; COMPUTE_PGM_RSRC2:TIDIG_COMP_CNT: 0
; COMPUTE_PGM_RSRC3_GFX90A:ACCUM_OFFSET: 20
; COMPUTE_PGM_RSRC3_GFX90A:TG_SPLIT: 0
	.section	.text._ZN7rocprim17ROCPRIM_400000_NS6detail17trampoline_kernelINS0_14default_configENS1_27scan_by_key_config_selectorIijEEZZNS1_16scan_by_key_implILNS1_25lookback_scan_determinismE0ELb0ES3_N6thrust23THRUST_200600_302600_NS6detail15normal_iteratorINS9_10device_ptrIiEEEENSB_INSC_IjEEEENSB_INSC_IfEEEEjNS9_4plusIvEENS9_8equal_toIvEEjEE10hipError_tPvRmT2_T3_T4_T5_mT6_T7_P12ihipStream_tbENKUlT_T0_E_clISt17integral_constantIbLb0EES12_IbLb1EEEEDaSY_SZ_EUlSY_E_NS1_11comp_targetILNS1_3genE4ELNS1_11target_archE910ELNS1_3gpuE8ELNS1_3repE0EEENS1_30default_config_static_selectorELNS0_4arch9wavefront6targetE1EEEvT1_,"axG",@progbits,_ZN7rocprim17ROCPRIM_400000_NS6detail17trampoline_kernelINS0_14default_configENS1_27scan_by_key_config_selectorIijEEZZNS1_16scan_by_key_implILNS1_25lookback_scan_determinismE0ELb0ES3_N6thrust23THRUST_200600_302600_NS6detail15normal_iteratorINS9_10device_ptrIiEEEENSB_INSC_IjEEEENSB_INSC_IfEEEEjNS9_4plusIvEENS9_8equal_toIvEEjEE10hipError_tPvRmT2_T3_T4_T5_mT6_T7_P12ihipStream_tbENKUlT_T0_E_clISt17integral_constantIbLb0EES12_IbLb1EEEEDaSY_SZ_EUlSY_E_NS1_11comp_targetILNS1_3genE4ELNS1_11target_archE910ELNS1_3gpuE8ELNS1_3repE0EEENS1_30default_config_static_selectorELNS0_4arch9wavefront6targetE1EEEvT1_,comdat
	.protected	_ZN7rocprim17ROCPRIM_400000_NS6detail17trampoline_kernelINS0_14default_configENS1_27scan_by_key_config_selectorIijEEZZNS1_16scan_by_key_implILNS1_25lookback_scan_determinismE0ELb0ES3_N6thrust23THRUST_200600_302600_NS6detail15normal_iteratorINS9_10device_ptrIiEEEENSB_INSC_IjEEEENSB_INSC_IfEEEEjNS9_4plusIvEENS9_8equal_toIvEEjEE10hipError_tPvRmT2_T3_T4_T5_mT6_T7_P12ihipStream_tbENKUlT_T0_E_clISt17integral_constantIbLb0EES12_IbLb1EEEEDaSY_SZ_EUlSY_E_NS1_11comp_targetILNS1_3genE4ELNS1_11target_archE910ELNS1_3gpuE8ELNS1_3repE0EEENS1_30default_config_static_selectorELNS0_4arch9wavefront6targetE1EEEvT1_ ; -- Begin function _ZN7rocprim17ROCPRIM_400000_NS6detail17trampoline_kernelINS0_14default_configENS1_27scan_by_key_config_selectorIijEEZZNS1_16scan_by_key_implILNS1_25lookback_scan_determinismE0ELb0ES3_N6thrust23THRUST_200600_302600_NS6detail15normal_iteratorINS9_10device_ptrIiEEEENSB_INSC_IjEEEENSB_INSC_IfEEEEjNS9_4plusIvEENS9_8equal_toIvEEjEE10hipError_tPvRmT2_T3_T4_T5_mT6_T7_P12ihipStream_tbENKUlT_T0_E_clISt17integral_constantIbLb0EES12_IbLb1EEEEDaSY_SZ_EUlSY_E_NS1_11comp_targetILNS1_3genE4ELNS1_11target_archE910ELNS1_3gpuE8ELNS1_3repE0EEENS1_30default_config_static_selectorELNS0_4arch9wavefront6targetE1EEEvT1_
	.globl	_ZN7rocprim17ROCPRIM_400000_NS6detail17trampoline_kernelINS0_14default_configENS1_27scan_by_key_config_selectorIijEEZZNS1_16scan_by_key_implILNS1_25lookback_scan_determinismE0ELb0ES3_N6thrust23THRUST_200600_302600_NS6detail15normal_iteratorINS9_10device_ptrIiEEEENSB_INSC_IjEEEENSB_INSC_IfEEEEjNS9_4plusIvEENS9_8equal_toIvEEjEE10hipError_tPvRmT2_T3_T4_T5_mT6_T7_P12ihipStream_tbENKUlT_T0_E_clISt17integral_constantIbLb0EES12_IbLb1EEEEDaSY_SZ_EUlSY_E_NS1_11comp_targetILNS1_3genE4ELNS1_11target_archE910ELNS1_3gpuE8ELNS1_3repE0EEENS1_30default_config_static_selectorELNS0_4arch9wavefront6targetE1EEEvT1_
	.p2align	8
	.type	_ZN7rocprim17ROCPRIM_400000_NS6detail17trampoline_kernelINS0_14default_configENS1_27scan_by_key_config_selectorIijEEZZNS1_16scan_by_key_implILNS1_25lookback_scan_determinismE0ELb0ES3_N6thrust23THRUST_200600_302600_NS6detail15normal_iteratorINS9_10device_ptrIiEEEENSB_INSC_IjEEEENSB_INSC_IfEEEEjNS9_4plusIvEENS9_8equal_toIvEEjEE10hipError_tPvRmT2_T3_T4_T5_mT6_T7_P12ihipStream_tbENKUlT_T0_E_clISt17integral_constantIbLb0EES12_IbLb1EEEEDaSY_SZ_EUlSY_E_NS1_11comp_targetILNS1_3genE4ELNS1_11target_archE910ELNS1_3gpuE8ELNS1_3repE0EEENS1_30default_config_static_selectorELNS0_4arch9wavefront6targetE1EEEvT1_,@function
_ZN7rocprim17ROCPRIM_400000_NS6detail17trampoline_kernelINS0_14default_configENS1_27scan_by_key_config_selectorIijEEZZNS1_16scan_by_key_implILNS1_25lookback_scan_determinismE0ELb0ES3_N6thrust23THRUST_200600_302600_NS6detail15normal_iteratorINS9_10device_ptrIiEEEENSB_INSC_IjEEEENSB_INSC_IfEEEEjNS9_4plusIvEENS9_8equal_toIvEEjEE10hipError_tPvRmT2_T3_T4_T5_mT6_T7_P12ihipStream_tbENKUlT_T0_E_clISt17integral_constantIbLb0EES12_IbLb1EEEEDaSY_SZ_EUlSY_E_NS1_11comp_targetILNS1_3genE4ELNS1_11target_archE910ELNS1_3gpuE8ELNS1_3repE0EEENS1_30default_config_static_selectorELNS0_4arch9wavefront6targetE1EEEvT1_: ; @_ZN7rocprim17ROCPRIM_400000_NS6detail17trampoline_kernelINS0_14default_configENS1_27scan_by_key_config_selectorIijEEZZNS1_16scan_by_key_implILNS1_25lookback_scan_determinismE0ELb0ES3_N6thrust23THRUST_200600_302600_NS6detail15normal_iteratorINS9_10device_ptrIiEEEENSB_INSC_IjEEEENSB_INSC_IfEEEEjNS9_4plusIvEENS9_8equal_toIvEEjEE10hipError_tPvRmT2_T3_T4_T5_mT6_T7_P12ihipStream_tbENKUlT_T0_E_clISt17integral_constantIbLb0EES12_IbLb1EEEEDaSY_SZ_EUlSY_E_NS1_11comp_targetILNS1_3genE4ELNS1_11target_archE910ELNS1_3gpuE8ELNS1_3repE0EEENS1_30default_config_static_selectorELNS0_4arch9wavefront6targetE1EEEvT1_
; %bb.0:
	.section	.rodata,"a",@progbits
	.p2align	6, 0x0
	.amdhsa_kernel _ZN7rocprim17ROCPRIM_400000_NS6detail17trampoline_kernelINS0_14default_configENS1_27scan_by_key_config_selectorIijEEZZNS1_16scan_by_key_implILNS1_25lookback_scan_determinismE0ELb0ES3_N6thrust23THRUST_200600_302600_NS6detail15normal_iteratorINS9_10device_ptrIiEEEENSB_INSC_IjEEEENSB_INSC_IfEEEEjNS9_4plusIvEENS9_8equal_toIvEEjEE10hipError_tPvRmT2_T3_T4_T5_mT6_T7_P12ihipStream_tbENKUlT_T0_E_clISt17integral_constantIbLb0EES12_IbLb1EEEEDaSY_SZ_EUlSY_E_NS1_11comp_targetILNS1_3genE4ELNS1_11target_archE910ELNS1_3gpuE8ELNS1_3repE0EEENS1_30default_config_static_selectorELNS0_4arch9wavefront6targetE1EEEvT1_
		.amdhsa_group_segment_fixed_size 0
		.amdhsa_private_segment_fixed_size 0
		.amdhsa_kernarg_size 112
		.amdhsa_user_sgpr_count 2
		.amdhsa_user_sgpr_dispatch_ptr 0
		.amdhsa_user_sgpr_queue_ptr 0
		.amdhsa_user_sgpr_kernarg_segment_ptr 1
		.amdhsa_user_sgpr_dispatch_id 0
		.amdhsa_user_sgpr_kernarg_preload_length 0
		.amdhsa_user_sgpr_kernarg_preload_offset 0
		.amdhsa_user_sgpr_private_segment_size 0
		.amdhsa_uses_dynamic_stack 0
		.amdhsa_enable_private_segment 0
		.amdhsa_system_sgpr_workgroup_id_x 1
		.amdhsa_system_sgpr_workgroup_id_y 0
		.amdhsa_system_sgpr_workgroup_id_z 0
		.amdhsa_system_sgpr_workgroup_info 0
		.amdhsa_system_vgpr_workitem_id 0
		.amdhsa_next_free_vgpr 1
		.amdhsa_next_free_sgpr 0
		.amdhsa_accum_offset 4
		.amdhsa_reserve_vcc 0
		.amdhsa_float_round_mode_32 0
		.amdhsa_float_round_mode_16_64 0
		.amdhsa_float_denorm_mode_32 3
		.amdhsa_float_denorm_mode_16_64 3
		.amdhsa_dx10_clamp 1
		.amdhsa_ieee_mode 1
		.amdhsa_fp16_overflow 0
		.amdhsa_tg_split 0
		.amdhsa_exception_fp_ieee_invalid_op 0
		.amdhsa_exception_fp_denorm_src 0
		.amdhsa_exception_fp_ieee_div_zero 0
		.amdhsa_exception_fp_ieee_overflow 0
		.amdhsa_exception_fp_ieee_underflow 0
		.amdhsa_exception_fp_ieee_inexact 0
		.amdhsa_exception_int_div_zero 0
	.end_amdhsa_kernel
	.section	.text._ZN7rocprim17ROCPRIM_400000_NS6detail17trampoline_kernelINS0_14default_configENS1_27scan_by_key_config_selectorIijEEZZNS1_16scan_by_key_implILNS1_25lookback_scan_determinismE0ELb0ES3_N6thrust23THRUST_200600_302600_NS6detail15normal_iteratorINS9_10device_ptrIiEEEENSB_INSC_IjEEEENSB_INSC_IfEEEEjNS9_4plusIvEENS9_8equal_toIvEEjEE10hipError_tPvRmT2_T3_T4_T5_mT6_T7_P12ihipStream_tbENKUlT_T0_E_clISt17integral_constantIbLb0EES12_IbLb1EEEEDaSY_SZ_EUlSY_E_NS1_11comp_targetILNS1_3genE4ELNS1_11target_archE910ELNS1_3gpuE8ELNS1_3repE0EEENS1_30default_config_static_selectorELNS0_4arch9wavefront6targetE1EEEvT1_,"axG",@progbits,_ZN7rocprim17ROCPRIM_400000_NS6detail17trampoline_kernelINS0_14default_configENS1_27scan_by_key_config_selectorIijEEZZNS1_16scan_by_key_implILNS1_25lookback_scan_determinismE0ELb0ES3_N6thrust23THRUST_200600_302600_NS6detail15normal_iteratorINS9_10device_ptrIiEEEENSB_INSC_IjEEEENSB_INSC_IfEEEEjNS9_4plusIvEENS9_8equal_toIvEEjEE10hipError_tPvRmT2_T3_T4_T5_mT6_T7_P12ihipStream_tbENKUlT_T0_E_clISt17integral_constantIbLb0EES12_IbLb1EEEEDaSY_SZ_EUlSY_E_NS1_11comp_targetILNS1_3genE4ELNS1_11target_archE910ELNS1_3gpuE8ELNS1_3repE0EEENS1_30default_config_static_selectorELNS0_4arch9wavefront6targetE1EEEvT1_,comdat
.Lfunc_end1674:
	.size	_ZN7rocprim17ROCPRIM_400000_NS6detail17trampoline_kernelINS0_14default_configENS1_27scan_by_key_config_selectorIijEEZZNS1_16scan_by_key_implILNS1_25lookback_scan_determinismE0ELb0ES3_N6thrust23THRUST_200600_302600_NS6detail15normal_iteratorINS9_10device_ptrIiEEEENSB_INSC_IjEEEENSB_INSC_IfEEEEjNS9_4plusIvEENS9_8equal_toIvEEjEE10hipError_tPvRmT2_T3_T4_T5_mT6_T7_P12ihipStream_tbENKUlT_T0_E_clISt17integral_constantIbLb0EES12_IbLb1EEEEDaSY_SZ_EUlSY_E_NS1_11comp_targetILNS1_3genE4ELNS1_11target_archE910ELNS1_3gpuE8ELNS1_3repE0EEENS1_30default_config_static_selectorELNS0_4arch9wavefront6targetE1EEEvT1_, .Lfunc_end1674-_ZN7rocprim17ROCPRIM_400000_NS6detail17trampoline_kernelINS0_14default_configENS1_27scan_by_key_config_selectorIijEEZZNS1_16scan_by_key_implILNS1_25lookback_scan_determinismE0ELb0ES3_N6thrust23THRUST_200600_302600_NS6detail15normal_iteratorINS9_10device_ptrIiEEEENSB_INSC_IjEEEENSB_INSC_IfEEEEjNS9_4plusIvEENS9_8equal_toIvEEjEE10hipError_tPvRmT2_T3_T4_T5_mT6_T7_P12ihipStream_tbENKUlT_T0_E_clISt17integral_constantIbLb0EES12_IbLb1EEEEDaSY_SZ_EUlSY_E_NS1_11comp_targetILNS1_3genE4ELNS1_11target_archE910ELNS1_3gpuE8ELNS1_3repE0EEENS1_30default_config_static_selectorELNS0_4arch9wavefront6targetE1EEEvT1_
                                        ; -- End function
	.section	.AMDGPU.csdata,"",@progbits
; Kernel info:
; codeLenInByte = 0
; NumSgprs: 6
; NumVgprs: 0
; NumAgprs: 0
; TotalNumVgprs: 0
; ScratchSize: 0
; MemoryBound: 0
; FloatMode: 240
; IeeeMode: 1
; LDSByteSize: 0 bytes/workgroup (compile time only)
; SGPRBlocks: 0
; VGPRBlocks: 0
; NumSGPRsForWavesPerEU: 6
; NumVGPRsForWavesPerEU: 1
; AccumOffset: 4
; Occupancy: 8
; WaveLimiterHint : 0
; COMPUTE_PGM_RSRC2:SCRATCH_EN: 0
; COMPUTE_PGM_RSRC2:USER_SGPR: 2
; COMPUTE_PGM_RSRC2:TRAP_HANDLER: 0
; COMPUTE_PGM_RSRC2:TGID_X_EN: 1
; COMPUTE_PGM_RSRC2:TGID_Y_EN: 0
; COMPUTE_PGM_RSRC2:TGID_Z_EN: 0
; COMPUTE_PGM_RSRC2:TIDIG_COMP_CNT: 0
; COMPUTE_PGM_RSRC3_GFX90A:ACCUM_OFFSET: 0
; COMPUTE_PGM_RSRC3_GFX90A:TG_SPLIT: 0
	.section	.text._ZN7rocprim17ROCPRIM_400000_NS6detail17trampoline_kernelINS0_14default_configENS1_27scan_by_key_config_selectorIijEEZZNS1_16scan_by_key_implILNS1_25lookback_scan_determinismE0ELb0ES3_N6thrust23THRUST_200600_302600_NS6detail15normal_iteratorINS9_10device_ptrIiEEEENSB_INSC_IjEEEENSB_INSC_IfEEEEjNS9_4plusIvEENS9_8equal_toIvEEjEE10hipError_tPvRmT2_T3_T4_T5_mT6_T7_P12ihipStream_tbENKUlT_T0_E_clISt17integral_constantIbLb0EES12_IbLb1EEEEDaSY_SZ_EUlSY_E_NS1_11comp_targetILNS1_3genE3ELNS1_11target_archE908ELNS1_3gpuE7ELNS1_3repE0EEENS1_30default_config_static_selectorELNS0_4arch9wavefront6targetE1EEEvT1_,"axG",@progbits,_ZN7rocprim17ROCPRIM_400000_NS6detail17trampoline_kernelINS0_14default_configENS1_27scan_by_key_config_selectorIijEEZZNS1_16scan_by_key_implILNS1_25lookback_scan_determinismE0ELb0ES3_N6thrust23THRUST_200600_302600_NS6detail15normal_iteratorINS9_10device_ptrIiEEEENSB_INSC_IjEEEENSB_INSC_IfEEEEjNS9_4plusIvEENS9_8equal_toIvEEjEE10hipError_tPvRmT2_T3_T4_T5_mT6_T7_P12ihipStream_tbENKUlT_T0_E_clISt17integral_constantIbLb0EES12_IbLb1EEEEDaSY_SZ_EUlSY_E_NS1_11comp_targetILNS1_3genE3ELNS1_11target_archE908ELNS1_3gpuE7ELNS1_3repE0EEENS1_30default_config_static_selectorELNS0_4arch9wavefront6targetE1EEEvT1_,comdat
	.protected	_ZN7rocprim17ROCPRIM_400000_NS6detail17trampoline_kernelINS0_14default_configENS1_27scan_by_key_config_selectorIijEEZZNS1_16scan_by_key_implILNS1_25lookback_scan_determinismE0ELb0ES3_N6thrust23THRUST_200600_302600_NS6detail15normal_iteratorINS9_10device_ptrIiEEEENSB_INSC_IjEEEENSB_INSC_IfEEEEjNS9_4plusIvEENS9_8equal_toIvEEjEE10hipError_tPvRmT2_T3_T4_T5_mT6_T7_P12ihipStream_tbENKUlT_T0_E_clISt17integral_constantIbLb0EES12_IbLb1EEEEDaSY_SZ_EUlSY_E_NS1_11comp_targetILNS1_3genE3ELNS1_11target_archE908ELNS1_3gpuE7ELNS1_3repE0EEENS1_30default_config_static_selectorELNS0_4arch9wavefront6targetE1EEEvT1_ ; -- Begin function _ZN7rocprim17ROCPRIM_400000_NS6detail17trampoline_kernelINS0_14default_configENS1_27scan_by_key_config_selectorIijEEZZNS1_16scan_by_key_implILNS1_25lookback_scan_determinismE0ELb0ES3_N6thrust23THRUST_200600_302600_NS6detail15normal_iteratorINS9_10device_ptrIiEEEENSB_INSC_IjEEEENSB_INSC_IfEEEEjNS9_4plusIvEENS9_8equal_toIvEEjEE10hipError_tPvRmT2_T3_T4_T5_mT6_T7_P12ihipStream_tbENKUlT_T0_E_clISt17integral_constantIbLb0EES12_IbLb1EEEEDaSY_SZ_EUlSY_E_NS1_11comp_targetILNS1_3genE3ELNS1_11target_archE908ELNS1_3gpuE7ELNS1_3repE0EEENS1_30default_config_static_selectorELNS0_4arch9wavefront6targetE1EEEvT1_
	.globl	_ZN7rocprim17ROCPRIM_400000_NS6detail17trampoline_kernelINS0_14default_configENS1_27scan_by_key_config_selectorIijEEZZNS1_16scan_by_key_implILNS1_25lookback_scan_determinismE0ELb0ES3_N6thrust23THRUST_200600_302600_NS6detail15normal_iteratorINS9_10device_ptrIiEEEENSB_INSC_IjEEEENSB_INSC_IfEEEEjNS9_4plusIvEENS9_8equal_toIvEEjEE10hipError_tPvRmT2_T3_T4_T5_mT6_T7_P12ihipStream_tbENKUlT_T0_E_clISt17integral_constantIbLb0EES12_IbLb1EEEEDaSY_SZ_EUlSY_E_NS1_11comp_targetILNS1_3genE3ELNS1_11target_archE908ELNS1_3gpuE7ELNS1_3repE0EEENS1_30default_config_static_selectorELNS0_4arch9wavefront6targetE1EEEvT1_
	.p2align	8
	.type	_ZN7rocprim17ROCPRIM_400000_NS6detail17trampoline_kernelINS0_14default_configENS1_27scan_by_key_config_selectorIijEEZZNS1_16scan_by_key_implILNS1_25lookback_scan_determinismE0ELb0ES3_N6thrust23THRUST_200600_302600_NS6detail15normal_iteratorINS9_10device_ptrIiEEEENSB_INSC_IjEEEENSB_INSC_IfEEEEjNS9_4plusIvEENS9_8equal_toIvEEjEE10hipError_tPvRmT2_T3_T4_T5_mT6_T7_P12ihipStream_tbENKUlT_T0_E_clISt17integral_constantIbLb0EES12_IbLb1EEEEDaSY_SZ_EUlSY_E_NS1_11comp_targetILNS1_3genE3ELNS1_11target_archE908ELNS1_3gpuE7ELNS1_3repE0EEENS1_30default_config_static_selectorELNS0_4arch9wavefront6targetE1EEEvT1_,@function
_ZN7rocprim17ROCPRIM_400000_NS6detail17trampoline_kernelINS0_14default_configENS1_27scan_by_key_config_selectorIijEEZZNS1_16scan_by_key_implILNS1_25lookback_scan_determinismE0ELb0ES3_N6thrust23THRUST_200600_302600_NS6detail15normal_iteratorINS9_10device_ptrIiEEEENSB_INSC_IjEEEENSB_INSC_IfEEEEjNS9_4plusIvEENS9_8equal_toIvEEjEE10hipError_tPvRmT2_T3_T4_T5_mT6_T7_P12ihipStream_tbENKUlT_T0_E_clISt17integral_constantIbLb0EES12_IbLb1EEEEDaSY_SZ_EUlSY_E_NS1_11comp_targetILNS1_3genE3ELNS1_11target_archE908ELNS1_3gpuE7ELNS1_3repE0EEENS1_30default_config_static_selectorELNS0_4arch9wavefront6targetE1EEEvT1_: ; @_ZN7rocprim17ROCPRIM_400000_NS6detail17trampoline_kernelINS0_14default_configENS1_27scan_by_key_config_selectorIijEEZZNS1_16scan_by_key_implILNS1_25lookback_scan_determinismE0ELb0ES3_N6thrust23THRUST_200600_302600_NS6detail15normal_iteratorINS9_10device_ptrIiEEEENSB_INSC_IjEEEENSB_INSC_IfEEEEjNS9_4plusIvEENS9_8equal_toIvEEjEE10hipError_tPvRmT2_T3_T4_T5_mT6_T7_P12ihipStream_tbENKUlT_T0_E_clISt17integral_constantIbLb0EES12_IbLb1EEEEDaSY_SZ_EUlSY_E_NS1_11comp_targetILNS1_3genE3ELNS1_11target_archE908ELNS1_3gpuE7ELNS1_3repE0EEENS1_30default_config_static_selectorELNS0_4arch9wavefront6targetE1EEEvT1_
; %bb.0:
	.section	.rodata,"a",@progbits
	.p2align	6, 0x0
	.amdhsa_kernel _ZN7rocprim17ROCPRIM_400000_NS6detail17trampoline_kernelINS0_14default_configENS1_27scan_by_key_config_selectorIijEEZZNS1_16scan_by_key_implILNS1_25lookback_scan_determinismE0ELb0ES3_N6thrust23THRUST_200600_302600_NS6detail15normal_iteratorINS9_10device_ptrIiEEEENSB_INSC_IjEEEENSB_INSC_IfEEEEjNS9_4plusIvEENS9_8equal_toIvEEjEE10hipError_tPvRmT2_T3_T4_T5_mT6_T7_P12ihipStream_tbENKUlT_T0_E_clISt17integral_constantIbLb0EES12_IbLb1EEEEDaSY_SZ_EUlSY_E_NS1_11comp_targetILNS1_3genE3ELNS1_11target_archE908ELNS1_3gpuE7ELNS1_3repE0EEENS1_30default_config_static_selectorELNS0_4arch9wavefront6targetE1EEEvT1_
		.amdhsa_group_segment_fixed_size 0
		.amdhsa_private_segment_fixed_size 0
		.amdhsa_kernarg_size 112
		.amdhsa_user_sgpr_count 2
		.amdhsa_user_sgpr_dispatch_ptr 0
		.amdhsa_user_sgpr_queue_ptr 0
		.amdhsa_user_sgpr_kernarg_segment_ptr 1
		.amdhsa_user_sgpr_dispatch_id 0
		.amdhsa_user_sgpr_kernarg_preload_length 0
		.amdhsa_user_sgpr_kernarg_preload_offset 0
		.amdhsa_user_sgpr_private_segment_size 0
		.amdhsa_uses_dynamic_stack 0
		.amdhsa_enable_private_segment 0
		.amdhsa_system_sgpr_workgroup_id_x 1
		.amdhsa_system_sgpr_workgroup_id_y 0
		.amdhsa_system_sgpr_workgroup_id_z 0
		.amdhsa_system_sgpr_workgroup_info 0
		.amdhsa_system_vgpr_workitem_id 0
		.amdhsa_next_free_vgpr 1
		.amdhsa_next_free_sgpr 0
		.amdhsa_accum_offset 4
		.amdhsa_reserve_vcc 0
		.amdhsa_float_round_mode_32 0
		.amdhsa_float_round_mode_16_64 0
		.amdhsa_float_denorm_mode_32 3
		.amdhsa_float_denorm_mode_16_64 3
		.amdhsa_dx10_clamp 1
		.amdhsa_ieee_mode 1
		.amdhsa_fp16_overflow 0
		.amdhsa_tg_split 0
		.amdhsa_exception_fp_ieee_invalid_op 0
		.amdhsa_exception_fp_denorm_src 0
		.amdhsa_exception_fp_ieee_div_zero 0
		.amdhsa_exception_fp_ieee_overflow 0
		.amdhsa_exception_fp_ieee_underflow 0
		.amdhsa_exception_fp_ieee_inexact 0
		.amdhsa_exception_int_div_zero 0
	.end_amdhsa_kernel
	.section	.text._ZN7rocprim17ROCPRIM_400000_NS6detail17trampoline_kernelINS0_14default_configENS1_27scan_by_key_config_selectorIijEEZZNS1_16scan_by_key_implILNS1_25lookback_scan_determinismE0ELb0ES3_N6thrust23THRUST_200600_302600_NS6detail15normal_iteratorINS9_10device_ptrIiEEEENSB_INSC_IjEEEENSB_INSC_IfEEEEjNS9_4plusIvEENS9_8equal_toIvEEjEE10hipError_tPvRmT2_T3_T4_T5_mT6_T7_P12ihipStream_tbENKUlT_T0_E_clISt17integral_constantIbLb0EES12_IbLb1EEEEDaSY_SZ_EUlSY_E_NS1_11comp_targetILNS1_3genE3ELNS1_11target_archE908ELNS1_3gpuE7ELNS1_3repE0EEENS1_30default_config_static_selectorELNS0_4arch9wavefront6targetE1EEEvT1_,"axG",@progbits,_ZN7rocprim17ROCPRIM_400000_NS6detail17trampoline_kernelINS0_14default_configENS1_27scan_by_key_config_selectorIijEEZZNS1_16scan_by_key_implILNS1_25lookback_scan_determinismE0ELb0ES3_N6thrust23THRUST_200600_302600_NS6detail15normal_iteratorINS9_10device_ptrIiEEEENSB_INSC_IjEEEENSB_INSC_IfEEEEjNS9_4plusIvEENS9_8equal_toIvEEjEE10hipError_tPvRmT2_T3_T4_T5_mT6_T7_P12ihipStream_tbENKUlT_T0_E_clISt17integral_constantIbLb0EES12_IbLb1EEEEDaSY_SZ_EUlSY_E_NS1_11comp_targetILNS1_3genE3ELNS1_11target_archE908ELNS1_3gpuE7ELNS1_3repE0EEENS1_30default_config_static_selectorELNS0_4arch9wavefront6targetE1EEEvT1_,comdat
.Lfunc_end1675:
	.size	_ZN7rocprim17ROCPRIM_400000_NS6detail17trampoline_kernelINS0_14default_configENS1_27scan_by_key_config_selectorIijEEZZNS1_16scan_by_key_implILNS1_25lookback_scan_determinismE0ELb0ES3_N6thrust23THRUST_200600_302600_NS6detail15normal_iteratorINS9_10device_ptrIiEEEENSB_INSC_IjEEEENSB_INSC_IfEEEEjNS9_4plusIvEENS9_8equal_toIvEEjEE10hipError_tPvRmT2_T3_T4_T5_mT6_T7_P12ihipStream_tbENKUlT_T0_E_clISt17integral_constantIbLb0EES12_IbLb1EEEEDaSY_SZ_EUlSY_E_NS1_11comp_targetILNS1_3genE3ELNS1_11target_archE908ELNS1_3gpuE7ELNS1_3repE0EEENS1_30default_config_static_selectorELNS0_4arch9wavefront6targetE1EEEvT1_, .Lfunc_end1675-_ZN7rocprim17ROCPRIM_400000_NS6detail17trampoline_kernelINS0_14default_configENS1_27scan_by_key_config_selectorIijEEZZNS1_16scan_by_key_implILNS1_25lookback_scan_determinismE0ELb0ES3_N6thrust23THRUST_200600_302600_NS6detail15normal_iteratorINS9_10device_ptrIiEEEENSB_INSC_IjEEEENSB_INSC_IfEEEEjNS9_4plusIvEENS9_8equal_toIvEEjEE10hipError_tPvRmT2_T3_T4_T5_mT6_T7_P12ihipStream_tbENKUlT_T0_E_clISt17integral_constantIbLb0EES12_IbLb1EEEEDaSY_SZ_EUlSY_E_NS1_11comp_targetILNS1_3genE3ELNS1_11target_archE908ELNS1_3gpuE7ELNS1_3repE0EEENS1_30default_config_static_selectorELNS0_4arch9wavefront6targetE1EEEvT1_
                                        ; -- End function
	.section	.AMDGPU.csdata,"",@progbits
; Kernel info:
; codeLenInByte = 0
; NumSgprs: 6
; NumVgprs: 0
; NumAgprs: 0
; TotalNumVgprs: 0
; ScratchSize: 0
; MemoryBound: 0
; FloatMode: 240
; IeeeMode: 1
; LDSByteSize: 0 bytes/workgroup (compile time only)
; SGPRBlocks: 0
; VGPRBlocks: 0
; NumSGPRsForWavesPerEU: 6
; NumVGPRsForWavesPerEU: 1
; AccumOffset: 4
; Occupancy: 8
; WaveLimiterHint : 0
; COMPUTE_PGM_RSRC2:SCRATCH_EN: 0
; COMPUTE_PGM_RSRC2:USER_SGPR: 2
; COMPUTE_PGM_RSRC2:TRAP_HANDLER: 0
; COMPUTE_PGM_RSRC2:TGID_X_EN: 1
; COMPUTE_PGM_RSRC2:TGID_Y_EN: 0
; COMPUTE_PGM_RSRC2:TGID_Z_EN: 0
; COMPUTE_PGM_RSRC2:TIDIG_COMP_CNT: 0
; COMPUTE_PGM_RSRC3_GFX90A:ACCUM_OFFSET: 0
; COMPUTE_PGM_RSRC3_GFX90A:TG_SPLIT: 0
	.section	.text._ZN7rocprim17ROCPRIM_400000_NS6detail17trampoline_kernelINS0_14default_configENS1_27scan_by_key_config_selectorIijEEZZNS1_16scan_by_key_implILNS1_25lookback_scan_determinismE0ELb0ES3_N6thrust23THRUST_200600_302600_NS6detail15normal_iteratorINS9_10device_ptrIiEEEENSB_INSC_IjEEEENSB_INSC_IfEEEEjNS9_4plusIvEENS9_8equal_toIvEEjEE10hipError_tPvRmT2_T3_T4_T5_mT6_T7_P12ihipStream_tbENKUlT_T0_E_clISt17integral_constantIbLb0EES12_IbLb1EEEEDaSY_SZ_EUlSY_E_NS1_11comp_targetILNS1_3genE2ELNS1_11target_archE906ELNS1_3gpuE6ELNS1_3repE0EEENS1_30default_config_static_selectorELNS0_4arch9wavefront6targetE1EEEvT1_,"axG",@progbits,_ZN7rocprim17ROCPRIM_400000_NS6detail17trampoline_kernelINS0_14default_configENS1_27scan_by_key_config_selectorIijEEZZNS1_16scan_by_key_implILNS1_25lookback_scan_determinismE0ELb0ES3_N6thrust23THRUST_200600_302600_NS6detail15normal_iteratorINS9_10device_ptrIiEEEENSB_INSC_IjEEEENSB_INSC_IfEEEEjNS9_4plusIvEENS9_8equal_toIvEEjEE10hipError_tPvRmT2_T3_T4_T5_mT6_T7_P12ihipStream_tbENKUlT_T0_E_clISt17integral_constantIbLb0EES12_IbLb1EEEEDaSY_SZ_EUlSY_E_NS1_11comp_targetILNS1_3genE2ELNS1_11target_archE906ELNS1_3gpuE6ELNS1_3repE0EEENS1_30default_config_static_selectorELNS0_4arch9wavefront6targetE1EEEvT1_,comdat
	.protected	_ZN7rocprim17ROCPRIM_400000_NS6detail17trampoline_kernelINS0_14default_configENS1_27scan_by_key_config_selectorIijEEZZNS1_16scan_by_key_implILNS1_25lookback_scan_determinismE0ELb0ES3_N6thrust23THRUST_200600_302600_NS6detail15normal_iteratorINS9_10device_ptrIiEEEENSB_INSC_IjEEEENSB_INSC_IfEEEEjNS9_4plusIvEENS9_8equal_toIvEEjEE10hipError_tPvRmT2_T3_T4_T5_mT6_T7_P12ihipStream_tbENKUlT_T0_E_clISt17integral_constantIbLb0EES12_IbLb1EEEEDaSY_SZ_EUlSY_E_NS1_11comp_targetILNS1_3genE2ELNS1_11target_archE906ELNS1_3gpuE6ELNS1_3repE0EEENS1_30default_config_static_selectorELNS0_4arch9wavefront6targetE1EEEvT1_ ; -- Begin function _ZN7rocprim17ROCPRIM_400000_NS6detail17trampoline_kernelINS0_14default_configENS1_27scan_by_key_config_selectorIijEEZZNS1_16scan_by_key_implILNS1_25lookback_scan_determinismE0ELb0ES3_N6thrust23THRUST_200600_302600_NS6detail15normal_iteratorINS9_10device_ptrIiEEEENSB_INSC_IjEEEENSB_INSC_IfEEEEjNS9_4plusIvEENS9_8equal_toIvEEjEE10hipError_tPvRmT2_T3_T4_T5_mT6_T7_P12ihipStream_tbENKUlT_T0_E_clISt17integral_constantIbLb0EES12_IbLb1EEEEDaSY_SZ_EUlSY_E_NS1_11comp_targetILNS1_3genE2ELNS1_11target_archE906ELNS1_3gpuE6ELNS1_3repE0EEENS1_30default_config_static_selectorELNS0_4arch9wavefront6targetE1EEEvT1_
	.globl	_ZN7rocprim17ROCPRIM_400000_NS6detail17trampoline_kernelINS0_14default_configENS1_27scan_by_key_config_selectorIijEEZZNS1_16scan_by_key_implILNS1_25lookback_scan_determinismE0ELb0ES3_N6thrust23THRUST_200600_302600_NS6detail15normal_iteratorINS9_10device_ptrIiEEEENSB_INSC_IjEEEENSB_INSC_IfEEEEjNS9_4plusIvEENS9_8equal_toIvEEjEE10hipError_tPvRmT2_T3_T4_T5_mT6_T7_P12ihipStream_tbENKUlT_T0_E_clISt17integral_constantIbLb0EES12_IbLb1EEEEDaSY_SZ_EUlSY_E_NS1_11comp_targetILNS1_3genE2ELNS1_11target_archE906ELNS1_3gpuE6ELNS1_3repE0EEENS1_30default_config_static_selectorELNS0_4arch9wavefront6targetE1EEEvT1_
	.p2align	8
	.type	_ZN7rocprim17ROCPRIM_400000_NS6detail17trampoline_kernelINS0_14default_configENS1_27scan_by_key_config_selectorIijEEZZNS1_16scan_by_key_implILNS1_25lookback_scan_determinismE0ELb0ES3_N6thrust23THRUST_200600_302600_NS6detail15normal_iteratorINS9_10device_ptrIiEEEENSB_INSC_IjEEEENSB_INSC_IfEEEEjNS9_4plusIvEENS9_8equal_toIvEEjEE10hipError_tPvRmT2_T3_T4_T5_mT6_T7_P12ihipStream_tbENKUlT_T0_E_clISt17integral_constantIbLb0EES12_IbLb1EEEEDaSY_SZ_EUlSY_E_NS1_11comp_targetILNS1_3genE2ELNS1_11target_archE906ELNS1_3gpuE6ELNS1_3repE0EEENS1_30default_config_static_selectorELNS0_4arch9wavefront6targetE1EEEvT1_,@function
_ZN7rocprim17ROCPRIM_400000_NS6detail17trampoline_kernelINS0_14default_configENS1_27scan_by_key_config_selectorIijEEZZNS1_16scan_by_key_implILNS1_25lookback_scan_determinismE0ELb0ES3_N6thrust23THRUST_200600_302600_NS6detail15normal_iteratorINS9_10device_ptrIiEEEENSB_INSC_IjEEEENSB_INSC_IfEEEEjNS9_4plusIvEENS9_8equal_toIvEEjEE10hipError_tPvRmT2_T3_T4_T5_mT6_T7_P12ihipStream_tbENKUlT_T0_E_clISt17integral_constantIbLb0EES12_IbLb1EEEEDaSY_SZ_EUlSY_E_NS1_11comp_targetILNS1_3genE2ELNS1_11target_archE906ELNS1_3gpuE6ELNS1_3repE0EEENS1_30default_config_static_selectorELNS0_4arch9wavefront6targetE1EEEvT1_: ; @_ZN7rocprim17ROCPRIM_400000_NS6detail17trampoline_kernelINS0_14default_configENS1_27scan_by_key_config_selectorIijEEZZNS1_16scan_by_key_implILNS1_25lookback_scan_determinismE0ELb0ES3_N6thrust23THRUST_200600_302600_NS6detail15normal_iteratorINS9_10device_ptrIiEEEENSB_INSC_IjEEEENSB_INSC_IfEEEEjNS9_4plusIvEENS9_8equal_toIvEEjEE10hipError_tPvRmT2_T3_T4_T5_mT6_T7_P12ihipStream_tbENKUlT_T0_E_clISt17integral_constantIbLb0EES12_IbLb1EEEEDaSY_SZ_EUlSY_E_NS1_11comp_targetILNS1_3genE2ELNS1_11target_archE906ELNS1_3gpuE6ELNS1_3repE0EEENS1_30default_config_static_selectorELNS0_4arch9wavefront6targetE1EEEvT1_
; %bb.0:
	.section	.rodata,"a",@progbits
	.p2align	6, 0x0
	.amdhsa_kernel _ZN7rocprim17ROCPRIM_400000_NS6detail17trampoline_kernelINS0_14default_configENS1_27scan_by_key_config_selectorIijEEZZNS1_16scan_by_key_implILNS1_25lookback_scan_determinismE0ELb0ES3_N6thrust23THRUST_200600_302600_NS6detail15normal_iteratorINS9_10device_ptrIiEEEENSB_INSC_IjEEEENSB_INSC_IfEEEEjNS9_4plusIvEENS9_8equal_toIvEEjEE10hipError_tPvRmT2_T3_T4_T5_mT6_T7_P12ihipStream_tbENKUlT_T0_E_clISt17integral_constantIbLb0EES12_IbLb1EEEEDaSY_SZ_EUlSY_E_NS1_11comp_targetILNS1_3genE2ELNS1_11target_archE906ELNS1_3gpuE6ELNS1_3repE0EEENS1_30default_config_static_selectorELNS0_4arch9wavefront6targetE1EEEvT1_
		.amdhsa_group_segment_fixed_size 0
		.amdhsa_private_segment_fixed_size 0
		.amdhsa_kernarg_size 112
		.amdhsa_user_sgpr_count 2
		.amdhsa_user_sgpr_dispatch_ptr 0
		.amdhsa_user_sgpr_queue_ptr 0
		.amdhsa_user_sgpr_kernarg_segment_ptr 1
		.amdhsa_user_sgpr_dispatch_id 0
		.amdhsa_user_sgpr_kernarg_preload_length 0
		.amdhsa_user_sgpr_kernarg_preload_offset 0
		.amdhsa_user_sgpr_private_segment_size 0
		.amdhsa_uses_dynamic_stack 0
		.amdhsa_enable_private_segment 0
		.amdhsa_system_sgpr_workgroup_id_x 1
		.amdhsa_system_sgpr_workgroup_id_y 0
		.amdhsa_system_sgpr_workgroup_id_z 0
		.amdhsa_system_sgpr_workgroup_info 0
		.amdhsa_system_vgpr_workitem_id 0
		.amdhsa_next_free_vgpr 1
		.amdhsa_next_free_sgpr 0
		.amdhsa_accum_offset 4
		.amdhsa_reserve_vcc 0
		.amdhsa_float_round_mode_32 0
		.amdhsa_float_round_mode_16_64 0
		.amdhsa_float_denorm_mode_32 3
		.amdhsa_float_denorm_mode_16_64 3
		.amdhsa_dx10_clamp 1
		.amdhsa_ieee_mode 1
		.amdhsa_fp16_overflow 0
		.amdhsa_tg_split 0
		.amdhsa_exception_fp_ieee_invalid_op 0
		.amdhsa_exception_fp_denorm_src 0
		.amdhsa_exception_fp_ieee_div_zero 0
		.amdhsa_exception_fp_ieee_overflow 0
		.amdhsa_exception_fp_ieee_underflow 0
		.amdhsa_exception_fp_ieee_inexact 0
		.amdhsa_exception_int_div_zero 0
	.end_amdhsa_kernel
	.section	.text._ZN7rocprim17ROCPRIM_400000_NS6detail17trampoline_kernelINS0_14default_configENS1_27scan_by_key_config_selectorIijEEZZNS1_16scan_by_key_implILNS1_25lookback_scan_determinismE0ELb0ES3_N6thrust23THRUST_200600_302600_NS6detail15normal_iteratorINS9_10device_ptrIiEEEENSB_INSC_IjEEEENSB_INSC_IfEEEEjNS9_4plusIvEENS9_8equal_toIvEEjEE10hipError_tPvRmT2_T3_T4_T5_mT6_T7_P12ihipStream_tbENKUlT_T0_E_clISt17integral_constantIbLb0EES12_IbLb1EEEEDaSY_SZ_EUlSY_E_NS1_11comp_targetILNS1_3genE2ELNS1_11target_archE906ELNS1_3gpuE6ELNS1_3repE0EEENS1_30default_config_static_selectorELNS0_4arch9wavefront6targetE1EEEvT1_,"axG",@progbits,_ZN7rocprim17ROCPRIM_400000_NS6detail17trampoline_kernelINS0_14default_configENS1_27scan_by_key_config_selectorIijEEZZNS1_16scan_by_key_implILNS1_25lookback_scan_determinismE0ELb0ES3_N6thrust23THRUST_200600_302600_NS6detail15normal_iteratorINS9_10device_ptrIiEEEENSB_INSC_IjEEEENSB_INSC_IfEEEEjNS9_4plusIvEENS9_8equal_toIvEEjEE10hipError_tPvRmT2_T3_T4_T5_mT6_T7_P12ihipStream_tbENKUlT_T0_E_clISt17integral_constantIbLb0EES12_IbLb1EEEEDaSY_SZ_EUlSY_E_NS1_11comp_targetILNS1_3genE2ELNS1_11target_archE906ELNS1_3gpuE6ELNS1_3repE0EEENS1_30default_config_static_selectorELNS0_4arch9wavefront6targetE1EEEvT1_,comdat
.Lfunc_end1676:
	.size	_ZN7rocprim17ROCPRIM_400000_NS6detail17trampoline_kernelINS0_14default_configENS1_27scan_by_key_config_selectorIijEEZZNS1_16scan_by_key_implILNS1_25lookback_scan_determinismE0ELb0ES3_N6thrust23THRUST_200600_302600_NS6detail15normal_iteratorINS9_10device_ptrIiEEEENSB_INSC_IjEEEENSB_INSC_IfEEEEjNS9_4plusIvEENS9_8equal_toIvEEjEE10hipError_tPvRmT2_T3_T4_T5_mT6_T7_P12ihipStream_tbENKUlT_T0_E_clISt17integral_constantIbLb0EES12_IbLb1EEEEDaSY_SZ_EUlSY_E_NS1_11comp_targetILNS1_3genE2ELNS1_11target_archE906ELNS1_3gpuE6ELNS1_3repE0EEENS1_30default_config_static_selectorELNS0_4arch9wavefront6targetE1EEEvT1_, .Lfunc_end1676-_ZN7rocprim17ROCPRIM_400000_NS6detail17trampoline_kernelINS0_14default_configENS1_27scan_by_key_config_selectorIijEEZZNS1_16scan_by_key_implILNS1_25lookback_scan_determinismE0ELb0ES3_N6thrust23THRUST_200600_302600_NS6detail15normal_iteratorINS9_10device_ptrIiEEEENSB_INSC_IjEEEENSB_INSC_IfEEEEjNS9_4plusIvEENS9_8equal_toIvEEjEE10hipError_tPvRmT2_T3_T4_T5_mT6_T7_P12ihipStream_tbENKUlT_T0_E_clISt17integral_constantIbLb0EES12_IbLb1EEEEDaSY_SZ_EUlSY_E_NS1_11comp_targetILNS1_3genE2ELNS1_11target_archE906ELNS1_3gpuE6ELNS1_3repE0EEENS1_30default_config_static_selectorELNS0_4arch9wavefront6targetE1EEEvT1_
                                        ; -- End function
	.section	.AMDGPU.csdata,"",@progbits
; Kernel info:
; codeLenInByte = 0
; NumSgprs: 6
; NumVgprs: 0
; NumAgprs: 0
; TotalNumVgprs: 0
; ScratchSize: 0
; MemoryBound: 0
; FloatMode: 240
; IeeeMode: 1
; LDSByteSize: 0 bytes/workgroup (compile time only)
; SGPRBlocks: 0
; VGPRBlocks: 0
; NumSGPRsForWavesPerEU: 6
; NumVGPRsForWavesPerEU: 1
; AccumOffset: 4
; Occupancy: 8
; WaveLimiterHint : 0
; COMPUTE_PGM_RSRC2:SCRATCH_EN: 0
; COMPUTE_PGM_RSRC2:USER_SGPR: 2
; COMPUTE_PGM_RSRC2:TRAP_HANDLER: 0
; COMPUTE_PGM_RSRC2:TGID_X_EN: 1
; COMPUTE_PGM_RSRC2:TGID_Y_EN: 0
; COMPUTE_PGM_RSRC2:TGID_Z_EN: 0
; COMPUTE_PGM_RSRC2:TIDIG_COMP_CNT: 0
; COMPUTE_PGM_RSRC3_GFX90A:ACCUM_OFFSET: 0
; COMPUTE_PGM_RSRC3_GFX90A:TG_SPLIT: 0
	.section	.text._ZN7rocprim17ROCPRIM_400000_NS6detail17trampoline_kernelINS0_14default_configENS1_27scan_by_key_config_selectorIijEEZZNS1_16scan_by_key_implILNS1_25lookback_scan_determinismE0ELb0ES3_N6thrust23THRUST_200600_302600_NS6detail15normal_iteratorINS9_10device_ptrIiEEEENSB_INSC_IjEEEENSB_INSC_IfEEEEjNS9_4plusIvEENS9_8equal_toIvEEjEE10hipError_tPvRmT2_T3_T4_T5_mT6_T7_P12ihipStream_tbENKUlT_T0_E_clISt17integral_constantIbLb0EES12_IbLb1EEEEDaSY_SZ_EUlSY_E_NS1_11comp_targetILNS1_3genE10ELNS1_11target_archE1200ELNS1_3gpuE4ELNS1_3repE0EEENS1_30default_config_static_selectorELNS0_4arch9wavefront6targetE1EEEvT1_,"axG",@progbits,_ZN7rocprim17ROCPRIM_400000_NS6detail17trampoline_kernelINS0_14default_configENS1_27scan_by_key_config_selectorIijEEZZNS1_16scan_by_key_implILNS1_25lookback_scan_determinismE0ELb0ES3_N6thrust23THRUST_200600_302600_NS6detail15normal_iteratorINS9_10device_ptrIiEEEENSB_INSC_IjEEEENSB_INSC_IfEEEEjNS9_4plusIvEENS9_8equal_toIvEEjEE10hipError_tPvRmT2_T3_T4_T5_mT6_T7_P12ihipStream_tbENKUlT_T0_E_clISt17integral_constantIbLb0EES12_IbLb1EEEEDaSY_SZ_EUlSY_E_NS1_11comp_targetILNS1_3genE10ELNS1_11target_archE1200ELNS1_3gpuE4ELNS1_3repE0EEENS1_30default_config_static_selectorELNS0_4arch9wavefront6targetE1EEEvT1_,comdat
	.protected	_ZN7rocprim17ROCPRIM_400000_NS6detail17trampoline_kernelINS0_14default_configENS1_27scan_by_key_config_selectorIijEEZZNS1_16scan_by_key_implILNS1_25lookback_scan_determinismE0ELb0ES3_N6thrust23THRUST_200600_302600_NS6detail15normal_iteratorINS9_10device_ptrIiEEEENSB_INSC_IjEEEENSB_INSC_IfEEEEjNS9_4plusIvEENS9_8equal_toIvEEjEE10hipError_tPvRmT2_T3_T4_T5_mT6_T7_P12ihipStream_tbENKUlT_T0_E_clISt17integral_constantIbLb0EES12_IbLb1EEEEDaSY_SZ_EUlSY_E_NS1_11comp_targetILNS1_3genE10ELNS1_11target_archE1200ELNS1_3gpuE4ELNS1_3repE0EEENS1_30default_config_static_selectorELNS0_4arch9wavefront6targetE1EEEvT1_ ; -- Begin function _ZN7rocprim17ROCPRIM_400000_NS6detail17trampoline_kernelINS0_14default_configENS1_27scan_by_key_config_selectorIijEEZZNS1_16scan_by_key_implILNS1_25lookback_scan_determinismE0ELb0ES3_N6thrust23THRUST_200600_302600_NS6detail15normal_iteratorINS9_10device_ptrIiEEEENSB_INSC_IjEEEENSB_INSC_IfEEEEjNS9_4plusIvEENS9_8equal_toIvEEjEE10hipError_tPvRmT2_T3_T4_T5_mT6_T7_P12ihipStream_tbENKUlT_T0_E_clISt17integral_constantIbLb0EES12_IbLb1EEEEDaSY_SZ_EUlSY_E_NS1_11comp_targetILNS1_3genE10ELNS1_11target_archE1200ELNS1_3gpuE4ELNS1_3repE0EEENS1_30default_config_static_selectorELNS0_4arch9wavefront6targetE1EEEvT1_
	.globl	_ZN7rocprim17ROCPRIM_400000_NS6detail17trampoline_kernelINS0_14default_configENS1_27scan_by_key_config_selectorIijEEZZNS1_16scan_by_key_implILNS1_25lookback_scan_determinismE0ELb0ES3_N6thrust23THRUST_200600_302600_NS6detail15normal_iteratorINS9_10device_ptrIiEEEENSB_INSC_IjEEEENSB_INSC_IfEEEEjNS9_4plusIvEENS9_8equal_toIvEEjEE10hipError_tPvRmT2_T3_T4_T5_mT6_T7_P12ihipStream_tbENKUlT_T0_E_clISt17integral_constantIbLb0EES12_IbLb1EEEEDaSY_SZ_EUlSY_E_NS1_11comp_targetILNS1_3genE10ELNS1_11target_archE1200ELNS1_3gpuE4ELNS1_3repE0EEENS1_30default_config_static_selectorELNS0_4arch9wavefront6targetE1EEEvT1_
	.p2align	8
	.type	_ZN7rocprim17ROCPRIM_400000_NS6detail17trampoline_kernelINS0_14default_configENS1_27scan_by_key_config_selectorIijEEZZNS1_16scan_by_key_implILNS1_25lookback_scan_determinismE0ELb0ES3_N6thrust23THRUST_200600_302600_NS6detail15normal_iteratorINS9_10device_ptrIiEEEENSB_INSC_IjEEEENSB_INSC_IfEEEEjNS9_4plusIvEENS9_8equal_toIvEEjEE10hipError_tPvRmT2_T3_T4_T5_mT6_T7_P12ihipStream_tbENKUlT_T0_E_clISt17integral_constantIbLb0EES12_IbLb1EEEEDaSY_SZ_EUlSY_E_NS1_11comp_targetILNS1_3genE10ELNS1_11target_archE1200ELNS1_3gpuE4ELNS1_3repE0EEENS1_30default_config_static_selectorELNS0_4arch9wavefront6targetE1EEEvT1_,@function
_ZN7rocprim17ROCPRIM_400000_NS6detail17trampoline_kernelINS0_14default_configENS1_27scan_by_key_config_selectorIijEEZZNS1_16scan_by_key_implILNS1_25lookback_scan_determinismE0ELb0ES3_N6thrust23THRUST_200600_302600_NS6detail15normal_iteratorINS9_10device_ptrIiEEEENSB_INSC_IjEEEENSB_INSC_IfEEEEjNS9_4plusIvEENS9_8equal_toIvEEjEE10hipError_tPvRmT2_T3_T4_T5_mT6_T7_P12ihipStream_tbENKUlT_T0_E_clISt17integral_constantIbLb0EES12_IbLb1EEEEDaSY_SZ_EUlSY_E_NS1_11comp_targetILNS1_3genE10ELNS1_11target_archE1200ELNS1_3gpuE4ELNS1_3repE0EEENS1_30default_config_static_selectorELNS0_4arch9wavefront6targetE1EEEvT1_: ; @_ZN7rocprim17ROCPRIM_400000_NS6detail17trampoline_kernelINS0_14default_configENS1_27scan_by_key_config_selectorIijEEZZNS1_16scan_by_key_implILNS1_25lookback_scan_determinismE0ELb0ES3_N6thrust23THRUST_200600_302600_NS6detail15normal_iteratorINS9_10device_ptrIiEEEENSB_INSC_IjEEEENSB_INSC_IfEEEEjNS9_4plusIvEENS9_8equal_toIvEEjEE10hipError_tPvRmT2_T3_T4_T5_mT6_T7_P12ihipStream_tbENKUlT_T0_E_clISt17integral_constantIbLb0EES12_IbLb1EEEEDaSY_SZ_EUlSY_E_NS1_11comp_targetILNS1_3genE10ELNS1_11target_archE1200ELNS1_3gpuE4ELNS1_3repE0EEENS1_30default_config_static_selectorELNS0_4arch9wavefront6targetE1EEEvT1_
; %bb.0:
	.section	.rodata,"a",@progbits
	.p2align	6, 0x0
	.amdhsa_kernel _ZN7rocprim17ROCPRIM_400000_NS6detail17trampoline_kernelINS0_14default_configENS1_27scan_by_key_config_selectorIijEEZZNS1_16scan_by_key_implILNS1_25lookback_scan_determinismE0ELb0ES3_N6thrust23THRUST_200600_302600_NS6detail15normal_iteratorINS9_10device_ptrIiEEEENSB_INSC_IjEEEENSB_INSC_IfEEEEjNS9_4plusIvEENS9_8equal_toIvEEjEE10hipError_tPvRmT2_T3_T4_T5_mT6_T7_P12ihipStream_tbENKUlT_T0_E_clISt17integral_constantIbLb0EES12_IbLb1EEEEDaSY_SZ_EUlSY_E_NS1_11comp_targetILNS1_3genE10ELNS1_11target_archE1200ELNS1_3gpuE4ELNS1_3repE0EEENS1_30default_config_static_selectorELNS0_4arch9wavefront6targetE1EEEvT1_
		.amdhsa_group_segment_fixed_size 0
		.amdhsa_private_segment_fixed_size 0
		.amdhsa_kernarg_size 112
		.amdhsa_user_sgpr_count 2
		.amdhsa_user_sgpr_dispatch_ptr 0
		.amdhsa_user_sgpr_queue_ptr 0
		.amdhsa_user_sgpr_kernarg_segment_ptr 1
		.amdhsa_user_sgpr_dispatch_id 0
		.amdhsa_user_sgpr_kernarg_preload_length 0
		.amdhsa_user_sgpr_kernarg_preload_offset 0
		.amdhsa_user_sgpr_private_segment_size 0
		.amdhsa_uses_dynamic_stack 0
		.amdhsa_enable_private_segment 0
		.amdhsa_system_sgpr_workgroup_id_x 1
		.amdhsa_system_sgpr_workgroup_id_y 0
		.amdhsa_system_sgpr_workgroup_id_z 0
		.amdhsa_system_sgpr_workgroup_info 0
		.amdhsa_system_vgpr_workitem_id 0
		.amdhsa_next_free_vgpr 1
		.amdhsa_next_free_sgpr 0
		.amdhsa_accum_offset 4
		.amdhsa_reserve_vcc 0
		.amdhsa_float_round_mode_32 0
		.amdhsa_float_round_mode_16_64 0
		.amdhsa_float_denorm_mode_32 3
		.amdhsa_float_denorm_mode_16_64 3
		.amdhsa_dx10_clamp 1
		.amdhsa_ieee_mode 1
		.amdhsa_fp16_overflow 0
		.amdhsa_tg_split 0
		.amdhsa_exception_fp_ieee_invalid_op 0
		.amdhsa_exception_fp_denorm_src 0
		.amdhsa_exception_fp_ieee_div_zero 0
		.amdhsa_exception_fp_ieee_overflow 0
		.amdhsa_exception_fp_ieee_underflow 0
		.amdhsa_exception_fp_ieee_inexact 0
		.amdhsa_exception_int_div_zero 0
	.end_amdhsa_kernel
	.section	.text._ZN7rocprim17ROCPRIM_400000_NS6detail17trampoline_kernelINS0_14default_configENS1_27scan_by_key_config_selectorIijEEZZNS1_16scan_by_key_implILNS1_25lookback_scan_determinismE0ELb0ES3_N6thrust23THRUST_200600_302600_NS6detail15normal_iteratorINS9_10device_ptrIiEEEENSB_INSC_IjEEEENSB_INSC_IfEEEEjNS9_4plusIvEENS9_8equal_toIvEEjEE10hipError_tPvRmT2_T3_T4_T5_mT6_T7_P12ihipStream_tbENKUlT_T0_E_clISt17integral_constantIbLb0EES12_IbLb1EEEEDaSY_SZ_EUlSY_E_NS1_11comp_targetILNS1_3genE10ELNS1_11target_archE1200ELNS1_3gpuE4ELNS1_3repE0EEENS1_30default_config_static_selectorELNS0_4arch9wavefront6targetE1EEEvT1_,"axG",@progbits,_ZN7rocprim17ROCPRIM_400000_NS6detail17trampoline_kernelINS0_14default_configENS1_27scan_by_key_config_selectorIijEEZZNS1_16scan_by_key_implILNS1_25lookback_scan_determinismE0ELb0ES3_N6thrust23THRUST_200600_302600_NS6detail15normal_iteratorINS9_10device_ptrIiEEEENSB_INSC_IjEEEENSB_INSC_IfEEEEjNS9_4plusIvEENS9_8equal_toIvEEjEE10hipError_tPvRmT2_T3_T4_T5_mT6_T7_P12ihipStream_tbENKUlT_T0_E_clISt17integral_constantIbLb0EES12_IbLb1EEEEDaSY_SZ_EUlSY_E_NS1_11comp_targetILNS1_3genE10ELNS1_11target_archE1200ELNS1_3gpuE4ELNS1_3repE0EEENS1_30default_config_static_selectorELNS0_4arch9wavefront6targetE1EEEvT1_,comdat
.Lfunc_end1677:
	.size	_ZN7rocprim17ROCPRIM_400000_NS6detail17trampoline_kernelINS0_14default_configENS1_27scan_by_key_config_selectorIijEEZZNS1_16scan_by_key_implILNS1_25lookback_scan_determinismE0ELb0ES3_N6thrust23THRUST_200600_302600_NS6detail15normal_iteratorINS9_10device_ptrIiEEEENSB_INSC_IjEEEENSB_INSC_IfEEEEjNS9_4plusIvEENS9_8equal_toIvEEjEE10hipError_tPvRmT2_T3_T4_T5_mT6_T7_P12ihipStream_tbENKUlT_T0_E_clISt17integral_constantIbLb0EES12_IbLb1EEEEDaSY_SZ_EUlSY_E_NS1_11comp_targetILNS1_3genE10ELNS1_11target_archE1200ELNS1_3gpuE4ELNS1_3repE0EEENS1_30default_config_static_selectorELNS0_4arch9wavefront6targetE1EEEvT1_, .Lfunc_end1677-_ZN7rocprim17ROCPRIM_400000_NS6detail17trampoline_kernelINS0_14default_configENS1_27scan_by_key_config_selectorIijEEZZNS1_16scan_by_key_implILNS1_25lookback_scan_determinismE0ELb0ES3_N6thrust23THRUST_200600_302600_NS6detail15normal_iteratorINS9_10device_ptrIiEEEENSB_INSC_IjEEEENSB_INSC_IfEEEEjNS9_4plusIvEENS9_8equal_toIvEEjEE10hipError_tPvRmT2_T3_T4_T5_mT6_T7_P12ihipStream_tbENKUlT_T0_E_clISt17integral_constantIbLb0EES12_IbLb1EEEEDaSY_SZ_EUlSY_E_NS1_11comp_targetILNS1_3genE10ELNS1_11target_archE1200ELNS1_3gpuE4ELNS1_3repE0EEENS1_30default_config_static_selectorELNS0_4arch9wavefront6targetE1EEEvT1_
                                        ; -- End function
	.section	.AMDGPU.csdata,"",@progbits
; Kernel info:
; codeLenInByte = 0
; NumSgprs: 6
; NumVgprs: 0
; NumAgprs: 0
; TotalNumVgprs: 0
; ScratchSize: 0
; MemoryBound: 0
; FloatMode: 240
; IeeeMode: 1
; LDSByteSize: 0 bytes/workgroup (compile time only)
; SGPRBlocks: 0
; VGPRBlocks: 0
; NumSGPRsForWavesPerEU: 6
; NumVGPRsForWavesPerEU: 1
; AccumOffset: 4
; Occupancy: 8
; WaveLimiterHint : 0
; COMPUTE_PGM_RSRC2:SCRATCH_EN: 0
; COMPUTE_PGM_RSRC2:USER_SGPR: 2
; COMPUTE_PGM_RSRC2:TRAP_HANDLER: 0
; COMPUTE_PGM_RSRC2:TGID_X_EN: 1
; COMPUTE_PGM_RSRC2:TGID_Y_EN: 0
; COMPUTE_PGM_RSRC2:TGID_Z_EN: 0
; COMPUTE_PGM_RSRC2:TIDIG_COMP_CNT: 0
; COMPUTE_PGM_RSRC3_GFX90A:ACCUM_OFFSET: 0
; COMPUTE_PGM_RSRC3_GFX90A:TG_SPLIT: 0
	.section	.text._ZN7rocprim17ROCPRIM_400000_NS6detail17trampoline_kernelINS0_14default_configENS1_27scan_by_key_config_selectorIijEEZZNS1_16scan_by_key_implILNS1_25lookback_scan_determinismE0ELb0ES3_N6thrust23THRUST_200600_302600_NS6detail15normal_iteratorINS9_10device_ptrIiEEEENSB_INSC_IjEEEENSB_INSC_IfEEEEjNS9_4plusIvEENS9_8equal_toIvEEjEE10hipError_tPvRmT2_T3_T4_T5_mT6_T7_P12ihipStream_tbENKUlT_T0_E_clISt17integral_constantIbLb0EES12_IbLb1EEEEDaSY_SZ_EUlSY_E_NS1_11comp_targetILNS1_3genE9ELNS1_11target_archE1100ELNS1_3gpuE3ELNS1_3repE0EEENS1_30default_config_static_selectorELNS0_4arch9wavefront6targetE1EEEvT1_,"axG",@progbits,_ZN7rocprim17ROCPRIM_400000_NS6detail17trampoline_kernelINS0_14default_configENS1_27scan_by_key_config_selectorIijEEZZNS1_16scan_by_key_implILNS1_25lookback_scan_determinismE0ELb0ES3_N6thrust23THRUST_200600_302600_NS6detail15normal_iteratorINS9_10device_ptrIiEEEENSB_INSC_IjEEEENSB_INSC_IfEEEEjNS9_4plusIvEENS9_8equal_toIvEEjEE10hipError_tPvRmT2_T3_T4_T5_mT6_T7_P12ihipStream_tbENKUlT_T0_E_clISt17integral_constantIbLb0EES12_IbLb1EEEEDaSY_SZ_EUlSY_E_NS1_11comp_targetILNS1_3genE9ELNS1_11target_archE1100ELNS1_3gpuE3ELNS1_3repE0EEENS1_30default_config_static_selectorELNS0_4arch9wavefront6targetE1EEEvT1_,comdat
	.protected	_ZN7rocprim17ROCPRIM_400000_NS6detail17trampoline_kernelINS0_14default_configENS1_27scan_by_key_config_selectorIijEEZZNS1_16scan_by_key_implILNS1_25lookback_scan_determinismE0ELb0ES3_N6thrust23THRUST_200600_302600_NS6detail15normal_iteratorINS9_10device_ptrIiEEEENSB_INSC_IjEEEENSB_INSC_IfEEEEjNS9_4plusIvEENS9_8equal_toIvEEjEE10hipError_tPvRmT2_T3_T4_T5_mT6_T7_P12ihipStream_tbENKUlT_T0_E_clISt17integral_constantIbLb0EES12_IbLb1EEEEDaSY_SZ_EUlSY_E_NS1_11comp_targetILNS1_3genE9ELNS1_11target_archE1100ELNS1_3gpuE3ELNS1_3repE0EEENS1_30default_config_static_selectorELNS0_4arch9wavefront6targetE1EEEvT1_ ; -- Begin function _ZN7rocprim17ROCPRIM_400000_NS6detail17trampoline_kernelINS0_14default_configENS1_27scan_by_key_config_selectorIijEEZZNS1_16scan_by_key_implILNS1_25lookback_scan_determinismE0ELb0ES3_N6thrust23THRUST_200600_302600_NS6detail15normal_iteratorINS9_10device_ptrIiEEEENSB_INSC_IjEEEENSB_INSC_IfEEEEjNS9_4plusIvEENS9_8equal_toIvEEjEE10hipError_tPvRmT2_T3_T4_T5_mT6_T7_P12ihipStream_tbENKUlT_T0_E_clISt17integral_constantIbLb0EES12_IbLb1EEEEDaSY_SZ_EUlSY_E_NS1_11comp_targetILNS1_3genE9ELNS1_11target_archE1100ELNS1_3gpuE3ELNS1_3repE0EEENS1_30default_config_static_selectorELNS0_4arch9wavefront6targetE1EEEvT1_
	.globl	_ZN7rocprim17ROCPRIM_400000_NS6detail17trampoline_kernelINS0_14default_configENS1_27scan_by_key_config_selectorIijEEZZNS1_16scan_by_key_implILNS1_25lookback_scan_determinismE0ELb0ES3_N6thrust23THRUST_200600_302600_NS6detail15normal_iteratorINS9_10device_ptrIiEEEENSB_INSC_IjEEEENSB_INSC_IfEEEEjNS9_4plusIvEENS9_8equal_toIvEEjEE10hipError_tPvRmT2_T3_T4_T5_mT6_T7_P12ihipStream_tbENKUlT_T0_E_clISt17integral_constantIbLb0EES12_IbLb1EEEEDaSY_SZ_EUlSY_E_NS1_11comp_targetILNS1_3genE9ELNS1_11target_archE1100ELNS1_3gpuE3ELNS1_3repE0EEENS1_30default_config_static_selectorELNS0_4arch9wavefront6targetE1EEEvT1_
	.p2align	8
	.type	_ZN7rocprim17ROCPRIM_400000_NS6detail17trampoline_kernelINS0_14default_configENS1_27scan_by_key_config_selectorIijEEZZNS1_16scan_by_key_implILNS1_25lookback_scan_determinismE0ELb0ES3_N6thrust23THRUST_200600_302600_NS6detail15normal_iteratorINS9_10device_ptrIiEEEENSB_INSC_IjEEEENSB_INSC_IfEEEEjNS9_4plusIvEENS9_8equal_toIvEEjEE10hipError_tPvRmT2_T3_T4_T5_mT6_T7_P12ihipStream_tbENKUlT_T0_E_clISt17integral_constantIbLb0EES12_IbLb1EEEEDaSY_SZ_EUlSY_E_NS1_11comp_targetILNS1_3genE9ELNS1_11target_archE1100ELNS1_3gpuE3ELNS1_3repE0EEENS1_30default_config_static_selectorELNS0_4arch9wavefront6targetE1EEEvT1_,@function
_ZN7rocprim17ROCPRIM_400000_NS6detail17trampoline_kernelINS0_14default_configENS1_27scan_by_key_config_selectorIijEEZZNS1_16scan_by_key_implILNS1_25lookback_scan_determinismE0ELb0ES3_N6thrust23THRUST_200600_302600_NS6detail15normal_iteratorINS9_10device_ptrIiEEEENSB_INSC_IjEEEENSB_INSC_IfEEEEjNS9_4plusIvEENS9_8equal_toIvEEjEE10hipError_tPvRmT2_T3_T4_T5_mT6_T7_P12ihipStream_tbENKUlT_T0_E_clISt17integral_constantIbLb0EES12_IbLb1EEEEDaSY_SZ_EUlSY_E_NS1_11comp_targetILNS1_3genE9ELNS1_11target_archE1100ELNS1_3gpuE3ELNS1_3repE0EEENS1_30default_config_static_selectorELNS0_4arch9wavefront6targetE1EEEvT1_: ; @_ZN7rocprim17ROCPRIM_400000_NS6detail17trampoline_kernelINS0_14default_configENS1_27scan_by_key_config_selectorIijEEZZNS1_16scan_by_key_implILNS1_25lookback_scan_determinismE0ELb0ES3_N6thrust23THRUST_200600_302600_NS6detail15normal_iteratorINS9_10device_ptrIiEEEENSB_INSC_IjEEEENSB_INSC_IfEEEEjNS9_4plusIvEENS9_8equal_toIvEEjEE10hipError_tPvRmT2_T3_T4_T5_mT6_T7_P12ihipStream_tbENKUlT_T0_E_clISt17integral_constantIbLb0EES12_IbLb1EEEEDaSY_SZ_EUlSY_E_NS1_11comp_targetILNS1_3genE9ELNS1_11target_archE1100ELNS1_3gpuE3ELNS1_3repE0EEENS1_30default_config_static_selectorELNS0_4arch9wavefront6targetE1EEEvT1_
; %bb.0:
	.section	.rodata,"a",@progbits
	.p2align	6, 0x0
	.amdhsa_kernel _ZN7rocprim17ROCPRIM_400000_NS6detail17trampoline_kernelINS0_14default_configENS1_27scan_by_key_config_selectorIijEEZZNS1_16scan_by_key_implILNS1_25lookback_scan_determinismE0ELb0ES3_N6thrust23THRUST_200600_302600_NS6detail15normal_iteratorINS9_10device_ptrIiEEEENSB_INSC_IjEEEENSB_INSC_IfEEEEjNS9_4plusIvEENS9_8equal_toIvEEjEE10hipError_tPvRmT2_T3_T4_T5_mT6_T7_P12ihipStream_tbENKUlT_T0_E_clISt17integral_constantIbLb0EES12_IbLb1EEEEDaSY_SZ_EUlSY_E_NS1_11comp_targetILNS1_3genE9ELNS1_11target_archE1100ELNS1_3gpuE3ELNS1_3repE0EEENS1_30default_config_static_selectorELNS0_4arch9wavefront6targetE1EEEvT1_
		.amdhsa_group_segment_fixed_size 0
		.amdhsa_private_segment_fixed_size 0
		.amdhsa_kernarg_size 112
		.amdhsa_user_sgpr_count 2
		.amdhsa_user_sgpr_dispatch_ptr 0
		.amdhsa_user_sgpr_queue_ptr 0
		.amdhsa_user_sgpr_kernarg_segment_ptr 1
		.amdhsa_user_sgpr_dispatch_id 0
		.amdhsa_user_sgpr_kernarg_preload_length 0
		.amdhsa_user_sgpr_kernarg_preload_offset 0
		.amdhsa_user_sgpr_private_segment_size 0
		.amdhsa_uses_dynamic_stack 0
		.amdhsa_enable_private_segment 0
		.amdhsa_system_sgpr_workgroup_id_x 1
		.amdhsa_system_sgpr_workgroup_id_y 0
		.amdhsa_system_sgpr_workgroup_id_z 0
		.amdhsa_system_sgpr_workgroup_info 0
		.amdhsa_system_vgpr_workitem_id 0
		.amdhsa_next_free_vgpr 1
		.amdhsa_next_free_sgpr 0
		.amdhsa_accum_offset 4
		.amdhsa_reserve_vcc 0
		.amdhsa_float_round_mode_32 0
		.amdhsa_float_round_mode_16_64 0
		.amdhsa_float_denorm_mode_32 3
		.amdhsa_float_denorm_mode_16_64 3
		.amdhsa_dx10_clamp 1
		.amdhsa_ieee_mode 1
		.amdhsa_fp16_overflow 0
		.amdhsa_tg_split 0
		.amdhsa_exception_fp_ieee_invalid_op 0
		.amdhsa_exception_fp_denorm_src 0
		.amdhsa_exception_fp_ieee_div_zero 0
		.amdhsa_exception_fp_ieee_overflow 0
		.amdhsa_exception_fp_ieee_underflow 0
		.amdhsa_exception_fp_ieee_inexact 0
		.amdhsa_exception_int_div_zero 0
	.end_amdhsa_kernel
	.section	.text._ZN7rocprim17ROCPRIM_400000_NS6detail17trampoline_kernelINS0_14default_configENS1_27scan_by_key_config_selectorIijEEZZNS1_16scan_by_key_implILNS1_25lookback_scan_determinismE0ELb0ES3_N6thrust23THRUST_200600_302600_NS6detail15normal_iteratorINS9_10device_ptrIiEEEENSB_INSC_IjEEEENSB_INSC_IfEEEEjNS9_4plusIvEENS9_8equal_toIvEEjEE10hipError_tPvRmT2_T3_T4_T5_mT6_T7_P12ihipStream_tbENKUlT_T0_E_clISt17integral_constantIbLb0EES12_IbLb1EEEEDaSY_SZ_EUlSY_E_NS1_11comp_targetILNS1_3genE9ELNS1_11target_archE1100ELNS1_3gpuE3ELNS1_3repE0EEENS1_30default_config_static_selectorELNS0_4arch9wavefront6targetE1EEEvT1_,"axG",@progbits,_ZN7rocprim17ROCPRIM_400000_NS6detail17trampoline_kernelINS0_14default_configENS1_27scan_by_key_config_selectorIijEEZZNS1_16scan_by_key_implILNS1_25lookback_scan_determinismE0ELb0ES3_N6thrust23THRUST_200600_302600_NS6detail15normal_iteratorINS9_10device_ptrIiEEEENSB_INSC_IjEEEENSB_INSC_IfEEEEjNS9_4plusIvEENS9_8equal_toIvEEjEE10hipError_tPvRmT2_T3_T4_T5_mT6_T7_P12ihipStream_tbENKUlT_T0_E_clISt17integral_constantIbLb0EES12_IbLb1EEEEDaSY_SZ_EUlSY_E_NS1_11comp_targetILNS1_3genE9ELNS1_11target_archE1100ELNS1_3gpuE3ELNS1_3repE0EEENS1_30default_config_static_selectorELNS0_4arch9wavefront6targetE1EEEvT1_,comdat
.Lfunc_end1678:
	.size	_ZN7rocprim17ROCPRIM_400000_NS6detail17trampoline_kernelINS0_14default_configENS1_27scan_by_key_config_selectorIijEEZZNS1_16scan_by_key_implILNS1_25lookback_scan_determinismE0ELb0ES3_N6thrust23THRUST_200600_302600_NS6detail15normal_iteratorINS9_10device_ptrIiEEEENSB_INSC_IjEEEENSB_INSC_IfEEEEjNS9_4plusIvEENS9_8equal_toIvEEjEE10hipError_tPvRmT2_T3_T4_T5_mT6_T7_P12ihipStream_tbENKUlT_T0_E_clISt17integral_constantIbLb0EES12_IbLb1EEEEDaSY_SZ_EUlSY_E_NS1_11comp_targetILNS1_3genE9ELNS1_11target_archE1100ELNS1_3gpuE3ELNS1_3repE0EEENS1_30default_config_static_selectorELNS0_4arch9wavefront6targetE1EEEvT1_, .Lfunc_end1678-_ZN7rocprim17ROCPRIM_400000_NS6detail17trampoline_kernelINS0_14default_configENS1_27scan_by_key_config_selectorIijEEZZNS1_16scan_by_key_implILNS1_25lookback_scan_determinismE0ELb0ES3_N6thrust23THRUST_200600_302600_NS6detail15normal_iteratorINS9_10device_ptrIiEEEENSB_INSC_IjEEEENSB_INSC_IfEEEEjNS9_4plusIvEENS9_8equal_toIvEEjEE10hipError_tPvRmT2_T3_T4_T5_mT6_T7_P12ihipStream_tbENKUlT_T0_E_clISt17integral_constantIbLb0EES12_IbLb1EEEEDaSY_SZ_EUlSY_E_NS1_11comp_targetILNS1_3genE9ELNS1_11target_archE1100ELNS1_3gpuE3ELNS1_3repE0EEENS1_30default_config_static_selectorELNS0_4arch9wavefront6targetE1EEEvT1_
                                        ; -- End function
	.section	.AMDGPU.csdata,"",@progbits
; Kernel info:
; codeLenInByte = 0
; NumSgprs: 6
; NumVgprs: 0
; NumAgprs: 0
; TotalNumVgprs: 0
; ScratchSize: 0
; MemoryBound: 0
; FloatMode: 240
; IeeeMode: 1
; LDSByteSize: 0 bytes/workgroup (compile time only)
; SGPRBlocks: 0
; VGPRBlocks: 0
; NumSGPRsForWavesPerEU: 6
; NumVGPRsForWavesPerEU: 1
; AccumOffset: 4
; Occupancy: 8
; WaveLimiterHint : 0
; COMPUTE_PGM_RSRC2:SCRATCH_EN: 0
; COMPUTE_PGM_RSRC2:USER_SGPR: 2
; COMPUTE_PGM_RSRC2:TRAP_HANDLER: 0
; COMPUTE_PGM_RSRC2:TGID_X_EN: 1
; COMPUTE_PGM_RSRC2:TGID_Y_EN: 0
; COMPUTE_PGM_RSRC2:TGID_Z_EN: 0
; COMPUTE_PGM_RSRC2:TIDIG_COMP_CNT: 0
; COMPUTE_PGM_RSRC3_GFX90A:ACCUM_OFFSET: 0
; COMPUTE_PGM_RSRC3_GFX90A:TG_SPLIT: 0
	.section	.text._ZN7rocprim17ROCPRIM_400000_NS6detail17trampoline_kernelINS0_14default_configENS1_27scan_by_key_config_selectorIijEEZZNS1_16scan_by_key_implILNS1_25lookback_scan_determinismE0ELb0ES3_N6thrust23THRUST_200600_302600_NS6detail15normal_iteratorINS9_10device_ptrIiEEEENSB_INSC_IjEEEENSB_INSC_IfEEEEjNS9_4plusIvEENS9_8equal_toIvEEjEE10hipError_tPvRmT2_T3_T4_T5_mT6_T7_P12ihipStream_tbENKUlT_T0_E_clISt17integral_constantIbLb0EES12_IbLb1EEEEDaSY_SZ_EUlSY_E_NS1_11comp_targetILNS1_3genE8ELNS1_11target_archE1030ELNS1_3gpuE2ELNS1_3repE0EEENS1_30default_config_static_selectorELNS0_4arch9wavefront6targetE1EEEvT1_,"axG",@progbits,_ZN7rocprim17ROCPRIM_400000_NS6detail17trampoline_kernelINS0_14default_configENS1_27scan_by_key_config_selectorIijEEZZNS1_16scan_by_key_implILNS1_25lookback_scan_determinismE0ELb0ES3_N6thrust23THRUST_200600_302600_NS6detail15normal_iteratorINS9_10device_ptrIiEEEENSB_INSC_IjEEEENSB_INSC_IfEEEEjNS9_4plusIvEENS9_8equal_toIvEEjEE10hipError_tPvRmT2_T3_T4_T5_mT6_T7_P12ihipStream_tbENKUlT_T0_E_clISt17integral_constantIbLb0EES12_IbLb1EEEEDaSY_SZ_EUlSY_E_NS1_11comp_targetILNS1_3genE8ELNS1_11target_archE1030ELNS1_3gpuE2ELNS1_3repE0EEENS1_30default_config_static_selectorELNS0_4arch9wavefront6targetE1EEEvT1_,comdat
	.protected	_ZN7rocprim17ROCPRIM_400000_NS6detail17trampoline_kernelINS0_14default_configENS1_27scan_by_key_config_selectorIijEEZZNS1_16scan_by_key_implILNS1_25lookback_scan_determinismE0ELb0ES3_N6thrust23THRUST_200600_302600_NS6detail15normal_iteratorINS9_10device_ptrIiEEEENSB_INSC_IjEEEENSB_INSC_IfEEEEjNS9_4plusIvEENS9_8equal_toIvEEjEE10hipError_tPvRmT2_T3_T4_T5_mT6_T7_P12ihipStream_tbENKUlT_T0_E_clISt17integral_constantIbLb0EES12_IbLb1EEEEDaSY_SZ_EUlSY_E_NS1_11comp_targetILNS1_3genE8ELNS1_11target_archE1030ELNS1_3gpuE2ELNS1_3repE0EEENS1_30default_config_static_selectorELNS0_4arch9wavefront6targetE1EEEvT1_ ; -- Begin function _ZN7rocprim17ROCPRIM_400000_NS6detail17trampoline_kernelINS0_14default_configENS1_27scan_by_key_config_selectorIijEEZZNS1_16scan_by_key_implILNS1_25lookback_scan_determinismE0ELb0ES3_N6thrust23THRUST_200600_302600_NS6detail15normal_iteratorINS9_10device_ptrIiEEEENSB_INSC_IjEEEENSB_INSC_IfEEEEjNS9_4plusIvEENS9_8equal_toIvEEjEE10hipError_tPvRmT2_T3_T4_T5_mT6_T7_P12ihipStream_tbENKUlT_T0_E_clISt17integral_constantIbLb0EES12_IbLb1EEEEDaSY_SZ_EUlSY_E_NS1_11comp_targetILNS1_3genE8ELNS1_11target_archE1030ELNS1_3gpuE2ELNS1_3repE0EEENS1_30default_config_static_selectorELNS0_4arch9wavefront6targetE1EEEvT1_
	.globl	_ZN7rocprim17ROCPRIM_400000_NS6detail17trampoline_kernelINS0_14default_configENS1_27scan_by_key_config_selectorIijEEZZNS1_16scan_by_key_implILNS1_25lookback_scan_determinismE0ELb0ES3_N6thrust23THRUST_200600_302600_NS6detail15normal_iteratorINS9_10device_ptrIiEEEENSB_INSC_IjEEEENSB_INSC_IfEEEEjNS9_4plusIvEENS9_8equal_toIvEEjEE10hipError_tPvRmT2_T3_T4_T5_mT6_T7_P12ihipStream_tbENKUlT_T0_E_clISt17integral_constantIbLb0EES12_IbLb1EEEEDaSY_SZ_EUlSY_E_NS1_11comp_targetILNS1_3genE8ELNS1_11target_archE1030ELNS1_3gpuE2ELNS1_3repE0EEENS1_30default_config_static_selectorELNS0_4arch9wavefront6targetE1EEEvT1_
	.p2align	8
	.type	_ZN7rocprim17ROCPRIM_400000_NS6detail17trampoline_kernelINS0_14default_configENS1_27scan_by_key_config_selectorIijEEZZNS1_16scan_by_key_implILNS1_25lookback_scan_determinismE0ELb0ES3_N6thrust23THRUST_200600_302600_NS6detail15normal_iteratorINS9_10device_ptrIiEEEENSB_INSC_IjEEEENSB_INSC_IfEEEEjNS9_4plusIvEENS9_8equal_toIvEEjEE10hipError_tPvRmT2_T3_T4_T5_mT6_T7_P12ihipStream_tbENKUlT_T0_E_clISt17integral_constantIbLb0EES12_IbLb1EEEEDaSY_SZ_EUlSY_E_NS1_11comp_targetILNS1_3genE8ELNS1_11target_archE1030ELNS1_3gpuE2ELNS1_3repE0EEENS1_30default_config_static_selectorELNS0_4arch9wavefront6targetE1EEEvT1_,@function
_ZN7rocprim17ROCPRIM_400000_NS6detail17trampoline_kernelINS0_14default_configENS1_27scan_by_key_config_selectorIijEEZZNS1_16scan_by_key_implILNS1_25lookback_scan_determinismE0ELb0ES3_N6thrust23THRUST_200600_302600_NS6detail15normal_iteratorINS9_10device_ptrIiEEEENSB_INSC_IjEEEENSB_INSC_IfEEEEjNS9_4plusIvEENS9_8equal_toIvEEjEE10hipError_tPvRmT2_T3_T4_T5_mT6_T7_P12ihipStream_tbENKUlT_T0_E_clISt17integral_constantIbLb0EES12_IbLb1EEEEDaSY_SZ_EUlSY_E_NS1_11comp_targetILNS1_3genE8ELNS1_11target_archE1030ELNS1_3gpuE2ELNS1_3repE0EEENS1_30default_config_static_selectorELNS0_4arch9wavefront6targetE1EEEvT1_: ; @_ZN7rocprim17ROCPRIM_400000_NS6detail17trampoline_kernelINS0_14default_configENS1_27scan_by_key_config_selectorIijEEZZNS1_16scan_by_key_implILNS1_25lookback_scan_determinismE0ELb0ES3_N6thrust23THRUST_200600_302600_NS6detail15normal_iteratorINS9_10device_ptrIiEEEENSB_INSC_IjEEEENSB_INSC_IfEEEEjNS9_4plusIvEENS9_8equal_toIvEEjEE10hipError_tPvRmT2_T3_T4_T5_mT6_T7_P12ihipStream_tbENKUlT_T0_E_clISt17integral_constantIbLb0EES12_IbLb1EEEEDaSY_SZ_EUlSY_E_NS1_11comp_targetILNS1_3genE8ELNS1_11target_archE1030ELNS1_3gpuE2ELNS1_3repE0EEENS1_30default_config_static_selectorELNS0_4arch9wavefront6targetE1EEEvT1_
; %bb.0:
	.section	.rodata,"a",@progbits
	.p2align	6, 0x0
	.amdhsa_kernel _ZN7rocprim17ROCPRIM_400000_NS6detail17trampoline_kernelINS0_14default_configENS1_27scan_by_key_config_selectorIijEEZZNS1_16scan_by_key_implILNS1_25lookback_scan_determinismE0ELb0ES3_N6thrust23THRUST_200600_302600_NS6detail15normal_iteratorINS9_10device_ptrIiEEEENSB_INSC_IjEEEENSB_INSC_IfEEEEjNS9_4plusIvEENS9_8equal_toIvEEjEE10hipError_tPvRmT2_T3_T4_T5_mT6_T7_P12ihipStream_tbENKUlT_T0_E_clISt17integral_constantIbLb0EES12_IbLb1EEEEDaSY_SZ_EUlSY_E_NS1_11comp_targetILNS1_3genE8ELNS1_11target_archE1030ELNS1_3gpuE2ELNS1_3repE0EEENS1_30default_config_static_selectorELNS0_4arch9wavefront6targetE1EEEvT1_
		.amdhsa_group_segment_fixed_size 0
		.amdhsa_private_segment_fixed_size 0
		.amdhsa_kernarg_size 112
		.amdhsa_user_sgpr_count 2
		.amdhsa_user_sgpr_dispatch_ptr 0
		.amdhsa_user_sgpr_queue_ptr 0
		.amdhsa_user_sgpr_kernarg_segment_ptr 1
		.amdhsa_user_sgpr_dispatch_id 0
		.amdhsa_user_sgpr_kernarg_preload_length 0
		.amdhsa_user_sgpr_kernarg_preload_offset 0
		.amdhsa_user_sgpr_private_segment_size 0
		.amdhsa_uses_dynamic_stack 0
		.amdhsa_enable_private_segment 0
		.amdhsa_system_sgpr_workgroup_id_x 1
		.amdhsa_system_sgpr_workgroup_id_y 0
		.amdhsa_system_sgpr_workgroup_id_z 0
		.amdhsa_system_sgpr_workgroup_info 0
		.amdhsa_system_vgpr_workitem_id 0
		.amdhsa_next_free_vgpr 1
		.amdhsa_next_free_sgpr 0
		.amdhsa_accum_offset 4
		.amdhsa_reserve_vcc 0
		.amdhsa_float_round_mode_32 0
		.amdhsa_float_round_mode_16_64 0
		.amdhsa_float_denorm_mode_32 3
		.amdhsa_float_denorm_mode_16_64 3
		.amdhsa_dx10_clamp 1
		.amdhsa_ieee_mode 1
		.amdhsa_fp16_overflow 0
		.amdhsa_tg_split 0
		.amdhsa_exception_fp_ieee_invalid_op 0
		.amdhsa_exception_fp_denorm_src 0
		.amdhsa_exception_fp_ieee_div_zero 0
		.amdhsa_exception_fp_ieee_overflow 0
		.amdhsa_exception_fp_ieee_underflow 0
		.amdhsa_exception_fp_ieee_inexact 0
		.amdhsa_exception_int_div_zero 0
	.end_amdhsa_kernel
	.section	.text._ZN7rocprim17ROCPRIM_400000_NS6detail17trampoline_kernelINS0_14default_configENS1_27scan_by_key_config_selectorIijEEZZNS1_16scan_by_key_implILNS1_25lookback_scan_determinismE0ELb0ES3_N6thrust23THRUST_200600_302600_NS6detail15normal_iteratorINS9_10device_ptrIiEEEENSB_INSC_IjEEEENSB_INSC_IfEEEEjNS9_4plusIvEENS9_8equal_toIvEEjEE10hipError_tPvRmT2_T3_T4_T5_mT6_T7_P12ihipStream_tbENKUlT_T0_E_clISt17integral_constantIbLb0EES12_IbLb1EEEEDaSY_SZ_EUlSY_E_NS1_11comp_targetILNS1_3genE8ELNS1_11target_archE1030ELNS1_3gpuE2ELNS1_3repE0EEENS1_30default_config_static_selectorELNS0_4arch9wavefront6targetE1EEEvT1_,"axG",@progbits,_ZN7rocprim17ROCPRIM_400000_NS6detail17trampoline_kernelINS0_14default_configENS1_27scan_by_key_config_selectorIijEEZZNS1_16scan_by_key_implILNS1_25lookback_scan_determinismE0ELb0ES3_N6thrust23THRUST_200600_302600_NS6detail15normal_iteratorINS9_10device_ptrIiEEEENSB_INSC_IjEEEENSB_INSC_IfEEEEjNS9_4plusIvEENS9_8equal_toIvEEjEE10hipError_tPvRmT2_T3_T4_T5_mT6_T7_P12ihipStream_tbENKUlT_T0_E_clISt17integral_constantIbLb0EES12_IbLb1EEEEDaSY_SZ_EUlSY_E_NS1_11comp_targetILNS1_3genE8ELNS1_11target_archE1030ELNS1_3gpuE2ELNS1_3repE0EEENS1_30default_config_static_selectorELNS0_4arch9wavefront6targetE1EEEvT1_,comdat
.Lfunc_end1679:
	.size	_ZN7rocprim17ROCPRIM_400000_NS6detail17trampoline_kernelINS0_14default_configENS1_27scan_by_key_config_selectorIijEEZZNS1_16scan_by_key_implILNS1_25lookback_scan_determinismE0ELb0ES3_N6thrust23THRUST_200600_302600_NS6detail15normal_iteratorINS9_10device_ptrIiEEEENSB_INSC_IjEEEENSB_INSC_IfEEEEjNS9_4plusIvEENS9_8equal_toIvEEjEE10hipError_tPvRmT2_T3_T4_T5_mT6_T7_P12ihipStream_tbENKUlT_T0_E_clISt17integral_constantIbLb0EES12_IbLb1EEEEDaSY_SZ_EUlSY_E_NS1_11comp_targetILNS1_3genE8ELNS1_11target_archE1030ELNS1_3gpuE2ELNS1_3repE0EEENS1_30default_config_static_selectorELNS0_4arch9wavefront6targetE1EEEvT1_, .Lfunc_end1679-_ZN7rocprim17ROCPRIM_400000_NS6detail17trampoline_kernelINS0_14default_configENS1_27scan_by_key_config_selectorIijEEZZNS1_16scan_by_key_implILNS1_25lookback_scan_determinismE0ELb0ES3_N6thrust23THRUST_200600_302600_NS6detail15normal_iteratorINS9_10device_ptrIiEEEENSB_INSC_IjEEEENSB_INSC_IfEEEEjNS9_4plusIvEENS9_8equal_toIvEEjEE10hipError_tPvRmT2_T3_T4_T5_mT6_T7_P12ihipStream_tbENKUlT_T0_E_clISt17integral_constantIbLb0EES12_IbLb1EEEEDaSY_SZ_EUlSY_E_NS1_11comp_targetILNS1_3genE8ELNS1_11target_archE1030ELNS1_3gpuE2ELNS1_3repE0EEENS1_30default_config_static_selectorELNS0_4arch9wavefront6targetE1EEEvT1_
                                        ; -- End function
	.section	.AMDGPU.csdata,"",@progbits
; Kernel info:
; codeLenInByte = 0
; NumSgprs: 6
; NumVgprs: 0
; NumAgprs: 0
; TotalNumVgprs: 0
; ScratchSize: 0
; MemoryBound: 0
; FloatMode: 240
; IeeeMode: 1
; LDSByteSize: 0 bytes/workgroup (compile time only)
; SGPRBlocks: 0
; VGPRBlocks: 0
; NumSGPRsForWavesPerEU: 6
; NumVGPRsForWavesPerEU: 1
; AccumOffset: 4
; Occupancy: 8
; WaveLimiterHint : 0
; COMPUTE_PGM_RSRC2:SCRATCH_EN: 0
; COMPUTE_PGM_RSRC2:USER_SGPR: 2
; COMPUTE_PGM_RSRC2:TRAP_HANDLER: 0
; COMPUTE_PGM_RSRC2:TGID_X_EN: 1
; COMPUTE_PGM_RSRC2:TGID_Y_EN: 0
; COMPUTE_PGM_RSRC2:TGID_Z_EN: 0
; COMPUTE_PGM_RSRC2:TIDIG_COMP_CNT: 0
; COMPUTE_PGM_RSRC3_GFX90A:ACCUM_OFFSET: 0
; COMPUTE_PGM_RSRC3_GFX90A:TG_SPLIT: 0
	.section	.text._ZN7rocprim17ROCPRIM_400000_NS6detail17trampoline_kernelINS0_14default_configENS1_27scan_by_key_config_selectorIifEEZZNS1_16scan_by_key_implILNS1_25lookback_scan_determinismE0ELb1ES3_N6thrust23THRUST_200600_302600_NS6detail15normal_iteratorINS9_10device_ptrIiEEEENSB_INSC_IjEEEENSB_INSC_IfEEEEfNS9_4plusIvEENS9_8equal_toIvEEfEE10hipError_tPvRmT2_T3_T4_T5_mT6_T7_P12ihipStream_tbENKUlT_T0_E_clISt17integral_constantIbLb0EES13_EEDaSY_SZ_EUlSY_E_NS1_11comp_targetILNS1_3genE0ELNS1_11target_archE4294967295ELNS1_3gpuE0ELNS1_3repE0EEENS1_30default_config_static_selectorELNS0_4arch9wavefront6targetE1EEEvT1_,"axG",@progbits,_ZN7rocprim17ROCPRIM_400000_NS6detail17trampoline_kernelINS0_14default_configENS1_27scan_by_key_config_selectorIifEEZZNS1_16scan_by_key_implILNS1_25lookback_scan_determinismE0ELb1ES3_N6thrust23THRUST_200600_302600_NS6detail15normal_iteratorINS9_10device_ptrIiEEEENSB_INSC_IjEEEENSB_INSC_IfEEEEfNS9_4plusIvEENS9_8equal_toIvEEfEE10hipError_tPvRmT2_T3_T4_T5_mT6_T7_P12ihipStream_tbENKUlT_T0_E_clISt17integral_constantIbLb0EES13_EEDaSY_SZ_EUlSY_E_NS1_11comp_targetILNS1_3genE0ELNS1_11target_archE4294967295ELNS1_3gpuE0ELNS1_3repE0EEENS1_30default_config_static_selectorELNS0_4arch9wavefront6targetE1EEEvT1_,comdat
	.protected	_ZN7rocprim17ROCPRIM_400000_NS6detail17trampoline_kernelINS0_14default_configENS1_27scan_by_key_config_selectorIifEEZZNS1_16scan_by_key_implILNS1_25lookback_scan_determinismE0ELb1ES3_N6thrust23THRUST_200600_302600_NS6detail15normal_iteratorINS9_10device_ptrIiEEEENSB_INSC_IjEEEENSB_INSC_IfEEEEfNS9_4plusIvEENS9_8equal_toIvEEfEE10hipError_tPvRmT2_T3_T4_T5_mT6_T7_P12ihipStream_tbENKUlT_T0_E_clISt17integral_constantIbLb0EES13_EEDaSY_SZ_EUlSY_E_NS1_11comp_targetILNS1_3genE0ELNS1_11target_archE4294967295ELNS1_3gpuE0ELNS1_3repE0EEENS1_30default_config_static_selectorELNS0_4arch9wavefront6targetE1EEEvT1_ ; -- Begin function _ZN7rocprim17ROCPRIM_400000_NS6detail17trampoline_kernelINS0_14default_configENS1_27scan_by_key_config_selectorIifEEZZNS1_16scan_by_key_implILNS1_25lookback_scan_determinismE0ELb1ES3_N6thrust23THRUST_200600_302600_NS6detail15normal_iteratorINS9_10device_ptrIiEEEENSB_INSC_IjEEEENSB_INSC_IfEEEEfNS9_4plusIvEENS9_8equal_toIvEEfEE10hipError_tPvRmT2_T3_T4_T5_mT6_T7_P12ihipStream_tbENKUlT_T0_E_clISt17integral_constantIbLb0EES13_EEDaSY_SZ_EUlSY_E_NS1_11comp_targetILNS1_3genE0ELNS1_11target_archE4294967295ELNS1_3gpuE0ELNS1_3repE0EEENS1_30default_config_static_selectorELNS0_4arch9wavefront6targetE1EEEvT1_
	.globl	_ZN7rocprim17ROCPRIM_400000_NS6detail17trampoline_kernelINS0_14default_configENS1_27scan_by_key_config_selectorIifEEZZNS1_16scan_by_key_implILNS1_25lookback_scan_determinismE0ELb1ES3_N6thrust23THRUST_200600_302600_NS6detail15normal_iteratorINS9_10device_ptrIiEEEENSB_INSC_IjEEEENSB_INSC_IfEEEEfNS9_4plusIvEENS9_8equal_toIvEEfEE10hipError_tPvRmT2_T3_T4_T5_mT6_T7_P12ihipStream_tbENKUlT_T0_E_clISt17integral_constantIbLb0EES13_EEDaSY_SZ_EUlSY_E_NS1_11comp_targetILNS1_3genE0ELNS1_11target_archE4294967295ELNS1_3gpuE0ELNS1_3repE0EEENS1_30default_config_static_selectorELNS0_4arch9wavefront6targetE1EEEvT1_
	.p2align	8
	.type	_ZN7rocprim17ROCPRIM_400000_NS6detail17trampoline_kernelINS0_14default_configENS1_27scan_by_key_config_selectorIifEEZZNS1_16scan_by_key_implILNS1_25lookback_scan_determinismE0ELb1ES3_N6thrust23THRUST_200600_302600_NS6detail15normal_iteratorINS9_10device_ptrIiEEEENSB_INSC_IjEEEENSB_INSC_IfEEEEfNS9_4plusIvEENS9_8equal_toIvEEfEE10hipError_tPvRmT2_T3_T4_T5_mT6_T7_P12ihipStream_tbENKUlT_T0_E_clISt17integral_constantIbLb0EES13_EEDaSY_SZ_EUlSY_E_NS1_11comp_targetILNS1_3genE0ELNS1_11target_archE4294967295ELNS1_3gpuE0ELNS1_3repE0EEENS1_30default_config_static_selectorELNS0_4arch9wavefront6targetE1EEEvT1_,@function
_ZN7rocprim17ROCPRIM_400000_NS6detail17trampoline_kernelINS0_14default_configENS1_27scan_by_key_config_selectorIifEEZZNS1_16scan_by_key_implILNS1_25lookback_scan_determinismE0ELb1ES3_N6thrust23THRUST_200600_302600_NS6detail15normal_iteratorINS9_10device_ptrIiEEEENSB_INSC_IjEEEENSB_INSC_IfEEEEfNS9_4plusIvEENS9_8equal_toIvEEfEE10hipError_tPvRmT2_T3_T4_T5_mT6_T7_P12ihipStream_tbENKUlT_T0_E_clISt17integral_constantIbLb0EES13_EEDaSY_SZ_EUlSY_E_NS1_11comp_targetILNS1_3genE0ELNS1_11target_archE4294967295ELNS1_3gpuE0ELNS1_3repE0EEENS1_30default_config_static_selectorELNS0_4arch9wavefront6targetE1EEEvT1_: ; @_ZN7rocprim17ROCPRIM_400000_NS6detail17trampoline_kernelINS0_14default_configENS1_27scan_by_key_config_selectorIifEEZZNS1_16scan_by_key_implILNS1_25lookback_scan_determinismE0ELb1ES3_N6thrust23THRUST_200600_302600_NS6detail15normal_iteratorINS9_10device_ptrIiEEEENSB_INSC_IjEEEENSB_INSC_IfEEEEfNS9_4plusIvEENS9_8equal_toIvEEfEE10hipError_tPvRmT2_T3_T4_T5_mT6_T7_P12ihipStream_tbENKUlT_T0_E_clISt17integral_constantIbLb0EES13_EEDaSY_SZ_EUlSY_E_NS1_11comp_targetILNS1_3genE0ELNS1_11target_archE4294967295ELNS1_3gpuE0ELNS1_3repE0EEENS1_30default_config_static_selectorELNS0_4arch9wavefront6targetE1EEEvT1_
; %bb.0:
	.section	.rodata,"a",@progbits
	.p2align	6, 0x0
	.amdhsa_kernel _ZN7rocprim17ROCPRIM_400000_NS6detail17trampoline_kernelINS0_14default_configENS1_27scan_by_key_config_selectorIifEEZZNS1_16scan_by_key_implILNS1_25lookback_scan_determinismE0ELb1ES3_N6thrust23THRUST_200600_302600_NS6detail15normal_iteratorINS9_10device_ptrIiEEEENSB_INSC_IjEEEENSB_INSC_IfEEEEfNS9_4plusIvEENS9_8equal_toIvEEfEE10hipError_tPvRmT2_T3_T4_T5_mT6_T7_P12ihipStream_tbENKUlT_T0_E_clISt17integral_constantIbLb0EES13_EEDaSY_SZ_EUlSY_E_NS1_11comp_targetILNS1_3genE0ELNS1_11target_archE4294967295ELNS1_3gpuE0ELNS1_3repE0EEENS1_30default_config_static_selectorELNS0_4arch9wavefront6targetE1EEEvT1_
		.amdhsa_group_segment_fixed_size 0
		.amdhsa_private_segment_fixed_size 0
		.amdhsa_kernarg_size 112
		.amdhsa_user_sgpr_count 2
		.amdhsa_user_sgpr_dispatch_ptr 0
		.amdhsa_user_sgpr_queue_ptr 0
		.amdhsa_user_sgpr_kernarg_segment_ptr 1
		.amdhsa_user_sgpr_dispatch_id 0
		.amdhsa_user_sgpr_kernarg_preload_length 0
		.amdhsa_user_sgpr_kernarg_preload_offset 0
		.amdhsa_user_sgpr_private_segment_size 0
		.amdhsa_uses_dynamic_stack 0
		.amdhsa_enable_private_segment 0
		.amdhsa_system_sgpr_workgroup_id_x 1
		.amdhsa_system_sgpr_workgroup_id_y 0
		.amdhsa_system_sgpr_workgroup_id_z 0
		.amdhsa_system_sgpr_workgroup_info 0
		.amdhsa_system_vgpr_workitem_id 0
		.amdhsa_next_free_vgpr 1
		.amdhsa_next_free_sgpr 0
		.amdhsa_accum_offset 4
		.amdhsa_reserve_vcc 0
		.amdhsa_float_round_mode_32 0
		.amdhsa_float_round_mode_16_64 0
		.amdhsa_float_denorm_mode_32 3
		.amdhsa_float_denorm_mode_16_64 3
		.amdhsa_dx10_clamp 1
		.amdhsa_ieee_mode 1
		.amdhsa_fp16_overflow 0
		.amdhsa_tg_split 0
		.amdhsa_exception_fp_ieee_invalid_op 0
		.amdhsa_exception_fp_denorm_src 0
		.amdhsa_exception_fp_ieee_div_zero 0
		.amdhsa_exception_fp_ieee_overflow 0
		.amdhsa_exception_fp_ieee_underflow 0
		.amdhsa_exception_fp_ieee_inexact 0
		.amdhsa_exception_int_div_zero 0
	.end_amdhsa_kernel
	.section	.text._ZN7rocprim17ROCPRIM_400000_NS6detail17trampoline_kernelINS0_14default_configENS1_27scan_by_key_config_selectorIifEEZZNS1_16scan_by_key_implILNS1_25lookback_scan_determinismE0ELb1ES3_N6thrust23THRUST_200600_302600_NS6detail15normal_iteratorINS9_10device_ptrIiEEEENSB_INSC_IjEEEENSB_INSC_IfEEEEfNS9_4plusIvEENS9_8equal_toIvEEfEE10hipError_tPvRmT2_T3_T4_T5_mT6_T7_P12ihipStream_tbENKUlT_T0_E_clISt17integral_constantIbLb0EES13_EEDaSY_SZ_EUlSY_E_NS1_11comp_targetILNS1_3genE0ELNS1_11target_archE4294967295ELNS1_3gpuE0ELNS1_3repE0EEENS1_30default_config_static_selectorELNS0_4arch9wavefront6targetE1EEEvT1_,"axG",@progbits,_ZN7rocprim17ROCPRIM_400000_NS6detail17trampoline_kernelINS0_14default_configENS1_27scan_by_key_config_selectorIifEEZZNS1_16scan_by_key_implILNS1_25lookback_scan_determinismE0ELb1ES3_N6thrust23THRUST_200600_302600_NS6detail15normal_iteratorINS9_10device_ptrIiEEEENSB_INSC_IjEEEENSB_INSC_IfEEEEfNS9_4plusIvEENS9_8equal_toIvEEfEE10hipError_tPvRmT2_T3_T4_T5_mT6_T7_P12ihipStream_tbENKUlT_T0_E_clISt17integral_constantIbLb0EES13_EEDaSY_SZ_EUlSY_E_NS1_11comp_targetILNS1_3genE0ELNS1_11target_archE4294967295ELNS1_3gpuE0ELNS1_3repE0EEENS1_30default_config_static_selectorELNS0_4arch9wavefront6targetE1EEEvT1_,comdat
.Lfunc_end1680:
	.size	_ZN7rocprim17ROCPRIM_400000_NS6detail17trampoline_kernelINS0_14default_configENS1_27scan_by_key_config_selectorIifEEZZNS1_16scan_by_key_implILNS1_25lookback_scan_determinismE0ELb1ES3_N6thrust23THRUST_200600_302600_NS6detail15normal_iteratorINS9_10device_ptrIiEEEENSB_INSC_IjEEEENSB_INSC_IfEEEEfNS9_4plusIvEENS9_8equal_toIvEEfEE10hipError_tPvRmT2_T3_T4_T5_mT6_T7_P12ihipStream_tbENKUlT_T0_E_clISt17integral_constantIbLb0EES13_EEDaSY_SZ_EUlSY_E_NS1_11comp_targetILNS1_3genE0ELNS1_11target_archE4294967295ELNS1_3gpuE0ELNS1_3repE0EEENS1_30default_config_static_selectorELNS0_4arch9wavefront6targetE1EEEvT1_, .Lfunc_end1680-_ZN7rocprim17ROCPRIM_400000_NS6detail17trampoline_kernelINS0_14default_configENS1_27scan_by_key_config_selectorIifEEZZNS1_16scan_by_key_implILNS1_25lookback_scan_determinismE0ELb1ES3_N6thrust23THRUST_200600_302600_NS6detail15normal_iteratorINS9_10device_ptrIiEEEENSB_INSC_IjEEEENSB_INSC_IfEEEEfNS9_4plusIvEENS9_8equal_toIvEEfEE10hipError_tPvRmT2_T3_T4_T5_mT6_T7_P12ihipStream_tbENKUlT_T0_E_clISt17integral_constantIbLb0EES13_EEDaSY_SZ_EUlSY_E_NS1_11comp_targetILNS1_3genE0ELNS1_11target_archE4294967295ELNS1_3gpuE0ELNS1_3repE0EEENS1_30default_config_static_selectorELNS0_4arch9wavefront6targetE1EEEvT1_
                                        ; -- End function
	.section	.AMDGPU.csdata,"",@progbits
; Kernel info:
; codeLenInByte = 0
; NumSgprs: 6
; NumVgprs: 0
; NumAgprs: 0
; TotalNumVgprs: 0
; ScratchSize: 0
; MemoryBound: 0
; FloatMode: 240
; IeeeMode: 1
; LDSByteSize: 0 bytes/workgroup (compile time only)
; SGPRBlocks: 0
; VGPRBlocks: 0
; NumSGPRsForWavesPerEU: 6
; NumVGPRsForWavesPerEU: 1
; AccumOffset: 4
; Occupancy: 8
; WaveLimiterHint : 0
; COMPUTE_PGM_RSRC2:SCRATCH_EN: 0
; COMPUTE_PGM_RSRC2:USER_SGPR: 2
; COMPUTE_PGM_RSRC2:TRAP_HANDLER: 0
; COMPUTE_PGM_RSRC2:TGID_X_EN: 1
; COMPUTE_PGM_RSRC2:TGID_Y_EN: 0
; COMPUTE_PGM_RSRC2:TGID_Z_EN: 0
; COMPUTE_PGM_RSRC2:TIDIG_COMP_CNT: 0
; COMPUTE_PGM_RSRC3_GFX90A:ACCUM_OFFSET: 0
; COMPUTE_PGM_RSRC3_GFX90A:TG_SPLIT: 0
	.section	.text._ZN7rocprim17ROCPRIM_400000_NS6detail17trampoline_kernelINS0_14default_configENS1_27scan_by_key_config_selectorIifEEZZNS1_16scan_by_key_implILNS1_25lookback_scan_determinismE0ELb1ES3_N6thrust23THRUST_200600_302600_NS6detail15normal_iteratorINS9_10device_ptrIiEEEENSB_INSC_IjEEEENSB_INSC_IfEEEEfNS9_4plusIvEENS9_8equal_toIvEEfEE10hipError_tPvRmT2_T3_T4_T5_mT6_T7_P12ihipStream_tbENKUlT_T0_E_clISt17integral_constantIbLb0EES13_EEDaSY_SZ_EUlSY_E_NS1_11comp_targetILNS1_3genE10ELNS1_11target_archE1201ELNS1_3gpuE5ELNS1_3repE0EEENS1_30default_config_static_selectorELNS0_4arch9wavefront6targetE1EEEvT1_,"axG",@progbits,_ZN7rocprim17ROCPRIM_400000_NS6detail17trampoline_kernelINS0_14default_configENS1_27scan_by_key_config_selectorIifEEZZNS1_16scan_by_key_implILNS1_25lookback_scan_determinismE0ELb1ES3_N6thrust23THRUST_200600_302600_NS6detail15normal_iteratorINS9_10device_ptrIiEEEENSB_INSC_IjEEEENSB_INSC_IfEEEEfNS9_4plusIvEENS9_8equal_toIvEEfEE10hipError_tPvRmT2_T3_T4_T5_mT6_T7_P12ihipStream_tbENKUlT_T0_E_clISt17integral_constantIbLb0EES13_EEDaSY_SZ_EUlSY_E_NS1_11comp_targetILNS1_3genE10ELNS1_11target_archE1201ELNS1_3gpuE5ELNS1_3repE0EEENS1_30default_config_static_selectorELNS0_4arch9wavefront6targetE1EEEvT1_,comdat
	.protected	_ZN7rocprim17ROCPRIM_400000_NS6detail17trampoline_kernelINS0_14default_configENS1_27scan_by_key_config_selectorIifEEZZNS1_16scan_by_key_implILNS1_25lookback_scan_determinismE0ELb1ES3_N6thrust23THRUST_200600_302600_NS6detail15normal_iteratorINS9_10device_ptrIiEEEENSB_INSC_IjEEEENSB_INSC_IfEEEEfNS9_4plusIvEENS9_8equal_toIvEEfEE10hipError_tPvRmT2_T3_T4_T5_mT6_T7_P12ihipStream_tbENKUlT_T0_E_clISt17integral_constantIbLb0EES13_EEDaSY_SZ_EUlSY_E_NS1_11comp_targetILNS1_3genE10ELNS1_11target_archE1201ELNS1_3gpuE5ELNS1_3repE0EEENS1_30default_config_static_selectorELNS0_4arch9wavefront6targetE1EEEvT1_ ; -- Begin function _ZN7rocprim17ROCPRIM_400000_NS6detail17trampoline_kernelINS0_14default_configENS1_27scan_by_key_config_selectorIifEEZZNS1_16scan_by_key_implILNS1_25lookback_scan_determinismE0ELb1ES3_N6thrust23THRUST_200600_302600_NS6detail15normal_iteratorINS9_10device_ptrIiEEEENSB_INSC_IjEEEENSB_INSC_IfEEEEfNS9_4plusIvEENS9_8equal_toIvEEfEE10hipError_tPvRmT2_T3_T4_T5_mT6_T7_P12ihipStream_tbENKUlT_T0_E_clISt17integral_constantIbLb0EES13_EEDaSY_SZ_EUlSY_E_NS1_11comp_targetILNS1_3genE10ELNS1_11target_archE1201ELNS1_3gpuE5ELNS1_3repE0EEENS1_30default_config_static_selectorELNS0_4arch9wavefront6targetE1EEEvT1_
	.globl	_ZN7rocprim17ROCPRIM_400000_NS6detail17trampoline_kernelINS0_14default_configENS1_27scan_by_key_config_selectorIifEEZZNS1_16scan_by_key_implILNS1_25lookback_scan_determinismE0ELb1ES3_N6thrust23THRUST_200600_302600_NS6detail15normal_iteratorINS9_10device_ptrIiEEEENSB_INSC_IjEEEENSB_INSC_IfEEEEfNS9_4plusIvEENS9_8equal_toIvEEfEE10hipError_tPvRmT2_T3_T4_T5_mT6_T7_P12ihipStream_tbENKUlT_T0_E_clISt17integral_constantIbLb0EES13_EEDaSY_SZ_EUlSY_E_NS1_11comp_targetILNS1_3genE10ELNS1_11target_archE1201ELNS1_3gpuE5ELNS1_3repE0EEENS1_30default_config_static_selectorELNS0_4arch9wavefront6targetE1EEEvT1_
	.p2align	8
	.type	_ZN7rocprim17ROCPRIM_400000_NS6detail17trampoline_kernelINS0_14default_configENS1_27scan_by_key_config_selectorIifEEZZNS1_16scan_by_key_implILNS1_25lookback_scan_determinismE0ELb1ES3_N6thrust23THRUST_200600_302600_NS6detail15normal_iteratorINS9_10device_ptrIiEEEENSB_INSC_IjEEEENSB_INSC_IfEEEEfNS9_4plusIvEENS9_8equal_toIvEEfEE10hipError_tPvRmT2_T3_T4_T5_mT6_T7_P12ihipStream_tbENKUlT_T0_E_clISt17integral_constantIbLb0EES13_EEDaSY_SZ_EUlSY_E_NS1_11comp_targetILNS1_3genE10ELNS1_11target_archE1201ELNS1_3gpuE5ELNS1_3repE0EEENS1_30default_config_static_selectorELNS0_4arch9wavefront6targetE1EEEvT1_,@function
_ZN7rocprim17ROCPRIM_400000_NS6detail17trampoline_kernelINS0_14default_configENS1_27scan_by_key_config_selectorIifEEZZNS1_16scan_by_key_implILNS1_25lookback_scan_determinismE0ELb1ES3_N6thrust23THRUST_200600_302600_NS6detail15normal_iteratorINS9_10device_ptrIiEEEENSB_INSC_IjEEEENSB_INSC_IfEEEEfNS9_4plusIvEENS9_8equal_toIvEEfEE10hipError_tPvRmT2_T3_T4_T5_mT6_T7_P12ihipStream_tbENKUlT_T0_E_clISt17integral_constantIbLb0EES13_EEDaSY_SZ_EUlSY_E_NS1_11comp_targetILNS1_3genE10ELNS1_11target_archE1201ELNS1_3gpuE5ELNS1_3repE0EEENS1_30default_config_static_selectorELNS0_4arch9wavefront6targetE1EEEvT1_: ; @_ZN7rocprim17ROCPRIM_400000_NS6detail17trampoline_kernelINS0_14default_configENS1_27scan_by_key_config_selectorIifEEZZNS1_16scan_by_key_implILNS1_25lookback_scan_determinismE0ELb1ES3_N6thrust23THRUST_200600_302600_NS6detail15normal_iteratorINS9_10device_ptrIiEEEENSB_INSC_IjEEEENSB_INSC_IfEEEEfNS9_4plusIvEENS9_8equal_toIvEEfEE10hipError_tPvRmT2_T3_T4_T5_mT6_T7_P12ihipStream_tbENKUlT_T0_E_clISt17integral_constantIbLb0EES13_EEDaSY_SZ_EUlSY_E_NS1_11comp_targetILNS1_3genE10ELNS1_11target_archE1201ELNS1_3gpuE5ELNS1_3repE0EEENS1_30default_config_static_selectorELNS0_4arch9wavefront6targetE1EEEvT1_
; %bb.0:
	.section	.rodata,"a",@progbits
	.p2align	6, 0x0
	.amdhsa_kernel _ZN7rocprim17ROCPRIM_400000_NS6detail17trampoline_kernelINS0_14default_configENS1_27scan_by_key_config_selectorIifEEZZNS1_16scan_by_key_implILNS1_25lookback_scan_determinismE0ELb1ES3_N6thrust23THRUST_200600_302600_NS6detail15normal_iteratorINS9_10device_ptrIiEEEENSB_INSC_IjEEEENSB_INSC_IfEEEEfNS9_4plusIvEENS9_8equal_toIvEEfEE10hipError_tPvRmT2_T3_T4_T5_mT6_T7_P12ihipStream_tbENKUlT_T0_E_clISt17integral_constantIbLb0EES13_EEDaSY_SZ_EUlSY_E_NS1_11comp_targetILNS1_3genE10ELNS1_11target_archE1201ELNS1_3gpuE5ELNS1_3repE0EEENS1_30default_config_static_selectorELNS0_4arch9wavefront6targetE1EEEvT1_
		.amdhsa_group_segment_fixed_size 0
		.amdhsa_private_segment_fixed_size 0
		.amdhsa_kernarg_size 112
		.amdhsa_user_sgpr_count 2
		.amdhsa_user_sgpr_dispatch_ptr 0
		.amdhsa_user_sgpr_queue_ptr 0
		.amdhsa_user_sgpr_kernarg_segment_ptr 1
		.amdhsa_user_sgpr_dispatch_id 0
		.amdhsa_user_sgpr_kernarg_preload_length 0
		.amdhsa_user_sgpr_kernarg_preload_offset 0
		.amdhsa_user_sgpr_private_segment_size 0
		.amdhsa_uses_dynamic_stack 0
		.amdhsa_enable_private_segment 0
		.amdhsa_system_sgpr_workgroup_id_x 1
		.amdhsa_system_sgpr_workgroup_id_y 0
		.amdhsa_system_sgpr_workgroup_id_z 0
		.amdhsa_system_sgpr_workgroup_info 0
		.amdhsa_system_vgpr_workitem_id 0
		.amdhsa_next_free_vgpr 1
		.amdhsa_next_free_sgpr 0
		.amdhsa_accum_offset 4
		.amdhsa_reserve_vcc 0
		.amdhsa_float_round_mode_32 0
		.amdhsa_float_round_mode_16_64 0
		.amdhsa_float_denorm_mode_32 3
		.amdhsa_float_denorm_mode_16_64 3
		.amdhsa_dx10_clamp 1
		.amdhsa_ieee_mode 1
		.amdhsa_fp16_overflow 0
		.amdhsa_tg_split 0
		.amdhsa_exception_fp_ieee_invalid_op 0
		.amdhsa_exception_fp_denorm_src 0
		.amdhsa_exception_fp_ieee_div_zero 0
		.amdhsa_exception_fp_ieee_overflow 0
		.amdhsa_exception_fp_ieee_underflow 0
		.amdhsa_exception_fp_ieee_inexact 0
		.amdhsa_exception_int_div_zero 0
	.end_amdhsa_kernel
	.section	.text._ZN7rocprim17ROCPRIM_400000_NS6detail17trampoline_kernelINS0_14default_configENS1_27scan_by_key_config_selectorIifEEZZNS1_16scan_by_key_implILNS1_25lookback_scan_determinismE0ELb1ES3_N6thrust23THRUST_200600_302600_NS6detail15normal_iteratorINS9_10device_ptrIiEEEENSB_INSC_IjEEEENSB_INSC_IfEEEEfNS9_4plusIvEENS9_8equal_toIvEEfEE10hipError_tPvRmT2_T3_T4_T5_mT6_T7_P12ihipStream_tbENKUlT_T0_E_clISt17integral_constantIbLb0EES13_EEDaSY_SZ_EUlSY_E_NS1_11comp_targetILNS1_3genE10ELNS1_11target_archE1201ELNS1_3gpuE5ELNS1_3repE0EEENS1_30default_config_static_selectorELNS0_4arch9wavefront6targetE1EEEvT1_,"axG",@progbits,_ZN7rocprim17ROCPRIM_400000_NS6detail17trampoline_kernelINS0_14default_configENS1_27scan_by_key_config_selectorIifEEZZNS1_16scan_by_key_implILNS1_25lookback_scan_determinismE0ELb1ES3_N6thrust23THRUST_200600_302600_NS6detail15normal_iteratorINS9_10device_ptrIiEEEENSB_INSC_IjEEEENSB_INSC_IfEEEEfNS9_4plusIvEENS9_8equal_toIvEEfEE10hipError_tPvRmT2_T3_T4_T5_mT6_T7_P12ihipStream_tbENKUlT_T0_E_clISt17integral_constantIbLb0EES13_EEDaSY_SZ_EUlSY_E_NS1_11comp_targetILNS1_3genE10ELNS1_11target_archE1201ELNS1_3gpuE5ELNS1_3repE0EEENS1_30default_config_static_selectorELNS0_4arch9wavefront6targetE1EEEvT1_,comdat
.Lfunc_end1681:
	.size	_ZN7rocprim17ROCPRIM_400000_NS6detail17trampoline_kernelINS0_14default_configENS1_27scan_by_key_config_selectorIifEEZZNS1_16scan_by_key_implILNS1_25lookback_scan_determinismE0ELb1ES3_N6thrust23THRUST_200600_302600_NS6detail15normal_iteratorINS9_10device_ptrIiEEEENSB_INSC_IjEEEENSB_INSC_IfEEEEfNS9_4plusIvEENS9_8equal_toIvEEfEE10hipError_tPvRmT2_T3_T4_T5_mT6_T7_P12ihipStream_tbENKUlT_T0_E_clISt17integral_constantIbLb0EES13_EEDaSY_SZ_EUlSY_E_NS1_11comp_targetILNS1_3genE10ELNS1_11target_archE1201ELNS1_3gpuE5ELNS1_3repE0EEENS1_30default_config_static_selectorELNS0_4arch9wavefront6targetE1EEEvT1_, .Lfunc_end1681-_ZN7rocprim17ROCPRIM_400000_NS6detail17trampoline_kernelINS0_14default_configENS1_27scan_by_key_config_selectorIifEEZZNS1_16scan_by_key_implILNS1_25lookback_scan_determinismE0ELb1ES3_N6thrust23THRUST_200600_302600_NS6detail15normal_iteratorINS9_10device_ptrIiEEEENSB_INSC_IjEEEENSB_INSC_IfEEEEfNS9_4plusIvEENS9_8equal_toIvEEfEE10hipError_tPvRmT2_T3_T4_T5_mT6_T7_P12ihipStream_tbENKUlT_T0_E_clISt17integral_constantIbLb0EES13_EEDaSY_SZ_EUlSY_E_NS1_11comp_targetILNS1_3genE10ELNS1_11target_archE1201ELNS1_3gpuE5ELNS1_3repE0EEENS1_30default_config_static_selectorELNS0_4arch9wavefront6targetE1EEEvT1_
                                        ; -- End function
	.section	.AMDGPU.csdata,"",@progbits
; Kernel info:
; codeLenInByte = 0
; NumSgprs: 6
; NumVgprs: 0
; NumAgprs: 0
; TotalNumVgprs: 0
; ScratchSize: 0
; MemoryBound: 0
; FloatMode: 240
; IeeeMode: 1
; LDSByteSize: 0 bytes/workgroup (compile time only)
; SGPRBlocks: 0
; VGPRBlocks: 0
; NumSGPRsForWavesPerEU: 6
; NumVGPRsForWavesPerEU: 1
; AccumOffset: 4
; Occupancy: 8
; WaveLimiterHint : 0
; COMPUTE_PGM_RSRC2:SCRATCH_EN: 0
; COMPUTE_PGM_RSRC2:USER_SGPR: 2
; COMPUTE_PGM_RSRC2:TRAP_HANDLER: 0
; COMPUTE_PGM_RSRC2:TGID_X_EN: 1
; COMPUTE_PGM_RSRC2:TGID_Y_EN: 0
; COMPUTE_PGM_RSRC2:TGID_Z_EN: 0
; COMPUTE_PGM_RSRC2:TIDIG_COMP_CNT: 0
; COMPUTE_PGM_RSRC3_GFX90A:ACCUM_OFFSET: 0
; COMPUTE_PGM_RSRC3_GFX90A:TG_SPLIT: 0
	.section	.text._ZN7rocprim17ROCPRIM_400000_NS6detail17trampoline_kernelINS0_14default_configENS1_27scan_by_key_config_selectorIifEEZZNS1_16scan_by_key_implILNS1_25lookback_scan_determinismE0ELb1ES3_N6thrust23THRUST_200600_302600_NS6detail15normal_iteratorINS9_10device_ptrIiEEEENSB_INSC_IjEEEENSB_INSC_IfEEEEfNS9_4plusIvEENS9_8equal_toIvEEfEE10hipError_tPvRmT2_T3_T4_T5_mT6_T7_P12ihipStream_tbENKUlT_T0_E_clISt17integral_constantIbLb0EES13_EEDaSY_SZ_EUlSY_E_NS1_11comp_targetILNS1_3genE5ELNS1_11target_archE942ELNS1_3gpuE9ELNS1_3repE0EEENS1_30default_config_static_selectorELNS0_4arch9wavefront6targetE1EEEvT1_,"axG",@progbits,_ZN7rocprim17ROCPRIM_400000_NS6detail17trampoline_kernelINS0_14default_configENS1_27scan_by_key_config_selectorIifEEZZNS1_16scan_by_key_implILNS1_25lookback_scan_determinismE0ELb1ES3_N6thrust23THRUST_200600_302600_NS6detail15normal_iteratorINS9_10device_ptrIiEEEENSB_INSC_IjEEEENSB_INSC_IfEEEEfNS9_4plusIvEENS9_8equal_toIvEEfEE10hipError_tPvRmT2_T3_T4_T5_mT6_T7_P12ihipStream_tbENKUlT_T0_E_clISt17integral_constantIbLb0EES13_EEDaSY_SZ_EUlSY_E_NS1_11comp_targetILNS1_3genE5ELNS1_11target_archE942ELNS1_3gpuE9ELNS1_3repE0EEENS1_30default_config_static_selectorELNS0_4arch9wavefront6targetE1EEEvT1_,comdat
	.protected	_ZN7rocprim17ROCPRIM_400000_NS6detail17trampoline_kernelINS0_14default_configENS1_27scan_by_key_config_selectorIifEEZZNS1_16scan_by_key_implILNS1_25lookback_scan_determinismE0ELb1ES3_N6thrust23THRUST_200600_302600_NS6detail15normal_iteratorINS9_10device_ptrIiEEEENSB_INSC_IjEEEENSB_INSC_IfEEEEfNS9_4plusIvEENS9_8equal_toIvEEfEE10hipError_tPvRmT2_T3_T4_T5_mT6_T7_P12ihipStream_tbENKUlT_T0_E_clISt17integral_constantIbLb0EES13_EEDaSY_SZ_EUlSY_E_NS1_11comp_targetILNS1_3genE5ELNS1_11target_archE942ELNS1_3gpuE9ELNS1_3repE0EEENS1_30default_config_static_selectorELNS0_4arch9wavefront6targetE1EEEvT1_ ; -- Begin function _ZN7rocprim17ROCPRIM_400000_NS6detail17trampoline_kernelINS0_14default_configENS1_27scan_by_key_config_selectorIifEEZZNS1_16scan_by_key_implILNS1_25lookback_scan_determinismE0ELb1ES3_N6thrust23THRUST_200600_302600_NS6detail15normal_iteratorINS9_10device_ptrIiEEEENSB_INSC_IjEEEENSB_INSC_IfEEEEfNS9_4plusIvEENS9_8equal_toIvEEfEE10hipError_tPvRmT2_T3_T4_T5_mT6_T7_P12ihipStream_tbENKUlT_T0_E_clISt17integral_constantIbLb0EES13_EEDaSY_SZ_EUlSY_E_NS1_11comp_targetILNS1_3genE5ELNS1_11target_archE942ELNS1_3gpuE9ELNS1_3repE0EEENS1_30default_config_static_selectorELNS0_4arch9wavefront6targetE1EEEvT1_
	.globl	_ZN7rocprim17ROCPRIM_400000_NS6detail17trampoline_kernelINS0_14default_configENS1_27scan_by_key_config_selectorIifEEZZNS1_16scan_by_key_implILNS1_25lookback_scan_determinismE0ELb1ES3_N6thrust23THRUST_200600_302600_NS6detail15normal_iteratorINS9_10device_ptrIiEEEENSB_INSC_IjEEEENSB_INSC_IfEEEEfNS9_4plusIvEENS9_8equal_toIvEEfEE10hipError_tPvRmT2_T3_T4_T5_mT6_T7_P12ihipStream_tbENKUlT_T0_E_clISt17integral_constantIbLb0EES13_EEDaSY_SZ_EUlSY_E_NS1_11comp_targetILNS1_3genE5ELNS1_11target_archE942ELNS1_3gpuE9ELNS1_3repE0EEENS1_30default_config_static_selectorELNS0_4arch9wavefront6targetE1EEEvT1_
	.p2align	8
	.type	_ZN7rocprim17ROCPRIM_400000_NS6detail17trampoline_kernelINS0_14default_configENS1_27scan_by_key_config_selectorIifEEZZNS1_16scan_by_key_implILNS1_25lookback_scan_determinismE0ELb1ES3_N6thrust23THRUST_200600_302600_NS6detail15normal_iteratorINS9_10device_ptrIiEEEENSB_INSC_IjEEEENSB_INSC_IfEEEEfNS9_4plusIvEENS9_8equal_toIvEEfEE10hipError_tPvRmT2_T3_T4_T5_mT6_T7_P12ihipStream_tbENKUlT_T0_E_clISt17integral_constantIbLb0EES13_EEDaSY_SZ_EUlSY_E_NS1_11comp_targetILNS1_3genE5ELNS1_11target_archE942ELNS1_3gpuE9ELNS1_3repE0EEENS1_30default_config_static_selectorELNS0_4arch9wavefront6targetE1EEEvT1_,@function
_ZN7rocprim17ROCPRIM_400000_NS6detail17trampoline_kernelINS0_14default_configENS1_27scan_by_key_config_selectorIifEEZZNS1_16scan_by_key_implILNS1_25lookback_scan_determinismE0ELb1ES3_N6thrust23THRUST_200600_302600_NS6detail15normal_iteratorINS9_10device_ptrIiEEEENSB_INSC_IjEEEENSB_INSC_IfEEEEfNS9_4plusIvEENS9_8equal_toIvEEfEE10hipError_tPvRmT2_T3_T4_T5_mT6_T7_P12ihipStream_tbENKUlT_T0_E_clISt17integral_constantIbLb0EES13_EEDaSY_SZ_EUlSY_E_NS1_11comp_targetILNS1_3genE5ELNS1_11target_archE942ELNS1_3gpuE9ELNS1_3repE0EEENS1_30default_config_static_selectorELNS0_4arch9wavefront6targetE1EEEvT1_: ; @_ZN7rocprim17ROCPRIM_400000_NS6detail17trampoline_kernelINS0_14default_configENS1_27scan_by_key_config_selectorIifEEZZNS1_16scan_by_key_implILNS1_25lookback_scan_determinismE0ELb1ES3_N6thrust23THRUST_200600_302600_NS6detail15normal_iteratorINS9_10device_ptrIiEEEENSB_INSC_IjEEEENSB_INSC_IfEEEEfNS9_4plusIvEENS9_8equal_toIvEEfEE10hipError_tPvRmT2_T3_T4_T5_mT6_T7_P12ihipStream_tbENKUlT_T0_E_clISt17integral_constantIbLb0EES13_EEDaSY_SZ_EUlSY_E_NS1_11comp_targetILNS1_3genE5ELNS1_11target_archE942ELNS1_3gpuE9ELNS1_3repE0EEENS1_30default_config_static_selectorELNS0_4arch9wavefront6targetE1EEEvT1_
; %bb.0:
	s_load_dwordx8 s[48:55], s[0:1], 0x0
	s_load_dword s76, s[0:1], 0x20
	s_load_dwordx4 s[56:59], s[0:1], 0x28
	s_load_dwordx2 s[66:67], s[0:1], 0x38
	s_load_dword s3, s[0:1], 0x40
	s_load_dwordx4 s[60:63], s[0:1], 0x48
	s_waitcnt lgkmcnt(0)
	s_lshl_b64 s[64:65], s[50:51], 2
	s_add_u32 s4, s48, s64
	s_addc_u32 s5, s49, s65
	s_add_u32 s6, s52, s64
	s_mul_i32 s0, s67, s3
	s_mul_hi_u32 s1, s66, s3
	s_addc_u32 s7, s53, s65
	s_add_i32 s8, s1, s0
	s_mul_i32 s0, s2, 0x1700
	s_mov_b32 s1, 0
	s_lshl_b64 s[52:53], s[0:1], 2
	s_add_u32 s70, s4, s52
	s_addc_u32 s71, s5, s53
	s_add_u32 s68, s6, s52
	s_mul_i32 s3, s66, s3
	s_addc_u32 s69, s7, s53
	s_add_u32 s0, s3, s2
	s_addc_u32 s1, s8, 0
	s_add_u32 s6, s60, -1
	s_addc_u32 s7, s61, -1
	v_mov_b64_e32 v[2:3], s[6:7]
	v_cmp_ge_u64_e64 s[0:1], s[0:1], v[2:3]
	s_mov_b64 s[4:5], -1
	s_and_b64 vcc, exec, s[0:1]
	s_mul_i32 s33, s6, 0xffffe900
	s_barrier
	s_cbranch_vccz .LBB1682_71
; %bb.1:
	v_mov_b64_e32 v[2:3], s[70:71]
	flat_load_dword v1, v[2:3]
	s_add_i32 s59, s33, s58
	v_cmp_gt_u32_e32 vcc, s59, v0
	s_waitcnt vmcnt(0) lgkmcnt(0)
	v_mov_b32_e32 v2, v1
	s_and_saveexec_b64 s[4:5], vcc
	s_cbranch_execz .LBB1682_3
; %bb.2:
	v_lshlrev_b32_e32 v2, 2, v0
	v_mov_b32_e32 v3, 0
	v_lshl_add_u64 v[2:3], s[70:71], 0, v[2:3]
	flat_load_dword v2, v[2:3]
.LBB1682_3:
	s_or_b64 exec, exec, s[4:5]
	v_or_b32_e32 v3, 0x100, v0
	v_cmp_gt_u32_e64 s[48:49], s59, v3
	v_mov_b32_e32 v3, v1
	s_and_saveexec_b64 s[4:5], s[48:49]
	s_cbranch_execz .LBB1682_5
; %bb.4:
	v_lshlrev_b32_e32 v4, 2, v0
	v_mov_b32_e32 v5, 0
	v_lshl_add_u64 v[4:5], s[70:71], 0, v[4:5]
	flat_load_dword v3, v[4:5] offset:1024
.LBB1682_5:
	s_or_b64 exec, exec, s[4:5]
	v_or_b32_e32 v4, 0x200, v0
	v_cmp_gt_u32_e64 s[4:5], s59, v4
	v_mov_b32_e32 v4, v1
	s_and_saveexec_b64 s[6:7], s[4:5]
	s_cbranch_execz .LBB1682_7
; %bb.6:
	v_lshlrev_b32_e32 v4, 2, v0
	v_mov_b32_e32 v5, 0
	v_lshl_add_u64 v[4:5], s[70:71], 0, v[4:5]
	flat_load_dword v4, v[4:5] offset:2048
.LBB1682_7:
	;; [unrolled: 12-line block ×3, first 2 shown]
	s_or_b64 exec, exec, s[8:9]
	v_or_b32_e32 v6, 0x400, v0
	v_cmp_gt_u32_e64 s[8:9], s59, v6
	v_lshlrev_b32_e32 v24, 2, v6
	v_mov_b32_e32 v6, v1
	s_and_saveexec_b64 s[10:11], s[8:9]
	s_cbranch_execz .LBB1682_11
; %bb.10:
	v_mov_b32_e32 v25, 0
	v_lshl_add_u64 v[6:7], s[70:71], 0, v[24:25]
	flat_load_dword v6, v[6:7]
.LBB1682_11:
	s_or_b64 exec, exec, s[10:11]
	v_or_b32_e32 v7, 0x500, v0
	v_cmp_gt_u32_e64 s[10:11], s59, v7
	v_lshlrev_b32_e32 v26, 2, v7
	v_mov_b32_e32 v7, v1
	s_and_saveexec_b64 s[12:13], s[10:11]
	s_cbranch_execz .LBB1682_13
; %bb.12:
	v_mov_b32_e32 v27, 0
	v_lshl_add_u64 v[8:9], s[70:71], 0, v[26:27]
	flat_load_dword v7, v[8:9]
.LBB1682_13:
	;; [unrolled: 12-line block ×18, first 2 shown]
	s_or_b64 exec, exec, s[46:47]
	v_or_b32_e32 v25, 0x1600, v0
	v_cmp_gt_u32_e64 s[46:47], s59, v25
	v_lshlrev_b32_e32 v62, 2, v25
	s_and_saveexec_b64 s[50:51], s[46:47]
	s_cbranch_execz .LBB1682_47
; %bb.46:
	v_mov_b32_e32 v63, 0
	v_lshl_add_u64 v[60:61], s[70:71], 0, v[62:63]
	flat_load_dword v1, v[60:61]
.LBB1682_47:
	s_or_b64 exec, exec, s[50:51]
	v_lshlrev_b32_e32 v60, 2, v0
	s_waitcnt vmcnt(0) lgkmcnt(0)
	ds_write2st64_b32 v60, v2, v3 offset1:4
	ds_write2st64_b32 v60, v4, v5 offset0:8 offset1:12
	ds_write2st64_b32 v60, v6, v7 offset0:16 offset1:20
	;; [unrolled: 1-line block ×10, first 2 shown]
	ds_write_b32 v60, v1 offset:22528
	v_mov_b64_e32 v[2:3], s[70:71]
	s_waitcnt lgkmcnt(0)
	s_barrier
	flat_load_dword v70, v[2:3]
	s_movk_i32 s3, 0x58
	v_mad_u32_u24 v71, v0, s3, v60
	s_movk_i32 s3, 0xffa8
	v_mad_i32_i24 v1, v0, s3, v71
	s_movk_i32 s3, 0xff
	v_cmp_ne_u32_e64 s[50:51], s3, v0
	ds_read_b32 v72, v71
	ds_read2_b32 v[22:23], v71 offset0:1 offset1:2
	ds_read2_b32 v[20:21], v71 offset0:3 offset1:4
	;; [unrolled: 1-line block ×11, first 2 shown]
	s_waitcnt lgkmcnt(0)
	ds_write_b32 v1, v72 offset:24576
	s_waitcnt lgkmcnt(0)
	s_barrier
	s_and_saveexec_b64 s[60:61], s[50:51]
	s_cbranch_execz .LBB1682_49
; %bb.48:
	s_waitcnt vmcnt(0)
	ds_read_b32 v70, v60 offset:24580
.LBB1682_49:
	s_or_b64 exec, exec, s[60:61]
	v_mov_b32_e32 v61, 0
	s_waitcnt lgkmcnt(0)
	s_barrier
	s_waitcnt lgkmcnt(0)
                                        ; implicit-def: $vgpr1
	s_and_saveexec_b64 s[50:51], vcc
	s_cbranch_execz .LBB1682_72
; %bb.50:
	v_lshl_add_u64 v[64:65], s[68:69], 0, v[60:61]
	flat_load_dword v1, v[64:65]
	s_waitcnt vmcnt(0) lgkmcnt(0)
	v_cvt_f32_u32_e32 v1, v1
	s_or_b64 exec, exec, s[50:51]
                                        ; implicit-def: $vgpr64
	s_and_saveexec_b64 s[50:51], s[48:49]
	s_cbranch_execnz .LBB1682_73
.LBB1682_51:
	s_or_b64 exec, exec, s[50:51]
                                        ; implicit-def: $vgpr65
	s_and_saveexec_b64 s[48:49], s[4:5]
	s_cbranch_execz .LBB1682_74
.LBB1682_52:
	v_mov_b32_e32 v61, 0
	v_lshl_add_u64 v[66:67], s[68:69], 0, v[60:61]
	flat_load_dword v25, v[66:67] offset:2048
	s_waitcnt vmcnt(0) lgkmcnt(0)
	v_cvt_f32_u32_e32 v65, v25
	s_or_b64 exec, exec, s[48:49]
                                        ; implicit-def: $vgpr61
	s_and_saveexec_b64 s[4:5], s[6:7]
	s_cbranch_execnz .LBB1682_75
.LBB1682_53:
	s_or_b64 exec, exec, s[4:5]
                                        ; implicit-def: $vgpr25
	s_and_saveexec_b64 s[4:5], s[8:9]
	s_cbranch_execz .LBB1682_76
.LBB1682_54:
	v_mov_b32_e32 v25, 0
	v_lshl_add_u64 v[24:25], s[68:69], 0, v[24:25]
	flat_load_dword v24, v[24:25]
	s_waitcnt vmcnt(0) lgkmcnt(0)
	v_cvt_f32_u32_e32 v25, v24
	s_or_b64 exec, exec, s[4:5]
                                        ; implicit-def: $vgpr24
	s_and_saveexec_b64 s[4:5], s[10:11]
	s_cbranch_execnz .LBB1682_77
.LBB1682_55:
	s_or_b64 exec, exec, s[4:5]
                                        ; implicit-def: $vgpr26
	s_and_saveexec_b64 s[4:5], s[12:13]
	s_cbranch_execz .LBB1682_78
.LBB1682_56:
	v_mov_b32_e32 v29, 0
	v_lshl_add_u64 v[26:27], s[68:69], 0, v[28:29]
	flat_load_dword v26, v[26:27]
	s_waitcnt vmcnt(0) lgkmcnt(0)
	v_cvt_f32_u32_e32 v26, v26
	s_or_b64 exec, exec, s[4:5]
                                        ; implicit-def: $vgpr27
	s_and_saveexec_b64 s[4:5], s[14:15]
	s_cbranch_execnz .LBB1682_79
.LBB1682_57:
	s_or_b64 exec, exec, s[4:5]
                                        ; implicit-def: $vgpr28
	s_and_saveexec_b64 s[4:5], s[16:17]
	s_cbranch_execz .LBB1682_80
.LBB1682_58:
	v_mov_b32_e32 v33, 0
	v_lshl_add_u64 v[28:29], s[68:69], 0, v[32:33]
	flat_load_dword v28, v[28:29]
	s_waitcnt vmcnt(0) lgkmcnt(0)
	v_cvt_f32_u32_e32 v28, v28
	s_or_b64 exec, exec, s[4:5]
                                        ; implicit-def: $vgpr29
	s_and_saveexec_b64 s[4:5], s[18:19]
	s_cbranch_execnz .LBB1682_81
.LBB1682_59:
	s_or_b64 exec, exec, s[4:5]
                                        ; implicit-def: $vgpr30
	s_and_saveexec_b64 s[4:5], s[20:21]
	s_cbranch_execz .LBB1682_82
.LBB1682_60:
	v_mov_b32_e32 v37, 0
	v_lshl_add_u64 v[30:31], s[68:69], 0, v[36:37]
	flat_load_dword v30, v[30:31]
	s_waitcnt vmcnt(0) lgkmcnt(0)
	v_cvt_f32_u32_e32 v30, v30
	s_or_b64 exec, exec, s[4:5]
                                        ; implicit-def: $vgpr31
	s_and_saveexec_b64 s[4:5], s[22:23]
	s_cbranch_execnz .LBB1682_83
.LBB1682_61:
	s_or_b64 exec, exec, s[4:5]
                                        ; implicit-def: $vgpr32
	s_and_saveexec_b64 s[4:5], s[24:25]
	s_cbranch_execz .LBB1682_84
.LBB1682_62:
	v_mov_b32_e32 v41, 0
	v_lshl_add_u64 v[32:33], s[68:69], 0, v[40:41]
	flat_load_dword v32, v[32:33]
	s_waitcnt vmcnt(0) lgkmcnt(0)
	v_cvt_f32_u32_e32 v32, v32
	s_or_b64 exec, exec, s[4:5]
                                        ; implicit-def: $vgpr33
	s_and_saveexec_b64 s[4:5], s[26:27]
	s_cbranch_execnz .LBB1682_85
.LBB1682_63:
	s_or_b64 exec, exec, s[4:5]
                                        ; implicit-def: $vgpr34
	s_and_saveexec_b64 s[4:5], s[28:29]
	s_cbranch_execz .LBB1682_86
.LBB1682_64:
	v_mov_b32_e32 v45, 0
	v_lshl_add_u64 v[34:35], s[68:69], 0, v[44:45]
	flat_load_dword v34, v[34:35]
	s_waitcnt vmcnt(0) lgkmcnt(0)
	v_cvt_f32_u32_e32 v34, v34
	s_or_b64 exec, exec, s[4:5]
                                        ; implicit-def: $vgpr35
	s_and_saveexec_b64 s[4:5], s[30:31]
	s_cbranch_execnz .LBB1682_87
.LBB1682_65:
	s_or_b64 exec, exec, s[4:5]
                                        ; implicit-def: $vgpr36
	s_and_saveexec_b64 s[4:5], s[34:35]
	s_cbranch_execz .LBB1682_88
.LBB1682_66:
	v_mov_b32_e32 v49, 0
	v_lshl_add_u64 v[36:37], s[68:69], 0, v[48:49]
	flat_load_dword v36, v[36:37]
	s_waitcnt vmcnt(0) lgkmcnt(0)
	v_cvt_f32_u32_e32 v36, v36
	s_or_b64 exec, exec, s[4:5]
                                        ; implicit-def: $vgpr37
	s_and_saveexec_b64 s[4:5], s[36:37]
	s_cbranch_execnz .LBB1682_89
.LBB1682_67:
	s_or_b64 exec, exec, s[4:5]
                                        ; implicit-def: $vgpr38
	s_and_saveexec_b64 s[4:5], s[38:39]
	s_cbranch_execz .LBB1682_90
.LBB1682_68:
	v_mov_b32_e32 v53, 0
	v_lshl_add_u64 v[38:39], s[68:69], 0, v[52:53]
	flat_load_dword v38, v[38:39]
	s_waitcnt vmcnt(0) lgkmcnt(0)
	v_cvt_f32_u32_e32 v38, v38
	s_or_b64 exec, exec, s[4:5]
                                        ; implicit-def: $vgpr39
	s_and_saveexec_b64 s[4:5], s[40:41]
	s_cbranch_execnz .LBB1682_91
.LBB1682_69:
	s_or_b64 exec, exec, s[4:5]
                                        ; implicit-def: $vgpr40
	s_and_saveexec_b64 s[4:5], s[42:43]
	s_cbranch_execz .LBB1682_92
.LBB1682_70:
	v_mov_b32_e32 v57, 0
	v_lshl_add_u64 v[40:41], s[68:69], 0, v[56:57]
	flat_load_dword v40, v[40:41]
	s_waitcnt vmcnt(0) lgkmcnt(0)
	v_cvt_f32_u32_e32 v40, v40
	s_or_b64 exec, exec, s[4:5]
                                        ; implicit-def: $vgpr41
	s_and_saveexec_b64 s[4:5], s[44:45]
	s_cbranch_execz .LBB1682_94
	s_branch .LBB1682_93
.LBB1682_71:
	s_mov_b64 s[10:11], 0
                                        ; implicit-def: $sgpr8_sgpr9
                                        ; implicit-def: $vgpr27
                                        ; implicit-def: $vgpr1
                                        ; implicit-def: $vgpr26
                                        ; implicit-def: $vgpr52
                                        ; implicit-def: $vgpr48
                                        ; implicit-def: $vgpr29
                                        ; implicit-def: $vgpr69
                                        ; implicit-def: $vgpr49
                                        ; implicit-def: $vgpr28
                                        ; implicit-def: $vgpr68
                                        ; implicit-def: $vgpr24
                                        ; implicit-def: $vgpr31
                                        ; implicit-def: $vgpr67
                                        ; implicit-def: $vgpr50
                                        ; implicit-def: $vgpr30
                                        ; implicit-def: $vgpr66
                                        ; implicit-def: $vgpr46
                                        ; implicit-def: $vgpr33
                                        ; implicit-def: $vgpr65
                                        ; implicit-def: $vgpr51
                                        ; implicit-def: $vgpr32
                                        ; implicit-def: $vgpr64
                                        ; implicit-def: $vgpr44
                                        ; implicit-def: $vgpr35
                                        ; implicit-def: $vgpr63
                                        ; implicit-def: $vgpr53
                                        ; implicit-def: $vgpr34
                                        ; implicit-def: $vgpr62
                                        ; implicit-def: $vgpr45
                                        ; implicit-def: $vgpr37
                                        ; implicit-def: $vgpr61
                                        ; implicit-def: $vgpr54
                                        ; implicit-def: $vgpr36
                                        ; implicit-def: $vgpr60
                                        ; implicit-def: $vgpr42
                                        ; implicit-def: $vgpr39
                                        ; implicit-def: $vgpr59
                                        ; implicit-def: $vgpr55
                                        ; implicit-def: $vgpr38
                                        ; implicit-def: $vgpr58
                                        ; implicit-def: $vgpr43
                                        ; implicit-def: $vgpr41
                                        ; implicit-def: $vgpr57
                                        ; implicit-def: $vgpr56
                                        ; implicit-def: $vgpr40
                                        ; implicit-def: $sgpr6
                                        ; implicit-def: $sgpr3
	s_and_b64 vcc, exec, s[4:5]
	v_lshlrev_b32_e32 v10, 2, v0
	s_cbranch_vccz .LBB1682_148
	s_branch .LBB1682_143
.LBB1682_72:
	s_or_b64 exec, exec, s[50:51]
                                        ; implicit-def: $vgpr64
	s_and_saveexec_b64 s[50:51], s[48:49]
	s_cbranch_execz .LBB1682_51
.LBB1682_73:
	v_mov_b32_e32 v61, 0
	v_lshl_add_u64 v[64:65], s[68:69], 0, v[60:61]
	flat_load_dword v25, v[64:65] offset:1024
	s_waitcnt vmcnt(0) lgkmcnt(0)
	v_cvt_f32_u32_e32 v64, v25
	s_or_b64 exec, exec, s[50:51]
                                        ; implicit-def: $vgpr65
	s_and_saveexec_b64 s[48:49], s[4:5]
	s_cbranch_execnz .LBB1682_52
.LBB1682_74:
	s_or_b64 exec, exec, s[48:49]
                                        ; implicit-def: $vgpr61
	s_and_saveexec_b64 s[4:5], s[6:7]
	s_cbranch_execz .LBB1682_53
.LBB1682_75:
	v_mov_b32_e32 v61, 0
	v_lshl_add_u64 v[66:67], s[68:69], 0, v[60:61]
	flat_load_dword v25, v[66:67] offset:3072
	s_waitcnt vmcnt(0) lgkmcnt(0)
	v_cvt_f32_u32_e32 v61, v25
	s_or_b64 exec, exec, s[4:5]
                                        ; implicit-def: $vgpr25
	s_and_saveexec_b64 s[4:5], s[8:9]
	s_cbranch_execnz .LBB1682_54
.LBB1682_76:
	s_or_b64 exec, exec, s[4:5]
                                        ; implicit-def: $vgpr24
	s_and_saveexec_b64 s[4:5], s[10:11]
	s_cbranch_execz .LBB1682_55
.LBB1682_77:
	v_mov_b32_e32 v27, 0
	v_lshl_add_u64 v[26:27], s[68:69], 0, v[26:27]
	flat_load_dword v24, v[26:27]
	s_waitcnt vmcnt(0) lgkmcnt(0)
	v_cvt_f32_u32_e32 v24, v24
	s_or_b64 exec, exec, s[4:5]
                                        ; implicit-def: $vgpr26
	s_and_saveexec_b64 s[4:5], s[12:13]
	s_cbranch_execnz .LBB1682_56
.LBB1682_78:
	s_or_b64 exec, exec, s[4:5]
                                        ; implicit-def: $vgpr27
	s_and_saveexec_b64 s[4:5], s[14:15]
	s_cbranch_execz .LBB1682_57
.LBB1682_79:
	v_mov_b32_e32 v31, 0
	v_lshl_add_u64 v[28:29], s[68:69], 0, v[30:31]
	flat_load_dword v27, v[28:29]
	s_waitcnt vmcnt(0) lgkmcnt(0)
	v_cvt_f32_u32_e32 v27, v27
	s_or_b64 exec, exec, s[4:5]
                                        ; implicit-def: $vgpr28
	s_and_saveexec_b64 s[4:5], s[16:17]
	s_cbranch_execnz .LBB1682_58
.LBB1682_80:
	s_or_b64 exec, exec, s[4:5]
                                        ; implicit-def: $vgpr29
	s_and_saveexec_b64 s[4:5], s[18:19]
	s_cbranch_execz .LBB1682_59
.LBB1682_81:
	v_mov_b32_e32 v35, 0
	v_lshl_add_u64 v[30:31], s[68:69], 0, v[34:35]
	flat_load_dword v29, v[30:31]
	s_waitcnt vmcnt(0) lgkmcnt(0)
	v_cvt_f32_u32_e32 v29, v29
	s_or_b64 exec, exec, s[4:5]
                                        ; implicit-def: $vgpr30
	s_and_saveexec_b64 s[4:5], s[20:21]
	s_cbranch_execnz .LBB1682_60
.LBB1682_82:
	s_or_b64 exec, exec, s[4:5]
                                        ; implicit-def: $vgpr31
	s_and_saveexec_b64 s[4:5], s[22:23]
	s_cbranch_execz .LBB1682_61
.LBB1682_83:
	v_mov_b32_e32 v39, 0
	v_lshl_add_u64 v[32:33], s[68:69], 0, v[38:39]
	flat_load_dword v31, v[32:33]
	s_waitcnt vmcnt(0) lgkmcnt(0)
	v_cvt_f32_u32_e32 v31, v31
	s_or_b64 exec, exec, s[4:5]
                                        ; implicit-def: $vgpr32
	s_and_saveexec_b64 s[4:5], s[24:25]
	s_cbranch_execnz .LBB1682_62
.LBB1682_84:
	s_or_b64 exec, exec, s[4:5]
                                        ; implicit-def: $vgpr33
	s_and_saveexec_b64 s[4:5], s[26:27]
	s_cbranch_execz .LBB1682_63
.LBB1682_85:
	v_mov_b32_e32 v43, 0
	v_lshl_add_u64 v[34:35], s[68:69], 0, v[42:43]
	flat_load_dword v33, v[34:35]
	s_waitcnt vmcnt(0) lgkmcnt(0)
	v_cvt_f32_u32_e32 v33, v33
	s_or_b64 exec, exec, s[4:5]
                                        ; implicit-def: $vgpr34
	s_and_saveexec_b64 s[4:5], s[28:29]
	s_cbranch_execnz .LBB1682_64
.LBB1682_86:
	s_or_b64 exec, exec, s[4:5]
                                        ; implicit-def: $vgpr35
	s_and_saveexec_b64 s[4:5], s[30:31]
	s_cbranch_execz .LBB1682_65
.LBB1682_87:
	v_mov_b32_e32 v47, 0
	v_lshl_add_u64 v[36:37], s[68:69], 0, v[46:47]
	flat_load_dword v35, v[36:37]
	s_waitcnt vmcnt(0) lgkmcnt(0)
	v_cvt_f32_u32_e32 v35, v35
	s_or_b64 exec, exec, s[4:5]
                                        ; implicit-def: $vgpr36
	s_and_saveexec_b64 s[4:5], s[34:35]
	s_cbranch_execnz .LBB1682_66
.LBB1682_88:
	s_or_b64 exec, exec, s[4:5]
                                        ; implicit-def: $vgpr37
	s_and_saveexec_b64 s[4:5], s[36:37]
	s_cbranch_execz .LBB1682_67
.LBB1682_89:
	v_mov_b32_e32 v51, 0
	v_lshl_add_u64 v[38:39], s[68:69], 0, v[50:51]
	flat_load_dword v37, v[38:39]
	s_waitcnt vmcnt(0) lgkmcnt(0)
	v_cvt_f32_u32_e32 v37, v37
	s_or_b64 exec, exec, s[4:5]
                                        ; implicit-def: $vgpr38
	s_and_saveexec_b64 s[4:5], s[38:39]
	s_cbranch_execnz .LBB1682_68
.LBB1682_90:
	s_or_b64 exec, exec, s[4:5]
                                        ; implicit-def: $vgpr39
	s_and_saveexec_b64 s[4:5], s[40:41]
	s_cbranch_execz .LBB1682_69
.LBB1682_91:
	v_mov_b32_e32 v55, 0
	v_lshl_add_u64 v[40:41], s[68:69], 0, v[54:55]
	flat_load_dword v39, v[40:41]
	s_waitcnt vmcnt(0) lgkmcnt(0)
	v_cvt_f32_u32_e32 v39, v39
	s_or_b64 exec, exec, s[4:5]
                                        ; implicit-def: $vgpr40
	s_and_saveexec_b64 s[4:5], s[42:43]
	s_cbranch_execnz .LBB1682_70
.LBB1682_92:
	s_or_b64 exec, exec, s[4:5]
                                        ; implicit-def: $vgpr41
	s_and_saveexec_b64 s[4:5], s[44:45]
	s_cbranch_execz .LBB1682_94
.LBB1682_93:
	v_mov_b32_e32 v59, 0
	v_lshl_add_u64 v[42:43], s[68:69], 0, v[58:59]
	flat_load_dword v41, v[42:43]
	s_waitcnt vmcnt(0) lgkmcnt(0)
	v_cvt_f32_u32_e32 v41, v41
.LBB1682_94:
	s_or_b64 exec, exec, s[4:5]
	v_mul_u32_u24_e32 v47, 23, v0
                                        ; implicit-def: $vgpr42
	s_and_saveexec_b64 s[4:5], s[46:47]
	s_cbranch_execz .LBB1682_96
; %bb.95:
	v_mov_b32_e32 v63, 0
	v_lshl_add_u64 v[42:43], s[68:69], 0, v[62:63]
	flat_load_dword v42, v[42:43]
	s_waitcnt vmcnt(0) lgkmcnt(0)
	v_cvt_f32_u32_e32 v42, v42
.LBB1682_96:
	s_or_b64 exec, exec, s[4:5]
	ds_write2st64_b32 v60, v1, v64 offset1:4
	ds_write2st64_b32 v60, v65, v61 offset0:8 offset1:12
	ds_write2st64_b32 v60, v25, v24 offset0:16 offset1:20
	;; [unrolled: 1-line block ×10, first 2 shown]
	ds_write_b32 v60, v42 offset:22528
	v_cmp_gt_u32_e32 vcc, s59, v47
	s_mov_b64 s[4:5], 0
	s_mov_b32 s3, 0
	v_mov_b32_e32 v1, 0
	v_mov_b32_e32 v26, 0
	s_mov_b64 s[10:11], 0
	v_mov_b32_e32 v52, 0
	v_mov_b32_e32 v48, 0
	v_mov_b32_e32 v29, 0
	v_mov_b32_e32 v69, 0
	v_mov_b32_e32 v49, 0
	v_mov_b32_e32 v28, 0
	v_mov_b32_e32 v68, 0
	v_mov_b32_e32 v24, 0
	v_mov_b32_e32 v31, 0
	v_mov_b32_e32 v67, 0
	v_mov_b32_e32 v50, 0
	v_mov_b32_e32 v30, 0
	v_mov_b32_e32 v66, 0
	v_mov_b32_e32 v46, 0
	v_mov_b32_e32 v33, 0
	v_mov_b32_e32 v65, 0
	v_mov_b32_e32 v51, 0
	v_mov_b32_e32 v32, 0
	v_mov_b32_e32 v64, 0
	v_mov_b32_e32 v44, 0
	v_mov_b32_e32 v35, 0
	v_mov_b32_e32 v63, 0
	v_mov_b32_e32 v53, 0
	v_mov_b32_e32 v34, 0
	v_mov_b32_e32 v62, 0
	v_mov_b32_e32 v45, 0
	v_mov_b32_e32 v37, 0
	v_mov_b32_e32 v61, 0
	v_mov_b32_e32 v54, 0
	v_mov_b32_e32 v36, 0
	v_mov_b32_e32 v60, 0
	v_mov_b32_e32 v42, 0
	v_mov_b32_e32 v39, 0
	v_mov_b32_e32 v59, 0
	v_mov_b32_e32 v55, 0
	v_mov_b32_e32 v38, 0
	v_mov_b32_e32 v58, 0
	v_mov_b32_e32 v43, 0
	v_mov_b32_e32 v41, 0
	v_mov_b32_e32 v57, 0
	v_mov_b32_e32 v56, 0
	v_mov_b32_e32 v40, 0
	s_waitcnt lgkmcnt(0)
	s_barrier
	s_waitcnt lgkmcnt(0)
                                        ; implicit-def: $sgpr8_sgpr9
                                        ; implicit-def: $vgpr27
	s_and_saveexec_b64 s[6:7], vcc
	s_cbranch_execz .LBB1682_142
; %bb.97:
	ds_read_b32 v24, v71
	v_add_u32_e32 v25, 1, v47
	v_cmp_ne_u32_e32 vcc, v72, v22
	v_mov_b32_e32 v26, s76
	v_mov_b32_e32 v52, 0
	v_cndmask_b32_e64 v1, 0, 1, vcc
	s_waitcnt lgkmcnt(0)
	v_cndmask_b32_e32 v48, v24, v26, vcc
	v_cmp_gt_u32_e32 vcc, s59, v25
	v_mov_b32_e32 v26, 0
	v_mov_b32_e32 v29, 0
	;; [unrolled: 1-line block ×41, first 2 shown]
                                        ; implicit-def: $sgpr12_sgpr13
                                        ; implicit-def: $vgpr27
	s_and_saveexec_b64 s[8:9], vcc
	s_cbranch_execz .LBB1682_141
; %bb.98:
	ds_read2_b32 v[24:25], v71 offset0:1 offset1:2
	v_add_u32_e32 v26, 2, v47
	v_cmp_ne_u32_e32 vcc, v22, v23
	v_mov_b32_e32 v22, s76
	s_mov_b64 s[14:15], 0
	v_cndmask_b32_e64 v49, 0, 1, vcc
	s_waitcnt lgkmcnt(0)
	v_cndmask_b32_e32 v24, v24, v22, vcc
	v_cmp_gt_u32_e32 vcc, s59, v26
	v_mov_b32_e32 v26, 0
	v_mov_b32_e32 v52, 0
	v_mov_b32_e32 v29, 0
	v_mov_b32_e32 v69, 0
	v_mov_b32_e32 v28, 0
	v_mov_b32_e32 v68, 0
	v_mov_b32_e32 v31, 0
	v_mov_b32_e32 v67, 0
	v_mov_b32_e32 v50, 0
	v_mov_b32_e32 v30, 0
	v_mov_b32_e32 v66, 0
	v_mov_b32_e32 v46, 0
	v_mov_b32_e32 v33, 0
	v_mov_b32_e32 v65, 0
	v_mov_b32_e32 v51, 0
	v_mov_b32_e32 v32, 0
	v_mov_b32_e32 v64, 0
	v_mov_b32_e32 v44, 0
	v_mov_b32_e32 v35, 0
	v_mov_b32_e32 v63, 0
	v_mov_b32_e32 v53, 0
	v_mov_b32_e32 v34, 0
	v_mov_b32_e32 v62, 0
	v_mov_b32_e32 v45, 0
	v_mov_b32_e32 v37, 0
	v_mov_b32_e32 v61, 0
	v_mov_b32_e32 v54, 0
	v_mov_b32_e32 v36, 0
	v_mov_b32_e32 v60, 0
	v_mov_b32_e32 v42, 0
	v_mov_b32_e32 v39, 0
	v_mov_b32_e32 v59, 0
	v_mov_b32_e32 v55, 0
	v_mov_b32_e32 v38, 0
	v_mov_b32_e32 v58, 0
	v_mov_b32_e32 v43, 0
	v_mov_b32_e32 v41, 0
	v_mov_b32_e32 v57, 0
	v_mov_b32_e32 v56, 0
	v_mov_b32_e32 v40, 0
                                        ; implicit-def: $sgpr12_sgpr13
                                        ; implicit-def: $vgpr27
	s_and_saveexec_b64 s[10:11], vcc
	s_cbranch_execz .LBB1682_140
; %bb.99:
	v_add_u32_e32 v22, 3, v47
	v_cmp_ne_u32_e32 vcc, v23, v20
	v_mov_b32_e32 v23, s76
	v_mov_b32_e32 v26, 0
	v_cndmask_b32_e64 v50, 0, 1, vcc
	v_cndmask_b32_e32 v46, v25, v23, vcc
	v_cmp_gt_u32_e32 vcc, s59, v22
	v_mov_b32_e32 v52, 0
	v_mov_b32_e32 v29, 0
	;; [unrolled: 1-line block ×37, first 2 shown]
                                        ; implicit-def: $sgpr16_sgpr17
                                        ; implicit-def: $vgpr27
	s_and_saveexec_b64 s[12:13], vcc
	s_cbranch_execz .LBB1682_139
; %bb.100:
	ds_read2_b32 v[22:23], v71 offset0:3 offset1:4
	v_add_u32_e32 v25, 4, v47
	v_cmp_ne_u32_e32 vcc, v20, v21
	v_mov_b32_e32 v20, s76
	s_mov_b64 s[18:19], 0
	v_cndmask_b32_e64 v51, 0, 1, vcc
	s_waitcnt lgkmcnt(0)
	v_cndmask_b32_e32 v44, v22, v20, vcc
	v_cmp_gt_u32_e32 vcc, s59, v25
	v_mov_b32_e32 v26, 0
	v_mov_b32_e32 v52, 0
	;; [unrolled: 1-line block ×36, first 2 shown]
                                        ; implicit-def: $sgpr16_sgpr17
                                        ; implicit-def: $vgpr27
	s_and_saveexec_b64 s[14:15], vcc
	s_cbranch_execz .LBB1682_138
; %bb.101:
	v_add_u32_e32 v20, 5, v47
	v_cmp_ne_u32_e32 vcc, v21, v18
	v_mov_b32_e32 v21, s76
	v_mov_b32_e32 v26, 0
	v_cndmask_b32_e64 v53, 0, 1, vcc
	v_cndmask_b32_e32 v45, v23, v21, vcc
	v_cmp_gt_u32_e32 vcc, s59, v20
	v_mov_b32_e32 v52, 0
	v_mov_b32_e32 v29, 0
	;; [unrolled: 1-line block ×33, first 2 shown]
                                        ; implicit-def: $sgpr20_sgpr21
                                        ; implicit-def: $vgpr27
	s_and_saveexec_b64 s[16:17], vcc
	s_cbranch_execz .LBB1682_137
; %bb.102:
	ds_read2_b32 v[20:21], v71 offset0:5 offset1:6
	v_add_u32_e32 v22, 6, v47
	v_cmp_ne_u32_e32 vcc, v18, v19
	v_mov_b32_e32 v18, s76
	s_mov_b64 s[22:23], 0
	v_cndmask_b32_e64 v54, 0, 1, vcc
	s_waitcnt lgkmcnt(0)
	v_cndmask_b32_e32 v42, v20, v18, vcc
	v_cmp_gt_u32_e32 vcc, s59, v22
	v_mov_b32_e32 v26, 0
	v_mov_b32_e32 v52, 0
	;; [unrolled: 1-line block ×32, first 2 shown]
                                        ; implicit-def: $sgpr20_sgpr21
                                        ; implicit-def: $vgpr27
	s_and_saveexec_b64 s[18:19], vcc
	s_cbranch_execz .LBB1682_136
; %bb.103:
	v_add_u32_e32 v18, 7, v47
	v_cmp_ne_u32_e32 vcc, v19, v16
	v_mov_b32_e32 v19, s76
	v_mov_b32_e32 v26, 0
	v_cndmask_b32_e64 v55, 0, 1, vcc
	v_cndmask_b32_e32 v43, v21, v19, vcc
	v_cmp_gt_u32_e32 vcc, s59, v18
	v_mov_b32_e32 v52, 0
	v_mov_b32_e32 v29, 0
	v_mov_b32_e32 v69, 0
	v_mov_b32_e32 v28, 0
	v_mov_b32_e32 v68, 0
	v_mov_b32_e32 v31, 0
	v_mov_b32_e32 v67, 0
	v_mov_b32_e32 v30, 0
	v_mov_b32_e32 v66, 0
	v_mov_b32_e32 v33, 0
	v_mov_b32_e32 v65, 0
	v_mov_b32_e32 v32, 0
	v_mov_b32_e32 v64, 0
	v_mov_b32_e32 v35, 0
	v_mov_b32_e32 v63, 0
	v_mov_b32_e32 v34, 0
	v_mov_b32_e32 v62, 0
	v_mov_b32_e32 v37, 0
	v_mov_b32_e32 v61, 0
	v_mov_b32_e32 v36, 0
	v_mov_b32_e32 v60, 0
	v_mov_b32_e32 v39, 0
	v_mov_b32_e32 v59, 0
	v_mov_b32_e32 v38, 0
	v_mov_b32_e32 v58, 0
	v_mov_b32_e32 v41, 0
	v_mov_b32_e32 v57, 0
	v_mov_b32_e32 v56, 0
	v_mov_b32_e32 v40, 0
                                        ; implicit-def: $sgpr24_sgpr25
                                        ; implicit-def: $vgpr27
	s_and_saveexec_b64 s[20:21], vcc
	s_cbranch_execz .LBB1682_135
; %bb.104:
	ds_read2_b32 v[18:19], v71 offset0:7 offset1:8
	v_add_u32_e32 v20, 8, v47
	v_cmp_ne_u32_e32 vcc, v16, v17
	v_mov_b32_e32 v16, s76
	s_mov_b64 s[26:27], 0
	v_cndmask_b32_e64 v56, 0, 1, vcc
	s_waitcnt lgkmcnt(0)
	v_cndmask_b32_e32 v40, v18, v16, vcc
	v_cmp_gt_u32_e32 vcc, s59, v20
	v_mov_b32_e32 v26, 0
	v_mov_b32_e32 v52, 0
	;; [unrolled: 1-line block ×28, first 2 shown]
                                        ; implicit-def: $sgpr24_sgpr25
                                        ; implicit-def: $vgpr27
	s_and_saveexec_b64 s[22:23], vcc
	s_cbranch_execz .LBB1682_134
; %bb.105:
	v_add_u32_e32 v16, 9, v47
	v_cmp_ne_u32_e32 vcc, v17, v14
	v_mov_b32_e32 v17, s76
	v_mov_b32_e32 v26, 0
	v_cndmask_b32_e64 v57, 0, 1, vcc
	v_cndmask_b32_e32 v41, v19, v17, vcc
	v_cmp_gt_u32_e32 vcc, s59, v16
	v_mov_b32_e32 v52, 0
	v_mov_b32_e32 v29, 0
	;; [unrolled: 1-line block ×25, first 2 shown]
                                        ; implicit-def: $sgpr28_sgpr29
                                        ; implicit-def: $vgpr27
	s_and_saveexec_b64 s[24:25], vcc
	s_cbranch_execz .LBB1682_133
; %bb.106:
	ds_read2_b32 v[16:17], v71 offset0:9 offset1:10
	v_add_u32_e32 v18, 10, v47
	v_cmp_ne_u32_e32 vcc, v14, v15
	v_mov_b32_e32 v14, s76
	s_mov_b64 s[30:31], 0
	v_cndmask_b32_e64 v58, 0, 1, vcc
	s_waitcnt lgkmcnt(0)
	v_cndmask_b32_e32 v38, v16, v14, vcc
	v_cmp_gt_u32_e32 vcc, s59, v18
	v_mov_b32_e32 v26, 0
	v_mov_b32_e32 v52, 0
	;; [unrolled: 1-line block ×24, first 2 shown]
                                        ; implicit-def: $sgpr28_sgpr29
                                        ; implicit-def: $vgpr27
	s_and_saveexec_b64 s[26:27], vcc
	s_cbranch_execz .LBB1682_132
; %bb.107:
	v_add_u32_e32 v14, 11, v47
	v_cmp_ne_u32_e32 vcc, v15, v12
	v_mov_b32_e32 v15, s76
	v_mov_b32_e32 v26, 0
	v_cndmask_b32_e64 v59, 0, 1, vcc
	v_cndmask_b32_e32 v39, v17, v15, vcc
	v_cmp_gt_u32_e32 vcc, s59, v14
	v_mov_b32_e32 v52, 0
	v_mov_b32_e32 v29, 0
	;; [unrolled: 1-line block ×21, first 2 shown]
                                        ; implicit-def: $sgpr34_sgpr35
                                        ; implicit-def: $vgpr27
	s_and_saveexec_b64 s[28:29], vcc
	s_cbranch_execz .LBB1682_131
; %bb.108:
	ds_read2_b32 v[14:15], v71 offset0:11 offset1:12
	v_add_u32_e32 v16, 12, v47
	v_cmp_ne_u32_e32 vcc, v12, v13
	v_mov_b32_e32 v12, s76
	s_mov_b64 s[36:37], 0
	v_cndmask_b32_e64 v60, 0, 1, vcc
	s_waitcnt lgkmcnt(0)
	v_cndmask_b32_e32 v36, v14, v12, vcc
	v_cmp_gt_u32_e32 vcc, s59, v16
	v_mov_b32_e32 v26, 0
	v_mov_b32_e32 v52, 0
	;; [unrolled: 1-line block ×20, first 2 shown]
                                        ; implicit-def: $sgpr34_sgpr35
                                        ; implicit-def: $vgpr27
	s_and_saveexec_b64 s[30:31], vcc
	s_cbranch_execz .LBB1682_130
; %bb.109:
	v_add_u32_e32 v12, 13, v47
	v_cmp_ne_u32_e32 vcc, v13, v10
	v_mov_b32_e32 v13, s76
	v_mov_b32_e32 v26, 0
	v_cndmask_b32_e64 v61, 0, 1, vcc
	v_cndmask_b32_e32 v37, v15, v13, vcc
	v_cmp_gt_u32_e32 vcc, s59, v12
	v_mov_b32_e32 v52, 0
	v_mov_b32_e32 v29, 0
	;; [unrolled: 1-line block ×17, first 2 shown]
                                        ; implicit-def: $sgpr38_sgpr39
                                        ; implicit-def: $vgpr27
	s_and_saveexec_b64 s[34:35], vcc
	s_cbranch_execz .LBB1682_129
; %bb.110:
	ds_read2_b32 v[12:13], v71 offset0:13 offset1:14
	v_add_u32_e32 v14, 14, v47
	v_cmp_ne_u32_e32 vcc, v10, v11
	v_mov_b32_e32 v10, s76
	s_mov_b64 s[40:41], 0
	v_cndmask_b32_e64 v62, 0, 1, vcc
	s_waitcnt lgkmcnt(0)
	v_cndmask_b32_e32 v34, v12, v10, vcc
	v_cmp_gt_u32_e32 vcc, s59, v14
	v_mov_b32_e32 v26, 0
	v_mov_b32_e32 v52, 0
	v_mov_b32_e32 v29, 0
	v_mov_b32_e32 v69, 0
	v_mov_b32_e32 v28, 0
	v_mov_b32_e32 v68, 0
	v_mov_b32_e32 v31, 0
	v_mov_b32_e32 v67, 0
	v_mov_b32_e32 v30, 0
	v_mov_b32_e32 v66, 0
	v_mov_b32_e32 v33, 0
	v_mov_b32_e32 v65, 0
	v_mov_b32_e32 v32, 0
	v_mov_b32_e32 v64, 0
	v_mov_b32_e32 v35, 0
	v_mov_b32_e32 v63, 0
                                        ; implicit-def: $sgpr38_sgpr39
                                        ; implicit-def: $vgpr27
	s_and_saveexec_b64 s[36:37], vcc
	s_cbranch_execz .LBB1682_128
; %bb.111:
	v_add_u32_e32 v10, 15, v47
	v_cmp_ne_u32_e32 vcc, v11, v8
	v_mov_b32_e32 v11, s76
	v_mov_b32_e32 v26, 0
	v_cndmask_b32_e64 v63, 0, 1, vcc
	v_cndmask_b32_e32 v35, v13, v11, vcc
	v_cmp_gt_u32_e32 vcc, s59, v10
	v_mov_b32_e32 v52, 0
	v_mov_b32_e32 v29, 0
	v_mov_b32_e32 v69, 0
	v_mov_b32_e32 v28, 0
	v_mov_b32_e32 v68, 0
	v_mov_b32_e32 v31, 0
	v_mov_b32_e32 v67, 0
	v_mov_b32_e32 v30, 0
	v_mov_b32_e32 v66, 0
	v_mov_b32_e32 v33, 0
	v_mov_b32_e32 v65, 0
	v_mov_b32_e32 v32, 0
	v_mov_b32_e32 v64, 0
                                        ; implicit-def: $sgpr42_sgpr43
                                        ; implicit-def: $vgpr27
	s_and_saveexec_b64 s[38:39], vcc
	s_cbranch_execz .LBB1682_127
; %bb.112:
	ds_read2_b32 v[10:11], v71 offset0:15 offset1:16
	v_add_u32_e32 v12, 16, v47
	v_cmp_ne_u32_e32 vcc, v8, v9
	v_mov_b32_e32 v8, s76
	s_mov_b64 s[44:45], 0
	v_cndmask_b32_e64 v64, 0, 1, vcc
	s_waitcnt lgkmcnt(0)
	v_cndmask_b32_e32 v32, v10, v8, vcc
	v_cmp_gt_u32_e32 vcc, s59, v12
	v_mov_b32_e32 v26, 0
	v_mov_b32_e32 v52, 0
	;; [unrolled: 1-line block ×12, first 2 shown]
                                        ; implicit-def: $sgpr42_sgpr43
                                        ; implicit-def: $vgpr27
	s_and_saveexec_b64 s[40:41], vcc
	s_cbranch_execz .LBB1682_126
; %bb.113:
	v_add_u32_e32 v8, 17, v47
	v_cmp_ne_u32_e32 vcc, v9, v6
	v_mov_b32_e32 v9, s76
	v_mov_b32_e32 v26, 0
	v_cndmask_b32_e64 v65, 0, 1, vcc
	v_cndmask_b32_e32 v33, v11, v9, vcc
	v_cmp_gt_u32_e32 vcc, s59, v8
	v_mov_b32_e32 v52, 0
	v_mov_b32_e32 v29, 0
	;; [unrolled: 1-line block ×9, first 2 shown]
                                        ; implicit-def: $sgpr46_sgpr47
                                        ; implicit-def: $vgpr27
	s_and_saveexec_b64 s[42:43], vcc
	s_cbranch_execz .LBB1682_125
; %bb.114:
	ds_read2_b32 v[8:9], v71 offset0:17 offset1:18
	v_add_u32_e32 v10, 18, v47
	v_cmp_ne_u32_e32 vcc, v6, v7
	v_mov_b32_e32 v6, s76
	s_mov_b64 s[48:49], 0
	v_cndmask_b32_e64 v66, 0, 1, vcc
	s_waitcnt lgkmcnt(0)
	v_cndmask_b32_e32 v30, v8, v6, vcc
	v_cmp_gt_u32_e32 vcc, s59, v10
	v_mov_b32_e32 v26, 0
	v_mov_b32_e32 v52, 0
	;; [unrolled: 1-line block ×8, first 2 shown]
                                        ; implicit-def: $sgpr46_sgpr47
                                        ; implicit-def: $vgpr27
	s_and_saveexec_b64 s[44:45], vcc
	s_cbranch_execz .LBB1682_124
; %bb.115:
	v_add_u32_e32 v6, 19, v47
	v_cmp_ne_u32_e32 vcc, v7, v4
	v_mov_b32_e32 v7, s76
	v_mov_b32_e32 v26, 0
	v_cndmask_b32_e64 v67, 0, 1, vcc
	v_cndmask_b32_e32 v31, v9, v7, vcc
	v_cmp_gt_u32_e32 vcc, s59, v6
	v_mov_b32_e32 v52, 0
	v_mov_b32_e32 v29, 0
	;; [unrolled: 1-line block ×5, first 2 shown]
                                        ; implicit-def: $sgpr50_sgpr51
                                        ; implicit-def: $vgpr27
	s_and_saveexec_b64 s[46:47], vcc
	s_cbranch_execz .LBB1682_123
; %bb.116:
	ds_read2_b32 v[6:7], v71 offset0:19 offset1:20
	v_add_u32_e32 v8, 20, v47
	v_cmp_ne_u32_e32 vcc, v4, v5
	v_mov_b32_e32 v4, s76
	s_mov_b64 s[60:61], 0
	v_cndmask_b32_e64 v68, 0, 1, vcc
	s_waitcnt lgkmcnt(0)
	v_cndmask_b32_e32 v28, v6, v4, vcc
	v_cmp_gt_u32_e32 vcc, s59, v8
	v_mov_b32_e32 v26, 0
	v_mov_b32_e32 v52, 0
	;; [unrolled: 1-line block ×4, first 2 shown]
                                        ; implicit-def: $sgpr50_sgpr51
                                        ; implicit-def: $vgpr27
	s_and_saveexec_b64 s[48:49], vcc
	s_cbranch_execz .LBB1682_122
; %bb.117:
	v_add_u32_e32 v4, 21, v47
	v_cmp_ne_u32_e32 vcc, v5, v2
	v_mov_b32_e32 v5, s76
	v_mov_b32_e32 v26, 0
	v_cndmask_b32_e64 v69, 0, 1, vcc
	v_cndmask_b32_e32 v29, v7, v5, vcc
	v_cmp_gt_u32_e32 vcc, s59, v4
	v_mov_b32_e32 v52, 0
                                        ; implicit-def: $sgpr72_sgpr73
                                        ; implicit-def: $vgpr27
	s_and_saveexec_b64 s[50:51], vcc
	s_cbranch_execz .LBB1682_121
; %bb.118:
	ds_read2_b32 v[4:5], v71 offset0:21 offset1:22
	v_add_u32_e32 v6, 22, v47
	v_cmp_ne_u32_e32 vcc, v2, v3
	v_mov_b32_e32 v2, s76
                                        ; implicit-def: $sgpr72_sgpr73
                                        ; implicit-def: $vgpr27
	s_nop 0
	v_cndmask_b32_e64 v52, 0, 1, vcc
	s_waitcnt lgkmcnt(0)
	v_cndmask_b32_e32 v26, v4, v2, vcc
	v_cmp_gt_u32_e32 vcc, s59, v6
	s_and_saveexec_b64 s[74:75], vcc
	s_xor_b64 s[74:75], exec, s[74:75]
	s_cbranch_execz .LBB1682_120
; %bb.119:
	v_mov_b32_e32 v2, s76
	s_waitcnt vmcnt(0)
	v_cmp_ne_u32_e32 vcc, v3, v70
	s_mov_b64 s[60:61], exec
	s_and_b64 s[72:73], vcc, exec
	v_cndmask_b32_e32 v27, v5, v2, vcc
.LBB1682_120:
	s_or_b64 exec, exec, s[74:75]
	s_and_b64 s[72:73], s[72:73], exec
	s_and_b64 s[60:61], s[60:61], exec
.LBB1682_121:
	s_or_b64 exec, exec, s[50:51]
	s_and_b64 s[50:51], s[72:73], exec
	s_and_b64 s[60:61], s[60:61], exec
.LBB1682_122:
	s_or_b64 exec, exec, s[48:49]
	s_and_b64 s[50:51], s[50:51], exec
	s_and_b64 s[48:49], s[60:61], exec
.LBB1682_123:
	s_or_b64 exec, exec, s[46:47]
	s_and_b64 s[46:47], s[50:51], exec
	s_and_b64 s[48:49], s[48:49], exec
.LBB1682_124:
	s_or_b64 exec, exec, s[44:45]
	s_and_b64 s[46:47], s[46:47], exec
	s_and_b64 s[44:45], s[48:49], exec
.LBB1682_125:
	s_or_b64 exec, exec, s[42:43]
	s_and_b64 s[42:43], s[46:47], exec
	s_and_b64 s[44:45], s[44:45], exec
.LBB1682_126:
	s_or_b64 exec, exec, s[40:41]
	s_and_b64 s[42:43], s[42:43], exec
	s_and_b64 s[40:41], s[44:45], exec
.LBB1682_127:
	s_or_b64 exec, exec, s[38:39]
	s_and_b64 s[38:39], s[42:43], exec
	s_and_b64 s[40:41], s[40:41], exec
.LBB1682_128:
	s_or_b64 exec, exec, s[36:37]
	s_and_b64 s[38:39], s[38:39], exec
	s_and_b64 s[36:37], s[40:41], exec
.LBB1682_129:
	s_or_b64 exec, exec, s[34:35]
	s_and_b64 s[34:35], s[38:39], exec
	s_and_b64 s[36:37], s[36:37], exec
.LBB1682_130:
	s_or_b64 exec, exec, s[30:31]
	s_and_b64 s[34:35], s[34:35], exec
	s_and_b64 s[30:31], s[36:37], exec
.LBB1682_131:
	s_or_b64 exec, exec, s[28:29]
	s_and_b64 s[28:29], s[34:35], exec
	s_and_b64 s[30:31], s[30:31], exec
.LBB1682_132:
	s_or_b64 exec, exec, s[26:27]
	s_and_b64 s[28:29], s[28:29], exec
	s_and_b64 s[26:27], s[30:31], exec
.LBB1682_133:
	s_or_b64 exec, exec, s[24:25]
	s_and_b64 s[24:25], s[28:29], exec
	s_and_b64 s[26:27], s[26:27], exec
.LBB1682_134:
	s_or_b64 exec, exec, s[22:23]
	s_and_b64 s[24:25], s[24:25], exec
	s_and_b64 s[22:23], s[26:27], exec
.LBB1682_135:
	s_or_b64 exec, exec, s[20:21]
	s_and_b64 s[20:21], s[24:25], exec
	s_and_b64 s[22:23], s[22:23], exec
.LBB1682_136:
	s_or_b64 exec, exec, s[18:19]
	s_and_b64 s[20:21], s[20:21], exec
	s_and_b64 s[18:19], s[22:23], exec
.LBB1682_137:
	s_or_b64 exec, exec, s[16:17]
	s_and_b64 s[16:17], s[20:21], exec
	s_and_b64 s[18:19], s[18:19], exec
.LBB1682_138:
	s_or_b64 exec, exec, s[14:15]
	s_and_b64 s[16:17], s[16:17], exec
	s_and_b64 s[14:15], s[18:19], exec
.LBB1682_139:
	s_or_b64 exec, exec, s[12:13]
	s_and_b64 s[12:13], s[16:17], exec
	s_and_b64 s[14:15], s[14:15], exec
.LBB1682_140:
	s_or_b64 exec, exec, s[10:11]
	s_and_b64 s[12:13], s[12:13], exec
	s_and_b64 s[10:11], s[14:15], exec
.LBB1682_141:
	s_or_b64 exec, exec, s[8:9]
	s_and_b64 s[8:9], s[12:13], exec
	s_and_b64 s[10:11], s[10:11], exec
.LBB1682_142:
	s_or_b64 exec, exec, s[6:7]
	s_mov_b32 s6, 0
	s_and_b64 vcc, exec, s[4:5]
	v_lshlrev_b32_e32 v10, 2, v0
	s_cbranch_vccz .LBB1682_148
.LBB1682_143:
	v_mov_b32_e32 v11, 0
	v_lshl_add_u64 v[2:3], s[70:71], 0, v[10:11]
	v_add_co_u32_e32 v4, vcc, 0x1000, v2
	s_movk_i32 s4, 0x58
	s_nop 0
	v_addc_co_u32_e32 v5, vcc, 0, v3, vcc
	flat_load_dword v1, v[2:3]
	flat_load_dword v8, v[2:3] offset:1024
	flat_load_dword v9, v[2:3] offset:2048
	;; [unrolled: 1-line block ×3, first 2 shown]
	flat_load_dword v13, v[4:5]
	flat_load_dword v14, v[4:5] offset:1024
	flat_load_dword v15, v[4:5] offset:2048
	;; [unrolled: 1-line block ×3, first 2 shown]
	v_add_co_u32_e32 v4, vcc, 0x2000, v2
	s_movk_i32 s9, 0x1000
	s_nop 0
	v_addc_co_u32_e32 v5, vcc, 0, v3, vcc
	v_add_co_u32_e32 v6, vcc, 0x3000, v2
	s_movk_i32 s8, 0x2000
	s_nop 0
	v_addc_co_u32_e32 v7, vcc, 0, v3, vcc
	flat_load_dword v17, v[4:5]
	flat_load_dword v18, v[4:5] offset:1024
	flat_load_dword v19, v[4:5] offset:2048
	;; [unrolled: 1-line block ×3, first 2 shown]
	flat_load_dword v21, v[6:7]
	flat_load_dword v22, v[6:7] offset:1024
	flat_load_dword v23, v[6:7] offset:2048
	;; [unrolled: 1-line block ×3, first 2 shown]
	v_add_co_u32_e32 v4, vcc, 0x4000, v2
	s_movk_i32 s7, 0x3000
	s_nop 0
	v_addc_co_u32_e32 v5, vcc, 0, v3, vcc
	v_add_co_u32_e32 v2, vcc, 0x5000, v2
	s_movk_i32 s6, 0x4000
	s_nop 0
	v_addc_co_u32_e32 v3, vcc, 0, v3, vcc
	flat_load_dword v6, v[4:5]
	flat_load_dword v7, v[4:5] offset:1024
	flat_load_dword v25, v[4:5] offset:2048
	;; [unrolled: 1-line block ×3, first 2 shown]
	flat_load_dword v27, v[2:3]
	flat_load_dword v28, v[2:3] offset:1024
	flat_load_dword v29, v[2:3] offset:2048
	v_mov_b32_e32 v2, s70
	v_mov_b32_e32 v3, s71
	v_add_co_u32_e32 v2, vcc, 0x5000, v2
	s_movk_i32 s3, 0x5000
	s_nop 0
	v_addc_co_u32_e32 v3, vcc, 0, v3, vcc
	s_waitcnt vmcnt(0) lgkmcnt(0)
	ds_write2st64_b32 v10, v1, v8 offset1:4
	ds_write2st64_b32 v10, v9, v12 offset0:8 offset1:12
	ds_write2st64_b32 v10, v13, v14 offset0:16 offset1:20
	;; [unrolled: 1-line block ×10, first 2 shown]
	ds_write_b32 v10, v29 offset:22528
	s_waitcnt lgkmcnt(0)
	s_barrier
	flat_load_dword v70, v[2:3] offset:3072
	v_mad_u32_u24 v1, v0, s4, v10
	s_movk_i32 s4, 0xffa8
	v_mad_i32_i24 v26, v0, s4, v1
	s_movk_i32 s4, 0xff
	v_cmp_ne_u32_e32 vcc, s4, v0
	ds_read_b32 v48, v1
	ds_read2_b32 v[24:25], v1 offset0:1 offset1:2
	ds_read2_b32 v[22:23], v1 offset0:3 offset1:4
	;; [unrolled: 1-line block ×11, first 2 shown]
	s_waitcnt lgkmcnt(0)
	ds_write_b32 v26, v48 offset:24576
	s_waitcnt lgkmcnt(0)
	s_barrier
	s_and_saveexec_b64 s[4:5], vcc
	s_cbranch_execz .LBB1682_145
; %bb.144:
	s_waitcnt vmcnt(0)
	ds_read_b32 v70, v10 offset:24580
.LBB1682_145:
	s_or_b64 exec, exec, s[4:5]
	v_lshl_add_u64 v[26:27], s[68:69], 0, v[10:11]
	v_add_co_u32_e32 v28, vcc, s9, v26
	s_waitcnt lgkmcnt(0)
	s_nop 0
	v_addc_co_u32_e32 v29, vcc, 0, v27, vcc
	s_barrier
	flat_load_dword v11, v[26:27]
	flat_load_dword v32, v[26:27] offset:1024
	flat_load_dword v33, v[26:27] offset:2048
	;; [unrolled: 1-line block ×3, first 2 shown]
	flat_load_dword v35, v[28:29]
	flat_load_dword v36, v[28:29] offset:1024
	flat_load_dword v37, v[28:29] offset:2048
	;; [unrolled: 1-line block ×3, first 2 shown]
	v_add_co_u32_e32 v28, vcc, s8, v26
	v_cmp_eq_u32_e64 s[4:5], v48, v24
	s_nop 0
	v_addc_co_u32_e32 v29, vcc, 0, v27, vcc
	v_add_co_u32_e32 v30, vcc, s7, v26
	s_waitcnt vmcnt(0) lgkmcnt(0)
	v_cvt_f32_u32_e32 v11, v11
	v_addc_co_u32_e32 v31, vcc, 0, v27, vcc
	flat_load_dword v39, v[28:29]
	flat_load_dword v40, v[28:29] offset:1024
	flat_load_dword v41, v[28:29] offset:2048
	;; [unrolled: 1-line block ×3, first 2 shown]
	flat_load_dword v43, v[30:31]
	flat_load_dword v44, v[30:31] offset:1024
	flat_load_dword v45, v[30:31] offset:2048
	;; [unrolled: 1-line block ×3, first 2 shown]
	v_add_co_u32_e32 v28, vcc, s6, v26
	s_nop 1
	v_addc_co_u32_e32 v29, vcc, 0, v27, vcc
	v_add_co_u32_e32 v26, vcc, s3, v26
	s_nop 1
	v_addc_co_u32_e32 v27, vcc, 0, v27, vcc
	flat_load_dword v30, v[28:29]
	flat_load_dword v31, v[28:29] offset:1024
	flat_load_dword v47, v[28:29] offset:2048
	;; [unrolled: 1-line block ×3, first 2 shown]
	flat_load_dword v50, v[26:27]
	flat_load_dword v51, v[26:27] offset:1024
	flat_load_dword v52, v[26:27] offset:2048
	v_cvt_f32_u32_e32 v26, v32
	v_cvt_f32_u32_e32 v27, v33
	;; [unrolled: 1-line block ×7, first 2 shown]
	ds_write2st64_b32 v10, v11, v26 offset1:4
	ds_write2st64_b32 v10, v27, v28 offset0:8 offset1:12
	v_cmp_ne_u32_e32 vcc, v48, v24
	v_mov_b32_e32 v48, s76
	s_waitcnt vmcnt(0) lgkmcnt(0)
	v_cvt_f32_u32_e32 v35, v39
	v_cvt_f32_u32_e32 v36, v40
	;; [unrolled: 1-line block ×15, first 2 shown]
	ds_write2st64_b32 v10, v29, v32 offset0:16 offset1:20
	ds_write2st64_b32 v10, v33, v34 offset0:24 offset1:28
	;; [unrolled: 1-line block ×9, first 2 shown]
	ds_write_b32 v10, v43 offset:22528
	s_waitcnt lgkmcnt(0)
	s_barrier
	ds_read2_b32 v[46:47], v1 offset0:1 offset1:2
	ds_read2_b32 v[44:45], v1 offset0:3 offset1:4
	;; [unrolled: 1-line block ×11, first 2 shown]
	s_and_saveexec_b64 s[6:7], s[4:5]
	s_cbranch_execz .LBB1682_147
; %bb.146:
	ds_read_b32 v48, v1
.LBB1682_147:
	s_or_b64 exec, exec, s[6:7]
	v_cmp_ne_u32_e64 s[8:9], v23, v20
	v_cmp_ne_u32_e64 s[42:43], v5, v2
	;; [unrolled: 1-line block ×3, first 2 shown]
	v_mov_b32_e32 v2, s76
	v_cndmask_b32_e64 v1, 0, 1, vcc
	v_cmp_ne_u32_e32 vcc, v24, v25
	v_cmp_ne_u32_e64 s[4:5], v25, v22
	v_cmp_ne_u32_e64 s[6:7], v22, v23
	v_cndmask_b32_e64 v53, 0, 1, s[8:9]
	v_cmp_ne_u32_e64 s[10:11], v20, v21
	v_cmp_ne_u32_e64 s[12:13], v21, v18
	v_cmp_ne_u32_e64 s[14:15], v18, v19
	v_cmp_ne_u32_e64 s[16:17], v19, v16
	v_cmp_ne_u32_e64 s[18:19], v16, v17
	v_cmp_ne_u32_e64 s[20:21], v17, v14
	v_cmp_ne_u32_e64 s[22:23], v14, v15
	v_cmp_ne_u32_e64 s[24:25], v15, v12
	v_cmp_ne_u32_e64 s[26:27], v12, v13
	v_cmp_ne_u32_e64 s[28:29], v13, v8
	v_cmp_ne_u32_e64 s[30:31], v8, v9
	v_cmp_ne_u32_e64 s[34:35], v9, v6
	v_cmp_ne_u32_e64 s[36:37], v6, v7
	v_cmp_ne_u32_e64 s[38:39], v7, v4
	v_cmp_ne_u32_e64 s[40:41], v4, v5
	s_waitcnt lgkmcnt(9)
	v_cndmask_b32_e64 v45, v45, v2, s[8:9]
	v_cmp_ne_u32_e64 s[8:9], v3, v70
	v_cndmask_b32_e64 v49, 0, 1, vcc
	v_cndmask_b32_e64 v50, 0, 1, s[4:5]
	v_cndmask_b32_e64 v51, 0, 1, s[6:7]
	;; [unrolled: 1-line block ×19, first 2 shown]
	v_cndmask_b32_e32 v24, v46, v2, vcc
	v_cndmask_b32_e64 v46, v47, v2, s[4:5]
	v_cndmask_b32_e64 v44, v44, v2, s[6:7]
	s_waitcnt lgkmcnt(8)
	v_cndmask_b32_e64 v42, v42, v2, s[10:11]
	v_cndmask_b32_e64 v43, v43, v2, s[12:13]
	s_waitcnt lgkmcnt(7)
	;; [unrolled: 3-line block ×9, first 2 shown]
	v_cndmask_b32_e64 v26, v26, v2, s[44:45]
	v_cndmask_b32_e64 v27, v27, v2, s[8:9]
	s_mov_b64 s[10:11], -1
                                        ; implicit-def: $sgpr6
                                        ; implicit-def: $sgpr3
.LBB1682_148:
	v_mov_b32_e32 v11, s3
	v_mov_b32_e32 v16, s6
	s_and_saveexec_b64 s[4:5], s[10:11]
; %bb.149:
	v_cndmask_b32_e64 v11, 0, 1, s[8:9]
	v_mov_b32_e32 v16, v27
; %bb.150:
	s_or_b64 exec, exec, s[4:5]
	v_or_b32_e32 v2, v11, v52
	s_cmp_lg_u32 s2, 0
	v_add_f32_e32 v19, v24, v48
	v_or_b32_e32 v18, v2, v69
	v_lshrrev_b32_e32 v17, 5, v0
	v_cmp_gt_u32_e32 vcc, 64, v0
	s_barrier
	s_cbranch_scc0 .LBB1682_209
; %bb.151:
	v_mov_b32_e32 v6, 0
	v_cmp_eq_u16_sdwa s[50:51], v49, v6 src0_sel:BYTE_0 src1_sel:DWORD
	v_cmp_eq_u16_sdwa s[4:5], v50, v6 src0_sel:BYTE_0 src1_sel:DWORD
	v_cmp_eq_u16_sdwa s[6:7], v51, v6 src0_sel:BYTE_0 src1_sel:DWORD
	v_cndmask_b32_e64 v2, v24, v19, s[50:51]
	v_add_f32_e32 v2, v46, v2
	v_cndmask_b32_e64 v2, v46, v2, s[4:5]
	v_add_f32_e32 v2, v44, v2
	v_cndmask_b32_e64 v2, v44, v2, s[6:7]
	v_add_f32_e32 v2, v45, v2
	v_cmp_eq_u16_sdwa s[8:9], v53, v6 src0_sel:BYTE_0 src1_sel:DWORD
	v_cmp_eq_u16_sdwa s[10:11], v54, v6 src0_sel:BYTE_0 src1_sel:DWORD
	v_cmp_eq_u16_sdwa s[12:13], v55, v6 src0_sel:BYTE_0 src1_sel:DWORD
	v_cndmask_b32_e64 v2, v45, v2, s[8:9]
	v_add_f32_e32 v2, v42, v2
	v_cndmask_b32_e64 v2, v42, v2, s[10:11]
	v_add_f32_e32 v2, v43, v2
	v_cndmask_b32_e64 v2, v43, v2, s[12:13]
	v_add_f32_e32 v2, v40, v2
	;; [unrolled: 9-line block ×7, first 2 shown]
	v_cmp_eq_u16_sdwa s[46:47], v11, v6 src0_sel:BYTE_0 src1_sel:DWORD
	v_and_b32_e32 v3, 0xff, v1
	s_nop 0
	v_cndmask_b32_e64 v20, v16, v2, s[46:47]
	v_or_b32_e32 v2, v18, v68
	v_or_b32_e32 v2, v2, v67
	;; [unrolled: 1-line block ×19, first 2 shown]
	v_and_b32_e32 v2, 1, v2
	v_cmp_eq_u32_e64 s[46:47], 1, v2
	v_add_lshl_u32 v2, v17, v0, 3
	s_nop 0
	v_cndmask_b32_e64 v21, v3, 1, s[46:47]
	ds_write_b32 v2, v20
	ds_write_b8 v2, v21 offset:4
	s_waitcnt lgkmcnt(0)
	s_barrier
	s_and_saveexec_b64 s[48:49], vcc
	s_cbranch_execz .LBB1682_165
; %bb.152:
	v_lshrrev_b32_e32 v2, 3, v0
	v_add_lshl_u32 v4, v2, v10, 3
	ds_read2_b32 v[8:9], v4 offset0:2 offset1:4
	ds_read_b64 v[2:3], v4
	ds_read_u8 v7, v4 offset:12
	ds_read_u8 v12, v4 offset:20
	ds_read_b32 v14, v4 offset:24
	ds_read_u8 v15, v4 offset:28
	s_waitcnt lgkmcnt(0)
	v_add_f32_e32 v5, v2, v8
	v_cmp_eq_u16_sdwa s[46:47], v7, v6 src0_sel:BYTE_0 src1_sel:DWORD
	v_and_b32_e32 v13, 0xffffff00, v3
	s_nop 0
	v_cndmask_b32_e64 v8, v8, v5, s[46:47]
	v_add_f32_e32 v8, v9, v8
	v_cmp_eq_u16_sdwa s[46:47], v12, v6 src0_sel:BYTE_0 src1_sel:DWORD
	v_and_b32_e32 v5, 1, v3
	s_nop 0
	v_cndmask_b32_e64 v6, v9, v8, s[46:47]
	v_or_b32_e32 v8, v15, v12
	v_or_b32_e32 v7, v8, v7
	v_add_f32_e32 v6, v14, v6
	v_cmp_eq_u16_e64 s[46:47], 0, v15
	v_and_b32_e32 v7, 1, v7
	s_nop 0
	v_cndmask_b32_e64 v6, v14, v6, s[46:47]
	v_cmp_eq_u32_e64 s[46:47], 1, v7
	v_mbcnt_lo_u32_b32 v7, -1, 0
	v_mbcnt_hi_u32_b32 v7, -1, v7
	v_cndmask_b32_e64 v9, v5, 1, s[46:47]
	v_or_b32_e32 v8, v9, v13
	v_and_b32_e32 v12, 15, v7
	v_mov_b32_dpp v15, v6 row_shr:1 row_mask:0xf bank_mask:0xf
	v_mov_b32_dpp v14, v8 row_shr:1 row_mask:0xf bank_mask:0xf
	v_cmp_ne_u32_e64 s[46:47], 0, v12
	s_and_saveexec_b64 s[60:61], s[46:47]
; %bb.153:
	v_add_f32_e32 v8, v6, v15
	v_cmp_eq_u32_e64 s[46:47], 0, v9
	s_nop 1
	v_cndmask_b32_e64 v6, v6, v8, s[46:47]
	v_and_b32_e32 v8, 1, v9
	v_and_b32_e32 v9, 1, v14
	v_cmp_eq_u32_e64 s[46:47], 1, v8
	s_nop 1
	v_cndmask_b32_e64 v9, v9, 1, s[46:47]
	v_or_b32_e32 v8, v9, v13
; %bb.154:
	s_or_b64 exec, exec, s[60:61]
	v_mov_b32_dpp v14, v6 row_shr:2 row_mask:0xf bank_mask:0xf
	v_mov_b32_dpp v13, v8 row_shr:2 row_mask:0xf bank_mask:0xf
	v_cmp_lt_u32_e64 s[46:47], 1, v12
	s_and_saveexec_b64 s[60:61], s[46:47]
; %bb.155:
	v_add_f32_e32 v14, v6, v14
	v_cmp_eq_u32_e64 s[46:47], 0, v9
	v_and_b32_e32 v9, 1, v9
	v_and_b32_e32 v13, 1, v13
	v_cndmask_b32_e64 v6, v6, v14, s[46:47]
	v_cmp_eq_u32_e64 s[46:47], 1, v9
	s_movk_i32 s3, 0xff00
	s_nop 0
	v_cndmask_b32_e64 v9, v13, 1, s[46:47]
	v_and_or_b32 v8, v8, s3, v9
; %bb.156:
	s_or_b64 exec, exec, s[60:61]
	v_mov_b32_dpp v14, v6 row_shr:4 row_mask:0xf bank_mask:0xf
	v_mov_b32_dpp v13, v8 row_shr:4 row_mask:0xf bank_mask:0xf
	v_cmp_lt_u32_e64 s[46:47], 3, v12
	s_and_saveexec_b64 s[60:61], s[46:47]
; %bb.157:
	v_add_f32_e32 v14, v6, v14
	v_cmp_eq_u32_e64 s[46:47], 0, v9
	v_and_b32_e32 v9, 1, v9
	v_and_b32_e32 v13, 1, v13
	v_cndmask_b32_e64 v6, v6, v14, s[46:47]
	v_cmp_eq_u32_e64 s[46:47], 1, v9
	s_movk_i32 s3, 0xff00
	s_nop 0
	v_cndmask_b32_e64 v9, v13, 1, s[46:47]
	v_and_or_b32 v8, v8, s3, v9
; %bb.158:
	s_or_b64 exec, exec, s[60:61]
	v_mov_b32_dpp v14, v6 row_shr:8 row_mask:0xf bank_mask:0xf
	v_mov_b32_dpp v13, v8 row_shr:8 row_mask:0xf bank_mask:0xf
	v_cmp_lt_u32_e64 s[46:47], 7, v12
	s_and_saveexec_b64 s[60:61], s[46:47]
; %bb.159:
	v_add_f32_e32 v12, v6, v14
	v_cmp_eq_u32_e64 s[46:47], 0, v9
	v_and_b32_e32 v9, 1, v9
	s_movk_i32 s3, 0xff00
	v_cndmask_b32_e64 v6, v6, v12, s[46:47]
	v_and_b32_e32 v12, 1, v13
	v_cmp_eq_u32_e64 s[46:47], 1, v9
	s_nop 1
	v_cndmask_b32_e64 v9, v12, 1, s[46:47]
	v_and_or_b32 v8, v8, s3, v9
; %bb.160:
	s_or_b64 exec, exec, s[60:61]
	v_and_b32_e32 v14, 16, v7
	v_mov_b32_dpp v13, v6 row_bcast:15 row_mask:0xf bank_mask:0xf
	v_mov_b32_dpp v12, v8 row_bcast:15 row_mask:0xf bank_mask:0xf
	v_cmp_ne_u32_e64 s[46:47], 0, v14
	s_and_saveexec_b64 s[60:61], s[46:47]
; %bb.161:
	v_add_f32_e32 v13, v6, v13
	v_cmp_eq_u32_e64 s[46:47], 0, v9
	v_and_b32_e32 v9, 1, v9
	v_and_b32_e32 v12, 1, v12
	v_cndmask_b32_e64 v6, v6, v13, s[46:47]
	v_cmp_eq_u32_e64 s[46:47], 1, v9
	s_movk_i32 s3, 0xff00
	s_nop 0
	v_cndmask_b32_e64 v9, v12, 1, s[46:47]
	v_and_or_b32 v8, v8, s3, v9
; %bb.162:
	s_or_b64 exec, exec, s[60:61]
	v_mov_b32_dpp v13, v6 row_bcast:31 row_mask:0xf bank_mask:0xf
	v_mov_b32_dpp v12, v8 row_bcast:31 row_mask:0xf bank_mask:0xf
	v_cmp_lt_u32_e64 s[46:47], 31, v7
	s_and_saveexec_b64 s[60:61], s[46:47]
; %bb.163:
	v_add_f32_e32 v13, v6, v13
	v_cmp_eq_u32_e64 s[46:47], 0, v9
	v_and_b32_e32 v9, 1, v9
	v_and_b32_e32 v12, 1, v12
	v_cndmask_b32_e64 v6, v6, v13, s[46:47]
	v_cmp_eq_u32_e64 s[46:47], 1, v9
	s_movk_i32 s3, 0xff00
	s_nop 0
	v_cndmask_b32_e64 v9, v12, 1, s[46:47]
	v_and_or_b32 v8, v8, s3, v9
; %bb.164:
	s_or_b64 exec, exec, s[60:61]
	v_add_u32_e32 v9, -1, v7
	v_and_b32_e32 v12, 64, v7
	v_cmp_lt_i32_e64 s[46:47], v9, v12
	; wave barrier
	s_nop 1
	v_cndmask_b32_e64 v7, v9, v7, s[46:47]
	v_lshlrev_b32_e32 v7, 2, v7
	ds_bpermute_b32 v6, v7, v6
	ds_bpermute_b32 v7, v7, v8
	v_mov_b32_e32 v8, 0
	v_cmp_eq_u32_sdwa s[46:47], v3, v8 src0_sel:BYTE_0 src1_sel:DWORD
	s_waitcnt lgkmcnt(0)
	v_add_f32_e32 v6, v2, v6
	v_cndmask_b32_e64 v2, v2, v6, s[46:47]
	v_and_b32_e32 v3, 1, v7
	v_cmp_eq_u32_e64 s[46:47], 1, v5
	s_nop 1
	v_cndmask_b32_e64 v3, v3, 1, s[46:47]
	v_cmp_eq_u32_e64 s[46:47], 0, v0
	s_nop 1
	v_cndmask_b32_e64 v5, v2, v20, s[46:47]
	v_cndmask_b32_e64 v6, v3, v21, s[46:47]
	ds_write_b32 v4, v5
	ds_write_b8 v4, v6 offset:4
	; wave barrier
	ds_read2_b32 v[2:3], v4 offset0:2 offset1:4
	ds_read_u8 v7, v4 offset:12
	ds_read_u8 v8, v4 offset:20
	ds_read_b32 v9, v4 offset:24
	ds_read_u8 v12, v4 offset:28
	s_waitcnt lgkmcnt(0)
	v_add_f32_e32 v5, v5, v2
	v_cmp_eq_u16_e64 s[46:47], 0, v7
	s_nop 1
	v_cndmask_b32_e64 v2, v2, v5, s[46:47]
	v_and_b32_e32 v5, 1, v7
	v_cmp_eq_u32_e64 s[46:47], 1, v5
	s_nop 1
	v_cndmask_b32_e64 v5, v6, 1, s[46:47]
	v_add_f32_e32 v6, v2, v3
	v_cmp_eq_u16_e64 s[46:47], 0, v8
	ds_write_b8 v4, v5 offset:12
	s_nop 0
	v_cndmask_b32_e64 v3, v3, v6, s[46:47]
	v_and_b32_e32 v6, 1, v8
	v_cmp_eq_u32_e64 s[46:47], 1, v6
	s_nop 1
	v_cndmask_b32_e64 v5, v5, 1, s[46:47]
	ds_write2_b32 v4, v2, v3 offset0:2 offset1:4
	ds_write_b8 v4, v5 offset:20
	v_add_f32_e32 v2, v3, v9
	v_cmp_eq_u16_e64 s[46:47], 0, v12
	v_and_b32_e32 v3, 1, v12
	s_nop 0
	v_cndmask_b32_e64 v2, v9, v2, s[46:47]
	v_cmp_eq_u32_e64 s[46:47], 1, v3
	s_nop 1
	v_cndmask_b32_e64 v3, v5, 1, s[46:47]
	ds_write_b32 v4, v2 offset:24
	ds_write_b8 v4, v3 offset:28
.LBB1682_165:
	s_or_b64 exec, exec, s[48:49]
	v_cmp_eq_u32_e64 s[46:47], 0, v0
	v_cmp_ne_u32_e64 s[48:49], 0, v0
	s_waitcnt lgkmcnt(0)
	s_barrier
	s_and_saveexec_b64 s[60:61], s[48:49]
	s_cbranch_execz .LBB1682_167
; %bb.166:
	v_add_u32_e32 v2, -1, v0
	v_lshrrev_b32_e32 v3, 5, v2
	v_add_lshl_u32 v2, v3, v2, 3
	ds_read_b32 v20, v2
	ds_read_u8 v21, v2 offset:4
.LBB1682_167:
	s_or_b64 exec, exec, s[60:61]
	s_and_saveexec_b64 s[60:61], vcc
	s_cbranch_execz .LBB1682_208
; %bb.168:
	v_mov_b32_e32 v5, 0
	ds_read_b64 v[2:3], v5 offset:2096
	v_mbcnt_lo_u32_b32 v4, -1, 0
	v_mbcnt_hi_u32_b32 v13, -1, v4
	s_mov_b32 s71, 0
	v_cmp_eq_u32_e64 s[48:49], 0, v13
	s_waitcnt lgkmcnt(0)
	v_readfirstlane_b32 s3, v3
	s_and_saveexec_b64 s[68:69], s[48:49]
	s_cbranch_execz .LBB1682_170
; %bb.169:
	s_add_i32 s70, s2, 64
	s_lshl_b64 s[72:73], s[70:71], 4
	s_add_u32 s72, s56, s72
	s_addc_u32 s73, s57, s73
	s_and_b32 s75, s3, 0xff000000
	s_mov_b32 s74, s71
	s_and_b32 s79, s3, 0xff0000
	s_mov_b32 s78, s71
	s_or_b64 s[74:75], s[78:79], s[74:75]
	s_and_b32 s79, s3, 0xff00
	s_or_b64 s[74:75], s[74:75], s[78:79]
	s_and_b32 s79, s3, 0xff
	s_or_b64 s[70:71], s[74:75], s[78:79]
	v_mov_b32_e32 v3, s71
	v_mov_b32_e32 v4, 1
	v_mov_b64_e32 v[6:7], s[72:73]
	;;#ASMSTART
	global_store_dwordx4 v[6:7], v[2:5] off sc1	
s_waitcnt vmcnt(0)
	;;#ASMEND
.LBB1682_170:
	s_or_b64 exec, exec, s[68:69]
	v_xad_u32 v12, v13, -1, s2
	v_add_u32_e32 v4, 64, v12
	v_lshl_add_u64 v[14:15], v[4:5], 4, s[56:57]
	;;#ASMSTART
	global_load_dwordx4 v[6:9], v[14:15] off sc1	
s_waitcnt vmcnt(0)
	;;#ASMEND
	s_nop 0
	v_cmp_eq_u16_sdwa s[70:71], v8, v5 src0_sel:BYTE_0 src1_sel:DWORD
	s_and_saveexec_b64 s[68:69], s[70:71]
	s_cbranch_execz .LBB1682_174
; %bb.171:
	s_mov_b64 s[70:71], 0
	v_mov_b32_e32 v3, 0
.LBB1682_172:                           ; =>This Inner Loop Header: Depth=1
	;;#ASMSTART
	global_load_dwordx4 v[6:9], v[14:15] off sc1	
s_waitcnt vmcnt(0)
	;;#ASMEND
	s_nop 0
	v_cmp_ne_u16_sdwa s[72:73], v8, v3 src0_sel:BYTE_0 src1_sel:DWORD
	s_or_b64 s[70:71], s[72:73], s[70:71]
	s_andn2_b64 exec, exec, s[70:71]
	s_cbranch_execnz .LBB1682_172
; %bb.173:
	s_or_b64 exec, exec, s[70:71]
.LBB1682_174:
	s_or_b64 exec, exec, s[68:69]
	v_mov_b32_e32 v3, 2
	v_cmp_eq_u16_sdwa s[68:69], v8, v3 src0_sel:BYTE_0 src1_sel:DWORD
	v_lshlrev_b64 v[4:5], v13, -1
	v_and_b32_e32 v14, 0xff, v7
	v_and_b32_e32 v3, s69, v5
	v_or_b32_e32 v3, 0x80000000, v3
	v_ffbl_b32_e32 v25, v3
	v_and_b32_e32 v3, 63, v13
	v_cmp_ne_u32_e32 vcc, 63, v3
	v_and_b32_e32 v9, s68, v4
	v_add_u32_e32 v25, 32, v25
	v_addc_co_u32_e32 v15, vcc, 0, v13, vcc
	v_lshlrev_b32_e32 v22, 2, v15
	ds_bpermute_b32 v23, v22, v6
	ds_bpermute_b32 v15, v22, v14
	v_ffbl_b32_e32 v9, v9
	v_min_u32_e32 v9, v9, v25
	v_cmp_lt_u32_e32 vcc, v3, v9
	s_and_saveexec_b64 s[68:69], vcc
	s_cbranch_execz .LBB1682_176
; %bb.175:
	v_mov_b32_e32 v14, 0
	s_waitcnt lgkmcnt(0)
	v_add_f32_e32 v23, v6, v23
	v_cmp_eq_u16_sdwa vcc, v7, v14 src0_sel:BYTE_0 src1_sel:DWORD
	v_and_b32_e32 v7, 1, v7
	v_and_b32_e32 v14, 1, v15
	v_cndmask_b32_e32 v6, v6, v23, vcc
	v_cmp_eq_u32_e32 vcc, 1, v7
	s_nop 1
	v_cndmask_b32_e64 v7, v14, 1, vcc
	v_and_b32_e32 v14, 0xffff, v7
.LBB1682_176:
	s_or_b64 exec, exec, s[68:69]
	v_cmp_gt_u32_e32 vcc, 62, v3
	v_add_u32_e32 v25, 2, v3
	s_waitcnt lgkmcnt(0)
	v_cndmask_b32_e64 v15, 0, 1, vcc
	v_lshlrev_b32_e32 v15, 1, v15
	v_add_lshl_u32 v23, v15, v13, 2
	ds_bpermute_b32 v27, v23, v6
	ds_bpermute_b32 v15, v23, v14
	v_cmp_le_u32_e32 vcc, v25, v9
	s_and_saveexec_b64 s[68:69], vcc
	s_cbranch_execz .LBB1682_178
; %bb.177:
	v_mov_b32_e32 v14, 0
	s_waitcnt lgkmcnt(0)
	v_add_f32_e32 v27, v6, v27
	v_cmp_eq_u16_sdwa vcc, v7, v14 src0_sel:BYTE_0 src1_sel:DWORD
	v_and_b32_e32 v7, 1, v7
	v_and_b32_e32 v14, 1, v15
	v_cndmask_b32_e32 v6, v6, v27, vcc
	v_cmp_eq_u32_e32 vcc, 1, v7
	s_nop 1
	v_cndmask_b32_e64 v7, v14, 1, vcc
	v_and_b32_e32 v14, 0xffff, v7
.LBB1682_178:
	s_or_b64 exec, exec, s[68:69]
	v_cmp_gt_u32_e32 vcc, 60, v3
	v_add_u32_e32 v47, 4, v3
	s_waitcnt lgkmcnt(0)
	v_cndmask_b32_e64 v15, 0, 1, vcc
	v_lshlrev_b32_e32 v15, 2, v15
	v_add_lshl_u32 v27, v15, v13, 2
	s_waitcnt vmcnt(0)
	ds_bpermute_b32 v70, v27, v6
	ds_bpermute_b32 v15, v27, v14
	v_cmp_le_u32_e32 vcc, v47, v9
	s_and_saveexec_b64 s[68:69], vcc
	s_cbranch_execz .LBB1682_180
; %bb.179:
	v_mov_b32_e32 v14, 0
	s_waitcnt lgkmcnt(1)
	v_add_f32_e32 v70, v6, v70
	v_cmp_eq_u16_sdwa vcc, v7, v14 src0_sel:BYTE_0 src1_sel:DWORD
	v_and_b32_e32 v7, 1, v7
	s_waitcnt lgkmcnt(0)
	v_and_b32_e32 v14, 1, v15
	v_cndmask_b32_e32 v6, v6, v70, vcc
	v_cmp_eq_u32_e32 vcc, 1, v7
	s_nop 1
	v_cndmask_b32_e64 v7, v14, 1, vcc
	v_and_b32_e32 v14, 0xffff, v7
.LBB1682_180:
	s_or_b64 exec, exec, s[68:69]
	v_cmp_gt_u32_e32 vcc, 56, v3
	v_add_u32_e32 v71, 8, v3
	s_waitcnt lgkmcnt(0)
	v_cndmask_b32_e64 v15, 0, 1, vcc
	v_lshlrev_b32_e32 v15, 3, v15
	v_add_lshl_u32 v70, v15, v13, 2
	ds_bpermute_b32 v72, v70, v6
	ds_bpermute_b32 v15, v70, v14
	v_cmp_le_u32_e32 vcc, v71, v9
	s_and_saveexec_b64 s[68:69], vcc
	s_cbranch_execz .LBB1682_182
; %bb.181:
	v_mov_b32_e32 v14, 0
	s_waitcnt lgkmcnt(1)
	v_add_f32_e32 v72, v6, v72
	v_cmp_eq_u16_sdwa vcc, v7, v14 src0_sel:BYTE_0 src1_sel:DWORD
	v_and_b32_e32 v7, 1, v7
	s_waitcnt lgkmcnt(0)
	v_and_b32_e32 v14, 1, v15
	v_cndmask_b32_e32 v6, v6, v72, vcc
	v_cmp_eq_u32_e32 vcc, 1, v7
	s_nop 1
	v_cndmask_b32_e64 v7, v14, 1, vcc
	v_and_b32_e32 v14, 0xffff, v7
.LBB1682_182:
	s_or_b64 exec, exec, s[68:69]
	v_cmp_gt_u32_e32 vcc, 48, v3
	v_add_u32_e32 v73, 16, v3
	s_waitcnt lgkmcnt(0)
	v_cndmask_b32_e64 v15, 0, 1, vcc
	v_lshlrev_b32_e32 v15, 4, v15
	v_add_lshl_u32 v72, v15, v13, 2
	;; [unrolled: 26-line block ×3, first 2 shown]
	ds_bpermute_b32 v15, v75, v6
	ds_bpermute_b32 v13, v75, v14
	v_cmp_le_u32_e32 vcc, v77, v9
	s_and_saveexec_b64 s[68:69], vcc
	s_cbranch_execz .LBB1682_186
; %bb.185:
	v_mov_b32_e32 v9, 0
	s_waitcnt lgkmcnt(1)
	v_add_f32_e32 v14, v6, v15
	v_cmp_eq_u16_sdwa vcc, v7, v9 src0_sel:BYTE_0 src1_sel:DWORD
	v_and_b32_e32 v7, 1, v7
	s_waitcnt lgkmcnt(0)
	v_and_b32_e32 v9, 1, v13
	v_cndmask_b32_e32 v6, v6, v14, vcc
	v_cmp_eq_u32_e32 vcc, 1, v7
	s_nop 1
	v_cndmask_b32_e64 v7, v9, 1, vcc
.LBB1682_186:
	s_or_b64 exec, exec, s[68:69]
	s_waitcnt lgkmcnt(0)
	v_mov_b32_e32 v13, 0
	v_mov_b32_e32 v78, 2
	s_branch .LBB1682_188
.LBB1682_187:                           ;   in Loop: Header=BB1682_188 Depth=1
	s_or_b64 exec, exec, s[68:69]
	s_waitcnt lgkmcnt(0)
	ds_bpermute_b32 v15, v75, v6
	ds_bpermute_b32 v14, v75, v14
	v_and_b32_e32 v79, 1, v7
	v_cmp_eq_u16_sdwa vcc, v7, v13 src0_sel:BYTE_0 src1_sel:DWORD
	v_subrev_u32_e32 v12, 64, v12
	s_waitcnt lgkmcnt(1)
	v_add_f32_e32 v15, v6, v15
	v_cndmask_b32_e32 v15, v6, v15, vcc
	v_cmp_eq_u32_e32 vcc, 1, v79
	s_waitcnt lgkmcnt(0)
	s_nop 0
	v_cndmask_b32_e64 v14, v14, 1, vcc
	v_cmp_gt_u32_e32 vcc, v77, v9
	v_and_b32_e32 v9, 1, v74
	s_nop 0
	v_cndmask_b32_e32 v6, v15, v6, vcc
	v_cndmask_b32_e32 v7, v14, v7, vcc
	v_add_f32_e32 v6, v76, v6
	v_cmp_eq_u16_sdwa vcc, v74, v13 src0_sel:BYTE_0 src1_sel:DWORD
	v_and_b32_e32 v7, 1, v7
	s_nop 0
	v_cndmask_b32_e32 v6, v76, v6, vcc
	v_cmp_eq_u32_e32 vcc, 1, v9
	s_nop 1
	v_cndmask_b32_e64 v7, v7, 1, vcc
.LBB1682_188:                           ; =>This Loop Header: Depth=1
                                        ;     Child Loop BB1682_191 Depth 2
	v_cmp_ne_u16_sdwa s[68:69], v8, v78 src0_sel:BYTE_0 src1_sel:DWORD
	v_mov_b32_e32 v74, v7
	v_mov_b32_e32 v76, v6
	v_cndmask_b32_e64 v7, 0, 1, s[68:69]
	;;#ASMSTART
	;;#ASMEND
	s_nop 0
	v_cmp_ne_u32_e32 vcc, 0, v7
	s_cmp_lg_u64 vcc, exec
	s_cbranch_scc1 .LBB1682_203
; %bb.189:                              ;   in Loop: Header=BB1682_188 Depth=1
	v_lshl_add_u64 v[14:15], v[12:13], 4, s[56:57]
	;;#ASMSTART
	global_load_dwordx4 v[6:9], v[14:15] off sc1	
s_waitcnt vmcnt(0)
	;;#ASMEND
	s_nop 0
	v_cmp_eq_u16_sdwa s[70:71], v8, v13 src0_sel:BYTE_0 src1_sel:DWORD
	s_and_saveexec_b64 s[68:69], s[70:71]
	s_cbranch_execz .LBB1682_193
; %bb.190:                              ;   in Loop: Header=BB1682_188 Depth=1
	s_mov_b64 s[70:71], 0
.LBB1682_191:                           ;   Parent Loop BB1682_188 Depth=1
                                        ; =>  This Inner Loop Header: Depth=2
	;;#ASMSTART
	global_load_dwordx4 v[6:9], v[14:15] off sc1	
s_waitcnt vmcnt(0)
	;;#ASMEND
	s_nop 0
	v_cmp_ne_u16_sdwa s[72:73], v8, v13 src0_sel:BYTE_0 src1_sel:DWORD
	s_or_b64 s[70:71], s[72:73], s[70:71]
	s_andn2_b64 exec, exec, s[70:71]
	s_cbranch_execnz .LBB1682_191
; %bb.192:                              ;   in Loop: Header=BB1682_188 Depth=1
	s_or_b64 exec, exec, s[70:71]
.LBB1682_193:                           ;   in Loop: Header=BB1682_188 Depth=1
	s_or_b64 exec, exec, s[68:69]
	v_cmp_eq_u16_sdwa s[68:69], v8, v78 src0_sel:BYTE_0 src1_sel:DWORD
	v_and_b32_e32 v14, 0xff, v7
	ds_bpermute_b32 v79, v22, v6
	v_and_b32_e32 v9, s69, v5
	v_or_b32_e32 v9, 0x80000000, v9
	ds_bpermute_b32 v15, v22, v14
	v_and_b32_e32 v80, s68, v4
	v_ffbl_b32_e32 v9, v9
	v_add_u32_e32 v9, 32, v9
	v_ffbl_b32_e32 v80, v80
	v_min_u32_e32 v9, v80, v9
	v_cmp_lt_u32_e32 vcc, v3, v9
	s_and_saveexec_b64 s[68:69], vcc
	s_cbranch_execz .LBB1682_195
; %bb.194:                              ;   in Loop: Header=BB1682_188 Depth=1
	s_waitcnt lgkmcnt(1)
	v_add_f32_e32 v14, v6, v79
	v_cmp_eq_u16_sdwa vcc, v7, v13 src0_sel:BYTE_0 src1_sel:DWORD
	v_and_b32_e32 v7, 1, v7
	s_nop 0
	v_cndmask_b32_e32 v6, v6, v14, vcc
	s_waitcnt lgkmcnt(0)
	v_and_b32_e32 v14, 1, v15
	v_cmp_eq_u32_e32 vcc, 1, v7
	s_nop 1
	v_cndmask_b32_e64 v7, v14, 1, vcc
	v_and_b32_e32 v14, 0xffff, v7
.LBB1682_195:                           ;   in Loop: Header=BB1682_188 Depth=1
	s_or_b64 exec, exec, s[68:69]
	s_waitcnt lgkmcnt(1)
	ds_bpermute_b32 v79, v23, v6
	s_waitcnt lgkmcnt(1)
	ds_bpermute_b32 v15, v23, v14
	v_cmp_le_u32_e32 vcc, v25, v9
	s_and_saveexec_b64 s[68:69], vcc
	s_cbranch_execz .LBB1682_197
; %bb.196:                              ;   in Loop: Header=BB1682_188 Depth=1
	s_waitcnt lgkmcnt(1)
	v_add_f32_e32 v14, v6, v79
	v_cmp_eq_u16_sdwa vcc, v7, v13 src0_sel:BYTE_0 src1_sel:DWORD
	v_and_b32_e32 v7, 1, v7
	s_nop 0
	v_cndmask_b32_e32 v6, v6, v14, vcc
	s_waitcnt lgkmcnt(0)
	v_and_b32_e32 v14, 1, v15
	v_cmp_eq_u32_e32 vcc, 1, v7
	s_nop 1
	v_cndmask_b32_e64 v7, v14, 1, vcc
	v_and_b32_e32 v14, 0xffff, v7
.LBB1682_197:                           ;   in Loop: Header=BB1682_188 Depth=1
	s_or_b64 exec, exec, s[68:69]
	s_waitcnt lgkmcnt(1)
	ds_bpermute_b32 v79, v27, v6
	s_waitcnt lgkmcnt(1)
	ds_bpermute_b32 v15, v27, v14
	v_cmp_le_u32_e32 vcc, v47, v9
	;; [unrolled: 22-line block ×4, first 2 shown]
	s_and_saveexec_b64 s[68:69], vcc
	s_cbranch_execz .LBB1682_187
; %bb.202:                              ;   in Loop: Header=BB1682_188 Depth=1
	s_waitcnt lgkmcnt(1)
	v_add_f32_e32 v14, v6, v79
	v_cmp_eq_u16_sdwa vcc, v7, v13 src0_sel:BYTE_0 src1_sel:DWORD
	v_and_b32_e32 v7, 1, v7
	s_nop 0
	v_cndmask_b32_e32 v6, v6, v14, vcc
	s_waitcnt lgkmcnt(0)
	v_and_b32_e32 v14, 1, v15
	v_cmp_eq_u32_e32 vcc, 1, v7
	s_nop 1
	v_cndmask_b32_e64 v7, v14, 1, vcc
	v_and_b32_e32 v14, 0xffff, v7
	s_branch .LBB1682_187
.LBB1682_203:                           ;   in Loop: Header=BB1682_188 Depth=1
                                        ; implicit-def: $vgpr7
	s_cbranch_execz .LBB1682_188
; %bb.204:
	s_and_saveexec_b64 s[68:69], s[48:49]
	s_cbranch_execz .LBB1682_206
; %bb.205:
	s_and_b32 s48, s3, 0xff
	s_cmp_eq_u32 s48, 0
	s_cselect_b64 vcc, -1, 0
	s_bitcmp1_b32 s3, 0
	s_mov_b32 s49, 0
	s_cselect_b64 s[70:71], -1, 0
	s_add_i32 s48, s2, 64
	s_lshl_b64 s[2:3], s[48:49], 4
	v_add_f32_e32 v3, v76, v2
	s_add_u32 s2, s56, s2
	v_cndmask_b32_e32 v2, v2, v3, vcc
	v_and_b32_e32 v3, 1, v74
	s_addc_u32 s3, s57, s3
	v_cndmask_b32_e64 v3, v3, 1, s[70:71]
	v_mov_b32_e32 v4, 2
	v_mov_b32_e32 v5, 0
	v_mov_b64_e32 v[6:7], s[2:3]
	;;#ASMSTART
	global_store_dwordx4 v[6:7], v[2:5] off sc1	
s_waitcnt vmcnt(0)
	;;#ASMEND
.LBB1682_206:
	s_or_b64 exec, exec, s[68:69]
	s_and_b64 exec, exec, s[46:47]
	s_cbranch_execz .LBB1682_208
; %bb.207:
	v_mov_b32_e32 v2, 0
	ds_write_b32 v2, v76
	ds_write_b8 v2, v74 offset:4
.LBB1682_208:
	s_or_b64 exec, exec, s[60:61]
	v_mov_b32_e32 v2, 0
	s_waitcnt lgkmcnt(0)
	s_barrier
	ds_read_b32 v3, v2
	v_cmp_eq_u32_e32 vcc, 0, v21
	s_waitcnt lgkmcnt(0)
	v_add_f32_e32 v4, v20, v3
	v_cndmask_b32_e32 v4, v20, v4, vcc
	v_cndmask_b32_e64 v47, v4, v3, s[46:47]
	v_add_f32_e32 v3, v48, v47
	v_cmp_eq_u16_sdwa vcc, v1, v2 src0_sel:BYTE_0 src1_sel:DWORD
	s_waitcnt vmcnt(0)
	s_nop 0
	v_cndmask_b32_e32 v70, v48, v3, vcc
	v_add_f32_e32 v2, v24, v70
	v_cndmask_b32_e64 v71, v24, v2, s[50:51]
	v_add_f32_e32 v2, v46, v71
	v_cndmask_b32_e64 v72, v46, v2, s[4:5]
	;; [unrolled: 2-line block ×21, first 2 shown]
	s_branch .LBB1682_231
.LBB1682_209:
                                        ; implicit-def: $vgpr90
                                        ; implicit-def: $vgpr89
                                        ; implicit-def: $vgpr88
                                        ; implicit-def: $vgpr87
                                        ; implicit-def: $vgpr86
                                        ; implicit-def: $vgpr85
                                        ; implicit-def: $vgpr84
                                        ; implicit-def: $vgpr83
                                        ; implicit-def: $vgpr82
                                        ; implicit-def: $vgpr81
                                        ; implicit-def: $vgpr80
                                        ; implicit-def: $vgpr79
                                        ; implicit-def: $vgpr78
                                        ; implicit-def: $vgpr77
                                        ; implicit-def: $vgpr76
                                        ; implicit-def: $vgpr75
                                        ; implicit-def: $vgpr74
                                        ; implicit-def: $vgpr73
                                        ; implicit-def: $vgpr72
                                        ; implicit-def: $vgpr71
                                        ; implicit-def: $vgpr70
                                        ; implicit-def: $vgpr47
                                        ; implicit-def: $vgpr91
	s_cbranch_execz .LBB1682_231
; %bb.210:
	s_cmp_lg_u64 s[66:67], 0
	s_cselect_b32 s3, s63, 0
	s_cselect_b32 s2, s62, 0
	s_cmp_eq_u64 s[2:3], 0
	v_mov_b32_e32 v4, s76
	s_cbranch_scc1 .LBB1682_212
; %bb.211:
	v_mov_b32_e32 v2, 0
	global_load_dword v4, v2, s[2:3]
.LBB1682_212:
	v_mov_b32_e32 v9, 0
	v_cmp_eq_u16_sdwa vcc, v49, v9 src0_sel:BYTE_0 src1_sel:DWORD
	v_cmp_eq_u16_sdwa s[2:3], v50, v9 src0_sel:BYTE_0 src1_sel:DWORD
	v_cmp_eq_u16_sdwa s[4:5], v51, v9 src0_sel:BYTE_0 src1_sel:DWORD
	v_cndmask_b32_e32 v2, v24, v19, vcc
	v_add_f32_e32 v2, v46, v2
	v_cndmask_b32_e64 v2, v46, v2, s[2:3]
	v_add_f32_e32 v2, v44, v2
	v_cndmask_b32_e64 v2, v44, v2, s[4:5]
	v_add_f32_e32 v2, v45, v2
	v_cmp_eq_u16_sdwa s[6:7], v53, v9 src0_sel:BYTE_0 src1_sel:DWORD
	v_cmp_eq_u16_sdwa s[8:9], v54, v9 src0_sel:BYTE_0 src1_sel:DWORD
	v_cmp_eq_u16_sdwa s[10:11], v55, v9 src0_sel:BYTE_0 src1_sel:DWORD
	v_cndmask_b32_e64 v2, v45, v2, s[6:7]
	v_add_f32_e32 v2, v42, v2
	v_cndmask_b32_e64 v2, v42, v2, s[8:9]
	v_add_f32_e32 v2, v43, v2
	v_cndmask_b32_e64 v2, v43, v2, s[10:11]
	v_add_f32_e32 v2, v40, v2
	v_cmp_eq_u16_sdwa s[14:15], v56, v9 src0_sel:BYTE_0 src1_sel:DWORD
	v_cmp_eq_u16_sdwa s[16:17], v57, v9 src0_sel:BYTE_0 src1_sel:DWORD
	v_cmp_eq_u16_sdwa s[18:19], v58, v9 src0_sel:BYTE_0 src1_sel:DWORD
	v_cndmask_b32_e64 v2, v40, v2, s[14:15]
	;; [unrolled: 9-line block ×6, first 2 shown]
	v_add_f32_e32 v2, v29, v2
	v_cndmask_b32_e64 v2, v29, v2, s[42:43]
	v_add_f32_e32 v2, v26, v2
	v_cndmask_b32_e64 v2, v26, v2, s[12:13]
	v_add_f32_e32 v2, v16, v2
	v_cmp_eq_u16_sdwa s[44:45], v11, v9 src0_sel:BYTE_0 src1_sel:DWORD
	v_and_b32_e32 v3, 0xff, v1
	s_nop 0
	v_cndmask_b32_e64 v6, v16, v2, s[44:45]
	v_or_b32_e32 v2, v18, v68
	v_or_b32_e32 v2, v2, v67
	;; [unrolled: 1-line block ×19, first 2 shown]
	v_and_b32_e32 v2, 1, v2
	v_cmp_eq_u32_e64 s[44:45], 1, v2
	v_add_lshl_u32 v2, v17, v0, 3
	s_nop 0
	v_cndmask_b32_e64 v7, v3, 1, s[44:45]
	v_cmp_gt_u32_e64 s[44:45], 64, v0
	ds_write_b32 v2, v6
	ds_write_b8 v2, v7 offset:4
	s_waitcnt lgkmcnt(0)
	s_barrier
	s_and_saveexec_b64 s[46:47], s[44:45]
	s_cbranch_execz .LBB1682_226
; %bb.213:
	v_lshrrev_b32_e32 v2, 3, v0
	v_add_lshl_u32 v5, v2, v10, 3
	ds_read2_b32 v[12:13], v5 offset0:2 offset1:4
	ds_read_b64 v[2:3], v5
	ds_read_u8 v11, v5 offset:12
	ds_read_u8 v14, v5 offset:20
	ds_read_b32 v16, v5 offset:24
	ds_read_u8 v17, v5 offset:28
	s_waitcnt lgkmcnt(0)
	v_add_f32_e32 v8, v2, v12
	v_cmp_eq_u16_sdwa s[44:45], v11, v9 src0_sel:BYTE_0 src1_sel:DWORD
	v_and_b32_e32 v15, 0xffffff00, v3
	s_nop 0
	v_cndmask_b32_e64 v12, v12, v8, s[44:45]
	v_add_f32_e32 v12, v13, v12
	v_cmp_eq_u16_sdwa s[44:45], v14, v9 src0_sel:BYTE_0 src1_sel:DWORD
	v_and_b32_e32 v8, 1, v3
	s_nop 0
	v_cndmask_b32_e64 v9, v13, v12, s[44:45]
	v_or_b32_e32 v12, v17, v14
	v_or_b32_e32 v11, v12, v11
	v_add_f32_e32 v9, v16, v9
	v_cmp_eq_u16_e64 s[44:45], 0, v17
	v_and_b32_e32 v11, 1, v11
	s_nop 0
	v_cndmask_b32_e64 v9, v16, v9, s[44:45]
	v_cmp_eq_u32_e64 s[44:45], 1, v11
	v_mbcnt_lo_u32_b32 v11, -1, 0
	v_mbcnt_hi_u32_b32 v11, -1, v11
	v_cndmask_b32_e64 v13, v8, 1, s[44:45]
	v_or_b32_e32 v12, v13, v15
	v_and_b32_e32 v14, 15, v11
	v_mov_b32_dpp v17, v9 row_shr:1 row_mask:0xf bank_mask:0xf
	v_mov_b32_dpp v16, v12 row_shr:1 row_mask:0xf bank_mask:0xf
	v_cmp_ne_u32_e64 s[44:45], 0, v14
	s_and_saveexec_b64 s[48:49], s[44:45]
; %bb.214:
	v_add_f32_e32 v12, v9, v17
	v_cmp_eq_u32_e64 s[44:45], 0, v13
	s_nop 1
	v_cndmask_b32_e64 v9, v9, v12, s[44:45]
	v_and_b32_e32 v12, 1, v13
	v_and_b32_e32 v13, 1, v16
	v_cmp_eq_u32_e64 s[44:45], 1, v12
	s_nop 1
	v_cndmask_b32_e64 v13, v13, 1, s[44:45]
	v_or_b32_e32 v12, v13, v15
; %bb.215:
	s_or_b64 exec, exec, s[48:49]
	v_mov_b32_dpp v16, v9 row_shr:2 row_mask:0xf bank_mask:0xf
	v_mov_b32_dpp v15, v12 row_shr:2 row_mask:0xf bank_mask:0xf
	v_cmp_lt_u32_e64 s[44:45], 1, v14
	s_and_saveexec_b64 s[48:49], s[44:45]
; %bb.216:
	v_add_f32_e32 v16, v9, v16
	v_cmp_eq_u32_e64 s[44:45], 0, v13
	v_and_b32_e32 v13, 1, v13
	v_and_b32_e32 v15, 1, v15
	v_cndmask_b32_e64 v9, v9, v16, s[44:45]
	v_cmp_eq_u32_e64 s[44:45], 1, v13
	s_nop 1
	v_cndmask_b32_e64 v13, v15, 1, s[44:45]
	s_movk_i32 s44, 0xff00
	v_and_or_b32 v12, v12, s44, v13
; %bb.217:
	s_or_b64 exec, exec, s[48:49]
	v_mov_b32_dpp v16, v9 row_shr:4 row_mask:0xf bank_mask:0xf
	v_mov_b32_dpp v15, v12 row_shr:4 row_mask:0xf bank_mask:0xf
	v_cmp_lt_u32_e64 s[44:45], 3, v14
	s_and_saveexec_b64 s[48:49], s[44:45]
; %bb.218:
	v_add_f32_e32 v16, v9, v16
	v_cmp_eq_u32_e64 s[44:45], 0, v13
	v_and_b32_e32 v13, 1, v13
	v_and_b32_e32 v15, 1, v15
	v_cndmask_b32_e64 v9, v9, v16, s[44:45]
	v_cmp_eq_u32_e64 s[44:45], 1, v13
	s_nop 1
	v_cndmask_b32_e64 v13, v15, 1, s[44:45]
	s_movk_i32 s44, 0xff00
	v_and_or_b32 v12, v12, s44, v13
; %bb.219:
	s_or_b64 exec, exec, s[48:49]
	v_mov_b32_dpp v16, v9 row_shr:8 row_mask:0xf bank_mask:0xf
	v_mov_b32_dpp v15, v12 row_shr:8 row_mask:0xf bank_mask:0xf
	v_cmp_lt_u32_e64 s[44:45], 7, v14
	s_and_saveexec_b64 s[48:49], s[44:45]
; %bb.220:
	v_add_f32_e32 v14, v9, v16
	v_cmp_eq_u32_e64 s[44:45], 0, v13
	v_and_b32_e32 v13, 1, v13
	s_nop 0
	v_cndmask_b32_e64 v9, v9, v14, s[44:45]
	v_and_b32_e32 v14, 1, v15
	v_cmp_eq_u32_e64 s[44:45], 1, v13
	s_nop 1
	v_cndmask_b32_e64 v13, v14, 1, s[44:45]
	s_movk_i32 s44, 0xff00
	v_and_or_b32 v12, v12, s44, v13
; %bb.221:
	s_or_b64 exec, exec, s[48:49]
	v_and_b32_e32 v16, 16, v11
	v_mov_b32_dpp v15, v9 row_bcast:15 row_mask:0xf bank_mask:0xf
	v_mov_b32_dpp v14, v12 row_bcast:15 row_mask:0xf bank_mask:0xf
	v_cmp_ne_u32_e64 s[44:45], 0, v16
	s_and_saveexec_b64 s[48:49], s[44:45]
; %bb.222:
	v_add_f32_e32 v15, v9, v15
	v_cmp_eq_u32_e64 s[44:45], 0, v13
	v_and_b32_e32 v13, 1, v13
	v_and_b32_e32 v14, 1, v14
	v_cndmask_b32_e64 v9, v9, v15, s[44:45]
	v_cmp_eq_u32_e64 s[44:45], 1, v13
	s_nop 1
	v_cndmask_b32_e64 v13, v14, 1, s[44:45]
	s_movk_i32 s44, 0xff00
	v_and_or_b32 v12, v12, s44, v13
; %bb.223:
	s_or_b64 exec, exec, s[48:49]
	v_mov_b32_dpp v15, v9 row_bcast:31 row_mask:0xf bank_mask:0xf
	v_mov_b32_dpp v14, v12 row_bcast:31 row_mask:0xf bank_mask:0xf
	v_cmp_lt_u32_e64 s[44:45], 31, v11
	s_and_saveexec_b64 s[48:49], s[44:45]
; %bb.224:
	v_add_f32_e32 v15, v9, v15
	v_cmp_eq_u32_e64 s[44:45], 0, v13
	v_and_b32_e32 v13, 1, v13
	v_and_b32_e32 v14, 1, v14
	v_cndmask_b32_e64 v9, v9, v15, s[44:45]
	v_cmp_eq_u32_e64 s[44:45], 1, v13
	s_nop 1
	v_cndmask_b32_e64 v13, v14, 1, s[44:45]
	s_movk_i32 s44, 0xff00
	v_and_or_b32 v12, v12, s44, v13
; %bb.225:
	s_or_b64 exec, exec, s[48:49]
	v_add_u32_e32 v13, -1, v11
	v_and_b32_e32 v14, 64, v11
	v_cmp_lt_i32_e64 s[44:45], v13, v14
	; wave barrier
	s_nop 1
	v_cndmask_b32_e64 v11, v13, v11, s[44:45]
	v_lshlrev_b32_e32 v11, 2, v11
	ds_bpermute_b32 v9, v11, v9
	ds_bpermute_b32 v11, v11, v12
	v_mov_b32_e32 v12, 0
	v_cmp_eq_u32_sdwa s[44:45], v3, v12 src0_sel:BYTE_0 src1_sel:DWORD
	s_waitcnt lgkmcnt(0)
	v_add_f32_e32 v9, v2, v9
	v_cndmask_b32_e64 v2, v2, v9, s[44:45]
	v_and_b32_e32 v3, 1, v11
	v_cmp_eq_u32_e64 s[44:45], 1, v8
	s_nop 1
	v_cndmask_b32_e64 v3, v3, 1, s[44:45]
	v_cmp_eq_u32_e64 s[44:45], 0, v0
	s_nop 1
	v_cndmask_b32_e64 v6, v2, v6, s[44:45]
	v_cndmask_b32_e64 v7, v3, v7, s[44:45]
	ds_write_b32 v5, v6
	ds_write_b8 v5, v7 offset:4
	; wave barrier
	ds_read2_b32 v[2:3], v5 offset0:2 offset1:4
	ds_read_u8 v8, v5 offset:12
	ds_read_u8 v9, v5 offset:20
	ds_read_b32 v11, v5 offset:24
	ds_read_u8 v12, v5 offset:28
	s_waitcnt lgkmcnt(0)
	v_add_f32_e32 v6, v6, v2
	v_cmp_eq_u16_e64 s[44:45], 0, v8
	s_nop 1
	v_cndmask_b32_e64 v2, v2, v6, s[44:45]
	v_and_b32_e32 v6, 1, v8
	v_cmp_eq_u32_e64 s[44:45], 1, v6
	s_nop 1
	v_cndmask_b32_e64 v6, v7, 1, s[44:45]
	v_add_f32_e32 v7, v2, v3
	v_cmp_eq_u16_e64 s[44:45], 0, v9
	ds_write_b8 v5, v6 offset:12
	s_nop 0
	v_cndmask_b32_e64 v3, v3, v7, s[44:45]
	v_and_b32_e32 v7, 1, v9
	v_cmp_eq_u32_e64 s[44:45], 1, v7
	s_nop 1
	v_cndmask_b32_e64 v6, v6, 1, s[44:45]
	ds_write2_b32 v5, v2, v3 offset0:2 offset1:4
	ds_write_b8 v5, v6 offset:20
	v_add_f32_e32 v2, v3, v11
	v_cmp_eq_u16_e64 s[44:45], 0, v12
	v_and_b32_e32 v3, 1, v12
	s_nop 0
	v_cndmask_b32_e64 v2, v11, v2, s[44:45]
	v_cmp_eq_u32_e64 s[44:45], 1, v3
	s_nop 1
	v_cndmask_b32_e64 v3, v6, 1, s[44:45]
	ds_write_b32 v5, v2 offset:24
	ds_write_b8 v5, v3 offset:28
.LBB1682_226:
	s_or_b64 exec, exec, s[46:47]
	v_cmp_eq_u32_e64 s[44:45], 0, v0
	v_cmp_ne_u32_e64 s[46:47], 0, v0
	s_waitcnt vmcnt(0)
	v_mov_b32_e32 v47, v4
	s_waitcnt lgkmcnt(0)
	s_barrier
	s_and_saveexec_b64 s[48:49], s[46:47]
	s_cbranch_execz .LBB1682_228
; %bb.227:
	v_add_u32_e32 v2, -1, v0
	v_lshrrev_b32_e32 v3, 5, v2
	v_add_lshl_u32 v2, v3, v2, 3
	ds_read_b32 v3, v2
	ds_read_u8 v2, v2 offset:4
	s_waitcnt lgkmcnt(1)
	v_add_f32_e32 v5, v4, v3
	s_waitcnt lgkmcnt(0)
	v_cmp_eq_u16_e64 s[46:47], 0, v2
	s_nop 1
	v_cndmask_b32_e64 v47, v3, v5, s[46:47]
.LBB1682_228:
	s_or_b64 exec, exec, s[48:49]
	v_mov_b32_e32 v5, 0
	v_add_f32_e32 v2, v48, v47
	v_cmp_eq_u16_sdwa s[46:47], v1, v5 src0_sel:BYTE_0 src1_sel:DWORD
	s_nop 1
	v_cndmask_b32_e64 v70, v48, v2, s[46:47]
	v_add_f32_e32 v1, v24, v70
	v_cndmask_b32_e32 v71, v24, v1, vcc
	v_add_f32_e32 v1, v46, v71
	v_cndmask_b32_e64 v72, v46, v1, s[2:3]
	v_add_f32_e32 v1, v44, v72
	v_cndmask_b32_e64 v73, v44, v1, s[4:5]
	;; [unrolled: 2-line block ×19, first 2 shown]
	v_add_f32_e32 v1, v26, v90
	s_and_saveexec_b64 s[2:3], s[44:45]
	s_cbranch_execz .LBB1682_230
; %bb.229:
	ds_read_b32 v2, v5 offset:2096
	ds_read_u8 v3, v5 offset:2100
	s_add_u32 s4, s56, 0x400
	s_addc_u32 s5, s57, 0
	v_mov_b64_e32 v[6:7], s[4:5]
	s_waitcnt lgkmcnt(1)
	v_add_f32_e32 v4, v4, v2
	s_waitcnt lgkmcnt(0)
	v_cmp_eq_u16_e32 vcc, 0, v3
	v_and_b32_e32 v3, 0xffff, v3
	s_nop 0
	v_cndmask_b32_e32 v2, v2, v4, vcc
	v_mov_b32_e32 v4, 2
	;;#ASMSTART
	global_store_dwordx4 v[6:7], v[2:5] off sc1	
s_waitcnt vmcnt(0)
	;;#ASMEND
.LBB1682_230:
	s_or_b64 exec, exec, s[2:3]
	v_cndmask_b32_e64 v91, v26, v1, s[12:13]
.LBB1682_231:
	s_add_u32 s2, s54, s64
	s_addc_u32 s3, s55, s65
	s_add_u32 s2, s2, s52
	s_addc_u32 s3, s3, s53
	s_and_b64 vcc, exec, s[0:1]
	s_cbranch_vccz .LBB1682_277
; %bb.232:
	s_movk_i32 s0, 0x5c
	v_mul_i32_i24_e32 v28, 0xffffffa8, v0
	v_mul_u32_u24_e32 v1, 0x5c, v0
	v_mad_u32_u24 v2, v0, s0, v28
	s_barrier
	s_waitcnt vmcnt(0)
	ds_write2_b32 v1, v47, v70 offset1:1
	ds_write2_b32 v1, v71, v72 offset0:2 offset1:3
	ds_write2_b32 v1, v73, v74 offset0:4 offset1:5
	;; [unrolled: 1-line block ×10, first 2 shown]
	ds_write_b32 v1, v91 offset:88
	s_waitcnt lgkmcnt(0)
	s_barrier
	ds_read2st64_b32 v[26:27], v2 offset0:4 offset1:8
	ds_read2st64_b32 v[24:25], v2 offset0:12 offset1:16
	;; [unrolled: 1-line block ×11, first 2 shown]
	s_add_i32 s33, s33, s58
	v_mov_b32_e32 v11, 0
	v_lshl_add_u64 v[4:5], s[2:3], 0, v[10:11]
	v_cmp_gt_u32_e32 vcc, s33, v0
	s_and_saveexec_b64 s[0:1], vcc
	s_cbranch_execz .LBB1682_234
; %bb.233:
	v_add_u32_e32 v1, v1, v28
	ds_read_b32 v1, v1
	s_waitcnt lgkmcnt(0)
	flat_store_dword v[4:5], v1
.LBB1682_234:
	s_or_b64 exec, exec, s[0:1]
	v_or_b32_e32 v1, 0x100, v0
	v_cmp_gt_u32_e32 vcc, s33, v1
	s_and_saveexec_b64 s[0:1], vcc
	s_cbranch_execz .LBB1682_236
; %bb.235:
	s_waitcnt lgkmcnt(0)
	flat_store_dword v[4:5], v26 offset:1024
.LBB1682_236:
	s_or_b64 exec, exec, s[0:1]
	v_or_b32_e32 v1, 0x200, v0
	v_cmp_gt_u32_e32 vcc, s33, v1
	s_and_saveexec_b64 s[0:1], vcc
	s_cbranch_execz .LBB1682_238
; %bb.237:
	s_waitcnt lgkmcnt(0)
	flat_store_dword v[4:5], v27 offset:2048
.LBB1682_238:
	;; [unrolled: 9-line block ×3, first 2 shown]
	s_or_b64 exec, exec, s[0:1]
	v_or_b32_e32 v1, 0x400, v0
	v_cmp_gt_u32_e32 vcc, s33, v1
	s_and_saveexec_b64 s[0:1], vcc
	s_cbranch_execz .LBB1682_242
; %bb.241:
	s_waitcnt lgkmcnt(0)
	v_add_co_u32_e32 v26, vcc, 0x1000, v4
	s_nop 1
	v_addc_co_u32_e32 v27, vcc, 0, v5, vcc
	flat_store_dword v[26:27], v25
.LBB1682_242:
	s_or_b64 exec, exec, s[0:1]
	v_or_b32_e32 v1, 0x500, v0
	v_cmp_gt_u32_e32 vcc, s33, v1
	s_and_saveexec_b64 s[0:1], vcc
	s_cbranch_execz .LBB1682_244
; %bb.243:
	s_waitcnt lgkmcnt(0)
	v_add_co_u32_e32 v24, vcc, 0x1000, v4
	s_nop 1
	v_addc_co_u32_e32 v25, vcc, 0, v5, vcc
	flat_store_dword v[24:25], v22 offset:1024
.LBB1682_244:
	s_or_b64 exec, exec, s[0:1]
	v_or_b32_e32 v1, 0x600, v0
	v_cmp_gt_u32_e32 vcc, s33, v1
	s_and_saveexec_b64 s[0:1], vcc
	s_cbranch_execz .LBB1682_246
; %bb.245:
	s_waitcnt lgkmcnt(0)
	v_add_co_u32_e32 v24, vcc, 0x1000, v4
	s_nop 1
	v_addc_co_u32_e32 v25, vcc, 0, v5, vcc
	flat_store_dword v[24:25], v23 offset:2048
.LBB1682_246:
	s_or_b64 exec, exec, s[0:1]
	v_or_b32_e32 v1, 0x700, v0
	v_cmp_gt_u32_e32 vcc, s33, v1
	s_and_saveexec_b64 s[0:1], vcc
	s_cbranch_execz .LBB1682_248
; %bb.247:
	s_waitcnt lgkmcnt(0)
	v_add_co_u32_e32 v22, vcc, 0x1000, v4
	s_nop 1
	v_addc_co_u32_e32 v23, vcc, 0, v5, vcc
	flat_store_dword v[22:23], v20 offset:3072
.LBB1682_248:
	s_or_b64 exec, exec, s[0:1]
	v_or_b32_e32 v1, 0x800, v0
	v_cmp_gt_u32_e32 vcc, s33, v1
	s_and_saveexec_b64 s[0:1], vcc
	s_cbranch_execz .LBB1682_250
; %bb.249:
	s_waitcnt lgkmcnt(0)
	v_add_co_u32_e32 v22, vcc, 0x2000, v4
	s_nop 1
	v_addc_co_u32_e32 v23, vcc, 0, v5, vcc
	flat_store_dword v[22:23], v21
.LBB1682_250:
	s_or_b64 exec, exec, s[0:1]
	v_or_b32_e32 v1, 0x900, v0
	v_cmp_gt_u32_e32 vcc, s33, v1
	s_and_saveexec_b64 s[0:1], vcc
	s_cbranch_execz .LBB1682_252
; %bb.251:
	s_waitcnt lgkmcnt(0)
	v_add_co_u32_e32 v20, vcc, 0x2000, v4
	s_nop 1
	v_addc_co_u32_e32 v21, vcc, 0, v5, vcc
	flat_store_dword v[20:21], v18 offset:1024
.LBB1682_252:
	s_or_b64 exec, exec, s[0:1]
	v_or_b32_e32 v1, 0xa00, v0
	v_cmp_gt_u32_e32 vcc, s33, v1
	s_and_saveexec_b64 s[0:1], vcc
	s_cbranch_execz .LBB1682_254
; %bb.253:
	s_waitcnt lgkmcnt(0)
	v_add_co_u32_e32 v20, vcc, 0x2000, v4
	s_nop 1
	v_addc_co_u32_e32 v21, vcc, 0, v5, vcc
	flat_store_dword v[20:21], v19 offset:2048
.LBB1682_254:
	s_or_b64 exec, exec, s[0:1]
	v_or_b32_e32 v1, 0xb00, v0
	v_cmp_gt_u32_e32 vcc, s33, v1
	s_and_saveexec_b64 s[0:1], vcc
	s_cbranch_execz .LBB1682_256
; %bb.255:
	s_waitcnt lgkmcnt(0)
	v_add_co_u32_e32 v18, vcc, 0x2000, v4
	s_nop 1
	v_addc_co_u32_e32 v19, vcc, 0, v5, vcc
	flat_store_dword v[18:19], v16 offset:3072
.LBB1682_256:
	;; [unrolled: 48-line block ×4, first 2 shown]
	s_or_b64 exec, exec, s[0:1]
	v_or_b32_e32 v1, 0x1400, v0
	v_cmp_gt_u32_e32 vcc, s33, v1
	s_and_saveexec_b64 s[0:1], vcc
	s_cbranch_execz .LBB1682_274
; %bb.273:
	s_waitcnt lgkmcnt(0)
	v_add_co_u32_e32 v8, vcc, 0x5000, v4
	s_nop 1
	v_addc_co_u32_e32 v9, vcc, 0, v5, vcc
	flat_store_dword v[8:9], v7
.LBB1682_274:
	s_or_b64 exec, exec, s[0:1]
	v_or_b32_e32 v1, 0x1500, v0
	v_cmp_gt_u32_e32 vcc, s33, v1
	s_and_saveexec_b64 s[0:1], vcc
	s_cbranch_execz .LBB1682_276
; %bb.275:
	v_add_co_u32_e32 v4, vcc, 0x5000, v4
	s_nop 1
	v_addc_co_u32_e32 v5, vcc, 0, v5, vcc
	s_waitcnt lgkmcnt(0)
	flat_store_dword v[4:5], v2 offset:1024
.LBB1682_276:
	s_or_b64 exec, exec, s[0:1]
	s_waitcnt lgkmcnt(0)
	v_or_b32_e32 v2, 0x1600, v0
	v_mov_b32_e32 v1, v11
	v_cmp_gt_u32_e64 s[0:1], s33, v2
	s_branch .LBB1682_279
.LBB1682_277:
	s_mov_b64 s[0:1], 0
                                        ; implicit-def: $vgpr3
	s_cbranch_execz .LBB1682_279
; %bb.278:
	v_mul_u32_u24_e32 v1, 0x5c, v0
	s_barrier
	s_movk_i32 s4, 0x5c
	s_waitcnt vmcnt(0)
	ds_write2_b32 v1, v47, v70 offset1:1
	ds_write2_b32 v1, v71, v72 offset0:2 offset1:3
	ds_write2_b32 v1, v73, v74 offset0:4 offset1:5
	ds_write2_b32 v1, v75, v76 offset0:6 offset1:7
	ds_write2_b32 v1, v77, v78 offset0:8 offset1:9
	ds_write2_b32 v1, v79, v80 offset0:10 offset1:11
	ds_write2_b32 v1, v81, v82 offset0:12 offset1:13
	ds_write2_b32 v1, v83, v84 offset0:14 offset1:15
	ds_write2_b32 v1, v85, v86 offset0:16 offset1:17
	ds_write2_b32 v1, v87, v88 offset0:18 offset1:19
	ds_write2_b32 v1, v89, v90 offset0:20 offset1:21
	ds_write_b32 v1, v91 offset:88
	v_mov_b32_e32 v1, 0
	v_mul_i32_i24_e32 v2, 0xffffffa8, v0
	v_mad_u32_u24 v2, v0, s4, v2
	v_mov_b32_e32 v11, v1
	s_waitcnt lgkmcnt(0)
	s_barrier
	ds_read2st64_b32 v[4:5], v2 offset1:4
	ds_read2st64_b32 v[6:7], v2 offset0:8 offset1:12
	ds_read2st64_b32 v[8:9], v2 offset0:16 offset1:20
	;; [unrolled: 1-line block ×10, first 2 shown]
	ds_read_b32 v3, v2 offset:22528
	v_lshl_add_u64 v[10:11], s[2:3], 0, v[10:11]
	s_movk_i32 s4, 0x1000
	s_waitcnt lgkmcnt(11)
	flat_store_dword v[10:11], v4
	flat_store_dword v[10:11], v5 offset:1024
	s_waitcnt lgkmcnt(0)
	flat_store_dword v[10:11], v6 offset:2048
	flat_store_dword v[10:11], v7 offset:3072
	v_add_co_u32_e32 v4, vcc, s4, v10
	s_movk_i32 s4, 0x2000
	s_nop 0
	v_addc_co_u32_e32 v5, vcc, 0, v11, vcc
	flat_store_dword v[4:5], v8
	flat_store_dword v[4:5], v9 offset:1024
	flat_store_dword v[4:5], v12 offset:2048
	;; [unrolled: 1-line block ×3, first 2 shown]
	v_add_co_u32_e32 v4, vcc, s4, v10
	s_movk_i32 s4, 0x3000
	s_nop 0
	v_addc_co_u32_e32 v5, vcc, 0, v11, vcc
	flat_store_dword v[4:5], v14
	flat_store_dword v[4:5], v15 offset:1024
	flat_store_dword v[4:5], v16 offset:2048
	;; [unrolled: 1-line block ×3, first 2 shown]
	v_add_co_u32_e32 v4, vcc, s4, v10
	s_or_b64 s[0:1], s[0:1], exec
	s_nop 0
	v_addc_co_u32_e32 v5, vcc, 0, v11, vcc
	flat_store_dword v[4:5], v18
	flat_store_dword v[4:5], v19 offset:1024
	flat_store_dword v[4:5], v20 offset:2048
	;; [unrolled: 1-line block ×3, first 2 shown]
	v_add_co_u32_e32 v4, vcc, 0x4000, v10
	s_nop 1
	v_addc_co_u32_e32 v5, vcc, 0, v11, vcc
	flat_store_dword v[4:5], v22
	flat_store_dword v[4:5], v23 offset:1024
	flat_store_dword v[4:5], v24 offset:2048
	;; [unrolled: 1-line block ×3, first 2 shown]
	v_add_co_u32_e32 v4, vcc, 0x5000, v10
	s_nop 1
	v_addc_co_u32_e32 v5, vcc, 0, v11, vcc
	flat_store_dword v[4:5], v26
	flat_store_dword v[4:5], v27 offset:1024
.LBB1682_279:
	s_and_saveexec_b64 s[4:5], s[0:1]
	s_cbranch_execz .LBB1682_281
; %bb.280:
	v_lshl_add_u64 v[0:1], v[0:1], 2, s[2:3]
	v_add_co_u32_e32 v0, vcc, 0x5000, v0
	s_nop 1
	v_addc_co_u32_e32 v1, vcc, 0, v1, vcc
	flat_store_dword v[0:1], v3 offset:2048
	s_endpgm
.LBB1682_281:
	s_endpgm
	.section	.rodata,"a",@progbits
	.p2align	6, 0x0
	.amdhsa_kernel _ZN7rocprim17ROCPRIM_400000_NS6detail17trampoline_kernelINS0_14default_configENS1_27scan_by_key_config_selectorIifEEZZNS1_16scan_by_key_implILNS1_25lookback_scan_determinismE0ELb1ES3_N6thrust23THRUST_200600_302600_NS6detail15normal_iteratorINS9_10device_ptrIiEEEENSB_INSC_IjEEEENSB_INSC_IfEEEEfNS9_4plusIvEENS9_8equal_toIvEEfEE10hipError_tPvRmT2_T3_T4_T5_mT6_T7_P12ihipStream_tbENKUlT_T0_E_clISt17integral_constantIbLb0EES13_EEDaSY_SZ_EUlSY_E_NS1_11comp_targetILNS1_3genE5ELNS1_11target_archE942ELNS1_3gpuE9ELNS1_3repE0EEENS1_30default_config_static_selectorELNS0_4arch9wavefront6targetE1EEEvT1_
		.amdhsa_group_segment_fixed_size 25600
		.amdhsa_private_segment_fixed_size 0
		.amdhsa_kernarg_size 112
		.amdhsa_user_sgpr_count 2
		.amdhsa_user_sgpr_dispatch_ptr 0
		.amdhsa_user_sgpr_queue_ptr 0
		.amdhsa_user_sgpr_kernarg_segment_ptr 1
		.amdhsa_user_sgpr_dispatch_id 0
		.amdhsa_user_sgpr_kernarg_preload_length 0
		.amdhsa_user_sgpr_kernarg_preload_offset 0
		.amdhsa_user_sgpr_private_segment_size 0
		.amdhsa_uses_dynamic_stack 0
		.amdhsa_enable_private_segment 0
		.amdhsa_system_sgpr_workgroup_id_x 1
		.amdhsa_system_sgpr_workgroup_id_y 0
		.amdhsa_system_sgpr_workgroup_id_z 0
		.amdhsa_system_sgpr_workgroup_info 0
		.amdhsa_system_vgpr_workitem_id 0
		.amdhsa_next_free_vgpr 92
		.amdhsa_next_free_sgpr 80
		.amdhsa_accum_offset 92
		.amdhsa_reserve_vcc 1
		.amdhsa_float_round_mode_32 0
		.amdhsa_float_round_mode_16_64 0
		.amdhsa_float_denorm_mode_32 3
		.amdhsa_float_denorm_mode_16_64 3
		.amdhsa_dx10_clamp 1
		.amdhsa_ieee_mode 1
		.amdhsa_fp16_overflow 0
		.amdhsa_tg_split 0
		.amdhsa_exception_fp_ieee_invalid_op 0
		.amdhsa_exception_fp_denorm_src 0
		.amdhsa_exception_fp_ieee_div_zero 0
		.amdhsa_exception_fp_ieee_overflow 0
		.amdhsa_exception_fp_ieee_underflow 0
		.amdhsa_exception_fp_ieee_inexact 0
		.amdhsa_exception_int_div_zero 0
	.end_amdhsa_kernel
	.section	.text._ZN7rocprim17ROCPRIM_400000_NS6detail17trampoline_kernelINS0_14default_configENS1_27scan_by_key_config_selectorIifEEZZNS1_16scan_by_key_implILNS1_25lookback_scan_determinismE0ELb1ES3_N6thrust23THRUST_200600_302600_NS6detail15normal_iteratorINS9_10device_ptrIiEEEENSB_INSC_IjEEEENSB_INSC_IfEEEEfNS9_4plusIvEENS9_8equal_toIvEEfEE10hipError_tPvRmT2_T3_T4_T5_mT6_T7_P12ihipStream_tbENKUlT_T0_E_clISt17integral_constantIbLb0EES13_EEDaSY_SZ_EUlSY_E_NS1_11comp_targetILNS1_3genE5ELNS1_11target_archE942ELNS1_3gpuE9ELNS1_3repE0EEENS1_30default_config_static_selectorELNS0_4arch9wavefront6targetE1EEEvT1_,"axG",@progbits,_ZN7rocprim17ROCPRIM_400000_NS6detail17trampoline_kernelINS0_14default_configENS1_27scan_by_key_config_selectorIifEEZZNS1_16scan_by_key_implILNS1_25lookback_scan_determinismE0ELb1ES3_N6thrust23THRUST_200600_302600_NS6detail15normal_iteratorINS9_10device_ptrIiEEEENSB_INSC_IjEEEENSB_INSC_IfEEEEfNS9_4plusIvEENS9_8equal_toIvEEfEE10hipError_tPvRmT2_T3_T4_T5_mT6_T7_P12ihipStream_tbENKUlT_T0_E_clISt17integral_constantIbLb0EES13_EEDaSY_SZ_EUlSY_E_NS1_11comp_targetILNS1_3genE5ELNS1_11target_archE942ELNS1_3gpuE9ELNS1_3repE0EEENS1_30default_config_static_selectorELNS0_4arch9wavefront6targetE1EEEvT1_,comdat
.Lfunc_end1682:
	.size	_ZN7rocprim17ROCPRIM_400000_NS6detail17trampoline_kernelINS0_14default_configENS1_27scan_by_key_config_selectorIifEEZZNS1_16scan_by_key_implILNS1_25lookback_scan_determinismE0ELb1ES3_N6thrust23THRUST_200600_302600_NS6detail15normal_iteratorINS9_10device_ptrIiEEEENSB_INSC_IjEEEENSB_INSC_IfEEEEfNS9_4plusIvEENS9_8equal_toIvEEfEE10hipError_tPvRmT2_T3_T4_T5_mT6_T7_P12ihipStream_tbENKUlT_T0_E_clISt17integral_constantIbLb0EES13_EEDaSY_SZ_EUlSY_E_NS1_11comp_targetILNS1_3genE5ELNS1_11target_archE942ELNS1_3gpuE9ELNS1_3repE0EEENS1_30default_config_static_selectorELNS0_4arch9wavefront6targetE1EEEvT1_, .Lfunc_end1682-_ZN7rocprim17ROCPRIM_400000_NS6detail17trampoline_kernelINS0_14default_configENS1_27scan_by_key_config_selectorIifEEZZNS1_16scan_by_key_implILNS1_25lookback_scan_determinismE0ELb1ES3_N6thrust23THRUST_200600_302600_NS6detail15normal_iteratorINS9_10device_ptrIiEEEENSB_INSC_IjEEEENSB_INSC_IfEEEEfNS9_4plusIvEENS9_8equal_toIvEEfEE10hipError_tPvRmT2_T3_T4_T5_mT6_T7_P12ihipStream_tbENKUlT_T0_E_clISt17integral_constantIbLb0EES13_EEDaSY_SZ_EUlSY_E_NS1_11comp_targetILNS1_3genE5ELNS1_11target_archE942ELNS1_3gpuE9ELNS1_3repE0EEENS1_30default_config_static_selectorELNS0_4arch9wavefront6targetE1EEEvT1_
                                        ; -- End function
	.section	.AMDGPU.csdata,"",@progbits
; Kernel info:
; codeLenInByte = 16576
; NumSgprs: 86
; NumVgprs: 92
; NumAgprs: 0
; TotalNumVgprs: 92
; ScratchSize: 0
; MemoryBound: 0
; FloatMode: 240
; IeeeMode: 1
; LDSByteSize: 25600 bytes/workgroup (compile time only)
; SGPRBlocks: 10
; VGPRBlocks: 11
; NumSGPRsForWavesPerEU: 86
; NumVGPRsForWavesPerEU: 92
; AccumOffset: 92
; Occupancy: 2
; WaveLimiterHint : 1
; COMPUTE_PGM_RSRC2:SCRATCH_EN: 0
; COMPUTE_PGM_RSRC2:USER_SGPR: 2
; COMPUTE_PGM_RSRC2:TRAP_HANDLER: 0
; COMPUTE_PGM_RSRC2:TGID_X_EN: 1
; COMPUTE_PGM_RSRC2:TGID_Y_EN: 0
; COMPUTE_PGM_RSRC2:TGID_Z_EN: 0
; COMPUTE_PGM_RSRC2:TIDIG_COMP_CNT: 0
; COMPUTE_PGM_RSRC3_GFX90A:ACCUM_OFFSET: 22
; COMPUTE_PGM_RSRC3_GFX90A:TG_SPLIT: 0
	.section	.text._ZN7rocprim17ROCPRIM_400000_NS6detail17trampoline_kernelINS0_14default_configENS1_27scan_by_key_config_selectorIifEEZZNS1_16scan_by_key_implILNS1_25lookback_scan_determinismE0ELb1ES3_N6thrust23THRUST_200600_302600_NS6detail15normal_iteratorINS9_10device_ptrIiEEEENSB_INSC_IjEEEENSB_INSC_IfEEEEfNS9_4plusIvEENS9_8equal_toIvEEfEE10hipError_tPvRmT2_T3_T4_T5_mT6_T7_P12ihipStream_tbENKUlT_T0_E_clISt17integral_constantIbLb0EES13_EEDaSY_SZ_EUlSY_E_NS1_11comp_targetILNS1_3genE4ELNS1_11target_archE910ELNS1_3gpuE8ELNS1_3repE0EEENS1_30default_config_static_selectorELNS0_4arch9wavefront6targetE1EEEvT1_,"axG",@progbits,_ZN7rocprim17ROCPRIM_400000_NS6detail17trampoline_kernelINS0_14default_configENS1_27scan_by_key_config_selectorIifEEZZNS1_16scan_by_key_implILNS1_25lookback_scan_determinismE0ELb1ES3_N6thrust23THRUST_200600_302600_NS6detail15normal_iteratorINS9_10device_ptrIiEEEENSB_INSC_IjEEEENSB_INSC_IfEEEEfNS9_4plusIvEENS9_8equal_toIvEEfEE10hipError_tPvRmT2_T3_T4_T5_mT6_T7_P12ihipStream_tbENKUlT_T0_E_clISt17integral_constantIbLb0EES13_EEDaSY_SZ_EUlSY_E_NS1_11comp_targetILNS1_3genE4ELNS1_11target_archE910ELNS1_3gpuE8ELNS1_3repE0EEENS1_30default_config_static_selectorELNS0_4arch9wavefront6targetE1EEEvT1_,comdat
	.protected	_ZN7rocprim17ROCPRIM_400000_NS6detail17trampoline_kernelINS0_14default_configENS1_27scan_by_key_config_selectorIifEEZZNS1_16scan_by_key_implILNS1_25lookback_scan_determinismE0ELb1ES3_N6thrust23THRUST_200600_302600_NS6detail15normal_iteratorINS9_10device_ptrIiEEEENSB_INSC_IjEEEENSB_INSC_IfEEEEfNS9_4plusIvEENS9_8equal_toIvEEfEE10hipError_tPvRmT2_T3_T4_T5_mT6_T7_P12ihipStream_tbENKUlT_T0_E_clISt17integral_constantIbLb0EES13_EEDaSY_SZ_EUlSY_E_NS1_11comp_targetILNS1_3genE4ELNS1_11target_archE910ELNS1_3gpuE8ELNS1_3repE0EEENS1_30default_config_static_selectorELNS0_4arch9wavefront6targetE1EEEvT1_ ; -- Begin function _ZN7rocprim17ROCPRIM_400000_NS6detail17trampoline_kernelINS0_14default_configENS1_27scan_by_key_config_selectorIifEEZZNS1_16scan_by_key_implILNS1_25lookback_scan_determinismE0ELb1ES3_N6thrust23THRUST_200600_302600_NS6detail15normal_iteratorINS9_10device_ptrIiEEEENSB_INSC_IjEEEENSB_INSC_IfEEEEfNS9_4plusIvEENS9_8equal_toIvEEfEE10hipError_tPvRmT2_T3_T4_T5_mT6_T7_P12ihipStream_tbENKUlT_T0_E_clISt17integral_constantIbLb0EES13_EEDaSY_SZ_EUlSY_E_NS1_11comp_targetILNS1_3genE4ELNS1_11target_archE910ELNS1_3gpuE8ELNS1_3repE0EEENS1_30default_config_static_selectorELNS0_4arch9wavefront6targetE1EEEvT1_
	.globl	_ZN7rocprim17ROCPRIM_400000_NS6detail17trampoline_kernelINS0_14default_configENS1_27scan_by_key_config_selectorIifEEZZNS1_16scan_by_key_implILNS1_25lookback_scan_determinismE0ELb1ES3_N6thrust23THRUST_200600_302600_NS6detail15normal_iteratorINS9_10device_ptrIiEEEENSB_INSC_IjEEEENSB_INSC_IfEEEEfNS9_4plusIvEENS9_8equal_toIvEEfEE10hipError_tPvRmT2_T3_T4_T5_mT6_T7_P12ihipStream_tbENKUlT_T0_E_clISt17integral_constantIbLb0EES13_EEDaSY_SZ_EUlSY_E_NS1_11comp_targetILNS1_3genE4ELNS1_11target_archE910ELNS1_3gpuE8ELNS1_3repE0EEENS1_30default_config_static_selectorELNS0_4arch9wavefront6targetE1EEEvT1_
	.p2align	8
	.type	_ZN7rocprim17ROCPRIM_400000_NS6detail17trampoline_kernelINS0_14default_configENS1_27scan_by_key_config_selectorIifEEZZNS1_16scan_by_key_implILNS1_25lookback_scan_determinismE0ELb1ES3_N6thrust23THRUST_200600_302600_NS6detail15normal_iteratorINS9_10device_ptrIiEEEENSB_INSC_IjEEEENSB_INSC_IfEEEEfNS9_4plusIvEENS9_8equal_toIvEEfEE10hipError_tPvRmT2_T3_T4_T5_mT6_T7_P12ihipStream_tbENKUlT_T0_E_clISt17integral_constantIbLb0EES13_EEDaSY_SZ_EUlSY_E_NS1_11comp_targetILNS1_3genE4ELNS1_11target_archE910ELNS1_3gpuE8ELNS1_3repE0EEENS1_30default_config_static_selectorELNS0_4arch9wavefront6targetE1EEEvT1_,@function
_ZN7rocprim17ROCPRIM_400000_NS6detail17trampoline_kernelINS0_14default_configENS1_27scan_by_key_config_selectorIifEEZZNS1_16scan_by_key_implILNS1_25lookback_scan_determinismE0ELb1ES3_N6thrust23THRUST_200600_302600_NS6detail15normal_iteratorINS9_10device_ptrIiEEEENSB_INSC_IjEEEENSB_INSC_IfEEEEfNS9_4plusIvEENS9_8equal_toIvEEfEE10hipError_tPvRmT2_T3_T4_T5_mT6_T7_P12ihipStream_tbENKUlT_T0_E_clISt17integral_constantIbLb0EES13_EEDaSY_SZ_EUlSY_E_NS1_11comp_targetILNS1_3genE4ELNS1_11target_archE910ELNS1_3gpuE8ELNS1_3repE0EEENS1_30default_config_static_selectorELNS0_4arch9wavefront6targetE1EEEvT1_: ; @_ZN7rocprim17ROCPRIM_400000_NS6detail17trampoline_kernelINS0_14default_configENS1_27scan_by_key_config_selectorIifEEZZNS1_16scan_by_key_implILNS1_25lookback_scan_determinismE0ELb1ES3_N6thrust23THRUST_200600_302600_NS6detail15normal_iteratorINS9_10device_ptrIiEEEENSB_INSC_IjEEEENSB_INSC_IfEEEEfNS9_4plusIvEENS9_8equal_toIvEEfEE10hipError_tPvRmT2_T3_T4_T5_mT6_T7_P12ihipStream_tbENKUlT_T0_E_clISt17integral_constantIbLb0EES13_EEDaSY_SZ_EUlSY_E_NS1_11comp_targetILNS1_3genE4ELNS1_11target_archE910ELNS1_3gpuE8ELNS1_3repE0EEENS1_30default_config_static_selectorELNS0_4arch9wavefront6targetE1EEEvT1_
; %bb.0:
	.section	.rodata,"a",@progbits
	.p2align	6, 0x0
	.amdhsa_kernel _ZN7rocprim17ROCPRIM_400000_NS6detail17trampoline_kernelINS0_14default_configENS1_27scan_by_key_config_selectorIifEEZZNS1_16scan_by_key_implILNS1_25lookback_scan_determinismE0ELb1ES3_N6thrust23THRUST_200600_302600_NS6detail15normal_iteratorINS9_10device_ptrIiEEEENSB_INSC_IjEEEENSB_INSC_IfEEEEfNS9_4plusIvEENS9_8equal_toIvEEfEE10hipError_tPvRmT2_T3_T4_T5_mT6_T7_P12ihipStream_tbENKUlT_T0_E_clISt17integral_constantIbLb0EES13_EEDaSY_SZ_EUlSY_E_NS1_11comp_targetILNS1_3genE4ELNS1_11target_archE910ELNS1_3gpuE8ELNS1_3repE0EEENS1_30default_config_static_selectorELNS0_4arch9wavefront6targetE1EEEvT1_
		.amdhsa_group_segment_fixed_size 0
		.amdhsa_private_segment_fixed_size 0
		.amdhsa_kernarg_size 112
		.amdhsa_user_sgpr_count 2
		.amdhsa_user_sgpr_dispatch_ptr 0
		.amdhsa_user_sgpr_queue_ptr 0
		.amdhsa_user_sgpr_kernarg_segment_ptr 1
		.amdhsa_user_sgpr_dispatch_id 0
		.amdhsa_user_sgpr_kernarg_preload_length 0
		.amdhsa_user_sgpr_kernarg_preload_offset 0
		.amdhsa_user_sgpr_private_segment_size 0
		.amdhsa_uses_dynamic_stack 0
		.amdhsa_enable_private_segment 0
		.amdhsa_system_sgpr_workgroup_id_x 1
		.amdhsa_system_sgpr_workgroup_id_y 0
		.amdhsa_system_sgpr_workgroup_id_z 0
		.amdhsa_system_sgpr_workgroup_info 0
		.amdhsa_system_vgpr_workitem_id 0
		.amdhsa_next_free_vgpr 1
		.amdhsa_next_free_sgpr 0
		.amdhsa_accum_offset 4
		.amdhsa_reserve_vcc 0
		.amdhsa_float_round_mode_32 0
		.amdhsa_float_round_mode_16_64 0
		.amdhsa_float_denorm_mode_32 3
		.amdhsa_float_denorm_mode_16_64 3
		.amdhsa_dx10_clamp 1
		.amdhsa_ieee_mode 1
		.amdhsa_fp16_overflow 0
		.amdhsa_tg_split 0
		.amdhsa_exception_fp_ieee_invalid_op 0
		.amdhsa_exception_fp_denorm_src 0
		.amdhsa_exception_fp_ieee_div_zero 0
		.amdhsa_exception_fp_ieee_overflow 0
		.amdhsa_exception_fp_ieee_underflow 0
		.amdhsa_exception_fp_ieee_inexact 0
		.amdhsa_exception_int_div_zero 0
	.end_amdhsa_kernel
	.section	.text._ZN7rocprim17ROCPRIM_400000_NS6detail17trampoline_kernelINS0_14default_configENS1_27scan_by_key_config_selectorIifEEZZNS1_16scan_by_key_implILNS1_25lookback_scan_determinismE0ELb1ES3_N6thrust23THRUST_200600_302600_NS6detail15normal_iteratorINS9_10device_ptrIiEEEENSB_INSC_IjEEEENSB_INSC_IfEEEEfNS9_4plusIvEENS9_8equal_toIvEEfEE10hipError_tPvRmT2_T3_T4_T5_mT6_T7_P12ihipStream_tbENKUlT_T0_E_clISt17integral_constantIbLb0EES13_EEDaSY_SZ_EUlSY_E_NS1_11comp_targetILNS1_3genE4ELNS1_11target_archE910ELNS1_3gpuE8ELNS1_3repE0EEENS1_30default_config_static_selectorELNS0_4arch9wavefront6targetE1EEEvT1_,"axG",@progbits,_ZN7rocprim17ROCPRIM_400000_NS6detail17trampoline_kernelINS0_14default_configENS1_27scan_by_key_config_selectorIifEEZZNS1_16scan_by_key_implILNS1_25lookback_scan_determinismE0ELb1ES3_N6thrust23THRUST_200600_302600_NS6detail15normal_iteratorINS9_10device_ptrIiEEEENSB_INSC_IjEEEENSB_INSC_IfEEEEfNS9_4plusIvEENS9_8equal_toIvEEfEE10hipError_tPvRmT2_T3_T4_T5_mT6_T7_P12ihipStream_tbENKUlT_T0_E_clISt17integral_constantIbLb0EES13_EEDaSY_SZ_EUlSY_E_NS1_11comp_targetILNS1_3genE4ELNS1_11target_archE910ELNS1_3gpuE8ELNS1_3repE0EEENS1_30default_config_static_selectorELNS0_4arch9wavefront6targetE1EEEvT1_,comdat
.Lfunc_end1683:
	.size	_ZN7rocprim17ROCPRIM_400000_NS6detail17trampoline_kernelINS0_14default_configENS1_27scan_by_key_config_selectorIifEEZZNS1_16scan_by_key_implILNS1_25lookback_scan_determinismE0ELb1ES3_N6thrust23THRUST_200600_302600_NS6detail15normal_iteratorINS9_10device_ptrIiEEEENSB_INSC_IjEEEENSB_INSC_IfEEEEfNS9_4plusIvEENS9_8equal_toIvEEfEE10hipError_tPvRmT2_T3_T4_T5_mT6_T7_P12ihipStream_tbENKUlT_T0_E_clISt17integral_constantIbLb0EES13_EEDaSY_SZ_EUlSY_E_NS1_11comp_targetILNS1_3genE4ELNS1_11target_archE910ELNS1_3gpuE8ELNS1_3repE0EEENS1_30default_config_static_selectorELNS0_4arch9wavefront6targetE1EEEvT1_, .Lfunc_end1683-_ZN7rocprim17ROCPRIM_400000_NS6detail17trampoline_kernelINS0_14default_configENS1_27scan_by_key_config_selectorIifEEZZNS1_16scan_by_key_implILNS1_25lookback_scan_determinismE0ELb1ES3_N6thrust23THRUST_200600_302600_NS6detail15normal_iteratorINS9_10device_ptrIiEEEENSB_INSC_IjEEEENSB_INSC_IfEEEEfNS9_4plusIvEENS9_8equal_toIvEEfEE10hipError_tPvRmT2_T3_T4_T5_mT6_T7_P12ihipStream_tbENKUlT_T0_E_clISt17integral_constantIbLb0EES13_EEDaSY_SZ_EUlSY_E_NS1_11comp_targetILNS1_3genE4ELNS1_11target_archE910ELNS1_3gpuE8ELNS1_3repE0EEENS1_30default_config_static_selectorELNS0_4arch9wavefront6targetE1EEEvT1_
                                        ; -- End function
	.section	.AMDGPU.csdata,"",@progbits
; Kernel info:
; codeLenInByte = 0
; NumSgprs: 6
; NumVgprs: 0
; NumAgprs: 0
; TotalNumVgprs: 0
; ScratchSize: 0
; MemoryBound: 0
; FloatMode: 240
; IeeeMode: 1
; LDSByteSize: 0 bytes/workgroup (compile time only)
; SGPRBlocks: 0
; VGPRBlocks: 0
; NumSGPRsForWavesPerEU: 6
; NumVGPRsForWavesPerEU: 1
; AccumOffset: 4
; Occupancy: 8
; WaveLimiterHint : 0
; COMPUTE_PGM_RSRC2:SCRATCH_EN: 0
; COMPUTE_PGM_RSRC2:USER_SGPR: 2
; COMPUTE_PGM_RSRC2:TRAP_HANDLER: 0
; COMPUTE_PGM_RSRC2:TGID_X_EN: 1
; COMPUTE_PGM_RSRC2:TGID_Y_EN: 0
; COMPUTE_PGM_RSRC2:TGID_Z_EN: 0
; COMPUTE_PGM_RSRC2:TIDIG_COMP_CNT: 0
; COMPUTE_PGM_RSRC3_GFX90A:ACCUM_OFFSET: 0
; COMPUTE_PGM_RSRC3_GFX90A:TG_SPLIT: 0
	.section	.text._ZN7rocprim17ROCPRIM_400000_NS6detail17trampoline_kernelINS0_14default_configENS1_27scan_by_key_config_selectorIifEEZZNS1_16scan_by_key_implILNS1_25lookback_scan_determinismE0ELb1ES3_N6thrust23THRUST_200600_302600_NS6detail15normal_iteratorINS9_10device_ptrIiEEEENSB_INSC_IjEEEENSB_INSC_IfEEEEfNS9_4plusIvEENS9_8equal_toIvEEfEE10hipError_tPvRmT2_T3_T4_T5_mT6_T7_P12ihipStream_tbENKUlT_T0_E_clISt17integral_constantIbLb0EES13_EEDaSY_SZ_EUlSY_E_NS1_11comp_targetILNS1_3genE3ELNS1_11target_archE908ELNS1_3gpuE7ELNS1_3repE0EEENS1_30default_config_static_selectorELNS0_4arch9wavefront6targetE1EEEvT1_,"axG",@progbits,_ZN7rocprim17ROCPRIM_400000_NS6detail17trampoline_kernelINS0_14default_configENS1_27scan_by_key_config_selectorIifEEZZNS1_16scan_by_key_implILNS1_25lookback_scan_determinismE0ELb1ES3_N6thrust23THRUST_200600_302600_NS6detail15normal_iteratorINS9_10device_ptrIiEEEENSB_INSC_IjEEEENSB_INSC_IfEEEEfNS9_4plusIvEENS9_8equal_toIvEEfEE10hipError_tPvRmT2_T3_T4_T5_mT6_T7_P12ihipStream_tbENKUlT_T0_E_clISt17integral_constantIbLb0EES13_EEDaSY_SZ_EUlSY_E_NS1_11comp_targetILNS1_3genE3ELNS1_11target_archE908ELNS1_3gpuE7ELNS1_3repE0EEENS1_30default_config_static_selectorELNS0_4arch9wavefront6targetE1EEEvT1_,comdat
	.protected	_ZN7rocprim17ROCPRIM_400000_NS6detail17trampoline_kernelINS0_14default_configENS1_27scan_by_key_config_selectorIifEEZZNS1_16scan_by_key_implILNS1_25lookback_scan_determinismE0ELb1ES3_N6thrust23THRUST_200600_302600_NS6detail15normal_iteratorINS9_10device_ptrIiEEEENSB_INSC_IjEEEENSB_INSC_IfEEEEfNS9_4plusIvEENS9_8equal_toIvEEfEE10hipError_tPvRmT2_T3_T4_T5_mT6_T7_P12ihipStream_tbENKUlT_T0_E_clISt17integral_constantIbLb0EES13_EEDaSY_SZ_EUlSY_E_NS1_11comp_targetILNS1_3genE3ELNS1_11target_archE908ELNS1_3gpuE7ELNS1_3repE0EEENS1_30default_config_static_selectorELNS0_4arch9wavefront6targetE1EEEvT1_ ; -- Begin function _ZN7rocprim17ROCPRIM_400000_NS6detail17trampoline_kernelINS0_14default_configENS1_27scan_by_key_config_selectorIifEEZZNS1_16scan_by_key_implILNS1_25lookback_scan_determinismE0ELb1ES3_N6thrust23THRUST_200600_302600_NS6detail15normal_iteratorINS9_10device_ptrIiEEEENSB_INSC_IjEEEENSB_INSC_IfEEEEfNS9_4plusIvEENS9_8equal_toIvEEfEE10hipError_tPvRmT2_T3_T4_T5_mT6_T7_P12ihipStream_tbENKUlT_T0_E_clISt17integral_constantIbLb0EES13_EEDaSY_SZ_EUlSY_E_NS1_11comp_targetILNS1_3genE3ELNS1_11target_archE908ELNS1_3gpuE7ELNS1_3repE0EEENS1_30default_config_static_selectorELNS0_4arch9wavefront6targetE1EEEvT1_
	.globl	_ZN7rocprim17ROCPRIM_400000_NS6detail17trampoline_kernelINS0_14default_configENS1_27scan_by_key_config_selectorIifEEZZNS1_16scan_by_key_implILNS1_25lookback_scan_determinismE0ELb1ES3_N6thrust23THRUST_200600_302600_NS6detail15normal_iteratorINS9_10device_ptrIiEEEENSB_INSC_IjEEEENSB_INSC_IfEEEEfNS9_4plusIvEENS9_8equal_toIvEEfEE10hipError_tPvRmT2_T3_T4_T5_mT6_T7_P12ihipStream_tbENKUlT_T0_E_clISt17integral_constantIbLb0EES13_EEDaSY_SZ_EUlSY_E_NS1_11comp_targetILNS1_3genE3ELNS1_11target_archE908ELNS1_3gpuE7ELNS1_3repE0EEENS1_30default_config_static_selectorELNS0_4arch9wavefront6targetE1EEEvT1_
	.p2align	8
	.type	_ZN7rocprim17ROCPRIM_400000_NS6detail17trampoline_kernelINS0_14default_configENS1_27scan_by_key_config_selectorIifEEZZNS1_16scan_by_key_implILNS1_25lookback_scan_determinismE0ELb1ES3_N6thrust23THRUST_200600_302600_NS6detail15normal_iteratorINS9_10device_ptrIiEEEENSB_INSC_IjEEEENSB_INSC_IfEEEEfNS9_4plusIvEENS9_8equal_toIvEEfEE10hipError_tPvRmT2_T3_T4_T5_mT6_T7_P12ihipStream_tbENKUlT_T0_E_clISt17integral_constantIbLb0EES13_EEDaSY_SZ_EUlSY_E_NS1_11comp_targetILNS1_3genE3ELNS1_11target_archE908ELNS1_3gpuE7ELNS1_3repE0EEENS1_30default_config_static_selectorELNS0_4arch9wavefront6targetE1EEEvT1_,@function
_ZN7rocprim17ROCPRIM_400000_NS6detail17trampoline_kernelINS0_14default_configENS1_27scan_by_key_config_selectorIifEEZZNS1_16scan_by_key_implILNS1_25lookback_scan_determinismE0ELb1ES3_N6thrust23THRUST_200600_302600_NS6detail15normal_iteratorINS9_10device_ptrIiEEEENSB_INSC_IjEEEENSB_INSC_IfEEEEfNS9_4plusIvEENS9_8equal_toIvEEfEE10hipError_tPvRmT2_T3_T4_T5_mT6_T7_P12ihipStream_tbENKUlT_T0_E_clISt17integral_constantIbLb0EES13_EEDaSY_SZ_EUlSY_E_NS1_11comp_targetILNS1_3genE3ELNS1_11target_archE908ELNS1_3gpuE7ELNS1_3repE0EEENS1_30default_config_static_selectorELNS0_4arch9wavefront6targetE1EEEvT1_: ; @_ZN7rocprim17ROCPRIM_400000_NS6detail17trampoline_kernelINS0_14default_configENS1_27scan_by_key_config_selectorIifEEZZNS1_16scan_by_key_implILNS1_25lookback_scan_determinismE0ELb1ES3_N6thrust23THRUST_200600_302600_NS6detail15normal_iteratorINS9_10device_ptrIiEEEENSB_INSC_IjEEEENSB_INSC_IfEEEEfNS9_4plusIvEENS9_8equal_toIvEEfEE10hipError_tPvRmT2_T3_T4_T5_mT6_T7_P12ihipStream_tbENKUlT_T0_E_clISt17integral_constantIbLb0EES13_EEDaSY_SZ_EUlSY_E_NS1_11comp_targetILNS1_3genE3ELNS1_11target_archE908ELNS1_3gpuE7ELNS1_3repE0EEENS1_30default_config_static_selectorELNS0_4arch9wavefront6targetE1EEEvT1_
; %bb.0:
	.section	.rodata,"a",@progbits
	.p2align	6, 0x0
	.amdhsa_kernel _ZN7rocprim17ROCPRIM_400000_NS6detail17trampoline_kernelINS0_14default_configENS1_27scan_by_key_config_selectorIifEEZZNS1_16scan_by_key_implILNS1_25lookback_scan_determinismE0ELb1ES3_N6thrust23THRUST_200600_302600_NS6detail15normal_iteratorINS9_10device_ptrIiEEEENSB_INSC_IjEEEENSB_INSC_IfEEEEfNS9_4plusIvEENS9_8equal_toIvEEfEE10hipError_tPvRmT2_T3_T4_T5_mT6_T7_P12ihipStream_tbENKUlT_T0_E_clISt17integral_constantIbLb0EES13_EEDaSY_SZ_EUlSY_E_NS1_11comp_targetILNS1_3genE3ELNS1_11target_archE908ELNS1_3gpuE7ELNS1_3repE0EEENS1_30default_config_static_selectorELNS0_4arch9wavefront6targetE1EEEvT1_
		.amdhsa_group_segment_fixed_size 0
		.amdhsa_private_segment_fixed_size 0
		.amdhsa_kernarg_size 112
		.amdhsa_user_sgpr_count 2
		.amdhsa_user_sgpr_dispatch_ptr 0
		.amdhsa_user_sgpr_queue_ptr 0
		.amdhsa_user_sgpr_kernarg_segment_ptr 1
		.amdhsa_user_sgpr_dispatch_id 0
		.amdhsa_user_sgpr_kernarg_preload_length 0
		.amdhsa_user_sgpr_kernarg_preload_offset 0
		.amdhsa_user_sgpr_private_segment_size 0
		.amdhsa_uses_dynamic_stack 0
		.amdhsa_enable_private_segment 0
		.amdhsa_system_sgpr_workgroup_id_x 1
		.amdhsa_system_sgpr_workgroup_id_y 0
		.amdhsa_system_sgpr_workgroup_id_z 0
		.amdhsa_system_sgpr_workgroup_info 0
		.amdhsa_system_vgpr_workitem_id 0
		.amdhsa_next_free_vgpr 1
		.amdhsa_next_free_sgpr 0
		.amdhsa_accum_offset 4
		.amdhsa_reserve_vcc 0
		.amdhsa_float_round_mode_32 0
		.amdhsa_float_round_mode_16_64 0
		.amdhsa_float_denorm_mode_32 3
		.amdhsa_float_denorm_mode_16_64 3
		.amdhsa_dx10_clamp 1
		.amdhsa_ieee_mode 1
		.amdhsa_fp16_overflow 0
		.amdhsa_tg_split 0
		.amdhsa_exception_fp_ieee_invalid_op 0
		.amdhsa_exception_fp_denorm_src 0
		.amdhsa_exception_fp_ieee_div_zero 0
		.amdhsa_exception_fp_ieee_overflow 0
		.amdhsa_exception_fp_ieee_underflow 0
		.amdhsa_exception_fp_ieee_inexact 0
		.amdhsa_exception_int_div_zero 0
	.end_amdhsa_kernel
	.section	.text._ZN7rocprim17ROCPRIM_400000_NS6detail17trampoline_kernelINS0_14default_configENS1_27scan_by_key_config_selectorIifEEZZNS1_16scan_by_key_implILNS1_25lookback_scan_determinismE0ELb1ES3_N6thrust23THRUST_200600_302600_NS6detail15normal_iteratorINS9_10device_ptrIiEEEENSB_INSC_IjEEEENSB_INSC_IfEEEEfNS9_4plusIvEENS9_8equal_toIvEEfEE10hipError_tPvRmT2_T3_T4_T5_mT6_T7_P12ihipStream_tbENKUlT_T0_E_clISt17integral_constantIbLb0EES13_EEDaSY_SZ_EUlSY_E_NS1_11comp_targetILNS1_3genE3ELNS1_11target_archE908ELNS1_3gpuE7ELNS1_3repE0EEENS1_30default_config_static_selectorELNS0_4arch9wavefront6targetE1EEEvT1_,"axG",@progbits,_ZN7rocprim17ROCPRIM_400000_NS6detail17trampoline_kernelINS0_14default_configENS1_27scan_by_key_config_selectorIifEEZZNS1_16scan_by_key_implILNS1_25lookback_scan_determinismE0ELb1ES3_N6thrust23THRUST_200600_302600_NS6detail15normal_iteratorINS9_10device_ptrIiEEEENSB_INSC_IjEEEENSB_INSC_IfEEEEfNS9_4plusIvEENS9_8equal_toIvEEfEE10hipError_tPvRmT2_T3_T4_T5_mT6_T7_P12ihipStream_tbENKUlT_T0_E_clISt17integral_constantIbLb0EES13_EEDaSY_SZ_EUlSY_E_NS1_11comp_targetILNS1_3genE3ELNS1_11target_archE908ELNS1_3gpuE7ELNS1_3repE0EEENS1_30default_config_static_selectorELNS0_4arch9wavefront6targetE1EEEvT1_,comdat
.Lfunc_end1684:
	.size	_ZN7rocprim17ROCPRIM_400000_NS6detail17trampoline_kernelINS0_14default_configENS1_27scan_by_key_config_selectorIifEEZZNS1_16scan_by_key_implILNS1_25lookback_scan_determinismE0ELb1ES3_N6thrust23THRUST_200600_302600_NS6detail15normal_iteratorINS9_10device_ptrIiEEEENSB_INSC_IjEEEENSB_INSC_IfEEEEfNS9_4plusIvEENS9_8equal_toIvEEfEE10hipError_tPvRmT2_T3_T4_T5_mT6_T7_P12ihipStream_tbENKUlT_T0_E_clISt17integral_constantIbLb0EES13_EEDaSY_SZ_EUlSY_E_NS1_11comp_targetILNS1_3genE3ELNS1_11target_archE908ELNS1_3gpuE7ELNS1_3repE0EEENS1_30default_config_static_selectorELNS0_4arch9wavefront6targetE1EEEvT1_, .Lfunc_end1684-_ZN7rocprim17ROCPRIM_400000_NS6detail17trampoline_kernelINS0_14default_configENS1_27scan_by_key_config_selectorIifEEZZNS1_16scan_by_key_implILNS1_25lookback_scan_determinismE0ELb1ES3_N6thrust23THRUST_200600_302600_NS6detail15normal_iteratorINS9_10device_ptrIiEEEENSB_INSC_IjEEEENSB_INSC_IfEEEEfNS9_4plusIvEENS9_8equal_toIvEEfEE10hipError_tPvRmT2_T3_T4_T5_mT6_T7_P12ihipStream_tbENKUlT_T0_E_clISt17integral_constantIbLb0EES13_EEDaSY_SZ_EUlSY_E_NS1_11comp_targetILNS1_3genE3ELNS1_11target_archE908ELNS1_3gpuE7ELNS1_3repE0EEENS1_30default_config_static_selectorELNS0_4arch9wavefront6targetE1EEEvT1_
                                        ; -- End function
	.section	.AMDGPU.csdata,"",@progbits
; Kernel info:
; codeLenInByte = 0
; NumSgprs: 6
; NumVgprs: 0
; NumAgprs: 0
; TotalNumVgprs: 0
; ScratchSize: 0
; MemoryBound: 0
; FloatMode: 240
; IeeeMode: 1
; LDSByteSize: 0 bytes/workgroup (compile time only)
; SGPRBlocks: 0
; VGPRBlocks: 0
; NumSGPRsForWavesPerEU: 6
; NumVGPRsForWavesPerEU: 1
; AccumOffset: 4
; Occupancy: 8
; WaveLimiterHint : 0
; COMPUTE_PGM_RSRC2:SCRATCH_EN: 0
; COMPUTE_PGM_RSRC2:USER_SGPR: 2
; COMPUTE_PGM_RSRC2:TRAP_HANDLER: 0
; COMPUTE_PGM_RSRC2:TGID_X_EN: 1
; COMPUTE_PGM_RSRC2:TGID_Y_EN: 0
; COMPUTE_PGM_RSRC2:TGID_Z_EN: 0
; COMPUTE_PGM_RSRC2:TIDIG_COMP_CNT: 0
; COMPUTE_PGM_RSRC3_GFX90A:ACCUM_OFFSET: 0
; COMPUTE_PGM_RSRC3_GFX90A:TG_SPLIT: 0
	.section	.text._ZN7rocprim17ROCPRIM_400000_NS6detail17trampoline_kernelINS0_14default_configENS1_27scan_by_key_config_selectorIifEEZZNS1_16scan_by_key_implILNS1_25lookback_scan_determinismE0ELb1ES3_N6thrust23THRUST_200600_302600_NS6detail15normal_iteratorINS9_10device_ptrIiEEEENSB_INSC_IjEEEENSB_INSC_IfEEEEfNS9_4plusIvEENS9_8equal_toIvEEfEE10hipError_tPvRmT2_T3_T4_T5_mT6_T7_P12ihipStream_tbENKUlT_T0_E_clISt17integral_constantIbLb0EES13_EEDaSY_SZ_EUlSY_E_NS1_11comp_targetILNS1_3genE2ELNS1_11target_archE906ELNS1_3gpuE6ELNS1_3repE0EEENS1_30default_config_static_selectorELNS0_4arch9wavefront6targetE1EEEvT1_,"axG",@progbits,_ZN7rocprim17ROCPRIM_400000_NS6detail17trampoline_kernelINS0_14default_configENS1_27scan_by_key_config_selectorIifEEZZNS1_16scan_by_key_implILNS1_25lookback_scan_determinismE0ELb1ES3_N6thrust23THRUST_200600_302600_NS6detail15normal_iteratorINS9_10device_ptrIiEEEENSB_INSC_IjEEEENSB_INSC_IfEEEEfNS9_4plusIvEENS9_8equal_toIvEEfEE10hipError_tPvRmT2_T3_T4_T5_mT6_T7_P12ihipStream_tbENKUlT_T0_E_clISt17integral_constantIbLb0EES13_EEDaSY_SZ_EUlSY_E_NS1_11comp_targetILNS1_3genE2ELNS1_11target_archE906ELNS1_3gpuE6ELNS1_3repE0EEENS1_30default_config_static_selectorELNS0_4arch9wavefront6targetE1EEEvT1_,comdat
	.protected	_ZN7rocprim17ROCPRIM_400000_NS6detail17trampoline_kernelINS0_14default_configENS1_27scan_by_key_config_selectorIifEEZZNS1_16scan_by_key_implILNS1_25lookback_scan_determinismE0ELb1ES3_N6thrust23THRUST_200600_302600_NS6detail15normal_iteratorINS9_10device_ptrIiEEEENSB_INSC_IjEEEENSB_INSC_IfEEEEfNS9_4plusIvEENS9_8equal_toIvEEfEE10hipError_tPvRmT2_T3_T4_T5_mT6_T7_P12ihipStream_tbENKUlT_T0_E_clISt17integral_constantIbLb0EES13_EEDaSY_SZ_EUlSY_E_NS1_11comp_targetILNS1_3genE2ELNS1_11target_archE906ELNS1_3gpuE6ELNS1_3repE0EEENS1_30default_config_static_selectorELNS0_4arch9wavefront6targetE1EEEvT1_ ; -- Begin function _ZN7rocprim17ROCPRIM_400000_NS6detail17trampoline_kernelINS0_14default_configENS1_27scan_by_key_config_selectorIifEEZZNS1_16scan_by_key_implILNS1_25lookback_scan_determinismE0ELb1ES3_N6thrust23THRUST_200600_302600_NS6detail15normal_iteratorINS9_10device_ptrIiEEEENSB_INSC_IjEEEENSB_INSC_IfEEEEfNS9_4plusIvEENS9_8equal_toIvEEfEE10hipError_tPvRmT2_T3_T4_T5_mT6_T7_P12ihipStream_tbENKUlT_T0_E_clISt17integral_constantIbLb0EES13_EEDaSY_SZ_EUlSY_E_NS1_11comp_targetILNS1_3genE2ELNS1_11target_archE906ELNS1_3gpuE6ELNS1_3repE0EEENS1_30default_config_static_selectorELNS0_4arch9wavefront6targetE1EEEvT1_
	.globl	_ZN7rocprim17ROCPRIM_400000_NS6detail17trampoline_kernelINS0_14default_configENS1_27scan_by_key_config_selectorIifEEZZNS1_16scan_by_key_implILNS1_25lookback_scan_determinismE0ELb1ES3_N6thrust23THRUST_200600_302600_NS6detail15normal_iteratorINS9_10device_ptrIiEEEENSB_INSC_IjEEEENSB_INSC_IfEEEEfNS9_4plusIvEENS9_8equal_toIvEEfEE10hipError_tPvRmT2_T3_T4_T5_mT6_T7_P12ihipStream_tbENKUlT_T0_E_clISt17integral_constantIbLb0EES13_EEDaSY_SZ_EUlSY_E_NS1_11comp_targetILNS1_3genE2ELNS1_11target_archE906ELNS1_3gpuE6ELNS1_3repE0EEENS1_30default_config_static_selectorELNS0_4arch9wavefront6targetE1EEEvT1_
	.p2align	8
	.type	_ZN7rocprim17ROCPRIM_400000_NS6detail17trampoline_kernelINS0_14default_configENS1_27scan_by_key_config_selectorIifEEZZNS1_16scan_by_key_implILNS1_25lookback_scan_determinismE0ELb1ES3_N6thrust23THRUST_200600_302600_NS6detail15normal_iteratorINS9_10device_ptrIiEEEENSB_INSC_IjEEEENSB_INSC_IfEEEEfNS9_4plusIvEENS9_8equal_toIvEEfEE10hipError_tPvRmT2_T3_T4_T5_mT6_T7_P12ihipStream_tbENKUlT_T0_E_clISt17integral_constantIbLb0EES13_EEDaSY_SZ_EUlSY_E_NS1_11comp_targetILNS1_3genE2ELNS1_11target_archE906ELNS1_3gpuE6ELNS1_3repE0EEENS1_30default_config_static_selectorELNS0_4arch9wavefront6targetE1EEEvT1_,@function
_ZN7rocprim17ROCPRIM_400000_NS6detail17trampoline_kernelINS0_14default_configENS1_27scan_by_key_config_selectorIifEEZZNS1_16scan_by_key_implILNS1_25lookback_scan_determinismE0ELb1ES3_N6thrust23THRUST_200600_302600_NS6detail15normal_iteratorINS9_10device_ptrIiEEEENSB_INSC_IjEEEENSB_INSC_IfEEEEfNS9_4plusIvEENS9_8equal_toIvEEfEE10hipError_tPvRmT2_T3_T4_T5_mT6_T7_P12ihipStream_tbENKUlT_T0_E_clISt17integral_constantIbLb0EES13_EEDaSY_SZ_EUlSY_E_NS1_11comp_targetILNS1_3genE2ELNS1_11target_archE906ELNS1_3gpuE6ELNS1_3repE0EEENS1_30default_config_static_selectorELNS0_4arch9wavefront6targetE1EEEvT1_: ; @_ZN7rocprim17ROCPRIM_400000_NS6detail17trampoline_kernelINS0_14default_configENS1_27scan_by_key_config_selectorIifEEZZNS1_16scan_by_key_implILNS1_25lookback_scan_determinismE0ELb1ES3_N6thrust23THRUST_200600_302600_NS6detail15normal_iteratorINS9_10device_ptrIiEEEENSB_INSC_IjEEEENSB_INSC_IfEEEEfNS9_4plusIvEENS9_8equal_toIvEEfEE10hipError_tPvRmT2_T3_T4_T5_mT6_T7_P12ihipStream_tbENKUlT_T0_E_clISt17integral_constantIbLb0EES13_EEDaSY_SZ_EUlSY_E_NS1_11comp_targetILNS1_3genE2ELNS1_11target_archE906ELNS1_3gpuE6ELNS1_3repE0EEENS1_30default_config_static_selectorELNS0_4arch9wavefront6targetE1EEEvT1_
; %bb.0:
	.section	.rodata,"a",@progbits
	.p2align	6, 0x0
	.amdhsa_kernel _ZN7rocprim17ROCPRIM_400000_NS6detail17trampoline_kernelINS0_14default_configENS1_27scan_by_key_config_selectorIifEEZZNS1_16scan_by_key_implILNS1_25lookback_scan_determinismE0ELb1ES3_N6thrust23THRUST_200600_302600_NS6detail15normal_iteratorINS9_10device_ptrIiEEEENSB_INSC_IjEEEENSB_INSC_IfEEEEfNS9_4plusIvEENS9_8equal_toIvEEfEE10hipError_tPvRmT2_T3_T4_T5_mT6_T7_P12ihipStream_tbENKUlT_T0_E_clISt17integral_constantIbLb0EES13_EEDaSY_SZ_EUlSY_E_NS1_11comp_targetILNS1_3genE2ELNS1_11target_archE906ELNS1_3gpuE6ELNS1_3repE0EEENS1_30default_config_static_selectorELNS0_4arch9wavefront6targetE1EEEvT1_
		.amdhsa_group_segment_fixed_size 0
		.amdhsa_private_segment_fixed_size 0
		.amdhsa_kernarg_size 112
		.amdhsa_user_sgpr_count 2
		.amdhsa_user_sgpr_dispatch_ptr 0
		.amdhsa_user_sgpr_queue_ptr 0
		.amdhsa_user_sgpr_kernarg_segment_ptr 1
		.amdhsa_user_sgpr_dispatch_id 0
		.amdhsa_user_sgpr_kernarg_preload_length 0
		.amdhsa_user_sgpr_kernarg_preload_offset 0
		.amdhsa_user_sgpr_private_segment_size 0
		.amdhsa_uses_dynamic_stack 0
		.amdhsa_enable_private_segment 0
		.amdhsa_system_sgpr_workgroup_id_x 1
		.amdhsa_system_sgpr_workgroup_id_y 0
		.amdhsa_system_sgpr_workgroup_id_z 0
		.amdhsa_system_sgpr_workgroup_info 0
		.amdhsa_system_vgpr_workitem_id 0
		.amdhsa_next_free_vgpr 1
		.amdhsa_next_free_sgpr 0
		.amdhsa_accum_offset 4
		.amdhsa_reserve_vcc 0
		.amdhsa_float_round_mode_32 0
		.amdhsa_float_round_mode_16_64 0
		.amdhsa_float_denorm_mode_32 3
		.amdhsa_float_denorm_mode_16_64 3
		.amdhsa_dx10_clamp 1
		.amdhsa_ieee_mode 1
		.amdhsa_fp16_overflow 0
		.amdhsa_tg_split 0
		.amdhsa_exception_fp_ieee_invalid_op 0
		.amdhsa_exception_fp_denorm_src 0
		.amdhsa_exception_fp_ieee_div_zero 0
		.amdhsa_exception_fp_ieee_overflow 0
		.amdhsa_exception_fp_ieee_underflow 0
		.amdhsa_exception_fp_ieee_inexact 0
		.amdhsa_exception_int_div_zero 0
	.end_amdhsa_kernel
	.section	.text._ZN7rocprim17ROCPRIM_400000_NS6detail17trampoline_kernelINS0_14default_configENS1_27scan_by_key_config_selectorIifEEZZNS1_16scan_by_key_implILNS1_25lookback_scan_determinismE0ELb1ES3_N6thrust23THRUST_200600_302600_NS6detail15normal_iteratorINS9_10device_ptrIiEEEENSB_INSC_IjEEEENSB_INSC_IfEEEEfNS9_4plusIvEENS9_8equal_toIvEEfEE10hipError_tPvRmT2_T3_T4_T5_mT6_T7_P12ihipStream_tbENKUlT_T0_E_clISt17integral_constantIbLb0EES13_EEDaSY_SZ_EUlSY_E_NS1_11comp_targetILNS1_3genE2ELNS1_11target_archE906ELNS1_3gpuE6ELNS1_3repE0EEENS1_30default_config_static_selectorELNS0_4arch9wavefront6targetE1EEEvT1_,"axG",@progbits,_ZN7rocprim17ROCPRIM_400000_NS6detail17trampoline_kernelINS0_14default_configENS1_27scan_by_key_config_selectorIifEEZZNS1_16scan_by_key_implILNS1_25lookback_scan_determinismE0ELb1ES3_N6thrust23THRUST_200600_302600_NS6detail15normal_iteratorINS9_10device_ptrIiEEEENSB_INSC_IjEEEENSB_INSC_IfEEEEfNS9_4plusIvEENS9_8equal_toIvEEfEE10hipError_tPvRmT2_T3_T4_T5_mT6_T7_P12ihipStream_tbENKUlT_T0_E_clISt17integral_constantIbLb0EES13_EEDaSY_SZ_EUlSY_E_NS1_11comp_targetILNS1_3genE2ELNS1_11target_archE906ELNS1_3gpuE6ELNS1_3repE0EEENS1_30default_config_static_selectorELNS0_4arch9wavefront6targetE1EEEvT1_,comdat
.Lfunc_end1685:
	.size	_ZN7rocprim17ROCPRIM_400000_NS6detail17trampoline_kernelINS0_14default_configENS1_27scan_by_key_config_selectorIifEEZZNS1_16scan_by_key_implILNS1_25lookback_scan_determinismE0ELb1ES3_N6thrust23THRUST_200600_302600_NS6detail15normal_iteratorINS9_10device_ptrIiEEEENSB_INSC_IjEEEENSB_INSC_IfEEEEfNS9_4plusIvEENS9_8equal_toIvEEfEE10hipError_tPvRmT2_T3_T4_T5_mT6_T7_P12ihipStream_tbENKUlT_T0_E_clISt17integral_constantIbLb0EES13_EEDaSY_SZ_EUlSY_E_NS1_11comp_targetILNS1_3genE2ELNS1_11target_archE906ELNS1_3gpuE6ELNS1_3repE0EEENS1_30default_config_static_selectorELNS0_4arch9wavefront6targetE1EEEvT1_, .Lfunc_end1685-_ZN7rocprim17ROCPRIM_400000_NS6detail17trampoline_kernelINS0_14default_configENS1_27scan_by_key_config_selectorIifEEZZNS1_16scan_by_key_implILNS1_25lookback_scan_determinismE0ELb1ES3_N6thrust23THRUST_200600_302600_NS6detail15normal_iteratorINS9_10device_ptrIiEEEENSB_INSC_IjEEEENSB_INSC_IfEEEEfNS9_4plusIvEENS9_8equal_toIvEEfEE10hipError_tPvRmT2_T3_T4_T5_mT6_T7_P12ihipStream_tbENKUlT_T0_E_clISt17integral_constantIbLb0EES13_EEDaSY_SZ_EUlSY_E_NS1_11comp_targetILNS1_3genE2ELNS1_11target_archE906ELNS1_3gpuE6ELNS1_3repE0EEENS1_30default_config_static_selectorELNS0_4arch9wavefront6targetE1EEEvT1_
                                        ; -- End function
	.section	.AMDGPU.csdata,"",@progbits
; Kernel info:
; codeLenInByte = 0
; NumSgprs: 6
; NumVgprs: 0
; NumAgprs: 0
; TotalNumVgprs: 0
; ScratchSize: 0
; MemoryBound: 0
; FloatMode: 240
; IeeeMode: 1
; LDSByteSize: 0 bytes/workgroup (compile time only)
; SGPRBlocks: 0
; VGPRBlocks: 0
; NumSGPRsForWavesPerEU: 6
; NumVGPRsForWavesPerEU: 1
; AccumOffset: 4
; Occupancy: 8
; WaveLimiterHint : 0
; COMPUTE_PGM_RSRC2:SCRATCH_EN: 0
; COMPUTE_PGM_RSRC2:USER_SGPR: 2
; COMPUTE_PGM_RSRC2:TRAP_HANDLER: 0
; COMPUTE_PGM_RSRC2:TGID_X_EN: 1
; COMPUTE_PGM_RSRC2:TGID_Y_EN: 0
; COMPUTE_PGM_RSRC2:TGID_Z_EN: 0
; COMPUTE_PGM_RSRC2:TIDIG_COMP_CNT: 0
; COMPUTE_PGM_RSRC3_GFX90A:ACCUM_OFFSET: 0
; COMPUTE_PGM_RSRC3_GFX90A:TG_SPLIT: 0
	.section	.text._ZN7rocprim17ROCPRIM_400000_NS6detail17trampoline_kernelINS0_14default_configENS1_27scan_by_key_config_selectorIifEEZZNS1_16scan_by_key_implILNS1_25lookback_scan_determinismE0ELb1ES3_N6thrust23THRUST_200600_302600_NS6detail15normal_iteratorINS9_10device_ptrIiEEEENSB_INSC_IjEEEENSB_INSC_IfEEEEfNS9_4plusIvEENS9_8equal_toIvEEfEE10hipError_tPvRmT2_T3_T4_T5_mT6_T7_P12ihipStream_tbENKUlT_T0_E_clISt17integral_constantIbLb0EES13_EEDaSY_SZ_EUlSY_E_NS1_11comp_targetILNS1_3genE10ELNS1_11target_archE1200ELNS1_3gpuE4ELNS1_3repE0EEENS1_30default_config_static_selectorELNS0_4arch9wavefront6targetE1EEEvT1_,"axG",@progbits,_ZN7rocprim17ROCPRIM_400000_NS6detail17trampoline_kernelINS0_14default_configENS1_27scan_by_key_config_selectorIifEEZZNS1_16scan_by_key_implILNS1_25lookback_scan_determinismE0ELb1ES3_N6thrust23THRUST_200600_302600_NS6detail15normal_iteratorINS9_10device_ptrIiEEEENSB_INSC_IjEEEENSB_INSC_IfEEEEfNS9_4plusIvEENS9_8equal_toIvEEfEE10hipError_tPvRmT2_T3_T4_T5_mT6_T7_P12ihipStream_tbENKUlT_T0_E_clISt17integral_constantIbLb0EES13_EEDaSY_SZ_EUlSY_E_NS1_11comp_targetILNS1_3genE10ELNS1_11target_archE1200ELNS1_3gpuE4ELNS1_3repE0EEENS1_30default_config_static_selectorELNS0_4arch9wavefront6targetE1EEEvT1_,comdat
	.protected	_ZN7rocprim17ROCPRIM_400000_NS6detail17trampoline_kernelINS0_14default_configENS1_27scan_by_key_config_selectorIifEEZZNS1_16scan_by_key_implILNS1_25lookback_scan_determinismE0ELb1ES3_N6thrust23THRUST_200600_302600_NS6detail15normal_iteratorINS9_10device_ptrIiEEEENSB_INSC_IjEEEENSB_INSC_IfEEEEfNS9_4plusIvEENS9_8equal_toIvEEfEE10hipError_tPvRmT2_T3_T4_T5_mT6_T7_P12ihipStream_tbENKUlT_T0_E_clISt17integral_constantIbLb0EES13_EEDaSY_SZ_EUlSY_E_NS1_11comp_targetILNS1_3genE10ELNS1_11target_archE1200ELNS1_3gpuE4ELNS1_3repE0EEENS1_30default_config_static_selectorELNS0_4arch9wavefront6targetE1EEEvT1_ ; -- Begin function _ZN7rocprim17ROCPRIM_400000_NS6detail17trampoline_kernelINS0_14default_configENS1_27scan_by_key_config_selectorIifEEZZNS1_16scan_by_key_implILNS1_25lookback_scan_determinismE0ELb1ES3_N6thrust23THRUST_200600_302600_NS6detail15normal_iteratorINS9_10device_ptrIiEEEENSB_INSC_IjEEEENSB_INSC_IfEEEEfNS9_4plusIvEENS9_8equal_toIvEEfEE10hipError_tPvRmT2_T3_T4_T5_mT6_T7_P12ihipStream_tbENKUlT_T0_E_clISt17integral_constantIbLb0EES13_EEDaSY_SZ_EUlSY_E_NS1_11comp_targetILNS1_3genE10ELNS1_11target_archE1200ELNS1_3gpuE4ELNS1_3repE0EEENS1_30default_config_static_selectorELNS0_4arch9wavefront6targetE1EEEvT1_
	.globl	_ZN7rocprim17ROCPRIM_400000_NS6detail17trampoline_kernelINS0_14default_configENS1_27scan_by_key_config_selectorIifEEZZNS1_16scan_by_key_implILNS1_25lookback_scan_determinismE0ELb1ES3_N6thrust23THRUST_200600_302600_NS6detail15normal_iteratorINS9_10device_ptrIiEEEENSB_INSC_IjEEEENSB_INSC_IfEEEEfNS9_4plusIvEENS9_8equal_toIvEEfEE10hipError_tPvRmT2_T3_T4_T5_mT6_T7_P12ihipStream_tbENKUlT_T0_E_clISt17integral_constantIbLb0EES13_EEDaSY_SZ_EUlSY_E_NS1_11comp_targetILNS1_3genE10ELNS1_11target_archE1200ELNS1_3gpuE4ELNS1_3repE0EEENS1_30default_config_static_selectorELNS0_4arch9wavefront6targetE1EEEvT1_
	.p2align	8
	.type	_ZN7rocprim17ROCPRIM_400000_NS6detail17trampoline_kernelINS0_14default_configENS1_27scan_by_key_config_selectorIifEEZZNS1_16scan_by_key_implILNS1_25lookback_scan_determinismE0ELb1ES3_N6thrust23THRUST_200600_302600_NS6detail15normal_iteratorINS9_10device_ptrIiEEEENSB_INSC_IjEEEENSB_INSC_IfEEEEfNS9_4plusIvEENS9_8equal_toIvEEfEE10hipError_tPvRmT2_T3_T4_T5_mT6_T7_P12ihipStream_tbENKUlT_T0_E_clISt17integral_constantIbLb0EES13_EEDaSY_SZ_EUlSY_E_NS1_11comp_targetILNS1_3genE10ELNS1_11target_archE1200ELNS1_3gpuE4ELNS1_3repE0EEENS1_30default_config_static_selectorELNS0_4arch9wavefront6targetE1EEEvT1_,@function
_ZN7rocprim17ROCPRIM_400000_NS6detail17trampoline_kernelINS0_14default_configENS1_27scan_by_key_config_selectorIifEEZZNS1_16scan_by_key_implILNS1_25lookback_scan_determinismE0ELb1ES3_N6thrust23THRUST_200600_302600_NS6detail15normal_iteratorINS9_10device_ptrIiEEEENSB_INSC_IjEEEENSB_INSC_IfEEEEfNS9_4plusIvEENS9_8equal_toIvEEfEE10hipError_tPvRmT2_T3_T4_T5_mT6_T7_P12ihipStream_tbENKUlT_T0_E_clISt17integral_constantIbLb0EES13_EEDaSY_SZ_EUlSY_E_NS1_11comp_targetILNS1_3genE10ELNS1_11target_archE1200ELNS1_3gpuE4ELNS1_3repE0EEENS1_30default_config_static_selectorELNS0_4arch9wavefront6targetE1EEEvT1_: ; @_ZN7rocprim17ROCPRIM_400000_NS6detail17trampoline_kernelINS0_14default_configENS1_27scan_by_key_config_selectorIifEEZZNS1_16scan_by_key_implILNS1_25lookback_scan_determinismE0ELb1ES3_N6thrust23THRUST_200600_302600_NS6detail15normal_iteratorINS9_10device_ptrIiEEEENSB_INSC_IjEEEENSB_INSC_IfEEEEfNS9_4plusIvEENS9_8equal_toIvEEfEE10hipError_tPvRmT2_T3_T4_T5_mT6_T7_P12ihipStream_tbENKUlT_T0_E_clISt17integral_constantIbLb0EES13_EEDaSY_SZ_EUlSY_E_NS1_11comp_targetILNS1_3genE10ELNS1_11target_archE1200ELNS1_3gpuE4ELNS1_3repE0EEENS1_30default_config_static_selectorELNS0_4arch9wavefront6targetE1EEEvT1_
; %bb.0:
	.section	.rodata,"a",@progbits
	.p2align	6, 0x0
	.amdhsa_kernel _ZN7rocprim17ROCPRIM_400000_NS6detail17trampoline_kernelINS0_14default_configENS1_27scan_by_key_config_selectorIifEEZZNS1_16scan_by_key_implILNS1_25lookback_scan_determinismE0ELb1ES3_N6thrust23THRUST_200600_302600_NS6detail15normal_iteratorINS9_10device_ptrIiEEEENSB_INSC_IjEEEENSB_INSC_IfEEEEfNS9_4plusIvEENS9_8equal_toIvEEfEE10hipError_tPvRmT2_T3_T4_T5_mT6_T7_P12ihipStream_tbENKUlT_T0_E_clISt17integral_constantIbLb0EES13_EEDaSY_SZ_EUlSY_E_NS1_11comp_targetILNS1_3genE10ELNS1_11target_archE1200ELNS1_3gpuE4ELNS1_3repE0EEENS1_30default_config_static_selectorELNS0_4arch9wavefront6targetE1EEEvT1_
		.amdhsa_group_segment_fixed_size 0
		.amdhsa_private_segment_fixed_size 0
		.amdhsa_kernarg_size 112
		.amdhsa_user_sgpr_count 2
		.amdhsa_user_sgpr_dispatch_ptr 0
		.amdhsa_user_sgpr_queue_ptr 0
		.amdhsa_user_sgpr_kernarg_segment_ptr 1
		.amdhsa_user_sgpr_dispatch_id 0
		.amdhsa_user_sgpr_kernarg_preload_length 0
		.amdhsa_user_sgpr_kernarg_preload_offset 0
		.amdhsa_user_sgpr_private_segment_size 0
		.amdhsa_uses_dynamic_stack 0
		.amdhsa_enable_private_segment 0
		.amdhsa_system_sgpr_workgroup_id_x 1
		.amdhsa_system_sgpr_workgroup_id_y 0
		.amdhsa_system_sgpr_workgroup_id_z 0
		.amdhsa_system_sgpr_workgroup_info 0
		.amdhsa_system_vgpr_workitem_id 0
		.amdhsa_next_free_vgpr 1
		.amdhsa_next_free_sgpr 0
		.amdhsa_accum_offset 4
		.amdhsa_reserve_vcc 0
		.amdhsa_float_round_mode_32 0
		.amdhsa_float_round_mode_16_64 0
		.amdhsa_float_denorm_mode_32 3
		.amdhsa_float_denorm_mode_16_64 3
		.amdhsa_dx10_clamp 1
		.amdhsa_ieee_mode 1
		.amdhsa_fp16_overflow 0
		.amdhsa_tg_split 0
		.amdhsa_exception_fp_ieee_invalid_op 0
		.amdhsa_exception_fp_denorm_src 0
		.amdhsa_exception_fp_ieee_div_zero 0
		.amdhsa_exception_fp_ieee_overflow 0
		.amdhsa_exception_fp_ieee_underflow 0
		.amdhsa_exception_fp_ieee_inexact 0
		.amdhsa_exception_int_div_zero 0
	.end_amdhsa_kernel
	.section	.text._ZN7rocprim17ROCPRIM_400000_NS6detail17trampoline_kernelINS0_14default_configENS1_27scan_by_key_config_selectorIifEEZZNS1_16scan_by_key_implILNS1_25lookback_scan_determinismE0ELb1ES3_N6thrust23THRUST_200600_302600_NS6detail15normal_iteratorINS9_10device_ptrIiEEEENSB_INSC_IjEEEENSB_INSC_IfEEEEfNS9_4plusIvEENS9_8equal_toIvEEfEE10hipError_tPvRmT2_T3_T4_T5_mT6_T7_P12ihipStream_tbENKUlT_T0_E_clISt17integral_constantIbLb0EES13_EEDaSY_SZ_EUlSY_E_NS1_11comp_targetILNS1_3genE10ELNS1_11target_archE1200ELNS1_3gpuE4ELNS1_3repE0EEENS1_30default_config_static_selectorELNS0_4arch9wavefront6targetE1EEEvT1_,"axG",@progbits,_ZN7rocprim17ROCPRIM_400000_NS6detail17trampoline_kernelINS0_14default_configENS1_27scan_by_key_config_selectorIifEEZZNS1_16scan_by_key_implILNS1_25lookback_scan_determinismE0ELb1ES3_N6thrust23THRUST_200600_302600_NS6detail15normal_iteratorINS9_10device_ptrIiEEEENSB_INSC_IjEEEENSB_INSC_IfEEEEfNS9_4plusIvEENS9_8equal_toIvEEfEE10hipError_tPvRmT2_T3_T4_T5_mT6_T7_P12ihipStream_tbENKUlT_T0_E_clISt17integral_constantIbLb0EES13_EEDaSY_SZ_EUlSY_E_NS1_11comp_targetILNS1_3genE10ELNS1_11target_archE1200ELNS1_3gpuE4ELNS1_3repE0EEENS1_30default_config_static_selectorELNS0_4arch9wavefront6targetE1EEEvT1_,comdat
.Lfunc_end1686:
	.size	_ZN7rocprim17ROCPRIM_400000_NS6detail17trampoline_kernelINS0_14default_configENS1_27scan_by_key_config_selectorIifEEZZNS1_16scan_by_key_implILNS1_25lookback_scan_determinismE0ELb1ES3_N6thrust23THRUST_200600_302600_NS6detail15normal_iteratorINS9_10device_ptrIiEEEENSB_INSC_IjEEEENSB_INSC_IfEEEEfNS9_4plusIvEENS9_8equal_toIvEEfEE10hipError_tPvRmT2_T3_T4_T5_mT6_T7_P12ihipStream_tbENKUlT_T0_E_clISt17integral_constantIbLb0EES13_EEDaSY_SZ_EUlSY_E_NS1_11comp_targetILNS1_3genE10ELNS1_11target_archE1200ELNS1_3gpuE4ELNS1_3repE0EEENS1_30default_config_static_selectorELNS0_4arch9wavefront6targetE1EEEvT1_, .Lfunc_end1686-_ZN7rocprim17ROCPRIM_400000_NS6detail17trampoline_kernelINS0_14default_configENS1_27scan_by_key_config_selectorIifEEZZNS1_16scan_by_key_implILNS1_25lookback_scan_determinismE0ELb1ES3_N6thrust23THRUST_200600_302600_NS6detail15normal_iteratorINS9_10device_ptrIiEEEENSB_INSC_IjEEEENSB_INSC_IfEEEEfNS9_4plusIvEENS9_8equal_toIvEEfEE10hipError_tPvRmT2_T3_T4_T5_mT6_T7_P12ihipStream_tbENKUlT_T0_E_clISt17integral_constantIbLb0EES13_EEDaSY_SZ_EUlSY_E_NS1_11comp_targetILNS1_3genE10ELNS1_11target_archE1200ELNS1_3gpuE4ELNS1_3repE0EEENS1_30default_config_static_selectorELNS0_4arch9wavefront6targetE1EEEvT1_
                                        ; -- End function
	.section	.AMDGPU.csdata,"",@progbits
; Kernel info:
; codeLenInByte = 0
; NumSgprs: 6
; NumVgprs: 0
; NumAgprs: 0
; TotalNumVgprs: 0
; ScratchSize: 0
; MemoryBound: 0
; FloatMode: 240
; IeeeMode: 1
; LDSByteSize: 0 bytes/workgroup (compile time only)
; SGPRBlocks: 0
; VGPRBlocks: 0
; NumSGPRsForWavesPerEU: 6
; NumVGPRsForWavesPerEU: 1
; AccumOffset: 4
; Occupancy: 8
; WaveLimiterHint : 0
; COMPUTE_PGM_RSRC2:SCRATCH_EN: 0
; COMPUTE_PGM_RSRC2:USER_SGPR: 2
; COMPUTE_PGM_RSRC2:TRAP_HANDLER: 0
; COMPUTE_PGM_RSRC2:TGID_X_EN: 1
; COMPUTE_PGM_RSRC2:TGID_Y_EN: 0
; COMPUTE_PGM_RSRC2:TGID_Z_EN: 0
; COMPUTE_PGM_RSRC2:TIDIG_COMP_CNT: 0
; COMPUTE_PGM_RSRC3_GFX90A:ACCUM_OFFSET: 0
; COMPUTE_PGM_RSRC3_GFX90A:TG_SPLIT: 0
	.section	.text._ZN7rocprim17ROCPRIM_400000_NS6detail17trampoline_kernelINS0_14default_configENS1_27scan_by_key_config_selectorIifEEZZNS1_16scan_by_key_implILNS1_25lookback_scan_determinismE0ELb1ES3_N6thrust23THRUST_200600_302600_NS6detail15normal_iteratorINS9_10device_ptrIiEEEENSB_INSC_IjEEEENSB_INSC_IfEEEEfNS9_4plusIvEENS9_8equal_toIvEEfEE10hipError_tPvRmT2_T3_T4_T5_mT6_T7_P12ihipStream_tbENKUlT_T0_E_clISt17integral_constantIbLb0EES13_EEDaSY_SZ_EUlSY_E_NS1_11comp_targetILNS1_3genE9ELNS1_11target_archE1100ELNS1_3gpuE3ELNS1_3repE0EEENS1_30default_config_static_selectorELNS0_4arch9wavefront6targetE1EEEvT1_,"axG",@progbits,_ZN7rocprim17ROCPRIM_400000_NS6detail17trampoline_kernelINS0_14default_configENS1_27scan_by_key_config_selectorIifEEZZNS1_16scan_by_key_implILNS1_25lookback_scan_determinismE0ELb1ES3_N6thrust23THRUST_200600_302600_NS6detail15normal_iteratorINS9_10device_ptrIiEEEENSB_INSC_IjEEEENSB_INSC_IfEEEEfNS9_4plusIvEENS9_8equal_toIvEEfEE10hipError_tPvRmT2_T3_T4_T5_mT6_T7_P12ihipStream_tbENKUlT_T0_E_clISt17integral_constantIbLb0EES13_EEDaSY_SZ_EUlSY_E_NS1_11comp_targetILNS1_3genE9ELNS1_11target_archE1100ELNS1_3gpuE3ELNS1_3repE0EEENS1_30default_config_static_selectorELNS0_4arch9wavefront6targetE1EEEvT1_,comdat
	.protected	_ZN7rocprim17ROCPRIM_400000_NS6detail17trampoline_kernelINS0_14default_configENS1_27scan_by_key_config_selectorIifEEZZNS1_16scan_by_key_implILNS1_25lookback_scan_determinismE0ELb1ES3_N6thrust23THRUST_200600_302600_NS6detail15normal_iteratorINS9_10device_ptrIiEEEENSB_INSC_IjEEEENSB_INSC_IfEEEEfNS9_4plusIvEENS9_8equal_toIvEEfEE10hipError_tPvRmT2_T3_T4_T5_mT6_T7_P12ihipStream_tbENKUlT_T0_E_clISt17integral_constantIbLb0EES13_EEDaSY_SZ_EUlSY_E_NS1_11comp_targetILNS1_3genE9ELNS1_11target_archE1100ELNS1_3gpuE3ELNS1_3repE0EEENS1_30default_config_static_selectorELNS0_4arch9wavefront6targetE1EEEvT1_ ; -- Begin function _ZN7rocprim17ROCPRIM_400000_NS6detail17trampoline_kernelINS0_14default_configENS1_27scan_by_key_config_selectorIifEEZZNS1_16scan_by_key_implILNS1_25lookback_scan_determinismE0ELb1ES3_N6thrust23THRUST_200600_302600_NS6detail15normal_iteratorINS9_10device_ptrIiEEEENSB_INSC_IjEEEENSB_INSC_IfEEEEfNS9_4plusIvEENS9_8equal_toIvEEfEE10hipError_tPvRmT2_T3_T4_T5_mT6_T7_P12ihipStream_tbENKUlT_T0_E_clISt17integral_constantIbLb0EES13_EEDaSY_SZ_EUlSY_E_NS1_11comp_targetILNS1_3genE9ELNS1_11target_archE1100ELNS1_3gpuE3ELNS1_3repE0EEENS1_30default_config_static_selectorELNS0_4arch9wavefront6targetE1EEEvT1_
	.globl	_ZN7rocprim17ROCPRIM_400000_NS6detail17trampoline_kernelINS0_14default_configENS1_27scan_by_key_config_selectorIifEEZZNS1_16scan_by_key_implILNS1_25lookback_scan_determinismE0ELb1ES3_N6thrust23THRUST_200600_302600_NS6detail15normal_iteratorINS9_10device_ptrIiEEEENSB_INSC_IjEEEENSB_INSC_IfEEEEfNS9_4plusIvEENS9_8equal_toIvEEfEE10hipError_tPvRmT2_T3_T4_T5_mT6_T7_P12ihipStream_tbENKUlT_T0_E_clISt17integral_constantIbLb0EES13_EEDaSY_SZ_EUlSY_E_NS1_11comp_targetILNS1_3genE9ELNS1_11target_archE1100ELNS1_3gpuE3ELNS1_3repE0EEENS1_30default_config_static_selectorELNS0_4arch9wavefront6targetE1EEEvT1_
	.p2align	8
	.type	_ZN7rocprim17ROCPRIM_400000_NS6detail17trampoline_kernelINS0_14default_configENS1_27scan_by_key_config_selectorIifEEZZNS1_16scan_by_key_implILNS1_25lookback_scan_determinismE0ELb1ES3_N6thrust23THRUST_200600_302600_NS6detail15normal_iteratorINS9_10device_ptrIiEEEENSB_INSC_IjEEEENSB_INSC_IfEEEEfNS9_4plusIvEENS9_8equal_toIvEEfEE10hipError_tPvRmT2_T3_T4_T5_mT6_T7_P12ihipStream_tbENKUlT_T0_E_clISt17integral_constantIbLb0EES13_EEDaSY_SZ_EUlSY_E_NS1_11comp_targetILNS1_3genE9ELNS1_11target_archE1100ELNS1_3gpuE3ELNS1_3repE0EEENS1_30default_config_static_selectorELNS0_4arch9wavefront6targetE1EEEvT1_,@function
_ZN7rocprim17ROCPRIM_400000_NS6detail17trampoline_kernelINS0_14default_configENS1_27scan_by_key_config_selectorIifEEZZNS1_16scan_by_key_implILNS1_25lookback_scan_determinismE0ELb1ES3_N6thrust23THRUST_200600_302600_NS6detail15normal_iteratorINS9_10device_ptrIiEEEENSB_INSC_IjEEEENSB_INSC_IfEEEEfNS9_4plusIvEENS9_8equal_toIvEEfEE10hipError_tPvRmT2_T3_T4_T5_mT6_T7_P12ihipStream_tbENKUlT_T0_E_clISt17integral_constantIbLb0EES13_EEDaSY_SZ_EUlSY_E_NS1_11comp_targetILNS1_3genE9ELNS1_11target_archE1100ELNS1_3gpuE3ELNS1_3repE0EEENS1_30default_config_static_selectorELNS0_4arch9wavefront6targetE1EEEvT1_: ; @_ZN7rocprim17ROCPRIM_400000_NS6detail17trampoline_kernelINS0_14default_configENS1_27scan_by_key_config_selectorIifEEZZNS1_16scan_by_key_implILNS1_25lookback_scan_determinismE0ELb1ES3_N6thrust23THRUST_200600_302600_NS6detail15normal_iteratorINS9_10device_ptrIiEEEENSB_INSC_IjEEEENSB_INSC_IfEEEEfNS9_4plusIvEENS9_8equal_toIvEEfEE10hipError_tPvRmT2_T3_T4_T5_mT6_T7_P12ihipStream_tbENKUlT_T0_E_clISt17integral_constantIbLb0EES13_EEDaSY_SZ_EUlSY_E_NS1_11comp_targetILNS1_3genE9ELNS1_11target_archE1100ELNS1_3gpuE3ELNS1_3repE0EEENS1_30default_config_static_selectorELNS0_4arch9wavefront6targetE1EEEvT1_
; %bb.0:
	.section	.rodata,"a",@progbits
	.p2align	6, 0x0
	.amdhsa_kernel _ZN7rocprim17ROCPRIM_400000_NS6detail17trampoline_kernelINS0_14default_configENS1_27scan_by_key_config_selectorIifEEZZNS1_16scan_by_key_implILNS1_25lookback_scan_determinismE0ELb1ES3_N6thrust23THRUST_200600_302600_NS6detail15normal_iteratorINS9_10device_ptrIiEEEENSB_INSC_IjEEEENSB_INSC_IfEEEEfNS9_4plusIvEENS9_8equal_toIvEEfEE10hipError_tPvRmT2_T3_T4_T5_mT6_T7_P12ihipStream_tbENKUlT_T0_E_clISt17integral_constantIbLb0EES13_EEDaSY_SZ_EUlSY_E_NS1_11comp_targetILNS1_3genE9ELNS1_11target_archE1100ELNS1_3gpuE3ELNS1_3repE0EEENS1_30default_config_static_selectorELNS0_4arch9wavefront6targetE1EEEvT1_
		.amdhsa_group_segment_fixed_size 0
		.amdhsa_private_segment_fixed_size 0
		.amdhsa_kernarg_size 112
		.amdhsa_user_sgpr_count 2
		.amdhsa_user_sgpr_dispatch_ptr 0
		.amdhsa_user_sgpr_queue_ptr 0
		.amdhsa_user_sgpr_kernarg_segment_ptr 1
		.amdhsa_user_sgpr_dispatch_id 0
		.amdhsa_user_sgpr_kernarg_preload_length 0
		.amdhsa_user_sgpr_kernarg_preload_offset 0
		.amdhsa_user_sgpr_private_segment_size 0
		.amdhsa_uses_dynamic_stack 0
		.amdhsa_enable_private_segment 0
		.amdhsa_system_sgpr_workgroup_id_x 1
		.amdhsa_system_sgpr_workgroup_id_y 0
		.amdhsa_system_sgpr_workgroup_id_z 0
		.amdhsa_system_sgpr_workgroup_info 0
		.amdhsa_system_vgpr_workitem_id 0
		.amdhsa_next_free_vgpr 1
		.amdhsa_next_free_sgpr 0
		.amdhsa_accum_offset 4
		.amdhsa_reserve_vcc 0
		.amdhsa_float_round_mode_32 0
		.amdhsa_float_round_mode_16_64 0
		.amdhsa_float_denorm_mode_32 3
		.amdhsa_float_denorm_mode_16_64 3
		.amdhsa_dx10_clamp 1
		.amdhsa_ieee_mode 1
		.amdhsa_fp16_overflow 0
		.amdhsa_tg_split 0
		.amdhsa_exception_fp_ieee_invalid_op 0
		.amdhsa_exception_fp_denorm_src 0
		.amdhsa_exception_fp_ieee_div_zero 0
		.amdhsa_exception_fp_ieee_overflow 0
		.amdhsa_exception_fp_ieee_underflow 0
		.amdhsa_exception_fp_ieee_inexact 0
		.amdhsa_exception_int_div_zero 0
	.end_amdhsa_kernel
	.section	.text._ZN7rocprim17ROCPRIM_400000_NS6detail17trampoline_kernelINS0_14default_configENS1_27scan_by_key_config_selectorIifEEZZNS1_16scan_by_key_implILNS1_25lookback_scan_determinismE0ELb1ES3_N6thrust23THRUST_200600_302600_NS6detail15normal_iteratorINS9_10device_ptrIiEEEENSB_INSC_IjEEEENSB_INSC_IfEEEEfNS9_4plusIvEENS9_8equal_toIvEEfEE10hipError_tPvRmT2_T3_T4_T5_mT6_T7_P12ihipStream_tbENKUlT_T0_E_clISt17integral_constantIbLb0EES13_EEDaSY_SZ_EUlSY_E_NS1_11comp_targetILNS1_3genE9ELNS1_11target_archE1100ELNS1_3gpuE3ELNS1_3repE0EEENS1_30default_config_static_selectorELNS0_4arch9wavefront6targetE1EEEvT1_,"axG",@progbits,_ZN7rocprim17ROCPRIM_400000_NS6detail17trampoline_kernelINS0_14default_configENS1_27scan_by_key_config_selectorIifEEZZNS1_16scan_by_key_implILNS1_25lookback_scan_determinismE0ELb1ES3_N6thrust23THRUST_200600_302600_NS6detail15normal_iteratorINS9_10device_ptrIiEEEENSB_INSC_IjEEEENSB_INSC_IfEEEEfNS9_4plusIvEENS9_8equal_toIvEEfEE10hipError_tPvRmT2_T3_T4_T5_mT6_T7_P12ihipStream_tbENKUlT_T0_E_clISt17integral_constantIbLb0EES13_EEDaSY_SZ_EUlSY_E_NS1_11comp_targetILNS1_3genE9ELNS1_11target_archE1100ELNS1_3gpuE3ELNS1_3repE0EEENS1_30default_config_static_selectorELNS0_4arch9wavefront6targetE1EEEvT1_,comdat
.Lfunc_end1687:
	.size	_ZN7rocprim17ROCPRIM_400000_NS6detail17trampoline_kernelINS0_14default_configENS1_27scan_by_key_config_selectorIifEEZZNS1_16scan_by_key_implILNS1_25lookback_scan_determinismE0ELb1ES3_N6thrust23THRUST_200600_302600_NS6detail15normal_iteratorINS9_10device_ptrIiEEEENSB_INSC_IjEEEENSB_INSC_IfEEEEfNS9_4plusIvEENS9_8equal_toIvEEfEE10hipError_tPvRmT2_T3_T4_T5_mT6_T7_P12ihipStream_tbENKUlT_T0_E_clISt17integral_constantIbLb0EES13_EEDaSY_SZ_EUlSY_E_NS1_11comp_targetILNS1_3genE9ELNS1_11target_archE1100ELNS1_3gpuE3ELNS1_3repE0EEENS1_30default_config_static_selectorELNS0_4arch9wavefront6targetE1EEEvT1_, .Lfunc_end1687-_ZN7rocprim17ROCPRIM_400000_NS6detail17trampoline_kernelINS0_14default_configENS1_27scan_by_key_config_selectorIifEEZZNS1_16scan_by_key_implILNS1_25lookback_scan_determinismE0ELb1ES3_N6thrust23THRUST_200600_302600_NS6detail15normal_iteratorINS9_10device_ptrIiEEEENSB_INSC_IjEEEENSB_INSC_IfEEEEfNS9_4plusIvEENS9_8equal_toIvEEfEE10hipError_tPvRmT2_T3_T4_T5_mT6_T7_P12ihipStream_tbENKUlT_T0_E_clISt17integral_constantIbLb0EES13_EEDaSY_SZ_EUlSY_E_NS1_11comp_targetILNS1_3genE9ELNS1_11target_archE1100ELNS1_3gpuE3ELNS1_3repE0EEENS1_30default_config_static_selectorELNS0_4arch9wavefront6targetE1EEEvT1_
                                        ; -- End function
	.section	.AMDGPU.csdata,"",@progbits
; Kernel info:
; codeLenInByte = 0
; NumSgprs: 6
; NumVgprs: 0
; NumAgprs: 0
; TotalNumVgprs: 0
; ScratchSize: 0
; MemoryBound: 0
; FloatMode: 240
; IeeeMode: 1
; LDSByteSize: 0 bytes/workgroup (compile time only)
; SGPRBlocks: 0
; VGPRBlocks: 0
; NumSGPRsForWavesPerEU: 6
; NumVGPRsForWavesPerEU: 1
; AccumOffset: 4
; Occupancy: 8
; WaveLimiterHint : 0
; COMPUTE_PGM_RSRC2:SCRATCH_EN: 0
; COMPUTE_PGM_RSRC2:USER_SGPR: 2
; COMPUTE_PGM_RSRC2:TRAP_HANDLER: 0
; COMPUTE_PGM_RSRC2:TGID_X_EN: 1
; COMPUTE_PGM_RSRC2:TGID_Y_EN: 0
; COMPUTE_PGM_RSRC2:TGID_Z_EN: 0
; COMPUTE_PGM_RSRC2:TIDIG_COMP_CNT: 0
; COMPUTE_PGM_RSRC3_GFX90A:ACCUM_OFFSET: 0
; COMPUTE_PGM_RSRC3_GFX90A:TG_SPLIT: 0
	.section	.text._ZN7rocprim17ROCPRIM_400000_NS6detail17trampoline_kernelINS0_14default_configENS1_27scan_by_key_config_selectorIifEEZZNS1_16scan_by_key_implILNS1_25lookback_scan_determinismE0ELb1ES3_N6thrust23THRUST_200600_302600_NS6detail15normal_iteratorINS9_10device_ptrIiEEEENSB_INSC_IjEEEENSB_INSC_IfEEEEfNS9_4plusIvEENS9_8equal_toIvEEfEE10hipError_tPvRmT2_T3_T4_T5_mT6_T7_P12ihipStream_tbENKUlT_T0_E_clISt17integral_constantIbLb0EES13_EEDaSY_SZ_EUlSY_E_NS1_11comp_targetILNS1_3genE8ELNS1_11target_archE1030ELNS1_3gpuE2ELNS1_3repE0EEENS1_30default_config_static_selectorELNS0_4arch9wavefront6targetE1EEEvT1_,"axG",@progbits,_ZN7rocprim17ROCPRIM_400000_NS6detail17trampoline_kernelINS0_14default_configENS1_27scan_by_key_config_selectorIifEEZZNS1_16scan_by_key_implILNS1_25lookback_scan_determinismE0ELb1ES3_N6thrust23THRUST_200600_302600_NS6detail15normal_iteratorINS9_10device_ptrIiEEEENSB_INSC_IjEEEENSB_INSC_IfEEEEfNS9_4plusIvEENS9_8equal_toIvEEfEE10hipError_tPvRmT2_T3_T4_T5_mT6_T7_P12ihipStream_tbENKUlT_T0_E_clISt17integral_constantIbLb0EES13_EEDaSY_SZ_EUlSY_E_NS1_11comp_targetILNS1_3genE8ELNS1_11target_archE1030ELNS1_3gpuE2ELNS1_3repE0EEENS1_30default_config_static_selectorELNS0_4arch9wavefront6targetE1EEEvT1_,comdat
	.protected	_ZN7rocprim17ROCPRIM_400000_NS6detail17trampoline_kernelINS0_14default_configENS1_27scan_by_key_config_selectorIifEEZZNS1_16scan_by_key_implILNS1_25lookback_scan_determinismE0ELb1ES3_N6thrust23THRUST_200600_302600_NS6detail15normal_iteratorINS9_10device_ptrIiEEEENSB_INSC_IjEEEENSB_INSC_IfEEEEfNS9_4plusIvEENS9_8equal_toIvEEfEE10hipError_tPvRmT2_T3_T4_T5_mT6_T7_P12ihipStream_tbENKUlT_T0_E_clISt17integral_constantIbLb0EES13_EEDaSY_SZ_EUlSY_E_NS1_11comp_targetILNS1_3genE8ELNS1_11target_archE1030ELNS1_3gpuE2ELNS1_3repE0EEENS1_30default_config_static_selectorELNS0_4arch9wavefront6targetE1EEEvT1_ ; -- Begin function _ZN7rocprim17ROCPRIM_400000_NS6detail17trampoline_kernelINS0_14default_configENS1_27scan_by_key_config_selectorIifEEZZNS1_16scan_by_key_implILNS1_25lookback_scan_determinismE0ELb1ES3_N6thrust23THRUST_200600_302600_NS6detail15normal_iteratorINS9_10device_ptrIiEEEENSB_INSC_IjEEEENSB_INSC_IfEEEEfNS9_4plusIvEENS9_8equal_toIvEEfEE10hipError_tPvRmT2_T3_T4_T5_mT6_T7_P12ihipStream_tbENKUlT_T0_E_clISt17integral_constantIbLb0EES13_EEDaSY_SZ_EUlSY_E_NS1_11comp_targetILNS1_3genE8ELNS1_11target_archE1030ELNS1_3gpuE2ELNS1_3repE0EEENS1_30default_config_static_selectorELNS0_4arch9wavefront6targetE1EEEvT1_
	.globl	_ZN7rocprim17ROCPRIM_400000_NS6detail17trampoline_kernelINS0_14default_configENS1_27scan_by_key_config_selectorIifEEZZNS1_16scan_by_key_implILNS1_25lookback_scan_determinismE0ELb1ES3_N6thrust23THRUST_200600_302600_NS6detail15normal_iteratorINS9_10device_ptrIiEEEENSB_INSC_IjEEEENSB_INSC_IfEEEEfNS9_4plusIvEENS9_8equal_toIvEEfEE10hipError_tPvRmT2_T3_T4_T5_mT6_T7_P12ihipStream_tbENKUlT_T0_E_clISt17integral_constantIbLb0EES13_EEDaSY_SZ_EUlSY_E_NS1_11comp_targetILNS1_3genE8ELNS1_11target_archE1030ELNS1_3gpuE2ELNS1_3repE0EEENS1_30default_config_static_selectorELNS0_4arch9wavefront6targetE1EEEvT1_
	.p2align	8
	.type	_ZN7rocprim17ROCPRIM_400000_NS6detail17trampoline_kernelINS0_14default_configENS1_27scan_by_key_config_selectorIifEEZZNS1_16scan_by_key_implILNS1_25lookback_scan_determinismE0ELb1ES3_N6thrust23THRUST_200600_302600_NS6detail15normal_iteratorINS9_10device_ptrIiEEEENSB_INSC_IjEEEENSB_INSC_IfEEEEfNS9_4plusIvEENS9_8equal_toIvEEfEE10hipError_tPvRmT2_T3_T4_T5_mT6_T7_P12ihipStream_tbENKUlT_T0_E_clISt17integral_constantIbLb0EES13_EEDaSY_SZ_EUlSY_E_NS1_11comp_targetILNS1_3genE8ELNS1_11target_archE1030ELNS1_3gpuE2ELNS1_3repE0EEENS1_30default_config_static_selectorELNS0_4arch9wavefront6targetE1EEEvT1_,@function
_ZN7rocprim17ROCPRIM_400000_NS6detail17trampoline_kernelINS0_14default_configENS1_27scan_by_key_config_selectorIifEEZZNS1_16scan_by_key_implILNS1_25lookback_scan_determinismE0ELb1ES3_N6thrust23THRUST_200600_302600_NS6detail15normal_iteratorINS9_10device_ptrIiEEEENSB_INSC_IjEEEENSB_INSC_IfEEEEfNS9_4plusIvEENS9_8equal_toIvEEfEE10hipError_tPvRmT2_T3_T4_T5_mT6_T7_P12ihipStream_tbENKUlT_T0_E_clISt17integral_constantIbLb0EES13_EEDaSY_SZ_EUlSY_E_NS1_11comp_targetILNS1_3genE8ELNS1_11target_archE1030ELNS1_3gpuE2ELNS1_3repE0EEENS1_30default_config_static_selectorELNS0_4arch9wavefront6targetE1EEEvT1_: ; @_ZN7rocprim17ROCPRIM_400000_NS6detail17trampoline_kernelINS0_14default_configENS1_27scan_by_key_config_selectorIifEEZZNS1_16scan_by_key_implILNS1_25lookback_scan_determinismE0ELb1ES3_N6thrust23THRUST_200600_302600_NS6detail15normal_iteratorINS9_10device_ptrIiEEEENSB_INSC_IjEEEENSB_INSC_IfEEEEfNS9_4plusIvEENS9_8equal_toIvEEfEE10hipError_tPvRmT2_T3_T4_T5_mT6_T7_P12ihipStream_tbENKUlT_T0_E_clISt17integral_constantIbLb0EES13_EEDaSY_SZ_EUlSY_E_NS1_11comp_targetILNS1_3genE8ELNS1_11target_archE1030ELNS1_3gpuE2ELNS1_3repE0EEENS1_30default_config_static_selectorELNS0_4arch9wavefront6targetE1EEEvT1_
; %bb.0:
	.section	.rodata,"a",@progbits
	.p2align	6, 0x0
	.amdhsa_kernel _ZN7rocprim17ROCPRIM_400000_NS6detail17trampoline_kernelINS0_14default_configENS1_27scan_by_key_config_selectorIifEEZZNS1_16scan_by_key_implILNS1_25lookback_scan_determinismE0ELb1ES3_N6thrust23THRUST_200600_302600_NS6detail15normal_iteratorINS9_10device_ptrIiEEEENSB_INSC_IjEEEENSB_INSC_IfEEEEfNS9_4plusIvEENS9_8equal_toIvEEfEE10hipError_tPvRmT2_T3_T4_T5_mT6_T7_P12ihipStream_tbENKUlT_T0_E_clISt17integral_constantIbLb0EES13_EEDaSY_SZ_EUlSY_E_NS1_11comp_targetILNS1_3genE8ELNS1_11target_archE1030ELNS1_3gpuE2ELNS1_3repE0EEENS1_30default_config_static_selectorELNS0_4arch9wavefront6targetE1EEEvT1_
		.amdhsa_group_segment_fixed_size 0
		.amdhsa_private_segment_fixed_size 0
		.amdhsa_kernarg_size 112
		.amdhsa_user_sgpr_count 2
		.amdhsa_user_sgpr_dispatch_ptr 0
		.amdhsa_user_sgpr_queue_ptr 0
		.amdhsa_user_sgpr_kernarg_segment_ptr 1
		.amdhsa_user_sgpr_dispatch_id 0
		.amdhsa_user_sgpr_kernarg_preload_length 0
		.amdhsa_user_sgpr_kernarg_preload_offset 0
		.amdhsa_user_sgpr_private_segment_size 0
		.amdhsa_uses_dynamic_stack 0
		.amdhsa_enable_private_segment 0
		.amdhsa_system_sgpr_workgroup_id_x 1
		.amdhsa_system_sgpr_workgroup_id_y 0
		.amdhsa_system_sgpr_workgroup_id_z 0
		.amdhsa_system_sgpr_workgroup_info 0
		.amdhsa_system_vgpr_workitem_id 0
		.amdhsa_next_free_vgpr 1
		.amdhsa_next_free_sgpr 0
		.amdhsa_accum_offset 4
		.amdhsa_reserve_vcc 0
		.amdhsa_float_round_mode_32 0
		.amdhsa_float_round_mode_16_64 0
		.amdhsa_float_denorm_mode_32 3
		.amdhsa_float_denorm_mode_16_64 3
		.amdhsa_dx10_clamp 1
		.amdhsa_ieee_mode 1
		.amdhsa_fp16_overflow 0
		.amdhsa_tg_split 0
		.amdhsa_exception_fp_ieee_invalid_op 0
		.amdhsa_exception_fp_denorm_src 0
		.amdhsa_exception_fp_ieee_div_zero 0
		.amdhsa_exception_fp_ieee_overflow 0
		.amdhsa_exception_fp_ieee_underflow 0
		.amdhsa_exception_fp_ieee_inexact 0
		.amdhsa_exception_int_div_zero 0
	.end_amdhsa_kernel
	.section	.text._ZN7rocprim17ROCPRIM_400000_NS6detail17trampoline_kernelINS0_14default_configENS1_27scan_by_key_config_selectorIifEEZZNS1_16scan_by_key_implILNS1_25lookback_scan_determinismE0ELb1ES3_N6thrust23THRUST_200600_302600_NS6detail15normal_iteratorINS9_10device_ptrIiEEEENSB_INSC_IjEEEENSB_INSC_IfEEEEfNS9_4plusIvEENS9_8equal_toIvEEfEE10hipError_tPvRmT2_T3_T4_T5_mT6_T7_P12ihipStream_tbENKUlT_T0_E_clISt17integral_constantIbLb0EES13_EEDaSY_SZ_EUlSY_E_NS1_11comp_targetILNS1_3genE8ELNS1_11target_archE1030ELNS1_3gpuE2ELNS1_3repE0EEENS1_30default_config_static_selectorELNS0_4arch9wavefront6targetE1EEEvT1_,"axG",@progbits,_ZN7rocprim17ROCPRIM_400000_NS6detail17trampoline_kernelINS0_14default_configENS1_27scan_by_key_config_selectorIifEEZZNS1_16scan_by_key_implILNS1_25lookback_scan_determinismE0ELb1ES3_N6thrust23THRUST_200600_302600_NS6detail15normal_iteratorINS9_10device_ptrIiEEEENSB_INSC_IjEEEENSB_INSC_IfEEEEfNS9_4plusIvEENS9_8equal_toIvEEfEE10hipError_tPvRmT2_T3_T4_T5_mT6_T7_P12ihipStream_tbENKUlT_T0_E_clISt17integral_constantIbLb0EES13_EEDaSY_SZ_EUlSY_E_NS1_11comp_targetILNS1_3genE8ELNS1_11target_archE1030ELNS1_3gpuE2ELNS1_3repE0EEENS1_30default_config_static_selectorELNS0_4arch9wavefront6targetE1EEEvT1_,comdat
.Lfunc_end1688:
	.size	_ZN7rocprim17ROCPRIM_400000_NS6detail17trampoline_kernelINS0_14default_configENS1_27scan_by_key_config_selectorIifEEZZNS1_16scan_by_key_implILNS1_25lookback_scan_determinismE0ELb1ES3_N6thrust23THRUST_200600_302600_NS6detail15normal_iteratorINS9_10device_ptrIiEEEENSB_INSC_IjEEEENSB_INSC_IfEEEEfNS9_4plusIvEENS9_8equal_toIvEEfEE10hipError_tPvRmT2_T3_T4_T5_mT6_T7_P12ihipStream_tbENKUlT_T0_E_clISt17integral_constantIbLb0EES13_EEDaSY_SZ_EUlSY_E_NS1_11comp_targetILNS1_3genE8ELNS1_11target_archE1030ELNS1_3gpuE2ELNS1_3repE0EEENS1_30default_config_static_selectorELNS0_4arch9wavefront6targetE1EEEvT1_, .Lfunc_end1688-_ZN7rocprim17ROCPRIM_400000_NS6detail17trampoline_kernelINS0_14default_configENS1_27scan_by_key_config_selectorIifEEZZNS1_16scan_by_key_implILNS1_25lookback_scan_determinismE0ELb1ES3_N6thrust23THRUST_200600_302600_NS6detail15normal_iteratorINS9_10device_ptrIiEEEENSB_INSC_IjEEEENSB_INSC_IfEEEEfNS9_4plusIvEENS9_8equal_toIvEEfEE10hipError_tPvRmT2_T3_T4_T5_mT6_T7_P12ihipStream_tbENKUlT_T0_E_clISt17integral_constantIbLb0EES13_EEDaSY_SZ_EUlSY_E_NS1_11comp_targetILNS1_3genE8ELNS1_11target_archE1030ELNS1_3gpuE2ELNS1_3repE0EEENS1_30default_config_static_selectorELNS0_4arch9wavefront6targetE1EEEvT1_
                                        ; -- End function
	.section	.AMDGPU.csdata,"",@progbits
; Kernel info:
; codeLenInByte = 0
; NumSgprs: 6
; NumVgprs: 0
; NumAgprs: 0
; TotalNumVgprs: 0
; ScratchSize: 0
; MemoryBound: 0
; FloatMode: 240
; IeeeMode: 1
; LDSByteSize: 0 bytes/workgroup (compile time only)
; SGPRBlocks: 0
; VGPRBlocks: 0
; NumSGPRsForWavesPerEU: 6
; NumVGPRsForWavesPerEU: 1
; AccumOffset: 4
; Occupancy: 8
; WaveLimiterHint : 0
; COMPUTE_PGM_RSRC2:SCRATCH_EN: 0
; COMPUTE_PGM_RSRC2:USER_SGPR: 2
; COMPUTE_PGM_RSRC2:TRAP_HANDLER: 0
; COMPUTE_PGM_RSRC2:TGID_X_EN: 1
; COMPUTE_PGM_RSRC2:TGID_Y_EN: 0
; COMPUTE_PGM_RSRC2:TGID_Z_EN: 0
; COMPUTE_PGM_RSRC2:TIDIG_COMP_CNT: 0
; COMPUTE_PGM_RSRC3_GFX90A:ACCUM_OFFSET: 0
; COMPUTE_PGM_RSRC3_GFX90A:TG_SPLIT: 0
	.section	.text._ZN7rocprim17ROCPRIM_400000_NS6detail17trampoline_kernelINS0_14default_configENS1_27scan_by_key_config_selectorIifEEZZNS1_16scan_by_key_implILNS1_25lookback_scan_determinismE0ELb1ES3_N6thrust23THRUST_200600_302600_NS6detail15normal_iteratorINS9_10device_ptrIiEEEENSB_INSC_IjEEEENSB_INSC_IfEEEEfNS9_4plusIvEENS9_8equal_toIvEEfEE10hipError_tPvRmT2_T3_T4_T5_mT6_T7_P12ihipStream_tbENKUlT_T0_E_clISt17integral_constantIbLb1EES13_EEDaSY_SZ_EUlSY_E_NS1_11comp_targetILNS1_3genE0ELNS1_11target_archE4294967295ELNS1_3gpuE0ELNS1_3repE0EEENS1_30default_config_static_selectorELNS0_4arch9wavefront6targetE1EEEvT1_,"axG",@progbits,_ZN7rocprim17ROCPRIM_400000_NS6detail17trampoline_kernelINS0_14default_configENS1_27scan_by_key_config_selectorIifEEZZNS1_16scan_by_key_implILNS1_25lookback_scan_determinismE0ELb1ES3_N6thrust23THRUST_200600_302600_NS6detail15normal_iteratorINS9_10device_ptrIiEEEENSB_INSC_IjEEEENSB_INSC_IfEEEEfNS9_4plusIvEENS9_8equal_toIvEEfEE10hipError_tPvRmT2_T3_T4_T5_mT6_T7_P12ihipStream_tbENKUlT_T0_E_clISt17integral_constantIbLb1EES13_EEDaSY_SZ_EUlSY_E_NS1_11comp_targetILNS1_3genE0ELNS1_11target_archE4294967295ELNS1_3gpuE0ELNS1_3repE0EEENS1_30default_config_static_selectorELNS0_4arch9wavefront6targetE1EEEvT1_,comdat
	.protected	_ZN7rocprim17ROCPRIM_400000_NS6detail17trampoline_kernelINS0_14default_configENS1_27scan_by_key_config_selectorIifEEZZNS1_16scan_by_key_implILNS1_25lookback_scan_determinismE0ELb1ES3_N6thrust23THRUST_200600_302600_NS6detail15normal_iteratorINS9_10device_ptrIiEEEENSB_INSC_IjEEEENSB_INSC_IfEEEEfNS9_4plusIvEENS9_8equal_toIvEEfEE10hipError_tPvRmT2_T3_T4_T5_mT6_T7_P12ihipStream_tbENKUlT_T0_E_clISt17integral_constantIbLb1EES13_EEDaSY_SZ_EUlSY_E_NS1_11comp_targetILNS1_3genE0ELNS1_11target_archE4294967295ELNS1_3gpuE0ELNS1_3repE0EEENS1_30default_config_static_selectorELNS0_4arch9wavefront6targetE1EEEvT1_ ; -- Begin function _ZN7rocprim17ROCPRIM_400000_NS6detail17trampoline_kernelINS0_14default_configENS1_27scan_by_key_config_selectorIifEEZZNS1_16scan_by_key_implILNS1_25lookback_scan_determinismE0ELb1ES3_N6thrust23THRUST_200600_302600_NS6detail15normal_iteratorINS9_10device_ptrIiEEEENSB_INSC_IjEEEENSB_INSC_IfEEEEfNS9_4plusIvEENS9_8equal_toIvEEfEE10hipError_tPvRmT2_T3_T4_T5_mT6_T7_P12ihipStream_tbENKUlT_T0_E_clISt17integral_constantIbLb1EES13_EEDaSY_SZ_EUlSY_E_NS1_11comp_targetILNS1_3genE0ELNS1_11target_archE4294967295ELNS1_3gpuE0ELNS1_3repE0EEENS1_30default_config_static_selectorELNS0_4arch9wavefront6targetE1EEEvT1_
	.globl	_ZN7rocprim17ROCPRIM_400000_NS6detail17trampoline_kernelINS0_14default_configENS1_27scan_by_key_config_selectorIifEEZZNS1_16scan_by_key_implILNS1_25lookback_scan_determinismE0ELb1ES3_N6thrust23THRUST_200600_302600_NS6detail15normal_iteratorINS9_10device_ptrIiEEEENSB_INSC_IjEEEENSB_INSC_IfEEEEfNS9_4plusIvEENS9_8equal_toIvEEfEE10hipError_tPvRmT2_T3_T4_T5_mT6_T7_P12ihipStream_tbENKUlT_T0_E_clISt17integral_constantIbLb1EES13_EEDaSY_SZ_EUlSY_E_NS1_11comp_targetILNS1_3genE0ELNS1_11target_archE4294967295ELNS1_3gpuE0ELNS1_3repE0EEENS1_30default_config_static_selectorELNS0_4arch9wavefront6targetE1EEEvT1_
	.p2align	8
	.type	_ZN7rocprim17ROCPRIM_400000_NS6detail17trampoline_kernelINS0_14default_configENS1_27scan_by_key_config_selectorIifEEZZNS1_16scan_by_key_implILNS1_25lookback_scan_determinismE0ELb1ES3_N6thrust23THRUST_200600_302600_NS6detail15normal_iteratorINS9_10device_ptrIiEEEENSB_INSC_IjEEEENSB_INSC_IfEEEEfNS9_4plusIvEENS9_8equal_toIvEEfEE10hipError_tPvRmT2_T3_T4_T5_mT6_T7_P12ihipStream_tbENKUlT_T0_E_clISt17integral_constantIbLb1EES13_EEDaSY_SZ_EUlSY_E_NS1_11comp_targetILNS1_3genE0ELNS1_11target_archE4294967295ELNS1_3gpuE0ELNS1_3repE0EEENS1_30default_config_static_selectorELNS0_4arch9wavefront6targetE1EEEvT1_,@function
_ZN7rocprim17ROCPRIM_400000_NS6detail17trampoline_kernelINS0_14default_configENS1_27scan_by_key_config_selectorIifEEZZNS1_16scan_by_key_implILNS1_25lookback_scan_determinismE0ELb1ES3_N6thrust23THRUST_200600_302600_NS6detail15normal_iteratorINS9_10device_ptrIiEEEENSB_INSC_IjEEEENSB_INSC_IfEEEEfNS9_4plusIvEENS9_8equal_toIvEEfEE10hipError_tPvRmT2_T3_T4_T5_mT6_T7_P12ihipStream_tbENKUlT_T0_E_clISt17integral_constantIbLb1EES13_EEDaSY_SZ_EUlSY_E_NS1_11comp_targetILNS1_3genE0ELNS1_11target_archE4294967295ELNS1_3gpuE0ELNS1_3repE0EEENS1_30default_config_static_selectorELNS0_4arch9wavefront6targetE1EEEvT1_: ; @_ZN7rocprim17ROCPRIM_400000_NS6detail17trampoline_kernelINS0_14default_configENS1_27scan_by_key_config_selectorIifEEZZNS1_16scan_by_key_implILNS1_25lookback_scan_determinismE0ELb1ES3_N6thrust23THRUST_200600_302600_NS6detail15normal_iteratorINS9_10device_ptrIiEEEENSB_INSC_IjEEEENSB_INSC_IfEEEEfNS9_4plusIvEENS9_8equal_toIvEEfEE10hipError_tPvRmT2_T3_T4_T5_mT6_T7_P12ihipStream_tbENKUlT_T0_E_clISt17integral_constantIbLb1EES13_EEDaSY_SZ_EUlSY_E_NS1_11comp_targetILNS1_3genE0ELNS1_11target_archE4294967295ELNS1_3gpuE0ELNS1_3repE0EEENS1_30default_config_static_selectorELNS0_4arch9wavefront6targetE1EEEvT1_
; %bb.0:
	.section	.rodata,"a",@progbits
	.p2align	6, 0x0
	.amdhsa_kernel _ZN7rocprim17ROCPRIM_400000_NS6detail17trampoline_kernelINS0_14default_configENS1_27scan_by_key_config_selectorIifEEZZNS1_16scan_by_key_implILNS1_25lookback_scan_determinismE0ELb1ES3_N6thrust23THRUST_200600_302600_NS6detail15normal_iteratorINS9_10device_ptrIiEEEENSB_INSC_IjEEEENSB_INSC_IfEEEEfNS9_4plusIvEENS9_8equal_toIvEEfEE10hipError_tPvRmT2_T3_T4_T5_mT6_T7_P12ihipStream_tbENKUlT_T0_E_clISt17integral_constantIbLb1EES13_EEDaSY_SZ_EUlSY_E_NS1_11comp_targetILNS1_3genE0ELNS1_11target_archE4294967295ELNS1_3gpuE0ELNS1_3repE0EEENS1_30default_config_static_selectorELNS0_4arch9wavefront6targetE1EEEvT1_
		.amdhsa_group_segment_fixed_size 0
		.amdhsa_private_segment_fixed_size 0
		.amdhsa_kernarg_size 112
		.amdhsa_user_sgpr_count 2
		.amdhsa_user_sgpr_dispatch_ptr 0
		.amdhsa_user_sgpr_queue_ptr 0
		.amdhsa_user_sgpr_kernarg_segment_ptr 1
		.amdhsa_user_sgpr_dispatch_id 0
		.amdhsa_user_sgpr_kernarg_preload_length 0
		.amdhsa_user_sgpr_kernarg_preload_offset 0
		.amdhsa_user_sgpr_private_segment_size 0
		.amdhsa_uses_dynamic_stack 0
		.amdhsa_enable_private_segment 0
		.amdhsa_system_sgpr_workgroup_id_x 1
		.amdhsa_system_sgpr_workgroup_id_y 0
		.amdhsa_system_sgpr_workgroup_id_z 0
		.amdhsa_system_sgpr_workgroup_info 0
		.amdhsa_system_vgpr_workitem_id 0
		.amdhsa_next_free_vgpr 1
		.amdhsa_next_free_sgpr 0
		.amdhsa_accum_offset 4
		.amdhsa_reserve_vcc 0
		.amdhsa_float_round_mode_32 0
		.amdhsa_float_round_mode_16_64 0
		.amdhsa_float_denorm_mode_32 3
		.amdhsa_float_denorm_mode_16_64 3
		.amdhsa_dx10_clamp 1
		.amdhsa_ieee_mode 1
		.amdhsa_fp16_overflow 0
		.amdhsa_tg_split 0
		.amdhsa_exception_fp_ieee_invalid_op 0
		.amdhsa_exception_fp_denorm_src 0
		.amdhsa_exception_fp_ieee_div_zero 0
		.amdhsa_exception_fp_ieee_overflow 0
		.amdhsa_exception_fp_ieee_underflow 0
		.amdhsa_exception_fp_ieee_inexact 0
		.amdhsa_exception_int_div_zero 0
	.end_amdhsa_kernel
	.section	.text._ZN7rocprim17ROCPRIM_400000_NS6detail17trampoline_kernelINS0_14default_configENS1_27scan_by_key_config_selectorIifEEZZNS1_16scan_by_key_implILNS1_25lookback_scan_determinismE0ELb1ES3_N6thrust23THRUST_200600_302600_NS6detail15normal_iteratorINS9_10device_ptrIiEEEENSB_INSC_IjEEEENSB_INSC_IfEEEEfNS9_4plusIvEENS9_8equal_toIvEEfEE10hipError_tPvRmT2_T3_T4_T5_mT6_T7_P12ihipStream_tbENKUlT_T0_E_clISt17integral_constantIbLb1EES13_EEDaSY_SZ_EUlSY_E_NS1_11comp_targetILNS1_3genE0ELNS1_11target_archE4294967295ELNS1_3gpuE0ELNS1_3repE0EEENS1_30default_config_static_selectorELNS0_4arch9wavefront6targetE1EEEvT1_,"axG",@progbits,_ZN7rocprim17ROCPRIM_400000_NS6detail17trampoline_kernelINS0_14default_configENS1_27scan_by_key_config_selectorIifEEZZNS1_16scan_by_key_implILNS1_25lookback_scan_determinismE0ELb1ES3_N6thrust23THRUST_200600_302600_NS6detail15normal_iteratorINS9_10device_ptrIiEEEENSB_INSC_IjEEEENSB_INSC_IfEEEEfNS9_4plusIvEENS9_8equal_toIvEEfEE10hipError_tPvRmT2_T3_T4_T5_mT6_T7_P12ihipStream_tbENKUlT_T0_E_clISt17integral_constantIbLb1EES13_EEDaSY_SZ_EUlSY_E_NS1_11comp_targetILNS1_3genE0ELNS1_11target_archE4294967295ELNS1_3gpuE0ELNS1_3repE0EEENS1_30default_config_static_selectorELNS0_4arch9wavefront6targetE1EEEvT1_,comdat
.Lfunc_end1689:
	.size	_ZN7rocprim17ROCPRIM_400000_NS6detail17trampoline_kernelINS0_14default_configENS1_27scan_by_key_config_selectorIifEEZZNS1_16scan_by_key_implILNS1_25lookback_scan_determinismE0ELb1ES3_N6thrust23THRUST_200600_302600_NS6detail15normal_iteratorINS9_10device_ptrIiEEEENSB_INSC_IjEEEENSB_INSC_IfEEEEfNS9_4plusIvEENS9_8equal_toIvEEfEE10hipError_tPvRmT2_T3_T4_T5_mT6_T7_P12ihipStream_tbENKUlT_T0_E_clISt17integral_constantIbLb1EES13_EEDaSY_SZ_EUlSY_E_NS1_11comp_targetILNS1_3genE0ELNS1_11target_archE4294967295ELNS1_3gpuE0ELNS1_3repE0EEENS1_30default_config_static_selectorELNS0_4arch9wavefront6targetE1EEEvT1_, .Lfunc_end1689-_ZN7rocprim17ROCPRIM_400000_NS6detail17trampoline_kernelINS0_14default_configENS1_27scan_by_key_config_selectorIifEEZZNS1_16scan_by_key_implILNS1_25lookback_scan_determinismE0ELb1ES3_N6thrust23THRUST_200600_302600_NS6detail15normal_iteratorINS9_10device_ptrIiEEEENSB_INSC_IjEEEENSB_INSC_IfEEEEfNS9_4plusIvEENS9_8equal_toIvEEfEE10hipError_tPvRmT2_T3_T4_T5_mT6_T7_P12ihipStream_tbENKUlT_T0_E_clISt17integral_constantIbLb1EES13_EEDaSY_SZ_EUlSY_E_NS1_11comp_targetILNS1_3genE0ELNS1_11target_archE4294967295ELNS1_3gpuE0ELNS1_3repE0EEENS1_30default_config_static_selectorELNS0_4arch9wavefront6targetE1EEEvT1_
                                        ; -- End function
	.section	.AMDGPU.csdata,"",@progbits
; Kernel info:
; codeLenInByte = 0
; NumSgprs: 6
; NumVgprs: 0
; NumAgprs: 0
; TotalNumVgprs: 0
; ScratchSize: 0
; MemoryBound: 0
; FloatMode: 240
; IeeeMode: 1
; LDSByteSize: 0 bytes/workgroup (compile time only)
; SGPRBlocks: 0
; VGPRBlocks: 0
; NumSGPRsForWavesPerEU: 6
; NumVGPRsForWavesPerEU: 1
; AccumOffset: 4
; Occupancy: 8
; WaveLimiterHint : 0
; COMPUTE_PGM_RSRC2:SCRATCH_EN: 0
; COMPUTE_PGM_RSRC2:USER_SGPR: 2
; COMPUTE_PGM_RSRC2:TRAP_HANDLER: 0
; COMPUTE_PGM_RSRC2:TGID_X_EN: 1
; COMPUTE_PGM_RSRC2:TGID_Y_EN: 0
; COMPUTE_PGM_RSRC2:TGID_Z_EN: 0
; COMPUTE_PGM_RSRC2:TIDIG_COMP_CNT: 0
; COMPUTE_PGM_RSRC3_GFX90A:ACCUM_OFFSET: 0
; COMPUTE_PGM_RSRC3_GFX90A:TG_SPLIT: 0
	.section	.text._ZN7rocprim17ROCPRIM_400000_NS6detail17trampoline_kernelINS0_14default_configENS1_27scan_by_key_config_selectorIifEEZZNS1_16scan_by_key_implILNS1_25lookback_scan_determinismE0ELb1ES3_N6thrust23THRUST_200600_302600_NS6detail15normal_iteratorINS9_10device_ptrIiEEEENSB_INSC_IjEEEENSB_INSC_IfEEEEfNS9_4plusIvEENS9_8equal_toIvEEfEE10hipError_tPvRmT2_T3_T4_T5_mT6_T7_P12ihipStream_tbENKUlT_T0_E_clISt17integral_constantIbLb1EES13_EEDaSY_SZ_EUlSY_E_NS1_11comp_targetILNS1_3genE10ELNS1_11target_archE1201ELNS1_3gpuE5ELNS1_3repE0EEENS1_30default_config_static_selectorELNS0_4arch9wavefront6targetE1EEEvT1_,"axG",@progbits,_ZN7rocprim17ROCPRIM_400000_NS6detail17trampoline_kernelINS0_14default_configENS1_27scan_by_key_config_selectorIifEEZZNS1_16scan_by_key_implILNS1_25lookback_scan_determinismE0ELb1ES3_N6thrust23THRUST_200600_302600_NS6detail15normal_iteratorINS9_10device_ptrIiEEEENSB_INSC_IjEEEENSB_INSC_IfEEEEfNS9_4plusIvEENS9_8equal_toIvEEfEE10hipError_tPvRmT2_T3_T4_T5_mT6_T7_P12ihipStream_tbENKUlT_T0_E_clISt17integral_constantIbLb1EES13_EEDaSY_SZ_EUlSY_E_NS1_11comp_targetILNS1_3genE10ELNS1_11target_archE1201ELNS1_3gpuE5ELNS1_3repE0EEENS1_30default_config_static_selectorELNS0_4arch9wavefront6targetE1EEEvT1_,comdat
	.protected	_ZN7rocprim17ROCPRIM_400000_NS6detail17trampoline_kernelINS0_14default_configENS1_27scan_by_key_config_selectorIifEEZZNS1_16scan_by_key_implILNS1_25lookback_scan_determinismE0ELb1ES3_N6thrust23THRUST_200600_302600_NS6detail15normal_iteratorINS9_10device_ptrIiEEEENSB_INSC_IjEEEENSB_INSC_IfEEEEfNS9_4plusIvEENS9_8equal_toIvEEfEE10hipError_tPvRmT2_T3_T4_T5_mT6_T7_P12ihipStream_tbENKUlT_T0_E_clISt17integral_constantIbLb1EES13_EEDaSY_SZ_EUlSY_E_NS1_11comp_targetILNS1_3genE10ELNS1_11target_archE1201ELNS1_3gpuE5ELNS1_3repE0EEENS1_30default_config_static_selectorELNS0_4arch9wavefront6targetE1EEEvT1_ ; -- Begin function _ZN7rocprim17ROCPRIM_400000_NS6detail17trampoline_kernelINS0_14default_configENS1_27scan_by_key_config_selectorIifEEZZNS1_16scan_by_key_implILNS1_25lookback_scan_determinismE0ELb1ES3_N6thrust23THRUST_200600_302600_NS6detail15normal_iteratorINS9_10device_ptrIiEEEENSB_INSC_IjEEEENSB_INSC_IfEEEEfNS9_4plusIvEENS9_8equal_toIvEEfEE10hipError_tPvRmT2_T3_T4_T5_mT6_T7_P12ihipStream_tbENKUlT_T0_E_clISt17integral_constantIbLb1EES13_EEDaSY_SZ_EUlSY_E_NS1_11comp_targetILNS1_3genE10ELNS1_11target_archE1201ELNS1_3gpuE5ELNS1_3repE0EEENS1_30default_config_static_selectorELNS0_4arch9wavefront6targetE1EEEvT1_
	.globl	_ZN7rocprim17ROCPRIM_400000_NS6detail17trampoline_kernelINS0_14default_configENS1_27scan_by_key_config_selectorIifEEZZNS1_16scan_by_key_implILNS1_25lookback_scan_determinismE0ELb1ES3_N6thrust23THRUST_200600_302600_NS6detail15normal_iteratorINS9_10device_ptrIiEEEENSB_INSC_IjEEEENSB_INSC_IfEEEEfNS9_4plusIvEENS9_8equal_toIvEEfEE10hipError_tPvRmT2_T3_T4_T5_mT6_T7_P12ihipStream_tbENKUlT_T0_E_clISt17integral_constantIbLb1EES13_EEDaSY_SZ_EUlSY_E_NS1_11comp_targetILNS1_3genE10ELNS1_11target_archE1201ELNS1_3gpuE5ELNS1_3repE0EEENS1_30default_config_static_selectorELNS0_4arch9wavefront6targetE1EEEvT1_
	.p2align	8
	.type	_ZN7rocprim17ROCPRIM_400000_NS6detail17trampoline_kernelINS0_14default_configENS1_27scan_by_key_config_selectorIifEEZZNS1_16scan_by_key_implILNS1_25lookback_scan_determinismE0ELb1ES3_N6thrust23THRUST_200600_302600_NS6detail15normal_iteratorINS9_10device_ptrIiEEEENSB_INSC_IjEEEENSB_INSC_IfEEEEfNS9_4plusIvEENS9_8equal_toIvEEfEE10hipError_tPvRmT2_T3_T4_T5_mT6_T7_P12ihipStream_tbENKUlT_T0_E_clISt17integral_constantIbLb1EES13_EEDaSY_SZ_EUlSY_E_NS1_11comp_targetILNS1_3genE10ELNS1_11target_archE1201ELNS1_3gpuE5ELNS1_3repE0EEENS1_30default_config_static_selectorELNS0_4arch9wavefront6targetE1EEEvT1_,@function
_ZN7rocprim17ROCPRIM_400000_NS6detail17trampoline_kernelINS0_14default_configENS1_27scan_by_key_config_selectorIifEEZZNS1_16scan_by_key_implILNS1_25lookback_scan_determinismE0ELb1ES3_N6thrust23THRUST_200600_302600_NS6detail15normal_iteratorINS9_10device_ptrIiEEEENSB_INSC_IjEEEENSB_INSC_IfEEEEfNS9_4plusIvEENS9_8equal_toIvEEfEE10hipError_tPvRmT2_T3_T4_T5_mT6_T7_P12ihipStream_tbENKUlT_T0_E_clISt17integral_constantIbLb1EES13_EEDaSY_SZ_EUlSY_E_NS1_11comp_targetILNS1_3genE10ELNS1_11target_archE1201ELNS1_3gpuE5ELNS1_3repE0EEENS1_30default_config_static_selectorELNS0_4arch9wavefront6targetE1EEEvT1_: ; @_ZN7rocprim17ROCPRIM_400000_NS6detail17trampoline_kernelINS0_14default_configENS1_27scan_by_key_config_selectorIifEEZZNS1_16scan_by_key_implILNS1_25lookback_scan_determinismE0ELb1ES3_N6thrust23THRUST_200600_302600_NS6detail15normal_iteratorINS9_10device_ptrIiEEEENSB_INSC_IjEEEENSB_INSC_IfEEEEfNS9_4plusIvEENS9_8equal_toIvEEfEE10hipError_tPvRmT2_T3_T4_T5_mT6_T7_P12ihipStream_tbENKUlT_T0_E_clISt17integral_constantIbLb1EES13_EEDaSY_SZ_EUlSY_E_NS1_11comp_targetILNS1_3genE10ELNS1_11target_archE1201ELNS1_3gpuE5ELNS1_3repE0EEENS1_30default_config_static_selectorELNS0_4arch9wavefront6targetE1EEEvT1_
; %bb.0:
	.section	.rodata,"a",@progbits
	.p2align	6, 0x0
	.amdhsa_kernel _ZN7rocprim17ROCPRIM_400000_NS6detail17trampoline_kernelINS0_14default_configENS1_27scan_by_key_config_selectorIifEEZZNS1_16scan_by_key_implILNS1_25lookback_scan_determinismE0ELb1ES3_N6thrust23THRUST_200600_302600_NS6detail15normal_iteratorINS9_10device_ptrIiEEEENSB_INSC_IjEEEENSB_INSC_IfEEEEfNS9_4plusIvEENS9_8equal_toIvEEfEE10hipError_tPvRmT2_T3_T4_T5_mT6_T7_P12ihipStream_tbENKUlT_T0_E_clISt17integral_constantIbLb1EES13_EEDaSY_SZ_EUlSY_E_NS1_11comp_targetILNS1_3genE10ELNS1_11target_archE1201ELNS1_3gpuE5ELNS1_3repE0EEENS1_30default_config_static_selectorELNS0_4arch9wavefront6targetE1EEEvT1_
		.amdhsa_group_segment_fixed_size 0
		.amdhsa_private_segment_fixed_size 0
		.amdhsa_kernarg_size 112
		.amdhsa_user_sgpr_count 2
		.amdhsa_user_sgpr_dispatch_ptr 0
		.amdhsa_user_sgpr_queue_ptr 0
		.amdhsa_user_sgpr_kernarg_segment_ptr 1
		.amdhsa_user_sgpr_dispatch_id 0
		.amdhsa_user_sgpr_kernarg_preload_length 0
		.amdhsa_user_sgpr_kernarg_preload_offset 0
		.amdhsa_user_sgpr_private_segment_size 0
		.amdhsa_uses_dynamic_stack 0
		.amdhsa_enable_private_segment 0
		.amdhsa_system_sgpr_workgroup_id_x 1
		.amdhsa_system_sgpr_workgroup_id_y 0
		.amdhsa_system_sgpr_workgroup_id_z 0
		.amdhsa_system_sgpr_workgroup_info 0
		.amdhsa_system_vgpr_workitem_id 0
		.amdhsa_next_free_vgpr 1
		.amdhsa_next_free_sgpr 0
		.amdhsa_accum_offset 4
		.amdhsa_reserve_vcc 0
		.amdhsa_float_round_mode_32 0
		.amdhsa_float_round_mode_16_64 0
		.amdhsa_float_denorm_mode_32 3
		.amdhsa_float_denorm_mode_16_64 3
		.amdhsa_dx10_clamp 1
		.amdhsa_ieee_mode 1
		.amdhsa_fp16_overflow 0
		.amdhsa_tg_split 0
		.amdhsa_exception_fp_ieee_invalid_op 0
		.amdhsa_exception_fp_denorm_src 0
		.amdhsa_exception_fp_ieee_div_zero 0
		.amdhsa_exception_fp_ieee_overflow 0
		.amdhsa_exception_fp_ieee_underflow 0
		.amdhsa_exception_fp_ieee_inexact 0
		.amdhsa_exception_int_div_zero 0
	.end_amdhsa_kernel
	.section	.text._ZN7rocprim17ROCPRIM_400000_NS6detail17trampoline_kernelINS0_14default_configENS1_27scan_by_key_config_selectorIifEEZZNS1_16scan_by_key_implILNS1_25lookback_scan_determinismE0ELb1ES3_N6thrust23THRUST_200600_302600_NS6detail15normal_iteratorINS9_10device_ptrIiEEEENSB_INSC_IjEEEENSB_INSC_IfEEEEfNS9_4plusIvEENS9_8equal_toIvEEfEE10hipError_tPvRmT2_T3_T4_T5_mT6_T7_P12ihipStream_tbENKUlT_T0_E_clISt17integral_constantIbLb1EES13_EEDaSY_SZ_EUlSY_E_NS1_11comp_targetILNS1_3genE10ELNS1_11target_archE1201ELNS1_3gpuE5ELNS1_3repE0EEENS1_30default_config_static_selectorELNS0_4arch9wavefront6targetE1EEEvT1_,"axG",@progbits,_ZN7rocprim17ROCPRIM_400000_NS6detail17trampoline_kernelINS0_14default_configENS1_27scan_by_key_config_selectorIifEEZZNS1_16scan_by_key_implILNS1_25lookback_scan_determinismE0ELb1ES3_N6thrust23THRUST_200600_302600_NS6detail15normal_iteratorINS9_10device_ptrIiEEEENSB_INSC_IjEEEENSB_INSC_IfEEEEfNS9_4plusIvEENS9_8equal_toIvEEfEE10hipError_tPvRmT2_T3_T4_T5_mT6_T7_P12ihipStream_tbENKUlT_T0_E_clISt17integral_constantIbLb1EES13_EEDaSY_SZ_EUlSY_E_NS1_11comp_targetILNS1_3genE10ELNS1_11target_archE1201ELNS1_3gpuE5ELNS1_3repE0EEENS1_30default_config_static_selectorELNS0_4arch9wavefront6targetE1EEEvT1_,comdat
.Lfunc_end1690:
	.size	_ZN7rocprim17ROCPRIM_400000_NS6detail17trampoline_kernelINS0_14default_configENS1_27scan_by_key_config_selectorIifEEZZNS1_16scan_by_key_implILNS1_25lookback_scan_determinismE0ELb1ES3_N6thrust23THRUST_200600_302600_NS6detail15normal_iteratorINS9_10device_ptrIiEEEENSB_INSC_IjEEEENSB_INSC_IfEEEEfNS9_4plusIvEENS9_8equal_toIvEEfEE10hipError_tPvRmT2_T3_T4_T5_mT6_T7_P12ihipStream_tbENKUlT_T0_E_clISt17integral_constantIbLb1EES13_EEDaSY_SZ_EUlSY_E_NS1_11comp_targetILNS1_3genE10ELNS1_11target_archE1201ELNS1_3gpuE5ELNS1_3repE0EEENS1_30default_config_static_selectorELNS0_4arch9wavefront6targetE1EEEvT1_, .Lfunc_end1690-_ZN7rocprim17ROCPRIM_400000_NS6detail17trampoline_kernelINS0_14default_configENS1_27scan_by_key_config_selectorIifEEZZNS1_16scan_by_key_implILNS1_25lookback_scan_determinismE0ELb1ES3_N6thrust23THRUST_200600_302600_NS6detail15normal_iteratorINS9_10device_ptrIiEEEENSB_INSC_IjEEEENSB_INSC_IfEEEEfNS9_4plusIvEENS9_8equal_toIvEEfEE10hipError_tPvRmT2_T3_T4_T5_mT6_T7_P12ihipStream_tbENKUlT_T0_E_clISt17integral_constantIbLb1EES13_EEDaSY_SZ_EUlSY_E_NS1_11comp_targetILNS1_3genE10ELNS1_11target_archE1201ELNS1_3gpuE5ELNS1_3repE0EEENS1_30default_config_static_selectorELNS0_4arch9wavefront6targetE1EEEvT1_
                                        ; -- End function
	.section	.AMDGPU.csdata,"",@progbits
; Kernel info:
; codeLenInByte = 0
; NumSgprs: 6
; NumVgprs: 0
; NumAgprs: 0
; TotalNumVgprs: 0
; ScratchSize: 0
; MemoryBound: 0
; FloatMode: 240
; IeeeMode: 1
; LDSByteSize: 0 bytes/workgroup (compile time only)
; SGPRBlocks: 0
; VGPRBlocks: 0
; NumSGPRsForWavesPerEU: 6
; NumVGPRsForWavesPerEU: 1
; AccumOffset: 4
; Occupancy: 8
; WaveLimiterHint : 0
; COMPUTE_PGM_RSRC2:SCRATCH_EN: 0
; COMPUTE_PGM_RSRC2:USER_SGPR: 2
; COMPUTE_PGM_RSRC2:TRAP_HANDLER: 0
; COMPUTE_PGM_RSRC2:TGID_X_EN: 1
; COMPUTE_PGM_RSRC2:TGID_Y_EN: 0
; COMPUTE_PGM_RSRC2:TGID_Z_EN: 0
; COMPUTE_PGM_RSRC2:TIDIG_COMP_CNT: 0
; COMPUTE_PGM_RSRC3_GFX90A:ACCUM_OFFSET: 0
; COMPUTE_PGM_RSRC3_GFX90A:TG_SPLIT: 0
	.section	.text._ZN7rocprim17ROCPRIM_400000_NS6detail17trampoline_kernelINS0_14default_configENS1_27scan_by_key_config_selectorIifEEZZNS1_16scan_by_key_implILNS1_25lookback_scan_determinismE0ELb1ES3_N6thrust23THRUST_200600_302600_NS6detail15normal_iteratorINS9_10device_ptrIiEEEENSB_INSC_IjEEEENSB_INSC_IfEEEEfNS9_4plusIvEENS9_8equal_toIvEEfEE10hipError_tPvRmT2_T3_T4_T5_mT6_T7_P12ihipStream_tbENKUlT_T0_E_clISt17integral_constantIbLb1EES13_EEDaSY_SZ_EUlSY_E_NS1_11comp_targetILNS1_3genE5ELNS1_11target_archE942ELNS1_3gpuE9ELNS1_3repE0EEENS1_30default_config_static_selectorELNS0_4arch9wavefront6targetE1EEEvT1_,"axG",@progbits,_ZN7rocprim17ROCPRIM_400000_NS6detail17trampoline_kernelINS0_14default_configENS1_27scan_by_key_config_selectorIifEEZZNS1_16scan_by_key_implILNS1_25lookback_scan_determinismE0ELb1ES3_N6thrust23THRUST_200600_302600_NS6detail15normal_iteratorINS9_10device_ptrIiEEEENSB_INSC_IjEEEENSB_INSC_IfEEEEfNS9_4plusIvEENS9_8equal_toIvEEfEE10hipError_tPvRmT2_T3_T4_T5_mT6_T7_P12ihipStream_tbENKUlT_T0_E_clISt17integral_constantIbLb1EES13_EEDaSY_SZ_EUlSY_E_NS1_11comp_targetILNS1_3genE5ELNS1_11target_archE942ELNS1_3gpuE9ELNS1_3repE0EEENS1_30default_config_static_selectorELNS0_4arch9wavefront6targetE1EEEvT1_,comdat
	.protected	_ZN7rocprim17ROCPRIM_400000_NS6detail17trampoline_kernelINS0_14default_configENS1_27scan_by_key_config_selectorIifEEZZNS1_16scan_by_key_implILNS1_25lookback_scan_determinismE0ELb1ES3_N6thrust23THRUST_200600_302600_NS6detail15normal_iteratorINS9_10device_ptrIiEEEENSB_INSC_IjEEEENSB_INSC_IfEEEEfNS9_4plusIvEENS9_8equal_toIvEEfEE10hipError_tPvRmT2_T3_T4_T5_mT6_T7_P12ihipStream_tbENKUlT_T0_E_clISt17integral_constantIbLb1EES13_EEDaSY_SZ_EUlSY_E_NS1_11comp_targetILNS1_3genE5ELNS1_11target_archE942ELNS1_3gpuE9ELNS1_3repE0EEENS1_30default_config_static_selectorELNS0_4arch9wavefront6targetE1EEEvT1_ ; -- Begin function _ZN7rocprim17ROCPRIM_400000_NS6detail17trampoline_kernelINS0_14default_configENS1_27scan_by_key_config_selectorIifEEZZNS1_16scan_by_key_implILNS1_25lookback_scan_determinismE0ELb1ES3_N6thrust23THRUST_200600_302600_NS6detail15normal_iteratorINS9_10device_ptrIiEEEENSB_INSC_IjEEEENSB_INSC_IfEEEEfNS9_4plusIvEENS9_8equal_toIvEEfEE10hipError_tPvRmT2_T3_T4_T5_mT6_T7_P12ihipStream_tbENKUlT_T0_E_clISt17integral_constantIbLb1EES13_EEDaSY_SZ_EUlSY_E_NS1_11comp_targetILNS1_3genE5ELNS1_11target_archE942ELNS1_3gpuE9ELNS1_3repE0EEENS1_30default_config_static_selectorELNS0_4arch9wavefront6targetE1EEEvT1_
	.globl	_ZN7rocprim17ROCPRIM_400000_NS6detail17trampoline_kernelINS0_14default_configENS1_27scan_by_key_config_selectorIifEEZZNS1_16scan_by_key_implILNS1_25lookback_scan_determinismE0ELb1ES3_N6thrust23THRUST_200600_302600_NS6detail15normal_iteratorINS9_10device_ptrIiEEEENSB_INSC_IjEEEENSB_INSC_IfEEEEfNS9_4plusIvEENS9_8equal_toIvEEfEE10hipError_tPvRmT2_T3_T4_T5_mT6_T7_P12ihipStream_tbENKUlT_T0_E_clISt17integral_constantIbLb1EES13_EEDaSY_SZ_EUlSY_E_NS1_11comp_targetILNS1_3genE5ELNS1_11target_archE942ELNS1_3gpuE9ELNS1_3repE0EEENS1_30default_config_static_selectorELNS0_4arch9wavefront6targetE1EEEvT1_
	.p2align	8
	.type	_ZN7rocprim17ROCPRIM_400000_NS6detail17trampoline_kernelINS0_14default_configENS1_27scan_by_key_config_selectorIifEEZZNS1_16scan_by_key_implILNS1_25lookback_scan_determinismE0ELb1ES3_N6thrust23THRUST_200600_302600_NS6detail15normal_iteratorINS9_10device_ptrIiEEEENSB_INSC_IjEEEENSB_INSC_IfEEEEfNS9_4plusIvEENS9_8equal_toIvEEfEE10hipError_tPvRmT2_T3_T4_T5_mT6_T7_P12ihipStream_tbENKUlT_T0_E_clISt17integral_constantIbLb1EES13_EEDaSY_SZ_EUlSY_E_NS1_11comp_targetILNS1_3genE5ELNS1_11target_archE942ELNS1_3gpuE9ELNS1_3repE0EEENS1_30default_config_static_selectorELNS0_4arch9wavefront6targetE1EEEvT1_,@function
_ZN7rocprim17ROCPRIM_400000_NS6detail17trampoline_kernelINS0_14default_configENS1_27scan_by_key_config_selectorIifEEZZNS1_16scan_by_key_implILNS1_25lookback_scan_determinismE0ELb1ES3_N6thrust23THRUST_200600_302600_NS6detail15normal_iteratorINS9_10device_ptrIiEEEENSB_INSC_IjEEEENSB_INSC_IfEEEEfNS9_4plusIvEENS9_8equal_toIvEEfEE10hipError_tPvRmT2_T3_T4_T5_mT6_T7_P12ihipStream_tbENKUlT_T0_E_clISt17integral_constantIbLb1EES13_EEDaSY_SZ_EUlSY_E_NS1_11comp_targetILNS1_3genE5ELNS1_11target_archE942ELNS1_3gpuE9ELNS1_3repE0EEENS1_30default_config_static_selectorELNS0_4arch9wavefront6targetE1EEEvT1_: ; @_ZN7rocprim17ROCPRIM_400000_NS6detail17trampoline_kernelINS0_14default_configENS1_27scan_by_key_config_selectorIifEEZZNS1_16scan_by_key_implILNS1_25lookback_scan_determinismE0ELb1ES3_N6thrust23THRUST_200600_302600_NS6detail15normal_iteratorINS9_10device_ptrIiEEEENSB_INSC_IjEEEENSB_INSC_IfEEEEfNS9_4plusIvEENS9_8equal_toIvEEfEE10hipError_tPvRmT2_T3_T4_T5_mT6_T7_P12ihipStream_tbENKUlT_T0_E_clISt17integral_constantIbLb1EES13_EEDaSY_SZ_EUlSY_E_NS1_11comp_targetILNS1_3genE5ELNS1_11target_archE942ELNS1_3gpuE9ELNS1_3repE0EEENS1_30default_config_static_selectorELNS0_4arch9wavefront6targetE1EEEvT1_
; %bb.0:
	s_load_dword s74, s[0:1], 0x20
	s_load_dwordx4 s[64:67], s[0:1], 0x28
	s_load_dwordx2 s[72:73], s[0:1], 0x38
	v_cmp_ne_u32_e64 s[4:5], 0, v0
	v_cmp_eq_u32_e64 s[52:53], 0, v0
	s_and_saveexec_b64 s[2:3], s[52:53]
	s_cbranch_execz .LBB1691_4
; %bb.1:
	s_mov_b64 s[8:9], exec
	v_mbcnt_lo_u32_b32 v1, s8, 0
	v_mbcnt_hi_u32_b32 v1, s9, v1
	v_cmp_eq_u32_e32 vcc, 0, v1
                                        ; implicit-def: $vgpr2
	s_and_saveexec_b64 s[6:7], vcc
	s_cbranch_execz .LBB1691_3
; %bb.2:
	s_load_dwordx2 s[10:11], s[0:1], 0x68
	s_bcnt1_i32_b64 s8, s[8:9]
	v_mov_b32_e32 v2, 0
	v_mov_b32_e32 v3, s8
	s_waitcnt lgkmcnt(0)
	global_atomic_add v2, v2, v3, s[10:11] sc0
.LBB1691_3:
	s_or_b64 exec, exec, s[6:7]
	s_waitcnt vmcnt(0)
	v_readfirstlane_b32 s6, v2
	v_mov_b32_e32 v2, 0
	s_nop 0
	v_add_u32_e32 v1, s6, v1
	ds_write_b32 v2, v1
.LBB1691_4:
	s_or_b64 exec, exec, s[2:3]
	s_load_dwordx8 s[56:63], s[0:1], 0x0
	s_load_dword s2, s[0:1], 0x40
	s_load_dwordx4 s[68:71], s[0:1], 0x48
	v_mov_b32_e32 v7, 0
	s_waitcnt lgkmcnt(0)
	s_lshl_b64 s[54:55], s[58:59], 2
	s_barrier
	ds_read_b32 v6, v7
	s_add_u32 s0, s56, s54
	s_addc_u32 s1, s57, s55
	s_add_u32 s6, s60, s54
	s_mul_i32 s3, s73, s2
	s_mul_hi_u32 s8, s72, s2
	s_addc_u32 s7, s61, s55
	s_add_i32 s3, s8, s3
	s_movk_i32 s8, 0x1700
	s_waitcnt lgkmcnt(0)
	v_mul_lo_u32 v2, v6, s8
	v_mov_b32_e32 v3, v7
	v_lshlrev_b64 v[10:11], 2, v[2:3]
	s_mul_i32 s2, s72, s2
	v_lshl_add_u64 v[2:3], s[6:7], 0, v[10:11]
	s_add_u32 s6, s68, -1
	v_readfirstlane_b32 s67, v6
	v_lshl_add_u64 v[6:7], s[2:3], 0, v[6:7]
	s_addc_u32 s7, s69, -1
	v_cmp_le_u64_e64 s[2:3], s[6:7], v[6:7]
	v_lshl_add_u64 v[4:5], s[0:1], 0, v[10:11]
	s_mov_b64 s[0:1], -1
	s_and_b64 vcc, exec, s[2:3]
	s_mul_i32 s33, s6, 0xffffe900
	s_barrier
	s_barrier
	s_cbranch_vccz .LBB1691_75
; %bb.5:
	flat_load_dword v6, v[4:5]
	s_add_i32 s60, s33, s66
	v_cmp_gt_u32_e32 vcc, s60, v0
	s_waitcnt vmcnt(0) lgkmcnt(0)
	v_mov_b32_e32 v7, v6
	s_and_saveexec_b64 s[0:1], vcc
	s_cbranch_execz .LBB1691_7
; %bb.6:
	v_lshlrev_b32_e32 v8, 2, v0
	v_mov_b32_e32 v9, 0
	v_lshl_add_u64 v[8:9], v[4:5], 0, v[8:9]
	flat_load_dword v7, v[8:9]
.LBB1691_7:
	s_or_b64 exec, exec, s[0:1]
	v_or_b32_e32 v1, 0x100, v0
	v_cmp_gt_u32_e64 s[6:7], s60, v1
	v_mov_b32_e32 v8, v6
	s_and_saveexec_b64 s[0:1], s[6:7]
	s_cbranch_execz .LBB1691_9
; %bb.8:
	v_lshlrev_b32_e32 v8, 2, v0
	v_mov_b32_e32 v9, 0
	v_lshl_add_u64 v[8:9], v[4:5], 0, v[8:9]
	flat_load_dword v8, v[8:9] offset:1024
.LBB1691_9:
	s_or_b64 exec, exec, s[0:1]
	v_or_b32_e32 v1, 0x200, v0
	v_cmp_gt_u32_e64 s[8:9], s60, v1
	v_mov_b32_e32 v9, v6
	s_and_saveexec_b64 s[0:1], s[8:9]
	s_cbranch_execz .LBB1691_11
; %bb.10:
	v_lshlrev_b32_e32 v12, 2, v0
	v_mov_b32_e32 v13, 0
	v_lshl_add_u64 v[12:13], v[4:5], 0, v[12:13]
	flat_load_dword v9, v[12:13] offset:2048
.LBB1691_11:
	;; [unrolled: 12-line block ×3, first 2 shown]
	s_or_b64 exec, exec, s[0:1]
	v_or_b32_e32 v1, 0x400, v0
	v_cmp_gt_u32_e64 s[12:13], s60, v1
	v_mov_b32_e32 v13, v6
	s_and_saveexec_b64 s[0:1], s[12:13]
	s_cbranch_execz .LBB1691_15
; %bb.14:
	v_lshlrev_b32_e32 v14, 2, v1
	v_mov_b32_e32 v15, 0
	v_lshl_add_u64 v[14:15], v[4:5], 0, v[14:15]
	flat_load_dword v13, v[14:15]
.LBB1691_15:
	s_or_b64 exec, exec, s[0:1]
	v_or_b32_e32 v32, 0x500, v0
	v_cmp_gt_u32_e64 s[14:15], s60, v32
	v_mov_b32_e32 v14, v6
	s_and_saveexec_b64 s[0:1], s[14:15]
	s_cbranch_execz .LBB1691_17
; %bb.16:
	v_lshlrev_b32_e32 v14, 2, v32
	v_mov_b32_e32 v15, 0
	v_lshl_add_u64 v[14:15], v[4:5], 0, v[14:15]
	flat_load_dword v14, v[14:15]
.LBB1691_17:
	;; [unrolled: 12-line block ×18, first 2 shown]
	s_or_b64 exec, exec, s[0:1]
	v_or_b32_e32 v49, 0x1600, v0
	v_cmp_gt_u32_e64 s[50:51], s60, v49
	s_and_saveexec_b64 s[0:1], s[50:51]
	s_cbranch_execz .LBB1691_51
; %bb.50:
	v_lshlrev_b32_e32 v50, 2, v49
	v_mov_b32_e32 v51, 0
	v_lshl_add_u64 v[50:51], v[4:5], 0, v[50:51]
	flat_load_dword v6, v[50:51]
.LBB1691_51:
	s_or_b64 exec, exec, s[0:1]
	v_lshlrev_b32_e32 v30, 2, v0
	s_waitcnt vmcnt(0) lgkmcnt(0)
	ds_write2st64_b32 v30, v7, v8 offset1:4
	ds_write2st64_b32 v30, v9, v12 offset0:8 offset1:12
	ds_write2st64_b32 v30, v13, v14 offset0:16 offset1:20
	;; [unrolled: 1-line block ×10, first 2 shown]
	ds_write_b32 v30, v6 offset:22528
	s_waitcnt lgkmcnt(0)
	s_barrier
	flat_load_dword v75, v[4:5]
	s_movk_i32 s0, 0x58
	v_mad_u32_u24 v76, v0, s0, v30
	s_movk_i32 s0, 0xffa8
	v_mad_i32_i24 v31, v0, s0, v76
	s_movk_i32 s0, 0xff
	v_cmp_ne_u32_e64 s[0:1], s0, v0
	ds_read_b32 v78, v76
	ds_read2_b32 v[28:29], v76 offset0:1 offset1:2
	ds_read2_b32 v[26:27], v76 offset0:3 offset1:4
	;; [unrolled: 1-line block ×11, first 2 shown]
	s_waitcnt lgkmcnt(0)
	ds_write_b32 v31, v78 offset:24576
	s_waitcnt lgkmcnt(0)
	s_barrier
	s_and_saveexec_b64 s[56:57], s[0:1]
	s_cbranch_execz .LBB1691_53
; %bb.52:
	s_waitcnt vmcnt(0)
	ds_read_b32 v75, v30 offset:24580
.LBB1691_53:
	s_or_b64 exec, exec, s[56:57]
	v_mov_b32_e32 v31, 0
	s_waitcnt lgkmcnt(0)
	s_barrier
	s_waitcnt lgkmcnt(0)
                                        ; implicit-def: $vgpr50
	s_and_saveexec_b64 s[0:1], vcc
	s_cbranch_execz .LBB1691_76
; %bb.54:
	v_lshl_add_u64 v[50:51], v[2:3], 0, v[30:31]
	flat_load_dword v31, v[50:51]
	s_waitcnt vmcnt(0) lgkmcnt(0)
	v_cvt_f32_u32_e32 v50, v31
	s_or_b64 exec, exec, s[0:1]
                                        ; implicit-def: $vgpr51
	s_and_saveexec_b64 s[0:1], s[6:7]
	s_cbranch_execnz .LBB1691_77
.LBB1691_55:
	s_or_b64 exec, exec, s[0:1]
                                        ; implicit-def: $vgpr52
	s_and_saveexec_b64 s[0:1], s[8:9]
	s_cbranch_execz .LBB1691_78
.LBB1691_56:
	v_mov_b32_e32 v31, 0
	v_lshl_add_u64 v[52:53], v[2:3], 0, v[30:31]
	flat_load_dword v31, v[52:53] offset:2048
	s_waitcnt vmcnt(0) lgkmcnt(0)
	v_cvt_f32_u32_e32 v52, v31
	s_or_b64 exec, exec, s[0:1]
                                        ; implicit-def: $vgpr31
	s_and_saveexec_b64 s[0:1], s[10:11]
	s_cbranch_execnz .LBB1691_79
.LBB1691_57:
	s_or_b64 exec, exec, s[0:1]
                                        ; implicit-def: $vgpr53
	s_and_saveexec_b64 s[0:1], s[12:13]
	s_cbranch_execz .LBB1691_80
.LBB1691_58:
	v_lshlrev_b32_e32 v54, 2, v1
	v_mov_b32_e32 v55, 0
	v_lshl_add_u64 v[54:55], v[2:3], 0, v[54:55]
	flat_load_dword v1, v[54:55]
	s_waitcnt vmcnt(0) lgkmcnt(0)
	v_cvt_f32_u32_e32 v53, v1
	s_or_b64 exec, exec, s[0:1]
                                        ; implicit-def: $vgpr1
	s_and_saveexec_b64 s[0:1], s[14:15]
	s_cbranch_execnz .LBB1691_81
.LBB1691_59:
	s_or_b64 exec, exec, s[0:1]
                                        ; implicit-def: $vgpr32
	s_and_saveexec_b64 s[0:1], s[16:17]
	s_cbranch_execz .LBB1691_82
.LBB1691_60:
	v_lshlrev_b32_e32 v32, 2, v33
	v_mov_b32_e32 v33, 0
	v_lshl_add_u64 v[32:33], v[2:3], 0, v[32:33]
	flat_load_dword v32, v[32:33]
	s_waitcnt vmcnt(0) lgkmcnt(0)
	v_cvt_f32_u32_e32 v32, v32
	s_or_b64 exec, exec, s[0:1]
                                        ; implicit-def: $vgpr33
	s_and_saveexec_b64 s[0:1], s[18:19]
	s_cbranch_execnz .LBB1691_83
.LBB1691_61:
	s_or_b64 exec, exec, s[0:1]
                                        ; implicit-def: $vgpr34
	s_and_saveexec_b64 s[0:1], s[20:21]
	s_cbranch_execz .LBB1691_84
.LBB1691_62:
	v_lshlrev_b32_e32 v34, 2, v35
	v_mov_b32_e32 v35, 0
	v_lshl_add_u64 v[34:35], v[2:3], 0, v[34:35]
	flat_load_dword v34, v[34:35]
	s_waitcnt vmcnt(0) lgkmcnt(0)
	v_cvt_f32_u32_e32 v34, v34
	s_or_b64 exec, exec, s[0:1]
                                        ; implicit-def: $vgpr35
	s_and_saveexec_b64 s[0:1], s[22:23]
	s_cbranch_execnz .LBB1691_85
.LBB1691_63:
	s_or_b64 exec, exec, s[0:1]
                                        ; implicit-def: $vgpr36
	s_and_saveexec_b64 s[0:1], s[24:25]
	s_cbranch_execz .LBB1691_86
.LBB1691_64:
	v_lshlrev_b32_e32 v36, 2, v37
	v_mov_b32_e32 v37, 0
	v_lshl_add_u64 v[36:37], v[2:3], 0, v[36:37]
	flat_load_dword v36, v[36:37]
	s_waitcnt vmcnt(0) lgkmcnt(0)
	v_cvt_f32_u32_e32 v36, v36
	s_or_b64 exec, exec, s[0:1]
                                        ; implicit-def: $vgpr37
	s_and_saveexec_b64 s[0:1], s[26:27]
	s_cbranch_execnz .LBB1691_87
.LBB1691_65:
	s_or_b64 exec, exec, s[0:1]
                                        ; implicit-def: $vgpr38
	s_and_saveexec_b64 s[0:1], s[28:29]
	s_cbranch_execz .LBB1691_88
.LBB1691_66:
	v_lshlrev_b32_e32 v38, 2, v39
	v_mov_b32_e32 v39, 0
	v_lshl_add_u64 v[38:39], v[2:3], 0, v[38:39]
	flat_load_dword v38, v[38:39]
	s_waitcnt vmcnt(0) lgkmcnt(0)
	v_cvt_f32_u32_e32 v38, v38
	s_or_b64 exec, exec, s[0:1]
                                        ; implicit-def: $vgpr39
	s_and_saveexec_b64 s[0:1], s[30:31]
	s_cbranch_execnz .LBB1691_89
.LBB1691_67:
	s_or_b64 exec, exec, s[0:1]
                                        ; implicit-def: $vgpr40
	s_and_saveexec_b64 s[0:1], s[34:35]
	s_cbranch_execz .LBB1691_90
.LBB1691_68:
	v_lshlrev_b32_e32 v40, 2, v41
	v_mov_b32_e32 v41, 0
	v_lshl_add_u64 v[40:41], v[2:3], 0, v[40:41]
	flat_load_dword v40, v[40:41]
	s_waitcnt vmcnt(0) lgkmcnt(0)
	v_cvt_f32_u32_e32 v40, v40
	s_or_b64 exec, exec, s[0:1]
                                        ; implicit-def: $vgpr41
	s_and_saveexec_b64 s[0:1], s[36:37]
	s_cbranch_execnz .LBB1691_91
.LBB1691_69:
	s_or_b64 exec, exec, s[0:1]
                                        ; implicit-def: $vgpr42
	s_and_saveexec_b64 s[0:1], s[38:39]
	s_cbranch_execz .LBB1691_92
.LBB1691_70:
	v_lshlrev_b32_e32 v42, 2, v43
	v_mov_b32_e32 v43, 0
	v_lshl_add_u64 v[42:43], v[2:3], 0, v[42:43]
	flat_load_dword v42, v[42:43]
	s_waitcnt vmcnt(0) lgkmcnt(0)
	v_cvt_f32_u32_e32 v42, v42
	s_or_b64 exec, exec, s[0:1]
                                        ; implicit-def: $vgpr43
	s_and_saveexec_b64 s[0:1], s[40:41]
	s_cbranch_execnz .LBB1691_93
.LBB1691_71:
	s_or_b64 exec, exec, s[0:1]
                                        ; implicit-def: $vgpr44
	s_and_saveexec_b64 s[0:1], s[42:43]
	s_cbranch_execz .LBB1691_94
.LBB1691_72:
	v_lshlrev_b32_e32 v44, 2, v45
	v_mov_b32_e32 v45, 0
	v_lshl_add_u64 v[44:45], v[2:3], 0, v[44:45]
	flat_load_dword v44, v[44:45]
	s_waitcnt vmcnt(0) lgkmcnt(0)
	v_cvt_f32_u32_e32 v44, v44
	s_or_b64 exec, exec, s[0:1]
                                        ; implicit-def: $vgpr45
	s_and_saveexec_b64 s[0:1], s[44:45]
	s_cbranch_execnz .LBB1691_95
.LBB1691_73:
	s_or_b64 exec, exec, s[0:1]
                                        ; implicit-def: $vgpr46
	s_and_saveexec_b64 s[0:1], s[46:47]
	s_cbranch_execz .LBB1691_96
.LBB1691_74:
	v_lshlrev_b32_e32 v46, 2, v47
	v_mov_b32_e32 v47, 0
	v_lshl_add_u64 v[46:47], v[2:3], 0, v[46:47]
	flat_load_dword v46, v[46:47]
	s_waitcnt vmcnt(0) lgkmcnt(0)
	v_cvt_f32_u32_e32 v46, v46
	s_or_b64 exec, exec, s[0:1]
                                        ; implicit-def: $vgpr47
	s_and_saveexec_b64 s[0:1], s[48:49]
	s_cbranch_execz .LBB1691_98
	s_branch .LBB1691_97
.LBB1691_75:
	s_mov_b64 s[10:11], 0
                                        ; implicit-def: $sgpr8_sgpr9
                                        ; implicit-def: $vgpr74
                                        ; implicit-def: $vgpr1
                                        ; implicit-def: $vgpr30
                                        ; implicit-def: $vgpr54
                                        ; implicit-def: $vgpr50
                                        ; implicit-def: $vgpr62
                                        ; implicit-def: $vgpr73
                                        ; implicit-def: $vgpr51
                                        ; implicit-def: $vgpr60
                                        ; implicit-def: $vgpr72
                                        ; implicit-def: $vgpr48
                                        ; implicit-def: $vgpr33
                                        ; implicit-def: $vgpr71
                                        ; implicit-def: $vgpr52
                                        ; implicit-def: $vgpr32
                                        ; implicit-def: $vgpr70
                                        ; implicit-def: $vgpr49
                                        ; implicit-def: $vgpr35
                                        ; implicit-def: $vgpr69
                                        ; implicit-def: $vgpr53
                                        ; implicit-def: $vgpr34
                                        ; implicit-def: $vgpr68
                                        ; implicit-def: $vgpr46
                                        ; implicit-def: $vgpr37
                                        ; implicit-def: $vgpr67
                                        ; implicit-def: $vgpr55
                                        ; implicit-def: $vgpr36
                                        ; implicit-def: $vgpr66
                                        ; implicit-def: $vgpr47
                                        ; implicit-def: $vgpr39
                                        ; implicit-def: $vgpr65
                                        ; implicit-def: $vgpr56
                                        ; implicit-def: $vgpr38
                                        ; implicit-def: $vgpr64
                                        ; implicit-def: $vgpr44
                                        ; implicit-def: $vgpr41
                                        ; implicit-def: $vgpr63
                                        ; implicit-def: $vgpr57
                                        ; implicit-def: $vgpr40
                                        ; implicit-def: $vgpr61
                                        ; implicit-def: $vgpr45
                                        ; implicit-def: $vgpr43
                                        ; implicit-def: $vgpr59
                                        ; implicit-def: $vgpr58
                                        ; implicit-def: $vgpr42
                                        ; implicit-def: $sgpr6
                                        ; implicit-def: $sgpr68
	s_and_b64 vcc, exec, s[0:1]
	v_lshlrev_b32_e32 v12, 2, v0
	s_cbranch_vccz .LBB1691_152
	s_branch .LBB1691_147
.LBB1691_76:
	s_or_b64 exec, exec, s[0:1]
                                        ; implicit-def: $vgpr51
	s_and_saveexec_b64 s[0:1], s[6:7]
	s_cbranch_execz .LBB1691_55
.LBB1691_77:
	v_mov_b32_e32 v31, 0
	v_lshl_add_u64 v[52:53], v[2:3], 0, v[30:31]
	flat_load_dword v31, v[52:53] offset:1024
	s_waitcnt vmcnt(0) lgkmcnt(0)
	v_cvt_f32_u32_e32 v51, v31
	s_or_b64 exec, exec, s[0:1]
                                        ; implicit-def: $vgpr52
	s_and_saveexec_b64 s[0:1], s[8:9]
	s_cbranch_execnz .LBB1691_56
.LBB1691_78:
	s_or_b64 exec, exec, s[0:1]
                                        ; implicit-def: $vgpr31
	s_and_saveexec_b64 s[0:1], s[10:11]
	s_cbranch_execz .LBB1691_57
.LBB1691_79:
	v_mov_b32_e32 v31, 0
	v_lshl_add_u64 v[54:55], v[2:3], 0, v[30:31]
	flat_load_dword v31, v[54:55] offset:3072
	s_waitcnt vmcnt(0) lgkmcnt(0)
	v_cvt_f32_u32_e32 v31, v31
	s_or_b64 exec, exec, s[0:1]
                                        ; implicit-def: $vgpr53
	s_and_saveexec_b64 s[0:1], s[12:13]
	s_cbranch_execnz .LBB1691_58
.LBB1691_80:
	s_or_b64 exec, exec, s[0:1]
                                        ; implicit-def: $vgpr1
	s_and_saveexec_b64 s[0:1], s[14:15]
	s_cbranch_execz .LBB1691_59
.LBB1691_81:
	v_lshlrev_b32_e32 v54, 2, v32
	v_mov_b32_e32 v55, 0
	v_lshl_add_u64 v[54:55], v[2:3], 0, v[54:55]
	flat_load_dword v1, v[54:55]
	s_waitcnt vmcnt(0) lgkmcnt(0)
	v_cvt_f32_u32_e32 v1, v1
	s_or_b64 exec, exec, s[0:1]
                                        ; implicit-def: $vgpr32
	s_and_saveexec_b64 s[0:1], s[16:17]
	s_cbranch_execnz .LBB1691_60
.LBB1691_82:
	s_or_b64 exec, exec, s[0:1]
                                        ; implicit-def: $vgpr33
	s_and_saveexec_b64 s[0:1], s[18:19]
	s_cbranch_execz .LBB1691_61
.LBB1691_83:
	v_lshlrev_b32_e32 v54, 2, v34
	v_mov_b32_e32 v55, 0
	v_lshl_add_u64 v[54:55], v[2:3], 0, v[54:55]
	flat_load_dword v33, v[54:55]
	s_waitcnt vmcnt(0) lgkmcnt(0)
	v_cvt_f32_u32_e32 v33, v33
	s_or_b64 exec, exec, s[0:1]
                                        ; implicit-def: $vgpr34
	s_and_saveexec_b64 s[0:1], s[20:21]
	s_cbranch_execnz .LBB1691_62
.LBB1691_84:
	s_or_b64 exec, exec, s[0:1]
                                        ; implicit-def: $vgpr35
	s_and_saveexec_b64 s[0:1], s[22:23]
	s_cbranch_execz .LBB1691_63
.LBB1691_85:
	v_lshlrev_b32_e32 v54, 2, v36
	v_mov_b32_e32 v55, 0
	v_lshl_add_u64 v[54:55], v[2:3], 0, v[54:55]
	flat_load_dword v35, v[54:55]
	s_waitcnt vmcnt(0) lgkmcnt(0)
	v_cvt_f32_u32_e32 v35, v35
	s_or_b64 exec, exec, s[0:1]
                                        ; implicit-def: $vgpr36
	s_and_saveexec_b64 s[0:1], s[24:25]
	s_cbranch_execnz .LBB1691_64
.LBB1691_86:
	s_or_b64 exec, exec, s[0:1]
                                        ; implicit-def: $vgpr37
	s_and_saveexec_b64 s[0:1], s[26:27]
	s_cbranch_execz .LBB1691_65
.LBB1691_87:
	v_lshlrev_b32_e32 v54, 2, v38
	v_mov_b32_e32 v55, 0
	v_lshl_add_u64 v[54:55], v[2:3], 0, v[54:55]
	flat_load_dword v37, v[54:55]
	s_waitcnt vmcnt(0) lgkmcnt(0)
	v_cvt_f32_u32_e32 v37, v37
	s_or_b64 exec, exec, s[0:1]
                                        ; implicit-def: $vgpr38
	s_and_saveexec_b64 s[0:1], s[28:29]
	s_cbranch_execnz .LBB1691_66
.LBB1691_88:
	s_or_b64 exec, exec, s[0:1]
                                        ; implicit-def: $vgpr39
	s_and_saveexec_b64 s[0:1], s[30:31]
	s_cbranch_execz .LBB1691_67
.LBB1691_89:
	v_lshlrev_b32_e32 v54, 2, v40
	v_mov_b32_e32 v55, 0
	v_lshl_add_u64 v[54:55], v[2:3], 0, v[54:55]
	flat_load_dword v39, v[54:55]
	s_waitcnt vmcnt(0) lgkmcnt(0)
	v_cvt_f32_u32_e32 v39, v39
	s_or_b64 exec, exec, s[0:1]
                                        ; implicit-def: $vgpr40
	s_and_saveexec_b64 s[0:1], s[34:35]
	s_cbranch_execnz .LBB1691_68
.LBB1691_90:
	s_or_b64 exec, exec, s[0:1]
                                        ; implicit-def: $vgpr41
	s_and_saveexec_b64 s[0:1], s[36:37]
	s_cbranch_execz .LBB1691_69
.LBB1691_91:
	v_lshlrev_b32_e32 v54, 2, v42
	v_mov_b32_e32 v55, 0
	v_lshl_add_u64 v[54:55], v[2:3], 0, v[54:55]
	flat_load_dword v41, v[54:55]
	s_waitcnt vmcnt(0) lgkmcnt(0)
	v_cvt_f32_u32_e32 v41, v41
	s_or_b64 exec, exec, s[0:1]
                                        ; implicit-def: $vgpr42
	s_and_saveexec_b64 s[0:1], s[38:39]
	s_cbranch_execnz .LBB1691_70
.LBB1691_92:
	s_or_b64 exec, exec, s[0:1]
                                        ; implicit-def: $vgpr43
	s_and_saveexec_b64 s[0:1], s[40:41]
	s_cbranch_execz .LBB1691_71
.LBB1691_93:
	v_lshlrev_b32_e32 v54, 2, v44
	v_mov_b32_e32 v55, 0
	v_lshl_add_u64 v[54:55], v[2:3], 0, v[54:55]
	flat_load_dword v43, v[54:55]
	s_waitcnt vmcnt(0) lgkmcnt(0)
	v_cvt_f32_u32_e32 v43, v43
	s_or_b64 exec, exec, s[0:1]
                                        ; implicit-def: $vgpr44
	s_and_saveexec_b64 s[0:1], s[42:43]
	s_cbranch_execnz .LBB1691_72
.LBB1691_94:
	s_or_b64 exec, exec, s[0:1]
                                        ; implicit-def: $vgpr45
	s_and_saveexec_b64 s[0:1], s[44:45]
	s_cbranch_execz .LBB1691_73
.LBB1691_95:
	v_lshlrev_b32_e32 v54, 2, v46
	v_mov_b32_e32 v55, 0
	v_lshl_add_u64 v[54:55], v[2:3], 0, v[54:55]
	flat_load_dword v45, v[54:55]
	s_waitcnt vmcnt(0) lgkmcnt(0)
	v_cvt_f32_u32_e32 v45, v45
	s_or_b64 exec, exec, s[0:1]
                                        ; implicit-def: $vgpr46
	s_and_saveexec_b64 s[0:1], s[46:47]
	s_cbranch_execnz .LBB1691_74
.LBB1691_96:
	s_or_b64 exec, exec, s[0:1]
                                        ; implicit-def: $vgpr47
	s_and_saveexec_b64 s[0:1], s[48:49]
	s_cbranch_execz .LBB1691_98
.LBB1691_97:
	v_lshlrev_b32_e32 v54, 2, v48
	v_mov_b32_e32 v55, 0
	v_lshl_add_u64 v[54:55], v[2:3], 0, v[54:55]
	flat_load_dword v47, v[54:55]
	s_waitcnt vmcnt(0) lgkmcnt(0)
	v_cvt_f32_u32_e32 v47, v47
.LBB1691_98:
	s_or_b64 exec, exec, s[0:1]
	v_mul_u32_u24_e32 v77, 23, v0
                                        ; implicit-def: $vgpr48
	s_and_saveexec_b64 s[0:1], s[50:51]
	s_cbranch_execz .LBB1691_100
; %bb.99:
	v_lshlrev_b32_e32 v48, 2, v49
	v_mov_b32_e32 v49, 0
	v_lshl_add_u64 v[48:49], v[2:3], 0, v[48:49]
	flat_load_dword v48, v[48:49]
	s_waitcnt vmcnt(0) lgkmcnt(0)
	v_cvt_f32_u32_e32 v48, v48
.LBB1691_100:
	s_or_b64 exec, exec, s[0:1]
	ds_write2st64_b32 v30, v50, v51 offset1:4
	ds_write2st64_b32 v30, v52, v31 offset0:8 offset1:12
	ds_write2st64_b32 v30, v53, v1 offset0:16 offset1:20
	ds_write2st64_b32 v30, v32, v33 offset0:24 offset1:28
	ds_write2st64_b32 v30, v34, v35 offset0:32 offset1:36
	ds_write2st64_b32 v30, v36, v37 offset0:40 offset1:44
	ds_write2st64_b32 v30, v38, v39 offset0:48 offset1:52
	ds_write2st64_b32 v30, v40, v41 offset0:56 offset1:60
	ds_write2st64_b32 v30, v42, v43 offset0:64 offset1:68
	ds_write2st64_b32 v30, v44, v45 offset0:72 offset1:76
	ds_write2st64_b32 v30, v46, v47 offset0:80 offset1:84
	ds_write_b32 v30, v48 offset:22528
	v_cmp_gt_u32_e32 vcc, s60, v77
	s_mov_b64 s[0:1], 0
	s_mov_b32 s68, 0
	v_mov_b32_e32 v1, 0
	v_mov_b32_e32 v30, 0
	s_mov_b64 s[10:11], 0
	v_mov_b32_e32 v54, 0
	v_mov_b32_e32 v50, 0
	;; [unrolled: 1-line block ×42, first 2 shown]
	s_waitcnt lgkmcnt(0)
	s_barrier
	s_waitcnt lgkmcnt(0)
                                        ; implicit-def: $sgpr8_sgpr9
                                        ; implicit-def: $vgpr74
	s_and_saveexec_b64 s[6:7], vcc
	s_cbranch_execz .LBB1691_146
; %bb.101:
	ds_read_b32 v30, v76
	v_add_u32_e32 v31, 1, v77
	v_cmp_ne_u32_e32 vcc, v78, v28
	v_mov_b32_e32 v32, s74
	v_mov_b32_e32 v54, 0
	v_cndmask_b32_e64 v1, 0, 1, vcc
	s_waitcnt lgkmcnt(0)
	v_cndmask_b32_e32 v50, v30, v32, vcc
	v_cmp_gt_u32_e32 vcc, s60, v31
	v_mov_b32_e32 v30, 0
	v_mov_b32_e32 v62, 0
	;; [unrolled: 1-line block ×41, first 2 shown]
                                        ; implicit-def: $sgpr12_sgpr13
                                        ; implicit-def: $vgpr74
	s_and_saveexec_b64 s[8:9], vcc
	s_cbranch_execz .LBB1691_145
; %bb.102:
	ds_read2_b32 v[30:31], v76 offset0:1 offset1:2
	v_add_u32_e32 v32, 2, v77
	v_cmp_ne_u32_e32 vcc, v28, v29
	v_mov_b32_e32 v28, s74
	s_mov_b64 s[14:15], 0
	v_cndmask_b32_e64 v51, 0, 1, vcc
	s_waitcnt lgkmcnt(0)
	v_cndmask_b32_e32 v48, v30, v28, vcc
	v_cmp_gt_u32_e32 vcc, s60, v32
	v_mov_b32_e32 v30, 0
	v_mov_b32_e32 v54, 0
	;; [unrolled: 1-line block ×40, first 2 shown]
                                        ; implicit-def: $sgpr12_sgpr13
                                        ; implicit-def: $vgpr74
	s_and_saveexec_b64 s[10:11], vcc
	s_cbranch_execz .LBB1691_144
; %bb.103:
	v_add_u32_e32 v28, 3, v77
	v_cmp_ne_u32_e32 vcc, v29, v26
	v_mov_b32_e32 v29, s74
	v_mov_b32_e32 v30, 0
	v_cndmask_b32_e64 v52, 0, 1, vcc
	v_cndmask_b32_e32 v49, v31, v29, vcc
	v_cmp_gt_u32_e32 vcc, s60, v28
	v_mov_b32_e32 v54, 0
	v_mov_b32_e32 v62, 0
	;; [unrolled: 1-line block ×37, first 2 shown]
                                        ; implicit-def: $sgpr16_sgpr17
                                        ; implicit-def: $vgpr74
	s_and_saveexec_b64 s[12:13], vcc
	s_cbranch_execz .LBB1691_143
; %bb.104:
	ds_read2_b32 v[28:29], v76 offset0:3 offset1:4
	v_add_u32_e32 v30, 4, v77
	v_cmp_ne_u32_e32 vcc, v26, v27
	v_mov_b32_e32 v26, s74
	s_mov_b64 s[18:19], 0
	v_cndmask_b32_e64 v53, 0, 1, vcc
	s_waitcnt lgkmcnt(0)
	v_cndmask_b32_e32 v46, v28, v26, vcc
	v_cmp_gt_u32_e32 vcc, s60, v30
	v_mov_b32_e32 v30, 0
	v_mov_b32_e32 v54, 0
	v_mov_b32_e32 v62, 0
	v_mov_b32_e32 v73, 0
	v_mov_b32_e32 v60, 0
	v_mov_b32_e32 v72, 0
	v_mov_b32_e32 v33, 0
	v_mov_b32_e32 v71, 0
	v_mov_b32_e32 v32, 0
	v_mov_b32_e32 v70, 0
	v_mov_b32_e32 v35, 0
	v_mov_b32_e32 v69, 0
	v_mov_b32_e32 v34, 0
	v_mov_b32_e32 v68, 0
	v_mov_b32_e32 v37, 0
	v_mov_b32_e32 v67, 0
	v_mov_b32_e32 v55, 0
	v_mov_b32_e32 v36, 0
	v_mov_b32_e32 v66, 0
	v_mov_b32_e32 v47, 0
	v_mov_b32_e32 v39, 0
	v_mov_b32_e32 v65, 0
	v_mov_b32_e32 v56, 0
	v_mov_b32_e32 v38, 0
	v_mov_b32_e32 v64, 0
	v_mov_b32_e32 v44, 0
	v_mov_b32_e32 v41, 0
	v_mov_b32_e32 v63, 0
	v_mov_b32_e32 v57, 0
	v_mov_b32_e32 v40, 0
	v_mov_b32_e32 v61, 0
	v_mov_b32_e32 v45, 0
	v_mov_b32_e32 v43, 0
	v_mov_b32_e32 v59, 0
	v_mov_b32_e32 v58, 0
	v_mov_b32_e32 v42, 0
                                        ; implicit-def: $sgpr16_sgpr17
                                        ; implicit-def: $vgpr74
	s_and_saveexec_b64 s[14:15], vcc
	s_cbranch_execz .LBB1691_142
; %bb.105:
	v_add_u32_e32 v26, 5, v77
	v_cmp_ne_u32_e32 vcc, v27, v24
	v_mov_b32_e32 v27, s74
	v_mov_b32_e32 v30, 0
	v_cndmask_b32_e64 v55, 0, 1, vcc
	v_cndmask_b32_e32 v47, v29, v27, vcc
	v_cmp_gt_u32_e32 vcc, s60, v26
	v_mov_b32_e32 v54, 0
	v_mov_b32_e32 v62, 0
	;; [unrolled: 1-line block ×33, first 2 shown]
                                        ; implicit-def: $sgpr20_sgpr21
                                        ; implicit-def: $vgpr74
	s_and_saveexec_b64 s[16:17], vcc
	s_cbranch_execz .LBB1691_141
; %bb.106:
	ds_read2_b32 v[26:27], v76 offset0:5 offset1:6
	v_add_u32_e32 v28, 6, v77
	v_cmp_ne_u32_e32 vcc, v24, v25
	v_mov_b32_e32 v24, s74
	s_mov_b64 s[22:23], 0
	v_cndmask_b32_e64 v56, 0, 1, vcc
	s_waitcnt lgkmcnt(0)
	v_cndmask_b32_e32 v44, v26, v24, vcc
	v_cmp_gt_u32_e32 vcc, s60, v28
	v_mov_b32_e32 v30, 0
	v_mov_b32_e32 v54, 0
	v_mov_b32_e32 v62, 0
	v_mov_b32_e32 v73, 0
	v_mov_b32_e32 v60, 0
	v_mov_b32_e32 v72, 0
	v_mov_b32_e32 v33, 0
	v_mov_b32_e32 v71, 0
	v_mov_b32_e32 v32, 0
	v_mov_b32_e32 v70, 0
	v_mov_b32_e32 v35, 0
	v_mov_b32_e32 v69, 0
	v_mov_b32_e32 v34, 0
	v_mov_b32_e32 v68, 0
	v_mov_b32_e32 v37, 0
	v_mov_b32_e32 v67, 0
	v_mov_b32_e32 v36, 0
	v_mov_b32_e32 v66, 0
	v_mov_b32_e32 v39, 0
	v_mov_b32_e32 v65, 0
	v_mov_b32_e32 v38, 0
	v_mov_b32_e32 v64, 0
	v_mov_b32_e32 v41, 0
	v_mov_b32_e32 v63, 0
	v_mov_b32_e32 v57, 0
	v_mov_b32_e32 v40, 0
	v_mov_b32_e32 v61, 0
	v_mov_b32_e32 v45, 0
	v_mov_b32_e32 v43, 0
	v_mov_b32_e32 v59, 0
	v_mov_b32_e32 v58, 0
	v_mov_b32_e32 v42, 0
                                        ; implicit-def: $sgpr20_sgpr21
                                        ; implicit-def: $vgpr74
	s_and_saveexec_b64 s[18:19], vcc
	s_cbranch_execz .LBB1691_140
; %bb.107:
	v_add_u32_e32 v24, 7, v77
	v_cmp_ne_u32_e32 vcc, v25, v22
	v_mov_b32_e32 v25, s74
	v_mov_b32_e32 v30, 0
	v_cndmask_b32_e64 v57, 0, 1, vcc
	v_cndmask_b32_e32 v45, v27, v25, vcc
	v_cmp_gt_u32_e32 vcc, s60, v24
	v_mov_b32_e32 v54, 0
	v_mov_b32_e32 v62, 0
	;; [unrolled: 1-line block ×29, first 2 shown]
                                        ; implicit-def: $sgpr24_sgpr25
                                        ; implicit-def: $vgpr74
	s_and_saveexec_b64 s[20:21], vcc
	s_cbranch_execz .LBB1691_139
; %bb.108:
	ds_read2_b32 v[24:25], v76 offset0:7 offset1:8
	v_add_u32_e32 v26, 8, v77
	v_cmp_ne_u32_e32 vcc, v22, v23
	v_mov_b32_e32 v22, s74
	s_mov_b64 s[26:27], 0
	v_cndmask_b32_e64 v58, 0, 1, vcc
	s_waitcnt lgkmcnt(0)
	v_cndmask_b32_e32 v42, v24, v22, vcc
	v_cmp_gt_u32_e32 vcc, s60, v26
	v_mov_b32_e32 v30, 0
	v_mov_b32_e32 v54, 0
	;; [unrolled: 1-line block ×28, first 2 shown]
                                        ; implicit-def: $sgpr24_sgpr25
                                        ; implicit-def: $vgpr74
	s_and_saveexec_b64 s[22:23], vcc
	s_cbranch_execz .LBB1691_138
; %bb.109:
	v_add_u32_e32 v22, 9, v77
	v_cmp_ne_u32_e32 vcc, v23, v20
	v_mov_b32_e32 v23, s74
	v_mov_b32_e32 v30, 0
	v_cndmask_b32_e64 v59, 0, 1, vcc
	v_cndmask_b32_e32 v43, v25, v23, vcc
	v_cmp_gt_u32_e32 vcc, s60, v22
	v_mov_b32_e32 v54, 0
	v_mov_b32_e32 v62, 0
	;; [unrolled: 1-line block ×25, first 2 shown]
                                        ; implicit-def: $sgpr28_sgpr29
                                        ; implicit-def: $vgpr74
	s_and_saveexec_b64 s[24:25], vcc
	s_cbranch_execz .LBB1691_137
; %bb.110:
	ds_read2_b32 v[22:23], v76 offset0:9 offset1:10
	v_add_u32_e32 v24, 10, v77
	v_cmp_ne_u32_e32 vcc, v20, v21
	v_mov_b32_e32 v20, s74
	s_mov_b64 s[30:31], 0
	v_cndmask_b32_e64 v61, 0, 1, vcc
	s_waitcnt lgkmcnt(0)
	v_cndmask_b32_e32 v40, v22, v20, vcc
	v_cmp_gt_u32_e32 vcc, s60, v24
	v_mov_b32_e32 v30, 0
	v_mov_b32_e32 v54, 0
	;; [unrolled: 1-line block ×24, first 2 shown]
                                        ; implicit-def: $sgpr28_sgpr29
                                        ; implicit-def: $vgpr74
	s_and_saveexec_b64 s[26:27], vcc
	s_cbranch_execz .LBB1691_136
; %bb.111:
	v_add_u32_e32 v20, 11, v77
	v_cmp_ne_u32_e32 vcc, v21, v18
	v_mov_b32_e32 v21, s74
	v_mov_b32_e32 v30, 0
	v_cndmask_b32_e64 v63, 0, 1, vcc
	v_cndmask_b32_e32 v41, v23, v21, vcc
	v_cmp_gt_u32_e32 vcc, s60, v20
	v_mov_b32_e32 v54, 0
	v_mov_b32_e32 v62, 0
	;; [unrolled: 1-line block ×21, first 2 shown]
                                        ; implicit-def: $sgpr34_sgpr35
                                        ; implicit-def: $vgpr74
	s_and_saveexec_b64 s[28:29], vcc
	s_cbranch_execz .LBB1691_135
; %bb.112:
	ds_read2_b32 v[20:21], v76 offset0:11 offset1:12
	v_add_u32_e32 v22, 12, v77
	v_cmp_ne_u32_e32 vcc, v18, v19
	v_mov_b32_e32 v18, s74
	s_mov_b64 s[36:37], 0
	v_cndmask_b32_e64 v64, 0, 1, vcc
	s_waitcnt lgkmcnt(0)
	v_cndmask_b32_e32 v38, v20, v18, vcc
	v_cmp_gt_u32_e32 vcc, s60, v22
	v_mov_b32_e32 v30, 0
	v_mov_b32_e32 v54, 0
	v_mov_b32_e32 v62, 0
	v_mov_b32_e32 v73, 0
	v_mov_b32_e32 v60, 0
	v_mov_b32_e32 v72, 0
	v_mov_b32_e32 v33, 0
	v_mov_b32_e32 v71, 0
	v_mov_b32_e32 v32, 0
	v_mov_b32_e32 v70, 0
	v_mov_b32_e32 v35, 0
	v_mov_b32_e32 v69, 0
	v_mov_b32_e32 v34, 0
	v_mov_b32_e32 v68, 0
	v_mov_b32_e32 v37, 0
	v_mov_b32_e32 v67, 0
	v_mov_b32_e32 v36, 0
	v_mov_b32_e32 v66, 0
	v_mov_b32_e32 v39, 0
	v_mov_b32_e32 v65, 0
                                        ; implicit-def: $sgpr34_sgpr35
                                        ; implicit-def: $vgpr74
	s_and_saveexec_b64 s[30:31], vcc
	s_cbranch_execz .LBB1691_134
; %bb.113:
	v_add_u32_e32 v18, 13, v77
	v_cmp_ne_u32_e32 vcc, v19, v16
	v_mov_b32_e32 v19, s74
	v_mov_b32_e32 v30, 0
	v_cndmask_b32_e64 v65, 0, 1, vcc
	v_cndmask_b32_e32 v39, v21, v19, vcc
	v_cmp_gt_u32_e32 vcc, s60, v18
	v_mov_b32_e32 v54, 0
	v_mov_b32_e32 v62, 0
	;; [unrolled: 1-line block ×17, first 2 shown]
                                        ; implicit-def: $sgpr38_sgpr39
                                        ; implicit-def: $vgpr74
	s_and_saveexec_b64 s[34:35], vcc
	s_cbranch_execz .LBB1691_133
; %bb.114:
	ds_read2_b32 v[18:19], v76 offset0:13 offset1:14
	v_add_u32_e32 v20, 14, v77
	v_cmp_ne_u32_e32 vcc, v16, v17
	v_mov_b32_e32 v16, s74
	s_mov_b64 s[40:41], 0
	v_cndmask_b32_e64 v66, 0, 1, vcc
	s_waitcnt lgkmcnt(0)
	v_cndmask_b32_e32 v36, v18, v16, vcc
	v_cmp_gt_u32_e32 vcc, s60, v20
	v_mov_b32_e32 v30, 0
	v_mov_b32_e32 v54, 0
	;; [unrolled: 1-line block ×16, first 2 shown]
                                        ; implicit-def: $sgpr38_sgpr39
                                        ; implicit-def: $vgpr74
	s_and_saveexec_b64 s[36:37], vcc
	s_cbranch_execz .LBB1691_132
; %bb.115:
	v_add_u32_e32 v16, 15, v77
	v_cmp_ne_u32_e32 vcc, v17, v14
	v_mov_b32_e32 v17, s74
	v_mov_b32_e32 v30, 0
	v_cndmask_b32_e64 v67, 0, 1, vcc
	v_cndmask_b32_e32 v37, v19, v17, vcc
	v_cmp_gt_u32_e32 vcc, s60, v16
	v_mov_b32_e32 v54, 0
	v_mov_b32_e32 v62, 0
	;; [unrolled: 1-line block ×13, first 2 shown]
                                        ; implicit-def: $sgpr42_sgpr43
                                        ; implicit-def: $vgpr74
	s_and_saveexec_b64 s[38:39], vcc
	s_cbranch_execz .LBB1691_131
; %bb.116:
	ds_read2_b32 v[16:17], v76 offset0:15 offset1:16
	v_add_u32_e32 v18, 16, v77
	v_cmp_ne_u32_e32 vcc, v14, v15
	v_mov_b32_e32 v14, s74
	s_mov_b64 s[44:45], 0
	v_cndmask_b32_e64 v68, 0, 1, vcc
	s_waitcnt lgkmcnt(0)
	v_cndmask_b32_e32 v34, v16, v14, vcc
	v_cmp_gt_u32_e32 vcc, s60, v18
	v_mov_b32_e32 v30, 0
	v_mov_b32_e32 v54, 0
	;; [unrolled: 1-line block ×12, first 2 shown]
                                        ; implicit-def: $sgpr42_sgpr43
                                        ; implicit-def: $vgpr74
	s_and_saveexec_b64 s[40:41], vcc
	s_cbranch_execz .LBB1691_130
; %bb.117:
	v_add_u32_e32 v14, 17, v77
	v_cmp_ne_u32_e32 vcc, v15, v12
	v_mov_b32_e32 v15, s74
	v_mov_b32_e32 v30, 0
	v_cndmask_b32_e64 v69, 0, 1, vcc
	v_cndmask_b32_e32 v35, v17, v15, vcc
	v_cmp_gt_u32_e32 vcc, s60, v14
	v_mov_b32_e32 v54, 0
	v_mov_b32_e32 v62, 0
	;; [unrolled: 1-line block ×9, first 2 shown]
                                        ; implicit-def: $sgpr46_sgpr47
                                        ; implicit-def: $vgpr74
	s_and_saveexec_b64 s[42:43], vcc
	s_cbranch_execz .LBB1691_129
; %bb.118:
	ds_read2_b32 v[14:15], v76 offset0:17 offset1:18
	v_add_u32_e32 v16, 18, v77
	v_cmp_ne_u32_e32 vcc, v12, v13
	v_mov_b32_e32 v12, s74
	s_mov_b64 s[48:49], 0
	v_cndmask_b32_e64 v70, 0, 1, vcc
	s_waitcnt lgkmcnt(0)
	v_cndmask_b32_e32 v32, v14, v12, vcc
	v_cmp_gt_u32_e32 vcc, s60, v16
	v_mov_b32_e32 v30, 0
	v_mov_b32_e32 v54, 0
	;; [unrolled: 1-line block ×8, first 2 shown]
                                        ; implicit-def: $sgpr46_sgpr47
                                        ; implicit-def: $vgpr74
	s_and_saveexec_b64 s[44:45], vcc
	s_cbranch_execz .LBB1691_128
; %bb.119:
	v_add_u32_e32 v12, 19, v77
	v_cmp_ne_u32_e32 vcc, v13, v8
	v_mov_b32_e32 v13, s74
	v_mov_b32_e32 v30, 0
	v_cndmask_b32_e64 v71, 0, 1, vcc
	v_cndmask_b32_e32 v33, v15, v13, vcc
	v_cmp_gt_u32_e32 vcc, s60, v12
	v_mov_b32_e32 v54, 0
	v_mov_b32_e32 v62, 0
	;; [unrolled: 1-line block ×5, first 2 shown]
                                        ; implicit-def: $sgpr50_sgpr51
                                        ; implicit-def: $vgpr74
	s_and_saveexec_b64 s[46:47], vcc
	s_cbranch_execz .LBB1691_127
; %bb.120:
	ds_read2_b32 v[12:13], v76 offset0:19 offset1:20
	v_add_u32_e32 v14, 20, v77
	v_cmp_ne_u32_e32 vcc, v8, v9
	v_mov_b32_e32 v8, s74
	s_mov_b64 s[56:57], 0
	v_cndmask_b32_e64 v72, 0, 1, vcc
	s_waitcnt lgkmcnt(0)
	v_cndmask_b32_e32 v60, v12, v8, vcc
	v_cmp_gt_u32_e32 vcc, s60, v14
	v_mov_b32_e32 v30, 0
	v_mov_b32_e32 v54, 0
	;; [unrolled: 1-line block ×4, first 2 shown]
                                        ; implicit-def: $sgpr50_sgpr51
                                        ; implicit-def: $vgpr74
	s_and_saveexec_b64 s[48:49], vcc
	s_cbranch_execz .LBB1691_126
; %bb.121:
	v_add_u32_e32 v8, 21, v77
	v_cmp_ne_u32_e32 vcc, v9, v6
	v_mov_b32_e32 v9, s74
	v_mov_b32_e32 v30, 0
	v_cndmask_b32_e64 v73, 0, 1, vcc
	v_cndmask_b32_e32 v62, v13, v9, vcc
	v_cmp_gt_u32_e32 vcc, s60, v8
	v_mov_b32_e32 v54, 0
                                        ; implicit-def: $sgpr58_sgpr59
                                        ; implicit-def: $vgpr74
	s_and_saveexec_b64 s[50:51], vcc
	s_cbranch_execz .LBB1691_125
; %bb.122:
	ds_read2_b32 v[8:9], v76 offset0:21 offset1:22
	v_add_u32_e32 v12, 22, v77
	v_cmp_ne_u32_e32 vcc, v6, v7
	v_mov_b32_e32 v6, s74
                                        ; implicit-def: $sgpr58_sgpr59
                                        ; implicit-def: $vgpr74
	s_nop 0
	v_cndmask_b32_e64 v54, 0, 1, vcc
	s_waitcnt lgkmcnt(0)
	v_cndmask_b32_e32 v30, v8, v6, vcc
	v_cmp_gt_u32_e32 vcc, s60, v12
	s_and_saveexec_b64 s[60:61], vcc
	s_xor_b64 s[60:61], exec, s[60:61]
	s_cbranch_execz .LBB1691_124
; %bb.123:
	v_mov_b32_e32 v6, s74
	s_waitcnt vmcnt(0)
	v_cmp_ne_u32_e32 vcc, v7, v75
	s_mov_b64 s[56:57], exec
	s_and_b64 s[58:59], vcc, exec
	v_cndmask_b32_e32 v74, v9, v6, vcc
.LBB1691_124:
	s_or_b64 exec, exec, s[60:61]
	s_and_b64 s[58:59], s[58:59], exec
	s_and_b64 s[56:57], s[56:57], exec
.LBB1691_125:
	s_or_b64 exec, exec, s[50:51]
	s_and_b64 s[50:51], s[58:59], exec
	s_and_b64 s[56:57], s[56:57], exec
.LBB1691_126:
	s_or_b64 exec, exec, s[48:49]
	s_and_b64 s[50:51], s[50:51], exec
	s_and_b64 s[48:49], s[56:57], exec
.LBB1691_127:
	s_or_b64 exec, exec, s[46:47]
	s_and_b64 s[46:47], s[50:51], exec
	s_and_b64 s[48:49], s[48:49], exec
.LBB1691_128:
	s_or_b64 exec, exec, s[44:45]
	s_and_b64 s[46:47], s[46:47], exec
	s_and_b64 s[44:45], s[48:49], exec
.LBB1691_129:
	s_or_b64 exec, exec, s[42:43]
	s_and_b64 s[42:43], s[46:47], exec
	s_and_b64 s[44:45], s[44:45], exec
.LBB1691_130:
	s_or_b64 exec, exec, s[40:41]
	s_and_b64 s[42:43], s[42:43], exec
	s_and_b64 s[40:41], s[44:45], exec
.LBB1691_131:
	s_or_b64 exec, exec, s[38:39]
	s_and_b64 s[38:39], s[42:43], exec
	s_and_b64 s[40:41], s[40:41], exec
.LBB1691_132:
	s_or_b64 exec, exec, s[36:37]
	s_and_b64 s[38:39], s[38:39], exec
	s_and_b64 s[36:37], s[40:41], exec
.LBB1691_133:
	s_or_b64 exec, exec, s[34:35]
	s_and_b64 s[34:35], s[38:39], exec
	s_and_b64 s[36:37], s[36:37], exec
.LBB1691_134:
	s_or_b64 exec, exec, s[30:31]
	s_and_b64 s[34:35], s[34:35], exec
	s_and_b64 s[30:31], s[36:37], exec
.LBB1691_135:
	s_or_b64 exec, exec, s[28:29]
	s_and_b64 s[28:29], s[34:35], exec
	s_and_b64 s[30:31], s[30:31], exec
.LBB1691_136:
	s_or_b64 exec, exec, s[26:27]
	s_and_b64 s[28:29], s[28:29], exec
	s_and_b64 s[26:27], s[30:31], exec
.LBB1691_137:
	s_or_b64 exec, exec, s[24:25]
	s_and_b64 s[24:25], s[28:29], exec
	s_and_b64 s[26:27], s[26:27], exec
.LBB1691_138:
	s_or_b64 exec, exec, s[22:23]
	s_and_b64 s[24:25], s[24:25], exec
	s_and_b64 s[22:23], s[26:27], exec
.LBB1691_139:
	s_or_b64 exec, exec, s[20:21]
	s_and_b64 s[20:21], s[24:25], exec
	s_and_b64 s[22:23], s[22:23], exec
.LBB1691_140:
	s_or_b64 exec, exec, s[18:19]
	s_and_b64 s[20:21], s[20:21], exec
	s_and_b64 s[18:19], s[22:23], exec
.LBB1691_141:
	s_or_b64 exec, exec, s[16:17]
	s_and_b64 s[16:17], s[20:21], exec
	s_and_b64 s[18:19], s[18:19], exec
.LBB1691_142:
	s_or_b64 exec, exec, s[14:15]
	s_and_b64 s[16:17], s[16:17], exec
	s_and_b64 s[14:15], s[18:19], exec
.LBB1691_143:
	s_or_b64 exec, exec, s[12:13]
	s_and_b64 s[12:13], s[16:17], exec
	s_and_b64 s[14:15], s[14:15], exec
.LBB1691_144:
	s_or_b64 exec, exec, s[10:11]
	s_and_b64 s[12:13], s[12:13], exec
	s_and_b64 s[10:11], s[14:15], exec
.LBB1691_145:
	s_or_b64 exec, exec, s[8:9]
	s_and_b64 s[8:9], s[12:13], exec
	s_and_b64 s[10:11], s[10:11], exec
.LBB1691_146:
	s_or_b64 exec, exec, s[6:7]
	s_mov_b32 s6, 0
	s_and_b64 vcc, exec, s[0:1]
	v_lshlrev_b32_e32 v12, 2, v0
	s_cbranch_vccz .LBB1691_152
.LBB1691_147:
	v_mov_b32_e32 v13, 0
	v_lshl_add_u64 v[6:7], v[4:5], 0, v[12:13]
	v_add_co_u32_e32 v8, vcc, 0x1000, v6
	s_movk_i32 s0, 0x58
	s_nop 0
	v_addc_co_u32_e32 v9, vcc, 0, v7, vcc
	flat_load_dword v1, v[6:7]
	flat_load_dword v16, v[6:7] offset:1024
	flat_load_dword v17, v[6:7] offset:2048
	;; [unrolled: 1-line block ×3, first 2 shown]
	flat_load_dword v19, v[8:9]
	flat_load_dword v20, v[8:9] offset:1024
	flat_load_dword v21, v[8:9] offset:2048
	;; [unrolled: 1-line block ×3, first 2 shown]
	v_add_co_u32_e32 v8, vcc, 0x2000, v6
	s_movk_i32 s10, 0x1000
	s_nop 0
	v_addc_co_u32_e32 v9, vcc, 0, v7, vcc
	v_add_co_u32_e32 v14, vcc, 0x3000, v6
	s_movk_i32 s9, 0x2000
	s_nop 0
	v_addc_co_u32_e32 v15, vcc, 0, v7, vcc
	flat_load_dword v23, v[8:9]
	flat_load_dword v24, v[8:9] offset:1024
	flat_load_dword v25, v[8:9] offset:2048
	;; [unrolled: 1-line block ×3, first 2 shown]
	flat_load_dword v27, v[14:15]
	flat_load_dword v28, v[14:15] offset:1024
	flat_load_dword v29, v[14:15] offset:2048
	flat_load_dword v30, v[14:15] offset:3072
	v_add_co_u32_e32 v8, vcc, 0x4000, v6
	s_movk_i32 s8, 0x3000
	s_nop 0
	v_addc_co_u32_e32 v9, vcc, 0, v7, vcc
	v_add_co_u32_e32 v6, vcc, 0x5000, v6
	s_movk_i32 s7, 0x4000
	s_nop 0
	v_addc_co_u32_e32 v7, vcc, 0, v7, vcc
	flat_load_dword v14, v[8:9]
	flat_load_dword v15, v[8:9] offset:1024
	flat_load_dword v31, v[8:9] offset:2048
	;; [unrolled: 1-line block ×3, first 2 shown]
	flat_load_dword v33, v[6:7]
	flat_load_dword v34, v[6:7] offset:1024
	flat_load_dword v35, v[6:7] offset:2048
	v_add_co_u32_e32 v4, vcc, 0x5000, v4
	s_movk_i32 s6, 0x5000
	s_nop 0
	v_addc_co_u32_e32 v5, vcc, 0, v5, vcc
	s_waitcnt vmcnt(0) lgkmcnt(0)
	ds_write2st64_b32 v12, v1, v16 offset1:4
	ds_write2st64_b32 v12, v17, v18 offset0:8 offset1:12
	ds_write2st64_b32 v12, v19, v20 offset0:16 offset1:20
	;; [unrolled: 1-line block ×10, first 2 shown]
	ds_write_b32 v12, v35 offset:22528
	s_waitcnt lgkmcnt(0)
	s_barrier
	flat_load_dword v74, v[4:5] offset:3072
	v_mad_u32_u24 v1, v0, s0, v12
	s_movk_i32 s0, 0xffa8
	v_mad_i32_i24 v30, v0, s0, v1
	s_movk_i32 s0, 0xff
	v_cmp_ne_u32_e32 vcc, s0, v0
	ds_read_b32 v50, v1
	ds_read2_b32 v[28:29], v1 offset0:1 offset1:2
	ds_read2_b32 v[26:27], v1 offset0:3 offset1:4
	;; [unrolled: 1-line block ×11, first 2 shown]
	s_waitcnt lgkmcnt(0)
	ds_write_b32 v30, v50 offset:24576
	s_waitcnt lgkmcnt(0)
	s_barrier
	s_and_saveexec_b64 s[0:1], vcc
	s_cbranch_execz .LBB1691_149
; %bb.148:
	s_waitcnt vmcnt(0)
	ds_read_b32 v74, v12 offset:24580
.LBB1691_149:
	s_or_b64 exec, exec, s[0:1]
	v_lshl_add_u64 v[2:3], v[2:3], 0, v[12:13]
	v_add_co_u32_e32 v30, vcc, s10, v2
	s_waitcnt lgkmcnt(0)
	s_nop 0
	v_addc_co_u32_e32 v31, vcc, 0, v3, vcc
	s_barrier
	flat_load_dword v13, v[2:3]
	flat_load_dword v34, v[2:3] offset:1024
	flat_load_dword v35, v[2:3] offset:2048
	;; [unrolled: 1-line block ×3, first 2 shown]
	flat_load_dword v37, v[30:31]
	flat_load_dword v38, v[30:31] offset:1024
	flat_load_dword v39, v[30:31] offset:2048
	;; [unrolled: 1-line block ×3, first 2 shown]
	v_add_co_u32_e32 v30, vcc, s9, v2
	v_cmp_eq_u32_e64 s[0:1], v50, v28
	s_nop 0
	v_addc_co_u32_e32 v31, vcc, 0, v3, vcc
	v_add_co_u32_e32 v32, vcc, s8, v2
	s_nop 1
	v_addc_co_u32_e32 v33, vcc, 0, v3, vcc
	flat_load_dword v41, v[30:31]
	flat_load_dword v42, v[30:31] offset:1024
	flat_load_dword v43, v[30:31] offset:2048
	;; [unrolled: 1-line block ×3, first 2 shown]
	flat_load_dword v45, v[32:33]
	flat_load_dword v46, v[32:33] offset:1024
	flat_load_dword v47, v[32:33] offset:2048
	;; [unrolled: 1-line block ×3, first 2 shown]
	v_add_co_u32_e32 v30, vcc, s7, v2
	s_nop 1
	v_addc_co_u32_e32 v31, vcc, 0, v3, vcc
	v_add_co_u32_e32 v2, vcc, s6, v2
	s_nop 1
	v_addc_co_u32_e32 v3, vcc, 0, v3, vcc
	flat_load_dword v32, v[30:31]
	flat_load_dword v33, v[30:31] offset:1024
	flat_load_dword v49, v[30:31] offset:2048
	;; [unrolled: 1-line block ×3, first 2 shown]
	flat_load_dword v52, v[2:3]
	flat_load_dword v53, v[2:3] offset:1024
	flat_load_dword v54, v[2:3] offset:2048
	v_cmp_ne_u32_e32 vcc, v50, v28
	v_mov_b32_e32 v50, s74
	s_waitcnt vmcnt(0) lgkmcnt(0)
	v_cvt_f32_u32_e32 v2, v13
	v_cvt_f32_u32_e32 v3, v34
	;; [unrolled: 1-line block ×8, first 2 shown]
	ds_write2st64_b32 v12, v2, v3 offset1:4
	ds_write2st64_b32 v12, v13, v30 offset0:8 offset1:12
	v_cvt_f32_u32_e32 v37, v41
	v_cvt_f32_u32_e32 v38, v42
	;; [unrolled: 1-line block ×15, first 2 shown]
	ds_write2st64_b32 v12, v31, v34 offset0:16 offset1:20
	ds_write2st64_b32 v12, v35, v36 offset0:24 offset1:28
	;; [unrolled: 1-line block ×9, first 2 shown]
	ds_write_b32 v12, v45 offset:22528
	s_waitcnt lgkmcnt(0)
	s_barrier
	ds_read2_b32 v[48:49], v1 offset0:1 offset1:2
	ds_read2_b32 v[46:47], v1 offset0:3 offset1:4
	;; [unrolled: 1-line block ×11, first 2 shown]
	s_and_saveexec_b64 s[6:7], s[0:1]
	s_cbranch_execz .LBB1691_151
; %bb.150:
	ds_read_b32 v50, v1
.LBB1691_151:
	s_or_b64 exec, exec, s[6:7]
	v_cmp_ne_u32_e64 s[8:9], v27, v24
	v_cmp_ne_u32_e64 s[42:43], v7, v4
	;; [unrolled: 1-line block ×3, first 2 shown]
	v_mov_b32_e32 v4, s74
	v_cndmask_b32_e64 v1, 0, 1, vcc
	v_cmp_ne_u32_e32 vcc, v28, v29
	v_cmp_ne_u32_e64 s[0:1], v29, v26
	v_cmp_ne_u32_e64 s[6:7], v26, v27
	v_cndmask_b32_e64 v55, 0, 1, s[8:9]
	v_cmp_ne_u32_e64 s[10:11], v24, v25
	v_cmp_ne_u32_e64 s[12:13], v25, v22
	;; [unrolled: 1-line block ×15, first 2 shown]
	s_waitcnt lgkmcnt(9)
	v_cndmask_b32_e64 v47, v47, v4, s[8:9]
	v_cmp_ne_u32_e64 s[8:9], v5, v74
	v_cndmask_b32_e64 v51, 0, 1, vcc
	v_cndmask_b32_e64 v52, 0, 1, s[0:1]
	v_cndmask_b32_e64 v53, 0, 1, s[6:7]
	;; [unrolled: 1-line block ×19, first 2 shown]
	v_cndmask_b32_e32 v48, v48, v4, vcc
	v_cndmask_b32_e64 v49, v49, v4, s[0:1]
	v_cndmask_b32_e64 v46, v46, v4, s[6:7]
	s_waitcnt lgkmcnt(8)
	v_cndmask_b32_e64 v44, v44, v4, s[10:11]
	v_cndmask_b32_e64 v45, v45, v4, s[12:13]
	s_waitcnt lgkmcnt(7)
	;; [unrolled: 3-line block ×9, first 2 shown]
	v_cndmask_b32_e64 v30, v2, v4, s[44:45]
	v_cndmask_b32_e64 v74, v3, v4, s[8:9]
	s_mov_b64 s[10:11], -1
                                        ; implicit-def: $sgpr6
                                        ; implicit-def: $sgpr68
.LBB1691_152:
	v_mov_b32_e32 v13, s68
	v_mov_b32_e32 v18, s6
	s_and_saveexec_b64 s[0:1], s[10:11]
; %bb.153:
	v_cndmask_b32_e64 v13, 0, 1, s[8:9]
	v_mov_b32_e32 v18, v74
; %bb.154:
	s_or_b64 exec, exec, s[0:1]
	v_or_b32_e32 v2, v13, v54
	s_cmp_lg_u32 s67, 0
	v_add_f32_e32 v21, v48, v50
	v_or_b32_e32 v20, v2, v73
	v_lshrrev_b32_e32 v19, 5, v0
	v_cmp_gt_u32_e32 vcc, 64, v0
	s_barrier
	s_cbranch_scc0 .LBB1691_217
; %bb.155:
	v_mov_b32_e32 v6, 0
	v_cmp_eq_u16_sdwa s[6:7], v51, v6 src0_sel:BYTE_0 src1_sel:DWORD
	v_cmp_eq_u16_sdwa s[8:9], v52, v6 src0_sel:BYTE_0 src1_sel:DWORD
	v_cmp_eq_u16_sdwa s[10:11], v53, v6 src0_sel:BYTE_0 src1_sel:DWORD
	v_cndmask_b32_e64 v2, v48, v21, s[6:7]
	v_add_f32_e32 v2, v49, v2
	v_cndmask_b32_e64 v2, v49, v2, s[8:9]
	v_add_f32_e32 v2, v46, v2
	v_cndmask_b32_e64 v2, v46, v2, s[10:11]
	v_add_f32_e32 v2, v47, v2
	v_cmp_eq_u16_sdwa s[12:13], v55, v6 src0_sel:BYTE_0 src1_sel:DWORD
	v_cmp_eq_u16_sdwa s[14:15], v56, v6 src0_sel:BYTE_0 src1_sel:DWORD
	v_cmp_eq_u16_sdwa s[16:17], v57, v6 src0_sel:BYTE_0 src1_sel:DWORD
	v_cndmask_b32_e64 v2, v47, v2, s[12:13]
	v_add_f32_e32 v2, v44, v2
	v_cndmask_b32_e64 v2, v44, v2, s[14:15]
	v_add_f32_e32 v2, v45, v2
	v_cndmask_b32_e64 v2, v45, v2, s[16:17]
	v_add_f32_e32 v2, v42, v2
	;; [unrolled: 9-line block ×7, first 2 shown]
	v_cmp_eq_u16_sdwa s[0:1], v13, v6 src0_sel:BYTE_0 src1_sel:DWORD
	v_and_b32_e32 v3, 0xff, v1
	s_nop 0
	v_cndmask_b32_e64 v22, v18, v2, s[0:1]
	v_or_b32_e32 v2, v20, v72
	v_or_b32_e32 v2, v2, v71
	;; [unrolled: 1-line block ×19, first 2 shown]
	v_and_b32_e32 v2, 1, v2
	v_cmp_eq_u32_e64 s[0:1], 1, v2
	v_add_lshl_u32 v2, v19, v0, 3
	s_nop 0
	v_cndmask_b32_e64 v23, v3, 1, s[0:1]
	ds_write_b32 v2, v22
	ds_write_b8 v2, v23 offset:4
	s_waitcnt lgkmcnt(0)
	s_barrier
	s_and_saveexec_b64 s[50:51], vcc
	s_cbranch_execz .LBB1691_169
; %bb.156:
	v_lshrrev_b32_e32 v2, 3, v0
	v_add_lshl_u32 v4, v2, v12, 3
	ds_read2_b32 v[8:9], v4 offset0:2 offset1:4
	ds_read_b64 v[2:3], v4
	ds_read_u8 v7, v4 offset:12
	ds_read_u8 v14, v4 offset:20
	ds_read_b32 v16, v4 offset:24
	ds_read_u8 v17, v4 offset:28
	s_waitcnt lgkmcnt(0)
	v_add_f32_e32 v5, v2, v8
	v_cmp_eq_u16_sdwa s[0:1], v7, v6 src0_sel:BYTE_0 src1_sel:DWORD
	v_and_b32_e32 v15, 0xffffff00, v3
	s_nop 0
	v_cndmask_b32_e64 v8, v8, v5, s[0:1]
	v_add_f32_e32 v8, v9, v8
	v_cmp_eq_u16_sdwa s[0:1], v14, v6 src0_sel:BYTE_0 src1_sel:DWORD
	v_and_b32_e32 v5, 1, v3
	s_nop 0
	v_cndmask_b32_e64 v6, v9, v8, s[0:1]
	v_or_b32_e32 v8, v17, v14
	v_or_b32_e32 v7, v8, v7
	v_add_f32_e32 v6, v16, v6
	v_cmp_eq_u16_e64 s[0:1], 0, v17
	v_and_b32_e32 v7, 1, v7
	s_nop 0
	v_cndmask_b32_e64 v6, v16, v6, s[0:1]
	v_cmp_eq_u32_e64 s[0:1], 1, v7
	v_mbcnt_lo_u32_b32 v7, -1, 0
	v_mbcnt_hi_u32_b32 v7, -1, v7
	v_cndmask_b32_e64 v9, v5, 1, s[0:1]
	v_or_b32_e32 v8, v9, v15
	v_and_b32_e32 v14, 15, v7
	v_mov_b32_dpp v17, v6 row_shr:1 row_mask:0xf bank_mask:0xf
	v_mov_b32_dpp v16, v8 row_shr:1 row_mask:0xf bank_mask:0xf
	v_cmp_ne_u32_e64 s[0:1], 0, v14
	s_and_saveexec_b64 s[56:57], s[0:1]
; %bb.157:
	v_add_f32_e32 v8, v6, v17
	v_cmp_eq_u32_e64 s[0:1], 0, v9
	s_nop 1
	v_cndmask_b32_e64 v6, v6, v8, s[0:1]
	v_and_b32_e32 v8, 1, v9
	v_and_b32_e32 v9, 1, v16
	v_cmp_eq_u32_e64 s[0:1], 1, v8
	s_nop 1
	v_cndmask_b32_e64 v9, v9, 1, s[0:1]
	v_or_b32_e32 v8, v9, v15
; %bb.158:
	s_or_b64 exec, exec, s[56:57]
	v_mov_b32_dpp v16, v6 row_shr:2 row_mask:0xf bank_mask:0xf
	v_mov_b32_dpp v15, v8 row_shr:2 row_mask:0xf bank_mask:0xf
	v_cmp_lt_u32_e64 s[0:1], 1, v14
	s_and_saveexec_b64 s[56:57], s[0:1]
; %bb.159:
	v_add_f32_e32 v16, v6, v16
	v_cmp_eq_u32_e64 s[0:1], 0, v9
	v_and_b32_e32 v9, 1, v9
	v_and_b32_e32 v15, 1, v15
	v_cndmask_b32_e64 v6, v6, v16, s[0:1]
	v_cmp_eq_u32_e64 s[0:1], 1, v9
	s_nop 1
	v_cndmask_b32_e64 v9, v15, 1, s[0:1]
	s_movk_i32 s0, 0xff00
	v_and_or_b32 v8, v8, s0, v9
; %bb.160:
	s_or_b64 exec, exec, s[56:57]
	v_mov_b32_dpp v16, v6 row_shr:4 row_mask:0xf bank_mask:0xf
	v_mov_b32_dpp v15, v8 row_shr:4 row_mask:0xf bank_mask:0xf
	v_cmp_lt_u32_e64 s[0:1], 3, v14
	s_and_saveexec_b64 s[56:57], s[0:1]
; %bb.161:
	v_add_f32_e32 v16, v6, v16
	v_cmp_eq_u32_e64 s[0:1], 0, v9
	v_and_b32_e32 v9, 1, v9
	v_and_b32_e32 v15, 1, v15
	v_cndmask_b32_e64 v6, v6, v16, s[0:1]
	v_cmp_eq_u32_e64 s[0:1], 1, v9
	s_nop 1
	v_cndmask_b32_e64 v9, v15, 1, s[0:1]
	s_movk_i32 s0, 0xff00
	v_and_or_b32 v8, v8, s0, v9
; %bb.162:
	s_or_b64 exec, exec, s[56:57]
	v_mov_b32_dpp v16, v6 row_shr:8 row_mask:0xf bank_mask:0xf
	v_mov_b32_dpp v15, v8 row_shr:8 row_mask:0xf bank_mask:0xf
	v_cmp_lt_u32_e64 s[0:1], 7, v14
	s_and_saveexec_b64 s[56:57], s[0:1]
; %bb.163:
	v_add_f32_e32 v14, v6, v16
	v_cmp_eq_u32_e64 s[0:1], 0, v9
	v_and_b32_e32 v9, 1, v9
	s_nop 0
	v_cndmask_b32_e64 v6, v6, v14, s[0:1]
	v_and_b32_e32 v14, 1, v15
	v_cmp_eq_u32_e64 s[0:1], 1, v9
	s_nop 1
	v_cndmask_b32_e64 v9, v14, 1, s[0:1]
	s_movk_i32 s0, 0xff00
	v_and_or_b32 v8, v8, s0, v9
; %bb.164:
	s_or_b64 exec, exec, s[56:57]
	v_and_b32_e32 v16, 16, v7
	v_mov_b32_dpp v15, v6 row_bcast:15 row_mask:0xf bank_mask:0xf
	v_mov_b32_dpp v14, v8 row_bcast:15 row_mask:0xf bank_mask:0xf
	v_cmp_ne_u32_e64 s[0:1], 0, v16
	s_and_saveexec_b64 s[56:57], s[0:1]
; %bb.165:
	v_add_f32_e32 v15, v6, v15
	v_cmp_eq_u32_e64 s[0:1], 0, v9
	v_and_b32_e32 v9, 1, v9
	v_and_b32_e32 v14, 1, v14
	v_cndmask_b32_e64 v6, v6, v15, s[0:1]
	v_cmp_eq_u32_e64 s[0:1], 1, v9
	s_nop 1
	v_cndmask_b32_e64 v9, v14, 1, s[0:1]
	s_movk_i32 s0, 0xff00
	v_and_or_b32 v8, v8, s0, v9
; %bb.166:
	s_or_b64 exec, exec, s[56:57]
	v_mov_b32_dpp v15, v6 row_bcast:31 row_mask:0xf bank_mask:0xf
	v_mov_b32_dpp v14, v8 row_bcast:31 row_mask:0xf bank_mask:0xf
	v_cmp_lt_u32_e64 s[0:1], 31, v7
	s_and_saveexec_b64 s[56:57], s[0:1]
; %bb.167:
	v_add_f32_e32 v15, v6, v15
	v_cmp_eq_u32_e64 s[0:1], 0, v9
	v_and_b32_e32 v9, 1, v9
	v_and_b32_e32 v14, 1, v14
	v_cndmask_b32_e64 v6, v6, v15, s[0:1]
	v_cmp_eq_u32_e64 s[0:1], 1, v9
	s_nop 1
	v_cndmask_b32_e64 v9, v14, 1, s[0:1]
	s_movk_i32 s0, 0xff00
	v_and_or_b32 v8, v8, s0, v9
; %bb.168:
	s_or_b64 exec, exec, s[56:57]
	v_add_u32_e32 v9, -1, v7
	v_and_b32_e32 v14, 64, v7
	v_cmp_lt_i32_e64 s[0:1], v9, v14
	; wave barrier
	s_nop 1
	v_cndmask_b32_e64 v7, v9, v7, s[0:1]
	v_lshlrev_b32_e32 v7, 2, v7
	ds_bpermute_b32 v6, v7, v6
	ds_bpermute_b32 v7, v7, v8
	v_mov_b32_e32 v8, 0
	v_cmp_eq_u32_sdwa s[0:1], v3, v8 src0_sel:BYTE_0 src1_sel:DWORD
	s_waitcnt lgkmcnt(0)
	v_add_f32_e32 v6, v2, v6
	v_cndmask_b32_e64 v2, v2, v6, s[0:1]
	v_and_b32_e32 v3, 1, v7
	v_cmp_eq_u32_e64 s[0:1], 1, v5
	v_cndmask_b32_e64 v5, v2, v22, s[52:53]
	s_nop 0
	v_cndmask_b32_e64 v3, v3, 1, s[0:1]
	v_cndmask_b32_e64 v6, v3, v23, s[52:53]
	ds_write_b32 v4, v5
	ds_write_b8 v4, v6 offset:4
	; wave barrier
	ds_read2_b32 v[2:3], v4 offset0:2 offset1:4
	ds_read_u8 v7, v4 offset:12
	ds_read_u8 v8, v4 offset:20
	ds_read_b32 v9, v4 offset:24
	ds_read_u8 v14, v4 offset:28
	s_waitcnt lgkmcnt(0)
	v_add_f32_e32 v5, v5, v2
	v_cmp_eq_u16_e64 s[0:1], 0, v7
	s_nop 1
	v_cndmask_b32_e64 v2, v2, v5, s[0:1]
	v_and_b32_e32 v5, 1, v7
	v_cmp_eq_u32_e64 s[0:1], 1, v5
	s_nop 1
	v_cndmask_b32_e64 v5, v6, 1, s[0:1]
	v_add_f32_e32 v6, v2, v3
	v_cmp_eq_u16_e64 s[0:1], 0, v8
	ds_write_b8 v4, v5 offset:12
	s_nop 0
	v_cndmask_b32_e64 v3, v3, v6, s[0:1]
	v_and_b32_e32 v6, 1, v8
	v_cmp_eq_u32_e64 s[0:1], 1, v6
	s_nop 1
	v_cndmask_b32_e64 v5, v5, 1, s[0:1]
	ds_write2_b32 v4, v2, v3 offset0:2 offset1:4
	ds_write_b8 v4, v5 offset:20
	v_add_f32_e32 v2, v3, v9
	v_cmp_eq_u16_e64 s[0:1], 0, v14
	v_and_b32_e32 v3, 1, v14
	s_nop 0
	v_cndmask_b32_e64 v2, v9, v2, s[0:1]
	v_cmp_eq_u32_e64 s[0:1], 1, v3
	s_nop 1
	v_cndmask_b32_e64 v3, v5, 1, s[0:1]
	ds_write_b32 v4, v2 offset:24
	ds_write_b8 v4, v3 offset:28
.LBB1691_169:
	s_or_b64 exec, exec, s[50:51]
	s_waitcnt lgkmcnt(0)
	s_barrier
	s_and_saveexec_b64 s[0:1], s[4:5]
	s_cbranch_execz .LBB1691_171
; %bb.170:
	v_add_u32_e32 v2, -1, v0
	v_lshrrev_b32_e32 v3, 5, v2
	v_add_lshl_u32 v2, v3, v2, 3
	ds_read_b32 v22, v2
	ds_read_u8 v23, v2 offset:4
.LBB1691_171:
	s_or_b64 exec, exec, s[0:1]
	s_and_saveexec_b64 s[0:1], vcc
	s_cbranch_execz .LBB1691_216
; %bb.172:
	v_mov_b32_e32 v5, 0
	ds_read_b64 v[2:3], v5 offset:2096
	v_mbcnt_lo_u32_b32 v4, -1, 0
	v_mbcnt_hi_u32_b32 v15, -1, v4
	s_mov_b32 s59, 0
	v_cmp_eq_u32_e64 s[50:51], 0, v15
	s_waitcnt lgkmcnt(0)
	v_readfirstlane_b32 s60, v3
	s_and_saveexec_b64 s[56:57], s[50:51]
	s_cbranch_execz .LBB1691_174
; %bb.173:
	s_add_i32 s58, s67, 64
	s_lshl_b64 s[68:69], s[58:59], 4
	s_add_u32 s68, s64, s68
	s_addc_u32 s69, s65, s69
	s_and_b32 s77, s60, 0xff000000
	s_mov_b32 s76, s59
	s_and_b32 s79, s60, 0xff0000
	s_mov_b32 s78, s59
	s_or_b64 s[76:77], s[78:79], s[76:77]
	s_and_b32 s79, s60, 0xff00
	s_or_b64 s[76:77], s[76:77], s[78:79]
	s_and_b32 s79, s60, 0xff
	s_or_b64 s[58:59], s[76:77], s[78:79]
	v_mov_b32_e32 v3, s59
	v_mov_b32_e32 v4, 1
	v_mov_b64_e32 v[6:7], s[68:69]
	;;#ASMSTART
	global_store_dwordx4 v[6:7], v[2:5] off sc1	
s_waitcnt vmcnt(0)
	;;#ASMEND
.LBB1691_174:
	s_or_b64 exec, exec, s[56:57]
	v_xad_u32 v14, v15, -1, s67
	v_add_u32_e32 v4, 64, v14
	v_lshl_add_u64 v[16:17], v[4:5], 4, s[64:65]
	;;#ASMSTART
	global_load_dwordx4 v[6:9], v[16:17] off sc1	
s_waitcnt vmcnt(0)
	;;#ASMEND
	s_nop 0
	v_cmp_eq_u16_sdwa s[58:59], v8, v5 src0_sel:BYTE_0 src1_sel:DWORD
	s_and_saveexec_b64 s[56:57], s[58:59]
	s_cbranch_execz .LBB1691_180
; %bb.175:
	s_mov_b32 s61, 1
	s_mov_b64 s[58:59], 0
	v_mov_b32_e32 v3, 0
.LBB1691_176:                           ; =>This Loop Header: Depth=1
                                        ;     Child Loop BB1691_177 Depth 2
	s_max_u32 s68, s61, 1
.LBB1691_177:                           ;   Parent Loop BB1691_176 Depth=1
                                        ; =>  This Inner Loop Header: Depth=2
	s_add_i32 s68, s68, -1
	s_cmp_eq_u32 s68, 0
	s_sleep 1
	s_cbranch_scc0 .LBB1691_177
; %bb.178:                              ;   in Loop: Header=BB1691_176 Depth=1
	s_cmp_lt_u32 s61, 32
	s_cselect_b64 s[68:69], -1, 0
	s_cmp_lg_u64 s[68:69], 0
	s_addc_u32 s61, s61, 0
	;;#ASMSTART
	global_load_dwordx4 v[6:9], v[16:17] off sc1	
s_waitcnt vmcnt(0)
	;;#ASMEND
	s_nop 0
	v_cmp_ne_u16_sdwa s[68:69], v8, v3 src0_sel:BYTE_0 src1_sel:DWORD
	s_or_b64 s[58:59], s[68:69], s[58:59]
	s_andn2_b64 exec, exec, s[58:59]
	s_cbranch_execnz .LBB1691_176
; %bb.179:
	s_or_b64 exec, exec, s[58:59]
.LBB1691_180:
	s_or_b64 exec, exec, s[56:57]
	v_mov_b32_e32 v3, 2
	v_cmp_eq_u16_sdwa s[56:57], v8, v3 src0_sel:BYTE_0 src1_sel:DWORD
	v_lshlrev_b64 v[4:5], v15, -1
	v_and_b32_e32 v16, 0xff, v7
	v_and_b32_e32 v3, s57, v5
	v_or_b32_e32 v3, 0x80000000, v3
	v_ffbl_b32_e32 v26, v3
	v_and_b32_e32 v3, 63, v15
	v_cmp_ne_u32_e32 vcc, 63, v3
	v_and_b32_e32 v9, s56, v4
	v_add_u32_e32 v26, 32, v26
	v_addc_co_u32_e32 v17, vcc, 0, v15, vcc
	v_lshlrev_b32_e32 v24, 2, v17
	ds_bpermute_b32 v25, v24, v6
	ds_bpermute_b32 v17, v24, v16
	v_ffbl_b32_e32 v9, v9
	v_min_u32_e32 v9, v9, v26
	v_cmp_lt_u32_e32 vcc, v3, v9
	s_and_saveexec_b64 s[56:57], vcc
	s_cbranch_execz .LBB1691_182
; %bb.181:
	v_mov_b32_e32 v16, 0
	s_waitcnt lgkmcnt(0)
	v_add_f32_e32 v25, v6, v25
	v_cmp_eq_u16_sdwa vcc, v7, v16 src0_sel:BYTE_0 src1_sel:DWORD
	v_and_b32_e32 v7, 1, v7
	v_and_b32_e32 v16, 1, v17
	v_cndmask_b32_e32 v6, v6, v25, vcc
	v_cmp_eq_u32_e32 vcc, 1, v7
	s_nop 1
	v_cndmask_b32_e64 v7, v16, 1, vcc
	v_and_b32_e32 v16, 0xffff, v7
.LBB1691_182:
	s_or_b64 exec, exec, s[56:57]
	v_cmp_gt_u32_e32 vcc, 62, v3
	v_add_u32_e32 v26, 2, v3
	s_waitcnt lgkmcnt(0)
	v_cndmask_b32_e64 v17, 0, 1, vcc
	v_lshlrev_b32_e32 v17, 1, v17
	v_add_lshl_u32 v25, v17, v15, 2
	ds_bpermute_b32 v27, v25, v6
	ds_bpermute_b32 v17, v25, v16
	v_cmp_le_u32_e32 vcc, v26, v9
	s_and_saveexec_b64 s[56:57], vcc
	s_cbranch_execz .LBB1691_184
; %bb.183:
	v_mov_b32_e32 v16, 0
	s_waitcnt lgkmcnt(0)
	v_add_f32_e32 v27, v6, v27
	v_cmp_eq_u16_sdwa vcc, v7, v16 src0_sel:BYTE_0 src1_sel:DWORD
	v_and_b32_e32 v7, 1, v7
	v_and_b32_e32 v16, 1, v17
	v_cndmask_b32_e32 v6, v6, v27, vcc
	v_cmp_eq_u32_e32 vcc, 1, v7
	s_nop 1
	v_cndmask_b32_e64 v7, v16, 1, vcc
	v_and_b32_e32 v16, 0xffff, v7
.LBB1691_184:
	s_or_b64 exec, exec, s[56:57]
	v_cmp_gt_u32_e32 vcc, 60, v3
	v_add_u32_e32 v28, 4, v3
	s_waitcnt lgkmcnt(0)
	v_cndmask_b32_e64 v17, 0, 1, vcc
	v_lshlrev_b32_e32 v17, 2, v17
	v_add_lshl_u32 v27, v17, v15, 2
	ds_bpermute_b32 v29, v27, v6
	ds_bpermute_b32 v17, v27, v16
	v_cmp_le_u32_e32 vcc, v28, v9
	s_and_saveexec_b64 s[56:57], vcc
	s_cbranch_execz .LBB1691_186
; %bb.185:
	v_mov_b32_e32 v16, 0
	s_waitcnt lgkmcnt(0)
	v_add_f32_e32 v29, v6, v29
	v_cmp_eq_u16_sdwa vcc, v7, v16 src0_sel:BYTE_0 src1_sel:DWORD
	v_and_b32_e32 v7, 1, v7
	v_and_b32_e32 v16, 1, v17
	v_cndmask_b32_e32 v6, v6, v29, vcc
	v_cmp_eq_u32_e32 vcc, 1, v7
	s_nop 1
	v_cndmask_b32_e64 v7, v16, 1, vcc
	v_and_b32_e32 v16, 0xffff, v7
.LBB1691_186:
	s_or_b64 exec, exec, s[56:57]
	v_cmp_gt_u32_e32 vcc, 56, v3
	v_add_u32_e32 v31, 8, v3
	s_waitcnt lgkmcnt(0)
	v_cndmask_b32_e64 v17, 0, 1, vcc
	v_lshlrev_b32_e32 v17, 3, v17
	v_add_lshl_u32 v29, v17, v15, 2
	ds_bpermute_b32 v74, v29, v6
	ds_bpermute_b32 v17, v29, v16
	v_cmp_le_u32_e32 vcc, v31, v9
	s_and_saveexec_b64 s[56:57], vcc
	s_cbranch_execz .LBB1691_188
; %bb.187:
	v_mov_b32_e32 v16, 0
	s_waitcnt lgkmcnt(0)
	v_add_f32_e32 v74, v6, v74
	v_cmp_eq_u16_sdwa vcc, v7, v16 src0_sel:BYTE_0 src1_sel:DWORD
	v_and_b32_e32 v7, 1, v7
	v_and_b32_e32 v16, 1, v17
	v_cndmask_b32_e32 v6, v6, v74, vcc
	v_cmp_eq_u32_e32 vcc, 1, v7
	s_nop 1
	v_cndmask_b32_e64 v7, v16, 1, vcc
	v_and_b32_e32 v16, 0xffff, v7
.LBB1691_188:
	s_or_b64 exec, exec, s[56:57]
	v_cmp_gt_u32_e32 vcc, 48, v3
	s_waitcnt vmcnt(0)
	v_add_u32_e32 v75, 16, v3
	s_waitcnt lgkmcnt(0)
	v_cndmask_b32_e64 v17, 0, 1, vcc
	v_lshlrev_b32_e32 v17, 4, v17
	v_add_lshl_u32 v74, v17, v15, 2
	ds_bpermute_b32 v76, v74, v6
	ds_bpermute_b32 v17, v74, v16
	v_cmp_le_u32_e32 vcc, v75, v9
	s_and_saveexec_b64 s[56:57], vcc
	s_cbranch_execz .LBB1691_190
; %bb.189:
	v_mov_b32_e32 v16, 0
	s_waitcnt lgkmcnt(1)
	v_add_f32_e32 v76, v6, v76
	v_cmp_eq_u16_sdwa vcc, v7, v16 src0_sel:BYTE_0 src1_sel:DWORD
	v_and_b32_e32 v7, 1, v7
	s_waitcnt lgkmcnt(0)
	v_and_b32_e32 v16, 1, v17
	v_cndmask_b32_e32 v6, v6, v76, vcc
	v_cmp_eq_u32_e32 vcc, 1, v7
	s_nop 1
	v_cndmask_b32_e64 v7, v16, 1, vcc
	v_and_b32_e32 v16, 0xffff, v7
.LBB1691_190:
	s_or_b64 exec, exec, s[56:57]
	v_cmp_gt_u32_e32 vcc, 32, v3
	v_add_u32_e32 v79, 32, v3
	s_waitcnt lgkmcnt(0)
	v_cndmask_b32_e64 v17, 0, 1, vcc
	v_lshlrev_b32_e32 v17, 5, v17
	v_add_lshl_u32 v77, v17, v15, 2
	ds_bpermute_b32 v17, v77, v6
	ds_bpermute_b32 v15, v77, v16
	v_cmp_le_u32_e32 vcc, v79, v9
	s_and_saveexec_b64 s[56:57], vcc
	s_cbranch_execz .LBB1691_192
; %bb.191:
	v_mov_b32_e32 v9, 0
	s_waitcnt lgkmcnt(1)
	v_add_f32_e32 v16, v6, v17
	v_cmp_eq_u16_sdwa vcc, v7, v9 src0_sel:BYTE_0 src1_sel:DWORD
	v_and_b32_e32 v7, 1, v7
	s_waitcnt lgkmcnt(0)
	v_and_b32_e32 v9, 1, v15
	v_cndmask_b32_e32 v6, v6, v16, vcc
	v_cmp_eq_u32_e32 vcc, 1, v7
	s_nop 1
	v_cndmask_b32_e64 v7, v9, 1, vcc
.LBB1691_192:
	s_or_b64 exec, exec, s[56:57]
	s_waitcnt lgkmcnt(0)
	v_mov_b32_e32 v15, 0
	v_mov_b32_e32 v80, 2
	s_branch .LBB1691_194
.LBB1691_193:                           ;   in Loop: Header=BB1691_194 Depth=1
	s_or_b64 exec, exec, s[56:57]
	s_waitcnt lgkmcnt(0)
	ds_bpermute_b32 v17, v77, v6
	ds_bpermute_b32 v16, v77, v16
	v_and_b32_e32 v81, 1, v7
	v_cmp_eq_u16_sdwa vcc, v7, v15 src0_sel:BYTE_0 src1_sel:DWORD
	v_subrev_u32_e32 v14, 64, v14
	s_waitcnt lgkmcnt(1)
	v_add_f32_e32 v17, v6, v17
	v_cndmask_b32_e32 v17, v6, v17, vcc
	v_cmp_eq_u32_e32 vcc, 1, v81
	s_waitcnt lgkmcnt(0)
	s_nop 0
	v_cndmask_b32_e64 v16, v16, 1, vcc
	v_cmp_gt_u32_e32 vcc, v79, v9
	v_and_b32_e32 v9, 1, v76
	s_nop 0
	v_cndmask_b32_e32 v6, v17, v6, vcc
	v_cndmask_b32_e32 v7, v16, v7, vcc
	v_add_f32_e32 v6, v78, v6
	v_cmp_eq_u16_sdwa vcc, v76, v15 src0_sel:BYTE_0 src1_sel:DWORD
	v_and_b32_e32 v7, 1, v7
	s_nop 0
	v_cndmask_b32_e32 v6, v78, v6, vcc
	v_cmp_eq_u32_e32 vcc, 1, v9
	s_nop 1
	v_cndmask_b32_e64 v7, v7, 1, vcc
.LBB1691_194:                           ; =>This Loop Header: Depth=1
                                        ;     Child Loop BB1691_197 Depth 2
                                        ;       Child Loop BB1691_198 Depth 3
	v_cmp_ne_u16_sdwa s[56:57], v8, v80 src0_sel:BYTE_0 src1_sel:DWORD
	v_mov_b32_e32 v76, v7
	v_mov_b32_e32 v78, v6
	v_cndmask_b32_e64 v7, 0, 1, s[56:57]
	;;#ASMSTART
	;;#ASMEND
	s_nop 0
	v_cmp_ne_u32_e32 vcc, 0, v7
	s_cmp_lg_u64 vcc, exec
	s_cbranch_scc1 .LBB1691_211
; %bb.195:                              ;   in Loop: Header=BB1691_194 Depth=1
	v_lshl_add_u64 v[16:17], v[14:15], 4, s[64:65]
	;;#ASMSTART
	global_load_dwordx4 v[6:9], v[16:17] off sc1	
s_waitcnt vmcnt(0)
	;;#ASMEND
	s_nop 0
	v_cmp_eq_u16_sdwa s[58:59], v8, v15 src0_sel:BYTE_0 src1_sel:DWORD
	s_and_saveexec_b64 s[56:57], s[58:59]
	s_cbranch_execz .LBB1691_201
; %bb.196:                              ;   in Loop: Header=BB1691_194 Depth=1
	s_mov_b32 s61, 1
	s_mov_b64 s[58:59], 0
.LBB1691_197:                           ;   Parent Loop BB1691_194 Depth=1
                                        ; =>  This Loop Header: Depth=2
                                        ;       Child Loop BB1691_198 Depth 3
	s_max_u32 s68, s61, 1
.LBB1691_198:                           ;   Parent Loop BB1691_194 Depth=1
                                        ;     Parent Loop BB1691_197 Depth=2
                                        ; =>    This Inner Loop Header: Depth=3
	s_add_i32 s68, s68, -1
	s_cmp_eq_u32 s68, 0
	s_sleep 1
	s_cbranch_scc0 .LBB1691_198
; %bb.199:                              ;   in Loop: Header=BB1691_197 Depth=2
	s_cmp_lt_u32 s61, 32
	s_cselect_b64 s[68:69], -1, 0
	s_cmp_lg_u64 s[68:69], 0
	s_addc_u32 s61, s61, 0
	;;#ASMSTART
	global_load_dwordx4 v[6:9], v[16:17] off sc1	
s_waitcnt vmcnt(0)
	;;#ASMEND
	s_nop 0
	v_cmp_ne_u16_sdwa s[68:69], v8, v15 src0_sel:BYTE_0 src1_sel:DWORD
	s_or_b64 s[58:59], s[68:69], s[58:59]
	s_andn2_b64 exec, exec, s[58:59]
	s_cbranch_execnz .LBB1691_197
; %bb.200:                              ;   in Loop: Header=BB1691_194 Depth=1
	s_or_b64 exec, exec, s[58:59]
.LBB1691_201:                           ;   in Loop: Header=BB1691_194 Depth=1
	s_or_b64 exec, exec, s[56:57]
	v_cmp_eq_u16_sdwa s[56:57], v8, v80 src0_sel:BYTE_0 src1_sel:DWORD
	v_and_b32_e32 v16, 0xff, v7
	ds_bpermute_b32 v81, v24, v6
	v_and_b32_e32 v9, s57, v5
	v_or_b32_e32 v9, 0x80000000, v9
	ds_bpermute_b32 v17, v24, v16
	v_and_b32_e32 v82, s56, v4
	v_ffbl_b32_e32 v9, v9
	v_add_u32_e32 v9, 32, v9
	v_ffbl_b32_e32 v82, v82
	v_min_u32_e32 v9, v82, v9
	v_cmp_lt_u32_e32 vcc, v3, v9
	s_and_saveexec_b64 s[56:57], vcc
	s_cbranch_execz .LBB1691_203
; %bb.202:                              ;   in Loop: Header=BB1691_194 Depth=1
	s_waitcnt lgkmcnt(1)
	v_add_f32_e32 v16, v6, v81
	v_cmp_eq_u16_sdwa vcc, v7, v15 src0_sel:BYTE_0 src1_sel:DWORD
	v_and_b32_e32 v7, 1, v7
	s_nop 0
	v_cndmask_b32_e32 v6, v6, v16, vcc
	s_waitcnt lgkmcnt(0)
	v_and_b32_e32 v16, 1, v17
	v_cmp_eq_u32_e32 vcc, 1, v7
	s_nop 1
	v_cndmask_b32_e64 v7, v16, 1, vcc
	v_and_b32_e32 v16, 0xffff, v7
.LBB1691_203:                           ;   in Loop: Header=BB1691_194 Depth=1
	s_or_b64 exec, exec, s[56:57]
	s_waitcnt lgkmcnt(1)
	ds_bpermute_b32 v81, v25, v6
	s_waitcnt lgkmcnt(1)
	ds_bpermute_b32 v17, v25, v16
	v_cmp_le_u32_e32 vcc, v26, v9
	s_and_saveexec_b64 s[56:57], vcc
	s_cbranch_execz .LBB1691_205
; %bb.204:                              ;   in Loop: Header=BB1691_194 Depth=1
	s_waitcnt lgkmcnt(1)
	v_add_f32_e32 v16, v6, v81
	v_cmp_eq_u16_sdwa vcc, v7, v15 src0_sel:BYTE_0 src1_sel:DWORD
	v_and_b32_e32 v7, 1, v7
	s_nop 0
	v_cndmask_b32_e32 v6, v6, v16, vcc
	s_waitcnt lgkmcnt(0)
	v_and_b32_e32 v16, 1, v17
	v_cmp_eq_u32_e32 vcc, 1, v7
	s_nop 1
	v_cndmask_b32_e64 v7, v16, 1, vcc
	v_and_b32_e32 v16, 0xffff, v7
.LBB1691_205:                           ;   in Loop: Header=BB1691_194 Depth=1
	s_or_b64 exec, exec, s[56:57]
	s_waitcnt lgkmcnt(1)
	ds_bpermute_b32 v81, v27, v6
	s_waitcnt lgkmcnt(1)
	ds_bpermute_b32 v17, v27, v16
	v_cmp_le_u32_e32 vcc, v28, v9
	;; [unrolled: 22-line block ×4, first 2 shown]
	s_and_saveexec_b64 s[56:57], vcc
	s_cbranch_execz .LBB1691_193
; %bb.210:                              ;   in Loop: Header=BB1691_194 Depth=1
	s_waitcnt lgkmcnt(1)
	v_add_f32_e32 v16, v6, v81
	v_cmp_eq_u16_sdwa vcc, v7, v15 src0_sel:BYTE_0 src1_sel:DWORD
	v_and_b32_e32 v7, 1, v7
	s_nop 0
	v_cndmask_b32_e32 v6, v6, v16, vcc
	s_waitcnt lgkmcnt(0)
	v_and_b32_e32 v16, 1, v17
	v_cmp_eq_u32_e32 vcc, 1, v7
	s_nop 1
	v_cndmask_b32_e64 v7, v16, 1, vcc
	v_and_b32_e32 v16, 0xffff, v7
	s_branch .LBB1691_193
.LBB1691_211:                           ;   in Loop: Header=BB1691_194 Depth=1
                                        ; implicit-def: $vgpr7
	s_cbranch_execz .LBB1691_194
; %bb.212:
	s_and_saveexec_b64 s[56:57], s[50:51]
	s_cbranch_execz .LBB1691_214
; %bb.213:
	s_and_b32 s50, s60, 0xff
	s_cmp_eq_u32 s50, 0
	s_cselect_b64 vcc, -1, 0
	s_bitcmp1_b32 s60, 0
	s_mov_b32 s51, 0
	s_cselect_b64 s[58:59], -1, 0
	s_add_i32 s50, s67, 64
	s_lshl_b64 s[50:51], s[50:51], 4
	v_add_f32_e32 v3, v78, v2
	s_add_u32 s50, s64, s50
	v_cndmask_b32_e32 v2, v2, v3, vcc
	v_and_b32_e32 v3, 1, v76
	s_addc_u32 s51, s65, s51
	v_cndmask_b32_e64 v3, v3, 1, s[58:59]
	v_mov_b32_e32 v4, 2
	v_mov_b32_e32 v5, 0
	v_mov_b64_e32 v[6:7], s[50:51]
	;;#ASMSTART
	global_store_dwordx4 v[6:7], v[2:5] off sc1	
s_waitcnt vmcnt(0)
	;;#ASMEND
.LBB1691_214:
	s_or_b64 exec, exec, s[56:57]
	s_and_b64 exec, exec, s[52:53]
	s_cbranch_execz .LBB1691_216
; %bb.215:
	v_mov_b32_e32 v2, 0
	ds_write_b32 v2, v78
	ds_write_b8 v2, v76 offset:4
.LBB1691_216:
	s_or_b64 exec, exec, s[0:1]
	v_mov_b32_e32 v2, 0
	s_waitcnt lgkmcnt(0)
	s_barrier
	ds_read_b32 v3, v2
	v_cmp_eq_u32_e32 vcc, 0, v23
	s_waitcnt lgkmcnt(0)
	v_add_f32_e32 v4, v22, v3
	v_cndmask_b32_e32 v4, v22, v4, vcc
	v_cndmask_b32_e64 v31, v4, v3, s[52:53]
	v_add_f32_e32 v3, v50, v31
	v_cmp_eq_u16_sdwa vcc, v1, v2 src0_sel:BYTE_0 src1_sel:DWORD
	s_nop 1
	v_cndmask_b32_e32 v74, v50, v3, vcc
	v_add_f32_e32 v2, v48, v74
	s_waitcnt vmcnt(0)
	v_cndmask_b32_e64 v75, v48, v2, s[6:7]
	v_add_f32_e32 v2, v49, v75
	v_cndmask_b32_e64 v76, v49, v2, s[8:9]
	v_add_f32_e32 v2, v46, v76
	;; [unrolled: 2-line block ×20, first 2 shown]
	v_cndmask_b32_e64 v95, v30, v2, s[48:49]
	s_branch .LBB1691_239
.LBB1691_217:
                                        ; implicit-def: $vgpr94
                                        ; implicit-def: $vgpr93
                                        ; implicit-def: $vgpr92
                                        ; implicit-def: $vgpr91
                                        ; implicit-def: $vgpr90
                                        ; implicit-def: $vgpr89
                                        ; implicit-def: $vgpr88
                                        ; implicit-def: $vgpr87
                                        ; implicit-def: $vgpr86
                                        ; implicit-def: $vgpr85
                                        ; implicit-def: $vgpr84
                                        ; implicit-def: $vgpr83
                                        ; implicit-def: $vgpr82
                                        ; implicit-def: $vgpr81
                                        ; implicit-def: $vgpr80
                                        ; implicit-def: $vgpr79
                                        ; implicit-def: $vgpr78
                                        ; implicit-def: $vgpr77
                                        ; implicit-def: $vgpr76
                                        ; implicit-def: $vgpr75
                                        ; implicit-def: $vgpr74
                                        ; implicit-def: $vgpr31
                                        ; implicit-def: $vgpr95
	s_cbranch_execz .LBB1691_239
; %bb.218:
	s_cmp_lg_u64 s[72:73], 0
	s_cselect_b32 s1, s71, 0
	s_cselect_b32 s0, s70, 0
	s_cmp_eq_u64 s[0:1], 0
	v_mov_b32_e32 v4, s74
	s_cbranch_scc1 .LBB1691_220
; %bb.219:
	v_mov_b32_e32 v2, 0
	global_load_dword v4, v2, s[0:1]
.LBB1691_220:
	v_mov_b32_e32 v9, 0
	v_cmp_eq_u16_sdwa vcc, v51, v9 src0_sel:BYTE_0 src1_sel:DWORD
	v_cmp_eq_u16_sdwa s[6:7], v52, v9 src0_sel:BYTE_0 src1_sel:DWORD
	v_cmp_eq_u16_sdwa s[8:9], v53, v9 src0_sel:BYTE_0 src1_sel:DWORD
	v_cndmask_b32_e32 v2, v48, v21, vcc
	v_add_f32_e32 v2, v49, v2
	v_cndmask_b32_e64 v2, v49, v2, s[6:7]
	v_add_f32_e32 v2, v46, v2
	v_cndmask_b32_e64 v2, v46, v2, s[8:9]
	v_add_f32_e32 v2, v47, v2
	v_cmp_eq_u16_sdwa s[10:11], v55, v9 src0_sel:BYTE_0 src1_sel:DWORD
	v_cmp_eq_u16_sdwa s[12:13], v56, v9 src0_sel:BYTE_0 src1_sel:DWORD
	v_cmp_eq_u16_sdwa s[14:15], v57, v9 src0_sel:BYTE_0 src1_sel:DWORD
	v_cndmask_b32_e64 v2, v47, v2, s[10:11]
	v_add_f32_e32 v2, v44, v2
	v_cndmask_b32_e64 v2, v44, v2, s[12:13]
	v_add_f32_e32 v2, v45, v2
	v_cndmask_b32_e64 v2, v45, v2, s[14:15]
	v_add_f32_e32 v2, v42, v2
	v_cmp_eq_u16_sdwa s[18:19], v58, v9 src0_sel:BYTE_0 src1_sel:DWORD
	v_cmp_eq_u16_sdwa s[20:21], v59, v9 src0_sel:BYTE_0 src1_sel:DWORD
	v_cmp_eq_u16_sdwa s[22:23], v61, v9 src0_sel:BYTE_0 src1_sel:DWORD
	v_cndmask_b32_e64 v2, v42, v2, s[18:19]
	;; [unrolled: 9-line block ×6, first 2 shown]
	v_add_f32_e32 v2, v62, v2
	v_cndmask_b32_e64 v2, v62, v2, s[46:47]
	v_add_f32_e32 v2, v30, v2
	v_cndmask_b32_e64 v2, v30, v2, s[16:17]
	v_add_f32_e32 v2, v18, v2
	v_cmp_eq_u16_sdwa s[0:1], v13, v9 src0_sel:BYTE_0 src1_sel:DWORD
	v_and_b32_e32 v3, 0xff, v1
	s_nop 0
	v_cndmask_b32_e64 v6, v18, v2, s[0:1]
	v_or_b32_e32 v2, v20, v72
	v_or_b32_e32 v2, v2, v71
	v_or_b32_e32 v2, v2, v70
	v_or_b32_e32 v2, v2, v69
	v_or_b32_e32 v2, v2, v68
	v_or_b32_e32 v2, v2, v67
	v_or_b32_e32 v2, v2, v66
	v_or_b32_e32 v2, v2, v65
	v_or_b32_e32 v2, v2, v64
	v_or_b32_e32 v2, v2, v63
	v_or_b32_e32 v2, v2, v61
	v_or_b32_e32 v2, v2, v59
	v_or_b32_e32 v2, v2, v58
	v_or_b32_e32 v2, v2, v57
	v_or_b32_e32 v2, v2, v56
	v_or_b32_e32 v2, v2, v55
	v_or_b32_e32 v2, v2, v53
	v_or_b32_e32 v2, v2, v52
	v_or_b32_e32 v2, v2, v51
	v_and_b32_e32 v2, 1, v2
	v_cmp_eq_u32_e64 s[0:1], 1, v2
	v_add_lshl_u32 v2, v19, v0, 3
	s_nop 0
	v_cndmask_b32_e64 v7, v3, 1, s[0:1]
	v_cmp_gt_u32_e64 s[0:1], 64, v0
	ds_write_b32 v2, v6
	ds_write_b8 v2, v7 offset:4
	s_waitcnt lgkmcnt(0)
	s_barrier
	s_and_saveexec_b64 s[48:49], s[0:1]
	s_cbranch_execz .LBB1691_234
; %bb.221:
	v_lshrrev_b32_e32 v2, 3, v0
	v_add_lshl_u32 v5, v2, v12, 3
	ds_read2_b32 v[14:15], v5 offset0:2 offset1:4
	ds_read_b64 v[2:3], v5
	ds_read_u8 v13, v5 offset:12
	ds_read_u8 v16, v5 offset:20
	ds_read_b32 v18, v5 offset:24
	ds_read_u8 v19, v5 offset:28
	s_waitcnt lgkmcnt(0)
	v_add_f32_e32 v8, v2, v14
	v_cmp_eq_u16_sdwa s[0:1], v13, v9 src0_sel:BYTE_0 src1_sel:DWORD
	v_and_b32_e32 v17, 0xffffff00, v3
	s_nop 0
	v_cndmask_b32_e64 v14, v14, v8, s[0:1]
	v_add_f32_e32 v14, v15, v14
	v_cmp_eq_u16_sdwa s[0:1], v16, v9 src0_sel:BYTE_0 src1_sel:DWORD
	v_and_b32_e32 v8, 1, v3
	s_nop 0
	v_cndmask_b32_e64 v9, v15, v14, s[0:1]
	v_or_b32_e32 v14, v19, v16
	v_or_b32_e32 v13, v14, v13
	v_add_f32_e32 v9, v18, v9
	v_cmp_eq_u16_e64 s[0:1], 0, v19
	v_and_b32_e32 v13, 1, v13
	s_nop 0
	v_cndmask_b32_e64 v9, v18, v9, s[0:1]
	v_cmp_eq_u32_e64 s[0:1], 1, v13
	v_mbcnt_lo_u32_b32 v13, -1, 0
	v_mbcnt_hi_u32_b32 v13, -1, v13
	v_cndmask_b32_e64 v15, v8, 1, s[0:1]
	v_or_b32_e32 v14, v15, v17
	v_and_b32_e32 v16, 15, v13
	v_mov_b32_dpp v19, v9 row_shr:1 row_mask:0xf bank_mask:0xf
	v_mov_b32_dpp v18, v14 row_shr:1 row_mask:0xf bank_mask:0xf
	v_cmp_ne_u32_e64 s[0:1], 0, v16
	s_and_saveexec_b64 s[50:51], s[0:1]
; %bb.222:
	v_add_f32_e32 v14, v9, v19
	v_cmp_eq_u32_e64 s[0:1], 0, v15
	s_nop 1
	v_cndmask_b32_e64 v9, v9, v14, s[0:1]
	v_and_b32_e32 v14, 1, v15
	v_and_b32_e32 v15, 1, v18
	v_cmp_eq_u32_e64 s[0:1], 1, v14
	s_nop 1
	v_cndmask_b32_e64 v15, v15, 1, s[0:1]
	v_or_b32_e32 v14, v15, v17
; %bb.223:
	s_or_b64 exec, exec, s[50:51]
	v_mov_b32_dpp v18, v9 row_shr:2 row_mask:0xf bank_mask:0xf
	v_mov_b32_dpp v17, v14 row_shr:2 row_mask:0xf bank_mask:0xf
	v_cmp_lt_u32_e64 s[0:1], 1, v16
	s_and_saveexec_b64 s[50:51], s[0:1]
; %bb.224:
	v_add_f32_e32 v18, v9, v18
	v_cmp_eq_u32_e64 s[0:1], 0, v15
	v_and_b32_e32 v15, 1, v15
	v_and_b32_e32 v17, 1, v17
	v_cndmask_b32_e64 v9, v9, v18, s[0:1]
	v_cmp_eq_u32_e64 s[0:1], 1, v15
	s_nop 1
	v_cndmask_b32_e64 v15, v17, 1, s[0:1]
	s_movk_i32 s0, 0xff00
	v_and_or_b32 v14, v14, s0, v15
; %bb.225:
	s_or_b64 exec, exec, s[50:51]
	v_mov_b32_dpp v18, v9 row_shr:4 row_mask:0xf bank_mask:0xf
	v_mov_b32_dpp v17, v14 row_shr:4 row_mask:0xf bank_mask:0xf
	v_cmp_lt_u32_e64 s[0:1], 3, v16
	s_and_saveexec_b64 s[50:51], s[0:1]
; %bb.226:
	v_add_f32_e32 v18, v9, v18
	v_cmp_eq_u32_e64 s[0:1], 0, v15
	v_and_b32_e32 v15, 1, v15
	v_and_b32_e32 v17, 1, v17
	v_cndmask_b32_e64 v9, v9, v18, s[0:1]
	v_cmp_eq_u32_e64 s[0:1], 1, v15
	s_nop 1
	v_cndmask_b32_e64 v15, v17, 1, s[0:1]
	s_movk_i32 s0, 0xff00
	v_and_or_b32 v14, v14, s0, v15
; %bb.227:
	s_or_b64 exec, exec, s[50:51]
	v_mov_b32_dpp v18, v9 row_shr:8 row_mask:0xf bank_mask:0xf
	v_mov_b32_dpp v17, v14 row_shr:8 row_mask:0xf bank_mask:0xf
	v_cmp_lt_u32_e64 s[0:1], 7, v16
	s_and_saveexec_b64 s[50:51], s[0:1]
; %bb.228:
	v_add_f32_e32 v16, v9, v18
	v_cmp_eq_u32_e64 s[0:1], 0, v15
	v_and_b32_e32 v15, 1, v15
	s_nop 0
	v_cndmask_b32_e64 v9, v9, v16, s[0:1]
	v_and_b32_e32 v16, 1, v17
	v_cmp_eq_u32_e64 s[0:1], 1, v15
	s_nop 1
	v_cndmask_b32_e64 v15, v16, 1, s[0:1]
	s_movk_i32 s0, 0xff00
	v_and_or_b32 v14, v14, s0, v15
; %bb.229:
	s_or_b64 exec, exec, s[50:51]
	v_and_b32_e32 v18, 16, v13
	v_mov_b32_dpp v17, v9 row_bcast:15 row_mask:0xf bank_mask:0xf
	v_mov_b32_dpp v16, v14 row_bcast:15 row_mask:0xf bank_mask:0xf
	v_cmp_ne_u32_e64 s[0:1], 0, v18
	s_and_saveexec_b64 s[50:51], s[0:1]
; %bb.230:
	v_add_f32_e32 v17, v9, v17
	v_cmp_eq_u32_e64 s[0:1], 0, v15
	v_and_b32_e32 v15, 1, v15
	v_and_b32_e32 v16, 1, v16
	v_cndmask_b32_e64 v9, v9, v17, s[0:1]
	v_cmp_eq_u32_e64 s[0:1], 1, v15
	s_nop 1
	v_cndmask_b32_e64 v15, v16, 1, s[0:1]
	s_movk_i32 s0, 0xff00
	v_and_or_b32 v14, v14, s0, v15
; %bb.231:
	s_or_b64 exec, exec, s[50:51]
	v_mov_b32_dpp v17, v9 row_bcast:31 row_mask:0xf bank_mask:0xf
	v_mov_b32_dpp v16, v14 row_bcast:31 row_mask:0xf bank_mask:0xf
	v_cmp_lt_u32_e64 s[0:1], 31, v13
	s_and_saveexec_b64 s[50:51], s[0:1]
; %bb.232:
	v_add_f32_e32 v17, v9, v17
	v_cmp_eq_u32_e64 s[0:1], 0, v15
	v_and_b32_e32 v15, 1, v15
	v_and_b32_e32 v16, 1, v16
	v_cndmask_b32_e64 v9, v9, v17, s[0:1]
	v_cmp_eq_u32_e64 s[0:1], 1, v15
	s_nop 1
	v_cndmask_b32_e64 v15, v16, 1, s[0:1]
	s_movk_i32 s0, 0xff00
	v_and_or_b32 v14, v14, s0, v15
; %bb.233:
	s_or_b64 exec, exec, s[50:51]
	v_add_u32_e32 v15, -1, v13
	v_and_b32_e32 v16, 64, v13
	v_cmp_lt_i32_e64 s[0:1], v15, v16
	; wave barrier
	s_nop 1
	v_cndmask_b32_e64 v13, v15, v13, s[0:1]
	v_lshlrev_b32_e32 v13, 2, v13
	ds_bpermute_b32 v9, v13, v9
	ds_bpermute_b32 v13, v13, v14
	v_mov_b32_e32 v14, 0
	v_cmp_eq_u32_sdwa s[0:1], v3, v14 src0_sel:BYTE_0 src1_sel:DWORD
	s_waitcnt lgkmcnt(0)
	v_add_f32_e32 v9, v2, v9
	v_cndmask_b32_e64 v2, v2, v9, s[0:1]
	v_and_b32_e32 v3, 1, v13
	v_cmp_eq_u32_e64 s[0:1], 1, v8
	v_cndmask_b32_e64 v6, v2, v6, s[52:53]
	s_nop 0
	v_cndmask_b32_e64 v3, v3, 1, s[0:1]
	v_cndmask_b32_e64 v7, v3, v7, s[52:53]
	ds_write_b32 v5, v6
	ds_write_b8 v5, v7 offset:4
	; wave barrier
	ds_read2_b32 v[2:3], v5 offset0:2 offset1:4
	ds_read_u8 v8, v5 offset:12
	ds_read_u8 v9, v5 offset:20
	ds_read_b32 v13, v5 offset:24
	ds_read_u8 v14, v5 offset:28
	s_waitcnt lgkmcnt(0)
	v_add_f32_e32 v6, v6, v2
	v_cmp_eq_u16_e64 s[0:1], 0, v8
	s_nop 1
	v_cndmask_b32_e64 v2, v2, v6, s[0:1]
	v_and_b32_e32 v6, 1, v8
	v_cmp_eq_u32_e64 s[0:1], 1, v6
	s_nop 1
	v_cndmask_b32_e64 v6, v7, 1, s[0:1]
	v_add_f32_e32 v7, v2, v3
	v_cmp_eq_u16_e64 s[0:1], 0, v9
	ds_write_b8 v5, v6 offset:12
	s_nop 0
	v_cndmask_b32_e64 v3, v3, v7, s[0:1]
	v_and_b32_e32 v7, 1, v9
	v_cmp_eq_u32_e64 s[0:1], 1, v7
	s_nop 1
	v_cndmask_b32_e64 v6, v6, 1, s[0:1]
	ds_write2_b32 v5, v2, v3 offset0:2 offset1:4
	ds_write_b8 v5, v6 offset:20
	v_add_f32_e32 v2, v3, v13
	v_cmp_eq_u16_e64 s[0:1], 0, v14
	v_and_b32_e32 v3, 1, v14
	s_nop 0
	v_cndmask_b32_e64 v2, v13, v2, s[0:1]
	v_cmp_eq_u32_e64 s[0:1], 1, v3
	s_nop 1
	v_cndmask_b32_e64 v3, v6, 1, s[0:1]
	ds_write_b32 v5, v2 offset:24
	ds_write_b8 v5, v3 offset:28
.LBB1691_234:
	s_or_b64 exec, exec, s[48:49]
	s_waitcnt vmcnt(0)
	v_mov_b32_e32 v31, v4
	s_waitcnt lgkmcnt(0)
	s_barrier
	s_and_saveexec_b64 s[48:49], s[4:5]
	s_cbranch_execz .LBB1691_236
; %bb.235:
	v_add_u32_e32 v2, -1, v0
	v_lshrrev_b32_e32 v3, 5, v2
	v_add_lshl_u32 v2, v3, v2, 3
	ds_read_b32 v3, v2
	ds_read_u8 v2, v2 offset:4
	s_waitcnt lgkmcnt(1)
	v_add_f32_e32 v5, v4, v3
	s_waitcnt lgkmcnt(0)
	v_cmp_eq_u16_e64 s[0:1], 0, v2
	s_nop 1
	v_cndmask_b32_e64 v31, v3, v5, s[0:1]
.LBB1691_236:
	s_or_b64 exec, exec, s[48:49]
	v_mov_b32_e32 v5, 0
	v_add_f32_e32 v2, v50, v31
	v_cmp_eq_u16_sdwa s[0:1], v1, v5 src0_sel:BYTE_0 src1_sel:DWORD
	s_nop 1
	v_cndmask_b32_e64 v74, v50, v2, s[0:1]
	v_add_f32_e32 v1, v48, v74
	v_cndmask_b32_e32 v75, v48, v1, vcc
	v_add_f32_e32 v1, v49, v75
	v_cndmask_b32_e64 v76, v49, v1, s[6:7]
	v_add_f32_e32 v1, v46, v76
	v_cndmask_b32_e64 v77, v46, v1, s[8:9]
	;; [unrolled: 2-line block ×19, first 2 shown]
	v_add_f32_e32 v1, v30, v94
	s_and_saveexec_b64 s[0:1], s[52:53]
	s_cbranch_execz .LBB1691_238
; %bb.237:
	ds_read_b32 v2, v5 offset:2096
	ds_read_u8 v3, v5 offset:2100
	s_add_u32 s4, s64, 0x400
	s_addc_u32 s5, s65, 0
	v_mov_b64_e32 v[6:7], s[4:5]
	s_waitcnt lgkmcnt(1)
	v_add_f32_e32 v4, v4, v2
	s_waitcnt lgkmcnt(0)
	v_cmp_eq_u16_e32 vcc, 0, v3
	v_and_b32_e32 v3, 0xffff, v3
	s_nop 0
	v_cndmask_b32_e32 v2, v2, v4, vcc
	v_mov_b32_e32 v4, 2
	;;#ASMSTART
	global_store_dwordx4 v[6:7], v[2:5] off sc1	
s_waitcnt vmcnt(0)
	;;#ASMEND
.LBB1691_238:
	s_or_b64 exec, exec, s[0:1]
	v_cndmask_b32_e64 v95, v30, v1, s[16:17]
.LBB1691_239:
	s_add_u32 s0, s62, s54
	s_addc_u32 s1, s63, s55
	v_lshl_add_u64 v[2:3], s[0:1], 0, v[10:11]
	s_and_b64 vcc, exec, s[2:3]
	s_cbranch_vccz .LBB1691_285
; %bb.240:
	s_movk_i32 s0, 0x5c
	v_mul_i32_i24_e32 v30, 0xffffffa8, v0
	v_mul_u32_u24_e32 v1, 0x5c, v0
	v_mad_u32_u24 v4, v0, s0, v30
	s_barrier
	ds_write2_b32 v1, v31, v74 offset1:1
	s_waitcnt vmcnt(0)
	ds_write2_b32 v1, v75, v76 offset0:2 offset1:3
	ds_write2_b32 v1, v77, v78 offset0:4 offset1:5
	;; [unrolled: 1-line block ×10, first 2 shown]
	ds_write_b32 v1, v95 offset:88
	s_waitcnt lgkmcnt(0)
	s_barrier
	ds_read2st64_b32 v[28:29], v4 offset0:4 offset1:8
	ds_read2st64_b32 v[26:27], v4 offset0:12 offset1:16
	;; [unrolled: 1-line block ×11, first 2 shown]
	s_add_i32 s33, s33, s66
	v_mov_b32_e32 v13, 0
	v_lshl_add_u64 v[6:7], v[2:3], 0, v[12:13]
	v_cmp_gt_u32_e32 vcc, s33, v0
	s_and_saveexec_b64 s[0:1], vcc
	s_cbranch_execz .LBB1691_242
; %bb.241:
	v_add_u32_e32 v1, v1, v30
	ds_read_b32 v1, v1
	s_waitcnt lgkmcnt(0)
	flat_store_dword v[6:7], v1
.LBB1691_242:
	s_or_b64 exec, exec, s[0:1]
	v_or_b32_e32 v1, 0x100, v0
	v_cmp_gt_u32_e32 vcc, s33, v1
	s_and_saveexec_b64 s[0:1], vcc
	s_cbranch_execz .LBB1691_244
; %bb.243:
	s_waitcnt lgkmcnt(0)
	flat_store_dword v[6:7], v28 offset:1024
.LBB1691_244:
	s_or_b64 exec, exec, s[0:1]
	v_or_b32_e32 v1, 0x200, v0
	v_cmp_gt_u32_e32 vcc, s33, v1
	s_and_saveexec_b64 s[0:1], vcc
	s_cbranch_execz .LBB1691_246
; %bb.245:
	s_waitcnt lgkmcnt(0)
	flat_store_dword v[6:7], v29 offset:2048
.LBB1691_246:
	;; [unrolled: 9-line block ×3, first 2 shown]
	s_or_b64 exec, exec, s[0:1]
	v_or_b32_e32 v1, 0x400, v0
	v_cmp_gt_u32_e32 vcc, s33, v1
	s_and_saveexec_b64 s[0:1], vcc
	s_cbranch_execz .LBB1691_250
; %bb.249:
	s_waitcnt lgkmcnt(0)
	v_add_co_u32_e32 v28, vcc, 0x1000, v6
	s_nop 1
	v_addc_co_u32_e32 v29, vcc, 0, v7, vcc
	flat_store_dword v[28:29], v27
.LBB1691_250:
	s_or_b64 exec, exec, s[0:1]
	v_or_b32_e32 v1, 0x500, v0
	v_cmp_gt_u32_e32 vcc, s33, v1
	s_and_saveexec_b64 s[0:1], vcc
	s_cbranch_execz .LBB1691_252
; %bb.251:
	s_waitcnt lgkmcnt(0)
	v_add_co_u32_e32 v26, vcc, 0x1000, v6
	s_nop 1
	v_addc_co_u32_e32 v27, vcc, 0, v7, vcc
	flat_store_dword v[26:27], v24 offset:1024
.LBB1691_252:
	s_or_b64 exec, exec, s[0:1]
	v_or_b32_e32 v1, 0x600, v0
	v_cmp_gt_u32_e32 vcc, s33, v1
	s_and_saveexec_b64 s[0:1], vcc
	s_cbranch_execz .LBB1691_254
; %bb.253:
	s_waitcnt lgkmcnt(0)
	v_add_co_u32_e32 v26, vcc, 0x1000, v6
	s_nop 1
	v_addc_co_u32_e32 v27, vcc, 0, v7, vcc
	flat_store_dword v[26:27], v25 offset:2048
.LBB1691_254:
	s_or_b64 exec, exec, s[0:1]
	v_or_b32_e32 v1, 0x700, v0
	v_cmp_gt_u32_e32 vcc, s33, v1
	s_and_saveexec_b64 s[0:1], vcc
	s_cbranch_execz .LBB1691_256
; %bb.255:
	s_waitcnt lgkmcnt(0)
	v_add_co_u32_e32 v24, vcc, 0x1000, v6
	s_nop 1
	v_addc_co_u32_e32 v25, vcc, 0, v7, vcc
	flat_store_dword v[24:25], v22 offset:3072
.LBB1691_256:
	s_or_b64 exec, exec, s[0:1]
	v_or_b32_e32 v1, 0x800, v0
	v_cmp_gt_u32_e32 vcc, s33, v1
	s_and_saveexec_b64 s[0:1], vcc
	s_cbranch_execz .LBB1691_258
; %bb.257:
	s_waitcnt lgkmcnt(0)
	v_add_co_u32_e32 v24, vcc, 0x2000, v6
	s_nop 1
	v_addc_co_u32_e32 v25, vcc, 0, v7, vcc
	flat_store_dword v[24:25], v23
.LBB1691_258:
	s_or_b64 exec, exec, s[0:1]
	v_or_b32_e32 v1, 0x900, v0
	v_cmp_gt_u32_e32 vcc, s33, v1
	s_and_saveexec_b64 s[0:1], vcc
	s_cbranch_execz .LBB1691_260
; %bb.259:
	s_waitcnt lgkmcnt(0)
	v_add_co_u32_e32 v22, vcc, 0x2000, v6
	s_nop 1
	v_addc_co_u32_e32 v23, vcc, 0, v7, vcc
	flat_store_dword v[22:23], v20 offset:1024
.LBB1691_260:
	s_or_b64 exec, exec, s[0:1]
	v_or_b32_e32 v1, 0xa00, v0
	v_cmp_gt_u32_e32 vcc, s33, v1
	s_and_saveexec_b64 s[0:1], vcc
	s_cbranch_execz .LBB1691_262
; %bb.261:
	s_waitcnt lgkmcnt(0)
	v_add_co_u32_e32 v22, vcc, 0x2000, v6
	s_nop 1
	v_addc_co_u32_e32 v23, vcc, 0, v7, vcc
	flat_store_dword v[22:23], v21 offset:2048
.LBB1691_262:
	s_or_b64 exec, exec, s[0:1]
	v_or_b32_e32 v1, 0xb00, v0
	v_cmp_gt_u32_e32 vcc, s33, v1
	s_and_saveexec_b64 s[0:1], vcc
	s_cbranch_execz .LBB1691_264
; %bb.263:
	s_waitcnt lgkmcnt(0)
	v_add_co_u32_e32 v20, vcc, 0x2000, v6
	s_nop 1
	v_addc_co_u32_e32 v21, vcc, 0, v7, vcc
	flat_store_dword v[20:21], v18 offset:3072
.LBB1691_264:
	;; [unrolled: 48-line block ×4, first 2 shown]
	s_or_b64 exec, exec, s[0:1]
	v_or_b32_e32 v1, 0x1400, v0
	v_cmp_gt_u32_e32 vcc, s33, v1
	s_and_saveexec_b64 s[0:1], vcc
	s_cbranch_execz .LBB1691_282
; %bb.281:
	s_waitcnt lgkmcnt(0)
	v_add_co_u32_e32 v10, vcc, 0x5000, v6
	s_nop 1
	v_addc_co_u32_e32 v11, vcc, 0, v7, vcc
	flat_store_dword v[10:11], v9
.LBB1691_282:
	s_or_b64 exec, exec, s[0:1]
	v_or_b32_e32 v1, 0x1500, v0
	v_cmp_gt_u32_e32 vcc, s33, v1
	s_and_saveexec_b64 s[0:1], vcc
	s_cbranch_execz .LBB1691_284
; %bb.283:
	v_add_co_u32_e32 v6, vcc, 0x5000, v6
	s_nop 1
	v_addc_co_u32_e32 v7, vcc, 0, v7, vcc
	s_waitcnt lgkmcnt(0)
	flat_store_dword v[6:7], v4 offset:1024
.LBB1691_284:
	s_or_b64 exec, exec, s[0:1]
	s_waitcnt lgkmcnt(0)
	v_or_b32_e32 v4, 0x1600, v0
	v_mov_b32_e32 v1, v13
	v_cmp_gt_u32_e64 s[0:1], s33, v4
	s_branch .LBB1691_287
.LBB1691_285:
	s_mov_b64 s[0:1], 0
                                        ; implicit-def: $vgpr5
	s_cbranch_execz .LBB1691_287
; %bb.286:
	v_mul_u32_u24_e32 v1, 0x5c, v0
	s_barrier
	s_movk_i32 s2, 0x5c
	ds_write2_b32 v1, v31, v74 offset1:1
	s_waitcnt vmcnt(0)
	ds_write2_b32 v1, v75, v76 offset0:2 offset1:3
	ds_write2_b32 v1, v77, v78 offset0:4 offset1:5
	;; [unrolled: 1-line block ×10, first 2 shown]
	ds_write_b32 v1, v95 offset:88
	v_mov_b32_e32 v1, 0
	v_mul_i32_i24_e32 v4, 0xffffffa8, v0
	v_mad_u32_u24 v4, v0, s2, v4
	v_mov_b32_e32 v13, v1
	s_waitcnt lgkmcnt(0)
	s_barrier
	ds_read2st64_b32 v[6:7], v4 offset1:4
	ds_read2st64_b32 v[8:9], v4 offset0:8 offset1:12
	ds_read2st64_b32 v[10:11], v4 offset0:16 offset1:20
	;; [unrolled: 1-line block ×10, first 2 shown]
	ds_read_b32 v5, v4 offset:22528
	v_lshl_add_u64 v[12:13], v[2:3], 0, v[12:13]
	s_movk_i32 s2, 0x1000
	s_waitcnt lgkmcnt(11)
	flat_store_dword v[12:13], v6
	flat_store_dword v[12:13], v7 offset:1024
	s_waitcnt lgkmcnt(0)
	flat_store_dword v[12:13], v8 offset:2048
	flat_store_dword v[12:13], v9 offset:3072
	v_add_co_u32_e32 v6, vcc, s2, v12
	s_movk_i32 s2, 0x2000
	s_nop 0
	v_addc_co_u32_e32 v7, vcc, 0, v13, vcc
	flat_store_dword v[6:7], v10
	flat_store_dword v[6:7], v11 offset:1024
	flat_store_dword v[6:7], v14 offset:2048
	;; [unrolled: 1-line block ×3, first 2 shown]
	v_add_co_u32_e32 v6, vcc, s2, v12
	s_movk_i32 s2, 0x3000
	s_nop 0
	v_addc_co_u32_e32 v7, vcc, 0, v13, vcc
	flat_store_dword v[6:7], v16
	flat_store_dword v[6:7], v17 offset:1024
	flat_store_dword v[6:7], v18 offset:2048
	;; [unrolled: 1-line block ×3, first 2 shown]
	v_add_co_u32_e32 v6, vcc, s2, v12
	s_or_b64 s[0:1], s[0:1], exec
	s_nop 0
	v_addc_co_u32_e32 v7, vcc, 0, v13, vcc
	flat_store_dword v[6:7], v20
	flat_store_dword v[6:7], v21 offset:1024
	flat_store_dword v[6:7], v22 offset:2048
	;; [unrolled: 1-line block ×3, first 2 shown]
	v_add_co_u32_e32 v6, vcc, 0x4000, v12
	s_nop 1
	v_addc_co_u32_e32 v7, vcc, 0, v13, vcc
	flat_store_dword v[6:7], v24
	flat_store_dword v[6:7], v25 offset:1024
	flat_store_dword v[6:7], v26 offset:2048
	;; [unrolled: 1-line block ×3, first 2 shown]
	v_add_co_u32_e32 v6, vcc, 0x5000, v12
	s_nop 1
	v_addc_co_u32_e32 v7, vcc, 0, v13, vcc
	flat_store_dword v[6:7], v28
	flat_store_dword v[6:7], v29 offset:1024
.LBB1691_287:
	s_and_saveexec_b64 s[2:3], s[0:1]
	s_cbranch_execz .LBB1691_289
; %bb.288:
	v_lshl_add_u64 v[0:1], v[0:1], 2, v[2:3]
	v_add_co_u32_e32 v0, vcc, 0x5000, v0
	s_nop 1
	v_addc_co_u32_e32 v1, vcc, 0, v1, vcc
	flat_store_dword v[0:1], v5 offset:2048
	s_endpgm
.LBB1691_289:
	s_endpgm
	.section	.rodata,"a",@progbits
	.p2align	6, 0x0
	.amdhsa_kernel _ZN7rocprim17ROCPRIM_400000_NS6detail17trampoline_kernelINS0_14default_configENS1_27scan_by_key_config_selectorIifEEZZNS1_16scan_by_key_implILNS1_25lookback_scan_determinismE0ELb1ES3_N6thrust23THRUST_200600_302600_NS6detail15normal_iteratorINS9_10device_ptrIiEEEENSB_INSC_IjEEEENSB_INSC_IfEEEEfNS9_4plusIvEENS9_8equal_toIvEEfEE10hipError_tPvRmT2_T3_T4_T5_mT6_T7_P12ihipStream_tbENKUlT_T0_E_clISt17integral_constantIbLb1EES13_EEDaSY_SZ_EUlSY_E_NS1_11comp_targetILNS1_3genE5ELNS1_11target_archE942ELNS1_3gpuE9ELNS1_3repE0EEENS1_30default_config_static_selectorELNS0_4arch9wavefront6targetE1EEEvT1_
		.amdhsa_group_segment_fixed_size 25600
		.amdhsa_private_segment_fixed_size 0
		.amdhsa_kernarg_size 112
		.amdhsa_user_sgpr_count 2
		.amdhsa_user_sgpr_dispatch_ptr 0
		.amdhsa_user_sgpr_queue_ptr 0
		.amdhsa_user_sgpr_kernarg_segment_ptr 1
		.amdhsa_user_sgpr_dispatch_id 0
		.amdhsa_user_sgpr_kernarg_preload_length 0
		.amdhsa_user_sgpr_kernarg_preload_offset 0
		.amdhsa_user_sgpr_private_segment_size 0
		.amdhsa_uses_dynamic_stack 0
		.amdhsa_enable_private_segment 0
		.amdhsa_system_sgpr_workgroup_id_x 1
		.amdhsa_system_sgpr_workgroup_id_y 0
		.amdhsa_system_sgpr_workgroup_id_z 0
		.amdhsa_system_sgpr_workgroup_info 0
		.amdhsa_system_vgpr_workitem_id 0
		.amdhsa_next_free_vgpr 96
		.amdhsa_next_free_sgpr 80
		.amdhsa_accum_offset 96
		.amdhsa_reserve_vcc 1
		.amdhsa_float_round_mode_32 0
		.amdhsa_float_round_mode_16_64 0
		.amdhsa_float_denorm_mode_32 3
		.amdhsa_float_denorm_mode_16_64 3
		.amdhsa_dx10_clamp 1
		.amdhsa_ieee_mode 1
		.amdhsa_fp16_overflow 0
		.amdhsa_tg_split 0
		.amdhsa_exception_fp_ieee_invalid_op 0
		.amdhsa_exception_fp_denorm_src 0
		.amdhsa_exception_fp_ieee_div_zero 0
		.amdhsa_exception_fp_ieee_overflow 0
		.amdhsa_exception_fp_ieee_underflow 0
		.amdhsa_exception_fp_ieee_inexact 0
		.amdhsa_exception_int_div_zero 0
	.end_amdhsa_kernel
	.section	.text._ZN7rocprim17ROCPRIM_400000_NS6detail17trampoline_kernelINS0_14default_configENS1_27scan_by_key_config_selectorIifEEZZNS1_16scan_by_key_implILNS1_25lookback_scan_determinismE0ELb1ES3_N6thrust23THRUST_200600_302600_NS6detail15normal_iteratorINS9_10device_ptrIiEEEENSB_INSC_IjEEEENSB_INSC_IfEEEEfNS9_4plusIvEENS9_8equal_toIvEEfEE10hipError_tPvRmT2_T3_T4_T5_mT6_T7_P12ihipStream_tbENKUlT_T0_E_clISt17integral_constantIbLb1EES13_EEDaSY_SZ_EUlSY_E_NS1_11comp_targetILNS1_3genE5ELNS1_11target_archE942ELNS1_3gpuE9ELNS1_3repE0EEENS1_30default_config_static_selectorELNS0_4arch9wavefront6targetE1EEEvT1_,"axG",@progbits,_ZN7rocprim17ROCPRIM_400000_NS6detail17trampoline_kernelINS0_14default_configENS1_27scan_by_key_config_selectorIifEEZZNS1_16scan_by_key_implILNS1_25lookback_scan_determinismE0ELb1ES3_N6thrust23THRUST_200600_302600_NS6detail15normal_iteratorINS9_10device_ptrIiEEEENSB_INSC_IjEEEENSB_INSC_IfEEEEfNS9_4plusIvEENS9_8equal_toIvEEfEE10hipError_tPvRmT2_T3_T4_T5_mT6_T7_P12ihipStream_tbENKUlT_T0_E_clISt17integral_constantIbLb1EES13_EEDaSY_SZ_EUlSY_E_NS1_11comp_targetILNS1_3genE5ELNS1_11target_archE942ELNS1_3gpuE9ELNS1_3repE0EEENS1_30default_config_static_selectorELNS0_4arch9wavefront6targetE1EEEvT1_,comdat
.Lfunc_end1691:
	.size	_ZN7rocprim17ROCPRIM_400000_NS6detail17trampoline_kernelINS0_14default_configENS1_27scan_by_key_config_selectorIifEEZZNS1_16scan_by_key_implILNS1_25lookback_scan_determinismE0ELb1ES3_N6thrust23THRUST_200600_302600_NS6detail15normal_iteratorINS9_10device_ptrIiEEEENSB_INSC_IjEEEENSB_INSC_IfEEEEfNS9_4plusIvEENS9_8equal_toIvEEfEE10hipError_tPvRmT2_T3_T4_T5_mT6_T7_P12ihipStream_tbENKUlT_T0_E_clISt17integral_constantIbLb1EES13_EEDaSY_SZ_EUlSY_E_NS1_11comp_targetILNS1_3genE5ELNS1_11target_archE942ELNS1_3gpuE9ELNS1_3repE0EEENS1_30default_config_static_selectorELNS0_4arch9wavefront6targetE1EEEvT1_, .Lfunc_end1691-_ZN7rocprim17ROCPRIM_400000_NS6detail17trampoline_kernelINS0_14default_configENS1_27scan_by_key_config_selectorIifEEZZNS1_16scan_by_key_implILNS1_25lookback_scan_determinismE0ELb1ES3_N6thrust23THRUST_200600_302600_NS6detail15normal_iteratorINS9_10device_ptrIiEEEENSB_INSC_IjEEEENSB_INSC_IfEEEEfNS9_4plusIvEENS9_8equal_toIvEEfEE10hipError_tPvRmT2_T3_T4_T5_mT6_T7_P12ihipStream_tbENKUlT_T0_E_clISt17integral_constantIbLb1EES13_EEDaSY_SZ_EUlSY_E_NS1_11comp_targetILNS1_3genE5ELNS1_11target_archE942ELNS1_3gpuE9ELNS1_3repE0EEENS1_30default_config_static_selectorELNS0_4arch9wavefront6targetE1EEEvT1_
                                        ; -- End function
	.section	.AMDGPU.csdata,"",@progbits
; Kernel info:
; codeLenInByte = 16812
; NumSgprs: 86
; NumVgprs: 96
; NumAgprs: 0
; TotalNumVgprs: 96
; ScratchSize: 0
; MemoryBound: 0
; FloatMode: 240
; IeeeMode: 1
; LDSByteSize: 25600 bytes/workgroup (compile time only)
; SGPRBlocks: 10
; VGPRBlocks: 11
; NumSGPRsForWavesPerEU: 86
; NumVGPRsForWavesPerEU: 96
; AccumOffset: 96
; Occupancy: 2
; WaveLimiterHint : 1
; COMPUTE_PGM_RSRC2:SCRATCH_EN: 0
; COMPUTE_PGM_RSRC2:USER_SGPR: 2
; COMPUTE_PGM_RSRC2:TRAP_HANDLER: 0
; COMPUTE_PGM_RSRC2:TGID_X_EN: 1
; COMPUTE_PGM_RSRC2:TGID_Y_EN: 0
; COMPUTE_PGM_RSRC2:TGID_Z_EN: 0
; COMPUTE_PGM_RSRC2:TIDIG_COMP_CNT: 0
; COMPUTE_PGM_RSRC3_GFX90A:ACCUM_OFFSET: 23
; COMPUTE_PGM_RSRC3_GFX90A:TG_SPLIT: 0
	.section	.text._ZN7rocprim17ROCPRIM_400000_NS6detail17trampoline_kernelINS0_14default_configENS1_27scan_by_key_config_selectorIifEEZZNS1_16scan_by_key_implILNS1_25lookback_scan_determinismE0ELb1ES3_N6thrust23THRUST_200600_302600_NS6detail15normal_iteratorINS9_10device_ptrIiEEEENSB_INSC_IjEEEENSB_INSC_IfEEEEfNS9_4plusIvEENS9_8equal_toIvEEfEE10hipError_tPvRmT2_T3_T4_T5_mT6_T7_P12ihipStream_tbENKUlT_T0_E_clISt17integral_constantIbLb1EES13_EEDaSY_SZ_EUlSY_E_NS1_11comp_targetILNS1_3genE4ELNS1_11target_archE910ELNS1_3gpuE8ELNS1_3repE0EEENS1_30default_config_static_selectorELNS0_4arch9wavefront6targetE1EEEvT1_,"axG",@progbits,_ZN7rocprim17ROCPRIM_400000_NS6detail17trampoline_kernelINS0_14default_configENS1_27scan_by_key_config_selectorIifEEZZNS1_16scan_by_key_implILNS1_25lookback_scan_determinismE0ELb1ES3_N6thrust23THRUST_200600_302600_NS6detail15normal_iteratorINS9_10device_ptrIiEEEENSB_INSC_IjEEEENSB_INSC_IfEEEEfNS9_4plusIvEENS9_8equal_toIvEEfEE10hipError_tPvRmT2_T3_T4_T5_mT6_T7_P12ihipStream_tbENKUlT_T0_E_clISt17integral_constantIbLb1EES13_EEDaSY_SZ_EUlSY_E_NS1_11comp_targetILNS1_3genE4ELNS1_11target_archE910ELNS1_3gpuE8ELNS1_3repE0EEENS1_30default_config_static_selectorELNS0_4arch9wavefront6targetE1EEEvT1_,comdat
	.protected	_ZN7rocprim17ROCPRIM_400000_NS6detail17trampoline_kernelINS0_14default_configENS1_27scan_by_key_config_selectorIifEEZZNS1_16scan_by_key_implILNS1_25lookback_scan_determinismE0ELb1ES3_N6thrust23THRUST_200600_302600_NS6detail15normal_iteratorINS9_10device_ptrIiEEEENSB_INSC_IjEEEENSB_INSC_IfEEEEfNS9_4plusIvEENS9_8equal_toIvEEfEE10hipError_tPvRmT2_T3_T4_T5_mT6_T7_P12ihipStream_tbENKUlT_T0_E_clISt17integral_constantIbLb1EES13_EEDaSY_SZ_EUlSY_E_NS1_11comp_targetILNS1_3genE4ELNS1_11target_archE910ELNS1_3gpuE8ELNS1_3repE0EEENS1_30default_config_static_selectorELNS0_4arch9wavefront6targetE1EEEvT1_ ; -- Begin function _ZN7rocprim17ROCPRIM_400000_NS6detail17trampoline_kernelINS0_14default_configENS1_27scan_by_key_config_selectorIifEEZZNS1_16scan_by_key_implILNS1_25lookback_scan_determinismE0ELb1ES3_N6thrust23THRUST_200600_302600_NS6detail15normal_iteratorINS9_10device_ptrIiEEEENSB_INSC_IjEEEENSB_INSC_IfEEEEfNS9_4plusIvEENS9_8equal_toIvEEfEE10hipError_tPvRmT2_T3_T4_T5_mT6_T7_P12ihipStream_tbENKUlT_T0_E_clISt17integral_constantIbLb1EES13_EEDaSY_SZ_EUlSY_E_NS1_11comp_targetILNS1_3genE4ELNS1_11target_archE910ELNS1_3gpuE8ELNS1_3repE0EEENS1_30default_config_static_selectorELNS0_4arch9wavefront6targetE1EEEvT1_
	.globl	_ZN7rocprim17ROCPRIM_400000_NS6detail17trampoline_kernelINS0_14default_configENS1_27scan_by_key_config_selectorIifEEZZNS1_16scan_by_key_implILNS1_25lookback_scan_determinismE0ELb1ES3_N6thrust23THRUST_200600_302600_NS6detail15normal_iteratorINS9_10device_ptrIiEEEENSB_INSC_IjEEEENSB_INSC_IfEEEEfNS9_4plusIvEENS9_8equal_toIvEEfEE10hipError_tPvRmT2_T3_T4_T5_mT6_T7_P12ihipStream_tbENKUlT_T0_E_clISt17integral_constantIbLb1EES13_EEDaSY_SZ_EUlSY_E_NS1_11comp_targetILNS1_3genE4ELNS1_11target_archE910ELNS1_3gpuE8ELNS1_3repE0EEENS1_30default_config_static_selectorELNS0_4arch9wavefront6targetE1EEEvT1_
	.p2align	8
	.type	_ZN7rocprim17ROCPRIM_400000_NS6detail17trampoline_kernelINS0_14default_configENS1_27scan_by_key_config_selectorIifEEZZNS1_16scan_by_key_implILNS1_25lookback_scan_determinismE0ELb1ES3_N6thrust23THRUST_200600_302600_NS6detail15normal_iteratorINS9_10device_ptrIiEEEENSB_INSC_IjEEEENSB_INSC_IfEEEEfNS9_4plusIvEENS9_8equal_toIvEEfEE10hipError_tPvRmT2_T3_T4_T5_mT6_T7_P12ihipStream_tbENKUlT_T0_E_clISt17integral_constantIbLb1EES13_EEDaSY_SZ_EUlSY_E_NS1_11comp_targetILNS1_3genE4ELNS1_11target_archE910ELNS1_3gpuE8ELNS1_3repE0EEENS1_30default_config_static_selectorELNS0_4arch9wavefront6targetE1EEEvT1_,@function
_ZN7rocprim17ROCPRIM_400000_NS6detail17trampoline_kernelINS0_14default_configENS1_27scan_by_key_config_selectorIifEEZZNS1_16scan_by_key_implILNS1_25lookback_scan_determinismE0ELb1ES3_N6thrust23THRUST_200600_302600_NS6detail15normal_iteratorINS9_10device_ptrIiEEEENSB_INSC_IjEEEENSB_INSC_IfEEEEfNS9_4plusIvEENS9_8equal_toIvEEfEE10hipError_tPvRmT2_T3_T4_T5_mT6_T7_P12ihipStream_tbENKUlT_T0_E_clISt17integral_constantIbLb1EES13_EEDaSY_SZ_EUlSY_E_NS1_11comp_targetILNS1_3genE4ELNS1_11target_archE910ELNS1_3gpuE8ELNS1_3repE0EEENS1_30default_config_static_selectorELNS0_4arch9wavefront6targetE1EEEvT1_: ; @_ZN7rocprim17ROCPRIM_400000_NS6detail17trampoline_kernelINS0_14default_configENS1_27scan_by_key_config_selectorIifEEZZNS1_16scan_by_key_implILNS1_25lookback_scan_determinismE0ELb1ES3_N6thrust23THRUST_200600_302600_NS6detail15normal_iteratorINS9_10device_ptrIiEEEENSB_INSC_IjEEEENSB_INSC_IfEEEEfNS9_4plusIvEENS9_8equal_toIvEEfEE10hipError_tPvRmT2_T3_T4_T5_mT6_T7_P12ihipStream_tbENKUlT_T0_E_clISt17integral_constantIbLb1EES13_EEDaSY_SZ_EUlSY_E_NS1_11comp_targetILNS1_3genE4ELNS1_11target_archE910ELNS1_3gpuE8ELNS1_3repE0EEENS1_30default_config_static_selectorELNS0_4arch9wavefront6targetE1EEEvT1_
; %bb.0:
	.section	.rodata,"a",@progbits
	.p2align	6, 0x0
	.amdhsa_kernel _ZN7rocprim17ROCPRIM_400000_NS6detail17trampoline_kernelINS0_14default_configENS1_27scan_by_key_config_selectorIifEEZZNS1_16scan_by_key_implILNS1_25lookback_scan_determinismE0ELb1ES3_N6thrust23THRUST_200600_302600_NS6detail15normal_iteratorINS9_10device_ptrIiEEEENSB_INSC_IjEEEENSB_INSC_IfEEEEfNS9_4plusIvEENS9_8equal_toIvEEfEE10hipError_tPvRmT2_T3_T4_T5_mT6_T7_P12ihipStream_tbENKUlT_T0_E_clISt17integral_constantIbLb1EES13_EEDaSY_SZ_EUlSY_E_NS1_11comp_targetILNS1_3genE4ELNS1_11target_archE910ELNS1_3gpuE8ELNS1_3repE0EEENS1_30default_config_static_selectorELNS0_4arch9wavefront6targetE1EEEvT1_
		.amdhsa_group_segment_fixed_size 0
		.amdhsa_private_segment_fixed_size 0
		.amdhsa_kernarg_size 112
		.amdhsa_user_sgpr_count 2
		.amdhsa_user_sgpr_dispatch_ptr 0
		.amdhsa_user_sgpr_queue_ptr 0
		.amdhsa_user_sgpr_kernarg_segment_ptr 1
		.amdhsa_user_sgpr_dispatch_id 0
		.amdhsa_user_sgpr_kernarg_preload_length 0
		.amdhsa_user_sgpr_kernarg_preload_offset 0
		.amdhsa_user_sgpr_private_segment_size 0
		.amdhsa_uses_dynamic_stack 0
		.amdhsa_enable_private_segment 0
		.amdhsa_system_sgpr_workgroup_id_x 1
		.amdhsa_system_sgpr_workgroup_id_y 0
		.amdhsa_system_sgpr_workgroup_id_z 0
		.amdhsa_system_sgpr_workgroup_info 0
		.amdhsa_system_vgpr_workitem_id 0
		.amdhsa_next_free_vgpr 1
		.amdhsa_next_free_sgpr 0
		.amdhsa_accum_offset 4
		.amdhsa_reserve_vcc 0
		.amdhsa_float_round_mode_32 0
		.amdhsa_float_round_mode_16_64 0
		.amdhsa_float_denorm_mode_32 3
		.amdhsa_float_denorm_mode_16_64 3
		.amdhsa_dx10_clamp 1
		.amdhsa_ieee_mode 1
		.amdhsa_fp16_overflow 0
		.amdhsa_tg_split 0
		.amdhsa_exception_fp_ieee_invalid_op 0
		.amdhsa_exception_fp_denorm_src 0
		.amdhsa_exception_fp_ieee_div_zero 0
		.amdhsa_exception_fp_ieee_overflow 0
		.amdhsa_exception_fp_ieee_underflow 0
		.amdhsa_exception_fp_ieee_inexact 0
		.amdhsa_exception_int_div_zero 0
	.end_amdhsa_kernel
	.section	.text._ZN7rocprim17ROCPRIM_400000_NS6detail17trampoline_kernelINS0_14default_configENS1_27scan_by_key_config_selectorIifEEZZNS1_16scan_by_key_implILNS1_25lookback_scan_determinismE0ELb1ES3_N6thrust23THRUST_200600_302600_NS6detail15normal_iteratorINS9_10device_ptrIiEEEENSB_INSC_IjEEEENSB_INSC_IfEEEEfNS9_4plusIvEENS9_8equal_toIvEEfEE10hipError_tPvRmT2_T3_T4_T5_mT6_T7_P12ihipStream_tbENKUlT_T0_E_clISt17integral_constantIbLb1EES13_EEDaSY_SZ_EUlSY_E_NS1_11comp_targetILNS1_3genE4ELNS1_11target_archE910ELNS1_3gpuE8ELNS1_3repE0EEENS1_30default_config_static_selectorELNS0_4arch9wavefront6targetE1EEEvT1_,"axG",@progbits,_ZN7rocprim17ROCPRIM_400000_NS6detail17trampoline_kernelINS0_14default_configENS1_27scan_by_key_config_selectorIifEEZZNS1_16scan_by_key_implILNS1_25lookback_scan_determinismE0ELb1ES3_N6thrust23THRUST_200600_302600_NS6detail15normal_iteratorINS9_10device_ptrIiEEEENSB_INSC_IjEEEENSB_INSC_IfEEEEfNS9_4plusIvEENS9_8equal_toIvEEfEE10hipError_tPvRmT2_T3_T4_T5_mT6_T7_P12ihipStream_tbENKUlT_T0_E_clISt17integral_constantIbLb1EES13_EEDaSY_SZ_EUlSY_E_NS1_11comp_targetILNS1_3genE4ELNS1_11target_archE910ELNS1_3gpuE8ELNS1_3repE0EEENS1_30default_config_static_selectorELNS0_4arch9wavefront6targetE1EEEvT1_,comdat
.Lfunc_end1692:
	.size	_ZN7rocprim17ROCPRIM_400000_NS6detail17trampoline_kernelINS0_14default_configENS1_27scan_by_key_config_selectorIifEEZZNS1_16scan_by_key_implILNS1_25lookback_scan_determinismE0ELb1ES3_N6thrust23THRUST_200600_302600_NS6detail15normal_iteratorINS9_10device_ptrIiEEEENSB_INSC_IjEEEENSB_INSC_IfEEEEfNS9_4plusIvEENS9_8equal_toIvEEfEE10hipError_tPvRmT2_T3_T4_T5_mT6_T7_P12ihipStream_tbENKUlT_T0_E_clISt17integral_constantIbLb1EES13_EEDaSY_SZ_EUlSY_E_NS1_11comp_targetILNS1_3genE4ELNS1_11target_archE910ELNS1_3gpuE8ELNS1_3repE0EEENS1_30default_config_static_selectorELNS0_4arch9wavefront6targetE1EEEvT1_, .Lfunc_end1692-_ZN7rocprim17ROCPRIM_400000_NS6detail17trampoline_kernelINS0_14default_configENS1_27scan_by_key_config_selectorIifEEZZNS1_16scan_by_key_implILNS1_25lookback_scan_determinismE0ELb1ES3_N6thrust23THRUST_200600_302600_NS6detail15normal_iteratorINS9_10device_ptrIiEEEENSB_INSC_IjEEEENSB_INSC_IfEEEEfNS9_4plusIvEENS9_8equal_toIvEEfEE10hipError_tPvRmT2_T3_T4_T5_mT6_T7_P12ihipStream_tbENKUlT_T0_E_clISt17integral_constantIbLb1EES13_EEDaSY_SZ_EUlSY_E_NS1_11comp_targetILNS1_3genE4ELNS1_11target_archE910ELNS1_3gpuE8ELNS1_3repE0EEENS1_30default_config_static_selectorELNS0_4arch9wavefront6targetE1EEEvT1_
                                        ; -- End function
	.section	.AMDGPU.csdata,"",@progbits
; Kernel info:
; codeLenInByte = 0
; NumSgprs: 6
; NumVgprs: 0
; NumAgprs: 0
; TotalNumVgprs: 0
; ScratchSize: 0
; MemoryBound: 0
; FloatMode: 240
; IeeeMode: 1
; LDSByteSize: 0 bytes/workgroup (compile time only)
; SGPRBlocks: 0
; VGPRBlocks: 0
; NumSGPRsForWavesPerEU: 6
; NumVGPRsForWavesPerEU: 1
; AccumOffset: 4
; Occupancy: 8
; WaveLimiterHint : 0
; COMPUTE_PGM_RSRC2:SCRATCH_EN: 0
; COMPUTE_PGM_RSRC2:USER_SGPR: 2
; COMPUTE_PGM_RSRC2:TRAP_HANDLER: 0
; COMPUTE_PGM_RSRC2:TGID_X_EN: 1
; COMPUTE_PGM_RSRC2:TGID_Y_EN: 0
; COMPUTE_PGM_RSRC2:TGID_Z_EN: 0
; COMPUTE_PGM_RSRC2:TIDIG_COMP_CNT: 0
; COMPUTE_PGM_RSRC3_GFX90A:ACCUM_OFFSET: 0
; COMPUTE_PGM_RSRC3_GFX90A:TG_SPLIT: 0
	.section	.text._ZN7rocprim17ROCPRIM_400000_NS6detail17trampoline_kernelINS0_14default_configENS1_27scan_by_key_config_selectorIifEEZZNS1_16scan_by_key_implILNS1_25lookback_scan_determinismE0ELb1ES3_N6thrust23THRUST_200600_302600_NS6detail15normal_iteratorINS9_10device_ptrIiEEEENSB_INSC_IjEEEENSB_INSC_IfEEEEfNS9_4plusIvEENS9_8equal_toIvEEfEE10hipError_tPvRmT2_T3_T4_T5_mT6_T7_P12ihipStream_tbENKUlT_T0_E_clISt17integral_constantIbLb1EES13_EEDaSY_SZ_EUlSY_E_NS1_11comp_targetILNS1_3genE3ELNS1_11target_archE908ELNS1_3gpuE7ELNS1_3repE0EEENS1_30default_config_static_selectorELNS0_4arch9wavefront6targetE1EEEvT1_,"axG",@progbits,_ZN7rocprim17ROCPRIM_400000_NS6detail17trampoline_kernelINS0_14default_configENS1_27scan_by_key_config_selectorIifEEZZNS1_16scan_by_key_implILNS1_25lookback_scan_determinismE0ELb1ES3_N6thrust23THRUST_200600_302600_NS6detail15normal_iteratorINS9_10device_ptrIiEEEENSB_INSC_IjEEEENSB_INSC_IfEEEEfNS9_4plusIvEENS9_8equal_toIvEEfEE10hipError_tPvRmT2_T3_T4_T5_mT6_T7_P12ihipStream_tbENKUlT_T0_E_clISt17integral_constantIbLb1EES13_EEDaSY_SZ_EUlSY_E_NS1_11comp_targetILNS1_3genE3ELNS1_11target_archE908ELNS1_3gpuE7ELNS1_3repE0EEENS1_30default_config_static_selectorELNS0_4arch9wavefront6targetE1EEEvT1_,comdat
	.protected	_ZN7rocprim17ROCPRIM_400000_NS6detail17trampoline_kernelINS0_14default_configENS1_27scan_by_key_config_selectorIifEEZZNS1_16scan_by_key_implILNS1_25lookback_scan_determinismE0ELb1ES3_N6thrust23THRUST_200600_302600_NS6detail15normal_iteratorINS9_10device_ptrIiEEEENSB_INSC_IjEEEENSB_INSC_IfEEEEfNS9_4plusIvEENS9_8equal_toIvEEfEE10hipError_tPvRmT2_T3_T4_T5_mT6_T7_P12ihipStream_tbENKUlT_T0_E_clISt17integral_constantIbLb1EES13_EEDaSY_SZ_EUlSY_E_NS1_11comp_targetILNS1_3genE3ELNS1_11target_archE908ELNS1_3gpuE7ELNS1_3repE0EEENS1_30default_config_static_selectorELNS0_4arch9wavefront6targetE1EEEvT1_ ; -- Begin function _ZN7rocprim17ROCPRIM_400000_NS6detail17trampoline_kernelINS0_14default_configENS1_27scan_by_key_config_selectorIifEEZZNS1_16scan_by_key_implILNS1_25lookback_scan_determinismE0ELb1ES3_N6thrust23THRUST_200600_302600_NS6detail15normal_iteratorINS9_10device_ptrIiEEEENSB_INSC_IjEEEENSB_INSC_IfEEEEfNS9_4plusIvEENS9_8equal_toIvEEfEE10hipError_tPvRmT2_T3_T4_T5_mT6_T7_P12ihipStream_tbENKUlT_T0_E_clISt17integral_constantIbLb1EES13_EEDaSY_SZ_EUlSY_E_NS1_11comp_targetILNS1_3genE3ELNS1_11target_archE908ELNS1_3gpuE7ELNS1_3repE0EEENS1_30default_config_static_selectorELNS0_4arch9wavefront6targetE1EEEvT1_
	.globl	_ZN7rocprim17ROCPRIM_400000_NS6detail17trampoline_kernelINS0_14default_configENS1_27scan_by_key_config_selectorIifEEZZNS1_16scan_by_key_implILNS1_25lookback_scan_determinismE0ELb1ES3_N6thrust23THRUST_200600_302600_NS6detail15normal_iteratorINS9_10device_ptrIiEEEENSB_INSC_IjEEEENSB_INSC_IfEEEEfNS9_4plusIvEENS9_8equal_toIvEEfEE10hipError_tPvRmT2_T3_T4_T5_mT6_T7_P12ihipStream_tbENKUlT_T0_E_clISt17integral_constantIbLb1EES13_EEDaSY_SZ_EUlSY_E_NS1_11comp_targetILNS1_3genE3ELNS1_11target_archE908ELNS1_3gpuE7ELNS1_3repE0EEENS1_30default_config_static_selectorELNS0_4arch9wavefront6targetE1EEEvT1_
	.p2align	8
	.type	_ZN7rocprim17ROCPRIM_400000_NS6detail17trampoline_kernelINS0_14default_configENS1_27scan_by_key_config_selectorIifEEZZNS1_16scan_by_key_implILNS1_25lookback_scan_determinismE0ELb1ES3_N6thrust23THRUST_200600_302600_NS6detail15normal_iteratorINS9_10device_ptrIiEEEENSB_INSC_IjEEEENSB_INSC_IfEEEEfNS9_4plusIvEENS9_8equal_toIvEEfEE10hipError_tPvRmT2_T3_T4_T5_mT6_T7_P12ihipStream_tbENKUlT_T0_E_clISt17integral_constantIbLb1EES13_EEDaSY_SZ_EUlSY_E_NS1_11comp_targetILNS1_3genE3ELNS1_11target_archE908ELNS1_3gpuE7ELNS1_3repE0EEENS1_30default_config_static_selectorELNS0_4arch9wavefront6targetE1EEEvT1_,@function
_ZN7rocprim17ROCPRIM_400000_NS6detail17trampoline_kernelINS0_14default_configENS1_27scan_by_key_config_selectorIifEEZZNS1_16scan_by_key_implILNS1_25lookback_scan_determinismE0ELb1ES3_N6thrust23THRUST_200600_302600_NS6detail15normal_iteratorINS9_10device_ptrIiEEEENSB_INSC_IjEEEENSB_INSC_IfEEEEfNS9_4plusIvEENS9_8equal_toIvEEfEE10hipError_tPvRmT2_T3_T4_T5_mT6_T7_P12ihipStream_tbENKUlT_T0_E_clISt17integral_constantIbLb1EES13_EEDaSY_SZ_EUlSY_E_NS1_11comp_targetILNS1_3genE3ELNS1_11target_archE908ELNS1_3gpuE7ELNS1_3repE0EEENS1_30default_config_static_selectorELNS0_4arch9wavefront6targetE1EEEvT1_: ; @_ZN7rocprim17ROCPRIM_400000_NS6detail17trampoline_kernelINS0_14default_configENS1_27scan_by_key_config_selectorIifEEZZNS1_16scan_by_key_implILNS1_25lookback_scan_determinismE0ELb1ES3_N6thrust23THRUST_200600_302600_NS6detail15normal_iteratorINS9_10device_ptrIiEEEENSB_INSC_IjEEEENSB_INSC_IfEEEEfNS9_4plusIvEENS9_8equal_toIvEEfEE10hipError_tPvRmT2_T3_T4_T5_mT6_T7_P12ihipStream_tbENKUlT_T0_E_clISt17integral_constantIbLb1EES13_EEDaSY_SZ_EUlSY_E_NS1_11comp_targetILNS1_3genE3ELNS1_11target_archE908ELNS1_3gpuE7ELNS1_3repE0EEENS1_30default_config_static_selectorELNS0_4arch9wavefront6targetE1EEEvT1_
; %bb.0:
	.section	.rodata,"a",@progbits
	.p2align	6, 0x0
	.amdhsa_kernel _ZN7rocprim17ROCPRIM_400000_NS6detail17trampoline_kernelINS0_14default_configENS1_27scan_by_key_config_selectorIifEEZZNS1_16scan_by_key_implILNS1_25lookback_scan_determinismE0ELb1ES3_N6thrust23THRUST_200600_302600_NS6detail15normal_iteratorINS9_10device_ptrIiEEEENSB_INSC_IjEEEENSB_INSC_IfEEEEfNS9_4plusIvEENS9_8equal_toIvEEfEE10hipError_tPvRmT2_T3_T4_T5_mT6_T7_P12ihipStream_tbENKUlT_T0_E_clISt17integral_constantIbLb1EES13_EEDaSY_SZ_EUlSY_E_NS1_11comp_targetILNS1_3genE3ELNS1_11target_archE908ELNS1_3gpuE7ELNS1_3repE0EEENS1_30default_config_static_selectorELNS0_4arch9wavefront6targetE1EEEvT1_
		.amdhsa_group_segment_fixed_size 0
		.amdhsa_private_segment_fixed_size 0
		.amdhsa_kernarg_size 112
		.amdhsa_user_sgpr_count 2
		.amdhsa_user_sgpr_dispatch_ptr 0
		.amdhsa_user_sgpr_queue_ptr 0
		.amdhsa_user_sgpr_kernarg_segment_ptr 1
		.amdhsa_user_sgpr_dispatch_id 0
		.amdhsa_user_sgpr_kernarg_preload_length 0
		.amdhsa_user_sgpr_kernarg_preload_offset 0
		.amdhsa_user_sgpr_private_segment_size 0
		.amdhsa_uses_dynamic_stack 0
		.amdhsa_enable_private_segment 0
		.amdhsa_system_sgpr_workgroup_id_x 1
		.amdhsa_system_sgpr_workgroup_id_y 0
		.amdhsa_system_sgpr_workgroup_id_z 0
		.amdhsa_system_sgpr_workgroup_info 0
		.amdhsa_system_vgpr_workitem_id 0
		.amdhsa_next_free_vgpr 1
		.amdhsa_next_free_sgpr 0
		.amdhsa_accum_offset 4
		.amdhsa_reserve_vcc 0
		.amdhsa_float_round_mode_32 0
		.amdhsa_float_round_mode_16_64 0
		.amdhsa_float_denorm_mode_32 3
		.amdhsa_float_denorm_mode_16_64 3
		.amdhsa_dx10_clamp 1
		.amdhsa_ieee_mode 1
		.amdhsa_fp16_overflow 0
		.amdhsa_tg_split 0
		.amdhsa_exception_fp_ieee_invalid_op 0
		.amdhsa_exception_fp_denorm_src 0
		.amdhsa_exception_fp_ieee_div_zero 0
		.amdhsa_exception_fp_ieee_overflow 0
		.amdhsa_exception_fp_ieee_underflow 0
		.amdhsa_exception_fp_ieee_inexact 0
		.amdhsa_exception_int_div_zero 0
	.end_amdhsa_kernel
	.section	.text._ZN7rocprim17ROCPRIM_400000_NS6detail17trampoline_kernelINS0_14default_configENS1_27scan_by_key_config_selectorIifEEZZNS1_16scan_by_key_implILNS1_25lookback_scan_determinismE0ELb1ES3_N6thrust23THRUST_200600_302600_NS6detail15normal_iteratorINS9_10device_ptrIiEEEENSB_INSC_IjEEEENSB_INSC_IfEEEEfNS9_4plusIvEENS9_8equal_toIvEEfEE10hipError_tPvRmT2_T3_T4_T5_mT6_T7_P12ihipStream_tbENKUlT_T0_E_clISt17integral_constantIbLb1EES13_EEDaSY_SZ_EUlSY_E_NS1_11comp_targetILNS1_3genE3ELNS1_11target_archE908ELNS1_3gpuE7ELNS1_3repE0EEENS1_30default_config_static_selectorELNS0_4arch9wavefront6targetE1EEEvT1_,"axG",@progbits,_ZN7rocprim17ROCPRIM_400000_NS6detail17trampoline_kernelINS0_14default_configENS1_27scan_by_key_config_selectorIifEEZZNS1_16scan_by_key_implILNS1_25lookback_scan_determinismE0ELb1ES3_N6thrust23THRUST_200600_302600_NS6detail15normal_iteratorINS9_10device_ptrIiEEEENSB_INSC_IjEEEENSB_INSC_IfEEEEfNS9_4plusIvEENS9_8equal_toIvEEfEE10hipError_tPvRmT2_T3_T4_T5_mT6_T7_P12ihipStream_tbENKUlT_T0_E_clISt17integral_constantIbLb1EES13_EEDaSY_SZ_EUlSY_E_NS1_11comp_targetILNS1_3genE3ELNS1_11target_archE908ELNS1_3gpuE7ELNS1_3repE0EEENS1_30default_config_static_selectorELNS0_4arch9wavefront6targetE1EEEvT1_,comdat
.Lfunc_end1693:
	.size	_ZN7rocprim17ROCPRIM_400000_NS6detail17trampoline_kernelINS0_14default_configENS1_27scan_by_key_config_selectorIifEEZZNS1_16scan_by_key_implILNS1_25lookback_scan_determinismE0ELb1ES3_N6thrust23THRUST_200600_302600_NS6detail15normal_iteratorINS9_10device_ptrIiEEEENSB_INSC_IjEEEENSB_INSC_IfEEEEfNS9_4plusIvEENS9_8equal_toIvEEfEE10hipError_tPvRmT2_T3_T4_T5_mT6_T7_P12ihipStream_tbENKUlT_T0_E_clISt17integral_constantIbLb1EES13_EEDaSY_SZ_EUlSY_E_NS1_11comp_targetILNS1_3genE3ELNS1_11target_archE908ELNS1_3gpuE7ELNS1_3repE0EEENS1_30default_config_static_selectorELNS0_4arch9wavefront6targetE1EEEvT1_, .Lfunc_end1693-_ZN7rocprim17ROCPRIM_400000_NS6detail17trampoline_kernelINS0_14default_configENS1_27scan_by_key_config_selectorIifEEZZNS1_16scan_by_key_implILNS1_25lookback_scan_determinismE0ELb1ES3_N6thrust23THRUST_200600_302600_NS6detail15normal_iteratorINS9_10device_ptrIiEEEENSB_INSC_IjEEEENSB_INSC_IfEEEEfNS9_4plusIvEENS9_8equal_toIvEEfEE10hipError_tPvRmT2_T3_T4_T5_mT6_T7_P12ihipStream_tbENKUlT_T0_E_clISt17integral_constantIbLb1EES13_EEDaSY_SZ_EUlSY_E_NS1_11comp_targetILNS1_3genE3ELNS1_11target_archE908ELNS1_3gpuE7ELNS1_3repE0EEENS1_30default_config_static_selectorELNS0_4arch9wavefront6targetE1EEEvT1_
                                        ; -- End function
	.section	.AMDGPU.csdata,"",@progbits
; Kernel info:
; codeLenInByte = 0
; NumSgprs: 6
; NumVgprs: 0
; NumAgprs: 0
; TotalNumVgprs: 0
; ScratchSize: 0
; MemoryBound: 0
; FloatMode: 240
; IeeeMode: 1
; LDSByteSize: 0 bytes/workgroup (compile time only)
; SGPRBlocks: 0
; VGPRBlocks: 0
; NumSGPRsForWavesPerEU: 6
; NumVGPRsForWavesPerEU: 1
; AccumOffset: 4
; Occupancy: 8
; WaveLimiterHint : 0
; COMPUTE_PGM_RSRC2:SCRATCH_EN: 0
; COMPUTE_PGM_RSRC2:USER_SGPR: 2
; COMPUTE_PGM_RSRC2:TRAP_HANDLER: 0
; COMPUTE_PGM_RSRC2:TGID_X_EN: 1
; COMPUTE_PGM_RSRC2:TGID_Y_EN: 0
; COMPUTE_PGM_RSRC2:TGID_Z_EN: 0
; COMPUTE_PGM_RSRC2:TIDIG_COMP_CNT: 0
; COMPUTE_PGM_RSRC3_GFX90A:ACCUM_OFFSET: 0
; COMPUTE_PGM_RSRC3_GFX90A:TG_SPLIT: 0
	.section	.text._ZN7rocprim17ROCPRIM_400000_NS6detail17trampoline_kernelINS0_14default_configENS1_27scan_by_key_config_selectorIifEEZZNS1_16scan_by_key_implILNS1_25lookback_scan_determinismE0ELb1ES3_N6thrust23THRUST_200600_302600_NS6detail15normal_iteratorINS9_10device_ptrIiEEEENSB_INSC_IjEEEENSB_INSC_IfEEEEfNS9_4plusIvEENS9_8equal_toIvEEfEE10hipError_tPvRmT2_T3_T4_T5_mT6_T7_P12ihipStream_tbENKUlT_T0_E_clISt17integral_constantIbLb1EES13_EEDaSY_SZ_EUlSY_E_NS1_11comp_targetILNS1_3genE2ELNS1_11target_archE906ELNS1_3gpuE6ELNS1_3repE0EEENS1_30default_config_static_selectorELNS0_4arch9wavefront6targetE1EEEvT1_,"axG",@progbits,_ZN7rocprim17ROCPRIM_400000_NS6detail17trampoline_kernelINS0_14default_configENS1_27scan_by_key_config_selectorIifEEZZNS1_16scan_by_key_implILNS1_25lookback_scan_determinismE0ELb1ES3_N6thrust23THRUST_200600_302600_NS6detail15normal_iteratorINS9_10device_ptrIiEEEENSB_INSC_IjEEEENSB_INSC_IfEEEEfNS9_4plusIvEENS9_8equal_toIvEEfEE10hipError_tPvRmT2_T3_T4_T5_mT6_T7_P12ihipStream_tbENKUlT_T0_E_clISt17integral_constantIbLb1EES13_EEDaSY_SZ_EUlSY_E_NS1_11comp_targetILNS1_3genE2ELNS1_11target_archE906ELNS1_3gpuE6ELNS1_3repE0EEENS1_30default_config_static_selectorELNS0_4arch9wavefront6targetE1EEEvT1_,comdat
	.protected	_ZN7rocprim17ROCPRIM_400000_NS6detail17trampoline_kernelINS0_14default_configENS1_27scan_by_key_config_selectorIifEEZZNS1_16scan_by_key_implILNS1_25lookback_scan_determinismE0ELb1ES3_N6thrust23THRUST_200600_302600_NS6detail15normal_iteratorINS9_10device_ptrIiEEEENSB_INSC_IjEEEENSB_INSC_IfEEEEfNS9_4plusIvEENS9_8equal_toIvEEfEE10hipError_tPvRmT2_T3_T4_T5_mT6_T7_P12ihipStream_tbENKUlT_T0_E_clISt17integral_constantIbLb1EES13_EEDaSY_SZ_EUlSY_E_NS1_11comp_targetILNS1_3genE2ELNS1_11target_archE906ELNS1_3gpuE6ELNS1_3repE0EEENS1_30default_config_static_selectorELNS0_4arch9wavefront6targetE1EEEvT1_ ; -- Begin function _ZN7rocprim17ROCPRIM_400000_NS6detail17trampoline_kernelINS0_14default_configENS1_27scan_by_key_config_selectorIifEEZZNS1_16scan_by_key_implILNS1_25lookback_scan_determinismE0ELb1ES3_N6thrust23THRUST_200600_302600_NS6detail15normal_iteratorINS9_10device_ptrIiEEEENSB_INSC_IjEEEENSB_INSC_IfEEEEfNS9_4plusIvEENS9_8equal_toIvEEfEE10hipError_tPvRmT2_T3_T4_T5_mT6_T7_P12ihipStream_tbENKUlT_T0_E_clISt17integral_constantIbLb1EES13_EEDaSY_SZ_EUlSY_E_NS1_11comp_targetILNS1_3genE2ELNS1_11target_archE906ELNS1_3gpuE6ELNS1_3repE0EEENS1_30default_config_static_selectorELNS0_4arch9wavefront6targetE1EEEvT1_
	.globl	_ZN7rocprim17ROCPRIM_400000_NS6detail17trampoline_kernelINS0_14default_configENS1_27scan_by_key_config_selectorIifEEZZNS1_16scan_by_key_implILNS1_25lookback_scan_determinismE0ELb1ES3_N6thrust23THRUST_200600_302600_NS6detail15normal_iteratorINS9_10device_ptrIiEEEENSB_INSC_IjEEEENSB_INSC_IfEEEEfNS9_4plusIvEENS9_8equal_toIvEEfEE10hipError_tPvRmT2_T3_T4_T5_mT6_T7_P12ihipStream_tbENKUlT_T0_E_clISt17integral_constantIbLb1EES13_EEDaSY_SZ_EUlSY_E_NS1_11comp_targetILNS1_3genE2ELNS1_11target_archE906ELNS1_3gpuE6ELNS1_3repE0EEENS1_30default_config_static_selectorELNS0_4arch9wavefront6targetE1EEEvT1_
	.p2align	8
	.type	_ZN7rocprim17ROCPRIM_400000_NS6detail17trampoline_kernelINS0_14default_configENS1_27scan_by_key_config_selectorIifEEZZNS1_16scan_by_key_implILNS1_25lookback_scan_determinismE0ELb1ES3_N6thrust23THRUST_200600_302600_NS6detail15normal_iteratorINS9_10device_ptrIiEEEENSB_INSC_IjEEEENSB_INSC_IfEEEEfNS9_4plusIvEENS9_8equal_toIvEEfEE10hipError_tPvRmT2_T3_T4_T5_mT6_T7_P12ihipStream_tbENKUlT_T0_E_clISt17integral_constantIbLb1EES13_EEDaSY_SZ_EUlSY_E_NS1_11comp_targetILNS1_3genE2ELNS1_11target_archE906ELNS1_3gpuE6ELNS1_3repE0EEENS1_30default_config_static_selectorELNS0_4arch9wavefront6targetE1EEEvT1_,@function
_ZN7rocprim17ROCPRIM_400000_NS6detail17trampoline_kernelINS0_14default_configENS1_27scan_by_key_config_selectorIifEEZZNS1_16scan_by_key_implILNS1_25lookback_scan_determinismE0ELb1ES3_N6thrust23THRUST_200600_302600_NS6detail15normal_iteratorINS9_10device_ptrIiEEEENSB_INSC_IjEEEENSB_INSC_IfEEEEfNS9_4plusIvEENS9_8equal_toIvEEfEE10hipError_tPvRmT2_T3_T4_T5_mT6_T7_P12ihipStream_tbENKUlT_T0_E_clISt17integral_constantIbLb1EES13_EEDaSY_SZ_EUlSY_E_NS1_11comp_targetILNS1_3genE2ELNS1_11target_archE906ELNS1_3gpuE6ELNS1_3repE0EEENS1_30default_config_static_selectorELNS0_4arch9wavefront6targetE1EEEvT1_: ; @_ZN7rocprim17ROCPRIM_400000_NS6detail17trampoline_kernelINS0_14default_configENS1_27scan_by_key_config_selectorIifEEZZNS1_16scan_by_key_implILNS1_25lookback_scan_determinismE0ELb1ES3_N6thrust23THRUST_200600_302600_NS6detail15normal_iteratorINS9_10device_ptrIiEEEENSB_INSC_IjEEEENSB_INSC_IfEEEEfNS9_4plusIvEENS9_8equal_toIvEEfEE10hipError_tPvRmT2_T3_T4_T5_mT6_T7_P12ihipStream_tbENKUlT_T0_E_clISt17integral_constantIbLb1EES13_EEDaSY_SZ_EUlSY_E_NS1_11comp_targetILNS1_3genE2ELNS1_11target_archE906ELNS1_3gpuE6ELNS1_3repE0EEENS1_30default_config_static_selectorELNS0_4arch9wavefront6targetE1EEEvT1_
; %bb.0:
	.section	.rodata,"a",@progbits
	.p2align	6, 0x0
	.amdhsa_kernel _ZN7rocprim17ROCPRIM_400000_NS6detail17trampoline_kernelINS0_14default_configENS1_27scan_by_key_config_selectorIifEEZZNS1_16scan_by_key_implILNS1_25lookback_scan_determinismE0ELb1ES3_N6thrust23THRUST_200600_302600_NS6detail15normal_iteratorINS9_10device_ptrIiEEEENSB_INSC_IjEEEENSB_INSC_IfEEEEfNS9_4plusIvEENS9_8equal_toIvEEfEE10hipError_tPvRmT2_T3_T4_T5_mT6_T7_P12ihipStream_tbENKUlT_T0_E_clISt17integral_constantIbLb1EES13_EEDaSY_SZ_EUlSY_E_NS1_11comp_targetILNS1_3genE2ELNS1_11target_archE906ELNS1_3gpuE6ELNS1_3repE0EEENS1_30default_config_static_selectorELNS0_4arch9wavefront6targetE1EEEvT1_
		.amdhsa_group_segment_fixed_size 0
		.amdhsa_private_segment_fixed_size 0
		.amdhsa_kernarg_size 112
		.amdhsa_user_sgpr_count 2
		.amdhsa_user_sgpr_dispatch_ptr 0
		.amdhsa_user_sgpr_queue_ptr 0
		.amdhsa_user_sgpr_kernarg_segment_ptr 1
		.amdhsa_user_sgpr_dispatch_id 0
		.amdhsa_user_sgpr_kernarg_preload_length 0
		.amdhsa_user_sgpr_kernarg_preload_offset 0
		.amdhsa_user_sgpr_private_segment_size 0
		.amdhsa_uses_dynamic_stack 0
		.amdhsa_enable_private_segment 0
		.amdhsa_system_sgpr_workgroup_id_x 1
		.amdhsa_system_sgpr_workgroup_id_y 0
		.amdhsa_system_sgpr_workgroup_id_z 0
		.amdhsa_system_sgpr_workgroup_info 0
		.amdhsa_system_vgpr_workitem_id 0
		.amdhsa_next_free_vgpr 1
		.amdhsa_next_free_sgpr 0
		.amdhsa_accum_offset 4
		.amdhsa_reserve_vcc 0
		.amdhsa_float_round_mode_32 0
		.amdhsa_float_round_mode_16_64 0
		.amdhsa_float_denorm_mode_32 3
		.amdhsa_float_denorm_mode_16_64 3
		.amdhsa_dx10_clamp 1
		.amdhsa_ieee_mode 1
		.amdhsa_fp16_overflow 0
		.amdhsa_tg_split 0
		.amdhsa_exception_fp_ieee_invalid_op 0
		.amdhsa_exception_fp_denorm_src 0
		.amdhsa_exception_fp_ieee_div_zero 0
		.amdhsa_exception_fp_ieee_overflow 0
		.amdhsa_exception_fp_ieee_underflow 0
		.amdhsa_exception_fp_ieee_inexact 0
		.amdhsa_exception_int_div_zero 0
	.end_amdhsa_kernel
	.section	.text._ZN7rocprim17ROCPRIM_400000_NS6detail17trampoline_kernelINS0_14default_configENS1_27scan_by_key_config_selectorIifEEZZNS1_16scan_by_key_implILNS1_25lookback_scan_determinismE0ELb1ES3_N6thrust23THRUST_200600_302600_NS6detail15normal_iteratorINS9_10device_ptrIiEEEENSB_INSC_IjEEEENSB_INSC_IfEEEEfNS9_4plusIvEENS9_8equal_toIvEEfEE10hipError_tPvRmT2_T3_T4_T5_mT6_T7_P12ihipStream_tbENKUlT_T0_E_clISt17integral_constantIbLb1EES13_EEDaSY_SZ_EUlSY_E_NS1_11comp_targetILNS1_3genE2ELNS1_11target_archE906ELNS1_3gpuE6ELNS1_3repE0EEENS1_30default_config_static_selectorELNS0_4arch9wavefront6targetE1EEEvT1_,"axG",@progbits,_ZN7rocprim17ROCPRIM_400000_NS6detail17trampoline_kernelINS0_14default_configENS1_27scan_by_key_config_selectorIifEEZZNS1_16scan_by_key_implILNS1_25lookback_scan_determinismE0ELb1ES3_N6thrust23THRUST_200600_302600_NS6detail15normal_iteratorINS9_10device_ptrIiEEEENSB_INSC_IjEEEENSB_INSC_IfEEEEfNS9_4plusIvEENS9_8equal_toIvEEfEE10hipError_tPvRmT2_T3_T4_T5_mT6_T7_P12ihipStream_tbENKUlT_T0_E_clISt17integral_constantIbLb1EES13_EEDaSY_SZ_EUlSY_E_NS1_11comp_targetILNS1_3genE2ELNS1_11target_archE906ELNS1_3gpuE6ELNS1_3repE0EEENS1_30default_config_static_selectorELNS0_4arch9wavefront6targetE1EEEvT1_,comdat
.Lfunc_end1694:
	.size	_ZN7rocprim17ROCPRIM_400000_NS6detail17trampoline_kernelINS0_14default_configENS1_27scan_by_key_config_selectorIifEEZZNS1_16scan_by_key_implILNS1_25lookback_scan_determinismE0ELb1ES3_N6thrust23THRUST_200600_302600_NS6detail15normal_iteratorINS9_10device_ptrIiEEEENSB_INSC_IjEEEENSB_INSC_IfEEEEfNS9_4plusIvEENS9_8equal_toIvEEfEE10hipError_tPvRmT2_T3_T4_T5_mT6_T7_P12ihipStream_tbENKUlT_T0_E_clISt17integral_constantIbLb1EES13_EEDaSY_SZ_EUlSY_E_NS1_11comp_targetILNS1_3genE2ELNS1_11target_archE906ELNS1_3gpuE6ELNS1_3repE0EEENS1_30default_config_static_selectorELNS0_4arch9wavefront6targetE1EEEvT1_, .Lfunc_end1694-_ZN7rocprim17ROCPRIM_400000_NS6detail17trampoline_kernelINS0_14default_configENS1_27scan_by_key_config_selectorIifEEZZNS1_16scan_by_key_implILNS1_25lookback_scan_determinismE0ELb1ES3_N6thrust23THRUST_200600_302600_NS6detail15normal_iteratorINS9_10device_ptrIiEEEENSB_INSC_IjEEEENSB_INSC_IfEEEEfNS9_4plusIvEENS9_8equal_toIvEEfEE10hipError_tPvRmT2_T3_T4_T5_mT6_T7_P12ihipStream_tbENKUlT_T0_E_clISt17integral_constantIbLb1EES13_EEDaSY_SZ_EUlSY_E_NS1_11comp_targetILNS1_3genE2ELNS1_11target_archE906ELNS1_3gpuE6ELNS1_3repE0EEENS1_30default_config_static_selectorELNS0_4arch9wavefront6targetE1EEEvT1_
                                        ; -- End function
	.section	.AMDGPU.csdata,"",@progbits
; Kernel info:
; codeLenInByte = 0
; NumSgprs: 6
; NumVgprs: 0
; NumAgprs: 0
; TotalNumVgprs: 0
; ScratchSize: 0
; MemoryBound: 0
; FloatMode: 240
; IeeeMode: 1
; LDSByteSize: 0 bytes/workgroup (compile time only)
; SGPRBlocks: 0
; VGPRBlocks: 0
; NumSGPRsForWavesPerEU: 6
; NumVGPRsForWavesPerEU: 1
; AccumOffset: 4
; Occupancy: 8
; WaveLimiterHint : 0
; COMPUTE_PGM_RSRC2:SCRATCH_EN: 0
; COMPUTE_PGM_RSRC2:USER_SGPR: 2
; COMPUTE_PGM_RSRC2:TRAP_HANDLER: 0
; COMPUTE_PGM_RSRC2:TGID_X_EN: 1
; COMPUTE_PGM_RSRC2:TGID_Y_EN: 0
; COMPUTE_PGM_RSRC2:TGID_Z_EN: 0
; COMPUTE_PGM_RSRC2:TIDIG_COMP_CNT: 0
; COMPUTE_PGM_RSRC3_GFX90A:ACCUM_OFFSET: 0
; COMPUTE_PGM_RSRC3_GFX90A:TG_SPLIT: 0
	.section	.text._ZN7rocprim17ROCPRIM_400000_NS6detail17trampoline_kernelINS0_14default_configENS1_27scan_by_key_config_selectorIifEEZZNS1_16scan_by_key_implILNS1_25lookback_scan_determinismE0ELb1ES3_N6thrust23THRUST_200600_302600_NS6detail15normal_iteratorINS9_10device_ptrIiEEEENSB_INSC_IjEEEENSB_INSC_IfEEEEfNS9_4plusIvEENS9_8equal_toIvEEfEE10hipError_tPvRmT2_T3_T4_T5_mT6_T7_P12ihipStream_tbENKUlT_T0_E_clISt17integral_constantIbLb1EES13_EEDaSY_SZ_EUlSY_E_NS1_11comp_targetILNS1_3genE10ELNS1_11target_archE1200ELNS1_3gpuE4ELNS1_3repE0EEENS1_30default_config_static_selectorELNS0_4arch9wavefront6targetE1EEEvT1_,"axG",@progbits,_ZN7rocprim17ROCPRIM_400000_NS6detail17trampoline_kernelINS0_14default_configENS1_27scan_by_key_config_selectorIifEEZZNS1_16scan_by_key_implILNS1_25lookback_scan_determinismE0ELb1ES3_N6thrust23THRUST_200600_302600_NS6detail15normal_iteratorINS9_10device_ptrIiEEEENSB_INSC_IjEEEENSB_INSC_IfEEEEfNS9_4plusIvEENS9_8equal_toIvEEfEE10hipError_tPvRmT2_T3_T4_T5_mT6_T7_P12ihipStream_tbENKUlT_T0_E_clISt17integral_constantIbLb1EES13_EEDaSY_SZ_EUlSY_E_NS1_11comp_targetILNS1_3genE10ELNS1_11target_archE1200ELNS1_3gpuE4ELNS1_3repE0EEENS1_30default_config_static_selectorELNS0_4arch9wavefront6targetE1EEEvT1_,comdat
	.protected	_ZN7rocprim17ROCPRIM_400000_NS6detail17trampoline_kernelINS0_14default_configENS1_27scan_by_key_config_selectorIifEEZZNS1_16scan_by_key_implILNS1_25lookback_scan_determinismE0ELb1ES3_N6thrust23THRUST_200600_302600_NS6detail15normal_iteratorINS9_10device_ptrIiEEEENSB_INSC_IjEEEENSB_INSC_IfEEEEfNS9_4plusIvEENS9_8equal_toIvEEfEE10hipError_tPvRmT2_T3_T4_T5_mT6_T7_P12ihipStream_tbENKUlT_T0_E_clISt17integral_constantIbLb1EES13_EEDaSY_SZ_EUlSY_E_NS1_11comp_targetILNS1_3genE10ELNS1_11target_archE1200ELNS1_3gpuE4ELNS1_3repE0EEENS1_30default_config_static_selectorELNS0_4arch9wavefront6targetE1EEEvT1_ ; -- Begin function _ZN7rocprim17ROCPRIM_400000_NS6detail17trampoline_kernelINS0_14default_configENS1_27scan_by_key_config_selectorIifEEZZNS1_16scan_by_key_implILNS1_25lookback_scan_determinismE0ELb1ES3_N6thrust23THRUST_200600_302600_NS6detail15normal_iteratorINS9_10device_ptrIiEEEENSB_INSC_IjEEEENSB_INSC_IfEEEEfNS9_4plusIvEENS9_8equal_toIvEEfEE10hipError_tPvRmT2_T3_T4_T5_mT6_T7_P12ihipStream_tbENKUlT_T0_E_clISt17integral_constantIbLb1EES13_EEDaSY_SZ_EUlSY_E_NS1_11comp_targetILNS1_3genE10ELNS1_11target_archE1200ELNS1_3gpuE4ELNS1_3repE0EEENS1_30default_config_static_selectorELNS0_4arch9wavefront6targetE1EEEvT1_
	.globl	_ZN7rocprim17ROCPRIM_400000_NS6detail17trampoline_kernelINS0_14default_configENS1_27scan_by_key_config_selectorIifEEZZNS1_16scan_by_key_implILNS1_25lookback_scan_determinismE0ELb1ES3_N6thrust23THRUST_200600_302600_NS6detail15normal_iteratorINS9_10device_ptrIiEEEENSB_INSC_IjEEEENSB_INSC_IfEEEEfNS9_4plusIvEENS9_8equal_toIvEEfEE10hipError_tPvRmT2_T3_T4_T5_mT6_T7_P12ihipStream_tbENKUlT_T0_E_clISt17integral_constantIbLb1EES13_EEDaSY_SZ_EUlSY_E_NS1_11comp_targetILNS1_3genE10ELNS1_11target_archE1200ELNS1_3gpuE4ELNS1_3repE0EEENS1_30default_config_static_selectorELNS0_4arch9wavefront6targetE1EEEvT1_
	.p2align	8
	.type	_ZN7rocprim17ROCPRIM_400000_NS6detail17trampoline_kernelINS0_14default_configENS1_27scan_by_key_config_selectorIifEEZZNS1_16scan_by_key_implILNS1_25lookback_scan_determinismE0ELb1ES3_N6thrust23THRUST_200600_302600_NS6detail15normal_iteratorINS9_10device_ptrIiEEEENSB_INSC_IjEEEENSB_INSC_IfEEEEfNS9_4plusIvEENS9_8equal_toIvEEfEE10hipError_tPvRmT2_T3_T4_T5_mT6_T7_P12ihipStream_tbENKUlT_T0_E_clISt17integral_constantIbLb1EES13_EEDaSY_SZ_EUlSY_E_NS1_11comp_targetILNS1_3genE10ELNS1_11target_archE1200ELNS1_3gpuE4ELNS1_3repE0EEENS1_30default_config_static_selectorELNS0_4arch9wavefront6targetE1EEEvT1_,@function
_ZN7rocprim17ROCPRIM_400000_NS6detail17trampoline_kernelINS0_14default_configENS1_27scan_by_key_config_selectorIifEEZZNS1_16scan_by_key_implILNS1_25lookback_scan_determinismE0ELb1ES3_N6thrust23THRUST_200600_302600_NS6detail15normal_iteratorINS9_10device_ptrIiEEEENSB_INSC_IjEEEENSB_INSC_IfEEEEfNS9_4plusIvEENS9_8equal_toIvEEfEE10hipError_tPvRmT2_T3_T4_T5_mT6_T7_P12ihipStream_tbENKUlT_T0_E_clISt17integral_constantIbLb1EES13_EEDaSY_SZ_EUlSY_E_NS1_11comp_targetILNS1_3genE10ELNS1_11target_archE1200ELNS1_3gpuE4ELNS1_3repE0EEENS1_30default_config_static_selectorELNS0_4arch9wavefront6targetE1EEEvT1_: ; @_ZN7rocprim17ROCPRIM_400000_NS6detail17trampoline_kernelINS0_14default_configENS1_27scan_by_key_config_selectorIifEEZZNS1_16scan_by_key_implILNS1_25lookback_scan_determinismE0ELb1ES3_N6thrust23THRUST_200600_302600_NS6detail15normal_iteratorINS9_10device_ptrIiEEEENSB_INSC_IjEEEENSB_INSC_IfEEEEfNS9_4plusIvEENS9_8equal_toIvEEfEE10hipError_tPvRmT2_T3_T4_T5_mT6_T7_P12ihipStream_tbENKUlT_T0_E_clISt17integral_constantIbLb1EES13_EEDaSY_SZ_EUlSY_E_NS1_11comp_targetILNS1_3genE10ELNS1_11target_archE1200ELNS1_3gpuE4ELNS1_3repE0EEENS1_30default_config_static_selectorELNS0_4arch9wavefront6targetE1EEEvT1_
; %bb.0:
	.section	.rodata,"a",@progbits
	.p2align	6, 0x0
	.amdhsa_kernel _ZN7rocprim17ROCPRIM_400000_NS6detail17trampoline_kernelINS0_14default_configENS1_27scan_by_key_config_selectorIifEEZZNS1_16scan_by_key_implILNS1_25lookback_scan_determinismE0ELb1ES3_N6thrust23THRUST_200600_302600_NS6detail15normal_iteratorINS9_10device_ptrIiEEEENSB_INSC_IjEEEENSB_INSC_IfEEEEfNS9_4plusIvEENS9_8equal_toIvEEfEE10hipError_tPvRmT2_T3_T4_T5_mT6_T7_P12ihipStream_tbENKUlT_T0_E_clISt17integral_constantIbLb1EES13_EEDaSY_SZ_EUlSY_E_NS1_11comp_targetILNS1_3genE10ELNS1_11target_archE1200ELNS1_3gpuE4ELNS1_3repE0EEENS1_30default_config_static_selectorELNS0_4arch9wavefront6targetE1EEEvT1_
		.amdhsa_group_segment_fixed_size 0
		.amdhsa_private_segment_fixed_size 0
		.amdhsa_kernarg_size 112
		.amdhsa_user_sgpr_count 2
		.amdhsa_user_sgpr_dispatch_ptr 0
		.amdhsa_user_sgpr_queue_ptr 0
		.amdhsa_user_sgpr_kernarg_segment_ptr 1
		.amdhsa_user_sgpr_dispatch_id 0
		.amdhsa_user_sgpr_kernarg_preload_length 0
		.amdhsa_user_sgpr_kernarg_preload_offset 0
		.amdhsa_user_sgpr_private_segment_size 0
		.amdhsa_uses_dynamic_stack 0
		.amdhsa_enable_private_segment 0
		.amdhsa_system_sgpr_workgroup_id_x 1
		.amdhsa_system_sgpr_workgroup_id_y 0
		.amdhsa_system_sgpr_workgroup_id_z 0
		.amdhsa_system_sgpr_workgroup_info 0
		.amdhsa_system_vgpr_workitem_id 0
		.amdhsa_next_free_vgpr 1
		.amdhsa_next_free_sgpr 0
		.amdhsa_accum_offset 4
		.amdhsa_reserve_vcc 0
		.amdhsa_float_round_mode_32 0
		.amdhsa_float_round_mode_16_64 0
		.amdhsa_float_denorm_mode_32 3
		.amdhsa_float_denorm_mode_16_64 3
		.amdhsa_dx10_clamp 1
		.amdhsa_ieee_mode 1
		.amdhsa_fp16_overflow 0
		.amdhsa_tg_split 0
		.amdhsa_exception_fp_ieee_invalid_op 0
		.amdhsa_exception_fp_denorm_src 0
		.amdhsa_exception_fp_ieee_div_zero 0
		.amdhsa_exception_fp_ieee_overflow 0
		.amdhsa_exception_fp_ieee_underflow 0
		.amdhsa_exception_fp_ieee_inexact 0
		.amdhsa_exception_int_div_zero 0
	.end_amdhsa_kernel
	.section	.text._ZN7rocprim17ROCPRIM_400000_NS6detail17trampoline_kernelINS0_14default_configENS1_27scan_by_key_config_selectorIifEEZZNS1_16scan_by_key_implILNS1_25lookback_scan_determinismE0ELb1ES3_N6thrust23THRUST_200600_302600_NS6detail15normal_iteratorINS9_10device_ptrIiEEEENSB_INSC_IjEEEENSB_INSC_IfEEEEfNS9_4plusIvEENS9_8equal_toIvEEfEE10hipError_tPvRmT2_T3_T4_T5_mT6_T7_P12ihipStream_tbENKUlT_T0_E_clISt17integral_constantIbLb1EES13_EEDaSY_SZ_EUlSY_E_NS1_11comp_targetILNS1_3genE10ELNS1_11target_archE1200ELNS1_3gpuE4ELNS1_3repE0EEENS1_30default_config_static_selectorELNS0_4arch9wavefront6targetE1EEEvT1_,"axG",@progbits,_ZN7rocprim17ROCPRIM_400000_NS6detail17trampoline_kernelINS0_14default_configENS1_27scan_by_key_config_selectorIifEEZZNS1_16scan_by_key_implILNS1_25lookback_scan_determinismE0ELb1ES3_N6thrust23THRUST_200600_302600_NS6detail15normal_iteratorINS9_10device_ptrIiEEEENSB_INSC_IjEEEENSB_INSC_IfEEEEfNS9_4plusIvEENS9_8equal_toIvEEfEE10hipError_tPvRmT2_T3_T4_T5_mT6_T7_P12ihipStream_tbENKUlT_T0_E_clISt17integral_constantIbLb1EES13_EEDaSY_SZ_EUlSY_E_NS1_11comp_targetILNS1_3genE10ELNS1_11target_archE1200ELNS1_3gpuE4ELNS1_3repE0EEENS1_30default_config_static_selectorELNS0_4arch9wavefront6targetE1EEEvT1_,comdat
.Lfunc_end1695:
	.size	_ZN7rocprim17ROCPRIM_400000_NS6detail17trampoline_kernelINS0_14default_configENS1_27scan_by_key_config_selectorIifEEZZNS1_16scan_by_key_implILNS1_25lookback_scan_determinismE0ELb1ES3_N6thrust23THRUST_200600_302600_NS6detail15normal_iteratorINS9_10device_ptrIiEEEENSB_INSC_IjEEEENSB_INSC_IfEEEEfNS9_4plusIvEENS9_8equal_toIvEEfEE10hipError_tPvRmT2_T3_T4_T5_mT6_T7_P12ihipStream_tbENKUlT_T0_E_clISt17integral_constantIbLb1EES13_EEDaSY_SZ_EUlSY_E_NS1_11comp_targetILNS1_3genE10ELNS1_11target_archE1200ELNS1_3gpuE4ELNS1_3repE0EEENS1_30default_config_static_selectorELNS0_4arch9wavefront6targetE1EEEvT1_, .Lfunc_end1695-_ZN7rocprim17ROCPRIM_400000_NS6detail17trampoline_kernelINS0_14default_configENS1_27scan_by_key_config_selectorIifEEZZNS1_16scan_by_key_implILNS1_25lookback_scan_determinismE0ELb1ES3_N6thrust23THRUST_200600_302600_NS6detail15normal_iteratorINS9_10device_ptrIiEEEENSB_INSC_IjEEEENSB_INSC_IfEEEEfNS9_4plusIvEENS9_8equal_toIvEEfEE10hipError_tPvRmT2_T3_T4_T5_mT6_T7_P12ihipStream_tbENKUlT_T0_E_clISt17integral_constantIbLb1EES13_EEDaSY_SZ_EUlSY_E_NS1_11comp_targetILNS1_3genE10ELNS1_11target_archE1200ELNS1_3gpuE4ELNS1_3repE0EEENS1_30default_config_static_selectorELNS0_4arch9wavefront6targetE1EEEvT1_
                                        ; -- End function
	.section	.AMDGPU.csdata,"",@progbits
; Kernel info:
; codeLenInByte = 0
; NumSgprs: 6
; NumVgprs: 0
; NumAgprs: 0
; TotalNumVgprs: 0
; ScratchSize: 0
; MemoryBound: 0
; FloatMode: 240
; IeeeMode: 1
; LDSByteSize: 0 bytes/workgroup (compile time only)
; SGPRBlocks: 0
; VGPRBlocks: 0
; NumSGPRsForWavesPerEU: 6
; NumVGPRsForWavesPerEU: 1
; AccumOffset: 4
; Occupancy: 8
; WaveLimiterHint : 0
; COMPUTE_PGM_RSRC2:SCRATCH_EN: 0
; COMPUTE_PGM_RSRC2:USER_SGPR: 2
; COMPUTE_PGM_RSRC2:TRAP_HANDLER: 0
; COMPUTE_PGM_RSRC2:TGID_X_EN: 1
; COMPUTE_PGM_RSRC2:TGID_Y_EN: 0
; COMPUTE_PGM_RSRC2:TGID_Z_EN: 0
; COMPUTE_PGM_RSRC2:TIDIG_COMP_CNT: 0
; COMPUTE_PGM_RSRC3_GFX90A:ACCUM_OFFSET: 0
; COMPUTE_PGM_RSRC3_GFX90A:TG_SPLIT: 0
	.section	.text._ZN7rocprim17ROCPRIM_400000_NS6detail17trampoline_kernelINS0_14default_configENS1_27scan_by_key_config_selectorIifEEZZNS1_16scan_by_key_implILNS1_25lookback_scan_determinismE0ELb1ES3_N6thrust23THRUST_200600_302600_NS6detail15normal_iteratorINS9_10device_ptrIiEEEENSB_INSC_IjEEEENSB_INSC_IfEEEEfNS9_4plusIvEENS9_8equal_toIvEEfEE10hipError_tPvRmT2_T3_T4_T5_mT6_T7_P12ihipStream_tbENKUlT_T0_E_clISt17integral_constantIbLb1EES13_EEDaSY_SZ_EUlSY_E_NS1_11comp_targetILNS1_3genE9ELNS1_11target_archE1100ELNS1_3gpuE3ELNS1_3repE0EEENS1_30default_config_static_selectorELNS0_4arch9wavefront6targetE1EEEvT1_,"axG",@progbits,_ZN7rocprim17ROCPRIM_400000_NS6detail17trampoline_kernelINS0_14default_configENS1_27scan_by_key_config_selectorIifEEZZNS1_16scan_by_key_implILNS1_25lookback_scan_determinismE0ELb1ES3_N6thrust23THRUST_200600_302600_NS6detail15normal_iteratorINS9_10device_ptrIiEEEENSB_INSC_IjEEEENSB_INSC_IfEEEEfNS9_4plusIvEENS9_8equal_toIvEEfEE10hipError_tPvRmT2_T3_T4_T5_mT6_T7_P12ihipStream_tbENKUlT_T0_E_clISt17integral_constantIbLb1EES13_EEDaSY_SZ_EUlSY_E_NS1_11comp_targetILNS1_3genE9ELNS1_11target_archE1100ELNS1_3gpuE3ELNS1_3repE0EEENS1_30default_config_static_selectorELNS0_4arch9wavefront6targetE1EEEvT1_,comdat
	.protected	_ZN7rocprim17ROCPRIM_400000_NS6detail17trampoline_kernelINS0_14default_configENS1_27scan_by_key_config_selectorIifEEZZNS1_16scan_by_key_implILNS1_25lookback_scan_determinismE0ELb1ES3_N6thrust23THRUST_200600_302600_NS6detail15normal_iteratorINS9_10device_ptrIiEEEENSB_INSC_IjEEEENSB_INSC_IfEEEEfNS9_4plusIvEENS9_8equal_toIvEEfEE10hipError_tPvRmT2_T3_T4_T5_mT6_T7_P12ihipStream_tbENKUlT_T0_E_clISt17integral_constantIbLb1EES13_EEDaSY_SZ_EUlSY_E_NS1_11comp_targetILNS1_3genE9ELNS1_11target_archE1100ELNS1_3gpuE3ELNS1_3repE0EEENS1_30default_config_static_selectorELNS0_4arch9wavefront6targetE1EEEvT1_ ; -- Begin function _ZN7rocprim17ROCPRIM_400000_NS6detail17trampoline_kernelINS0_14default_configENS1_27scan_by_key_config_selectorIifEEZZNS1_16scan_by_key_implILNS1_25lookback_scan_determinismE0ELb1ES3_N6thrust23THRUST_200600_302600_NS6detail15normal_iteratorINS9_10device_ptrIiEEEENSB_INSC_IjEEEENSB_INSC_IfEEEEfNS9_4plusIvEENS9_8equal_toIvEEfEE10hipError_tPvRmT2_T3_T4_T5_mT6_T7_P12ihipStream_tbENKUlT_T0_E_clISt17integral_constantIbLb1EES13_EEDaSY_SZ_EUlSY_E_NS1_11comp_targetILNS1_3genE9ELNS1_11target_archE1100ELNS1_3gpuE3ELNS1_3repE0EEENS1_30default_config_static_selectorELNS0_4arch9wavefront6targetE1EEEvT1_
	.globl	_ZN7rocprim17ROCPRIM_400000_NS6detail17trampoline_kernelINS0_14default_configENS1_27scan_by_key_config_selectorIifEEZZNS1_16scan_by_key_implILNS1_25lookback_scan_determinismE0ELb1ES3_N6thrust23THRUST_200600_302600_NS6detail15normal_iteratorINS9_10device_ptrIiEEEENSB_INSC_IjEEEENSB_INSC_IfEEEEfNS9_4plusIvEENS9_8equal_toIvEEfEE10hipError_tPvRmT2_T3_T4_T5_mT6_T7_P12ihipStream_tbENKUlT_T0_E_clISt17integral_constantIbLb1EES13_EEDaSY_SZ_EUlSY_E_NS1_11comp_targetILNS1_3genE9ELNS1_11target_archE1100ELNS1_3gpuE3ELNS1_3repE0EEENS1_30default_config_static_selectorELNS0_4arch9wavefront6targetE1EEEvT1_
	.p2align	8
	.type	_ZN7rocprim17ROCPRIM_400000_NS6detail17trampoline_kernelINS0_14default_configENS1_27scan_by_key_config_selectorIifEEZZNS1_16scan_by_key_implILNS1_25lookback_scan_determinismE0ELb1ES3_N6thrust23THRUST_200600_302600_NS6detail15normal_iteratorINS9_10device_ptrIiEEEENSB_INSC_IjEEEENSB_INSC_IfEEEEfNS9_4plusIvEENS9_8equal_toIvEEfEE10hipError_tPvRmT2_T3_T4_T5_mT6_T7_P12ihipStream_tbENKUlT_T0_E_clISt17integral_constantIbLb1EES13_EEDaSY_SZ_EUlSY_E_NS1_11comp_targetILNS1_3genE9ELNS1_11target_archE1100ELNS1_3gpuE3ELNS1_3repE0EEENS1_30default_config_static_selectorELNS0_4arch9wavefront6targetE1EEEvT1_,@function
_ZN7rocprim17ROCPRIM_400000_NS6detail17trampoline_kernelINS0_14default_configENS1_27scan_by_key_config_selectorIifEEZZNS1_16scan_by_key_implILNS1_25lookback_scan_determinismE0ELb1ES3_N6thrust23THRUST_200600_302600_NS6detail15normal_iteratorINS9_10device_ptrIiEEEENSB_INSC_IjEEEENSB_INSC_IfEEEEfNS9_4plusIvEENS9_8equal_toIvEEfEE10hipError_tPvRmT2_T3_T4_T5_mT6_T7_P12ihipStream_tbENKUlT_T0_E_clISt17integral_constantIbLb1EES13_EEDaSY_SZ_EUlSY_E_NS1_11comp_targetILNS1_3genE9ELNS1_11target_archE1100ELNS1_3gpuE3ELNS1_3repE0EEENS1_30default_config_static_selectorELNS0_4arch9wavefront6targetE1EEEvT1_: ; @_ZN7rocprim17ROCPRIM_400000_NS6detail17trampoline_kernelINS0_14default_configENS1_27scan_by_key_config_selectorIifEEZZNS1_16scan_by_key_implILNS1_25lookback_scan_determinismE0ELb1ES3_N6thrust23THRUST_200600_302600_NS6detail15normal_iteratorINS9_10device_ptrIiEEEENSB_INSC_IjEEEENSB_INSC_IfEEEEfNS9_4plusIvEENS9_8equal_toIvEEfEE10hipError_tPvRmT2_T3_T4_T5_mT6_T7_P12ihipStream_tbENKUlT_T0_E_clISt17integral_constantIbLb1EES13_EEDaSY_SZ_EUlSY_E_NS1_11comp_targetILNS1_3genE9ELNS1_11target_archE1100ELNS1_3gpuE3ELNS1_3repE0EEENS1_30default_config_static_selectorELNS0_4arch9wavefront6targetE1EEEvT1_
; %bb.0:
	.section	.rodata,"a",@progbits
	.p2align	6, 0x0
	.amdhsa_kernel _ZN7rocprim17ROCPRIM_400000_NS6detail17trampoline_kernelINS0_14default_configENS1_27scan_by_key_config_selectorIifEEZZNS1_16scan_by_key_implILNS1_25lookback_scan_determinismE0ELb1ES3_N6thrust23THRUST_200600_302600_NS6detail15normal_iteratorINS9_10device_ptrIiEEEENSB_INSC_IjEEEENSB_INSC_IfEEEEfNS9_4plusIvEENS9_8equal_toIvEEfEE10hipError_tPvRmT2_T3_T4_T5_mT6_T7_P12ihipStream_tbENKUlT_T0_E_clISt17integral_constantIbLb1EES13_EEDaSY_SZ_EUlSY_E_NS1_11comp_targetILNS1_3genE9ELNS1_11target_archE1100ELNS1_3gpuE3ELNS1_3repE0EEENS1_30default_config_static_selectorELNS0_4arch9wavefront6targetE1EEEvT1_
		.amdhsa_group_segment_fixed_size 0
		.amdhsa_private_segment_fixed_size 0
		.amdhsa_kernarg_size 112
		.amdhsa_user_sgpr_count 2
		.amdhsa_user_sgpr_dispatch_ptr 0
		.amdhsa_user_sgpr_queue_ptr 0
		.amdhsa_user_sgpr_kernarg_segment_ptr 1
		.amdhsa_user_sgpr_dispatch_id 0
		.amdhsa_user_sgpr_kernarg_preload_length 0
		.amdhsa_user_sgpr_kernarg_preload_offset 0
		.amdhsa_user_sgpr_private_segment_size 0
		.amdhsa_uses_dynamic_stack 0
		.amdhsa_enable_private_segment 0
		.amdhsa_system_sgpr_workgroup_id_x 1
		.amdhsa_system_sgpr_workgroup_id_y 0
		.amdhsa_system_sgpr_workgroup_id_z 0
		.amdhsa_system_sgpr_workgroup_info 0
		.amdhsa_system_vgpr_workitem_id 0
		.amdhsa_next_free_vgpr 1
		.amdhsa_next_free_sgpr 0
		.amdhsa_accum_offset 4
		.amdhsa_reserve_vcc 0
		.amdhsa_float_round_mode_32 0
		.amdhsa_float_round_mode_16_64 0
		.amdhsa_float_denorm_mode_32 3
		.amdhsa_float_denorm_mode_16_64 3
		.amdhsa_dx10_clamp 1
		.amdhsa_ieee_mode 1
		.amdhsa_fp16_overflow 0
		.amdhsa_tg_split 0
		.amdhsa_exception_fp_ieee_invalid_op 0
		.amdhsa_exception_fp_denorm_src 0
		.amdhsa_exception_fp_ieee_div_zero 0
		.amdhsa_exception_fp_ieee_overflow 0
		.amdhsa_exception_fp_ieee_underflow 0
		.amdhsa_exception_fp_ieee_inexact 0
		.amdhsa_exception_int_div_zero 0
	.end_amdhsa_kernel
	.section	.text._ZN7rocprim17ROCPRIM_400000_NS6detail17trampoline_kernelINS0_14default_configENS1_27scan_by_key_config_selectorIifEEZZNS1_16scan_by_key_implILNS1_25lookback_scan_determinismE0ELb1ES3_N6thrust23THRUST_200600_302600_NS6detail15normal_iteratorINS9_10device_ptrIiEEEENSB_INSC_IjEEEENSB_INSC_IfEEEEfNS9_4plusIvEENS9_8equal_toIvEEfEE10hipError_tPvRmT2_T3_T4_T5_mT6_T7_P12ihipStream_tbENKUlT_T0_E_clISt17integral_constantIbLb1EES13_EEDaSY_SZ_EUlSY_E_NS1_11comp_targetILNS1_3genE9ELNS1_11target_archE1100ELNS1_3gpuE3ELNS1_3repE0EEENS1_30default_config_static_selectorELNS0_4arch9wavefront6targetE1EEEvT1_,"axG",@progbits,_ZN7rocprim17ROCPRIM_400000_NS6detail17trampoline_kernelINS0_14default_configENS1_27scan_by_key_config_selectorIifEEZZNS1_16scan_by_key_implILNS1_25lookback_scan_determinismE0ELb1ES3_N6thrust23THRUST_200600_302600_NS6detail15normal_iteratorINS9_10device_ptrIiEEEENSB_INSC_IjEEEENSB_INSC_IfEEEEfNS9_4plusIvEENS9_8equal_toIvEEfEE10hipError_tPvRmT2_T3_T4_T5_mT6_T7_P12ihipStream_tbENKUlT_T0_E_clISt17integral_constantIbLb1EES13_EEDaSY_SZ_EUlSY_E_NS1_11comp_targetILNS1_3genE9ELNS1_11target_archE1100ELNS1_3gpuE3ELNS1_3repE0EEENS1_30default_config_static_selectorELNS0_4arch9wavefront6targetE1EEEvT1_,comdat
.Lfunc_end1696:
	.size	_ZN7rocprim17ROCPRIM_400000_NS6detail17trampoline_kernelINS0_14default_configENS1_27scan_by_key_config_selectorIifEEZZNS1_16scan_by_key_implILNS1_25lookback_scan_determinismE0ELb1ES3_N6thrust23THRUST_200600_302600_NS6detail15normal_iteratorINS9_10device_ptrIiEEEENSB_INSC_IjEEEENSB_INSC_IfEEEEfNS9_4plusIvEENS9_8equal_toIvEEfEE10hipError_tPvRmT2_T3_T4_T5_mT6_T7_P12ihipStream_tbENKUlT_T0_E_clISt17integral_constantIbLb1EES13_EEDaSY_SZ_EUlSY_E_NS1_11comp_targetILNS1_3genE9ELNS1_11target_archE1100ELNS1_3gpuE3ELNS1_3repE0EEENS1_30default_config_static_selectorELNS0_4arch9wavefront6targetE1EEEvT1_, .Lfunc_end1696-_ZN7rocprim17ROCPRIM_400000_NS6detail17trampoline_kernelINS0_14default_configENS1_27scan_by_key_config_selectorIifEEZZNS1_16scan_by_key_implILNS1_25lookback_scan_determinismE0ELb1ES3_N6thrust23THRUST_200600_302600_NS6detail15normal_iteratorINS9_10device_ptrIiEEEENSB_INSC_IjEEEENSB_INSC_IfEEEEfNS9_4plusIvEENS9_8equal_toIvEEfEE10hipError_tPvRmT2_T3_T4_T5_mT6_T7_P12ihipStream_tbENKUlT_T0_E_clISt17integral_constantIbLb1EES13_EEDaSY_SZ_EUlSY_E_NS1_11comp_targetILNS1_3genE9ELNS1_11target_archE1100ELNS1_3gpuE3ELNS1_3repE0EEENS1_30default_config_static_selectorELNS0_4arch9wavefront6targetE1EEEvT1_
                                        ; -- End function
	.section	.AMDGPU.csdata,"",@progbits
; Kernel info:
; codeLenInByte = 0
; NumSgprs: 6
; NumVgprs: 0
; NumAgprs: 0
; TotalNumVgprs: 0
; ScratchSize: 0
; MemoryBound: 0
; FloatMode: 240
; IeeeMode: 1
; LDSByteSize: 0 bytes/workgroup (compile time only)
; SGPRBlocks: 0
; VGPRBlocks: 0
; NumSGPRsForWavesPerEU: 6
; NumVGPRsForWavesPerEU: 1
; AccumOffset: 4
; Occupancy: 8
; WaveLimiterHint : 0
; COMPUTE_PGM_RSRC2:SCRATCH_EN: 0
; COMPUTE_PGM_RSRC2:USER_SGPR: 2
; COMPUTE_PGM_RSRC2:TRAP_HANDLER: 0
; COMPUTE_PGM_RSRC2:TGID_X_EN: 1
; COMPUTE_PGM_RSRC2:TGID_Y_EN: 0
; COMPUTE_PGM_RSRC2:TGID_Z_EN: 0
; COMPUTE_PGM_RSRC2:TIDIG_COMP_CNT: 0
; COMPUTE_PGM_RSRC3_GFX90A:ACCUM_OFFSET: 0
; COMPUTE_PGM_RSRC3_GFX90A:TG_SPLIT: 0
	.section	.text._ZN7rocprim17ROCPRIM_400000_NS6detail17trampoline_kernelINS0_14default_configENS1_27scan_by_key_config_selectorIifEEZZNS1_16scan_by_key_implILNS1_25lookback_scan_determinismE0ELb1ES3_N6thrust23THRUST_200600_302600_NS6detail15normal_iteratorINS9_10device_ptrIiEEEENSB_INSC_IjEEEENSB_INSC_IfEEEEfNS9_4plusIvEENS9_8equal_toIvEEfEE10hipError_tPvRmT2_T3_T4_T5_mT6_T7_P12ihipStream_tbENKUlT_T0_E_clISt17integral_constantIbLb1EES13_EEDaSY_SZ_EUlSY_E_NS1_11comp_targetILNS1_3genE8ELNS1_11target_archE1030ELNS1_3gpuE2ELNS1_3repE0EEENS1_30default_config_static_selectorELNS0_4arch9wavefront6targetE1EEEvT1_,"axG",@progbits,_ZN7rocprim17ROCPRIM_400000_NS6detail17trampoline_kernelINS0_14default_configENS1_27scan_by_key_config_selectorIifEEZZNS1_16scan_by_key_implILNS1_25lookback_scan_determinismE0ELb1ES3_N6thrust23THRUST_200600_302600_NS6detail15normal_iteratorINS9_10device_ptrIiEEEENSB_INSC_IjEEEENSB_INSC_IfEEEEfNS9_4plusIvEENS9_8equal_toIvEEfEE10hipError_tPvRmT2_T3_T4_T5_mT6_T7_P12ihipStream_tbENKUlT_T0_E_clISt17integral_constantIbLb1EES13_EEDaSY_SZ_EUlSY_E_NS1_11comp_targetILNS1_3genE8ELNS1_11target_archE1030ELNS1_3gpuE2ELNS1_3repE0EEENS1_30default_config_static_selectorELNS0_4arch9wavefront6targetE1EEEvT1_,comdat
	.protected	_ZN7rocprim17ROCPRIM_400000_NS6detail17trampoline_kernelINS0_14default_configENS1_27scan_by_key_config_selectorIifEEZZNS1_16scan_by_key_implILNS1_25lookback_scan_determinismE0ELb1ES3_N6thrust23THRUST_200600_302600_NS6detail15normal_iteratorINS9_10device_ptrIiEEEENSB_INSC_IjEEEENSB_INSC_IfEEEEfNS9_4plusIvEENS9_8equal_toIvEEfEE10hipError_tPvRmT2_T3_T4_T5_mT6_T7_P12ihipStream_tbENKUlT_T0_E_clISt17integral_constantIbLb1EES13_EEDaSY_SZ_EUlSY_E_NS1_11comp_targetILNS1_3genE8ELNS1_11target_archE1030ELNS1_3gpuE2ELNS1_3repE0EEENS1_30default_config_static_selectorELNS0_4arch9wavefront6targetE1EEEvT1_ ; -- Begin function _ZN7rocprim17ROCPRIM_400000_NS6detail17trampoline_kernelINS0_14default_configENS1_27scan_by_key_config_selectorIifEEZZNS1_16scan_by_key_implILNS1_25lookback_scan_determinismE0ELb1ES3_N6thrust23THRUST_200600_302600_NS6detail15normal_iteratorINS9_10device_ptrIiEEEENSB_INSC_IjEEEENSB_INSC_IfEEEEfNS9_4plusIvEENS9_8equal_toIvEEfEE10hipError_tPvRmT2_T3_T4_T5_mT6_T7_P12ihipStream_tbENKUlT_T0_E_clISt17integral_constantIbLb1EES13_EEDaSY_SZ_EUlSY_E_NS1_11comp_targetILNS1_3genE8ELNS1_11target_archE1030ELNS1_3gpuE2ELNS1_3repE0EEENS1_30default_config_static_selectorELNS0_4arch9wavefront6targetE1EEEvT1_
	.globl	_ZN7rocprim17ROCPRIM_400000_NS6detail17trampoline_kernelINS0_14default_configENS1_27scan_by_key_config_selectorIifEEZZNS1_16scan_by_key_implILNS1_25lookback_scan_determinismE0ELb1ES3_N6thrust23THRUST_200600_302600_NS6detail15normal_iteratorINS9_10device_ptrIiEEEENSB_INSC_IjEEEENSB_INSC_IfEEEEfNS9_4plusIvEENS9_8equal_toIvEEfEE10hipError_tPvRmT2_T3_T4_T5_mT6_T7_P12ihipStream_tbENKUlT_T0_E_clISt17integral_constantIbLb1EES13_EEDaSY_SZ_EUlSY_E_NS1_11comp_targetILNS1_3genE8ELNS1_11target_archE1030ELNS1_3gpuE2ELNS1_3repE0EEENS1_30default_config_static_selectorELNS0_4arch9wavefront6targetE1EEEvT1_
	.p2align	8
	.type	_ZN7rocprim17ROCPRIM_400000_NS6detail17trampoline_kernelINS0_14default_configENS1_27scan_by_key_config_selectorIifEEZZNS1_16scan_by_key_implILNS1_25lookback_scan_determinismE0ELb1ES3_N6thrust23THRUST_200600_302600_NS6detail15normal_iteratorINS9_10device_ptrIiEEEENSB_INSC_IjEEEENSB_INSC_IfEEEEfNS9_4plusIvEENS9_8equal_toIvEEfEE10hipError_tPvRmT2_T3_T4_T5_mT6_T7_P12ihipStream_tbENKUlT_T0_E_clISt17integral_constantIbLb1EES13_EEDaSY_SZ_EUlSY_E_NS1_11comp_targetILNS1_3genE8ELNS1_11target_archE1030ELNS1_3gpuE2ELNS1_3repE0EEENS1_30default_config_static_selectorELNS0_4arch9wavefront6targetE1EEEvT1_,@function
_ZN7rocprim17ROCPRIM_400000_NS6detail17trampoline_kernelINS0_14default_configENS1_27scan_by_key_config_selectorIifEEZZNS1_16scan_by_key_implILNS1_25lookback_scan_determinismE0ELb1ES3_N6thrust23THRUST_200600_302600_NS6detail15normal_iteratorINS9_10device_ptrIiEEEENSB_INSC_IjEEEENSB_INSC_IfEEEEfNS9_4plusIvEENS9_8equal_toIvEEfEE10hipError_tPvRmT2_T3_T4_T5_mT6_T7_P12ihipStream_tbENKUlT_T0_E_clISt17integral_constantIbLb1EES13_EEDaSY_SZ_EUlSY_E_NS1_11comp_targetILNS1_3genE8ELNS1_11target_archE1030ELNS1_3gpuE2ELNS1_3repE0EEENS1_30default_config_static_selectorELNS0_4arch9wavefront6targetE1EEEvT1_: ; @_ZN7rocprim17ROCPRIM_400000_NS6detail17trampoline_kernelINS0_14default_configENS1_27scan_by_key_config_selectorIifEEZZNS1_16scan_by_key_implILNS1_25lookback_scan_determinismE0ELb1ES3_N6thrust23THRUST_200600_302600_NS6detail15normal_iteratorINS9_10device_ptrIiEEEENSB_INSC_IjEEEENSB_INSC_IfEEEEfNS9_4plusIvEENS9_8equal_toIvEEfEE10hipError_tPvRmT2_T3_T4_T5_mT6_T7_P12ihipStream_tbENKUlT_T0_E_clISt17integral_constantIbLb1EES13_EEDaSY_SZ_EUlSY_E_NS1_11comp_targetILNS1_3genE8ELNS1_11target_archE1030ELNS1_3gpuE2ELNS1_3repE0EEENS1_30default_config_static_selectorELNS0_4arch9wavefront6targetE1EEEvT1_
; %bb.0:
	.section	.rodata,"a",@progbits
	.p2align	6, 0x0
	.amdhsa_kernel _ZN7rocprim17ROCPRIM_400000_NS6detail17trampoline_kernelINS0_14default_configENS1_27scan_by_key_config_selectorIifEEZZNS1_16scan_by_key_implILNS1_25lookback_scan_determinismE0ELb1ES3_N6thrust23THRUST_200600_302600_NS6detail15normal_iteratorINS9_10device_ptrIiEEEENSB_INSC_IjEEEENSB_INSC_IfEEEEfNS9_4plusIvEENS9_8equal_toIvEEfEE10hipError_tPvRmT2_T3_T4_T5_mT6_T7_P12ihipStream_tbENKUlT_T0_E_clISt17integral_constantIbLb1EES13_EEDaSY_SZ_EUlSY_E_NS1_11comp_targetILNS1_3genE8ELNS1_11target_archE1030ELNS1_3gpuE2ELNS1_3repE0EEENS1_30default_config_static_selectorELNS0_4arch9wavefront6targetE1EEEvT1_
		.amdhsa_group_segment_fixed_size 0
		.amdhsa_private_segment_fixed_size 0
		.amdhsa_kernarg_size 112
		.amdhsa_user_sgpr_count 2
		.amdhsa_user_sgpr_dispatch_ptr 0
		.amdhsa_user_sgpr_queue_ptr 0
		.amdhsa_user_sgpr_kernarg_segment_ptr 1
		.amdhsa_user_sgpr_dispatch_id 0
		.amdhsa_user_sgpr_kernarg_preload_length 0
		.amdhsa_user_sgpr_kernarg_preload_offset 0
		.amdhsa_user_sgpr_private_segment_size 0
		.amdhsa_uses_dynamic_stack 0
		.amdhsa_enable_private_segment 0
		.amdhsa_system_sgpr_workgroup_id_x 1
		.amdhsa_system_sgpr_workgroup_id_y 0
		.amdhsa_system_sgpr_workgroup_id_z 0
		.amdhsa_system_sgpr_workgroup_info 0
		.amdhsa_system_vgpr_workitem_id 0
		.amdhsa_next_free_vgpr 1
		.amdhsa_next_free_sgpr 0
		.amdhsa_accum_offset 4
		.amdhsa_reserve_vcc 0
		.amdhsa_float_round_mode_32 0
		.amdhsa_float_round_mode_16_64 0
		.amdhsa_float_denorm_mode_32 3
		.amdhsa_float_denorm_mode_16_64 3
		.amdhsa_dx10_clamp 1
		.amdhsa_ieee_mode 1
		.amdhsa_fp16_overflow 0
		.amdhsa_tg_split 0
		.amdhsa_exception_fp_ieee_invalid_op 0
		.amdhsa_exception_fp_denorm_src 0
		.amdhsa_exception_fp_ieee_div_zero 0
		.amdhsa_exception_fp_ieee_overflow 0
		.amdhsa_exception_fp_ieee_underflow 0
		.amdhsa_exception_fp_ieee_inexact 0
		.amdhsa_exception_int_div_zero 0
	.end_amdhsa_kernel
	.section	.text._ZN7rocprim17ROCPRIM_400000_NS6detail17trampoline_kernelINS0_14default_configENS1_27scan_by_key_config_selectorIifEEZZNS1_16scan_by_key_implILNS1_25lookback_scan_determinismE0ELb1ES3_N6thrust23THRUST_200600_302600_NS6detail15normal_iteratorINS9_10device_ptrIiEEEENSB_INSC_IjEEEENSB_INSC_IfEEEEfNS9_4plusIvEENS9_8equal_toIvEEfEE10hipError_tPvRmT2_T3_T4_T5_mT6_T7_P12ihipStream_tbENKUlT_T0_E_clISt17integral_constantIbLb1EES13_EEDaSY_SZ_EUlSY_E_NS1_11comp_targetILNS1_3genE8ELNS1_11target_archE1030ELNS1_3gpuE2ELNS1_3repE0EEENS1_30default_config_static_selectorELNS0_4arch9wavefront6targetE1EEEvT1_,"axG",@progbits,_ZN7rocprim17ROCPRIM_400000_NS6detail17trampoline_kernelINS0_14default_configENS1_27scan_by_key_config_selectorIifEEZZNS1_16scan_by_key_implILNS1_25lookback_scan_determinismE0ELb1ES3_N6thrust23THRUST_200600_302600_NS6detail15normal_iteratorINS9_10device_ptrIiEEEENSB_INSC_IjEEEENSB_INSC_IfEEEEfNS9_4plusIvEENS9_8equal_toIvEEfEE10hipError_tPvRmT2_T3_T4_T5_mT6_T7_P12ihipStream_tbENKUlT_T0_E_clISt17integral_constantIbLb1EES13_EEDaSY_SZ_EUlSY_E_NS1_11comp_targetILNS1_3genE8ELNS1_11target_archE1030ELNS1_3gpuE2ELNS1_3repE0EEENS1_30default_config_static_selectorELNS0_4arch9wavefront6targetE1EEEvT1_,comdat
.Lfunc_end1697:
	.size	_ZN7rocprim17ROCPRIM_400000_NS6detail17trampoline_kernelINS0_14default_configENS1_27scan_by_key_config_selectorIifEEZZNS1_16scan_by_key_implILNS1_25lookback_scan_determinismE0ELb1ES3_N6thrust23THRUST_200600_302600_NS6detail15normal_iteratorINS9_10device_ptrIiEEEENSB_INSC_IjEEEENSB_INSC_IfEEEEfNS9_4plusIvEENS9_8equal_toIvEEfEE10hipError_tPvRmT2_T3_T4_T5_mT6_T7_P12ihipStream_tbENKUlT_T0_E_clISt17integral_constantIbLb1EES13_EEDaSY_SZ_EUlSY_E_NS1_11comp_targetILNS1_3genE8ELNS1_11target_archE1030ELNS1_3gpuE2ELNS1_3repE0EEENS1_30default_config_static_selectorELNS0_4arch9wavefront6targetE1EEEvT1_, .Lfunc_end1697-_ZN7rocprim17ROCPRIM_400000_NS6detail17trampoline_kernelINS0_14default_configENS1_27scan_by_key_config_selectorIifEEZZNS1_16scan_by_key_implILNS1_25lookback_scan_determinismE0ELb1ES3_N6thrust23THRUST_200600_302600_NS6detail15normal_iteratorINS9_10device_ptrIiEEEENSB_INSC_IjEEEENSB_INSC_IfEEEEfNS9_4plusIvEENS9_8equal_toIvEEfEE10hipError_tPvRmT2_T3_T4_T5_mT6_T7_P12ihipStream_tbENKUlT_T0_E_clISt17integral_constantIbLb1EES13_EEDaSY_SZ_EUlSY_E_NS1_11comp_targetILNS1_3genE8ELNS1_11target_archE1030ELNS1_3gpuE2ELNS1_3repE0EEENS1_30default_config_static_selectorELNS0_4arch9wavefront6targetE1EEEvT1_
                                        ; -- End function
	.section	.AMDGPU.csdata,"",@progbits
; Kernel info:
; codeLenInByte = 0
; NumSgprs: 6
; NumVgprs: 0
; NumAgprs: 0
; TotalNumVgprs: 0
; ScratchSize: 0
; MemoryBound: 0
; FloatMode: 240
; IeeeMode: 1
; LDSByteSize: 0 bytes/workgroup (compile time only)
; SGPRBlocks: 0
; VGPRBlocks: 0
; NumSGPRsForWavesPerEU: 6
; NumVGPRsForWavesPerEU: 1
; AccumOffset: 4
; Occupancy: 8
; WaveLimiterHint : 0
; COMPUTE_PGM_RSRC2:SCRATCH_EN: 0
; COMPUTE_PGM_RSRC2:USER_SGPR: 2
; COMPUTE_PGM_RSRC2:TRAP_HANDLER: 0
; COMPUTE_PGM_RSRC2:TGID_X_EN: 1
; COMPUTE_PGM_RSRC2:TGID_Y_EN: 0
; COMPUTE_PGM_RSRC2:TGID_Z_EN: 0
; COMPUTE_PGM_RSRC2:TIDIG_COMP_CNT: 0
; COMPUTE_PGM_RSRC3_GFX90A:ACCUM_OFFSET: 0
; COMPUTE_PGM_RSRC3_GFX90A:TG_SPLIT: 0
	.section	.text._ZN7rocprim17ROCPRIM_400000_NS6detail17trampoline_kernelINS0_14default_configENS1_27scan_by_key_config_selectorIifEEZZNS1_16scan_by_key_implILNS1_25lookback_scan_determinismE0ELb1ES3_N6thrust23THRUST_200600_302600_NS6detail15normal_iteratorINS9_10device_ptrIiEEEENSB_INSC_IjEEEENSB_INSC_IfEEEEfNS9_4plusIvEENS9_8equal_toIvEEfEE10hipError_tPvRmT2_T3_T4_T5_mT6_T7_P12ihipStream_tbENKUlT_T0_E_clISt17integral_constantIbLb1EES12_IbLb0EEEEDaSY_SZ_EUlSY_E_NS1_11comp_targetILNS1_3genE0ELNS1_11target_archE4294967295ELNS1_3gpuE0ELNS1_3repE0EEENS1_30default_config_static_selectorELNS0_4arch9wavefront6targetE1EEEvT1_,"axG",@progbits,_ZN7rocprim17ROCPRIM_400000_NS6detail17trampoline_kernelINS0_14default_configENS1_27scan_by_key_config_selectorIifEEZZNS1_16scan_by_key_implILNS1_25lookback_scan_determinismE0ELb1ES3_N6thrust23THRUST_200600_302600_NS6detail15normal_iteratorINS9_10device_ptrIiEEEENSB_INSC_IjEEEENSB_INSC_IfEEEEfNS9_4plusIvEENS9_8equal_toIvEEfEE10hipError_tPvRmT2_T3_T4_T5_mT6_T7_P12ihipStream_tbENKUlT_T0_E_clISt17integral_constantIbLb1EES12_IbLb0EEEEDaSY_SZ_EUlSY_E_NS1_11comp_targetILNS1_3genE0ELNS1_11target_archE4294967295ELNS1_3gpuE0ELNS1_3repE0EEENS1_30default_config_static_selectorELNS0_4arch9wavefront6targetE1EEEvT1_,comdat
	.protected	_ZN7rocprim17ROCPRIM_400000_NS6detail17trampoline_kernelINS0_14default_configENS1_27scan_by_key_config_selectorIifEEZZNS1_16scan_by_key_implILNS1_25lookback_scan_determinismE0ELb1ES3_N6thrust23THRUST_200600_302600_NS6detail15normal_iteratorINS9_10device_ptrIiEEEENSB_INSC_IjEEEENSB_INSC_IfEEEEfNS9_4plusIvEENS9_8equal_toIvEEfEE10hipError_tPvRmT2_T3_T4_T5_mT6_T7_P12ihipStream_tbENKUlT_T0_E_clISt17integral_constantIbLb1EES12_IbLb0EEEEDaSY_SZ_EUlSY_E_NS1_11comp_targetILNS1_3genE0ELNS1_11target_archE4294967295ELNS1_3gpuE0ELNS1_3repE0EEENS1_30default_config_static_selectorELNS0_4arch9wavefront6targetE1EEEvT1_ ; -- Begin function _ZN7rocprim17ROCPRIM_400000_NS6detail17trampoline_kernelINS0_14default_configENS1_27scan_by_key_config_selectorIifEEZZNS1_16scan_by_key_implILNS1_25lookback_scan_determinismE0ELb1ES3_N6thrust23THRUST_200600_302600_NS6detail15normal_iteratorINS9_10device_ptrIiEEEENSB_INSC_IjEEEENSB_INSC_IfEEEEfNS9_4plusIvEENS9_8equal_toIvEEfEE10hipError_tPvRmT2_T3_T4_T5_mT6_T7_P12ihipStream_tbENKUlT_T0_E_clISt17integral_constantIbLb1EES12_IbLb0EEEEDaSY_SZ_EUlSY_E_NS1_11comp_targetILNS1_3genE0ELNS1_11target_archE4294967295ELNS1_3gpuE0ELNS1_3repE0EEENS1_30default_config_static_selectorELNS0_4arch9wavefront6targetE1EEEvT1_
	.globl	_ZN7rocprim17ROCPRIM_400000_NS6detail17trampoline_kernelINS0_14default_configENS1_27scan_by_key_config_selectorIifEEZZNS1_16scan_by_key_implILNS1_25lookback_scan_determinismE0ELb1ES3_N6thrust23THRUST_200600_302600_NS6detail15normal_iteratorINS9_10device_ptrIiEEEENSB_INSC_IjEEEENSB_INSC_IfEEEEfNS9_4plusIvEENS9_8equal_toIvEEfEE10hipError_tPvRmT2_T3_T4_T5_mT6_T7_P12ihipStream_tbENKUlT_T0_E_clISt17integral_constantIbLb1EES12_IbLb0EEEEDaSY_SZ_EUlSY_E_NS1_11comp_targetILNS1_3genE0ELNS1_11target_archE4294967295ELNS1_3gpuE0ELNS1_3repE0EEENS1_30default_config_static_selectorELNS0_4arch9wavefront6targetE1EEEvT1_
	.p2align	8
	.type	_ZN7rocprim17ROCPRIM_400000_NS6detail17trampoline_kernelINS0_14default_configENS1_27scan_by_key_config_selectorIifEEZZNS1_16scan_by_key_implILNS1_25lookback_scan_determinismE0ELb1ES3_N6thrust23THRUST_200600_302600_NS6detail15normal_iteratorINS9_10device_ptrIiEEEENSB_INSC_IjEEEENSB_INSC_IfEEEEfNS9_4plusIvEENS9_8equal_toIvEEfEE10hipError_tPvRmT2_T3_T4_T5_mT6_T7_P12ihipStream_tbENKUlT_T0_E_clISt17integral_constantIbLb1EES12_IbLb0EEEEDaSY_SZ_EUlSY_E_NS1_11comp_targetILNS1_3genE0ELNS1_11target_archE4294967295ELNS1_3gpuE0ELNS1_3repE0EEENS1_30default_config_static_selectorELNS0_4arch9wavefront6targetE1EEEvT1_,@function
_ZN7rocprim17ROCPRIM_400000_NS6detail17trampoline_kernelINS0_14default_configENS1_27scan_by_key_config_selectorIifEEZZNS1_16scan_by_key_implILNS1_25lookback_scan_determinismE0ELb1ES3_N6thrust23THRUST_200600_302600_NS6detail15normal_iteratorINS9_10device_ptrIiEEEENSB_INSC_IjEEEENSB_INSC_IfEEEEfNS9_4plusIvEENS9_8equal_toIvEEfEE10hipError_tPvRmT2_T3_T4_T5_mT6_T7_P12ihipStream_tbENKUlT_T0_E_clISt17integral_constantIbLb1EES12_IbLb0EEEEDaSY_SZ_EUlSY_E_NS1_11comp_targetILNS1_3genE0ELNS1_11target_archE4294967295ELNS1_3gpuE0ELNS1_3repE0EEENS1_30default_config_static_selectorELNS0_4arch9wavefront6targetE1EEEvT1_: ; @_ZN7rocprim17ROCPRIM_400000_NS6detail17trampoline_kernelINS0_14default_configENS1_27scan_by_key_config_selectorIifEEZZNS1_16scan_by_key_implILNS1_25lookback_scan_determinismE0ELb1ES3_N6thrust23THRUST_200600_302600_NS6detail15normal_iteratorINS9_10device_ptrIiEEEENSB_INSC_IjEEEENSB_INSC_IfEEEEfNS9_4plusIvEENS9_8equal_toIvEEfEE10hipError_tPvRmT2_T3_T4_T5_mT6_T7_P12ihipStream_tbENKUlT_T0_E_clISt17integral_constantIbLb1EES12_IbLb0EEEEDaSY_SZ_EUlSY_E_NS1_11comp_targetILNS1_3genE0ELNS1_11target_archE4294967295ELNS1_3gpuE0ELNS1_3repE0EEENS1_30default_config_static_selectorELNS0_4arch9wavefront6targetE1EEEvT1_
; %bb.0:
	.section	.rodata,"a",@progbits
	.p2align	6, 0x0
	.amdhsa_kernel _ZN7rocprim17ROCPRIM_400000_NS6detail17trampoline_kernelINS0_14default_configENS1_27scan_by_key_config_selectorIifEEZZNS1_16scan_by_key_implILNS1_25lookback_scan_determinismE0ELb1ES3_N6thrust23THRUST_200600_302600_NS6detail15normal_iteratorINS9_10device_ptrIiEEEENSB_INSC_IjEEEENSB_INSC_IfEEEEfNS9_4plusIvEENS9_8equal_toIvEEfEE10hipError_tPvRmT2_T3_T4_T5_mT6_T7_P12ihipStream_tbENKUlT_T0_E_clISt17integral_constantIbLb1EES12_IbLb0EEEEDaSY_SZ_EUlSY_E_NS1_11comp_targetILNS1_3genE0ELNS1_11target_archE4294967295ELNS1_3gpuE0ELNS1_3repE0EEENS1_30default_config_static_selectorELNS0_4arch9wavefront6targetE1EEEvT1_
		.amdhsa_group_segment_fixed_size 0
		.amdhsa_private_segment_fixed_size 0
		.amdhsa_kernarg_size 112
		.amdhsa_user_sgpr_count 2
		.amdhsa_user_sgpr_dispatch_ptr 0
		.amdhsa_user_sgpr_queue_ptr 0
		.amdhsa_user_sgpr_kernarg_segment_ptr 1
		.amdhsa_user_sgpr_dispatch_id 0
		.amdhsa_user_sgpr_kernarg_preload_length 0
		.amdhsa_user_sgpr_kernarg_preload_offset 0
		.amdhsa_user_sgpr_private_segment_size 0
		.amdhsa_uses_dynamic_stack 0
		.amdhsa_enable_private_segment 0
		.amdhsa_system_sgpr_workgroup_id_x 1
		.amdhsa_system_sgpr_workgroup_id_y 0
		.amdhsa_system_sgpr_workgroup_id_z 0
		.amdhsa_system_sgpr_workgroup_info 0
		.amdhsa_system_vgpr_workitem_id 0
		.amdhsa_next_free_vgpr 1
		.amdhsa_next_free_sgpr 0
		.amdhsa_accum_offset 4
		.amdhsa_reserve_vcc 0
		.amdhsa_float_round_mode_32 0
		.amdhsa_float_round_mode_16_64 0
		.amdhsa_float_denorm_mode_32 3
		.amdhsa_float_denorm_mode_16_64 3
		.amdhsa_dx10_clamp 1
		.amdhsa_ieee_mode 1
		.amdhsa_fp16_overflow 0
		.amdhsa_tg_split 0
		.amdhsa_exception_fp_ieee_invalid_op 0
		.amdhsa_exception_fp_denorm_src 0
		.amdhsa_exception_fp_ieee_div_zero 0
		.amdhsa_exception_fp_ieee_overflow 0
		.amdhsa_exception_fp_ieee_underflow 0
		.amdhsa_exception_fp_ieee_inexact 0
		.amdhsa_exception_int_div_zero 0
	.end_amdhsa_kernel
	.section	.text._ZN7rocprim17ROCPRIM_400000_NS6detail17trampoline_kernelINS0_14default_configENS1_27scan_by_key_config_selectorIifEEZZNS1_16scan_by_key_implILNS1_25lookback_scan_determinismE0ELb1ES3_N6thrust23THRUST_200600_302600_NS6detail15normal_iteratorINS9_10device_ptrIiEEEENSB_INSC_IjEEEENSB_INSC_IfEEEEfNS9_4plusIvEENS9_8equal_toIvEEfEE10hipError_tPvRmT2_T3_T4_T5_mT6_T7_P12ihipStream_tbENKUlT_T0_E_clISt17integral_constantIbLb1EES12_IbLb0EEEEDaSY_SZ_EUlSY_E_NS1_11comp_targetILNS1_3genE0ELNS1_11target_archE4294967295ELNS1_3gpuE0ELNS1_3repE0EEENS1_30default_config_static_selectorELNS0_4arch9wavefront6targetE1EEEvT1_,"axG",@progbits,_ZN7rocprim17ROCPRIM_400000_NS6detail17trampoline_kernelINS0_14default_configENS1_27scan_by_key_config_selectorIifEEZZNS1_16scan_by_key_implILNS1_25lookback_scan_determinismE0ELb1ES3_N6thrust23THRUST_200600_302600_NS6detail15normal_iteratorINS9_10device_ptrIiEEEENSB_INSC_IjEEEENSB_INSC_IfEEEEfNS9_4plusIvEENS9_8equal_toIvEEfEE10hipError_tPvRmT2_T3_T4_T5_mT6_T7_P12ihipStream_tbENKUlT_T0_E_clISt17integral_constantIbLb1EES12_IbLb0EEEEDaSY_SZ_EUlSY_E_NS1_11comp_targetILNS1_3genE0ELNS1_11target_archE4294967295ELNS1_3gpuE0ELNS1_3repE0EEENS1_30default_config_static_selectorELNS0_4arch9wavefront6targetE1EEEvT1_,comdat
.Lfunc_end1698:
	.size	_ZN7rocprim17ROCPRIM_400000_NS6detail17trampoline_kernelINS0_14default_configENS1_27scan_by_key_config_selectorIifEEZZNS1_16scan_by_key_implILNS1_25lookback_scan_determinismE0ELb1ES3_N6thrust23THRUST_200600_302600_NS6detail15normal_iteratorINS9_10device_ptrIiEEEENSB_INSC_IjEEEENSB_INSC_IfEEEEfNS9_4plusIvEENS9_8equal_toIvEEfEE10hipError_tPvRmT2_T3_T4_T5_mT6_T7_P12ihipStream_tbENKUlT_T0_E_clISt17integral_constantIbLb1EES12_IbLb0EEEEDaSY_SZ_EUlSY_E_NS1_11comp_targetILNS1_3genE0ELNS1_11target_archE4294967295ELNS1_3gpuE0ELNS1_3repE0EEENS1_30default_config_static_selectorELNS0_4arch9wavefront6targetE1EEEvT1_, .Lfunc_end1698-_ZN7rocprim17ROCPRIM_400000_NS6detail17trampoline_kernelINS0_14default_configENS1_27scan_by_key_config_selectorIifEEZZNS1_16scan_by_key_implILNS1_25lookback_scan_determinismE0ELb1ES3_N6thrust23THRUST_200600_302600_NS6detail15normal_iteratorINS9_10device_ptrIiEEEENSB_INSC_IjEEEENSB_INSC_IfEEEEfNS9_4plusIvEENS9_8equal_toIvEEfEE10hipError_tPvRmT2_T3_T4_T5_mT6_T7_P12ihipStream_tbENKUlT_T0_E_clISt17integral_constantIbLb1EES12_IbLb0EEEEDaSY_SZ_EUlSY_E_NS1_11comp_targetILNS1_3genE0ELNS1_11target_archE4294967295ELNS1_3gpuE0ELNS1_3repE0EEENS1_30default_config_static_selectorELNS0_4arch9wavefront6targetE1EEEvT1_
                                        ; -- End function
	.section	.AMDGPU.csdata,"",@progbits
; Kernel info:
; codeLenInByte = 0
; NumSgprs: 6
; NumVgprs: 0
; NumAgprs: 0
; TotalNumVgprs: 0
; ScratchSize: 0
; MemoryBound: 0
; FloatMode: 240
; IeeeMode: 1
; LDSByteSize: 0 bytes/workgroup (compile time only)
; SGPRBlocks: 0
; VGPRBlocks: 0
; NumSGPRsForWavesPerEU: 6
; NumVGPRsForWavesPerEU: 1
; AccumOffset: 4
; Occupancy: 8
; WaveLimiterHint : 0
; COMPUTE_PGM_RSRC2:SCRATCH_EN: 0
; COMPUTE_PGM_RSRC2:USER_SGPR: 2
; COMPUTE_PGM_RSRC2:TRAP_HANDLER: 0
; COMPUTE_PGM_RSRC2:TGID_X_EN: 1
; COMPUTE_PGM_RSRC2:TGID_Y_EN: 0
; COMPUTE_PGM_RSRC2:TGID_Z_EN: 0
; COMPUTE_PGM_RSRC2:TIDIG_COMP_CNT: 0
; COMPUTE_PGM_RSRC3_GFX90A:ACCUM_OFFSET: 0
; COMPUTE_PGM_RSRC3_GFX90A:TG_SPLIT: 0
	.section	.text._ZN7rocprim17ROCPRIM_400000_NS6detail17trampoline_kernelINS0_14default_configENS1_27scan_by_key_config_selectorIifEEZZNS1_16scan_by_key_implILNS1_25lookback_scan_determinismE0ELb1ES3_N6thrust23THRUST_200600_302600_NS6detail15normal_iteratorINS9_10device_ptrIiEEEENSB_INSC_IjEEEENSB_INSC_IfEEEEfNS9_4plusIvEENS9_8equal_toIvEEfEE10hipError_tPvRmT2_T3_T4_T5_mT6_T7_P12ihipStream_tbENKUlT_T0_E_clISt17integral_constantIbLb1EES12_IbLb0EEEEDaSY_SZ_EUlSY_E_NS1_11comp_targetILNS1_3genE10ELNS1_11target_archE1201ELNS1_3gpuE5ELNS1_3repE0EEENS1_30default_config_static_selectorELNS0_4arch9wavefront6targetE1EEEvT1_,"axG",@progbits,_ZN7rocprim17ROCPRIM_400000_NS6detail17trampoline_kernelINS0_14default_configENS1_27scan_by_key_config_selectorIifEEZZNS1_16scan_by_key_implILNS1_25lookback_scan_determinismE0ELb1ES3_N6thrust23THRUST_200600_302600_NS6detail15normal_iteratorINS9_10device_ptrIiEEEENSB_INSC_IjEEEENSB_INSC_IfEEEEfNS9_4plusIvEENS9_8equal_toIvEEfEE10hipError_tPvRmT2_T3_T4_T5_mT6_T7_P12ihipStream_tbENKUlT_T0_E_clISt17integral_constantIbLb1EES12_IbLb0EEEEDaSY_SZ_EUlSY_E_NS1_11comp_targetILNS1_3genE10ELNS1_11target_archE1201ELNS1_3gpuE5ELNS1_3repE0EEENS1_30default_config_static_selectorELNS0_4arch9wavefront6targetE1EEEvT1_,comdat
	.protected	_ZN7rocprim17ROCPRIM_400000_NS6detail17trampoline_kernelINS0_14default_configENS1_27scan_by_key_config_selectorIifEEZZNS1_16scan_by_key_implILNS1_25lookback_scan_determinismE0ELb1ES3_N6thrust23THRUST_200600_302600_NS6detail15normal_iteratorINS9_10device_ptrIiEEEENSB_INSC_IjEEEENSB_INSC_IfEEEEfNS9_4plusIvEENS9_8equal_toIvEEfEE10hipError_tPvRmT2_T3_T4_T5_mT6_T7_P12ihipStream_tbENKUlT_T0_E_clISt17integral_constantIbLb1EES12_IbLb0EEEEDaSY_SZ_EUlSY_E_NS1_11comp_targetILNS1_3genE10ELNS1_11target_archE1201ELNS1_3gpuE5ELNS1_3repE0EEENS1_30default_config_static_selectorELNS0_4arch9wavefront6targetE1EEEvT1_ ; -- Begin function _ZN7rocprim17ROCPRIM_400000_NS6detail17trampoline_kernelINS0_14default_configENS1_27scan_by_key_config_selectorIifEEZZNS1_16scan_by_key_implILNS1_25lookback_scan_determinismE0ELb1ES3_N6thrust23THRUST_200600_302600_NS6detail15normal_iteratorINS9_10device_ptrIiEEEENSB_INSC_IjEEEENSB_INSC_IfEEEEfNS9_4plusIvEENS9_8equal_toIvEEfEE10hipError_tPvRmT2_T3_T4_T5_mT6_T7_P12ihipStream_tbENKUlT_T0_E_clISt17integral_constantIbLb1EES12_IbLb0EEEEDaSY_SZ_EUlSY_E_NS1_11comp_targetILNS1_3genE10ELNS1_11target_archE1201ELNS1_3gpuE5ELNS1_3repE0EEENS1_30default_config_static_selectorELNS0_4arch9wavefront6targetE1EEEvT1_
	.globl	_ZN7rocprim17ROCPRIM_400000_NS6detail17trampoline_kernelINS0_14default_configENS1_27scan_by_key_config_selectorIifEEZZNS1_16scan_by_key_implILNS1_25lookback_scan_determinismE0ELb1ES3_N6thrust23THRUST_200600_302600_NS6detail15normal_iteratorINS9_10device_ptrIiEEEENSB_INSC_IjEEEENSB_INSC_IfEEEEfNS9_4plusIvEENS9_8equal_toIvEEfEE10hipError_tPvRmT2_T3_T4_T5_mT6_T7_P12ihipStream_tbENKUlT_T0_E_clISt17integral_constantIbLb1EES12_IbLb0EEEEDaSY_SZ_EUlSY_E_NS1_11comp_targetILNS1_3genE10ELNS1_11target_archE1201ELNS1_3gpuE5ELNS1_3repE0EEENS1_30default_config_static_selectorELNS0_4arch9wavefront6targetE1EEEvT1_
	.p2align	8
	.type	_ZN7rocprim17ROCPRIM_400000_NS6detail17trampoline_kernelINS0_14default_configENS1_27scan_by_key_config_selectorIifEEZZNS1_16scan_by_key_implILNS1_25lookback_scan_determinismE0ELb1ES3_N6thrust23THRUST_200600_302600_NS6detail15normal_iteratorINS9_10device_ptrIiEEEENSB_INSC_IjEEEENSB_INSC_IfEEEEfNS9_4plusIvEENS9_8equal_toIvEEfEE10hipError_tPvRmT2_T3_T4_T5_mT6_T7_P12ihipStream_tbENKUlT_T0_E_clISt17integral_constantIbLb1EES12_IbLb0EEEEDaSY_SZ_EUlSY_E_NS1_11comp_targetILNS1_3genE10ELNS1_11target_archE1201ELNS1_3gpuE5ELNS1_3repE0EEENS1_30default_config_static_selectorELNS0_4arch9wavefront6targetE1EEEvT1_,@function
_ZN7rocprim17ROCPRIM_400000_NS6detail17trampoline_kernelINS0_14default_configENS1_27scan_by_key_config_selectorIifEEZZNS1_16scan_by_key_implILNS1_25lookback_scan_determinismE0ELb1ES3_N6thrust23THRUST_200600_302600_NS6detail15normal_iteratorINS9_10device_ptrIiEEEENSB_INSC_IjEEEENSB_INSC_IfEEEEfNS9_4plusIvEENS9_8equal_toIvEEfEE10hipError_tPvRmT2_T3_T4_T5_mT6_T7_P12ihipStream_tbENKUlT_T0_E_clISt17integral_constantIbLb1EES12_IbLb0EEEEDaSY_SZ_EUlSY_E_NS1_11comp_targetILNS1_3genE10ELNS1_11target_archE1201ELNS1_3gpuE5ELNS1_3repE0EEENS1_30default_config_static_selectorELNS0_4arch9wavefront6targetE1EEEvT1_: ; @_ZN7rocprim17ROCPRIM_400000_NS6detail17trampoline_kernelINS0_14default_configENS1_27scan_by_key_config_selectorIifEEZZNS1_16scan_by_key_implILNS1_25lookback_scan_determinismE0ELb1ES3_N6thrust23THRUST_200600_302600_NS6detail15normal_iteratorINS9_10device_ptrIiEEEENSB_INSC_IjEEEENSB_INSC_IfEEEEfNS9_4plusIvEENS9_8equal_toIvEEfEE10hipError_tPvRmT2_T3_T4_T5_mT6_T7_P12ihipStream_tbENKUlT_T0_E_clISt17integral_constantIbLb1EES12_IbLb0EEEEDaSY_SZ_EUlSY_E_NS1_11comp_targetILNS1_3genE10ELNS1_11target_archE1201ELNS1_3gpuE5ELNS1_3repE0EEENS1_30default_config_static_selectorELNS0_4arch9wavefront6targetE1EEEvT1_
; %bb.0:
	.section	.rodata,"a",@progbits
	.p2align	6, 0x0
	.amdhsa_kernel _ZN7rocprim17ROCPRIM_400000_NS6detail17trampoline_kernelINS0_14default_configENS1_27scan_by_key_config_selectorIifEEZZNS1_16scan_by_key_implILNS1_25lookback_scan_determinismE0ELb1ES3_N6thrust23THRUST_200600_302600_NS6detail15normal_iteratorINS9_10device_ptrIiEEEENSB_INSC_IjEEEENSB_INSC_IfEEEEfNS9_4plusIvEENS9_8equal_toIvEEfEE10hipError_tPvRmT2_T3_T4_T5_mT6_T7_P12ihipStream_tbENKUlT_T0_E_clISt17integral_constantIbLb1EES12_IbLb0EEEEDaSY_SZ_EUlSY_E_NS1_11comp_targetILNS1_3genE10ELNS1_11target_archE1201ELNS1_3gpuE5ELNS1_3repE0EEENS1_30default_config_static_selectorELNS0_4arch9wavefront6targetE1EEEvT1_
		.amdhsa_group_segment_fixed_size 0
		.amdhsa_private_segment_fixed_size 0
		.amdhsa_kernarg_size 112
		.amdhsa_user_sgpr_count 2
		.amdhsa_user_sgpr_dispatch_ptr 0
		.amdhsa_user_sgpr_queue_ptr 0
		.amdhsa_user_sgpr_kernarg_segment_ptr 1
		.amdhsa_user_sgpr_dispatch_id 0
		.amdhsa_user_sgpr_kernarg_preload_length 0
		.amdhsa_user_sgpr_kernarg_preload_offset 0
		.amdhsa_user_sgpr_private_segment_size 0
		.amdhsa_uses_dynamic_stack 0
		.amdhsa_enable_private_segment 0
		.amdhsa_system_sgpr_workgroup_id_x 1
		.amdhsa_system_sgpr_workgroup_id_y 0
		.amdhsa_system_sgpr_workgroup_id_z 0
		.amdhsa_system_sgpr_workgroup_info 0
		.amdhsa_system_vgpr_workitem_id 0
		.amdhsa_next_free_vgpr 1
		.amdhsa_next_free_sgpr 0
		.amdhsa_accum_offset 4
		.amdhsa_reserve_vcc 0
		.amdhsa_float_round_mode_32 0
		.amdhsa_float_round_mode_16_64 0
		.amdhsa_float_denorm_mode_32 3
		.amdhsa_float_denorm_mode_16_64 3
		.amdhsa_dx10_clamp 1
		.amdhsa_ieee_mode 1
		.amdhsa_fp16_overflow 0
		.amdhsa_tg_split 0
		.amdhsa_exception_fp_ieee_invalid_op 0
		.amdhsa_exception_fp_denorm_src 0
		.amdhsa_exception_fp_ieee_div_zero 0
		.amdhsa_exception_fp_ieee_overflow 0
		.amdhsa_exception_fp_ieee_underflow 0
		.amdhsa_exception_fp_ieee_inexact 0
		.amdhsa_exception_int_div_zero 0
	.end_amdhsa_kernel
	.section	.text._ZN7rocprim17ROCPRIM_400000_NS6detail17trampoline_kernelINS0_14default_configENS1_27scan_by_key_config_selectorIifEEZZNS1_16scan_by_key_implILNS1_25lookback_scan_determinismE0ELb1ES3_N6thrust23THRUST_200600_302600_NS6detail15normal_iteratorINS9_10device_ptrIiEEEENSB_INSC_IjEEEENSB_INSC_IfEEEEfNS9_4plusIvEENS9_8equal_toIvEEfEE10hipError_tPvRmT2_T3_T4_T5_mT6_T7_P12ihipStream_tbENKUlT_T0_E_clISt17integral_constantIbLb1EES12_IbLb0EEEEDaSY_SZ_EUlSY_E_NS1_11comp_targetILNS1_3genE10ELNS1_11target_archE1201ELNS1_3gpuE5ELNS1_3repE0EEENS1_30default_config_static_selectorELNS0_4arch9wavefront6targetE1EEEvT1_,"axG",@progbits,_ZN7rocprim17ROCPRIM_400000_NS6detail17trampoline_kernelINS0_14default_configENS1_27scan_by_key_config_selectorIifEEZZNS1_16scan_by_key_implILNS1_25lookback_scan_determinismE0ELb1ES3_N6thrust23THRUST_200600_302600_NS6detail15normal_iteratorINS9_10device_ptrIiEEEENSB_INSC_IjEEEENSB_INSC_IfEEEEfNS9_4plusIvEENS9_8equal_toIvEEfEE10hipError_tPvRmT2_T3_T4_T5_mT6_T7_P12ihipStream_tbENKUlT_T0_E_clISt17integral_constantIbLb1EES12_IbLb0EEEEDaSY_SZ_EUlSY_E_NS1_11comp_targetILNS1_3genE10ELNS1_11target_archE1201ELNS1_3gpuE5ELNS1_3repE0EEENS1_30default_config_static_selectorELNS0_4arch9wavefront6targetE1EEEvT1_,comdat
.Lfunc_end1699:
	.size	_ZN7rocprim17ROCPRIM_400000_NS6detail17trampoline_kernelINS0_14default_configENS1_27scan_by_key_config_selectorIifEEZZNS1_16scan_by_key_implILNS1_25lookback_scan_determinismE0ELb1ES3_N6thrust23THRUST_200600_302600_NS6detail15normal_iteratorINS9_10device_ptrIiEEEENSB_INSC_IjEEEENSB_INSC_IfEEEEfNS9_4plusIvEENS9_8equal_toIvEEfEE10hipError_tPvRmT2_T3_T4_T5_mT6_T7_P12ihipStream_tbENKUlT_T0_E_clISt17integral_constantIbLb1EES12_IbLb0EEEEDaSY_SZ_EUlSY_E_NS1_11comp_targetILNS1_3genE10ELNS1_11target_archE1201ELNS1_3gpuE5ELNS1_3repE0EEENS1_30default_config_static_selectorELNS0_4arch9wavefront6targetE1EEEvT1_, .Lfunc_end1699-_ZN7rocprim17ROCPRIM_400000_NS6detail17trampoline_kernelINS0_14default_configENS1_27scan_by_key_config_selectorIifEEZZNS1_16scan_by_key_implILNS1_25lookback_scan_determinismE0ELb1ES3_N6thrust23THRUST_200600_302600_NS6detail15normal_iteratorINS9_10device_ptrIiEEEENSB_INSC_IjEEEENSB_INSC_IfEEEEfNS9_4plusIvEENS9_8equal_toIvEEfEE10hipError_tPvRmT2_T3_T4_T5_mT6_T7_P12ihipStream_tbENKUlT_T0_E_clISt17integral_constantIbLb1EES12_IbLb0EEEEDaSY_SZ_EUlSY_E_NS1_11comp_targetILNS1_3genE10ELNS1_11target_archE1201ELNS1_3gpuE5ELNS1_3repE0EEENS1_30default_config_static_selectorELNS0_4arch9wavefront6targetE1EEEvT1_
                                        ; -- End function
	.section	.AMDGPU.csdata,"",@progbits
; Kernel info:
; codeLenInByte = 0
; NumSgprs: 6
; NumVgprs: 0
; NumAgprs: 0
; TotalNumVgprs: 0
; ScratchSize: 0
; MemoryBound: 0
; FloatMode: 240
; IeeeMode: 1
; LDSByteSize: 0 bytes/workgroup (compile time only)
; SGPRBlocks: 0
; VGPRBlocks: 0
; NumSGPRsForWavesPerEU: 6
; NumVGPRsForWavesPerEU: 1
; AccumOffset: 4
; Occupancy: 8
; WaveLimiterHint : 0
; COMPUTE_PGM_RSRC2:SCRATCH_EN: 0
; COMPUTE_PGM_RSRC2:USER_SGPR: 2
; COMPUTE_PGM_RSRC2:TRAP_HANDLER: 0
; COMPUTE_PGM_RSRC2:TGID_X_EN: 1
; COMPUTE_PGM_RSRC2:TGID_Y_EN: 0
; COMPUTE_PGM_RSRC2:TGID_Z_EN: 0
; COMPUTE_PGM_RSRC2:TIDIG_COMP_CNT: 0
; COMPUTE_PGM_RSRC3_GFX90A:ACCUM_OFFSET: 0
; COMPUTE_PGM_RSRC3_GFX90A:TG_SPLIT: 0
	.section	.text._ZN7rocprim17ROCPRIM_400000_NS6detail17trampoline_kernelINS0_14default_configENS1_27scan_by_key_config_selectorIifEEZZNS1_16scan_by_key_implILNS1_25lookback_scan_determinismE0ELb1ES3_N6thrust23THRUST_200600_302600_NS6detail15normal_iteratorINS9_10device_ptrIiEEEENSB_INSC_IjEEEENSB_INSC_IfEEEEfNS9_4plusIvEENS9_8equal_toIvEEfEE10hipError_tPvRmT2_T3_T4_T5_mT6_T7_P12ihipStream_tbENKUlT_T0_E_clISt17integral_constantIbLb1EES12_IbLb0EEEEDaSY_SZ_EUlSY_E_NS1_11comp_targetILNS1_3genE5ELNS1_11target_archE942ELNS1_3gpuE9ELNS1_3repE0EEENS1_30default_config_static_selectorELNS0_4arch9wavefront6targetE1EEEvT1_,"axG",@progbits,_ZN7rocprim17ROCPRIM_400000_NS6detail17trampoline_kernelINS0_14default_configENS1_27scan_by_key_config_selectorIifEEZZNS1_16scan_by_key_implILNS1_25lookback_scan_determinismE0ELb1ES3_N6thrust23THRUST_200600_302600_NS6detail15normal_iteratorINS9_10device_ptrIiEEEENSB_INSC_IjEEEENSB_INSC_IfEEEEfNS9_4plusIvEENS9_8equal_toIvEEfEE10hipError_tPvRmT2_T3_T4_T5_mT6_T7_P12ihipStream_tbENKUlT_T0_E_clISt17integral_constantIbLb1EES12_IbLb0EEEEDaSY_SZ_EUlSY_E_NS1_11comp_targetILNS1_3genE5ELNS1_11target_archE942ELNS1_3gpuE9ELNS1_3repE0EEENS1_30default_config_static_selectorELNS0_4arch9wavefront6targetE1EEEvT1_,comdat
	.protected	_ZN7rocprim17ROCPRIM_400000_NS6detail17trampoline_kernelINS0_14default_configENS1_27scan_by_key_config_selectorIifEEZZNS1_16scan_by_key_implILNS1_25lookback_scan_determinismE0ELb1ES3_N6thrust23THRUST_200600_302600_NS6detail15normal_iteratorINS9_10device_ptrIiEEEENSB_INSC_IjEEEENSB_INSC_IfEEEEfNS9_4plusIvEENS9_8equal_toIvEEfEE10hipError_tPvRmT2_T3_T4_T5_mT6_T7_P12ihipStream_tbENKUlT_T0_E_clISt17integral_constantIbLb1EES12_IbLb0EEEEDaSY_SZ_EUlSY_E_NS1_11comp_targetILNS1_3genE5ELNS1_11target_archE942ELNS1_3gpuE9ELNS1_3repE0EEENS1_30default_config_static_selectorELNS0_4arch9wavefront6targetE1EEEvT1_ ; -- Begin function _ZN7rocprim17ROCPRIM_400000_NS6detail17trampoline_kernelINS0_14default_configENS1_27scan_by_key_config_selectorIifEEZZNS1_16scan_by_key_implILNS1_25lookback_scan_determinismE0ELb1ES3_N6thrust23THRUST_200600_302600_NS6detail15normal_iteratorINS9_10device_ptrIiEEEENSB_INSC_IjEEEENSB_INSC_IfEEEEfNS9_4plusIvEENS9_8equal_toIvEEfEE10hipError_tPvRmT2_T3_T4_T5_mT6_T7_P12ihipStream_tbENKUlT_T0_E_clISt17integral_constantIbLb1EES12_IbLb0EEEEDaSY_SZ_EUlSY_E_NS1_11comp_targetILNS1_3genE5ELNS1_11target_archE942ELNS1_3gpuE9ELNS1_3repE0EEENS1_30default_config_static_selectorELNS0_4arch9wavefront6targetE1EEEvT1_
	.globl	_ZN7rocprim17ROCPRIM_400000_NS6detail17trampoline_kernelINS0_14default_configENS1_27scan_by_key_config_selectorIifEEZZNS1_16scan_by_key_implILNS1_25lookback_scan_determinismE0ELb1ES3_N6thrust23THRUST_200600_302600_NS6detail15normal_iteratorINS9_10device_ptrIiEEEENSB_INSC_IjEEEENSB_INSC_IfEEEEfNS9_4plusIvEENS9_8equal_toIvEEfEE10hipError_tPvRmT2_T3_T4_T5_mT6_T7_P12ihipStream_tbENKUlT_T0_E_clISt17integral_constantIbLb1EES12_IbLb0EEEEDaSY_SZ_EUlSY_E_NS1_11comp_targetILNS1_3genE5ELNS1_11target_archE942ELNS1_3gpuE9ELNS1_3repE0EEENS1_30default_config_static_selectorELNS0_4arch9wavefront6targetE1EEEvT1_
	.p2align	8
	.type	_ZN7rocprim17ROCPRIM_400000_NS6detail17trampoline_kernelINS0_14default_configENS1_27scan_by_key_config_selectorIifEEZZNS1_16scan_by_key_implILNS1_25lookback_scan_determinismE0ELb1ES3_N6thrust23THRUST_200600_302600_NS6detail15normal_iteratorINS9_10device_ptrIiEEEENSB_INSC_IjEEEENSB_INSC_IfEEEEfNS9_4plusIvEENS9_8equal_toIvEEfEE10hipError_tPvRmT2_T3_T4_T5_mT6_T7_P12ihipStream_tbENKUlT_T0_E_clISt17integral_constantIbLb1EES12_IbLb0EEEEDaSY_SZ_EUlSY_E_NS1_11comp_targetILNS1_3genE5ELNS1_11target_archE942ELNS1_3gpuE9ELNS1_3repE0EEENS1_30default_config_static_selectorELNS0_4arch9wavefront6targetE1EEEvT1_,@function
_ZN7rocprim17ROCPRIM_400000_NS6detail17trampoline_kernelINS0_14default_configENS1_27scan_by_key_config_selectorIifEEZZNS1_16scan_by_key_implILNS1_25lookback_scan_determinismE0ELb1ES3_N6thrust23THRUST_200600_302600_NS6detail15normal_iteratorINS9_10device_ptrIiEEEENSB_INSC_IjEEEENSB_INSC_IfEEEEfNS9_4plusIvEENS9_8equal_toIvEEfEE10hipError_tPvRmT2_T3_T4_T5_mT6_T7_P12ihipStream_tbENKUlT_T0_E_clISt17integral_constantIbLb1EES12_IbLb0EEEEDaSY_SZ_EUlSY_E_NS1_11comp_targetILNS1_3genE5ELNS1_11target_archE942ELNS1_3gpuE9ELNS1_3repE0EEENS1_30default_config_static_selectorELNS0_4arch9wavefront6targetE1EEEvT1_: ; @_ZN7rocprim17ROCPRIM_400000_NS6detail17trampoline_kernelINS0_14default_configENS1_27scan_by_key_config_selectorIifEEZZNS1_16scan_by_key_implILNS1_25lookback_scan_determinismE0ELb1ES3_N6thrust23THRUST_200600_302600_NS6detail15normal_iteratorINS9_10device_ptrIiEEEENSB_INSC_IjEEEENSB_INSC_IfEEEEfNS9_4plusIvEENS9_8equal_toIvEEfEE10hipError_tPvRmT2_T3_T4_T5_mT6_T7_P12ihipStream_tbENKUlT_T0_E_clISt17integral_constantIbLb1EES12_IbLb0EEEEDaSY_SZ_EUlSY_E_NS1_11comp_targetILNS1_3genE5ELNS1_11target_archE942ELNS1_3gpuE9ELNS1_3repE0EEENS1_30default_config_static_selectorELNS0_4arch9wavefront6targetE1EEEvT1_
; %bb.0:
	s_load_dwordx8 s[48:55], s[0:1], 0x0
	s_load_dword s76, s[0:1], 0x20
	s_load_dwordx4 s[56:59], s[0:1], 0x28
	s_load_dwordx2 s[66:67], s[0:1], 0x38
	s_load_dword s3, s[0:1], 0x40
	s_load_dwordx4 s[60:63], s[0:1], 0x48
	s_waitcnt lgkmcnt(0)
	s_lshl_b64 s[64:65], s[50:51], 2
	s_add_u32 s4, s48, s64
	s_addc_u32 s5, s49, s65
	s_add_u32 s6, s52, s64
	s_mul_i32 s0, s67, s3
	s_mul_hi_u32 s1, s66, s3
	s_addc_u32 s7, s53, s65
	s_add_i32 s8, s1, s0
	s_mul_i32 s0, s2, 0x1700
	s_mov_b32 s1, 0
	s_lshl_b64 s[52:53], s[0:1], 2
	s_add_u32 s70, s4, s52
	s_addc_u32 s71, s5, s53
	s_add_u32 s68, s6, s52
	s_mul_i32 s3, s66, s3
	s_addc_u32 s69, s7, s53
	s_add_u32 s0, s3, s2
	s_addc_u32 s1, s8, 0
	s_add_u32 s6, s60, -1
	s_addc_u32 s7, s61, -1
	v_mov_b64_e32 v[2:3], s[6:7]
	v_cmp_ge_u64_e64 s[0:1], s[0:1], v[2:3]
	s_mov_b64 s[4:5], -1
	s_and_b64 vcc, exec, s[0:1]
	s_mul_i32 s33, s6, 0xffffe900
	s_barrier
	s_cbranch_vccz .LBB1700_71
; %bb.1:
	v_mov_b64_e32 v[2:3], s[70:71]
	flat_load_dword v2, v[2:3]
	s_add_i32 s59, s33, s58
	v_cmp_gt_u32_e32 vcc, s59, v0
	s_waitcnt vmcnt(0) lgkmcnt(0)
	v_mov_b32_e32 v3, v2
	s_and_saveexec_b64 s[4:5], vcc
	s_cbranch_execz .LBB1700_3
; %bb.2:
	v_lshlrev_b32_e32 v4, 2, v0
	v_mov_b32_e32 v5, 0
	v_lshl_add_u64 v[4:5], s[70:71], 0, v[4:5]
	flat_load_dword v3, v[4:5]
.LBB1700_3:
	s_or_b64 exec, exec, s[4:5]
	v_or_b32_e32 v1, 0x100, v0
	v_cmp_gt_u32_e64 s[48:49], s59, v1
	v_mov_b32_e32 v4, v2
	s_and_saveexec_b64 s[4:5], s[48:49]
	s_cbranch_execz .LBB1700_5
; %bb.4:
	v_lshlrev_b32_e32 v4, 2, v0
	v_mov_b32_e32 v5, 0
	v_lshl_add_u64 v[4:5], s[70:71], 0, v[4:5]
	flat_load_dword v4, v[4:5] offset:1024
.LBB1700_5:
	s_or_b64 exec, exec, s[4:5]
	v_or_b32_e32 v1, 0x200, v0
	v_cmp_gt_u32_e64 s[4:5], s59, v1
	v_mov_b32_e32 v5, v2
	s_and_saveexec_b64 s[6:7], s[4:5]
	s_cbranch_execz .LBB1700_7
; %bb.6:
	v_lshlrev_b32_e32 v6, 2, v0
	v_mov_b32_e32 v7, 0
	v_lshl_add_u64 v[6:7], s[70:71], 0, v[6:7]
	flat_load_dword v5, v[6:7] offset:2048
.LBB1700_7:
	;; [unrolled: 12-line block ×3, first 2 shown]
	s_or_b64 exec, exec, s[8:9]
	v_or_b32_e32 v1, 0x400, v0
	v_cmp_gt_u32_e64 s[8:9], s59, v1
	v_mov_b32_e32 v7, v2
	s_and_saveexec_b64 s[10:11], s[8:9]
	s_cbranch_execz .LBB1700_11
; %bb.10:
	v_lshlrev_b32_e32 v8, 2, v1
	v_mov_b32_e32 v9, 0
	v_lshl_add_u64 v[8:9], s[70:71], 0, v[8:9]
	flat_load_dword v7, v[8:9]
.LBB1700_11:
	s_or_b64 exec, exec, s[10:11]
	v_or_b32_e32 v26, 0x500, v0
	v_cmp_gt_u32_e64 s[10:11], s59, v26
	v_mov_b32_e32 v8, v2
	s_and_saveexec_b64 s[12:13], s[10:11]
	s_cbranch_execz .LBB1700_13
; %bb.12:
	v_lshlrev_b32_e32 v8, 2, v26
	v_mov_b32_e32 v9, 0
	v_lshl_add_u64 v[8:9], s[70:71], 0, v[8:9]
	flat_load_dword v8, v[8:9]
.LBB1700_13:
	;; [unrolled: 12-line block ×18, first 2 shown]
	s_or_b64 exec, exec, s[46:47]
	v_or_b32_e32 v43, 0x1600, v0
	v_cmp_gt_u32_e64 s[46:47], s59, v43
	s_and_saveexec_b64 s[50:51], s[46:47]
	s_cbranch_execz .LBB1700_47
; %bb.46:
	v_lshlrev_b32_e32 v44, 2, v43
	v_mov_b32_e32 v45, 0
	v_lshl_add_u64 v[44:45], s[70:71], 0, v[44:45]
	flat_load_dword v2, v[44:45]
.LBB1700_47:
	s_or_b64 exec, exec, s[50:51]
	v_lshlrev_b32_e32 v24, 2, v0
	s_waitcnt vmcnt(0) lgkmcnt(0)
	ds_write2st64_b32 v24, v3, v4 offset1:4
	ds_write2st64_b32 v24, v5, v6 offset0:8 offset1:12
	ds_write2st64_b32 v24, v7, v8 offset0:16 offset1:20
	;; [unrolled: 1-line block ×10, first 2 shown]
	ds_write_b32 v24, v2 offset:22528
	v_mov_b64_e32 v[2:3], s[70:71]
	s_waitcnt lgkmcnt(0)
	s_barrier
	flat_load_dword v47, v[2:3]
	s_movk_i32 s3, 0x58
	v_mad_u32_u24 v70, v0, s3, v24
	s_movk_i32 s3, 0xffa8
	v_mad_i32_i24 v25, v0, s3, v70
	s_movk_i32 s3, 0xff
	v_cmp_ne_u32_e64 s[50:51], s3, v0
	ds_read_b32 v72, v70
	ds_read2_b32 v[22:23], v70 offset0:1 offset1:2
	ds_read2_b32 v[20:21], v70 offset0:3 offset1:4
	;; [unrolled: 1-line block ×11, first 2 shown]
	s_waitcnt lgkmcnt(0)
	ds_write_b32 v25, v72 offset:24576
	s_waitcnt lgkmcnt(0)
	s_barrier
	s_and_saveexec_b64 s[60:61], s[50:51]
	s_cbranch_execz .LBB1700_49
; %bb.48:
	s_waitcnt vmcnt(0)
	ds_read_b32 v47, v24 offset:24580
.LBB1700_49:
	s_or_b64 exec, exec, s[60:61]
	v_mov_b32_e32 v25, 0
	s_waitcnt lgkmcnt(0)
	s_barrier
	s_waitcnt lgkmcnt(0)
                                        ; implicit-def: $vgpr44
	s_and_saveexec_b64 s[50:51], vcc
	s_cbranch_execz .LBB1700_72
; %bb.50:
	v_lshl_add_u64 v[44:45], s[68:69], 0, v[24:25]
	flat_load_dword v25, v[44:45]
	s_waitcnt vmcnt(0) lgkmcnt(0)
	v_cvt_f32_u32_e32 v44, v25
	s_or_b64 exec, exec, s[50:51]
                                        ; implicit-def: $vgpr45
	s_and_saveexec_b64 s[50:51], s[48:49]
	s_cbranch_execnz .LBB1700_73
.LBB1700_51:
	s_or_b64 exec, exec, s[50:51]
                                        ; implicit-def: $vgpr46
	s_and_saveexec_b64 s[48:49], s[4:5]
	s_cbranch_execz .LBB1700_74
.LBB1700_52:
	v_mov_b32_e32 v25, 0
	v_lshl_add_u64 v[48:49], s[68:69], 0, v[24:25]
	flat_load_dword v25, v[48:49] offset:2048
	s_waitcnt vmcnt(0) lgkmcnt(0)
	v_cvt_f32_u32_e32 v46, v25
	s_or_b64 exec, exec, s[48:49]
                                        ; implicit-def: $vgpr25
	s_and_saveexec_b64 s[4:5], s[6:7]
	s_cbranch_execnz .LBB1700_75
.LBB1700_53:
	s_or_b64 exec, exec, s[4:5]
                                        ; implicit-def: $vgpr48
	s_and_saveexec_b64 s[4:5], s[8:9]
	s_cbranch_execz .LBB1700_76
.LBB1700_54:
	v_lshlrev_b32_e32 v48, 2, v1
	v_mov_b32_e32 v49, 0
	v_lshl_add_u64 v[48:49], s[68:69], 0, v[48:49]
	flat_load_dword v1, v[48:49]
	s_waitcnt vmcnt(0) lgkmcnt(0)
	v_cvt_f32_u32_e32 v48, v1
	s_or_b64 exec, exec, s[4:5]
                                        ; implicit-def: $vgpr1
	s_and_saveexec_b64 s[4:5], s[10:11]
	s_cbranch_execnz .LBB1700_77
.LBB1700_55:
	s_or_b64 exec, exec, s[4:5]
                                        ; implicit-def: $vgpr26
	s_and_saveexec_b64 s[4:5], s[12:13]
	s_cbranch_execz .LBB1700_78
.LBB1700_56:
	v_lshlrev_b32_e32 v26, 2, v27
	v_mov_b32_e32 v27, 0
	v_lshl_add_u64 v[26:27], s[68:69], 0, v[26:27]
	flat_load_dword v26, v[26:27]
	s_waitcnt vmcnt(0) lgkmcnt(0)
	v_cvt_f32_u32_e32 v26, v26
	s_or_b64 exec, exec, s[4:5]
                                        ; implicit-def: $vgpr27
	s_and_saveexec_b64 s[4:5], s[14:15]
	s_cbranch_execnz .LBB1700_79
.LBB1700_57:
	s_or_b64 exec, exec, s[4:5]
                                        ; implicit-def: $vgpr28
	s_and_saveexec_b64 s[4:5], s[16:17]
	s_cbranch_execz .LBB1700_80
.LBB1700_58:
	v_lshlrev_b32_e32 v28, 2, v29
	v_mov_b32_e32 v29, 0
	v_lshl_add_u64 v[28:29], s[68:69], 0, v[28:29]
	flat_load_dword v28, v[28:29]
	s_waitcnt vmcnt(0) lgkmcnt(0)
	v_cvt_f32_u32_e32 v28, v28
	s_or_b64 exec, exec, s[4:5]
                                        ; implicit-def: $vgpr29
	s_and_saveexec_b64 s[4:5], s[18:19]
	s_cbranch_execnz .LBB1700_81
.LBB1700_59:
	s_or_b64 exec, exec, s[4:5]
                                        ; implicit-def: $vgpr30
	s_and_saveexec_b64 s[4:5], s[20:21]
	s_cbranch_execz .LBB1700_82
.LBB1700_60:
	v_lshlrev_b32_e32 v30, 2, v31
	v_mov_b32_e32 v31, 0
	v_lshl_add_u64 v[30:31], s[68:69], 0, v[30:31]
	flat_load_dword v30, v[30:31]
	s_waitcnt vmcnt(0) lgkmcnt(0)
	v_cvt_f32_u32_e32 v30, v30
	s_or_b64 exec, exec, s[4:5]
                                        ; implicit-def: $vgpr31
	s_and_saveexec_b64 s[4:5], s[22:23]
	s_cbranch_execnz .LBB1700_83
.LBB1700_61:
	s_or_b64 exec, exec, s[4:5]
                                        ; implicit-def: $vgpr32
	s_and_saveexec_b64 s[4:5], s[24:25]
	s_cbranch_execz .LBB1700_84
.LBB1700_62:
	v_lshlrev_b32_e32 v32, 2, v33
	v_mov_b32_e32 v33, 0
	v_lshl_add_u64 v[32:33], s[68:69], 0, v[32:33]
	flat_load_dword v32, v[32:33]
	s_waitcnt vmcnt(0) lgkmcnt(0)
	v_cvt_f32_u32_e32 v32, v32
	s_or_b64 exec, exec, s[4:5]
                                        ; implicit-def: $vgpr33
	s_and_saveexec_b64 s[4:5], s[26:27]
	s_cbranch_execnz .LBB1700_85
.LBB1700_63:
	s_or_b64 exec, exec, s[4:5]
                                        ; implicit-def: $vgpr34
	s_and_saveexec_b64 s[4:5], s[28:29]
	s_cbranch_execz .LBB1700_86
.LBB1700_64:
	v_lshlrev_b32_e32 v34, 2, v35
	v_mov_b32_e32 v35, 0
	v_lshl_add_u64 v[34:35], s[68:69], 0, v[34:35]
	flat_load_dword v34, v[34:35]
	s_waitcnt vmcnt(0) lgkmcnt(0)
	v_cvt_f32_u32_e32 v34, v34
	s_or_b64 exec, exec, s[4:5]
                                        ; implicit-def: $vgpr35
	s_and_saveexec_b64 s[4:5], s[30:31]
	s_cbranch_execnz .LBB1700_87
.LBB1700_65:
	s_or_b64 exec, exec, s[4:5]
                                        ; implicit-def: $vgpr36
	s_and_saveexec_b64 s[4:5], s[34:35]
	s_cbranch_execz .LBB1700_88
.LBB1700_66:
	v_lshlrev_b32_e32 v36, 2, v37
	v_mov_b32_e32 v37, 0
	v_lshl_add_u64 v[36:37], s[68:69], 0, v[36:37]
	flat_load_dword v36, v[36:37]
	s_waitcnt vmcnt(0) lgkmcnt(0)
	v_cvt_f32_u32_e32 v36, v36
	s_or_b64 exec, exec, s[4:5]
                                        ; implicit-def: $vgpr37
	s_and_saveexec_b64 s[4:5], s[36:37]
	s_cbranch_execnz .LBB1700_89
.LBB1700_67:
	s_or_b64 exec, exec, s[4:5]
                                        ; implicit-def: $vgpr38
	s_and_saveexec_b64 s[4:5], s[38:39]
	s_cbranch_execz .LBB1700_90
.LBB1700_68:
	v_lshlrev_b32_e32 v38, 2, v39
	v_mov_b32_e32 v39, 0
	v_lshl_add_u64 v[38:39], s[68:69], 0, v[38:39]
	flat_load_dword v38, v[38:39]
	s_waitcnt vmcnt(0) lgkmcnt(0)
	v_cvt_f32_u32_e32 v38, v38
	s_or_b64 exec, exec, s[4:5]
                                        ; implicit-def: $vgpr39
	s_and_saveexec_b64 s[4:5], s[40:41]
	s_cbranch_execnz .LBB1700_91
.LBB1700_69:
	s_or_b64 exec, exec, s[4:5]
                                        ; implicit-def: $vgpr40
	s_and_saveexec_b64 s[4:5], s[42:43]
	s_cbranch_execz .LBB1700_92
.LBB1700_70:
	v_lshlrev_b32_e32 v40, 2, v41
	v_mov_b32_e32 v41, 0
	v_lshl_add_u64 v[40:41], s[68:69], 0, v[40:41]
	flat_load_dword v40, v[40:41]
	s_waitcnt vmcnt(0) lgkmcnt(0)
	v_cvt_f32_u32_e32 v40, v40
	s_or_b64 exec, exec, s[4:5]
                                        ; implicit-def: $vgpr41
	s_and_saveexec_b64 s[4:5], s[44:45]
	s_cbranch_execz .LBB1700_94
	s_branch .LBB1700_93
.LBB1700_71:
	s_mov_b64 s[10:11], 0
                                        ; implicit-def: $sgpr8_sgpr9
                                        ; implicit-def: $vgpr27
                                        ; implicit-def: $vgpr1
                                        ; implicit-def: $vgpr26
                                        ; implicit-def: $vgpr52
                                        ; implicit-def: $vgpr48
                                        ; implicit-def: $vgpr29
                                        ; implicit-def: $vgpr69
                                        ; implicit-def: $vgpr49
                                        ; implicit-def: $vgpr28
                                        ; implicit-def: $vgpr68
                                        ; implicit-def: $vgpr24
                                        ; implicit-def: $vgpr31
                                        ; implicit-def: $vgpr67
                                        ; implicit-def: $vgpr50
                                        ; implicit-def: $vgpr30
                                        ; implicit-def: $vgpr66
                                        ; implicit-def: $vgpr46
                                        ; implicit-def: $vgpr33
                                        ; implicit-def: $vgpr65
                                        ; implicit-def: $vgpr51
                                        ; implicit-def: $vgpr32
                                        ; implicit-def: $vgpr64
                                        ; implicit-def: $vgpr44
                                        ; implicit-def: $vgpr35
                                        ; implicit-def: $vgpr63
                                        ; implicit-def: $vgpr53
                                        ; implicit-def: $vgpr34
                                        ; implicit-def: $vgpr62
                                        ; implicit-def: $vgpr45
                                        ; implicit-def: $vgpr37
                                        ; implicit-def: $vgpr61
                                        ; implicit-def: $vgpr54
                                        ; implicit-def: $vgpr36
                                        ; implicit-def: $vgpr60
                                        ; implicit-def: $vgpr42
                                        ; implicit-def: $vgpr39
                                        ; implicit-def: $vgpr59
                                        ; implicit-def: $vgpr55
                                        ; implicit-def: $vgpr38
                                        ; implicit-def: $vgpr58
                                        ; implicit-def: $vgpr43
                                        ; implicit-def: $vgpr41
                                        ; implicit-def: $vgpr57
                                        ; implicit-def: $vgpr56
                                        ; implicit-def: $vgpr40
                                        ; implicit-def: $sgpr6
                                        ; implicit-def: $sgpr3
	s_and_b64 vcc, exec, s[4:5]
	v_lshlrev_b32_e32 v10, 2, v0
	s_cbranch_vccz .LBB1700_148
	s_branch .LBB1700_143
.LBB1700_72:
	s_or_b64 exec, exec, s[50:51]
                                        ; implicit-def: $vgpr45
	s_and_saveexec_b64 s[50:51], s[48:49]
	s_cbranch_execz .LBB1700_51
.LBB1700_73:
	v_mov_b32_e32 v25, 0
	v_lshl_add_u64 v[48:49], s[68:69], 0, v[24:25]
	flat_load_dword v25, v[48:49] offset:1024
	s_waitcnt vmcnt(0) lgkmcnt(0)
	v_cvt_f32_u32_e32 v45, v25
	s_or_b64 exec, exec, s[50:51]
                                        ; implicit-def: $vgpr46
	s_and_saveexec_b64 s[48:49], s[4:5]
	s_cbranch_execnz .LBB1700_52
.LBB1700_74:
	s_or_b64 exec, exec, s[48:49]
                                        ; implicit-def: $vgpr25
	s_and_saveexec_b64 s[4:5], s[6:7]
	s_cbranch_execz .LBB1700_53
.LBB1700_75:
	v_mov_b32_e32 v25, 0
	v_lshl_add_u64 v[48:49], s[68:69], 0, v[24:25]
	flat_load_dword v25, v[48:49] offset:3072
	s_waitcnt vmcnt(0) lgkmcnt(0)
	v_cvt_f32_u32_e32 v25, v25
	s_or_b64 exec, exec, s[4:5]
                                        ; implicit-def: $vgpr48
	s_and_saveexec_b64 s[4:5], s[8:9]
	s_cbranch_execnz .LBB1700_54
.LBB1700_76:
	s_or_b64 exec, exec, s[4:5]
                                        ; implicit-def: $vgpr1
	s_and_saveexec_b64 s[4:5], s[10:11]
	s_cbranch_execz .LBB1700_55
.LBB1700_77:
	v_lshlrev_b32_e32 v50, 2, v26
	v_mov_b32_e32 v51, 0
	v_lshl_add_u64 v[50:51], s[68:69], 0, v[50:51]
	flat_load_dword v1, v[50:51]
	s_waitcnt vmcnt(0) lgkmcnt(0)
	v_cvt_f32_u32_e32 v1, v1
	s_or_b64 exec, exec, s[4:5]
                                        ; implicit-def: $vgpr26
	s_and_saveexec_b64 s[4:5], s[12:13]
	s_cbranch_execnz .LBB1700_56
.LBB1700_78:
	s_or_b64 exec, exec, s[4:5]
                                        ; implicit-def: $vgpr27
	s_and_saveexec_b64 s[4:5], s[14:15]
	s_cbranch_execz .LBB1700_57
.LBB1700_79:
	v_lshlrev_b32_e32 v50, 2, v28
	v_mov_b32_e32 v51, 0
	v_lshl_add_u64 v[50:51], s[68:69], 0, v[50:51]
	flat_load_dword v27, v[50:51]
	s_waitcnt vmcnt(0) lgkmcnt(0)
	v_cvt_f32_u32_e32 v27, v27
	s_or_b64 exec, exec, s[4:5]
                                        ; implicit-def: $vgpr28
	s_and_saveexec_b64 s[4:5], s[16:17]
	s_cbranch_execnz .LBB1700_58
.LBB1700_80:
	s_or_b64 exec, exec, s[4:5]
                                        ; implicit-def: $vgpr29
	s_and_saveexec_b64 s[4:5], s[18:19]
	s_cbranch_execz .LBB1700_59
.LBB1700_81:
	v_lshlrev_b32_e32 v50, 2, v30
	v_mov_b32_e32 v51, 0
	v_lshl_add_u64 v[50:51], s[68:69], 0, v[50:51]
	flat_load_dword v29, v[50:51]
	s_waitcnt vmcnt(0) lgkmcnt(0)
	v_cvt_f32_u32_e32 v29, v29
	s_or_b64 exec, exec, s[4:5]
                                        ; implicit-def: $vgpr30
	s_and_saveexec_b64 s[4:5], s[20:21]
	s_cbranch_execnz .LBB1700_60
.LBB1700_82:
	s_or_b64 exec, exec, s[4:5]
                                        ; implicit-def: $vgpr31
	s_and_saveexec_b64 s[4:5], s[22:23]
	s_cbranch_execz .LBB1700_61
.LBB1700_83:
	v_lshlrev_b32_e32 v50, 2, v32
	v_mov_b32_e32 v51, 0
	v_lshl_add_u64 v[50:51], s[68:69], 0, v[50:51]
	flat_load_dword v31, v[50:51]
	s_waitcnt vmcnt(0) lgkmcnt(0)
	v_cvt_f32_u32_e32 v31, v31
	s_or_b64 exec, exec, s[4:5]
                                        ; implicit-def: $vgpr32
	s_and_saveexec_b64 s[4:5], s[24:25]
	s_cbranch_execnz .LBB1700_62
.LBB1700_84:
	s_or_b64 exec, exec, s[4:5]
                                        ; implicit-def: $vgpr33
	s_and_saveexec_b64 s[4:5], s[26:27]
	s_cbranch_execz .LBB1700_63
.LBB1700_85:
	v_lshlrev_b32_e32 v50, 2, v34
	v_mov_b32_e32 v51, 0
	v_lshl_add_u64 v[50:51], s[68:69], 0, v[50:51]
	flat_load_dword v33, v[50:51]
	s_waitcnt vmcnt(0) lgkmcnt(0)
	v_cvt_f32_u32_e32 v33, v33
	s_or_b64 exec, exec, s[4:5]
                                        ; implicit-def: $vgpr34
	s_and_saveexec_b64 s[4:5], s[28:29]
	s_cbranch_execnz .LBB1700_64
.LBB1700_86:
	s_or_b64 exec, exec, s[4:5]
                                        ; implicit-def: $vgpr35
	s_and_saveexec_b64 s[4:5], s[30:31]
	s_cbranch_execz .LBB1700_65
.LBB1700_87:
	v_lshlrev_b32_e32 v50, 2, v36
	v_mov_b32_e32 v51, 0
	v_lshl_add_u64 v[50:51], s[68:69], 0, v[50:51]
	flat_load_dword v35, v[50:51]
	s_waitcnt vmcnt(0) lgkmcnt(0)
	v_cvt_f32_u32_e32 v35, v35
	s_or_b64 exec, exec, s[4:5]
                                        ; implicit-def: $vgpr36
	s_and_saveexec_b64 s[4:5], s[34:35]
	s_cbranch_execnz .LBB1700_66
.LBB1700_88:
	s_or_b64 exec, exec, s[4:5]
                                        ; implicit-def: $vgpr37
	s_and_saveexec_b64 s[4:5], s[36:37]
	s_cbranch_execz .LBB1700_67
.LBB1700_89:
	v_lshlrev_b32_e32 v50, 2, v38
	v_mov_b32_e32 v51, 0
	v_lshl_add_u64 v[50:51], s[68:69], 0, v[50:51]
	flat_load_dword v37, v[50:51]
	s_waitcnt vmcnt(0) lgkmcnt(0)
	v_cvt_f32_u32_e32 v37, v37
	s_or_b64 exec, exec, s[4:5]
                                        ; implicit-def: $vgpr38
	s_and_saveexec_b64 s[4:5], s[38:39]
	s_cbranch_execnz .LBB1700_68
.LBB1700_90:
	s_or_b64 exec, exec, s[4:5]
                                        ; implicit-def: $vgpr39
	s_and_saveexec_b64 s[4:5], s[40:41]
	s_cbranch_execz .LBB1700_69
.LBB1700_91:
	v_lshlrev_b32_e32 v50, 2, v40
	v_mov_b32_e32 v51, 0
	v_lshl_add_u64 v[50:51], s[68:69], 0, v[50:51]
	flat_load_dword v39, v[50:51]
	s_waitcnt vmcnt(0) lgkmcnt(0)
	v_cvt_f32_u32_e32 v39, v39
	s_or_b64 exec, exec, s[4:5]
                                        ; implicit-def: $vgpr40
	s_and_saveexec_b64 s[4:5], s[42:43]
	s_cbranch_execnz .LBB1700_70
.LBB1700_92:
	s_or_b64 exec, exec, s[4:5]
                                        ; implicit-def: $vgpr41
	s_and_saveexec_b64 s[4:5], s[44:45]
	s_cbranch_execz .LBB1700_94
.LBB1700_93:
	v_lshlrev_b32_e32 v50, 2, v42
	v_mov_b32_e32 v51, 0
	v_lshl_add_u64 v[50:51], s[68:69], 0, v[50:51]
	flat_load_dword v41, v[50:51]
	s_waitcnt vmcnt(0) lgkmcnt(0)
	v_cvt_f32_u32_e32 v41, v41
.LBB1700_94:
	s_or_b64 exec, exec, s[4:5]
	v_mul_u32_u24_e32 v71, 23, v0
                                        ; implicit-def: $vgpr42
	s_and_saveexec_b64 s[4:5], s[46:47]
	s_cbranch_execz .LBB1700_96
; %bb.95:
	v_lshlrev_b32_e32 v42, 2, v43
	v_mov_b32_e32 v43, 0
	v_lshl_add_u64 v[42:43], s[68:69], 0, v[42:43]
	flat_load_dword v42, v[42:43]
	s_waitcnt vmcnt(0) lgkmcnt(0)
	v_cvt_f32_u32_e32 v42, v42
.LBB1700_96:
	s_or_b64 exec, exec, s[4:5]
	ds_write2st64_b32 v24, v44, v45 offset1:4
	ds_write2st64_b32 v24, v46, v25 offset0:8 offset1:12
	ds_write2st64_b32 v24, v48, v1 offset0:16 offset1:20
	;; [unrolled: 1-line block ×10, first 2 shown]
	ds_write_b32 v24, v42 offset:22528
	v_cmp_gt_u32_e32 vcc, s59, v71
	s_mov_b64 s[4:5], 0
	s_mov_b32 s3, 0
	v_mov_b32_e32 v1, 0
	v_mov_b32_e32 v26, 0
	s_mov_b64 s[10:11], 0
	v_mov_b32_e32 v52, 0
	v_mov_b32_e32 v48, 0
	;; [unrolled: 1-line block ×42, first 2 shown]
	s_waitcnt lgkmcnt(0)
	s_barrier
	s_waitcnt lgkmcnt(0)
                                        ; implicit-def: $sgpr8_sgpr9
                                        ; implicit-def: $vgpr27
	s_and_saveexec_b64 s[6:7], vcc
	s_cbranch_execz .LBB1700_142
; %bb.97:
	ds_read_b32 v24, v70
	v_add_u32_e32 v25, 1, v71
	v_cmp_ne_u32_e32 vcc, v72, v22
	v_mov_b32_e32 v26, s76
	v_mov_b32_e32 v52, 0
	v_cndmask_b32_e64 v1, 0, 1, vcc
	s_waitcnt lgkmcnt(0)
	v_cndmask_b32_e32 v48, v24, v26, vcc
	v_cmp_gt_u32_e32 vcc, s59, v25
	v_mov_b32_e32 v26, 0
	v_mov_b32_e32 v29, 0
	;; [unrolled: 1-line block ×41, first 2 shown]
                                        ; implicit-def: $sgpr12_sgpr13
                                        ; implicit-def: $vgpr27
	s_and_saveexec_b64 s[8:9], vcc
	s_cbranch_execz .LBB1700_141
; %bb.98:
	ds_read2_b32 v[24:25], v70 offset0:1 offset1:2
	v_add_u32_e32 v26, 2, v71
	v_cmp_ne_u32_e32 vcc, v22, v23
	v_mov_b32_e32 v22, s76
	s_mov_b64 s[14:15], 0
	v_cndmask_b32_e64 v49, 0, 1, vcc
	s_waitcnt lgkmcnt(0)
	v_cndmask_b32_e32 v24, v24, v22, vcc
	v_cmp_gt_u32_e32 vcc, s59, v26
	v_mov_b32_e32 v26, 0
	v_mov_b32_e32 v52, 0
	;; [unrolled: 1-line block ×40, first 2 shown]
                                        ; implicit-def: $sgpr12_sgpr13
                                        ; implicit-def: $vgpr27
	s_and_saveexec_b64 s[10:11], vcc
	s_cbranch_execz .LBB1700_140
; %bb.99:
	v_add_u32_e32 v22, 3, v71
	v_cmp_ne_u32_e32 vcc, v23, v20
	v_mov_b32_e32 v23, s76
	v_mov_b32_e32 v26, 0
	v_cndmask_b32_e64 v50, 0, 1, vcc
	v_cndmask_b32_e32 v46, v25, v23, vcc
	v_cmp_gt_u32_e32 vcc, s59, v22
	v_mov_b32_e32 v52, 0
	v_mov_b32_e32 v29, 0
	;; [unrolled: 1-line block ×37, first 2 shown]
                                        ; implicit-def: $sgpr16_sgpr17
                                        ; implicit-def: $vgpr27
	s_and_saveexec_b64 s[12:13], vcc
	s_cbranch_execz .LBB1700_139
; %bb.100:
	ds_read2_b32 v[22:23], v70 offset0:3 offset1:4
	v_add_u32_e32 v25, 4, v71
	v_cmp_ne_u32_e32 vcc, v20, v21
	v_mov_b32_e32 v20, s76
	s_mov_b64 s[18:19], 0
	v_cndmask_b32_e64 v51, 0, 1, vcc
	s_waitcnt lgkmcnt(0)
	v_cndmask_b32_e32 v44, v22, v20, vcc
	v_cmp_gt_u32_e32 vcc, s59, v25
	v_mov_b32_e32 v26, 0
	v_mov_b32_e32 v52, 0
	;; [unrolled: 1-line block ×36, first 2 shown]
                                        ; implicit-def: $sgpr16_sgpr17
                                        ; implicit-def: $vgpr27
	s_and_saveexec_b64 s[14:15], vcc
	s_cbranch_execz .LBB1700_138
; %bb.101:
	v_add_u32_e32 v20, 5, v71
	v_cmp_ne_u32_e32 vcc, v21, v18
	v_mov_b32_e32 v21, s76
	v_mov_b32_e32 v26, 0
	v_cndmask_b32_e64 v53, 0, 1, vcc
	v_cndmask_b32_e32 v45, v23, v21, vcc
	v_cmp_gt_u32_e32 vcc, s59, v20
	v_mov_b32_e32 v52, 0
	v_mov_b32_e32 v29, 0
	v_mov_b32_e32 v69, 0
	v_mov_b32_e32 v28, 0
	v_mov_b32_e32 v68, 0
	v_mov_b32_e32 v31, 0
	v_mov_b32_e32 v67, 0
	v_mov_b32_e32 v30, 0
	v_mov_b32_e32 v66, 0
	v_mov_b32_e32 v33, 0
	v_mov_b32_e32 v65, 0
	v_mov_b32_e32 v32, 0
	v_mov_b32_e32 v64, 0
	v_mov_b32_e32 v35, 0
	v_mov_b32_e32 v63, 0
	v_mov_b32_e32 v34, 0
	v_mov_b32_e32 v62, 0
	v_mov_b32_e32 v37, 0
	v_mov_b32_e32 v61, 0
	v_mov_b32_e32 v54, 0
	v_mov_b32_e32 v36, 0
	v_mov_b32_e32 v60, 0
	v_mov_b32_e32 v42, 0
	v_mov_b32_e32 v39, 0
	v_mov_b32_e32 v59, 0
	v_mov_b32_e32 v55, 0
	v_mov_b32_e32 v38, 0
	v_mov_b32_e32 v58, 0
	v_mov_b32_e32 v43, 0
	v_mov_b32_e32 v41, 0
	v_mov_b32_e32 v57, 0
	v_mov_b32_e32 v56, 0
	v_mov_b32_e32 v40, 0
                                        ; implicit-def: $sgpr20_sgpr21
                                        ; implicit-def: $vgpr27
	s_and_saveexec_b64 s[16:17], vcc
	s_cbranch_execz .LBB1700_137
; %bb.102:
	ds_read2_b32 v[20:21], v70 offset0:5 offset1:6
	v_add_u32_e32 v22, 6, v71
	v_cmp_ne_u32_e32 vcc, v18, v19
	v_mov_b32_e32 v18, s76
	s_mov_b64 s[22:23], 0
	v_cndmask_b32_e64 v54, 0, 1, vcc
	s_waitcnt lgkmcnt(0)
	v_cndmask_b32_e32 v42, v20, v18, vcc
	v_cmp_gt_u32_e32 vcc, s59, v22
	v_mov_b32_e32 v26, 0
	v_mov_b32_e32 v52, 0
	;; [unrolled: 1-line block ×32, first 2 shown]
                                        ; implicit-def: $sgpr20_sgpr21
                                        ; implicit-def: $vgpr27
	s_and_saveexec_b64 s[18:19], vcc
	s_cbranch_execz .LBB1700_136
; %bb.103:
	v_add_u32_e32 v18, 7, v71
	v_cmp_ne_u32_e32 vcc, v19, v16
	v_mov_b32_e32 v19, s76
	v_mov_b32_e32 v26, 0
	v_cndmask_b32_e64 v55, 0, 1, vcc
	v_cndmask_b32_e32 v43, v21, v19, vcc
	v_cmp_gt_u32_e32 vcc, s59, v18
	v_mov_b32_e32 v52, 0
	v_mov_b32_e32 v29, 0
	;; [unrolled: 1-line block ×29, first 2 shown]
                                        ; implicit-def: $sgpr24_sgpr25
                                        ; implicit-def: $vgpr27
	s_and_saveexec_b64 s[20:21], vcc
	s_cbranch_execz .LBB1700_135
; %bb.104:
	ds_read2_b32 v[18:19], v70 offset0:7 offset1:8
	v_add_u32_e32 v20, 8, v71
	v_cmp_ne_u32_e32 vcc, v16, v17
	v_mov_b32_e32 v16, s76
	s_mov_b64 s[26:27], 0
	v_cndmask_b32_e64 v56, 0, 1, vcc
	s_waitcnt lgkmcnt(0)
	v_cndmask_b32_e32 v40, v18, v16, vcc
	v_cmp_gt_u32_e32 vcc, s59, v20
	v_mov_b32_e32 v26, 0
	v_mov_b32_e32 v52, 0
	;; [unrolled: 1-line block ×28, first 2 shown]
                                        ; implicit-def: $sgpr24_sgpr25
                                        ; implicit-def: $vgpr27
	s_and_saveexec_b64 s[22:23], vcc
	s_cbranch_execz .LBB1700_134
; %bb.105:
	v_add_u32_e32 v16, 9, v71
	v_cmp_ne_u32_e32 vcc, v17, v14
	v_mov_b32_e32 v17, s76
	v_mov_b32_e32 v26, 0
	v_cndmask_b32_e64 v57, 0, 1, vcc
	v_cndmask_b32_e32 v41, v19, v17, vcc
	v_cmp_gt_u32_e32 vcc, s59, v16
	v_mov_b32_e32 v52, 0
	v_mov_b32_e32 v29, 0
	;; [unrolled: 1-line block ×25, first 2 shown]
                                        ; implicit-def: $sgpr28_sgpr29
                                        ; implicit-def: $vgpr27
	s_and_saveexec_b64 s[24:25], vcc
	s_cbranch_execz .LBB1700_133
; %bb.106:
	ds_read2_b32 v[16:17], v70 offset0:9 offset1:10
	v_add_u32_e32 v18, 10, v71
	v_cmp_ne_u32_e32 vcc, v14, v15
	v_mov_b32_e32 v14, s76
	s_mov_b64 s[30:31], 0
	v_cndmask_b32_e64 v58, 0, 1, vcc
	s_waitcnt lgkmcnt(0)
	v_cndmask_b32_e32 v38, v16, v14, vcc
	v_cmp_gt_u32_e32 vcc, s59, v18
	v_mov_b32_e32 v26, 0
	v_mov_b32_e32 v52, 0
	;; [unrolled: 1-line block ×24, first 2 shown]
                                        ; implicit-def: $sgpr28_sgpr29
                                        ; implicit-def: $vgpr27
	s_and_saveexec_b64 s[26:27], vcc
	s_cbranch_execz .LBB1700_132
; %bb.107:
	v_add_u32_e32 v14, 11, v71
	v_cmp_ne_u32_e32 vcc, v15, v12
	v_mov_b32_e32 v15, s76
	v_mov_b32_e32 v26, 0
	v_cndmask_b32_e64 v59, 0, 1, vcc
	v_cndmask_b32_e32 v39, v17, v15, vcc
	v_cmp_gt_u32_e32 vcc, s59, v14
	v_mov_b32_e32 v52, 0
	v_mov_b32_e32 v29, 0
	;; [unrolled: 1-line block ×21, first 2 shown]
                                        ; implicit-def: $sgpr34_sgpr35
                                        ; implicit-def: $vgpr27
	s_and_saveexec_b64 s[28:29], vcc
	s_cbranch_execz .LBB1700_131
; %bb.108:
	ds_read2_b32 v[14:15], v70 offset0:11 offset1:12
	v_add_u32_e32 v16, 12, v71
	v_cmp_ne_u32_e32 vcc, v12, v13
	v_mov_b32_e32 v12, s76
	s_mov_b64 s[36:37], 0
	v_cndmask_b32_e64 v60, 0, 1, vcc
	s_waitcnt lgkmcnt(0)
	v_cndmask_b32_e32 v36, v14, v12, vcc
	v_cmp_gt_u32_e32 vcc, s59, v16
	v_mov_b32_e32 v26, 0
	v_mov_b32_e32 v52, 0
	;; [unrolled: 1-line block ×20, first 2 shown]
                                        ; implicit-def: $sgpr34_sgpr35
                                        ; implicit-def: $vgpr27
	s_and_saveexec_b64 s[30:31], vcc
	s_cbranch_execz .LBB1700_130
; %bb.109:
	v_add_u32_e32 v12, 13, v71
	v_cmp_ne_u32_e32 vcc, v13, v10
	v_mov_b32_e32 v13, s76
	v_mov_b32_e32 v26, 0
	v_cndmask_b32_e64 v61, 0, 1, vcc
	v_cndmask_b32_e32 v37, v15, v13, vcc
	v_cmp_gt_u32_e32 vcc, s59, v12
	v_mov_b32_e32 v52, 0
	v_mov_b32_e32 v29, 0
	;; [unrolled: 1-line block ×17, first 2 shown]
                                        ; implicit-def: $sgpr38_sgpr39
                                        ; implicit-def: $vgpr27
	s_and_saveexec_b64 s[34:35], vcc
	s_cbranch_execz .LBB1700_129
; %bb.110:
	ds_read2_b32 v[12:13], v70 offset0:13 offset1:14
	v_add_u32_e32 v14, 14, v71
	v_cmp_ne_u32_e32 vcc, v10, v11
	v_mov_b32_e32 v10, s76
	s_mov_b64 s[40:41], 0
	v_cndmask_b32_e64 v62, 0, 1, vcc
	s_waitcnt lgkmcnt(0)
	v_cndmask_b32_e32 v34, v12, v10, vcc
	v_cmp_gt_u32_e32 vcc, s59, v14
	v_mov_b32_e32 v26, 0
	v_mov_b32_e32 v52, 0
	;; [unrolled: 1-line block ×16, first 2 shown]
                                        ; implicit-def: $sgpr38_sgpr39
                                        ; implicit-def: $vgpr27
	s_and_saveexec_b64 s[36:37], vcc
	s_cbranch_execz .LBB1700_128
; %bb.111:
	v_add_u32_e32 v10, 15, v71
	v_cmp_ne_u32_e32 vcc, v11, v8
	v_mov_b32_e32 v11, s76
	v_mov_b32_e32 v26, 0
	v_cndmask_b32_e64 v63, 0, 1, vcc
	v_cndmask_b32_e32 v35, v13, v11, vcc
	v_cmp_gt_u32_e32 vcc, s59, v10
	v_mov_b32_e32 v52, 0
	v_mov_b32_e32 v29, 0
	;; [unrolled: 1-line block ×13, first 2 shown]
                                        ; implicit-def: $sgpr42_sgpr43
                                        ; implicit-def: $vgpr27
	s_and_saveexec_b64 s[38:39], vcc
	s_cbranch_execz .LBB1700_127
; %bb.112:
	ds_read2_b32 v[10:11], v70 offset0:15 offset1:16
	v_add_u32_e32 v12, 16, v71
	v_cmp_ne_u32_e32 vcc, v8, v9
	v_mov_b32_e32 v8, s76
	s_mov_b64 s[44:45], 0
	v_cndmask_b32_e64 v64, 0, 1, vcc
	s_waitcnt lgkmcnt(0)
	v_cndmask_b32_e32 v32, v10, v8, vcc
	v_cmp_gt_u32_e32 vcc, s59, v12
	v_mov_b32_e32 v26, 0
	v_mov_b32_e32 v52, 0
	;; [unrolled: 1-line block ×12, first 2 shown]
                                        ; implicit-def: $sgpr42_sgpr43
                                        ; implicit-def: $vgpr27
	s_and_saveexec_b64 s[40:41], vcc
	s_cbranch_execz .LBB1700_126
; %bb.113:
	v_add_u32_e32 v8, 17, v71
	v_cmp_ne_u32_e32 vcc, v9, v6
	v_mov_b32_e32 v9, s76
	v_mov_b32_e32 v26, 0
	v_cndmask_b32_e64 v65, 0, 1, vcc
	v_cndmask_b32_e32 v33, v11, v9, vcc
	v_cmp_gt_u32_e32 vcc, s59, v8
	v_mov_b32_e32 v52, 0
	v_mov_b32_e32 v29, 0
	;; [unrolled: 1-line block ×9, first 2 shown]
                                        ; implicit-def: $sgpr46_sgpr47
                                        ; implicit-def: $vgpr27
	s_and_saveexec_b64 s[42:43], vcc
	s_cbranch_execz .LBB1700_125
; %bb.114:
	ds_read2_b32 v[8:9], v70 offset0:17 offset1:18
	v_add_u32_e32 v10, 18, v71
	v_cmp_ne_u32_e32 vcc, v6, v7
	v_mov_b32_e32 v6, s76
	s_mov_b64 s[48:49], 0
	v_cndmask_b32_e64 v66, 0, 1, vcc
	s_waitcnt lgkmcnt(0)
	v_cndmask_b32_e32 v30, v8, v6, vcc
	v_cmp_gt_u32_e32 vcc, s59, v10
	v_mov_b32_e32 v26, 0
	v_mov_b32_e32 v52, 0
	;; [unrolled: 1-line block ×8, first 2 shown]
                                        ; implicit-def: $sgpr46_sgpr47
                                        ; implicit-def: $vgpr27
	s_and_saveexec_b64 s[44:45], vcc
	s_cbranch_execz .LBB1700_124
; %bb.115:
	v_add_u32_e32 v6, 19, v71
	v_cmp_ne_u32_e32 vcc, v7, v4
	v_mov_b32_e32 v7, s76
	v_mov_b32_e32 v26, 0
	v_cndmask_b32_e64 v67, 0, 1, vcc
	v_cndmask_b32_e32 v31, v9, v7, vcc
	v_cmp_gt_u32_e32 vcc, s59, v6
	v_mov_b32_e32 v52, 0
	v_mov_b32_e32 v29, 0
	v_mov_b32_e32 v69, 0
	v_mov_b32_e32 v28, 0
	v_mov_b32_e32 v68, 0
                                        ; implicit-def: $sgpr50_sgpr51
                                        ; implicit-def: $vgpr27
	s_and_saveexec_b64 s[46:47], vcc
	s_cbranch_execz .LBB1700_123
; %bb.116:
	ds_read2_b32 v[6:7], v70 offset0:19 offset1:20
	v_add_u32_e32 v8, 20, v71
	v_cmp_ne_u32_e32 vcc, v4, v5
	v_mov_b32_e32 v4, s76
	s_mov_b64 s[60:61], 0
	v_cndmask_b32_e64 v68, 0, 1, vcc
	s_waitcnt lgkmcnt(0)
	v_cndmask_b32_e32 v28, v6, v4, vcc
	v_cmp_gt_u32_e32 vcc, s59, v8
	v_mov_b32_e32 v26, 0
	v_mov_b32_e32 v52, 0
	;; [unrolled: 1-line block ×4, first 2 shown]
                                        ; implicit-def: $sgpr50_sgpr51
                                        ; implicit-def: $vgpr27
	s_and_saveexec_b64 s[48:49], vcc
	s_cbranch_execz .LBB1700_122
; %bb.117:
	v_add_u32_e32 v4, 21, v71
	v_cmp_ne_u32_e32 vcc, v5, v2
	v_mov_b32_e32 v5, s76
	v_mov_b32_e32 v26, 0
	v_cndmask_b32_e64 v69, 0, 1, vcc
	v_cndmask_b32_e32 v29, v7, v5, vcc
	v_cmp_gt_u32_e32 vcc, s59, v4
	v_mov_b32_e32 v52, 0
                                        ; implicit-def: $sgpr72_sgpr73
                                        ; implicit-def: $vgpr27
	s_and_saveexec_b64 s[50:51], vcc
	s_cbranch_execz .LBB1700_121
; %bb.118:
	ds_read2_b32 v[4:5], v70 offset0:21 offset1:22
	v_add_u32_e32 v6, 22, v71
	v_cmp_ne_u32_e32 vcc, v2, v3
	v_mov_b32_e32 v2, s76
                                        ; implicit-def: $sgpr72_sgpr73
                                        ; implicit-def: $vgpr27
	s_nop 0
	v_cndmask_b32_e64 v52, 0, 1, vcc
	s_waitcnt lgkmcnt(0)
	v_cndmask_b32_e32 v26, v4, v2, vcc
	v_cmp_gt_u32_e32 vcc, s59, v6
	s_and_saveexec_b64 s[74:75], vcc
	s_xor_b64 s[74:75], exec, s[74:75]
	s_cbranch_execz .LBB1700_120
; %bb.119:
	v_mov_b32_e32 v2, s76
	s_waitcnt vmcnt(0)
	v_cmp_ne_u32_e32 vcc, v3, v47
	s_mov_b64 s[60:61], exec
	s_and_b64 s[72:73], vcc, exec
	v_cndmask_b32_e32 v27, v5, v2, vcc
.LBB1700_120:
	s_or_b64 exec, exec, s[74:75]
	s_and_b64 s[72:73], s[72:73], exec
	s_and_b64 s[60:61], s[60:61], exec
.LBB1700_121:
	s_or_b64 exec, exec, s[50:51]
	s_and_b64 s[50:51], s[72:73], exec
	s_and_b64 s[60:61], s[60:61], exec
.LBB1700_122:
	s_or_b64 exec, exec, s[48:49]
	s_and_b64 s[50:51], s[50:51], exec
	s_and_b64 s[48:49], s[60:61], exec
.LBB1700_123:
	s_or_b64 exec, exec, s[46:47]
	s_and_b64 s[46:47], s[50:51], exec
	s_and_b64 s[48:49], s[48:49], exec
.LBB1700_124:
	s_or_b64 exec, exec, s[44:45]
	s_and_b64 s[46:47], s[46:47], exec
	s_and_b64 s[44:45], s[48:49], exec
.LBB1700_125:
	s_or_b64 exec, exec, s[42:43]
	s_and_b64 s[42:43], s[46:47], exec
	s_and_b64 s[44:45], s[44:45], exec
.LBB1700_126:
	s_or_b64 exec, exec, s[40:41]
	s_and_b64 s[42:43], s[42:43], exec
	s_and_b64 s[40:41], s[44:45], exec
.LBB1700_127:
	s_or_b64 exec, exec, s[38:39]
	s_and_b64 s[38:39], s[42:43], exec
	s_and_b64 s[40:41], s[40:41], exec
.LBB1700_128:
	s_or_b64 exec, exec, s[36:37]
	s_and_b64 s[38:39], s[38:39], exec
	s_and_b64 s[36:37], s[40:41], exec
.LBB1700_129:
	s_or_b64 exec, exec, s[34:35]
	s_and_b64 s[34:35], s[38:39], exec
	s_and_b64 s[36:37], s[36:37], exec
.LBB1700_130:
	s_or_b64 exec, exec, s[30:31]
	s_and_b64 s[34:35], s[34:35], exec
	s_and_b64 s[30:31], s[36:37], exec
.LBB1700_131:
	s_or_b64 exec, exec, s[28:29]
	s_and_b64 s[28:29], s[34:35], exec
	s_and_b64 s[30:31], s[30:31], exec
.LBB1700_132:
	s_or_b64 exec, exec, s[26:27]
	s_and_b64 s[28:29], s[28:29], exec
	s_and_b64 s[26:27], s[30:31], exec
.LBB1700_133:
	s_or_b64 exec, exec, s[24:25]
	s_and_b64 s[24:25], s[28:29], exec
	s_and_b64 s[26:27], s[26:27], exec
.LBB1700_134:
	s_or_b64 exec, exec, s[22:23]
	s_and_b64 s[24:25], s[24:25], exec
	s_and_b64 s[22:23], s[26:27], exec
.LBB1700_135:
	s_or_b64 exec, exec, s[20:21]
	s_and_b64 s[20:21], s[24:25], exec
	s_and_b64 s[22:23], s[22:23], exec
.LBB1700_136:
	s_or_b64 exec, exec, s[18:19]
	s_and_b64 s[20:21], s[20:21], exec
	s_and_b64 s[18:19], s[22:23], exec
.LBB1700_137:
	s_or_b64 exec, exec, s[16:17]
	s_and_b64 s[16:17], s[20:21], exec
	s_and_b64 s[18:19], s[18:19], exec
.LBB1700_138:
	s_or_b64 exec, exec, s[14:15]
	s_and_b64 s[16:17], s[16:17], exec
	s_and_b64 s[14:15], s[18:19], exec
.LBB1700_139:
	s_or_b64 exec, exec, s[12:13]
	s_and_b64 s[12:13], s[16:17], exec
	s_and_b64 s[14:15], s[14:15], exec
.LBB1700_140:
	s_or_b64 exec, exec, s[10:11]
	s_and_b64 s[12:13], s[12:13], exec
	s_and_b64 s[10:11], s[14:15], exec
.LBB1700_141:
	s_or_b64 exec, exec, s[8:9]
	s_and_b64 s[8:9], s[12:13], exec
	s_and_b64 s[10:11], s[10:11], exec
.LBB1700_142:
	s_or_b64 exec, exec, s[6:7]
	s_mov_b32 s6, 0
	s_and_b64 vcc, exec, s[4:5]
	v_lshlrev_b32_e32 v10, 2, v0
	s_cbranch_vccz .LBB1700_148
.LBB1700_143:
	v_mov_b32_e32 v11, 0
	v_lshl_add_u64 v[2:3], s[70:71], 0, v[10:11]
	v_add_co_u32_e32 v4, vcc, 0x1000, v2
	s_movk_i32 s4, 0x58
	s_nop 0
	v_addc_co_u32_e32 v5, vcc, 0, v3, vcc
	flat_load_dword v1, v[2:3]
	flat_load_dword v8, v[2:3] offset:1024
	flat_load_dword v9, v[2:3] offset:2048
	;; [unrolled: 1-line block ×3, first 2 shown]
	flat_load_dword v13, v[4:5]
	flat_load_dword v14, v[4:5] offset:1024
	flat_load_dword v15, v[4:5] offset:2048
	;; [unrolled: 1-line block ×3, first 2 shown]
	v_add_co_u32_e32 v4, vcc, 0x2000, v2
	s_movk_i32 s9, 0x1000
	s_nop 0
	v_addc_co_u32_e32 v5, vcc, 0, v3, vcc
	v_add_co_u32_e32 v6, vcc, 0x3000, v2
	s_movk_i32 s8, 0x2000
	s_nop 0
	v_addc_co_u32_e32 v7, vcc, 0, v3, vcc
	flat_load_dword v17, v[4:5]
	flat_load_dword v18, v[4:5] offset:1024
	flat_load_dword v19, v[4:5] offset:2048
	;; [unrolled: 1-line block ×3, first 2 shown]
	flat_load_dword v21, v[6:7]
	flat_load_dword v22, v[6:7] offset:1024
	flat_load_dword v23, v[6:7] offset:2048
	;; [unrolled: 1-line block ×3, first 2 shown]
	v_add_co_u32_e32 v4, vcc, 0x4000, v2
	s_movk_i32 s7, 0x3000
	s_nop 0
	v_addc_co_u32_e32 v5, vcc, 0, v3, vcc
	v_add_co_u32_e32 v2, vcc, 0x5000, v2
	s_movk_i32 s6, 0x4000
	s_nop 0
	v_addc_co_u32_e32 v3, vcc, 0, v3, vcc
	flat_load_dword v6, v[4:5]
	flat_load_dword v7, v[4:5] offset:1024
	flat_load_dword v25, v[4:5] offset:2048
	;; [unrolled: 1-line block ×3, first 2 shown]
	flat_load_dword v27, v[2:3]
	flat_load_dword v28, v[2:3] offset:1024
	flat_load_dword v29, v[2:3] offset:2048
	v_mov_b32_e32 v2, s70
	v_mov_b32_e32 v3, s71
	v_add_co_u32_e32 v2, vcc, 0x5000, v2
	s_movk_i32 s3, 0x5000
	s_nop 0
	v_addc_co_u32_e32 v3, vcc, 0, v3, vcc
	s_waitcnt vmcnt(0) lgkmcnt(0)
	ds_write2st64_b32 v10, v1, v8 offset1:4
	ds_write2st64_b32 v10, v9, v12 offset0:8 offset1:12
	ds_write2st64_b32 v10, v13, v14 offset0:16 offset1:20
	;; [unrolled: 1-line block ×10, first 2 shown]
	ds_write_b32 v10, v29 offset:22528
	s_waitcnt lgkmcnt(0)
	s_barrier
	flat_load_dword v70, v[2:3] offset:3072
	v_mad_u32_u24 v1, v0, s4, v10
	s_movk_i32 s4, 0xffa8
	v_mad_i32_i24 v26, v0, s4, v1
	s_movk_i32 s4, 0xff
	v_cmp_ne_u32_e32 vcc, s4, v0
	ds_read_b32 v48, v1
	ds_read2_b32 v[24:25], v1 offset0:1 offset1:2
	ds_read2_b32 v[22:23], v1 offset0:3 offset1:4
	;; [unrolled: 1-line block ×11, first 2 shown]
	s_waitcnt lgkmcnt(0)
	ds_write_b32 v26, v48 offset:24576
	s_waitcnt lgkmcnt(0)
	s_barrier
	s_and_saveexec_b64 s[4:5], vcc
	s_cbranch_execz .LBB1700_145
; %bb.144:
	s_waitcnt vmcnt(0)
	ds_read_b32 v70, v10 offset:24580
.LBB1700_145:
	s_or_b64 exec, exec, s[4:5]
	v_lshl_add_u64 v[26:27], s[68:69], 0, v[10:11]
	v_add_co_u32_e32 v28, vcc, s9, v26
	s_waitcnt lgkmcnt(0)
	s_nop 0
	v_addc_co_u32_e32 v29, vcc, 0, v27, vcc
	s_barrier
	flat_load_dword v11, v[26:27]
	flat_load_dword v32, v[26:27] offset:1024
	flat_load_dword v33, v[26:27] offset:2048
	flat_load_dword v34, v[26:27] offset:3072
	flat_load_dword v35, v[28:29]
	flat_load_dword v36, v[28:29] offset:1024
	flat_load_dword v37, v[28:29] offset:2048
	;; [unrolled: 1-line block ×3, first 2 shown]
	v_add_co_u32_e32 v28, vcc, s8, v26
	v_cmp_eq_u32_e64 s[4:5], v48, v24
	s_nop 0
	v_addc_co_u32_e32 v29, vcc, 0, v27, vcc
	v_add_co_u32_e32 v30, vcc, s7, v26
	s_waitcnt vmcnt(0) lgkmcnt(0)
	v_cvt_f32_u32_e32 v11, v11
	v_addc_co_u32_e32 v31, vcc, 0, v27, vcc
	flat_load_dword v39, v[28:29]
	flat_load_dword v40, v[28:29] offset:1024
	flat_load_dword v41, v[28:29] offset:2048
	;; [unrolled: 1-line block ×3, first 2 shown]
	flat_load_dword v43, v[30:31]
	flat_load_dword v44, v[30:31] offset:1024
	flat_load_dword v45, v[30:31] offset:2048
	;; [unrolled: 1-line block ×3, first 2 shown]
	v_add_co_u32_e32 v28, vcc, s6, v26
	s_nop 1
	v_addc_co_u32_e32 v29, vcc, 0, v27, vcc
	v_add_co_u32_e32 v26, vcc, s3, v26
	s_nop 1
	v_addc_co_u32_e32 v27, vcc, 0, v27, vcc
	flat_load_dword v30, v[28:29]
	flat_load_dword v31, v[28:29] offset:1024
	flat_load_dword v47, v[28:29] offset:2048
	;; [unrolled: 1-line block ×3, first 2 shown]
	flat_load_dword v50, v[26:27]
	flat_load_dword v51, v[26:27] offset:1024
	flat_load_dword v52, v[26:27] offset:2048
	v_cvt_f32_u32_e32 v26, v32
	v_cvt_f32_u32_e32 v27, v33
	;; [unrolled: 1-line block ×7, first 2 shown]
	ds_write2st64_b32 v10, v11, v26 offset1:4
	ds_write2st64_b32 v10, v27, v28 offset0:8 offset1:12
	v_cmp_ne_u32_e32 vcc, v48, v24
	v_mov_b32_e32 v48, s76
	s_waitcnt vmcnt(0) lgkmcnt(0)
	v_cvt_f32_u32_e32 v35, v39
	v_cvt_f32_u32_e32 v36, v40
	;; [unrolled: 1-line block ×15, first 2 shown]
	ds_write2st64_b32 v10, v29, v32 offset0:16 offset1:20
	ds_write2st64_b32 v10, v33, v34 offset0:24 offset1:28
	;; [unrolled: 1-line block ×9, first 2 shown]
	ds_write_b32 v10, v43 offset:22528
	s_waitcnt lgkmcnt(0)
	s_barrier
	ds_read2_b32 v[46:47], v1 offset0:1 offset1:2
	ds_read2_b32 v[44:45], v1 offset0:3 offset1:4
	;; [unrolled: 1-line block ×11, first 2 shown]
	s_and_saveexec_b64 s[6:7], s[4:5]
	s_cbranch_execz .LBB1700_147
; %bb.146:
	ds_read_b32 v48, v1
.LBB1700_147:
	s_or_b64 exec, exec, s[6:7]
	v_cmp_ne_u32_e64 s[8:9], v23, v20
	v_cmp_ne_u32_e64 s[42:43], v5, v2
	;; [unrolled: 1-line block ×3, first 2 shown]
	v_mov_b32_e32 v2, s76
	v_cndmask_b32_e64 v1, 0, 1, vcc
	v_cmp_ne_u32_e32 vcc, v24, v25
	v_cmp_ne_u32_e64 s[4:5], v25, v22
	v_cmp_ne_u32_e64 s[6:7], v22, v23
	v_cndmask_b32_e64 v53, 0, 1, s[8:9]
	v_cmp_ne_u32_e64 s[10:11], v20, v21
	v_cmp_ne_u32_e64 s[12:13], v21, v18
	;; [unrolled: 1-line block ×15, first 2 shown]
	s_waitcnt lgkmcnt(9)
	v_cndmask_b32_e64 v45, v45, v2, s[8:9]
	v_cmp_ne_u32_e64 s[8:9], v3, v70
	v_cndmask_b32_e64 v49, 0, 1, vcc
	v_cndmask_b32_e64 v50, 0, 1, s[4:5]
	v_cndmask_b32_e64 v51, 0, 1, s[6:7]
	;; [unrolled: 1-line block ×19, first 2 shown]
	v_cndmask_b32_e32 v24, v46, v2, vcc
	v_cndmask_b32_e64 v46, v47, v2, s[4:5]
	v_cndmask_b32_e64 v44, v44, v2, s[6:7]
	s_waitcnt lgkmcnt(8)
	v_cndmask_b32_e64 v42, v42, v2, s[10:11]
	v_cndmask_b32_e64 v43, v43, v2, s[12:13]
	s_waitcnt lgkmcnt(7)
	;; [unrolled: 3-line block ×9, first 2 shown]
	v_cndmask_b32_e64 v26, v26, v2, s[44:45]
	v_cndmask_b32_e64 v27, v27, v2, s[8:9]
	s_mov_b64 s[10:11], -1
                                        ; implicit-def: $sgpr6
                                        ; implicit-def: $sgpr3
.LBB1700_148:
	v_mov_b32_e32 v11, s3
	v_mov_b32_e32 v16, s6
	s_and_saveexec_b64 s[4:5], s[10:11]
; %bb.149:
	v_cndmask_b32_e64 v11, 0, 1, s[8:9]
	v_mov_b32_e32 v16, v27
; %bb.150:
	s_or_b64 exec, exec, s[4:5]
	v_or_b32_e32 v2, v11, v52
	s_cmp_lg_u32 s2, 0
	v_add_f32_e32 v19, v24, v48
	v_or_b32_e32 v18, v2, v69
	v_lshrrev_b32_e32 v17, 5, v0
	v_cmp_gt_u32_e32 vcc, 64, v0
	s_barrier
	s_cbranch_scc0 .LBB1700_213
; %bb.151:
	v_mov_b32_e32 v6, 0
	v_cmp_eq_u16_sdwa s[50:51], v49, v6 src0_sel:BYTE_0 src1_sel:DWORD
	v_cmp_eq_u16_sdwa s[4:5], v50, v6 src0_sel:BYTE_0 src1_sel:DWORD
	v_cmp_eq_u16_sdwa s[6:7], v51, v6 src0_sel:BYTE_0 src1_sel:DWORD
	v_cndmask_b32_e64 v2, v24, v19, s[50:51]
	v_add_f32_e32 v2, v46, v2
	v_cndmask_b32_e64 v2, v46, v2, s[4:5]
	v_add_f32_e32 v2, v44, v2
	v_cndmask_b32_e64 v2, v44, v2, s[6:7]
	v_add_f32_e32 v2, v45, v2
	v_cmp_eq_u16_sdwa s[8:9], v53, v6 src0_sel:BYTE_0 src1_sel:DWORD
	v_cmp_eq_u16_sdwa s[10:11], v54, v6 src0_sel:BYTE_0 src1_sel:DWORD
	v_cmp_eq_u16_sdwa s[12:13], v55, v6 src0_sel:BYTE_0 src1_sel:DWORD
	v_cndmask_b32_e64 v2, v45, v2, s[8:9]
	v_add_f32_e32 v2, v42, v2
	v_cndmask_b32_e64 v2, v42, v2, s[10:11]
	v_add_f32_e32 v2, v43, v2
	v_cndmask_b32_e64 v2, v43, v2, s[12:13]
	v_add_f32_e32 v2, v40, v2
	;; [unrolled: 9-line block ×7, first 2 shown]
	v_cmp_eq_u16_sdwa s[46:47], v11, v6 src0_sel:BYTE_0 src1_sel:DWORD
	v_and_b32_e32 v3, 0xff, v1
	s_nop 0
	v_cndmask_b32_e64 v20, v16, v2, s[46:47]
	v_or_b32_e32 v2, v18, v68
	v_or_b32_e32 v2, v2, v67
	;; [unrolled: 1-line block ×19, first 2 shown]
	v_and_b32_e32 v2, 1, v2
	v_cmp_eq_u32_e64 s[46:47], 1, v2
	v_add_lshl_u32 v2, v17, v0, 3
	s_nop 0
	v_cndmask_b32_e64 v21, v3, 1, s[46:47]
	ds_write_b32 v2, v20
	ds_write_b8 v2, v21 offset:4
	s_waitcnt lgkmcnt(0)
	s_barrier
	s_and_saveexec_b64 s[48:49], vcc
	s_cbranch_execz .LBB1700_165
; %bb.152:
	v_lshrrev_b32_e32 v2, 3, v0
	v_add_lshl_u32 v4, v2, v10, 3
	ds_read2_b32 v[8:9], v4 offset0:2 offset1:4
	ds_read_b64 v[2:3], v4
	ds_read_u8 v7, v4 offset:12
	ds_read_u8 v12, v4 offset:20
	ds_read_b32 v14, v4 offset:24
	ds_read_u8 v15, v4 offset:28
	s_waitcnt lgkmcnt(0)
	v_add_f32_e32 v5, v2, v8
	v_cmp_eq_u16_sdwa s[46:47], v7, v6 src0_sel:BYTE_0 src1_sel:DWORD
	v_and_b32_e32 v13, 0xffffff00, v3
	s_nop 0
	v_cndmask_b32_e64 v8, v8, v5, s[46:47]
	v_add_f32_e32 v8, v9, v8
	v_cmp_eq_u16_sdwa s[46:47], v12, v6 src0_sel:BYTE_0 src1_sel:DWORD
	v_and_b32_e32 v5, 1, v3
	s_nop 0
	v_cndmask_b32_e64 v6, v9, v8, s[46:47]
	v_or_b32_e32 v8, v15, v12
	v_or_b32_e32 v7, v8, v7
	v_add_f32_e32 v6, v14, v6
	v_cmp_eq_u16_e64 s[46:47], 0, v15
	v_and_b32_e32 v7, 1, v7
	s_nop 0
	v_cndmask_b32_e64 v6, v14, v6, s[46:47]
	v_cmp_eq_u32_e64 s[46:47], 1, v7
	v_mbcnt_lo_u32_b32 v7, -1, 0
	v_mbcnt_hi_u32_b32 v7, -1, v7
	v_cndmask_b32_e64 v9, v5, 1, s[46:47]
	v_or_b32_e32 v8, v9, v13
	v_and_b32_e32 v12, 15, v7
	v_mov_b32_dpp v15, v6 row_shr:1 row_mask:0xf bank_mask:0xf
	v_mov_b32_dpp v14, v8 row_shr:1 row_mask:0xf bank_mask:0xf
	v_cmp_ne_u32_e64 s[46:47], 0, v12
	s_and_saveexec_b64 s[60:61], s[46:47]
; %bb.153:
	v_add_f32_e32 v8, v6, v15
	v_cmp_eq_u32_e64 s[46:47], 0, v9
	s_nop 1
	v_cndmask_b32_e64 v6, v6, v8, s[46:47]
	v_and_b32_e32 v8, 1, v9
	v_and_b32_e32 v9, 1, v14
	v_cmp_eq_u32_e64 s[46:47], 1, v8
	s_nop 1
	v_cndmask_b32_e64 v9, v9, 1, s[46:47]
	v_or_b32_e32 v8, v9, v13
; %bb.154:
	s_or_b64 exec, exec, s[60:61]
	v_mov_b32_dpp v14, v6 row_shr:2 row_mask:0xf bank_mask:0xf
	v_mov_b32_dpp v13, v8 row_shr:2 row_mask:0xf bank_mask:0xf
	v_cmp_lt_u32_e64 s[46:47], 1, v12
	s_and_saveexec_b64 s[60:61], s[46:47]
; %bb.155:
	v_add_f32_e32 v14, v6, v14
	v_cmp_eq_u32_e64 s[46:47], 0, v9
	v_and_b32_e32 v9, 1, v9
	v_and_b32_e32 v13, 1, v13
	v_cndmask_b32_e64 v6, v6, v14, s[46:47]
	v_cmp_eq_u32_e64 s[46:47], 1, v9
	s_movk_i32 s3, 0xff00
	s_nop 0
	v_cndmask_b32_e64 v9, v13, 1, s[46:47]
	v_and_or_b32 v8, v8, s3, v9
; %bb.156:
	s_or_b64 exec, exec, s[60:61]
	v_mov_b32_dpp v14, v6 row_shr:4 row_mask:0xf bank_mask:0xf
	v_mov_b32_dpp v13, v8 row_shr:4 row_mask:0xf bank_mask:0xf
	v_cmp_lt_u32_e64 s[46:47], 3, v12
	s_and_saveexec_b64 s[60:61], s[46:47]
; %bb.157:
	v_add_f32_e32 v14, v6, v14
	v_cmp_eq_u32_e64 s[46:47], 0, v9
	v_and_b32_e32 v9, 1, v9
	v_and_b32_e32 v13, 1, v13
	v_cndmask_b32_e64 v6, v6, v14, s[46:47]
	v_cmp_eq_u32_e64 s[46:47], 1, v9
	s_movk_i32 s3, 0xff00
	s_nop 0
	v_cndmask_b32_e64 v9, v13, 1, s[46:47]
	v_and_or_b32 v8, v8, s3, v9
; %bb.158:
	s_or_b64 exec, exec, s[60:61]
	v_mov_b32_dpp v14, v6 row_shr:8 row_mask:0xf bank_mask:0xf
	v_mov_b32_dpp v13, v8 row_shr:8 row_mask:0xf bank_mask:0xf
	v_cmp_lt_u32_e64 s[46:47], 7, v12
	s_and_saveexec_b64 s[60:61], s[46:47]
; %bb.159:
	v_add_f32_e32 v12, v6, v14
	v_cmp_eq_u32_e64 s[46:47], 0, v9
	v_and_b32_e32 v9, 1, v9
	s_movk_i32 s3, 0xff00
	v_cndmask_b32_e64 v6, v6, v12, s[46:47]
	v_and_b32_e32 v12, 1, v13
	v_cmp_eq_u32_e64 s[46:47], 1, v9
	s_nop 1
	v_cndmask_b32_e64 v9, v12, 1, s[46:47]
	v_and_or_b32 v8, v8, s3, v9
; %bb.160:
	s_or_b64 exec, exec, s[60:61]
	v_and_b32_e32 v14, 16, v7
	v_mov_b32_dpp v13, v6 row_bcast:15 row_mask:0xf bank_mask:0xf
	v_mov_b32_dpp v12, v8 row_bcast:15 row_mask:0xf bank_mask:0xf
	v_cmp_ne_u32_e64 s[46:47], 0, v14
	s_and_saveexec_b64 s[60:61], s[46:47]
; %bb.161:
	v_add_f32_e32 v13, v6, v13
	v_cmp_eq_u32_e64 s[46:47], 0, v9
	v_and_b32_e32 v9, 1, v9
	v_and_b32_e32 v12, 1, v12
	v_cndmask_b32_e64 v6, v6, v13, s[46:47]
	v_cmp_eq_u32_e64 s[46:47], 1, v9
	s_movk_i32 s3, 0xff00
	s_nop 0
	v_cndmask_b32_e64 v9, v12, 1, s[46:47]
	v_and_or_b32 v8, v8, s3, v9
; %bb.162:
	s_or_b64 exec, exec, s[60:61]
	v_mov_b32_dpp v13, v6 row_bcast:31 row_mask:0xf bank_mask:0xf
	v_mov_b32_dpp v12, v8 row_bcast:31 row_mask:0xf bank_mask:0xf
	v_cmp_lt_u32_e64 s[46:47], 31, v7
	s_and_saveexec_b64 s[60:61], s[46:47]
; %bb.163:
	v_add_f32_e32 v13, v6, v13
	v_cmp_eq_u32_e64 s[46:47], 0, v9
	v_and_b32_e32 v9, 1, v9
	v_and_b32_e32 v12, 1, v12
	v_cndmask_b32_e64 v6, v6, v13, s[46:47]
	v_cmp_eq_u32_e64 s[46:47], 1, v9
	s_movk_i32 s3, 0xff00
	s_nop 0
	v_cndmask_b32_e64 v9, v12, 1, s[46:47]
	v_and_or_b32 v8, v8, s3, v9
; %bb.164:
	s_or_b64 exec, exec, s[60:61]
	v_add_u32_e32 v9, -1, v7
	v_and_b32_e32 v12, 64, v7
	v_cmp_lt_i32_e64 s[46:47], v9, v12
	; wave barrier
	s_nop 1
	v_cndmask_b32_e64 v7, v9, v7, s[46:47]
	v_lshlrev_b32_e32 v7, 2, v7
	ds_bpermute_b32 v6, v7, v6
	ds_bpermute_b32 v7, v7, v8
	v_mov_b32_e32 v8, 0
	v_cmp_eq_u32_sdwa s[46:47], v3, v8 src0_sel:BYTE_0 src1_sel:DWORD
	s_waitcnt lgkmcnt(0)
	v_add_f32_e32 v6, v2, v6
	v_cndmask_b32_e64 v2, v2, v6, s[46:47]
	v_and_b32_e32 v3, 1, v7
	v_cmp_eq_u32_e64 s[46:47], 1, v5
	s_nop 1
	v_cndmask_b32_e64 v3, v3, 1, s[46:47]
	v_cmp_eq_u32_e64 s[46:47], 0, v0
	s_nop 1
	v_cndmask_b32_e64 v5, v2, v20, s[46:47]
	v_cndmask_b32_e64 v6, v3, v21, s[46:47]
	ds_write_b32 v4, v5
	ds_write_b8 v4, v6 offset:4
	; wave barrier
	ds_read2_b32 v[2:3], v4 offset0:2 offset1:4
	ds_read_u8 v7, v4 offset:12
	ds_read_u8 v8, v4 offset:20
	ds_read_b32 v9, v4 offset:24
	ds_read_u8 v12, v4 offset:28
	s_waitcnt lgkmcnt(0)
	v_add_f32_e32 v5, v5, v2
	v_cmp_eq_u16_e64 s[46:47], 0, v7
	s_nop 1
	v_cndmask_b32_e64 v2, v2, v5, s[46:47]
	v_and_b32_e32 v5, 1, v7
	v_cmp_eq_u32_e64 s[46:47], 1, v5
	s_nop 1
	v_cndmask_b32_e64 v5, v6, 1, s[46:47]
	v_add_f32_e32 v6, v2, v3
	v_cmp_eq_u16_e64 s[46:47], 0, v8
	ds_write_b8 v4, v5 offset:12
	s_nop 0
	v_cndmask_b32_e64 v3, v3, v6, s[46:47]
	v_and_b32_e32 v6, 1, v8
	v_cmp_eq_u32_e64 s[46:47], 1, v6
	s_nop 1
	v_cndmask_b32_e64 v5, v5, 1, s[46:47]
	ds_write2_b32 v4, v2, v3 offset0:2 offset1:4
	ds_write_b8 v4, v5 offset:20
	v_add_f32_e32 v2, v3, v9
	v_cmp_eq_u16_e64 s[46:47], 0, v12
	v_and_b32_e32 v3, 1, v12
	s_nop 0
	v_cndmask_b32_e64 v2, v9, v2, s[46:47]
	v_cmp_eq_u32_e64 s[46:47], 1, v3
	s_nop 1
	v_cndmask_b32_e64 v3, v5, 1, s[46:47]
	ds_write_b32 v4, v2 offset:24
	ds_write_b8 v4, v3 offset:28
.LBB1700_165:
	s_or_b64 exec, exec, s[48:49]
	v_cmp_eq_u32_e64 s[46:47], 0, v0
	v_cmp_ne_u32_e64 s[48:49], 0, v0
	s_waitcnt lgkmcnt(0)
	s_barrier
	s_and_saveexec_b64 s[60:61], s[48:49]
	s_cbranch_execz .LBB1700_167
; %bb.166:
	v_add_u32_e32 v2, -1, v0
	v_lshrrev_b32_e32 v3, 5, v2
	v_add_lshl_u32 v2, v3, v2, 3
	ds_read_b32 v20, v2
	ds_read_u8 v21, v2 offset:4
.LBB1700_167:
	s_or_b64 exec, exec, s[60:61]
	s_and_saveexec_b64 s[60:61], vcc
	s_cbranch_execz .LBB1700_212
; %bb.168:
	v_mov_b32_e32 v5, 0
	ds_read_b64 v[2:3], v5 offset:2096
	v_mbcnt_lo_u32_b32 v4, -1, 0
	v_mbcnt_hi_u32_b32 v13, -1, v4
	s_mov_b32 s71, 0
	v_cmp_eq_u32_e64 s[48:49], 0, v13
	s_waitcnt lgkmcnt(0)
	v_readfirstlane_b32 s3, v3
	s_and_saveexec_b64 s[68:69], s[48:49]
	s_cbranch_execz .LBB1700_170
; %bb.169:
	s_add_i32 s70, s2, 64
	s_lshl_b64 s[72:73], s[70:71], 4
	s_add_u32 s72, s56, s72
	s_addc_u32 s73, s57, s73
	s_and_b32 s75, s3, 0xff000000
	s_mov_b32 s74, s71
	s_and_b32 s79, s3, 0xff0000
	s_mov_b32 s78, s71
	s_or_b64 s[74:75], s[78:79], s[74:75]
	s_and_b32 s79, s3, 0xff00
	s_or_b64 s[74:75], s[74:75], s[78:79]
	s_and_b32 s79, s3, 0xff
	s_or_b64 s[70:71], s[74:75], s[78:79]
	v_mov_b32_e32 v3, s71
	v_mov_b32_e32 v4, 1
	v_mov_b64_e32 v[6:7], s[72:73]
	;;#ASMSTART
	global_store_dwordx4 v[6:7], v[2:5] off sc1	
s_waitcnt vmcnt(0)
	;;#ASMEND
.LBB1700_170:
	s_or_b64 exec, exec, s[68:69]
	v_xad_u32 v12, v13, -1, s2
	v_add_u32_e32 v4, 64, v12
	v_lshl_add_u64 v[14:15], v[4:5], 4, s[56:57]
	;;#ASMSTART
	global_load_dwordx4 v[6:9], v[14:15] off sc1	
s_waitcnt vmcnt(0)
	;;#ASMEND
	s_nop 0
	v_cmp_eq_u16_sdwa s[70:71], v8, v5 src0_sel:BYTE_0 src1_sel:DWORD
	s_and_saveexec_b64 s[68:69], s[70:71]
	s_cbranch_execz .LBB1700_176
; %bb.171:
	s_mov_b32 s59, 1
	s_mov_b64 s[70:71], 0
	v_mov_b32_e32 v3, 0
.LBB1700_172:                           ; =>This Loop Header: Depth=1
                                        ;     Child Loop BB1700_173 Depth 2
	s_max_u32 s72, s59, 1
.LBB1700_173:                           ;   Parent Loop BB1700_172 Depth=1
                                        ; =>  This Inner Loop Header: Depth=2
	s_add_i32 s72, s72, -1
	s_cmp_eq_u32 s72, 0
	s_sleep 1
	s_cbranch_scc0 .LBB1700_173
; %bb.174:                              ;   in Loop: Header=BB1700_172 Depth=1
	s_cmp_lt_u32 s59, 32
	s_cselect_b64 s[72:73], -1, 0
	s_cmp_lg_u64 s[72:73], 0
	s_addc_u32 s59, s59, 0
	;;#ASMSTART
	global_load_dwordx4 v[6:9], v[14:15] off sc1	
s_waitcnt vmcnt(0)
	;;#ASMEND
	s_nop 0
	v_cmp_ne_u16_sdwa s[72:73], v8, v3 src0_sel:BYTE_0 src1_sel:DWORD
	s_or_b64 s[70:71], s[72:73], s[70:71]
	s_andn2_b64 exec, exec, s[70:71]
	s_cbranch_execnz .LBB1700_172
; %bb.175:
	s_or_b64 exec, exec, s[70:71]
.LBB1700_176:
	s_or_b64 exec, exec, s[68:69]
	v_mov_b32_e32 v3, 2
	v_cmp_eq_u16_sdwa s[68:69], v8, v3 src0_sel:BYTE_0 src1_sel:DWORD
	v_lshlrev_b64 v[4:5], v13, -1
	v_and_b32_e32 v14, 0xff, v7
	v_and_b32_e32 v3, s69, v5
	v_or_b32_e32 v3, 0x80000000, v3
	v_ffbl_b32_e32 v25, v3
	v_and_b32_e32 v3, 63, v13
	v_cmp_ne_u32_e32 vcc, 63, v3
	v_and_b32_e32 v9, s68, v4
	v_add_u32_e32 v25, 32, v25
	v_addc_co_u32_e32 v15, vcc, 0, v13, vcc
	v_lshlrev_b32_e32 v22, 2, v15
	ds_bpermute_b32 v23, v22, v6
	ds_bpermute_b32 v15, v22, v14
	v_ffbl_b32_e32 v9, v9
	v_min_u32_e32 v9, v9, v25
	v_cmp_lt_u32_e32 vcc, v3, v9
	s_and_saveexec_b64 s[68:69], vcc
	s_cbranch_execz .LBB1700_178
; %bb.177:
	v_mov_b32_e32 v14, 0
	s_waitcnt lgkmcnt(0)
	v_add_f32_e32 v23, v6, v23
	v_cmp_eq_u16_sdwa vcc, v7, v14 src0_sel:BYTE_0 src1_sel:DWORD
	v_and_b32_e32 v7, 1, v7
	v_and_b32_e32 v14, 1, v15
	v_cndmask_b32_e32 v6, v6, v23, vcc
	v_cmp_eq_u32_e32 vcc, 1, v7
	s_nop 1
	v_cndmask_b32_e64 v7, v14, 1, vcc
	v_and_b32_e32 v14, 0xffff, v7
.LBB1700_178:
	s_or_b64 exec, exec, s[68:69]
	v_cmp_gt_u32_e32 vcc, 62, v3
	v_add_u32_e32 v25, 2, v3
	s_waitcnt lgkmcnt(0)
	v_cndmask_b32_e64 v15, 0, 1, vcc
	v_lshlrev_b32_e32 v15, 1, v15
	v_add_lshl_u32 v23, v15, v13, 2
	ds_bpermute_b32 v27, v23, v6
	ds_bpermute_b32 v15, v23, v14
	v_cmp_le_u32_e32 vcc, v25, v9
	s_and_saveexec_b64 s[68:69], vcc
	s_cbranch_execz .LBB1700_180
; %bb.179:
	v_mov_b32_e32 v14, 0
	s_waitcnt lgkmcnt(0)
	v_add_f32_e32 v27, v6, v27
	v_cmp_eq_u16_sdwa vcc, v7, v14 src0_sel:BYTE_0 src1_sel:DWORD
	v_and_b32_e32 v7, 1, v7
	v_and_b32_e32 v14, 1, v15
	v_cndmask_b32_e32 v6, v6, v27, vcc
	v_cmp_eq_u32_e32 vcc, 1, v7
	s_nop 1
	v_cndmask_b32_e64 v7, v14, 1, vcc
	v_and_b32_e32 v14, 0xffff, v7
.LBB1700_180:
	s_or_b64 exec, exec, s[68:69]
	v_cmp_gt_u32_e32 vcc, 60, v3
	s_waitcnt vmcnt(0)
	v_add_u32_e32 v47, 4, v3
	s_waitcnt lgkmcnt(0)
	v_cndmask_b32_e64 v15, 0, 1, vcc
	v_lshlrev_b32_e32 v15, 2, v15
	v_add_lshl_u32 v27, v15, v13, 2
	ds_bpermute_b32 v70, v27, v6
	ds_bpermute_b32 v15, v27, v14
	v_cmp_le_u32_e32 vcc, v47, v9
	s_and_saveexec_b64 s[68:69], vcc
	s_cbranch_execz .LBB1700_182
; %bb.181:
	v_mov_b32_e32 v14, 0
	s_waitcnt lgkmcnt(1)
	v_add_f32_e32 v70, v6, v70
	v_cmp_eq_u16_sdwa vcc, v7, v14 src0_sel:BYTE_0 src1_sel:DWORD
	v_and_b32_e32 v7, 1, v7
	s_waitcnt lgkmcnt(0)
	v_and_b32_e32 v14, 1, v15
	v_cndmask_b32_e32 v6, v6, v70, vcc
	v_cmp_eq_u32_e32 vcc, 1, v7
	s_nop 1
	v_cndmask_b32_e64 v7, v14, 1, vcc
	v_and_b32_e32 v14, 0xffff, v7
.LBB1700_182:
	s_or_b64 exec, exec, s[68:69]
	v_cmp_gt_u32_e32 vcc, 56, v3
	v_add_u32_e32 v71, 8, v3
	s_waitcnt lgkmcnt(0)
	v_cndmask_b32_e64 v15, 0, 1, vcc
	v_lshlrev_b32_e32 v15, 3, v15
	v_add_lshl_u32 v70, v15, v13, 2
	ds_bpermute_b32 v72, v70, v6
	ds_bpermute_b32 v15, v70, v14
	v_cmp_le_u32_e32 vcc, v71, v9
	s_and_saveexec_b64 s[68:69], vcc
	s_cbranch_execz .LBB1700_184
; %bb.183:
	v_mov_b32_e32 v14, 0
	s_waitcnt lgkmcnt(1)
	v_add_f32_e32 v72, v6, v72
	v_cmp_eq_u16_sdwa vcc, v7, v14 src0_sel:BYTE_0 src1_sel:DWORD
	v_and_b32_e32 v7, 1, v7
	s_waitcnt lgkmcnt(0)
	v_and_b32_e32 v14, 1, v15
	v_cndmask_b32_e32 v6, v6, v72, vcc
	v_cmp_eq_u32_e32 vcc, 1, v7
	s_nop 1
	v_cndmask_b32_e64 v7, v14, 1, vcc
	v_and_b32_e32 v14, 0xffff, v7
.LBB1700_184:
	s_or_b64 exec, exec, s[68:69]
	v_cmp_gt_u32_e32 vcc, 48, v3
	;; [unrolled: 26-line block ×3, first 2 shown]
	v_add_u32_e32 v77, 32, v3
	s_waitcnt lgkmcnt(0)
	v_cndmask_b32_e64 v15, 0, 1, vcc
	v_lshlrev_b32_e32 v15, 5, v15
	v_add_lshl_u32 v75, v15, v13, 2
	ds_bpermute_b32 v15, v75, v6
	ds_bpermute_b32 v13, v75, v14
	v_cmp_le_u32_e32 vcc, v77, v9
	s_and_saveexec_b64 s[68:69], vcc
	s_cbranch_execz .LBB1700_188
; %bb.187:
	v_mov_b32_e32 v9, 0
	s_waitcnt lgkmcnt(1)
	v_add_f32_e32 v14, v6, v15
	v_cmp_eq_u16_sdwa vcc, v7, v9 src0_sel:BYTE_0 src1_sel:DWORD
	v_and_b32_e32 v7, 1, v7
	s_waitcnt lgkmcnt(0)
	v_and_b32_e32 v9, 1, v13
	v_cndmask_b32_e32 v6, v6, v14, vcc
	v_cmp_eq_u32_e32 vcc, 1, v7
	s_nop 1
	v_cndmask_b32_e64 v7, v9, 1, vcc
.LBB1700_188:
	s_or_b64 exec, exec, s[68:69]
	s_waitcnt lgkmcnt(0)
	v_mov_b32_e32 v13, 0
	v_mov_b32_e32 v78, 2
	s_branch .LBB1700_190
.LBB1700_189:                           ;   in Loop: Header=BB1700_190 Depth=1
	s_or_b64 exec, exec, s[68:69]
	s_waitcnt lgkmcnt(0)
	ds_bpermute_b32 v15, v75, v6
	ds_bpermute_b32 v14, v75, v14
	v_and_b32_e32 v79, 1, v7
	v_cmp_eq_u16_sdwa vcc, v7, v13 src0_sel:BYTE_0 src1_sel:DWORD
	v_subrev_u32_e32 v12, 64, v12
	s_waitcnt lgkmcnt(1)
	v_add_f32_e32 v15, v6, v15
	v_cndmask_b32_e32 v15, v6, v15, vcc
	v_cmp_eq_u32_e32 vcc, 1, v79
	s_waitcnt lgkmcnt(0)
	s_nop 0
	v_cndmask_b32_e64 v14, v14, 1, vcc
	v_cmp_gt_u32_e32 vcc, v77, v9
	v_and_b32_e32 v9, 1, v74
	s_nop 0
	v_cndmask_b32_e32 v6, v15, v6, vcc
	v_cndmask_b32_e32 v7, v14, v7, vcc
	v_add_f32_e32 v6, v76, v6
	v_cmp_eq_u16_sdwa vcc, v74, v13 src0_sel:BYTE_0 src1_sel:DWORD
	v_and_b32_e32 v7, 1, v7
	s_nop 0
	v_cndmask_b32_e32 v6, v76, v6, vcc
	v_cmp_eq_u32_e32 vcc, 1, v9
	s_nop 1
	v_cndmask_b32_e64 v7, v7, 1, vcc
.LBB1700_190:                           ; =>This Loop Header: Depth=1
                                        ;     Child Loop BB1700_193 Depth 2
                                        ;       Child Loop BB1700_194 Depth 3
	v_cmp_ne_u16_sdwa s[68:69], v8, v78 src0_sel:BYTE_0 src1_sel:DWORD
	v_mov_b32_e32 v74, v7
	v_mov_b32_e32 v76, v6
	v_cndmask_b32_e64 v7, 0, 1, s[68:69]
	;;#ASMSTART
	;;#ASMEND
	s_nop 0
	v_cmp_ne_u32_e32 vcc, 0, v7
	s_cmp_lg_u64 vcc, exec
	s_cbranch_scc1 .LBB1700_207
; %bb.191:                              ;   in Loop: Header=BB1700_190 Depth=1
	v_lshl_add_u64 v[14:15], v[12:13], 4, s[56:57]
	;;#ASMSTART
	global_load_dwordx4 v[6:9], v[14:15] off sc1	
s_waitcnt vmcnt(0)
	;;#ASMEND
	s_nop 0
	v_cmp_eq_u16_sdwa s[70:71], v8, v13 src0_sel:BYTE_0 src1_sel:DWORD
	s_and_saveexec_b64 s[68:69], s[70:71]
	s_cbranch_execz .LBB1700_197
; %bb.192:                              ;   in Loop: Header=BB1700_190 Depth=1
	s_mov_b32 s59, 1
	s_mov_b64 s[70:71], 0
.LBB1700_193:                           ;   Parent Loop BB1700_190 Depth=1
                                        ; =>  This Loop Header: Depth=2
                                        ;       Child Loop BB1700_194 Depth 3
	s_max_u32 s72, s59, 1
.LBB1700_194:                           ;   Parent Loop BB1700_190 Depth=1
                                        ;     Parent Loop BB1700_193 Depth=2
                                        ; =>    This Inner Loop Header: Depth=3
	s_add_i32 s72, s72, -1
	s_cmp_eq_u32 s72, 0
	s_sleep 1
	s_cbranch_scc0 .LBB1700_194
; %bb.195:                              ;   in Loop: Header=BB1700_193 Depth=2
	s_cmp_lt_u32 s59, 32
	s_cselect_b64 s[72:73], -1, 0
	s_cmp_lg_u64 s[72:73], 0
	s_addc_u32 s59, s59, 0
	;;#ASMSTART
	global_load_dwordx4 v[6:9], v[14:15] off sc1	
s_waitcnt vmcnt(0)
	;;#ASMEND
	s_nop 0
	v_cmp_ne_u16_sdwa s[72:73], v8, v13 src0_sel:BYTE_0 src1_sel:DWORD
	s_or_b64 s[70:71], s[72:73], s[70:71]
	s_andn2_b64 exec, exec, s[70:71]
	s_cbranch_execnz .LBB1700_193
; %bb.196:                              ;   in Loop: Header=BB1700_190 Depth=1
	s_or_b64 exec, exec, s[70:71]
.LBB1700_197:                           ;   in Loop: Header=BB1700_190 Depth=1
	s_or_b64 exec, exec, s[68:69]
	v_cmp_eq_u16_sdwa s[68:69], v8, v78 src0_sel:BYTE_0 src1_sel:DWORD
	v_and_b32_e32 v14, 0xff, v7
	ds_bpermute_b32 v79, v22, v6
	v_and_b32_e32 v9, s69, v5
	v_or_b32_e32 v9, 0x80000000, v9
	ds_bpermute_b32 v15, v22, v14
	v_and_b32_e32 v80, s68, v4
	v_ffbl_b32_e32 v9, v9
	v_add_u32_e32 v9, 32, v9
	v_ffbl_b32_e32 v80, v80
	v_min_u32_e32 v9, v80, v9
	v_cmp_lt_u32_e32 vcc, v3, v9
	s_and_saveexec_b64 s[68:69], vcc
	s_cbranch_execz .LBB1700_199
; %bb.198:                              ;   in Loop: Header=BB1700_190 Depth=1
	s_waitcnt lgkmcnt(1)
	v_add_f32_e32 v14, v6, v79
	v_cmp_eq_u16_sdwa vcc, v7, v13 src0_sel:BYTE_0 src1_sel:DWORD
	v_and_b32_e32 v7, 1, v7
	s_nop 0
	v_cndmask_b32_e32 v6, v6, v14, vcc
	s_waitcnt lgkmcnt(0)
	v_and_b32_e32 v14, 1, v15
	v_cmp_eq_u32_e32 vcc, 1, v7
	s_nop 1
	v_cndmask_b32_e64 v7, v14, 1, vcc
	v_and_b32_e32 v14, 0xffff, v7
.LBB1700_199:                           ;   in Loop: Header=BB1700_190 Depth=1
	s_or_b64 exec, exec, s[68:69]
	s_waitcnt lgkmcnt(1)
	ds_bpermute_b32 v79, v23, v6
	s_waitcnt lgkmcnt(1)
	ds_bpermute_b32 v15, v23, v14
	v_cmp_le_u32_e32 vcc, v25, v9
	s_and_saveexec_b64 s[68:69], vcc
	s_cbranch_execz .LBB1700_201
; %bb.200:                              ;   in Loop: Header=BB1700_190 Depth=1
	s_waitcnt lgkmcnt(1)
	v_add_f32_e32 v14, v6, v79
	v_cmp_eq_u16_sdwa vcc, v7, v13 src0_sel:BYTE_0 src1_sel:DWORD
	v_and_b32_e32 v7, 1, v7
	s_nop 0
	v_cndmask_b32_e32 v6, v6, v14, vcc
	s_waitcnt lgkmcnt(0)
	v_and_b32_e32 v14, 1, v15
	v_cmp_eq_u32_e32 vcc, 1, v7
	s_nop 1
	v_cndmask_b32_e64 v7, v14, 1, vcc
	v_and_b32_e32 v14, 0xffff, v7
.LBB1700_201:                           ;   in Loop: Header=BB1700_190 Depth=1
	s_or_b64 exec, exec, s[68:69]
	s_waitcnt lgkmcnt(1)
	ds_bpermute_b32 v79, v27, v6
	s_waitcnt lgkmcnt(1)
	ds_bpermute_b32 v15, v27, v14
	v_cmp_le_u32_e32 vcc, v47, v9
	;; [unrolled: 22-line block ×4, first 2 shown]
	s_and_saveexec_b64 s[68:69], vcc
	s_cbranch_execz .LBB1700_189
; %bb.206:                              ;   in Loop: Header=BB1700_190 Depth=1
	s_waitcnt lgkmcnt(1)
	v_add_f32_e32 v14, v6, v79
	v_cmp_eq_u16_sdwa vcc, v7, v13 src0_sel:BYTE_0 src1_sel:DWORD
	v_and_b32_e32 v7, 1, v7
	s_nop 0
	v_cndmask_b32_e32 v6, v6, v14, vcc
	s_waitcnt lgkmcnt(0)
	v_and_b32_e32 v14, 1, v15
	v_cmp_eq_u32_e32 vcc, 1, v7
	s_nop 1
	v_cndmask_b32_e64 v7, v14, 1, vcc
	v_and_b32_e32 v14, 0xffff, v7
	s_branch .LBB1700_189
.LBB1700_207:                           ;   in Loop: Header=BB1700_190 Depth=1
                                        ; implicit-def: $vgpr7
	s_cbranch_execz .LBB1700_190
; %bb.208:
	s_and_saveexec_b64 s[68:69], s[48:49]
	s_cbranch_execz .LBB1700_210
; %bb.209:
	s_and_b32 s48, s3, 0xff
	s_cmp_eq_u32 s48, 0
	s_cselect_b64 vcc, -1, 0
	s_bitcmp1_b32 s3, 0
	s_mov_b32 s49, 0
	s_cselect_b64 s[70:71], -1, 0
	s_add_i32 s48, s2, 64
	s_lshl_b64 s[2:3], s[48:49], 4
	v_add_f32_e32 v3, v76, v2
	s_add_u32 s2, s56, s2
	v_cndmask_b32_e32 v2, v2, v3, vcc
	v_and_b32_e32 v3, 1, v74
	s_addc_u32 s3, s57, s3
	v_cndmask_b32_e64 v3, v3, 1, s[70:71]
	v_mov_b32_e32 v4, 2
	v_mov_b32_e32 v5, 0
	v_mov_b64_e32 v[6:7], s[2:3]
	;;#ASMSTART
	global_store_dwordx4 v[6:7], v[2:5] off sc1	
s_waitcnt vmcnt(0)
	;;#ASMEND
.LBB1700_210:
	s_or_b64 exec, exec, s[68:69]
	s_and_b64 exec, exec, s[46:47]
	s_cbranch_execz .LBB1700_212
; %bb.211:
	v_mov_b32_e32 v2, 0
	ds_write_b32 v2, v76
	ds_write_b8 v2, v74 offset:4
.LBB1700_212:
	s_or_b64 exec, exec, s[60:61]
	v_mov_b32_e32 v2, 0
	s_waitcnt lgkmcnt(0)
	s_barrier
	ds_read_b32 v3, v2
	v_cmp_eq_u32_e32 vcc, 0, v21
	s_waitcnt lgkmcnt(0)
	v_add_f32_e32 v4, v20, v3
	v_cndmask_b32_e32 v4, v20, v4, vcc
	s_waitcnt vmcnt(0)
	v_cndmask_b32_e64 v47, v4, v3, s[46:47]
	v_add_f32_e32 v3, v48, v47
	v_cmp_eq_u16_sdwa vcc, v1, v2 src0_sel:BYTE_0 src1_sel:DWORD
	s_nop 1
	v_cndmask_b32_e32 v70, v48, v3, vcc
	v_add_f32_e32 v2, v24, v70
	v_cndmask_b32_e64 v71, v24, v2, s[50:51]
	v_add_f32_e32 v2, v46, v71
	v_cndmask_b32_e64 v72, v46, v2, s[4:5]
	;; [unrolled: 2-line block ×21, first 2 shown]
	s_branch .LBB1700_235
.LBB1700_213:
                                        ; implicit-def: $vgpr90
                                        ; implicit-def: $vgpr89
                                        ; implicit-def: $vgpr88
                                        ; implicit-def: $vgpr87
                                        ; implicit-def: $vgpr86
                                        ; implicit-def: $vgpr85
                                        ; implicit-def: $vgpr84
                                        ; implicit-def: $vgpr83
                                        ; implicit-def: $vgpr82
                                        ; implicit-def: $vgpr81
                                        ; implicit-def: $vgpr80
                                        ; implicit-def: $vgpr79
                                        ; implicit-def: $vgpr78
                                        ; implicit-def: $vgpr77
                                        ; implicit-def: $vgpr76
                                        ; implicit-def: $vgpr75
                                        ; implicit-def: $vgpr74
                                        ; implicit-def: $vgpr73
                                        ; implicit-def: $vgpr72
                                        ; implicit-def: $vgpr71
                                        ; implicit-def: $vgpr70
                                        ; implicit-def: $vgpr47
                                        ; implicit-def: $vgpr91
	s_cbranch_execz .LBB1700_235
; %bb.214:
	s_cmp_lg_u64 s[66:67], 0
	s_cselect_b32 s3, s63, 0
	s_cselect_b32 s2, s62, 0
	s_cmp_eq_u64 s[2:3], 0
	v_mov_b32_e32 v4, s76
	s_cbranch_scc1 .LBB1700_216
; %bb.215:
	v_mov_b32_e32 v2, 0
	global_load_dword v4, v2, s[2:3]
.LBB1700_216:
	v_mov_b32_e32 v9, 0
	v_cmp_eq_u16_sdwa vcc, v49, v9 src0_sel:BYTE_0 src1_sel:DWORD
	v_cmp_eq_u16_sdwa s[2:3], v50, v9 src0_sel:BYTE_0 src1_sel:DWORD
	v_cmp_eq_u16_sdwa s[4:5], v51, v9 src0_sel:BYTE_0 src1_sel:DWORD
	v_cndmask_b32_e32 v2, v24, v19, vcc
	v_add_f32_e32 v2, v46, v2
	v_cndmask_b32_e64 v2, v46, v2, s[2:3]
	v_add_f32_e32 v2, v44, v2
	v_cndmask_b32_e64 v2, v44, v2, s[4:5]
	v_add_f32_e32 v2, v45, v2
	v_cmp_eq_u16_sdwa s[6:7], v53, v9 src0_sel:BYTE_0 src1_sel:DWORD
	v_cmp_eq_u16_sdwa s[8:9], v54, v9 src0_sel:BYTE_0 src1_sel:DWORD
	v_cmp_eq_u16_sdwa s[10:11], v55, v9 src0_sel:BYTE_0 src1_sel:DWORD
	v_cndmask_b32_e64 v2, v45, v2, s[6:7]
	v_add_f32_e32 v2, v42, v2
	v_cndmask_b32_e64 v2, v42, v2, s[8:9]
	v_add_f32_e32 v2, v43, v2
	v_cndmask_b32_e64 v2, v43, v2, s[10:11]
	v_add_f32_e32 v2, v40, v2
	v_cmp_eq_u16_sdwa s[14:15], v56, v9 src0_sel:BYTE_0 src1_sel:DWORD
	v_cmp_eq_u16_sdwa s[16:17], v57, v9 src0_sel:BYTE_0 src1_sel:DWORD
	v_cmp_eq_u16_sdwa s[18:19], v58, v9 src0_sel:BYTE_0 src1_sel:DWORD
	v_cndmask_b32_e64 v2, v40, v2, s[14:15]
	;; [unrolled: 9-line block ×6, first 2 shown]
	v_add_f32_e32 v2, v29, v2
	v_cndmask_b32_e64 v2, v29, v2, s[42:43]
	v_add_f32_e32 v2, v26, v2
	v_cndmask_b32_e64 v2, v26, v2, s[12:13]
	v_add_f32_e32 v2, v16, v2
	v_cmp_eq_u16_sdwa s[44:45], v11, v9 src0_sel:BYTE_0 src1_sel:DWORD
	v_and_b32_e32 v3, 0xff, v1
	s_nop 0
	v_cndmask_b32_e64 v6, v16, v2, s[44:45]
	v_or_b32_e32 v2, v18, v68
	v_or_b32_e32 v2, v2, v67
	;; [unrolled: 1-line block ×19, first 2 shown]
	v_and_b32_e32 v2, 1, v2
	v_cmp_eq_u32_e64 s[44:45], 1, v2
	v_add_lshl_u32 v2, v17, v0, 3
	s_nop 0
	v_cndmask_b32_e64 v7, v3, 1, s[44:45]
	v_cmp_gt_u32_e64 s[44:45], 64, v0
	ds_write_b32 v2, v6
	ds_write_b8 v2, v7 offset:4
	s_waitcnt lgkmcnt(0)
	s_barrier
	s_and_saveexec_b64 s[46:47], s[44:45]
	s_cbranch_execz .LBB1700_230
; %bb.217:
	v_lshrrev_b32_e32 v2, 3, v0
	v_add_lshl_u32 v5, v2, v10, 3
	ds_read2_b32 v[12:13], v5 offset0:2 offset1:4
	ds_read_b64 v[2:3], v5
	ds_read_u8 v11, v5 offset:12
	ds_read_u8 v14, v5 offset:20
	ds_read_b32 v16, v5 offset:24
	ds_read_u8 v17, v5 offset:28
	s_waitcnt lgkmcnt(0)
	v_add_f32_e32 v8, v2, v12
	v_cmp_eq_u16_sdwa s[44:45], v11, v9 src0_sel:BYTE_0 src1_sel:DWORD
	v_and_b32_e32 v15, 0xffffff00, v3
	s_nop 0
	v_cndmask_b32_e64 v12, v12, v8, s[44:45]
	v_add_f32_e32 v12, v13, v12
	v_cmp_eq_u16_sdwa s[44:45], v14, v9 src0_sel:BYTE_0 src1_sel:DWORD
	v_and_b32_e32 v8, 1, v3
	s_nop 0
	v_cndmask_b32_e64 v9, v13, v12, s[44:45]
	v_or_b32_e32 v12, v17, v14
	v_or_b32_e32 v11, v12, v11
	v_add_f32_e32 v9, v16, v9
	v_cmp_eq_u16_e64 s[44:45], 0, v17
	v_and_b32_e32 v11, 1, v11
	s_nop 0
	v_cndmask_b32_e64 v9, v16, v9, s[44:45]
	v_cmp_eq_u32_e64 s[44:45], 1, v11
	v_mbcnt_lo_u32_b32 v11, -1, 0
	v_mbcnt_hi_u32_b32 v11, -1, v11
	v_cndmask_b32_e64 v13, v8, 1, s[44:45]
	v_or_b32_e32 v12, v13, v15
	v_and_b32_e32 v14, 15, v11
	v_mov_b32_dpp v17, v9 row_shr:1 row_mask:0xf bank_mask:0xf
	v_mov_b32_dpp v16, v12 row_shr:1 row_mask:0xf bank_mask:0xf
	v_cmp_ne_u32_e64 s[44:45], 0, v14
	s_and_saveexec_b64 s[48:49], s[44:45]
; %bb.218:
	v_add_f32_e32 v12, v9, v17
	v_cmp_eq_u32_e64 s[44:45], 0, v13
	s_nop 1
	v_cndmask_b32_e64 v9, v9, v12, s[44:45]
	v_and_b32_e32 v12, 1, v13
	v_and_b32_e32 v13, 1, v16
	v_cmp_eq_u32_e64 s[44:45], 1, v12
	s_nop 1
	v_cndmask_b32_e64 v13, v13, 1, s[44:45]
	v_or_b32_e32 v12, v13, v15
; %bb.219:
	s_or_b64 exec, exec, s[48:49]
	v_mov_b32_dpp v16, v9 row_shr:2 row_mask:0xf bank_mask:0xf
	v_mov_b32_dpp v15, v12 row_shr:2 row_mask:0xf bank_mask:0xf
	v_cmp_lt_u32_e64 s[44:45], 1, v14
	s_and_saveexec_b64 s[48:49], s[44:45]
; %bb.220:
	v_add_f32_e32 v16, v9, v16
	v_cmp_eq_u32_e64 s[44:45], 0, v13
	v_and_b32_e32 v13, 1, v13
	v_and_b32_e32 v15, 1, v15
	v_cndmask_b32_e64 v9, v9, v16, s[44:45]
	v_cmp_eq_u32_e64 s[44:45], 1, v13
	s_nop 1
	v_cndmask_b32_e64 v13, v15, 1, s[44:45]
	s_movk_i32 s44, 0xff00
	v_and_or_b32 v12, v12, s44, v13
; %bb.221:
	s_or_b64 exec, exec, s[48:49]
	v_mov_b32_dpp v16, v9 row_shr:4 row_mask:0xf bank_mask:0xf
	v_mov_b32_dpp v15, v12 row_shr:4 row_mask:0xf bank_mask:0xf
	v_cmp_lt_u32_e64 s[44:45], 3, v14
	s_and_saveexec_b64 s[48:49], s[44:45]
; %bb.222:
	v_add_f32_e32 v16, v9, v16
	v_cmp_eq_u32_e64 s[44:45], 0, v13
	v_and_b32_e32 v13, 1, v13
	v_and_b32_e32 v15, 1, v15
	v_cndmask_b32_e64 v9, v9, v16, s[44:45]
	v_cmp_eq_u32_e64 s[44:45], 1, v13
	s_nop 1
	v_cndmask_b32_e64 v13, v15, 1, s[44:45]
	s_movk_i32 s44, 0xff00
	v_and_or_b32 v12, v12, s44, v13
; %bb.223:
	s_or_b64 exec, exec, s[48:49]
	v_mov_b32_dpp v16, v9 row_shr:8 row_mask:0xf bank_mask:0xf
	v_mov_b32_dpp v15, v12 row_shr:8 row_mask:0xf bank_mask:0xf
	v_cmp_lt_u32_e64 s[44:45], 7, v14
	s_and_saveexec_b64 s[48:49], s[44:45]
; %bb.224:
	v_add_f32_e32 v14, v9, v16
	v_cmp_eq_u32_e64 s[44:45], 0, v13
	v_and_b32_e32 v13, 1, v13
	s_nop 0
	v_cndmask_b32_e64 v9, v9, v14, s[44:45]
	v_and_b32_e32 v14, 1, v15
	v_cmp_eq_u32_e64 s[44:45], 1, v13
	s_nop 1
	v_cndmask_b32_e64 v13, v14, 1, s[44:45]
	s_movk_i32 s44, 0xff00
	v_and_or_b32 v12, v12, s44, v13
; %bb.225:
	s_or_b64 exec, exec, s[48:49]
	v_and_b32_e32 v16, 16, v11
	v_mov_b32_dpp v15, v9 row_bcast:15 row_mask:0xf bank_mask:0xf
	v_mov_b32_dpp v14, v12 row_bcast:15 row_mask:0xf bank_mask:0xf
	v_cmp_ne_u32_e64 s[44:45], 0, v16
	s_and_saveexec_b64 s[48:49], s[44:45]
; %bb.226:
	v_add_f32_e32 v15, v9, v15
	v_cmp_eq_u32_e64 s[44:45], 0, v13
	v_and_b32_e32 v13, 1, v13
	v_and_b32_e32 v14, 1, v14
	v_cndmask_b32_e64 v9, v9, v15, s[44:45]
	v_cmp_eq_u32_e64 s[44:45], 1, v13
	s_nop 1
	v_cndmask_b32_e64 v13, v14, 1, s[44:45]
	s_movk_i32 s44, 0xff00
	v_and_or_b32 v12, v12, s44, v13
; %bb.227:
	s_or_b64 exec, exec, s[48:49]
	v_mov_b32_dpp v15, v9 row_bcast:31 row_mask:0xf bank_mask:0xf
	v_mov_b32_dpp v14, v12 row_bcast:31 row_mask:0xf bank_mask:0xf
	v_cmp_lt_u32_e64 s[44:45], 31, v11
	s_and_saveexec_b64 s[48:49], s[44:45]
; %bb.228:
	v_add_f32_e32 v15, v9, v15
	v_cmp_eq_u32_e64 s[44:45], 0, v13
	v_and_b32_e32 v13, 1, v13
	v_and_b32_e32 v14, 1, v14
	v_cndmask_b32_e64 v9, v9, v15, s[44:45]
	v_cmp_eq_u32_e64 s[44:45], 1, v13
	s_nop 1
	v_cndmask_b32_e64 v13, v14, 1, s[44:45]
	s_movk_i32 s44, 0xff00
	v_and_or_b32 v12, v12, s44, v13
; %bb.229:
	s_or_b64 exec, exec, s[48:49]
	v_add_u32_e32 v13, -1, v11
	v_and_b32_e32 v14, 64, v11
	v_cmp_lt_i32_e64 s[44:45], v13, v14
	; wave barrier
	s_nop 1
	v_cndmask_b32_e64 v11, v13, v11, s[44:45]
	v_lshlrev_b32_e32 v11, 2, v11
	ds_bpermute_b32 v9, v11, v9
	ds_bpermute_b32 v11, v11, v12
	v_mov_b32_e32 v12, 0
	v_cmp_eq_u32_sdwa s[44:45], v3, v12 src0_sel:BYTE_0 src1_sel:DWORD
	s_waitcnt lgkmcnt(0)
	v_add_f32_e32 v9, v2, v9
	v_cndmask_b32_e64 v2, v2, v9, s[44:45]
	v_and_b32_e32 v3, 1, v11
	v_cmp_eq_u32_e64 s[44:45], 1, v8
	s_nop 1
	v_cndmask_b32_e64 v3, v3, 1, s[44:45]
	v_cmp_eq_u32_e64 s[44:45], 0, v0
	s_nop 1
	v_cndmask_b32_e64 v6, v2, v6, s[44:45]
	v_cndmask_b32_e64 v7, v3, v7, s[44:45]
	ds_write_b32 v5, v6
	ds_write_b8 v5, v7 offset:4
	; wave barrier
	ds_read2_b32 v[2:3], v5 offset0:2 offset1:4
	ds_read_u8 v8, v5 offset:12
	ds_read_u8 v9, v5 offset:20
	ds_read_b32 v11, v5 offset:24
	ds_read_u8 v12, v5 offset:28
	s_waitcnt lgkmcnt(0)
	v_add_f32_e32 v6, v6, v2
	v_cmp_eq_u16_e64 s[44:45], 0, v8
	s_nop 1
	v_cndmask_b32_e64 v2, v2, v6, s[44:45]
	v_and_b32_e32 v6, 1, v8
	v_cmp_eq_u32_e64 s[44:45], 1, v6
	s_nop 1
	v_cndmask_b32_e64 v6, v7, 1, s[44:45]
	v_add_f32_e32 v7, v2, v3
	v_cmp_eq_u16_e64 s[44:45], 0, v9
	ds_write_b8 v5, v6 offset:12
	s_nop 0
	v_cndmask_b32_e64 v3, v3, v7, s[44:45]
	v_and_b32_e32 v7, 1, v9
	v_cmp_eq_u32_e64 s[44:45], 1, v7
	s_nop 1
	v_cndmask_b32_e64 v6, v6, 1, s[44:45]
	ds_write2_b32 v5, v2, v3 offset0:2 offset1:4
	ds_write_b8 v5, v6 offset:20
	v_add_f32_e32 v2, v3, v11
	v_cmp_eq_u16_e64 s[44:45], 0, v12
	v_and_b32_e32 v3, 1, v12
	s_nop 0
	v_cndmask_b32_e64 v2, v11, v2, s[44:45]
	v_cmp_eq_u32_e64 s[44:45], 1, v3
	s_nop 1
	v_cndmask_b32_e64 v3, v6, 1, s[44:45]
	ds_write_b32 v5, v2 offset:24
	ds_write_b8 v5, v3 offset:28
.LBB1700_230:
	s_or_b64 exec, exec, s[46:47]
	v_cmp_eq_u32_e64 s[44:45], 0, v0
	v_cmp_ne_u32_e64 s[46:47], 0, v0
	s_waitcnt vmcnt(0)
	v_mov_b32_e32 v47, v4
	s_waitcnt lgkmcnt(0)
	s_barrier
	s_and_saveexec_b64 s[48:49], s[46:47]
	s_cbranch_execz .LBB1700_232
; %bb.231:
	v_add_u32_e32 v2, -1, v0
	v_lshrrev_b32_e32 v3, 5, v2
	v_add_lshl_u32 v2, v3, v2, 3
	ds_read_b32 v3, v2
	ds_read_u8 v2, v2 offset:4
	s_waitcnt lgkmcnt(1)
	v_add_f32_e32 v5, v4, v3
	s_waitcnt lgkmcnt(0)
	v_cmp_eq_u16_e64 s[46:47], 0, v2
	s_nop 1
	v_cndmask_b32_e64 v47, v3, v5, s[46:47]
.LBB1700_232:
	s_or_b64 exec, exec, s[48:49]
	v_mov_b32_e32 v5, 0
	v_add_f32_e32 v2, v48, v47
	v_cmp_eq_u16_sdwa s[46:47], v1, v5 src0_sel:BYTE_0 src1_sel:DWORD
	s_nop 1
	v_cndmask_b32_e64 v70, v48, v2, s[46:47]
	v_add_f32_e32 v1, v24, v70
	v_cndmask_b32_e32 v71, v24, v1, vcc
	v_add_f32_e32 v1, v46, v71
	v_cndmask_b32_e64 v72, v46, v1, s[2:3]
	v_add_f32_e32 v1, v44, v72
	v_cndmask_b32_e64 v73, v44, v1, s[4:5]
	v_add_f32_e32 v1, v45, v73
	v_cndmask_b32_e64 v74, v45, v1, s[6:7]
	v_add_f32_e32 v1, v42, v74
	v_cndmask_b32_e64 v75, v42, v1, s[8:9]
	v_add_f32_e32 v1, v43, v75
	v_cndmask_b32_e64 v76, v43, v1, s[10:11]
	v_add_f32_e32 v1, v40, v76
	v_cndmask_b32_e64 v77, v40, v1, s[14:15]
	v_add_f32_e32 v1, v41, v77
	v_cndmask_b32_e64 v78, v41, v1, s[16:17]
	v_add_f32_e32 v1, v38, v78
	v_cndmask_b32_e64 v79, v38, v1, s[18:19]
	v_add_f32_e32 v1, v39, v79
	v_cndmask_b32_e64 v80, v39, v1, s[20:21]
	v_add_f32_e32 v1, v36, v80
	v_cndmask_b32_e64 v81, v36, v1, s[22:23]
	v_add_f32_e32 v1, v37, v81
	v_cndmask_b32_e64 v82, v37, v1, s[24:25]
	v_add_f32_e32 v1, v34, v82
	v_cndmask_b32_e64 v83, v34, v1, s[26:27]
	v_add_f32_e32 v1, v35, v83
	v_cndmask_b32_e64 v84, v35, v1, s[28:29]
	v_add_f32_e32 v1, v32, v84
	v_cndmask_b32_e64 v85, v32, v1, s[30:31]
	v_add_f32_e32 v1, v33, v85
	v_cndmask_b32_e64 v86, v33, v1, s[34:35]
	v_add_f32_e32 v1, v30, v86
	v_cndmask_b32_e64 v87, v30, v1, s[36:37]
	v_add_f32_e32 v1, v31, v87
	v_cndmask_b32_e64 v88, v31, v1, s[38:39]
	v_add_f32_e32 v1, v28, v88
	v_cndmask_b32_e64 v89, v28, v1, s[40:41]
	v_add_f32_e32 v1, v29, v89
	v_cndmask_b32_e64 v90, v29, v1, s[42:43]
	v_add_f32_e32 v1, v26, v90
	s_and_saveexec_b64 s[2:3], s[44:45]
	s_cbranch_execz .LBB1700_234
; %bb.233:
	ds_read_b32 v2, v5 offset:2096
	ds_read_u8 v3, v5 offset:2100
	s_add_u32 s4, s56, 0x400
	s_addc_u32 s5, s57, 0
	v_mov_b64_e32 v[6:7], s[4:5]
	s_waitcnt lgkmcnt(1)
	v_add_f32_e32 v4, v4, v2
	s_waitcnt lgkmcnt(0)
	v_cmp_eq_u16_e32 vcc, 0, v3
	v_and_b32_e32 v3, 0xffff, v3
	s_nop 0
	v_cndmask_b32_e32 v2, v2, v4, vcc
	v_mov_b32_e32 v4, 2
	;;#ASMSTART
	global_store_dwordx4 v[6:7], v[2:5] off sc1	
s_waitcnt vmcnt(0)
	;;#ASMEND
.LBB1700_234:
	s_or_b64 exec, exec, s[2:3]
	v_cndmask_b32_e64 v91, v26, v1, s[12:13]
.LBB1700_235:
	s_add_u32 s2, s54, s64
	s_addc_u32 s3, s55, s65
	s_add_u32 s2, s2, s52
	s_addc_u32 s3, s3, s53
	s_and_b64 vcc, exec, s[0:1]
	s_cbranch_vccz .LBB1700_281
; %bb.236:
	s_movk_i32 s0, 0x5c
	v_mul_i32_i24_e32 v28, 0xffffffa8, v0
	v_mul_u32_u24_e32 v1, 0x5c, v0
	v_mad_u32_u24 v2, v0, s0, v28
	s_barrier
	s_waitcnt vmcnt(0)
	ds_write2_b32 v1, v47, v70 offset1:1
	ds_write2_b32 v1, v71, v72 offset0:2 offset1:3
	ds_write2_b32 v1, v73, v74 offset0:4 offset1:5
	;; [unrolled: 1-line block ×10, first 2 shown]
	ds_write_b32 v1, v91 offset:88
	s_waitcnt lgkmcnt(0)
	s_barrier
	ds_read2st64_b32 v[26:27], v2 offset0:4 offset1:8
	ds_read2st64_b32 v[24:25], v2 offset0:12 offset1:16
	ds_read2st64_b32 v[22:23], v2 offset0:20 offset1:24
	ds_read2st64_b32 v[20:21], v2 offset0:28 offset1:32
	ds_read2st64_b32 v[18:19], v2 offset0:36 offset1:40
	ds_read2st64_b32 v[16:17], v2 offset0:44 offset1:48
	ds_read2st64_b32 v[14:15], v2 offset0:52 offset1:56
	ds_read2st64_b32 v[12:13], v2 offset0:60 offset1:64
	ds_read2st64_b32 v[8:9], v2 offset0:68 offset1:72
	ds_read2st64_b32 v[6:7], v2 offset0:76 offset1:80
	ds_read2st64_b32 v[2:3], v2 offset0:84 offset1:88
	s_add_i32 s33, s33, s58
	v_mov_b32_e32 v11, 0
	v_lshl_add_u64 v[4:5], s[2:3], 0, v[10:11]
	v_cmp_gt_u32_e32 vcc, s33, v0
	s_and_saveexec_b64 s[0:1], vcc
	s_cbranch_execz .LBB1700_238
; %bb.237:
	v_add_u32_e32 v1, v1, v28
	ds_read_b32 v1, v1
	s_waitcnt lgkmcnt(0)
	flat_store_dword v[4:5], v1
.LBB1700_238:
	s_or_b64 exec, exec, s[0:1]
	v_or_b32_e32 v1, 0x100, v0
	v_cmp_gt_u32_e32 vcc, s33, v1
	s_and_saveexec_b64 s[0:1], vcc
	s_cbranch_execz .LBB1700_240
; %bb.239:
	s_waitcnt lgkmcnt(0)
	flat_store_dword v[4:5], v26 offset:1024
.LBB1700_240:
	s_or_b64 exec, exec, s[0:1]
	v_or_b32_e32 v1, 0x200, v0
	v_cmp_gt_u32_e32 vcc, s33, v1
	s_and_saveexec_b64 s[0:1], vcc
	s_cbranch_execz .LBB1700_242
; %bb.241:
	s_waitcnt lgkmcnt(0)
	flat_store_dword v[4:5], v27 offset:2048
.LBB1700_242:
	;; [unrolled: 9-line block ×3, first 2 shown]
	s_or_b64 exec, exec, s[0:1]
	v_or_b32_e32 v1, 0x400, v0
	v_cmp_gt_u32_e32 vcc, s33, v1
	s_and_saveexec_b64 s[0:1], vcc
	s_cbranch_execz .LBB1700_246
; %bb.245:
	s_waitcnt lgkmcnt(0)
	v_add_co_u32_e32 v26, vcc, 0x1000, v4
	s_nop 1
	v_addc_co_u32_e32 v27, vcc, 0, v5, vcc
	flat_store_dword v[26:27], v25
.LBB1700_246:
	s_or_b64 exec, exec, s[0:1]
	v_or_b32_e32 v1, 0x500, v0
	v_cmp_gt_u32_e32 vcc, s33, v1
	s_and_saveexec_b64 s[0:1], vcc
	s_cbranch_execz .LBB1700_248
; %bb.247:
	s_waitcnt lgkmcnt(0)
	v_add_co_u32_e32 v24, vcc, 0x1000, v4
	s_nop 1
	v_addc_co_u32_e32 v25, vcc, 0, v5, vcc
	flat_store_dword v[24:25], v22 offset:1024
.LBB1700_248:
	s_or_b64 exec, exec, s[0:1]
	v_or_b32_e32 v1, 0x600, v0
	v_cmp_gt_u32_e32 vcc, s33, v1
	s_and_saveexec_b64 s[0:1], vcc
	s_cbranch_execz .LBB1700_250
; %bb.249:
	s_waitcnt lgkmcnt(0)
	v_add_co_u32_e32 v24, vcc, 0x1000, v4
	s_nop 1
	v_addc_co_u32_e32 v25, vcc, 0, v5, vcc
	flat_store_dword v[24:25], v23 offset:2048
.LBB1700_250:
	s_or_b64 exec, exec, s[0:1]
	v_or_b32_e32 v1, 0x700, v0
	v_cmp_gt_u32_e32 vcc, s33, v1
	s_and_saveexec_b64 s[0:1], vcc
	s_cbranch_execz .LBB1700_252
; %bb.251:
	s_waitcnt lgkmcnt(0)
	v_add_co_u32_e32 v22, vcc, 0x1000, v4
	s_nop 1
	v_addc_co_u32_e32 v23, vcc, 0, v5, vcc
	flat_store_dword v[22:23], v20 offset:3072
.LBB1700_252:
	s_or_b64 exec, exec, s[0:1]
	v_or_b32_e32 v1, 0x800, v0
	v_cmp_gt_u32_e32 vcc, s33, v1
	s_and_saveexec_b64 s[0:1], vcc
	s_cbranch_execz .LBB1700_254
; %bb.253:
	s_waitcnt lgkmcnt(0)
	v_add_co_u32_e32 v22, vcc, 0x2000, v4
	s_nop 1
	v_addc_co_u32_e32 v23, vcc, 0, v5, vcc
	flat_store_dword v[22:23], v21
.LBB1700_254:
	s_or_b64 exec, exec, s[0:1]
	v_or_b32_e32 v1, 0x900, v0
	v_cmp_gt_u32_e32 vcc, s33, v1
	s_and_saveexec_b64 s[0:1], vcc
	s_cbranch_execz .LBB1700_256
; %bb.255:
	s_waitcnt lgkmcnt(0)
	v_add_co_u32_e32 v20, vcc, 0x2000, v4
	s_nop 1
	v_addc_co_u32_e32 v21, vcc, 0, v5, vcc
	flat_store_dword v[20:21], v18 offset:1024
.LBB1700_256:
	s_or_b64 exec, exec, s[0:1]
	v_or_b32_e32 v1, 0xa00, v0
	v_cmp_gt_u32_e32 vcc, s33, v1
	s_and_saveexec_b64 s[0:1], vcc
	s_cbranch_execz .LBB1700_258
; %bb.257:
	s_waitcnt lgkmcnt(0)
	v_add_co_u32_e32 v20, vcc, 0x2000, v4
	s_nop 1
	v_addc_co_u32_e32 v21, vcc, 0, v5, vcc
	flat_store_dword v[20:21], v19 offset:2048
.LBB1700_258:
	s_or_b64 exec, exec, s[0:1]
	v_or_b32_e32 v1, 0xb00, v0
	v_cmp_gt_u32_e32 vcc, s33, v1
	s_and_saveexec_b64 s[0:1], vcc
	s_cbranch_execz .LBB1700_260
; %bb.259:
	s_waitcnt lgkmcnt(0)
	v_add_co_u32_e32 v18, vcc, 0x2000, v4
	s_nop 1
	v_addc_co_u32_e32 v19, vcc, 0, v5, vcc
	flat_store_dword v[18:19], v16 offset:3072
.LBB1700_260:
	;; [unrolled: 48-line block ×4, first 2 shown]
	s_or_b64 exec, exec, s[0:1]
	v_or_b32_e32 v1, 0x1400, v0
	v_cmp_gt_u32_e32 vcc, s33, v1
	s_and_saveexec_b64 s[0:1], vcc
	s_cbranch_execz .LBB1700_278
; %bb.277:
	s_waitcnt lgkmcnt(0)
	v_add_co_u32_e32 v8, vcc, 0x5000, v4
	s_nop 1
	v_addc_co_u32_e32 v9, vcc, 0, v5, vcc
	flat_store_dword v[8:9], v7
.LBB1700_278:
	s_or_b64 exec, exec, s[0:1]
	v_or_b32_e32 v1, 0x1500, v0
	v_cmp_gt_u32_e32 vcc, s33, v1
	s_and_saveexec_b64 s[0:1], vcc
	s_cbranch_execz .LBB1700_280
; %bb.279:
	v_add_co_u32_e32 v4, vcc, 0x5000, v4
	s_nop 1
	v_addc_co_u32_e32 v5, vcc, 0, v5, vcc
	s_waitcnt lgkmcnt(0)
	flat_store_dword v[4:5], v2 offset:1024
.LBB1700_280:
	s_or_b64 exec, exec, s[0:1]
	s_waitcnt lgkmcnt(0)
	v_or_b32_e32 v2, 0x1600, v0
	v_mov_b32_e32 v1, v11
	v_cmp_gt_u32_e64 s[0:1], s33, v2
	s_branch .LBB1700_283
.LBB1700_281:
	s_mov_b64 s[0:1], 0
                                        ; implicit-def: $vgpr3
	s_cbranch_execz .LBB1700_283
; %bb.282:
	v_mul_u32_u24_e32 v1, 0x5c, v0
	s_barrier
	s_movk_i32 s4, 0x5c
	s_waitcnt vmcnt(0)
	ds_write2_b32 v1, v47, v70 offset1:1
	ds_write2_b32 v1, v71, v72 offset0:2 offset1:3
	ds_write2_b32 v1, v73, v74 offset0:4 offset1:5
	;; [unrolled: 1-line block ×10, first 2 shown]
	ds_write_b32 v1, v91 offset:88
	v_mov_b32_e32 v1, 0
	v_mul_i32_i24_e32 v2, 0xffffffa8, v0
	v_mad_u32_u24 v2, v0, s4, v2
	v_mov_b32_e32 v11, v1
	s_waitcnt lgkmcnt(0)
	s_barrier
	ds_read2st64_b32 v[4:5], v2 offset1:4
	ds_read2st64_b32 v[6:7], v2 offset0:8 offset1:12
	ds_read2st64_b32 v[8:9], v2 offset0:16 offset1:20
	;; [unrolled: 1-line block ×10, first 2 shown]
	ds_read_b32 v3, v2 offset:22528
	v_lshl_add_u64 v[10:11], s[2:3], 0, v[10:11]
	s_movk_i32 s4, 0x1000
	s_waitcnt lgkmcnt(11)
	flat_store_dword v[10:11], v4
	flat_store_dword v[10:11], v5 offset:1024
	s_waitcnt lgkmcnt(0)
	flat_store_dword v[10:11], v6 offset:2048
	flat_store_dword v[10:11], v7 offset:3072
	v_add_co_u32_e32 v4, vcc, s4, v10
	s_movk_i32 s4, 0x2000
	s_nop 0
	v_addc_co_u32_e32 v5, vcc, 0, v11, vcc
	flat_store_dword v[4:5], v8
	flat_store_dword v[4:5], v9 offset:1024
	flat_store_dword v[4:5], v12 offset:2048
	;; [unrolled: 1-line block ×3, first 2 shown]
	v_add_co_u32_e32 v4, vcc, s4, v10
	s_movk_i32 s4, 0x3000
	s_nop 0
	v_addc_co_u32_e32 v5, vcc, 0, v11, vcc
	flat_store_dword v[4:5], v14
	flat_store_dword v[4:5], v15 offset:1024
	flat_store_dword v[4:5], v16 offset:2048
	;; [unrolled: 1-line block ×3, first 2 shown]
	v_add_co_u32_e32 v4, vcc, s4, v10
	s_or_b64 s[0:1], s[0:1], exec
	s_nop 0
	v_addc_co_u32_e32 v5, vcc, 0, v11, vcc
	flat_store_dword v[4:5], v18
	flat_store_dword v[4:5], v19 offset:1024
	flat_store_dword v[4:5], v20 offset:2048
	;; [unrolled: 1-line block ×3, first 2 shown]
	v_add_co_u32_e32 v4, vcc, 0x4000, v10
	s_nop 1
	v_addc_co_u32_e32 v5, vcc, 0, v11, vcc
	flat_store_dword v[4:5], v22
	flat_store_dword v[4:5], v23 offset:1024
	flat_store_dword v[4:5], v24 offset:2048
	flat_store_dword v[4:5], v25 offset:3072
	v_add_co_u32_e32 v4, vcc, 0x5000, v10
	s_nop 1
	v_addc_co_u32_e32 v5, vcc, 0, v11, vcc
	flat_store_dword v[4:5], v26
	flat_store_dword v[4:5], v27 offset:1024
.LBB1700_283:
	s_and_saveexec_b64 s[4:5], s[0:1]
	s_cbranch_execz .LBB1700_285
; %bb.284:
	v_lshl_add_u64 v[0:1], v[0:1], 2, s[2:3]
	v_add_co_u32_e32 v0, vcc, 0x5000, v0
	s_nop 1
	v_addc_co_u32_e32 v1, vcc, 0, v1, vcc
	flat_store_dword v[0:1], v3 offset:2048
	s_endpgm
.LBB1700_285:
	s_endpgm
	.section	.rodata,"a",@progbits
	.p2align	6, 0x0
	.amdhsa_kernel _ZN7rocprim17ROCPRIM_400000_NS6detail17trampoline_kernelINS0_14default_configENS1_27scan_by_key_config_selectorIifEEZZNS1_16scan_by_key_implILNS1_25lookback_scan_determinismE0ELb1ES3_N6thrust23THRUST_200600_302600_NS6detail15normal_iteratorINS9_10device_ptrIiEEEENSB_INSC_IjEEEENSB_INSC_IfEEEEfNS9_4plusIvEENS9_8equal_toIvEEfEE10hipError_tPvRmT2_T3_T4_T5_mT6_T7_P12ihipStream_tbENKUlT_T0_E_clISt17integral_constantIbLb1EES12_IbLb0EEEEDaSY_SZ_EUlSY_E_NS1_11comp_targetILNS1_3genE5ELNS1_11target_archE942ELNS1_3gpuE9ELNS1_3repE0EEENS1_30default_config_static_selectorELNS0_4arch9wavefront6targetE1EEEvT1_
		.amdhsa_group_segment_fixed_size 25600
		.amdhsa_private_segment_fixed_size 0
		.amdhsa_kernarg_size 112
		.amdhsa_user_sgpr_count 2
		.amdhsa_user_sgpr_dispatch_ptr 0
		.amdhsa_user_sgpr_queue_ptr 0
		.amdhsa_user_sgpr_kernarg_segment_ptr 1
		.amdhsa_user_sgpr_dispatch_id 0
		.amdhsa_user_sgpr_kernarg_preload_length 0
		.amdhsa_user_sgpr_kernarg_preload_offset 0
		.amdhsa_user_sgpr_private_segment_size 0
		.amdhsa_uses_dynamic_stack 0
		.amdhsa_enable_private_segment 0
		.amdhsa_system_sgpr_workgroup_id_x 1
		.amdhsa_system_sgpr_workgroup_id_y 0
		.amdhsa_system_sgpr_workgroup_id_z 0
		.amdhsa_system_sgpr_workgroup_info 0
		.amdhsa_system_vgpr_workitem_id 0
		.amdhsa_next_free_vgpr 92
		.amdhsa_next_free_sgpr 80
		.amdhsa_accum_offset 92
		.amdhsa_reserve_vcc 1
		.amdhsa_float_round_mode_32 0
		.amdhsa_float_round_mode_16_64 0
		.amdhsa_float_denorm_mode_32 3
		.amdhsa_float_denorm_mode_16_64 3
		.amdhsa_dx10_clamp 1
		.amdhsa_ieee_mode 1
		.amdhsa_fp16_overflow 0
		.amdhsa_tg_split 0
		.amdhsa_exception_fp_ieee_invalid_op 0
		.amdhsa_exception_fp_denorm_src 0
		.amdhsa_exception_fp_ieee_div_zero 0
		.amdhsa_exception_fp_ieee_overflow 0
		.amdhsa_exception_fp_ieee_underflow 0
		.amdhsa_exception_fp_ieee_inexact 0
		.amdhsa_exception_int_div_zero 0
	.end_amdhsa_kernel
	.section	.text._ZN7rocprim17ROCPRIM_400000_NS6detail17trampoline_kernelINS0_14default_configENS1_27scan_by_key_config_selectorIifEEZZNS1_16scan_by_key_implILNS1_25lookback_scan_determinismE0ELb1ES3_N6thrust23THRUST_200600_302600_NS6detail15normal_iteratorINS9_10device_ptrIiEEEENSB_INSC_IjEEEENSB_INSC_IfEEEEfNS9_4plusIvEENS9_8equal_toIvEEfEE10hipError_tPvRmT2_T3_T4_T5_mT6_T7_P12ihipStream_tbENKUlT_T0_E_clISt17integral_constantIbLb1EES12_IbLb0EEEEDaSY_SZ_EUlSY_E_NS1_11comp_targetILNS1_3genE5ELNS1_11target_archE942ELNS1_3gpuE9ELNS1_3repE0EEENS1_30default_config_static_selectorELNS0_4arch9wavefront6targetE1EEEvT1_,"axG",@progbits,_ZN7rocprim17ROCPRIM_400000_NS6detail17trampoline_kernelINS0_14default_configENS1_27scan_by_key_config_selectorIifEEZZNS1_16scan_by_key_implILNS1_25lookback_scan_determinismE0ELb1ES3_N6thrust23THRUST_200600_302600_NS6detail15normal_iteratorINS9_10device_ptrIiEEEENSB_INSC_IjEEEENSB_INSC_IfEEEEfNS9_4plusIvEENS9_8equal_toIvEEfEE10hipError_tPvRmT2_T3_T4_T5_mT6_T7_P12ihipStream_tbENKUlT_T0_E_clISt17integral_constantIbLb1EES12_IbLb0EEEEDaSY_SZ_EUlSY_E_NS1_11comp_targetILNS1_3genE5ELNS1_11target_archE942ELNS1_3gpuE9ELNS1_3repE0EEENS1_30default_config_static_selectorELNS0_4arch9wavefront6targetE1EEEvT1_,comdat
.Lfunc_end1700:
	.size	_ZN7rocprim17ROCPRIM_400000_NS6detail17trampoline_kernelINS0_14default_configENS1_27scan_by_key_config_selectorIifEEZZNS1_16scan_by_key_implILNS1_25lookback_scan_determinismE0ELb1ES3_N6thrust23THRUST_200600_302600_NS6detail15normal_iteratorINS9_10device_ptrIiEEEENSB_INSC_IjEEEENSB_INSC_IfEEEEfNS9_4plusIvEENS9_8equal_toIvEEfEE10hipError_tPvRmT2_T3_T4_T5_mT6_T7_P12ihipStream_tbENKUlT_T0_E_clISt17integral_constantIbLb1EES12_IbLb0EEEEDaSY_SZ_EUlSY_E_NS1_11comp_targetILNS1_3genE5ELNS1_11target_archE942ELNS1_3gpuE9ELNS1_3repE0EEENS1_30default_config_static_selectorELNS0_4arch9wavefront6targetE1EEEvT1_, .Lfunc_end1700-_ZN7rocprim17ROCPRIM_400000_NS6detail17trampoline_kernelINS0_14default_configENS1_27scan_by_key_config_selectorIifEEZZNS1_16scan_by_key_implILNS1_25lookback_scan_determinismE0ELb1ES3_N6thrust23THRUST_200600_302600_NS6detail15normal_iteratorINS9_10device_ptrIiEEEENSB_INSC_IjEEEENSB_INSC_IfEEEEfNS9_4plusIvEENS9_8equal_toIvEEfEE10hipError_tPvRmT2_T3_T4_T5_mT6_T7_P12ihipStream_tbENKUlT_T0_E_clISt17integral_constantIbLb1EES12_IbLb0EEEEDaSY_SZ_EUlSY_E_NS1_11comp_targetILNS1_3genE5ELNS1_11target_archE942ELNS1_3gpuE9ELNS1_3repE0EEENS1_30default_config_static_selectorELNS0_4arch9wavefront6targetE1EEEvT1_
                                        ; -- End function
	.section	.AMDGPU.csdata,"",@progbits
; Kernel info:
; codeLenInByte = 16732
; NumSgprs: 86
; NumVgprs: 92
; NumAgprs: 0
; TotalNumVgprs: 92
; ScratchSize: 0
; MemoryBound: 0
; FloatMode: 240
; IeeeMode: 1
; LDSByteSize: 25600 bytes/workgroup (compile time only)
; SGPRBlocks: 10
; VGPRBlocks: 11
; NumSGPRsForWavesPerEU: 86
; NumVGPRsForWavesPerEU: 92
; AccumOffset: 92
; Occupancy: 2
; WaveLimiterHint : 1
; COMPUTE_PGM_RSRC2:SCRATCH_EN: 0
; COMPUTE_PGM_RSRC2:USER_SGPR: 2
; COMPUTE_PGM_RSRC2:TRAP_HANDLER: 0
; COMPUTE_PGM_RSRC2:TGID_X_EN: 1
; COMPUTE_PGM_RSRC2:TGID_Y_EN: 0
; COMPUTE_PGM_RSRC2:TGID_Z_EN: 0
; COMPUTE_PGM_RSRC2:TIDIG_COMP_CNT: 0
; COMPUTE_PGM_RSRC3_GFX90A:ACCUM_OFFSET: 22
; COMPUTE_PGM_RSRC3_GFX90A:TG_SPLIT: 0
	.section	.text._ZN7rocprim17ROCPRIM_400000_NS6detail17trampoline_kernelINS0_14default_configENS1_27scan_by_key_config_selectorIifEEZZNS1_16scan_by_key_implILNS1_25lookback_scan_determinismE0ELb1ES3_N6thrust23THRUST_200600_302600_NS6detail15normal_iteratorINS9_10device_ptrIiEEEENSB_INSC_IjEEEENSB_INSC_IfEEEEfNS9_4plusIvEENS9_8equal_toIvEEfEE10hipError_tPvRmT2_T3_T4_T5_mT6_T7_P12ihipStream_tbENKUlT_T0_E_clISt17integral_constantIbLb1EES12_IbLb0EEEEDaSY_SZ_EUlSY_E_NS1_11comp_targetILNS1_3genE4ELNS1_11target_archE910ELNS1_3gpuE8ELNS1_3repE0EEENS1_30default_config_static_selectorELNS0_4arch9wavefront6targetE1EEEvT1_,"axG",@progbits,_ZN7rocprim17ROCPRIM_400000_NS6detail17trampoline_kernelINS0_14default_configENS1_27scan_by_key_config_selectorIifEEZZNS1_16scan_by_key_implILNS1_25lookback_scan_determinismE0ELb1ES3_N6thrust23THRUST_200600_302600_NS6detail15normal_iteratorINS9_10device_ptrIiEEEENSB_INSC_IjEEEENSB_INSC_IfEEEEfNS9_4plusIvEENS9_8equal_toIvEEfEE10hipError_tPvRmT2_T3_T4_T5_mT6_T7_P12ihipStream_tbENKUlT_T0_E_clISt17integral_constantIbLb1EES12_IbLb0EEEEDaSY_SZ_EUlSY_E_NS1_11comp_targetILNS1_3genE4ELNS1_11target_archE910ELNS1_3gpuE8ELNS1_3repE0EEENS1_30default_config_static_selectorELNS0_4arch9wavefront6targetE1EEEvT1_,comdat
	.protected	_ZN7rocprim17ROCPRIM_400000_NS6detail17trampoline_kernelINS0_14default_configENS1_27scan_by_key_config_selectorIifEEZZNS1_16scan_by_key_implILNS1_25lookback_scan_determinismE0ELb1ES3_N6thrust23THRUST_200600_302600_NS6detail15normal_iteratorINS9_10device_ptrIiEEEENSB_INSC_IjEEEENSB_INSC_IfEEEEfNS9_4plusIvEENS9_8equal_toIvEEfEE10hipError_tPvRmT2_T3_T4_T5_mT6_T7_P12ihipStream_tbENKUlT_T0_E_clISt17integral_constantIbLb1EES12_IbLb0EEEEDaSY_SZ_EUlSY_E_NS1_11comp_targetILNS1_3genE4ELNS1_11target_archE910ELNS1_3gpuE8ELNS1_3repE0EEENS1_30default_config_static_selectorELNS0_4arch9wavefront6targetE1EEEvT1_ ; -- Begin function _ZN7rocprim17ROCPRIM_400000_NS6detail17trampoline_kernelINS0_14default_configENS1_27scan_by_key_config_selectorIifEEZZNS1_16scan_by_key_implILNS1_25lookback_scan_determinismE0ELb1ES3_N6thrust23THRUST_200600_302600_NS6detail15normal_iteratorINS9_10device_ptrIiEEEENSB_INSC_IjEEEENSB_INSC_IfEEEEfNS9_4plusIvEENS9_8equal_toIvEEfEE10hipError_tPvRmT2_T3_T4_T5_mT6_T7_P12ihipStream_tbENKUlT_T0_E_clISt17integral_constantIbLb1EES12_IbLb0EEEEDaSY_SZ_EUlSY_E_NS1_11comp_targetILNS1_3genE4ELNS1_11target_archE910ELNS1_3gpuE8ELNS1_3repE0EEENS1_30default_config_static_selectorELNS0_4arch9wavefront6targetE1EEEvT1_
	.globl	_ZN7rocprim17ROCPRIM_400000_NS6detail17trampoline_kernelINS0_14default_configENS1_27scan_by_key_config_selectorIifEEZZNS1_16scan_by_key_implILNS1_25lookback_scan_determinismE0ELb1ES3_N6thrust23THRUST_200600_302600_NS6detail15normal_iteratorINS9_10device_ptrIiEEEENSB_INSC_IjEEEENSB_INSC_IfEEEEfNS9_4plusIvEENS9_8equal_toIvEEfEE10hipError_tPvRmT2_T3_T4_T5_mT6_T7_P12ihipStream_tbENKUlT_T0_E_clISt17integral_constantIbLb1EES12_IbLb0EEEEDaSY_SZ_EUlSY_E_NS1_11comp_targetILNS1_3genE4ELNS1_11target_archE910ELNS1_3gpuE8ELNS1_3repE0EEENS1_30default_config_static_selectorELNS0_4arch9wavefront6targetE1EEEvT1_
	.p2align	8
	.type	_ZN7rocprim17ROCPRIM_400000_NS6detail17trampoline_kernelINS0_14default_configENS1_27scan_by_key_config_selectorIifEEZZNS1_16scan_by_key_implILNS1_25lookback_scan_determinismE0ELb1ES3_N6thrust23THRUST_200600_302600_NS6detail15normal_iteratorINS9_10device_ptrIiEEEENSB_INSC_IjEEEENSB_INSC_IfEEEEfNS9_4plusIvEENS9_8equal_toIvEEfEE10hipError_tPvRmT2_T3_T4_T5_mT6_T7_P12ihipStream_tbENKUlT_T0_E_clISt17integral_constantIbLb1EES12_IbLb0EEEEDaSY_SZ_EUlSY_E_NS1_11comp_targetILNS1_3genE4ELNS1_11target_archE910ELNS1_3gpuE8ELNS1_3repE0EEENS1_30default_config_static_selectorELNS0_4arch9wavefront6targetE1EEEvT1_,@function
_ZN7rocprim17ROCPRIM_400000_NS6detail17trampoline_kernelINS0_14default_configENS1_27scan_by_key_config_selectorIifEEZZNS1_16scan_by_key_implILNS1_25lookback_scan_determinismE0ELb1ES3_N6thrust23THRUST_200600_302600_NS6detail15normal_iteratorINS9_10device_ptrIiEEEENSB_INSC_IjEEEENSB_INSC_IfEEEEfNS9_4plusIvEENS9_8equal_toIvEEfEE10hipError_tPvRmT2_T3_T4_T5_mT6_T7_P12ihipStream_tbENKUlT_T0_E_clISt17integral_constantIbLb1EES12_IbLb0EEEEDaSY_SZ_EUlSY_E_NS1_11comp_targetILNS1_3genE4ELNS1_11target_archE910ELNS1_3gpuE8ELNS1_3repE0EEENS1_30default_config_static_selectorELNS0_4arch9wavefront6targetE1EEEvT1_: ; @_ZN7rocprim17ROCPRIM_400000_NS6detail17trampoline_kernelINS0_14default_configENS1_27scan_by_key_config_selectorIifEEZZNS1_16scan_by_key_implILNS1_25lookback_scan_determinismE0ELb1ES3_N6thrust23THRUST_200600_302600_NS6detail15normal_iteratorINS9_10device_ptrIiEEEENSB_INSC_IjEEEENSB_INSC_IfEEEEfNS9_4plusIvEENS9_8equal_toIvEEfEE10hipError_tPvRmT2_T3_T4_T5_mT6_T7_P12ihipStream_tbENKUlT_T0_E_clISt17integral_constantIbLb1EES12_IbLb0EEEEDaSY_SZ_EUlSY_E_NS1_11comp_targetILNS1_3genE4ELNS1_11target_archE910ELNS1_3gpuE8ELNS1_3repE0EEENS1_30default_config_static_selectorELNS0_4arch9wavefront6targetE1EEEvT1_
; %bb.0:
	.section	.rodata,"a",@progbits
	.p2align	6, 0x0
	.amdhsa_kernel _ZN7rocprim17ROCPRIM_400000_NS6detail17trampoline_kernelINS0_14default_configENS1_27scan_by_key_config_selectorIifEEZZNS1_16scan_by_key_implILNS1_25lookback_scan_determinismE0ELb1ES3_N6thrust23THRUST_200600_302600_NS6detail15normal_iteratorINS9_10device_ptrIiEEEENSB_INSC_IjEEEENSB_INSC_IfEEEEfNS9_4plusIvEENS9_8equal_toIvEEfEE10hipError_tPvRmT2_T3_T4_T5_mT6_T7_P12ihipStream_tbENKUlT_T0_E_clISt17integral_constantIbLb1EES12_IbLb0EEEEDaSY_SZ_EUlSY_E_NS1_11comp_targetILNS1_3genE4ELNS1_11target_archE910ELNS1_3gpuE8ELNS1_3repE0EEENS1_30default_config_static_selectorELNS0_4arch9wavefront6targetE1EEEvT1_
		.amdhsa_group_segment_fixed_size 0
		.amdhsa_private_segment_fixed_size 0
		.amdhsa_kernarg_size 112
		.amdhsa_user_sgpr_count 2
		.amdhsa_user_sgpr_dispatch_ptr 0
		.amdhsa_user_sgpr_queue_ptr 0
		.amdhsa_user_sgpr_kernarg_segment_ptr 1
		.amdhsa_user_sgpr_dispatch_id 0
		.amdhsa_user_sgpr_kernarg_preload_length 0
		.amdhsa_user_sgpr_kernarg_preload_offset 0
		.amdhsa_user_sgpr_private_segment_size 0
		.amdhsa_uses_dynamic_stack 0
		.amdhsa_enable_private_segment 0
		.amdhsa_system_sgpr_workgroup_id_x 1
		.amdhsa_system_sgpr_workgroup_id_y 0
		.amdhsa_system_sgpr_workgroup_id_z 0
		.amdhsa_system_sgpr_workgroup_info 0
		.amdhsa_system_vgpr_workitem_id 0
		.amdhsa_next_free_vgpr 1
		.amdhsa_next_free_sgpr 0
		.amdhsa_accum_offset 4
		.amdhsa_reserve_vcc 0
		.amdhsa_float_round_mode_32 0
		.amdhsa_float_round_mode_16_64 0
		.amdhsa_float_denorm_mode_32 3
		.amdhsa_float_denorm_mode_16_64 3
		.amdhsa_dx10_clamp 1
		.amdhsa_ieee_mode 1
		.amdhsa_fp16_overflow 0
		.amdhsa_tg_split 0
		.amdhsa_exception_fp_ieee_invalid_op 0
		.amdhsa_exception_fp_denorm_src 0
		.amdhsa_exception_fp_ieee_div_zero 0
		.amdhsa_exception_fp_ieee_overflow 0
		.amdhsa_exception_fp_ieee_underflow 0
		.amdhsa_exception_fp_ieee_inexact 0
		.amdhsa_exception_int_div_zero 0
	.end_amdhsa_kernel
	.section	.text._ZN7rocprim17ROCPRIM_400000_NS6detail17trampoline_kernelINS0_14default_configENS1_27scan_by_key_config_selectorIifEEZZNS1_16scan_by_key_implILNS1_25lookback_scan_determinismE0ELb1ES3_N6thrust23THRUST_200600_302600_NS6detail15normal_iteratorINS9_10device_ptrIiEEEENSB_INSC_IjEEEENSB_INSC_IfEEEEfNS9_4plusIvEENS9_8equal_toIvEEfEE10hipError_tPvRmT2_T3_T4_T5_mT6_T7_P12ihipStream_tbENKUlT_T0_E_clISt17integral_constantIbLb1EES12_IbLb0EEEEDaSY_SZ_EUlSY_E_NS1_11comp_targetILNS1_3genE4ELNS1_11target_archE910ELNS1_3gpuE8ELNS1_3repE0EEENS1_30default_config_static_selectorELNS0_4arch9wavefront6targetE1EEEvT1_,"axG",@progbits,_ZN7rocprim17ROCPRIM_400000_NS6detail17trampoline_kernelINS0_14default_configENS1_27scan_by_key_config_selectorIifEEZZNS1_16scan_by_key_implILNS1_25lookback_scan_determinismE0ELb1ES3_N6thrust23THRUST_200600_302600_NS6detail15normal_iteratorINS9_10device_ptrIiEEEENSB_INSC_IjEEEENSB_INSC_IfEEEEfNS9_4plusIvEENS9_8equal_toIvEEfEE10hipError_tPvRmT2_T3_T4_T5_mT6_T7_P12ihipStream_tbENKUlT_T0_E_clISt17integral_constantIbLb1EES12_IbLb0EEEEDaSY_SZ_EUlSY_E_NS1_11comp_targetILNS1_3genE4ELNS1_11target_archE910ELNS1_3gpuE8ELNS1_3repE0EEENS1_30default_config_static_selectorELNS0_4arch9wavefront6targetE1EEEvT1_,comdat
.Lfunc_end1701:
	.size	_ZN7rocprim17ROCPRIM_400000_NS6detail17trampoline_kernelINS0_14default_configENS1_27scan_by_key_config_selectorIifEEZZNS1_16scan_by_key_implILNS1_25lookback_scan_determinismE0ELb1ES3_N6thrust23THRUST_200600_302600_NS6detail15normal_iteratorINS9_10device_ptrIiEEEENSB_INSC_IjEEEENSB_INSC_IfEEEEfNS9_4plusIvEENS9_8equal_toIvEEfEE10hipError_tPvRmT2_T3_T4_T5_mT6_T7_P12ihipStream_tbENKUlT_T0_E_clISt17integral_constantIbLb1EES12_IbLb0EEEEDaSY_SZ_EUlSY_E_NS1_11comp_targetILNS1_3genE4ELNS1_11target_archE910ELNS1_3gpuE8ELNS1_3repE0EEENS1_30default_config_static_selectorELNS0_4arch9wavefront6targetE1EEEvT1_, .Lfunc_end1701-_ZN7rocprim17ROCPRIM_400000_NS6detail17trampoline_kernelINS0_14default_configENS1_27scan_by_key_config_selectorIifEEZZNS1_16scan_by_key_implILNS1_25lookback_scan_determinismE0ELb1ES3_N6thrust23THRUST_200600_302600_NS6detail15normal_iteratorINS9_10device_ptrIiEEEENSB_INSC_IjEEEENSB_INSC_IfEEEEfNS9_4plusIvEENS9_8equal_toIvEEfEE10hipError_tPvRmT2_T3_T4_T5_mT6_T7_P12ihipStream_tbENKUlT_T0_E_clISt17integral_constantIbLb1EES12_IbLb0EEEEDaSY_SZ_EUlSY_E_NS1_11comp_targetILNS1_3genE4ELNS1_11target_archE910ELNS1_3gpuE8ELNS1_3repE0EEENS1_30default_config_static_selectorELNS0_4arch9wavefront6targetE1EEEvT1_
                                        ; -- End function
	.section	.AMDGPU.csdata,"",@progbits
; Kernel info:
; codeLenInByte = 0
; NumSgprs: 6
; NumVgprs: 0
; NumAgprs: 0
; TotalNumVgprs: 0
; ScratchSize: 0
; MemoryBound: 0
; FloatMode: 240
; IeeeMode: 1
; LDSByteSize: 0 bytes/workgroup (compile time only)
; SGPRBlocks: 0
; VGPRBlocks: 0
; NumSGPRsForWavesPerEU: 6
; NumVGPRsForWavesPerEU: 1
; AccumOffset: 4
; Occupancy: 8
; WaveLimiterHint : 0
; COMPUTE_PGM_RSRC2:SCRATCH_EN: 0
; COMPUTE_PGM_RSRC2:USER_SGPR: 2
; COMPUTE_PGM_RSRC2:TRAP_HANDLER: 0
; COMPUTE_PGM_RSRC2:TGID_X_EN: 1
; COMPUTE_PGM_RSRC2:TGID_Y_EN: 0
; COMPUTE_PGM_RSRC2:TGID_Z_EN: 0
; COMPUTE_PGM_RSRC2:TIDIG_COMP_CNT: 0
; COMPUTE_PGM_RSRC3_GFX90A:ACCUM_OFFSET: 0
; COMPUTE_PGM_RSRC3_GFX90A:TG_SPLIT: 0
	.section	.text._ZN7rocprim17ROCPRIM_400000_NS6detail17trampoline_kernelINS0_14default_configENS1_27scan_by_key_config_selectorIifEEZZNS1_16scan_by_key_implILNS1_25lookback_scan_determinismE0ELb1ES3_N6thrust23THRUST_200600_302600_NS6detail15normal_iteratorINS9_10device_ptrIiEEEENSB_INSC_IjEEEENSB_INSC_IfEEEEfNS9_4plusIvEENS9_8equal_toIvEEfEE10hipError_tPvRmT2_T3_T4_T5_mT6_T7_P12ihipStream_tbENKUlT_T0_E_clISt17integral_constantIbLb1EES12_IbLb0EEEEDaSY_SZ_EUlSY_E_NS1_11comp_targetILNS1_3genE3ELNS1_11target_archE908ELNS1_3gpuE7ELNS1_3repE0EEENS1_30default_config_static_selectorELNS0_4arch9wavefront6targetE1EEEvT1_,"axG",@progbits,_ZN7rocprim17ROCPRIM_400000_NS6detail17trampoline_kernelINS0_14default_configENS1_27scan_by_key_config_selectorIifEEZZNS1_16scan_by_key_implILNS1_25lookback_scan_determinismE0ELb1ES3_N6thrust23THRUST_200600_302600_NS6detail15normal_iteratorINS9_10device_ptrIiEEEENSB_INSC_IjEEEENSB_INSC_IfEEEEfNS9_4plusIvEENS9_8equal_toIvEEfEE10hipError_tPvRmT2_T3_T4_T5_mT6_T7_P12ihipStream_tbENKUlT_T0_E_clISt17integral_constantIbLb1EES12_IbLb0EEEEDaSY_SZ_EUlSY_E_NS1_11comp_targetILNS1_3genE3ELNS1_11target_archE908ELNS1_3gpuE7ELNS1_3repE0EEENS1_30default_config_static_selectorELNS0_4arch9wavefront6targetE1EEEvT1_,comdat
	.protected	_ZN7rocprim17ROCPRIM_400000_NS6detail17trampoline_kernelINS0_14default_configENS1_27scan_by_key_config_selectorIifEEZZNS1_16scan_by_key_implILNS1_25lookback_scan_determinismE0ELb1ES3_N6thrust23THRUST_200600_302600_NS6detail15normal_iteratorINS9_10device_ptrIiEEEENSB_INSC_IjEEEENSB_INSC_IfEEEEfNS9_4plusIvEENS9_8equal_toIvEEfEE10hipError_tPvRmT2_T3_T4_T5_mT6_T7_P12ihipStream_tbENKUlT_T0_E_clISt17integral_constantIbLb1EES12_IbLb0EEEEDaSY_SZ_EUlSY_E_NS1_11comp_targetILNS1_3genE3ELNS1_11target_archE908ELNS1_3gpuE7ELNS1_3repE0EEENS1_30default_config_static_selectorELNS0_4arch9wavefront6targetE1EEEvT1_ ; -- Begin function _ZN7rocprim17ROCPRIM_400000_NS6detail17trampoline_kernelINS0_14default_configENS1_27scan_by_key_config_selectorIifEEZZNS1_16scan_by_key_implILNS1_25lookback_scan_determinismE0ELb1ES3_N6thrust23THRUST_200600_302600_NS6detail15normal_iteratorINS9_10device_ptrIiEEEENSB_INSC_IjEEEENSB_INSC_IfEEEEfNS9_4plusIvEENS9_8equal_toIvEEfEE10hipError_tPvRmT2_T3_T4_T5_mT6_T7_P12ihipStream_tbENKUlT_T0_E_clISt17integral_constantIbLb1EES12_IbLb0EEEEDaSY_SZ_EUlSY_E_NS1_11comp_targetILNS1_3genE3ELNS1_11target_archE908ELNS1_3gpuE7ELNS1_3repE0EEENS1_30default_config_static_selectorELNS0_4arch9wavefront6targetE1EEEvT1_
	.globl	_ZN7rocprim17ROCPRIM_400000_NS6detail17trampoline_kernelINS0_14default_configENS1_27scan_by_key_config_selectorIifEEZZNS1_16scan_by_key_implILNS1_25lookback_scan_determinismE0ELb1ES3_N6thrust23THRUST_200600_302600_NS6detail15normal_iteratorINS9_10device_ptrIiEEEENSB_INSC_IjEEEENSB_INSC_IfEEEEfNS9_4plusIvEENS9_8equal_toIvEEfEE10hipError_tPvRmT2_T3_T4_T5_mT6_T7_P12ihipStream_tbENKUlT_T0_E_clISt17integral_constantIbLb1EES12_IbLb0EEEEDaSY_SZ_EUlSY_E_NS1_11comp_targetILNS1_3genE3ELNS1_11target_archE908ELNS1_3gpuE7ELNS1_3repE0EEENS1_30default_config_static_selectorELNS0_4arch9wavefront6targetE1EEEvT1_
	.p2align	8
	.type	_ZN7rocprim17ROCPRIM_400000_NS6detail17trampoline_kernelINS0_14default_configENS1_27scan_by_key_config_selectorIifEEZZNS1_16scan_by_key_implILNS1_25lookback_scan_determinismE0ELb1ES3_N6thrust23THRUST_200600_302600_NS6detail15normal_iteratorINS9_10device_ptrIiEEEENSB_INSC_IjEEEENSB_INSC_IfEEEEfNS9_4plusIvEENS9_8equal_toIvEEfEE10hipError_tPvRmT2_T3_T4_T5_mT6_T7_P12ihipStream_tbENKUlT_T0_E_clISt17integral_constantIbLb1EES12_IbLb0EEEEDaSY_SZ_EUlSY_E_NS1_11comp_targetILNS1_3genE3ELNS1_11target_archE908ELNS1_3gpuE7ELNS1_3repE0EEENS1_30default_config_static_selectorELNS0_4arch9wavefront6targetE1EEEvT1_,@function
_ZN7rocprim17ROCPRIM_400000_NS6detail17trampoline_kernelINS0_14default_configENS1_27scan_by_key_config_selectorIifEEZZNS1_16scan_by_key_implILNS1_25lookback_scan_determinismE0ELb1ES3_N6thrust23THRUST_200600_302600_NS6detail15normal_iteratorINS9_10device_ptrIiEEEENSB_INSC_IjEEEENSB_INSC_IfEEEEfNS9_4plusIvEENS9_8equal_toIvEEfEE10hipError_tPvRmT2_T3_T4_T5_mT6_T7_P12ihipStream_tbENKUlT_T0_E_clISt17integral_constantIbLb1EES12_IbLb0EEEEDaSY_SZ_EUlSY_E_NS1_11comp_targetILNS1_3genE3ELNS1_11target_archE908ELNS1_3gpuE7ELNS1_3repE0EEENS1_30default_config_static_selectorELNS0_4arch9wavefront6targetE1EEEvT1_: ; @_ZN7rocprim17ROCPRIM_400000_NS6detail17trampoline_kernelINS0_14default_configENS1_27scan_by_key_config_selectorIifEEZZNS1_16scan_by_key_implILNS1_25lookback_scan_determinismE0ELb1ES3_N6thrust23THRUST_200600_302600_NS6detail15normal_iteratorINS9_10device_ptrIiEEEENSB_INSC_IjEEEENSB_INSC_IfEEEEfNS9_4plusIvEENS9_8equal_toIvEEfEE10hipError_tPvRmT2_T3_T4_T5_mT6_T7_P12ihipStream_tbENKUlT_T0_E_clISt17integral_constantIbLb1EES12_IbLb0EEEEDaSY_SZ_EUlSY_E_NS1_11comp_targetILNS1_3genE3ELNS1_11target_archE908ELNS1_3gpuE7ELNS1_3repE0EEENS1_30default_config_static_selectorELNS0_4arch9wavefront6targetE1EEEvT1_
; %bb.0:
	.section	.rodata,"a",@progbits
	.p2align	6, 0x0
	.amdhsa_kernel _ZN7rocprim17ROCPRIM_400000_NS6detail17trampoline_kernelINS0_14default_configENS1_27scan_by_key_config_selectorIifEEZZNS1_16scan_by_key_implILNS1_25lookback_scan_determinismE0ELb1ES3_N6thrust23THRUST_200600_302600_NS6detail15normal_iteratorINS9_10device_ptrIiEEEENSB_INSC_IjEEEENSB_INSC_IfEEEEfNS9_4plusIvEENS9_8equal_toIvEEfEE10hipError_tPvRmT2_T3_T4_T5_mT6_T7_P12ihipStream_tbENKUlT_T0_E_clISt17integral_constantIbLb1EES12_IbLb0EEEEDaSY_SZ_EUlSY_E_NS1_11comp_targetILNS1_3genE3ELNS1_11target_archE908ELNS1_3gpuE7ELNS1_3repE0EEENS1_30default_config_static_selectorELNS0_4arch9wavefront6targetE1EEEvT1_
		.amdhsa_group_segment_fixed_size 0
		.amdhsa_private_segment_fixed_size 0
		.amdhsa_kernarg_size 112
		.amdhsa_user_sgpr_count 2
		.amdhsa_user_sgpr_dispatch_ptr 0
		.amdhsa_user_sgpr_queue_ptr 0
		.amdhsa_user_sgpr_kernarg_segment_ptr 1
		.amdhsa_user_sgpr_dispatch_id 0
		.amdhsa_user_sgpr_kernarg_preload_length 0
		.amdhsa_user_sgpr_kernarg_preload_offset 0
		.amdhsa_user_sgpr_private_segment_size 0
		.amdhsa_uses_dynamic_stack 0
		.amdhsa_enable_private_segment 0
		.amdhsa_system_sgpr_workgroup_id_x 1
		.amdhsa_system_sgpr_workgroup_id_y 0
		.amdhsa_system_sgpr_workgroup_id_z 0
		.amdhsa_system_sgpr_workgroup_info 0
		.amdhsa_system_vgpr_workitem_id 0
		.amdhsa_next_free_vgpr 1
		.amdhsa_next_free_sgpr 0
		.amdhsa_accum_offset 4
		.amdhsa_reserve_vcc 0
		.amdhsa_float_round_mode_32 0
		.amdhsa_float_round_mode_16_64 0
		.amdhsa_float_denorm_mode_32 3
		.amdhsa_float_denorm_mode_16_64 3
		.amdhsa_dx10_clamp 1
		.amdhsa_ieee_mode 1
		.amdhsa_fp16_overflow 0
		.amdhsa_tg_split 0
		.amdhsa_exception_fp_ieee_invalid_op 0
		.amdhsa_exception_fp_denorm_src 0
		.amdhsa_exception_fp_ieee_div_zero 0
		.amdhsa_exception_fp_ieee_overflow 0
		.amdhsa_exception_fp_ieee_underflow 0
		.amdhsa_exception_fp_ieee_inexact 0
		.amdhsa_exception_int_div_zero 0
	.end_amdhsa_kernel
	.section	.text._ZN7rocprim17ROCPRIM_400000_NS6detail17trampoline_kernelINS0_14default_configENS1_27scan_by_key_config_selectorIifEEZZNS1_16scan_by_key_implILNS1_25lookback_scan_determinismE0ELb1ES3_N6thrust23THRUST_200600_302600_NS6detail15normal_iteratorINS9_10device_ptrIiEEEENSB_INSC_IjEEEENSB_INSC_IfEEEEfNS9_4plusIvEENS9_8equal_toIvEEfEE10hipError_tPvRmT2_T3_T4_T5_mT6_T7_P12ihipStream_tbENKUlT_T0_E_clISt17integral_constantIbLb1EES12_IbLb0EEEEDaSY_SZ_EUlSY_E_NS1_11comp_targetILNS1_3genE3ELNS1_11target_archE908ELNS1_3gpuE7ELNS1_3repE0EEENS1_30default_config_static_selectorELNS0_4arch9wavefront6targetE1EEEvT1_,"axG",@progbits,_ZN7rocprim17ROCPRIM_400000_NS6detail17trampoline_kernelINS0_14default_configENS1_27scan_by_key_config_selectorIifEEZZNS1_16scan_by_key_implILNS1_25lookback_scan_determinismE0ELb1ES3_N6thrust23THRUST_200600_302600_NS6detail15normal_iteratorINS9_10device_ptrIiEEEENSB_INSC_IjEEEENSB_INSC_IfEEEEfNS9_4plusIvEENS9_8equal_toIvEEfEE10hipError_tPvRmT2_T3_T4_T5_mT6_T7_P12ihipStream_tbENKUlT_T0_E_clISt17integral_constantIbLb1EES12_IbLb0EEEEDaSY_SZ_EUlSY_E_NS1_11comp_targetILNS1_3genE3ELNS1_11target_archE908ELNS1_3gpuE7ELNS1_3repE0EEENS1_30default_config_static_selectorELNS0_4arch9wavefront6targetE1EEEvT1_,comdat
.Lfunc_end1702:
	.size	_ZN7rocprim17ROCPRIM_400000_NS6detail17trampoline_kernelINS0_14default_configENS1_27scan_by_key_config_selectorIifEEZZNS1_16scan_by_key_implILNS1_25lookback_scan_determinismE0ELb1ES3_N6thrust23THRUST_200600_302600_NS6detail15normal_iteratorINS9_10device_ptrIiEEEENSB_INSC_IjEEEENSB_INSC_IfEEEEfNS9_4plusIvEENS9_8equal_toIvEEfEE10hipError_tPvRmT2_T3_T4_T5_mT6_T7_P12ihipStream_tbENKUlT_T0_E_clISt17integral_constantIbLb1EES12_IbLb0EEEEDaSY_SZ_EUlSY_E_NS1_11comp_targetILNS1_3genE3ELNS1_11target_archE908ELNS1_3gpuE7ELNS1_3repE0EEENS1_30default_config_static_selectorELNS0_4arch9wavefront6targetE1EEEvT1_, .Lfunc_end1702-_ZN7rocprim17ROCPRIM_400000_NS6detail17trampoline_kernelINS0_14default_configENS1_27scan_by_key_config_selectorIifEEZZNS1_16scan_by_key_implILNS1_25lookback_scan_determinismE0ELb1ES3_N6thrust23THRUST_200600_302600_NS6detail15normal_iteratorINS9_10device_ptrIiEEEENSB_INSC_IjEEEENSB_INSC_IfEEEEfNS9_4plusIvEENS9_8equal_toIvEEfEE10hipError_tPvRmT2_T3_T4_T5_mT6_T7_P12ihipStream_tbENKUlT_T0_E_clISt17integral_constantIbLb1EES12_IbLb0EEEEDaSY_SZ_EUlSY_E_NS1_11comp_targetILNS1_3genE3ELNS1_11target_archE908ELNS1_3gpuE7ELNS1_3repE0EEENS1_30default_config_static_selectorELNS0_4arch9wavefront6targetE1EEEvT1_
                                        ; -- End function
	.section	.AMDGPU.csdata,"",@progbits
; Kernel info:
; codeLenInByte = 0
; NumSgprs: 6
; NumVgprs: 0
; NumAgprs: 0
; TotalNumVgprs: 0
; ScratchSize: 0
; MemoryBound: 0
; FloatMode: 240
; IeeeMode: 1
; LDSByteSize: 0 bytes/workgroup (compile time only)
; SGPRBlocks: 0
; VGPRBlocks: 0
; NumSGPRsForWavesPerEU: 6
; NumVGPRsForWavesPerEU: 1
; AccumOffset: 4
; Occupancy: 8
; WaveLimiterHint : 0
; COMPUTE_PGM_RSRC2:SCRATCH_EN: 0
; COMPUTE_PGM_RSRC2:USER_SGPR: 2
; COMPUTE_PGM_RSRC2:TRAP_HANDLER: 0
; COMPUTE_PGM_RSRC2:TGID_X_EN: 1
; COMPUTE_PGM_RSRC2:TGID_Y_EN: 0
; COMPUTE_PGM_RSRC2:TGID_Z_EN: 0
; COMPUTE_PGM_RSRC2:TIDIG_COMP_CNT: 0
; COMPUTE_PGM_RSRC3_GFX90A:ACCUM_OFFSET: 0
; COMPUTE_PGM_RSRC3_GFX90A:TG_SPLIT: 0
	.section	.text._ZN7rocprim17ROCPRIM_400000_NS6detail17trampoline_kernelINS0_14default_configENS1_27scan_by_key_config_selectorIifEEZZNS1_16scan_by_key_implILNS1_25lookback_scan_determinismE0ELb1ES3_N6thrust23THRUST_200600_302600_NS6detail15normal_iteratorINS9_10device_ptrIiEEEENSB_INSC_IjEEEENSB_INSC_IfEEEEfNS9_4plusIvEENS9_8equal_toIvEEfEE10hipError_tPvRmT2_T3_T4_T5_mT6_T7_P12ihipStream_tbENKUlT_T0_E_clISt17integral_constantIbLb1EES12_IbLb0EEEEDaSY_SZ_EUlSY_E_NS1_11comp_targetILNS1_3genE2ELNS1_11target_archE906ELNS1_3gpuE6ELNS1_3repE0EEENS1_30default_config_static_selectorELNS0_4arch9wavefront6targetE1EEEvT1_,"axG",@progbits,_ZN7rocprim17ROCPRIM_400000_NS6detail17trampoline_kernelINS0_14default_configENS1_27scan_by_key_config_selectorIifEEZZNS1_16scan_by_key_implILNS1_25lookback_scan_determinismE0ELb1ES3_N6thrust23THRUST_200600_302600_NS6detail15normal_iteratorINS9_10device_ptrIiEEEENSB_INSC_IjEEEENSB_INSC_IfEEEEfNS9_4plusIvEENS9_8equal_toIvEEfEE10hipError_tPvRmT2_T3_T4_T5_mT6_T7_P12ihipStream_tbENKUlT_T0_E_clISt17integral_constantIbLb1EES12_IbLb0EEEEDaSY_SZ_EUlSY_E_NS1_11comp_targetILNS1_3genE2ELNS1_11target_archE906ELNS1_3gpuE6ELNS1_3repE0EEENS1_30default_config_static_selectorELNS0_4arch9wavefront6targetE1EEEvT1_,comdat
	.protected	_ZN7rocprim17ROCPRIM_400000_NS6detail17trampoline_kernelINS0_14default_configENS1_27scan_by_key_config_selectorIifEEZZNS1_16scan_by_key_implILNS1_25lookback_scan_determinismE0ELb1ES3_N6thrust23THRUST_200600_302600_NS6detail15normal_iteratorINS9_10device_ptrIiEEEENSB_INSC_IjEEEENSB_INSC_IfEEEEfNS9_4plusIvEENS9_8equal_toIvEEfEE10hipError_tPvRmT2_T3_T4_T5_mT6_T7_P12ihipStream_tbENKUlT_T0_E_clISt17integral_constantIbLb1EES12_IbLb0EEEEDaSY_SZ_EUlSY_E_NS1_11comp_targetILNS1_3genE2ELNS1_11target_archE906ELNS1_3gpuE6ELNS1_3repE0EEENS1_30default_config_static_selectorELNS0_4arch9wavefront6targetE1EEEvT1_ ; -- Begin function _ZN7rocprim17ROCPRIM_400000_NS6detail17trampoline_kernelINS0_14default_configENS1_27scan_by_key_config_selectorIifEEZZNS1_16scan_by_key_implILNS1_25lookback_scan_determinismE0ELb1ES3_N6thrust23THRUST_200600_302600_NS6detail15normal_iteratorINS9_10device_ptrIiEEEENSB_INSC_IjEEEENSB_INSC_IfEEEEfNS9_4plusIvEENS9_8equal_toIvEEfEE10hipError_tPvRmT2_T3_T4_T5_mT6_T7_P12ihipStream_tbENKUlT_T0_E_clISt17integral_constantIbLb1EES12_IbLb0EEEEDaSY_SZ_EUlSY_E_NS1_11comp_targetILNS1_3genE2ELNS1_11target_archE906ELNS1_3gpuE6ELNS1_3repE0EEENS1_30default_config_static_selectorELNS0_4arch9wavefront6targetE1EEEvT1_
	.globl	_ZN7rocprim17ROCPRIM_400000_NS6detail17trampoline_kernelINS0_14default_configENS1_27scan_by_key_config_selectorIifEEZZNS1_16scan_by_key_implILNS1_25lookback_scan_determinismE0ELb1ES3_N6thrust23THRUST_200600_302600_NS6detail15normal_iteratorINS9_10device_ptrIiEEEENSB_INSC_IjEEEENSB_INSC_IfEEEEfNS9_4plusIvEENS9_8equal_toIvEEfEE10hipError_tPvRmT2_T3_T4_T5_mT6_T7_P12ihipStream_tbENKUlT_T0_E_clISt17integral_constantIbLb1EES12_IbLb0EEEEDaSY_SZ_EUlSY_E_NS1_11comp_targetILNS1_3genE2ELNS1_11target_archE906ELNS1_3gpuE6ELNS1_3repE0EEENS1_30default_config_static_selectorELNS0_4arch9wavefront6targetE1EEEvT1_
	.p2align	8
	.type	_ZN7rocprim17ROCPRIM_400000_NS6detail17trampoline_kernelINS0_14default_configENS1_27scan_by_key_config_selectorIifEEZZNS1_16scan_by_key_implILNS1_25lookback_scan_determinismE0ELb1ES3_N6thrust23THRUST_200600_302600_NS6detail15normal_iteratorINS9_10device_ptrIiEEEENSB_INSC_IjEEEENSB_INSC_IfEEEEfNS9_4plusIvEENS9_8equal_toIvEEfEE10hipError_tPvRmT2_T3_T4_T5_mT6_T7_P12ihipStream_tbENKUlT_T0_E_clISt17integral_constantIbLb1EES12_IbLb0EEEEDaSY_SZ_EUlSY_E_NS1_11comp_targetILNS1_3genE2ELNS1_11target_archE906ELNS1_3gpuE6ELNS1_3repE0EEENS1_30default_config_static_selectorELNS0_4arch9wavefront6targetE1EEEvT1_,@function
_ZN7rocprim17ROCPRIM_400000_NS6detail17trampoline_kernelINS0_14default_configENS1_27scan_by_key_config_selectorIifEEZZNS1_16scan_by_key_implILNS1_25lookback_scan_determinismE0ELb1ES3_N6thrust23THRUST_200600_302600_NS6detail15normal_iteratorINS9_10device_ptrIiEEEENSB_INSC_IjEEEENSB_INSC_IfEEEEfNS9_4plusIvEENS9_8equal_toIvEEfEE10hipError_tPvRmT2_T3_T4_T5_mT6_T7_P12ihipStream_tbENKUlT_T0_E_clISt17integral_constantIbLb1EES12_IbLb0EEEEDaSY_SZ_EUlSY_E_NS1_11comp_targetILNS1_3genE2ELNS1_11target_archE906ELNS1_3gpuE6ELNS1_3repE0EEENS1_30default_config_static_selectorELNS0_4arch9wavefront6targetE1EEEvT1_: ; @_ZN7rocprim17ROCPRIM_400000_NS6detail17trampoline_kernelINS0_14default_configENS1_27scan_by_key_config_selectorIifEEZZNS1_16scan_by_key_implILNS1_25lookback_scan_determinismE0ELb1ES3_N6thrust23THRUST_200600_302600_NS6detail15normal_iteratorINS9_10device_ptrIiEEEENSB_INSC_IjEEEENSB_INSC_IfEEEEfNS9_4plusIvEENS9_8equal_toIvEEfEE10hipError_tPvRmT2_T3_T4_T5_mT6_T7_P12ihipStream_tbENKUlT_T0_E_clISt17integral_constantIbLb1EES12_IbLb0EEEEDaSY_SZ_EUlSY_E_NS1_11comp_targetILNS1_3genE2ELNS1_11target_archE906ELNS1_3gpuE6ELNS1_3repE0EEENS1_30default_config_static_selectorELNS0_4arch9wavefront6targetE1EEEvT1_
; %bb.0:
	.section	.rodata,"a",@progbits
	.p2align	6, 0x0
	.amdhsa_kernel _ZN7rocprim17ROCPRIM_400000_NS6detail17trampoline_kernelINS0_14default_configENS1_27scan_by_key_config_selectorIifEEZZNS1_16scan_by_key_implILNS1_25lookback_scan_determinismE0ELb1ES3_N6thrust23THRUST_200600_302600_NS6detail15normal_iteratorINS9_10device_ptrIiEEEENSB_INSC_IjEEEENSB_INSC_IfEEEEfNS9_4plusIvEENS9_8equal_toIvEEfEE10hipError_tPvRmT2_T3_T4_T5_mT6_T7_P12ihipStream_tbENKUlT_T0_E_clISt17integral_constantIbLb1EES12_IbLb0EEEEDaSY_SZ_EUlSY_E_NS1_11comp_targetILNS1_3genE2ELNS1_11target_archE906ELNS1_3gpuE6ELNS1_3repE0EEENS1_30default_config_static_selectorELNS0_4arch9wavefront6targetE1EEEvT1_
		.amdhsa_group_segment_fixed_size 0
		.amdhsa_private_segment_fixed_size 0
		.amdhsa_kernarg_size 112
		.amdhsa_user_sgpr_count 2
		.amdhsa_user_sgpr_dispatch_ptr 0
		.amdhsa_user_sgpr_queue_ptr 0
		.amdhsa_user_sgpr_kernarg_segment_ptr 1
		.amdhsa_user_sgpr_dispatch_id 0
		.amdhsa_user_sgpr_kernarg_preload_length 0
		.amdhsa_user_sgpr_kernarg_preload_offset 0
		.amdhsa_user_sgpr_private_segment_size 0
		.amdhsa_uses_dynamic_stack 0
		.amdhsa_enable_private_segment 0
		.amdhsa_system_sgpr_workgroup_id_x 1
		.amdhsa_system_sgpr_workgroup_id_y 0
		.amdhsa_system_sgpr_workgroup_id_z 0
		.amdhsa_system_sgpr_workgroup_info 0
		.amdhsa_system_vgpr_workitem_id 0
		.amdhsa_next_free_vgpr 1
		.amdhsa_next_free_sgpr 0
		.amdhsa_accum_offset 4
		.amdhsa_reserve_vcc 0
		.amdhsa_float_round_mode_32 0
		.amdhsa_float_round_mode_16_64 0
		.amdhsa_float_denorm_mode_32 3
		.amdhsa_float_denorm_mode_16_64 3
		.amdhsa_dx10_clamp 1
		.amdhsa_ieee_mode 1
		.amdhsa_fp16_overflow 0
		.amdhsa_tg_split 0
		.amdhsa_exception_fp_ieee_invalid_op 0
		.amdhsa_exception_fp_denorm_src 0
		.amdhsa_exception_fp_ieee_div_zero 0
		.amdhsa_exception_fp_ieee_overflow 0
		.amdhsa_exception_fp_ieee_underflow 0
		.amdhsa_exception_fp_ieee_inexact 0
		.amdhsa_exception_int_div_zero 0
	.end_amdhsa_kernel
	.section	.text._ZN7rocprim17ROCPRIM_400000_NS6detail17trampoline_kernelINS0_14default_configENS1_27scan_by_key_config_selectorIifEEZZNS1_16scan_by_key_implILNS1_25lookback_scan_determinismE0ELb1ES3_N6thrust23THRUST_200600_302600_NS6detail15normal_iteratorINS9_10device_ptrIiEEEENSB_INSC_IjEEEENSB_INSC_IfEEEEfNS9_4plusIvEENS9_8equal_toIvEEfEE10hipError_tPvRmT2_T3_T4_T5_mT6_T7_P12ihipStream_tbENKUlT_T0_E_clISt17integral_constantIbLb1EES12_IbLb0EEEEDaSY_SZ_EUlSY_E_NS1_11comp_targetILNS1_3genE2ELNS1_11target_archE906ELNS1_3gpuE6ELNS1_3repE0EEENS1_30default_config_static_selectorELNS0_4arch9wavefront6targetE1EEEvT1_,"axG",@progbits,_ZN7rocprim17ROCPRIM_400000_NS6detail17trampoline_kernelINS0_14default_configENS1_27scan_by_key_config_selectorIifEEZZNS1_16scan_by_key_implILNS1_25lookback_scan_determinismE0ELb1ES3_N6thrust23THRUST_200600_302600_NS6detail15normal_iteratorINS9_10device_ptrIiEEEENSB_INSC_IjEEEENSB_INSC_IfEEEEfNS9_4plusIvEENS9_8equal_toIvEEfEE10hipError_tPvRmT2_T3_T4_T5_mT6_T7_P12ihipStream_tbENKUlT_T0_E_clISt17integral_constantIbLb1EES12_IbLb0EEEEDaSY_SZ_EUlSY_E_NS1_11comp_targetILNS1_3genE2ELNS1_11target_archE906ELNS1_3gpuE6ELNS1_3repE0EEENS1_30default_config_static_selectorELNS0_4arch9wavefront6targetE1EEEvT1_,comdat
.Lfunc_end1703:
	.size	_ZN7rocprim17ROCPRIM_400000_NS6detail17trampoline_kernelINS0_14default_configENS1_27scan_by_key_config_selectorIifEEZZNS1_16scan_by_key_implILNS1_25lookback_scan_determinismE0ELb1ES3_N6thrust23THRUST_200600_302600_NS6detail15normal_iteratorINS9_10device_ptrIiEEEENSB_INSC_IjEEEENSB_INSC_IfEEEEfNS9_4plusIvEENS9_8equal_toIvEEfEE10hipError_tPvRmT2_T3_T4_T5_mT6_T7_P12ihipStream_tbENKUlT_T0_E_clISt17integral_constantIbLb1EES12_IbLb0EEEEDaSY_SZ_EUlSY_E_NS1_11comp_targetILNS1_3genE2ELNS1_11target_archE906ELNS1_3gpuE6ELNS1_3repE0EEENS1_30default_config_static_selectorELNS0_4arch9wavefront6targetE1EEEvT1_, .Lfunc_end1703-_ZN7rocprim17ROCPRIM_400000_NS6detail17trampoline_kernelINS0_14default_configENS1_27scan_by_key_config_selectorIifEEZZNS1_16scan_by_key_implILNS1_25lookback_scan_determinismE0ELb1ES3_N6thrust23THRUST_200600_302600_NS6detail15normal_iteratorINS9_10device_ptrIiEEEENSB_INSC_IjEEEENSB_INSC_IfEEEEfNS9_4plusIvEENS9_8equal_toIvEEfEE10hipError_tPvRmT2_T3_T4_T5_mT6_T7_P12ihipStream_tbENKUlT_T0_E_clISt17integral_constantIbLb1EES12_IbLb0EEEEDaSY_SZ_EUlSY_E_NS1_11comp_targetILNS1_3genE2ELNS1_11target_archE906ELNS1_3gpuE6ELNS1_3repE0EEENS1_30default_config_static_selectorELNS0_4arch9wavefront6targetE1EEEvT1_
                                        ; -- End function
	.section	.AMDGPU.csdata,"",@progbits
; Kernel info:
; codeLenInByte = 0
; NumSgprs: 6
; NumVgprs: 0
; NumAgprs: 0
; TotalNumVgprs: 0
; ScratchSize: 0
; MemoryBound: 0
; FloatMode: 240
; IeeeMode: 1
; LDSByteSize: 0 bytes/workgroup (compile time only)
; SGPRBlocks: 0
; VGPRBlocks: 0
; NumSGPRsForWavesPerEU: 6
; NumVGPRsForWavesPerEU: 1
; AccumOffset: 4
; Occupancy: 8
; WaveLimiterHint : 0
; COMPUTE_PGM_RSRC2:SCRATCH_EN: 0
; COMPUTE_PGM_RSRC2:USER_SGPR: 2
; COMPUTE_PGM_RSRC2:TRAP_HANDLER: 0
; COMPUTE_PGM_RSRC2:TGID_X_EN: 1
; COMPUTE_PGM_RSRC2:TGID_Y_EN: 0
; COMPUTE_PGM_RSRC2:TGID_Z_EN: 0
; COMPUTE_PGM_RSRC2:TIDIG_COMP_CNT: 0
; COMPUTE_PGM_RSRC3_GFX90A:ACCUM_OFFSET: 0
; COMPUTE_PGM_RSRC3_GFX90A:TG_SPLIT: 0
	.section	.text._ZN7rocprim17ROCPRIM_400000_NS6detail17trampoline_kernelINS0_14default_configENS1_27scan_by_key_config_selectorIifEEZZNS1_16scan_by_key_implILNS1_25lookback_scan_determinismE0ELb1ES3_N6thrust23THRUST_200600_302600_NS6detail15normal_iteratorINS9_10device_ptrIiEEEENSB_INSC_IjEEEENSB_INSC_IfEEEEfNS9_4plusIvEENS9_8equal_toIvEEfEE10hipError_tPvRmT2_T3_T4_T5_mT6_T7_P12ihipStream_tbENKUlT_T0_E_clISt17integral_constantIbLb1EES12_IbLb0EEEEDaSY_SZ_EUlSY_E_NS1_11comp_targetILNS1_3genE10ELNS1_11target_archE1200ELNS1_3gpuE4ELNS1_3repE0EEENS1_30default_config_static_selectorELNS0_4arch9wavefront6targetE1EEEvT1_,"axG",@progbits,_ZN7rocprim17ROCPRIM_400000_NS6detail17trampoline_kernelINS0_14default_configENS1_27scan_by_key_config_selectorIifEEZZNS1_16scan_by_key_implILNS1_25lookback_scan_determinismE0ELb1ES3_N6thrust23THRUST_200600_302600_NS6detail15normal_iteratorINS9_10device_ptrIiEEEENSB_INSC_IjEEEENSB_INSC_IfEEEEfNS9_4plusIvEENS9_8equal_toIvEEfEE10hipError_tPvRmT2_T3_T4_T5_mT6_T7_P12ihipStream_tbENKUlT_T0_E_clISt17integral_constantIbLb1EES12_IbLb0EEEEDaSY_SZ_EUlSY_E_NS1_11comp_targetILNS1_3genE10ELNS1_11target_archE1200ELNS1_3gpuE4ELNS1_3repE0EEENS1_30default_config_static_selectorELNS0_4arch9wavefront6targetE1EEEvT1_,comdat
	.protected	_ZN7rocprim17ROCPRIM_400000_NS6detail17trampoline_kernelINS0_14default_configENS1_27scan_by_key_config_selectorIifEEZZNS1_16scan_by_key_implILNS1_25lookback_scan_determinismE0ELb1ES3_N6thrust23THRUST_200600_302600_NS6detail15normal_iteratorINS9_10device_ptrIiEEEENSB_INSC_IjEEEENSB_INSC_IfEEEEfNS9_4plusIvEENS9_8equal_toIvEEfEE10hipError_tPvRmT2_T3_T4_T5_mT6_T7_P12ihipStream_tbENKUlT_T0_E_clISt17integral_constantIbLb1EES12_IbLb0EEEEDaSY_SZ_EUlSY_E_NS1_11comp_targetILNS1_3genE10ELNS1_11target_archE1200ELNS1_3gpuE4ELNS1_3repE0EEENS1_30default_config_static_selectorELNS0_4arch9wavefront6targetE1EEEvT1_ ; -- Begin function _ZN7rocprim17ROCPRIM_400000_NS6detail17trampoline_kernelINS0_14default_configENS1_27scan_by_key_config_selectorIifEEZZNS1_16scan_by_key_implILNS1_25lookback_scan_determinismE0ELb1ES3_N6thrust23THRUST_200600_302600_NS6detail15normal_iteratorINS9_10device_ptrIiEEEENSB_INSC_IjEEEENSB_INSC_IfEEEEfNS9_4plusIvEENS9_8equal_toIvEEfEE10hipError_tPvRmT2_T3_T4_T5_mT6_T7_P12ihipStream_tbENKUlT_T0_E_clISt17integral_constantIbLb1EES12_IbLb0EEEEDaSY_SZ_EUlSY_E_NS1_11comp_targetILNS1_3genE10ELNS1_11target_archE1200ELNS1_3gpuE4ELNS1_3repE0EEENS1_30default_config_static_selectorELNS0_4arch9wavefront6targetE1EEEvT1_
	.globl	_ZN7rocprim17ROCPRIM_400000_NS6detail17trampoline_kernelINS0_14default_configENS1_27scan_by_key_config_selectorIifEEZZNS1_16scan_by_key_implILNS1_25lookback_scan_determinismE0ELb1ES3_N6thrust23THRUST_200600_302600_NS6detail15normal_iteratorINS9_10device_ptrIiEEEENSB_INSC_IjEEEENSB_INSC_IfEEEEfNS9_4plusIvEENS9_8equal_toIvEEfEE10hipError_tPvRmT2_T3_T4_T5_mT6_T7_P12ihipStream_tbENKUlT_T0_E_clISt17integral_constantIbLb1EES12_IbLb0EEEEDaSY_SZ_EUlSY_E_NS1_11comp_targetILNS1_3genE10ELNS1_11target_archE1200ELNS1_3gpuE4ELNS1_3repE0EEENS1_30default_config_static_selectorELNS0_4arch9wavefront6targetE1EEEvT1_
	.p2align	8
	.type	_ZN7rocprim17ROCPRIM_400000_NS6detail17trampoline_kernelINS0_14default_configENS1_27scan_by_key_config_selectorIifEEZZNS1_16scan_by_key_implILNS1_25lookback_scan_determinismE0ELb1ES3_N6thrust23THRUST_200600_302600_NS6detail15normal_iteratorINS9_10device_ptrIiEEEENSB_INSC_IjEEEENSB_INSC_IfEEEEfNS9_4plusIvEENS9_8equal_toIvEEfEE10hipError_tPvRmT2_T3_T4_T5_mT6_T7_P12ihipStream_tbENKUlT_T0_E_clISt17integral_constantIbLb1EES12_IbLb0EEEEDaSY_SZ_EUlSY_E_NS1_11comp_targetILNS1_3genE10ELNS1_11target_archE1200ELNS1_3gpuE4ELNS1_3repE0EEENS1_30default_config_static_selectorELNS0_4arch9wavefront6targetE1EEEvT1_,@function
_ZN7rocprim17ROCPRIM_400000_NS6detail17trampoline_kernelINS0_14default_configENS1_27scan_by_key_config_selectorIifEEZZNS1_16scan_by_key_implILNS1_25lookback_scan_determinismE0ELb1ES3_N6thrust23THRUST_200600_302600_NS6detail15normal_iteratorINS9_10device_ptrIiEEEENSB_INSC_IjEEEENSB_INSC_IfEEEEfNS9_4plusIvEENS9_8equal_toIvEEfEE10hipError_tPvRmT2_T3_T4_T5_mT6_T7_P12ihipStream_tbENKUlT_T0_E_clISt17integral_constantIbLb1EES12_IbLb0EEEEDaSY_SZ_EUlSY_E_NS1_11comp_targetILNS1_3genE10ELNS1_11target_archE1200ELNS1_3gpuE4ELNS1_3repE0EEENS1_30default_config_static_selectorELNS0_4arch9wavefront6targetE1EEEvT1_: ; @_ZN7rocprim17ROCPRIM_400000_NS6detail17trampoline_kernelINS0_14default_configENS1_27scan_by_key_config_selectorIifEEZZNS1_16scan_by_key_implILNS1_25lookback_scan_determinismE0ELb1ES3_N6thrust23THRUST_200600_302600_NS6detail15normal_iteratorINS9_10device_ptrIiEEEENSB_INSC_IjEEEENSB_INSC_IfEEEEfNS9_4plusIvEENS9_8equal_toIvEEfEE10hipError_tPvRmT2_T3_T4_T5_mT6_T7_P12ihipStream_tbENKUlT_T0_E_clISt17integral_constantIbLb1EES12_IbLb0EEEEDaSY_SZ_EUlSY_E_NS1_11comp_targetILNS1_3genE10ELNS1_11target_archE1200ELNS1_3gpuE4ELNS1_3repE0EEENS1_30default_config_static_selectorELNS0_4arch9wavefront6targetE1EEEvT1_
; %bb.0:
	.section	.rodata,"a",@progbits
	.p2align	6, 0x0
	.amdhsa_kernel _ZN7rocprim17ROCPRIM_400000_NS6detail17trampoline_kernelINS0_14default_configENS1_27scan_by_key_config_selectorIifEEZZNS1_16scan_by_key_implILNS1_25lookback_scan_determinismE0ELb1ES3_N6thrust23THRUST_200600_302600_NS6detail15normal_iteratorINS9_10device_ptrIiEEEENSB_INSC_IjEEEENSB_INSC_IfEEEEfNS9_4plusIvEENS9_8equal_toIvEEfEE10hipError_tPvRmT2_T3_T4_T5_mT6_T7_P12ihipStream_tbENKUlT_T0_E_clISt17integral_constantIbLb1EES12_IbLb0EEEEDaSY_SZ_EUlSY_E_NS1_11comp_targetILNS1_3genE10ELNS1_11target_archE1200ELNS1_3gpuE4ELNS1_3repE0EEENS1_30default_config_static_selectorELNS0_4arch9wavefront6targetE1EEEvT1_
		.amdhsa_group_segment_fixed_size 0
		.amdhsa_private_segment_fixed_size 0
		.amdhsa_kernarg_size 112
		.amdhsa_user_sgpr_count 2
		.amdhsa_user_sgpr_dispatch_ptr 0
		.amdhsa_user_sgpr_queue_ptr 0
		.amdhsa_user_sgpr_kernarg_segment_ptr 1
		.amdhsa_user_sgpr_dispatch_id 0
		.amdhsa_user_sgpr_kernarg_preload_length 0
		.amdhsa_user_sgpr_kernarg_preload_offset 0
		.amdhsa_user_sgpr_private_segment_size 0
		.amdhsa_uses_dynamic_stack 0
		.amdhsa_enable_private_segment 0
		.amdhsa_system_sgpr_workgroup_id_x 1
		.amdhsa_system_sgpr_workgroup_id_y 0
		.amdhsa_system_sgpr_workgroup_id_z 0
		.amdhsa_system_sgpr_workgroup_info 0
		.amdhsa_system_vgpr_workitem_id 0
		.amdhsa_next_free_vgpr 1
		.amdhsa_next_free_sgpr 0
		.amdhsa_accum_offset 4
		.amdhsa_reserve_vcc 0
		.amdhsa_float_round_mode_32 0
		.amdhsa_float_round_mode_16_64 0
		.amdhsa_float_denorm_mode_32 3
		.amdhsa_float_denorm_mode_16_64 3
		.amdhsa_dx10_clamp 1
		.amdhsa_ieee_mode 1
		.amdhsa_fp16_overflow 0
		.amdhsa_tg_split 0
		.amdhsa_exception_fp_ieee_invalid_op 0
		.amdhsa_exception_fp_denorm_src 0
		.amdhsa_exception_fp_ieee_div_zero 0
		.amdhsa_exception_fp_ieee_overflow 0
		.amdhsa_exception_fp_ieee_underflow 0
		.amdhsa_exception_fp_ieee_inexact 0
		.amdhsa_exception_int_div_zero 0
	.end_amdhsa_kernel
	.section	.text._ZN7rocprim17ROCPRIM_400000_NS6detail17trampoline_kernelINS0_14default_configENS1_27scan_by_key_config_selectorIifEEZZNS1_16scan_by_key_implILNS1_25lookback_scan_determinismE0ELb1ES3_N6thrust23THRUST_200600_302600_NS6detail15normal_iteratorINS9_10device_ptrIiEEEENSB_INSC_IjEEEENSB_INSC_IfEEEEfNS9_4plusIvEENS9_8equal_toIvEEfEE10hipError_tPvRmT2_T3_T4_T5_mT6_T7_P12ihipStream_tbENKUlT_T0_E_clISt17integral_constantIbLb1EES12_IbLb0EEEEDaSY_SZ_EUlSY_E_NS1_11comp_targetILNS1_3genE10ELNS1_11target_archE1200ELNS1_3gpuE4ELNS1_3repE0EEENS1_30default_config_static_selectorELNS0_4arch9wavefront6targetE1EEEvT1_,"axG",@progbits,_ZN7rocprim17ROCPRIM_400000_NS6detail17trampoline_kernelINS0_14default_configENS1_27scan_by_key_config_selectorIifEEZZNS1_16scan_by_key_implILNS1_25lookback_scan_determinismE0ELb1ES3_N6thrust23THRUST_200600_302600_NS6detail15normal_iteratorINS9_10device_ptrIiEEEENSB_INSC_IjEEEENSB_INSC_IfEEEEfNS9_4plusIvEENS9_8equal_toIvEEfEE10hipError_tPvRmT2_T3_T4_T5_mT6_T7_P12ihipStream_tbENKUlT_T0_E_clISt17integral_constantIbLb1EES12_IbLb0EEEEDaSY_SZ_EUlSY_E_NS1_11comp_targetILNS1_3genE10ELNS1_11target_archE1200ELNS1_3gpuE4ELNS1_3repE0EEENS1_30default_config_static_selectorELNS0_4arch9wavefront6targetE1EEEvT1_,comdat
.Lfunc_end1704:
	.size	_ZN7rocprim17ROCPRIM_400000_NS6detail17trampoline_kernelINS0_14default_configENS1_27scan_by_key_config_selectorIifEEZZNS1_16scan_by_key_implILNS1_25lookback_scan_determinismE0ELb1ES3_N6thrust23THRUST_200600_302600_NS6detail15normal_iteratorINS9_10device_ptrIiEEEENSB_INSC_IjEEEENSB_INSC_IfEEEEfNS9_4plusIvEENS9_8equal_toIvEEfEE10hipError_tPvRmT2_T3_T4_T5_mT6_T7_P12ihipStream_tbENKUlT_T0_E_clISt17integral_constantIbLb1EES12_IbLb0EEEEDaSY_SZ_EUlSY_E_NS1_11comp_targetILNS1_3genE10ELNS1_11target_archE1200ELNS1_3gpuE4ELNS1_3repE0EEENS1_30default_config_static_selectorELNS0_4arch9wavefront6targetE1EEEvT1_, .Lfunc_end1704-_ZN7rocprim17ROCPRIM_400000_NS6detail17trampoline_kernelINS0_14default_configENS1_27scan_by_key_config_selectorIifEEZZNS1_16scan_by_key_implILNS1_25lookback_scan_determinismE0ELb1ES3_N6thrust23THRUST_200600_302600_NS6detail15normal_iteratorINS9_10device_ptrIiEEEENSB_INSC_IjEEEENSB_INSC_IfEEEEfNS9_4plusIvEENS9_8equal_toIvEEfEE10hipError_tPvRmT2_T3_T4_T5_mT6_T7_P12ihipStream_tbENKUlT_T0_E_clISt17integral_constantIbLb1EES12_IbLb0EEEEDaSY_SZ_EUlSY_E_NS1_11comp_targetILNS1_3genE10ELNS1_11target_archE1200ELNS1_3gpuE4ELNS1_3repE0EEENS1_30default_config_static_selectorELNS0_4arch9wavefront6targetE1EEEvT1_
                                        ; -- End function
	.section	.AMDGPU.csdata,"",@progbits
; Kernel info:
; codeLenInByte = 0
; NumSgprs: 6
; NumVgprs: 0
; NumAgprs: 0
; TotalNumVgprs: 0
; ScratchSize: 0
; MemoryBound: 0
; FloatMode: 240
; IeeeMode: 1
; LDSByteSize: 0 bytes/workgroup (compile time only)
; SGPRBlocks: 0
; VGPRBlocks: 0
; NumSGPRsForWavesPerEU: 6
; NumVGPRsForWavesPerEU: 1
; AccumOffset: 4
; Occupancy: 8
; WaveLimiterHint : 0
; COMPUTE_PGM_RSRC2:SCRATCH_EN: 0
; COMPUTE_PGM_RSRC2:USER_SGPR: 2
; COMPUTE_PGM_RSRC2:TRAP_HANDLER: 0
; COMPUTE_PGM_RSRC2:TGID_X_EN: 1
; COMPUTE_PGM_RSRC2:TGID_Y_EN: 0
; COMPUTE_PGM_RSRC2:TGID_Z_EN: 0
; COMPUTE_PGM_RSRC2:TIDIG_COMP_CNT: 0
; COMPUTE_PGM_RSRC3_GFX90A:ACCUM_OFFSET: 0
; COMPUTE_PGM_RSRC3_GFX90A:TG_SPLIT: 0
	.section	.text._ZN7rocprim17ROCPRIM_400000_NS6detail17trampoline_kernelINS0_14default_configENS1_27scan_by_key_config_selectorIifEEZZNS1_16scan_by_key_implILNS1_25lookback_scan_determinismE0ELb1ES3_N6thrust23THRUST_200600_302600_NS6detail15normal_iteratorINS9_10device_ptrIiEEEENSB_INSC_IjEEEENSB_INSC_IfEEEEfNS9_4plusIvEENS9_8equal_toIvEEfEE10hipError_tPvRmT2_T3_T4_T5_mT6_T7_P12ihipStream_tbENKUlT_T0_E_clISt17integral_constantIbLb1EES12_IbLb0EEEEDaSY_SZ_EUlSY_E_NS1_11comp_targetILNS1_3genE9ELNS1_11target_archE1100ELNS1_3gpuE3ELNS1_3repE0EEENS1_30default_config_static_selectorELNS0_4arch9wavefront6targetE1EEEvT1_,"axG",@progbits,_ZN7rocprim17ROCPRIM_400000_NS6detail17trampoline_kernelINS0_14default_configENS1_27scan_by_key_config_selectorIifEEZZNS1_16scan_by_key_implILNS1_25lookback_scan_determinismE0ELb1ES3_N6thrust23THRUST_200600_302600_NS6detail15normal_iteratorINS9_10device_ptrIiEEEENSB_INSC_IjEEEENSB_INSC_IfEEEEfNS9_4plusIvEENS9_8equal_toIvEEfEE10hipError_tPvRmT2_T3_T4_T5_mT6_T7_P12ihipStream_tbENKUlT_T0_E_clISt17integral_constantIbLb1EES12_IbLb0EEEEDaSY_SZ_EUlSY_E_NS1_11comp_targetILNS1_3genE9ELNS1_11target_archE1100ELNS1_3gpuE3ELNS1_3repE0EEENS1_30default_config_static_selectorELNS0_4arch9wavefront6targetE1EEEvT1_,comdat
	.protected	_ZN7rocprim17ROCPRIM_400000_NS6detail17trampoline_kernelINS0_14default_configENS1_27scan_by_key_config_selectorIifEEZZNS1_16scan_by_key_implILNS1_25lookback_scan_determinismE0ELb1ES3_N6thrust23THRUST_200600_302600_NS6detail15normal_iteratorINS9_10device_ptrIiEEEENSB_INSC_IjEEEENSB_INSC_IfEEEEfNS9_4plusIvEENS9_8equal_toIvEEfEE10hipError_tPvRmT2_T3_T4_T5_mT6_T7_P12ihipStream_tbENKUlT_T0_E_clISt17integral_constantIbLb1EES12_IbLb0EEEEDaSY_SZ_EUlSY_E_NS1_11comp_targetILNS1_3genE9ELNS1_11target_archE1100ELNS1_3gpuE3ELNS1_3repE0EEENS1_30default_config_static_selectorELNS0_4arch9wavefront6targetE1EEEvT1_ ; -- Begin function _ZN7rocprim17ROCPRIM_400000_NS6detail17trampoline_kernelINS0_14default_configENS1_27scan_by_key_config_selectorIifEEZZNS1_16scan_by_key_implILNS1_25lookback_scan_determinismE0ELb1ES3_N6thrust23THRUST_200600_302600_NS6detail15normal_iteratorINS9_10device_ptrIiEEEENSB_INSC_IjEEEENSB_INSC_IfEEEEfNS9_4plusIvEENS9_8equal_toIvEEfEE10hipError_tPvRmT2_T3_T4_T5_mT6_T7_P12ihipStream_tbENKUlT_T0_E_clISt17integral_constantIbLb1EES12_IbLb0EEEEDaSY_SZ_EUlSY_E_NS1_11comp_targetILNS1_3genE9ELNS1_11target_archE1100ELNS1_3gpuE3ELNS1_3repE0EEENS1_30default_config_static_selectorELNS0_4arch9wavefront6targetE1EEEvT1_
	.globl	_ZN7rocprim17ROCPRIM_400000_NS6detail17trampoline_kernelINS0_14default_configENS1_27scan_by_key_config_selectorIifEEZZNS1_16scan_by_key_implILNS1_25lookback_scan_determinismE0ELb1ES3_N6thrust23THRUST_200600_302600_NS6detail15normal_iteratorINS9_10device_ptrIiEEEENSB_INSC_IjEEEENSB_INSC_IfEEEEfNS9_4plusIvEENS9_8equal_toIvEEfEE10hipError_tPvRmT2_T3_T4_T5_mT6_T7_P12ihipStream_tbENKUlT_T0_E_clISt17integral_constantIbLb1EES12_IbLb0EEEEDaSY_SZ_EUlSY_E_NS1_11comp_targetILNS1_3genE9ELNS1_11target_archE1100ELNS1_3gpuE3ELNS1_3repE0EEENS1_30default_config_static_selectorELNS0_4arch9wavefront6targetE1EEEvT1_
	.p2align	8
	.type	_ZN7rocprim17ROCPRIM_400000_NS6detail17trampoline_kernelINS0_14default_configENS1_27scan_by_key_config_selectorIifEEZZNS1_16scan_by_key_implILNS1_25lookback_scan_determinismE0ELb1ES3_N6thrust23THRUST_200600_302600_NS6detail15normal_iteratorINS9_10device_ptrIiEEEENSB_INSC_IjEEEENSB_INSC_IfEEEEfNS9_4plusIvEENS9_8equal_toIvEEfEE10hipError_tPvRmT2_T3_T4_T5_mT6_T7_P12ihipStream_tbENKUlT_T0_E_clISt17integral_constantIbLb1EES12_IbLb0EEEEDaSY_SZ_EUlSY_E_NS1_11comp_targetILNS1_3genE9ELNS1_11target_archE1100ELNS1_3gpuE3ELNS1_3repE0EEENS1_30default_config_static_selectorELNS0_4arch9wavefront6targetE1EEEvT1_,@function
_ZN7rocprim17ROCPRIM_400000_NS6detail17trampoline_kernelINS0_14default_configENS1_27scan_by_key_config_selectorIifEEZZNS1_16scan_by_key_implILNS1_25lookback_scan_determinismE0ELb1ES3_N6thrust23THRUST_200600_302600_NS6detail15normal_iteratorINS9_10device_ptrIiEEEENSB_INSC_IjEEEENSB_INSC_IfEEEEfNS9_4plusIvEENS9_8equal_toIvEEfEE10hipError_tPvRmT2_T3_T4_T5_mT6_T7_P12ihipStream_tbENKUlT_T0_E_clISt17integral_constantIbLb1EES12_IbLb0EEEEDaSY_SZ_EUlSY_E_NS1_11comp_targetILNS1_3genE9ELNS1_11target_archE1100ELNS1_3gpuE3ELNS1_3repE0EEENS1_30default_config_static_selectorELNS0_4arch9wavefront6targetE1EEEvT1_: ; @_ZN7rocprim17ROCPRIM_400000_NS6detail17trampoline_kernelINS0_14default_configENS1_27scan_by_key_config_selectorIifEEZZNS1_16scan_by_key_implILNS1_25lookback_scan_determinismE0ELb1ES3_N6thrust23THRUST_200600_302600_NS6detail15normal_iteratorINS9_10device_ptrIiEEEENSB_INSC_IjEEEENSB_INSC_IfEEEEfNS9_4plusIvEENS9_8equal_toIvEEfEE10hipError_tPvRmT2_T3_T4_T5_mT6_T7_P12ihipStream_tbENKUlT_T0_E_clISt17integral_constantIbLb1EES12_IbLb0EEEEDaSY_SZ_EUlSY_E_NS1_11comp_targetILNS1_3genE9ELNS1_11target_archE1100ELNS1_3gpuE3ELNS1_3repE0EEENS1_30default_config_static_selectorELNS0_4arch9wavefront6targetE1EEEvT1_
; %bb.0:
	.section	.rodata,"a",@progbits
	.p2align	6, 0x0
	.amdhsa_kernel _ZN7rocprim17ROCPRIM_400000_NS6detail17trampoline_kernelINS0_14default_configENS1_27scan_by_key_config_selectorIifEEZZNS1_16scan_by_key_implILNS1_25lookback_scan_determinismE0ELb1ES3_N6thrust23THRUST_200600_302600_NS6detail15normal_iteratorINS9_10device_ptrIiEEEENSB_INSC_IjEEEENSB_INSC_IfEEEEfNS9_4plusIvEENS9_8equal_toIvEEfEE10hipError_tPvRmT2_T3_T4_T5_mT6_T7_P12ihipStream_tbENKUlT_T0_E_clISt17integral_constantIbLb1EES12_IbLb0EEEEDaSY_SZ_EUlSY_E_NS1_11comp_targetILNS1_3genE9ELNS1_11target_archE1100ELNS1_3gpuE3ELNS1_3repE0EEENS1_30default_config_static_selectorELNS0_4arch9wavefront6targetE1EEEvT1_
		.amdhsa_group_segment_fixed_size 0
		.amdhsa_private_segment_fixed_size 0
		.amdhsa_kernarg_size 112
		.amdhsa_user_sgpr_count 2
		.amdhsa_user_sgpr_dispatch_ptr 0
		.amdhsa_user_sgpr_queue_ptr 0
		.amdhsa_user_sgpr_kernarg_segment_ptr 1
		.amdhsa_user_sgpr_dispatch_id 0
		.amdhsa_user_sgpr_kernarg_preload_length 0
		.amdhsa_user_sgpr_kernarg_preload_offset 0
		.amdhsa_user_sgpr_private_segment_size 0
		.amdhsa_uses_dynamic_stack 0
		.amdhsa_enable_private_segment 0
		.amdhsa_system_sgpr_workgroup_id_x 1
		.amdhsa_system_sgpr_workgroup_id_y 0
		.amdhsa_system_sgpr_workgroup_id_z 0
		.amdhsa_system_sgpr_workgroup_info 0
		.amdhsa_system_vgpr_workitem_id 0
		.amdhsa_next_free_vgpr 1
		.amdhsa_next_free_sgpr 0
		.amdhsa_accum_offset 4
		.amdhsa_reserve_vcc 0
		.amdhsa_float_round_mode_32 0
		.amdhsa_float_round_mode_16_64 0
		.amdhsa_float_denorm_mode_32 3
		.amdhsa_float_denorm_mode_16_64 3
		.amdhsa_dx10_clamp 1
		.amdhsa_ieee_mode 1
		.amdhsa_fp16_overflow 0
		.amdhsa_tg_split 0
		.amdhsa_exception_fp_ieee_invalid_op 0
		.amdhsa_exception_fp_denorm_src 0
		.amdhsa_exception_fp_ieee_div_zero 0
		.amdhsa_exception_fp_ieee_overflow 0
		.amdhsa_exception_fp_ieee_underflow 0
		.amdhsa_exception_fp_ieee_inexact 0
		.amdhsa_exception_int_div_zero 0
	.end_amdhsa_kernel
	.section	.text._ZN7rocprim17ROCPRIM_400000_NS6detail17trampoline_kernelINS0_14default_configENS1_27scan_by_key_config_selectorIifEEZZNS1_16scan_by_key_implILNS1_25lookback_scan_determinismE0ELb1ES3_N6thrust23THRUST_200600_302600_NS6detail15normal_iteratorINS9_10device_ptrIiEEEENSB_INSC_IjEEEENSB_INSC_IfEEEEfNS9_4plusIvEENS9_8equal_toIvEEfEE10hipError_tPvRmT2_T3_T4_T5_mT6_T7_P12ihipStream_tbENKUlT_T0_E_clISt17integral_constantIbLb1EES12_IbLb0EEEEDaSY_SZ_EUlSY_E_NS1_11comp_targetILNS1_3genE9ELNS1_11target_archE1100ELNS1_3gpuE3ELNS1_3repE0EEENS1_30default_config_static_selectorELNS0_4arch9wavefront6targetE1EEEvT1_,"axG",@progbits,_ZN7rocprim17ROCPRIM_400000_NS6detail17trampoline_kernelINS0_14default_configENS1_27scan_by_key_config_selectorIifEEZZNS1_16scan_by_key_implILNS1_25lookback_scan_determinismE0ELb1ES3_N6thrust23THRUST_200600_302600_NS6detail15normal_iteratorINS9_10device_ptrIiEEEENSB_INSC_IjEEEENSB_INSC_IfEEEEfNS9_4plusIvEENS9_8equal_toIvEEfEE10hipError_tPvRmT2_T3_T4_T5_mT6_T7_P12ihipStream_tbENKUlT_T0_E_clISt17integral_constantIbLb1EES12_IbLb0EEEEDaSY_SZ_EUlSY_E_NS1_11comp_targetILNS1_3genE9ELNS1_11target_archE1100ELNS1_3gpuE3ELNS1_3repE0EEENS1_30default_config_static_selectorELNS0_4arch9wavefront6targetE1EEEvT1_,comdat
.Lfunc_end1705:
	.size	_ZN7rocprim17ROCPRIM_400000_NS6detail17trampoline_kernelINS0_14default_configENS1_27scan_by_key_config_selectorIifEEZZNS1_16scan_by_key_implILNS1_25lookback_scan_determinismE0ELb1ES3_N6thrust23THRUST_200600_302600_NS6detail15normal_iteratorINS9_10device_ptrIiEEEENSB_INSC_IjEEEENSB_INSC_IfEEEEfNS9_4plusIvEENS9_8equal_toIvEEfEE10hipError_tPvRmT2_T3_T4_T5_mT6_T7_P12ihipStream_tbENKUlT_T0_E_clISt17integral_constantIbLb1EES12_IbLb0EEEEDaSY_SZ_EUlSY_E_NS1_11comp_targetILNS1_3genE9ELNS1_11target_archE1100ELNS1_3gpuE3ELNS1_3repE0EEENS1_30default_config_static_selectorELNS0_4arch9wavefront6targetE1EEEvT1_, .Lfunc_end1705-_ZN7rocprim17ROCPRIM_400000_NS6detail17trampoline_kernelINS0_14default_configENS1_27scan_by_key_config_selectorIifEEZZNS1_16scan_by_key_implILNS1_25lookback_scan_determinismE0ELb1ES3_N6thrust23THRUST_200600_302600_NS6detail15normal_iteratorINS9_10device_ptrIiEEEENSB_INSC_IjEEEENSB_INSC_IfEEEEfNS9_4plusIvEENS9_8equal_toIvEEfEE10hipError_tPvRmT2_T3_T4_T5_mT6_T7_P12ihipStream_tbENKUlT_T0_E_clISt17integral_constantIbLb1EES12_IbLb0EEEEDaSY_SZ_EUlSY_E_NS1_11comp_targetILNS1_3genE9ELNS1_11target_archE1100ELNS1_3gpuE3ELNS1_3repE0EEENS1_30default_config_static_selectorELNS0_4arch9wavefront6targetE1EEEvT1_
                                        ; -- End function
	.section	.AMDGPU.csdata,"",@progbits
; Kernel info:
; codeLenInByte = 0
; NumSgprs: 6
; NumVgprs: 0
; NumAgprs: 0
; TotalNumVgprs: 0
; ScratchSize: 0
; MemoryBound: 0
; FloatMode: 240
; IeeeMode: 1
; LDSByteSize: 0 bytes/workgroup (compile time only)
; SGPRBlocks: 0
; VGPRBlocks: 0
; NumSGPRsForWavesPerEU: 6
; NumVGPRsForWavesPerEU: 1
; AccumOffset: 4
; Occupancy: 8
; WaveLimiterHint : 0
; COMPUTE_PGM_RSRC2:SCRATCH_EN: 0
; COMPUTE_PGM_RSRC2:USER_SGPR: 2
; COMPUTE_PGM_RSRC2:TRAP_HANDLER: 0
; COMPUTE_PGM_RSRC2:TGID_X_EN: 1
; COMPUTE_PGM_RSRC2:TGID_Y_EN: 0
; COMPUTE_PGM_RSRC2:TGID_Z_EN: 0
; COMPUTE_PGM_RSRC2:TIDIG_COMP_CNT: 0
; COMPUTE_PGM_RSRC3_GFX90A:ACCUM_OFFSET: 0
; COMPUTE_PGM_RSRC3_GFX90A:TG_SPLIT: 0
	.section	.text._ZN7rocprim17ROCPRIM_400000_NS6detail17trampoline_kernelINS0_14default_configENS1_27scan_by_key_config_selectorIifEEZZNS1_16scan_by_key_implILNS1_25lookback_scan_determinismE0ELb1ES3_N6thrust23THRUST_200600_302600_NS6detail15normal_iteratorINS9_10device_ptrIiEEEENSB_INSC_IjEEEENSB_INSC_IfEEEEfNS9_4plusIvEENS9_8equal_toIvEEfEE10hipError_tPvRmT2_T3_T4_T5_mT6_T7_P12ihipStream_tbENKUlT_T0_E_clISt17integral_constantIbLb1EES12_IbLb0EEEEDaSY_SZ_EUlSY_E_NS1_11comp_targetILNS1_3genE8ELNS1_11target_archE1030ELNS1_3gpuE2ELNS1_3repE0EEENS1_30default_config_static_selectorELNS0_4arch9wavefront6targetE1EEEvT1_,"axG",@progbits,_ZN7rocprim17ROCPRIM_400000_NS6detail17trampoline_kernelINS0_14default_configENS1_27scan_by_key_config_selectorIifEEZZNS1_16scan_by_key_implILNS1_25lookback_scan_determinismE0ELb1ES3_N6thrust23THRUST_200600_302600_NS6detail15normal_iteratorINS9_10device_ptrIiEEEENSB_INSC_IjEEEENSB_INSC_IfEEEEfNS9_4plusIvEENS9_8equal_toIvEEfEE10hipError_tPvRmT2_T3_T4_T5_mT6_T7_P12ihipStream_tbENKUlT_T0_E_clISt17integral_constantIbLb1EES12_IbLb0EEEEDaSY_SZ_EUlSY_E_NS1_11comp_targetILNS1_3genE8ELNS1_11target_archE1030ELNS1_3gpuE2ELNS1_3repE0EEENS1_30default_config_static_selectorELNS0_4arch9wavefront6targetE1EEEvT1_,comdat
	.protected	_ZN7rocprim17ROCPRIM_400000_NS6detail17trampoline_kernelINS0_14default_configENS1_27scan_by_key_config_selectorIifEEZZNS1_16scan_by_key_implILNS1_25lookback_scan_determinismE0ELb1ES3_N6thrust23THRUST_200600_302600_NS6detail15normal_iteratorINS9_10device_ptrIiEEEENSB_INSC_IjEEEENSB_INSC_IfEEEEfNS9_4plusIvEENS9_8equal_toIvEEfEE10hipError_tPvRmT2_T3_T4_T5_mT6_T7_P12ihipStream_tbENKUlT_T0_E_clISt17integral_constantIbLb1EES12_IbLb0EEEEDaSY_SZ_EUlSY_E_NS1_11comp_targetILNS1_3genE8ELNS1_11target_archE1030ELNS1_3gpuE2ELNS1_3repE0EEENS1_30default_config_static_selectorELNS0_4arch9wavefront6targetE1EEEvT1_ ; -- Begin function _ZN7rocprim17ROCPRIM_400000_NS6detail17trampoline_kernelINS0_14default_configENS1_27scan_by_key_config_selectorIifEEZZNS1_16scan_by_key_implILNS1_25lookback_scan_determinismE0ELb1ES3_N6thrust23THRUST_200600_302600_NS6detail15normal_iteratorINS9_10device_ptrIiEEEENSB_INSC_IjEEEENSB_INSC_IfEEEEfNS9_4plusIvEENS9_8equal_toIvEEfEE10hipError_tPvRmT2_T3_T4_T5_mT6_T7_P12ihipStream_tbENKUlT_T0_E_clISt17integral_constantIbLb1EES12_IbLb0EEEEDaSY_SZ_EUlSY_E_NS1_11comp_targetILNS1_3genE8ELNS1_11target_archE1030ELNS1_3gpuE2ELNS1_3repE0EEENS1_30default_config_static_selectorELNS0_4arch9wavefront6targetE1EEEvT1_
	.globl	_ZN7rocprim17ROCPRIM_400000_NS6detail17trampoline_kernelINS0_14default_configENS1_27scan_by_key_config_selectorIifEEZZNS1_16scan_by_key_implILNS1_25lookback_scan_determinismE0ELb1ES3_N6thrust23THRUST_200600_302600_NS6detail15normal_iteratorINS9_10device_ptrIiEEEENSB_INSC_IjEEEENSB_INSC_IfEEEEfNS9_4plusIvEENS9_8equal_toIvEEfEE10hipError_tPvRmT2_T3_T4_T5_mT6_T7_P12ihipStream_tbENKUlT_T0_E_clISt17integral_constantIbLb1EES12_IbLb0EEEEDaSY_SZ_EUlSY_E_NS1_11comp_targetILNS1_3genE8ELNS1_11target_archE1030ELNS1_3gpuE2ELNS1_3repE0EEENS1_30default_config_static_selectorELNS0_4arch9wavefront6targetE1EEEvT1_
	.p2align	8
	.type	_ZN7rocprim17ROCPRIM_400000_NS6detail17trampoline_kernelINS0_14default_configENS1_27scan_by_key_config_selectorIifEEZZNS1_16scan_by_key_implILNS1_25lookback_scan_determinismE0ELb1ES3_N6thrust23THRUST_200600_302600_NS6detail15normal_iteratorINS9_10device_ptrIiEEEENSB_INSC_IjEEEENSB_INSC_IfEEEEfNS9_4plusIvEENS9_8equal_toIvEEfEE10hipError_tPvRmT2_T3_T4_T5_mT6_T7_P12ihipStream_tbENKUlT_T0_E_clISt17integral_constantIbLb1EES12_IbLb0EEEEDaSY_SZ_EUlSY_E_NS1_11comp_targetILNS1_3genE8ELNS1_11target_archE1030ELNS1_3gpuE2ELNS1_3repE0EEENS1_30default_config_static_selectorELNS0_4arch9wavefront6targetE1EEEvT1_,@function
_ZN7rocprim17ROCPRIM_400000_NS6detail17trampoline_kernelINS0_14default_configENS1_27scan_by_key_config_selectorIifEEZZNS1_16scan_by_key_implILNS1_25lookback_scan_determinismE0ELb1ES3_N6thrust23THRUST_200600_302600_NS6detail15normal_iteratorINS9_10device_ptrIiEEEENSB_INSC_IjEEEENSB_INSC_IfEEEEfNS9_4plusIvEENS9_8equal_toIvEEfEE10hipError_tPvRmT2_T3_T4_T5_mT6_T7_P12ihipStream_tbENKUlT_T0_E_clISt17integral_constantIbLb1EES12_IbLb0EEEEDaSY_SZ_EUlSY_E_NS1_11comp_targetILNS1_3genE8ELNS1_11target_archE1030ELNS1_3gpuE2ELNS1_3repE0EEENS1_30default_config_static_selectorELNS0_4arch9wavefront6targetE1EEEvT1_: ; @_ZN7rocprim17ROCPRIM_400000_NS6detail17trampoline_kernelINS0_14default_configENS1_27scan_by_key_config_selectorIifEEZZNS1_16scan_by_key_implILNS1_25lookback_scan_determinismE0ELb1ES3_N6thrust23THRUST_200600_302600_NS6detail15normal_iteratorINS9_10device_ptrIiEEEENSB_INSC_IjEEEENSB_INSC_IfEEEEfNS9_4plusIvEENS9_8equal_toIvEEfEE10hipError_tPvRmT2_T3_T4_T5_mT6_T7_P12ihipStream_tbENKUlT_T0_E_clISt17integral_constantIbLb1EES12_IbLb0EEEEDaSY_SZ_EUlSY_E_NS1_11comp_targetILNS1_3genE8ELNS1_11target_archE1030ELNS1_3gpuE2ELNS1_3repE0EEENS1_30default_config_static_selectorELNS0_4arch9wavefront6targetE1EEEvT1_
; %bb.0:
	.section	.rodata,"a",@progbits
	.p2align	6, 0x0
	.amdhsa_kernel _ZN7rocprim17ROCPRIM_400000_NS6detail17trampoline_kernelINS0_14default_configENS1_27scan_by_key_config_selectorIifEEZZNS1_16scan_by_key_implILNS1_25lookback_scan_determinismE0ELb1ES3_N6thrust23THRUST_200600_302600_NS6detail15normal_iteratorINS9_10device_ptrIiEEEENSB_INSC_IjEEEENSB_INSC_IfEEEEfNS9_4plusIvEENS9_8equal_toIvEEfEE10hipError_tPvRmT2_T3_T4_T5_mT6_T7_P12ihipStream_tbENKUlT_T0_E_clISt17integral_constantIbLb1EES12_IbLb0EEEEDaSY_SZ_EUlSY_E_NS1_11comp_targetILNS1_3genE8ELNS1_11target_archE1030ELNS1_3gpuE2ELNS1_3repE0EEENS1_30default_config_static_selectorELNS0_4arch9wavefront6targetE1EEEvT1_
		.amdhsa_group_segment_fixed_size 0
		.amdhsa_private_segment_fixed_size 0
		.amdhsa_kernarg_size 112
		.amdhsa_user_sgpr_count 2
		.amdhsa_user_sgpr_dispatch_ptr 0
		.amdhsa_user_sgpr_queue_ptr 0
		.amdhsa_user_sgpr_kernarg_segment_ptr 1
		.amdhsa_user_sgpr_dispatch_id 0
		.amdhsa_user_sgpr_kernarg_preload_length 0
		.amdhsa_user_sgpr_kernarg_preload_offset 0
		.amdhsa_user_sgpr_private_segment_size 0
		.amdhsa_uses_dynamic_stack 0
		.amdhsa_enable_private_segment 0
		.amdhsa_system_sgpr_workgroup_id_x 1
		.amdhsa_system_sgpr_workgroup_id_y 0
		.amdhsa_system_sgpr_workgroup_id_z 0
		.amdhsa_system_sgpr_workgroup_info 0
		.amdhsa_system_vgpr_workitem_id 0
		.amdhsa_next_free_vgpr 1
		.amdhsa_next_free_sgpr 0
		.amdhsa_accum_offset 4
		.amdhsa_reserve_vcc 0
		.amdhsa_float_round_mode_32 0
		.amdhsa_float_round_mode_16_64 0
		.amdhsa_float_denorm_mode_32 3
		.amdhsa_float_denorm_mode_16_64 3
		.amdhsa_dx10_clamp 1
		.amdhsa_ieee_mode 1
		.amdhsa_fp16_overflow 0
		.amdhsa_tg_split 0
		.amdhsa_exception_fp_ieee_invalid_op 0
		.amdhsa_exception_fp_denorm_src 0
		.amdhsa_exception_fp_ieee_div_zero 0
		.amdhsa_exception_fp_ieee_overflow 0
		.amdhsa_exception_fp_ieee_underflow 0
		.amdhsa_exception_fp_ieee_inexact 0
		.amdhsa_exception_int_div_zero 0
	.end_amdhsa_kernel
	.section	.text._ZN7rocprim17ROCPRIM_400000_NS6detail17trampoline_kernelINS0_14default_configENS1_27scan_by_key_config_selectorIifEEZZNS1_16scan_by_key_implILNS1_25lookback_scan_determinismE0ELb1ES3_N6thrust23THRUST_200600_302600_NS6detail15normal_iteratorINS9_10device_ptrIiEEEENSB_INSC_IjEEEENSB_INSC_IfEEEEfNS9_4plusIvEENS9_8equal_toIvEEfEE10hipError_tPvRmT2_T3_T4_T5_mT6_T7_P12ihipStream_tbENKUlT_T0_E_clISt17integral_constantIbLb1EES12_IbLb0EEEEDaSY_SZ_EUlSY_E_NS1_11comp_targetILNS1_3genE8ELNS1_11target_archE1030ELNS1_3gpuE2ELNS1_3repE0EEENS1_30default_config_static_selectorELNS0_4arch9wavefront6targetE1EEEvT1_,"axG",@progbits,_ZN7rocprim17ROCPRIM_400000_NS6detail17trampoline_kernelINS0_14default_configENS1_27scan_by_key_config_selectorIifEEZZNS1_16scan_by_key_implILNS1_25lookback_scan_determinismE0ELb1ES3_N6thrust23THRUST_200600_302600_NS6detail15normal_iteratorINS9_10device_ptrIiEEEENSB_INSC_IjEEEENSB_INSC_IfEEEEfNS9_4plusIvEENS9_8equal_toIvEEfEE10hipError_tPvRmT2_T3_T4_T5_mT6_T7_P12ihipStream_tbENKUlT_T0_E_clISt17integral_constantIbLb1EES12_IbLb0EEEEDaSY_SZ_EUlSY_E_NS1_11comp_targetILNS1_3genE8ELNS1_11target_archE1030ELNS1_3gpuE2ELNS1_3repE0EEENS1_30default_config_static_selectorELNS0_4arch9wavefront6targetE1EEEvT1_,comdat
.Lfunc_end1706:
	.size	_ZN7rocprim17ROCPRIM_400000_NS6detail17trampoline_kernelINS0_14default_configENS1_27scan_by_key_config_selectorIifEEZZNS1_16scan_by_key_implILNS1_25lookback_scan_determinismE0ELb1ES3_N6thrust23THRUST_200600_302600_NS6detail15normal_iteratorINS9_10device_ptrIiEEEENSB_INSC_IjEEEENSB_INSC_IfEEEEfNS9_4plusIvEENS9_8equal_toIvEEfEE10hipError_tPvRmT2_T3_T4_T5_mT6_T7_P12ihipStream_tbENKUlT_T0_E_clISt17integral_constantIbLb1EES12_IbLb0EEEEDaSY_SZ_EUlSY_E_NS1_11comp_targetILNS1_3genE8ELNS1_11target_archE1030ELNS1_3gpuE2ELNS1_3repE0EEENS1_30default_config_static_selectorELNS0_4arch9wavefront6targetE1EEEvT1_, .Lfunc_end1706-_ZN7rocprim17ROCPRIM_400000_NS6detail17trampoline_kernelINS0_14default_configENS1_27scan_by_key_config_selectorIifEEZZNS1_16scan_by_key_implILNS1_25lookback_scan_determinismE0ELb1ES3_N6thrust23THRUST_200600_302600_NS6detail15normal_iteratorINS9_10device_ptrIiEEEENSB_INSC_IjEEEENSB_INSC_IfEEEEfNS9_4plusIvEENS9_8equal_toIvEEfEE10hipError_tPvRmT2_T3_T4_T5_mT6_T7_P12ihipStream_tbENKUlT_T0_E_clISt17integral_constantIbLb1EES12_IbLb0EEEEDaSY_SZ_EUlSY_E_NS1_11comp_targetILNS1_3genE8ELNS1_11target_archE1030ELNS1_3gpuE2ELNS1_3repE0EEENS1_30default_config_static_selectorELNS0_4arch9wavefront6targetE1EEEvT1_
                                        ; -- End function
	.section	.AMDGPU.csdata,"",@progbits
; Kernel info:
; codeLenInByte = 0
; NumSgprs: 6
; NumVgprs: 0
; NumAgprs: 0
; TotalNumVgprs: 0
; ScratchSize: 0
; MemoryBound: 0
; FloatMode: 240
; IeeeMode: 1
; LDSByteSize: 0 bytes/workgroup (compile time only)
; SGPRBlocks: 0
; VGPRBlocks: 0
; NumSGPRsForWavesPerEU: 6
; NumVGPRsForWavesPerEU: 1
; AccumOffset: 4
; Occupancy: 8
; WaveLimiterHint : 0
; COMPUTE_PGM_RSRC2:SCRATCH_EN: 0
; COMPUTE_PGM_RSRC2:USER_SGPR: 2
; COMPUTE_PGM_RSRC2:TRAP_HANDLER: 0
; COMPUTE_PGM_RSRC2:TGID_X_EN: 1
; COMPUTE_PGM_RSRC2:TGID_Y_EN: 0
; COMPUTE_PGM_RSRC2:TGID_Z_EN: 0
; COMPUTE_PGM_RSRC2:TIDIG_COMP_CNT: 0
; COMPUTE_PGM_RSRC3_GFX90A:ACCUM_OFFSET: 0
; COMPUTE_PGM_RSRC3_GFX90A:TG_SPLIT: 0
	.section	.text._ZN7rocprim17ROCPRIM_400000_NS6detail17trampoline_kernelINS0_14default_configENS1_27scan_by_key_config_selectorIifEEZZNS1_16scan_by_key_implILNS1_25lookback_scan_determinismE0ELb1ES3_N6thrust23THRUST_200600_302600_NS6detail15normal_iteratorINS9_10device_ptrIiEEEENSB_INSC_IjEEEENSB_INSC_IfEEEEfNS9_4plusIvEENS9_8equal_toIvEEfEE10hipError_tPvRmT2_T3_T4_T5_mT6_T7_P12ihipStream_tbENKUlT_T0_E_clISt17integral_constantIbLb0EES12_IbLb1EEEEDaSY_SZ_EUlSY_E_NS1_11comp_targetILNS1_3genE0ELNS1_11target_archE4294967295ELNS1_3gpuE0ELNS1_3repE0EEENS1_30default_config_static_selectorELNS0_4arch9wavefront6targetE1EEEvT1_,"axG",@progbits,_ZN7rocprim17ROCPRIM_400000_NS6detail17trampoline_kernelINS0_14default_configENS1_27scan_by_key_config_selectorIifEEZZNS1_16scan_by_key_implILNS1_25lookback_scan_determinismE0ELb1ES3_N6thrust23THRUST_200600_302600_NS6detail15normal_iteratorINS9_10device_ptrIiEEEENSB_INSC_IjEEEENSB_INSC_IfEEEEfNS9_4plusIvEENS9_8equal_toIvEEfEE10hipError_tPvRmT2_T3_T4_T5_mT6_T7_P12ihipStream_tbENKUlT_T0_E_clISt17integral_constantIbLb0EES12_IbLb1EEEEDaSY_SZ_EUlSY_E_NS1_11comp_targetILNS1_3genE0ELNS1_11target_archE4294967295ELNS1_3gpuE0ELNS1_3repE0EEENS1_30default_config_static_selectorELNS0_4arch9wavefront6targetE1EEEvT1_,comdat
	.protected	_ZN7rocprim17ROCPRIM_400000_NS6detail17trampoline_kernelINS0_14default_configENS1_27scan_by_key_config_selectorIifEEZZNS1_16scan_by_key_implILNS1_25lookback_scan_determinismE0ELb1ES3_N6thrust23THRUST_200600_302600_NS6detail15normal_iteratorINS9_10device_ptrIiEEEENSB_INSC_IjEEEENSB_INSC_IfEEEEfNS9_4plusIvEENS9_8equal_toIvEEfEE10hipError_tPvRmT2_T3_T4_T5_mT6_T7_P12ihipStream_tbENKUlT_T0_E_clISt17integral_constantIbLb0EES12_IbLb1EEEEDaSY_SZ_EUlSY_E_NS1_11comp_targetILNS1_3genE0ELNS1_11target_archE4294967295ELNS1_3gpuE0ELNS1_3repE0EEENS1_30default_config_static_selectorELNS0_4arch9wavefront6targetE1EEEvT1_ ; -- Begin function _ZN7rocprim17ROCPRIM_400000_NS6detail17trampoline_kernelINS0_14default_configENS1_27scan_by_key_config_selectorIifEEZZNS1_16scan_by_key_implILNS1_25lookback_scan_determinismE0ELb1ES3_N6thrust23THRUST_200600_302600_NS6detail15normal_iteratorINS9_10device_ptrIiEEEENSB_INSC_IjEEEENSB_INSC_IfEEEEfNS9_4plusIvEENS9_8equal_toIvEEfEE10hipError_tPvRmT2_T3_T4_T5_mT6_T7_P12ihipStream_tbENKUlT_T0_E_clISt17integral_constantIbLb0EES12_IbLb1EEEEDaSY_SZ_EUlSY_E_NS1_11comp_targetILNS1_3genE0ELNS1_11target_archE4294967295ELNS1_3gpuE0ELNS1_3repE0EEENS1_30default_config_static_selectorELNS0_4arch9wavefront6targetE1EEEvT1_
	.globl	_ZN7rocprim17ROCPRIM_400000_NS6detail17trampoline_kernelINS0_14default_configENS1_27scan_by_key_config_selectorIifEEZZNS1_16scan_by_key_implILNS1_25lookback_scan_determinismE0ELb1ES3_N6thrust23THRUST_200600_302600_NS6detail15normal_iteratorINS9_10device_ptrIiEEEENSB_INSC_IjEEEENSB_INSC_IfEEEEfNS9_4plusIvEENS9_8equal_toIvEEfEE10hipError_tPvRmT2_T3_T4_T5_mT6_T7_P12ihipStream_tbENKUlT_T0_E_clISt17integral_constantIbLb0EES12_IbLb1EEEEDaSY_SZ_EUlSY_E_NS1_11comp_targetILNS1_3genE0ELNS1_11target_archE4294967295ELNS1_3gpuE0ELNS1_3repE0EEENS1_30default_config_static_selectorELNS0_4arch9wavefront6targetE1EEEvT1_
	.p2align	8
	.type	_ZN7rocprim17ROCPRIM_400000_NS6detail17trampoline_kernelINS0_14default_configENS1_27scan_by_key_config_selectorIifEEZZNS1_16scan_by_key_implILNS1_25lookback_scan_determinismE0ELb1ES3_N6thrust23THRUST_200600_302600_NS6detail15normal_iteratorINS9_10device_ptrIiEEEENSB_INSC_IjEEEENSB_INSC_IfEEEEfNS9_4plusIvEENS9_8equal_toIvEEfEE10hipError_tPvRmT2_T3_T4_T5_mT6_T7_P12ihipStream_tbENKUlT_T0_E_clISt17integral_constantIbLb0EES12_IbLb1EEEEDaSY_SZ_EUlSY_E_NS1_11comp_targetILNS1_3genE0ELNS1_11target_archE4294967295ELNS1_3gpuE0ELNS1_3repE0EEENS1_30default_config_static_selectorELNS0_4arch9wavefront6targetE1EEEvT1_,@function
_ZN7rocprim17ROCPRIM_400000_NS6detail17trampoline_kernelINS0_14default_configENS1_27scan_by_key_config_selectorIifEEZZNS1_16scan_by_key_implILNS1_25lookback_scan_determinismE0ELb1ES3_N6thrust23THRUST_200600_302600_NS6detail15normal_iteratorINS9_10device_ptrIiEEEENSB_INSC_IjEEEENSB_INSC_IfEEEEfNS9_4plusIvEENS9_8equal_toIvEEfEE10hipError_tPvRmT2_T3_T4_T5_mT6_T7_P12ihipStream_tbENKUlT_T0_E_clISt17integral_constantIbLb0EES12_IbLb1EEEEDaSY_SZ_EUlSY_E_NS1_11comp_targetILNS1_3genE0ELNS1_11target_archE4294967295ELNS1_3gpuE0ELNS1_3repE0EEENS1_30default_config_static_selectorELNS0_4arch9wavefront6targetE1EEEvT1_: ; @_ZN7rocprim17ROCPRIM_400000_NS6detail17trampoline_kernelINS0_14default_configENS1_27scan_by_key_config_selectorIifEEZZNS1_16scan_by_key_implILNS1_25lookback_scan_determinismE0ELb1ES3_N6thrust23THRUST_200600_302600_NS6detail15normal_iteratorINS9_10device_ptrIiEEEENSB_INSC_IjEEEENSB_INSC_IfEEEEfNS9_4plusIvEENS9_8equal_toIvEEfEE10hipError_tPvRmT2_T3_T4_T5_mT6_T7_P12ihipStream_tbENKUlT_T0_E_clISt17integral_constantIbLb0EES12_IbLb1EEEEDaSY_SZ_EUlSY_E_NS1_11comp_targetILNS1_3genE0ELNS1_11target_archE4294967295ELNS1_3gpuE0ELNS1_3repE0EEENS1_30default_config_static_selectorELNS0_4arch9wavefront6targetE1EEEvT1_
; %bb.0:
	.section	.rodata,"a",@progbits
	.p2align	6, 0x0
	.amdhsa_kernel _ZN7rocprim17ROCPRIM_400000_NS6detail17trampoline_kernelINS0_14default_configENS1_27scan_by_key_config_selectorIifEEZZNS1_16scan_by_key_implILNS1_25lookback_scan_determinismE0ELb1ES3_N6thrust23THRUST_200600_302600_NS6detail15normal_iteratorINS9_10device_ptrIiEEEENSB_INSC_IjEEEENSB_INSC_IfEEEEfNS9_4plusIvEENS9_8equal_toIvEEfEE10hipError_tPvRmT2_T3_T4_T5_mT6_T7_P12ihipStream_tbENKUlT_T0_E_clISt17integral_constantIbLb0EES12_IbLb1EEEEDaSY_SZ_EUlSY_E_NS1_11comp_targetILNS1_3genE0ELNS1_11target_archE4294967295ELNS1_3gpuE0ELNS1_3repE0EEENS1_30default_config_static_selectorELNS0_4arch9wavefront6targetE1EEEvT1_
		.amdhsa_group_segment_fixed_size 0
		.amdhsa_private_segment_fixed_size 0
		.amdhsa_kernarg_size 112
		.amdhsa_user_sgpr_count 2
		.amdhsa_user_sgpr_dispatch_ptr 0
		.amdhsa_user_sgpr_queue_ptr 0
		.amdhsa_user_sgpr_kernarg_segment_ptr 1
		.amdhsa_user_sgpr_dispatch_id 0
		.amdhsa_user_sgpr_kernarg_preload_length 0
		.amdhsa_user_sgpr_kernarg_preload_offset 0
		.amdhsa_user_sgpr_private_segment_size 0
		.amdhsa_uses_dynamic_stack 0
		.amdhsa_enable_private_segment 0
		.amdhsa_system_sgpr_workgroup_id_x 1
		.amdhsa_system_sgpr_workgroup_id_y 0
		.amdhsa_system_sgpr_workgroup_id_z 0
		.amdhsa_system_sgpr_workgroup_info 0
		.amdhsa_system_vgpr_workitem_id 0
		.amdhsa_next_free_vgpr 1
		.amdhsa_next_free_sgpr 0
		.amdhsa_accum_offset 4
		.amdhsa_reserve_vcc 0
		.amdhsa_float_round_mode_32 0
		.amdhsa_float_round_mode_16_64 0
		.amdhsa_float_denorm_mode_32 3
		.amdhsa_float_denorm_mode_16_64 3
		.amdhsa_dx10_clamp 1
		.amdhsa_ieee_mode 1
		.amdhsa_fp16_overflow 0
		.amdhsa_tg_split 0
		.amdhsa_exception_fp_ieee_invalid_op 0
		.amdhsa_exception_fp_denorm_src 0
		.amdhsa_exception_fp_ieee_div_zero 0
		.amdhsa_exception_fp_ieee_overflow 0
		.amdhsa_exception_fp_ieee_underflow 0
		.amdhsa_exception_fp_ieee_inexact 0
		.amdhsa_exception_int_div_zero 0
	.end_amdhsa_kernel
	.section	.text._ZN7rocprim17ROCPRIM_400000_NS6detail17trampoline_kernelINS0_14default_configENS1_27scan_by_key_config_selectorIifEEZZNS1_16scan_by_key_implILNS1_25lookback_scan_determinismE0ELb1ES3_N6thrust23THRUST_200600_302600_NS6detail15normal_iteratorINS9_10device_ptrIiEEEENSB_INSC_IjEEEENSB_INSC_IfEEEEfNS9_4plusIvEENS9_8equal_toIvEEfEE10hipError_tPvRmT2_T3_T4_T5_mT6_T7_P12ihipStream_tbENKUlT_T0_E_clISt17integral_constantIbLb0EES12_IbLb1EEEEDaSY_SZ_EUlSY_E_NS1_11comp_targetILNS1_3genE0ELNS1_11target_archE4294967295ELNS1_3gpuE0ELNS1_3repE0EEENS1_30default_config_static_selectorELNS0_4arch9wavefront6targetE1EEEvT1_,"axG",@progbits,_ZN7rocprim17ROCPRIM_400000_NS6detail17trampoline_kernelINS0_14default_configENS1_27scan_by_key_config_selectorIifEEZZNS1_16scan_by_key_implILNS1_25lookback_scan_determinismE0ELb1ES3_N6thrust23THRUST_200600_302600_NS6detail15normal_iteratorINS9_10device_ptrIiEEEENSB_INSC_IjEEEENSB_INSC_IfEEEEfNS9_4plusIvEENS9_8equal_toIvEEfEE10hipError_tPvRmT2_T3_T4_T5_mT6_T7_P12ihipStream_tbENKUlT_T0_E_clISt17integral_constantIbLb0EES12_IbLb1EEEEDaSY_SZ_EUlSY_E_NS1_11comp_targetILNS1_3genE0ELNS1_11target_archE4294967295ELNS1_3gpuE0ELNS1_3repE0EEENS1_30default_config_static_selectorELNS0_4arch9wavefront6targetE1EEEvT1_,comdat
.Lfunc_end1707:
	.size	_ZN7rocprim17ROCPRIM_400000_NS6detail17trampoline_kernelINS0_14default_configENS1_27scan_by_key_config_selectorIifEEZZNS1_16scan_by_key_implILNS1_25lookback_scan_determinismE0ELb1ES3_N6thrust23THRUST_200600_302600_NS6detail15normal_iteratorINS9_10device_ptrIiEEEENSB_INSC_IjEEEENSB_INSC_IfEEEEfNS9_4plusIvEENS9_8equal_toIvEEfEE10hipError_tPvRmT2_T3_T4_T5_mT6_T7_P12ihipStream_tbENKUlT_T0_E_clISt17integral_constantIbLb0EES12_IbLb1EEEEDaSY_SZ_EUlSY_E_NS1_11comp_targetILNS1_3genE0ELNS1_11target_archE4294967295ELNS1_3gpuE0ELNS1_3repE0EEENS1_30default_config_static_selectorELNS0_4arch9wavefront6targetE1EEEvT1_, .Lfunc_end1707-_ZN7rocprim17ROCPRIM_400000_NS6detail17trampoline_kernelINS0_14default_configENS1_27scan_by_key_config_selectorIifEEZZNS1_16scan_by_key_implILNS1_25lookback_scan_determinismE0ELb1ES3_N6thrust23THRUST_200600_302600_NS6detail15normal_iteratorINS9_10device_ptrIiEEEENSB_INSC_IjEEEENSB_INSC_IfEEEEfNS9_4plusIvEENS9_8equal_toIvEEfEE10hipError_tPvRmT2_T3_T4_T5_mT6_T7_P12ihipStream_tbENKUlT_T0_E_clISt17integral_constantIbLb0EES12_IbLb1EEEEDaSY_SZ_EUlSY_E_NS1_11comp_targetILNS1_3genE0ELNS1_11target_archE4294967295ELNS1_3gpuE0ELNS1_3repE0EEENS1_30default_config_static_selectorELNS0_4arch9wavefront6targetE1EEEvT1_
                                        ; -- End function
	.section	.AMDGPU.csdata,"",@progbits
; Kernel info:
; codeLenInByte = 0
; NumSgprs: 6
; NumVgprs: 0
; NumAgprs: 0
; TotalNumVgprs: 0
; ScratchSize: 0
; MemoryBound: 0
; FloatMode: 240
; IeeeMode: 1
; LDSByteSize: 0 bytes/workgroup (compile time only)
; SGPRBlocks: 0
; VGPRBlocks: 0
; NumSGPRsForWavesPerEU: 6
; NumVGPRsForWavesPerEU: 1
; AccumOffset: 4
; Occupancy: 8
; WaveLimiterHint : 0
; COMPUTE_PGM_RSRC2:SCRATCH_EN: 0
; COMPUTE_PGM_RSRC2:USER_SGPR: 2
; COMPUTE_PGM_RSRC2:TRAP_HANDLER: 0
; COMPUTE_PGM_RSRC2:TGID_X_EN: 1
; COMPUTE_PGM_RSRC2:TGID_Y_EN: 0
; COMPUTE_PGM_RSRC2:TGID_Z_EN: 0
; COMPUTE_PGM_RSRC2:TIDIG_COMP_CNT: 0
; COMPUTE_PGM_RSRC3_GFX90A:ACCUM_OFFSET: 0
; COMPUTE_PGM_RSRC3_GFX90A:TG_SPLIT: 0
	.section	.text._ZN7rocprim17ROCPRIM_400000_NS6detail17trampoline_kernelINS0_14default_configENS1_27scan_by_key_config_selectorIifEEZZNS1_16scan_by_key_implILNS1_25lookback_scan_determinismE0ELb1ES3_N6thrust23THRUST_200600_302600_NS6detail15normal_iteratorINS9_10device_ptrIiEEEENSB_INSC_IjEEEENSB_INSC_IfEEEEfNS9_4plusIvEENS9_8equal_toIvEEfEE10hipError_tPvRmT2_T3_T4_T5_mT6_T7_P12ihipStream_tbENKUlT_T0_E_clISt17integral_constantIbLb0EES12_IbLb1EEEEDaSY_SZ_EUlSY_E_NS1_11comp_targetILNS1_3genE10ELNS1_11target_archE1201ELNS1_3gpuE5ELNS1_3repE0EEENS1_30default_config_static_selectorELNS0_4arch9wavefront6targetE1EEEvT1_,"axG",@progbits,_ZN7rocprim17ROCPRIM_400000_NS6detail17trampoline_kernelINS0_14default_configENS1_27scan_by_key_config_selectorIifEEZZNS1_16scan_by_key_implILNS1_25lookback_scan_determinismE0ELb1ES3_N6thrust23THRUST_200600_302600_NS6detail15normal_iteratorINS9_10device_ptrIiEEEENSB_INSC_IjEEEENSB_INSC_IfEEEEfNS9_4plusIvEENS9_8equal_toIvEEfEE10hipError_tPvRmT2_T3_T4_T5_mT6_T7_P12ihipStream_tbENKUlT_T0_E_clISt17integral_constantIbLb0EES12_IbLb1EEEEDaSY_SZ_EUlSY_E_NS1_11comp_targetILNS1_3genE10ELNS1_11target_archE1201ELNS1_3gpuE5ELNS1_3repE0EEENS1_30default_config_static_selectorELNS0_4arch9wavefront6targetE1EEEvT1_,comdat
	.protected	_ZN7rocprim17ROCPRIM_400000_NS6detail17trampoline_kernelINS0_14default_configENS1_27scan_by_key_config_selectorIifEEZZNS1_16scan_by_key_implILNS1_25lookback_scan_determinismE0ELb1ES3_N6thrust23THRUST_200600_302600_NS6detail15normal_iteratorINS9_10device_ptrIiEEEENSB_INSC_IjEEEENSB_INSC_IfEEEEfNS9_4plusIvEENS9_8equal_toIvEEfEE10hipError_tPvRmT2_T3_T4_T5_mT6_T7_P12ihipStream_tbENKUlT_T0_E_clISt17integral_constantIbLb0EES12_IbLb1EEEEDaSY_SZ_EUlSY_E_NS1_11comp_targetILNS1_3genE10ELNS1_11target_archE1201ELNS1_3gpuE5ELNS1_3repE0EEENS1_30default_config_static_selectorELNS0_4arch9wavefront6targetE1EEEvT1_ ; -- Begin function _ZN7rocprim17ROCPRIM_400000_NS6detail17trampoline_kernelINS0_14default_configENS1_27scan_by_key_config_selectorIifEEZZNS1_16scan_by_key_implILNS1_25lookback_scan_determinismE0ELb1ES3_N6thrust23THRUST_200600_302600_NS6detail15normal_iteratorINS9_10device_ptrIiEEEENSB_INSC_IjEEEENSB_INSC_IfEEEEfNS9_4plusIvEENS9_8equal_toIvEEfEE10hipError_tPvRmT2_T3_T4_T5_mT6_T7_P12ihipStream_tbENKUlT_T0_E_clISt17integral_constantIbLb0EES12_IbLb1EEEEDaSY_SZ_EUlSY_E_NS1_11comp_targetILNS1_3genE10ELNS1_11target_archE1201ELNS1_3gpuE5ELNS1_3repE0EEENS1_30default_config_static_selectorELNS0_4arch9wavefront6targetE1EEEvT1_
	.globl	_ZN7rocprim17ROCPRIM_400000_NS6detail17trampoline_kernelINS0_14default_configENS1_27scan_by_key_config_selectorIifEEZZNS1_16scan_by_key_implILNS1_25lookback_scan_determinismE0ELb1ES3_N6thrust23THRUST_200600_302600_NS6detail15normal_iteratorINS9_10device_ptrIiEEEENSB_INSC_IjEEEENSB_INSC_IfEEEEfNS9_4plusIvEENS9_8equal_toIvEEfEE10hipError_tPvRmT2_T3_T4_T5_mT6_T7_P12ihipStream_tbENKUlT_T0_E_clISt17integral_constantIbLb0EES12_IbLb1EEEEDaSY_SZ_EUlSY_E_NS1_11comp_targetILNS1_3genE10ELNS1_11target_archE1201ELNS1_3gpuE5ELNS1_3repE0EEENS1_30default_config_static_selectorELNS0_4arch9wavefront6targetE1EEEvT1_
	.p2align	8
	.type	_ZN7rocprim17ROCPRIM_400000_NS6detail17trampoline_kernelINS0_14default_configENS1_27scan_by_key_config_selectorIifEEZZNS1_16scan_by_key_implILNS1_25lookback_scan_determinismE0ELb1ES3_N6thrust23THRUST_200600_302600_NS6detail15normal_iteratorINS9_10device_ptrIiEEEENSB_INSC_IjEEEENSB_INSC_IfEEEEfNS9_4plusIvEENS9_8equal_toIvEEfEE10hipError_tPvRmT2_T3_T4_T5_mT6_T7_P12ihipStream_tbENKUlT_T0_E_clISt17integral_constantIbLb0EES12_IbLb1EEEEDaSY_SZ_EUlSY_E_NS1_11comp_targetILNS1_3genE10ELNS1_11target_archE1201ELNS1_3gpuE5ELNS1_3repE0EEENS1_30default_config_static_selectorELNS0_4arch9wavefront6targetE1EEEvT1_,@function
_ZN7rocprim17ROCPRIM_400000_NS6detail17trampoline_kernelINS0_14default_configENS1_27scan_by_key_config_selectorIifEEZZNS1_16scan_by_key_implILNS1_25lookback_scan_determinismE0ELb1ES3_N6thrust23THRUST_200600_302600_NS6detail15normal_iteratorINS9_10device_ptrIiEEEENSB_INSC_IjEEEENSB_INSC_IfEEEEfNS9_4plusIvEENS9_8equal_toIvEEfEE10hipError_tPvRmT2_T3_T4_T5_mT6_T7_P12ihipStream_tbENKUlT_T0_E_clISt17integral_constantIbLb0EES12_IbLb1EEEEDaSY_SZ_EUlSY_E_NS1_11comp_targetILNS1_3genE10ELNS1_11target_archE1201ELNS1_3gpuE5ELNS1_3repE0EEENS1_30default_config_static_selectorELNS0_4arch9wavefront6targetE1EEEvT1_: ; @_ZN7rocprim17ROCPRIM_400000_NS6detail17trampoline_kernelINS0_14default_configENS1_27scan_by_key_config_selectorIifEEZZNS1_16scan_by_key_implILNS1_25lookback_scan_determinismE0ELb1ES3_N6thrust23THRUST_200600_302600_NS6detail15normal_iteratorINS9_10device_ptrIiEEEENSB_INSC_IjEEEENSB_INSC_IfEEEEfNS9_4plusIvEENS9_8equal_toIvEEfEE10hipError_tPvRmT2_T3_T4_T5_mT6_T7_P12ihipStream_tbENKUlT_T0_E_clISt17integral_constantIbLb0EES12_IbLb1EEEEDaSY_SZ_EUlSY_E_NS1_11comp_targetILNS1_3genE10ELNS1_11target_archE1201ELNS1_3gpuE5ELNS1_3repE0EEENS1_30default_config_static_selectorELNS0_4arch9wavefront6targetE1EEEvT1_
; %bb.0:
	.section	.rodata,"a",@progbits
	.p2align	6, 0x0
	.amdhsa_kernel _ZN7rocprim17ROCPRIM_400000_NS6detail17trampoline_kernelINS0_14default_configENS1_27scan_by_key_config_selectorIifEEZZNS1_16scan_by_key_implILNS1_25lookback_scan_determinismE0ELb1ES3_N6thrust23THRUST_200600_302600_NS6detail15normal_iteratorINS9_10device_ptrIiEEEENSB_INSC_IjEEEENSB_INSC_IfEEEEfNS9_4plusIvEENS9_8equal_toIvEEfEE10hipError_tPvRmT2_T3_T4_T5_mT6_T7_P12ihipStream_tbENKUlT_T0_E_clISt17integral_constantIbLb0EES12_IbLb1EEEEDaSY_SZ_EUlSY_E_NS1_11comp_targetILNS1_3genE10ELNS1_11target_archE1201ELNS1_3gpuE5ELNS1_3repE0EEENS1_30default_config_static_selectorELNS0_4arch9wavefront6targetE1EEEvT1_
		.amdhsa_group_segment_fixed_size 0
		.amdhsa_private_segment_fixed_size 0
		.amdhsa_kernarg_size 112
		.amdhsa_user_sgpr_count 2
		.amdhsa_user_sgpr_dispatch_ptr 0
		.amdhsa_user_sgpr_queue_ptr 0
		.amdhsa_user_sgpr_kernarg_segment_ptr 1
		.amdhsa_user_sgpr_dispatch_id 0
		.amdhsa_user_sgpr_kernarg_preload_length 0
		.amdhsa_user_sgpr_kernarg_preload_offset 0
		.amdhsa_user_sgpr_private_segment_size 0
		.amdhsa_uses_dynamic_stack 0
		.amdhsa_enable_private_segment 0
		.amdhsa_system_sgpr_workgroup_id_x 1
		.amdhsa_system_sgpr_workgroup_id_y 0
		.amdhsa_system_sgpr_workgroup_id_z 0
		.amdhsa_system_sgpr_workgroup_info 0
		.amdhsa_system_vgpr_workitem_id 0
		.amdhsa_next_free_vgpr 1
		.amdhsa_next_free_sgpr 0
		.amdhsa_accum_offset 4
		.amdhsa_reserve_vcc 0
		.amdhsa_float_round_mode_32 0
		.amdhsa_float_round_mode_16_64 0
		.amdhsa_float_denorm_mode_32 3
		.amdhsa_float_denorm_mode_16_64 3
		.amdhsa_dx10_clamp 1
		.amdhsa_ieee_mode 1
		.amdhsa_fp16_overflow 0
		.amdhsa_tg_split 0
		.amdhsa_exception_fp_ieee_invalid_op 0
		.amdhsa_exception_fp_denorm_src 0
		.amdhsa_exception_fp_ieee_div_zero 0
		.amdhsa_exception_fp_ieee_overflow 0
		.amdhsa_exception_fp_ieee_underflow 0
		.amdhsa_exception_fp_ieee_inexact 0
		.amdhsa_exception_int_div_zero 0
	.end_amdhsa_kernel
	.section	.text._ZN7rocprim17ROCPRIM_400000_NS6detail17trampoline_kernelINS0_14default_configENS1_27scan_by_key_config_selectorIifEEZZNS1_16scan_by_key_implILNS1_25lookback_scan_determinismE0ELb1ES3_N6thrust23THRUST_200600_302600_NS6detail15normal_iteratorINS9_10device_ptrIiEEEENSB_INSC_IjEEEENSB_INSC_IfEEEEfNS9_4plusIvEENS9_8equal_toIvEEfEE10hipError_tPvRmT2_T3_T4_T5_mT6_T7_P12ihipStream_tbENKUlT_T0_E_clISt17integral_constantIbLb0EES12_IbLb1EEEEDaSY_SZ_EUlSY_E_NS1_11comp_targetILNS1_3genE10ELNS1_11target_archE1201ELNS1_3gpuE5ELNS1_3repE0EEENS1_30default_config_static_selectorELNS0_4arch9wavefront6targetE1EEEvT1_,"axG",@progbits,_ZN7rocprim17ROCPRIM_400000_NS6detail17trampoline_kernelINS0_14default_configENS1_27scan_by_key_config_selectorIifEEZZNS1_16scan_by_key_implILNS1_25lookback_scan_determinismE0ELb1ES3_N6thrust23THRUST_200600_302600_NS6detail15normal_iteratorINS9_10device_ptrIiEEEENSB_INSC_IjEEEENSB_INSC_IfEEEEfNS9_4plusIvEENS9_8equal_toIvEEfEE10hipError_tPvRmT2_T3_T4_T5_mT6_T7_P12ihipStream_tbENKUlT_T0_E_clISt17integral_constantIbLb0EES12_IbLb1EEEEDaSY_SZ_EUlSY_E_NS1_11comp_targetILNS1_3genE10ELNS1_11target_archE1201ELNS1_3gpuE5ELNS1_3repE0EEENS1_30default_config_static_selectorELNS0_4arch9wavefront6targetE1EEEvT1_,comdat
.Lfunc_end1708:
	.size	_ZN7rocprim17ROCPRIM_400000_NS6detail17trampoline_kernelINS0_14default_configENS1_27scan_by_key_config_selectorIifEEZZNS1_16scan_by_key_implILNS1_25lookback_scan_determinismE0ELb1ES3_N6thrust23THRUST_200600_302600_NS6detail15normal_iteratorINS9_10device_ptrIiEEEENSB_INSC_IjEEEENSB_INSC_IfEEEEfNS9_4plusIvEENS9_8equal_toIvEEfEE10hipError_tPvRmT2_T3_T4_T5_mT6_T7_P12ihipStream_tbENKUlT_T0_E_clISt17integral_constantIbLb0EES12_IbLb1EEEEDaSY_SZ_EUlSY_E_NS1_11comp_targetILNS1_3genE10ELNS1_11target_archE1201ELNS1_3gpuE5ELNS1_3repE0EEENS1_30default_config_static_selectorELNS0_4arch9wavefront6targetE1EEEvT1_, .Lfunc_end1708-_ZN7rocprim17ROCPRIM_400000_NS6detail17trampoline_kernelINS0_14default_configENS1_27scan_by_key_config_selectorIifEEZZNS1_16scan_by_key_implILNS1_25lookback_scan_determinismE0ELb1ES3_N6thrust23THRUST_200600_302600_NS6detail15normal_iteratorINS9_10device_ptrIiEEEENSB_INSC_IjEEEENSB_INSC_IfEEEEfNS9_4plusIvEENS9_8equal_toIvEEfEE10hipError_tPvRmT2_T3_T4_T5_mT6_T7_P12ihipStream_tbENKUlT_T0_E_clISt17integral_constantIbLb0EES12_IbLb1EEEEDaSY_SZ_EUlSY_E_NS1_11comp_targetILNS1_3genE10ELNS1_11target_archE1201ELNS1_3gpuE5ELNS1_3repE0EEENS1_30default_config_static_selectorELNS0_4arch9wavefront6targetE1EEEvT1_
                                        ; -- End function
	.section	.AMDGPU.csdata,"",@progbits
; Kernel info:
; codeLenInByte = 0
; NumSgprs: 6
; NumVgprs: 0
; NumAgprs: 0
; TotalNumVgprs: 0
; ScratchSize: 0
; MemoryBound: 0
; FloatMode: 240
; IeeeMode: 1
; LDSByteSize: 0 bytes/workgroup (compile time only)
; SGPRBlocks: 0
; VGPRBlocks: 0
; NumSGPRsForWavesPerEU: 6
; NumVGPRsForWavesPerEU: 1
; AccumOffset: 4
; Occupancy: 8
; WaveLimiterHint : 0
; COMPUTE_PGM_RSRC2:SCRATCH_EN: 0
; COMPUTE_PGM_RSRC2:USER_SGPR: 2
; COMPUTE_PGM_RSRC2:TRAP_HANDLER: 0
; COMPUTE_PGM_RSRC2:TGID_X_EN: 1
; COMPUTE_PGM_RSRC2:TGID_Y_EN: 0
; COMPUTE_PGM_RSRC2:TGID_Z_EN: 0
; COMPUTE_PGM_RSRC2:TIDIG_COMP_CNT: 0
; COMPUTE_PGM_RSRC3_GFX90A:ACCUM_OFFSET: 0
; COMPUTE_PGM_RSRC3_GFX90A:TG_SPLIT: 0
	.section	.text._ZN7rocprim17ROCPRIM_400000_NS6detail17trampoline_kernelINS0_14default_configENS1_27scan_by_key_config_selectorIifEEZZNS1_16scan_by_key_implILNS1_25lookback_scan_determinismE0ELb1ES3_N6thrust23THRUST_200600_302600_NS6detail15normal_iteratorINS9_10device_ptrIiEEEENSB_INSC_IjEEEENSB_INSC_IfEEEEfNS9_4plusIvEENS9_8equal_toIvEEfEE10hipError_tPvRmT2_T3_T4_T5_mT6_T7_P12ihipStream_tbENKUlT_T0_E_clISt17integral_constantIbLb0EES12_IbLb1EEEEDaSY_SZ_EUlSY_E_NS1_11comp_targetILNS1_3genE5ELNS1_11target_archE942ELNS1_3gpuE9ELNS1_3repE0EEENS1_30default_config_static_selectorELNS0_4arch9wavefront6targetE1EEEvT1_,"axG",@progbits,_ZN7rocprim17ROCPRIM_400000_NS6detail17trampoline_kernelINS0_14default_configENS1_27scan_by_key_config_selectorIifEEZZNS1_16scan_by_key_implILNS1_25lookback_scan_determinismE0ELb1ES3_N6thrust23THRUST_200600_302600_NS6detail15normal_iteratorINS9_10device_ptrIiEEEENSB_INSC_IjEEEENSB_INSC_IfEEEEfNS9_4plusIvEENS9_8equal_toIvEEfEE10hipError_tPvRmT2_T3_T4_T5_mT6_T7_P12ihipStream_tbENKUlT_T0_E_clISt17integral_constantIbLb0EES12_IbLb1EEEEDaSY_SZ_EUlSY_E_NS1_11comp_targetILNS1_3genE5ELNS1_11target_archE942ELNS1_3gpuE9ELNS1_3repE0EEENS1_30default_config_static_selectorELNS0_4arch9wavefront6targetE1EEEvT1_,comdat
	.protected	_ZN7rocprim17ROCPRIM_400000_NS6detail17trampoline_kernelINS0_14default_configENS1_27scan_by_key_config_selectorIifEEZZNS1_16scan_by_key_implILNS1_25lookback_scan_determinismE0ELb1ES3_N6thrust23THRUST_200600_302600_NS6detail15normal_iteratorINS9_10device_ptrIiEEEENSB_INSC_IjEEEENSB_INSC_IfEEEEfNS9_4plusIvEENS9_8equal_toIvEEfEE10hipError_tPvRmT2_T3_T4_T5_mT6_T7_P12ihipStream_tbENKUlT_T0_E_clISt17integral_constantIbLb0EES12_IbLb1EEEEDaSY_SZ_EUlSY_E_NS1_11comp_targetILNS1_3genE5ELNS1_11target_archE942ELNS1_3gpuE9ELNS1_3repE0EEENS1_30default_config_static_selectorELNS0_4arch9wavefront6targetE1EEEvT1_ ; -- Begin function _ZN7rocprim17ROCPRIM_400000_NS6detail17trampoline_kernelINS0_14default_configENS1_27scan_by_key_config_selectorIifEEZZNS1_16scan_by_key_implILNS1_25lookback_scan_determinismE0ELb1ES3_N6thrust23THRUST_200600_302600_NS6detail15normal_iteratorINS9_10device_ptrIiEEEENSB_INSC_IjEEEENSB_INSC_IfEEEEfNS9_4plusIvEENS9_8equal_toIvEEfEE10hipError_tPvRmT2_T3_T4_T5_mT6_T7_P12ihipStream_tbENKUlT_T0_E_clISt17integral_constantIbLb0EES12_IbLb1EEEEDaSY_SZ_EUlSY_E_NS1_11comp_targetILNS1_3genE5ELNS1_11target_archE942ELNS1_3gpuE9ELNS1_3repE0EEENS1_30default_config_static_selectorELNS0_4arch9wavefront6targetE1EEEvT1_
	.globl	_ZN7rocprim17ROCPRIM_400000_NS6detail17trampoline_kernelINS0_14default_configENS1_27scan_by_key_config_selectorIifEEZZNS1_16scan_by_key_implILNS1_25lookback_scan_determinismE0ELb1ES3_N6thrust23THRUST_200600_302600_NS6detail15normal_iteratorINS9_10device_ptrIiEEEENSB_INSC_IjEEEENSB_INSC_IfEEEEfNS9_4plusIvEENS9_8equal_toIvEEfEE10hipError_tPvRmT2_T3_T4_T5_mT6_T7_P12ihipStream_tbENKUlT_T0_E_clISt17integral_constantIbLb0EES12_IbLb1EEEEDaSY_SZ_EUlSY_E_NS1_11comp_targetILNS1_3genE5ELNS1_11target_archE942ELNS1_3gpuE9ELNS1_3repE0EEENS1_30default_config_static_selectorELNS0_4arch9wavefront6targetE1EEEvT1_
	.p2align	8
	.type	_ZN7rocprim17ROCPRIM_400000_NS6detail17trampoline_kernelINS0_14default_configENS1_27scan_by_key_config_selectorIifEEZZNS1_16scan_by_key_implILNS1_25lookback_scan_determinismE0ELb1ES3_N6thrust23THRUST_200600_302600_NS6detail15normal_iteratorINS9_10device_ptrIiEEEENSB_INSC_IjEEEENSB_INSC_IfEEEEfNS9_4plusIvEENS9_8equal_toIvEEfEE10hipError_tPvRmT2_T3_T4_T5_mT6_T7_P12ihipStream_tbENKUlT_T0_E_clISt17integral_constantIbLb0EES12_IbLb1EEEEDaSY_SZ_EUlSY_E_NS1_11comp_targetILNS1_3genE5ELNS1_11target_archE942ELNS1_3gpuE9ELNS1_3repE0EEENS1_30default_config_static_selectorELNS0_4arch9wavefront6targetE1EEEvT1_,@function
_ZN7rocprim17ROCPRIM_400000_NS6detail17trampoline_kernelINS0_14default_configENS1_27scan_by_key_config_selectorIifEEZZNS1_16scan_by_key_implILNS1_25lookback_scan_determinismE0ELb1ES3_N6thrust23THRUST_200600_302600_NS6detail15normal_iteratorINS9_10device_ptrIiEEEENSB_INSC_IjEEEENSB_INSC_IfEEEEfNS9_4plusIvEENS9_8equal_toIvEEfEE10hipError_tPvRmT2_T3_T4_T5_mT6_T7_P12ihipStream_tbENKUlT_T0_E_clISt17integral_constantIbLb0EES12_IbLb1EEEEDaSY_SZ_EUlSY_E_NS1_11comp_targetILNS1_3genE5ELNS1_11target_archE942ELNS1_3gpuE9ELNS1_3repE0EEENS1_30default_config_static_selectorELNS0_4arch9wavefront6targetE1EEEvT1_: ; @_ZN7rocprim17ROCPRIM_400000_NS6detail17trampoline_kernelINS0_14default_configENS1_27scan_by_key_config_selectorIifEEZZNS1_16scan_by_key_implILNS1_25lookback_scan_determinismE0ELb1ES3_N6thrust23THRUST_200600_302600_NS6detail15normal_iteratorINS9_10device_ptrIiEEEENSB_INSC_IjEEEENSB_INSC_IfEEEEfNS9_4plusIvEENS9_8equal_toIvEEfEE10hipError_tPvRmT2_T3_T4_T5_mT6_T7_P12ihipStream_tbENKUlT_T0_E_clISt17integral_constantIbLb0EES12_IbLb1EEEEDaSY_SZ_EUlSY_E_NS1_11comp_targetILNS1_3genE5ELNS1_11target_archE942ELNS1_3gpuE9ELNS1_3repE0EEENS1_30default_config_static_selectorELNS0_4arch9wavefront6targetE1EEEvT1_
; %bb.0:
	s_load_dword s74, s[0:1], 0x20
	s_load_dwordx4 s[64:67], s[0:1], 0x28
	s_load_dwordx2 s[72:73], s[0:1], 0x38
	v_cmp_ne_u32_e64 s[4:5], 0, v0
	v_cmp_eq_u32_e64 s[52:53], 0, v0
	s_and_saveexec_b64 s[2:3], s[52:53]
	s_cbranch_execz .LBB1709_4
; %bb.1:
	s_mov_b64 s[8:9], exec
	v_mbcnt_lo_u32_b32 v1, s8, 0
	v_mbcnt_hi_u32_b32 v1, s9, v1
	v_cmp_eq_u32_e32 vcc, 0, v1
                                        ; implicit-def: $vgpr2
	s_and_saveexec_b64 s[6:7], vcc
	s_cbranch_execz .LBB1709_3
; %bb.2:
	s_load_dwordx2 s[10:11], s[0:1], 0x68
	s_bcnt1_i32_b64 s8, s[8:9]
	v_mov_b32_e32 v2, 0
	v_mov_b32_e32 v3, s8
	s_waitcnt lgkmcnt(0)
	global_atomic_add v2, v2, v3, s[10:11] sc0
.LBB1709_3:
	s_or_b64 exec, exec, s[6:7]
	s_waitcnt vmcnt(0)
	v_readfirstlane_b32 s6, v2
	v_mov_b32_e32 v2, 0
	s_nop 0
	v_add_u32_e32 v1, s6, v1
	ds_write_b32 v2, v1
.LBB1709_4:
	s_or_b64 exec, exec, s[2:3]
	s_load_dwordx8 s[56:63], s[0:1], 0x0
	s_load_dword s2, s[0:1], 0x40
	s_load_dwordx4 s[68:71], s[0:1], 0x48
	v_mov_b32_e32 v7, 0
	s_waitcnt lgkmcnt(0)
	s_lshl_b64 s[54:55], s[58:59], 2
	s_barrier
	ds_read_b32 v6, v7
	s_add_u32 s0, s56, s54
	s_addc_u32 s1, s57, s55
	s_add_u32 s6, s60, s54
	s_mul_i32 s3, s73, s2
	s_mul_hi_u32 s8, s72, s2
	s_addc_u32 s7, s61, s55
	s_add_i32 s3, s8, s3
	s_movk_i32 s8, 0x1700
	s_waitcnt lgkmcnt(0)
	v_mul_lo_u32 v2, v6, s8
	v_mov_b32_e32 v3, v7
	v_lshlrev_b64 v[10:11], 2, v[2:3]
	s_mul_i32 s2, s72, s2
	v_lshl_add_u64 v[2:3], s[6:7], 0, v[10:11]
	s_add_u32 s6, s68, -1
	v_readfirstlane_b32 s67, v6
	v_lshl_add_u64 v[6:7], s[2:3], 0, v[6:7]
	s_addc_u32 s7, s69, -1
	v_cmp_le_u64_e64 s[2:3], s[6:7], v[6:7]
	v_lshl_add_u64 v[4:5], s[0:1], 0, v[10:11]
	s_mov_b64 s[0:1], -1
	s_and_b64 vcc, exec, s[2:3]
	s_mul_i32 s33, s6, 0xffffe900
	s_barrier
	s_barrier
	s_cbranch_vccz .LBB1709_75
; %bb.5:
	flat_load_dword v1, v[4:5]
	s_add_i32 s60, s33, s66
	v_cmp_gt_u32_e32 vcc, s60, v0
	s_waitcnt vmcnt(0) lgkmcnt(0)
	v_mov_b32_e32 v6, v1
	s_and_saveexec_b64 s[0:1], vcc
	s_cbranch_execz .LBB1709_7
; %bb.6:
	v_lshlrev_b32_e32 v6, 2, v0
	v_mov_b32_e32 v7, 0
	v_lshl_add_u64 v[6:7], v[4:5], 0, v[6:7]
	flat_load_dword v6, v[6:7]
.LBB1709_7:
	s_or_b64 exec, exec, s[0:1]
	v_or_b32_e32 v7, 0x100, v0
	v_cmp_gt_u32_e64 s[6:7], s60, v7
	v_mov_b32_e32 v7, v1
	s_and_saveexec_b64 s[0:1], s[6:7]
	s_cbranch_execz .LBB1709_9
; %bb.8:
	v_lshlrev_b32_e32 v8, 2, v0
	v_mov_b32_e32 v9, 0
	v_lshl_add_u64 v[8:9], v[4:5], 0, v[8:9]
	flat_load_dword v7, v[8:9] offset:1024
.LBB1709_9:
	s_or_b64 exec, exec, s[0:1]
	v_or_b32_e32 v8, 0x200, v0
	v_cmp_gt_u32_e64 s[8:9], s60, v8
	v_mov_b32_e32 v8, v1
	s_and_saveexec_b64 s[0:1], s[8:9]
	s_cbranch_execz .LBB1709_11
; %bb.10:
	v_lshlrev_b32_e32 v8, 2, v0
	v_mov_b32_e32 v9, 0
	v_lshl_add_u64 v[8:9], v[4:5], 0, v[8:9]
	flat_load_dword v8, v[8:9] offset:2048
.LBB1709_11:
	;; [unrolled: 12-line block ×3, first 2 shown]
	s_or_b64 exec, exec, s[0:1]
	v_or_b32_e32 v12, 0x400, v0
	v_cmp_gt_u32_e64 s[12:13], s60, v12
	v_lshlrev_b32_e32 v30, 2, v12
	v_mov_b32_e32 v12, v1
	s_and_saveexec_b64 s[0:1], s[12:13]
	s_cbranch_execz .LBB1709_15
; %bb.14:
	v_mov_b32_e32 v31, 0
	v_lshl_add_u64 v[12:13], v[4:5], 0, v[30:31]
	flat_load_dword v12, v[12:13]
.LBB1709_15:
	s_or_b64 exec, exec, s[0:1]
	v_or_b32_e32 v13, 0x500, v0
	v_cmp_gt_u32_e64 s[14:15], s60, v13
	v_lshlrev_b32_e32 v32, 2, v13
	v_mov_b32_e32 v13, v1
	s_and_saveexec_b64 s[0:1], s[14:15]
	s_cbranch_execz .LBB1709_17
; %bb.16:
	v_mov_b32_e32 v33, 0
	v_lshl_add_u64 v[14:15], v[4:5], 0, v[32:33]
	flat_load_dword v13, v[14:15]
.LBB1709_17:
	;; [unrolled: 12-line block ×18, first 2 shown]
	s_or_b64 exec, exec, s[0:1]
	v_or_b32_e32 v31, 0x1600, v0
	v_cmp_gt_u32_e64 s[50:51], s60, v31
	v_lshlrev_b32_e32 v68, 2, v31
	s_and_saveexec_b64 s[0:1], s[50:51]
	s_cbranch_execz .LBB1709_51
; %bb.50:
	v_mov_b32_e32 v69, 0
	v_lshl_add_u64 v[66:67], v[4:5], 0, v[68:69]
	flat_load_dword v1, v[66:67]
.LBB1709_51:
	s_or_b64 exec, exec, s[0:1]
	v_lshlrev_b32_e32 v66, 2, v0
	s_waitcnt vmcnt(0) lgkmcnt(0)
	ds_write2st64_b32 v66, v6, v7 offset1:4
	ds_write2st64_b32 v66, v8, v9 offset0:8 offset1:12
	ds_write2st64_b32 v66, v12, v13 offset0:16 offset1:20
	ds_write2st64_b32 v66, v14, v15 offset0:24 offset1:28
	ds_write2st64_b32 v66, v16, v17 offset0:32 offset1:36
	ds_write2st64_b32 v66, v18, v19 offset0:40 offset1:44
	ds_write2st64_b32 v66, v20, v21 offset0:48 offset1:52
	ds_write2st64_b32 v66, v22, v23 offset0:56 offset1:60
	ds_write2st64_b32 v66, v24, v25 offset0:64 offset1:68
	ds_write2st64_b32 v66, v26, v27 offset0:72 offset1:76
	ds_write2st64_b32 v66, v28, v29 offset0:80 offset1:84
	ds_write_b32 v66, v1 offset:22528
	s_waitcnt lgkmcnt(0)
	s_barrier
	flat_load_dword v75, v[4:5]
	s_movk_i32 s0, 0x58
	v_mad_u32_u24 v76, v0, s0, v66
	s_movk_i32 s0, 0xffa8
	v_mad_i32_i24 v1, v0, s0, v76
	s_movk_i32 s0, 0xff
	v_cmp_ne_u32_e64 s[0:1], s0, v0
	ds_read_b32 v78, v76
	ds_read2_b32 v[28:29], v76 offset0:1 offset1:2
	ds_read2_b32 v[26:27], v76 offset0:3 offset1:4
	;; [unrolled: 1-line block ×11, first 2 shown]
	s_waitcnt lgkmcnt(0)
	ds_write_b32 v1, v78 offset:24576
	s_waitcnt lgkmcnt(0)
	s_barrier
	s_and_saveexec_b64 s[56:57], s[0:1]
	s_cbranch_execz .LBB1709_53
; %bb.52:
	s_waitcnt vmcnt(0)
	ds_read_b32 v75, v66 offset:24580
.LBB1709_53:
	s_or_b64 exec, exec, s[56:57]
	v_mov_b32_e32 v67, 0
	s_waitcnt lgkmcnt(0)
	s_barrier
	s_waitcnt lgkmcnt(0)
                                        ; implicit-def: $vgpr1
	s_and_saveexec_b64 s[0:1], vcc
	s_cbranch_execz .LBB1709_76
; %bb.54:
	v_lshl_add_u64 v[70:71], v[2:3], 0, v[66:67]
	flat_load_dword v1, v[70:71]
	s_waitcnt vmcnt(0) lgkmcnt(0)
	v_cvt_f32_u32_e32 v1, v1
	s_or_b64 exec, exec, s[0:1]
                                        ; implicit-def: $vgpr70
	s_and_saveexec_b64 s[0:1], s[6:7]
	s_cbranch_execnz .LBB1709_77
.LBB1709_55:
	s_or_b64 exec, exec, s[0:1]
                                        ; implicit-def: $vgpr71
	s_and_saveexec_b64 s[0:1], s[8:9]
	s_cbranch_execz .LBB1709_78
.LBB1709_56:
	v_mov_b32_e32 v67, 0
	v_lshl_add_u64 v[72:73], v[2:3], 0, v[66:67]
	flat_load_dword v31, v[72:73] offset:2048
	s_waitcnt vmcnt(0) lgkmcnt(0)
	v_cvt_f32_u32_e32 v71, v31
	s_or_b64 exec, exec, s[0:1]
                                        ; implicit-def: $vgpr67
	s_and_saveexec_b64 s[0:1], s[10:11]
	s_cbranch_execnz .LBB1709_79
.LBB1709_57:
	s_or_b64 exec, exec, s[0:1]
                                        ; implicit-def: $vgpr31
	s_and_saveexec_b64 s[0:1], s[12:13]
	s_cbranch_execz .LBB1709_80
.LBB1709_58:
	v_mov_b32_e32 v31, 0
	v_lshl_add_u64 v[30:31], v[2:3], 0, v[30:31]
	flat_load_dword v30, v[30:31]
	s_waitcnt vmcnt(0) lgkmcnt(0)
	v_cvt_f32_u32_e32 v31, v30
	s_or_b64 exec, exec, s[0:1]
                                        ; implicit-def: $vgpr30
	s_and_saveexec_b64 s[0:1], s[14:15]
	s_cbranch_execnz .LBB1709_81
.LBB1709_59:
	s_or_b64 exec, exec, s[0:1]
                                        ; implicit-def: $vgpr32
	s_and_saveexec_b64 s[0:1], s[16:17]
	s_cbranch_execz .LBB1709_82
.LBB1709_60:
	v_mov_b32_e32 v35, 0
	v_lshl_add_u64 v[32:33], v[2:3], 0, v[34:35]
	flat_load_dword v32, v[32:33]
	s_waitcnt vmcnt(0) lgkmcnt(0)
	v_cvt_f32_u32_e32 v32, v32
	s_or_b64 exec, exec, s[0:1]
                                        ; implicit-def: $vgpr33
	s_and_saveexec_b64 s[0:1], s[18:19]
	s_cbranch_execnz .LBB1709_83
.LBB1709_61:
	s_or_b64 exec, exec, s[0:1]
                                        ; implicit-def: $vgpr34
	s_and_saveexec_b64 s[0:1], s[20:21]
	s_cbranch_execz .LBB1709_84
.LBB1709_62:
	v_mov_b32_e32 v39, 0
	v_lshl_add_u64 v[34:35], v[2:3], 0, v[38:39]
	flat_load_dword v34, v[34:35]
	s_waitcnt vmcnt(0) lgkmcnt(0)
	v_cvt_f32_u32_e32 v34, v34
	s_or_b64 exec, exec, s[0:1]
                                        ; implicit-def: $vgpr35
	s_and_saveexec_b64 s[0:1], s[22:23]
	s_cbranch_execnz .LBB1709_85
.LBB1709_63:
	s_or_b64 exec, exec, s[0:1]
                                        ; implicit-def: $vgpr36
	s_and_saveexec_b64 s[0:1], s[24:25]
	s_cbranch_execz .LBB1709_86
.LBB1709_64:
	v_mov_b32_e32 v43, 0
	v_lshl_add_u64 v[36:37], v[2:3], 0, v[42:43]
	flat_load_dword v36, v[36:37]
	s_waitcnt vmcnt(0) lgkmcnt(0)
	v_cvt_f32_u32_e32 v36, v36
	s_or_b64 exec, exec, s[0:1]
                                        ; implicit-def: $vgpr37
	s_and_saveexec_b64 s[0:1], s[26:27]
	s_cbranch_execnz .LBB1709_87
.LBB1709_65:
	s_or_b64 exec, exec, s[0:1]
                                        ; implicit-def: $vgpr38
	s_and_saveexec_b64 s[0:1], s[28:29]
	s_cbranch_execz .LBB1709_88
.LBB1709_66:
	v_mov_b32_e32 v47, 0
	v_lshl_add_u64 v[38:39], v[2:3], 0, v[46:47]
	flat_load_dword v38, v[38:39]
	s_waitcnt vmcnt(0) lgkmcnt(0)
	v_cvt_f32_u32_e32 v38, v38
	s_or_b64 exec, exec, s[0:1]
                                        ; implicit-def: $vgpr39
	s_and_saveexec_b64 s[0:1], s[30:31]
	s_cbranch_execnz .LBB1709_89
.LBB1709_67:
	s_or_b64 exec, exec, s[0:1]
                                        ; implicit-def: $vgpr40
	s_and_saveexec_b64 s[0:1], s[34:35]
	s_cbranch_execz .LBB1709_90
.LBB1709_68:
	v_mov_b32_e32 v51, 0
	v_lshl_add_u64 v[40:41], v[2:3], 0, v[50:51]
	flat_load_dword v40, v[40:41]
	s_waitcnt vmcnt(0) lgkmcnt(0)
	v_cvt_f32_u32_e32 v40, v40
	s_or_b64 exec, exec, s[0:1]
                                        ; implicit-def: $vgpr41
	s_and_saveexec_b64 s[0:1], s[36:37]
	s_cbranch_execnz .LBB1709_91
.LBB1709_69:
	s_or_b64 exec, exec, s[0:1]
                                        ; implicit-def: $vgpr42
	s_and_saveexec_b64 s[0:1], s[38:39]
	s_cbranch_execz .LBB1709_92
.LBB1709_70:
	v_mov_b32_e32 v55, 0
	v_lshl_add_u64 v[42:43], v[2:3], 0, v[54:55]
	flat_load_dword v42, v[42:43]
	s_waitcnt vmcnt(0) lgkmcnt(0)
	v_cvt_f32_u32_e32 v42, v42
	s_or_b64 exec, exec, s[0:1]
                                        ; implicit-def: $vgpr43
	s_and_saveexec_b64 s[0:1], s[40:41]
	s_cbranch_execnz .LBB1709_93
.LBB1709_71:
	s_or_b64 exec, exec, s[0:1]
                                        ; implicit-def: $vgpr44
	s_and_saveexec_b64 s[0:1], s[42:43]
	s_cbranch_execz .LBB1709_94
.LBB1709_72:
	v_mov_b32_e32 v59, 0
	v_lshl_add_u64 v[44:45], v[2:3], 0, v[58:59]
	flat_load_dword v44, v[44:45]
	s_waitcnt vmcnt(0) lgkmcnt(0)
	v_cvt_f32_u32_e32 v44, v44
	s_or_b64 exec, exec, s[0:1]
                                        ; implicit-def: $vgpr45
	s_and_saveexec_b64 s[0:1], s[44:45]
	s_cbranch_execnz .LBB1709_95
.LBB1709_73:
	s_or_b64 exec, exec, s[0:1]
                                        ; implicit-def: $vgpr46
	s_and_saveexec_b64 s[0:1], s[46:47]
	s_cbranch_execz .LBB1709_96
.LBB1709_74:
	v_mov_b32_e32 v63, 0
	v_lshl_add_u64 v[46:47], v[2:3], 0, v[62:63]
	flat_load_dword v46, v[46:47]
	s_waitcnt vmcnt(0) lgkmcnt(0)
	v_cvt_f32_u32_e32 v46, v46
	s_or_b64 exec, exec, s[0:1]
                                        ; implicit-def: $vgpr47
	s_and_saveexec_b64 s[0:1], s[48:49]
	s_cbranch_execz .LBB1709_98
	s_branch .LBB1709_97
.LBB1709_75:
	s_mov_b64 s[10:11], 0
                                        ; implicit-def: $sgpr8_sgpr9
                                        ; implicit-def: $vgpr74
                                        ; implicit-def: $vgpr1
                                        ; implicit-def: $vgpr30
                                        ; implicit-def: $vgpr54
                                        ; implicit-def: $vgpr50
                                        ; implicit-def: $vgpr62
                                        ; implicit-def: $vgpr73
                                        ; implicit-def: $vgpr51
                                        ; implicit-def: $vgpr60
                                        ; implicit-def: $vgpr72
                                        ; implicit-def: $vgpr48
                                        ; implicit-def: $vgpr33
                                        ; implicit-def: $vgpr71
                                        ; implicit-def: $vgpr52
                                        ; implicit-def: $vgpr32
                                        ; implicit-def: $vgpr70
                                        ; implicit-def: $vgpr49
                                        ; implicit-def: $vgpr35
                                        ; implicit-def: $vgpr69
                                        ; implicit-def: $vgpr53
                                        ; implicit-def: $vgpr34
                                        ; implicit-def: $vgpr68
                                        ; implicit-def: $vgpr46
                                        ; implicit-def: $vgpr37
                                        ; implicit-def: $vgpr67
                                        ; implicit-def: $vgpr55
                                        ; implicit-def: $vgpr36
                                        ; implicit-def: $vgpr66
                                        ; implicit-def: $vgpr47
                                        ; implicit-def: $vgpr39
                                        ; implicit-def: $vgpr65
                                        ; implicit-def: $vgpr56
                                        ; implicit-def: $vgpr38
                                        ; implicit-def: $vgpr64
                                        ; implicit-def: $vgpr44
                                        ; implicit-def: $vgpr41
                                        ; implicit-def: $vgpr63
                                        ; implicit-def: $vgpr57
                                        ; implicit-def: $vgpr40
                                        ; implicit-def: $vgpr61
                                        ; implicit-def: $vgpr45
                                        ; implicit-def: $vgpr43
                                        ; implicit-def: $vgpr59
                                        ; implicit-def: $vgpr58
                                        ; implicit-def: $vgpr42
                                        ; implicit-def: $sgpr6
                                        ; implicit-def: $sgpr68
	s_and_b64 vcc, exec, s[0:1]
	v_lshlrev_b32_e32 v12, 2, v0
	s_cbranch_vccz .LBB1709_152
	s_branch .LBB1709_147
.LBB1709_76:
	s_or_b64 exec, exec, s[0:1]
                                        ; implicit-def: $vgpr70
	s_and_saveexec_b64 s[0:1], s[6:7]
	s_cbranch_execz .LBB1709_55
.LBB1709_77:
	v_mov_b32_e32 v67, 0
	v_lshl_add_u64 v[70:71], v[2:3], 0, v[66:67]
	flat_load_dword v31, v[70:71] offset:1024
	s_waitcnt vmcnt(0) lgkmcnt(0)
	v_cvt_f32_u32_e32 v70, v31
	s_or_b64 exec, exec, s[0:1]
                                        ; implicit-def: $vgpr71
	s_and_saveexec_b64 s[0:1], s[8:9]
	s_cbranch_execnz .LBB1709_56
.LBB1709_78:
	s_or_b64 exec, exec, s[0:1]
                                        ; implicit-def: $vgpr67
	s_and_saveexec_b64 s[0:1], s[10:11]
	s_cbranch_execz .LBB1709_57
.LBB1709_79:
	v_mov_b32_e32 v67, 0
	v_lshl_add_u64 v[72:73], v[2:3], 0, v[66:67]
	flat_load_dword v31, v[72:73] offset:3072
	s_waitcnt vmcnt(0) lgkmcnt(0)
	v_cvt_f32_u32_e32 v67, v31
	s_or_b64 exec, exec, s[0:1]
                                        ; implicit-def: $vgpr31
	s_and_saveexec_b64 s[0:1], s[12:13]
	s_cbranch_execnz .LBB1709_58
.LBB1709_80:
	s_or_b64 exec, exec, s[0:1]
                                        ; implicit-def: $vgpr30
	s_and_saveexec_b64 s[0:1], s[14:15]
	s_cbranch_execz .LBB1709_59
.LBB1709_81:
	v_mov_b32_e32 v33, 0
	v_lshl_add_u64 v[32:33], v[2:3], 0, v[32:33]
	flat_load_dword v30, v[32:33]
	s_waitcnt vmcnt(0) lgkmcnt(0)
	v_cvt_f32_u32_e32 v30, v30
	s_or_b64 exec, exec, s[0:1]
                                        ; implicit-def: $vgpr32
	s_and_saveexec_b64 s[0:1], s[16:17]
	s_cbranch_execnz .LBB1709_60
.LBB1709_82:
	s_or_b64 exec, exec, s[0:1]
                                        ; implicit-def: $vgpr33
	s_and_saveexec_b64 s[0:1], s[18:19]
	s_cbranch_execz .LBB1709_61
.LBB1709_83:
	v_mov_b32_e32 v37, 0
	v_lshl_add_u64 v[34:35], v[2:3], 0, v[36:37]
	flat_load_dword v33, v[34:35]
	s_waitcnt vmcnt(0) lgkmcnt(0)
	v_cvt_f32_u32_e32 v33, v33
	s_or_b64 exec, exec, s[0:1]
                                        ; implicit-def: $vgpr34
	s_and_saveexec_b64 s[0:1], s[20:21]
	s_cbranch_execnz .LBB1709_62
.LBB1709_84:
	s_or_b64 exec, exec, s[0:1]
                                        ; implicit-def: $vgpr35
	s_and_saveexec_b64 s[0:1], s[22:23]
	s_cbranch_execz .LBB1709_63
.LBB1709_85:
	v_mov_b32_e32 v41, 0
	v_lshl_add_u64 v[36:37], v[2:3], 0, v[40:41]
	flat_load_dword v35, v[36:37]
	s_waitcnt vmcnt(0) lgkmcnt(0)
	v_cvt_f32_u32_e32 v35, v35
	s_or_b64 exec, exec, s[0:1]
                                        ; implicit-def: $vgpr36
	s_and_saveexec_b64 s[0:1], s[24:25]
	s_cbranch_execnz .LBB1709_64
.LBB1709_86:
	s_or_b64 exec, exec, s[0:1]
                                        ; implicit-def: $vgpr37
	s_and_saveexec_b64 s[0:1], s[26:27]
	s_cbranch_execz .LBB1709_65
.LBB1709_87:
	v_mov_b32_e32 v45, 0
	v_lshl_add_u64 v[38:39], v[2:3], 0, v[44:45]
	flat_load_dword v37, v[38:39]
	s_waitcnt vmcnt(0) lgkmcnt(0)
	v_cvt_f32_u32_e32 v37, v37
	s_or_b64 exec, exec, s[0:1]
                                        ; implicit-def: $vgpr38
	s_and_saveexec_b64 s[0:1], s[28:29]
	s_cbranch_execnz .LBB1709_66
.LBB1709_88:
	s_or_b64 exec, exec, s[0:1]
                                        ; implicit-def: $vgpr39
	s_and_saveexec_b64 s[0:1], s[30:31]
	s_cbranch_execz .LBB1709_67
.LBB1709_89:
	v_mov_b32_e32 v49, 0
	v_lshl_add_u64 v[40:41], v[2:3], 0, v[48:49]
	flat_load_dword v39, v[40:41]
	s_waitcnt vmcnt(0) lgkmcnt(0)
	v_cvt_f32_u32_e32 v39, v39
	s_or_b64 exec, exec, s[0:1]
                                        ; implicit-def: $vgpr40
	s_and_saveexec_b64 s[0:1], s[34:35]
	s_cbranch_execnz .LBB1709_68
.LBB1709_90:
	s_or_b64 exec, exec, s[0:1]
                                        ; implicit-def: $vgpr41
	s_and_saveexec_b64 s[0:1], s[36:37]
	s_cbranch_execz .LBB1709_69
.LBB1709_91:
	v_mov_b32_e32 v53, 0
	v_lshl_add_u64 v[42:43], v[2:3], 0, v[52:53]
	flat_load_dword v41, v[42:43]
	s_waitcnt vmcnt(0) lgkmcnt(0)
	v_cvt_f32_u32_e32 v41, v41
	s_or_b64 exec, exec, s[0:1]
                                        ; implicit-def: $vgpr42
	s_and_saveexec_b64 s[0:1], s[38:39]
	s_cbranch_execnz .LBB1709_70
.LBB1709_92:
	s_or_b64 exec, exec, s[0:1]
                                        ; implicit-def: $vgpr43
	s_and_saveexec_b64 s[0:1], s[40:41]
	s_cbranch_execz .LBB1709_71
.LBB1709_93:
	v_mov_b32_e32 v57, 0
	v_lshl_add_u64 v[44:45], v[2:3], 0, v[56:57]
	flat_load_dword v43, v[44:45]
	s_waitcnt vmcnt(0) lgkmcnt(0)
	v_cvt_f32_u32_e32 v43, v43
	s_or_b64 exec, exec, s[0:1]
                                        ; implicit-def: $vgpr44
	s_and_saveexec_b64 s[0:1], s[42:43]
	s_cbranch_execnz .LBB1709_72
.LBB1709_94:
	s_or_b64 exec, exec, s[0:1]
                                        ; implicit-def: $vgpr45
	s_and_saveexec_b64 s[0:1], s[44:45]
	s_cbranch_execz .LBB1709_73
.LBB1709_95:
	v_mov_b32_e32 v61, 0
	v_lshl_add_u64 v[46:47], v[2:3], 0, v[60:61]
	flat_load_dword v45, v[46:47]
	s_waitcnt vmcnt(0) lgkmcnt(0)
	v_cvt_f32_u32_e32 v45, v45
	s_or_b64 exec, exec, s[0:1]
                                        ; implicit-def: $vgpr46
	s_and_saveexec_b64 s[0:1], s[46:47]
	s_cbranch_execnz .LBB1709_74
.LBB1709_96:
	s_or_b64 exec, exec, s[0:1]
                                        ; implicit-def: $vgpr47
	s_and_saveexec_b64 s[0:1], s[48:49]
	s_cbranch_execz .LBB1709_98
.LBB1709_97:
	v_mov_b32_e32 v65, 0
	v_lshl_add_u64 v[48:49], v[2:3], 0, v[64:65]
	flat_load_dword v47, v[48:49]
	s_waitcnt vmcnt(0) lgkmcnt(0)
	v_cvt_f32_u32_e32 v47, v47
.LBB1709_98:
	s_or_b64 exec, exec, s[0:1]
	v_mul_u32_u24_e32 v77, 23, v0
                                        ; implicit-def: $vgpr48
	s_and_saveexec_b64 s[0:1], s[50:51]
	s_cbranch_execz .LBB1709_100
; %bb.99:
	v_mov_b32_e32 v69, 0
	v_lshl_add_u64 v[48:49], v[2:3], 0, v[68:69]
	flat_load_dword v48, v[48:49]
	s_waitcnt vmcnt(0) lgkmcnt(0)
	v_cvt_f32_u32_e32 v48, v48
.LBB1709_100:
	s_or_b64 exec, exec, s[0:1]
	ds_write2st64_b32 v66, v1, v70 offset1:4
	ds_write2st64_b32 v66, v71, v67 offset0:8 offset1:12
	ds_write2st64_b32 v66, v31, v30 offset0:16 offset1:20
	ds_write2st64_b32 v66, v32, v33 offset0:24 offset1:28
	ds_write2st64_b32 v66, v34, v35 offset0:32 offset1:36
	ds_write2st64_b32 v66, v36, v37 offset0:40 offset1:44
	ds_write2st64_b32 v66, v38, v39 offset0:48 offset1:52
	ds_write2st64_b32 v66, v40, v41 offset0:56 offset1:60
	ds_write2st64_b32 v66, v42, v43 offset0:64 offset1:68
	ds_write2st64_b32 v66, v44, v45 offset0:72 offset1:76
	ds_write2st64_b32 v66, v46, v47 offset0:80 offset1:84
	ds_write_b32 v66, v48 offset:22528
	v_cmp_gt_u32_e32 vcc, s60, v77
	s_mov_b64 s[0:1], 0
	s_mov_b32 s68, 0
	v_mov_b32_e32 v1, 0
	v_mov_b32_e32 v30, 0
	s_mov_b64 s[10:11], 0
	v_mov_b32_e32 v54, 0
	v_mov_b32_e32 v50, 0
	v_mov_b32_e32 v62, 0
	v_mov_b32_e32 v73, 0
	v_mov_b32_e32 v51, 0
	v_mov_b32_e32 v60, 0
	v_mov_b32_e32 v72, 0
	v_mov_b32_e32 v48, 0
	v_mov_b32_e32 v33, 0
	v_mov_b32_e32 v71, 0
	v_mov_b32_e32 v52, 0
	v_mov_b32_e32 v32, 0
	v_mov_b32_e32 v70, 0
	v_mov_b32_e32 v49, 0
	v_mov_b32_e32 v35, 0
	v_mov_b32_e32 v69, 0
	v_mov_b32_e32 v53, 0
	v_mov_b32_e32 v34, 0
	v_mov_b32_e32 v68, 0
	v_mov_b32_e32 v46, 0
	v_mov_b32_e32 v37, 0
	v_mov_b32_e32 v67, 0
	v_mov_b32_e32 v55, 0
	v_mov_b32_e32 v36, 0
	v_mov_b32_e32 v66, 0
	v_mov_b32_e32 v47, 0
	v_mov_b32_e32 v39, 0
	v_mov_b32_e32 v65, 0
	v_mov_b32_e32 v56, 0
	v_mov_b32_e32 v38, 0
	v_mov_b32_e32 v64, 0
	v_mov_b32_e32 v44, 0
	v_mov_b32_e32 v41, 0
	v_mov_b32_e32 v63, 0
	v_mov_b32_e32 v57, 0
	v_mov_b32_e32 v40, 0
	v_mov_b32_e32 v61, 0
	v_mov_b32_e32 v45, 0
	v_mov_b32_e32 v43, 0
	v_mov_b32_e32 v59, 0
	v_mov_b32_e32 v58, 0
	v_mov_b32_e32 v42, 0
	s_waitcnt lgkmcnt(0)
	s_barrier
	s_waitcnt lgkmcnt(0)
                                        ; implicit-def: $sgpr8_sgpr9
                                        ; implicit-def: $vgpr74
	s_and_saveexec_b64 s[6:7], vcc
	s_cbranch_execz .LBB1709_146
; %bb.101:
	ds_read_b32 v30, v76
	v_add_u32_e32 v31, 1, v77
	v_cmp_ne_u32_e32 vcc, v78, v28
	v_mov_b32_e32 v32, s74
	v_mov_b32_e32 v54, 0
	v_cndmask_b32_e64 v1, 0, 1, vcc
	s_waitcnt lgkmcnt(0)
	v_cndmask_b32_e32 v50, v30, v32, vcc
	v_cmp_gt_u32_e32 vcc, s60, v31
	v_mov_b32_e32 v30, 0
	v_mov_b32_e32 v62, 0
	;; [unrolled: 1-line block ×41, first 2 shown]
                                        ; implicit-def: $sgpr12_sgpr13
                                        ; implicit-def: $vgpr74
	s_and_saveexec_b64 s[8:9], vcc
	s_cbranch_execz .LBB1709_145
; %bb.102:
	ds_read2_b32 v[30:31], v76 offset0:1 offset1:2
	v_add_u32_e32 v32, 2, v77
	v_cmp_ne_u32_e32 vcc, v28, v29
	v_mov_b32_e32 v28, s74
	s_mov_b64 s[14:15], 0
	v_cndmask_b32_e64 v51, 0, 1, vcc
	s_waitcnt lgkmcnt(0)
	v_cndmask_b32_e32 v48, v30, v28, vcc
	v_cmp_gt_u32_e32 vcc, s60, v32
	v_mov_b32_e32 v30, 0
	v_mov_b32_e32 v54, 0
	;; [unrolled: 1-line block ×40, first 2 shown]
                                        ; implicit-def: $sgpr12_sgpr13
                                        ; implicit-def: $vgpr74
	s_and_saveexec_b64 s[10:11], vcc
	s_cbranch_execz .LBB1709_144
; %bb.103:
	v_add_u32_e32 v28, 3, v77
	v_cmp_ne_u32_e32 vcc, v29, v26
	v_mov_b32_e32 v29, s74
	v_mov_b32_e32 v30, 0
	v_cndmask_b32_e64 v52, 0, 1, vcc
	v_cndmask_b32_e32 v49, v31, v29, vcc
	v_cmp_gt_u32_e32 vcc, s60, v28
	v_mov_b32_e32 v54, 0
	v_mov_b32_e32 v62, 0
	;; [unrolled: 1-line block ×37, first 2 shown]
                                        ; implicit-def: $sgpr16_sgpr17
                                        ; implicit-def: $vgpr74
	s_and_saveexec_b64 s[12:13], vcc
	s_cbranch_execz .LBB1709_143
; %bb.104:
	ds_read2_b32 v[28:29], v76 offset0:3 offset1:4
	v_add_u32_e32 v30, 4, v77
	v_cmp_ne_u32_e32 vcc, v26, v27
	v_mov_b32_e32 v26, s74
	s_mov_b64 s[18:19], 0
	v_cndmask_b32_e64 v53, 0, 1, vcc
	s_waitcnt lgkmcnt(0)
	v_cndmask_b32_e32 v46, v28, v26, vcc
	v_cmp_gt_u32_e32 vcc, s60, v30
	v_mov_b32_e32 v30, 0
	v_mov_b32_e32 v54, 0
	;; [unrolled: 1-line block ×36, first 2 shown]
                                        ; implicit-def: $sgpr16_sgpr17
                                        ; implicit-def: $vgpr74
	s_and_saveexec_b64 s[14:15], vcc
	s_cbranch_execz .LBB1709_142
; %bb.105:
	v_add_u32_e32 v26, 5, v77
	v_cmp_ne_u32_e32 vcc, v27, v24
	v_mov_b32_e32 v27, s74
	v_mov_b32_e32 v30, 0
	v_cndmask_b32_e64 v55, 0, 1, vcc
	v_cndmask_b32_e32 v47, v29, v27, vcc
	v_cmp_gt_u32_e32 vcc, s60, v26
	v_mov_b32_e32 v54, 0
	v_mov_b32_e32 v62, 0
	;; [unrolled: 1-line block ×33, first 2 shown]
                                        ; implicit-def: $sgpr20_sgpr21
                                        ; implicit-def: $vgpr74
	s_and_saveexec_b64 s[16:17], vcc
	s_cbranch_execz .LBB1709_141
; %bb.106:
	ds_read2_b32 v[26:27], v76 offset0:5 offset1:6
	v_add_u32_e32 v28, 6, v77
	v_cmp_ne_u32_e32 vcc, v24, v25
	v_mov_b32_e32 v24, s74
	s_mov_b64 s[22:23], 0
	v_cndmask_b32_e64 v56, 0, 1, vcc
	s_waitcnt lgkmcnt(0)
	v_cndmask_b32_e32 v44, v26, v24, vcc
	v_cmp_gt_u32_e32 vcc, s60, v28
	v_mov_b32_e32 v30, 0
	v_mov_b32_e32 v54, 0
	;; [unrolled: 1-line block ×32, first 2 shown]
                                        ; implicit-def: $sgpr20_sgpr21
                                        ; implicit-def: $vgpr74
	s_and_saveexec_b64 s[18:19], vcc
	s_cbranch_execz .LBB1709_140
; %bb.107:
	v_add_u32_e32 v24, 7, v77
	v_cmp_ne_u32_e32 vcc, v25, v22
	v_mov_b32_e32 v25, s74
	v_mov_b32_e32 v30, 0
	v_cndmask_b32_e64 v57, 0, 1, vcc
	v_cndmask_b32_e32 v45, v27, v25, vcc
	v_cmp_gt_u32_e32 vcc, s60, v24
	v_mov_b32_e32 v54, 0
	v_mov_b32_e32 v62, 0
	;; [unrolled: 1-line block ×29, first 2 shown]
                                        ; implicit-def: $sgpr24_sgpr25
                                        ; implicit-def: $vgpr74
	s_and_saveexec_b64 s[20:21], vcc
	s_cbranch_execz .LBB1709_139
; %bb.108:
	ds_read2_b32 v[24:25], v76 offset0:7 offset1:8
	v_add_u32_e32 v26, 8, v77
	v_cmp_ne_u32_e32 vcc, v22, v23
	v_mov_b32_e32 v22, s74
	s_mov_b64 s[26:27], 0
	v_cndmask_b32_e64 v58, 0, 1, vcc
	s_waitcnt lgkmcnt(0)
	v_cndmask_b32_e32 v42, v24, v22, vcc
	v_cmp_gt_u32_e32 vcc, s60, v26
	v_mov_b32_e32 v30, 0
	v_mov_b32_e32 v54, 0
	;; [unrolled: 1-line block ×28, first 2 shown]
                                        ; implicit-def: $sgpr24_sgpr25
                                        ; implicit-def: $vgpr74
	s_and_saveexec_b64 s[22:23], vcc
	s_cbranch_execz .LBB1709_138
; %bb.109:
	v_add_u32_e32 v22, 9, v77
	v_cmp_ne_u32_e32 vcc, v23, v20
	v_mov_b32_e32 v23, s74
	v_mov_b32_e32 v30, 0
	v_cndmask_b32_e64 v59, 0, 1, vcc
	v_cndmask_b32_e32 v43, v25, v23, vcc
	v_cmp_gt_u32_e32 vcc, s60, v22
	v_mov_b32_e32 v54, 0
	v_mov_b32_e32 v62, 0
	;; [unrolled: 1-line block ×25, first 2 shown]
                                        ; implicit-def: $sgpr28_sgpr29
                                        ; implicit-def: $vgpr74
	s_and_saveexec_b64 s[24:25], vcc
	s_cbranch_execz .LBB1709_137
; %bb.110:
	ds_read2_b32 v[22:23], v76 offset0:9 offset1:10
	v_add_u32_e32 v24, 10, v77
	v_cmp_ne_u32_e32 vcc, v20, v21
	v_mov_b32_e32 v20, s74
	s_mov_b64 s[30:31], 0
	v_cndmask_b32_e64 v61, 0, 1, vcc
	s_waitcnt lgkmcnt(0)
	v_cndmask_b32_e32 v40, v22, v20, vcc
	v_cmp_gt_u32_e32 vcc, s60, v24
	v_mov_b32_e32 v30, 0
	v_mov_b32_e32 v54, 0
	;; [unrolled: 1-line block ×24, first 2 shown]
                                        ; implicit-def: $sgpr28_sgpr29
                                        ; implicit-def: $vgpr74
	s_and_saveexec_b64 s[26:27], vcc
	s_cbranch_execz .LBB1709_136
; %bb.111:
	v_add_u32_e32 v20, 11, v77
	v_cmp_ne_u32_e32 vcc, v21, v18
	v_mov_b32_e32 v21, s74
	v_mov_b32_e32 v30, 0
	v_cndmask_b32_e64 v63, 0, 1, vcc
	v_cndmask_b32_e32 v41, v23, v21, vcc
	v_cmp_gt_u32_e32 vcc, s60, v20
	v_mov_b32_e32 v54, 0
	v_mov_b32_e32 v62, 0
	;; [unrolled: 1-line block ×21, first 2 shown]
                                        ; implicit-def: $sgpr34_sgpr35
                                        ; implicit-def: $vgpr74
	s_and_saveexec_b64 s[28:29], vcc
	s_cbranch_execz .LBB1709_135
; %bb.112:
	ds_read2_b32 v[20:21], v76 offset0:11 offset1:12
	v_add_u32_e32 v22, 12, v77
	v_cmp_ne_u32_e32 vcc, v18, v19
	v_mov_b32_e32 v18, s74
	s_mov_b64 s[36:37], 0
	v_cndmask_b32_e64 v64, 0, 1, vcc
	s_waitcnt lgkmcnt(0)
	v_cndmask_b32_e32 v38, v20, v18, vcc
	v_cmp_gt_u32_e32 vcc, s60, v22
	v_mov_b32_e32 v30, 0
	v_mov_b32_e32 v54, 0
	;; [unrolled: 1-line block ×20, first 2 shown]
                                        ; implicit-def: $sgpr34_sgpr35
                                        ; implicit-def: $vgpr74
	s_and_saveexec_b64 s[30:31], vcc
	s_cbranch_execz .LBB1709_134
; %bb.113:
	v_add_u32_e32 v18, 13, v77
	v_cmp_ne_u32_e32 vcc, v19, v16
	v_mov_b32_e32 v19, s74
	v_mov_b32_e32 v30, 0
	v_cndmask_b32_e64 v65, 0, 1, vcc
	v_cndmask_b32_e32 v39, v21, v19, vcc
	v_cmp_gt_u32_e32 vcc, s60, v18
	v_mov_b32_e32 v54, 0
	v_mov_b32_e32 v62, 0
	;; [unrolled: 1-line block ×17, first 2 shown]
                                        ; implicit-def: $sgpr38_sgpr39
                                        ; implicit-def: $vgpr74
	s_and_saveexec_b64 s[34:35], vcc
	s_cbranch_execz .LBB1709_133
; %bb.114:
	ds_read2_b32 v[18:19], v76 offset0:13 offset1:14
	v_add_u32_e32 v20, 14, v77
	v_cmp_ne_u32_e32 vcc, v16, v17
	v_mov_b32_e32 v16, s74
	s_mov_b64 s[40:41], 0
	v_cndmask_b32_e64 v66, 0, 1, vcc
	s_waitcnt lgkmcnt(0)
	v_cndmask_b32_e32 v36, v18, v16, vcc
	v_cmp_gt_u32_e32 vcc, s60, v20
	v_mov_b32_e32 v30, 0
	v_mov_b32_e32 v54, 0
	v_mov_b32_e32 v62, 0
	v_mov_b32_e32 v73, 0
	v_mov_b32_e32 v60, 0
	v_mov_b32_e32 v72, 0
	v_mov_b32_e32 v33, 0
	v_mov_b32_e32 v71, 0
	v_mov_b32_e32 v32, 0
	v_mov_b32_e32 v70, 0
	v_mov_b32_e32 v35, 0
	v_mov_b32_e32 v69, 0
	v_mov_b32_e32 v34, 0
	v_mov_b32_e32 v68, 0
	v_mov_b32_e32 v37, 0
	v_mov_b32_e32 v67, 0
                                        ; implicit-def: $sgpr38_sgpr39
                                        ; implicit-def: $vgpr74
	s_and_saveexec_b64 s[36:37], vcc
	s_cbranch_execz .LBB1709_132
; %bb.115:
	v_add_u32_e32 v16, 15, v77
	v_cmp_ne_u32_e32 vcc, v17, v14
	v_mov_b32_e32 v17, s74
	v_mov_b32_e32 v30, 0
	v_cndmask_b32_e64 v67, 0, 1, vcc
	v_cndmask_b32_e32 v37, v19, v17, vcc
	v_cmp_gt_u32_e32 vcc, s60, v16
	v_mov_b32_e32 v54, 0
	v_mov_b32_e32 v62, 0
	;; [unrolled: 1-line block ×13, first 2 shown]
                                        ; implicit-def: $sgpr42_sgpr43
                                        ; implicit-def: $vgpr74
	s_and_saveexec_b64 s[38:39], vcc
	s_cbranch_execz .LBB1709_131
; %bb.116:
	ds_read2_b32 v[16:17], v76 offset0:15 offset1:16
	v_add_u32_e32 v18, 16, v77
	v_cmp_ne_u32_e32 vcc, v14, v15
	v_mov_b32_e32 v14, s74
	s_mov_b64 s[44:45], 0
	v_cndmask_b32_e64 v68, 0, 1, vcc
	s_waitcnt lgkmcnt(0)
	v_cndmask_b32_e32 v34, v16, v14, vcc
	v_cmp_gt_u32_e32 vcc, s60, v18
	v_mov_b32_e32 v30, 0
	v_mov_b32_e32 v54, 0
	;; [unrolled: 1-line block ×12, first 2 shown]
                                        ; implicit-def: $sgpr42_sgpr43
                                        ; implicit-def: $vgpr74
	s_and_saveexec_b64 s[40:41], vcc
	s_cbranch_execz .LBB1709_130
; %bb.117:
	v_add_u32_e32 v14, 17, v77
	v_cmp_ne_u32_e32 vcc, v15, v12
	v_mov_b32_e32 v15, s74
	v_mov_b32_e32 v30, 0
	v_cndmask_b32_e64 v69, 0, 1, vcc
	v_cndmask_b32_e32 v35, v17, v15, vcc
	v_cmp_gt_u32_e32 vcc, s60, v14
	v_mov_b32_e32 v54, 0
	v_mov_b32_e32 v62, 0
	;; [unrolled: 1-line block ×9, first 2 shown]
                                        ; implicit-def: $sgpr46_sgpr47
                                        ; implicit-def: $vgpr74
	s_and_saveexec_b64 s[42:43], vcc
	s_cbranch_execz .LBB1709_129
; %bb.118:
	ds_read2_b32 v[14:15], v76 offset0:17 offset1:18
	v_add_u32_e32 v16, 18, v77
	v_cmp_ne_u32_e32 vcc, v12, v13
	v_mov_b32_e32 v12, s74
	s_mov_b64 s[48:49], 0
	v_cndmask_b32_e64 v70, 0, 1, vcc
	s_waitcnt lgkmcnt(0)
	v_cndmask_b32_e32 v32, v14, v12, vcc
	v_cmp_gt_u32_e32 vcc, s60, v16
	v_mov_b32_e32 v30, 0
	v_mov_b32_e32 v54, 0
	;; [unrolled: 1-line block ×8, first 2 shown]
                                        ; implicit-def: $sgpr46_sgpr47
                                        ; implicit-def: $vgpr74
	s_and_saveexec_b64 s[44:45], vcc
	s_cbranch_execz .LBB1709_128
; %bb.119:
	v_add_u32_e32 v12, 19, v77
	v_cmp_ne_u32_e32 vcc, v13, v8
	v_mov_b32_e32 v13, s74
	v_mov_b32_e32 v30, 0
	v_cndmask_b32_e64 v71, 0, 1, vcc
	v_cndmask_b32_e32 v33, v15, v13, vcc
	v_cmp_gt_u32_e32 vcc, s60, v12
	v_mov_b32_e32 v54, 0
	v_mov_b32_e32 v62, 0
	;; [unrolled: 1-line block ×5, first 2 shown]
                                        ; implicit-def: $sgpr50_sgpr51
                                        ; implicit-def: $vgpr74
	s_and_saveexec_b64 s[46:47], vcc
	s_cbranch_execz .LBB1709_127
; %bb.120:
	ds_read2_b32 v[12:13], v76 offset0:19 offset1:20
	v_add_u32_e32 v14, 20, v77
	v_cmp_ne_u32_e32 vcc, v8, v9
	v_mov_b32_e32 v8, s74
	s_mov_b64 s[56:57], 0
	v_cndmask_b32_e64 v72, 0, 1, vcc
	s_waitcnt lgkmcnt(0)
	v_cndmask_b32_e32 v60, v12, v8, vcc
	v_cmp_gt_u32_e32 vcc, s60, v14
	v_mov_b32_e32 v30, 0
	v_mov_b32_e32 v54, 0
	;; [unrolled: 1-line block ×4, first 2 shown]
                                        ; implicit-def: $sgpr50_sgpr51
                                        ; implicit-def: $vgpr74
	s_and_saveexec_b64 s[48:49], vcc
	s_cbranch_execz .LBB1709_126
; %bb.121:
	v_add_u32_e32 v8, 21, v77
	v_cmp_ne_u32_e32 vcc, v9, v6
	v_mov_b32_e32 v9, s74
	v_mov_b32_e32 v30, 0
	v_cndmask_b32_e64 v73, 0, 1, vcc
	v_cndmask_b32_e32 v62, v13, v9, vcc
	v_cmp_gt_u32_e32 vcc, s60, v8
	v_mov_b32_e32 v54, 0
                                        ; implicit-def: $sgpr58_sgpr59
                                        ; implicit-def: $vgpr74
	s_and_saveexec_b64 s[50:51], vcc
	s_cbranch_execz .LBB1709_125
; %bb.122:
	ds_read2_b32 v[8:9], v76 offset0:21 offset1:22
	v_add_u32_e32 v12, 22, v77
	v_cmp_ne_u32_e32 vcc, v6, v7
	v_mov_b32_e32 v6, s74
                                        ; implicit-def: $sgpr58_sgpr59
                                        ; implicit-def: $vgpr74
	s_nop 0
	v_cndmask_b32_e64 v54, 0, 1, vcc
	s_waitcnt lgkmcnt(0)
	v_cndmask_b32_e32 v30, v8, v6, vcc
	v_cmp_gt_u32_e32 vcc, s60, v12
	s_and_saveexec_b64 s[60:61], vcc
	s_xor_b64 s[60:61], exec, s[60:61]
	s_cbranch_execz .LBB1709_124
; %bb.123:
	v_mov_b32_e32 v6, s74
	s_waitcnt vmcnt(0)
	v_cmp_ne_u32_e32 vcc, v7, v75
	s_mov_b64 s[56:57], exec
	s_and_b64 s[58:59], vcc, exec
	v_cndmask_b32_e32 v74, v9, v6, vcc
.LBB1709_124:
	s_or_b64 exec, exec, s[60:61]
	s_and_b64 s[58:59], s[58:59], exec
	s_and_b64 s[56:57], s[56:57], exec
.LBB1709_125:
	s_or_b64 exec, exec, s[50:51]
	s_and_b64 s[50:51], s[58:59], exec
	s_and_b64 s[56:57], s[56:57], exec
.LBB1709_126:
	s_or_b64 exec, exec, s[48:49]
	s_and_b64 s[50:51], s[50:51], exec
	s_and_b64 s[48:49], s[56:57], exec
.LBB1709_127:
	s_or_b64 exec, exec, s[46:47]
	s_and_b64 s[46:47], s[50:51], exec
	s_and_b64 s[48:49], s[48:49], exec
.LBB1709_128:
	s_or_b64 exec, exec, s[44:45]
	s_and_b64 s[46:47], s[46:47], exec
	s_and_b64 s[44:45], s[48:49], exec
.LBB1709_129:
	s_or_b64 exec, exec, s[42:43]
	s_and_b64 s[42:43], s[46:47], exec
	s_and_b64 s[44:45], s[44:45], exec
.LBB1709_130:
	s_or_b64 exec, exec, s[40:41]
	s_and_b64 s[42:43], s[42:43], exec
	s_and_b64 s[40:41], s[44:45], exec
.LBB1709_131:
	s_or_b64 exec, exec, s[38:39]
	s_and_b64 s[38:39], s[42:43], exec
	s_and_b64 s[40:41], s[40:41], exec
.LBB1709_132:
	s_or_b64 exec, exec, s[36:37]
	s_and_b64 s[38:39], s[38:39], exec
	s_and_b64 s[36:37], s[40:41], exec
.LBB1709_133:
	s_or_b64 exec, exec, s[34:35]
	s_and_b64 s[34:35], s[38:39], exec
	s_and_b64 s[36:37], s[36:37], exec
.LBB1709_134:
	s_or_b64 exec, exec, s[30:31]
	s_and_b64 s[34:35], s[34:35], exec
	s_and_b64 s[30:31], s[36:37], exec
.LBB1709_135:
	s_or_b64 exec, exec, s[28:29]
	s_and_b64 s[28:29], s[34:35], exec
	s_and_b64 s[30:31], s[30:31], exec
.LBB1709_136:
	s_or_b64 exec, exec, s[26:27]
	s_and_b64 s[28:29], s[28:29], exec
	s_and_b64 s[26:27], s[30:31], exec
.LBB1709_137:
	s_or_b64 exec, exec, s[24:25]
	s_and_b64 s[24:25], s[28:29], exec
	s_and_b64 s[26:27], s[26:27], exec
.LBB1709_138:
	s_or_b64 exec, exec, s[22:23]
	s_and_b64 s[24:25], s[24:25], exec
	s_and_b64 s[22:23], s[26:27], exec
.LBB1709_139:
	s_or_b64 exec, exec, s[20:21]
	s_and_b64 s[20:21], s[24:25], exec
	s_and_b64 s[22:23], s[22:23], exec
.LBB1709_140:
	s_or_b64 exec, exec, s[18:19]
	s_and_b64 s[20:21], s[20:21], exec
	s_and_b64 s[18:19], s[22:23], exec
.LBB1709_141:
	s_or_b64 exec, exec, s[16:17]
	s_and_b64 s[16:17], s[20:21], exec
	s_and_b64 s[18:19], s[18:19], exec
.LBB1709_142:
	s_or_b64 exec, exec, s[14:15]
	s_and_b64 s[16:17], s[16:17], exec
	s_and_b64 s[14:15], s[18:19], exec
.LBB1709_143:
	s_or_b64 exec, exec, s[12:13]
	s_and_b64 s[12:13], s[16:17], exec
	s_and_b64 s[14:15], s[14:15], exec
.LBB1709_144:
	s_or_b64 exec, exec, s[10:11]
	s_and_b64 s[12:13], s[12:13], exec
	s_and_b64 s[10:11], s[14:15], exec
.LBB1709_145:
	s_or_b64 exec, exec, s[8:9]
	s_and_b64 s[8:9], s[12:13], exec
	s_and_b64 s[10:11], s[10:11], exec
.LBB1709_146:
	s_or_b64 exec, exec, s[6:7]
	s_mov_b32 s6, 0
	s_and_b64 vcc, exec, s[0:1]
	v_lshlrev_b32_e32 v12, 2, v0
	s_cbranch_vccz .LBB1709_152
.LBB1709_147:
	v_mov_b32_e32 v13, 0
	v_lshl_add_u64 v[6:7], v[4:5], 0, v[12:13]
	v_add_co_u32_e32 v8, vcc, 0x1000, v6
	s_movk_i32 s0, 0x58
	s_nop 0
	v_addc_co_u32_e32 v9, vcc, 0, v7, vcc
	flat_load_dword v1, v[6:7]
	flat_load_dword v16, v[6:7] offset:1024
	flat_load_dword v17, v[6:7] offset:2048
	;; [unrolled: 1-line block ×3, first 2 shown]
	flat_load_dword v19, v[8:9]
	flat_load_dword v20, v[8:9] offset:1024
	flat_load_dword v21, v[8:9] offset:2048
	;; [unrolled: 1-line block ×3, first 2 shown]
	v_add_co_u32_e32 v8, vcc, 0x2000, v6
	s_movk_i32 s10, 0x1000
	s_nop 0
	v_addc_co_u32_e32 v9, vcc, 0, v7, vcc
	v_add_co_u32_e32 v14, vcc, 0x3000, v6
	s_movk_i32 s9, 0x2000
	s_nop 0
	v_addc_co_u32_e32 v15, vcc, 0, v7, vcc
	flat_load_dword v23, v[8:9]
	flat_load_dword v24, v[8:9] offset:1024
	flat_load_dword v25, v[8:9] offset:2048
	;; [unrolled: 1-line block ×3, first 2 shown]
	flat_load_dword v27, v[14:15]
	flat_load_dword v28, v[14:15] offset:1024
	flat_load_dword v29, v[14:15] offset:2048
	;; [unrolled: 1-line block ×3, first 2 shown]
	v_add_co_u32_e32 v8, vcc, 0x4000, v6
	s_movk_i32 s8, 0x3000
	s_nop 0
	v_addc_co_u32_e32 v9, vcc, 0, v7, vcc
	v_add_co_u32_e32 v6, vcc, 0x5000, v6
	s_movk_i32 s7, 0x4000
	s_nop 0
	v_addc_co_u32_e32 v7, vcc, 0, v7, vcc
	flat_load_dword v14, v[8:9]
	flat_load_dword v15, v[8:9] offset:1024
	flat_load_dword v31, v[8:9] offset:2048
	;; [unrolled: 1-line block ×3, first 2 shown]
	flat_load_dword v33, v[6:7]
	flat_load_dword v34, v[6:7] offset:1024
	flat_load_dword v35, v[6:7] offset:2048
	v_add_co_u32_e32 v4, vcc, 0x5000, v4
	s_movk_i32 s6, 0x5000
	s_nop 0
	v_addc_co_u32_e32 v5, vcc, 0, v5, vcc
	s_waitcnt vmcnt(0) lgkmcnt(0)
	ds_write2st64_b32 v12, v1, v16 offset1:4
	ds_write2st64_b32 v12, v17, v18 offset0:8 offset1:12
	ds_write2st64_b32 v12, v19, v20 offset0:16 offset1:20
	;; [unrolled: 1-line block ×10, first 2 shown]
	ds_write_b32 v12, v35 offset:22528
	s_waitcnt lgkmcnt(0)
	s_barrier
	flat_load_dword v74, v[4:5] offset:3072
	v_mad_u32_u24 v1, v0, s0, v12
	s_movk_i32 s0, 0xffa8
	v_mad_i32_i24 v30, v0, s0, v1
	s_movk_i32 s0, 0xff
	v_cmp_ne_u32_e32 vcc, s0, v0
	ds_read_b32 v50, v1
	ds_read2_b32 v[28:29], v1 offset0:1 offset1:2
	ds_read2_b32 v[26:27], v1 offset0:3 offset1:4
	;; [unrolled: 1-line block ×11, first 2 shown]
	s_waitcnt lgkmcnt(0)
	ds_write_b32 v30, v50 offset:24576
	s_waitcnt lgkmcnt(0)
	s_barrier
	s_and_saveexec_b64 s[0:1], vcc
	s_cbranch_execz .LBB1709_149
; %bb.148:
	s_waitcnt vmcnt(0)
	ds_read_b32 v74, v12 offset:24580
.LBB1709_149:
	s_or_b64 exec, exec, s[0:1]
	v_lshl_add_u64 v[2:3], v[2:3], 0, v[12:13]
	v_add_co_u32_e32 v30, vcc, s10, v2
	s_waitcnt lgkmcnt(0)
	s_nop 0
	v_addc_co_u32_e32 v31, vcc, 0, v3, vcc
	s_barrier
	flat_load_dword v13, v[2:3]
	flat_load_dword v34, v[2:3] offset:1024
	flat_load_dword v35, v[2:3] offset:2048
	;; [unrolled: 1-line block ×3, first 2 shown]
	flat_load_dword v37, v[30:31]
	flat_load_dword v38, v[30:31] offset:1024
	flat_load_dword v39, v[30:31] offset:2048
	;; [unrolled: 1-line block ×3, first 2 shown]
	v_add_co_u32_e32 v30, vcc, s9, v2
	v_cmp_eq_u32_e64 s[0:1], v50, v28
	s_nop 0
	v_addc_co_u32_e32 v31, vcc, 0, v3, vcc
	v_add_co_u32_e32 v32, vcc, s8, v2
	s_nop 1
	v_addc_co_u32_e32 v33, vcc, 0, v3, vcc
	flat_load_dword v41, v[30:31]
	flat_load_dword v42, v[30:31] offset:1024
	flat_load_dword v43, v[30:31] offset:2048
	;; [unrolled: 1-line block ×3, first 2 shown]
	flat_load_dword v45, v[32:33]
	flat_load_dword v46, v[32:33] offset:1024
	flat_load_dword v47, v[32:33] offset:2048
	flat_load_dword v48, v[32:33] offset:3072
	v_add_co_u32_e32 v30, vcc, s7, v2
	s_nop 1
	v_addc_co_u32_e32 v31, vcc, 0, v3, vcc
	v_add_co_u32_e32 v2, vcc, s6, v2
	s_nop 1
	v_addc_co_u32_e32 v3, vcc, 0, v3, vcc
	flat_load_dword v32, v[30:31]
	flat_load_dword v33, v[30:31] offset:1024
	flat_load_dword v49, v[30:31] offset:2048
	;; [unrolled: 1-line block ×3, first 2 shown]
	flat_load_dword v52, v[2:3]
	flat_load_dword v53, v[2:3] offset:1024
	flat_load_dword v54, v[2:3] offset:2048
	v_cmp_ne_u32_e32 vcc, v50, v28
	v_mov_b32_e32 v50, s74
	s_waitcnt vmcnt(0) lgkmcnt(0)
	v_cvt_f32_u32_e32 v2, v13
	v_cvt_f32_u32_e32 v3, v34
	;; [unrolled: 1-line block ×8, first 2 shown]
	ds_write2st64_b32 v12, v2, v3 offset1:4
	ds_write2st64_b32 v12, v13, v30 offset0:8 offset1:12
	v_cvt_f32_u32_e32 v37, v41
	v_cvt_f32_u32_e32 v38, v42
	v_cvt_f32_u32_e32 v39, v43
	v_cvt_f32_u32_e32 v40, v44
	v_cvt_f32_u32_e32 v41, v45
	v_cvt_f32_u32_e32 v42, v46
	v_cvt_f32_u32_e32 v43, v47
	v_cvt_f32_u32_e32 v44, v48
	v_cvt_f32_u32_e32 v2, v32
	v_cvt_f32_u32_e32 v3, v33
	v_cvt_f32_u32_e32 v13, v49
	v_cvt_f32_u32_e32 v30, v51
	v_cvt_f32_u32_e32 v32, v52
	v_cvt_f32_u32_e32 v33, v53
	v_cvt_f32_u32_e32 v45, v54
	ds_write2st64_b32 v12, v31, v34 offset0:16 offset1:20
	ds_write2st64_b32 v12, v35, v36 offset0:24 offset1:28
	;; [unrolled: 1-line block ×9, first 2 shown]
	ds_write_b32 v12, v45 offset:22528
	s_waitcnt lgkmcnt(0)
	s_barrier
	ds_read2_b32 v[48:49], v1 offset0:1 offset1:2
	ds_read2_b32 v[46:47], v1 offset0:3 offset1:4
	;; [unrolled: 1-line block ×11, first 2 shown]
	s_and_saveexec_b64 s[6:7], s[0:1]
	s_cbranch_execz .LBB1709_151
; %bb.150:
	ds_read_b32 v50, v1
.LBB1709_151:
	s_or_b64 exec, exec, s[6:7]
	v_cmp_ne_u32_e64 s[8:9], v27, v24
	v_cmp_ne_u32_e64 s[42:43], v7, v4
	;; [unrolled: 1-line block ×3, first 2 shown]
	v_mov_b32_e32 v4, s74
	v_cndmask_b32_e64 v1, 0, 1, vcc
	v_cmp_ne_u32_e32 vcc, v28, v29
	v_cmp_ne_u32_e64 s[0:1], v29, v26
	v_cmp_ne_u32_e64 s[6:7], v26, v27
	v_cndmask_b32_e64 v55, 0, 1, s[8:9]
	v_cmp_ne_u32_e64 s[10:11], v24, v25
	v_cmp_ne_u32_e64 s[12:13], v25, v22
	;; [unrolled: 1-line block ×15, first 2 shown]
	s_waitcnt lgkmcnt(9)
	v_cndmask_b32_e64 v47, v47, v4, s[8:9]
	v_cmp_ne_u32_e64 s[8:9], v5, v74
	v_cndmask_b32_e64 v51, 0, 1, vcc
	v_cndmask_b32_e64 v52, 0, 1, s[0:1]
	v_cndmask_b32_e64 v53, 0, 1, s[6:7]
	;; [unrolled: 1-line block ×19, first 2 shown]
	v_cndmask_b32_e32 v48, v48, v4, vcc
	v_cndmask_b32_e64 v49, v49, v4, s[0:1]
	v_cndmask_b32_e64 v46, v46, v4, s[6:7]
	s_waitcnt lgkmcnt(8)
	v_cndmask_b32_e64 v44, v44, v4, s[10:11]
	v_cndmask_b32_e64 v45, v45, v4, s[12:13]
	s_waitcnt lgkmcnt(7)
	;; [unrolled: 3-line block ×9, first 2 shown]
	v_cndmask_b32_e64 v30, v2, v4, s[44:45]
	v_cndmask_b32_e64 v74, v3, v4, s[8:9]
	s_mov_b64 s[10:11], -1
                                        ; implicit-def: $sgpr6
                                        ; implicit-def: $sgpr68
.LBB1709_152:
	v_mov_b32_e32 v13, s68
	v_mov_b32_e32 v18, s6
	s_and_saveexec_b64 s[0:1], s[10:11]
; %bb.153:
	v_cndmask_b32_e64 v13, 0, 1, s[8:9]
	v_mov_b32_e32 v18, v74
; %bb.154:
	s_or_b64 exec, exec, s[0:1]
	v_or_b32_e32 v2, v13, v54
	s_cmp_lg_u32 s67, 0
	v_add_f32_e32 v21, v48, v50
	v_or_b32_e32 v20, v2, v73
	v_lshrrev_b32_e32 v19, 5, v0
	v_cmp_gt_u32_e32 vcc, 64, v0
	s_barrier
	s_cbranch_scc0 .LBB1709_213
; %bb.155:
	v_mov_b32_e32 v6, 0
	v_cmp_eq_u16_sdwa s[6:7], v51, v6 src0_sel:BYTE_0 src1_sel:DWORD
	v_cmp_eq_u16_sdwa s[8:9], v52, v6 src0_sel:BYTE_0 src1_sel:DWORD
	v_cmp_eq_u16_sdwa s[10:11], v53, v6 src0_sel:BYTE_0 src1_sel:DWORD
	v_cndmask_b32_e64 v2, v48, v21, s[6:7]
	v_add_f32_e32 v2, v49, v2
	v_cndmask_b32_e64 v2, v49, v2, s[8:9]
	v_add_f32_e32 v2, v46, v2
	v_cndmask_b32_e64 v2, v46, v2, s[10:11]
	v_add_f32_e32 v2, v47, v2
	v_cmp_eq_u16_sdwa s[12:13], v55, v6 src0_sel:BYTE_0 src1_sel:DWORD
	v_cmp_eq_u16_sdwa s[14:15], v56, v6 src0_sel:BYTE_0 src1_sel:DWORD
	v_cmp_eq_u16_sdwa s[16:17], v57, v6 src0_sel:BYTE_0 src1_sel:DWORD
	v_cndmask_b32_e64 v2, v47, v2, s[12:13]
	v_add_f32_e32 v2, v44, v2
	v_cndmask_b32_e64 v2, v44, v2, s[14:15]
	v_add_f32_e32 v2, v45, v2
	v_cndmask_b32_e64 v2, v45, v2, s[16:17]
	v_add_f32_e32 v2, v42, v2
	;; [unrolled: 9-line block ×7, first 2 shown]
	v_cmp_eq_u16_sdwa s[0:1], v13, v6 src0_sel:BYTE_0 src1_sel:DWORD
	v_and_b32_e32 v3, 0xff, v1
	s_nop 0
	v_cndmask_b32_e64 v22, v18, v2, s[0:1]
	v_or_b32_e32 v2, v20, v72
	v_or_b32_e32 v2, v2, v71
	;; [unrolled: 1-line block ×19, first 2 shown]
	v_and_b32_e32 v2, 1, v2
	v_cmp_eq_u32_e64 s[0:1], 1, v2
	v_add_lshl_u32 v2, v19, v0, 3
	s_nop 0
	v_cndmask_b32_e64 v23, v3, 1, s[0:1]
	ds_write_b32 v2, v22
	ds_write_b8 v2, v23 offset:4
	s_waitcnt lgkmcnt(0)
	s_barrier
	s_and_saveexec_b64 s[50:51], vcc
	s_cbranch_execz .LBB1709_169
; %bb.156:
	v_lshrrev_b32_e32 v2, 3, v0
	v_add_lshl_u32 v4, v2, v12, 3
	ds_read2_b32 v[8:9], v4 offset0:2 offset1:4
	ds_read_b64 v[2:3], v4
	ds_read_u8 v7, v4 offset:12
	ds_read_u8 v14, v4 offset:20
	ds_read_b32 v16, v4 offset:24
	ds_read_u8 v17, v4 offset:28
	s_waitcnt lgkmcnt(0)
	v_add_f32_e32 v5, v2, v8
	v_cmp_eq_u16_sdwa s[0:1], v7, v6 src0_sel:BYTE_0 src1_sel:DWORD
	v_and_b32_e32 v15, 0xffffff00, v3
	s_nop 0
	v_cndmask_b32_e64 v8, v8, v5, s[0:1]
	v_add_f32_e32 v8, v9, v8
	v_cmp_eq_u16_sdwa s[0:1], v14, v6 src0_sel:BYTE_0 src1_sel:DWORD
	v_and_b32_e32 v5, 1, v3
	s_nop 0
	v_cndmask_b32_e64 v6, v9, v8, s[0:1]
	v_or_b32_e32 v8, v17, v14
	v_or_b32_e32 v7, v8, v7
	v_add_f32_e32 v6, v16, v6
	v_cmp_eq_u16_e64 s[0:1], 0, v17
	v_and_b32_e32 v7, 1, v7
	s_nop 0
	v_cndmask_b32_e64 v6, v16, v6, s[0:1]
	v_cmp_eq_u32_e64 s[0:1], 1, v7
	v_mbcnt_lo_u32_b32 v7, -1, 0
	v_mbcnt_hi_u32_b32 v7, -1, v7
	v_cndmask_b32_e64 v9, v5, 1, s[0:1]
	v_or_b32_e32 v8, v9, v15
	v_and_b32_e32 v14, 15, v7
	v_mov_b32_dpp v17, v6 row_shr:1 row_mask:0xf bank_mask:0xf
	v_mov_b32_dpp v16, v8 row_shr:1 row_mask:0xf bank_mask:0xf
	v_cmp_ne_u32_e64 s[0:1], 0, v14
	s_and_saveexec_b64 s[56:57], s[0:1]
; %bb.157:
	v_add_f32_e32 v8, v6, v17
	v_cmp_eq_u32_e64 s[0:1], 0, v9
	s_nop 1
	v_cndmask_b32_e64 v6, v6, v8, s[0:1]
	v_and_b32_e32 v8, 1, v9
	v_and_b32_e32 v9, 1, v16
	v_cmp_eq_u32_e64 s[0:1], 1, v8
	s_nop 1
	v_cndmask_b32_e64 v9, v9, 1, s[0:1]
	v_or_b32_e32 v8, v9, v15
; %bb.158:
	s_or_b64 exec, exec, s[56:57]
	v_mov_b32_dpp v16, v6 row_shr:2 row_mask:0xf bank_mask:0xf
	v_mov_b32_dpp v15, v8 row_shr:2 row_mask:0xf bank_mask:0xf
	v_cmp_lt_u32_e64 s[0:1], 1, v14
	s_and_saveexec_b64 s[56:57], s[0:1]
; %bb.159:
	v_add_f32_e32 v16, v6, v16
	v_cmp_eq_u32_e64 s[0:1], 0, v9
	v_and_b32_e32 v9, 1, v9
	v_and_b32_e32 v15, 1, v15
	v_cndmask_b32_e64 v6, v6, v16, s[0:1]
	v_cmp_eq_u32_e64 s[0:1], 1, v9
	s_nop 1
	v_cndmask_b32_e64 v9, v15, 1, s[0:1]
	s_movk_i32 s0, 0xff00
	v_and_or_b32 v8, v8, s0, v9
; %bb.160:
	s_or_b64 exec, exec, s[56:57]
	v_mov_b32_dpp v16, v6 row_shr:4 row_mask:0xf bank_mask:0xf
	v_mov_b32_dpp v15, v8 row_shr:4 row_mask:0xf bank_mask:0xf
	v_cmp_lt_u32_e64 s[0:1], 3, v14
	s_and_saveexec_b64 s[56:57], s[0:1]
; %bb.161:
	v_add_f32_e32 v16, v6, v16
	v_cmp_eq_u32_e64 s[0:1], 0, v9
	v_and_b32_e32 v9, 1, v9
	v_and_b32_e32 v15, 1, v15
	v_cndmask_b32_e64 v6, v6, v16, s[0:1]
	v_cmp_eq_u32_e64 s[0:1], 1, v9
	s_nop 1
	v_cndmask_b32_e64 v9, v15, 1, s[0:1]
	s_movk_i32 s0, 0xff00
	v_and_or_b32 v8, v8, s0, v9
; %bb.162:
	s_or_b64 exec, exec, s[56:57]
	v_mov_b32_dpp v16, v6 row_shr:8 row_mask:0xf bank_mask:0xf
	v_mov_b32_dpp v15, v8 row_shr:8 row_mask:0xf bank_mask:0xf
	v_cmp_lt_u32_e64 s[0:1], 7, v14
	s_and_saveexec_b64 s[56:57], s[0:1]
; %bb.163:
	v_add_f32_e32 v14, v6, v16
	v_cmp_eq_u32_e64 s[0:1], 0, v9
	v_and_b32_e32 v9, 1, v9
	s_nop 0
	v_cndmask_b32_e64 v6, v6, v14, s[0:1]
	v_and_b32_e32 v14, 1, v15
	v_cmp_eq_u32_e64 s[0:1], 1, v9
	s_nop 1
	v_cndmask_b32_e64 v9, v14, 1, s[0:1]
	s_movk_i32 s0, 0xff00
	v_and_or_b32 v8, v8, s0, v9
; %bb.164:
	s_or_b64 exec, exec, s[56:57]
	v_and_b32_e32 v16, 16, v7
	v_mov_b32_dpp v15, v6 row_bcast:15 row_mask:0xf bank_mask:0xf
	v_mov_b32_dpp v14, v8 row_bcast:15 row_mask:0xf bank_mask:0xf
	v_cmp_ne_u32_e64 s[0:1], 0, v16
	s_and_saveexec_b64 s[56:57], s[0:1]
; %bb.165:
	v_add_f32_e32 v15, v6, v15
	v_cmp_eq_u32_e64 s[0:1], 0, v9
	v_and_b32_e32 v9, 1, v9
	v_and_b32_e32 v14, 1, v14
	v_cndmask_b32_e64 v6, v6, v15, s[0:1]
	v_cmp_eq_u32_e64 s[0:1], 1, v9
	s_nop 1
	v_cndmask_b32_e64 v9, v14, 1, s[0:1]
	s_movk_i32 s0, 0xff00
	v_and_or_b32 v8, v8, s0, v9
; %bb.166:
	s_or_b64 exec, exec, s[56:57]
	v_mov_b32_dpp v15, v6 row_bcast:31 row_mask:0xf bank_mask:0xf
	v_mov_b32_dpp v14, v8 row_bcast:31 row_mask:0xf bank_mask:0xf
	v_cmp_lt_u32_e64 s[0:1], 31, v7
	s_and_saveexec_b64 s[56:57], s[0:1]
; %bb.167:
	v_add_f32_e32 v15, v6, v15
	v_cmp_eq_u32_e64 s[0:1], 0, v9
	v_and_b32_e32 v9, 1, v9
	v_and_b32_e32 v14, 1, v14
	v_cndmask_b32_e64 v6, v6, v15, s[0:1]
	v_cmp_eq_u32_e64 s[0:1], 1, v9
	s_nop 1
	v_cndmask_b32_e64 v9, v14, 1, s[0:1]
	s_movk_i32 s0, 0xff00
	v_and_or_b32 v8, v8, s0, v9
; %bb.168:
	s_or_b64 exec, exec, s[56:57]
	v_add_u32_e32 v9, -1, v7
	v_and_b32_e32 v14, 64, v7
	v_cmp_lt_i32_e64 s[0:1], v9, v14
	; wave barrier
	s_nop 1
	v_cndmask_b32_e64 v7, v9, v7, s[0:1]
	v_lshlrev_b32_e32 v7, 2, v7
	ds_bpermute_b32 v6, v7, v6
	ds_bpermute_b32 v7, v7, v8
	v_mov_b32_e32 v8, 0
	v_cmp_eq_u32_sdwa s[0:1], v3, v8 src0_sel:BYTE_0 src1_sel:DWORD
	s_waitcnt lgkmcnt(0)
	v_add_f32_e32 v6, v2, v6
	v_cndmask_b32_e64 v2, v2, v6, s[0:1]
	v_and_b32_e32 v3, 1, v7
	v_cmp_eq_u32_e64 s[0:1], 1, v5
	v_cndmask_b32_e64 v5, v2, v22, s[52:53]
	s_nop 0
	v_cndmask_b32_e64 v3, v3, 1, s[0:1]
	v_cndmask_b32_e64 v6, v3, v23, s[52:53]
	ds_write_b32 v4, v5
	ds_write_b8 v4, v6 offset:4
	; wave barrier
	ds_read2_b32 v[2:3], v4 offset0:2 offset1:4
	ds_read_u8 v7, v4 offset:12
	ds_read_u8 v8, v4 offset:20
	ds_read_b32 v9, v4 offset:24
	ds_read_u8 v14, v4 offset:28
	s_waitcnt lgkmcnt(0)
	v_add_f32_e32 v5, v5, v2
	v_cmp_eq_u16_e64 s[0:1], 0, v7
	s_nop 1
	v_cndmask_b32_e64 v2, v2, v5, s[0:1]
	v_and_b32_e32 v5, 1, v7
	v_cmp_eq_u32_e64 s[0:1], 1, v5
	s_nop 1
	v_cndmask_b32_e64 v5, v6, 1, s[0:1]
	v_add_f32_e32 v6, v2, v3
	v_cmp_eq_u16_e64 s[0:1], 0, v8
	ds_write_b8 v4, v5 offset:12
	s_nop 0
	v_cndmask_b32_e64 v3, v3, v6, s[0:1]
	v_and_b32_e32 v6, 1, v8
	v_cmp_eq_u32_e64 s[0:1], 1, v6
	s_nop 1
	v_cndmask_b32_e64 v5, v5, 1, s[0:1]
	ds_write2_b32 v4, v2, v3 offset0:2 offset1:4
	ds_write_b8 v4, v5 offset:20
	v_add_f32_e32 v2, v3, v9
	v_cmp_eq_u16_e64 s[0:1], 0, v14
	v_and_b32_e32 v3, 1, v14
	s_nop 0
	v_cndmask_b32_e64 v2, v9, v2, s[0:1]
	v_cmp_eq_u32_e64 s[0:1], 1, v3
	s_nop 1
	v_cndmask_b32_e64 v3, v5, 1, s[0:1]
	ds_write_b32 v4, v2 offset:24
	ds_write_b8 v4, v3 offset:28
.LBB1709_169:
	s_or_b64 exec, exec, s[50:51]
	s_waitcnt lgkmcnt(0)
	s_barrier
	s_and_saveexec_b64 s[0:1], s[4:5]
	s_cbranch_execz .LBB1709_171
; %bb.170:
	v_add_u32_e32 v2, -1, v0
	v_lshrrev_b32_e32 v3, 5, v2
	v_add_lshl_u32 v2, v3, v2, 3
	ds_read_b32 v22, v2
	ds_read_u8 v23, v2 offset:4
.LBB1709_171:
	s_or_b64 exec, exec, s[0:1]
	s_and_saveexec_b64 s[0:1], vcc
	s_cbranch_execz .LBB1709_212
; %bb.172:
	v_mov_b32_e32 v5, 0
	ds_read_b64 v[2:3], v5 offset:2096
	v_mbcnt_lo_u32_b32 v4, -1, 0
	v_mbcnt_hi_u32_b32 v15, -1, v4
	s_mov_b32 s59, 0
	v_cmp_eq_u32_e64 s[50:51], 0, v15
	s_waitcnt lgkmcnt(0)
	v_readfirstlane_b32 s60, v3
	s_and_saveexec_b64 s[56:57], s[50:51]
	s_cbranch_execz .LBB1709_174
; %bb.173:
	s_add_i32 s58, s67, 64
	s_lshl_b64 s[68:69], s[58:59], 4
	s_add_u32 s68, s64, s68
	s_addc_u32 s69, s65, s69
	s_and_b32 s77, s60, 0xff000000
	s_mov_b32 s76, s59
	s_and_b32 s79, s60, 0xff0000
	s_mov_b32 s78, s59
	s_or_b64 s[76:77], s[78:79], s[76:77]
	s_and_b32 s79, s60, 0xff00
	s_or_b64 s[76:77], s[76:77], s[78:79]
	s_and_b32 s79, s60, 0xff
	s_or_b64 s[58:59], s[76:77], s[78:79]
	v_mov_b32_e32 v3, s59
	v_mov_b32_e32 v4, 1
	v_mov_b64_e32 v[6:7], s[68:69]
	;;#ASMSTART
	global_store_dwordx4 v[6:7], v[2:5] off sc1	
s_waitcnt vmcnt(0)
	;;#ASMEND
.LBB1709_174:
	s_or_b64 exec, exec, s[56:57]
	v_xad_u32 v14, v15, -1, s67
	v_add_u32_e32 v4, 64, v14
	v_lshl_add_u64 v[16:17], v[4:5], 4, s[64:65]
	;;#ASMSTART
	global_load_dwordx4 v[6:9], v[16:17] off sc1	
s_waitcnt vmcnt(0)
	;;#ASMEND
	s_nop 0
	v_cmp_eq_u16_sdwa s[58:59], v8, v5 src0_sel:BYTE_0 src1_sel:DWORD
	s_and_saveexec_b64 s[56:57], s[58:59]
	s_cbranch_execz .LBB1709_178
; %bb.175:
	s_mov_b64 s[58:59], 0
	v_mov_b32_e32 v3, 0
.LBB1709_176:                           ; =>This Inner Loop Header: Depth=1
	;;#ASMSTART
	global_load_dwordx4 v[6:9], v[16:17] off sc1	
s_waitcnt vmcnt(0)
	;;#ASMEND
	s_nop 0
	v_cmp_ne_u16_sdwa s[68:69], v8, v3 src0_sel:BYTE_0 src1_sel:DWORD
	s_or_b64 s[58:59], s[68:69], s[58:59]
	s_andn2_b64 exec, exec, s[58:59]
	s_cbranch_execnz .LBB1709_176
; %bb.177:
	s_or_b64 exec, exec, s[58:59]
.LBB1709_178:
	s_or_b64 exec, exec, s[56:57]
	v_mov_b32_e32 v3, 2
	v_cmp_eq_u16_sdwa s[56:57], v8, v3 src0_sel:BYTE_0 src1_sel:DWORD
	v_lshlrev_b64 v[4:5], v15, -1
	v_and_b32_e32 v16, 0xff, v7
	v_and_b32_e32 v3, s57, v5
	v_or_b32_e32 v3, 0x80000000, v3
	v_ffbl_b32_e32 v26, v3
	v_and_b32_e32 v3, 63, v15
	v_cmp_ne_u32_e32 vcc, 63, v3
	v_and_b32_e32 v9, s56, v4
	v_add_u32_e32 v26, 32, v26
	v_addc_co_u32_e32 v17, vcc, 0, v15, vcc
	v_lshlrev_b32_e32 v24, 2, v17
	ds_bpermute_b32 v25, v24, v6
	ds_bpermute_b32 v17, v24, v16
	v_ffbl_b32_e32 v9, v9
	v_min_u32_e32 v9, v9, v26
	v_cmp_lt_u32_e32 vcc, v3, v9
	s_and_saveexec_b64 s[56:57], vcc
	s_cbranch_execz .LBB1709_180
; %bb.179:
	v_mov_b32_e32 v16, 0
	s_waitcnt lgkmcnt(0)
	v_add_f32_e32 v25, v6, v25
	v_cmp_eq_u16_sdwa vcc, v7, v16 src0_sel:BYTE_0 src1_sel:DWORD
	v_and_b32_e32 v7, 1, v7
	v_and_b32_e32 v16, 1, v17
	v_cndmask_b32_e32 v6, v6, v25, vcc
	v_cmp_eq_u32_e32 vcc, 1, v7
	s_nop 1
	v_cndmask_b32_e64 v7, v16, 1, vcc
	v_and_b32_e32 v16, 0xffff, v7
.LBB1709_180:
	s_or_b64 exec, exec, s[56:57]
	v_cmp_gt_u32_e32 vcc, 62, v3
	v_add_u32_e32 v26, 2, v3
	s_waitcnt lgkmcnt(0)
	v_cndmask_b32_e64 v17, 0, 1, vcc
	v_lshlrev_b32_e32 v17, 1, v17
	v_add_lshl_u32 v25, v17, v15, 2
	ds_bpermute_b32 v27, v25, v6
	ds_bpermute_b32 v17, v25, v16
	v_cmp_le_u32_e32 vcc, v26, v9
	s_and_saveexec_b64 s[56:57], vcc
	s_cbranch_execz .LBB1709_182
; %bb.181:
	v_mov_b32_e32 v16, 0
	s_waitcnt lgkmcnt(0)
	v_add_f32_e32 v27, v6, v27
	v_cmp_eq_u16_sdwa vcc, v7, v16 src0_sel:BYTE_0 src1_sel:DWORD
	v_and_b32_e32 v7, 1, v7
	v_and_b32_e32 v16, 1, v17
	v_cndmask_b32_e32 v6, v6, v27, vcc
	v_cmp_eq_u32_e32 vcc, 1, v7
	s_nop 1
	v_cndmask_b32_e64 v7, v16, 1, vcc
	v_and_b32_e32 v16, 0xffff, v7
.LBB1709_182:
	s_or_b64 exec, exec, s[56:57]
	v_cmp_gt_u32_e32 vcc, 60, v3
	v_add_u32_e32 v28, 4, v3
	s_waitcnt lgkmcnt(0)
	v_cndmask_b32_e64 v17, 0, 1, vcc
	v_lshlrev_b32_e32 v17, 2, v17
	v_add_lshl_u32 v27, v17, v15, 2
	ds_bpermute_b32 v29, v27, v6
	ds_bpermute_b32 v17, v27, v16
	v_cmp_le_u32_e32 vcc, v28, v9
	;; [unrolled: 25-line block ×3, first 2 shown]
	s_and_saveexec_b64 s[56:57], vcc
	s_cbranch_execz .LBB1709_186
; %bb.185:
	v_mov_b32_e32 v16, 0
	s_waitcnt lgkmcnt(0)
	v_add_f32_e32 v74, v6, v74
	v_cmp_eq_u16_sdwa vcc, v7, v16 src0_sel:BYTE_0 src1_sel:DWORD
	v_and_b32_e32 v7, 1, v7
	v_and_b32_e32 v16, 1, v17
	v_cndmask_b32_e32 v6, v6, v74, vcc
	v_cmp_eq_u32_e32 vcc, 1, v7
	s_nop 1
	v_cndmask_b32_e64 v7, v16, 1, vcc
	v_and_b32_e32 v16, 0xffff, v7
.LBB1709_186:
	s_or_b64 exec, exec, s[56:57]
	v_cmp_gt_u32_e32 vcc, 48, v3
	s_waitcnt vmcnt(0)
	v_add_u32_e32 v75, 16, v3
	s_waitcnt lgkmcnt(0)
	v_cndmask_b32_e64 v17, 0, 1, vcc
	v_lshlrev_b32_e32 v17, 4, v17
	v_add_lshl_u32 v74, v17, v15, 2
	ds_bpermute_b32 v76, v74, v6
	ds_bpermute_b32 v17, v74, v16
	v_cmp_le_u32_e32 vcc, v75, v9
	s_and_saveexec_b64 s[56:57], vcc
	s_cbranch_execz .LBB1709_188
; %bb.187:
	v_mov_b32_e32 v16, 0
	s_waitcnt lgkmcnt(1)
	v_add_f32_e32 v76, v6, v76
	v_cmp_eq_u16_sdwa vcc, v7, v16 src0_sel:BYTE_0 src1_sel:DWORD
	v_and_b32_e32 v7, 1, v7
	s_waitcnt lgkmcnt(0)
	v_and_b32_e32 v16, 1, v17
	v_cndmask_b32_e32 v6, v6, v76, vcc
	v_cmp_eq_u32_e32 vcc, 1, v7
	s_nop 1
	v_cndmask_b32_e64 v7, v16, 1, vcc
	v_and_b32_e32 v16, 0xffff, v7
.LBB1709_188:
	s_or_b64 exec, exec, s[56:57]
	v_cmp_gt_u32_e32 vcc, 32, v3
	v_add_u32_e32 v79, 32, v3
	s_waitcnt lgkmcnt(0)
	v_cndmask_b32_e64 v17, 0, 1, vcc
	v_lshlrev_b32_e32 v17, 5, v17
	v_add_lshl_u32 v77, v17, v15, 2
	ds_bpermute_b32 v17, v77, v6
	ds_bpermute_b32 v15, v77, v16
	v_cmp_le_u32_e32 vcc, v79, v9
	s_and_saveexec_b64 s[56:57], vcc
	s_cbranch_execz .LBB1709_190
; %bb.189:
	v_mov_b32_e32 v9, 0
	s_waitcnt lgkmcnt(1)
	v_add_f32_e32 v16, v6, v17
	v_cmp_eq_u16_sdwa vcc, v7, v9 src0_sel:BYTE_0 src1_sel:DWORD
	v_and_b32_e32 v7, 1, v7
	s_waitcnt lgkmcnt(0)
	v_and_b32_e32 v9, 1, v15
	v_cndmask_b32_e32 v6, v6, v16, vcc
	v_cmp_eq_u32_e32 vcc, 1, v7
	s_nop 1
	v_cndmask_b32_e64 v7, v9, 1, vcc
.LBB1709_190:
	s_or_b64 exec, exec, s[56:57]
	s_waitcnt lgkmcnt(0)
	v_mov_b32_e32 v15, 0
	v_mov_b32_e32 v80, 2
	s_branch .LBB1709_192
.LBB1709_191:                           ;   in Loop: Header=BB1709_192 Depth=1
	s_or_b64 exec, exec, s[56:57]
	s_waitcnt lgkmcnt(0)
	ds_bpermute_b32 v17, v77, v6
	ds_bpermute_b32 v16, v77, v16
	v_and_b32_e32 v81, 1, v7
	v_cmp_eq_u16_sdwa vcc, v7, v15 src0_sel:BYTE_0 src1_sel:DWORD
	v_subrev_u32_e32 v14, 64, v14
	s_waitcnt lgkmcnt(1)
	v_add_f32_e32 v17, v6, v17
	v_cndmask_b32_e32 v17, v6, v17, vcc
	v_cmp_eq_u32_e32 vcc, 1, v81
	s_waitcnt lgkmcnt(0)
	s_nop 0
	v_cndmask_b32_e64 v16, v16, 1, vcc
	v_cmp_gt_u32_e32 vcc, v79, v9
	v_and_b32_e32 v9, 1, v76
	s_nop 0
	v_cndmask_b32_e32 v6, v17, v6, vcc
	v_cndmask_b32_e32 v7, v16, v7, vcc
	v_add_f32_e32 v6, v78, v6
	v_cmp_eq_u16_sdwa vcc, v76, v15 src0_sel:BYTE_0 src1_sel:DWORD
	v_and_b32_e32 v7, 1, v7
	s_nop 0
	v_cndmask_b32_e32 v6, v78, v6, vcc
	v_cmp_eq_u32_e32 vcc, 1, v9
	s_nop 1
	v_cndmask_b32_e64 v7, v7, 1, vcc
.LBB1709_192:                           ; =>This Loop Header: Depth=1
                                        ;     Child Loop BB1709_195 Depth 2
	v_cmp_ne_u16_sdwa s[56:57], v8, v80 src0_sel:BYTE_0 src1_sel:DWORD
	v_mov_b32_e32 v76, v7
	v_mov_b32_e32 v78, v6
	v_cndmask_b32_e64 v7, 0, 1, s[56:57]
	;;#ASMSTART
	;;#ASMEND
	s_nop 0
	v_cmp_ne_u32_e32 vcc, 0, v7
	s_cmp_lg_u64 vcc, exec
	s_cbranch_scc1 .LBB1709_207
; %bb.193:                              ;   in Loop: Header=BB1709_192 Depth=1
	v_lshl_add_u64 v[16:17], v[14:15], 4, s[64:65]
	;;#ASMSTART
	global_load_dwordx4 v[6:9], v[16:17] off sc1	
s_waitcnt vmcnt(0)
	;;#ASMEND
	s_nop 0
	v_cmp_eq_u16_sdwa s[58:59], v8, v15 src0_sel:BYTE_0 src1_sel:DWORD
	s_and_saveexec_b64 s[56:57], s[58:59]
	s_cbranch_execz .LBB1709_197
; %bb.194:                              ;   in Loop: Header=BB1709_192 Depth=1
	s_mov_b64 s[58:59], 0
.LBB1709_195:                           ;   Parent Loop BB1709_192 Depth=1
                                        ; =>  This Inner Loop Header: Depth=2
	;;#ASMSTART
	global_load_dwordx4 v[6:9], v[16:17] off sc1	
s_waitcnt vmcnt(0)
	;;#ASMEND
	s_nop 0
	v_cmp_ne_u16_sdwa s[68:69], v8, v15 src0_sel:BYTE_0 src1_sel:DWORD
	s_or_b64 s[58:59], s[68:69], s[58:59]
	s_andn2_b64 exec, exec, s[58:59]
	s_cbranch_execnz .LBB1709_195
; %bb.196:                              ;   in Loop: Header=BB1709_192 Depth=1
	s_or_b64 exec, exec, s[58:59]
.LBB1709_197:                           ;   in Loop: Header=BB1709_192 Depth=1
	s_or_b64 exec, exec, s[56:57]
	v_cmp_eq_u16_sdwa s[56:57], v8, v80 src0_sel:BYTE_0 src1_sel:DWORD
	v_and_b32_e32 v16, 0xff, v7
	ds_bpermute_b32 v81, v24, v6
	v_and_b32_e32 v9, s57, v5
	v_or_b32_e32 v9, 0x80000000, v9
	ds_bpermute_b32 v17, v24, v16
	v_and_b32_e32 v82, s56, v4
	v_ffbl_b32_e32 v9, v9
	v_add_u32_e32 v9, 32, v9
	v_ffbl_b32_e32 v82, v82
	v_min_u32_e32 v9, v82, v9
	v_cmp_lt_u32_e32 vcc, v3, v9
	s_and_saveexec_b64 s[56:57], vcc
	s_cbranch_execz .LBB1709_199
; %bb.198:                              ;   in Loop: Header=BB1709_192 Depth=1
	s_waitcnt lgkmcnt(1)
	v_add_f32_e32 v16, v6, v81
	v_cmp_eq_u16_sdwa vcc, v7, v15 src0_sel:BYTE_0 src1_sel:DWORD
	v_and_b32_e32 v7, 1, v7
	s_nop 0
	v_cndmask_b32_e32 v6, v6, v16, vcc
	s_waitcnt lgkmcnt(0)
	v_and_b32_e32 v16, 1, v17
	v_cmp_eq_u32_e32 vcc, 1, v7
	s_nop 1
	v_cndmask_b32_e64 v7, v16, 1, vcc
	v_and_b32_e32 v16, 0xffff, v7
.LBB1709_199:                           ;   in Loop: Header=BB1709_192 Depth=1
	s_or_b64 exec, exec, s[56:57]
	s_waitcnt lgkmcnt(1)
	ds_bpermute_b32 v81, v25, v6
	s_waitcnt lgkmcnt(1)
	ds_bpermute_b32 v17, v25, v16
	v_cmp_le_u32_e32 vcc, v26, v9
	s_and_saveexec_b64 s[56:57], vcc
	s_cbranch_execz .LBB1709_201
; %bb.200:                              ;   in Loop: Header=BB1709_192 Depth=1
	s_waitcnt lgkmcnt(1)
	v_add_f32_e32 v16, v6, v81
	v_cmp_eq_u16_sdwa vcc, v7, v15 src0_sel:BYTE_0 src1_sel:DWORD
	v_and_b32_e32 v7, 1, v7
	s_nop 0
	v_cndmask_b32_e32 v6, v6, v16, vcc
	s_waitcnt lgkmcnt(0)
	v_and_b32_e32 v16, 1, v17
	v_cmp_eq_u32_e32 vcc, 1, v7
	s_nop 1
	v_cndmask_b32_e64 v7, v16, 1, vcc
	v_and_b32_e32 v16, 0xffff, v7
.LBB1709_201:                           ;   in Loop: Header=BB1709_192 Depth=1
	s_or_b64 exec, exec, s[56:57]
	s_waitcnt lgkmcnt(1)
	ds_bpermute_b32 v81, v27, v6
	s_waitcnt lgkmcnt(1)
	ds_bpermute_b32 v17, v27, v16
	v_cmp_le_u32_e32 vcc, v28, v9
	;; [unrolled: 22-line block ×4, first 2 shown]
	s_and_saveexec_b64 s[56:57], vcc
	s_cbranch_execz .LBB1709_191
; %bb.206:                              ;   in Loop: Header=BB1709_192 Depth=1
	s_waitcnt lgkmcnt(1)
	v_add_f32_e32 v16, v6, v81
	v_cmp_eq_u16_sdwa vcc, v7, v15 src0_sel:BYTE_0 src1_sel:DWORD
	v_and_b32_e32 v7, 1, v7
	s_nop 0
	v_cndmask_b32_e32 v6, v6, v16, vcc
	s_waitcnt lgkmcnt(0)
	v_and_b32_e32 v16, 1, v17
	v_cmp_eq_u32_e32 vcc, 1, v7
	s_nop 1
	v_cndmask_b32_e64 v7, v16, 1, vcc
	v_and_b32_e32 v16, 0xffff, v7
	s_branch .LBB1709_191
.LBB1709_207:                           ;   in Loop: Header=BB1709_192 Depth=1
                                        ; implicit-def: $vgpr7
	s_cbranch_execz .LBB1709_192
; %bb.208:
	s_and_saveexec_b64 s[56:57], s[50:51]
	s_cbranch_execz .LBB1709_210
; %bb.209:
	s_and_b32 s50, s60, 0xff
	s_cmp_eq_u32 s50, 0
	s_cselect_b64 vcc, -1, 0
	s_bitcmp1_b32 s60, 0
	s_mov_b32 s51, 0
	s_cselect_b64 s[58:59], -1, 0
	s_add_i32 s50, s67, 64
	s_lshl_b64 s[50:51], s[50:51], 4
	v_add_f32_e32 v3, v78, v2
	s_add_u32 s50, s64, s50
	v_cndmask_b32_e32 v2, v2, v3, vcc
	v_and_b32_e32 v3, 1, v76
	s_addc_u32 s51, s65, s51
	v_cndmask_b32_e64 v3, v3, 1, s[58:59]
	v_mov_b32_e32 v4, 2
	v_mov_b32_e32 v5, 0
	v_mov_b64_e32 v[6:7], s[50:51]
	;;#ASMSTART
	global_store_dwordx4 v[6:7], v[2:5] off sc1	
s_waitcnt vmcnt(0)
	;;#ASMEND
.LBB1709_210:
	s_or_b64 exec, exec, s[56:57]
	s_and_b64 exec, exec, s[52:53]
	s_cbranch_execz .LBB1709_212
; %bb.211:
	v_mov_b32_e32 v2, 0
	ds_write_b32 v2, v78
	ds_write_b8 v2, v76 offset:4
.LBB1709_212:
	s_or_b64 exec, exec, s[0:1]
	v_mov_b32_e32 v2, 0
	s_waitcnt lgkmcnt(0)
	s_barrier
	ds_read_b32 v3, v2
	v_cmp_eq_u32_e32 vcc, 0, v23
	s_waitcnt lgkmcnt(0)
	v_add_f32_e32 v4, v22, v3
	v_cndmask_b32_e32 v4, v22, v4, vcc
	v_cndmask_b32_e64 v31, v4, v3, s[52:53]
	v_add_f32_e32 v3, v50, v31
	v_cmp_eq_u16_sdwa vcc, v1, v2 src0_sel:BYTE_0 src1_sel:DWORD
	s_nop 1
	v_cndmask_b32_e32 v74, v50, v3, vcc
	v_add_f32_e32 v2, v48, v74
	s_waitcnt vmcnt(0)
	v_cndmask_b32_e64 v75, v48, v2, s[6:7]
	v_add_f32_e32 v2, v49, v75
	v_cndmask_b32_e64 v76, v49, v2, s[8:9]
	v_add_f32_e32 v2, v46, v76
	;; [unrolled: 2-line block ×20, first 2 shown]
	v_cndmask_b32_e64 v95, v30, v2, s[48:49]
	s_branch .LBB1709_235
.LBB1709_213:
                                        ; implicit-def: $vgpr94
                                        ; implicit-def: $vgpr93
                                        ; implicit-def: $vgpr92
                                        ; implicit-def: $vgpr91
                                        ; implicit-def: $vgpr90
                                        ; implicit-def: $vgpr89
                                        ; implicit-def: $vgpr88
                                        ; implicit-def: $vgpr87
                                        ; implicit-def: $vgpr86
                                        ; implicit-def: $vgpr85
                                        ; implicit-def: $vgpr84
                                        ; implicit-def: $vgpr83
                                        ; implicit-def: $vgpr82
                                        ; implicit-def: $vgpr81
                                        ; implicit-def: $vgpr80
                                        ; implicit-def: $vgpr79
                                        ; implicit-def: $vgpr78
                                        ; implicit-def: $vgpr77
                                        ; implicit-def: $vgpr76
                                        ; implicit-def: $vgpr75
                                        ; implicit-def: $vgpr74
                                        ; implicit-def: $vgpr31
                                        ; implicit-def: $vgpr95
	s_cbranch_execz .LBB1709_235
; %bb.214:
	s_cmp_lg_u64 s[72:73], 0
	s_cselect_b32 s1, s71, 0
	s_cselect_b32 s0, s70, 0
	s_cmp_eq_u64 s[0:1], 0
	v_mov_b32_e32 v4, s74
	s_cbranch_scc1 .LBB1709_216
; %bb.215:
	v_mov_b32_e32 v2, 0
	global_load_dword v4, v2, s[0:1]
.LBB1709_216:
	v_mov_b32_e32 v9, 0
	v_cmp_eq_u16_sdwa vcc, v51, v9 src0_sel:BYTE_0 src1_sel:DWORD
	v_cmp_eq_u16_sdwa s[6:7], v52, v9 src0_sel:BYTE_0 src1_sel:DWORD
	v_cmp_eq_u16_sdwa s[8:9], v53, v9 src0_sel:BYTE_0 src1_sel:DWORD
	v_cndmask_b32_e32 v2, v48, v21, vcc
	v_add_f32_e32 v2, v49, v2
	v_cndmask_b32_e64 v2, v49, v2, s[6:7]
	v_add_f32_e32 v2, v46, v2
	v_cndmask_b32_e64 v2, v46, v2, s[8:9]
	v_add_f32_e32 v2, v47, v2
	v_cmp_eq_u16_sdwa s[10:11], v55, v9 src0_sel:BYTE_0 src1_sel:DWORD
	v_cmp_eq_u16_sdwa s[12:13], v56, v9 src0_sel:BYTE_0 src1_sel:DWORD
	v_cmp_eq_u16_sdwa s[14:15], v57, v9 src0_sel:BYTE_0 src1_sel:DWORD
	v_cndmask_b32_e64 v2, v47, v2, s[10:11]
	v_add_f32_e32 v2, v44, v2
	v_cndmask_b32_e64 v2, v44, v2, s[12:13]
	v_add_f32_e32 v2, v45, v2
	v_cndmask_b32_e64 v2, v45, v2, s[14:15]
	v_add_f32_e32 v2, v42, v2
	v_cmp_eq_u16_sdwa s[18:19], v58, v9 src0_sel:BYTE_0 src1_sel:DWORD
	v_cmp_eq_u16_sdwa s[20:21], v59, v9 src0_sel:BYTE_0 src1_sel:DWORD
	v_cmp_eq_u16_sdwa s[22:23], v61, v9 src0_sel:BYTE_0 src1_sel:DWORD
	v_cndmask_b32_e64 v2, v42, v2, s[18:19]
	;; [unrolled: 9-line block ×6, first 2 shown]
	v_add_f32_e32 v2, v62, v2
	v_cndmask_b32_e64 v2, v62, v2, s[46:47]
	v_add_f32_e32 v2, v30, v2
	v_cndmask_b32_e64 v2, v30, v2, s[16:17]
	v_add_f32_e32 v2, v18, v2
	v_cmp_eq_u16_sdwa s[0:1], v13, v9 src0_sel:BYTE_0 src1_sel:DWORD
	v_and_b32_e32 v3, 0xff, v1
	s_nop 0
	v_cndmask_b32_e64 v6, v18, v2, s[0:1]
	v_or_b32_e32 v2, v20, v72
	v_or_b32_e32 v2, v2, v71
	;; [unrolled: 1-line block ×19, first 2 shown]
	v_and_b32_e32 v2, 1, v2
	v_cmp_eq_u32_e64 s[0:1], 1, v2
	v_add_lshl_u32 v2, v19, v0, 3
	s_nop 0
	v_cndmask_b32_e64 v7, v3, 1, s[0:1]
	v_cmp_gt_u32_e64 s[0:1], 64, v0
	ds_write_b32 v2, v6
	ds_write_b8 v2, v7 offset:4
	s_waitcnt lgkmcnt(0)
	s_barrier
	s_and_saveexec_b64 s[48:49], s[0:1]
	s_cbranch_execz .LBB1709_230
; %bb.217:
	v_lshrrev_b32_e32 v2, 3, v0
	v_add_lshl_u32 v5, v2, v12, 3
	ds_read2_b32 v[14:15], v5 offset0:2 offset1:4
	ds_read_b64 v[2:3], v5
	ds_read_u8 v13, v5 offset:12
	ds_read_u8 v16, v5 offset:20
	ds_read_b32 v18, v5 offset:24
	ds_read_u8 v19, v5 offset:28
	s_waitcnt lgkmcnt(0)
	v_add_f32_e32 v8, v2, v14
	v_cmp_eq_u16_sdwa s[0:1], v13, v9 src0_sel:BYTE_0 src1_sel:DWORD
	v_and_b32_e32 v17, 0xffffff00, v3
	s_nop 0
	v_cndmask_b32_e64 v14, v14, v8, s[0:1]
	v_add_f32_e32 v14, v15, v14
	v_cmp_eq_u16_sdwa s[0:1], v16, v9 src0_sel:BYTE_0 src1_sel:DWORD
	v_and_b32_e32 v8, 1, v3
	s_nop 0
	v_cndmask_b32_e64 v9, v15, v14, s[0:1]
	v_or_b32_e32 v14, v19, v16
	v_or_b32_e32 v13, v14, v13
	v_add_f32_e32 v9, v18, v9
	v_cmp_eq_u16_e64 s[0:1], 0, v19
	v_and_b32_e32 v13, 1, v13
	s_nop 0
	v_cndmask_b32_e64 v9, v18, v9, s[0:1]
	v_cmp_eq_u32_e64 s[0:1], 1, v13
	v_mbcnt_lo_u32_b32 v13, -1, 0
	v_mbcnt_hi_u32_b32 v13, -1, v13
	v_cndmask_b32_e64 v15, v8, 1, s[0:1]
	v_or_b32_e32 v14, v15, v17
	v_and_b32_e32 v16, 15, v13
	v_mov_b32_dpp v19, v9 row_shr:1 row_mask:0xf bank_mask:0xf
	v_mov_b32_dpp v18, v14 row_shr:1 row_mask:0xf bank_mask:0xf
	v_cmp_ne_u32_e64 s[0:1], 0, v16
	s_and_saveexec_b64 s[50:51], s[0:1]
; %bb.218:
	v_add_f32_e32 v14, v9, v19
	v_cmp_eq_u32_e64 s[0:1], 0, v15
	s_nop 1
	v_cndmask_b32_e64 v9, v9, v14, s[0:1]
	v_and_b32_e32 v14, 1, v15
	v_and_b32_e32 v15, 1, v18
	v_cmp_eq_u32_e64 s[0:1], 1, v14
	s_nop 1
	v_cndmask_b32_e64 v15, v15, 1, s[0:1]
	v_or_b32_e32 v14, v15, v17
; %bb.219:
	s_or_b64 exec, exec, s[50:51]
	v_mov_b32_dpp v18, v9 row_shr:2 row_mask:0xf bank_mask:0xf
	v_mov_b32_dpp v17, v14 row_shr:2 row_mask:0xf bank_mask:0xf
	v_cmp_lt_u32_e64 s[0:1], 1, v16
	s_and_saveexec_b64 s[50:51], s[0:1]
; %bb.220:
	v_add_f32_e32 v18, v9, v18
	v_cmp_eq_u32_e64 s[0:1], 0, v15
	v_and_b32_e32 v15, 1, v15
	v_and_b32_e32 v17, 1, v17
	v_cndmask_b32_e64 v9, v9, v18, s[0:1]
	v_cmp_eq_u32_e64 s[0:1], 1, v15
	s_nop 1
	v_cndmask_b32_e64 v15, v17, 1, s[0:1]
	s_movk_i32 s0, 0xff00
	v_and_or_b32 v14, v14, s0, v15
; %bb.221:
	s_or_b64 exec, exec, s[50:51]
	v_mov_b32_dpp v18, v9 row_shr:4 row_mask:0xf bank_mask:0xf
	v_mov_b32_dpp v17, v14 row_shr:4 row_mask:0xf bank_mask:0xf
	v_cmp_lt_u32_e64 s[0:1], 3, v16
	s_and_saveexec_b64 s[50:51], s[0:1]
; %bb.222:
	v_add_f32_e32 v18, v9, v18
	v_cmp_eq_u32_e64 s[0:1], 0, v15
	v_and_b32_e32 v15, 1, v15
	v_and_b32_e32 v17, 1, v17
	v_cndmask_b32_e64 v9, v9, v18, s[0:1]
	v_cmp_eq_u32_e64 s[0:1], 1, v15
	s_nop 1
	v_cndmask_b32_e64 v15, v17, 1, s[0:1]
	s_movk_i32 s0, 0xff00
	v_and_or_b32 v14, v14, s0, v15
; %bb.223:
	s_or_b64 exec, exec, s[50:51]
	v_mov_b32_dpp v18, v9 row_shr:8 row_mask:0xf bank_mask:0xf
	v_mov_b32_dpp v17, v14 row_shr:8 row_mask:0xf bank_mask:0xf
	v_cmp_lt_u32_e64 s[0:1], 7, v16
	s_and_saveexec_b64 s[50:51], s[0:1]
; %bb.224:
	v_add_f32_e32 v16, v9, v18
	v_cmp_eq_u32_e64 s[0:1], 0, v15
	v_and_b32_e32 v15, 1, v15
	s_nop 0
	v_cndmask_b32_e64 v9, v9, v16, s[0:1]
	v_and_b32_e32 v16, 1, v17
	v_cmp_eq_u32_e64 s[0:1], 1, v15
	s_nop 1
	v_cndmask_b32_e64 v15, v16, 1, s[0:1]
	s_movk_i32 s0, 0xff00
	v_and_or_b32 v14, v14, s0, v15
; %bb.225:
	s_or_b64 exec, exec, s[50:51]
	v_and_b32_e32 v18, 16, v13
	v_mov_b32_dpp v17, v9 row_bcast:15 row_mask:0xf bank_mask:0xf
	v_mov_b32_dpp v16, v14 row_bcast:15 row_mask:0xf bank_mask:0xf
	v_cmp_ne_u32_e64 s[0:1], 0, v18
	s_and_saveexec_b64 s[50:51], s[0:1]
; %bb.226:
	v_add_f32_e32 v17, v9, v17
	v_cmp_eq_u32_e64 s[0:1], 0, v15
	v_and_b32_e32 v15, 1, v15
	v_and_b32_e32 v16, 1, v16
	v_cndmask_b32_e64 v9, v9, v17, s[0:1]
	v_cmp_eq_u32_e64 s[0:1], 1, v15
	s_nop 1
	v_cndmask_b32_e64 v15, v16, 1, s[0:1]
	s_movk_i32 s0, 0xff00
	v_and_or_b32 v14, v14, s0, v15
; %bb.227:
	s_or_b64 exec, exec, s[50:51]
	v_mov_b32_dpp v17, v9 row_bcast:31 row_mask:0xf bank_mask:0xf
	v_mov_b32_dpp v16, v14 row_bcast:31 row_mask:0xf bank_mask:0xf
	v_cmp_lt_u32_e64 s[0:1], 31, v13
	s_and_saveexec_b64 s[50:51], s[0:1]
; %bb.228:
	v_add_f32_e32 v17, v9, v17
	v_cmp_eq_u32_e64 s[0:1], 0, v15
	v_and_b32_e32 v15, 1, v15
	v_and_b32_e32 v16, 1, v16
	v_cndmask_b32_e64 v9, v9, v17, s[0:1]
	v_cmp_eq_u32_e64 s[0:1], 1, v15
	s_nop 1
	v_cndmask_b32_e64 v15, v16, 1, s[0:1]
	s_movk_i32 s0, 0xff00
	v_and_or_b32 v14, v14, s0, v15
; %bb.229:
	s_or_b64 exec, exec, s[50:51]
	v_add_u32_e32 v15, -1, v13
	v_and_b32_e32 v16, 64, v13
	v_cmp_lt_i32_e64 s[0:1], v15, v16
	; wave barrier
	s_nop 1
	v_cndmask_b32_e64 v13, v15, v13, s[0:1]
	v_lshlrev_b32_e32 v13, 2, v13
	ds_bpermute_b32 v9, v13, v9
	ds_bpermute_b32 v13, v13, v14
	v_mov_b32_e32 v14, 0
	v_cmp_eq_u32_sdwa s[0:1], v3, v14 src0_sel:BYTE_0 src1_sel:DWORD
	s_waitcnt lgkmcnt(0)
	v_add_f32_e32 v9, v2, v9
	v_cndmask_b32_e64 v2, v2, v9, s[0:1]
	v_and_b32_e32 v3, 1, v13
	v_cmp_eq_u32_e64 s[0:1], 1, v8
	v_cndmask_b32_e64 v6, v2, v6, s[52:53]
	s_nop 0
	v_cndmask_b32_e64 v3, v3, 1, s[0:1]
	v_cndmask_b32_e64 v7, v3, v7, s[52:53]
	ds_write_b32 v5, v6
	ds_write_b8 v5, v7 offset:4
	; wave barrier
	ds_read2_b32 v[2:3], v5 offset0:2 offset1:4
	ds_read_u8 v8, v5 offset:12
	ds_read_u8 v9, v5 offset:20
	ds_read_b32 v13, v5 offset:24
	ds_read_u8 v14, v5 offset:28
	s_waitcnt lgkmcnt(0)
	v_add_f32_e32 v6, v6, v2
	v_cmp_eq_u16_e64 s[0:1], 0, v8
	s_nop 1
	v_cndmask_b32_e64 v2, v2, v6, s[0:1]
	v_and_b32_e32 v6, 1, v8
	v_cmp_eq_u32_e64 s[0:1], 1, v6
	s_nop 1
	v_cndmask_b32_e64 v6, v7, 1, s[0:1]
	v_add_f32_e32 v7, v2, v3
	v_cmp_eq_u16_e64 s[0:1], 0, v9
	ds_write_b8 v5, v6 offset:12
	s_nop 0
	v_cndmask_b32_e64 v3, v3, v7, s[0:1]
	v_and_b32_e32 v7, 1, v9
	v_cmp_eq_u32_e64 s[0:1], 1, v7
	s_nop 1
	v_cndmask_b32_e64 v6, v6, 1, s[0:1]
	ds_write2_b32 v5, v2, v3 offset0:2 offset1:4
	ds_write_b8 v5, v6 offset:20
	v_add_f32_e32 v2, v3, v13
	v_cmp_eq_u16_e64 s[0:1], 0, v14
	v_and_b32_e32 v3, 1, v14
	s_nop 0
	v_cndmask_b32_e64 v2, v13, v2, s[0:1]
	v_cmp_eq_u32_e64 s[0:1], 1, v3
	s_nop 1
	v_cndmask_b32_e64 v3, v6, 1, s[0:1]
	ds_write_b32 v5, v2 offset:24
	ds_write_b8 v5, v3 offset:28
.LBB1709_230:
	s_or_b64 exec, exec, s[48:49]
	s_waitcnt vmcnt(0)
	v_mov_b32_e32 v31, v4
	s_waitcnt lgkmcnt(0)
	s_barrier
	s_and_saveexec_b64 s[48:49], s[4:5]
	s_cbranch_execz .LBB1709_232
; %bb.231:
	v_add_u32_e32 v2, -1, v0
	v_lshrrev_b32_e32 v3, 5, v2
	v_add_lshl_u32 v2, v3, v2, 3
	ds_read_b32 v3, v2
	ds_read_u8 v2, v2 offset:4
	s_waitcnt lgkmcnt(1)
	v_add_f32_e32 v5, v4, v3
	s_waitcnt lgkmcnt(0)
	v_cmp_eq_u16_e64 s[0:1], 0, v2
	s_nop 1
	v_cndmask_b32_e64 v31, v3, v5, s[0:1]
.LBB1709_232:
	s_or_b64 exec, exec, s[48:49]
	v_mov_b32_e32 v5, 0
	v_add_f32_e32 v2, v50, v31
	v_cmp_eq_u16_sdwa s[0:1], v1, v5 src0_sel:BYTE_0 src1_sel:DWORD
	s_nop 1
	v_cndmask_b32_e64 v74, v50, v2, s[0:1]
	v_add_f32_e32 v1, v48, v74
	v_cndmask_b32_e32 v75, v48, v1, vcc
	v_add_f32_e32 v1, v49, v75
	v_cndmask_b32_e64 v76, v49, v1, s[6:7]
	v_add_f32_e32 v1, v46, v76
	v_cndmask_b32_e64 v77, v46, v1, s[8:9]
	;; [unrolled: 2-line block ×19, first 2 shown]
	v_add_f32_e32 v1, v30, v94
	s_and_saveexec_b64 s[0:1], s[52:53]
	s_cbranch_execz .LBB1709_234
; %bb.233:
	ds_read_b32 v2, v5 offset:2096
	ds_read_u8 v3, v5 offset:2100
	s_add_u32 s4, s64, 0x400
	s_addc_u32 s5, s65, 0
	v_mov_b64_e32 v[6:7], s[4:5]
	s_waitcnt lgkmcnt(1)
	v_add_f32_e32 v4, v4, v2
	s_waitcnt lgkmcnt(0)
	v_cmp_eq_u16_e32 vcc, 0, v3
	v_and_b32_e32 v3, 0xffff, v3
	s_nop 0
	v_cndmask_b32_e32 v2, v2, v4, vcc
	v_mov_b32_e32 v4, 2
	;;#ASMSTART
	global_store_dwordx4 v[6:7], v[2:5] off sc1	
s_waitcnt vmcnt(0)
	;;#ASMEND
.LBB1709_234:
	s_or_b64 exec, exec, s[0:1]
	v_cndmask_b32_e64 v95, v30, v1, s[16:17]
.LBB1709_235:
	s_add_u32 s0, s62, s54
	s_addc_u32 s1, s63, s55
	v_lshl_add_u64 v[2:3], s[0:1], 0, v[10:11]
	s_and_b64 vcc, exec, s[2:3]
	s_cbranch_vccz .LBB1709_281
; %bb.236:
	s_movk_i32 s0, 0x5c
	v_mul_i32_i24_e32 v30, 0xffffffa8, v0
	v_mul_u32_u24_e32 v1, 0x5c, v0
	v_mad_u32_u24 v4, v0, s0, v30
	s_barrier
	ds_write2_b32 v1, v31, v74 offset1:1
	s_waitcnt vmcnt(0)
	ds_write2_b32 v1, v75, v76 offset0:2 offset1:3
	ds_write2_b32 v1, v77, v78 offset0:4 offset1:5
	;; [unrolled: 1-line block ×10, first 2 shown]
	ds_write_b32 v1, v95 offset:88
	s_waitcnt lgkmcnt(0)
	s_barrier
	ds_read2st64_b32 v[28:29], v4 offset0:4 offset1:8
	ds_read2st64_b32 v[26:27], v4 offset0:12 offset1:16
	;; [unrolled: 1-line block ×11, first 2 shown]
	s_add_i32 s33, s33, s66
	v_mov_b32_e32 v13, 0
	v_lshl_add_u64 v[6:7], v[2:3], 0, v[12:13]
	v_cmp_gt_u32_e32 vcc, s33, v0
	s_and_saveexec_b64 s[0:1], vcc
	s_cbranch_execz .LBB1709_238
; %bb.237:
	v_add_u32_e32 v1, v1, v30
	ds_read_b32 v1, v1
	s_waitcnt lgkmcnt(0)
	flat_store_dword v[6:7], v1
.LBB1709_238:
	s_or_b64 exec, exec, s[0:1]
	v_or_b32_e32 v1, 0x100, v0
	v_cmp_gt_u32_e32 vcc, s33, v1
	s_and_saveexec_b64 s[0:1], vcc
	s_cbranch_execz .LBB1709_240
; %bb.239:
	s_waitcnt lgkmcnt(0)
	flat_store_dword v[6:7], v28 offset:1024
.LBB1709_240:
	s_or_b64 exec, exec, s[0:1]
	v_or_b32_e32 v1, 0x200, v0
	v_cmp_gt_u32_e32 vcc, s33, v1
	s_and_saveexec_b64 s[0:1], vcc
	s_cbranch_execz .LBB1709_242
; %bb.241:
	s_waitcnt lgkmcnt(0)
	flat_store_dword v[6:7], v29 offset:2048
.LBB1709_242:
	;; [unrolled: 9-line block ×3, first 2 shown]
	s_or_b64 exec, exec, s[0:1]
	v_or_b32_e32 v1, 0x400, v0
	v_cmp_gt_u32_e32 vcc, s33, v1
	s_and_saveexec_b64 s[0:1], vcc
	s_cbranch_execz .LBB1709_246
; %bb.245:
	s_waitcnt lgkmcnt(0)
	v_add_co_u32_e32 v28, vcc, 0x1000, v6
	s_nop 1
	v_addc_co_u32_e32 v29, vcc, 0, v7, vcc
	flat_store_dword v[28:29], v27
.LBB1709_246:
	s_or_b64 exec, exec, s[0:1]
	v_or_b32_e32 v1, 0x500, v0
	v_cmp_gt_u32_e32 vcc, s33, v1
	s_and_saveexec_b64 s[0:1], vcc
	s_cbranch_execz .LBB1709_248
; %bb.247:
	s_waitcnt lgkmcnt(0)
	v_add_co_u32_e32 v26, vcc, 0x1000, v6
	s_nop 1
	v_addc_co_u32_e32 v27, vcc, 0, v7, vcc
	flat_store_dword v[26:27], v24 offset:1024
.LBB1709_248:
	s_or_b64 exec, exec, s[0:1]
	v_or_b32_e32 v1, 0x600, v0
	v_cmp_gt_u32_e32 vcc, s33, v1
	s_and_saveexec_b64 s[0:1], vcc
	s_cbranch_execz .LBB1709_250
; %bb.249:
	s_waitcnt lgkmcnt(0)
	v_add_co_u32_e32 v26, vcc, 0x1000, v6
	s_nop 1
	v_addc_co_u32_e32 v27, vcc, 0, v7, vcc
	flat_store_dword v[26:27], v25 offset:2048
.LBB1709_250:
	s_or_b64 exec, exec, s[0:1]
	v_or_b32_e32 v1, 0x700, v0
	v_cmp_gt_u32_e32 vcc, s33, v1
	s_and_saveexec_b64 s[0:1], vcc
	s_cbranch_execz .LBB1709_252
; %bb.251:
	s_waitcnt lgkmcnt(0)
	v_add_co_u32_e32 v24, vcc, 0x1000, v6
	s_nop 1
	v_addc_co_u32_e32 v25, vcc, 0, v7, vcc
	flat_store_dword v[24:25], v22 offset:3072
.LBB1709_252:
	s_or_b64 exec, exec, s[0:1]
	v_or_b32_e32 v1, 0x800, v0
	v_cmp_gt_u32_e32 vcc, s33, v1
	s_and_saveexec_b64 s[0:1], vcc
	s_cbranch_execz .LBB1709_254
; %bb.253:
	s_waitcnt lgkmcnt(0)
	v_add_co_u32_e32 v24, vcc, 0x2000, v6
	s_nop 1
	v_addc_co_u32_e32 v25, vcc, 0, v7, vcc
	flat_store_dword v[24:25], v23
.LBB1709_254:
	s_or_b64 exec, exec, s[0:1]
	v_or_b32_e32 v1, 0x900, v0
	v_cmp_gt_u32_e32 vcc, s33, v1
	s_and_saveexec_b64 s[0:1], vcc
	s_cbranch_execz .LBB1709_256
; %bb.255:
	s_waitcnt lgkmcnt(0)
	v_add_co_u32_e32 v22, vcc, 0x2000, v6
	s_nop 1
	v_addc_co_u32_e32 v23, vcc, 0, v7, vcc
	flat_store_dword v[22:23], v20 offset:1024
.LBB1709_256:
	s_or_b64 exec, exec, s[0:1]
	v_or_b32_e32 v1, 0xa00, v0
	v_cmp_gt_u32_e32 vcc, s33, v1
	s_and_saveexec_b64 s[0:1], vcc
	s_cbranch_execz .LBB1709_258
; %bb.257:
	s_waitcnt lgkmcnt(0)
	v_add_co_u32_e32 v22, vcc, 0x2000, v6
	s_nop 1
	v_addc_co_u32_e32 v23, vcc, 0, v7, vcc
	flat_store_dword v[22:23], v21 offset:2048
.LBB1709_258:
	s_or_b64 exec, exec, s[0:1]
	v_or_b32_e32 v1, 0xb00, v0
	v_cmp_gt_u32_e32 vcc, s33, v1
	s_and_saveexec_b64 s[0:1], vcc
	s_cbranch_execz .LBB1709_260
; %bb.259:
	s_waitcnt lgkmcnt(0)
	v_add_co_u32_e32 v20, vcc, 0x2000, v6
	s_nop 1
	v_addc_co_u32_e32 v21, vcc, 0, v7, vcc
	flat_store_dword v[20:21], v18 offset:3072
.LBB1709_260:
	;; [unrolled: 48-line block ×4, first 2 shown]
	s_or_b64 exec, exec, s[0:1]
	v_or_b32_e32 v1, 0x1400, v0
	v_cmp_gt_u32_e32 vcc, s33, v1
	s_and_saveexec_b64 s[0:1], vcc
	s_cbranch_execz .LBB1709_278
; %bb.277:
	s_waitcnt lgkmcnt(0)
	v_add_co_u32_e32 v10, vcc, 0x5000, v6
	s_nop 1
	v_addc_co_u32_e32 v11, vcc, 0, v7, vcc
	flat_store_dword v[10:11], v9
.LBB1709_278:
	s_or_b64 exec, exec, s[0:1]
	v_or_b32_e32 v1, 0x1500, v0
	v_cmp_gt_u32_e32 vcc, s33, v1
	s_and_saveexec_b64 s[0:1], vcc
	s_cbranch_execz .LBB1709_280
; %bb.279:
	v_add_co_u32_e32 v6, vcc, 0x5000, v6
	s_nop 1
	v_addc_co_u32_e32 v7, vcc, 0, v7, vcc
	s_waitcnt lgkmcnt(0)
	flat_store_dword v[6:7], v4 offset:1024
.LBB1709_280:
	s_or_b64 exec, exec, s[0:1]
	s_waitcnt lgkmcnt(0)
	v_or_b32_e32 v4, 0x1600, v0
	v_mov_b32_e32 v1, v13
	v_cmp_gt_u32_e64 s[0:1], s33, v4
	s_branch .LBB1709_283
.LBB1709_281:
	s_mov_b64 s[0:1], 0
                                        ; implicit-def: $vgpr5
	s_cbranch_execz .LBB1709_283
; %bb.282:
	v_mul_u32_u24_e32 v1, 0x5c, v0
	s_barrier
	s_movk_i32 s2, 0x5c
	ds_write2_b32 v1, v31, v74 offset1:1
	s_waitcnt vmcnt(0)
	ds_write2_b32 v1, v75, v76 offset0:2 offset1:3
	ds_write2_b32 v1, v77, v78 offset0:4 offset1:5
	;; [unrolled: 1-line block ×10, first 2 shown]
	ds_write_b32 v1, v95 offset:88
	v_mov_b32_e32 v1, 0
	v_mul_i32_i24_e32 v4, 0xffffffa8, v0
	v_mad_u32_u24 v4, v0, s2, v4
	v_mov_b32_e32 v13, v1
	s_waitcnt lgkmcnt(0)
	s_barrier
	ds_read2st64_b32 v[6:7], v4 offset1:4
	ds_read2st64_b32 v[8:9], v4 offset0:8 offset1:12
	ds_read2st64_b32 v[10:11], v4 offset0:16 offset1:20
	;; [unrolled: 1-line block ×10, first 2 shown]
	ds_read_b32 v5, v4 offset:22528
	v_lshl_add_u64 v[12:13], v[2:3], 0, v[12:13]
	s_movk_i32 s2, 0x1000
	s_waitcnt lgkmcnt(11)
	flat_store_dword v[12:13], v6
	flat_store_dword v[12:13], v7 offset:1024
	s_waitcnt lgkmcnt(0)
	flat_store_dword v[12:13], v8 offset:2048
	flat_store_dword v[12:13], v9 offset:3072
	v_add_co_u32_e32 v6, vcc, s2, v12
	s_movk_i32 s2, 0x2000
	s_nop 0
	v_addc_co_u32_e32 v7, vcc, 0, v13, vcc
	flat_store_dword v[6:7], v10
	flat_store_dword v[6:7], v11 offset:1024
	flat_store_dword v[6:7], v14 offset:2048
	;; [unrolled: 1-line block ×3, first 2 shown]
	v_add_co_u32_e32 v6, vcc, s2, v12
	s_movk_i32 s2, 0x3000
	s_nop 0
	v_addc_co_u32_e32 v7, vcc, 0, v13, vcc
	flat_store_dword v[6:7], v16
	flat_store_dword v[6:7], v17 offset:1024
	flat_store_dword v[6:7], v18 offset:2048
	;; [unrolled: 1-line block ×3, first 2 shown]
	v_add_co_u32_e32 v6, vcc, s2, v12
	s_or_b64 s[0:1], s[0:1], exec
	s_nop 0
	v_addc_co_u32_e32 v7, vcc, 0, v13, vcc
	flat_store_dword v[6:7], v20
	flat_store_dword v[6:7], v21 offset:1024
	flat_store_dword v[6:7], v22 offset:2048
	flat_store_dword v[6:7], v23 offset:3072
	v_add_co_u32_e32 v6, vcc, 0x4000, v12
	s_nop 1
	v_addc_co_u32_e32 v7, vcc, 0, v13, vcc
	flat_store_dword v[6:7], v24
	flat_store_dword v[6:7], v25 offset:1024
	flat_store_dword v[6:7], v26 offset:2048
	;; [unrolled: 1-line block ×3, first 2 shown]
	v_add_co_u32_e32 v6, vcc, 0x5000, v12
	s_nop 1
	v_addc_co_u32_e32 v7, vcc, 0, v13, vcc
	flat_store_dword v[6:7], v28
	flat_store_dword v[6:7], v29 offset:1024
.LBB1709_283:
	s_and_saveexec_b64 s[2:3], s[0:1]
	s_cbranch_execz .LBB1709_285
; %bb.284:
	v_lshl_add_u64 v[0:1], v[0:1], 2, v[2:3]
	v_add_co_u32_e32 v0, vcc, 0x5000, v0
	s_nop 1
	v_addc_co_u32_e32 v1, vcc, 0, v1, vcc
	flat_store_dword v[0:1], v5 offset:2048
	s_endpgm
.LBB1709_285:
	s_endpgm
	.section	.rodata,"a",@progbits
	.p2align	6, 0x0
	.amdhsa_kernel _ZN7rocprim17ROCPRIM_400000_NS6detail17trampoline_kernelINS0_14default_configENS1_27scan_by_key_config_selectorIifEEZZNS1_16scan_by_key_implILNS1_25lookback_scan_determinismE0ELb1ES3_N6thrust23THRUST_200600_302600_NS6detail15normal_iteratorINS9_10device_ptrIiEEEENSB_INSC_IjEEEENSB_INSC_IfEEEEfNS9_4plusIvEENS9_8equal_toIvEEfEE10hipError_tPvRmT2_T3_T4_T5_mT6_T7_P12ihipStream_tbENKUlT_T0_E_clISt17integral_constantIbLb0EES12_IbLb1EEEEDaSY_SZ_EUlSY_E_NS1_11comp_targetILNS1_3genE5ELNS1_11target_archE942ELNS1_3gpuE9ELNS1_3repE0EEENS1_30default_config_static_selectorELNS0_4arch9wavefront6targetE1EEEvT1_
		.amdhsa_group_segment_fixed_size 25600
		.amdhsa_private_segment_fixed_size 0
		.amdhsa_kernarg_size 112
		.amdhsa_user_sgpr_count 2
		.amdhsa_user_sgpr_dispatch_ptr 0
		.amdhsa_user_sgpr_queue_ptr 0
		.amdhsa_user_sgpr_kernarg_segment_ptr 1
		.amdhsa_user_sgpr_dispatch_id 0
		.amdhsa_user_sgpr_kernarg_preload_length 0
		.amdhsa_user_sgpr_kernarg_preload_offset 0
		.amdhsa_user_sgpr_private_segment_size 0
		.amdhsa_uses_dynamic_stack 0
		.amdhsa_enable_private_segment 0
		.amdhsa_system_sgpr_workgroup_id_x 1
		.amdhsa_system_sgpr_workgroup_id_y 0
		.amdhsa_system_sgpr_workgroup_id_z 0
		.amdhsa_system_sgpr_workgroup_info 0
		.amdhsa_system_vgpr_workitem_id 0
		.amdhsa_next_free_vgpr 96
		.amdhsa_next_free_sgpr 80
		.amdhsa_accum_offset 96
		.amdhsa_reserve_vcc 1
		.amdhsa_float_round_mode_32 0
		.amdhsa_float_round_mode_16_64 0
		.amdhsa_float_denorm_mode_32 3
		.amdhsa_float_denorm_mode_16_64 3
		.amdhsa_dx10_clamp 1
		.amdhsa_ieee_mode 1
		.amdhsa_fp16_overflow 0
		.amdhsa_tg_split 0
		.amdhsa_exception_fp_ieee_invalid_op 0
		.amdhsa_exception_fp_denorm_src 0
		.amdhsa_exception_fp_ieee_div_zero 0
		.amdhsa_exception_fp_ieee_overflow 0
		.amdhsa_exception_fp_ieee_underflow 0
		.amdhsa_exception_fp_ieee_inexact 0
		.amdhsa_exception_int_div_zero 0
	.end_amdhsa_kernel
	.section	.text._ZN7rocprim17ROCPRIM_400000_NS6detail17trampoline_kernelINS0_14default_configENS1_27scan_by_key_config_selectorIifEEZZNS1_16scan_by_key_implILNS1_25lookback_scan_determinismE0ELb1ES3_N6thrust23THRUST_200600_302600_NS6detail15normal_iteratorINS9_10device_ptrIiEEEENSB_INSC_IjEEEENSB_INSC_IfEEEEfNS9_4plusIvEENS9_8equal_toIvEEfEE10hipError_tPvRmT2_T3_T4_T5_mT6_T7_P12ihipStream_tbENKUlT_T0_E_clISt17integral_constantIbLb0EES12_IbLb1EEEEDaSY_SZ_EUlSY_E_NS1_11comp_targetILNS1_3genE5ELNS1_11target_archE942ELNS1_3gpuE9ELNS1_3repE0EEENS1_30default_config_static_selectorELNS0_4arch9wavefront6targetE1EEEvT1_,"axG",@progbits,_ZN7rocprim17ROCPRIM_400000_NS6detail17trampoline_kernelINS0_14default_configENS1_27scan_by_key_config_selectorIifEEZZNS1_16scan_by_key_implILNS1_25lookback_scan_determinismE0ELb1ES3_N6thrust23THRUST_200600_302600_NS6detail15normal_iteratorINS9_10device_ptrIiEEEENSB_INSC_IjEEEENSB_INSC_IfEEEEfNS9_4plusIvEENS9_8equal_toIvEEfEE10hipError_tPvRmT2_T3_T4_T5_mT6_T7_P12ihipStream_tbENKUlT_T0_E_clISt17integral_constantIbLb0EES12_IbLb1EEEEDaSY_SZ_EUlSY_E_NS1_11comp_targetILNS1_3genE5ELNS1_11target_archE942ELNS1_3gpuE9ELNS1_3repE0EEENS1_30default_config_static_selectorELNS0_4arch9wavefront6targetE1EEEvT1_,comdat
.Lfunc_end1709:
	.size	_ZN7rocprim17ROCPRIM_400000_NS6detail17trampoline_kernelINS0_14default_configENS1_27scan_by_key_config_selectorIifEEZZNS1_16scan_by_key_implILNS1_25lookback_scan_determinismE0ELb1ES3_N6thrust23THRUST_200600_302600_NS6detail15normal_iteratorINS9_10device_ptrIiEEEENSB_INSC_IjEEEENSB_INSC_IfEEEEfNS9_4plusIvEENS9_8equal_toIvEEfEE10hipError_tPvRmT2_T3_T4_T5_mT6_T7_P12ihipStream_tbENKUlT_T0_E_clISt17integral_constantIbLb0EES12_IbLb1EEEEDaSY_SZ_EUlSY_E_NS1_11comp_targetILNS1_3genE5ELNS1_11target_archE942ELNS1_3gpuE9ELNS1_3repE0EEENS1_30default_config_static_selectorELNS0_4arch9wavefront6targetE1EEEvT1_, .Lfunc_end1709-_ZN7rocprim17ROCPRIM_400000_NS6detail17trampoline_kernelINS0_14default_configENS1_27scan_by_key_config_selectorIifEEZZNS1_16scan_by_key_implILNS1_25lookback_scan_determinismE0ELb1ES3_N6thrust23THRUST_200600_302600_NS6detail15normal_iteratorINS9_10device_ptrIiEEEENSB_INSC_IjEEEENSB_INSC_IfEEEEfNS9_4plusIvEENS9_8equal_toIvEEfEE10hipError_tPvRmT2_T3_T4_T5_mT6_T7_P12ihipStream_tbENKUlT_T0_E_clISt17integral_constantIbLb0EES12_IbLb1EEEEDaSY_SZ_EUlSY_E_NS1_11comp_targetILNS1_3genE5ELNS1_11target_archE942ELNS1_3gpuE9ELNS1_3repE0EEENS1_30default_config_static_selectorELNS0_4arch9wavefront6targetE1EEEvT1_
                                        ; -- End function
	.section	.AMDGPU.csdata,"",@progbits
; Kernel info:
; codeLenInByte = 16656
; NumSgprs: 86
; NumVgprs: 96
; NumAgprs: 0
; TotalNumVgprs: 96
; ScratchSize: 0
; MemoryBound: 0
; FloatMode: 240
; IeeeMode: 1
; LDSByteSize: 25600 bytes/workgroup (compile time only)
; SGPRBlocks: 10
; VGPRBlocks: 11
; NumSGPRsForWavesPerEU: 86
; NumVGPRsForWavesPerEU: 96
; AccumOffset: 96
; Occupancy: 2
; WaveLimiterHint : 1
; COMPUTE_PGM_RSRC2:SCRATCH_EN: 0
; COMPUTE_PGM_RSRC2:USER_SGPR: 2
; COMPUTE_PGM_RSRC2:TRAP_HANDLER: 0
; COMPUTE_PGM_RSRC2:TGID_X_EN: 1
; COMPUTE_PGM_RSRC2:TGID_Y_EN: 0
; COMPUTE_PGM_RSRC2:TGID_Z_EN: 0
; COMPUTE_PGM_RSRC2:TIDIG_COMP_CNT: 0
; COMPUTE_PGM_RSRC3_GFX90A:ACCUM_OFFSET: 23
; COMPUTE_PGM_RSRC3_GFX90A:TG_SPLIT: 0
	.section	.text._ZN7rocprim17ROCPRIM_400000_NS6detail17trampoline_kernelINS0_14default_configENS1_27scan_by_key_config_selectorIifEEZZNS1_16scan_by_key_implILNS1_25lookback_scan_determinismE0ELb1ES3_N6thrust23THRUST_200600_302600_NS6detail15normal_iteratorINS9_10device_ptrIiEEEENSB_INSC_IjEEEENSB_INSC_IfEEEEfNS9_4plusIvEENS9_8equal_toIvEEfEE10hipError_tPvRmT2_T3_T4_T5_mT6_T7_P12ihipStream_tbENKUlT_T0_E_clISt17integral_constantIbLb0EES12_IbLb1EEEEDaSY_SZ_EUlSY_E_NS1_11comp_targetILNS1_3genE4ELNS1_11target_archE910ELNS1_3gpuE8ELNS1_3repE0EEENS1_30default_config_static_selectorELNS0_4arch9wavefront6targetE1EEEvT1_,"axG",@progbits,_ZN7rocprim17ROCPRIM_400000_NS6detail17trampoline_kernelINS0_14default_configENS1_27scan_by_key_config_selectorIifEEZZNS1_16scan_by_key_implILNS1_25lookback_scan_determinismE0ELb1ES3_N6thrust23THRUST_200600_302600_NS6detail15normal_iteratorINS9_10device_ptrIiEEEENSB_INSC_IjEEEENSB_INSC_IfEEEEfNS9_4plusIvEENS9_8equal_toIvEEfEE10hipError_tPvRmT2_T3_T4_T5_mT6_T7_P12ihipStream_tbENKUlT_T0_E_clISt17integral_constantIbLb0EES12_IbLb1EEEEDaSY_SZ_EUlSY_E_NS1_11comp_targetILNS1_3genE4ELNS1_11target_archE910ELNS1_3gpuE8ELNS1_3repE0EEENS1_30default_config_static_selectorELNS0_4arch9wavefront6targetE1EEEvT1_,comdat
	.protected	_ZN7rocprim17ROCPRIM_400000_NS6detail17trampoline_kernelINS0_14default_configENS1_27scan_by_key_config_selectorIifEEZZNS1_16scan_by_key_implILNS1_25lookback_scan_determinismE0ELb1ES3_N6thrust23THRUST_200600_302600_NS6detail15normal_iteratorINS9_10device_ptrIiEEEENSB_INSC_IjEEEENSB_INSC_IfEEEEfNS9_4plusIvEENS9_8equal_toIvEEfEE10hipError_tPvRmT2_T3_T4_T5_mT6_T7_P12ihipStream_tbENKUlT_T0_E_clISt17integral_constantIbLb0EES12_IbLb1EEEEDaSY_SZ_EUlSY_E_NS1_11comp_targetILNS1_3genE4ELNS1_11target_archE910ELNS1_3gpuE8ELNS1_3repE0EEENS1_30default_config_static_selectorELNS0_4arch9wavefront6targetE1EEEvT1_ ; -- Begin function _ZN7rocprim17ROCPRIM_400000_NS6detail17trampoline_kernelINS0_14default_configENS1_27scan_by_key_config_selectorIifEEZZNS1_16scan_by_key_implILNS1_25lookback_scan_determinismE0ELb1ES3_N6thrust23THRUST_200600_302600_NS6detail15normal_iteratorINS9_10device_ptrIiEEEENSB_INSC_IjEEEENSB_INSC_IfEEEEfNS9_4plusIvEENS9_8equal_toIvEEfEE10hipError_tPvRmT2_T3_T4_T5_mT6_T7_P12ihipStream_tbENKUlT_T0_E_clISt17integral_constantIbLb0EES12_IbLb1EEEEDaSY_SZ_EUlSY_E_NS1_11comp_targetILNS1_3genE4ELNS1_11target_archE910ELNS1_3gpuE8ELNS1_3repE0EEENS1_30default_config_static_selectorELNS0_4arch9wavefront6targetE1EEEvT1_
	.globl	_ZN7rocprim17ROCPRIM_400000_NS6detail17trampoline_kernelINS0_14default_configENS1_27scan_by_key_config_selectorIifEEZZNS1_16scan_by_key_implILNS1_25lookback_scan_determinismE0ELb1ES3_N6thrust23THRUST_200600_302600_NS6detail15normal_iteratorINS9_10device_ptrIiEEEENSB_INSC_IjEEEENSB_INSC_IfEEEEfNS9_4plusIvEENS9_8equal_toIvEEfEE10hipError_tPvRmT2_T3_T4_T5_mT6_T7_P12ihipStream_tbENKUlT_T0_E_clISt17integral_constantIbLb0EES12_IbLb1EEEEDaSY_SZ_EUlSY_E_NS1_11comp_targetILNS1_3genE4ELNS1_11target_archE910ELNS1_3gpuE8ELNS1_3repE0EEENS1_30default_config_static_selectorELNS0_4arch9wavefront6targetE1EEEvT1_
	.p2align	8
	.type	_ZN7rocprim17ROCPRIM_400000_NS6detail17trampoline_kernelINS0_14default_configENS1_27scan_by_key_config_selectorIifEEZZNS1_16scan_by_key_implILNS1_25lookback_scan_determinismE0ELb1ES3_N6thrust23THRUST_200600_302600_NS6detail15normal_iteratorINS9_10device_ptrIiEEEENSB_INSC_IjEEEENSB_INSC_IfEEEEfNS9_4plusIvEENS9_8equal_toIvEEfEE10hipError_tPvRmT2_T3_T4_T5_mT6_T7_P12ihipStream_tbENKUlT_T0_E_clISt17integral_constantIbLb0EES12_IbLb1EEEEDaSY_SZ_EUlSY_E_NS1_11comp_targetILNS1_3genE4ELNS1_11target_archE910ELNS1_3gpuE8ELNS1_3repE0EEENS1_30default_config_static_selectorELNS0_4arch9wavefront6targetE1EEEvT1_,@function
_ZN7rocprim17ROCPRIM_400000_NS6detail17trampoline_kernelINS0_14default_configENS1_27scan_by_key_config_selectorIifEEZZNS1_16scan_by_key_implILNS1_25lookback_scan_determinismE0ELb1ES3_N6thrust23THRUST_200600_302600_NS6detail15normal_iteratorINS9_10device_ptrIiEEEENSB_INSC_IjEEEENSB_INSC_IfEEEEfNS9_4plusIvEENS9_8equal_toIvEEfEE10hipError_tPvRmT2_T3_T4_T5_mT6_T7_P12ihipStream_tbENKUlT_T0_E_clISt17integral_constantIbLb0EES12_IbLb1EEEEDaSY_SZ_EUlSY_E_NS1_11comp_targetILNS1_3genE4ELNS1_11target_archE910ELNS1_3gpuE8ELNS1_3repE0EEENS1_30default_config_static_selectorELNS0_4arch9wavefront6targetE1EEEvT1_: ; @_ZN7rocprim17ROCPRIM_400000_NS6detail17trampoline_kernelINS0_14default_configENS1_27scan_by_key_config_selectorIifEEZZNS1_16scan_by_key_implILNS1_25lookback_scan_determinismE0ELb1ES3_N6thrust23THRUST_200600_302600_NS6detail15normal_iteratorINS9_10device_ptrIiEEEENSB_INSC_IjEEEENSB_INSC_IfEEEEfNS9_4plusIvEENS9_8equal_toIvEEfEE10hipError_tPvRmT2_T3_T4_T5_mT6_T7_P12ihipStream_tbENKUlT_T0_E_clISt17integral_constantIbLb0EES12_IbLb1EEEEDaSY_SZ_EUlSY_E_NS1_11comp_targetILNS1_3genE4ELNS1_11target_archE910ELNS1_3gpuE8ELNS1_3repE0EEENS1_30default_config_static_selectorELNS0_4arch9wavefront6targetE1EEEvT1_
; %bb.0:
	.section	.rodata,"a",@progbits
	.p2align	6, 0x0
	.amdhsa_kernel _ZN7rocprim17ROCPRIM_400000_NS6detail17trampoline_kernelINS0_14default_configENS1_27scan_by_key_config_selectorIifEEZZNS1_16scan_by_key_implILNS1_25lookback_scan_determinismE0ELb1ES3_N6thrust23THRUST_200600_302600_NS6detail15normal_iteratorINS9_10device_ptrIiEEEENSB_INSC_IjEEEENSB_INSC_IfEEEEfNS9_4plusIvEENS9_8equal_toIvEEfEE10hipError_tPvRmT2_T3_T4_T5_mT6_T7_P12ihipStream_tbENKUlT_T0_E_clISt17integral_constantIbLb0EES12_IbLb1EEEEDaSY_SZ_EUlSY_E_NS1_11comp_targetILNS1_3genE4ELNS1_11target_archE910ELNS1_3gpuE8ELNS1_3repE0EEENS1_30default_config_static_selectorELNS0_4arch9wavefront6targetE1EEEvT1_
		.amdhsa_group_segment_fixed_size 0
		.amdhsa_private_segment_fixed_size 0
		.amdhsa_kernarg_size 112
		.amdhsa_user_sgpr_count 2
		.amdhsa_user_sgpr_dispatch_ptr 0
		.amdhsa_user_sgpr_queue_ptr 0
		.amdhsa_user_sgpr_kernarg_segment_ptr 1
		.amdhsa_user_sgpr_dispatch_id 0
		.amdhsa_user_sgpr_kernarg_preload_length 0
		.amdhsa_user_sgpr_kernarg_preload_offset 0
		.amdhsa_user_sgpr_private_segment_size 0
		.amdhsa_uses_dynamic_stack 0
		.amdhsa_enable_private_segment 0
		.amdhsa_system_sgpr_workgroup_id_x 1
		.amdhsa_system_sgpr_workgroup_id_y 0
		.amdhsa_system_sgpr_workgroup_id_z 0
		.amdhsa_system_sgpr_workgroup_info 0
		.amdhsa_system_vgpr_workitem_id 0
		.amdhsa_next_free_vgpr 1
		.amdhsa_next_free_sgpr 0
		.amdhsa_accum_offset 4
		.amdhsa_reserve_vcc 0
		.amdhsa_float_round_mode_32 0
		.amdhsa_float_round_mode_16_64 0
		.amdhsa_float_denorm_mode_32 3
		.amdhsa_float_denorm_mode_16_64 3
		.amdhsa_dx10_clamp 1
		.amdhsa_ieee_mode 1
		.amdhsa_fp16_overflow 0
		.amdhsa_tg_split 0
		.amdhsa_exception_fp_ieee_invalid_op 0
		.amdhsa_exception_fp_denorm_src 0
		.amdhsa_exception_fp_ieee_div_zero 0
		.amdhsa_exception_fp_ieee_overflow 0
		.amdhsa_exception_fp_ieee_underflow 0
		.amdhsa_exception_fp_ieee_inexact 0
		.amdhsa_exception_int_div_zero 0
	.end_amdhsa_kernel
	.section	.text._ZN7rocprim17ROCPRIM_400000_NS6detail17trampoline_kernelINS0_14default_configENS1_27scan_by_key_config_selectorIifEEZZNS1_16scan_by_key_implILNS1_25lookback_scan_determinismE0ELb1ES3_N6thrust23THRUST_200600_302600_NS6detail15normal_iteratorINS9_10device_ptrIiEEEENSB_INSC_IjEEEENSB_INSC_IfEEEEfNS9_4plusIvEENS9_8equal_toIvEEfEE10hipError_tPvRmT2_T3_T4_T5_mT6_T7_P12ihipStream_tbENKUlT_T0_E_clISt17integral_constantIbLb0EES12_IbLb1EEEEDaSY_SZ_EUlSY_E_NS1_11comp_targetILNS1_3genE4ELNS1_11target_archE910ELNS1_3gpuE8ELNS1_3repE0EEENS1_30default_config_static_selectorELNS0_4arch9wavefront6targetE1EEEvT1_,"axG",@progbits,_ZN7rocprim17ROCPRIM_400000_NS6detail17trampoline_kernelINS0_14default_configENS1_27scan_by_key_config_selectorIifEEZZNS1_16scan_by_key_implILNS1_25lookback_scan_determinismE0ELb1ES3_N6thrust23THRUST_200600_302600_NS6detail15normal_iteratorINS9_10device_ptrIiEEEENSB_INSC_IjEEEENSB_INSC_IfEEEEfNS9_4plusIvEENS9_8equal_toIvEEfEE10hipError_tPvRmT2_T3_T4_T5_mT6_T7_P12ihipStream_tbENKUlT_T0_E_clISt17integral_constantIbLb0EES12_IbLb1EEEEDaSY_SZ_EUlSY_E_NS1_11comp_targetILNS1_3genE4ELNS1_11target_archE910ELNS1_3gpuE8ELNS1_3repE0EEENS1_30default_config_static_selectorELNS0_4arch9wavefront6targetE1EEEvT1_,comdat
.Lfunc_end1710:
	.size	_ZN7rocprim17ROCPRIM_400000_NS6detail17trampoline_kernelINS0_14default_configENS1_27scan_by_key_config_selectorIifEEZZNS1_16scan_by_key_implILNS1_25lookback_scan_determinismE0ELb1ES3_N6thrust23THRUST_200600_302600_NS6detail15normal_iteratorINS9_10device_ptrIiEEEENSB_INSC_IjEEEENSB_INSC_IfEEEEfNS9_4plusIvEENS9_8equal_toIvEEfEE10hipError_tPvRmT2_T3_T4_T5_mT6_T7_P12ihipStream_tbENKUlT_T0_E_clISt17integral_constantIbLb0EES12_IbLb1EEEEDaSY_SZ_EUlSY_E_NS1_11comp_targetILNS1_3genE4ELNS1_11target_archE910ELNS1_3gpuE8ELNS1_3repE0EEENS1_30default_config_static_selectorELNS0_4arch9wavefront6targetE1EEEvT1_, .Lfunc_end1710-_ZN7rocprim17ROCPRIM_400000_NS6detail17trampoline_kernelINS0_14default_configENS1_27scan_by_key_config_selectorIifEEZZNS1_16scan_by_key_implILNS1_25lookback_scan_determinismE0ELb1ES3_N6thrust23THRUST_200600_302600_NS6detail15normal_iteratorINS9_10device_ptrIiEEEENSB_INSC_IjEEEENSB_INSC_IfEEEEfNS9_4plusIvEENS9_8equal_toIvEEfEE10hipError_tPvRmT2_T3_T4_T5_mT6_T7_P12ihipStream_tbENKUlT_T0_E_clISt17integral_constantIbLb0EES12_IbLb1EEEEDaSY_SZ_EUlSY_E_NS1_11comp_targetILNS1_3genE4ELNS1_11target_archE910ELNS1_3gpuE8ELNS1_3repE0EEENS1_30default_config_static_selectorELNS0_4arch9wavefront6targetE1EEEvT1_
                                        ; -- End function
	.section	.AMDGPU.csdata,"",@progbits
; Kernel info:
; codeLenInByte = 0
; NumSgprs: 6
; NumVgprs: 0
; NumAgprs: 0
; TotalNumVgprs: 0
; ScratchSize: 0
; MemoryBound: 0
; FloatMode: 240
; IeeeMode: 1
; LDSByteSize: 0 bytes/workgroup (compile time only)
; SGPRBlocks: 0
; VGPRBlocks: 0
; NumSGPRsForWavesPerEU: 6
; NumVGPRsForWavesPerEU: 1
; AccumOffset: 4
; Occupancy: 8
; WaveLimiterHint : 0
; COMPUTE_PGM_RSRC2:SCRATCH_EN: 0
; COMPUTE_PGM_RSRC2:USER_SGPR: 2
; COMPUTE_PGM_RSRC2:TRAP_HANDLER: 0
; COMPUTE_PGM_RSRC2:TGID_X_EN: 1
; COMPUTE_PGM_RSRC2:TGID_Y_EN: 0
; COMPUTE_PGM_RSRC2:TGID_Z_EN: 0
; COMPUTE_PGM_RSRC2:TIDIG_COMP_CNT: 0
; COMPUTE_PGM_RSRC3_GFX90A:ACCUM_OFFSET: 0
; COMPUTE_PGM_RSRC3_GFX90A:TG_SPLIT: 0
	.section	.text._ZN7rocprim17ROCPRIM_400000_NS6detail17trampoline_kernelINS0_14default_configENS1_27scan_by_key_config_selectorIifEEZZNS1_16scan_by_key_implILNS1_25lookback_scan_determinismE0ELb1ES3_N6thrust23THRUST_200600_302600_NS6detail15normal_iteratorINS9_10device_ptrIiEEEENSB_INSC_IjEEEENSB_INSC_IfEEEEfNS9_4plusIvEENS9_8equal_toIvEEfEE10hipError_tPvRmT2_T3_T4_T5_mT6_T7_P12ihipStream_tbENKUlT_T0_E_clISt17integral_constantIbLb0EES12_IbLb1EEEEDaSY_SZ_EUlSY_E_NS1_11comp_targetILNS1_3genE3ELNS1_11target_archE908ELNS1_3gpuE7ELNS1_3repE0EEENS1_30default_config_static_selectorELNS0_4arch9wavefront6targetE1EEEvT1_,"axG",@progbits,_ZN7rocprim17ROCPRIM_400000_NS6detail17trampoline_kernelINS0_14default_configENS1_27scan_by_key_config_selectorIifEEZZNS1_16scan_by_key_implILNS1_25lookback_scan_determinismE0ELb1ES3_N6thrust23THRUST_200600_302600_NS6detail15normal_iteratorINS9_10device_ptrIiEEEENSB_INSC_IjEEEENSB_INSC_IfEEEEfNS9_4plusIvEENS9_8equal_toIvEEfEE10hipError_tPvRmT2_T3_T4_T5_mT6_T7_P12ihipStream_tbENKUlT_T0_E_clISt17integral_constantIbLb0EES12_IbLb1EEEEDaSY_SZ_EUlSY_E_NS1_11comp_targetILNS1_3genE3ELNS1_11target_archE908ELNS1_3gpuE7ELNS1_3repE0EEENS1_30default_config_static_selectorELNS0_4arch9wavefront6targetE1EEEvT1_,comdat
	.protected	_ZN7rocprim17ROCPRIM_400000_NS6detail17trampoline_kernelINS0_14default_configENS1_27scan_by_key_config_selectorIifEEZZNS1_16scan_by_key_implILNS1_25lookback_scan_determinismE0ELb1ES3_N6thrust23THRUST_200600_302600_NS6detail15normal_iteratorINS9_10device_ptrIiEEEENSB_INSC_IjEEEENSB_INSC_IfEEEEfNS9_4plusIvEENS9_8equal_toIvEEfEE10hipError_tPvRmT2_T3_T4_T5_mT6_T7_P12ihipStream_tbENKUlT_T0_E_clISt17integral_constantIbLb0EES12_IbLb1EEEEDaSY_SZ_EUlSY_E_NS1_11comp_targetILNS1_3genE3ELNS1_11target_archE908ELNS1_3gpuE7ELNS1_3repE0EEENS1_30default_config_static_selectorELNS0_4arch9wavefront6targetE1EEEvT1_ ; -- Begin function _ZN7rocprim17ROCPRIM_400000_NS6detail17trampoline_kernelINS0_14default_configENS1_27scan_by_key_config_selectorIifEEZZNS1_16scan_by_key_implILNS1_25lookback_scan_determinismE0ELb1ES3_N6thrust23THRUST_200600_302600_NS6detail15normal_iteratorINS9_10device_ptrIiEEEENSB_INSC_IjEEEENSB_INSC_IfEEEEfNS9_4plusIvEENS9_8equal_toIvEEfEE10hipError_tPvRmT2_T3_T4_T5_mT6_T7_P12ihipStream_tbENKUlT_T0_E_clISt17integral_constantIbLb0EES12_IbLb1EEEEDaSY_SZ_EUlSY_E_NS1_11comp_targetILNS1_3genE3ELNS1_11target_archE908ELNS1_3gpuE7ELNS1_3repE0EEENS1_30default_config_static_selectorELNS0_4arch9wavefront6targetE1EEEvT1_
	.globl	_ZN7rocprim17ROCPRIM_400000_NS6detail17trampoline_kernelINS0_14default_configENS1_27scan_by_key_config_selectorIifEEZZNS1_16scan_by_key_implILNS1_25lookback_scan_determinismE0ELb1ES3_N6thrust23THRUST_200600_302600_NS6detail15normal_iteratorINS9_10device_ptrIiEEEENSB_INSC_IjEEEENSB_INSC_IfEEEEfNS9_4plusIvEENS9_8equal_toIvEEfEE10hipError_tPvRmT2_T3_T4_T5_mT6_T7_P12ihipStream_tbENKUlT_T0_E_clISt17integral_constantIbLb0EES12_IbLb1EEEEDaSY_SZ_EUlSY_E_NS1_11comp_targetILNS1_3genE3ELNS1_11target_archE908ELNS1_3gpuE7ELNS1_3repE0EEENS1_30default_config_static_selectorELNS0_4arch9wavefront6targetE1EEEvT1_
	.p2align	8
	.type	_ZN7rocprim17ROCPRIM_400000_NS6detail17trampoline_kernelINS0_14default_configENS1_27scan_by_key_config_selectorIifEEZZNS1_16scan_by_key_implILNS1_25lookback_scan_determinismE0ELb1ES3_N6thrust23THRUST_200600_302600_NS6detail15normal_iteratorINS9_10device_ptrIiEEEENSB_INSC_IjEEEENSB_INSC_IfEEEEfNS9_4plusIvEENS9_8equal_toIvEEfEE10hipError_tPvRmT2_T3_T4_T5_mT6_T7_P12ihipStream_tbENKUlT_T0_E_clISt17integral_constantIbLb0EES12_IbLb1EEEEDaSY_SZ_EUlSY_E_NS1_11comp_targetILNS1_3genE3ELNS1_11target_archE908ELNS1_3gpuE7ELNS1_3repE0EEENS1_30default_config_static_selectorELNS0_4arch9wavefront6targetE1EEEvT1_,@function
_ZN7rocprim17ROCPRIM_400000_NS6detail17trampoline_kernelINS0_14default_configENS1_27scan_by_key_config_selectorIifEEZZNS1_16scan_by_key_implILNS1_25lookback_scan_determinismE0ELb1ES3_N6thrust23THRUST_200600_302600_NS6detail15normal_iteratorINS9_10device_ptrIiEEEENSB_INSC_IjEEEENSB_INSC_IfEEEEfNS9_4plusIvEENS9_8equal_toIvEEfEE10hipError_tPvRmT2_T3_T4_T5_mT6_T7_P12ihipStream_tbENKUlT_T0_E_clISt17integral_constantIbLb0EES12_IbLb1EEEEDaSY_SZ_EUlSY_E_NS1_11comp_targetILNS1_3genE3ELNS1_11target_archE908ELNS1_3gpuE7ELNS1_3repE0EEENS1_30default_config_static_selectorELNS0_4arch9wavefront6targetE1EEEvT1_: ; @_ZN7rocprim17ROCPRIM_400000_NS6detail17trampoline_kernelINS0_14default_configENS1_27scan_by_key_config_selectorIifEEZZNS1_16scan_by_key_implILNS1_25lookback_scan_determinismE0ELb1ES3_N6thrust23THRUST_200600_302600_NS6detail15normal_iteratorINS9_10device_ptrIiEEEENSB_INSC_IjEEEENSB_INSC_IfEEEEfNS9_4plusIvEENS9_8equal_toIvEEfEE10hipError_tPvRmT2_T3_T4_T5_mT6_T7_P12ihipStream_tbENKUlT_T0_E_clISt17integral_constantIbLb0EES12_IbLb1EEEEDaSY_SZ_EUlSY_E_NS1_11comp_targetILNS1_3genE3ELNS1_11target_archE908ELNS1_3gpuE7ELNS1_3repE0EEENS1_30default_config_static_selectorELNS0_4arch9wavefront6targetE1EEEvT1_
; %bb.0:
	.section	.rodata,"a",@progbits
	.p2align	6, 0x0
	.amdhsa_kernel _ZN7rocprim17ROCPRIM_400000_NS6detail17trampoline_kernelINS0_14default_configENS1_27scan_by_key_config_selectorIifEEZZNS1_16scan_by_key_implILNS1_25lookback_scan_determinismE0ELb1ES3_N6thrust23THRUST_200600_302600_NS6detail15normal_iteratorINS9_10device_ptrIiEEEENSB_INSC_IjEEEENSB_INSC_IfEEEEfNS9_4plusIvEENS9_8equal_toIvEEfEE10hipError_tPvRmT2_T3_T4_T5_mT6_T7_P12ihipStream_tbENKUlT_T0_E_clISt17integral_constantIbLb0EES12_IbLb1EEEEDaSY_SZ_EUlSY_E_NS1_11comp_targetILNS1_3genE3ELNS1_11target_archE908ELNS1_3gpuE7ELNS1_3repE0EEENS1_30default_config_static_selectorELNS0_4arch9wavefront6targetE1EEEvT1_
		.amdhsa_group_segment_fixed_size 0
		.amdhsa_private_segment_fixed_size 0
		.amdhsa_kernarg_size 112
		.amdhsa_user_sgpr_count 2
		.amdhsa_user_sgpr_dispatch_ptr 0
		.amdhsa_user_sgpr_queue_ptr 0
		.amdhsa_user_sgpr_kernarg_segment_ptr 1
		.amdhsa_user_sgpr_dispatch_id 0
		.amdhsa_user_sgpr_kernarg_preload_length 0
		.amdhsa_user_sgpr_kernarg_preload_offset 0
		.amdhsa_user_sgpr_private_segment_size 0
		.amdhsa_uses_dynamic_stack 0
		.amdhsa_enable_private_segment 0
		.amdhsa_system_sgpr_workgroup_id_x 1
		.amdhsa_system_sgpr_workgroup_id_y 0
		.amdhsa_system_sgpr_workgroup_id_z 0
		.amdhsa_system_sgpr_workgroup_info 0
		.amdhsa_system_vgpr_workitem_id 0
		.amdhsa_next_free_vgpr 1
		.amdhsa_next_free_sgpr 0
		.amdhsa_accum_offset 4
		.amdhsa_reserve_vcc 0
		.amdhsa_float_round_mode_32 0
		.amdhsa_float_round_mode_16_64 0
		.amdhsa_float_denorm_mode_32 3
		.amdhsa_float_denorm_mode_16_64 3
		.amdhsa_dx10_clamp 1
		.amdhsa_ieee_mode 1
		.amdhsa_fp16_overflow 0
		.amdhsa_tg_split 0
		.amdhsa_exception_fp_ieee_invalid_op 0
		.amdhsa_exception_fp_denorm_src 0
		.amdhsa_exception_fp_ieee_div_zero 0
		.amdhsa_exception_fp_ieee_overflow 0
		.amdhsa_exception_fp_ieee_underflow 0
		.amdhsa_exception_fp_ieee_inexact 0
		.amdhsa_exception_int_div_zero 0
	.end_amdhsa_kernel
	.section	.text._ZN7rocprim17ROCPRIM_400000_NS6detail17trampoline_kernelINS0_14default_configENS1_27scan_by_key_config_selectorIifEEZZNS1_16scan_by_key_implILNS1_25lookback_scan_determinismE0ELb1ES3_N6thrust23THRUST_200600_302600_NS6detail15normal_iteratorINS9_10device_ptrIiEEEENSB_INSC_IjEEEENSB_INSC_IfEEEEfNS9_4plusIvEENS9_8equal_toIvEEfEE10hipError_tPvRmT2_T3_T4_T5_mT6_T7_P12ihipStream_tbENKUlT_T0_E_clISt17integral_constantIbLb0EES12_IbLb1EEEEDaSY_SZ_EUlSY_E_NS1_11comp_targetILNS1_3genE3ELNS1_11target_archE908ELNS1_3gpuE7ELNS1_3repE0EEENS1_30default_config_static_selectorELNS0_4arch9wavefront6targetE1EEEvT1_,"axG",@progbits,_ZN7rocprim17ROCPRIM_400000_NS6detail17trampoline_kernelINS0_14default_configENS1_27scan_by_key_config_selectorIifEEZZNS1_16scan_by_key_implILNS1_25lookback_scan_determinismE0ELb1ES3_N6thrust23THRUST_200600_302600_NS6detail15normal_iteratorINS9_10device_ptrIiEEEENSB_INSC_IjEEEENSB_INSC_IfEEEEfNS9_4plusIvEENS9_8equal_toIvEEfEE10hipError_tPvRmT2_T3_T4_T5_mT6_T7_P12ihipStream_tbENKUlT_T0_E_clISt17integral_constantIbLb0EES12_IbLb1EEEEDaSY_SZ_EUlSY_E_NS1_11comp_targetILNS1_3genE3ELNS1_11target_archE908ELNS1_3gpuE7ELNS1_3repE0EEENS1_30default_config_static_selectorELNS0_4arch9wavefront6targetE1EEEvT1_,comdat
.Lfunc_end1711:
	.size	_ZN7rocprim17ROCPRIM_400000_NS6detail17trampoline_kernelINS0_14default_configENS1_27scan_by_key_config_selectorIifEEZZNS1_16scan_by_key_implILNS1_25lookback_scan_determinismE0ELb1ES3_N6thrust23THRUST_200600_302600_NS6detail15normal_iteratorINS9_10device_ptrIiEEEENSB_INSC_IjEEEENSB_INSC_IfEEEEfNS9_4plusIvEENS9_8equal_toIvEEfEE10hipError_tPvRmT2_T3_T4_T5_mT6_T7_P12ihipStream_tbENKUlT_T0_E_clISt17integral_constantIbLb0EES12_IbLb1EEEEDaSY_SZ_EUlSY_E_NS1_11comp_targetILNS1_3genE3ELNS1_11target_archE908ELNS1_3gpuE7ELNS1_3repE0EEENS1_30default_config_static_selectorELNS0_4arch9wavefront6targetE1EEEvT1_, .Lfunc_end1711-_ZN7rocprim17ROCPRIM_400000_NS6detail17trampoline_kernelINS0_14default_configENS1_27scan_by_key_config_selectorIifEEZZNS1_16scan_by_key_implILNS1_25lookback_scan_determinismE0ELb1ES3_N6thrust23THRUST_200600_302600_NS6detail15normal_iteratorINS9_10device_ptrIiEEEENSB_INSC_IjEEEENSB_INSC_IfEEEEfNS9_4plusIvEENS9_8equal_toIvEEfEE10hipError_tPvRmT2_T3_T4_T5_mT6_T7_P12ihipStream_tbENKUlT_T0_E_clISt17integral_constantIbLb0EES12_IbLb1EEEEDaSY_SZ_EUlSY_E_NS1_11comp_targetILNS1_3genE3ELNS1_11target_archE908ELNS1_3gpuE7ELNS1_3repE0EEENS1_30default_config_static_selectorELNS0_4arch9wavefront6targetE1EEEvT1_
                                        ; -- End function
	.section	.AMDGPU.csdata,"",@progbits
; Kernel info:
; codeLenInByte = 0
; NumSgprs: 6
; NumVgprs: 0
; NumAgprs: 0
; TotalNumVgprs: 0
; ScratchSize: 0
; MemoryBound: 0
; FloatMode: 240
; IeeeMode: 1
; LDSByteSize: 0 bytes/workgroup (compile time only)
; SGPRBlocks: 0
; VGPRBlocks: 0
; NumSGPRsForWavesPerEU: 6
; NumVGPRsForWavesPerEU: 1
; AccumOffset: 4
; Occupancy: 8
; WaveLimiterHint : 0
; COMPUTE_PGM_RSRC2:SCRATCH_EN: 0
; COMPUTE_PGM_RSRC2:USER_SGPR: 2
; COMPUTE_PGM_RSRC2:TRAP_HANDLER: 0
; COMPUTE_PGM_RSRC2:TGID_X_EN: 1
; COMPUTE_PGM_RSRC2:TGID_Y_EN: 0
; COMPUTE_PGM_RSRC2:TGID_Z_EN: 0
; COMPUTE_PGM_RSRC2:TIDIG_COMP_CNT: 0
; COMPUTE_PGM_RSRC3_GFX90A:ACCUM_OFFSET: 0
; COMPUTE_PGM_RSRC3_GFX90A:TG_SPLIT: 0
	.section	.text._ZN7rocprim17ROCPRIM_400000_NS6detail17trampoline_kernelINS0_14default_configENS1_27scan_by_key_config_selectorIifEEZZNS1_16scan_by_key_implILNS1_25lookback_scan_determinismE0ELb1ES3_N6thrust23THRUST_200600_302600_NS6detail15normal_iteratorINS9_10device_ptrIiEEEENSB_INSC_IjEEEENSB_INSC_IfEEEEfNS9_4plusIvEENS9_8equal_toIvEEfEE10hipError_tPvRmT2_T3_T4_T5_mT6_T7_P12ihipStream_tbENKUlT_T0_E_clISt17integral_constantIbLb0EES12_IbLb1EEEEDaSY_SZ_EUlSY_E_NS1_11comp_targetILNS1_3genE2ELNS1_11target_archE906ELNS1_3gpuE6ELNS1_3repE0EEENS1_30default_config_static_selectorELNS0_4arch9wavefront6targetE1EEEvT1_,"axG",@progbits,_ZN7rocprim17ROCPRIM_400000_NS6detail17trampoline_kernelINS0_14default_configENS1_27scan_by_key_config_selectorIifEEZZNS1_16scan_by_key_implILNS1_25lookback_scan_determinismE0ELb1ES3_N6thrust23THRUST_200600_302600_NS6detail15normal_iteratorINS9_10device_ptrIiEEEENSB_INSC_IjEEEENSB_INSC_IfEEEEfNS9_4plusIvEENS9_8equal_toIvEEfEE10hipError_tPvRmT2_T3_T4_T5_mT6_T7_P12ihipStream_tbENKUlT_T0_E_clISt17integral_constantIbLb0EES12_IbLb1EEEEDaSY_SZ_EUlSY_E_NS1_11comp_targetILNS1_3genE2ELNS1_11target_archE906ELNS1_3gpuE6ELNS1_3repE0EEENS1_30default_config_static_selectorELNS0_4arch9wavefront6targetE1EEEvT1_,comdat
	.protected	_ZN7rocprim17ROCPRIM_400000_NS6detail17trampoline_kernelINS0_14default_configENS1_27scan_by_key_config_selectorIifEEZZNS1_16scan_by_key_implILNS1_25lookback_scan_determinismE0ELb1ES3_N6thrust23THRUST_200600_302600_NS6detail15normal_iteratorINS9_10device_ptrIiEEEENSB_INSC_IjEEEENSB_INSC_IfEEEEfNS9_4plusIvEENS9_8equal_toIvEEfEE10hipError_tPvRmT2_T3_T4_T5_mT6_T7_P12ihipStream_tbENKUlT_T0_E_clISt17integral_constantIbLb0EES12_IbLb1EEEEDaSY_SZ_EUlSY_E_NS1_11comp_targetILNS1_3genE2ELNS1_11target_archE906ELNS1_3gpuE6ELNS1_3repE0EEENS1_30default_config_static_selectorELNS0_4arch9wavefront6targetE1EEEvT1_ ; -- Begin function _ZN7rocprim17ROCPRIM_400000_NS6detail17trampoline_kernelINS0_14default_configENS1_27scan_by_key_config_selectorIifEEZZNS1_16scan_by_key_implILNS1_25lookback_scan_determinismE0ELb1ES3_N6thrust23THRUST_200600_302600_NS6detail15normal_iteratorINS9_10device_ptrIiEEEENSB_INSC_IjEEEENSB_INSC_IfEEEEfNS9_4plusIvEENS9_8equal_toIvEEfEE10hipError_tPvRmT2_T3_T4_T5_mT6_T7_P12ihipStream_tbENKUlT_T0_E_clISt17integral_constantIbLb0EES12_IbLb1EEEEDaSY_SZ_EUlSY_E_NS1_11comp_targetILNS1_3genE2ELNS1_11target_archE906ELNS1_3gpuE6ELNS1_3repE0EEENS1_30default_config_static_selectorELNS0_4arch9wavefront6targetE1EEEvT1_
	.globl	_ZN7rocprim17ROCPRIM_400000_NS6detail17trampoline_kernelINS0_14default_configENS1_27scan_by_key_config_selectorIifEEZZNS1_16scan_by_key_implILNS1_25lookback_scan_determinismE0ELb1ES3_N6thrust23THRUST_200600_302600_NS6detail15normal_iteratorINS9_10device_ptrIiEEEENSB_INSC_IjEEEENSB_INSC_IfEEEEfNS9_4plusIvEENS9_8equal_toIvEEfEE10hipError_tPvRmT2_T3_T4_T5_mT6_T7_P12ihipStream_tbENKUlT_T0_E_clISt17integral_constantIbLb0EES12_IbLb1EEEEDaSY_SZ_EUlSY_E_NS1_11comp_targetILNS1_3genE2ELNS1_11target_archE906ELNS1_3gpuE6ELNS1_3repE0EEENS1_30default_config_static_selectorELNS0_4arch9wavefront6targetE1EEEvT1_
	.p2align	8
	.type	_ZN7rocprim17ROCPRIM_400000_NS6detail17trampoline_kernelINS0_14default_configENS1_27scan_by_key_config_selectorIifEEZZNS1_16scan_by_key_implILNS1_25lookback_scan_determinismE0ELb1ES3_N6thrust23THRUST_200600_302600_NS6detail15normal_iteratorINS9_10device_ptrIiEEEENSB_INSC_IjEEEENSB_INSC_IfEEEEfNS9_4plusIvEENS9_8equal_toIvEEfEE10hipError_tPvRmT2_T3_T4_T5_mT6_T7_P12ihipStream_tbENKUlT_T0_E_clISt17integral_constantIbLb0EES12_IbLb1EEEEDaSY_SZ_EUlSY_E_NS1_11comp_targetILNS1_3genE2ELNS1_11target_archE906ELNS1_3gpuE6ELNS1_3repE0EEENS1_30default_config_static_selectorELNS0_4arch9wavefront6targetE1EEEvT1_,@function
_ZN7rocprim17ROCPRIM_400000_NS6detail17trampoline_kernelINS0_14default_configENS1_27scan_by_key_config_selectorIifEEZZNS1_16scan_by_key_implILNS1_25lookback_scan_determinismE0ELb1ES3_N6thrust23THRUST_200600_302600_NS6detail15normal_iteratorINS9_10device_ptrIiEEEENSB_INSC_IjEEEENSB_INSC_IfEEEEfNS9_4plusIvEENS9_8equal_toIvEEfEE10hipError_tPvRmT2_T3_T4_T5_mT6_T7_P12ihipStream_tbENKUlT_T0_E_clISt17integral_constantIbLb0EES12_IbLb1EEEEDaSY_SZ_EUlSY_E_NS1_11comp_targetILNS1_3genE2ELNS1_11target_archE906ELNS1_3gpuE6ELNS1_3repE0EEENS1_30default_config_static_selectorELNS0_4arch9wavefront6targetE1EEEvT1_: ; @_ZN7rocprim17ROCPRIM_400000_NS6detail17trampoline_kernelINS0_14default_configENS1_27scan_by_key_config_selectorIifEEZZNS1_16scan_by_key_implILNS1_25lookback_scan_determinismE0ELb1ES3_N6thrust23THRUST_200600_302600_NS6detail15normal_iteratorINS9_10device_ptrIiEEEENSB_INSC_IjEEEENSB_INSC_IfEEEEfNS9_4plusIvEENS9_8equal_toIvEEfEE10hipError_tPvRmT2_T3_T4_T5_mT6_T7_P12ihipStream_tbENKUlT_T0_E_clISt17integral_constantIbLb0EES12_IbLb1EEEEDaSY_SZ_EUlSY_E_NS1_11comp_targetILNS1_3genE2ELNS1_11target_archE906ELNS1_3gpuE6ELNS1_3repE0EEENS1_30default_config_static_selectorELNS0_4arch9wavefront6targetE1EEEvT1_
; %bb.0:
	.section	.rodata,"a",@progbits
	.p2align	6, 0x0
	.amdhsa_kernel _ZN7rocprim17ROCPRIM_400000_NS6detail17trampoline_kernelINS0_14default_configENS1_27scan_by_key_config_selectorIifEEZZNS1_16scan_by_key_implILNS1_25lookback_scan_determinismE0ELb1ES3_N6thrust23THRUST_200600_302600_NS6detail15normal_iteratorINS9_10device_ptrIiEEEENSB_INSC_IjEEEENSB_INSC_IfEEEEfNS9_4plusIvEENS9_8equal_toIvEEfEE10hipError_tPvRmT2_T3_T4_T5_mT6_T7_P12ihipStream_tbENKUlT_T0_E_clISt17integral_constantIbLb0EES12_IbLb1EEEEDaSY_SZ_EUlSY_E_NS1_11comp_targetILNS1_3genE2ELNS1_11target_archE906ELNS1_3gpuE6ELNS1_3repE0EEENS1_30default_config_static_selectorELNS0_4arch9wavefront6targetE1EEEvT1_
		.amdhsa_group_segment_fixed_size 0
		.amdhsa_private_segment_fixed_size 0
		.amdhsa_kernarg_size 112
		.amdhsa_user_sgpr_count 2
		.amdhsa_user_sgpr_dispatch_ptr 0
		.amdhsa_user_sgpr_queue_ptr 0
		.amdhsa_user_sgpr_kernarg_segment_ptr 1
		.amdhsa_user_sgpr_dispatch_id 0
		.amdhsa_user_sgpr_kernarg_preload_length 0
		.amdhsa_user_sgpr_kernarg_preload_offset 0
		.amdhsa_user_sgpr_private_segment_size 0
		.amdhsa_uses_dynamic_stack 0
		.amdhsa_enable_private_segment 0
		.amdhsa_system_sgpr_workgroup_id_x 1
		.amdhsa_system_sgpr_workgroup_id_y 0
		.amdhsa_system_sgpr_workgroup_id_z 0
		.amdhsa_system_sgpr_workgroup_info 0
		.amdhsa_system_vgpr_workitem_id 0
		.amdhsa_next_free_vgpr 1
		.amdhsa_next_free_sgpr 0
		.amdhsa_accum_offset 4
		.amdhsa_reserve_vcc 0
		.amdhsa_float_round_mode_32 0
		.amdhsa_float_round_mode_16_64 0
		.amdhsa_float_denorm_mode_32 3
		.amdhsa_float_denorm_mode_16_64 3
		.amdhsa_dx10_clamp 1
		.amdhsa_ieee_mode 1
		.amdhsa_fp16_overflow 0
		.amdhsa_tg_split 0
		.amdhsa_exception_fp_ieee_invalid_op 0
		.amdhsa_exception_fp_denorm_src 0
		.amdhsa_exception_fp_ieee_div_zero 0
		.amdhsa_exception_fp_ieee_overflow 0
		.amdhsa_exception_fp_ieee_underflow 0
		.amdhsa_exception_fp_ieee_inexact 0
		.amdhsa_exception_int_div_zero 0
	.end_amdhsa_kernel
	.section	.text._ZN7rocprim17ROCPRIM_400000_NS6detail17trampoline_kernelINS0_14default_configENS1_27scan_by_key_config_selectorIifEEZZNS1_16scan_by_key_implILNS1_25lookback_scan_determinismE0ELb1ES3_N6thrust23THRUST_200600_302600_NS6detail15normal_iteratorINS9_10device_ptrIiEEEENSB_INSC_IjEEEENSB_INSC_IfEEEEfNS9_4plusIvEENS9_8equal_toIvEEfEE10hipError_tPvRmT2_T3_T4_T5_mT6_T7_P12ihipStream_tbENKUlT_T0_E_clISt17integral_constantIbLb0EES12_IbLb1EEEEDaSY_SZ_EUlSY_E_NS1_11comp_targetILNS1_3genE2ELNS1_11target_archE906ELNS1_3gpuE6ELNS1_3repE0EEENS1_30default_config_static_selectorELNS0_4arch9wavefront6targetE1EEEvT1_,"axG",@progbits,_ZN7rocprim17ROCPRIM_400000_NS6detail17trampoline_kernelINS0_14default_configENS1_27scan_by_key_config_selectorIifEEZZNS1_16scan_by_key_implILNS1_25lookback_scan_determinismE0ELb1ES3_N6thrust23THRUST_200600_302600_NS6detail15normal_iteratorINS9_10device_ptrIiEEEENSB_INSC_IjEEEENSB_INSC_IfEEEEfNS9_4plusIvEENS9_8equal_toIvEEfEE10hipError_tPvRmT2_T3_T4_T5_mT6_T7_P12ihipStream_tbENKUlT_T0_E_clISt17integral_constantIbLb0EES12_IbLb1EEEEDaSY_SZ_EUlSY_E_NS1_11comp_targetILNS1_3genE2ELNS1_11target_archE906ELNS1_3gpuE6ELNS1_3repE0EEENS1_30default_config_static_selectorELNS0_4arch9wavefront6targetE1EEEvT1_,comdat
.Lfunc_end1712:
	.size	_ZN7rocprim17ROCPRIM_400000_NS6detail17trampoline_kernelINS0_14default_configENS1_27scan_by_key_config_selectorIifEEZZNS1_16scan_by_key_implILNS1_25lookback_scan_determinismE0ELb1ES3_N6thrust23THRUST_200600_302600_NS6detail15normal_iteratorINS9_10device_ptrIiEEEENSB_INSC_IjEEEENSB_INSC_IfEEEEfNS9_4plusIvEENS9_8equal_toIvEEfEE10hipError_tPvRmT2_T3_T4_T5_mT6_T7_P12ihipStream_tbENKUlT_T0_E_clISt17integral_constantIbLb0EES12_IbLb1EEEEDaSY_SZ_EUlSY_E_NS1_11comp_targetILNS1_3genE2ELNS1_11target_archE906ELNS1_3gpuE6ELNS1_3repE0EEENS1_30default_config_static_selectorELNS0_4arch9wavefront6targetE1EEEvT1_, .Lfunc_end1712-_ZN7rocprim17ROCPRIM_400000_NS6detail17trampoline_kernelINS0_14default_configENS1_27scan_by_key_config_selectorIifEEZZNS1_16scan_by_key_implILNS1_25lookback_scan_determinismE0ELb1ES3_N6thrust23THRUST_200600_302600_NS6detail15normal_iteratorINS9_10device_ptrIiEEEENSB_INSC_IjEEEENSB_INSC_IfEEEEfNS9_4plusIvEENS9_8equal_toIvEEfEE10hipError_tPvRmT2_T3_T4_T5_mT6_T7_P12ihipStream_tbENKUlT_T0_E_clISt17integral_constantIbLb0EES12_IbLb1EEEEDaSY_SZ_EUlSY_E_NS1_11comp_targetILNS1_3genE2ELNS1_11target_archE906ELNS1_3gpuE6ELNS1_3repE0EEENS1_30default_config_static_selectorELNS0_4arch9wavefront6targetE1EEEvT1_
                                        ; -- End function
	.section	.AMDGPU.csdata,"",@progbits
; Kernel info:
; codeLenInByte = 0
; NumSgprs: 6
; NumVgprs: 0
; NumAgprs: 0
; TotalNumVgprs: 0
; ScratchSize: 0
; MemoryBound: 0
; FloatMode: 240
; IeeeMode: 1
; LDSByteSize: 0 bytes/workgroup (compile time only)
; SGPRBlocks: 0
; VGPRBlocks: 0
; NumSGPRsForWavesPerEU: 6
; NumVGPRsForWavesPerEU: 1
; AccumOffset: 4
; Occupancy: 8
; WaveLimiterHint : 0
; COMPUTE_PGM_RSRC2:SCRATCH_EN: 0
; COMPUTE_PGM_RSRC2:USER_SGPR: 2
; COMPUTE_PGM_RSRC2:TRAP_HANDLER: 0
; COMPUTE_PGM_RSRC2:TGID_X_EN: 1
; COMPUTE_PGM_RSRC2:TGID_Y_EN: 0
; COMPUTE_PGM_RSRC2:TGID_Z_EN: 0
; COMPUTE_PGM_RSRC2:TIDIG_COMP_CNT: 0
; COMPUTE_PGM_RSRC3_GFX90A:ACCUM_OFFSET: 0
; COMPUTE_PGM_RSRC3_GFX90A:TG_SPLIT: 0
	.section	.text._ZN7rocprim17ROCPRIM_400000_NS6detail17trampoline_kernelINS0_14default_configENS1_27scan_by_key_config_selectorIifEEZZNS1_16scan_by_key_implILNS1_25lookback_scan_determinismE0ELb1ES3_N6thrust23THRUST_200600_302600_NS6detail15normal_iteratorINS9_10device_ptrIiEEEENSB_INSC_IjEEEENSB_INSC_IfEEEEfNS9_4plusIvEENS9_8equal_toIvEEfEE10hipError_tPvRmT2_T3_T4_T5_mT6_T7_P12ihipStream_tbENKUlT_T0_E_clISt17integral_constantIbLb0EES12_IbLb1EEEEDaSY_SZ_EUlSY_E_NS1_11comp_targetILNS1_3genE10ELNS1_11target_archE1200ELNS1_3gpuE4ELNS1_3repE0EEENS1_30default_config_static_selectorELNS0_4arch9wavefront6targetE1EEEvT1_,"axG",@progbits,_ZN7rocprim17ROCPRIM_400000_NS6detail17trampoline_kernelINS0_14default_configENS1_27scan_by_key_config_selectorIifEEZZNS1_16scan_by_key_implILNS1_25lookback_scan_determinismE0ELb1ES3_N6thrust23THRUST_200600_302600_NS6detail15normal_iteratorINS9_10device_ptrIiEEEENSB_INSC_IjEEEENSB_INSC_IfEEEEfNS9_4plusIvEENS9_8equal_toIvEEfEE10hipError_tPvRmT2_T3_T4_T5_mT6_T7_P12ihipStream_tbENKUlT_T0_E_clISt17integral_constantIbLb0EES12_IbLb1EEEEDaSY_SZ_EUlSY_E_NS1_11comp_targetILNS1_3genE10ELNS1_11target_archE1200ELNS1_3gpuE4ELNS1_3repE0EEENS1_30default_config_static_selectorELNS0_4arch9wavefront6targetE1EEEvT1_,comdat
	.protected	_ZN7rocprim17ROCPRIM_400000_NS6detail17trampoline_kernelINS0_14default_configENS1_27scan_by_key_config_selectorIifEEZZNS1_16scan_by_key_implILNS1_25lookback_scan_determinismE0ELb1ES3_N6thrust23THRUST_200600_302600_NS6detail15normal_iteratorINS9_10device_ptrIiEEEENSB_INSC_IjEEEENSB_INSC_IfEEEEfNS9_4plusIvEENS9_8equal_toIvEEfEE10hipError_tPvRmT2_T3_T4_T5_mT6_T7_P12ihipStream_tbENKUlT_T0_E_clISt17integral_constantIbLb0EES12_IbLb1EEEEDaSY_SZ_EUlSY_E_NS1_11comp_targetILNS1_3genE10ELNS1_11target_archE1200ELNS1_3gpuE4ELNS1_3repE0EEENS1_30default_config_static_selectorELNS0_4arch9wavefront6targetE1EEEvT1_ ; -- Begin function _ZN7rocprim17ROCPRIM_400000_NS6detail17trampoline_kernelINS0_14default_configENS1_27scan_by_key_config_selectorIifEEZZNS1_16scan_by_key_implILNS1_25lookback_scan_determinismE0ELb1ES3_N6thrust23THRUST_200600_302600_NS6detail15normal_iteratorINS9_10device_ptrIiEEEENSB_INSC_IjEEEENSB_INSC_IfEEEEfNS9_4plusIvEENS9_8equal_toIvEEfEE10hipError_tPvRmT2_T3_T4_T5_mT6_T7_P12ihipStream_tbENKUlT_T0_E_clISt17integral_constantIbLb0EES12_IbLb1EEEEDaSY_SZ_EUlSY_E_NS1_11comp_targetILNS1_3genE10ELNS1_11target_archE1200ELNS1_3gpuE4ELNS1_3repE0EEENS1_30default_config_static_selectorELNS0_4arch9wavefront6targetE1EEEvT1_
	.globl	_ZN7rocprim17ROCPRIM_400000_NS6detail17trampoline_kernelINS0_14default_configENS1_27scan_by_key_config_selectorIifEEZZNS1_16scan_by_key_implILNS1_25lookback_scan_determinismE0ELb1ES3_N6thrust23THRUST_200600_302600_NS6detail15normal_iteratorINS9_10device_ptrIiEEEENSB_INSC_IjEEEENSB_INSC_IfEEEEfNS9_4plusIvEENS9_8equal_toIvEEfEE10hipError_tPvRmT2_T3_T4_T5_mT6_T7_P12ihipStream_tbENKUlT_T0_E_clISt17integral_constantIbLb0EES12_IbLb1EEEEDaSY_SZ_EUlSY_E_NS1_11comp_targetILNS1_3genE10ELNS1_11target_archE1200ELNS1_3gpuE4ELNS1_3repE0EEENS1_30default_config_static_selectorELNS0_4arch9wavefront6targetE1EEEvT1_
	.p2align	8
	.type	_ZN7rocprim17ROCPRIM_400000_NS6detail17trampoline_kernelINS0_14default_configENS1_27scan_by_key_config_selectorIifEEZZNS1_16scan_by_key_implILNS1_25lookback_scan_determinismE0ELb1ES3_N6thrust23THRUST_200600_302600_NS6detail15normal_iteratorINS9_10device_ptrIiEEEENSB_INSC_IjEEEENSB_INSC_IfEEEEfNS9_4plusIvEENS9_8equal_toIvEEfEE10hipError_tPvRmT2_T3_T4_T5_mT6_T7_P12ihipStream_tbENKUlT_T0_E_clISt17integral_constantIbLb0EES12_IbLb1EEEEDaSY_SZ_EUlSY_E_NS1_11comp_targetILNS1_3genE10ELNS1_11target_archE1200ELNS1_3gpuE4ELNS1_3repE0EEENS1_30default_config_static_selectorELNS0_4arch9wavefront6targetE1EEEvT1_,@function
_ZN7rocprim17ROCPRIM_400000_NS6detail17trampoline_kernelINS0_14default_configENS1_27scan_by_key_config_selectorIifEEZZNS1_16scan_by_key_implILNS1_25lookback_scan_determinismE0ELb1ES3_N6thrust23THRUST_200600_302600_NS6detail15normal_iteratorINS9_10device_ptrIiEEEENSB_INSC_IjEEEENSB_INSC_IfEEEEfNS9_4plusIvEENS9_8equal_toIvEEfEE10hipError_tPvRmT2_T3_T4_T5_mT6_T7_P12ihipStream_tbENKUlT_T0_E_clISt17integral_constantIbLb0EES12_IbLb1EEEEDaSY_SZ_EUlSY_E_NS1_11comp_targetILNS1_3genE10ELNS1_11target_archE1200ELNS1_3gpuE4ELNS1_3repE0EEENS1_30default_config_static_selectorELNS0_4arch9wavefront6targetE1EEEvT1_: ; @_ZN7rocprim17ROCPRIM_400000_NS6detail17trampoline_kernelINS0_14default_configENS1_27scan_by_key_config_selectorIifEEZZNS1_16scan_by_key_implILNS1_25lookback_scan_determinismE0ELb1ES3_N6thrust23THRUST_200600_302600_NS6detail15normal_iteratorINS9_10device_ptrIiEEEENSB_INSC_IjEEEENSB_INSC_IfEEEEfNS9_4plusIvEENS9_8equal_toIvEEfEE10hipError_tPvRmT2_T3_T4_T5_mT6_T7_P12ihipStream_tbENKUlT_T0_E_clISt17integral_constantIbLb0EES12_IbLb1EEEEDaSY_SZ_EUlSY_E_NS1_11comp_targetILNS1_3genE10ELNS1_11target_archE1200ELNS1_3gpuE4ELNS1_3repE0EEENS1_30default_config_static_selectorELNS0_4arch9wavefront6targetE1EEEvT1_
; %bb.0:
	.section	.rodata,"a",@progbits
	.p2align	6, 0x0
	.amdhsa_kernel _ZN7rocprim17ROCPRIM_400000_NS6detail17trampoline_kernelINS0_14default_configENS1_27scan_by_key_config_selectorIifEEZZNS1_16scan_by_key_implILNS1_25lookback_scan_determinismE0ELb1ES3_N6thrust23THRUST_200600_302600_NS6detail15normal_iteratorINS9_10device_ptrIiEEEENSB_INSC_IjEEEENSB_INSC_IfEEEEfNS9_4plusIvEENS9_8equal_toIvEEfEE10hipError_tPvRmT2_T3_T4_T5_mT6_T7_P12ihipStream_tbENKUlT_T0_E_clISt17integral_constantIbLb0EES12_IbLb1EEEEDaSY_SZ_EUlSY_E_NS1_11comp_targetILNS1_3genE10ELNS1_11target_archE1200ELNS1_3gpuE4ELNS1_3repE0EEENS1_30default_config_static_selectorELNS0_4arch9wavefront6targetE1EEEvT1_
		.amdhsa_group_segment_fixed_size 0
		.amdhsa_private_segment_fixed_size 0
		.amdhsa_kernarg_size 112
		.amdhsa_user_sgpr_count 2
		.amdhsa_user_sgpr_dispatch_ptr 0
		.amdhsa_user_sgpr_queue_ptr 0
		.amdhsa_user_sgpr_kernarg_segment_ptr 1
		.amdhsa_user_sgpr_dispatch_id 0
		.amdhsa_user_sgpr_kernarg_preload_length 0
		.amdhsa_user_sgpr_kernarg_preload_offset 0
		.amdhsa_user_sgpr_private_segment_size 0
		.amdhsa_uses_dynamic_stack 0
		.amdhsa_enable_private_segment 0
		.amdhsa_system_sgpr_workgroup_id_x 1
		.amdhsa_system_sgpr_workgroup_id_y 0
		.amdhsa_system_sgpr_workgroup_id_z 0
		.amdhsa_system_sgpr_workgroup_info 0
		.amdhsa_system_vgpr_workitem_id 0
		.amdhsa_next_free_vgpr 1
		.amdhsa_next_free_sgpr 0
		.amdhsa_accum_offset 4
		.amdhsa_reserve_vcc 0
		.amdhsa_float_round_mode_32 0
		.amdhsa_float_round_mode_16_64 0
		.amdhsa_float_denorm_mode_32 3
		.amdhsa_float_denorm_mode_16_64 3
		.amdhsa_dx10_clamp 1
		.amdhsa_ieee_mode 1
		.amdhsa_fp16_overflow 0
		.amdhsa_tg_split 0
		.amdhsa_exception_fp_ieee_invalid_op 0
		.amdhsa_exception_fp_denorm_src 0
		.amdhsa_exception_fp_ieee_div_zero 0
		.amdhsa_exception_fp_ieee_overflow 0
		.amdhsa_exception_fp_ieee_underflow 0
		.amdhsa_exception_fp_ieee_inexact 0
		.amdhsa_exception_int_div_zero 0
	.end_amdhsa_kernel
	.section	.text._ZN7rocprim17ROCPRIM_400000_NS6detail17trampoline_kernelINS0_14default_configENS1_27scan_by_key_config_selectorIifEEZZNS1_16scan_by_key_implILNS1_25lookback_scan_determinismE0ELb1ES3_N6thrust23THRUST_200600_302600_NS6detail15normal_iteratorINS9_10device_ptrIiEEEENSB_INSC_IjEEEENSB_INSC_IfEEEEfNS9_4plusIvEENS9_8equal_toIvEEfEE10hipError_tPvRmT2_T3_T4_T5_mT6_T7_P12ihipStream_tbENKUlT_T0_E_clISt17integral_constantIbLb0EES12_IbLb1EEEEDaSY_SZ_EUlSY_E_NS1_11comp_targetILNS1_3genE10ELNS1_11target_archE1200ELNS1_3gpuE4ELNS1_3repE0EEENS1_30default_config_static_selectorELNS0_4arch9wavefront6targetE1EEEvT1_,"axG",@progbits,_ZN7rocprim17ROCPRIM_400000_NS6detail17trampoline_kernelINS0_14default_configENS1_27scan_by_key_config_selectorIifEEZZNS1_16scan_by_key_implILNS1_25lookback_scan_determinismE0ELb1ES3_N6thrust23THRUST_200600_302600_NS6detail15normal_iteratorINS9_10device_ptrIiEEEENSB_INSC_IjEEEENSB_INSC_IfEEEEfNS9_4plusIvEENS9_8equal_toIvEEfEE10hipError_tPvRmT2_T3_T4_T5_mT6_T7_P12ihipStream_tbENKUlT_T0_E_clISt17integral_constantIbLb0EES12_IbLb1EEEEDaSY_SZ_EUlSY_E_NS1_11comp_targetILNS1_3genE10ELNS1_11target_archE1200ELNS1_3gpuE4ELNS1_3repE0EEENS1_30default_config_static_selectorELNS0_4arch9wavefront6targetE1EEEvT1_,comdat
.Lfunc_end1713:
	.size	_ZN7rocprim17ROCPRIM_400000_NS6detail17trampoline_kernelINS0_14default_configENS1_27scan_by_key_config_selectorIifEEZZNS1_16scan_by_key_implILNS1_25lookback_scan_determinismE0ELb1ES3_N6thrust23THRUST_200600_302600_NS6detail15normal_iteratorINS9_10device_ptrIiEEEENSB_INSC_IjEEEENSB_INSC_IfEEEEfNS9_4plusIvEENS9_8equal_toIvEEfEE10hipError_tPvRmT2_T3_T4_T5_mT6_T7_P12ihipStream_tbENKUlT_T0_E_clISt17integral_constantIbLb0EES12_IbLb1EEEEDaSY_SZ_EUlSY_E_NS1_11comp_targetILNS1_3genE10ELNS1_11target_archE1200ELNS1_3gpuE4ELNS1_3repE0EEENS1_30default_config_static_selectorELNS0_4arch9wavefront6targetE1EEEvT1_, .Lfunc_end1713-_ZN7rocprim17ROCPRIM_400000_NS6detail17trampoline_kernelINS0_14default_configENS1_27scan_by_key_config_selectorIifEEZZNS1_16scan_by_key_implILNS1_25lookback_scan_determinismE0ELb1ES3_N6thrust23THRUST_200600_302600_NS6detail15normal_iteratorINS9_10device_ptrIiEEEENSB_INSC_IjEEEENSB_INSC_IfEEEEfNS9_4plusIvEENS9_8equal_toIvEEfEE10hipError_tPvRmT2_T3_T4_T5_mT6_T7_P12ihipStream_tbENKUlT_T0_E_clISt17integral_constantIbLb0EES12_IbLb1EEEEDaSY_SZ_EUlSY_E_NS1_11comp_targetILNS1_3genE10ELNS1_11target_archE1200ELNS1_3gpuE4ELNS1_3repE0EEENS1_30default_config_static_selectorELNS0_4arch9wavefront6targetE1EEEvT1_
                                        ; -- End function
	.section	.AMDGPU.csdata,"",@progbits
; Kernel info:
; codeLenInByte = 0
; NumSgprs: 6
; NumVgprs: 0
; NumAgprs: 0
; TotalNumVgprs: 0
; ScratchSize: 0
; MemoryBound: 0
; FloatMode: 240
; IeeeMode: 1
; LDSByteSize: 0 bytes/workgroup (compile time only)
; SGPRBlocks: 0
; VGPRBlocks: 0
; NumSGPRsForWavesPerEU: 6
; NumVGPRsForWavesPerEU: 1
; AccumOffset: 4
; Occupancy: 8
; WaveLimiterHint : 0
; COMPUTE_PGM_RSRC2:SCRATCH_EN: 0
; COMPUTE_PGM_RSRC2:USER_SGPR: 2
; COMPUTE_PGM_RSRC2:TRAP_HANDLER: 0
; COMPUTE_PGM_RSRC2:TGID_X_EN: 1
; COMPUTE_PGM_RSRC2:TGID_Y_EN: 0
; COMPUTE_PGM_RSRC2:TGID_Z_EN: 0
; COMPUTE_PGM_RSRC2:TIDIG_COMP_CNT: 0
; COMPUTE_PGM_RSRC3_GFX90A:ACCUM_OFFSET: 0
; COMPUTE_PGM_RSRC3_GFX90A:TG_SPLIT: 0
	.section	.text._ZN7rocprim17ROCPRIM_400000_NS6detail17trampoline_kernelINS0_14default_configENS1_27scan_by_key_config_selectorIifEEZZNS1_16scan_by_key_implILNS1_25lookback_scan_determinismE0ELb1ES3_N6thrust23THRUST_200600_302600_NS6detail15normal_iteratorINS9_10device_ptrIiEEEENSB_INSC_IjEEEENSB_INSC_IfEEEEfNS9_4plusIvEENS9_8equal_toIvEEfEE10hipError_tPvRmT2_T3_T4_T5_mT6_T7_P12ihipStream_tbENKUlT_T0_E_clISt17integral_constantIbLb0EES12_IbLb1EEEEDaSY_SZ_EUlSY_E_NS1_11comp_targetILNS1_3genE9ELNS1_11target_archE1100ELNS1_3gpuE3ELNS1_3repE0EEENS1_30default_config_static_selectorELNS0_4arch9wavefront6targetE1EEEvT1_,"axG",@progbits,_ZN7rocprim17ROCPRIM_400000_NS6detail17trampoline_kernelINS0_14default_configENS1_27scan_by_key_config_selectorIifEEZZNS1_16scan_by_key_implILNS1_25lookback_scan_determinismE0ELb1ES3_N6thrust23THRUST_200600_302600_NS6detail15normal_iteratorINS9_10device_ptrIiEEEENSB_INSC_IjEEEENSB_INSC_IfEEEEfNS9_4plusIvEENS9_8equal_toIvEEfEE10hipError_tPvRmT2_T3_T4_T5_mT6_T7_P12ihipStream_tbENKUlT_T0_E_clISt17integral_constantIbLb0EES12_IbLb1EEEEDaSY_SZ_EUlSY_E_NS1_11comp_targetILNS1_3genE9ELNS1_11target_archE1100ELNS1_3gpuE3ELNS1_3repE0EEENS1_30default_config_static_selectorELNS0_4arch9wavefront6targetE1EEEvT1_,comdat
	.protected	_ZN7rocprim17ROCPRIM_400000_NS6detail17trampoline_kernelINS0_14default_configENS1_27scan_by_key_config_selectorIifEEZZNS1_16scan_by_key_implILNS1_25lookback_scan_determinismE0ELb1ES3_N6thrust23THRUST_200600_302600_NS6detail15normal_iteratorINS9_10device_ptrIiEEEENSB_INSC_IjEEEENSB_INSC_IfEEEEfNS9_4plusIvEENS9_8equal_toIvEEfEE10hipError_tPvRmT2_T3_T4_T5_mT6_T7_P12ihipStream_tbENKUlT_T0_E_clISt17integral_constantIbLb0EES12_IbLb1EEEEDaSY_SZ_EUlSY_E_NS1_11comp_targetILNS1_3genE9ELNS1_11target_archE1100ELNS1_3gpuE3ELNS1_3repE0EEENS1_30default_config_static_selectorELNS0_4arch9wavefront6targetE1EEEvT1_ ; -- Begin function _ZN7rocprim17ROCPRIM_400000_NS6detail17trampoline_kernelINS0_14default_configENS1_27scan_by_key_config_selectorIifEEZZNS1_16scan_by_key_implILNS1_25lookback_scan_determinismE0ELb1ES3_N6thrust23THRUST_200600_302600_NS6detail15normal_iteratorINS9_10device_ptrIiEEEENSB_INSC_IjEEEENSB_INSC_IfEEEEfNS9_4plusIvEENS9_8equal_toIvEEfEE10hipError_tPvRmT2_T3_T4_T5_mT6_T7_P12ihipStream_tbENKUlT_T0_E_clISt17integral_constantIbLb0EES12_IbLb1EEEEDaSY_SZ_EUlSY_E_NS1_11comp_targetILNS1_3genE9ELNS1_11target_archE1100ELNS1_3gpuE3ELNS1_3repE0EEENS1_30default_config_static_selectorELNS0_4arch9wavefront6targetE1EEEvT1_
	.globl	_ZN7rocprim17ROCPRIM_400000_NS6detail17trampoline_kernelINS0_14default_configENS1_27scan_by_key_config_selectorIifEEZZNS1_16scan_by_key_implILNS1_25lookback_scan_determinismE0ELb1ES3_N6thrust23THRUST_200600_302600_NS6detail15normal_iteratorINS9_10device_ptrIiEEEENSB_INSC_IjEEEENSB_INSC_IfEEEEfNS9_4plusIvEENS9_8equal_toIvEEfEE10hipError_tPvRmT2_T3_T4_T5_mT6_T7_P12ihipStream_tbENKUlT_T0_E_clISt17integral_constantIbLb0EES12_IbLb1EEEEDaSY_SZ_EUlSY_E_NS1_11comp_targetILNS1_3genE9ELNS1_11target_archE1100ELNS1_3gpuE3ELNS1_3repE0EEENS1_30default_config_static_selectorELNS0_4arch9wavefront6targetE1EEEvT1_
	.p2align	8
	.type	_ZN7rocprim17ROCPRIM_400000_NS6detail17trampoline_kernelINS0_14default_configENS1_27scan_by_key_config_selectorIifEEZZNS1_16scan_by_key_implILNS1_25lookback_scan_determinismE0ELb1ES3_N6thrust23THRUST_200600_302600_NS6detail15normal_iteratorINS9_10device_ptrIiEEEENSB_INSC_IjEEEENSB_INSC_IfEEEEfNS9_4plusIvEENS9_8equal_toIvEEfEE10hipError_tPvRmT2_T3_T4_T5_mT6_T7_P12ihipStream_tbENKUlT_T0_E_clISt17integral_constantIbLb0EES12_IbLb1EEEEDaSY_SZ_EUlSY_E_NS1_11comp_targetILNS1_3genE9ELNS1_11target_archE1100ELNS1_3gpuE3ELNS1_3repE0EEENS1_30default_config_static_selectorELNS0_4arch9wavefront6targetE1EEEvT1_,@function
_ZN7rocprim17ROCPRIM_400000_NS6detail17trampoline_kernelINS0_14default_configENS1_27scan_by_key_config_selectorIifEEZZNS1_16scan_by_key_implILNS1_25lookback_scan_determinismE0ELb1ES3_N6thrust23THRUST_200600_302600_NS6detail15normal_iteratorINS9_10device_ptrIiEEEENSB_INSC_IjEEEENSB_INSC_IfEEEEfNS9_4plusIvEENS9_8equal_toIvEEfEE10hipError_tPvRmT2_T3_T4_T5_mT6_T7_P12ihipStream_tbENKUlT_T0_E_clISt17integral_constantIbLb0EES12_IbLb1EEEEDaSY_SZ_EUlSY_E_NS1_11comp_targetILNS1_3genE9ELNS1_11target_archE1100ELNS1_3gpuE3ELNS1_3repE0EEENS1_30default_config_static_selectorELNS0_4arch9wavefront6targetE1EEEvT1_: ; @_ZN7rocprim17ROCPRIM_400000_NS6detail17trampoline_kernelINS0_14default_configENS1_27scan_by_key_config_selectorIifEEZZNS1_16scan_by_key_implILNS1_25lookback_scan_determinismE0ELb1ES3_N6thrust23THRUST_200600_302600_NS6detail15normal_iteratorINS9_10device_ptrIiEEEENSB_INSC_IjEEEENSB_INSC_IfEEEEfNS9_4plusIvEENS9_8equal_toIvEEfEE10hipError_tPvRmT2_T3_T4_T5_mT6_T7_P12ihipStream_tbENKUlT_T0_E_clISt17integral_constantIbLb0EES12_IbLb1EEEEDaSY_SZ_EUlSY_E_NS1_11comp_targetILNS1_3genE9ELNS1_11target_archE1100ELNS1_3gpuE3ELNS1_3repE0EEENS1_30default_config_static_selectorELNS0_4arch9wavefront6targetE1EEEvT1_
; %bb.0:
	.section	.rodata,"a",@progbits
	.p2align	6, 0x0
	.amdhsa_kernel _ZN7rocprim17ROCPRIM_400000_NS6detail17trampoline_kernelINS0_14default_configENS1_27scan_by_key_config_selectorIifEEZZNS1_16scan_by_key_implILNS1_25lookback_scan_determinismE0ELb1ES3_N6thrust23THRUST_200600_302600_NS6detail15normal_iteratorINS9_10device_ptrIiEEEENSB_INSC_IjEEEENSB_INSC_IfEEEEfNS9_4plusIvEENS9_8equal_toIvEEfEE10hipError_tPvRmT2_T3_T4_T5_mT6_T7_P12ihipStream_tbENKUlT_T0_E_clISt17integral_constantIbLb0EES12_IbLb1EEEEDaSY_SZ_EUlSY_E_NS1_11comp_targetILNS1_3genE9ELNS1_11target_archE1100ELNS1_3gpuE3ELNS1_3repE0EEENS1_30default_config_static_selectorELNS0_4arch9wavefront6targetE1EEEvT1_
		.amdhsa_group_segment_fixed_size 0
		.amdhsa_private_segment_fixed_size 0
		.amdhsa_kernarg_size 112
		.amdhsa_user_sgpr_count 2
		.amdhsa_user_sgpr_dispatch_ptr 0
		.amdhsa_user_sgpr_queue_ptr 0
		.amdhsa_user_sgpr_kernarg_segment_ptr 1
		.amdhsa_user_sgpr_dispatch_id 0
		.amdhsa_user_sgpr_kernarg_preload_length 0
		.amdhsa_user_sgpr_kernarg_preload_offset 0
		.amdhsa_user_sgpr_private_segment_size 0
		.amdhsa_uses_dynamic_stack 0
		.amdhsa_enable_private_segment 0
		.amdhsa_system_sgpr_workgroup_id_x 1
		.amdhsa_system_sgpr_workgroup_id_y 0
		.amdhsa_system_sgpr_workgroup_id_z 0
		.amdhsa_system_sgpr_workgroup_info 0
		.amdhsa_system_vgpr_workitem_id 0
		.amdhsa_next_free_vgpr 1
		.amdhsa_next_free_sgpr 0
		.amdhsa_accum_offset 4
		.amdhsa_reserve_vcc 0
		.amdhsa_float_round_mode_32 0
		.amdhsa_float_round_mode_16_64 0
		.amdhsa_float_denorm_mode_32 3
		.amdhsa_float_denorm_mode_16_64 3
		.amdhsa_dx10_clamp 1
		.amdhsa_ieee_mode 1
		.amdhsa_fp16_overflow 0
		.amdhsa_tg_split 0
		.amdhsa_exception_fp_ieee_invalid_op 0
		.amdhsa_exception_fp_denorm_src 0
		.amdhsa_exception_fp_ieee_div_zero 0
		.amdhsa_exception_fp_ieee_overflow 0
		.amdhsa_exception_fp_ieee_underflow 0
		.amdhsa_exception_fp_ieee_inexact 0
		.amdhsa_exception_int_div_zero 0
	.end_amdhsa_kernel
	.section	.text._ZN7rocprim17ROCPRIM_400000_NS6detail17trampoline_kernelINS0_14default_configENS1_27scan_by_key_config_selectorIifEEZZNS1_16scan_by_key_implILNS1_25lookback_scan_determinismE0ELb1ES3_N6thrust23THRUST_200600_302600_NS6detail15normal_iteratorINS9_10device_ptrIiEEEENSB_INSC_IjEEEENSB_INSC_IfEEEEfNS9_4plusIvEENS9_8equal_toIvEEfEE10hipError_tPvRmT2_T3_T4_T5_mT6_T7_P12ihipStream_tbENKUlT_T0_E_clISt17integral_constantIbLb0EES12_IbLb1EEEEDaSY_SZ_EUlSY_E_NS1_11comp_targetILNS1_3genE9ELNS1_11target_archE1100ELNS1_3gpuE3ELNS1_3repE0EEENS1_30default_config_static_selectorELNS0_4arch9wavefront6targetE1EEEvT1_,"axG",@progbits,_ZN7rocprim17ROCPRIM_400000_NS6detail17trampoline_kernelINS0_14default_configENS1_27scan_by_key_config_selectorIifEEZZNS1_16scan_by_key_implILNS1_25lookback_scan_determinismE0ELb1ES3_N6thrust23THRUST_200600_302600_NS6detail15normal_iteratorINS9_10device_ptrIiEEEENSB_INSC_IjEEEENSB_INSC_IfEEEEfNS9_4plusIvEENS9_8equal_toIvEEfEE10hipError_tPvRmT2_T3_T4_T5_mT6_T7_P12ihipStream_tbENKUlT_T0_E_clISt17integral_constantIbLb0EES12_IbLb1EEEEDaSY_SZ_EUlSY_E_NS1_11comp_targetILNS1_3genE9ELNS1_11target_archE1100ELNS1_3gpuE3ELNS1_3repE0EEENS1_30default_config_static_selectorELNS0_4arch9wavefront6targetE1EEEvT1_,comdat
.Lfunc_end1714:
	.size	_ZN7rocprim17ROCPRIM_400000_NS6detail17trampoline_kernelINS0_14default_configENS1_27scan_by_key_config_selectorIifEEZZNS1_16scan_by_key_implILNS1_25lookback_scan_determinismE0ELb1ES3_N6thrust23THRUST_200600_302600_NS6detail15normal_iteratorINS9_10device_ptrIiEEEENSB_INSC_IjEEEENSB_INSC_IfEEEEfNS9_4plusIvEENS9_8equal_toIvEEfEE10hipError_tPvRmT2_T3_T4_T5_mT6_T7_P12ihipStream_tbENKUlT_T0_E_clISt17integral_constantIbLb0EES12_IbLb1EEEEDaSY_SZ_EUlSY_E_NS1_11comp_targetILNS1_3genE9ELNS1_11target_archE1100ELNS1_3gpuE3ELNS1_3repE0EEENS1_30default_config_static_selectorELNS0_4arch9wavefront6targetE1EEEvT1_, .Lfunc_end1714-_ZN7rocprim17ROCPRIM_400000_NS6detail17trampoline_kernelINS0_14default_configENS1_27scan_by_key_config_selectorIifEEZZNS1_16scan_by_key_implILNS1_25lookback_scan_determinismE0ELb1ES3_N6thrust23THRUST_200600_302600_NS6detail15normal_iteratorINS9_10device_ptrIiEEEENSB_INSC_IjEEEENSB_INSC_IfEEEEfNS9_4plusIvEENS9_8equal_toIvEEfEE10hipError_tPvRmT2_T3_T4_T5_mT6_T7_P12ihipStream_tbENKUlT_T0_E_clISt17integral_constantIbLb0EES12_IbLb1EEEEDaSY_SZ_EUlSY_E_NS1_11comp_targetILNS1_3genE9ELNS1_11target_archE1100ELNS1_3gpuE3ELNS1_3repE0EEENS1_30default_config_static_selectorELNS0_4arch9wavefront6targetE1EEEvT1_
                                        ; -- End function
	.section	.AMDGPU.csdata,"",@progbits
; Kernel info:
; codeLenInByte = 0
; NumSgprs: 6
; NumVgprs: 0
; NumAgprs: 0
; TotalNumVgprs: 0
; ScratchSize: 0
; MemoryBound: 0
; FloatMode: 240
; IeeeMode: 1
; LDSByteSize: 0 bytes/workgroup (compile time only)
; SGPRBlocks: 0
; VGPRBlocks: 0
; NumSGPRsForWavesPerEU: 6
; NumVGPRsForWavesPerEU: 1
; AccumOffset: 4
; Occupancy: 8
; WaveLimiterHint : 0
; COMPUTE_PGM_RSRC2:SCRATCH_EN: 0
; COMPUTE_PGM_RSRC2:USER_SGPR: 2
; COMPUTE_PGM_RSRC2:TRAP_HANDLER: 0
; COMPUTE_PGM_RSRC2:TGID_X_EN: 1
; COMPUTE_PGM_RSRC2:TGID_Y_EN: 0
; COMPUTE_PGM_RSRC2:TGID_Z_EN: 0
; COMPUTE_PGM_RSRC2:TIDIG_COMP_CNT: 0
; COMPUTE_PGM_RSRC3_GFX90A:ACCUM_OFFSET: 0
; COMPUTE_PGM_RSRC3_GFX90A:TG_SPLIT: 0
	.section	.text._ZN7rocprim17ROCPRIM_400000_NS6detail17trampoline_kernelINS0_14default_configENS1_27scan_by_key_config_selectorIifEEZZNS1_16scan_by_key_implILNS1_25lookback_scan_determinismE0ELb1ES3_N6thrust23THRUST_200600_302600_NS6detail15normal_iteratorINS9_10device_ptrIiEEEENSB_INSC_IjEEEENSB_INSC_IfEEEEfNS9_4plusIvEENS9_8equal_toIvEEfEE10hipError_tPvRmT2_T3_T4_T5_mT6_T7_P12ihipStream_tbENKUlT_T0_E_clISt17integral_constantIbLb0EES12_IbLb1EEEEDaSY_SZ_EUlSY_E_NS1_11comp_targetILNS1_3genE8ELNS1_11target_archE1030ELNS1_3gpuE2ELNS1_3repE0EEENS1_30default_config_static_selectorELNS0_4arch9wavefront6targetE1EEEvT1_,"axG",@progbits,_ZN7rocprim17ROCPRIM_400000_NS6detail17trampoline_kernelINS0_14default_configENS1_27scan_by_key_config_selectorIifEEZZNS1_16scan_by_key_implILNS1_25lookback_scan_determinismE0ELb1ES3_N6thrust23THRUST_200600_302600_NS6detail15normal_iteratorINS9_10device_ptrIiEEEENSB_INSC_IjEEEENSB_INSC_IfEEEEfNS9_4plusIvEENS9_8equal_toIvEEfEE10hipError_tPvRmT2_T3_T4_T5_mT6_T7_P12ihipStream_tbENKUlT_T0_E_clISt17integral_constantIbLb0EES12_IbLb1EEEEDaSY_SZ_EUlSY_E_NS1_11comp_targetILNS1_3genE8ELNS1_11target_archE1030ELNS1_3gpuE2ELNS1_3repE0EEENS1_30default_config_static_selectorELNS0_4arch9wavefront6targetE1EEEvT1_,comdat
	.protected	_ZN7rocprim17ROCPRIM_400000_NS6detail17trampoline_kernelINS0_14default_configENS1_27scan_by_key_config_selectorIifEEZZNS1_16scan_by_key_implILNS1_25lookback_scan_determinismE0ELb1ES3_N6thrust23THRUST_200600_302600_NS6detail15normal_iteratorINS9_10device_ptrIiEEEENSB_INSC_IjEEEENSB_INSC_IfEEEEfNS9_4plusIvEENS9_8equal_toIvEEfEE10hipError_tPvRmT2_T3_T4_T5_mT6_T7_P12ihipStream_tbENKUlT_T0_E_clISt17integral_constantIbLb0EES12_IbLb1EEEEDaSY_SZ_EUlSY_E_NS1_11comp_targetILNS1_3genE8ELNS1_11target_archE1030ELNS1_3gpuE2ELNS1_3repE0EEENS1_30default_config_static_selectorELNS0_4arch9wavefront6targetE1EEEvT1_ ; -- Begin function _ZN7rocprim17ROCPRIM_400000_NS6detail17trampoline_kernelINS0_14default_configENS1_27scan_by_key_config_selectorIifEEZZNS1_16scan_by_key_implILNS1_25lookback_scan_determinismE0ELb1ES3_N6thrust23THRUST_200600_302600_NS6detail15normal_iteratorINS9_10device_ptrIiEEEENSB_INSC_IjEEEENSB_INSC_IfEEEEfNS9_4plusIvEENS9_8equal_toIvEEfEE10hipError_tPvRmT2_T3_T4_T5_mT6_T7_P12ihipStream_tbENKUlT_T0_E_clISt17integral_constantIbLb0EES12_IbLb1EEEEDaSY_SZ_EUlSY_E_NS1_11comp_targetILNS1_3genE8ELNS1_11target_archE1030ELNS1_3gpuE2ELNS1_3repE0EEENS1_30default_config_static_selectorELNS0_4arch9wavefront6targetE1EEEvT1_
	.globl	_ZN7rocprim17ROCPRIM_400000_NS6detail17trampoline_kernelINS0_14default_configENS1_27scan_by_key_config_selectorIifEEZZNS1_16scan_by_key_implILNS1_25lookback_scan_determinismE0ELb1ES3_N6thrust23THRUST_200600_302600_NS6detail15normal_iteratorINS9_10device_ptrIiEEEENSB_INSC_IjEEEENSB_INSC_IfEEEEfNS9_4plusIvEENS9_8equal_toIvEEfEE10hipError_tPvRmT2_T3_T4_T5_mT6_T7_P12ihipStream_tbENKUlT_T0_E_clISt17integral_constantIbLb0EES12_IbLb1EEEEDaSY_SZ_EUlSY_E_NS1_11comp_targetILNS1_3genE8ELNS1_11target_archE1030ELNS1_3gpuE2ELNS1_3repE0EEENS1_30default_config_static_selectorELNS0_4arch9wavefront6targetE1EEEvT1_
	.p2align	8
	.type	_ZN7rocprim17ROCPRIM_400000_NS6detail17trampoline_kernelINS0_14default_configENS1_27scan_by_key_config_selectorIifEEZZNS1_16scan_by_key_implILNS1_25lookback_scan_determinismE0ELb1ES3_N6thrust23THRUST_200600_302600_NS6detail15normal_iteratorINS9_10device_ptrIiEEEENSB_INSC_IjEEEENSB_INSC_IfEEEEfNS9_4plusIvEENS9_8equal_toIvEEfEE10hipError_tPvRmT2_T3_T4_T5_mT6_T7_P12ihipStream_tbENKUlT_T0_E_clISt17integral_constantIbLb0EES12_IbLb1EEEEDaSY_SZ_EUlSY_E_NS1_11comp_targetILNS1_3genE8ELNS1_11target_archE1030ELNS1_3gpuE2ELNS1_3repE0EEENS1_30default_config_static_selectorELNS0_4arch9wavefront6targetE1EEEvT1_,@function
_ZN7rocprim17ROCPRIM_400000_NS6detail17trampoline_kernelINS0_14default_configENS1_27scan_by_key_config_selectorIifEEZZNS1_16scan_by_key_implILNS1_25lookback_scan_determinismE0ELb1ES3_N6thrust23THRUST_200600_302600_NS6detail15normal_iteratorINS9_10device_ptrIiEEEENSB_INSC_IjEEEENSB_INSC_IfEEEEfNS9_4plusIvEENS9_8equal_toIvEEfEE10hipError_tPvRmT2_T3_T4_T5_mT6_T7_P12ihipStream_tbENKUlT_T0_E_clISt17integral_constantIbLb0EES12_IbLb1EEEEDaSY_SZ_EUlSY_E_NS1_11comp_targetILNS1_3genE8ELNS1_11target_archE1030ELNS1_3gpuE2ELNS1_3repE0EEENS1_30default_config_static_selectorELNS0_4arch9wavefront6targetE1EEEvT1_: ; @_ZN7rocprim17ROCPRIM_400000_NS6detail17trampoline_kernelINS0_14default_configENS1_27scan_by_key_config_selectorIifEEZZNS1_16scan_by_key_implILNS1_25lookback_scan_determinismE0ELb1ES3_N6thrust23THRUST_200600_302600_NS6detail15normal_iteratorINS9_10device_ptrIiEEEENSB_INSC_IjEEEENSB_INSC_IfEEEEfNS9_4plusIvEENS9_8equal_toIvEEfEE10hipError_tPvRmT2_T3_T4_T5_mT6_T7_P12ihipStream_tbENKUlT_T0_E_clISt17integral_constantIbLb0EES12_IbLb1EEEEDaSY_SZ_EUlSY_E_NS1_11comp_targetILNS1_3genE8ELNS1_11target_archE1030ELNS1_3gpuE2ELNS1_3repE0EEENS1_30default_config_static_selectorELNS0_4arch9wavefront6targetE1EEEvT1_
; %bb.0:
	.section	.rodata,"a",@progbits
	.p2align	6, 0x0
	.amdhsa_kernel _ZN7rocprim17ROCPRIM_400000_NS6detail17trampoline_kernelINS0_14default_configENS1_27scan_by_key_config_selectorIifEEZZNS1_16scan_by_key_implILNS1_25lookback_scan_determinismE0ELb1ES3_N6thrust23THRUST_200600_302600_NS6detail15normal_iteratorINS9_10device_ptrIiEEEENSB_INSC_IjEEEENSB_INSC_IfEEEEfNS9_4plusIvEENS9_8equal_toIvEEfEE10hipError_tPvRmT2_T3_T4_T5_mT6_T7_P12ihipStream_tbENKUlT_T0_E_clISt17integral_constantIbLb0EES12_IbLb1EEEEDaSY_SZ_EUlSY_E_NS1_11comp_targetILNS1_3genE8ELNS1_11target_archE1030ELNS1_3gpuE2ELNS1_3repE0EEENS1_30default_config_static_selectorELNS0_4arch9wavefront6targetE1EEEvT1_
		.amdhsa_group_segment_fixed_size 0
		.amdhsa_private_segment_fixed_size 0
		.amdhsa_kernarg_size 112
		.amdhsa_user_sgpr_count 2
		.amdhsa_user_sgpr_dispatch_ptr 0
		.amdhsa_user_sgpr_queue_ptr 0
		.amdhsa_user_sgpr_kernarg_segment_ptr 1
		.amdhsa_user_sgpr_dispatch_id 0
		.amdhsa_user_sgpr_kernarg_preload_length 0
		.amdhsa_user_sgpr_kernarg_preload_offset 0
		.amdhsa_user_sgpr_private_segment_size 0
		.amdhsa_uses_dynamic_stack 0
		.amdhsa_enable_private_segment 0
		.amdhsa_system_sgpr_workgroup_id_x 1
		.amdhsa_system_sgpr_workgroup_id_y 0
		.amdhsa_system_sgpr_workgroup_id_z 0
		.amdhsa_system_sgpr_workgroup_info 0
		.amdhsa_system_vgpr_workitem_id 0
		.amdhsa_next_free_vgpr 1
		.amdhsa_next_free_sgpr 0
		.amdhsa_accum_offset 4
		.amdhsa_reserve_vcc 0
		.amdhsa_float_round_mode_32 0
		.amdhsa_float_round_mode_16_64 0
		.amdhsa_float_denorm_mode_32 3
		.amdhsa_float_denorm_mode_16_64 3
		.amdhsa_dx10_clamp 1
		.amdhsa_ieee_mode 1
		.amdhsa_fp16_overflow 0
		.amdhsa_tg_split 0
		.amdhsa_exception_fp_ieee_invalid_op 0
		.amdhsa_exception_fp_denorm_src 0
		.amdhsa_exception_fp_ieee_div_zero 0
		.amdhsa_exception_fp_ieee_overflow 0
		.amdhsa_exception_fp_ieee_underflow 0
		.amdhsa_exception_fp_ieee_inexact 0
		.amdhsa_exception_int_div_zero 0
	.end_amdhsa_kernel
	.section	.text._ZN7rocprim17ROCPRIM_400000_NS6detail17trampoline_kernelINS0_14default_configENS1_27scan_by_key_config_selectorIifEEZZNS1_16scan_by_key_implILNS1_25lookback_scan_determinismE0ELb1ES3_N6thrust23THRUST_200600_302600_NS6detail15normal_iteratorINS9_10device_ptrIiEEEENSB_INSC_IjEEEENSB_INSC_IfEEEEfNS9_4plusIvEENS9_8equal_toIvEEfEE10hipError_tPvRmT2_T3_T4_T5_mT6_T7_P12ihipStream_tbENKUlT_T0_E_clISt17integral_constantIbLb0EES12_IbLb1EEEEDaSY_SZ_EUlSY_E_NS1_11comp_targetILNS1_3genE8ELNS1_11target_archE1030ELNS1_3gpuE2ELNS1_3repE0EEENS1_30default_config_static_selectorELNS0_4arch9wavefront6targetE1EEEvT1_,"axG",@progbits,_ZN7rocprim17ROCPRIM_400000_NS6detail17trampoline_kernelINS0_14default_configENS1_27scan_by_key_config_selectorIifEEZZNS1_16scan_by_key_implILNS1_25lookback_scan_determinismE0ELb1ES3_N6thrust23THRUST_200600_302600_NS6detail15normal_iteratorINS9_10device_ptrIiEEEENSB_INSC_IjEEEENSB_INSC_IfEEEEfNS9_4plusIvEENS9_8equal_toIvEEfEE10hipError_tPvRmT2_T3_T4_T5_mT6_T7_P12ihipStream_tbENKUlT_T0_E_clISt17integral_constantIbLb0EES12_IbLb1EEEEDaSY_SZ_EUlSY_E_NS1_11comp_targetILNS1_3genE8ELNS1_11target_archE1030ELNS1_3gpuE2ELNS1_3repE0EEENS1_30default_config_static_selectorELNS0_4arch9wavefront6targetE1EEEvT1_,comdat
.Lfunc_end1715:
	.size	_ZN7rocprim17ROCPRIM_400000_NS6detail17trampoline_kernelINS0_14default_configENS1_27scan_by_key_config_selectorIifEEZZNS1_16scan_by_key_implILNS1_25lookback_scan_determinismE0ELb1ES3_N6thrust23THRUST_200600_302600_NS6detail15normal_iteratorINS9_10device_ptrIiEEEENSB_INSC_IjEEEENSB_INSC_IfEEEEfNS9_4plusIvEENS9_8equal_toIvEEfEE10hipError_tPvRmT2_T3_T4_T5_mT6_T7_P12ihipStream_tbENKUlT_T0_E_clISt17integral_constantIbLb0EES12_IbLb1EEEEDaSY_SZ_EUlSY_E_NS1_11comp_targetILNS1_3genE8ELNS1_11target_archE1030ELNS1_3gpuE2ELNS1_3repE0EEENS1_30default_config_static_selectorELNS0_4arch9wavefront6targetE1EEEvT1_, .Lfunc_end1715-_ZN7rocprim17ROCPRIM_400000_NS6detail17trampoline_kernelINS0_14default_configENS1_27scan_by_key_config_selectorIifEEZZNS1_16scan_by_key_implILNS1_25lookback_scan_determinismE0ELb1ES3_N6thrust23THRUST_200600_302600_NS6detail15normal_iteratorINS9_10device_ptrIiEEEENSB_INSC_IjEEEENSB_INSC_IfEEEEfNS9_4plusIvEENS9_8equal_toIvEEfEE10hipError_tPvRmT2_T3_T4_T5_mT6_T7_P12ihipStream_tbENKUlT_T0_E_clISt17integral_constantIbLb0EES12_IbLb1EEEEDaSY_SZ_EUlSY_E_NS1_11comp_targetILNS1_3genE8ELNS1_11target_archE1030ELNS1_3gpuE2ELNS1_3repE0EEENS1_30default_config_static_selectorELNS0_4arch9wavefront6targetE1EEEvT1_
                                        ; -- End function
	.section	.AMDGPU.csdata,"",@progbits
; Kernel info:
; codeLenInByte = 0
; NumSgprs: 6
; NumVgprs: 0
; NumAgprs: 0
; TotalNumVgprs: 0
; ScratchSize: 0
; MemoryBound: 0
; FloatMode: 240
; IeeeMode: 1
; LDSByteSize: 0 bytes/workgroup (compile time only)
; SGPRBlocks: 0
; VGPRBlocks: 0
; NumSGPRsForWavesPerEU: 6
; NumVGPRsForWavesPerEU: 1
; AccumOffset: 4
; Occupancy: 8
; WaveLimiterHint : 0
; COMPUTE_PGM_RSRC2:SCRATCH_EN: 0
; COMPUTE_PGM_RSRC2:USER_SGPR: 2
; COMPUTE_PGM_RSRC2:TRAP_HANDLER: 0
; COMPUTE_PGM_RSRC2:TGID_X_EN: 1
; COMPUTE_PGM_RSRC2:TGID_Y_EN: 0
; COMPUTE_PGM_RSRC2:TGID_Z_EN: 0
; COMPUTE_PGM_RSRC2:TIDIG_COMP_CNT: 0
; COMPUTE_PGM_RSRC3_GFX90A:ACCUM_OFFSET: 0
; COMPUTE_PGM_RSRC3_GFX90A:TG_SPLIT: 0
	.section	.text._ZN7rocprim17ROCPRIM_400000_NS6detail17trampoline_kernelINS0_14default_configENS1_27scan_by_key_config_selectorIiiEEZZNS1_16scan_by_key_implILNS1_25lookback_scan_determinismE0ELb1ES3_N6thrust23THRUST_200600_302600_NS6detail15normal_iteratorINS9_10device_ptrIiEEEENSB_INSC_IjEEEENSB_INSC_IfEEEEiNS9_4plusIvEENS9_8equal_toIvEEiEE10hipError_tPvRmT2_T3_T4_T5_mT6_T7_P12ihipStream_tbENKUlT_T0_E_clISt17integral_constantIbLb0EES13_EEDaSY_SZ_EUlSY_E_NS1_11comp_targetILNS1_3genE0ELNS1_11target_archE4294967295ELNS1_3gpuE0ELNS1_3repE0EEENS1_30default_config_static_selectorELNS0_4arch9wavefront6targetE1EEEvT1_,"axG",@progbits,_ZN7rocprim17ROCPRIM_400000_NS6detail17trampoline_kernelINS0_14default_configENS1_27scan_by_key_config_selectorIiiEEZZNS1_16scan_by_key_implILNS1_25lookback_scan_determinismE0ELb1ES3_N6thrust23THRUST_200600_302600_NS6detail15normal_iteratorINS9_10device_ptrIiEEEENSB_INSC_IjEEEENSB_INSC_IfEEEEiNS9_4plusIvEENS9_8equal_toIvEEiEE10hipError_tPvRmT2_T3_T4_T5_mT6_T7_P12ihipStream_tbENKUlT_T0_E_clISt17integral_constantIbLb0EES13_EEDaSY_SZ_EUlSY_E_NS1_11comp_targetILNS1_3genE0ELNS1_11target_archE4294967295ELNS1_3gpuE0ELNS1_3repE0EEENS1_30default_config_static_selectorELNS0_4arch9wavefront6targetE1EEEvT1_,comdat
	.protected	_ZN7rocprim17ROCPRIM_400000_NS6detail17trampoline_kernelINS0_14default_configENS1_27scan_by_key_config_selectorIiiEEZZNS1_16scan_by_key_implILNS1_25lookback_scan_determinismE0ELb1ES3_N6thrust23THRUST_200600_302600_NS6detail15normal_iteratorINS9_10device_ptrIiEEEENSB_INSC_IjEEEENSB_INSC_IfEEEEiNS9_4plusIvEENS9_8equal_toIvEEiEE10hipError_tPvRmT2_T3_T4_T5_mT6_T7_P12ihipStream_tbENKUlT_T0_E_clISt17integral_constantIbLb0EES13_EEDaSY_SZ_EUlSY_E_NS1_11comp_targetILNS1_3genE0ELNS1_11target_archE4294967295ELNS1_3gpuE0ELNS1_3repE0EEENS1_30default_config_static_selectorELNS0_4arch9wavefront6targetE1EEEvT1_ ; -- Begin function _ZN7rocprim17ROCPRIM_400000_NS6detail17trampoline_kernelINS0_14default_configENS1_27scan_by_key_config_selectorIiiEEZZNS1_16scan_by_key_implILNS1_25lookback_scan_determinismE0ELb1ES3_N6thrust23THRUST_200600_302600_NS6detail15normal_iteratorINS9_10device_ptrIiEEEENSB_INSC_IjEEEENSB_INSC_IfEEEEiNS9_4plusIvEENS9_8equal_toIvEEiEE10hipError_tPvRmT2_T3_T4_T5_mT6_T7_P12ihipStream_tbENKUlT_T0_E_clISt17integral_constantIbLb0EES13_EEDaSY_SZ_EUlSY_E_NS1_11comp_targetILNS1_3genE0ELNS1_11target_archE4294967295ELNS1_3gpuE0ELNS1_3repE0EEENS1_30default_config_static_selectorELNS0_4arch9wavefront6targetE1EEEvT1_
	.globl	_ZN7rocprim17ROCPRIM_400000_NS6detail17trampoline_kernelINS0_14default_configENS1_27scan_by_key_config_selectorIiiEEZZNS1_16scan_by_key_implILNS1_25lookback_scan_determinismE0ELb1ES3_N6thrust23THRUST_200600_302600_NS6detail15normal_iteratorINS9_10device_ptrIiEEEENSB_INSC_IjEEEENSB_INSC_IfEEEEiNS9_4plusIvEENS9_8equal_toIvEEiEE10hipError_tPvRmT2_T3_T4_T5_mT6_T7_P12ihipStream_tbENKUlT_T0_E_clISt17integral_constantIbLb0EES13_EEDaSY_SZ_EUlSY_E_NS1_11comp_targetILNS1_3genE0ELNS1_11target_archE4294967295ELNS1_3gpuE0ELNS1_3repE0EEENS1_30default_config_static_selectorELNS0_4arch9wavefront6targetE1EEEvT1_
	.p2align	8
	.type	_ZN7rocprim17ROCPRIM_400000_NS6detail17trampoline_kernelINS0_14default_configENS1_27scan_by_key_config_selectorIiiEEZZNS1_16scan_by_key_implILNS1_25lookback_scan_determinismE0ELb1ES3_N6thrust23THRUST_200600_302600_NS6detail15normal_iteratorINS9_10device_ptrIiEEEENSB_INSC_IjEEEENSB_INSC_IfEEEEiNS9_4plusIvEENS9_8equal_toIvEEiEE10hipError_tPvRmT2_T3_T4_T5_mT6_T7_P12ihipStream_tbENKUlT_T0_E_clISt17integral_constantIbLb0EES13_EEDaSY_SZ_EUlSY_E_NS1_11comp_targetILNS1_3genE0ELNS1_11target_archE4294967295ELNS1_3gpuE0ELNS1_3repE0EEENS1_30default_config_static_selectorELNS0_4arch9wavefront6targetE1EEEvT1_,@function
_ZN7rocprim17ROCPRIM_400000_NS6detail17trampoline_kernelINS0_14default_configENS1_27scan_by_key_config_selectorIiiEEZZNS1_16scan_by_key_implILNS1_25lookback_scan_determinismE0ELb1ES3_N6thrust23THRUST_200600_302600_NS6detail15normal_iteratorINS9_10device_ptrIiEEEENSB_INSC_IjEEEENSB_INSC_IfEEEEiNS9_4plusIvEENS9_8equal_toIvEEiEE10hipError_tPvRmT2_T3_T4_T5_mT6_T7_P12ihipStream_tbENKUlT_T0_E_clISt17integral_constantIbLb0EES13_EEDaSY_SZ_EUlSY_E_NS1_11comp_targetILNS1_3genE0ELNS1_11target_archE4294967295ELNS1_3gpuE0ELNS1_3repE0EEENS1_30default_config_static_selectorELNS0_4arch9wavefront6targetE1EEEvT1_: ; @_ZN7rocprim17ROCPRIM_400000_NS6detail17trampoline_kernelINS0_14default_configENS1_27scan_by_key_config_selectorIiiEEZZNS1_16scan_by_key_implILNS1_25lookback_scan_determinismE0ELb1ES3_N6thrust23THRUST_200600_302600_NS6detail15normal_iteratorINS9_10device_ptrIiEEEENSB_INSC_IjEEEENSB_INSC_IfEEEEiNS9_4plusIvEENS9_8equal_toIvEEiEE10hipError_tPvRmT2_T3_T4_T5_mT6_T7_P12ihipStream_tbENKUlT_T0_E_clISt17integral_constantIbLb0EES13_EEDaSY_SZ_EUlSY_E_NS1_11comp_targetILNS1_3genE0ELNS1_11target_archE4294967295ELNS1_3gpuE0ELNS1_3repE0EEENS1_30default_config_static_selectorELNS0_4arch9wavefront6targetE1EEEvT1_
; %bb.0:
	.section	.rodata,"a",@progbits
	.p2align	6, 0x0
	.amdhsa_kernel _ZN7rocprim17ROCPRIM_400000_NS6detail17trampoline_kernelINS0_14default_configENS1_27scan_by_key_config_selectorIiiEEZZNS1_16scan_by_key_implILNS1_25lookback_scan_determinismE0ELb1ES3_N6thrust23THRUST_200600_302600_NS6detail15normal_iteratorINS9_10device_ptrIiEEEENSB_INSC_IjEEEENSB_INSC_IfEEEEiNS9_4plusIvEENS9_8equal_toIvEEiEE10hipError_tPvRmT2_T3_T4_T5_mT6_T7_P12ihipStream_tbENKUlT_T0_E_clISt17integral_constantIbLb0EES13_EEDaSY_SZ_EUlSY_E_NS1_11comp_targetILNS1_3genE0ELNS1_11target_archE4294967295ELNS1_3gpuE0ELNS1_3repE0EEENS1_30default_config_static_selectorELNS0_4arch9wavefront6targetE1EEEvT1_
		.amdhsa_group_segment_fixed_size 0
		.amdhsa_private_segment_fixed_size 0
		.amdhsa_kernarg_size 112
		.amdhsa_user_sgpr_count 2
		.amdhsa_user_sgpr_dispatch_ptr 0
		.amdhsa_user_sgpr_queue_ptr 0
		.amdhsa_user_sgpr_kernarg_segment_ptr 1
		.amdhsa_user_sgpr_dispatch_id 0
		.amdhsa_user_sgpr_kernarg_preload_length 0
		.amdhsa_user_sgpr_kernarg_preload_offset 0
		.amdhsa_user_sgpr_private_segment_size 0
		.amdhsa_uses_dynamic_stack 0
		.amdhsa_enable_private_segment 0
		.amdhsa_system_sgpr_workgroup_id_x 1
		.amdhsa_system_sgpr_workgroup_id_y 0
		.amdhsa_system_sgpr_workgroup_id_z 0
		.amdhsa_system_sgpr_workgroup_info 0
		.amdhsa_system_vgpr_workitem_id 0
		.amdhsa_next_free_vgpr 1
		.amdhsa_next_free_sgpr 0
		.amdhsa_accum_offset 4
		.amdhsa_reserve_vcc 0
		.amdhsa_float_round_mode_32 0
		.amdhsa_float_round_mode_16_64 0
		.amdhsa_float_denorm_mode_32 3
		.amdhsa_float_denorm_mode_16_64 3
		.amdhsa_dx10_clamp 1
		.amdhsa_ieee_mode 1
		.amdhsa_fp16_overflow 0
		.amdhsa_tg_split 0
		.amdhsa_exception_fp_ieee_invalid_op 0
		.amdhsa_exception_fp_denorm_src 0
		.amdhsa_exception_fp_ieee_div_zero 0
		.amdhsa_exception_fp_ieee_overflow 0
		.amdhsa_exception_fp_ieee_underflow 0
		.amdhsa_exception_fp_ieee_inexact 0
		.amdhsa_exception_int_div_zero 0
	.end_amdhsa_kernel
	.section	.text._ZN7rocprim17ROCPRIM_400000_NS6detail17trampoline_kernelINS0_14default_configENS1_27scan_by_key_config_selectorIiiEEZZNS1_16scan_by_key_implILNS1_25lookback_scan_determinismE0ELb1ES3_N6thrust23THRUST_200600_302600_NS6detail15normal_iteratorINS9_10device_ptrIiEEEENSB_INSC_IjEEEENSB_INSC_IfEEEEiNS9_4plusIvEENS9_8equal_toIvEEiEE10hipError_tPvRmT2_T3_T4_T5_mT6_T7_P12ihipStream_tbENKUlT_T0_E_clISt17integral_constantIbLb0EES13_EEDaSY_SZ_EUlSY_E_NS1_11comp_targetILNS1_3genE0ELNS1_11target_archE4294967295ELNS1_3gpuE0ELNS1_3repE0EEENS1_30default_config_static_selectorELNS0_4arch9wavefront6targetE1EEEvT1_,"axG",@progbits,_ZN7rocprim17ROCPRIM_400000_NS6detail17trampoline_kernelINS0_14default_configENS1_27scan_by_key_config_selectorIiiEEZZNS1_16scan_by_key_implILNS1_25lookback_scan_determinismE0ELb1ES3_N6thrust23THRUST_200600_302600_NS6detail15normal_iteratorINS9_10device_ptrIiEEEENSB_INSC_IjEEEENSB_INSC_IfEEEEiNS9_4plusIvEENS9_8equal_toIvEEiEE10hipError_tPvRmT2_T3_T4_T5_mT6_T7_P12ihipStream_tbENKUlT_T0_E_clISt17integral_constantIbLb0EES13_EEDaSY_SZ_EUlSY_E_NS1_11comp_targetILNS1_3genE0ELNS1_11target_archE4294967295ELNS1_3gpuE0ELNS1_3repE0EEENS1_30default_config_static_selectorELNS0_4arch9wavefront6targetE1EEEvT1_,comdat
.Lfunc_end1716:
	.size	_ZN7rocprim17ROCPRIM_400000_NS6detail17trampoline_kernelINS0_14default_configENS1_27scan_by_key_config_selectorIiiEEZZNS1_16scan_by_key_implILNS1_25lookback_scan_determinismE0ELb1ES3_N6thrust23THRUST_200600_302600_NS6detail15normal_iteratorINS9_10device_ptrIiEEEENSB_INSC_IjEEEENSB_INSC_IfEEEEiNS9_4plusIvEENS9_8equal_toIvEEiEE10hipError_tPvRmT2_T3_T4_T5_mT6_T7_P12ihipStream_tbENKUlT_T0_E_clISt17integral_constantIbLb0EES13_EEDaSY_SZ_EUlSY_E_NS1_11comp_targetILNS1_3genE0ELNS1_11target_archE4294967295ELNS1_3gpuE0ELNS1_3repE0EEENS1_30default_config_static_selectorELNS0_4arch9wavefront6targetE1EEEvT1_, .Lfunc_end1716-_ZN7rocprim17ROCPRIM_400000_NS6detail17trampoline_kernelINS0_14default_configENS1_27scan_by_key_config_selectorIiiEEZZNS1_16scan_by_key_implILNS1_25lookback_scan_determinismE0ELb1ES3_N6thrust23THRUST_200600_302600_NS6detail15normal_iteratorINS9_10device_ptrIiEEEENSB_INSC_IjEEEENSB_INSC_IfEEEEiNS9_4plusIvEENS9_8equal_toIvEEiEE10hipError_tPvRmT2_T3_T4_T5_mT6_T7_P12ihipStream_tbENKUlT_T0_E_clISt17integral_constantIbLb0EES13_EEDaSY_SZ_EUlSY_E_NS1_11comp_targetILNS1_3genE0ELNS1_11target_archE4294967295ELNS1_3gpuE0ELNS1_3repE0EEENS1_30default_config_static_selectorELNS0_4arch9wavefront6targetE1EEEvT1_
                                        ; -- End function
	.section	.AMDGPU.csdata,"",@progbits
; Kernel info:
; codeLenInByte = 0
; NumSgprs: 6
; NumVgprs: 0
; NumAgprs: 0
; TotalNumVgprs: 0
; ScratchSize: 0
; MemoryBound: 0
; FloatMode: 240
; IeeeMode: 1
; LDSByteSize: 0 bytes/workgroup (compile time only)
; SGPRBlocks: 0
; VGPRBlocks: 0
; NumSGPRsForWavesPerEU: 6
; NumVGPRsForWavesPerEU: 1
; AccumOffset: 4
; Occupancy: 8
; WaveLimiterHint : 0
; COMPUTE_PGM_RSRC2:SCRATCH_EN: 0
; COMPUTE_PGM_RSRC2:USER_SGPR: 2
; COMPUTE_PGM_RSRC2:TRAP_HANDLER: 0
; COMPUTE_PGM_RSRC2:TGID_X_EN: 1
; COMPUTE_PGM_RSRC2:TGID_Y_EN: 0
; COMPUTE_PGM_RSRC2:TGID_Z_EN: 0
; COMPUTE_PGM_RSRC2:TIDIG_COMP_CNT: 0
; COMPUTE_PGM_RSRC3_GFX90A:ACCUM_OFFSET: 0
; COMPUTE_PGM_RSRC3_GFX90A:TG_SPLIT: 0
	.section	.text._ZN7rocprim17ROCPRIM_400000_NS6detail17trampoline_kernelINS0_14default_configENS1_27scan_by_key_config_selectorIiiEEZZNS1_16scan_by_key_implILNS1_25lookback_scan_determinismE0ELb1ES3_N6thrust23THRUST_200600_302600_NS6detail15normal_iteratorINS9_10device_ptrIiEEEENSB_INSC_IjEEEENSB_INSC_IfEEEEiNS9_4plusIvEENS9_8equal_toIvEEiEE10hipError_tPvRmT2_T3_T4_T5_mT6_T7_P12ihipStream_tbENKUlT_T0_E_clISt17integral_constantIbLb0EES13_EEDaSY_SZ_EUlSY_E_NS1_11comp_targetILNS1_3genE10ELNS1_11target_archE1201ELNS1_3gpuE5ELNS1_3repE0EEENS1_30default_config_static_selectorELNS0_4arch9wavefront6targetE1EEEvT1_,"axG",@progbits,_ZN7rocprim17ROCPRIM_400000_NS6detail17trampoline_kernelINS0_14default_configENS1_27scan_by_key_config_selectorIiiEEZZNS1_16scan_by_key_implILNS1_25lookback_scan_determinismE0ELb1ES3_N6thrust23THRUST_200600_302600_NS6detail15normal_iteratorINS9_10device_ptrIiEEEENSB_INSC_IjEEEENSB_INSC_IfEEEEiNS9_4plusIvEENS9_8equal_toIvEEiEE10hipError_tPvRmT2_T3_T4_T5_mT6_T7_P12ihipStream_tbENKUlT_T0_E_clISt17integral_constantIbLb0EES13_EEDaSY_SZ_EUlSY_E_NS1_11comp_targetILNS1_3genE10ELNS1_11target_archE1201ELNS1_3gpuE5ELNS1_3repE0EEENS1_30default_config_static_selectorELNS0_4arch9wavefront6targetE1EEEvT1_,comdat
	.protected	_ZN7rocprim17ROCPRIM_400000_NS6detail17trampoline_kernelINS0_14default_configENS1_27scan_by_key_config_selectorIiiEEZZNS1_16scan_by_key_implILNS1_25lookback_scan_determinismE0ELb1ES3_N6thrust23THRUST_200600_302600_NS6detail15normal_iteratorINS9_10device_ptrIiEEEENSB_INSC_IjEEEENSB_INSC_IfEEEEiNS9_4plusIvEENS9_8equal_toIvEEiEE10hipError_tPvRmT2_T3_T4_T5_mT6_T7_P12ihipStream_tbENKUlT_T0_E_clISt17integral_constantIbLb0EES13_EEDaSY_SZ_EUlSY_E_NS1_11comp_targetILNS1_3genE10ELNS1_11target_archE1201ELNS1_3gpuE5ELNS1_3repE0EEENS1_30default_config_static_selectorELNS0_4arch9wavefront6targetE1EEEvT1_ ; -- Begin function _ZN7rocprim17ROCPRIM_400000_NS6detail17trampoline_kernelINS0_14default_configENS1_27scan_by_key_config_selectorIiiEEZZNS1_16scan_by_key_implILNS1_25lookback_scan_determinismE0ELb1ES3_N6thrust23THRUST_200600_302600_NS6detail15normal_iteratorINS9_10device_ptrIiEEEENSB_INSC_IjEEEENSB_INSC_IfEEEEiNS9_4plusIvEENS9_8equal_toIvEEiEE10hipError_tPvRmT2_T3_T4_T5_mT6_T7_P12ihipStream_tbENKUlT_T0_E_clISt17integral_constantIbLb0EES13_EEDaSY_SZ_EUlSY_E_NS1_11comp_targetILNS1_3genE10ELNS1_11target_archE1201ELNS1_3gpuE5ELNS1_3repE0EEENS1_30default_config_static_selectorELNS0_4arch9wavefront6targetE1EEEvT1_
	.globl	_ZN7rocprim17ROCPRIM_400000_NS6detail17trampoline_kernelINS0_14default_configENS1_27scan_by_key_config_selectorIiiEEZZNS1_16scan_by_key_implILNS1_25lookback_scan_determinismE0ELb1ES3_N6thrust23THRUST_200600_302600_NS6detail15normal_iteratorINS9_10device_ptrIiEEEENSB_INSC_IjEEEENSB_INSC_IfEEEEiNS9_4plusIvEENS9_8equal_toIvEEiEE10hipError_tPvRmT2_T3_T4_T5_mT6_T7_P12ihipStream_tbENKUlT_T0_E_clISt17integral_constantIbLb0EES13_EEDaSY_SZ_EUlSY_E_NS1_11comp_targetILNS1_3genE10ELNS1_11target_archE1201ELNS1_3gpuE5ELNS1_3repE0EEENS1_30default_config_static_selectorELNS0_4arch9wavefront6targetE1EEEvT1_
	.p2align	8
	.type	_ZN7rocprim17ROCPRIM_400000_NS6detail17trampoline_kernelINS0_14default_configENS1_27scan_by_key_config_selectorIiiEEZZNS1_16scan_by_key_implILNS1_25lookback_scan_determinismE0ELb1ES3_N6thrust23THRUST_200600_302600_NS6detail15normal_iteratorINS9_10device_ptrIiEEEENSB_INSC_IjEEEENSB_INSC_IfEEEEiNS9_4plusIvEENS9_8equal_toIvEEiEE10hipError_tPvRmT2_T3_T4_T5_mT6_T7_P12ihipStream_tbENKUlT_T0_E_clISt17integral_constantIbLb0EES13_EEDaSY_SZ_EUlSY_E_NS1_11comp_targetILNS1_3genE10ELNS1_11target_archE1201ELNS1_3gpuE5ELNS1_3repE0EEENS1_30default_config_static_selectorELNS0_4arch9wavefront6targetE1EEEvT1_,@function
_ZN7rocprim17ROCPRIM_400000_NS6detail17trampoline_kernelINS0_14default_configENS1_27scan_by_key_config_selectorIiiEEZZNS1_16scan_by_key_implILNS1_25lookback_scan_determinismE0ELb1ES3_N6thrust23THRUST_200600_302600_NS6detail15normal_iteratorINS9_10device_ptrIiEEEENSB_INSC_IjEEEENSB_INSC_IfEEEEiNS9_4plusIvEENS9_8equal_toIvEEiEE10hipError_tPvRmT2_T3_T4_T5_mT6_T7_P12ihipStream_tbENKUlT_T0_E_clISt17integral_constantIbLb0EES13_EEDaSY_SZ_EUlSY_E_NS1_11comp_targetILNS1_3genE10ELNS1_11target_archE1201ELNS1_3gpuE5ELNS1_3repE0EEENS1_30default_config_static_selectorELNS0_4arch9wavefront6targetE1EEEvT1_: ; @_ZN7rocprim17ROCPRIM_400000_NS6detail17trampoline_kernelINS0_14default_configENS1_27scan_by_key_config_selectorIiiEEZZNS1_16scan_by_key_implILNS1_25lookback_scan_determinismE0ELb1ES3_N6thrust23THRUST_200600_302600_NS6detail15normal_iteratorINS9_10device_ptrIiEEEENSB_INSC_IjEEEENSB_INSC_IfEEEEiNS9_4plusIvEENS9_8equal_toIvEEiEE10hipError_tPvRmT2_T3_T4_T5_mT6_T7_P12ihipStream_tbENKUlT_T0_E_clISt17integral_constantIbLb0EES13_EEDaSY_SZ_EUlSY_E_NS1_11comp_targetILNS1_3genE10ELNS1_11target_archE1201ELNS1_3gpuE5ELNS1_3repE0EEENS1_30default_config_static_selectorELNS0_4arch9wavefront6targetE1EEEvT1_
; %bb.0:
	.section	.rodata,"a",@progbits
	.p2align	6, 0x0
	.amdhsa_kernel _ZN7rocprim17ROCPRIM_400000_NS6detail17trampoline_kernelINS0_14default_configENS1_27scan_by_key_config_selectorIiiEEZZNS1_16scan_by_key_implILNS1_25lookback_scan_determinismE0ELb1ES3_N6thrust23THRUST_200600_302600_NS6detail15normal_iteratorINS9_10device_ptrIiEEEENSB_INSC_IjEEEENSB_INSC_IfEEEEiNS9_4plusIvEENS9_8equal_toIvEEiEE10hipError_tPvRmT2_T3_T4_T5_mT6_T7_P12ihipStream_tbENKUlT_T0_E_clISt17integral_constantIbLb0EES13_EEDaSY_SZ_EUlSY_E_NS1_11comp_targetILNS1_3genE10ELNS1_11target_archE1201ELNS1_3gpuE5ELNS1_3repE0EEENS1_30default_config_static_selectorELNS0_4arch9wavefront6targetE1EEEvT1_
		.amdhsa_group_segment_fixed_size 0
		.amdhsa_private_segment_fixed_size 0
		.amdhsa_kernarg_size 112
		.amdhsa_user_sgpr_count 2
		.amdhsa_user_sgpr_dispatch_ptr 0
		.amdhsa_user_sgpr_queue_ptr 0
		.amdhsa_user_sgpr_kernarg_segment_ptr 1
		.amdhsa_user_sgpr_dispatch_id 0
		.amdhsa_user_sgpr_kernarg_preload_length 0
		.amdhsa_user_sgpr_kernarg_preload_offset 0
		.amdhsa_user_sgpr_private_segment_size 0
		.amdhsa_uses_dynamic_stack 0
		.amdhsa_enable_private_segment 0
		.amdhsa_system_sgpr_workgroup_id_x 1
		.amdhsa_system_sgpr_workgroup_id_y 0
		.amdhsa_system_sgpr_workgroup_id_z 0
		.amdhsa_system_sgpr_workgroup_info 0
		.amdhsa_system_vgpr_workitem_id 0
		.amdhsa_next_free_vgpr 1
		.amdhsa_next_free_sgpr 0
		.amdhsa_accum_offset 4
		.amdhsa_reserve_vcc 0
		.amdhsa_float_round_mode_32 0
		.amdhsa_float_round_mode_16_64 0
		.amdhsa_float_denorm_mode_32 3
		.amdhsa_float_denorm_mode_16_64 3
		.amdhsa_dx10_clamp 1
		.amdhsa_ieee_mode 1
		.amdhsa_fp16_overflow 0
		.amdhsa_tg_split 0
		.amdhsa_exception_fp_ieee_invalid_op 0
		.amdhsa_exception_fp_denorm_src 0
		.amdhsa_exception_fp_ieee_div_zero 0
		.amdhsa_exception_fp_ieee_overflow 0
		.amdhsa_exception_fp_ieee_underflow 0
		.amdhsa_exception_fp_ieee_inexact 0
		.amdhsa_exception_int_div_zero 0
	.end_amdhsa_kernel
	.section	.text._ZN7rocprim17ROCPRIM_400000_NS6detail17trampoline_kernelINS0_14default_configENS1_27scan_by_key_config_selectorIiiEEZZNS1_16scan_by_key_implILNS1_25lookback_scan_determinismE0ELb1ES3_N6thrust23THRUST_200600_302600_NS6detail15normal_iteratorINS9_10device_ptrIiEEEENSB_INSC_IjEEEENSB_INSC_IfEEEEiNS9_4plusIvEENS9_8equal_toIvEEiEE10hipError_tPvRmT2_T3_T4_T5_mT6_T7_P12ihipStream_tbENKUlT_T0_E_clISt17integral_constantIbLb0EES13_EEDaSY_SZ_EUlSY_E_NS1_11comp_targetILNS1_3genE10ELNS1_11target_archE1201ELNS1_3gpuE5ELNS1_3repE0EEENS1_30default_config_static_selectorELNS0_4arch9wavefront6targetE1EEEvT1_,"axG",@progbits,_ZN7rocprim17ROCPRIM_400000_NS6detail17trampoline_kernelINS0_14default_configENS1_27scan_by_key_config_selectorIiiEEZZNS1_16scan_by_key_implILNS1_25lookback_scan_determinismE0ELb1ES3_N6thrust23THRUST_200600_302600_NS6detail15normal_iteratorINS9_10device_ptrIiEEEENSB_INSC_IjEEEENSB_INSC_IfEEEEiNS9_4plusIvEENS9_8equal_toIvEEiEE10hipError_tPvRmT2_T3_T4_T5_mT6_T7_P12ihipStream_tbENKUlT_T0_E_clISt17integral_constantIbLb0EES13_EEDaSY_SZ_EUlSY_E_NS1_11comp_targetILNS1_3genE10ELNS1_11target_archE1201ELNS1_3gpuE5ELNS1_3repE0EEENS1_30default_config_static_selectorELNS0_4arch9wavefront6targetE1EEEvT1_,comdat
.Lfunc_end1717:
	.size	_ZN7rocprim17ROCPRIM_400000_NS6detail17trampoline_kernelINS0_14default_configENS1_27scan_by_key_config_selectorIiiEEZZNS1_16scan_by_key_implILNS1_25lookback_scan_determinismE0ELb1ES3_N6thrust23THRUST_200600_302600_NS6detail15normal_iteratorINS9_10device_ptrIiEEEENSB_INSC_IjEEEENSB_INSC_IfEEEEiNS9_4plusIvEENS9_8equal_toIvEEiEE10hipError_tPvRmT2_T3_T4_T5_mT6_T7_P12ihipStream_tbENKUlT_T0_E_clISt17integral_constantIbLb0EES13_EEDaSY_SZ_EUlSY_E_NS1_11comp_targetILNS1_3genE10ELNS1_11target_archE1201ELNS1_3gpuE5ELNS1_3repE0EEENS1_30default_config_static_selectorELNS0_4arch9wavefront6targetE1EEEvT1_, .Lfunc_end1717-_ZN7rocprim17ROCPRIM_400000_NS6detail17trampoline_kernelINS0_14default_configENS1_27scan_by_key_config_selectorIiiEEZZNS1_16scan_by_key_implILNS1_25lookback_scan_determinismE0ELb1ES3_N6thrust23THRUST_200600_302600_NS6detail15normal_iteratorINS9_10device_ptrIiEEEENSB_INSC_IjEEEENSB_INSC_IfEEEEiNS9_4plusIvEENS9_8equal_toIvEEiEE10hipError_tPvRmT2_T3_T4_T5_mT6_T7_P12ihipStream_tbENKUlT_T0_E_clISt17integral_constantIbLb0EES13_EEDaSY_SZ_EUlSY_E_NS1_11comp_targetILNS1_3genE10ELNS1_11target_archE1201ELNS1_3gpuE5ELNS1_3repE0EEENS1_30default_config_static_selectorELNS0_4arch9wavefront6targetE1EEEvT1_
                                        ; -- End function
	.section	.AMDGPU.csdata,"",@progbits
; Kernel info:
; codeLenInByte = 0
; NumSgprs: 6
; NumVgprs: 0
; NumAgprs: 0
; TotalNumVgprs: 0
; ScratchSize: 0
; MemoryBound: 0
; FloatMode: 240
; IeeeMode: 1
; LDSByteSize: 0 bytes/workgroup (compile time only)
; SGPRBlocks: 0
; VGPRBlocks: 0
; NumSGPRsForWavesPerEU: 6
; NumVGPRsForWavesPerEU: 1
; AccumOffset: 4
; Occupancy: 8
; WaveLimiterHint : 0
; COMPUTE_PGM_RSRC2:SCRATCH_EN: 0
; COMPUTE_PGM_RSRC2:USER_SGPR: 2
; COMPUTE_PGM_RSRC2:TRAP_HANDLER: 0
; COMPUTE_PGM_RSRC2:TGID_X_EN: 1
; COMPUTE_PGM_RSRC2:TGID_Y_EN: 0
; COMPUTE_PGM_RSRC2:TGID_Z_EN: 0
; COMPUTE_PGM_RSRC2:TIDIG_COMP_CNT: 0
; COMPUTE_PGM_RSRC3_GFX90A:ACCUM_OFFSET: 0
; COMPUTE_PGM_RSRC3_GFX90A:TG_SPLIT: 0
	.section	.text._ZN7rocprim17ROCPRIM_400000_NS6detail17trampoline_kernelINS0_14default_configENS1_27scan_by_key_config_selectorIiiEEZZNS1_16scan_by_key_implILNS1_25lookback_scan_determinismE0ELb1ES3_N6thrust23THRUST_200600_302600_NS6detail15normal_iteratorINS9_10device_ptrIiEEEENSB_INSC_IjEEEENSB_INSC_IfEEEEiNS9_4plusIvEENS9_8equal_toIvEEiEE10hipError_tPvRmT2_T3_T4_T5_mT6_T7_P12ihipStream_tbENKUlT_T0_E_clISt17integral_constantIbLb0EES13_EEDaSY_SZ_EUlSY_E_NS1_11comp_targetILNS1_3genE5ELNS1_11target_archE942ELNS1_3gpuE9ELNS1_3repE0EEENS1_30default_config_static_selectorELNS0_4arch9wavefront6targetE1EEEvT1_,"axG",@progbits,_ZN7rocprim17ROCPRIM_400000_NS6detail17trampoline_kernelINS0_14default_configENS1_27scan_by_key_config_selectorIiiEEZZNS1_16scan_by_key_implILNS1_25lookback_scan_determinismE0ELb1ES3_N6thrust23THRUST_200600_302600_NS6detail15normal_iteratorINS9_10device_ptrIiEEEENSB_INSC_IjEEEENSB_INSC_IfEEEEiNS9_4plusIvEENS9_8equal_toIvEEiEE10hipError_tPvRmT2_T3_T4_T5_mT6_T7_P12ihipStream_tbENKUlT_T0_E_clISt17integral_constantIbLb0EES13_EEDaSY_SZ_EUlSY_E_NS1_11comp_targetILNS1_3genE5ELNS1_11target_archE942ELNS1_3gpuE9ELNS1_3repE0EEENS1_30default_config_static_selectorELNS0_4arch9wavefront6targetE1EEEvT1_,comdat
	.protected	_ZN7rocprim17ROCPRIM_400000_NS6detail17trampoline_kernelINS0_14default_configENS1_27scan_by_key_config_selectorIiiEEZZNS1_16scan_by_key_implILNS1_25lookback_scan_determinismE0ELb1ES3_N6thrust23THRUST_200600_302600_NS6detail15normal_iteratorINS9_10device_ptrIiEEEENSB_INSC_IjEEEENSB_INSC_IfEEEEiNS9_4plusIvEENS9_8equal_toIvEEiEE10hipError_tPvRmT2_T3_T4_T5_mT6_T7_P12ihipStream_tbENKUlT_T0_E_clISt17integral_constantIbLb0EES13_EEDaSY_SZ_EUlSY_E_NS1_11comp_targetILNS1_3genE5ELNS1_11target_archE942ELNS1_3gpuE9ELNS1_3repE0EEENS1_30default_config_static_selectorELNS0_4arch9wavefront6targetE1EEEvT1_ ; -- Begin function _ZN7rocprim17ROCPRIM_400000_NS6detail17trampoline_kernelINS0_14default_configENS1_27scan_by_key_config_selectorIiiEEZZNS1_16scan_by_key_implILNS1_25lookback_scan_determinismE0ELb1ES3_N6thrust23THRUST_200600_302600_NS6detail15normal_iteratorINS9_10device_ptrIiEEEENSB_INSC_IjEEEENSB_INSC_IfEEEEiNS9_4plusIvEENS9_8equal_toIvEEiEE10hipError_tPvRmT2_T3_T4_T5_mT6_T7_P12ihipStream_tbENKUlT_T0_E_clISt17integral_constantIbLb0EES13_EEDaSY_SZ_EUlSY_E_NS1_11comp_targetILNS1_3genE5ELNS1_11target_archE942ELNS1_3gpuE9ELNS1_3repE0EEENS1_30default_config_static_selectorELNS0_4arch9wavefront6targetE1EEEvT1_
	.globl	_ZN7rocprim17ROCPRIM_400000_NS6detail17trampoline_kernelINS0_14default_configENS1_27scan_by_key_config_selectorIiiEEZZNS1_16scan_by_key_implILNS1_25lookback_scan_determinismE0ELb1ES3_N6thrust23THRUST_200600_302600_NS6detail15normal_iteratorINS9_10device_ptrIiEEEENSB_INSC_IjEEEENSB_INSC_IfEEEEiNS9_4plusIvEENS9_8equal_toIvEEiEE10hipError_tPvRmT2_T3_T4_T5_mT6_T7_P12ihipStream_tbENKUlT_T0_E_clISt17integral_constantIbLb0EES13_EEDaSY_SZ_EUlSY_E_NS1_11comp_targetILNS1_3genE5ELNS1_11target_archE942ELNS1_3gpuE9ELNS1_3repE0EEENS1_30default_config_static_selectorELNS0_4arch9wavefront6targetE1EEEvT1_
	.p2align	8
	.type	_ZN7rocprim17ROCPRIM_400000_NS6detail17trampoline_kernelINS0_14default_configENS1_27scan_by_key_config_selectorIiiEEZZNS1_16scan_by_key_implILNS1_25lookback_scan_determinismE0ELb1ES3_N6thrust23THRUST_200600_302600_NS6detail15normal_iteratorINS9_10device_ptrIiEEEENSB_INSC_IjEEEENSB_INSC_IfEEEEiNS9_4plusIvEENS9_8equal_toIvEEiEE10hipError_tPvRmT2_T3_T4_T5_mT6_T7_P12ihipStream_tbENKUlT_T0_E_clISt17integral_constantIbLb0EES13_EEDaSY_SZ_EUlSY_E_NS1_11comp_targetILNS1_3genE5ELNS1_11target_archE942ELNS1_3gpuE9ELNS1_3repE0EEENS1_30default_config_static_selectorELNS0_4arch9wavefront6targetE1EEEvT1_,@function
_ZN7rocprim17ROCPRIM_400000_NS6detail17trampoline_kernelINS0_14default_configENS1_27scan_by_key_config_selectorIiiEEZZNS1_16scan_by_key_implILNS1_25lookback_scan_determinismE0ELb1ES3_N6thrust23THRUST_200600_302600_NS6detail15normal_iteratorINS9_10device_ptrIiEEEENSB_INSC_IjEEEENSB_INSC_IfEEEEiNS9_4plusIvEENS9_8equal_toIvEEiEE10hipError_tPvRmT2_T3_T4_T5_mT6_T7_P12ihipStream_tbENKUlT_T0_E_clISt17integral_constantIbLb0EES13_EEDaSY_SZ_EUlSY_E_NS1_11comp_targetILNS1_3genE5ELNS1_11target_archE942ELNS1_3gpuE9ELNS1_3repE0EEENS1_30default_config_static_selectorELNS0_4arch9wavefront6targetE1EEEvT1_: ; @_ZN7rocprim17ROCPRIM_400000_NS6detail17trampoline_kernelINS0_14default_configENS1_27scan_by_key_config_selectorIiiEEZZNS1_16scan_by_key_implILNS1_25lookback_scan_determinismE0ELb1ES3_N6thrust23THRUST_200600_302600_NS6detail15normal_iteratorINS9_10device_ptrIiEEEENSB_INSC_IjEEEENSB_INSC_IfEEEEiNS9_4plusIvEENS9_8equal_toIvEEiEE10hipError_tPvRmT2_T3_T4_T5_mT6_T7_P12ihipStream_tbENKUlT_T0_E_clISt17integral_constantIbLb0EES13_EEDaSY_SZ_EUlSY_E_NS1_11comp_targetILNS1_3genE5ELNS1_11target_archE942ELNS1_3gpuE9ELNS1_3repE0EEENS1_30default_config_static_selectorELNS0_4arch9wavefront6targetE1EEEvT1_
; %bb.0:
	s_load_dwordx8 s[48:55], s[0:1], 0x0
	s_load_dword s76, s[0:1], 0x20
	s_load_dwordx4 s[56:59], s[0:1], 0x28
	s_load_dwordx2 s[68:69], s[0:1], 0x38
	s_load_dword s3, s[0:1], 0x40
	s_load_dwordx4 s[60:63], s[0:1], 0x48
	s_waitcnt lgkmcnt(0)
	s_lshl_b64 s[64:65], s[50:51], 2
	s_add_u32 s4, s48, s64
	s_addc_u32 s5, s49, s65
	s_add_u32 s6, s52, s64
	s_mul_i32 s0, s69, s3
	s_mul_hi_u32 s1, s68, s3
	s_addc_u32 s7, s53, s65
	s_add_i32 s8, s1, s0
	s_mul_i32 s0, s2, 0x1700
	s_mov_b32 s1, 0
	s_lshl_b64 s[66:67], s[0:1], 2
	s_add_u32 s70, s4, s66
	s_addc_u32 s71, s5, s67
	s_add_u32 s52, s6, s66
	s_mul_i32 s3, s68, s3
	s_addc_u32 s53, s7, s67
	s_add_u32 s0, s3, s2
	s_addc_u32 s1, s8, 0
	s_add_u32 s6, s60, -1
	s_addc_u32 s7, s61, -1
	v_mov_b64_e32 v[2:3], s[6:7]
	v_cmp_ge_u64_e64 s[0:1], s[0:1], v[2:3]
	s_mov_b64 s[4:5], -1
	s_and_b64 vcc, exec, s[0:1]
	s_mul_i32 s33, s6, 0xffffe900
	s_barrier
	s_cbranch_vccz .LBB1718_71
; %bb.1:
	v_mov_b64_e32 v[2:3], s[70:71]
	flat_load_dword v1, v[2:3]
	s_add_i32 s3, s33, s58
	v_cmp_gt_u32_e32 vcc, s3, v0
	s_waitcnt vmcnt(0) lgkmcnt(0)
	v_mov_b32_e32 v4, v1
	s_and_saveexec_b64 s[4:5], vcc
	s_cbranch_execz .LBB1718_3
; %bb.2:
	v_lshlrev_b32_e32 v2, 2, v0
	v_mov_b32_e32 v3, 0
	v_lshl_add_u64 v[2:3], s[70:71], 0, v[2:3]
	flat_load_dword v4, v[2:3]
.LBB1718_3:
	s_or_b64 exec, exec, s[4:5]
	v_or_b32_e32 v2, 0x100, v0
	v_cmp_gt_u32_e64 s[48:49], s3, v2
	v_mov_b32_e32 v5, v1
	s_and_saveexec_b64 s[4:5], s[48:49]
	s_cbranch_execz .LBB1718_5
; %bb.4:
	v_lshlrev_b32_e32 v2, 2, v0
	v_mov_b32_e32 v3, 0
	v_lshl_add_u64 v[2:3], s[70:71], 0, v[2:3]
	flat_load_dword v5, v[2:3] offset:1024
.LBB1718_5:
	s_or_b64 exec, exec, s[4:5]
	v_or_b32_e32 v2, 0x200, v0
	v_cmp_gt_u32_e64 s[4:5], s3, v2
	v_mov_b32_e32 v6, v1
	s_and_saveexec_b64 s[6:7], s[4:5]
	s_cbranch_execz .LBB1718_7
; %bb.6:
	v_lshlrev_b32_e32 v2, 2, v0
	v_mov_b32_e32 v3, 0
	v_lshl_add_u64 v[2:3], s[70:71], 0, v[2:3]
	flat_load_dword v6, v[2:3] offset:2048
.LBB1718_7:
	;; [unrolled: 12-line block ×3, first 2 shown]
	s_or_b64 exec, exec, s[8:9]
	v_or_b32_e32 v2, 0x400, v0
	v_cmp_gt_u32_e64 s[8:9], s3, v2
	v_lshlrev_b32_e32 v2, 2, v2
	v_mov_b32_e32 v3, v1
	s_and_saveexec_b64 s[10:11], s[8:9]
	s_cbranch_execz .LBB1718_11
; %bb.10:
	v_mov_b32_e32 v3, 0
	v_lshl_add_u64 v[8:9], s[70:71], 0, v[2:3]
	flat_load_dword v3, v[8:9]
.LBB1718_11:
	s_or_b64 exec, exec, s[10:11]
	v_or_b32_e32 v8, 0x500, v0
	v_cmp_gt_u32_e64 s[10:11], s3, v8
	v_lshlrev_b32_e32 v10, 2, v8
	v_mov_b32_e32 v8, v1
	s_and_saveexec_b64 s[12:13], s[10:11]
	s_cbranch_execz .LBB1718_13
; %bb.12:
	v_mov_b32_e32 v11, 0
	v_lshl_add_u64 v[8:9], s[70:71], 0, v[10:11]
	flat_load_dword v8, v[8:9]
.LBB1718_13:
	;; [unrolled: 12-line block ×18, first 2 shown]
	s_or_b64 exec, exec, s[46:47]
	v_or_b32_e32 v41, 0x1600, v0
	v_cmp_gt_u32_e64 s[46:47], s3, v41
	v_lshlrev_b32_e32 v44, 2, v41
	s_and_saveexec_b64 s[50:51], s[46:47]
	s_cbranch_execz .LBB1718_47
; %bb.46:
	v_mov_b32_e32 v45, 0
	v_lshl_add_u64 v[46:47], s[70:71], 0, v[44:45]
	flat_load_dword v1, v[46:47]
.LBB1718_47:
	s_or_b64 exec, exec, s[50:51]
	v_lshlrev_b32_e32 v46, 2, v0
	s_waitcnt vmcnt(0) lgkmcnt(0)
	ds_write2st64_b32 v46, v4, v5 offset1:4
	ds_write2st64_b32 v46, v6, v7 offset0:8 offset1:12
	ds_write2st64_b32 v46, v3, v8 offset0:16 offset1:20
	;; [unrolled: 1-line block ×10, first 2 shown]
	ds_write_b32 v46, v1 offset:22528
	v_mov_b64_e32 v[4:5], s[70:71]
	s_waitcnt lgkmcnt(0)
	s_barrier
	flat_load_dword v1, v[4:5]
	s_movk_i32 s50, 0x58
	v_mad_u32_u24 v70, v0, s50, v46
	s_movk_i32 s50, 0xffa8
	v_mad_i32_i24 v3, v0, s50, v70
	s_movk_i32 s50, 0xff
	v_cmp_ne_u32_e64 s[50:51], s50, v0
	ds_read_b32 v72, v70
	ds_read2_b32 v[68:69], v70 offset0:1 offset1:2
	ds_read2_b32 v[66:67], v70 offset0:3 offset1:4
	;; [unrolled: 1-line block ×11, first 2 shown]
	s_waitcnt lgkmcnt(0)
	ds_write_b32 v3, v72 offset:24576
	s_waitcnt lgkmcnt(0)
	s_barrier
	s_and_saveexec_b64 s[60:61], s[50:51]
	s_cbranch_execz .LBB1718_49
; %bb.48:
	s_waitcnt vmcnt(0)
	ds_read_b32 v1, v46 offset:24580
.LBB1718_49:
	s_or_b64 exec, exec, s[60:61]
	v_mov_b32_e32 v47, 0
	s_waitcnt lgkmcnt(0)
	s_barrier
	s_waitcnt lgkmcnt(0)
                                        ; implicit-def: $vgpr48
	s_and_saveexec_b64 s[50:51], vcc
	s_cbranch_execz .LBB1718_72
; %bb.50:
	v_lshl_add_u64 v[48:49], s[52:53], 0, v[46:47]
	flat_load_dword v48, v[48:49]
	s_or_b64 exec, exec, s[50:51]
                                        ; implicit-def: $vgpr49
	s_and_saveexec_b64 s[50:51], s[48:49]
	s_cbranch_execnz .LBB1718_73
.LBB1718_51:
	s_or_b64 exec, exec, s[50:51]
                                        ; implicit-def: $vgpr50
	s_and_saveexec_b64 s[48:49], s[4:5]
	s_cbranch_execz .LBB1718_74
.LBB1718_52:
	v_mov_b32_e32 v47, 0
	v_lshl_add_u64 v[50:51], s[52:53], 0, v[46:47]
	flat_load_dword v50, v[50:51] offset:2048
	s_or_b64 exec, exec, s[48:49]
                                        ; implicit-def: $vgpr47
	s_and_saveexec_b64 s[4:5], s[6:7]
	s_cbranch_execnz .LBB1718_75
.LBB1718_53:
	s_or_b64 exec, exec, s[4:5]
                                        ; implicit-def: $vgpr3
	s_and_saveexec_b64 s[4:5], s[8:9]
	s_cbranch_execz .LBB1718_76
.LBB1718_54:
	v_mov_b32_e32 v3, 0
	v_lshl_add_u64 v[2:3], s[52:53], 0, v[2:3]
	flat_load_dword v3, v[2:3]
	s_or_b64 exec, exec, s[4:5]
                                        ; implicit-def: $vgpr2
	s_and_saveexec_b64 s[4:5], s[10:11]
	s_cbranch_execnz .LBB1718_77
.LBB1718_55:
	s_or_b64 exec, exec, s[4:5]
                                        ; implicit-def: $vgpr10
	s_and_saveexec_b64 s[4:5], s[12:13]
	s_cbranch_execz .LBB1718_78
.LBB1718_56:
	v_mov_b32_e32 v13, 0
	v_lshl_add_u64 v[10:11], s[52:53], 0, v[12:13]
	flat_load_dword v10, v[10:11]
	s_or_b64 exec, exec, s[4:5]
                                        ; implicit-def: $vgpr11
	s_and_saveexec_b64 s[4:5], s[14:15]
	s_cbranch_execnz .LBB1718_79
.LBB1718_57:
	s_or_b64 exec, exec, s[4:5]
                                        ; implicit-def: $vgpr12
	s_and_saveexec_b64 s[4:5], s[16:17]
	s_cbranch_execz .LBB1718_80
.LBB1718_58:
	v_mov_b32_e32 v17, 0
	v_lshl_add_u64 v[12:13], s[52:53], 0, v[16:17]
	flat_load_dword v12, v[12:13]
	s_or_b64 exec, exec, s[4:5]
                                        ; implicit-def: $vgpr13
	s_and_saveexec_b64 s[4:5], s[18:19]
	s_cbranch_execnz .LBB1718_81
.LBB1718_59:
	s_or_b64 exec, exec, s[4:5]
                                        ; implicit-def: $vgpr14
	s_and_saveexec_b64 s[4:5], s[20:21]
	s_cbranch_execz .LBB1718_82
.LBB1718_60:
	v_mov_b32_e32 v21, 0
	v_lshl_add_u64 v[14:15], s[52:53], 0, v[20:21]
	flat_load_dword v14, v[14:15]
	s_or_b64 exec, exec, s[4:5]
                                        ; implicit-def: $vgpr15
	s_and_saveexec_b64 s[4:5], s[22:23]
	s_cbranch_execnz .LBB1718_83
.LBB1718_61:
	s_or_b64 exec, exec, s[4:5]
                                        ; implicit-def: $vgpr16
	s_and_saveexec_b64 s[4:5], s[24:25]
	s_cbranch_execz .LBB1718_84
.LBB1718_62:
	v_mov_b32_e32 v25, 0
	v_lshl_add_u64 v[16:17], s[52:53], 0, v[24:25]
	flat_load_dword v16, v[16:17]
	s_or_b64 exec, exec, s[4:5]
                                        ; implicit-def: $vgpr17
	s_and_saveexec_b64 s[4:5], s[26:27]
	s_cbranch_execnz .LBB1718_85
.LBB1718_63:
	s_or_b64 exec, exec, s[4:5]
                                        ; implicit-def: $vgpr18
	s_and_saveexec_b64 s[4:5], s[28:29]
	s_cbranch_execz .LBB1718_86
.LBB1718_64:
	v_mov_b32_e32 v29, 0
	v_lshl_add_u64 v[18:19], s[52:53], 0, v[28:29]
	flat_load_dword v18, v[18:19]
	s_or_b64 exec, exec, s[4:5]
                                        ; implicit-def: $vgpr19
	s_and_saveexec_b64 s[4:5], s[30:31]
	s_cbranch_execnz .LBB1718_87
.LBB1718_65:
	s_or_b64 exec, exec, s[4:5]
                                        ; implicit-def: $vgpr20
	s_and_saveexec_b64 s[4:5], s[34:35]
	s_cbranch_execz .LBB1718_88
.LBB1718_66:
	v_mov_b32_e32 v33, 0
	v_lshl_add_u64 v[20:21], s[52:53], 0, v[32:33]
	flat_load_dword v20, v[20:21]
	s_or_b64 exec, exec, s[4:5]
                                        ; implicit-def: $vgpr21
	s_and_saveexec_b64 s[4:5], s[36:37]
	s_cbranch_execnz .LBB1718_89
.LBB1718_67:
	s_or_b64 exec, exec, s[4:5]
                                        ; implicit-def: $vgpr22
	s_and_saveexec_b64 s[4:5], s[38:39]
	s_cbranch_execz .LBB1718_90
.LBB1718_68:
	v_mov_b32_e32 v37, 0
	v_lshl_add_u64 v[22:23], s[52:53], 0, v[36:37]
	flat_load_dword v22, v[22:23]
	s_or_b64 exec, exec, s[4:5]
                                        ; implicit-def: $vgpr23
	s_and_saveexec_b64 s[4:5], s[40:41]
	s_cbranch_execnz .LBB1718_91
.LBB1718_69:
	s_or_b64 exec, exec, s[4:5]
                                        ; implicit-def: $vgpr24
	s_and_saveexec_b64 s[4:5], s[42:43]
	s_cbranch_execz .LBB1718_92
.LBB1718_70:
	v_mov_b32_e32 v41, 0
	v_lshl_add_u64 v[24:25], s[52:53], 0, v[40:41]
	flat_load_dword v24, v[24:25]
	s_or_b64 exec, exec, s[4:5]
                                        ; implicit-def: $vgpr25
	s_and_saveexec_b64 s[4:5], s[44:45]
	s_cbranch_execz .LBB1718_94
	s_branch .LBB1718_93
.LBB1718_71:
	s_mov_b64 s[10:11], 0
                                        ; implicit-def: $sgpr8_sgpr9
                                        ; implicit-def: $vgpr2
                                        ; implicit-def: $vgpr10_vgpr11
                                        ; implicit-def: $vgpr12_vgpr13
                                        ; implicit-def: $vgpr14_vgpr15
                                        ; implicit-def: $vgpr16_vgpr17
                                        ; implicit-def: $vgpr18_vgpr19
                                        ; implicit-def: $vgpr20_vgpr21
                                        ; implicit-def: $vgpr22_vgpr23
                                        ; implicit-def: $vgpr24_vgpr25
                                        ; implicit-def: $vgpr26_vgpr27
                                        ; implicit-def: $vgpr28_vgpr29
                                        ; implicit-def: $vgpr30_vgpr31
                                        ; implicit-def: $vgpr32_vgpr33
                                        ; implicit-def: $vgpr34_vgpr35
                                        ; implicit-def: $vgpr36_vgpr37
                                        ; implicit-def: $vgpr38_vgpr39
                                        ; implicit-def: $vgpr40_vgpr41
                                        ; implicit-def: $vgpr42_vgpr43
                                        ; implicit-def: $vgpr44_vgpr45
                                        ; implicit-def: $vgpr46_vgpr47
                                        ; implicit-def: $vgpr48_vgpr49
                                        ; implicit-def: $vgpr50_vgpr51
                                        ; implicit-def: $vgpr52_vgpr53
                                        ; implicit-def: $sgpr6_sgpr7
	s_and_b64 vcc, exec, s[4:5]
	v_lshlrev_b32_e32 v54, 2, v0
	s_cbranch_vccz .LBB1718_148
	s_branch .LBB1718_143
.LBB1718_72:
	s_or_b64 exec, exec, s[50:51]
                                        ; implicit-def: $vgpr49
	s_and_saveexec_b64 s[50:51], s[48:49]
	s_cbranch_execz .LBB1718_51
.LBB1718_73:
	v_mov_b32_e32 v47, 0
	v_lshl_add_u64 v[50:51], s[52:53], 0, v[46:47]
	flat_load_dword v49, v[50:51] offset:1024
	s_or_b64 exec, exec, s[50:51]
                                        ; implicit-def: $vgpr50
	s_and_saveexec_b64 s[48:49], s[4:5]
	s_cbranch_execnz .LBB1718_52
.LBB1718_74:
	s_or_b64 exec, exec, s[48:49]
                                        ; implicit-def: $vgpr47
	s_and_saveexec_b64 s[4:5], s[6:7]
	s_cbranch_execz .LBB1718_53
.LBB1718_75:
	v_mov_b32_e32 v47, 0
	v_lshl_add_u64 v[52:53], s[52:53], 0, v[46:47]
	flat_load_dword v47, v[52:53] offset:3072
	s_or_b64 exec, exec, s[4:5]
                                        ; implicit-def: $vgpr3
	s_and_saveexec_b64 s[4:5], s[8:9]
	s_cbranch_execnz .LBB1718_54
.LBB1718_76:
	s_or_b64 exec, exec, s[4:5]
                                        ; implicit-def: $vgpr2
	s_and_saveexec_b64 s[4:5], s[10:11]
	s_cbranch_execz .LBB1718_55
.LBB1718_77:
	v_mov_b32_e32 v11, 0
	v_lshl_add_u64 v[10:11], s[52:53], 0, v[10:11]
	flat_load_dword v2, v[10:11]
	s_or_b64 exec, exec, s[4:5]
                                        ; implicit-def: $vgpr10
	s_and_saveexec_b64 s[4:5], s[12:13]
	s_cbranch_execnz .LBB1718_56
.LBB1718_78:
	s_or_b64 exec, exec, s[4:5]
                                        ; implicit-def: $vgpr11
	s_and_saveexec_b64 s[4:5], s[14:15]
	s_cbranch_execz .LBB1718_57
.LBB1718_79:
	v_mov_b32_e32 v15, 0
	v_lshl_add_u64 v[12:13], s[52:53], 0, v[14:15]
	flat_load_dword v11, v[12:13]
	s_or_b64 exec, exec, s[4:5]
                                        ; implicit-def: $vgpr12
	s_and_saveexec_b64 s[4:5], s[16:17]
	s_cbranch_execnz .LBB1718_58
.LBB1718_80:
	s_or_b64 exec, exec, s[4:5]
                                        ; implicit-def: $vgpr13
	s_and_saveexec_b64 s[4:5], s[18:19]
	s_cbranch_execz .LBB1718_59
.LBB1718_81:
	v_mov_b32_e32 v19, 0
	v_lshl_add_u64 v[14:15], s[52:53], 0, v[18:19]
	flat_load_dword v13, v[14:15]
	s_or_b64 exec, exec, s[4:5]
                                        ; implicit-def: $vgpr14
	s_and_saveexec_b64 s[4:5], s[20:21]
	s_cbranch_execnz .LBB1718_60
.LBB1718_82:
	s_or_b64 exec, exec, s[4:5]
                                        ; implicit-def: $vgpr15
	s_and_saveexec_b64 s[4:5], s[22:23]
	s_cbranch_execz .LBB1718_61
.LBB1718_83:
	v_mov_b32_e32 v23, 0
	v_lshl_add_u64 v[16:17], s[52:53], 0, v[22:23]
	flat_load_dword v15, v[16:17]
	s_or_b64 exec, exec, s[4:5]
                                        ; implicit-def: $vgpr16
	s_and_saveexec_b64 s[4:5], s[24:25]
	s_cbranch_execnz .LBB1718_62
.LBB1718_84:
	s_or_b64 exec, exec, s[4:5]
                                        ; implicit-def: $vgpr17
	s_and_saveexec_b64 s[4:5], s[26:27]
	s_cbranch_execz .LBB1718_63
.LBB1718_85:
	v_mov_b32_e32 v27, 0
	v_lshl_add_u64 v[18:19], s[52:53], 0, v[26:27]
	flat_load_dword v17, v[18:19]
	s_or_b64 exec, exec, s[4:5]
                                        ; implicit-def: $vgpr18
	s_and_saveexec_b64 s[4:5], s[28:29]
	s_cbranch_execnz .LBB1718_64
.LBB1718_86:
	s_or_b64 exec, exec, s[4:5]
                                        ; implicit-def: $vgpr19
	s_and_saveexec_b64 s[4:5], s[30:31]
	s_cbranch_execz .LBB1718_65
.LBB1718_87:
	v_mov_b32_e32 v31, 0
	v_lshl_add_u64 v[20:21], s[52:53], 0, v[30:31]
	flat_load_dword v19, v[20:21]
	s_or_b64 exec, exec, s[4:5]
                                        ; implicit-def: $vgpr20
	s_and_saveexec_b64 s[4:5], s[34:35]
	s_cbranch_execnz .LBB1718_66
.LBB1718_88:
	s_or_b64 exec, exec, s[4:5]
                                        ; implicit-def: $vgpr21
	s_and_saveexec_b64 s[4:5], s[36:37]
	s_cbranch_execz .LBB1718_67
.LBB1718_89:
	v_mov_b32_e32 v35, 0
	v_lshl_add_u64 v[22:23], s[52:53], 0, v[34:35]
	flat_load_dword v21, v[22:23]
	s_or_b64 exec, exec, s[4:5]
                                        ; implicit-def: $vgpr22
	s_and_saveexec_b64 s[4:5], s[38:39]
	s_cbranch_execnz .LBB1718_68
.LBB1718_90:
	s_or_b64 exec, exec, s[4:5]
                                        ; implicit-def: $vgpr23
	s_and_saveexec_b64 s[4:5], s[40:41]
	s_cbranch_execz .LBB1718_69
.LBB1718_91:
	v_mov_b32_e32 v39, 0
	v_lshl_add_u64 v[24:25], s[52:53], 0, v[38:39]
	flat_load_dword v23, v[24:25]
	s_or_b64 exec, exec, s[4:5]
                                        ; implicit-def: $vgpr24
	s_and_saveexec_b64 s[4:5], s[42:43]
	s_cbranch_execnz .LBB1718_70
.LBB1718_92:
	s_or_b64 exec, exec, s[4:5]
                                        ; implicit-def: $vgpr25
	s_and_saveexec_b64 s[4:5], s[44:45]
	s_cbranch_execz .LBB1718_94
.LBB1718_93:
	v_mov_b32_e32 v43, 0
	v_lshl_add_u64 v[26:27], s[52:53], 0, v[42:43]
	flat_load_dword v25, v[26:27]
.LBB1718_94:
	s_or_b64 exec, exec, s[4:5]
	v_mul_u32_u24_e32 v71, 23, v0
                                        ; implicit-def: $vgpr26
	s_and_saveexec_b64 s[4:5], s[46:47]
	s_cbranch_execz .LBB1718_96
; %bb.95:
	v_mov_b32_e32 v45, 0
	v_lshl_add_u64 v[26:27], s[52:53], 0, v[44:45]
	flat_load_dword v26, v[26:27]
.LBB1718_96:
	s_or_b64 exec, exec, s[4:5]
	s_waitcnt vmcnt(0) lgkmcnt(0)
	ds_write2st64_b32 v46, v48, v49 offset1:4
	ds_write2st64_b32 v46, v50, v47 offset0:8 offset1:12
	ds_write2st64_b32 v46, v3, v2 offset0:16 offset1:20
	;; [unrolled: 1-line block ×10, first 2 shown]
	ds_write_b32 v46, v26 offset:22528
	v_mov_b64_e32 v[10:11], 0
	v_cmp_gt_u32_e32 vcc, s3, v71
	s_mov_b64 s[10:11], 0
	s_mov_b64 s[4:5], 0
	v_mov_b64_e32 v[12:13], v[10:11]
	v_mov_b64_e32 v[14:15], v[10:11]
	;; [unrolled: 1-line block ×21, first 2 shown]
	s_waitcnt lgkmcnt(0)
	s_barrier
	s_waitcnt lgkmcnt(0)
                                        ; implicit-def: $sgpr8_sgpr9
                                        ; implicit-def: $vgpr2
	s_and_saveexec_b64 s[6:7], vcc
	s_cbranch_execz .LBB1718_142
; %bb.97:
	ds_read_b32 v2, v70
	v_mov_b32_e32 v10, s76
	v_cmp_eq_u32_e32 vcc, v72, v68
	v_add_u32_e32 v3, 1, v71
	v_mov_b64_e32 v[12:13], 0
	s_waitcnt lgkmcnt(0)
	v_cndmask_b32_e32 v10, v10, v2, vcc
	v_cmp_ne_u32_e32 vcc, v72, v68
	s_mov_b64 s[12:13], 0
	v_mov_b64_e32 v[14:15], v[12:13]
	v_cndmask_b32_e64 v11, 0, 1, vcc
	v_cmp_gt_u32_e32 vcc, s3, v3
	v_mov_b64_e32 v[16:17], v[12:13]
	v_mov_b64_e32 v[18:19], v[12:13]
	;; [unrolled: 1-line block ×19, first 2 shown]
                                        ; implicit-def: $sgpr14_sgpr15
                                        ; implicit-def: $vgpr2
	s_and_saveexec_b64 s[8:9], vcc
	s_cbranch_execz .LBB1718_141
; %bb.98:
	ds_read2_b32 v[2:3], v70 offset0:1 offset1:2
	v_mov_b32_e32 v12, s76
	v_cmp_eq_u32_e32 vcc, v68, v69
	v_add_u32_e32 v14, 2, v71
	s_mov_b64 s[14:15], 0
	s_waitcnt lgkmcnt(0)
	v_cndmask_b32_e32 v12, v12, v2, vcc
	v_cmp_ne_u32_e32 vcc, v68, v69
                                        ; implicit-def: $sgpr16_sgpr17
                                        ; implicit-def: $vgpr2
	s_nop 1
	v_cndmask_b32_e64 v13, 0, 1, vcc
	v_cmp_gt_u32_e32 vcc, s3, v14
	v_mov_b64_e32 v[14:15], 0
	v_mov_b64_e32 v[16:17], v[14:15]
	;; [unrolled: 1-line block ×20, first 2 shown]
	s_and_saveexec_b64 s[10:11], vcc
	s_cbranch_execz .LBB1718_140
; %bb.99:
	v_mov_b32_e32 v14, s76
	v_cmp_eq_u32_e32 vcc, v69, v66
	v_add_u32_e32 v2, 3, v71
	v_mov_b64_e32 v[16:17], 0
	v_cndmask_b32_e32 v14, v14, v3, vcc
	v_cmp_ne_u32_e32 vcc, v69, v66
	s_mov_b64 s[16:17], 0
	v_mov_b64_e32 v[18:19], v[16:17]
	v_cndmask_b32_e64 v15, 0, 1, vcc
	v_cmp_gt_u32_e32 vcc, s3, v2
	v_mov_b64_e32 v[20:21], v[16:17]
	v_mov_b64_e32 v[22:23], v[16:17]
	;; [unrolled: 1-line block ×17, first 2 shown]
                                        ; implicit-def: $sgpr18_sgpr19
                                        ; implicit-def: $vgpr2
	s_and_saveexec_b64 s[12:13], vcc
	s_cbranch_execz .LBB1718_139
; %bb.100:
	ds_read2_b32 v[2:3], v70 offset0:3 offset1:4
	v_mov_b32_e32 v16, s76
	v_cmp_eq_u32_e32 vcc, v66, v67
	v_add_u32_e32 v18, 4, v71
	s_mov_b64 s[18:19], 0
	s_waitcnt lgkmcnt(0)
	v_cndmask_b32_e32 v16, v16, v2, vcc
	v_cmp_ne_u32_e32 vcc, v66, v67
                                        ; implicit-def: $sgpr20_sgpr21
                                        ; implicit-def: $vgpr2
	s_nop 1
	v_cndmask_b32_e64 v17, 0, 1, vcc
	v_cmp_gt_u32_e32 vcc, s3, v18
	v_mov_b64_e32 v[18:19], 0
	v_mov_b64_e32 v[20:21], v[18:19]
	;; [unrolled: 1-line block ×18, first 2 shown]
	s_and_saveexec_b64 s[14:15], vcc
	s_cbranch_execz .LBB1718_138
; %bb.101:
	v_mov_b32_e32 v18, s76
	v_cmp_eq_u32_e32 vcc, v67, v64
	v_add_u32_e32 v2, 5, v71
	v_mov_b64_e32 v[20:21], 0
	v_cndmask_b32_e32 v18, v18, v3, vcc
	v_cmp_ne_u32_e32 vcc, v67, v64
	s_mov_b64 s[20:21], 0
	v_mov_b64_e32 v[22:23], v[20:21]
	v_cndmask_b32_e64 v19, 0, 1, vcc
	v_cmp_gt_u32_e32 vcc, s3, v2
	v_mov_b64_e32 v[24:25], v[20:21]
	v_mov_b64_e32 v[26:27], v[20:21]
	;; [unrolled: 1-line block ×15, first 2 shown]
                                        ; implicit-def: $sgpr22_sgpr23
                                        ; implicit-def: $vgpr2
	s_and_saveexec_b64 s[16:17], vcc
	s_cbranch_execz .LBB1718_137
; %bb.102:
	ds_read2_b32 v[2:3], v70 offset0:5 offset1:6
	v_mov_b32_e32 v20, s76
	v_cmp_eq_u32_e32 vcc, v64, v65
	v_add_u32_e32 v22, 6, v71
	s_mov_b64 s[22:23], 0
	s_waitcnt lgkmcnt(0)
	v_cndmask_b32_e32 v20, v20, v2, vcc
	v_cmp_ne_u32_e32 vcc, v64, v65
                                        ; implicit-def: $sgpr24_sgpr25
                                        ; implicit-def: $vgpr2
	s_nop 1
	v_cndmask_b32_e64 v21, 0, 1, vcc
	v_cmp_gt_u32_e32 vcc, s3, v22
	v_mov_b64_e32 v[22:23], 0
	v_mov_b64_e32 v[24:25], v[22:23]
	;; [unrolled: 1-line block ×16, first 2 shown]
	s_and_saveexec_b64 s[18:19], vcc
	s_cbranch_execz .LBB1718_136
; %bb.103:
	v_mov_b32_e32 v22, s76
	v_cmp_eq_u32_e32 vcc, v65, v62
	v_add_u32_e32 v2, 7, v71
	v_mov_b64_e32 v[24:25], 0
	v_cndmask_b32_e32 v22, v22, v3, vcc
	v_cmp_ne_u32_e32 vcc, v65, v62
	s_mov_b64 s[24:25], 0
	v_mov_b64_e32 v[26:27], v[24:25]
	v_cndmask_b32_e64 v23, 0, 1, vcc
	v_cmp_gt_u32_e32 vcc, s3, v2
	v_mov_b64_e32 v[28:29], v[24:25]
	v_mov_b64_e32 v[30:31], v[24:25]
	;; [unrolled: 1-line block ×13, first 2 shown]
                                        ; implicit-def: $sgpr26_sgpr27
                                        ; implicit-def: $vgpr2
	s_and_saveexec_b64 s[20:21], vcc
	s_cbranch_execz .LBB1718_135
; %bb.104:
	ds_read2_b32 v[2:3], v70 offset0:7 offset1:8
	v_mov_b32_e32 v24, s76
	v_cmp_eq_u32_e32 vcc, v62, v63
	v_add_u32_e32 v26, 8, v71
	s_mov_b64 s[26:27], 0
	s_waitcnt lgkmcnt(0)
	v_cndmask_b32_e32 v24, v24, v2, vcc
	v_cmp_ne_u32_e32 vcc, v62, v63
                                        ; implicit-def: $sgpr28_sgpr29
                                        ; implicit-def: $vgpr2
	s_nop 1
	v_cndmask_b32_e64 v25, 0, 1, vcc
	v_cmp_gt_u32_e32 vcc, s3, v26
	v_mov_b64_e32 v[26:27], 0
	v_mov_b64_e32 v[28:29], v[26:27]
	;; [unrolled: 1-line block ×14, first 2 shown]
	s_and_saveexec_b64 s[22:23], vcc
	s_cbranch_execz .LBB1718_134
; %bb.105:
	v_mov_b32_e32 v26, s76
	v_cmp_eq_u32_e32 vcc, v63, v60
	v_add_u32_e32 v2, 9, v71
	v_mov_b64_e32 v[28:29], 0
	v_cndmask_b32_e32 v26, v26, v3, vcc
	v_cmp_ne_u32_e32 vcc, v63, v60
	s_mov_b64 s[28:29], 0
	v_mov_b64_e32 v[30:31], v[28:29]
	v_cndmask_b32_e64 v27, 0, 1, vcc
	v_cmp_gt_u32_e32 vcc, s3, v2
	v_mov_b64_e32 v[32:33], v[28:29]
	v_mov_b64_e32 v[34:35], v[28:29]
	;; [unrolled: 1-line block ×11, first 2 shown]
                                        ; implicit-def: $sgpr30_sgpr31
                                        ; implicit-def: $vgpr2
	s_and_saveexec_b64 s[24:25], vcc
	s_cbranch_execz .LBB1718_133
; %bb.106:
	ds_read2_b32 v[2:3], v70 offset0:9 offset1:10
	v_mov_b32_e32 v28, s76
	v_cmp_eq_u32_e32 vcc, v60, v61
	v_add_u32_e32 v30, 10, v71
	s_mov_b64 s[30:31], 0
	s_waitcnt lgkmcnt(0)
	v_cndmask_b32_e32 v28, v28, v2, vcc
	v_cmp_ne_u32_e32 vcc, v60, v61
                                        ; implicit-def: $sgpr34_sgpr35
                                        ; implicit-def: $vgpr2
	s_nop 1
	v_cndmask_b32_e64 v29, 0, 1, vcc
	v_cmp_gt_u32_e32 vcc, s3, v30
	v_mov_b64_e32 v[30:31], 0
	v_mov_b64_e32 v[32:33], v[30:31]
	;; [unrolled: 1-line block ×12, first 2 shown]
	s_and_saveexec_b64 s[26:27], vcc
	s_cbranch_execz .LBB1718_132
; %bb.107:
	v_mov_b32_e32 v30, s76
	v_cmp_eq_u32_e32 vcc, v61, v58
	v_add_u32_e32 v2, 11, v71
	v_mov_b64_e32 v[32:33], 0
	v_cndmask_b32_e32 v30, v30, v3, vcc
	v_cmp_ne_u32_e32 vcc, v61, v58
	s_mov_b64 s[34:35], 0
	v_mov_b64_e32 v[34:35], v[32:33]
	v_cndmask_b32_e64 v31, 0, 1, vcc
	v_cmp_gt_u32_e32 vcc, s3, v2
	v_mov_b64_e32 v[36:37], v[32:33]
	v_mov_b64_e32 v[38:39], v[32:33]
	;; [unrolled: 1-line block ×9, first 2 shown]
                                        ; implicit-def: $sgpr36_sgpr37
                                        ; implicit-def: $vgpr2
	s_and_saveexec_b64 s[28:29], vcc
	s_cbranch_execz .LBB1718_131
; %bb.108:
	ds_read2_b32 v[2:3], v70 offset0:11 offset1:12
	v_mov_b32_e32 v32, s76
	v_cmp_eq_u32_e32 vcc, v58, v59
	v_add_u32_e32 v34, 12, v71
	s_mov_b64 s[36:37], 0
	s_waitcnt lgkmcnt(0)
	v_cndmask_b32_e32 v32, v32, v2, vcc
	v_cmp_ne_u32_e32 vcc, v58, v59
                                        ; implicit-def: $sgpr38_sgpr39
                                        ; implicit-def: $vgpr2
	s_nop 1
	v_cndmask_b32_e64 v33, 0, 1, vcc
	v_cmp_gt_u32_e32 vcc, s3, v34
	v_mov_b64_e32 v[34:35], 0
	v_mov_b64_e32 v[36:37], v[34:35]
	;; [unrolled: 1-line block ×10, first 2 shown]
	s_and_saveexec_b64 s[30:31], vcc
	s_cbranch_execz .LBB1718_130
; %bb.109:
	v_mov_b32_e32 v34, s76
	v_cmp_eq_u32_e32 vcc, v59, v56
	v_add_u32_e32 v2, 13, v71
	v_mov_b64_e32 v[36:37], 0
	v_cndmask_b32_e32 v34, v34, v3, vcc
	v_cmp_ne_u32_e32 vcc, v59, v56
	s_mov_b64 s[38:39], 0
	v_mov_b64_e32 v[38:39], v[36:37]
	v_cndmask_b32_e64 v35, 0, 1, vcc
	v_cmp_gt_u32_e32 vcc, s3, v2
	v_mov_b64_e32 v[40:41], v[36:37]
	v_mov_b64_e32 v[42:43], v[36:37]
	;; [unrolled: 1-line block ×7, first 2 shown]
                                        ; implicit-def: $sgpr40_sgpr41
                                        ; implicit-def: $vgpr2
	s_and_saveexec_b64 s[34:35], vcc
	s_cbranch_execz .LBB1718_129
; %bb.110:
	ds_read2_b32 v[2:3], v70 offset0:13 offset1:14
	v_mov_b32_e32 v36, s76
	v_cmp_eq_u32_e32 vcc, v56, v57
	v_add_u32_e32 v38, 14, v71
	s_mov_b64 s[40:41], 0
	s_waitcnt lgkmcnt(0)
	v_cndmask_b32_e32 v36, v36, v2, vcc
	v_cmp_ne_u32_e32 vcc, v56, v57
                                        ; implicit-def: $sgpr42_sgpr43
                                        ; implicit-def: $vgpr2
	s_nop 1
	v_cndmask_b32_e64 v37, 0, 1, vcc
	v_cmp_gt_u32_e32 vcc, s3, v38
	v_mov_b64_e32 v[38:39], 0
	v_mov_b64_e32 v[40:41], v[38:39]
	;; [unrolled: 1-line block ×8, first 2 shown]
	s_and_saveexec_b64 s[36:37], vcc
	s_cbranch_execz .LBB1718_128
; %bb.111:
	v_mov_b32_e32 v38, s76
	v_cmp_eq_u32_e32 vcc, v57, v54
	v_add_u32_e32 v2, 15, v71
	v_mov_b64_e32 v[40:41], 0
	v_cndmask_b32_e32 v38, v38, v3, vcc
	v_cmp_ne_u32_e32 vcc, v57, v54
	s_mov_b64 s[42:43], 0
	v_mov_b64_e32 v[42:43], v[40:41]
	v_cndmask_b32_e64 v39, 0, 1, vcc
	v_cmp_gt_u32_e32 vcc, s3, v2
	v_mov_b64_e32 v[44:45], v[40:41]
	v_mov_b64_e32 v[46:47], v[40:41]
	;; [unrolled: 1-line block ×5, first 2 shown]
                                        ; implicit-def: $sgpr44_sgpr45
                                        ; implicit-def: $vgpr2
	s_and_saveexec_b64 s[38:39], vcc
	s_cbranch_execz .LBB1718_127
; %bb.112:
	ds_read2_b32 v[2:3], v70 offset0:15 offset1:16
	v_mov_b32_e32 v40, s76
	v_cmp_eq_u32_e32 vcc, v54, v55
	v_add_u32_e32 v42, 16, v71
	s_mov_b64 s[44:45], 0
	s_waitcnt lgkmcnt(0)
	v_cndmask_b32_e32 v40, v40, v2, vcc
	v_cmp_ne_u32_e32 vcc, v54, v55
                                        ; implicit-def: $sgpr46_sgpr47
                                        ; implicit-def: $vgpr2
	s_nop 1
	v_cndmask_b32_e64 v41, 0, 1, vcc
	v_cmp_gt_u32_e32 vcc, s3, v42
	v_mov_b64_e32 v[42:43], 0
	v_mov_b64_e32 v[44:45], v[42:43]
	v_mov_b64_e32 v[46:47], v[42:43]
	v_mov_b64_e32 v[48:49], v[42:43]
	v_mov_b64_e32 v[50:51], v[42:43]
	v_mov_b64_e32 v[52:53], v[42:43]
	s_and_saveexec_b64 s[40:41], vcc
	s_cbranch_execz .LBB1718_126
; %bb.113:
	v_mov_b32_e32 v42, s76
	v_cmp_eq_u32_e32 vcc, v55, v8
	v_add_u32_e32 v2, 17, v71
	v_mov_b64_e32 v[44:45], 0
	v_cndmask_b32_e32 v42, v42, v3, vcc
	v_cmp_ne_u32_e32 vcc, v55, v8
	s_mov_b64 s[46:47], 0
	v_mov_b64_e32 v[46:47], v[44:45]
	v_cndmask_b32_e64 v43, 0, 1, vcc
	v_cmp_gt_u32_e32 vcc, s3, v2
	v_mov_b64_e32 v[48:49], v[44:45]
	v_mov_b64_e32 v[50:51], v[44:45]
	;; [unrolled: 1-line block ×3, first 2 shown]
                                        ; implicit-def: $sgpr48_sgpr49
                                        ; implicit-def: $vgpr2
	s_and_saveexec_b64 s[42:43], vcc
	s_cbranch_execz .LBB1718_125
; %bb.114:
	ds_read2_b32 v[2:3], v70 offset0:17 offset1:18
	v_mov_b32_e32 v44, s76
	v_cmp_eq_u32_e32 vcc, v8, v9
	v_add_u32_e32 v46, 18, v71
	s_mov_b64 s[48:49], 0
	s_waitcnt lgkmcnt(0)
	v_cndmask_b32_e32 v44, v44, v2, vcc
	v_cmp_ne_u32_e32 vcc, v8, v9
                                        ; implicit-def: $sgpr50_sgpr51
                                        ; implicit-def: $vgpr2
	s_nop 1
	v_cndmask_b32_e64 v45, 0, 1, vcc
	v_cmp_gt_u32_e32 vcc, s3, v46
	v_mov_b64_e32 v[46:47], 0
	v_mov_b64_e32 v[48:49], v[46:47]
	;; [unrolled: 1-line block ×4, first 2 shown]
	s_and_saveexec_b64 s[44:45], vcc
	s_cbranch_execz .LBB1718_124
; %bb.115:
	v_mov_b32_e32 v8, s76
	v_cmp_eq_u32_e32 vcc, v9, v6
	v_add_u32_e32 v2, 19, v71
	v_mov_b64_e32 v[48:49], 0
	v_cndmask_b32_e32 v46, v8, v3, vcc
	v_cmp_ne_u32_e32 vcc, v9, v6
	s_mov_b64 s[50:51], 0
	v_mov_b64_e32 v[50:51], v[48:49]
	v_cndmask_b32_e64 v47, 0, 1, vcc
	v_cmp_gt_u32_e32 vcc, s3, v2
	v_mov_b64_e32 v[52:53], v[48:49]
                                        ; implicit-def: $sgpr60_sgpr61
                                        ; implicit-def: $vgpr2
	s_and_saveexec_b64 s[46:47], vcc
	s_cbranch_execz .LBB1718_123
; %bb.116:
	ds_read2_b32 v[2:3], v70 offset0:19 offset1:20
	v_mov_b32_e32 v9, s76
	v_cmp_eq_u32_e32 vcc, v6, v7
	v_add_u32_e32 v8, 20, v71
	v_mov_b64_e32 v[50:51], 0
	s_waitcnt lgkmcnt(0)
	v_cndmask_b32_e32 v48, v9, v2, vcc
	v_cmp_ne_u32_e32 vcc, v6, v7
	s_mov_b64 s[60:61], 0
	v_mov_b64_e32 v[52:53], v[50:51]
	v_cndmask_b32_e64 v49, 0, 1, vcc
	v_cmp_gt_u32_e32 vcc, s3, v8
                                        ; implicit-def: $sgpr72_sgpr73
                                        ; implicit-def: $vgpr2
	s_and_saveexec_b64 s[48:49], vcc
	s_cbranch_execz .LBB1718_122
; %bb.117:
	v_mov_b32_e32 v6, s76
	v_cmp_eq_u32_e32 vcc, v7, v4
	v_add_u32_e32 v2, 21, v71
	v_mov_b64_e32 v[52:53], 0
	v_cndmask_b32_e32 v50, v6, v3, vcc
	v_cmp_ne_u32_e32 vcc, v7, v4
                                        ; implicit-def: $sgpr72_sgpr73
	s_nop 1
	v_cndmask_b32_e64 v51, 0, 1, vcc
	v_cmp_gt_u32_e32 vcc, s3, v2
                                        ; implicit-def: $vgpr2
	s_and_saveexec_b64 s[50:51], vcc
	s_cbranch_execz .LBB1718_121
; %bb.118:
	ds_read2_b32 v[2:3], v70 offset0:21 offset1:22
	v_mov_b32_e32 v7, s76
	v_cmp_eq_u32_e32 vcc, v4, v5
	v_add_u32_e32 v6, 22, v71
                                        ; implicit-def: $sgpr72_sgpr73
	s_waitcnt lgkmcnt(0)
	v_cndmask_b32_e32 v52, v7, v2, vcc
	v_cmp_ne_u32_e32 vcc, v4, v5
                                        ; implicit-def: $vgpr2
	s_nop 1
	v_cndmask_b32_e64 v53, 0, 1, vcc
	v_cmp_gt_u32_e32 vcc, s3, v6
	s_and_saveexec_b64 s[74:75], vcc
	s_xor_b64 s[74:75], exec, s[74:75]
; %bb.119:
	v_mov_b32_e32 v2, s76
	v_cmp_ne_u32_e32 vcc, v5, v1
	s_mov_b64 s[60:61], exec
	s_and_b64 s[72:73], vcc, exec
	v_cndmask_b32_e32 v2, v3, v2, vcc
; %bb.120:
	s_or_b64 exec, exec, s[74:75]
	s_and_b64 s[72:73], s[72:73], exec
	s_and_b64 s[60:61], s[60:61], exec
.LBB1718_121:
	s_or_b64 exec, exec, s[50:51]
	s_and_b64 s[72:73], s[72:73], exec
	s_and_b64 s[50:51], s[60:61], exec
.LBB1718_122:
	s_or_b64 exec, exec, s[48:49]
	s_and_b64 s[60:61], s[72:73], exec
	s_and_b64 s[48:49], s[50:51], exec
.LBB1718_123:
	s_or_b64 exec, exec, s[46:47]
	s_and_b64 s[50:51], s[60:61], exec
	s_and_b64 s[46:47], s[48:49], exec
.LBB1718_124:
	s_or_b64 exec, exec, s[44:45]
	s_and_b64 s[48:49], s[50:51], exec
	s_and_b64 s[44:45], s[46:47], exec
.LBB1718_125:
	s_or_b64 exec, exec, s[42:43]
	s_and_b64 s[46:47], s[48:49], exec
	s_and_b64 s[42:43], s[44:45], exec
.LBB1718_126:
	s_or_b64 exec, exec, s[40:41]
	s_and_b64 s[44:45], s[46:47], exec
	s_and_b64 s[40:41], s[42:43], exec
.LBB1718_127:
	s_or_b64 exec, exec, s[38:39]
	s_and_b64 s[42:43], s[44:45], exec
	s_and_b64 s[38:39], s[40:41], exec
.LBB1718_128:
	s_or_b64 exec, exec, s[36:37]
	s_and_b64 s[40:41], s[42:43], exec
	s_and_b64 s[36:37], s[38:39], exec
.LBB1718_129:
	s_or_b64 exec, exec, s[34:35]
	s_and_b64 s[38:39], s[40:41], exec
	s_and_b64 s[34:35], s[36:37], exec
.LBB1718_130:
	s_or_b64 exec, exec, s[30:31]
	s_and_b64 s[36:37], s[38:39], exec
	s_and_b64 s[30:31], s[34:35], exec
.LBB1718_131:
	s_or_b64 exec, exec, s[28:29]
	s_and_b64 s[34:35], s[36:37], exec
	s_and_b64 s[28:29], s[30:31], exec
.LBB1718_132:
	s_or_b64 exec, exec, s[26:27]
	s_and_b64 s[30:31], s[34:35], exec
	s_and_b64 s[26:27], s[28:29], exec
.LBB1718_133:
	s_or_b64 exec, exec, s[24:25]
	s_and_b64 s[28:29], s[30:31], exec
	s_and_b64 s[24:25], s[26:27], exec
.LBB1718_134:
	s_or_b64 exec, exec, s[22:23]
	s_and_b64 s[26:27], s[28:29], exec
	s_and_b64 s[22:23], s[24:25], exec
.LBB1718_135:
	s_or_b64 exec, exec, s[20:21]
	s_and_b64 s[24:25], s[26:27], exec
	s_and_b64 s[20:21], s[22:23], exec
.LBB1718_136:
	s_or_b64 exec, exec, s[18:19]
	s_and_b64 s[22:23], s[24:25], exec
	s_and_b64 s[18:19], s[20:21], exec
.LBB1718_137:
	s_or_b64 exec, exec, s[16:17]
	s_and_b64 s[20:21], s[22:23], exec
	s_and_b64 s[16:17], s[18:19], exec
.LBB1718_138:
	s_or_b64 exec, exec, s[14:15]
	s_and_b64 s[18:19], s[20:21], exec
	s_and_b64 s[14:15], s[16:17], exec
.LBB1718_139:
	s_or_b64 exec, exec, s[12:13]
	s_and_b64 s[16:17], s[18:19], exec
	s_and_b64 s[12:13], s[14:15], exec
.LBB1718_140:
	s_or_b64 exec, exec, s[10:11]
	s_and_b64 s[14:15], s[16:17], exec
	s_and_b64 s[10:11], s[12:13], exec
.LBB1718_141:
	s_or_b64 exec, exec, s[8:9]
	s_and_b64 s[8:9], s[14:15], exec
	s_and_b64 s[10:11], s[10:11], exec
.LBB1718_142:
	s_or_b64 exec, exec, s[6:7]
	s_mov_b64 s[6:7], 0
	s_and_b64 vcc, exec, s[4:5]
	v_lshlrev_b32_e32 v54, 2, v0
	s_cbranch_vccz .LBB1718_148
.LBB1718_143:
	v_mov_b32_e32 v55, 0
	v_lshl_add_u64 v[2:3], s[70:71], 0, v[54:55]
	v_add_co_u32_e32 v4, vcc, 0x1000, v2
	s_movk_i32 s6, 0x58
	s_nop 0
	v_addc_co_u32_e32 v5, vcc, 0, v3, vcc
	flat_load_dword v1, v[2:3]
	flat_load_dword v8, v[2:3] offset:1024
	flat_load_dword v9, v[2:3] offset:2048
	flat_load_dword v10, v[2:3] offset:3072
	flat_load_dword v11, v[4:5]
	flat_load_dword v12, v[4:5] offset:1024
	flat_load_dword v13, v[4:5] offset:2048
	;; [unrolled: 1-line block ×3, first 2 shown]
	v_add_co_u32_e32 v4, vcc, 0x2000, v2
	s_movk_i32 s10, 0x1000
	s_nop 0
	v_addc_co_u32_e32 v5, vcc, 0, v3, vcc
	v_add_co_u32_e32 v6, vcc, 0x3000, v2
	s_mov_b32 s4, 0
	s_nop 0
	v_addc_co_u32_e32 v7, vcc, 0, v3, vcc
	flat_load_dword v15, v[4:5]
	flat_load_dword v16, v[4:5] offset:1024
	flat_load_dword v17, v[4:5] offset:2048
	;; [unrolled: 1-line block ×3, first 2 shown]
	flat_load_dword v19, v[6:7]
	flat_load_dword v20, v[6:7] offset:1024
	flat_load_dword v21, v[6:7] offset:2048
	;; [unrolled: 1-line block ×3, first 2 shown]
	v_add_co_u32_e32 v4, vcc, 0x4000, v2
	s_movk_i32 s9, 0x2000
	s_nop 0
	v_addc_co_u32_e32 v5, vcc, 0, v3, vcc
	v_add_co_u32_e32 v2, vcc, 0x5000, v2
	s_movk_i32 s8, 0x3000
	s_nop 0
	v_addc_co_u32_e32 v3, vcc, 0, v3, vcc
	flat_load_dword v6, v[4:5]
	flat_load_dword v7, v[4:5] offset:1024
	flat_load_dword v23, v[4:5] offset:2048
	;; [unrolled: 1-line block ×3, first 2 shown]
	flat_load_dword v25, v[2:3]
	flat_load_dword v26, v[2:3] offset:1024
	flat_load_dword v27, v[2:3] offset:2048
	v_mov_b32_e32 v2, s70
	v_mov_b32_e32 v3, s71
	v_add_co_u32_e32 v2, vcc, 0x5000, v2
	s_movk_i32 s5, 0x4000
	s_nop 0
	v_addc_co_u32_e32 v3, vcc, 0, v3, vcc
	s_movk_i32 s3, 0x5000
	s_waitcnt vmcnt(0) lgkmcnt(0)
	ds_write2st64_b32 v54, v1, v8 offset1:4
	ds_write2st64_b32 v54, v9, v10 offset0:8 offset1:12
	ds_write2st64_b32 v54, v11, v12 offset0:16 offset1:20
	;; [unrolled: 1-line block ×10, first 2 shown]
	ds_write_b32 v54, v27 offset:22528
	s_waitcnt lgkmcnt(0)
	s_barrier
	flat_load_dword v1, v[2:3] offset:3072
	v_mad_u32_u24 v12, v0, s6, v54
	s_movk_i32 s6, 0xffa8
	v_mad_i32_i24 v11, v0, s6, v12
	s_movk_i32 s6, 0xff
	v_cmp_ne_u32_e32 vcc, s6, v0
	ds_read_b32 v10, v12
	ds_read2_b32 v[14:15], v12 offset0:1 offset1:2
	ds_read2_b32 v[18:19], v12 offset0:3 offset1:4
	;; [unrolled: 1-line block ×11, first 2 shown]
	s_waitcnt lgkmcnt(0)
	ds_write_b32 v11, v10 offset:24576
	s_waitcnt lgkmcnt(0)
	s_barrier
	s_and_saveexec_b64 s[6:7], vcc
	s_cbranch_execz .LBB1718_145
; %bb.144:
	s_waitcnt vmcnt(0)
	ds_read_b32 v1, v54 offset:24580
.LBB1718_145:
	s_or_b64 exec, exec, s[6:7]
	v_lshl_add_u64 v[16:17], s[52:53], 0, v[54:55]
	v_add_co_u32_e32 v20, vcc, s10, v16
	s_waitcnt lgkmcnt(0)
	s_nop 0
	v_addc_co_u32_e32 v21, vcc, 0, v17, vcc
	s_barrier
	flat_load_dword v11, v[16:17]
	flat_load_dword v13, v[16:17] offset:1024
	flat_load_dword v28, v[16:17] offset:2048
	;; [unrolled: 1-line block ×3, first 2 shown]
	flat_load_dword v32, v[20:21]
	flat_load_dword v33, v[20:21] offset:1024
	flat_load_dword v36, v[20:21] offset:2048
	;; [unrolled: 1-line block ×3, first 2 shown]
	v_add_co_u32_e32 v20, vcc, s9, v16
	s_nop 1
	v_addc_co_u32_e32 v21, vcc, 0, v17, vcc
	v_add_co_u32_e32 v24, vcc, s8, v16
	s_nop 1
	v_addc_co_u32_e32 v25, vcc, 0, v17, vcc
	flat_load_dword v40, v[20:21]
	flat_load_dword v41, v[20:21] offset:1024
	flat_load_dword v42, v[20:21] offset:2048
	;; [unrolled: 1-line block ×3, first 2 shown]
	flat_load_dword v44, v[24:25]
	flat_load_dword v45, v[24:25] offset:1024
	flat_load_dword v46, v[24:25] offset:2048
	flat_load_dword v47, v[24:25] offset:3072
	v_add_co_u32_e32 v20, vcc, s5, v16
	s_mov_b32 s5, 1
	s_nop 0
	v_addc_co_u32_e32 v21, vcc, 0, v17, vcc
	v_add_co_u32_e32 v16, vcc, s3, v16
	s_nop 1
	v_addc_co_u32_e32 v17, vcc, 0, v17, vcc
	flat_load_dword v24, v[20:21]
	flat_load_dword v25, v[20:21] offset:1024
	flat_load_dword v48, v[20:21] offset:2048
	flat_load_dword v49, v[20:21] offset:3072
	flat_load_dword v50, v[16:17]
	flat_load_dword v51, v[16:17] offset:1024
	flat_load_dword v52, v[16:17] offset:2048
	v_cmp_eq_u32_e32 vcc, v10, v14
	s_waitcnt vmcnt(0) lgkmcnt(0)
	ds_write2st64_b32 v54, v11, v13 offset1:4
	ds_write2st64_b32 v54, v28, v29 offset0:8 offset1:12
	ds_write2st64_b32 v54, v32, v33 offset0:16 offset1:20
	;; [unrolled: 1-line block ×10, first 2 shown]
	ds_write_b32 v54, v52 offset:22528
	s_waitcnt lgkmcnt(0)
	s_barrier
	ds_read2_b32 v[16:17], v12 offset0:1 offset1:2
	ds_read2_b32 v[20:21], v12 offset0:3 offset1:4
	;; [unrolled: 1-line block ×11, first 2 shown]
	v_mov_b64_e32 v[10:11], s[4:5]
	v_mov_b32_e32 v13, s76
	s_and_saveexec_b64 s[4:5], vcc
	s_cbranch_execz .LBB1718_147
; %bb.146:
	ds_read_b32 v13, v12
	v_mov_b64_e32 v[10:11], 0
.LBB1718_147:
	s_or_b64 exec, exec, s[4:5]
	v_mov_b32_e32 v55, s76
	v_cmp_eq_u32_e32 vcc, v14, v15
	s_waitcnt lgkmcnt(0)
	v_or_b32_e32 v10, v10, v13
	v_cmp_ne_u32_e64 s[8:9], v3, v1
	v_cndmask_b32_e32 v12, v55, v16, vcc
	v_cmp_ne_u32_e32 vcc, v14, v15
	s_mov_b64 s[10:11], -1
                                        ; implicit-def: $sgpr6_sgpr7
	s_nop 0
	v_cndmask_b32_e64 v13, 0, 1, vcc
	v_cmp_eq_u32_e32 vcc, v15, v18
	s_nop 1
	v_cndmask_b32_e32 v14, v55, v17, vcc
	v_cmp_ne_u32_e32 vcc, v15, v18
	s_nop 1
	v_cndmask_b32_e64 v15, 0, 1, vcc
	v_cmp_eq_u32_e32 vcc, v18, v19
	s_nop 1
	v_cndmask_b32_e32 v16, v55, v20, vcc
	v_cmp_ne_u32_e32 vcc, v18, v19
	;; [unrolled: 6-line block ×20, first 2 shown]
	v_cndmask_b32_e64 v2, v57, v55, s[8:9]
	s_nop 0
	v_cndmask_b32_e64 v53, 0, 1, vcc
.LBB1718_148:
	v_mov_b64_e32 v[56:57], s[6:7]
	s_and_saveexec_b64 s[4:5], s[10:11]
; %bb.149:
	v_cndmask_b32_e64 v3, 0, 1, s[8:9]
	v_mov_b64_e32 v[56:57], v[2:3]
; %bb.150:
	s_or_b64 exec, exec, s[4:5]
	s_mov_b32 s46, 0
	s_cmp_lg_u32 s2, 0
	v_or_b32_e32 v55, v57, v53
	v_lshrrev_b32_e32 v1, 5, v0
	v_cmp_gt_u32_e32 vcc, 64, v0
	s_barrier
	s_cbranch_scc0 .LBB1718_185
; %bb.151:
	s_mov_b32 s47, 1
	v_cmp_gt_u64_e64 s[50:51], s[46:47], v[12:13]
	v_cmp_gt_u64_e64 s[4:5], s[46:47], v[14:15]
	v_cmp_gt_u64_e64 s[6:7], s[46:47], v[16:17]
	v_cndmask_b32_e64 v2, 0, v10, s[50:51]
	v_add_u32_e32 v2, v2, v12
	v_cndmask_b32_e64 v2, 0, v2, s[4:5]
	v_add_u32_e32 v2, v2, v14
	v_cndmask_b32_e64 v2, 0, v2, s[6:7]
	v_add_u32_e32 v2, v2, v16
	v_cmp_gt_u64_e64 s[8:9], s[46:47], v[18:19]
	v_cmp_gt_u64_e64 s[10:11], s[46:47], v[20:21]
	v_cmp_gt_u64_e64 s[12:13], s[46:47], v[22:23]
	v_cndmask_b32_e64 v2, 0, v2, s[8:9]
	v_add_u32_e32 v2, v2, v18
	v_cndmask_b32_e64 v2, 0, v2, s[10:11]
	v_add_u32_e32 v2, v2, v20
	v_cndmask_b32_e64 v2, 0, v2, s[12:13]
	v_add_u32_e32 v2, v2, v22
	;; [unrolled: 9-line block ×7, first 2 shown]
	v_cmp_gt_u64_e64 s[46:47], s[46:47], v[56:57]
	s_nop 1
	v_cndmask_b32_e64 v2, 0, v2, s[46:47]
	v_add_u32_e32 v62, v2, v56
	v_or3_b32 v2, v55, v51, v49
	v_or3_b32 v2, v2, v47, v45
	;; [unrolled: 1-line block ×10, first 2 shown]
	v_and_b32_e32 v2, 1, v2
	v_cmp_eq_u32_e64 s[46:47], 1, v2
	v_add_lshl_u32 v2, v1, v0, 3
	s_nop 0
	v_cndmask_b32_e64 v63, v11, 1, s[46:47]
	ds_write_b32 v2, v62
	ds_write_b8 v2, v63 offset:4
	s_waitcnt lgkmcnt(0)
	s_barrier
	s_and_saveexec_b64 s[48:49], vcc
	s_cbranch_execz .LBB1718_163
; %bb.152:
	v_lshrrev_b32_e32 v2, 3, v0
	v_add_lshl_u32 v4, v2, v54, 3
	ds_read2_b32 v[6:7], v4 offset0:2 offset1:4
	ds_read_b64 v[2:3], v4
	ds_read_u8 v8, v4 offset:12
	ds_read_u8 v9, v4 offset:20
	ds_read_b32 v58, v4 offset:24
	ds_read_u8 v59, v4 offset:28
	v_mov_b32_e32 v60, 0
	s_waitcnt lgkmcnt(3)
	v_cmp_eq_u16_sdwa s[46:47], v8, v60 src0_sel:BYTE_0 src1_sel:DWORD
	v_and_b32_e32 v5, 1, v3
	s_nop 0
	v_cndmask_b32_e64 v61, 0, v2, s[46:47]
	v_add_u32_e32 v6, v61, v6
	s_waitcnt lgkmcnt(2)
	v_cmp_eq_u16_sdwa s[46:47], v9, v60 src0_sel:BYTE_0 src1_sel:DWORD
	s_nop 1
	v_cndmask_b32_e64 v6, 0, v6, s[46:47]
	v_add_u32_e32 v6, v6, v7
	s_waitcnt lgkmcnt(0)
	v_cmp_eq_u16_e64 s[46:47], 0, v59
	s_nop 1
	v_cndmask_b32_e64 v6, 0, v6, s[46:47]
	v_add_u32_e32 v7, v6, v58
	v_or_b32_e32 v6, v59, v9
	v_or_b32_e32 v6, v6, v8
	v_and_b32_e32 v6, 1, v6
	v_cmp_eq_u32_e64 s[46:47], 1, v6
	v_mbcnt_lo_u32_b32 v8, -1, 0
	v_and_b32_e32 v6, 0xffffff00, v3
	v_cndmask_b32_e64 v9, v5, 1, s[46:47]
	v_mbcnt_hi_u32_b32 v8, -1, v8
	v_and_b32_e32 v59, 15, v8
	v_or_b32_sdwa v58, v6, v9 dst_sel:DWORD dst_unused:UNUSED_PAD src0_sel:DWORD src1_sel:WORD_0
	v_mov_b32_dpp v60, v7 row_shr:1 row_mask:0xf bank_mask:0xf
	v_cmp_ne_u32_e64 s[46:47], 0, v59
	v_mov_b32_dpp v61, v58 row_shr:1 row_mask:0xf bank_mask:0xf
	s_and_saveexec_b64 s[52:53], s[46:47]
; %bb.153:
	v_and_b32_e32 v58, 1, v9
	v_and_b32_e32 v61, 1, v61
	v_cmp_eq_u32_e64 s[46:47], 1, v58
	s_nop 1
	v_cndmask_b32_e64 v61, v61, 1, s[46:47]
	v_cmp_eq_u16_e64 s[46:47], 0, v9
	v_or_b32_sdwa v58, v6, v61 dst_sel:DWORD dst_unused:UNUSED_PAD src0_sel:DWORD src1_sel:WORD_0
	s_nop 0
	v_cndmask_b32_e64 v9, 0, v60, s[46:47]
	v_add_u32_e32 v7, v9, v7
	v_mov_b32_e32 v9, v61
; %bb.154:
	s_or_b64 exec, exec, s[52:53]
	v_mov_b32_dpp v60, v7 row_shr:2 row_mask:0xf bank_mask:0xf
	v_mov_b32_dpp v61, v58 row_shr:2 row_mask:0xf bank_mask:0xf
	v_cmp_lt_u32_e64 s[46:47], 1, v59
	s_and_saveexec_b64 s[52:53], s[46:47]
; %bb.155:
	v_and_b32_e32 v58, 1, v9
	v_and_b32_e32 v61, 1, v61
	v_cmp_eq_u32_e64 s[46:47], 1, v58
	s_nop 1
	v_cndmask_b32_e64 v61, v61, 1, s[46:47]
	v_cmp_eq_u16_e64 s[46:47], 0, v9
	v_or_b32_sdwa v58, v6, v61 dst_sel:DWORD dst_unused:UNUSED_PAD src0_sel:DWORD src1_sel:WORD_0
	s_nop 0
	v_cndmask_b32_e64 v9, 0, v60, s[46:47]
	v_add_u32_e32 v7, v9, v7
	v_mov_b32_e32 v9, v61
; %bb.156:
	s_or_b64 exec, exec, s[52:53]
	v_mov_b32_dpp v60, v7 row_shr:4 row_mask:0xf bank_mask:0xf
	v_mov_b32_dpp v61, v58 row_shr:4 row_mask:0xf bank_mask:0xf
	v_cmp_lt_u32_e64 s[46:47], 3, v59
	;; [unrolled: 18-line block ×3, first 2 shown]
	s_and_saveexec_b64 s[52:53], s[46:47]
; %bb.159:
	v_and_b32_e32 v58, 1, v9
	v_and_b32_e32 v59, 1, v61
	v_cmp_eq_u32_e64 s[46:47], 1, v58
	s_nop 1
	v_cndmask_b32_e64 v59, v59, 1, s[46:47]
	v_cmp_eq_u16_e64 s[46:47], 0, v9
	v_or_b32_sdwa v58, v6, v59 dst_sel:DWORD dst_unused:UNUSED_PAD src0_sel:DWORD src1_sel:WORD_0
	s_nop 0
	v_cndmask_b32_e64 v9, 0, v60, s[46:47]
	v_add_u32_e32 v7, v9, v7
	v_mov_b32_e32 v9, v59
; %bb.160:
	s_or_b64 exec, exec, s[52:53]
	v_and_b32_e32 v61, 16, v8
	v_mov_b32_dpp v59, v7 row_bcast:15 row_mask:0xf bank_mask:0xf
	v_mov_b32_dpp v60, v58 row_bcast:15 row_mask:0xf bank_mask:0xf
	v_cmp_ne_u32_e64 s[46:47], 0, v61
	s_and_saveexec_b64 s[52:53], s[46:47]
; %bb.161:
	v_and_b32_e32 v58, 1, v9
	v_and_b32_e32 v60, 1, v60
	v_cmp_eq_u32_e64 s[46:47], 1, v58
	s_nop 1
	v_cndmask_b32_e64 v60, v60, 1, s[46:47]
	v_cmp_eq_u16_e64 s[46:47], 0, v9
	v_or_b32_sdwa v58, v6, v60 dst_sel:DWORD dst_unused:UNUSED_PAD src0_sel:DWORD src1_sel:WORD_0
	s_nop 0
	v_cndmask_b32_e64 v9, 0, v59, s[46:47]
	v_add_u32_e32 v7, v9, v7
	v_mov_b32_e32 v9, v60
; %bb.162:
	s_or_b64 exec, exec, s[52:53]
	v_mov_b32_dpp v58, v58 row_bcast:31 row_mask:0xf bank_mask:0xf
	v_and_b32_e32 v60, 1, v9
	v_and_b32_e32 v58, 1, v58
	v_cmp_eq_u32_e64 s[46:47], 1, v60
	v_mov_b32_e32 v60, 0
	v_cmp_eq_u16_sdwa s[52:53], v9, v60 src0_sel:BYTE_0 src1_sel:DWORD
	v_cndmask_b32_e64 v58, v58, 1, s[46:47]
	v_cmp_lt_u32_e64 s[46:47], 31, v8
	v_mov_b32_dpp v59, v7 row_bcast:31 row_mask:0xf bank_mask:0xf
	s_movk_i32 s3, 0xff
	v_cndmask_b32_e64 v9, v9, v58, s[46:47]
	s_and_b64 s[46:47], s[46:47], s[52:53]
	v_cndmask_b32_e64 v58, 0, v59, s[46:47]
	v_add_u32_e32 v7, v58, v7
	v_add_u32_e32 v58, -1, v8
	v_and_b32_e32 v59, 64, v8
	v_cmp_lt_i32_e64 s[46:47], v58, v59
	v_and_or_b32 v6, v9, s3, v6
	s_nop 0
	v_cndmask_b32_e64 v8, v58, v8, s[46:47]
	v_lshlrev_b32_e32 v8, 2, v8
	ds_bpermute_b32 v7, v8, v7
	ds_bpermute_b32 v6, v8, v6
	v_cmp_eq_u16_sdwa s[46:47], v3, v60 src0_sel:BYTE_0 src1_sel:DWORD
	; wave barrier
	s_waitcnt lgkmcnt(1)
	s_nop 0
	v_cndmask_b32_e64 v3, 0, v7, s[46:47]
	v_add_u32_e32 v2, v3, v2
	s_waitcnt lgkmcnt(0)
	v_and_b32_e32 v3, 1, v6
	v_cmp_eq_u32_e64 s[46:47], 1, v5
	s_nop 1
	v_cndmask_b32_e64 v3, v3, 1, s[46:47]
	v_cmp_eq_u32_e64 s[46:47], 0, v0
	s_nop 1
	v_cndmask_b32_e64 v5, v2, v62, s[46:47]
	v_cndmask_b32_e64 v6, v3, v63, s[46:47]
	ds_write_b32 v4, v5
	ds_write_b8 v4, v6 offset:4
	; wave barrier
	ds_read_u8 v7, v4 offset:12
	ds_read2_b32 v[2:3], v4 offset0:2 offset1:4
	ds_read_u8 v8, v4 offset:20
	ds_read_b32 v9, v4 offset:24
	ds_read_u8 v58, v4 offset:28
	s_waitcnt lgkmcnt(4)
	v_cmp_eq_u16_e64 s[46:47], 0, v7
	s_nop 1
	v_cndmask_b32_e64 v5, 0, v5, s[46:47]
	s_waitcnt lgkmcnt(3)
	v_add_u32_e32 v2, v5, v2
	v_and_b32_e32 v5, 1, v7
	v_cmp_eq_u32_e64 s[46:47], 1, v5
	s_nop 1
	v_cndmask_b32_e64 v5, v6, 1, s[46:47]
	s_waitcnt lgkmcnt(2)
	v_cmp_eq_u16_e64 s[46:47], 0, v8
	ds_write_b8 v4, v5 offset:12
	s_nop 0
	v_cndmask_b32_e64 v6, 0, v2, s[46:47]
	v_add_u32_e32 v3, v6, v3
	v_and_b32_e32 v6, 1, v8
	v_cmp_eq_u32_e64 s[46:47], 1, v6
	s_nop 1
	v_cndmask_b32_e64 v5, v5, 1, s[46:47]
	s_waitcnt lgkmcnt(1)
	v_cmp_eq_u16_e64 s[46:47], 0, v58
	ds_write2_b32 v4, v2, v3 offset0:2 offset1:4
	ds_write_b8 v4, v5 offset:20
	v_cndmask_b32_e64 v2, 0, v3, s[46:47]
	v_and_b32_e32 v3, 1, v58
	v_add_u32_e32 v2, v2, v9
	v_cmp_eq_u32_e64 s[46:47], 1, v3
	s_nop 1
	v_cndmask_b32_e64 v3, v5, 1, s[46:47]
	ds_write_b32 v4, v2 offset:24
	ds_write_b8 v4, v3 offset:28
.LBB1718_163:
	s_or_b64 exec, exec, s[48:49]
	v_cmp_eq_u32_e64 s[46:47], 0, v0
	v_cmp_ne_u32_e64 s[48:49], 0, v0
	s_waitcnt lgkmcnt(0)
	s_barrier
	s_and_saveexec_b64 s[52:53], s[48:49]
	s_cbranch_execz .LBB1718_165
; %bb.164:
	v_add_u32_e32 v2, -1, v0
	v_lshrrev_b32_e32 v3, 5, v2
	v_add_lshl_u32 v2, v3, v2, 3
	ds_read_b32 v62, v2
	ds_read_u8 v63, v2 offset:4
.LBB1718_165:
	s_or_b64 exec, exec, s[52:53]
	s_and_saveexec_b64 s[60:61], vcc
	s_cbranch_execz .LBB1718_184
; %bb.166:
	v_mov_b32_e32 v5, 0
	ds_read_b64 v[2:3], v5 offset:2096
	v_mbcnt_lo_u32_b32 v4, -1, 0
	v_mbcnt_hi_u32_b32 v73, -1, v4
	s_mov_b32 s71, 0
	v_cmp_eq_u32_e64 s[48:49], 0, v73
	s_waitcnt lgkmcnt(0)
	v_readfirstlane_b32 s3, v3
	s_and_saveexec_b64 s[52:53], s[48:49]
	s_cbranch_execz .LBB1718_168
; %bb.167:
	s_add_i32 s70, s2, 64
	s_lshl_b64 s[72:73], s[70:71], 4
	s_add_u32 s72, s56, s72
	s_addc_u32 s73, s57, s73
	s_and_b32 s75, s3, 0xff000000
	s_mov_b32 s74, s71
	s_and_b32 s79, s3, 0xff0000
	s_mov_b32 s78, s71
	s_or_b64 s[74:75], s[78:79], s[74:75]
	s_and_b32 s79, s3, 0xff00
	s_or_b64 s[74:75], s[74:75], s[78:79]
	s_and_b32 s79, s3, 0xff
	s_or_b64 s[70:71], s[74:75], s[78:79]
	v_mov_b32_e32 v3, s71
	v_mov_b32_e32 v4, 1
	v_mov_b64_e32 v[6:7], s[72:73]
	;;#ASMSTART
	global_store_dwordx4 v[6:7], v[2:5] off sc1	
s_waitcnt vmcnt(0)
	;;#ASMEND
.LBB1718_168:
	s_or_b64 exec, exec, s[52:53]
	v_xad_u32 v58, v73, -1, s2
	v_add_u32_e32 v4, 64, v58
	v_lshl_add_u64 v[60:61], v[4:5], 4, s[56:57]
	;;#ASMSTART
	global_load_dwordx4 v[6:9], v[60:61] off sc1	
s_waitcnt vmcnt(0)
	;;#ASMEND
	s_nop 0
	v_and_b32_e32 v3, 0xff0000, v6
	v_and_b32_e32 v4, 0xff000000, v6
	;; [unrolled: 1-line block ×3, first 2 shown]
	v_or_b32_sdwa v3, v6, v3 dst_sel:DWORD dst_unused:UNUSED_PAD src0_sel:WORD_0 src1_sel:DWORD
	v_or3_b32 v7, 0, 0, v7
	v_or3_b32 v6, v3, v4, 0
	v_cmp_eq_u16_sdwa s[70:71], v8, v5 src0_sel:BYTE_0 src1_sel:DWORD
	s_and_saveexec_b64 s[52:53], s[70:71]
	s_cbranch_execz .LBB1718_172
; %bb.169:
	s_mov_b64 s[70:71], 0
	v_mov_b32_e32 v3, 0
.LBB1718_170:                           ; =>This Inner Loop Header: Depth=1
	;;#ASMSTART
	global_load_dwordx4 v[6:9], v[60:61] off sc1	
s_waitcnt vmcnt(0)
	;;#ASMEND
	s_nop 0
	v_cmp_ne_u16_sdwa s[72:73], v8, v3 src0_sel:BYTE_0 src1_sel:DWORD
	s_or_b64 s[70:71], s[72:73], s[70:71]
	s_andn2_b64 exec, exec, s[70:71]
	s_cbranch_execnz .LBB1718_170
; %bb.171:
	s_or_b64 exec, exec, s[70:71]
	v_and_b32_e32 v7, 0xff, v7
.LBB1718_172:
	s_or_b64 exec, exec, s[52:53]
	v_mov_b32_e32 v3, 2
	v_cmp_eq_u16_sdwa s[52:53], v8, v3 src0_sel:BYTE_0 src1_sel:DWORD
	v_lshlrev_b64 v[4:5], v73, -1
	v_and_b32_e32 v64, 63, v73
	v_and_b32_e32 v9, s53, v5
	v_or_b32_e32 v9, 0x80000000, v9
	v_and_b32_e32 v59, s52, v4
	v_ffbl_b32_e32 v9, v9
	v_add_u32_e32 v9, 32, v9
	v_ffbl_b32_e32 v59, v59
	v_cmp_ne_u32_e32 vcc, 63, v64
	v_min_u32_e32 v9, v59, v9
	s_mov_b32 s70, 0
	v_addc_co_u32_e32 v59, vcc, 0, v73, vcc
	v_lshlrev_b32_e32 v65, 2, v59
	ds_bpermute_b32 v59, v65, v7
	ds_bpermute_b32 v60, v65, v6
	v_and_b32_e32 v61, 1, v7
	s_mov_b32 s71, 1
	v_cmp_eq_u32_e32 vcc, 1, v61
	s_waitcnt lgkmcnt(1)
	v_and_b32_e32 v59, 1, v59
	v_cmp_lt_u32_e64 s[52:53], v64, v9
	v_cndmask_b32_e64 v59, v59, 1, vcc
	v_cmp_gt_u64_e32 vcc, s[70:71], v[6:7]
	s_and_b64 vcc, s[52:53], vcc
	v_and_b32_e32 v61, 0xffff, v59
	v_cndmask_b32_e64 v68, v7, v59, s[52:53]
	s_waitcnt lgkmcnt(0)
	v_cndmask_b32_e32 v59, 0, v60, vcc
	v_cmp_gt_u32_e32 vcc, 62, v64
	v_cndmask_b32_e64 v7, v7, v61, s[52:53]
	v_add_u32_e32 v6, v59, v6
	v_cndmask_b32_e64 v60, 0, 1, vcc
	v_lshlrev_b32_e32 v60, 1, v60
	v_add_lshl_u32 v66, v60, v73, 2
	ds_bpermute_b32 v60, v66, v7
	ds_bpermute_b32 v61, v66, v6
	v_and_b32_e32 v59, 1, v68
	v_cmp_eq_u32_e32 vcc, 1, v59
	v_mov_b32_e32 v59, 0
	s_waitcnt lgkmcnt(1)
	v_and_b32_e32 v60, 1, v60
	v_add_u32_e32 v67, 2, v64
	v_cndmask_b32_e64 v60, v60, 1, vcc
	v_cmp_eq_u16_sdwa vcc, v68, v59 src0_sel:BYTE_0 src1_sel:DWORD
	v_and_b32_e32 v69, 0xffff, v60
	v_add_u32_e32 v77, 32, v64
	s_waitcnt lgkmcnt(0)
	v_cndmask_b32_e32 v61, 0, v61, vcc
	v_cmp_gt_u32_e32 vcc, v67, v9
	s_nop 1
	v_cndmask_b32_e32 v60, v60, v68, vcc
	v_cndmask_b32_e64 v61, v61, 0, vcc
	v_cndmask_b32_e32 v7, v69, v7, vcc
	v_cmp_gt_u32_e32 vcc, 60, v64
	v_add_u32_e32 v6, v61, v6
	v_and_b32_e32 v71, 1, v60
	v_cndmask_b32_e64 v68, 0, 1, vcc
	v_lshlrev_b32_e32 v68, 2, v68
	v_add_lshl_u32 v68, v68, v73, 2
	ds_bpermute_b32 v70, v68, v7
	ds_bpermute_b32 v61, v68, v6
	v_cmp_eq_u32_e32 vcc, 1, v71
	v_add_u32_e32 v69, 4, v64
	s_waitcnt lgkmcnt(1)
	v_and_b32_e32 v70, 1, v70
	v_cndmask_b32_e64 v70, v70, 1, vcc
	v_cmp_eq_u16_sdwa vcc, v60, v59 src0_sel:BYTE_0 src1_sel:DWORD
	v_and_b32_e32 v71, 0xffff, v70
	s_waitcnt lgkmcnt(0)
	v_cndmask_b32_e32 v61, 0, v61, vcc
	v_cmp_gt_u32_e32 vcc, v69, v9
	s_nop 1
	v_cndmask_b32_e32 v60, v70, v60, vcc
	v_cndmask_b32_e64 v61, v61, 0, vcc
	v_cndmask_b32_e32 v7, v71, v7, vcc
	v_cmp_gt_u32_e32 vcc, 56, v64
	v_add_u32_e32 v6, v61, v6
	v_and_b32_e32 v74, 1, v60
	v_cndmask_b32_e64 v70, 0, 1, vcc
	v_lshlrev_b32_e32 v70, 3, v70
	v_add_lshl_u32 v70, v70, v73, 2
	ds_bpermute_b32 v72, v70, v7
	ds_bpermute_b32 v61, v70, v6
	v_cmp_eq_u32_e32 vcc, 1, v74
	v_add_u32_e32 v71, 8, v64
	s_waitcnt lgkmcnt(1)
	v_and_b32_e32 v72, 1, v72
	v_cndmask_b32_e64 v72, v72, 1, vcc
	v_cmp_eq_u16_sdwa vcc, v60, v59 src0_sel:BYTE_0 src1_sel:DWORD
	v_and_b32_e32 v74, 0xffff, v72
	;; [unrolled: 22-line block ×3, first 2 shown]
	s_waitcnt lgkmcnt(0)
	v_cndmask_b32_e32 v61, 0, v61, vcc
	v_cmp_gt_u32_e32 vcc, v74, v9
	s_nop 1
	v_cndmask_b32_e32 v60, v75, v60, vcc
	v_cndmask_b32_e64 v61, v61, 0, vcc
	v_cndmask_b32_e32 v7, v76, v7, vcc
	v_cmp_gt_u32_e32 vcc, 32, v64
	v_add_u32_e32 v6, v61, v6
	s_nop 0
	v_cndmask_b32_e64 v75, 0, 1, vcc
	v_lshlrev_b32_e32 v75, 5, v75
	v_add_lshl_u32 v76, v75, v73, 2
	ds_bpermute_b32 v7, v76, v7
	ds_bpermute_b32 v61, v76, v6
	v_and_b32_e32 v73, 1, v60
	v_cmp_eq_u32_e32 vcc, 1, v73
	s_waitcnt lgkmcnt(1)
	v_and_b32_e32 v7, 1, v7
	v_cndmask_b32_e64 v7, v7, 1, vcc
	v_cmp_eq_u16_sdwa vcc, v60, v59 src0_sel:BYTE_0 src1_sel:DWORD
	s_waitcnt lgkmcnt(0)
	s_nop 0
	v_cndmask_b32_e32 v61, 0, v61, vcc
	v_cmp_gt_u32_e32 vcc, v77, v9
	s_nop 1
	v_cndmask_b32_e64 v9, v61, 0, vcc
	v_cndmask_b32_e32 v7, v7, v60, vcc
	v_add_u32_e32 v6, v9, v6
	s_branch .LBB1718_174
.LBB1718_173:                           ;   in Loop: Header=BB1718_174 Depth=1
	s_or_b64 exec, exec, s[52:53]
	v_cmp_eq_u16_sdwa s[52:53], v8, v3 src0_sel:BYTE_0 src1_sel:DWORD
	ds_bpermute_b32 v61, v65, v7
	v_and_b32_e32 v78, 1, v7
	v_and_b32_e32 v9, s53, v5
	v_or_b32_e32 v9, 0x80000000, v9
	v_and_b32_e32 v60, s52, v4
	v_ffbl_b32_e32 v9, v9
	v_add_u32_e32 v9, 32, v9
	v_ffbl_b32_e32 v60, v60
	v_min_u32_e32 v9, v60, v9
	ds_bpermute_b32 v60, v65, v6
	s_waitcnt lgkmcnt(1)
	v_and_b32_e32 v61, 1, v61
	v_cmp_eq_u32_e32 vcc, 1, v78
	v_cmp_lt_u32_e64 s[52:53], v64, v9
	v_subrev_u32_e32 v58, 64, v58
	v_cndmask_b32_e64 v61, v61, 1, vcc
	v_cmp_gt_u64_e32 vcc, s[70:71], v[6:7]
	v_and_b32_e32 v78, 0xffff, v61
	v_cndmask_b32_e64 v61, v7, v61, s[52:53]
	v_cndmask_b32_e64 v7, v7, v78, s[52:53]
	s_and_b64 vcc, s[52:53], vcc
	ds_bpermute_b32 v78, v66, v7
	s_waitcnt lgkmcnt(1)
	v_cndmask_b32_e32 v60, 0, v60, vcc
	v_add_u32_e32 v6, v60, v6
	ds_bpermute_b32 v60, v66, v6
	v_and_b32_e32 v79, 1, v61
	s_waitcnt lgkmcnt(1)
	v_and_b32_e32 v78, 1, v78
	v_cmp_eq_u32_e32 vcc, 1, v79
	s_nop 1
	v_cndmask_b32_e64 v78, v78, 1, vcc
	v_cmp_eq_u16_sdwa vcc, v61, v59 src0_sel:BYTE_0 src1_sel:DWORD
	v_and_b32_e32 v79, 0xffff, v78
	s_waitcnt lgkmcnt(0)
	v_cndmask_b32_e32 v60, 0, v60, vcc
	v_cmp_gt_u32_e32 vcc, v67, v9
	s_nop 1
	v_cndmask_b32_e32 v7, v79, v7, vcc
	v_cndmask_b32_e32 v61, v78, v61, vcc
	ds_bpermute_b32 v78, v68, v7
	v_cndmask_b32_e64 v60, v60, 0, vcc
	v_add_u32_e32 v6, v60, v6
	ds_bpermute_b32 v60, v68, v6
	v_and_b32_e32 v79, 1, v61
	s_waitcnt lgkmcnt(1)
	v_and_b32_e32 v78, 1, v78
	v_cmp_eq_u32_e32 vcc, 1, v79
	s_nop 1
	v_cndmask_b32_e64 v78, v78, 1, vcc
	v_cmp_eq_u16_sdwa vcc, v61, v59 src0_sel:BYTE_0 src1_sel:DWORD
	v_and_b32_e32 v79, 0xffff, v78
	s_waitcnt lgkmcnt(0)
	v_cndmask_b32_e32 v60, 0, v60, vcc
	v_cmp_gt_u32_e32 vcc, v69, v9
	s_nop 1
	v_cndmask_b32_e32 v7, v79, v7, vcc
	v_cndmask_b32_e32 v61, v78, v61, vcc
	ds_bpermute_b32 v78, v70, v7
	v_cndmask_b32_e64 v60, v60, 0, vcc
	;; [unrolled: 18-line block ×3, first 2 shown]
	v_add_u32_e32 v6, v60, v6
	ds_bpermute_b32 v60, v72, v6
	v_and_b32_e32 v79, 1, v61
	s_waitcnt lgkmcnt(1)
	v_and_b32_e32 v78, 1, v78
	v_cmp_eq_u32_e32 vcc, 1, v79
	s_nop 1
	v_cndmask_b32_e64 v78, v78, 1, vcc
	v_cmp_eq_u16_sdwa vcc, v61, v59 src0_sel:BYTE_0 src1_sel:DWORD
	v_and_b32_e32 v79, 0xffff, v78
	s_waitcnt lgkmcnt(0)
	v_cndmask_b32_e32 v60, 0, v60, vcc
	v_cmp_gt_u32_e32 vcc, v74, v9
	s_nop 1
	v_cndmask_b32_e64 v60, v60, 0, vcc
	v_cndmask_b32_e32 v7, v79, v7, vcc
	ds_bpermute_b32 v7, v76, v7
	v_add_u32_e32 v6, v60, v6
	ds_bpermute_b32 v60, v76, v6
	v_cndmask_b32_e32 v61, v78, v61, vcc
	v_and_b32_e32 v78, 1, v61
	v_cmp_eq_u32_e32 vcc, 1, v78
	s_waitcnt lgkmcnt(1)
	s_nop 0
	v_cndmask_b32_e64 v7, v7, 1, vcc
	v_cmp_eq_u16_sdwa vcc, v61, v59 src0_sel:BYTE_0 src1_sel:DWORD
	s_waitcnt lgkmcnt(0)
	s_nop 0
	v_cndmask_b32_e32 v60, 0, v60, vcc
	v_cmp_gt_u32_e32 vcc, v77, v9
	s_nop 1
	v_cndmask_b32_e64 v9, v60, 0, vcc
	v_cndmask_b32_e32 v7, v7, v61, vcc
	v_add_u32_e32 v6, v9, v6
	v_cmp_eq_u16_sdwa vcc, v73, v59 src0_sel:BYTE_0 src1_sel:DWORD
	v_and_b32_e32 v9, 1, v73
	v_and_b32_e32 v7, 1, v7
	v_cndmask_b32_e32 v6, 0, v6, vcc
	v_cmp_eq_u32_e32 vcc, 1, v9
	v_add_u32_e32 v6, v6, v75
	s_nop 0
	v_cndmask_b32_e64 v7, v7, 1, vcc
.LBB1718_174:                           ; =>This Loop Header: Depth=1
                                        ;     Child Loop BB1718_177 Depth 2
	v_cmp_ne_u16_sdwa s[52:53], v8, v3 src0_sel:BYTE_0 src1_sel:DWORD
	v_mov_b32_e32 v73, v7
	v_mov_b32_e32 v75, v6
	v_cndmask_b32_e64 v7, 0, 1, s[52:53]
	;;#ASMSTART
	;;#ASMEND
	s_nop 0
	v_cmp_ne_u32_e32 vcc, 0, v7
	s_cmp_lg_u64 vcc, exec
	s_cbranch_scc1 .LBB1718_179
; %bb.175:                              ;   in Loop: Header=BB1718_174 Depth=1
	v_lshl_add_u64 v[60:61], v[58:59], 4, s[56:57]
	;;#ASMSTART
	global_load_dwordx4 v[6:9], v[60:61] off sc1	
s_waitcnt vmcnt(0)
	;;#ASMEND
	s_nop 0
	v_and_b32_e32 v9, 0xff0000, v6
	v_and_b32_e32 v78, 0xff000000, v6
	;; [unrolled: 1-line block ×3, first 2 shown]
	v_or_b32_sdwa v6, v6, v9 dst_sel:DWORD dst_unused:UNUSED_PAD src0_sel:WORD_0 src1_sel:DWORD
	v_or3_b32 v7, 0, 0, v7
	v_or3_b32 v6, v6, v78, 0
	v_cmp_eq_u16_sdwa s[72:73], v8, v59 src0_sel:BYTE_0 src1_sel:DWORD
	s_and_saveexec_b64 s[52:53], s[72:73]
	s_cbranch_execz .LBB1718_173
; %bb.176:                              ;   in Loop: Header=BB1718_174 Depth=1
	s_mov_b64 s[72:73], 0
.LBB1718_177:                           ;   Parent Loop BB1718_174 Depth=1
                                        ; =>  This Inner Loop Header: Depth=2
	;;#ASMSTART
	global_load_dwordx4 v[6:9], v[60:61] off sc1	
s_waitcnt vmcnt(0)
	;;#ASMEND
	s_nop 0
	v_cmp_ne_u16_sdwa s[74:75], v8, v59 src0_sel:BYTE_0 src1_sel:DWORD
	s_or_b64 s[72:73], s[74:75], s[72:73]
	s_andn2_b64 exec, exec, s[72:73]
	s_cbranch_execnz .LBB1718_177
; %bb.178:                              ;   in Loop: Header=BB1718_174 Depth=1
	s_or_b64 exec, exec, s[72:73]
	v_and_b32_e32 v7, 0xff, v7
	s_branch .LBB1718_173
.LBB1718_179:                           ;   in Loop: Header=BB1718_174 Depth=1
                                        ; implicit-def: $vgpr7
                                        ; implicit-def: $vgpr6
                                        ; implicit-def: $vgpr8
	s_cbranch_execz .LBB1718_174
; %bb.180:
	s_and_saveexec_b64 s[52:53], s[48:49]
	s_cbranch_execz .LBB1718_182
; %bb.181:
	s_and_b32 s48, s3, 0xff
	s_cmp_eq_u32 s48, 0
	s_cselect_b64 vcc, -1, 0
	s_bitcmp1_b32 s3, 0
	s_mov_b32 s49, 0
	s_cselect_b64 s[70:71], -1, 0
	s_add_i32 s48, s2, 64
	s_lshl_b64 s[2:3], s[48:49], 4
	v_cndmask_b32_e32 v3, 0, v75, vcc
	s_add_u32 s2, s56, s2
	v_add_u32_e32 v2, v3, v2
	v_and_b32_e32 v3, 1, v73
	s_addc_u32 s3, s57, s3
	v_mov_b32_e32 v5, 0
	v_cndmask_b32_e64 v3, v3, 1, s[70:71]
	v_mov_b32_e32 v4, 2
	v_mov_b64_e32 v[6:7], s[2:3]
	;;#ASMSTART
	global_store_dwordx4 v[6:7], v[2:5] off sc1	
s_waitcnt vmcnt(0)
	;;#ASMEND
.LBB1718_182:
	s_or_b64 exec, exec, s[52:53]
	s_and_b64 exec, exec, s[46:47]
	s_cbranch_execz .LBB1718_184
; %bb.183:
	v_mov_b32_e32 v2, 0
	ds_write_b32 v2, v75
	ds_write_b8 v2, v73 offset:4
.LBB1718_184:
	s_or_b64 exec, exec, s[60:61]
	v_mov_b32_e32 v2, 0
	s_waitcnt lgkmcnt(0)
	s_barrier
	ds_read_b32 v3, v2
	v_cmp_eq_u16_sdwa vcc, v63, v2 src0_sel:BYTE_0 src1_sel:DWORD
	s_waitcnt lgkmcnt(0)
	s_nop 0
	v_cndmask_b32_e32 v4, 0, v3, vcc
	v_add_u32_e32 v4, v4, v62
	v_cndmask_b32_e64 v58, v4, v3, s[46:47]
	v_and_b32_e32 v3, 0xff, v11
	v_cmp_eq_u64_e32 vcc, 0, v[2:3]
	s_nop 1
	v_cndmask_b32_e32 v2, 0, v58, vcc
	v_add_u32_e32 v59, v2, v10
	v_cndmask_b32_e64 v2, 0, v59, s[50:51]
	v_add_u32_e32 v60, v2, v12
	v_cndmask_b32_e64 v2, 0, v60, s[4:5]
	;; [unrolled: 2-line block ×21, first 2 shown]
	v_add_u32_e32 v80, v2, v52
	s_branch .LBB1718_205
.LBB1718_185:
                                        ; implicit-def: $vgpr79
                                        ; implicit-def: $vgpr78
                                        ; implicit-def: $vgpr77
                                        ; implicit-def: $vgpr76
                                        ; implicit-def: $vgpr75
                                        ; implicit-def: $vgpr74
                                        ; implicit-def: $vgpr73
                                        ; implicit-def: $vgpr72
                                        ; implicit-def: $vgpr71
                                        ; implicit-def: $vgpr70
                                        ; implicit-def: $vgpr69
                                        ; implicit-def: $vgpr68
                                        ; implicit-def: $vgpr67
                                        ; implicit-def: $vgpr66
                                        ; implicit-def: $vgpr65
                                        ; implicit-def: $vgpr64
                                        ; implicit-def: $vgpr63
                                        ; implicit-def: $vgpr62
                                        ; implicit-def: $vgpr61
                                        ; implicit-def: $vgpr60
                                        ; implicit-def: $vgpr59
                                        ; implicit-def: $vgpr58
                                        ; implicit-def: $vgpr80
	s_cbranch_execz .LBB1718_205
; %bb.186:
	s_cmp_lg_u64 s[68:69], 0
	s_cselect_b32 s3, s63, 0
	s_cselect_b32 s2, s62, 0
	s_mov_b32 s44, 0
	s_cmp_eq_u64 s[2:3], 0
	v_mov_b32_e32 v4, s76
	s_cbranch_scc1 .LBB1718_188
; %bb.187:
	v_mov_b32_e32 v2, 0
	global_load_dword v4, v2, s[2:3]
.LBB1718_188:
	s_mov_b32 s45, 1
	v_cmp_gt_u64_e32 vcc, s[44:45], v[12:13]
	v_cmp_gt_u64_e64 s[2:3], s[44:45], v[14:15]
	v_cmp_gt_u64_e64 s[4:5], s[44:45], v[16:17]
	v_cndmask_b32_e32 v2, 0, v10, vcc
	v_add_u32_e32 v2, v2, v12
	v_cndmask_b32_e64 v2, 0, v2, s[2:3]
	v_add_u32_e32 v2, v2, v14
	v_cndmask_b32_e64 v2, 0, v2, s[4:5]
	v_add_u32_e32 v2, v2, v16
	v_cmp_gt_u64_e64 s[6:7], s[44:45], v[18:19]
	v_cmp_gt_u64_e64 s[8:9], s[44:45], v[20:21]
	v_cmp_gt_u64_e64 s[10:11], s[44:45], v[22:23]
	v_cndmask_b32_e64 v2, 0, v2, s[6:7]
	v_add_u32_e32 v2, v2, v18
	v_cndmask_b32_e64 v2, 0, v2, s[8:9]
	v_add_u32_e32 v2, v2, v20
	v_cndmask_b32_e64 v2, 0, v2, s[10:11]
	v_add_u32_e32 v2, v2, v22
	v_cmp_gt_u64_e64 s[12:13], s[44:45], v[24:25]
	v_cmp_gt_u64_e64 s[14:15], s[44:45], v[26:27]
	v_cmp_gt_u64_e64 s[16:17], s[44:45], v[28:29]
	v_cndmask_b32_e64 v2, 0, v2, s[12:13]
	;; [unrolled: 9-line block ×6, first 2 shown]
	v_add_u32_e32 v2, v2, v48
	v_cndmask_b32_e64 v2, 0, v2, s[40:41]
	v_add_u32_e32 v2, v2, v50
	v_cndmask_b32_e64 v2, 0, v2, s[42:43]
	v_add_u32_e32 v2, v2, v52
	v_cmp_gt_u64_e64 s[44:45], s[44:45], v[56:57]
	v_add_lshl_u32 v1, v1, v0, 3
	s_nop 0
	v_cndmask_b32_e64 v2, 0, v2, s[44:45]
	v_add_u32_e32 v5, v2, v56
	v_or3_b32 v2, v55, v51, v49
	v_or3_b32 v2, v2, v47, v45
	;; [unrolled: 1-line block ×10, first 2 shown]
	v_and_b32_e32 v2, 1, v2
	v_cmp_eq_u32_e64 s[44:45], 1, v2
	s_nop 1
	v_cndmask_b32_e64 v6, v11, 1, s[44:45]
	v_cmp_gt_u32_e64 s[44:45], 64, v0
	ds_write_b32 v1, v5
	ds_write_b8 v1, v6 offset:4
	s_waitcnt lgkmcnt(0)
	s_barrier
	s_and_saveexec_b64 s[46:47], s[44:45]
	s_cbranch_execz .LBB1718_200
; %bb.189:
	v_lshrrev_b32_e32 v1, 3, v0
	v_add_lshl_u32 v1, v1, v54, 3
	ds_read2_b32 v[8:9], v1 offset0:2 offset1:4
	ds_read_b64 v[2:3], v1
	ds_read_u8 v13, v1 offset:12
	ds_read_u8 v15, v1 offset:20
	ds_read_b32 v17, v1 offset:24
	ds_read_u8 v19, v1 offset:28
	v_mov_b32_e32 v21, 0
	s_waitcnt lgkmcnt(3)
	v_cmp_eq_u16_sdwa s[44:45], v13, v21 src0_sel:BYTE_0 src1_sel:DWORD
	v_and_b32_e32 v7, 1, v3
	s_nop 0
	v_cndmask_b32_e64 v23, 0, v2, s[44:45]
	v_add_u32_e32 v8, v23, v8
	s_waitcnt lgkmcnt(2)
	v_cmp_eq_u16_sdwa s[44:45], v15, v21 src0_sel:BYTE_0 src1_sel:DWORD
	s_nop 1
	v_cndmask_b32_e64 v8, 0, v8, s[44:45]
	v_add_u32_e32 v8, v8, v9
	s_waitcnt lgkmcnt(0)
	v_cmp_eq_u16_e64 s[44:45], 0, v19
	s_nop 1
	v_cndmask_b32_e64 v8, 0, v8, s[44:45]
	v_add_u32_e32 v9, v8, v17
	v_or_b32_e32 v8, v19, v15
	v_or_b32_e32 v8, v8, v13
	v_and_b32_e32 v8, 1, v8
	v_cmp_eq_u32_e64 s[44:45], 1, v8
	v_mbcnt_lo_u32_b32 v13, -1, 0
	v_and_b32_e32 v8, 0xffffff00, v3
	v_cndmask_b32_e64 v15, v7, 1, s[44:45]
	v_mbcnt_hi_u32_b32 v13, -1, v13
	v_and_b32_e32 v19, 15, v13
	v_or_b32_sdwa v17, v8, v15 dst_sel:DWORD dst_unused:UNUSED_PAD src0_sel:DWORD src1_sel:WORD_0
	v_mov_b32_dpp v21, v9 row_shr:1 row_mask:0xf bank_mask:0xf
	v_cmp_ne_u32_e64 s[44:45], 0, v19
	v_mov_b32_dpp v23, v17 row_shr:1 row_mask:0xf bank_mask:0xf
	s_and_saveexec_b64 s[48:49], s[44:45]
; %bb.190:
	v_and_b32_e32 v17, 1, v15
	v_and_b32_e32 v23, 1, v23
	v_cmp_eq_u32_e64 s[44:45], 1, v17
	s_nop 1
	v_cndmask_b32_e64 v23, v23, 1, s[44:45]
	v_cmp_eq_u16_e64 s[44:45], 0, v15
	v_or_b32_sdwa v17, v8, v23 dst_sel:DWORD dst_unused:UNUSED_PAD src0_sel:DWORD src1_sel:WORD_0
	s_nop 0
	v_cndmask_b32_e64 v15, 0, v21, s[44:45]
	v_add_u32_e32 v9, v15, v9
	v_mov_b32_e32 v15, v23
; %bb.191:
	s_or_b64 exec, exec, s[48:49]
	v_mov_b32_dpp v21, v9 row_shr:2 row_mask:0xf bank_mask:0xf
	v_mov_b32_dpp v23, v17 row_shr:2 row_mask:0xf bank_mask:0xf
	v_cmp_lt_u32_e64 s[44:45], 1, v19
	s_and_saveexec_b64 s[48:49], s[44:45]
; %bb.192:
	v_and_b32_e32 v17, 1, v15
	v_and_b32_e32 v23, 1, v23
	v_cmp_eq_u32_e64 s[44:45], 1, v17
	s_nop 1
	v_cndmask_b32_e64 v23, v23, 1, s[44:45]
	v_cmp_eq_u16_e64 s[44:45], 0, v15
	v_or_b32_sdwa v17, v8, v23 dst_sel:DWORD dst_unused:UNUSED_PAD src0_sel:DWORD src1_sel:WORD_0
	s_nop 0
	v_cndmask_b32_e64 v15, 0, v21, s[44:45]
	v_add_u32_e32 v9, v15, v9
	v_mov_b32_e32 v15, v23
; %bb.193:
	s_or_b64 exec, exec, s[48:49]
	v_mov_b32_dpp v21, v9 row_shr:4 row_mask:0xf bank_mask:0xf
	v_mov_b32_dpp v23, v17 row_shr:4 row_mask:0xf bank_mask:0xf
	v_cmp_lt_u32_e64 s[44:45], 3, v19
	;; [unrolled: 18-line block ×3, first 2 shown]
	s_and_saveexec_b64 s[48:49], s[44:45]
; %bb.196:
	v_and_b32_e32 v17, 1, v15
	v_and_b32_e32 v19, 1, v23
	v_cmp_eq_u32_e64 s[44:45], 1, v17
	s_nop 1
	v_cndmask_b32_e64 v19, v19, 1, s[44:45]
	v_cmp_eq_u16_e64 s[44:45], 0, v15
	v_or_b32_sdwa v17, v8, v19 dst_sel:DWORD dst_unused:UNUSED_PAD src0_sel:DWORD src1_sel:WORD_0
	s_nop 0
	v_cndmask_b32_e64 v15, 0, v21, s[44:45]
	v_add_u32_e32 v9, v15, v9
	v_mov_b32_e32 v15, v19
; %bb.197:
	s_or_b64 exec, exec, s[48:49]
	v_and_b32_e32 v23, 16, v13
	v_mov_b32_dpp v19, v9 row_bcast:15 row_mask:0xf bank_mask:0xf
	v_mov_b32_dpp v21, v17 row_bcast:15 row_mask:0xf bank_mask:0xf
	v_cmp_ne_u32_e64 s[44:45], 0, v23
	s_and_saveexec_b64 s[48:49], s[44:45]
; %bb.198:
	v_and_b32_e32 v17, 1, v15
	v_and_b32_e32 v21, 1, v21
	v_cmp_eq_u32_e64 s[44:45], 1, v17
	s_nop 1
	v_cndmask_b32_e64 v21, v21, 1, s[44:45]
	v_cmp_eq_u16_e64 s[44:45], 0, v15
	v_or_b32_sdwa v17, v8, v21 dst_sel:DWORD dst_unused:UNUSED_PAD src0_sel:DWORD src1_sel:WORD_0
	s_nop 0
	v_cndmask_b32_e64 v15, 0, v19, s[44:45]
	v_add_u32_e32 v9, v15, v9
	v_mov_b32_e32 v15, v21
; %bb.199:
	s_or_b64 exec, exec, s[48:49]
	v_mov_b32_dpp v17, v17 row_bcast:31 row_mask:0xf bank_mask:0xf
	v_and_b32_e32 v21, 1, v15
	v_and_b32_e32 v17, 1, v17
	v_cmp_eq_u32_e64 s[44:45], 1, v21
	v_mov_b32_e32 v21, 0
	v_cmp_eq_u16_sdwa s[48:49], v15, v21 src0_sel:BYTE_0 src1_sel:DWORD
	v_cndmask_b32_e64 v17, v17, 1, s[44:45]
	v_cmp_lt_u32_e64 s[44:45], 31, v13
	v_mov_b32_dpp v19, v9 row_bcast:31 row_mask:0xf bank_mask:0xf
	s_movk_i32 s50, 0xff
	v_cndmask_b32_e64 v15, v15, v17, s[44:45]
	s_and_b64 s[44:45], s[44:45], s[48:49]
	v_cndmask_b32_e64 v17, 0, v19, s[44:45]
	v_add_u32_e32 v9, v17, v9
	v_add_u32_e32 v17, -1, v13
	v_and_b32_e32 v19, 64, v13
	v_cmp_lt_i32_e64 s[44:45], v17, v19
	v_and_or_b32 v8, v15, s50, v8
	s_nop 0
	v_cndmask_b32_e64 v13, v17, v13, s[44:45]
	v_lshlrev_b32_e32 v13, 2, v13
	ds_bpermute_b32 v9, v13, v9
	ds_bpermute_b32 v8, v13, v8
	v_cmp_eq_u16_sdwa s[44:45], v3, v21 src0_sel:BYTE_0 src1_sel:DWORD
	; wave barrier
	s_waitcnt lgkmcnt(1)
	s_nop 0
	v_cndmask_b32_e64 v3, 0, v9, s[44:45]
	v_add_u32_e32 v2, v3, v2
	s_waitcnt lgkmcnt(0)
	v_and_b32_e32 v3, 1, v8
	v_cmp_eq_u32_e64 s[44:45], 1, v7
	s_nop 1
	v_cndmask_b32_e64 v3, v3, 1, s[44:45]
	v_cmp_eq_u32_e64 s[44:45], 0, v0
	s_nop 1
	v_cndmask_b32_e64 v5, v2, v5, s[44:45]
	v_cndmask_b32_e64 v6, v3, v6, s[44:45]
	ds_write_b32 v1, v5
	ds_write_b8 v1, v6 offset:4
	; wave barrier
	ds_read_u8 v7, v1 offset:12
	ds_read2_b32 v[2:3], v1 offset0:2 offset1:4
	ds_read_u8 v8, v1 offset:20
	ds_read_b32 v9, v1 offset:24
	ds_read_u8 v13, v1 offset:28
	s_waitcnt lgkmcnt(4)
	v_cmp_eq_u16_e64 s[44:45], 0, v7
	s_nop 1
	v_cndmask_b32_e64 v5, 0, v5, s[44:45]
	s_waitcnt lgkmcnt(3)
	v_add_u32_e32 v2, v5, v2
	v_and_b32_e32 v5, 1, v7
	v_cmp_eq_u32_e64 s[44:45], 1, v5
	s_nop 1
	v_cndmask_b32_e64 v5, v6, 1, s[44:45]
	s_waitcnt lgkmcnt(2)
	v_cmp_eq_u16_e64 s[44:45], 0, v8
	ds_write_b8 v1, v5 offset:12
	s_nop 0
	v_cndmask_b32_e64 v6, 0, v2, s[44:45]
	v_add_u32_e32 v3, v6, v3
	v_and_b32_e32 v6, 1, v8
	v_cmp_eq_u32_e64 s[44:45], 1, v6
	s_nop 1
	v_cndmask_b32_e64 v5, v5, 1, s[44:45]
	s_waitcnt lgkmcnt(1)
	v_cmp_eq_u16_e64 s[44:45], 0, v13
	ds_write2_b32 v1, v2, v3 offset0:2 offset1:4
	ds_write_b8 v1, v5 offset:20
	v_cndmask_b32_e64 v2, 0, v3, s[44:45]
	v_and_b32_e32 v3, 1, v13
	v_add_u32_e32 v2, v2, v9
	v_cmp_eq_u32_e64 s[44:45], 1, v3
	s_nop 1
	v_cndmask_b32_e64 v3, v5, 1, s[44:45]
	ds_write_b32 v1, v2 offset:24
	ds_write_b8 v1, v3 offset:28
.LBB1718_200:
	s_or_b64 exec, exec, s[46:47]
	v_cmp_eq_u32_e64 s[44:45], 0, v0
	v_cmp_ne_u32_e64 s[46:47], 0, v0
	s_waitcnt vmcnt(0)
	v_mov_b32_e32 v58, v4
	s_waitcnt lgkmcnt(0)
	s_barrier
	s_and_saveexec_b64 s[48:49], s[46:47]
	s_cbranch_execz .LBB1718_202
; %bb.201:
	v_add_u32_e32 v1, -1, v0
	v_lshrrev_b32_e32 v2, 5, v1
	v_add_lshl_u32 v1, v2, v1, 3
	ds_read_u8 v2, v1 offset:4
	ds_read_b32 v1, v1
	s_waitcnt lgkmcnt(1)
	v_cmp_eq_u16_e64 s[46:47], 0, v2
	s_nop 1
	v_cndmask_b32_e64 v2, 0, v4, s[46:47]
	s_waitcnt lgkmcnt(0)
	v_add_u32_e32 v58, v2, v1
.LBB1718_202:
	s_or_b64 exec, exec, s[48:49]
	v_and_b32_e32 v3, 0xff, v11
	v_mov_b32_e32 v2, 0
	v_cmp_eq_u64_e64 s[46:47], 0, v[2:3]
	s_nop 1
	v_cndmask_b32_e64 v1, 0, v58, s[46:47]
	v_add_u32_e32 v59, v1, v10
	v_cndmask_b32_e32 v1, 0, v59, vcc
	v_add_u32_e32 v60, v1, v12
	v_cndmask_b32_e64 v1, 0, v60, s[2:3]
	v_add_u32_e32 v61, v1, v14
	v_cndmask_b32_e64 v1, 0, v61, s[4:5]
	;; [unrolled: 2-line block ×20, first 2 shown]
	s_and_saveexec_b64 s[2:3], s[44:45]
	s_cbranch_execz .LBB1718_204
; %bb.203:
	ds_read_u8 v3, v2 offset:2100
	ds_read_b32 v5, v2 offset:2096
	s_add_u32 s4, s56, 0x400
	s_addc_u32 s5, s57, 0
	v_mov_b32_e32 v6, 2
	s_waitcnt lgkmcnt(1)
	v_cmp_eq_u16_e32 vcc, 0, v3
	v_mov_b32_e32 v7, v2
	s_nop 0
	v_cndmask_b32_e32 v4, 0, v4, vcc
	s_waitcnt lgkmcnt(0)
	v_add_u32_e32 v4, v4, v5
	v_and_b32_e32 v5, 0xffff, v3
	v_mov_b64_e32 v[2:3], s[4:5]
	;;#ASMSTART
	global_store_dwordx4 v[2:3], v[4:7] off sc1	
s_waitcnt vmcnt(0)
	;;#ASMEND
.LBB1718_204:
	s_or_b64 exec, exec, s[2:3]
	v_add_u32_e32 v80, v1, v52
.LBB1718_205:
	s_add_u32 s2, s54, s64
	s_addc_u32 s3, s55, s65
	s_add_u32 s2, s2, s66
	s_addc_u32 s3, s3, s67
	s_and_b64 vcc, exec, s[0:1]
	s_cbranch_vccz .LBB1718_251
; %bb.206:
	s_movk_i32 s0, 0x5c
	v_mul_i32_i24_e32 v26, 0xffffffa8, v0
	v_mul_u32_u24_e32 v1, 0x5c, v0
	v_mad_u32_u24 v2, v0, s0, v26
	s_barrier
	ds_write2_b32 v1, v58, v59 offset1:1
	ds_write2_b32 v1, v60, v61 offset0:2 offset1:3
	ds_write2_b32 v1, v62, v63 offset0:4 offset1:5
	;; [unrolled: 1-line block ×10, first 2 shown]
	ds_write_b32 v1, v80 offset:88
	s_waitcnt lgkmcnt(0)
	s_barrier
	ds_read2st64_b32 v[24:25], v2 offset0:4 offset1:8
	ds_read2st64_b32 v[22:23], v2 offset0:12 offset1:16
	;; [unrolled: 1-line block ×11, first 2 shown]
	s_add_i32 s33, s33, s58
	v_mov_b32_e32 v55, 0
	v_lshl_add_u64 v[4:5], s[2:3], 0, v[54:55]
	v_cmp_gt_u32_e32 vcc, s33, v0
	s_and_saveexec_b64 s[0:1], vcc
	s_cbranch_execz .LBB1718_208
; %bb.207:
	v_add_u32_e32 v1, v1, v26
	ds_read_b32 v1, v1
	s_waitcnt lgkmcnt(0)
	v_cvt_f32_i32_e32 v1, v1
	flat_store_dword v[4:5], v1
.LBB1718_208:
	s_or_b64 exec, exec, s[0:1]
	v_or_b32_e32 v1, 0x100, v0
	v_cmp_gt_u32_e32 vcc, s33, v1
	s_and_saveexec_b64 s[0:1], vcc
	s_cbranch_execz .LBB1718_210
; %bb.209:
	s_waitcnt lgkmcnt(0)
	v_cvt_f32_i32_e32 v1, v24
	flat_store_dword v[4:5], v1 offset:1024
.LBB1718_210:
	s_or_b64 exec, exec, s[0:1]
	v_or_b32_e32 v1, 0x200, v0
	v_cmp_gt_u32_e32 vcc, s33, v1
	s_and_saveexec_b64 s[0:1], vcc
	s_cbranch_execz .LBB1718_212
; %bb.211:
	s_waitcnt lgkmcnt(0)
	v_cvt_f32_i32_e32 v1, v25
	flat_store_dword v[4:5], v1 offset:2048
.LBB1718_212:
	;; [unrolled: 10-line block ×3, first 2 shown]
	s_or_b64 exec, exec, s[0:1]
	v_or_b32_e32 v1, 0x400, v0
	v_cmp_gt_u32_e32 vcc, s33, v1
	s_and_saveexec_b64 s[0:1], vcc
	s_cbranch_execz .LBB1718_216
; %bb.215:
	s_waitcnt lgkmcnt(0)
	v_cvt_f32_i32_e32 v1, v23
	v_add_co_u32_e32 v22, vcc, 0x1000, v4
	s_nop 1
	v_addc_co_u32_e32 v23, vcc, 0, v5, vcc
	flat_store_dword v[22:23], v1
.LBB1718_216:
	s_or_b64 exec, exec, s[0:1]
	v_or_b32_e32 v1, 0x500, v0
	v_cmp_gt_u32_e32 vcc, s33, v1
	s_and_saveexec_b64 s[0:1], vcc
	s_cbranch_execz .LBB1718_218
; %bb.217:
	s_waitcnt lgkmcnt(0)
	v_cvt_f32_i32_e32 v1, v20
	v_add_co_u32_e32 v22, vcc, 0x1000, v4
	s_nop 1
	v_addc_co_u32_e32 v23, vcc, 0, v5, vcc
	flat_store_dword v[22:23], v1 offset:1024
.LBB1718_218:
	s_or_b64 exec, exec, s[0:1]
	v_or_b32_e32 v1, 0x600, v0
	v_cmp_gt_u32_e32 vcc, s33, v1
	s_and_saveexec_b64 s[0:1], vcc
	s_cbranch_execz .LBB1718_220
; %bb.219:
	s_waitcnt lgkmcnt(0)
	v_cvt_f32_i32_e32 v1, v21
	v_add_co_u32_e32 v20, vcc, 0x1000, v4
	s_nop 1
	v_addc_co_u32_e32 v21, vcc, 0, v5, vcc
	flat_store_dword v[20:21], v1 offset:2048
.LBB1718_220:
	s_or_b64 exec, exec, s[0:1]
	v_or_b32_e32 v1, 0x700, v0
	v_cmp_gt_u32_e32 vcc, s33, v1
	s_and_saveexec_b64 s[0:1], vcc
	s_cbranch_execz .LBB1718_222
; %bb.221:
	s_waitcnt lgkmcnt(0)
	v_cvt_f32_i32_e32 v1, v18
	v_add_co_u32_e32 v20, vcc, 0x1000, v4
	s_nop 1
	v_addc_co_u32_e32 v21, vcc, 0, v5, vcc
	flat_store_dword v[20:21], v1 offset:3072
.LBB1718_222:
	s_or_b64 exec, exec, s[0:1]
	v_or_b32_e32 v1, 0x800, v0
	v_cmp_gt_u32_e32 vcc, s33, v1
	s_and_saveexec_b64 s[0:1], vcc
	s_cbranch_execz .LBB1718_224
; %bb.223:
	s_waitcnt lgkmcnt(0)
	v_cvt_f32_i32_e32 v1, v19
	v_add_co_u32_e32 v18, vcc, 0x2000, v4
	s_nop 1
	v_addc_co_u32_e32 v19, vcc, 0, v5, vcc
	flat_store_dword v[18:19], v1
.LBB1718_224:
	s_or_b64 exec, exec, s[0:1]
	v_or_b32_e32 v1, 0x900, v0
	v_cmp_gt_u32_e32 vcc, s33, v1
	s_and_saveexec_b64 s[0:1], vcc
	s_cbranch_execz .LBB1718_226
; %bb.225:
	s_waitcnt lgkmcnt(0)
	v_cvt_f32_i32_e32 v1, v16
	v_add_co_u32_e32 v18, vcc, 0x2000, v4
	s_nop 1
	v_addc_co_u32_e32 v19, vcc, 0, v5, vcc
	flat_store_dword v[18:19], v1 offset:1024
.LBB1718_226:
	s_or_b64 exec, exec, s[0:1]
	v_or_b32_e32 v1, 0xa00, v0
	v_cmp_gt_u32_e32 vcc, s33, v1
	s_and_saveexec_b64 s[0:1], vcc
	s_cbranch_execz .LBB1718_228
; %bb.227:
	s_waitcnt lgkmcnt(0)
	v_cvt_f32_i32_e32 v1, v17
	v_add_co_u32_e32 v16, vcc, 0x2000, v4
	s_nop 1
	v_addc_co_u32_e32 v17, vcc, 0, v5, vcc
	flat_store_dword v[16:17], v1 offset:2048
.LBB1718_228:
	s_or_b64 exec, exec, s[0:1]
	v_or_b32_e32 v1, 0xb00, v0
	v_cmp_gt_u32_e32 vcc, s33, v1
	s_and_saveexec_b64 s[0:1], vcc
	s_cbranch_execz .LBB1718_230
; %bb.229:
	s_waitcnt lgkmcnt(0)
	v_cvt_f32_i32_e32 v1, v14
	v_add_co_u32_e32 v16, vcc, 0x2000, v4
	s_nop 1
	v_addc_co_u32_e32 v17, vcc, 0, v5, vcc
	flat_store_dword v[16:17], v1 offset:3072
.LBB1718_230:
	s_or_b64 exec, exec, s[0:1]
	v_or_b32_e32 v1, 0xc00, v0
	v_cmp_gt_u32_e32 vcc, s33, v1
	s_and_saveexec_b64 s[0:1], vcc
	s_cbranch_execz .LBB1718_232
; %bb.231:
	s_waitcnt lgkmcnt(0)
	v_cvt_f32_i32_e32 v1, v15
	v_add_co_u32_e32 v14, vcc, 0x3000, v4
	s_nop 1
	v_addc_co_u32_e32 v15, vcc, 0, v5, vcc
	flat_store_dword v[14:15], v1
.LBB1718_232:
	s_or_b64 exec, exec, s[0:1]
	v_or_b32_e32 v1, 0xd00, v0
	v_cmp_gt_u32_e32 vcc, s33, v1
	s_and_saveexec_b64 s[0:1], vcc
	s_cbranch_execz .LBB1718_234
; %bb.233:
	s_waitcnt lgkmcnt(0)
	v_cvt_f32_i32_e32 v1, v12
	v_add_co_u32_e32 v14, vcc, 0x3000, v4
	s_nop 1
	v_addc_co_u32_e32 v15, vcc, 0, v5, vcc
	flat_store_dword v[14:15], v1 offset:1024
.LBB1718_234:
	s_or_b64 exec, exec, s[0:1]
	v_or_b32_e32 v1, 0xe00, v0
	v_cmp_gt_u32_e32 vcc, s33, v1
	s_and_saveexec_b64 s[0:1], vcc
	s_cbranch_execz .LBB1718_236
; %bb.235:
	s_waitcnt lgkmcnt(0)
	v_cvt_f32_i32_e32 v1, v13
	v_add_co_u32_e32 v12, vcc, 0x3000, v4
	s_nop 1
	v_addc_co_u32_e32 v13, vcc, 0, v5, vcc
	flat_store_dword v[12:13], v1 offset:2048
.LBB1718_236:
	s_or_b64 exec, exec, s[0:1]
	v_or_b32_e32 v1, 0xf00, v0
	v_cmp_gt_u32_e32 vcc, s33, v1
	s_and_saveexec_b64 s[0:1], vcc
	s_cbranch_execz .LBB1718_238
; %bb.237:
	s_waitcnt lgkmcnt(0)
	v_cvt_f32_i32_e32 v1, v10
	v_add_co_u32_e32 v12, vcc, 0x3000, v4
	s_nop 1
	v_addc_co_u32_e32 v13, vcc, 0, v5, vcc
	flat_store_dword v[12:13], v1 offset:3072
.LBB1718_238:
	s_or_b64 exec, exec, s[0:1]
	v_or_b32_e32 v1, 0x1000, v0
	v_cmp_gt_u32_e32 vcc, s33, v1
	s_and_saveexec_b64 s[0:1], vcc
	s_cbranch_execz .LBB1718_240
; %bb.239:
	s_waitcnt lgkmcnt(0)
	v_cvt_f32_i32_e32 v1, v11
	v_add_co_u32_e32 v10, vcc, 0x4000, v4
	s_nop 1
	v_addc_co_u32_e32 v11, vcc, 0, v5, vcc
	flat_store_dword v[10:11], v1
.LBB1718_240:
	s_or_b64 exec, exec, s[0:1]
	v_or_b32_e32 v1, 0x1100, v0
	v_cmp_gt_u32_e32 vcc, s33, v1
	s_and_saveexec_b64 s[0:1], vcc
	s_cbranch_execz .LBB1718_242
; %bb.241:
	s_waitcnt lgkmcnt(0)
	v_cvt_f32_i32_e32 v1, v8
	v_add_co_u32_e32 v10, vcc, 0x4000, v4
	s_nop 1
	v_addc_co_u32_e32 v11, vcc, 0, v5, vcc
	flat_store_dword v[10:11], v1 offset:1024
.LBB1718_242:
	s_or_b64 exec, exec, s[0:1]
	v_or_b32_e32 v1, 0x1200, v0
	v_cmp_gt_u32_e32 vcc, s33, v1
	s_and_saveexec_b64 s[0:1], vcc
	s_cbranch_execz .LBB1718_244
; %bb.243:
	s_waitcnt lgkmcnt(0)
	v_cvt_f32_i32_e32 v1, v9
	v_add_co_u32_e32 v8, vcc, 0x4000, v4
	s_nop 1
	v_addc_co_u32_e32 v9, vcc, 0, v5, vcc
	flat_store_dword v[8:9], v1 offset:2048
.LBB1718_244:
	s_or_b64 exec, exec, s[0:1]
	v_or_b32_e32 v1, 0x1300, v0
	v_cmp_gt_u32_e32 vcc, s33, v1
	s_and_saveexec_b64 s[0:1], vcc
	s_cbranch_execz .LBB1718_246
; %bb.245:
	s_waitcnt lgkmcnt(0)
	v_cvt_f32_i32_e32 v1, v6
	v_add_co_u32_e32 v8, vcc, 0x4000, v4
	s_nop 1
	v_addc_co_u32_e32 v9, vcc, 0, v5, vcc
	flat_store_dword v[8:9], v1 offset:3072
.LBB1718_246:
	s_or_b64 exec, exec, s[0:1]
	v_or_b32_e32 v1, 0x1400, v0
	v_cmp_gt_u32_e32 vcc, s33, v1
	s_and_saveexec_b64 s[0:1], vcc
	s_cbranch_execz .LBB1718_248
; %bb.247:
	s_waitcnt lgkmcnt(0)
	v_cvt_f32_i32_e32 v1, v7
	v_add_co_u32_e32 v6, vcc, 0x5000, v4
	s_nop 1
	v_addc_co_u32_e32 v7, vcc, 0, v5, vcc
	flat_store_dword v[6:7], v1
.LBB1718_248:
	s_or_b64 exec, exec, s[0:1]
	v_or_b32_e32 v1, 0x1500, v0
	v_cmp_gt_u32_e32 vcc, s33, v1
	s_and_saveexec_b64 s[0:1], vcc
	s_cbranch_execz .LBB1718_250
; %bb.249:
	s_waitcnt lgkmcnt(0)
	v_cvt_f32_i32_e32 v1, v2
	v_add_co_u32_e32 v4, vcc, 0x5000, v4
	s_nop 1
	v_addc_co_u32_e32 v5, vcc, 0, v5, vcc
	flat_store_dword v[4:5], v1 offset:1024
.LBB1718_250:
	s_or_b64 exec, exec, s[0:1]
	s_waitcnt lgkmcnt(0)
	v_or_b32_e32 v2, 0x1600, v0
	v_mov_b32_e32 v1, v55
	v_cmp_gt_u32_e64 s[0:1], s33, v2
	s_branch .LBB1718_253
.LBB1718_251:
	s_mov_b64 s[0:1], 0
                                        ; implicit-def: $vgpr3
	s_cbranch_execz .LBB1718_253
; %bb.252:
	s_movk_i32 s4, 0x5c
	v_mul_i32_i24_e32 v2, 0xffffffa8, v0
	v_mul_u32_u24_e32 v1, 0x5c, v0
	v_mad_u32_u24 v2, v0, s4, v2
	s_barrier
	ds_write2_b32 v1, v58, v59 offset1:1
	ds_write2_b32 v1, v60, v61 offset0:2 offset1:3
	ds_write2_b32 v1, v62, v63 offset0:4 offset1:5
	;; [unrolled: 1-line block ×10, first 2 shown]
	ds_write_b32 v1, v80 offset:88
	s_waitcnt lgkmcnt(0)
	s_barrier
	ds_read2st64_b32 v[4:5], v2 offset1:4
	ds_read2st64_b32 v[6:7], v2 offset0:8 offset1:12
	ds_read2st64_b32 v[8:9], v2 offset0:16 offset1:20
	;; [unrolled: 1-line block ×10, first 2 shown]
	ds_read_b32 v3, v2 offset:22528
	s_waitcnt lgkmcnt(0)
	v_cvt_f32_i32_e32 v2, v4
	v_mov_b32_e32 v1, 0
	v_cvt_f32_i32_e32 v4, v5
	v_mov_b32_e32 v55, v1
	v_cvt_f32_i32_e32 v5, v6
	v_lshl_add_u64 v[26:27], s[2:3], 0, v[54:55]
	v_cvt_f32_i32_e32 v6, v7
	flat_store_dword v[26:27], v2
	flat_store_dword v[26:27], v4 offset:1024
	flat_store_dword v[26:27], v5 offset:2048
	flat_store_dword v[26:27], v6 offset:3072
	v_cvt_f32_i32_e32 v2, v8
	s_movk_i32 s4, 0x1000
	v_cvt_f32_i32_e32 v6, v9
	v_add_co_u32_e32 v4, vcc, s4, v26
	v_cvt_f32_i32_e32 v7, v10
	s_nop 0
	v_addc_co_u32_e32 v5, vcc, 0, v27, vcc
	v_cvt_f32_i32_e32 v8, v11
	flat_store_dword v[4:5], v2
	flat_store_dword v[4:5], v6 offset:1024
	flat_store_dword v[4:5], v7 offset:2048
	flat_store_dword v[4:5], v8 offset:3072
	v_cvt_f32_i32_e32 v2, v12
	s_movk_i32 s4, 0x2000
	v_cvt_f32_i32_e32 v6, v13
	v_add_co_u32_e32 v4, vcc, s4, v26
	v_cvt_f32_i32_e32 v7, v14
	s_nop 0
	v_addc_co_u32_e32 v5, vcc, 0, v27, vcc
	v_cvt_f32_i32_e32 v8, v15
	flat_store_dword v[4:5], v2
	flat_store_dword v[4:5], v6 offset:1024
	flat_store_dword v[4:5], v7 offset:2048
	flat_store_dword v[4:5], v8 offset:3072
	v_cvt_f32_i32_e32 v2, v16
	s_movk_i32 s4, 0x3000
	v_cvt_f32_i32_e32 v6, v17
	v_add_co_u32_e32 v4, vcc, s4, v26
	v_cvt_f32_i32_e32 v7, v18
	s_nop 0
	v_addc_co_u32_e32 v5, vcc, 0, v27, vcc
	v_cvt_f32_i32_e32 v8, v19
	flat_store_dword v[4:5], v2
	flat_store_dword v[4:5], v6 offset:1024
	flat_store_dword v[4:5], v7 offset:2048
	flat_store_dword v[4:5], v8 offset:3072
	v_cvt_f32_i32_e32 v2, v20
	s_movk_i32 s4, 0x4000
	v_cvt_f32_i32_e32 v6, v21
	v_add_co_u32_e32 v4, vcc, s4, v26
	v_cvt_f32_i32_e32 v7, v22
	s_nop 0
	v_addc_co_u32_e32 v5, vcc, 0, v27, vcc
	v_cvt_f32_i32_e32 v8, v23
	flat_store_dword v[4:5], v2
	flat_store_dword v[4:5], v6 offset:1024
	flat_store_dword v[4:5], v7 offset:2048
	;; [unrolled: 1-line block ×3, first 2 shown]
	v_cvt_f32_i32_e32 v2, v24
	v_cvt_f32_i32_e32 v6, v25
	v_add_co_u32_e32 v4, vcc, 0x5000, v26
	s_or_b64 s[0:1], s[0:1], exec
	s_nop 0
	v_addc_co_u32_e32 v5, vcc, 0, v27, vcc
	flat_store_dword v[4:5], v2
	flat_store_dword v[4:5], v6 offset:1024
.LBB1718_253:
	s_and_saveexec_b64 s[4:5], s[0:1]
	s_cbranch_execz .LBB1718_255
; %bb.254:
	v_cvt_f32_i32_e32 v2, v3
	v_lshl_add_u64 v[0:1], v[0:1], 2, s[2:3]
	v_add_co_u32_e32 v0, vcc, 0x5000, v0
	s_nop 1
	v_addc_co_u32_e32 v1, vcc, 0, v1, vcc
	flat_store_dword v[0:1], v2 offset:2048
	s_endpgm
.LBB1718_255:
	s_endpgm
	.section	.rodata,"a",@progbits
	.p2align	6, 0x0
	.amdhsa_kernel _ZN7rocprim17ROCPRIM_400000_NS6detail17trampoline_kernelINS0_14default_configENS1_27scan_by_key_config_selectorIiiEEZZNS1_16scan_by_key_implILNS1_25lookback_scan_determinismE0ELb1ES3_N6thrust23THRUST_200600_302600_NS6detail15normal_iteratorINS9_10device_ptrIiEEEENSB_INSC_IjEEEENSB_INSC_IfEEEEiNS9_4plusIvEENS9_8equal_toIvEEiEE10hipError_tPvRmT2_T3_T4_T5_mT6_T7_P12ihipStream_tbENKUlT_T0_E_clISt17integral_constantIbLb0EES13_EEDaSY_SZ_EUlSY_E_NS1_11comp_targetILNS1_3genE5ELNS1_11target_archE942ELNS1_3gpuE9ELNS1_3repE0EEENS1_30default_config_static_selectorELNS0_4arch9wavefront6targetE1EEEvT1_
		.amdhsa_group_segment_fixed_size 25600
		.amdhsa_private_segment_fixed_size 0
		.amdhsa_kernarg_size 112
		.amdhsa_user_sgpr_count 2
		.amdhsa_user_sgpr_dispatch_ptr 0
		.amdhsa_user_sgpr_queue_ptr 0
		.amdhsa_user_sgpr_kernarg_segment_ptr 1
		.amdhsa_user_sgpr_dispatch_id 0
		.amdhsa_user_sgpr_kernarg_preload_length 0
		.amdhsa_user_sgpr_kernarg_preload_offset 0
		.amdhsa_user_sgpr_private_segment_size 0
		.amdhsa_uses_dynamic_stack 0
		.amdhsa_enable_private_segment 0
		.amdhsa_system_sgpr_workgroup_id_x 1
		.amdhsa_system_sgpr_workgroup_id_y 0
		.amdhsa_system_sgpr_workgroup_id_z 0
		.amdhsa_system_sgpr_workgroup_info 0
		.amdhsa_system_vgpr_workitem_id 0
		.amdhsa_next_free_vgpr 81
		.amdhsa_next_free_sgpr 80
		.amdhsa_accum_offset 84
		.amdhsa_reserve_vcc 1
		.amdhsa_float_round_mode_32 0
		.amdhsa_float_round_mode_16_64 0
		.amdhsa_float_denorm_mode_32 3
		.amdhsa_float_denorm_mode_16_64 3
		.amdhsa_dx10_clamp 1
		.amdhsa_ieee_mode 1
		.amdhsa_fp16_overflow 0
		.amdhsa_tg_split 0
		.amdhsa_exception_fp_ieee_invalid_op 0
		.amdhsa_exception_fp_denorm_src 0
		.amdhsa_exception_fp_ieee_div_zero 0
		.amdhsa_exception_fp_ieee_overflow 0
		.amdhsa_exception_fp_ieee_underflow 0
		.amdhsa_exception_fp_ieee_inexact 0
		.amdhsa_exception_int_div_zero 0
	.end_amdhsa_kernel
	.section	.text._ZN7rocprim17ROCPRIM_400000_NS6detail17trampoline_kernelINS0_14default_configENS1_27scan_by_key_config_selectorIiiEEZZNS1_16scan_by_key_implILNS1_25lookback_scan_determinismE0ELb1ES3_N6thrust23THRUST_200600_302600_NS6detail15normal_iteratorINS9_10device_ptrIiEEEENSB_INSC_IjEEEENSB_INSC_IfEEEEiNS9_4plusIvEENS9_8equal_toIvEEiEE10hipError_tPvRmT2_T3_T4_T5_mT6_T7_P12ihipStream_tbENKUlT_T0_E_clISt17integral_constantIbLb0EES13_EEDaSY_SZ_EUlSY_E_NS1_11comp_targetILNS1_3genE5ELNS1_11target_archE942ELNS1_3gpuE9ELNS1_3repE0EEENS1_30default_config_static_selectorELNS0_4arch9wavefront6targetE1EEEvT1_,"axG",@progbits,_ZN7rocprim17ROCPRIM_400000_NS6detail17trampoline_kernelINS0_14default_configENS1_27scan_by_key_config_selectorIiiEEZZNS1_16scan_by_key_implILNS1_25lookback_scan_determinismE0ELb1ES3_N6thrust23THRUST_200600_302600_NS6detail15normal_iteratorINS9_10device_ptrIiEEEENSB_INSC_IjEEEENSB_INSC_IfEEEEiNS9_4plusIvEENS9_8equal_toIvEEiEE10hipError_tPvRmT2_T3_T4_T5_mT6_T7_P12ihipStream_tbENKUlT_T0_E_clISt17integral_constantIbLb0EES13_EEDaSY_SZ_EUlSY_E_NS1_11comp_targetILNS1_3genE5ELNS1_11target_archE942ELNS1_3gpuE9ELNS1_3repE0EEENS1_30default_config_static_selectorELNS0_4arch9wavefront6targetE1EEEvT1_,comdat
.Lfunc_end1718:
	.size	_ZN7rocprim17ROCPRIM_400000_NS6detail17trampoline_kernelINS0_14default_configENS1_27scan_by_key_config_selectorIiiEEZZNS1_16scan_by_key_implILNS1_25lookback_scan_determinismE0ELb1ES3_N6thrust23THRUST_200600_302600_NS6detail15normal_iteratorINS9_10device_ptrIiEEEENSB_INSC_IjEEEENSB_INSC_IfEEEEiNS9_4plusIvEENS9_8equal_toIvEEiEE10hipError_tPvRmT2_T3_T4_T5_mT6_T7_P12ihipStream_tbENKUlT_T0_E_clISt17integral_constantIbLb0EES13_EEDaSY_SZ_EUlSY_E_NS1_11comp_targetILNS1_3genE5ELNS1_11target_archE942ELNS1_3gpuE9ELNS1_3repE0EEENS1_30default_config_static_selectorELNS0_4arch9wavefront6targetE1EEEvT1_, .Lfunc_end1718-_ZN7rocprim17ROCPRIM_400000_NS6detail17trampoline_kernelINS0_14default_configENS1_27scan_by_key_config_selectorIiiEEZZNS1_16scan_by_key_implILNS1_25lookback_scan_determinismE0ELb1ES3_N6thrust23THRUST_200600_302600_NS6detail15normal_iteratorINS9_10device_ptrIiEEEENSB_INSC_IjEEEENSB_INSC_IfEEEEiNS9_4plusIvEENS9_8equal_toIvEEiEE10hipError_tPvRmT2_T3_T4_T5_mT6_T7_P12ihipStream_tbENKUlT_T0_E_clISt17integral_constantIbLb0EES13_EEDaSY_SZ_EUlSY_E_NS1_11comp_targetILNS1_3genE5ELNS1_11target_archE942ELNS1_3gpuE9ELNS1_3repE0EEENS1_30default_config_static_selectorELNS0_4arch9wavefront6targetE1EEEvT1_
                                        ; -- End function
	.section	.AMDGPU.csdata,"",@progbits
; Kernel info:
; codeLenInByte = 15860
; NumSgprs: 86
; NumVgprs: 81
; NumAgprs: 0
; TotalNumVgprs: 81
; ScratchSize: 0
; MemoryBound: 0
; FloatMode: 240
; IeeeMode: 1
; LDSByteSize: 25600 bytes/workgroup (compile time only)
; SGPRBlocks: 10
; VGPRBlocks: 10
; NumSGPRsForWavesPerEU: 86
; NumVGPRsForWavesPerEU: 81
; AccumOffset: 84
; Occupancy: 2
; WaveLimiterHint : 1
; COMPUTE_PGM_RSRC2:SCRATCH_EN: 0
; COMPUTE_PGM_RSRC2:USER_SGPR: 2
; COMPUTE_PGM_RSRC2:TRAP_HANDLER: 0
; COMPUTE_PGM_RSRC2:TGID_X_EN: 1
; COMPUTE_PGM_RSRC2:TGID_Y_EN: 0
; COMPUTE_PGM_RSRC2:TGID_Z_EN: 0
; COMPUTE_PGM_RSRC2:TIDIG_COMP_CNT: 0
; COMPUTE_PGM_RSRC3_GFX90A:ACCUM_OFFSET: 20
; COMPUTE_PGM_RSRC3_GFX90A:TG_SPLIT: 0
	.section	.text._ZN7rocprim17ROCPRIM_400000_NS6detail17trampoline_kernelINS0_14default_configENS1_27scan_by_key_config_selectorIiiEEZZNS1_16scan_by_key_implILNS1_25lookback_scan_determinismE0ELb1ES3_N6thrust23THRUST_200600_302600_NS6detail15normal_iteratorINS9_10device_ptrIiEEEENSB_INSC_IjEEEENSB_INSC_IfEEEEiNS9_4plusIvEENS9_8equal_toIvEEiEE10hipError_tPvRmT2_T3_T4_T5_mT6_T7_P12ihipStream_tbENKUlT_T0_E_clISt17integral_constantIbLb0EES13_EEDaSY_SZ_EUlSY_E_NS1_11comp_targetILNS1_3genE4ELNS1_11target_archE910ELNS1_3gpuE8ELNS1_3repE0EEENS1_30default_config_static_selectorELNS0_4arch9wavefront6targetE1EEEvT1_,"axG",@progbits,_ZN7rocprim17ROCPRIM_400000_NS6detail17trampoline_kernelINS0_14default_configENS1_27scan_by_key_config_selectorIiiEEZZNS1_16scan_by_key_implILNS1_25lookback_scan_determinismE0ELb1ES3_N6thrust23THRUST_200600_302600_NS6detail15normal_iteratorINS9_10device_ptrIiEEEENSB_INSC_IjEEEENSB_INSC_IfEEEEiNS9_4plusIvEENS9_8equal_toIvEEiEE10hipError_tPvRmT2_T3_T4_T5_mT6_T7_P12ihipStream_tbENKUlT_T0_E_clISt17integral_constantIbLb0EES13_EEDaSY_SZ_EUlSY_E_NS1_11comp_targetILNS1_3genE4ELNS1_11target_archE910ELNS1_3gpuE8ELNS1_3repE0EEENS1_30default_config_static_selectorELNS0_4arch9wavefront6targetE1EEEvT1_,comdat
	.protected	_ZN7rocprim17ROCPRIM_400000_NS6detail17trampoline_kernelINS0_14default_configENS1_27scan_by_key_config_selectorIiiEEZZNS1_16scan_by_key_implILNS1_25lookback_scan_determinismE0ELb1ES3_N6thrust23THRUST_200600_302600_NS6detail15normal_iteratorINS9_10device_ptrIiEEEENSB_INSC_IjEEEENSB_INSC_IfEEEEiNS9_4plusIvEENS9_8equal_toIvEEiEE10hipError_tPvRmT2_T3_T4_T5_mT6_T7_P12ihipStream_tbENKUlT_T0_E_clISt17integral_constantIbLb0EES13_EEDaSY_SZ_EUlSY_E_NS1_11comp_targetILNS1_3genE4ELNS1_11target_archE910ELNS1_3gpuE8ELNS1_3repE0EEENS1_30default_config_static_selectorELNS0_4arch9wavefront6targetE1EEEvT1_ ; -- Begin function _ZN7rocprim17ROCPRIM_400000_NS6detail17trampoline_kernelINS0_14default_configENS1_27scan_by_key_config_selectorIiiEEZZNS1_16scan_by_key_implILNS1_25lookback_scan_determinismE0ELb1ES3_N6thrust23THRUST_200600_302600_NS6detail15normal_iteratorINS9_10device_ptrIiEEEENSB_INSC_IjEEEENSB_INSC_IfEEEEiNS9_4plusIvEENS9_8equal_toIvEEiEE10hipError_tPvRmT2_T3_T4_T5_mT6_T7_P12ihipStream_tbENKUlT_T0_E_clISt17integral_constantIbLb0EES13_EEDaSY_SZ_EUlSY_E_NS1_11comp_targetILNS1_3genE4ELNS1_11target_archE910ELNS1_3gpuE8ELNS1_3repE0EEENS1_30default_config_static_selectorELNS0_4arch9wavefront6targetE1EEEvT1_
	.globl	_ZN7rocprim17ROCPRIM_400000_NS6detail17trampoline_kernelINS0_14default_configENS1_27scan_by_key_config_selectorIiiEEZZNS1_16scan_by_key_implILNS1_25lookback_scan_determinismE0ELb1ES3_N6thrust23THRUST_200600_302600_NS6detail15normal_iteratorINS9_10device_ptrIiEEEENSB_INSC_IjEEEENSB_INSC_IfEEEEiNS9_4plusIvEENS9_8equal_toIvEEiEE10hipError_tPvRmT2_T3_T4_T5_mT6_T7_P12ihipStream_tbENKUlT_T0_E_clISt17integral_constantIbLb0EES13_EEDaSY_SZ_EUlSY_E_NS1_11comp_targetILNS1_3genE4ELNS1_11target_archE910ELNS1_3gpuE8ELNS1_3repE0EEENS1_30default_config_static_selectorELNS0_4arch9wavefront6targetE1EEEvT1_
	.p2align	8
	.type	_ZN7rocprim17ROCPRIM_400000_NS6detail17trampoline_kernelINS0_14default_configENS1_27scan_by_key_config_selectorIiiEEZZNS1_16scan_by_key_implILNS1_25lookback_scan_determinismE0ELb1ES3_N6thrust23THRUST_200600_302600_NS6detail15normal_iteratorINS9_10device_ptrIiEEEENSB_INSC_IjEEEENSB_INSC_IfEEEEiNS9_4plusIvEENS9_8equal_toIvEEiEE10hipError_tPvRmT2_T3_T4_T5_mT6_T7_P12ihipStream_tbENKUlT_T0_E_clISt17integral_constantIbLb0EES13_EEDaSY_SZ_EUlSY_E_NS1_11comp_targetILNS1_3genE4ELNS1_11target_archE910ELNS1_3gpuE8ELNS1_3repE0EEENS1_30default_config_static_selectorELNS0_4arch9wavefront6targetE1EEEvT1_,@function
_ZN7rocprim17ROCPRIM_400000_NS6detail17trampoline_kernelINS0_14default_configENS1_27scan_by_key_config_selectorIiiEEZZNS1_16scan_by_key_implILNS1_25lookback_scan_determinismE0ELb1ES3_N6thrust23THRUST_200600_302600_NS6detail15normal_iteratorINS9_10device_ptrIiEEEENSB_INSC_IjEEEENSB_INSC_IfEEEEiNS9_4plusIvEENS9_8equal_toIvEEiEE10hipError_tPvRmT2_T3_T4_T5_mT6_T7_P12ihipStream_tbENKUlT_T0_E_clISt17integral_constantIbLb0EES13_EEDaSY_SZ_EUlSY_E_NS1_11comp_targetILNS1_3genE4ELNS1_11target_archE910ELNS1_3gpuE8ELNS1_3repE0EEENS1_30default_config_static_selectorELNS0_4arch9wavefront6targetE1EEEvT1_: ; @_ZN7rocprim17ROCPRIM_400000_NS6detail17trampoline_kernelINS0_14default_configENS1_27scan_by_key_config_selectorIiiEEZZNS1_16scan_by_key_implILNS1_25lookback_scan_determinismE0ELb1ES3_N6thrust23THRUST_200600_302600_NS6detail15normal_iteratorINS9_10device_ptrIiEEEENSB_INSC_IjEEEENSB_INSC_IfEEEEiNS9_4plusIvEENS9_8equal_toIvEEiEE10hipError_tPvRmT2_T3_T4_T5_mT6_T7_P12ihipStream_tbENKUlT_T0_E_clISt17integral_constantIbLb0EES13_EEDaSY_SZ_EUlSY_E_NS1_11comp_targetILNS1_3genE4ELNS1_11target_archE910ELNS1_3gpuE8ELNS1_3repE0EEENS1_30default_config_static_selectorELNS0_4arch9wavefront6targetE1EEEvT1_
; %bb.0:
	.section	.rodata,"a",@progbits
	.p2align	6, 0x0
	.amdhsa_kernel _ZN7rocprim17ROCPRIM_400000_NS6detail17trampoline_kernelINS0_14default_configENS1_27scan_by_key_config_selectorIiiEEZZNS1_16scan_by_key_implILNS1_25lookback_scan_determinismE0ELb1ES3_N6thrust23THRUST_200600_302600_NS6detail15normal_iteratorINS9_10device_ptrIiEEEENSB_INSC_IjEEEENSB_INSC_IfEEEEiNS9_4plusIvEENS9_8equal_toIvEEiEE10hipError_tPvRmT2_T3_T4_T5_mT6_T7_P12ihipStream_tbENKUlT_T0_E_clISt17integral_constantIbLb0EES13_EEDaSY_SZ_EUlSY_E_NS1_11comp_targetILNS1_3genE4ELNS1_11target_archE910ELNS1_3gpuE8ELNS1_3repE0EEENS1_30default_config_static_selectorELNS0_4arch9wavefront6targetE1EEEvT1_
		.amdhsa_group_segment_fixed_size 0
		.amdhsa_private_segment_fixed_size 0
		.amdhsa_kernarg_size 112
		.amdhsa_user_sgpr_count 2
		.amdhsa_user_sgpr_dispatch_ptr 0
		.amdhsa_user_sgpr_queue_ptr 0
		.amdhsa_user_sgpr_kernarg_segment_ptr 1
		.amdhsa_user_sgpr_dispatch_id 0
		.amdhsa_user_sgpr_kernarg_preload_length 0
		.amdhsa_user_sgpr_kernarg_preload_offset 0
		.amdhsa_user_sgpr_private_segment_size 0
		.amdhsa_uses_dynamic_stack 0
		.amdhsa_enable_private_segment 0
		.amdhsa_system_sgpr_workgroup_id_x 1
		.amdhsa_system_sgpr_workgroup_id_y 0
		.amdhsa_system_sgpr_workgroup_id_z 0
		.amdhsa_system_sgpr_workgroup_info 0
		.amdhsa_system_vgpr_workitem_id 0
		.amdhsa_next_free_vgpr 1
		.amdhsa_next_free_sgpr 0
		.amdhsa_accum_offset 4
		.amdhsa_reserve_vcc 0
		.amdhsa_float_round_mode_32 0
		.amdhsa_float_round_mode_16_64 0
		.amdhsa_float_denorm_mode_32 3
		.amdhsa_float_denorm_mode_16_64 3
		.amdhsa_dx10_clamp 1
		.amdhsa_ieee_mode 1
		.amdhsa_fp16_overflow 0
		.amdhsa_tg_split 0
		.amdhsa_exception_fp_ieee_invalid_op 0
		.amdhsa_exception_fp_denorm_src 0
		.amdhsa_exception_fp_ieee_div_zero 0
		.amdhsa_exception_fp_ieee_overflow 0
		.amdhsa_exception_fp_ieee_underflow 0
		.amdhsa_exception_fp_ieee_inexact 0
		.amdhsa_exception_int_div_zero 0
	.end_amdhsa_kernel
	.section	.text._ZN7rocprim17ROCPRIM_400000_NS6detail17trampoline_kernelINS0_14default_configENS1_27scan_by_key_config_selectorIiiEEZZNS1_16scan_by_key_implILNS1_25lookback_scan_determinismE0ELb1ES3_N6thrust23THRUST_200600_302600_NS6detail15normal_iteratorINS9_10device_ptrIiEEEENSB_INSC_IjEEEENSB_INSC_IfEEEEiNS9_4plusIvEENS9_8equal_toIvEEiEE10hipError_tPvRmT2_T3_T4_T5_mT6_T7_P12ihipStream_tbENKUlT_T0_E_clISt17integral_constantIbLb0EES13_EEDaSY_SZ_EUlSY_E_NS1_11comp_targetILNS1_3genE4ELNS1_11target_archE910ELNS1_3gpuE8ELNS1_3repE0EEENS1_30default_config_static_selectorELNS0_4arch9wavefront6targetE1EEEvT1_,"axG",@progbits,_ZN7rocprim17ROCPRIM_400000_NS6detail17trampoline_kernelINS0_14default_configENS1_27scan_by_key_config_selectorIiiEEZZNS1_16scan_by_key_implILNS1_25lookback_scan_determinismE0ELb1ES3_N6thrust23THRUST_200600_302600_NS6detail15normal_iteratorINS9_10device_ptrIiEEEENSB_INSC_IjEEEENSB_INSC_IfEEEEiNS9_4plusIvEENS9_8equal_toIvEEiEE10hipError_tPvRmT2_T3_T4_T5_mT6_T7_P12ihipStream_tbENKUlT_T0_E_clISt17integral_constantIbLb0EES13_EEDaSY_SZ_EUlSY_E_NS1_11comp_targetILNS1_3genE4ELNS1_11target_archE910ELNS1_3gpuE8ELNS1_3repE0EEENS1_30default_config_static_selectorELNS0_4arch9wavefront6targetE1EEEvT1_,comdat
.Lfunc_end1719:
	.size	_ZN7rocprim17ROCPRIM_400000_NS6detail17trampoline_kernelINS0_14default_configENS1_27scan_by_key_config_selectorIiiEEZZNS1_16scan_by_key_implILNS1_25lookback_scan_determinismE0ELb1ES3_N6thrust23THRUST_200600_302600_NS6detail15normal_iteratorINS9_10device_ptrIiEEEENSB_INSC_IjEEEENSB_INSC_IfEEEEiNS9_4plusIvEENS9_8equal_toIvEEiEE10hipError_tPvRmT2_T3_T4_T5_mT6_T7_P12ihipStream_tbENKUlT_T0_E_clISt17integral_constantIbLb0EES13_EEDaSY_SZ_EUlSY_E_NS1_11comp_targetILNS1_3genE4ELNS1_11target_archE910ELNS1_3gpuE8ELNS1_3repE0EEENS1_30default_config_static_selectorELNS0_4arch9wavefront6targetE1EEEvT1_, .Lfunc_end1719-_ZN7rocprim17ROCPRIM_400000_NS6detail17trampoline_kernelINS0_14default_configENS1_27scan_by_key_config_selectorIiiEEZZNS1_16scan_by_key_implILNS1_25lookback_scan_determinismE0ELb1ES3_N6thrust23THRUST_200600_302600_NS6detail15normal_iteratorINS9_10device_ptrIiEEEENSB_INSC_IjEEEENSB_INSC_IfEEEEiNS9_4plusIvEENS9_8equal_toIvEEiEE10hipError_tPvRmT2_T3_T4_T5_mT6_T7_P12ihipStream_tbENKUlT_T0_E_clISt17integral_constantIbLb0EES13_EEDaSY_SZ_EUlSY_E_NS1_11comp_targetILNS1_3genE4ELNS1_11target_archE910ELNS1_3gpuE8ELNS1_3repE0EEENS1_30default_config_static_selectorELNS0_4arch9wavefront6targetE1EEEvT1_
                                        ; -- End function
	.section	.AMDGPU.csdata,"",@progbits
; Kernel info:
; codeLenInByte = 0
; NumSgprs: 6
; NumVgprs: 0
; NumAgprs: 0
; TotalNumVgprs: 0
; ScratchSize: 0
; MemoryBound: 0
; FloatMode: 240
; IeeeMode: 1
; LDSByteSize: 0 bytes/workgroup (compile time only)
; SGPRBlocks: 0
; VGPRBlocks: 0
; NumSGPRsForWavesPerEU: 6
; NumVGPRsForWavesPerEU: 1
; AccumOffset: 4
; Occupancy: 8
; WaveLimiterHint : 0
; COMPUTE_PGM_RSRC2:SCRATCH_EN: 0
; COMPUTE_PGM_RSRC2:USER_SGPR: 2
; COMPUTE_PGM_RSRC2:TRAP_HANDLER: 0
; COMPUTE_PGM_RSRC2:TGID_X_EN: 1
; COMPUTE_PGM_RSRC2:TGID_Y_EN: 0
; COMPUTE_PGM_RSRC2:TGID_Z_EN: 0
; COMPUTE_PGM_RSRC2:TIDIG_COMP_CNT: 0
; COMPUTE_PGM_RSRC3_GFX90A:ACCUM_OFFSET: 0
; COMPUTE_PGM_RSRC3_GFX90A:TG_SPLIT: 0
	.section	.text._ZN7rocprim17ROCPRIM_400000_NS6detail17trampoline_kernelINS0_14default_configENS1_27scan_by_key_config_selectorIiiEEZZNS1_16scan_by_key_implILNS1_25lookback_scan_determinismE0ELb1ES3_N6thrust23THRUST_200600_302600_NS6detail15normal_iteratorINS9_10device_ptrIiEEEENSB_INSC_IjEEEENSB_INSC_IfEEEEiNS9_4plusIvEENS9_8equal_toIvEEiEE10hipError_tPvRmT2_T3_T4_T5_mT6_T7_P12ihipStream_tbENKUlT_T0_E_clISt17integral_constantIbLb0EES13_EEDaSY_SZ_EUlSY_E_NS1_11comp_targetILNS1_3genE3ELNS1_11target_archE908ELNS1_3gpuE7ELNS1_3repE0EEENS1_30default_config_static_selectorELNS0_4arch9wavefront6targetE1EEEvT1_,"axG",@progbits,_ZN7rocprim17ROCPRIM_400000_NS6detail17trampoline_kernelINS0_14default_configENS1_27scan_by_key_config_selectorIiiEEZZNS1_16scan_by_key_implILNS1_25lookback_scan_determinismE0ELb1ES3_N6thrust23THRUST_200600_302600_NS6detail15normal_iteratorINS9_10device_ptrIiEEEENSB_INSC_IjEEEENSB_INSC_IfEEEEiNS9_4plusIvEENS9_8equal_toIvEEiEE10hipError_tPvRmT2_T3_T4_T5_mT6_T7_P12ihipStream_tbENKUlT_T0_E_clISt17integral_constantIbLb0EES13_EEDaSY_SZ_EUlSY_E_NS1_11comp_targetILNS1_3genE3ELNS1_11target_archE908ELNS1_3gpuE7ELNS1_3repE0EEENS1_30default_config_static_selectorELNS0_4arch9wavefront6targetE1EEEvT1_,comdat
	.protected	_ZN7rocprim17ROCPRIM_400000_NS6detail17trampoline_kernelINS0_14default_configENS1_27scan_by_key_config_selectorIiiEEZZNS1_16scan_by_key_implILNS1_25lookback_scan_determinismE0ELb1ES3_N6thrust23THRUST_200600_302600_NS6detail15normal_iteratorINS9_10device_ptrIiEEEENSB_INSC_IjEEEENSB_INSC_IfEEEEiNS9_4plusIvEENS9_8equal_toIvEEiEE10hipError_tPvRmT2_T3_T4_T5_mT6_T7_P12ihipStream_tbENKUlT_T0_E_clISt17integral_constantIbLb0EES13_EEDaSY_SZ_EUlSY_E_NS1_11comp_targetILNS1_3genE3ELNS1_11target_archE908ELNS1_3gpuE7ELNS1_3repE0EEENS1_30default_config_static_selectorELNS0_4arch9wavefront6targetE1EEEvT1_ ; -- Begin function _ZN7rocprim17ROCPRIM_400000_NS6detail17trampoline_kernelINS0_14default_configENS1_27scan_by_key_config_selectorIiiEEZZNS1_16scan_by_key_implILNS1_25lookback_scan_determinismE0ELb1ES3_N6thrust23THRUST_200600_302600_NS6detail15normal_iteratorINS9_10device_ptrIiEEEENSB_INSC_IjEEEENSB_INSC_IfEEEEiNS9_4plusIvEENS9_8equal_toIvEEiEE10hipError_tPvRmT2_T3_T4_T5_mT6_T7_P12ihipStream_tbENKUlT_T0_E_clISt17integral_constantIbLb0EES13_EEDaSY_SZ_EUlSY_E_NS1_11comp_targetILNS1_3genE3ELNS1_11target_archE908ELNS1_3gpuE7ELNS1_3repE0EEENS1_30default_config_static_selectorELNS0_4arch9wavefront6targetE1EEEvT1_
	.globl	_ZN7rocprim17ROCPRIM_400000_NS6detail17trampoline_kernelINS0_14default_configENS1_27scan_by_key_config_selectorIiiEEZZNS1_16scan_by_key_implILNS1_25lookback_scan_determinismE0ELb1ES3_N6thrust23THRUST_200600_302600_NS6detail15normal_iteratorINS9_10device_ptrIiEEEENSB_INSC_IjEEEENSB_INSC_IfEEEEiNS9_4plusIvEENS9_8equal_toIvEEiEE10hipError_tPvRmT2_T3_T4_T5_mT6_T7_P12ihipStream_tbENKUlT_T0_E_clISt17integral_constantIbLb0EES13_EEDaSY_SZ_EUlSY_E_NS1_11comp_targetILNS1_3genE3ELNS1_11target_archE908ELNS1_3gpuE7ELNS1_3repE0EEENS1_30default_config_static_selectorELNS0_4arch9wavefront6targetE1EEEvT1_
	.p2align	8
	.type	_ZN7rocprim17ROCPRIM_400000_NS6detail17trampoline_kernelINS0_14default_configENS1_27scan_by_key_config_selectorIiiEEZZNS1_16scan_by_key_implILNS1_25lookback_scan_determinismE0ELb1ES3_N6thrust23THRUST_200600_302600_NS6detail15normal_iteratorINS9_10device_ptrIiEEEENSB_INSC_IjEEEENSB_INSC_IfEEEEiNS9_4plusIvEENS9_8equal_toIvEEiEE10hipError_tPvRmT2_T3_T4_T5_mT6_T7_P12ihipStream_tbENKUlT_T0_E_clISt17integral_constantIbLb0EES13_EEDaSY_SZ_EUlSY_E_NS1_11comp_targetILNS1_3genE3ELNS1_11target_archE908ELNS1_3gpuE7ELNS1_3repE0EEENS1_30default_config_static_selectorELNS0_4arch9wavefront6targetE1EEEvT1_,@function
_ZN7rocprim17ROCPRIM_400000_NS6detail17trampoline_kernelINS0_14default_configENS1_27scan_by_key_config_selectorIiiEEZZNS1_16scan_by_key_implILNS1_25lookback_scan_determinismE0ELb1ES3_N6thrust23THRUST_200600_302600_NS6detail15normal_iteratorINS9_10device_ptrIiEEEENSB_INSC_IjEEEENSB_INSC_IfEEEEiNS9_4plusIvEENS9_8equal_toIvEEiEE10hipError_tPvRmT2_T3_T4_T5_mT6_T7_P12ihipStream_tbENKUlT_T0_E_clISt17integral_constantIbLb0EES13_EEDaSY_SZ_EUlSY_E_NS1_11comp_targetILNS1_3genE3ELNS1_11target_archE908ELNS1_3gpuE7ELNS1_3repE0EEENS1_30default_config_static_selectorELNS0_4arch9wavefront6targetE1EEEvT1_: ; @_ZN7rocprim17ROCPRIM_400000_NS6detail17trampoline_kernelINS0_14default_configENS1_27scan_by_key_config_selectorIiiEEZZNS1_16scan_by_key_implILNS1_25lookback_scan_determinismE0ELb1ES3_N6thrust23THRUST_200600_302600_NS6detail15normal_iteratorINS9_10device_ptrIiEEEENSB_INSC_IjEEEENSB_INSC_IfEEEEiNS9_4plusIvEENS9_8equal_toIvEEiEE10hipError_tPvRmT2_T3_T4_T5_mT6_T7_P12ihipStream_tbENKUlT_T0_E_clISt17integral_constantIbLb0EES13_EEDaSY_SZ_EUlSY_E_NS1_11comp_targetILNS1_3genE3ELNS1_11target_archE908ELNS1_3gpuE7ELNS1_3repE0EEENS1_30default_config_static_selectorELNS0_4arch9wavefront6targetE1EEEvT1_
; %bb.0:
	.section	.rodata,"a",@progbits
	.p2align	6, 0x0
	.amdhsa_kernel _ZN7rocprim17ROCPRIM_400000_NS6detail17trampoline_kernelINS0_14default_configENS1_27scan_by_key_config_selectorIiiEEZZNS1_16scan_by_key_implILNS1_25lookback_scan_determinismE0ELb1ES3_N6thrust23THRUST_200600_302600_NS6detail15normal_iteratorINS9_10device_ptrIiEEEENSB_INSC_IjEEEENSB_INSC_IfEEEEiNS9_4plusIvEENS9_8equal_toIvEEiEE10hipError_tPvRmT2_T3_T4_T5_mT6_T7_P12ihipStream_tbENKUlT_T0_E_clISt17integral_constantIbLb0EES13_EEDaSY_SZ_EUlSY_E_NS1_11comp_targetILNS1_3genE3ELNS1_11target_archE908ELNS1_3gpuE7ELNS1_3repE0EEENS1_30default_config_static_selectorELNS0_4arch9wavefront6targetE1EEEvT1_
		.amdhsa_group_segment_fixed_size 0
		.amdhsa_private_segment_fixed_size 0
		.amdhsa_kernarg_size 112
		.amdhsa_user_sgpr_count 2
		.amdhsa_user_sgpr_dispatch_ptr 0
		.amdhsa_user_sgpr_queue_ptr 0
		.amdhsa_user_sgpr_kernarg_segment_ptr 1
		.amdhsa_user_sgpr_dispatch_id 0
		.amdhsa_user_sgpr_kernarg_preload_length 0
		.amdhsa_user_sgpr_kernarg_preload_offset 0
		.amdhsa_user_sgpr_private_segment_size 0
		.amdhsa_uses_dynamic_stack 0
		.amdhsa_enable_private_segment 0
		.amdhsa_system_sgpr_workgroup_id_x 1
		.amdhsa_system_sgpr_workgroup_id_y 0
		.amdhsa_system_sgpr_workgroup_id_z 0
		.amdhsa_system_sgpr_workgroup_info 0
		.amdhsa_system_vgpr_workitem_id 0
		.amdhsa_next_free_vgpr 1
		.amdhsa_next_free_sgpr 0
		.amdhsa_accum_offset 4
		.amdhsa_reserve_vcc 0
		.amdhsa_float_round_mode_32 0
		.amdhsa_float_round_mode_16_64 0
		.amdhsa_float_denorm_mode_32 3
		.amdhsa_float_denorm_mode_16_64 3
		.amdhsa_dx10_clamp 1
		.amdhsa_ieee_mode 1
		.amdhsa_fp16_overflow 0
		.amdhsa_tg_split 0
		.amdhsa_exception_fp_ieee_invalid_op 0
		.amdhsa_exception_fp_denorm_src 0
		.amdhsa_exception_fp_ieee_div_zero 0
		.amdhsa_exception_fp_ieee_overflow 0
		.amdhsa_exception_fp_ieee_underflow 0
		.amdhsa_exception_fp_ieee_inexact 0
		.amdhsa_exception_int_div_zero 0
	.end_amdhsa_kernel
	.section	.text._ZN7rocprim17ROCPRIM_400000_NS6detail17trampoline_kernelINS0_14default_configENS1_27scan_by_key_config_selectorIiiEEZZNS1_16scan_by_key_implILNS1_25lookback_scan_determinismE0ELb1ES3_N6thrust23THRUST_200600_302600_NS6detail15normal_iteratorINS9_10device_ptrIiEEEENSB_INSC_IjEEEENSB_INSC_IfEEEEiNS9_4plusIvEENS9_8equal_toIvEEiEE10hipError_tPvRmT2_T3_T4_T5_mT6_T7_P12ihipStream_tbENKUlT_T0_E_clISt17integral_constantIbLb0EES13_EEDaSY_SZ_EUlSY_E_NS1_11comp_targetILNS1_3genE3ELNS1_11target_archE908ELNS1_3gpuE7ELNS1_3repE0EEENS1_30default_config_static_selectorELNS0_4arch9wavefront6targetE1EEEvT1_,"axG",@progbits,_ZN7rocprim17ROCPRIM_400000_NS6detail17trampoline_kernelINS0_14default_configENS1_27scan_by_key_config_selectorIiiEEZZNS1_16scan_by_key_implILNS1_25lookback_scan_determinismE0ELb1ES3_N6thrust23THRUST_200600_302600_NS6detail15normal_iteratorINS9_10device_ptrIiEEEENSB_INSC_IjEEEENSB_INSC_IfEEEEiNS9_4plusIvEENS9_8equal_toIvEEiEE10hipError_tPvRmT2_T3_T4_T5_mT6_T7_P12ihipStream_tbENKUlT_T0_E_clISt17integral_constantIbLb0EES13_EEDaSY_SZ_EUlSY_E_NS1_11comp_targetILNS1_3genE3ELNS1_11target_archE908ELNS1_3gpuE7ELNS1_3repE0EEENS1_30default_config_static_selectorELNS0_4arch9wavefront6targetE1EEEvT1_,comdat
.Lfunc_end1720:
	.size	_ZN7rocprim17ROCPRIM_400000_NS6detail17trampoline_kernelINS0_14default_configENS1_27scan_by_key_config_selectorIiiEEZZNS1_16scan_by_key_implILNS1_25lookback_scan_determinismE0ELb1ES3_N6thrust23THRUST_200600_302600_NS6detail15normal_iteratorINS9_10device_ptrIiEEEENSB_INSC_IjEEEENSB_INSC_IfEEEEiNS9_4plusIvEENS9_8equal_toIvEEiEE10hipError_tPvRmT2_T3_T4_T5_mT6_T7_P12ihipStream_tbENKUlT_T0_E_clISt17integral_constantIbLb0EES13_EEDaSY_SZ_EUlSY_E_NS1_11comp_targetILNS1_3genE3ELNS1_11target_archE908ELNS1_3gpuE7ELNS1_3repE0EEENS1_30default_config_static_selectorELNS0_4arch9wavefront6targetE1EEEvT1_, .Lfunc_end1720-_ZN7rocprim17ROCPRIM_400000_NS6detail17trampoline_kernelINS0_14default_configENS1_27scan_by_key_config_selectorIiiEEZZNS1_16scan_by_key_implILNS1_25lookback_scan_determinismE0ELb1ES3_N6thrust23THRUST_200600_302600_NS6detail15normal_iteratorINS9_10device_ptrIiEEEENSB_INSC_IjEEEENSB_INSC_IfEEEEiNS9_4plusIvEENS9_8equal_toIvEEiEE10hipError_tPvRmT2_T3_T4_T5_mT6_T7_P12ihipStream_tbENKUlT_T0_E_clISt17integral_constantIbLb0EES13_EEDaSY_SZ_EUlSY_E_NS1_11comp_targetILNS1_3genE3ELNS1_11target_archE908ELNS1_3gpuE7ELNS1_3repE0EEENS1_30default_config_static_selectorELNS0_4arch9wavefront6targetE1EEEvT1_
                                        ; -- End function
	.section	.AMDGPU.csdata,"",@progbits
; Kernel info:
; codeLenInByte = 0
; NumSgprs: 6
; NumVgprs: 0
; NumAgprs: 0
; TotalNumVgprs: 0
; ScratchSize: 0
; MemoryBound: 0
; FloatMode: 240
; IeeeMode: 1
; LDSByteSize: 0 bytes/workgroup (compile time only)
; SGPRBlocks: 0
; VGPRBlocks: 0
; NumSGPRsForWavesPerEU: 6
; NumVGPRsForWavesPerEU: 1
; AccumOffset: 4
; Occupancy: 8
; WaveLimiterHint : 0
; COMPUTE_PGM_RSRC2:SCRATCH_EN: 0
; COMPUTE_PGM_RSRC2:USER_SGPR: 2
; COMPUTE_PGM_RSRC2:TRAP_HANDLER: 0
; COMPUTE_PGM_RSRC2:TGID_X_EN: 1
; COMPUTE_PGM_RSRC2:TGID_Y_EN: 0
; COMPUTE_PGM_RSRC2:TGID_Z_EN: 0
; COMPUTE_PGM_RSRC2:TIDIG_COMP_CNT: 0
; COMPUTE_PGM_RSRC3_GFX90A:ACCUM_OFFSET: 0
; COMPUTE_PGM_RSRC3_GFX90A:TG_SPLIT: 0
	.section	.text._ZN7rocprim17ROCPRIM_400000_NS6detail17trampoline_kernelINS0_14default_configENS1_27scan_by_key_config_selectorIiiEEZZNS1_16scan_by_key_implILNS1_25lookback_scan_determinismE0ELb1ES3_N6thrust23THRUST_200600_302600_NS6detail15normal_iteratorINS9_10device_ptrIiEEEENSB_INSC_IjEEEENSB_INSC_IfEEEEiNS9_4plusIvEENS9_8equal_toIvEEiEE10hipError_tPvRmT2_T3_T4_T5_mT6_T7_P12ihipStream_tbENKUlT_T0_E_clISt17integral_constantIbLb0EES13_EEDaSY_SZ_EUlSY_E_NS1_11comp_targetILNS1_3genE2ELNS1_11target_archE906ELNS1_3gpuE6ELNS1_3repE0EEENS1_30default_config_static_selectorELNS0_4arch9wavefront6targetE1EEEvT1_,"axG",@progbits,_ZN7rocprim17ROCPRIM_400000_NS6detail17trampoline_kernelINS0_14default_configENS1_27scan_by_key_config_selectorIiiEEZZNS1_16scan_by_key_implILNS1_25lookback_scan_determinismE0ELb1ES3_N6thrust23THRUST_200600_302600_NS6detail15normal_iteratorINS9_10device_ptrIiEEEENSB_INSC_IjEEEENSB_INSC_IfEEEEiNS9_4plusIvEENS9_8equal_toIvEEiEE10hipError_tPvRmT2_T3_T4_T5_mT6_T7_P12ihipStream_tbENKUlT_T0_E_clISt17integral_constantIbLb0EES13_EEDaSY_SZ_EUlSY_E_NS1_11comp_targetILNS1_3genE2ELNS1_11target_archE906ELNS1_3gpuE6ELNS1_3repE0EEENS1_30default_config_static_selectorELNS0_4arch9wavefront6targetE1EEEvT1_,comdat
	.protected	_ZN7rocprim17ROCPRIM_400000_NS6detail17trampoline_kernelINS0_14default_configENS1_27scan_by_key_config_selectorIiiEEZZNS1_16scan_by_key_implILNS1_25lookback_scan_determinismE0ELb1ES3_N6thrust23THRUST_200600_302600_NS6detail15normal_iteratorINS9_10device_ptrIiEEEENSB_INSC_IjEEEENSB_INSC_IfEEEEiNS9_4plusIvEENS9_8equal_toIvEEiEE10hipError_tPvRmT2_T3_T4_T5_mT6_T7_P12ihipStream_tbENKUlT_T0_E_clISt17integral_constantIbLb0EES13_EEDaSY_SZ_EUlSY_E_NS1_11comp_targetILNS1_3genE2ELNS1_11target_archE906ELNS1_3gpuE6ELNS1_3repE0EEENS1_30default_config_static_selectorELNS0_4arch9wavefront6targetE1EEEvT1_ ; -- Begin function _ZN7rocprim17ROCPRIM_400000_NS6detail17trampoline_kernelINS0_14default_configENS1_27scan_by_key_config_selectorIiiEEZZNS1_16scan_by_key_implILNS1_25lookback_scan_determinismE0ELb1ES3_N6thrust23THRUST_200600_302600_NS6detail15normal_iteratorINS9_10device_ptrIiEEEENSB_INSC_IjEEEENSB_INSC_IfEEEEiNS9_4plusIvEENS9_8equal_toIvEEiEE10hipError_tPvRmT2_T3_T4_T5_mT6_T7_P12ihipStream_tbENKUlT_T0_E_clISt17integral_constantIbLb0EES13_EEDaSY_SZ_EUlSY_E_NS1_11comp_targetILNS1_3genE2ELNS1_11target_archE906ELNS1_3gpuE6ELNS1_3repE0EEENS1_30default_config_static_selectorELNS0_4arch9wavefront6targetE1EEEvT1_
	.globl	_ZN7rocprim17ROCPRIM_400000_NS6detail17trampoline_kernelINS0_14default_configENS1_27scan_by_key_config_selectorIiiEEZZNS1_16scan_by_key_implILNS1_25lookback_scan_determinismE0ELb1ES3_N6thrust23THRUST_200600_302600_NS6detail15normal_iteratorINS9_10device_ptrIiEEEENSB_INSC_IjEEEENSB_INSC_IfEEEEiNS9_4plusIvEENS9_8equal_toIvEEiEE10hipError_tPvRmT2_T3_T4_T5_mT6_T7_P12ihipStream_tbENKUlT_T0_E_clISt17integral_constantIbLb0EES13_EEDaSY_SZ_EUlSY_E_NS1_11comp_targetILNS1_3genE2ELNS1_11target_archE906ELNS1_3gpuE6ELNS1_3repE0EEENS1_30default_config_static_selectorELNS0_4arch9wavefront6targetE1EEEvT1_
	.p2align	8
	.type	_ZN7rocprim17ROCPRIM_400000_NS6detail17trampoline_kernelINS0_14default_configENS1_27scan_by_key_config_selectorIiiEEZZNS1_16scan_by_key_implILNS1_25lookback_scan_determinismE0ELb1ES3_N6thrust23THRUST_200600_302600_NS6detail15normal_iteratorINS9_10device_ptrIiEEEENSB_INSC_IjEEEENSB_INSC_IfEEEEiNS9_4plusIvEENS9_8equal_toIvEEiEE10hipError_tPvRmT2_T3_T4_T5_mT6_T7_P12ihipStream_tbENKUlT_T0_E_clISt17integral_constantIbLb0EES13_EEDaSY_SZ_EUlSY_E_NS1_11comp_targetILNS1_3genE2ELNS1_11target_archE906ELNS1_3gpuE6ELNS1_3repE0EEENS1_30default_config_static_selectorELNS0_4arch9wavefront6targetE1EEEvT1_,@function
_ZN7rocprim17ROCPRIM_400000_NS6detail17trampoline_kernelINS0_14default_configENS1_27scan_by_key_config_selectorIiiEEZZNS1_16scan_by_key_implILNS1_25lookback_scan_determinismE0ELb1ES3_N6thrust23THRUST_200600_302600_NS6detail15normal_iteratorINS9_10device_ptrIiEEEENSB_INSC_IjEEEENSB_INSC_IfEEEEiNS9_4plusIvEENS9_8equal_toIvEEiEE10hipError_tPvRmT2_T3_T4_T5_mT6_T7_P12ihipStream_tbENKUlT_T0_E_clISt17integral_constantIbLb0EES13_EEDaSY_SZ_EUlSY_E_NS1_11comp_targetILNS1_3genE2ELNS1_11target_archE906ELNS1_3gpuE6ELNS1_3repE0EEENS1_30default_config_static_selectorELNS0_4arch9wavefront6targetE1EEEvT1_: ; @_ZN7rocprim17ROCPRIM_400000_NS6detail17trampoline_kernelINS0_14default_configENS1_27scan_by_key_config_selectorIiiEEZZNS1_16scan_by_key_implILNS1_25lookback_scan_determinismE0ELb1ES3_N6thrust23THRUST_200600_302600_NS6detail15normal_iteratorINS9_10device_ptrIiEEEENSB_INSC_IjEEEENSB_INSC_IfEEEEiNS9_4plusIvEENS9_8equal_toIvEEiEE10hipError_tPvRmT2_T3_T4_T5_mT6_T7_P12ihipStream_tbENKUlT_T0_E_clISt17integral_constantIbLb0EES13_EEDaSY_SZ_EUlSY_E_NS1_11comp_targetILNS1_3genE2ELNS1_11target_archE906ELNS1_3gpuE6ELNS1_3repE0EEENS1_30default_config_static_selectorELNS0_4arch9wavefront6targetE1EEEvT1_
; %bb.0:
	.section	.rodata,"a",@progbits
	.p2align	6, 0x0
	.amdhsa_kernel _ZN7rocprim17ROCPRIM_400000_NS6detail17trampoline_kernelINS0_14default_configENS1_27scan_by_key_config_selectorIiiEEZZNS1_16scan_by_key_implILNS1_25lookback_scan_determinismE0ELb1ES3_N6thrust23THRUST_200600_302600_NS6detail15normal_iteratorINS9_10device_ptrIiEEEENSB_INSC_IjEEEENSB_INSC_IfEEEEiNS9_4plusIvEENS9_8equal_toIvEEiEE10hipError_tPvRmT2_T3_T4_T5_mT6_T7_P12ihipStream_tbENKUlT_T0_E_clISt17integral_constantIbLb0EES13_EEDaSY_SZ_EUlSY_E_NS1_11comp_targetILNS1_3genE2ELNS1_11target_archE906ELNS1_3gpuE6ELNS1_3repE0EEENS1_30default_config_static_selectorELNS0_4arch9wavefront6targetE1EEEvT1_
		.amdhsa_group_segment_fixed_size 0
		.amdhsa_private_segment_fixed_size 0
		.amdhsa_kernarg_size 112
		.amdhsa_user_sgpr_count 2
		.amdhsa_user_sgpr_dispatch_ptr 0
		.amdhsa_user_sgpr_queue_ptr 0
		.amdhsa_user_sgpr_kernarg_segment_ptr 1
		.amdhsa_user_sgpr_dispatch_id 0
		.amdhsa_user_sgpr_kernarg_preload_length 0
		.amdhsa_user_sgpr_kernarg_preload_offset 0
		.amdhsa_user_sgpr_private_segment_size 0
		.amdhsa_uses_dynamic_stack 0
		.amdhsa_enable_private_segment 0
		.amdhsa_system_sgpr_workgroup_id_x 1
		.amdhsa_system_sgpr_workgroup_id_y 0
		.amdhsa_system_sgpr_workgroup_id_z 0
		.amdhsa_system_sgpr_workgroup_info 0
		.amdhsa_system_vgpr_workitem_id 0
		.amdhsa_next_free_vgpr 1
		.amdhsa_next_free_sgpr 0
		.amdhsa_accum_offset 4
		.amdhsa_reserve_vcc 0
		.amdhsa_float_round_mode_32 0
		.amdhsa_float_round_mode_16_64 0
		.amdhsa_float_denorm_mode_32 3
		.amdhsa_float_denorm_mode_16_64 3
		.amdhsa_dx10_clamp 1
		.amdhsa_ieee_mode 1
		.amdhsa_fp16_overflow 0
		.amdhsa_tg_split 0
		.amdhsa_exception_fp_ieee_invalid_op 0
		.amdhsa_exception_fp_denorm_src 0
		.amdhsa_exception_fp_ieee_div_zero 0
		.amdhsa_exception_fp_ieee_overflow 0
		.amdhsa_exception_fp_ieee_underflow 0
		.amdhsa_exception_fp_ieee_inexact 0
		.amdhsa_exception_int_div_zero 0
	.end_amdhsa_kernel
	.section	.text._ZN7rocprim17ROCPRIM_400000_NS6detail17trampoline_kernelINS0_14default_configENS1_27scan_by_key_config_selectorIiiEEZZNS1_16scan_by_key_implILNS1_25lookback_scan_determinismE0ELb1ES3_N6thrust23THRUST_200600_302600_NS6detail15normal_iteratorINS9_10device_ptrIiEEEENSB_INSC_IjEEEENSB_INSC_IfEEEEiNS9_4plusIvEENS9_8equal_toIvEEiEE10hipError_tPvRmT2_T3_T4_T5_mT6_T7_P12ihipStream_tbENKUlT_T0_E_clISt17integral_constantIbLb0EES13_EEDaSY_SZ_EUlSY_E_NS1_11comp_targetILNS1_3genE2ELNS1_11target_archE906ELNS1_3gpuE6ELNS1_3repE0EEENS1_30default_config_static_selectorELNS0_4arch9wavefront6targetE1EEEvT1_,"axG",@progbits,_ZN7rocprim17ROCPRIM_400000_NS6detail17trampoline_kernelINS0_14default_configENS1_27scan_by_key_config_selectorIiiEEZZNS1_16scan_by_key_implILNS1_25lookback_scan_determinismE0ELb1ES3_N6thrust23THRUST_200600_302600_NS6detail15normal_iteratorINS9_10device_ptrIiEEEENSB_INSC_IjEEEENSB_INSC_IfEEEEiNS9_4plusIvEENS9_8equal_toIvEEiEE10hipError_tPvRmT2_T3_T4_T5_mT6_T7_P12ihipStream_tbENKUlT_T0_E_clISt17integral_constantIbLb0EES13_EEDaSY_SZ_EUlSY_E_NS1_11comp_targetILNS1_3genE2ELNS1_11target_archE906ELNS1_3gpuE6ELNS1_3repE0EEENS1_30default_config_static_selectorELNS0_4arch9wavefront6targetE1EEEvT1_,comdat
.Lfunc_end1721:
	.size	_ZN7rocprim17ROCPRIM_400000_NS6detail17trampoline_kernelINS0_14default_configENS1_27scan_by_key_config_selectorIiiEEZZNS1_16scan_by_key_implILNS1_25lookback_scan_determinismE0ELb1ES3_N6thrust23THRUST_200600_302600_NS6detail15normal_iteratorINS9_10device_ptrIiEEEENSB_INSC_IjEEEENSB_INSC_IfEEEEiNS9_4plusIvEENS9_8equal_toIvEEiEE10hipError_tPvRmT2_T3_T4_T5_mT6_T7_P12ihipStream_tbENKUlT_T0_E_clISt17integral_constantIbLb0EES13_EEDaSY_SZ_EUlSY_E_NS1_11comp_targetILNS1_3genE2ELNS1_11target_archE906ELNS1_3gpuE6ELNS1_3repE0EEENS1_30default_config_static_selectorELNS0_4arch9wavefront6targetE1EEEvT1_, .Lfunc_end1721-_ZN7rocprim17ROCPRIM_400000_NS6detail17trampoline_kernelINS0_14default_configENS1_27scan_by_key_config_selectorIiiEEZZNS1_16scan_by_key_implILNS1_25lookback_scan_determinismE0ELb1ES3_N6thrust23THRUST_200600_302600_NS6detail15normal_iteratorINS9_10device_ptrIiEEEENSB_INSC_IjEEEENSB_INSC_IfEEEEiNS9_4plusIvEENS9_8equal_toIvEEiEE10hipError_tPvRmT2_T3_T4_T5_mT6_T7_P12ihipStream_tbENKUlT_T0_E_clISt17integral_constantIbLb0EES13_EEDaSY_SZ_EUlSY_E_NS1_11comp_targetILNS1_3genE2ELNS1_11target_archE906ELNS1_3gpuE6ELNS1_3repE0EEENS1_30default_config_static_selectorELNS0_4arch9wavefront6targetE1EEEvT1_
                                        ; -- End function
	.section	.AMDGPU.csdata,"",@progbits
; Kernel info:
; codeLenInByte = 0
; NumSgprs: 6
; NumVgprs: 0
; NumAgprs: 0
; TotalNumVgprs: 0
; ScratchSize: 0
; MemoryBound: 0
; FloatMode: 240
; IeeeMode: 1
; LDSByteSize: 0 bytes/workgroup (compile time only)
; SGPRBlocks: 0
; VGPRBlocks: 0
; NumSGPRsForWavesPerEU: 6
; NumVGPRsForWavesPerEU: 1
; AccumOffset: 4
; Occupancy: 8
; WaveLimiterHint : 0
; COMPUTE_PGM_RSRC2:SCRATCH_EN: 0
; COMPUTE_PGM_RSRC2:USER_SGPR: 2
; COMPUTE_PGM_RSRC2:TRAP_HANDLER: 0
; COMPUTE_PGM_RSRC2:TGID_X_EN: 1
; COMPUTE_PGM_RSRC2:TGID_Y_EN: 0
; COMPUTE_PGM_RSRC2:TGID_Z_EN: 0
; COMPUTE_PGM_RSRC2:TIDIG_COMP_CNT: 0
; COMPUTE_PGM_RSRC3_GFX90A:ACCUM_OFFSET: 0
; COMPUTE_PGM_RSRC3_GFX90A:TG_SPLIT: 0
	.section	.text._ZN7rocprim17ROCPRIM_400000_NS6detail17trampoline_kernelINS0_14default_configENS1_27scan_by_key_config_selectorIiiEEZZNS1_16scan_by_key_implILNS1_25lookback_scan_determinismE0ELb1ES3_N6thrust23THRUST_200600_302600_NS6detail15normal_iteratorINS9_10device_ptrIiEEEENSB_INSC_IjEEEENSB_INSC_IfEEEEiNS9_4plusIvEENS9_8equal_toIvEEiEE10hipError_tPvRmT2_T3_T4_T5_mT6_T7_P12ihipStream_tbENKUlT_T0_E_clISt17integral_constantIbLb0EES13_EEDaSY_SZ_EUlSY_E_NS1_11comp_targetILNS1_3genE10ELNS1_11target_archE1200ELNS1_3gpuE4ELNS1_3repE0EEENS1_30default_config_static_selectorELNS0_4arch9wavefront6targetE1EEEvT1_,"axG",@progbits,_ZN7rocprim17ROCPRIM_400000_NS6detail17trampoline_kernelINS0_14default_configENS1_27scan_by_key_config_selectorIiiEEZZNS1_16scan_by_key_implILNS1_25lookback_scan_determinismE0ELb1ES3_N6thrust23THRUST_200600_302600_NS6detail15normal_iteratorINS9_10device_ptrIiEEEENSB_INSC_IjEEEENSB_INSC_IfEEEEiNS9_4plusIvEENS9_8equal_toIvEEiEE10hipError_tPvRmT2_T3_T4_T5_mT6_T7_P12ihipStream_tbENKUlT_T0_E_clISt17integral_constantIbLb0EES13_EEDaSY_SZ_EUlSY_E_NS1_11comp_targetILNS1_3genE10ELNS1_11target_archE1200ELNS1_3gpuE4ELNS1_3repE0EEENS1_30default_config_static_selectorELNS0_4arch9wavefront6targetE1EEEvT1_,comdat
	.protected	_ZN7rocprim17ROCPRIM_400000_NS6detail17trampoline_kernelINS0_14default_configENS1_27scan_by_key_config_selectorIiiEEZZNS1_16scan_by_key_implILNS1_25lookback_scan_determinismE0ELb1ES3_N6thrust23THRUST_200600_302600_NS6detail15normal_iteratorINS9_10device_ptrIiEEEENSB_INSC_IjEEEENSB_INSC_IfEEEEiNS9_4plusIvEENS9_8equal_toIvEEiEE10hipError_tPvRmT2_T3_T4_T5_mT6_T7_P12ihipStream_tbENKUlT_T0_E_clISt17integral_constantIbLb0EES13_EEDaSY_SZ_EUlSY_E_NS1_11comp_targetILNS1_3genE10ELNS1_11target_archE1200ELNS1_3gpuE4ELNS1_3repE0EEENS1_30default_config_static_selectorELNS0_4arch9wavefront6targetE1EEEvT1_ ; -- Begin function _ZN7rocprim17ROCPRIM_400000_NS6detail17trampoline_kernelINS0_14default_configENS1_27scan_by_key_config_selectorIiiEEZZNS1_16scan_by_key_implILNS1_25lookback_scan_determinismE0ELb1ES3_N6thrust23THRUST_200600_302600_NS6detail15normal_iteratorINS9_10device_ptrIiEEEENSB_INSC_IjEEEENSB_INSC_IfEEEEiNS9_4plusIvEENS9_8equal_toIvEEiEE10hipError_tPvRmT2_T3_T4_T5_mT6_T7_P12ihipStream_tbENKUlT_T0_E_clISt17integral_constantIbLb0EES13_EEDaSY_SZ_EUlSY_E_NS1_11comp_targetILNS1_3genE10ELNS1_11target_archE1200ELNS1_3gpuE4ELNS1_3repE0EEENS1_30default_config_static_selectorELNS0_4arch9wavefront6targetE1EEEvT1_
	.globl	_ZN7rocprim17ROCPRIM_400000_NS6detail17trampoline_kernelINS0_14default_configENS1_27scan_by_key_config_selectorIiiEEZZNS1_16scan_by_key_implILNS1_25lookback_scan_determinismE0ELb1ES3_N6thrust23THRUST_200600_302600_NS6detail15normal_iteratorINS9_10device_ptrIiEEEENSB_INSC_IjEEEENSB_INSC_IfEEEEiNS9_4plusIvEENS9_8equal_toIvEEiEE10hipError_tPvRmT2_T3_T4_T5_mT6_T7_P12ihipStream_tbENKUlT_T0_E_clISt17integral_constantIbLb0EES13_EEDaSY_SZ_EUlSY_E_NS1_11comp_targetILNS1_3genE10ELNS1_11target_archE1200ELNS1_3gpuE4ELNS1_3repE0EEENS1_30default_config_static_selectorELNS0_4arch9wavefront6targetE1EEEvT1_
	.p2align	8
	.type	_ZN7rocprim17ROCPRIM_400000_NS6detail17trampoline_kernelINS0_14default_configENS1_27scan_by_key_config_selectorIiiEEZZNS1_16scan_by_key_implILNS1_25lookback_scan_determinismE0ELb1ES3_N6thrust23THRUST_200600_302600_NS6detail15normal_iteratorINS9_10device_ptrIiEEEENSB_INSC_IjEEEENSB_INSC_IfEEEEiNS9_4plusIvEENS9_8equal_toIvEEiEE10hipError_tPvRmT2_T3_T4_T5_mT6_T7_P12ihipStream_tbENKUlT_T0_E_clISt17integral_constantIbLb0EES13_EEDaSY_SZ_EUlSY_E_NS1_11comp_targetILNS1_3genE10ELNS1_11target_archE1200ELNS1_3gpuE4ELNS1_3repE0EEENS1_30default_config_static_selectorELNS0_4arch9wavefront6targetE1EEEvT1_,@function
_ZN7rocprim17ROCPRIM_400000_NS6detail17trampoline_kernelINS0_14default_configENS1_27scan_by_key_config_selectorIiiEEZZNS1_16scan_by_key_implILNS1_25lookback_scan_determinismE0ELb1ES3_N6thrust23THRUST_200600_302600_NS6detail15normal_iteratorINS9_10device_ptrIiEEEENSB_INSC_IjEEEENSB_INSC_IfEEEEiNS9_4plusIvEENS9_8equal_toIvEEiEE10hipError_tPvRmT2_T3_T4_T5_mT6_T7_P12ihipStream_tbENKUlT_T0_E_clISt17integral_constantIbLb0EES13_EEDaSY_SZ_EUlSY_E_NS1_11comp_targetILNS1_3genE10ELNS1_11target_archE1200ELNS1_3gpuE4ELNS1_3repE0EEENS1_30default_config_static_selectorELNS0_4arch9wavefront6targetE1EEEvT1_: ; @_ZN7rocprim17ROCPRIM_400000_NS6detail17trampoline_kernelINS0_14default_configENS1_27scan_by_key_config_selectorIiiEEZZNS1_16scan_by_key_implILNS1_25lookback_scan_determinismE0ELb1ES3_N6thrust23THRUST_200600_302600_NS6detail15normal_iteratorINS9_10device_ptrIiEEEENSB_INSC_IjEEEENSB_INSC_IfEEEEiNS9_4plusIvEENS9_8equal_toIvEEiEE10hipError_tPvRmT2_T3_T4_T5_mT6_T7_P12ihipStream_tbENKUlT_T0_E_clISt17integral_constantIbLb0EES13_EEDaSY_SZ_EUlSY_E_NS1_11comp_targetILNS1_3genE10ELNS1_11target_archE1200ELNS1_3gpuE4ELNS1_3repE0EEENS1_30default_config_static_selectorELNS0_4arch9wavefront6targetE1EEEvT1_
; %bb.0:
	.section	.rodata,"a",@progbits
	.p2align	6, 0x0
	.amdhsa_kernel _ZN7rocprim17ROCPRIM_400000_NS6detail17trampoline_kernelINS0_14default_configENS1_27scan_by_key_config_selectorIiiEEZZNS1_16scan_by_key_implILNS1_25lookback_scan_determinismE0ELb1ES3_N6thrust23THRUST_200600_302600_NS6detail15normal_iteratorINS9_10device_ptrIiEEEENSB_INSC_IjEEEENSB_INSC_IfEEEEiNS9_4plusIvEENS9_8equal_toIvEEiEE10hipError_tPvRmT2_T3_T4_T5_mT6_T7_P12ihipStream_tbENKUlT_T0_E_clISt17integral_constantIbLb0EES13_EEDaSY_SZ_EUlSY_E_NS1_11comp_targetILNS1_3genE10ELNS1_11target_archE1200ELNS1_3gpuE4ELNS1_3repE0EEENS1_30default_config_static_selectorELNS0_4arch9wavefront6targetE1EEEvT1_
		.amdhsa_group_segment_fixed_size 0
		.amdhsa_private_segment_fixed_size 0
		.amdhsa_kernarg_size 112
		.amdhsa_user_sgpr_count 2
		.amdhsa_user_sgpr_dispatch_ptr 0
		.amdhsa_user_sgpr_queue_ptr 0
		.amdhsa_user_sgpr_kernarg_segment_ptr 1
		.amdhsa_user_sgpr_dispatch_id 0
		.amdhsa_user_sgpr_kernarg_preload_length 0
		.amdhsa_user_sgpr_kernarg_preload_offset 0
		.amdhsa_user_sgpr_private_segment_size 0
		.amdhsa_uses_dynamic_stack 0
		.amdhsa_enable_private_segment 0
		.amdhsa_system_sgpr_workgroup_id_x 1
		.amdhsa_system_sgpr_workgroup_id_y 0
		.amdhsa_system_sgpr_workgroup_id_z 0
		.amdhsa_system_sgpr_workgroup_info 0
		.amdhsa_system_vgpr_workitem_id 0
		.amdhsa_next_free_vgpr 1
		.amdhsa_next_free_sgpr 0
		.amdhsa_accum_offset 4
		.amdhsa_reserve_vcc 0
		.amdhsa_float_round_mode_32 0
		.amdhsa_float_round_mode_16_64 0
		.amdhsa_float_denorm_mode_32 3
		.amdhsa_float_denorm_mode_16_64 3
		.amdhsa_dx10_clamp 1
		.amdhsa_ieee_mode 1
		.amdhsa_fp16_overflow 0
		.amdhsa_tg_split 0
		.amdhsa_exception_fp_ieee_invalid_op 0
		.amdhsa_exception_fp_denorm_src 0
		.amdhsa_exception_fp_ieee_div_zero 0
		.amdhsa_exception_fp_ieee_overflow 0
		.amdhsa_exception_fp_ieee_underflow 0
		.amdhsa_exception_fp_ieee_inexact 0
		.amdhsa_exception_int_div_zero 0
	.end_amdhsa_kernel
	.section	.text._ZN7rocprim17ROCPRIM_400000_NS6detail17trampoline_kernelINS0_14default_configENS1_27scan_by_key_config_selectorIiiEEZZNS1_16scan_by_key_implILNS1_25lookback_scan_determinismE0ELb1ES3_N6thrust23THRUST_200600_302600_NS6detail15normal_iteratorINS9_10device_ptrIiEEEENSB_INSC_IjEEEENSB_INSC_IfEEEEiNS9_4plusIvEENS9_8equal_toIvEEiEE10hipError_tPvRmT2_T3_T4_T5_mT6_T7_P12ihipStream_tbENKUlT_T0_E_clISt17integral_constantIbLb0EES13_EEDaSY_SZ_EUlSY_E_NS1_11comp_targetILNS1_3genE10ELNS1_11target_archE1200ELNS1_3gpuE4ELNS1_3repE0EEENS1_30default_config_static_selectorELNS0_4arch9wavefront6targetE1EEEvT1_,"axG",@progbits,_ZN7rocprim17ROCPRIM_400000_NS6detail17trampoline_kernelINS0_14default_configENS1_27scan_by_key_config_selectorIiiEEZZNS1_16scan_by_key_implILNS1_25lookback_scan_determinismE0ELb1ES3_N6thrust23THRUST_200600_302600_NS6detail15normal_iteratorINS9_10device_ptrIiEEEENSB_INSC_IjEEEENSB_INSC_IfEEEEiNS9_4plusIvEENS9_8equal_toIvEEiEE10hipError_tPvRmT2_T3_T4_T5_mT6_T7_P12ihipStream_tbENKUlT_T0_E_clISt17integral_constantIbLb0EES13_EEDaSY_SZ_EUlSY_E_NS1_11comp_targetILNS1_3genE10ELNS1_11target_archE1200ELNS1_3gpuE4ELNS1_3repE0EEENS1_30default_config_static_selectorELNS0_4arch9wavefront6targetE1EEEvT1_,comdat
.Lfunc_end1722:
	.size	_ZN7rocprim17ROCPRIM_400000_NS6detail17trampoline_kernelINS0_14default_configENS1_27scan_by_key_config_selectorIiiEEZZNS1_16scan_by_key_implILNS1_25lookback_scan_determinismE0ELb1ES3_N6thrust23THRUST_200600_302600_NS6detail15normal_iteratorINS9_10device_ptrIiEEEENSB_INSC_IjEEEENSB_INSC_IfEEEEiNS9_4plusIvEENS9_8equal_toIvEEiEE10hipError_tPvRmT2_T3_T4_T5_mT6_T7_P12ihipStream_tbENKUlT_T0_E_clISt17integral_constantIbLb0EES13_EEDaSY_SZ_EUlSY_E_NS1_11comp_targetILNS1_3genE10ELNS1_11target_archE1200ELNS1_3gpuE4ELNS1_3repE0EEENS1_30default_config_static_selectorELNS0_4arch9wavefront6targetE1EEEvT1_, .Lfunc_end1722-_ZN7rocprim17ROCPRIM_400000_NS6detail17trampoline_kernelINS0_14default_configENS1_27scan_by_key_config_selectorIiiEEZZNS1_16scan_by_key_implILNS1_25lookback_scan_determinismE0ELb1ES3_N6thrust23THRUST_200600_302600_NS6detail15normal_iteratorINS9_10device_ptrIiEEEENSB_INSC_IjEEEENSB_INSC_IfEEEEiNS9_4plusIvEENS9_8equal_toIvEEiEE10hipError_tPvRmT2_T3_T4_T5_mT6_T7_P12ihipStream_tbENKUlT_T0_E_clISt17integral_constantIbLb0EES13_EEDaSY_SZ_EUlSY_E_NS1_11comp_targetILNS1_3genE10ELNS1_11target_archE1200ELNS1_3gpuE4ELNS1_3repE0EEENS1_30default_config_static_selectorELNS0_4arch9wavefront6targetE1EEEvT1_
                                        ; -- End function
	.section	.AMDGPU.csdata,"",@progbits
; Kernel info:
; codeLenInByte = 0
; NumSgprs: 6
; NumVgprs: 0
; NumAgprs: 0
; TotalNumVgprs: 0
; ScratchSize: 0
; MemoryBound: 0
; FloatMode: 240
; IeeeMode: 1
; LDSByteSize: 0 bytes/workgroup (compile time only)
; SGPRBlocks: 0
; VGPRBlocks: 0
; NumSGPRsForWavesPerEU: 6
; NumVGPRsForWavesPerEU: 1
; AccumOffset: 4
; Occupancy: 8
; WaveLimiterHint : 0
; COMPUTE_PGM_RSRC2:SCRATCH_EN: 0
; COMPUTE_PGM_RSRC2:USER_SGPR: 2
; COMPUTE_PGM_RSRC2:TRAP_HANDLER: 0
; COMPUTE_PGM_RSRC2:TGID_X_EN: 1
; COMPUTE_PGM_RSRC2:TGID_Y_EN: 0
; COMPUTE_PGM_RSRC2:TGID_Z_EN: 0
; COMPUTE_PGM_RSRC2:TIDIG_COMP_CNT: 0
; COMPUTE_PGM_RSRC3_GFX90A:ACCUM_OFFSET: 0
; COMPUTE_PGM_RSRC3_GFX90A:TG_SPLIT: 0
	.section	.text._ZN7rocprim17ROCPRIM_400000_NS6detail17trampoline_kernelINS0_14default_configENS1_27scan_by_key_config_selectorIiiEEZZNS1_16scan_by_key_implILNS1_25lookback_scan_determinismE0ELb1ES3_N6thrust23THRUST_200600_302600_NS6detail15normal_iteratorINS9_10device_ptrIiEEEENSB_INSC_IjEEEENSB_INSC_IfEEEEiNS9_4plusIvEENS9_8equal_toIvEEiEE10hipError_tPvRmT2_T3_T4_T5_mT6_T7_P12ihipStream_tbENKUlT_T0_E_clISt17integral_constantIbLb0EES13_EEDaSY_SZ_EUlSY_E_NS1_11comp_targetILNS1_3genE9ELNS1_11target_archE1100ELNS1_3gpuE3ELNS1_3repE0EEENS1_30default_config_static_selectorELNS0_4arch9wavefront6targetE1EEEvT1_,"axG",@progbits,_ZN7rocprim17ROCPRIM_400000_NS6detail17trampoline_kernelINS0_14default_configENS1_27scan_by_key_config_selectorIiiEEZZNS1_16scan_by_key_implILNS1_25lookback_scan_determinismE0ELb1ES3_N6thrust23THRUST_200600_302600_NS6detail15normal_iteratorINS9_10device_ptrIiEEEENSB_INSC_IjEEEENSB_INSC_IfEEEEiNS9_4plusIvEENS9_8equal_toIvEEiEE10hipError_tPvRmT2_T3_T4_T5_mT6_T7_P12ihipStream_tbENKUlT_T0_E_clISt17integral_constantIbLb0EES13_EEDaSY_SZ_EUlSY_E_NS1_11comp_targetILNS1_3genE9ELNS1_11target_archE1100ELNS1_3gpuE3ELNS1_3repE0EEENS1_30default_config_static_selectorELNS0_4arch9wavefront6targetE1EEEvT1_,comdat
	.protected	_ZN7rocprim17ROCPRIM_400000_NS6detail17trampoline_kernelINS0_14default_configENS1_27scan_by_key_config_selectorIiiEEZZNS1_16scan_by_key_implILNS1_25lookback_scan_determinismE0ELb1ES3_N6thrust23THRUST_200600_302600_NS6detail15normal_iteratorINS9_10device_ptrIiEEEENSB_INSC_IjEEEENSB_INSC_IfEEEEiNS9_4plusIvEENS9_8equal_toIvEEiEE10hipError_tPvRmT2_T3_T4_T5_mT6_T7_P12ihipStream_tbENKUlT_T0_E_clISt17integral_constantIbLb0EES13_EEDaSY_SZ_EUlSY_E_NS1_11comp_targetILNS1_3genE9ELNS1_11target_archE1100ELNS1_3gpuE3ELNS1_3repE0EEENS1_30default_config_static_selectorELNS0_4arch9wavefront6targetE1EEEvT1_ ; -- Begin function _ZN7rocprim17ROCPRIM_400000_NS6detail17trampoline_kernelINS0_14default_configENS1_27scan_by_key_config_selectorIiiEEZZNS1_16scan_by_key_implILNS1_25lookback_scan_determinismE0ELb1ES3_N6thrust23THRUST_200600_302600_NS6detail15normal_iteratorINS9_10device_ptrIiEEEENSB_INSC_IjEEEENSB_INSC_IfEEEEiNS9_4plusIvEENS9_8equal_toIvEEiEE10hipError_tPvRmT2_T3_T4_T5_mT6_T7_P12ihipStream_tbENKUlT_T0_E_clISt17integral_constantIbLb0EES13_EEDaSY_SZ_EUlSY_E_NS1_11comp_targetILNS1_3genE9ELNS1_11target_archE1100ELNS1_3gpuE3ELNS1_3repE0EEENS1_30default_config_static_selectorELNS0_4arch9wavefront6targetE1EEEvT1_
	.globl	_ZN7rocprim17ROCPRIM_400000_NS6detail17trampoline_kernelINS0_14default_configENS1_27scan_by_key_config_selectorIiiEEZZNS1_16scan_by_key_implILNS1_25lookback_scan_determinismE0ELb1ES3_N6thrust23THRUST_200600_302600_NS6detail15normal_iteratorINS9_10device_ptrIiEEEENSB_INSC_IjEEEENSB_INSC_IfEEEEiNS9_4plusIvEENS9_8equal_toIvEEiEE10hipError_tPvRmT2_T3_T4_T5_mT6_T7_P12ihipStream_tbENKUlT_T0_E_clISt17integral_constantIbLb0EES13_EEDaSY_SZ_EUlSY_E_NS1_11comp_targetILNS1_3genE9ELNS1_11target_archE1100ELNS1_3gpuE3ELNS1_3repE0EEENS1_30default_config_static_selectorELNS0_4arch9wavefront6targetE1EEEvT1_
	.p2align	8
	.type	_ZN7rocprim17ROCPRIM_400000_NS6detail17trampoline_kernelINS0_14default_configENS1_27scan_by_key_config_selectorIiiEEZZNS1_16scan_by_key_implILNS1_25lookback_scan_determinismE0ELb1ES3_N6thrust23THRUST_200600_302600_NS6detail15normal_iteratorINS9_10device_ptrIiEEEENSB_INSC_IjEEEENSB_INSC_IfEEEEiNS9_4plusIvEENS9_8equal_toIvEEiEE10hipError_tPvRmT2_T3_T4_T5_mT6_T7_P12ihipStream_tbENKUlT_T0_E_clISt17integral_constantIbLb0EES13_EEDaSY_SZ_EUlSY_E_NS1_11comp_targetILNS1_3genE9ELNS1_11target_archE1100ELNS1_3gpuE3ELNS1_3repE0EEENS1_30default_config_static_selectorELNS0_4arch9wavefront6targetE1EEEvT1_,@function
_ZN7rocprim17ROCPRIM_400000_NS6detail17trampoline_kernelINS0_14default_configENS1_27scan_by_key_config_selectorIiiEEZZNS1_16scan_by_key_implILNS1_25lookback_scan_determinismE0ELb1ES3_N6thrust23THRUST_200600_302600_NS6detail15normal_iteratorINS9_10device_ptrIiEEEENSB_INSC_IjEEEENSB_INSC_IfEEEEiNS9_4plusIvEENS9_8equal_toIvEEiEE10hipError_tPvRmT2_T3_T4_T5_mT6_T7_P12ihipStream_tbENKUlT_T0_E_clISt17integral_constantIbLb0EES13_EEDaSY_SZ_EUlSY_E_NS1_11comp_targetILNS1_3genE9ELNS1_11target_archE1100ELNS1_3gpuE3ELNS1_3repE0EEENS1_30default_config_static_selectorELNS0_4arch9wavefront6targetE1EEEvT1_: ; @_ZN7rocprim17ROCPRIM_400000_NS6detail17trampoline_kernelINS0_14default_configENS1_27scan_by_key_config_selectorIiiEEZZNS1_16scan_by_key_implILNS1_25lookback_scan_determinismE0ELb1ES3_N6thrust23THRUST_200600_302600_NS6detail15normal_iteratorINS9_10device_ptrIiEEEENSB_INSC_IjEEEENSB_INSC_IfEEEEiNS9_4plusIvEENS9_8equal_toIvEEiEE10hipError_tPvRmT2_T3_T4_T5_mT6_T7_P12ihipStream_tbENKUlT_T0_E_clISt17integral_constantIbLb0EES13_EEDaSY_SZ_EUlSY_E_NS1_11comp_targetILNS1_3genE9ELNS1_11target_archE1100ELNS1_3gpuE3ELNS1_3repE0EEENS1_30default_config_static_selectorELNS0_4arch9wavefront6targetE1EEEvT1_
; %bb.0:
	.section	.rodata,"a",@progbits
	.p2align	6, 0x0
	.amdhsa_kernel _ZN7rocprim17ROCPRIM_400000_NS6detail17trampoline_kernelINS0_14default_configENS1_27scan_by_key_config_selectorIiiEEZZNS1_16scan_by_key_implILNS1_25lookback_scan_determinismE0ELb1ES3_N6thrust23THRUST_200600_302600_NS6detail15normal_iteratorINS9_10device_ptrIiEEEENSB_INSC_IjEEEENSB_INSC_IfEEEEiNS9_4plusIvEENS9_8equal_toIvEEiEE10hipError_tPvRmT2_T3_T4_T5_mT6_T7_P12ihipStream_tbENKUlT_T0_E_clISt17integral_constantIbLb0EES13_EEDaSY_SZ_EUlSY_E_NS1_11comp_targetILNS1_3genE9ELNS1_11target_archE1100ELNS1_3gpuE3ELNS1_3repE0EEENS1_30default_config_static_selectorELNS0_4arch9wavefront6targetE1EEEvT1_
		.amdhsa_group_segment_fixed_size 0
		.amdhsa_private_segment_fixed_size 0
		.amdhsa_kernarg_size 112
		.amdhsa_user_sgpr_count 2
		.amdhsa_user_sgpr_dispatch_ptr 0
		.amdhsa_user_sgpr_queue_ptr 0
		.amdhsa_user_sgpr_kernarg_segment_ptr 1
		.amdhsa_user_sgpr_dispatch_id 0
		.amdhsa_user_sgpr_kernarg_preload_length 0
		.amdhsa_user_sgpr_kernarg_preload_offset 0
		.amdhsa_user_sgpr_private_segment_size 0
		.amdhsa_uses_dynamic_stack 0
		.amdhsa_enable_private_segment 0
		.amdhsa_system_sgpr_workgroup_id_x 1
		.amdhsa_system_sgpr_workgroup_id_y 0
		.amdhsa_system_sgpr_workgroup_id_z 0
		.amdhsa_system_sgpr_workgroup_info 0
		.amdhsa_system_vgpr_workitem_id 0
		.amdhsa_next_free_vgpr 1
		.amdhsa_next_free_sgpr 0
		.amdhsa_accum_offset 4
		.amdhsa_reserve_vcc 0
		.amdhsa_float_round_mode_32 0
		.amdhsa_float_round_mode_16_64 0
		.amdhsa_float_denorm_mode_32 3
		.amdhsa_float_denorm_mode_16_64 3
		.amdhsa_dx10_clamp 1
		.amdhsa_ieee_mode 1
		.amdhsa_fp16_overflow 0
		.amdhsa_tg_split 0
		.amdhsa_exception_fp_ieee_invalid_op 0
		.amdhsa_exception_fp_denorm_src 0
		.amdhsa_exception_fp_ieee_div_zero 0
		.amdhsa_exception_fp_ieee_overflow 0
		.amdhsa_exception_fp_ieee_underflow 0
		.amdhsa_exception_fp_ieee_inexact 0
		.amdhsa_exception_int_div_zero 0
	.end_amdhsa_kernel
	.section	.text._ZN7rocprim17ROCPRIM_400000_NS6detail17trampoline_kernelINS0_14default_configENS1_27scan_by_key_config_selectorIiiEEZZNS1_16scan_by_key_implILNS1_25lookback_scan_determinismE0ELb1ES3_N6thrust23THRUST_200600_302600_NS6detail15normal_iteratorINS9_10device_ptrIiEEEENSB_INSC_IjEEEENSB_INSC_IfEEEEiNS9_4plusIvEENS9_8equal_toIvEEiEE10hipError_tPvRmT2_T3_T4_T5_mT6_T7_P12ihipStream_tbENKUlT_T0_E_clISt17integral_constantIbLb0EES13_EEDaSY_SZ_EUlSY_E_NS1_11comp_targetILNS1_3genE9ELNS1_11target_archE1100ELNS1_3gpuE3ELNS1_3repE0EEENS1_30default_config_static_selectorELNS0_4arch9wavefront6targetE1EEEvT1_,"axG",@progbits,_ZN7rocprim17ROCPRIM_400000_NS6detail17trampoline_kernelINS0_14default_configENS1_27scan_by_key_config_selectorIiiEEZZNS1_16scan_by_key_implILNS1_25lookback_scan_determinismE0ELb1ES3_N6thrust23THRUST_200600_302600_NS6detail15normal_iteratorINS9_10device_ptrIiEEEENSB_INSC_IjEEEENSB_INSC_IfEEEEiNS9_4plusIvEENS9_8equal_toIvEEiEE10hipError_tPvRmT2_T3_T4_T5_mT6_T7_P12ihipStream_tbENKUlT_T0_E_clISt17integral_constantIbLb0EES13_EEDaSY_SZ_EUlSY_E_NS1_11comp_targetILNS1_3genE9ELNS1_11target_archE1100ELNS1_3gpuE3ELNS1_3repE0EEENS1_30default_config_static_selectorELNS0_4arch9wavefront6targetE1EEEvT1_,comdat
.Lfunc_end1723:
	.size	_ZN7rocprim17ROCPRIM_400000_NS6detail17trampoline_kernelINS0_14default_configENS1_27scan_by_key_config_selectorIiiEEZZNS1_16scan_by_key_implILNS1_25lookback_scan_determinismE0ELb1ES3_N6thrust23THRUST_200600_302600_NS6detail15normal_iteratorINS9_10device_ptrIiEEEENSB_INSC_IjEEEENSB_INSC_IfEEEEiNS9_4plusIvEENS9_8equal_toIvEEiEE10hipError_tPvRmT2_T3_T4_T5_mT6_T7_P12ihipStream_tbENKUlT_T0_E_clISt17integral_constantIbLb0EES13_EEDaSY_SZ_EUlSY_E_NS1_11comp_targetILNS1_3genE9ELNS1_11target_archE1100ELNS1_3gpuE3ELNS1_3repE0EEENS1_30default_config_static_selectorELNS0_4arch9wavefront6targetE1EEEvT1_, .Lfunc_end1723-_ZN7rocprim17ROCPRIM_400000_NS6detail17trampoline_kernelINS0_14default_configENS1_27scan_by_key_config_selectorIiiEEZZNS1_16scan_by_key_implILNS1_25lookback_scan_determinismE0ELb1ES3_N6thrust23THRUST_200600_302600_NS6detail15normal_iteratorINS9_10device_ptrIiEEEENSB_INSC_IjEEEENSB_INSC_IfEEEEiNS9_4plusIvEENS9_8equal_toIvEEiEE10hipError_tPvRmT2_T3_T4_T5_mT6_T7_P12ihipStream_tbENKUlT_T0_E_clISt17integral_constantIbLb0EES13_EEDaSY_SZ_EUlSY_E_NS1_11comp_targetILNS1_3genE9ELNS1_11target_archE1100ELNS1_3gpuE3ELNS1_3repE0EEENS1_30default_config_static_selectorELNS0_4arch9wavefront6targetE1EEEvT1_
                                        ; -- End function
	.section	.AMDGPU.csdata,"",@progbits
; Kernel info:
; codeLenInByte = 0
; NumSgprs: 6
; NumVgprs: 0
; NumAgprs: 0
; TotalNumVgprs: 0
; ScratchSize: 0
; MemoryBound: 0
; FloatMode: 240
; IeeeMode: 1
; LDSByteSize: 0 bytes/workgroup (compile time only)
; SGPRBlocks: 0
; VGPRBlocks: 0
; NumSGPRsForWavesPerEU: 6
; NumVGPRsForWavesPerEU: 1
; AccumOffset: 4
; Occupancy: 8
; WaveLimiterHint : 0
; COMPUTE_PGM_RSRC2:SCRATCH_EN: 0
; COMPUTE_PGM_RSRC2:USER_SGPR: 2
; COMPUTE_PGM_RSRC2:TRAP_HANDLER: 0
; COMPUTE_PGM_RSRC2:TGID_X_EN: 1
; COMPUTE_PGM_RSRC2:TGID_Y_EN: 0
; COMPUTE_PGM_RSRC2:TGID_Z_EN: 0
; COMPUTE_PGM_RSRC2:TIDIG_COMP_CNT: 0
; COMPUTE_PGM_RSRC3_GFX90A:ACCUM_OFFSET: 0
; COMPUTE_PGM_RSRC3_GFX90A:TG_SPLIT: 0
	.section	.text._ZN7rocprim17ROCPRIM_400000_NS6detail17trampoline_kernelINS0_14default_configENS1_27scan_by_key_config_selectorIiiEEZZNS1_16scan_by_key_implILNS1_25lookback_scan_determinismE0ELb1ES3_N6thrust23THRUST_200600_302600_NS6detail15normal_iteratorINS9_10device_ptrIiEEEENSB_INSC_IjEEEENSB_INSC_IfEEEEiNS9_4plusIvEENS9_8equal_toIvEEiEE10hipError_tPvRmT2_T3_T4_T5_mT6_T7_P12ihipStream_tbENKUlT_T0_E_clISt17integral_constantIbLb0EES13_EEDaSY_SZ_EUlSY_E_NS1_11comp_targetILNS1_3genE8ELNS1_11target_archE1030ELNS1_3gpuE2ELNS1_3repE0EEENS1_30default_config_static_selectorELNS0_4arch9wavefront6targetE1EEEvT1_,"axG",@progbits,_ZN7rocprim17ROCPRIM_400000_NS6detail17trampoline_kernelINS0_14default_configENS1_27scan_by_key_config_selectorIiiEEZZNS1_16scan_by_key_implILNS1_25lookback_scan_determinismE0ELb1ES3_N6thrust23THRUST_200600_302600_NS6detail15normal_iteratorINS9_10device_ptrIiEEEENSB_INSC_IjEEEENSB_INSC_IfEEEEiNS9_4plusIvEENS9_8equal_toIvEEiEE10hipError_tPvRmT2_T3_T4_T5_mT6_T7_P12ihipStream_tbENKUlT_T0_E_clISt17integral_constantIbLb0EES13_EEDaSY_SZ_EUlSY_E_NS1_11comp_targetILNS1_3genE8ELNS1_11target_archE1030ELNS1_3gpuE2ELNS1_3repE0EEENS1_30default_config_static_selectorELNS0_4arch9wavefront6targetE1EEEvT1_,comdat
	.protected	_ZN7rocprim17ROCPRIM_400000_NS6detail17trampoline_kernelINS0_14default_configENS1_27scan_by_key_config_selectorIiiEEZZNS1_16scan_by_key_implILNS1_25lookback_scan_determinismE0ELb1ES3_N6thrust23THRUST_200600_302600_NS6detail15normal_iteratorINS9_10device_ptrIiEEEENSB_INSC_IjEEEENSB_INSC_IfEEEEiNS9_4plusIvEENS9_8equal_toIvEEiEE10hipError_tPvRmT2_T3_T4_T5_mT6_T7_P12ihipStream_tbENKUlT_T0_E_clISt17integral_constantIbLb0EES13_EEDaSY_SZ_EUlSY_E_NS1_11comp_targetILNS1_3genE8ELNS1_11target_archE1030ELNS1_3gpuE2ELNS1_3repE0EEENS1_30default_config_static_selectorELNS0_4arch9wavefront6targetE1EEEvT1_ ; -- Begin function _ZN7rocprim17ROCPRIM_400000_NS6detail17trampoline_kernelINS0_14default_configENS1_27scan_by_key_config_selectorIiiEEZZNS1_16scan_by_key_implILNS1_25lookback_scan_determinismE0ELb1ES3_N6thrust23THRUST_200600_302600_NS6detail15normal_iteratorINS9_10device_ptrIiEEEENSB_INSC_IjEEEENSB_INSC_IfEEEEiNS9_4plusIvEENS9_8equal_toIvEEiEE10hipError_tPvRmT2_T3_T4_T5_mT6_T7_P12ihipStream_tbENKUlT_T0_E_clISt17integral_constantIbLb0EES13_EEDaSY_SZ_EUlSY_E_NS1_11comp_targetILNS1_3genE8ELNS1_11target_archE1030ELNS1_3gpuE2ELNS1_3repE0EEENS1_30default_config_static_selectorELNS0_4arch9wavefront6targetE1EEEvT1_
	.globl	_ZN7rocprim17ROCPRIM_400000_NS6detail17trampoline_kernelINS0_14default_configENS1_27scan_by_key_config_selectorIiiEEZZNS1_16scan_by_key_implILNS1_25lookback_scan_determinismE0ELb1ES3_N6thrust23THRUST_200600_302600_NS6detail15normal_iteratorINS9_10device_ptrIiEEEENSB_INSC_IjEEEENSB_INSC_IfEEEEiNS9_4plusIvEENS9_8equal_toIvEEiEE10hipError_tPvRmT2_T3_T4_T5_mT6_T7_P12ihipStream_tbENKUlT_T0_E_clISt17integral_constantIbLb0EES13_EEDaSY_SZ_EUlSY_E_NS1_11comp_targetILNS1_3genE8ELNS1_11target_archE1030ELNS1_3gpuE2ELNS1_3repE0EEENS1_30default_config_static_selectorELNS0_4arch9wavefront6targetE1EEEvT1_
	.p2align	8
	.type	_ZN7rocprim17ROCPRIM_400000_NS6detail17trampoline_kernelINS0_14default_configENS1_27scan_by_key_config_selectorIiiEEZZNS1_16scan_by_key_implILNS1_25lookback_scan_determinismE0ELb1ES3_N6thrust23THRUST_200600_302600_NS6detail15normal_iteratorINS9_10device_ptrIiEEEENSB_INSC_IjEEEENSB_INSC_IfEEEEiNS9_4plusIvEENS9_8equal_toIvEEiEE10hipError_tPvRmT2_T3_T4_T5_mT6_T7_P12ihipStream_tbENKUlT_T0_E_clISt17integral_constantIbLb0EES13_EEDaSY_SZ_EUlSY_E_NS1_11comp_targetILNS1_3genE8ELNS1_11target_archE1030ELNS1_3gpuE2ELNS1_3repE0EEENS1_30default_config_static_selectorELNS0_4arch9wavefront6targetE1EEEvT1_,@function
_ZN7rocprim17ROCPRIM_400000_NS6detail17trampoline_kernelINS0_14default_configENS1_27scan_by_key_config_selectorIiiEEZZNS1_16scan_by_key_implILNS1_25lookback_scan_determinismE0ELb1ES3_N6thrust23THRUST_200600_302600_NS6detail15normal_iteratorINS9_10device_ptrIiEEEENSB_INSC_IjEEEENSB_INSC_IfEEEEiNS9_4plusIvEENS9_8equal_toIvEEiEE10hipError_tPvRmT2_T3_T4_T5_mT6_T7_P12ihipStream_tbENKUlT_T0_E_clISt17integral_constantIbLb0EES13_EEDaSY_SZ_EUlSY_E_NS1_11comp_targetILNS1_3genE8ELNS1_11target_archE1030ELNS1_3gpuE2ELNS1_3repE0EEENS1_30default_config_static_selectorELNS0_4arch9wavefront6targetE1EEEvT1_: ; @_ZN7rocprim17ROCPRIM_400000_NS6detail17trampoline_kernelINS0_14default_configENS1_27scan_by_key_config_selectorIiiEEZZNS1_16scan_by_key_implILNS1_25lookback_scan_determinismE0ELb1ES3_N6thrust23THRUST_200600_302600_NS6detail15normal_iteratorINS9_10device_ptrIiEEEENSB_INSC_IjEEEENSB_INSC_IfEEEEiNS9_4plusIvEENS9_8equal_toIvEEiEE10hipError_tPvRmT2_T3_T4_T5_mT6_T7_P12ihipStream_tbENKUlT_T0_E_clISt17integral_constantIbLb0EES13_EEDaSY_SZ_EUlSY_E_NS1_11comp_targetILNS1_3genE8ELNS1_11target_archE1030ELNS1_3gpuE2ELNS1_3repE0EEENS1_30default_config_static_selectorELNS0_4arch9wavefront6targetE1EEEvT1_
; %bb.0:
	.section	.rodata,"a",@progbits
	.p2align	6, 0x0
	.amdhsa_kernel _ZN7rocprim17ROCPRIM_400000_NS6detail17trampoline_kernelINS0_14default_configENS1_27scan_by_key_config_selectorIiiEEZZNS1_16scan_by_key_implILNS1_25lookback_scan_determinismE0ELb1ES3_N6thrust23THRUST_200600_302600_NS6detail15normal_iteratorINS9_10device_ptrIiEEEENSB_INSC_IjEEEENSB_INSC_IfEEEEiNS9_4plusIvEENS9_8equal_toIvEEiEE10hipError_tPvRmT2_T3_T4_T5_mT6_T7_P12ihipStream_tbENKUlT_T0_E_clISt17integral_constantIbLb0EES13_EEDaSY_SZ_EUlSY_E_NS1_11comp_targetILNS1_3genE8ELNS1_11target_archE1030ELNS1_3gpuE2ELNS1_3repE0EEENS1_30default_config_static_selectorELNS0_4arch9wavefront6targetE1EEEvT1_
		.amdhsa_group_segment_fixed_size 0
		.amdhsa_private_segment_fixed_size 0
		.amdhsa_kernarg_size 112
		.amdhsa_user_sgpr_count 2
		.amdhsa_user_sgpr_dispatch_ptr 0
		.amdhsa_user_sgpr_queue_ptr 0
		.amdhsa_user_sgpr_kernarg_segment_ptr 1
		.amdhsa_user_sgpr_dispatch_id 0
		.amdhsa_user_sgpr_kernarg_preload_length 0
		.amdhsa_user_sgpr_kernarg_preload_offset 0
		.amdhsa_user_sgpr_private_segment_size 0
		.amdhsa_uses_dynamic_stack 0
		.amdhsa_enable_private_segment 0
		.amdhsa_system_sgpr_workgroup_id_x 1
		.amdhsa_system_sgpr_workgroup_id_y 0
		.amdhsa_system_sgpr_workgroup_id_z 0
		.amdhsa_system_sgpr_workgroup_info 0
		.amdhsa_system_vgpr_workitem_id 0
		.amdhsa_next_free_vgpr 1
		.amdhsa_next_free_sgpr 0
		.amdhsa_accum_offset 4
		.amdhsa_reserve_vcc 0
		.amdhsa_float_round_mode_32 0
		.amdhsa_float_round_mode_16_64 0
		.amdhsa_float_denorm_mode_32 3
		.amdhsa_float_denorm_mode_16_64 3
		.amdhsa_dx10_clamp 1
		.amdhsa_ieee_mode 1
		.amdhsa_fp16_overflow 0
		.amdhsa_tg_split 0
		.amdhsa_exception_fp_ieee_invalid_op 0
		.amdhsa_exception_fp_denorm_src 0
		.amdhsa_exception_fp_ieee_div_zero 0
		.amdhsa_exception_fp_ieee_overflow 0
		.amdhsa_exception_fp_ieee_underflow 0
		.amdhsa_exception_fp_ieee_inexact 0
		.amdhsa_exception_int_div_zero 0
	.end_amdhsa_kernel
	.section	.text._ZN7rocprim17ROCPRIM_400000_NS6detail17trampoline_kernelINS0_14default_configENS1_27scan_by_key_config_selectorIiiEEZZNS1_16scan_by_key_implILNS1_25lookback_scan_determinismE0ELb1ES3_N6thrust23THRUST_200600_302600_NS6detail15normal_iteratorINS9_10device_ptrIiEEEENSB_INSC_IjEEEENSB_INSC_IfEEEEiNS9_4plusIvEENS9_8equal_toIvEEiEE10hipError_tPvRmT2_T3_T4_T5_mT6_T7_P12ihipStream_tbENKUlT_T0_E_clISt17integral_constantIbLb0EES13_EEDaSY_SZ_EUlSY_E_NS1_11comp_targetILNS1_3genE8ELNS1_11target_archE1030ELNS1_3gpuE2ELNS1_3repE0EEENS1_30default_config_static_selectorELNS0_4arch9wavefront6targetE1EEEvT1_,"axG",@progbits,_ZN7rocprim17ROCPRIM_400000_NS6detail17trampoline_kernelINS0_14default_configENS1_27scan_by_key_config_selectorIiiEEZZNS1_16scan_by_key_implILNS1_25lookback_scan_determinismE0ELb1ES3_N6thrust23THRUST_200600_302600_NS6detail15normal_iteratorINS9_10device_ptrIiEEEENSB_INSC_IjEEEENSB_INSC_IfEEEEiNS9_4plusIvEENS9_8equal_toIvEEiEE10hipError_tPvRmT2_T3_T4_T5_mT6_T7_P12ihipStream_tbENKUlT_T0_E_clISt17integral_constantIbLb0EES13_EEDaSY_SZ_EUlSY_E_NS1_11comp_targetILNS1_3genE8ELNS1_11target_archE1030ELNS1_3gpuE2ELNS1_3repE0EEENS1_30default_config_static_selectorELNS0_4arch9wavefront6targetE1EEEvT1_,comdat
.Lfunc_end1724:
	.size	_ZN7rocprim17ROCPRIM_400000_NS6detail17trampoline_kernelINS0_14default_configENS1_27scan_by_key_config_selectorIiiEEZZNS1_16scan_by_key_implILNS1_25lookback_scan_determinismE0ELb1ES3_N6thrust23THRUST_200600_302600_NS6detail15normal_iteratorINS9_10device_ptrIiEEEENSB_INSC_IjEEEENSB_INSC_IfEEEEiNS9_4plusIvEENS9_8equal_toIvEEiEE10hipError_tPvRmT2_T3_T4_T5_mT6_T7_P12ihipStream_tbENKUlT_T0_E_clISt17integral_constantIbLb0EES13_EEDaSY_SZ_EUlSY_E_NS1_11comp_targetILNS1_3genE8ELNS1_11target_archE1030ELNS1_3gpuE2ELNS1_3repE0EEENS1_30default_config_static_selectorELNS0_4arch9wavefront6targetE1EEEvT1_, .Lfunc_end1724-_ZN7rocprim17ROCPRIM_400000_NS6detail17trampoline_kernelINS0_14default_configENS1_27scan_by_key_config_selectorIiiEEZZNS1_16scan_by_key_implILNS1_25lookback_scan_determinismE0ELb1ES3_N6thrust23THRUST_200600_302600_NS6detail15normal_iteratorINS9_10device_ptrIiEEEENSB_INSC_IjEEEENSB_INSC_IfEEEEiNS9_4plusIvEENS9_8equal_toIvEEiEE10hipError_tPvRmT2_T3_T4_T5_mT6_T7_P12ihipStream_tbENKUlT_T0_E_clISt17integral_constantIbLb0EES13_EEDaSY_SZ_EUlSY_E_NS1_11comp_targetILNS1_3genE8ELNS1_11target_archE1030ELNS1_3gpuE2ELNS1_3repE0EEENS1_30default_config_static_selectorELNS0_4arch9wavefront6targetE1EEEvT1_
                                        ; -- End function
	.section	.AMDGPU.csdata,"",@progbits
; Kernel info:
; codeLenInByte = 0
; NumSgprs: 6
; NumVgprs: 0
; NumAgprs: 0
; TotalNumVgprs: 0
; ScratchSize: 0
; MemoryBound: 0
; FloatMode: 240
; IeeeMode: 1
; LDSByteSize: 0 bytes/workgroup (compile time only)
; SGPRBlocks: 0
; VGPRBlocks: 0
; NumSGPRsForWavesPerEU: 6
; NumVGPRsForWavesPerEU: 1
; AccumOffset: 4
; Occupancy: 8
; WaveLimiterHint : 0
; COMPUTE_PGM_RSRC2:SCRATCH_EN: 0
; COMPUTE_PGM_RSRC2:USER_SGPR: 2
; COMPUTE_PGM_RSRC2:TRAP_HANDLER: 0
; COMPUTE_PGM_RSRC2:TGID_X_EN: 1
; COMPUTE_PGM_RSRC2:TGID_Y_EN: 0
; COMPUTE_PGM_RSRC2:TGID_Z_EN: 0
; COMPUTE_PGM_RSRC2:TIDIG_COMP_CNT: 0
; COMPUTE_PGM_RSRC3_GFX90A:ACCUM_OFFSET: 0
; COMPUTE_PGM_RSRC3_GFX90A:TG_SPLIT: 0
	.section	.text._ZN7rocprim17ROCPRIM_400000_NS6detail17trampoline_kernelINS0_14default_configENS1_27scan_by_key_config_selectorIiiEEZZNS1_16scan_by_key_implILNS1_25lookback_scan_determinismE0ELb1ES3_N6thrust23THRUST_200600_302600_NS6detail15normal_iteratorINS9_10device_ptrIiEEEENSB_INSC_IjEEEENSB_INSC_IfEEEEiNS9_4plusIvEENS9_8equal_toIvEEiEE10hipError_tPvRmT2_T3_T4_T5_mT6_T7_P12ihipStream_tbENKUlT_T0_E_clISt17integral_constantIbLb1EES13_EEDaSY_SZ_EUlSY_E_NS1_11comp_targetILNS1_3genE0ELNS1_11target_archE4294967295ELNS1_3gpuE0ELNS1_3repE0EEENS1_30default_config_static_selectorELNS0_4arch9wavefront6targetE1EEEvT1_,"axG",@progbits,_ZN7rocprim17ROCPRIM_400000_NS6detail17trampoline_kernelINS0_14default_configENS1_27scan_by_key_config_selectorIiiEEZZNS1_16scan_by_key_implILNS1_25lookback_scan_determinismE0ELb1ES3_N6thrust23THRUST_200600_302600_NS6detail15normal_iteratorINS9_10device_ptrIiEEEENSB_INSC_IjEEEENSB_INSC_IfEEEEiNS9_4plusIvEENS9_8equal_toIvEEiEE10hipError_tPvRmT2_T3_T4_T5_mT6_T7_P12ihipStream_tbENKUlT_T0_E_clISt17integral_constantIbLb1EES13_EEDaSY_SZ_EUlSY_E_NS1_11comp_targetILNS1_3genE0ELNS1_11target_archE4294967295ELNS1_3gpuE0ELNS1_3repE0EEENS1_30default_config_static_selectorELNS0_4arch9wavefront6targetE1EEEvT1_,comdat
	.protected	_ZN7rocprim17ROCPRIM_400000_NS6detail17trampoline_kernelINS0_14default_configENS1_27scan_by_key_config_selectorIiiEEZZNS1_16scan_by_key_implILNS1_25lookback_scan_determinismE0ELb1ES3_N6thrust23THRUST_200600_302600_NS6detail15normal_iteratorINS9_10device_ptrIiEEEENSB_INSC_IjEEEENSB_INSC_IfEEEEiNS9_4plusIvEENS9_8equal_toIvEEiEE10hipError_tPvRmT2_T3_T4_T5_mT6_T7_P12ihipStream_tbENKUlT_T0_E_clISt17integral_constantIbLb1EES13_EEDaSY_SZ_EUlSY_E_NS1_11comp_targetILNS1_3genE0ELNS1_11target_archE4294967295ELNS1_3gpuE0ELNS1_3repE0EEENS1_30default_config_static_selectorELNS0_4arch9wavefront6targetE1EEEvT1_ ; -- Begin function _ZN7rocprim17ROCPRIM_400000_NS6detail17trampoline_kernelINS0_14default_configENS1_27scan_by_key_config_selectorIiiEEZZNS1_16scan_by_key_implILNS1_25lookback_scan_determinismE0ELb1ES3_N6thrust23THRUST_200600_302600_NS6detail15normal_iteratorINS9_10device_ptrIiEEEENSB_INSC_IjEEEENSB_INSC_IfEEEEiNS9_4plusIvEENS9_8equal_toIvEEiEE10hipError_tPvRmT2_T3_T4_T5_mT6_T7_P12ihipStream_tbENKUlT_T0_E_clISt17integral_constantIbLb1EES13_EEDaSY_SZ_EUlSY_E_NS1_11comp_targetILNS1_3genE0ELNS1_11target_archE4294967295ELNS1_3gpuE0ELNS1_3repE0EEENS1_30default_config_static_selectorELNS0_4arch9wavefront6targetE1EEEvT1_
	.globl	_ZN7rocprim17ROCPRIM_400000_NS6detail17trampoline_kernelINS0_14default_configENS1_27scan_by_key_config_selectorIiiEEZZNS1_16scan_by_key_implILNS1_25lookback_scan_determinismE0ELb1ES3_N6thrust23THRUST_200600_302600_NS6detail15normal_iteratorINS9_10device_ptrIiEEEENSB_INSC_IjEEEENSB_INSC_IfEEEEiNS9_4plusIvEENS9_8equal_toIvEEiEE10hipError_tPvRmT2_T3_T4_T5_mT6_T7_P12ihipStream_tbENKUlT_T0_E_clISt17integral_constantIbLb1EES13_EEDaSY_SZ_EUlSY_E_NS1_11comp_targetILNS1_3genE0ELNS1_11target_archE4294967295ELNS1_3gpuE0ELNS1_3repE0EEENS1_30default_config_static_selectorELNS0_4arch9wavefront6targetE1EEEvT1_
	.p2align	8
	.type	_ZN7rocprim17ROCPRIM_400000_NS6detail17trampoline_kernelINS0_14default_configENS1_27scan_by_key_config_selectorIiiEEZZNS1_16scan_by_key_implILNS1_25lookback_scan_determinismE0ELb1ES3_N6thrust23THRUST_200600_302600_NS6detail15normal_iteratorINS9_10device_ptrIiEEEENSB_INSC_IjEEEENSB_INSC_IfEEEEiNS9_4plusIvEENS9_8equal_toIvEEiEE10hipError_tPvRmT2_T3_T4_T5_mT6_T7_P12ihipStream_tbENKUlT_T0_E_clISt17integral_constantIbLb1EES13_EEDaSY_SZ_EUlSY_E_NS1_11comp_targetILNS1_3genE0ELNS1_11target_archE4294967295ELNS1_3gpuE0ELNS1_3repE0EEENS1_30default_config_static_selectorELNS0_4arch9wavefront6targetE1EEEvT1_,@function
_ZN7rocprim17ROCPRIM_400000_NS6detail17trampoline_kernelINS0_14default_configENS1_27scan_by_key_config_selectorIiiEEZZNS1_16scan_by_key_implILNS1_25lookback_scan_determinismE0ELb1ES3_N6thrust23THRUST_200600_302600_NS6detail15normal_iteratorINS9_10device_ptrIiEEEENSB_INSC_IjEEEENSB_INSC_IfEEEEiNS9_4plusIvEENS9_8equal_toIvEEiEE10hipError_tPvRmT2_T3_T4_T5_mT6_T7_P12ihipStream_tbENKUlT_T0_E_clISt17integral_constantIbLb1EES13_EEDaSY_SZ_EUlSY_E_NS1_11comp_targetILNS1_3genE0ELNS1_11target_archE4294967295ELNS1_3gpuE0ELNS1_3repE0EEENS1_30default_config_static_selectorELNS0_4arch9wavefront6targetE1EEEvT1_: ; @_ZN7rocprim17ROCPRIM_400000_NS6detail17trampoline_kernelINS0_14default_configENS1_27scan_by_key_config_selectorIiiEEZZNS1_16scan_by_key_implILNS1_25lookback_scan_determinismE0ELb1ES3_N6thrust23THRUST_200600_302600_NS6detail15normal_iteratorINS9_10device_ptrIiEEEENSB_INSC_IjEEEENSB_INSC_IfEEEEiNS9_4plusIvEENS9_8equal_toIvEEiEE10hipError_tPvRmT2_T3_T4_T5_mT6_T7_P12ihipStream_tbENKUlT_T0_E_clISt17integral_constantIbLb1EES13_EEDaSY_SZ_EUlSY_E_NS1_11comp_targetILNS1_3genE0ELNS1_11target_archE4294967295ELNS1_3gpuE0ELNS1_3repE0EEENS1_30default_config_static_selectorELNS0_4arch9wavefront6targetE1EEEvT1_
; %bb.0:
	.section	.rodata,"a",@progbits
	.p2align	6, 0x0
	.amdhsa_kernel _ZN7rocprim17ROCPRIM_400000_NS6detail17trampoline_kernelINS0_14default_configENS1_27scan_by_key_config_selectorIiiEEZZNS1_16scan_by_key_implILNS1_25lookback_scan_determinismE0ELb1ES3_N6thrust23THRUST_200600_302600_NS6detail15normal_iteratorINS9_10device_ptrIiEEEENSB_INSC_IjEEEENSB_INSC_IfEEEEiNS9_4plusIvEENS9_8equal_toIvEEiEE10hipError_tPvRmT2_T3_T4_T5_mT6_T7_P12ihipStream_tbENKUlT_T0_E_clISt17integral_constantIbLb1EES13_EEDaSY_SZ_EUlSY_E_NS1_11comp_targetILNS1_3genE0ELNS1_11target_archE4294967295ELNS1_3gpuE0ELNS1_3repE0EEENS1_30default_config_static_selectorELNS0_4arch9wavefront6targetE1EEEvT1_
		.amdhsa_group_segment_fixed_size 0
		.amdhsa_private_segment_fixed_size 0
		.amdhsa_kernarg_size 112
		.amdhsa_user_sgpr_count 2
		.amdhsa_user_sgpr_dispatch_ptr 0
		.amdhsa_user_sgpr_queue_ptr 0
		.amdhsa_user_sgpr_kernarg_segment_ptr 1
		.amdhsa_user_sgpr_dispatch_id 0
		.amdhsa_user_sgpr_kernarg_preload_length 0
		.amdhsa_user_sgpr_kernarg_preload_offset 0
		.amdhsa_user_sgpr_private_segment_size 0
		.amdhsa_uses_dynamic_stack 0
		.amdhsa_enable_private_segment 0
		.amdhsa_system_sgpr_workgroup_id_x 1
		.amdhsa_system_sgpr_workgroup_id_y 0
		.amdhsa_system_sgpr_workgroup_id_z 0
		.amdhsa_system_sgpr_workgroup_info 0
		.amdhsa_system_vgpr_workitem_id 0
		.amdhsa_next_free_vgpr 1
		.amdhsa_next_free_sgpr 0
		.amdhsa_accum_offset 4
		.amdhsa_reserve_vcc 0
		.amdhsa_float_round_mode_32 0
		.amdhsa_float_round_mode_16_64 0
		.amdhsa_float_denorm_mode_32 3
		.amdhsa_float_denorm_mode_16_64 3
		.amdhsa_dx10_clamp 1
		.amdhsa_ieee_mode 1
		.amdhsa_fp16_overflow 0
		.amdhsa_tg_split 0
		.amdhsa_exception_fp_ieee_invalid_op 0
		.amdhsa_exception_fp_denorm_src 0
		.amdhsa_exception_fp_ieee_div_zero 0
		.amdhsa_exception_fp_ieee_overflow 0
		.amdhsa_exception_fp_ieee_underflow 0
		.amdhsa_exception_fp_ieee_inexact 0
		.amdhsa_exception_int_div_zero 0
	.end_amdhsa_kernel
	.section	.text._ZN7rocprim17ROCPRIM_400000_NS6detail17trampoline_kernelINS0_14default_configENS1_27scan_by_key_config_selectorIiiEEZZNS1_16scan_by_key_implILNS1_25lookback_scan_determinismE0ELb1ES3_N6thrust23THRUST_200600_302600_NS6detail15normal_iteratorINS9_10device_ptrIiEEEENSB_INSC_IjEEEENSB_INSC_IfEEEEiNS9_4plusIvEENS9_8equal_toIvEEiEE10hipError_tPvRmT2_T3_T4_T5_mT6_T7_P12ihipStream_tbENKUlT_T0_E_clISt17integral_constantIbLb1EES13_EEDaSY_SZ_EUlSY_E_NS1_11comp_targetILNS1_3genE0ELNS1_11target_archE4294967295ELNS1_3gpuE0ELNS1_3repE0EEENS1_30default_config_static_selectorELNS0_4arch9wavefront6targetE1EEEvT1_,"axG",@progbits,_ZN7rocprim17ROCPRIM_400000_NS6detail17trampoline_kernelINS0_14default_configENS1_27scan_by_key_config_selectorIiiEEZZNS1_16scan_by_key_implILNS1_25lookback_scan_determinismE0ELb1ES3_N6thrust23THRUST_200600_302600_NS6detail15normal_iteratorINS9_10device_ptrIiEEEENSB_INSC_IjEEEENSB_INSC_IfEEEEiNS9_4plusIvEENS9_8equal_toIvEEiEE10hipError_tPvRmT2_T3_T4_T5_mT6_T7_P12ihipStream_tbENKUlT_T0_E_clISt17integral_constantIbLb1EES13_EEDaSY_SZ_EUlSY_E_NS1_11comp_targetILNS1_3genE0ELNS1_11target_archE4294967295ELNS1_3gpuE0ELNS1_3repE0EEENS1_30default_config_static_selectorELNS0_4arch9wavefront6targetE1EEEvT1_,comdat
.Lfunc_end1725:
	.size	_ZN7rocprim17ROCPRIM_400000_NS6detail17trampoline_kernelINS0_14default_configENS1_27scan_by_key_config_selectorIiiEEZZNS1_16scan_by_key_implILNS1_25lookback_scan_determinismE0ELb1ES3_N6thrust23THRUST_200600_302600_NS6detail15normal_iteratorINS9_10device_ptrIiEEEENSB_INSC_IjEEEENSB_INSC_IfEEEEiNS9_4plusIvEENS9_8equal_toIvEEiEE10hipError_tPvRmT2_T3_T4_T5_mT6_T7_P12ihipStream_tbENKUlT_T0_E_clISt17integral_constantIbLb1EES13_EEDaSY_SZ_EUlSY_E_NS1_11comp_targetILNS1_3genE0ELNS1_11target_archE4294967295ELNS1_3gpuE0ELNS1_3repE0EEENS1_30default_config_static_selectorELNS0_4arch9wavefront6targetE1EEEvT1_, .Lfunc_end1725-_ZN7rocprim17ROCPRIM_400000_NS6detail17trampoline_kernelINS0_14default_configENS1_27scan_by_key_config_selectorIiiEEZZNS1_16scan_by_key_implILNS1_25lookback_scan_determinismE0ELb1ES3_N6thrust23THRUST_200600_302600_NS6detail15normal_iteratorINS9_10device_ptrIiEEEENSB_INSC_IjEEEENSB_INSC_IfEEEEiNS9_4plusIvEENS9_8equal_toIvEEiEE10hipError_tPvRmT2_T3_T4_T5_mT6_T7_P12ihipStream_tbENKUlT_T0_E_clISt17integral_constantIbLb1EES13_EEDaSY_SZ_EUlSY_E_NS1_11comp_targetILNS1_3genE0ELNS1_11target_archE4294967295ELNS1_3gpuE0ELNS1_3repE0EEENS1_30default_config_static_selectorELNS0_4arch9wavefront6targetE1EEEvT1_
                                        ; -- End function
	.section	.AMDGPU.csdata,"",@progbits
; Kernel info:
; codeLenInByte = 0
; NumSgprs: 6
; NumVgprs: 0
; NumAgprs: 0
; TotalNumVgprs: 0
; ScratchSize: 0
; MemoryBound: 0
; FloatMode: 240
; IeeeMode: 1
; LDSByteSize: 0 bytes/workgroup (compile time only)
; SGPRBlocks: 0
; VGPRBlocks: 0
; NumSGPRsForWavesPerEU: 6
; NumVGPRsForWavesPerEU: 1
; AccumOffset: 4
; Occupancy: 8
; WaveLimiterHint : 0
; COMPUTE_PGM_RSRC2:SCRATCH_EN: 0
; COMPUTE_PGM_RSRC2:USER_SGPR: 2
; COMPUTE_PGM_RSRC2:TRAP_HANDLER: 0
; COMPUTE_PGM_RSRC2:TGID_X_EN: 1
; COMPUTE_PGM_RSRC2:TGID_Y_EN: 0
; COMPUTE_PGM_RSRC2:TGID_Z_EN: 0
; COMPUTE_PGM_RSRC2:TIDIG_COMP_CNT: 0
; COMPUTE_PGM_RSRC3_GFX90A:ACCUM_OFFSET: 0
; COMPUTE_PGM_RSRC3_GFX90A:TG_SPLIT: 0
	.section	.text._ZN7rocprim17ROCPRIM_400000_NS6detail17trampoline_kernelINS0_14default_configENS1_27scan_by_key_config_selectorIiiEEZZNS1_16scan_by_key_implILNS1_25lookback_scan_determinismE0ELb1ES3_N6thrust23THRUST_200600_302600_NS6detail15normal_iteratorINS9_10device_ptrIiEEEENSB_INSC_IjEEEENSB_INSC_IfEEEEiNS9_4plusIvEENS9_8equal_toIvEEiEE10hipError_tPvRmT2_T3_T4_T5_mT6_T7_P12ihipStream_tbENKUlT_T0_E_clISt17integral_constantIbLb1EES13_EEDaSY_SZ_EUlSY_E_NS1_11comp_targetILNS1_3genE10ELNS1_11target_archE1201ELNS1_3gpuE5ELNS1_3repE0EEENS1_30default_config_static_selectorELNS0_4arch9wavefront6targetE1EEEvT1_,"axG",@progbits,_ZN7rocprim17ROCPRIM_400000_NS6detail17trampoline_kernelINS0_14default_configENS1_27scan_by_key_config_selectorIiiEEZZNS1_16scan_by_key_implILNS1_25lookback_scan_determinismE0ELb1ES3_N6thrust23THRUST_200600_302600_NS6detail15normal_iteratorINS9_10device_ptrIiEEEENSB_INSC_IjEEEENSB_INSC_IfEEEEiNS9_4plusIvEENS9_8equal_toIvEEiEE10hipError_tPvRmT2_T3_T4_T5_mT6_T7_P12ihipStream_tbENKUlT_T0_E_clISt17integral_constantIbLb1EES13_EEDaSY_SZ_EUlSY_E_NS1_11comp_targetILNS1_3genE10ELNS1_11target_archE1201ELNS1_3gpuE5ELNS1_3repE0EEENS1_30default_config_static_selectorELNS0_4arch9wavefront6targetE1EEEvT1_,comdat
	.protected	_ZN7rocprim17ROCPRIM_400000_NS6detail17trampoline_kernelINS0_14default_configENS1_27scan_by_key_config_selectorIiiEEZZNS1_16scan_by_key_implILNS1_25lookback_scan_determinismE0ELb1ES3_N6thrust23THRUST_200600_302600_NS6detail15normal_iteratorINS9_10device_ptrIiEEEENSB_INSC_IjEEEENSB_INSC_IfEEEEiNS9_4plusIvEENS9_8equal_toIvEEiEE10hipError_tPvRmT2_T3_T4_T5_mT6_T7_P12ihipStream_tbENKUlT_T0_E_clISt17integral_constantIbLb1EES13_EEDaSY_SZ_EUlSY_E_NS1_11comp_targetILNS1_3genE10ELNS1_11target_archE1201ELNS1_3gpuE5ELNS1_3repE0EEENS1_30default_config_static_selectorELNS0_4arch9wavefront6targetE1EEEvT1_ ; -- Begin function _ZN7rocprim17ROCPRIM_400000_NS6detail17trampoline_kernelINS0_14default_configENS1_27scan_by_key_config_selectorIiiEEZZNS1_16scan_by_key_implILNS1_25lookback_scan_determinismE0ELb1ES3_N6thrust23THRUST_200600_302600_NS6detail15normal_iteratorINS9_10device_ptrIiEEEENSB_INSC_IjEEEENSB_INSC_IfEEEEiNS9_4plusIvEENS9_8equal_toIvEEiEE10hipError_tPvRmT2_T3_T4_T5_mT6_T7_P12ihipStream_tbENKUlT_T0_E_clISt17integral_constantIbLb1EES13_EEDaSY_SZ_EUlSY_E_NS1_11comp_targetILNS1_3genE10ELNS1_11target_archE1201ELNS1_3gpuE5ELNS1_3repE0EEENS1_30default_config_static_selectorELNS0_4arch9wavefront6targetE1EEEvT1_
	.globl	_ZN7rocprim17ROCPRIM_400000_NS6detail17trampoline_kernelINS0_14default_configENS1_27scan_by_key_config_selectorIiiEEZZNS1_16scan_by_key_implILNS1_25lookback_scan_determinismE0ELb1ES3_N6thrust23THRUST_200600_302600_NS6detail15normal_iteratorINS9_10device_ptrIiEEEENSB_INSC_IjEEEENSB_INSC_IfEEEEiNS9_4plusIvEENS9_8equal_toIvEEiEE10hipError_tPvRmT2_T3_T4_T5_mT6_T7_P12ihipStream_tbENKUlT_T0_E_clISt17integral_constantIbLb1EES13_EEDaSY_SZ_EUlSY_E_NS1_11comp_targetILNS1_3genE10ELNS1_11target_archE1201ELNS1_3gpuE5ELNS1_3repE0EEENS1_30default_config_static_selectorELNS0_4arch9wavefront6targetE1EEEvT1_
	.p2align	8
	.type	_ZN7rocprim17ROCPRIM_400000_NS6detail17trampoline_kernelINS0_14default_configENS1_27scan_by_key_config_selectorIiiEEZZNS1_16scan_by_key_implILNS1_25lookback_scan_determinismE0ELb1ES3_N6thrust23THRUST_200600_302600_NS6detail15normal_iteratorINS9_10device_ptrIiEEEENSB_INSC_IjEEEENSB_INSC_IfEEEEiNS9_4plusIvEENS9_8equal_toIvEEiEE10hipError_tPvRmT2_T3_T4_T5_mT6_T7_P12ihipStream_tbENKUlT_T0_E_clISt17integral_constantIbLb1EES13_EEDaSY_SZ_EUlSY_E_NS1_11comp_targetILNS1_3genE10ELNS1_11target_archE1201ELNS1_3gpuE5ELNS1_3repE0EEENS1_30default_config_static_selectorELNS0_4arch9wavefront6targetE1EEEvT1_,@function
_ZN7rocprim17ROCPRIM_400000_NS6detail17trampoline_kernelINS0_14default_configENS1_27scan_by_key_config_selectorIiiEEZZNS1_16scan_by_key_implILNS1_25lookback_scan_determinismE0ELb1ES3_N6thrust23THRUST_200600_302600_NS6detail15normal_iteratorINS9_10device_ptrIiEEEENSB_INSC_IjEEEENSB_INSC_IfEEEEiNS9_4plusIvEENS9_8equal_toIvEEiEE10hipError_tPvRmT2_T3_T4_T5_mT6_T7_P12ihipStream_tbENKUlT_T0_E_clISt17integral_constantIbLb1EES13_EEDaSY_SZ_EUlSY_E_NS1_11comp_targetILNS1_3genE10ELNS1_11target_archE1201ELNS1_3gpuE5ELNS1_3repE0EEENS1_30default_config_static_selectorELNS0_4arch9wavefront6targetE1EEEvT1_: ; @_ZN7rocprim17ROCPRIM_400000_NS6detail17trampoline_kernelINS0_14default_configENS1_27scan_by_key_config_selectorIiiEEZZNS1_16scan_by_key_implILNS1_25lookback_scan_determinismE0ELb1ES3_N6thrust23THRUST_200600_302600_NS6detail15normal_iteratorINS9_10device_ptrIiEEEENSB_INSC_IjEEEENSB_INSC_IfEEEEiNS9_4plusIvEENS9_8equal_toIvEEiEE10hipError_tPvRmT2_T3_T4_T5_mT6_T7_P12ihipStream_tbENKUlT_T0_E_clISt17integral_constantIbLb1EES13_EEDaSY_SZ_EUlSY_E_NS1_11comp_targetILNS1_3genE10ELNS1_11target_archE1201ELNS1_3gpuE5ELNS1_3repE0EEENS1_30default_config_static_selectorELNS0_4arch9wavefront6targetE1EEEvT1_
; %bb.0:
	.section	.rodata,"a",@progbits
	.p2align	6, 0x0
	.amdhsa_kernel _ZN7rocprim17ROCPRIM_400000_NS6detail17trampoline_kernelINS0_14default_configENS1_27scan_by_key_config_selectorIiiEEZZNS1_16scan_by_key_implILNS1_25lookback_scan_determinismE0ELb1ES3_N6thrust23THRUST_200600_302600_NS6detail15normal_iteratorINS9_10device_ptrIiEEEENSB_INSC_IjEEEENSB_INSC_IfEEEEiNS9_4plusIvEENS9_8equal_toIvEEiEE10hipError_tPvRmT2_T3_T4_T5_mT6_T7_P12ihipStream_tbENKUlT_T0_E_clISt17integral_constantIbLb1EES13_EEDaSY_SZ_EUlSY_E_NS1_11comp_targetILNS1_3genE10ELNS1_11target_archE1201ELNS1_3gpuE5ELNS1_3repE0EEENS1_30default_config_static_selectorELNS0_4arch9wavefront6targetE1EEEvT1_
		.amdhsa_group_segment_fixed_size 0
		.amdhsa_private_segment_fixed_size 0
		.amdhsa_kernarg_size 112
		.amdhsa_user_sgpr_count 2
		.amdhsa_user_sgpr_dispatch_ptr 0
		.amdhsa_user_sgpr_queue_ptr 0
		.amdhsa_user_sgpr_kernarg_segment_ptr 1
		.amdhsa_user_sgpr_dispatch_id 0
		.amdhsa_user_sgpr_kernarg_preload_length 0
		.amdhsa_user_sgpr_kernarg_preload_offset 0
		.amdhsa_user_sgpr_private_segment_size 0
		.amdhsa_uses_dynamic_stack 0
		.amdhsa_enable_private_segment 0
		.amdhsa_system_sgpr_workgroup_id_x 1
		.amdhsa_system_sgpr_workgroup_id_y 0
		.amdhsa_system_sgpr_workgroup_id_z 0
		.amdhsa_system_sgpr_workgroup_info 0
		.amdhsa_system_vgpr_workitem_id 0
		.amdhsa_next_free_vgpr 1
		.amdhsa_next_free_sgpr 0
		.amdhsa_accum_offset 4
		.amdhsa_reserve_vcc 0
		.amdhsa_float_round_mode_32 0
		.amdhsa_float_round_mode_16_64 0
		.amdhsa_float_denorm_mode_32 3
		.amdhsa_float_denorm_mode_16_64 3
		.amdhsa_dx10_clamp 1
		.amdhsa_ieee_mode 1
		.amdhsa_fp16_overflow 0
		.amdhsa_tg_split 0
		.amdhsa_exception_fp_ieee_invalid_op 0
		.amdhsa_exception_fp_denorm_src 0
		.amdhsa_exception_fp_ieee_div_zero 0
		.amdhsa_exception_fp_ieee_overflow 0
		.amdhsa_exception_fp_ieee_underflow 0
		.amdhsa_exception_fp_ieee_inexact 0
		.amdhsa_exception_int_div_zero 0
	.end_amdhsa_kernel
	.section	.text._ZN7rocprim17ROCPRIM_400000_NS6detail17trampoline_kernelINS0_14default_configENS1_27scan_by_key_config_selectorIiiEEZZNS1_16scan_by_key_implILNS1_25lookback_scan_determinismE0ELb1ES3_N6thrust23THRUST_200600_302600_NS6detail15normal_iteratorINS9_10device_ptrIiEEEENSB_INSC_IjEEEENSB_INSC_IfEEEEiNS9_4plusIvEENS9_8equal_toIvEEiEE10hipError_tPvRmT2_T3_T4_T5_mT6_T7_P12ihipStream_tbENKUlT_T0_E_clISt17integral_constantIbLb1EES13_EEDaSY_SZ_EUlSY_E_NS1_11comp_targetILNS1_3genE10ELNS1_11target_archE1201ELNS1_3gpuE5ELNS1_3repE0EEENS1_30default_config_static_selectorELNS0_4arch9wavefront6targetE1EEEvT1_,"axG",@progbits,_ZN7rocprim17ROCPRIM_400000_NS6detail17trampoline_kernelINS0_14default_configENS1_27scan_by_key_config_selectorIiiEEZZNS1_16scan_by_key_implILNS1_25lookback_scan_determinismE0ELb1ES3_N6thrust23THRUST_200600_302600_NS6detail15normal_iteratorINS9_10device_ptrIiEEEENSB_INSC_IjEEEENSB_INSC_IfEEEEiNS9_4plusIvEENS9_8equal_toIvEEiEE10hipError_tPvRmT2_T3_T4_T5_mT6_T7_P12ihipStream_tbENKUlT_T0_E_clISt17integral_constantIbLb1EES13_EEDaSY_SZ_EUlSY_E_NS1_11comp_targetILNS1_3genE10ELNS1_11target_archE1201ELNS1_3gpuE5ELNS1_3repE0EEENS1_30default_config_static_selectorELNS0_4arch9wavefront6targetE1EEEvT1_,comdat
.Lfunc_end1726:
	.size	_ZN7rocprim17ROCPRIM_400000_NS6detail17trampoline_kernelINS0_14default_configENS1_27scan_by_key_config_selectorIiiEEZZNS1_16scan_by_key_implILNS1_25lookback_scan_determinismE0ELb1ES3_N6thrust23THRUST_200600_302600_NS6detail15normal_iteratorINS9_10device_ptrIiEEEENSB_INSC_IjEEEENSB_INSC_IfEEEEiNS9_4plusIvEENS9_8equal_toIvEEiEE10hipError_tPvRmT2_T3_T4_T5_mT6_T7_P12ihipStream_tbENKUlT_T0_E_clISt17integral_constantIbLb1EES13_EEDaSY_SZ_EUlSY_E_NS1_11comp_targetILNS1_3genE10ELNS1_11target_archE1201ELNS1_3gpuE5ELNS1_3repE0EEENS1_30default_config_static_selectorELNS0_4arch9wavefront6targetE1EEEvT1_, .Lfunc_end1726-_ZN7rocprim17ROCPRIM_400000_NS6detail17trampoline_kernelINS0_14default_configENS1_27scan_by_key_config_selectorIiiEEZZNS1_16scan_by_key_implILNS1_25lookback_scan_determinismE0ELb1ES3_N6thrust23THRUST_200600_302600_NS6detail15normal_iteratorINS9_10device_ptrIiEEEENSB_INSC_IjEEEENSB_INSC_IfEEEEiNS9_4plusIvEENS9_8equal_toIvEEiEE10hipError_tPvRmT2_T3_T4_T5_mT6_T7_P12ihipStream_tbENKUlT_T0_E_clISt17integral_constantIbLb1EES13_EEDaSY_SZ_EUlSY_E_NS1_11comp_targetILNS1_3genE10ELNS1_11target_archE1201ELNS1_3gpuE5ELNS1_3repE0EEENS1_30default_config_static_selectorELNS0_4arch9wavefront6targetE1EEEvT1_
                                        ; -- End function
	.section	.AMDGPU.csdata,"",@progbits
; Kernel info:
; codeLenInByte = 0
; NumSgprs: 6
; NumVgprs: 0
; NumAgprs: 0
; TotalNumVgprs: 0
; ScratchSize: 0
; MemoryBound: 0
; FloatMode: 240
; IeeeMode: 1
; LDSByteSize: 0 bytes/workgroup (compile time only)
; SGPRBlocks: 0
; VGPRBlocks: 0
; NumSGPRsForWavesPerEU: 6
; NumVGPRsForWavesPerEU: 1
; AccumOffset: 4
; Occupancy: 8
; WaveLimiterHint : 0
; COMPUTE_PGM_RSRC2:SCRATCH_EN: 0
; COMPUTE_PGM_RSRC2:USER_SGPR: 2
; COMPUTE_PGM_RSRC2:TRAP_HANDLER: 0
; COMPUTE_PGM_RSRC2:TGID_X_EN: 1
; COMPUTE_PGM_RSRC2:TGID_Y_EN: 0
; COMPUTE_PGM_RSRC2:TGID_Z_EN: 0
; COMPUTE_PGM_RSRC2:TIDIG_COMP_CNT: 0
; COMPUTE_PGM_RSRC3_GFX90A:ACCUM_OFFSET: 0
; COMPUTE_PGM_RSRC3_GFX90A:TG_SPLIT: 0
	.section	.text._ZN7rocprim17ROCPRIM_400000_NS6detail17trampoline_kernelINS0_14default_configENS1_27scan_by_key_config_selectorIiiEEZZNS1_16scan_by_key_implILNS1_25lookback_scan_determinismE0ELb1ES3_N6thrust23THRUST_200600_302600_NS6detail15normal_iteratorINS9_10device_ptrIiEEEENSB_INSC_IjEEEENSB_INSC_IfEEEEiNS9_4plusIvEENS9_8equal_toIvEEiEE10hipError_tPvRmT2_T3_T4_T5_mT6_T7_P12ihipStream_tbENKUlT_T0_E_clISt17integral_constantIbLb1EES13_EEDaSY_SZ_EUlSY_E_NS1_11comp_targetILNS1_3genE5ELNS1_11target_archE942ELNS1_3gpuE9ELNS1_3repE0EEENS1_30default_config_static_selectorELNS0_4arch9wavefront6targetE1EEEvT1_,"axG",@progbits,_ZN7rocprim17ROCPRIM_400000_NS6detail17trampoline_kernelINS0_14default_configENS1_27scan_by_key_config_selectorIiiEEZZNS1_16scan_by_key_implILNS1_25lookback_scan_determinismE0ELb1ES3_N6thrust23THRUST_200600_302600_NS6detail15normal_iteratorINS9_10device_ptrIiEEEENSB_INSC_IjEEEENSB_INSC_IfEEEEiNS9_4plusIvEENS9_8equal_toIvEEiEE10hipError_tPvRmT2_T3_T4_T5_mT6_T7_P12ihipStream_tbENKUlT_T0_E_clISt17integral_constantIbLb1EES13_EEDaSY_SZ_EUlSY_E_NS1_11comp_targetILNS1_3genE5ELNS1_11target_archE942ELNS1_3gpuE9ELNS1_3repE0EEENS1_30default_config_static_selectorELNS0_4arch9wavefront6targetE1EEEvT1_,comdat
	.protected	_ZN7rocprim17ROCPRIM_400000_NS6detail17trampoline_kernelINS0_14default_configENS1_27scan_by_key_config_selectorIiiEEZZNS1_16scan_by_key_implILNS1_25lookback_scan_determinismE0ELb1ES3_N6thrust23THRUST_200600_302600_NS6detail15normal_iteratorINS9_10device_ptrIiEEEENSB_INSC_IjEEEENSB_INSC_IfEEEEiNS9_4plusIvEENS9_8equal_toIvEEiEE10hipError_tPvRmT2_T3_T4_T5_mT6_T7_P12ihipStream_tbENKUlT_T0_E_clISt17integral_constantIbLb1EES13_EEDaSY_SZ_EUlSY_E_NS1_11comp_targetILNS1_3genE5ELNS1_11target_archE942ELNS1_3gpuE9ELNS1_3repE0EEENS1_30default_config_static_selectorELNS0_4arch9wavefront6targetE1EEEvT1_ ; -- Begin function _ZN7rocprim17ROCPRIM_400000_NS6detail17trampoline_kernelINS0_14default_configENS1_27scan_by_key_config_selectorIiiEEZZNS1_16scan_by_key_implILNS1_25lookback_scan_determinismE0ELb1ES3_N6thrust23THRUST_200600_302600_NS6detail15normal_iteratorINS9_10device_ptrIiEEEENSB_INSC_IjEEEENSB_INSC_IfEEEEiNS9_4plusIvEENS9_8equal_toIvEEiEE10hipError_tPvRmT2_T3_T4_T5_mT6_T7_P12ihipStream_tbENKUlT_T0_E_clISt17integral_constantIbLb1EES13_EEDaSY_SZ_EUlSY_E_NS1_11comp_targetILNS1_3genE5ELNS1_11target_archE942ELNS1_3gpuE9ELNS1_3repE0EEENS1_30default_config_static_selectorELNS0_4arch9wavefront6targetE1EEEvT1_
	.globl	_ZN7rocprim17ROCPRIM_400000_NS6detail17trampoline_kernelINS0_14default_configENS1_27scan_by_key_config_selectorIiiEEZZNS1_16scan_by_key_implILNS1_25lookback_scan_determinismE0ELb1ES3_N6thrust23THRUST_200600_302600_NS6detail15normal_iteratorINS9_10device_ptrIiEEEENSB_INSC_IjEEEENSB_INSC_IfEEEEiNS9_4plusIvEENS9_8equal_toIvEEiEE10hipError_tPvRmT2_T3_T4_T5_mT6_T7_P12ihipStream_tbENKUlT_T0_E_clISt17integral_constantIbLb1EES13_EEDaSY_SZ_EUlSY_E_NS1_11comp_targetILNS1_3genE5ELNS1_11target_archE942ELNS1_3gpuE9ELNS1_3repE0EEENS1_30default_config_static_selectorELNS0_4arch9wavefront6targetE1EEEvT1_
	.p2align	8
	.type	_ZN7rocprim17ROCPRIM_400000_NS6detail17trampoline_kernelINS0_14default_configENS1_27scan_by_key_config_selectorIiiEEZZNS1_16scan_by_key_implILNS1_25lookback_scan_determinismE0ELb1ES3_N6thrust23THRUST_200600_302600_NS6detail15normal_iteratorINS9_10device_ptrIiEEEENSB_INSC_IjEEEENSB_INSC_IfEEEEiNS9_4plusIvEENS9_8equal_toIvEEiEE10hipError_tPvRmT2_T3_T4_T5_mT6_T7_P12ihipStream_tbENKUlT_T0_E_clISt17integral_constantIbLb1EES13_EEDaSY_SZ_EUlSY_E_NS1_11comp_targetILNS1_3genE5ELNS1_11target_archE942ELNS1_3gpuE9ELNS1_3repE0EEENS1_30default_config_static_selectorELNS0_4arch9wavefront6targetE1EEEvT1_,@function
_ZN7rocprim17ROCPRIM_400000_NS6detail17trampoline_kernelINS0_14default_configENS1_27scan_by_key_config_selectorIiiEEZZNS1_16scan_by_key_implILNS1_25lookback_scan_determinismE0ELb1ES3_N6thrust23THRUST_200600_302600_NS6detail15normal_iteratorINS9_10device_ptrIiEEEENSB_INSC_IjEEEENSB_INSC_IfEEEEiNS9_4plusIvEENS9_8equal_toIvEEiEE10hipError_tPvRmT2_T3_T4_T5_mT6_T7_P12ihipStream_tbENKUlT_T0_E_clISt17integral_constantIbLb1EES13_EEDaSY_SZ_EUlSY_E_NS1_11comp_targetILNS1_3genE5ELNS1_11target_archE942ELNS1_3gpuE9ELNS1_3repE0EEENS1_30default_config_static_selectorELNS0_4arch9wavefront6targetE1EEEvT1_: ; @_ZN7rocprim17ROCPRIM_400000_NS6detail17trampoline_kernelINS0_14default_configENS1_27scan_by_key_config_selectorIiiEEZZNS1_16scan_by_key_implILNS1_25lookback_scan_determinismE0ELb1ES3_N6thrust23THRUST_200600_302600_NS6detail15normal_iteratorINS9_10device_ptrIiEEEENSB_INSC_IjEEEENSB_INSC_IfEEEEiNS9_4plusIvEENS9_8equal_toIvEEiEE10hipError_tPvRmT2_T3_T4_T5_mT6_T7_P12ihipStream_tbENKUlT_T0_E_clISt17integral_constantIbLb1EES13_EEDaSY_SZ_EUlSY_E_NS1_11comp_targetILNS1_3genE5ELNS1_11target_archE942ELNS1_3gpuE9ELNS1_3repE0EEENS1_30default_config_static_selectorELNS0_4arch9wavefront6targetE1EEEvT1_
; %bb.0:
	s_load_dword s74, s[0:1], 0x20
	s_load_dwordx4 s[64:67], s[0:1], 0x28
	s_load_dwordx2 s[72:73], s[0:1], 0x38
	v_cmp_ne_u32_e64 s[4:5], 0, v0
	v_cmp_eq_u32_e64 s[52:53], 0, v0
	s_and_saveexec_b64 s[2:3], s[52:53]
	s_cbranch_execz .LBB1727_4
; %bb.1:
	s_mov_b64 s[8:9], exec
	v_mbcnt_lo_u32_b32 v1, s8, 0
	v_mbcnt_hi_u32_b32 v1, s9, v1
	v_cmp_eq_u32_e32 vcc, 0, v1
                                        ; implicit-def: $vgpr2
	s_and_saveexec_b64 s[6:7], vcc
	s_cbranch_execz .LBB1727_3
; %bb.2:
	s_load_dwordx2 s[10:11], s[0:1], 0x68
	s_bcnt1_i32_b64 s8, s[8:9]
	v_mov_b32_e32 v2, 0
	v_mov_b32_e32 v3, s8
	s_waitcnt lgkmcnt(0)
	global_atomic_add v2, v2, v3, s[10:11] sc0
.LBB1727_3:
	s_or_b64 exec, exec, s[6:7]
	s_waitcnt vmcnt(0)
	v_readfirstlane_b32 s6, v2
	v_mov_b32_e32 v2, 0
	s_nop 0
	v_add_u32_e32 v1, s6, v1
	ds_write_b32 v2, v1
.LBB1727_4:
	s_or_b64 exec, exec, s[2:3]
	s_load_dwordx8 s[56:63], s[0:1], 0x0
	s_load_dword s2, s[0:1], 0x40
	s_load_dwordx4 s[68:71], s[0:1], 0x48
	v_mov_b32_e32 v7, 0
	s_waitcnt lgkmcnt(0)
	s_lshl_b64 s[54:55], s[58:59], 2
	s_barrier
	ds_read_b32 v6, v7
	s_add_u32 s0, s56, s54
	s_addc_u32 s1, s57, s55
	s_add_u32 s6, s60, s54
	s_mul_i32 s3, s73, s2
	s_mul_hi_u32 s8, s72, s2
	s_addc_u32 s7, s61, s55
	s_add_i32 s3, s8, s3
	s_movk_i32 s8, 0x1700
	s_waitcnt lgkmcnt(0)
	v_mul_lo_u32 v2, v6, s8
	v_mov_b32_e32 v3, v7
	v_lshlrev_b64 v[10:11], 2, v[2:3]
	s_mul_i32 s2, s72, s2
	v_lshl_add_u64 v[2:3], s[6:7], 0, v[10:11]
	s_add_u32 s6, s68, -1
	v_readfirstlane_b32 s67, v6
	v_lshl_add_u64 v[6:7], s[2:3], 0, v[6:7]
	s_addc_u32 s7, s69, -1
	v_cmp_le_u64_e64 s[2:3], s[6:7], v[6:7]
	v_lshl_add_u64 v[4:5], s[0:1], 0, v[10:11]
	s_mov_b64 s[0:1], -1
	s_and_b64 vcc, exec, s[2:3]
	s_mul_i32 s33, s6, 0xffffe900
	s_barrier
	s_barrier
	s_cbranch_vccz .LBB1727_75
; %bb.5:
	flat_load_dword v1, v[4:5]
	s_add_i32 s60, s33, s66
	v_cmp_gt_u32_e32 vcc, s60, v0
	s_waitcnt vmcnt(0) lgkmcnt(0)
	v_mov_b32_e32 v7, v1
	s_and_saveexec_b64 s[0:1], vcc
	s_cbranch_execz .LBB1727_7
; %bb.6:
	v_lshlrev_b32_e32 v6, 2, v0
	v_mov_b32_e32 v7, 0
	v_lshl_add_u64 v[6:7], v[4:5], 0, v[6:7]
	flat_load_dword v7, v[6:7]
.LBB1727_7:
	s_or_b64 exec, exec, s[0:1]
	v_or_b32_e32 v6, 0x100, v0
	v_cmp_gt_u32_e64 s[6:7], s60, v6
	v_mov_b32_e32 v8, v1
	s_and_saveexec_b64 s[0:1], s[6:7]
	s_cbranch_execz .LBB1727_9
; %bb.8:
	v_lshlrev_b32_e32 v8, 2, v0
	v_mov_b32_e32 v9, 0
	v_lshl_add_u64 v[8:9], v[4:5], 0, v[8:9]
	flat_load_dword v8, v[8:9] offset:1024
.LBB1727_9:
	s_or_b64 exec, exec, s[0:1]
	v_or_b32_e32 v6, 0x200, v0
	v_cmp_gt_u32_e64 s[8:9], s60, v6
	v_mov_b32_e32 v9, v1
	s_and_saveexec_b64 s[0:1], s[8:9]
	s_cbranch_execz .LBB1727_11
; %bb.10:
	v_lshlrev_b32_e32 v12, 2, v0
	v_mov_b32_e32 v13, 0
	v_lshl_add_u64 v[12:13], v[4:5], 0, v[12:13]
	flat_load_dword v9, v[12:13] offset:2048
.LBB1727_11:
	;; [unrolled: 12-line block ×3, first 2 shown]
	s_or_b64 exec, exec, s[0:1]
	v_or_b32_e32 v12, 0x400, v0
	v_cmp_gt_u32_e64 s[12:13], s60, v12
	v_mov_b32_e32 v32, v1
	s_and_saveexec_b64 s[0:1], s[12:13]
	s_cbranch_execz .LBB1727_15
; %bb.14:
	v_lshlrev_b32_e32 v14, 2, v12
	v_mov_b32_e32 v15, 0
	v_lshl_add_u64 v[14:15], v[4:5], 0, v[14:15]
	flat_load_dword v32, v[14:15]
.LBB1727_15:
	s_or_b64 exec, exec, s[0:1]
	v_or_b32_e32 v13, 0x500, v0
	v_cmp_gt_u32_e64 s[14:15], s60, v13
	v_mov_b32_e32 v33, v1
	s_and_saveexec_b64 s[0:1], s[14:15]
	s_cbranch_execz .LBB1727_17
; %bb.16:
	v_lshlrev_b32_e32 v14, 2, v13
	v_mov_b32_e32 v15, 0
	v_lshl_add_u64 v[14:15], v[4:5], 0, v[14:15]
	flat_load_dword v33, v[14:15]
.LBB1727_17:
	s_or_b64 exec, exec, s[0:1]
	v_or_b32_e32 v14, 0x600, v0
	v_cmp_gt_u32_e64 s[16:17], s60, v14
	v_mov_b32_e32 v34, v1
	s_and_saveexec_b64 s[0:1], s[16:17]
	s_cbranch_execz .LBB1727_19
; %bb.18:
	v_lshlrev_b32_e32 v16, 2, v14
	v_mov_b32_e32 v17, 0
	v_lshl_add_u64 v[16:17], v[4:5], 0, v[16:17]
	flat_load_dword v34, v[16:17]
.LBB1727_19:
	s_or_b64 exec, exec, s[0:1]
	v_or_b32_e32 v15, 0x700, v0
	v_cmp_gt_u32_e64 s[18:19], s60, v15
	v_mov_b32_e32 v35, v1
	s_and_saveexec_b64 s[0:1], s[18:19]
	s_cbranch_execz .LBB1727_21
; %bb.20:
	v_lshlrev_b32_e32 v16, 2, v15
	v_mov_b32_e32 v17, 0
	v_lshl_add_u64 v[16:17], v[4:5], 0, v[16:17]
	flat_load_dword v35, v[16:17]
.LBB1727_21:
	s_or_b64 exec, exec, s[0:1]
	v_or_b32_e32 v16, 0x800, v0
	v_cmp_gt_u32_e64 s[20:21], s60, v16
	v_mov_b32_e32 v36, v1
	s_and_saveexec_b64 s[0:1], s[20:21]
	s_cbranch_execz .LBB1727_23
; %bb.22:
	v_lshlrev_b32_e32 v18, 2, v16
	v_mov_b32_e32 v19, 0
	v_lshl_add_u64 v[18:19], v[4:5], 0, v[18:19]
	flat_load_dword v36, v[18:19]
.LBB1727_23:
	s_or_b64 exec, exec, s[0:1]
	v_or_b32_e32 v17, 0x900, v0
	v_cmp_gt_u32_e64 s[22:23], s60, v17
	v_mov_b32_e32 v37, v1
	s_and_saveexec_b64 s[0:1], s[22:23]
	s_cbranch_execz .LBB1727_25
; %bb.24:
	v_lshlrev_b32_e32 v18, 2, v17
	v_mov_b32_e32 v19, 0
	v_lshl_add_u64 v[18:19], v[4:5], 0, v[18:19]
	flat_load_dword v37, v[18:19]
.LBB1727_25:
	s_or_b64 exec, exec, s[0:1]
	v_or_b32_e32 v18, 0xa00, v0
	v_cmp_gt_u32_e64 s[24:25], s60, v18
	v_mov_b32_e32 v38, v1
	s_and_saveexec_b64 s[0:1], s[24:25]
	s_cbranch_execz .LBB1727_27
; %bb.26:
	v_lshlrev_b32_e32 v20, 2, v18
	v_mov_b32_e32 v21, 0
	v_lshl_add_u64 v[20:21], v[4:5], 0, v[20:21]
	flat_load_dword v38, v[20:21]
.LBB1727_27:
	s_or_b64 exec, exec, s[0:1]
	v_or_b32_e32 v19, 0xb00, v0
	v_cmp_gt_u32_e64 s[26:27], s60, v19
	v_mov_b32_e32 v39, v1
	s_and_saveexec_b64 s[0:1], s[26:27]
	s_cbranch_execz .LBB1727_29
; %bb.28:
	v_lshlrev_b32_e32 v20, 2, v19
	v_mov_b32_e32 v21, 0
	v_lshl_add_u64 v[20:21], v[4:5], 0, v[20:21]
	flat_load_dword v39, v[20:21]
.LBB1727_29:
	s_or_b64 exec, exec, s[0:1]
	v_or_b32_e32 v20, 0xc00, v0
	v_cmp_gt_u32_e64 s[28:29], s60, v20
	v_mov_b32_e32 v40, v1
	s_and_saveexec_b64 s[0:1], s[28:29]
	s_cbranch_execz .LBB1727_31
; %bb.30:
	v_lshlrev_b32_e32 v22, 2, v20
	v_mov_b32_e32 v23, 0
	v_lshl_add_u64 v[22:23], v[4:5], 0, v[22:23]
	flat_load_dword v40, v[22:23]
.LBB1727_31:
	s_or_b64 exec, exec, s[0:1]
	v_or_b32_e32 v21, 0xd00, v0
	v_cmp_gt_u32_e64 s[30:31], s60, v21
	v_mov_b32_e32 v41, v1
	s_and_saveexec_b64 s[0:1], s[30:31]
	s_cbranch_execz .LBB1727_33
; %bb.32:
	v_lshlrev_b32_e32 v22, 2, v21
	v_mov_b32_e32 v23, 0
	v_lshl_add_u64 v[22:23], v[4:5], 0, v[22:23]
	flat_load_dword v41, v[22:23]
.LBB1727_33:
	s_or_b64 exec, exec, s[0:1]
	v_or_b32_e32 v22, 0xe00, v0
	v_cmp_gt_u32_e64 s[34:35], s60, v22
	v_mov_b32_e32 v42, v1
	s_and_saveexec_b64 s[0:1], s[34:35]
	s_cbranch_execz .LBB1727_35
; %bb.34:
	v_lshlrev_b32_e32 v24, 2, v22
	v_mov_b32_e32 v25, 0
	v_lshl_add_u64 v[24:25], v[4:5], 0, v[24:25]
	flat_load_dword v42, v[24:25]
.LBB1727_35:
	s_or_b64 exec, exec, s[0:1]
	v_or_b32_e32 v23, 0xf00, v0
	v_cmp_gt_u32_e64 s[36:37], s60, v23
	v_mov_b32_e32 v43, v1
	s_and_saveexec_b64 s[0:1], s[36:37]
	s_cbranch_execz .LBB1727_37
; %bb.36:
	v_lshlrev_b32_e32 v24, 2, v23
	v_mov_b32_e32 v25, 0
	v_lshl_add_u64 v[24:25], v[4:5], 0, v[24:25]
	flat_load_dword v43, v[24:25]
.LBB1727_37:
	s_or_b64 exec, exec, s[0:1]
	v_or_b32_e32 v24, 0x1000, v0
	v_cmp_gt_u32_e64 s[38:39], s60, v24
	v_mov_b32_e32 v44, v1
	s_and_saveexec_b64 s[0:1], s[38:39]
	s_cbranch_execz .LBB1727_39
; %bb.38:
	v_lshlrev_b32_e32 v26, 2, v24
	v_mov_b32_e32 v27, 0
	v_lshl_add_u64 v[26:27], v[4:5], 0, v[26:27]
	flat_load_dword v44, v[26:27]
.LBB1727_39:
	s_or_b64 exec, exec, s[0:1]
	v_or_b32_e32 v25, 0x1100, v0
	v_cmp_gt_u32_e64 s[40:41], s60, v25
	v_mov_b32_e32 v45, v1
	s_and_saveexec_b64 s[0:1], s[40:41]
	s_cbranch_execz .LBB1727_41
; %bb.40:
	v_lshlrev_b32_e32 v26, 2, v25
	v_mov_b32_e32 v27, 0
	v_lshl_add_u64 v[26:27], v[4:5], 0, v[26:27]
	flat_load_dword v45, v[26:27]
.LBB1727_41:
	s_or_b64 exec, exec, s[0:1]
	v_or_b32_e32 v26, 0x1200, v0
	v_cmp_gt_u32_e64 s[42:43], s60, v26
	v_mov_b32_e32 v46, v1
	s_and_saveexec_b64 s[0:1], s[42:43]
	s_cbranch_execz .LBB1727_43
; %bb.42:
	v_lshlrev_b32_e32 v28, 2, v26
	v_mov_b32_e32 v29, 0
	v_lshl_add_u64 v[28:29], v[4:5], 0, v[28:29]
	flat_load_dword v46, v[28:29]
.LBB1727_43:
	s_or_b64 exec, exec, s[0:1]
	v_or_b32_e32 v27, 0x1300, v0
	v_cmp_gt_u32_e64 s[44:45], s60, v27
	v_mov_b32_e32 v47, v1
	s_and_saveexec_b64 s[0:1], s[44:45]
	s_cbranch_execz .LBB1727_45
; %bb.44:
	v_lshlrev_b32_e32 v28, 2, v27
	v_mov_b32_e32 v29, 0
	v_lshl_add_u64 v[28:29], v[4:5], 0, v[28:29]
	flat_load_dword v47, v[28:29]
.LBB1727_45:
	s_or_b64 exec, exec, s[0:1]
	v_or_b32_e32 v28, 0x1400, v0
	v_cmp_gt_u32_e64 s[46:47], s60, v28
	v_mov_b32_e32 v48, v1
	s_and_saveexec_b64 s[0:1], s[46:47]
	s_cbranch_execz .LBB1727_47
; %bb.46:
	v_lshlrev_b32_e32 v48, 2, v28
	v_mov_b32_e32 v49, 0
	v_lshl_add_u64 v[48:49], v[4:5], 0, v[48:49]
	flat_load_dword v48, v[48:49]
.LBB1727_47:
	s_or_b64 exec, exec, s[0:1]
	v_or_b32_e32 v29, 0x1500, v0
	v_cmp_gt_u32_e64 s[48:49], s60, v29
	v_mov_b32_e32 v49, v1
	s_and_saveexec_b64 s[0:1], s[48:49]
	s_cbranch_execz .LBB1727_49
; %bb.48:
	v_lshlrev_b32_e32 v50, 2, v29
	v_mov_b32_e32 v51, 0
	v_lshl_add_u64 v[50:51], v[4:5], 0, v[50:51]
	flat_load_dword v49, v[50:51]
.LBB1727_49:
	s_or_b64 exec, exec, s[0:1]
	v_or_b32_e32 v30, 0x1600, v0
	v_cmp_gt_u32_e64 s[50:51], s60, v30
	s_and_saveexec_b64 s[0:1], s[50:51]
	s_cbranch_execz .LBB1727_51
; %bb.50:
	v_lshlrev_b32_e32 v50, 2, v30
	v_mov_b32_e32 v51, 0
	v_lshl_add_u64 v[50:51], v[4:5], 0, v[50:51]
	flat_load_dword v1, v[50:51]
.LBB1727_51:
	s_or_b64 exec, exec, s[0:1]
	v_lshlrev_b32_e32 v6, 2, v0
	s_waitcnt vmcnt(0) lgkmcnt(0)
	ds_write2st64_b32 v6, v7, v8 offset1:4
	ds_write2st64_b32 v6, v9, v31 offset0:8 offset1:12
	ds_write2st64_b32 v6, v32, v33 offset0:16 offset1:20
	;; [unrolled: 1-line block ×10, first 2 shown]
	ds_write_b32 v6, v1 offset:22528
	s_waitcnt lgkmcnt(0)
	s_barrier
	flat_load_dword v1, v[4:5]
	s_movk_i32 s0, 0x58
	v_mad_u32_u24 v76, v0, s0, v6
	s_movk_i32 s0, 0xffa8
	v_mad_i32_i24 v7, v0, s0, v76
	s_movk_i32 s0, 0xff
	v_cmp_ne_u32_e64 s[0:1], s0, v0
	ds_read_b32 v78, v76
	ds_read2_b32 v[74:75], v76 offset0:1 offset1:2
	ds_read2_b32 v[72:73], v76 offset0:3 offset1:4
	;; [unrolled: 1-line block ×11, first 2 shown]
	s_waitcnt lgkmcnt(0)
	ds_write_b32 v7, v78 offset:24576
	s_waitcnt lgkmcnt(0)
	s_barrier
	s_and_saveexec_b64 s[56:57], s[0:1]
	s_cbranch_execz .LBB1727_53
; %bb.52:
	s_waitcnt vmcnt(0)
	ds_read_b32 v1, v6 offset:24580
.LBB1727_53:
	s_or_b64 exec, exec, s[56:57]
	v_mov_b32_e32 v7, 0
	s_waitcnt lgkmcnt(0)
	s_barrier
	s_waitcnt lgkmcnt(0)
                                        ; implicit-def: $vgpr31
	s_and_saveexec_b64 s[0:1], vcc
	s_cbranch_execz .LBB1727_76
; %bb.54:
	v_lshl_add_u64 v[32:33], v[2:3], 0, v[6:7]
	flat_load_dword v31, v[32:33]
	s_or_b64 exec, exec, s[0:1]
                                        ; implicit-def: $vgpr32
	s_and_saveexec_b64 s[0:1], s[6:7]
	s_cbranch_execnz .LBB1727_77
.LBB1727_55:
	s_or_b64 exec, exec, s[0:1]
                                        ; implicit-def: $vgpr33
	s_and_saveexec_b64 s[0:1], s[8:9]
	s_cbranch_execz .LBB1727_78
.LBB1727_56:
	v_mov_b32_e32 v7, 0
	v_lshl_add_u64 v[34:35], v[2:3], 0, v[6:7]
	flat_load_dword v33, v[34:35] offset:2048
	s_or_b64 exec, exec, s[0:1]
                                        ; implicit-def: $vgpr7
	s_and_saveexec_b64 s[0:1], s[10:11]
	s_cbranch_execnz .LBB1727_79
.LBB1727_57:
	s_or_b64 exec, exec, s[0:1]
                                        ; implicit-def: $vgpr34
	s_and_saveexec_b64 s[0:1], s[12:13]
	s_cbranch_execz .LBB1727_80
.LBB1727_58:
	v_lshlrev_b32_e32 v34, 2, v12
	v_mov_b32_e32 v35, 0
	v_lshl_add_u64 v[34:35], v[2:3], 0, v[34:35]
	flat_load_dword v34, v[34:35]
	s_or_b64 exec, exec, s[0:1]
                                        ; implicit-def: $vgpr12
	s_and_saveexec_b64 s[0:1], s[14:15]
	s_cbranch_execnz .LBB1727_81
.LBB1727_59:
	s_or_b64 exec, exec, s[0:1]
                                        ; implicit-def: $vgpr13
	s_and_saveexec_b64 s[0:1], s[16:17]
	s_cbranch_execz .LBB1727_82
.LBB1727_60:
	v_lshlrev_b32_e32 v36, 2, v14
	v_mov_b32_e32 v37, 0
	v_lshl_add_u64 v[36:37], v[2:3], 0, v[36:37]
	flat_load_dword v13, v[36:37]
	s_or_b64 exec, exec, s[0:1]
                                        ; implicit-def: $vgpr14
	s_and_saveexec_b64 s[0:1], s[18:19]
	s_cbranch_execnz .LBB1727_83
.LBB1727_61:
	s_or_b64 exec, exec, s[0:1]
                                        ; implicit-def: $vgpr15
	s_and_saveexec_b64 s[0:1], s[20:21]
	s_cbranch_execz .LBB1727_84
.LBB1727_62:
	v_lshlrev_b32_e32 v36, 2, v16
	v_mov_b32_e32 v37, 0
	v_lshl_add_u64 v[36:37], v[2:3], 0, v[36:37]
	flat_load_dword v15, v[36:37]
	s_or_b64 exec, exec, s[0:1]
                                        ; implicit-def: $vgpr16
	s_and_saveexec_b64 s[0:1], s[22:23]
	s_cbranch_execnz .LBB1727_85
.LBB1727_63:
	s_or_b64 exec, exec, s[0:1]
                                        ; implicit-def: $vgpr17
	s_and_saveexec_b64 s[0:1], s[24:25]
	s_cbranch_execz .LBB1727_86
.LBB1727_64:
	v_lshlrev_b32_e32 v36, 2, v18
	v_mov_b32_e32 v37, 0
	v_lshl_add_u64 v[36:37], v[2:3], 0, v[36:37]
	flat_load_dword v17, v[36:37]
	s_or_b64 exec, exec, s[0:1]
                                        ; implicit-def: $vgpr18
	s_and_saveexec_b64 s[0:1], s[26:27]
	s_cbranch_execnz .LBB1727_87
.LBB1727_65:
	s_or_b64 exec, exec, s[0:1]
                                        ; implicit-def: $vgpr19
	s_and_saveexec_b64 s[0:1], s[28:29]
	s_cbranch_execz .LBB1727_88
.LBB1727_66:
	v_lshlrev_b32_e32 v36, 2, v20
	v_mov_b32_e32 v37, 0
	v_lshl_add_u64 v[36:37], v[2:3], 0, v[36:37]
	flat_load_dword v19, v[36:37]
	s_or_b64 exec, exec, s[0:1]
                                        ; implicit-def: $vgpr20
	s_and_saveexec_b64 s[0:1], s[30:31]
	s_cbranch_execnz .LBB1727_89
.LBB1727_67:
	s_or_b64 exec, exec, s[0:1]
                                        ; implicit-def: $vgpr21
	s_and_saveexec_b64 s[0:1], s[34:35]
	s_cbranch_execz .LBB1727_90
.LBB1727_68:
	v_lshlrev_b32_e32 v36, 2, v22
	v_mov_b32_e32 v37, 0
	v_lshl_add_u64 v[36:37], v[2:3], 0, v[36:37]
	flat_load_dword v21, v[36:37]
	s_or_b64 exec, exec, s[0:1]
                                        ; implicit-def: $vgpr22
	s_and_saveexec_b64 s[0:1], s[36:37]
	s_cbranch_execnz .LBB1727_91
.LBB1727_69:
	s_or_b64 exec, exec, s[0:1]
                                        ; implicit-def: $vgpr23
	s_and_saveexec_b64 s[0:1], s[38:39]
	s_cbranch_execz .LBB1727_92
.LBB1727_70:
	v_lshlrev_b32_e32 v36, 2, v24
	v_mov_b32_e32 v37, 0
	v_lshl_add_u64 v[36:37], v[2:3], 0, v[36:37]
	flat_load_dword v23, v[36:37]
	s_or_b64 exec, exec, s[0:1]
                                        ; implicit-def: $vgpr24
	s_and_saveexec_b64 s[0:1], s[40:41]
	s_cbranch_execnz .LBB1727_93
.LBB1727_71:
	s_or_b64 exec, exec, s[0:1]
                                        ; implicit-def: $vgpr25
	s_and_saveexec_b64 s[0:1], s[42:43]
	s_cbranch_execz .LBB1727_94
.LBB1727_72:
	v_lshlrev_b32_e32 v36, 2, v26
	v_mov_b32_e32 v37, 0
	v_lshl_add_u64 v[36:37], v[2:3], 0, v[36:37]
	flat_load_dword v25, v[36:37]
	s_or_b64 exec, exec, s[0:1]
                                        ; implicit-def: $vgpr26
	s_and_saveexec_b64 s[0:1], s[44:45]
	s_cbranch_execnz .LBB1727_95
.LBB1727_73:
	s_or_b64 exec, exec, s[0:1]
                                        ; implicit-def: $vgpr27
	s_and_saveexec_b64 s[0:1], s[46:47]
	s_cbranch_execz .LBB1727_96
.LBB1727_74:
	v_lshlrev_b32_e32 v36, 2, v28
	v_mov_b32_e32 v37, 0
	v_lshl_add_u64 v[36:37], v[2:3], 0, v[36:37]
	flat_load_dword v27, v[36:37]
	s_or_b64 exec, exec, s[0:1]
                                        ; implicit-def: $vgpr28
	s_and_saveexec_b64 s[0:1], s[48:49]
	s_cbranch_execz .LBB1727_98
	s_branch .LBB1727_97
.LBB1727_75:
	s_mov_b64 s[10:11], 0
                                        ; implicit-def: $sgpr8_sgpr9
                                        ; implicit-def: $vgpr6
                                        ; implicit-def: $vgpr12_vgpr13
                                        ; implicit-def: $vgpr14_vgpr15
                                        ; implicit-def: $vgpr16_vgpr17
                                        ; implicit-def: $vgpr18_vgpr19
                                        ; implicit-def: $vgpr20_vgpr21
                                        ; implicit-def: $vgpr22_vgpr23
                                        ; implicit-def: $vgpr24_vgpr25
                                        ; implicit-def: $vgpr26_vgpr27
                                        ; implicit-def: $vgpr28_vgpr29
                                        ; implicit-def: $vgpr30_vgpr31
                                        ; implicit-def: $vgpr32_vgpr33
                                        ; implicit-def: $vgpr34_vgpr35
                                        ; implicit-def: $vgpr36_vgpr37
                                        ; implicit-def: $vgpr38_vgpr39
                                        ; implicit-def: $vgpr40_vgpr41
                                        ; implicit-def: $vgpr42_vgpr43
                                        ; implicit-def: $vgpr44_vgpr45
                                        ; implicit-def: $vgpr46_vgpr47
                                        ; implicit-def: $vgpr48_vgpr49
                                        ; implicit-def: $vgpr50_vgpr51
                                        ; implicit-def: $vgpr52_vgpr53
                                        ; implicit-def: $vgpr54_vgpr55
                                        ; implicit-def: $sgpr6_sgpr7
	s_and_b64 vcc, exec, s[0:1]
	v_lshlrev_b32_e32 v56, 2, v0
	s_cbranch_vccz .LBB1727_152
	s_branch .LBB1727_147
.LBB1727_76:
	s_or_b64 exec, exec, s[0:1]
                                        ; implicit-def: $vgpr32
	s_and_saveexec_b64 s[0:1], s[6:7]
	s_cbranch_execz .LBB1727_55
.LBB1727_77:
	v_mov_b32_e32 v7, 0
	v_lshl_add_u64 v[32:33], v[2:3], 0, v[6:7]
	flat_load_dword v32, v[32:33] offset:1024
	s_or_b64 exec, exec, s[0:1]
                                        ; implicit-def: $vgpr33
	s_and_saveexec_b64 s[0:1], s[8:9]
	s_cbranch_execnz .LBB1727_56
.LBB1727_78:
	s_or_b64 exec, exec, s[0:1]
                                        ; implicit-def: $vgpr7
	s_and_saveexec_b64 s[0:1], s[10:11]
	s_cbranch_execz .LBB1727_57
.LBB1727_79:
	v_mov_b32_e32 v7, 0
	v_lshl_add_u64 v[34:35], v[2:3], 0, v[6:7]
	flat_load_dword v7, v[34:35] offset:3072
	s_or_b64 exec, exec, s[0:1]
                                        ; implicit-def: $vgpr34
	s_and_saveexec_b64 s[0:1], s[12:13]
	s_cbranch_execnz .LBB1727_58
.LBB1727_80:
	s_or_b64 exec, exec, s[0:1]
                                        ; implicit-def: $vgpr12
	s_and_saveexec_b64 s[0:1], s[14:15]
	s_cbranch_execz .LBB1727_59
.LBB1727_81:
	v_lshlrev_b32_e32 v12, 2, v13
	v_mov_b32_e32 v13, 0
	v_lshl_add_u64 v[12:13], v[2:3], 0, v[12:13]
	flat_load_dword v12, v[12:13]
	s_or_b64 exec, exec, s[0:1]
                                        ; implicit-def: $vgpr13
	s_and_saveexec_b64 s[0:1], s[16:17]
	s_cbranch_execnz .LBB1727_60
.LBB1727_82:
	s_or_b64 exec, exec, s[0:1]
                                        ; implicit-def: $vgpr14
	s_and_saveexec_b64 s[0:1], s[18:19]
	s_cbranch_execz .LBB1727_61
.LBB1727_83:
	v_lshlrev_b32_e32 v14, 2, v15
	v_mov_b32_e32 v15, 0
	v_lshl_add_u64 v[14:15], v[2:3], 0, v[14:15]
	flat_load_dword v14, v[14:15]
	s_or_b64 exec, exec, s[0:1]
                                        ; implicit-def: $vgpr15
	s_and_saveexec_b64 s[0:1], s[20:21]
	s_cbranch_execnz .LBB1727_62
.LBB1727_84:
	s_or_b64 exec, exec, s[0:1]
                                        ; implicit-def: $vgpr16
	s_and_saveexec_b64 s[0:1], s[22:23]
	s_cbranch_execz .LBB1727_63
.LBB1727_85:
	v_lshlrev_b32_e32 v16, 2, v17
	v_mov_b32_e32 v17, 0
	v_lshl_add_u64 v[16:17], v[2:3], 0, v[16:17]
	flat_load_dword v16, v[16:17]
	s_or_b64 exec, exec, s[0:1]
                                        ; implicit-def: $vgpr17
	s_and_saveexec_b64 s[0:1], s[24:25]
	s_cbranch_execnz .LBB1727_64
.LBB1727_86:
	s_or_b64 exec, exec, s[0:1]
                                        ; implicit-def: $vgpr18
	s_and_saveexec_b64 s[0:1], s[26:27]
	s_cbranch_execz .LBB1727_65
.LBB1727_87:
	v_lshlrev_b32_e32 v18, 2, v19
	v_mov_b32_e32 v19, 0
	v_lshl_add_u64 v[18:19], v[2:3], 0, v[18:19]
	flat_load_dword v18, v[18:19]
	s_or_b64 exec, exec, s[0:1]
                                        ; implicit-def: $vgpr19
	s_and_saveexec_b64 s[0:1], s[28:29]
	s_cbranch_execnz .LBB1727_66
.LBB1727_88:
	s_or_b64 exec, exec, s[0:1]
                                        ; implicit-def: $vgpr20
	s_and_saveexec_b64 s[0:1], s[30:31]
	s_cbranch_execz .LBB1727_67
.LBB1727_89:
	v_lshlrev_b32_e32 v20, 2, v21
	v_mov_b32_e32 v21, 0
	v_lshl_add_u64 v[20:21], v[2:3], 0, v[20:21]
	flat_load_dword v20, v[20:21]
	s_or_b64 exec, exec, s[0:1]
                                        ; implicit-def: $vgpr21
	s_and_saveexec_b64 s[0:1], s[34:35]
	s_cbranch_execnz .LBB1727_68
.LBB1727_90:
	s_or_b64 exec, exec, s[0:1]
                                        ; implicit-def: $vgpr22
	s_and_saveexec_b64 s[0:1], s[36:37]
	s_cbranch_execz .LBB1727_69
.LBB1727_91:
	v_lshlrev_b32_e32 v22, 2, v23
	v_mov_b32_e32 v23, 0
	v_lshl_add_u64 v[22:23], v[2:3], 0, v[22:23]
	flat_load_dword v22, v[22:23]
	s_or_b64 exec, exec, s[0:1]
                                        ; implicit-def: $vgpr23
	s_and_saveexec_b64 s[0:1], s[38:39]
	s_cbranch_execnz .LBB1727_70
.LBB1727_92:
	s_or_b64 exec, exec, s[0:1]
                                        ; implicit-def: $vgpr24
	s_and_saveexec_b64 s[0:1], s[40:41]
	s_cbranch_execz .LBB1727_71
.LBB1727_93:
	v_lshlrev_b32_e32 v24, 2, v25
	v_mov_b32_e32 v25, 0
	v_lshl_add_u64 v[24:25], v[2:3], 0, v[24:25]
	flat_load_dword v24, v[24:25]
	s_or_b64 exec, exec, s[0:1]
                                        ; implicit-def: $vgpr25
	s_and_saveexec_b64 s[0:1], s[42:43]
	s_cbranch_execnz .LBB1727_72
.LBB1727_94:
	s_or_b64 exec, exec, s[0:1]
                                        ; implicit-def: $vgpr26
	s_and_saveexec_b64 s[0:1], s[44:45]
	s_cbranch_execz .LBB1727_73
.LBB1727_95:
	v_lshlrev_b32_e32 v26, 2, v27
	v_mov_b32_e32 v27, 0
	v_lshl_add_u64 v[26:27], v[2:3], 0, v[26:27]
	flat_load_dword v26, v[26:27]
	s_or_b64 exec, exec, s[0:1]
                                        ; implicit-def: $vgpr27
	s_and_saveexec_b64 s[0:1], s[46:47]
	s_cbranch_execnz .LBB1727_74
.LBB1727_96:
	s_or_b64 exec, exec, s[0:1]
                                        ; implicit-def: $vgpr28
	s_and_saveexec_b64 s[0:1], s[48:49]
	s_cbranch_execz .LBB1727_98
.LBB1727_97:
	v_lshlrev_b32_e32 v28, 2, v29
	v_mov_b32_e32 v29, 0
	v_lshl_add_u64 v[28:29], v[2:3], 0, v[28:29]
	flat_load_dword v28, v[28:29]
.LBB1727_98:
	s_or_b64 exec, exec, s[0:1]
	v_mul_u32_u24_e32 v77, 23, v0
                                        ; implicit-def: $vgpr29
	s_and_saveexec_b64 s[0:1], s[50:51]
	s_cbranch_execz .LBB1727_100
; %bb.99:
	v_lshlrev_b32_e32 v36, 2, v30
	v_mov_b32_e32 v37, 0
	v_lshl_add_u64 v[36:37], v[2:3], 0, v[36:37]
	flat_load_dword v29, v[36:37]
.LBB1727_100:
	s_or_b64 exec, exec, s[0:1]
	s_waitcnt vmcnt(0) lgkmcnt(0)
	ds_write2st64_b32 v6, v31, v32 offset1:4
	ds_write2st64_b32 v6, v33, v7 offset0:8 offset1:12
	ds_write2st64_b32 v6, v34, v12 offset0:16 offset1:20
	;; [unrolled: 1-line block ×10, first 2 shown]
	ds_write_b32 v6, v29 offset:22528
	v_mov_b64_e32 v[12:13], 0
	v_cmp_gt_u32_e32 vcc, s60, v77
	s_mov_b64 s[10:11], 0
	s_mov_b64 s[0:1], 0
	v_mov_b64_e32 v[14:15], v[12:13]
	v_mov_b64_e32 v[16:17], v[12:13]
	;; [unrolled: 1-line block ×21, first 2 shown]
	s_waitcnt lgkmcnt(0)
	s_barrier
	s_waitcnt lgkmcnt(0)
                                        ; implicit-def: $sgpr8_sgpr9
                                        ; implicit-def: $vgpr6
	s_and_saveexec_b64 s[6:7], vcc
	s_cbranch_execz .LBB1727_146
; %bb.101:
	ds_read_b32 v6, v76
	v_mov_b32_e32 v12, s74
	v_cmp_eq_u32_e32 vcc, v78, v74
	v_add_u32_e32 v7, 1, v77
	v_mov_b64_e32 v[14:15], 0
	s_waitcnt lgkmcnt(0)
	v_cndmask_b32_e32 v12, v12, v6, vcc
	v_cmp_ne_u32_e32 vcc, v78, v74
	s_mov_b64 s[12:13], 0
	v_mov_b64_e32 v[16:17], v[14:15]
	v_cndmask_b32_e64 v13, 0, 1, vcc
	v_cmp_gt_u32_e32 vcc, s60, v7
	v_mov_b64_e32 v[18:19], v[14:15]
	v_mov_b64_e32 v[20:21], v[14:15]
	;; [unrolled: 1-line block ×19, first 2 shown]
                                        ; implicit-def: $sgpr14_sgpr15
                                        ; implicit-def: $vgpr6
	s_and_saveexec_b64 s[8:9], vcc
	s_cbranch_execz .LBB1727_145
; %bb.102:
	ds_read2_b32 v[6:7], v76 offset0:1 offset1:2
	v_mov_b32_e32 v14, s74
	v_cmp_eq_u32_e32 vcc, v74, v75
	v_add_u32_e32 v16, 2, v77
	s_mov_b64 s[14:15], 0
	s_waitcnt lgkmcnt(0)
	v_cndmask_b32_e32 v14, v14, v6, vcc
	v_cmp_ne_u32_e32 vcc, v74, v75
                                        ; implicit-def: $sgpr16_sgpr17
                                        ; implicit-def: $vgpr6
	s_nop 1
	v_cndmask_b32_e64 v15, 0, 1, vcc
	v_cmp_gt_u32_e32 vcc, s60, v16
	v_mov_b64_e32 v[16:17], 0
	v_mov_b64_e32 v[18:19], v[16:17]
	;; [unrolled: 1-line block ×20, first 2 shown]
	s_and_saveexec_b64 s[10:11], vcc
	s_cbranch_execz .LBB1727_144
; %bb.103:
	v_mov_b32_e32 v16, s74
	v_cmp_eq_u32_e32 vcc, v75, v72
	v_add_u32_e32 v6, 3, v77
	v_mov_b64_e32 v[18:19], 0
	v_cndmask_b32_e32 v16, v16, v7, vcc
	v_cmp_ne_u32_e32 vcc, v75, v72
	s_mov_b64 s[16:17], 0
	v_mov_b64_e32 v[20:21], v[18:19]
	v_cndmask_b32_e64 v17, 0, 1, vcc
	v_cmp_gt_u32_e32 vcc, s60, v6
	v_mov_b64_e32 v[22:23], v[18:19]
	v_mov_b64_e32 v[24:25], v[18:19]
	v_mov_b64_e32 v[26:27], v[18:19]
	v_mov_b64_e32 v[28:29], v[18:19]
	v_mov_b64_e32 v[30:31], v[18:19]
	v_mov_b64_e32 v[32:33], v[18:19]
	v_mov_b64_e32 v[34:35], v[18:19]
	v_mov_b64_e32 v[36:37], v[18:19]
	v_mov_b64_e32 v[38:39], v[18:19]
	v_mov_b64_e32 v[40:41], v[18:19]
	v_mov_b64_e32 v[42:43], v[18:19]
	v_mov_b64_e32 v[44:45], v[18:19]
	v_mov_b64_e32 v[46:47], v[18:19]
	v_mov_b64_e32 v[48:49], v[18:19]
	v_mov_b64_e32 v[50:51], v[18:19]
	v_mov_b64_e32 v[52:53], v[18:19]
	v_mov_b64_e32 v[54:55], v[18:19]
                                        ; implicit-def: $sgpr18_sgpr19
                                        ; implicit-def: $vgpr6
	s_and_saveexec_b64 s[12:13], vcc
	s_cbranch_execz .LBB1727_143
; %bb.104:
	ds_read2_b32 v[6:7], v76 offset0:3 offset1:4
	v_mov_b32_e32 v18, s74
	v_cmp_eq_u32_e32 vcc, v72, v73
	v_add_u32_e32 v20, 4, v77
	s_mov_b64 s[18:19], 0
	s_waitcnt lgkmcnt(0)
	v_cndmask_b32_e32 v18, v18, v6, vcc
	v_cmp_ne_u32_e32 vcc, v72, v73
                                        ; implicit-def: $sgpr20_sgpr21
                                        ; implicit-def: $vgpr6
	s_nop 1
	v_cndmask_b32_e64 v19, 0, 1, vcc
	v_cmp_gt_u32_e32 vcc, s60, v20
	v_mov_b64_e32 v[20:21], 0
	v_mov_b64_e32 v[22:23], v[20:21]
	;; [unrolled: 1-line block ×18, first 2 shown]
	s_and_saveexec_b64 s[14:15], vcc
	s_cbranch_execz .LBB1727_142
; %bb.105:
	v_mov_b32_e32 v20, s74
	v_cmp_eq_u32_e32 vcc, v73, v70
	v_add_u32_e32 v6, 5, v77
	v_mov_b64_e32 v[22:23], 0
	v_cndmask_b32_e32 v20, v20, v7, vcc
	v_cmp_ne_u32_e32 vcc, v73, v70
	s_mov_b64 s[20:21], 0
	v_mov_b64_e32 v[24:25], v[22:23]
	v_cndmask_b32_e64 v21, 0, 1, vcc
	v_cmp_gt_u32_e32 vcc, s60, v6
	v_mov_b64_e32 v[26:27], v[22:23]
	v_mov_b64_e32 v[28:29], v[22:23]
	;; [unrolled: 1-line block ×15, first 2 shown]
                                        ; implicit-def: $sgpr22_sgpr23
                                        ; implicit-def: $vgpr6
	s_and_saveexec_b64 s[16:17], vcc
	s_cbranch_execz .LBB1727_141
; %bb.106:
	ds_read2_b32 v[6:7], v76 offset0:5 offset1:6
	v_mov_b32_e32 v22, s74
	v_cmp_eq_u32_e32 vcc, v70, v71
	v_add_u32_e32 v24, 6, v77
	s_mov_b64 s[22:23], 0
	s_waitcnt lgkmcnt(0)
	v_cndmask_b32_e32 v22, v22, v6, vcc
	v_cmp_ne_u32_e32 vcc, v70, v71
                                        ; implicit-def: $sgpr24_sgpr25
                                        ; implicit-def: $vgpr6
	s_nop 1
	v_cndmask_b32_e64 v23, 0, 1, vcc
	v_cmp_gt_u32_e32 vcc, s60, v24
	v_mov_b64_e32 v[24:25], 0
	v_mov_b64_e32 v[26:27], v[24:25]
	;; [unrolled: 1-line block ×16, first 2 shown]
	s_and_saveexec_b64 s[18:19], vcc
	s_cbranch_execz .LBB1727_140
; %bb.107:
	v_mov_b32_e32 v24, s74
	v_cmp_eq_u32_e32 vcc, v71, v68
	v_add_u32_e32 v6, 7, v77
	v_mov_b64_e32 v[26:27], 0
	v_cndmask_b32_e32 v24, v24, v7, vcc
	v_cmp_ne_u32_e32 vcc, v71, v68
	s_mov_b64 s[24:25], 0
	v_mov_b64_e32 v[28:29], v[26:27]
	v_cndmask_b32_e64 v25, 0, 1, vcc
	v_cmp_gt_u32_e32 vcc, s60, v6
	v_mov_b64_e32 v[30:31], v[26:27]
	v_mov_b64_e32 v[32:33], v[26:27]
	;; [unrolled: 1-line block ×13, first 2 shown]
                                        ; implicit-def: $sgpr26_sgpr27
                                        ; implicit-def: $vgpr6
	s_and_saveexec_b64 s[20:21], vcc
	s_cbranch_execz .LBB1727_139
; %bb.108:
	ds_read2_b32 v[6:7], v76 offset0:7 offset1:8
	v_mov_b32_e32 v26, s74
	v_cmp_eq_u32_e32 vcc, v68, v69
	v_add_u32_e32 v28, 8, v77
	s_mov_b64 s[26:27], 0
	s_waitcnt lgkmcnt(0)
	v_cndmask_b32_e32 v26, v26, v6, vcc
	v_cmp_ne_u32_e32 vcc, v68, v69
                                        ; implicit-def: $sgpr28_sgpr29
                                        ; implicit-def: $vgpr6
	s_nop 1
	v_cndmask_b32_e64 v27, 0, 1, vcc
	v_cmp_gt_u32_e32 vcc, s60, v28
	v_mov_b64_e32 v[28:29], 0
	v_mov_b64_e32 v[30:31], v[28:29]
	;; [unrolled: 1-line block ×14, first 2 shown]
	s_and_saveexec_b64 s[22:23], vcc
	s_cbranch_execz .LBB1727_138
; %bb.109:
	v_mov_b32_e32 v28, s74
	v_cmp_eq_u32_e32 vcc, v69, v66
	v_add_u32_e32 v6, 9, v77
	v_mov_b64_e32 v[30:31], 0
	v_cndmask_b32_e32 v28, v28, v7, vcc
	v_cmp_ne_u32_e32 vcc, v69, v66
	s_mov_b64 s[28:29], 0
	v_mov_b64_e32 v[32:33], v[30:31]
	v_cndmask_b32_e64 v29, 0, 1, vcc
	v_cmp_gt_u32_e32 vcc, s60, v6
	v_mov_b64_e32 v[34:35], v[30:31]
	v_mov_b64_e32 v[36:37], v[30:31]
	;; [unrolled: 1-line block ×11, first 2 shown]
                                        ; implicit-def: $sgpr30_sgpr31
                                        ; implicit-def: $vgpr6
	s_and_saveexec_b64 s[24:25], vcc
	s_cbranch_execz .LBB1727_137
; %bb.110:
	ds_read2_b32 v[6:7], v76 offset0:9 offset1:10
	v_mov_b32_e32 v30, s74
	v_cmp_eq_u32_e32 vcc, v66, v67
	v_add_u32_e32 v32, 10, v77
	s_mov_b64 s[30:31], 0
	s_waitcnt lgkmcnt(0)
	v_cndmask_b32_e32 v30, v30, v6, vcc
	v_cmp_ne_u32_e32 vcc, v66, v67
                                        ; implicit-def: $sgpr34_sgpr35
                                        ; implicit-def: $vgpr6
	s_nop 1
	v_cndmask_b32_e64 v31, 0, 1, vcc
	v_cmp_gt_u32_e32 vcc, s60, v32
	v_mov_b64_e32 v[32:33], 0
	v_mov_b64_e32 v[34:35], v[32:33]
	;; [unrolled: 1-line block ×12, first 2 shown]
	s_and_saveexec_b64 s[26:27], vcc
	s_cbranch_execz .LBB1727_136
; %bb.111:
	v_mov_b32_e32 v32, s74
	v_cmp_eq_u32_e32 vcc, v67, v64
	v_add_u32_e32 v6, 11, v77
	v_mov_b64_e32 v[34:35], 0
	v_cndmask_b32_e32 v32, v32, v7, vcc
	v_cmp_ne_u32_e32 vcc, v67, v64
	s_mov_b64 s[34:35], 0
	v_mov_b64_e32 v[36:37], v[34:35]
	v_cndmask_b32_e64 v33, 0, 1, vcc
	v_cmp_gt_u32_e32 vcc, s60, v6
	v_mov_b64_e32 v[38:39], v[34:35]
	v_mov_b64_e32 v[40:41], v[34:35]
	;; [unrolled: 1-line block ×9, first 2 shown]
                                        ; implicit-def: $sgpr36_sgpr37
                                        ; implicit-def: $vgpr6
	s_and_saveexec_b64 s[28:29], vcc
	s_cbranch_execz .LBB1727_135
; %bb.112:
	ds_read2_b32 v[6:7], v76 offset0:11 offset1:12
	v_mov_b32_e32 v34, s74
	v_cmp_eq_u32_e32 vcc, v64, v65
	v_add_u32_e32 v36, 12, v77
	s_mov_b64 s[36:37], 0
	s_waitcnt lgkmcnt(0)
	v_cndmask_b32_e32 v34, v34, v6, vcc
	v_cmp_ne_u32_e32 vcc, v64, v65
                                        ; implicit-def: $sgpr38_sgpr39
                                        ; implicit-def: $vgpr6
	s_nop 1
	v_cndmask_b32_e64 v35, 0, 1, vcc
	v_cmp_gt_u32_e32 vcc, s60, v36
	v_mov_b64_e32 v[36:37], 0
	v_mov_b64_e32 v[38:39], v[36:37]
	;; [unrolled: 1-line block ×10, first 2 shown]
	s_and_saveexec_b64 s[30:31], vcc
	s_cbranch_execz .LBB1727_134
; %bb.113:
	v_mov_b32_e32 v36, s74
	v_cmp_eq_u32_e32 vcc, v65, v62
	v_add_u32_e32 v6, 13, v77
	v_mov_b64_e32 v[38:39], 0
	v_cndmask_b32_e32 v36, v36, v7, vcc
	v_cmp_ne_u32_e32 vcc, v65, v62
	s_mov_b64 s[38:39], 0
	v_mov_b64_e32 v[40:41], v[38:39]
	v_cndmask_b32_e64 v37, 0, 1, vcc
	v_cmp_gt_u32_e32 vcc, s60, v6
	v_mov_b64_e32 v[42:43], v[38:39]
	v_mov_b64_e32 v[44:45], v[38:39]
	;; [unrolled: 1-line block ×7, first 2 shown]
                                        ; implicit-def: $sgpr40_sgpr41
                                        ; implicit-def: $vgpr6
	s_and_saveexec_b64 s[34:35], vcc
	s_cbranch_execz .LBB1727_133
; %bb.114:
	ds_read2_b32 v[6:7], v76 offset0:13 offset1:14
	v_mov_b32_e32 v38, s74
	v_cmp_eq_u32_e32 vcc, v62, v63
	v_add_u32_e32 v40, 14, v77
	s_mov_b64 s[40:41], 0
	s_waitcnt lgkmcnt(0)
	v_cndmask_b32_e32 v38, v38, v6, vcc
	v_cmp_ne_u32_e32 vcc, v62, v63
                                        ; implicit-def: $sgpr42_sgpr43
                                        ; implicit-def: $vgpr6
	s_nop 1
	v_cndmask_b32_e64 v39, 0, 1, vcc
	v_cmp_gt_u32_e32 vcc, s60, v40
	v_mov_b64_e32 v[40:41], 0
	v_mov_b64_e32 v[42:43], v[40:41]
	v_mov_b64_e32 v[44:45], v[40:41]
	v_mov_b64_e32 v[46:47], v[40:41]
	v_mov_b64_e32 v[48:49], v[40:41]
	v_mov_b64_e32 v[50:51], v[40:41]
	v_mov_b64_e32 v[52:53], v[40:41]
	v_mov_b64_e32 v[54:55], v[40:41]
	s_and_saveexec_b64 s[36:37], vcc
	s_cbranch_execz .LBB1727_132
; %bb.115:
	v_mov_b32_e32 v40, s74
	v_cmp_eq_u32_e32 vcc, v63, v60
	v_add_u32_e32 v6, 15, v77
	v_mov_b64_e32 v[42:43], 0
	v_cndmask_b32_e32 v40, v40, v7, vcc
	v_cmp_ne_u32_e32 vcc, v63, v60
	s_mov_b64 s[42:43], 0
	v_mov_b64_e32 v[44:45], v[42:43]
	v_cndmask_b32_e64 v41, 0, 1, vcc
	v_cmp_gt_u32_e32 vcc, s60, v6
	v_mov_b64_e32 v[46:47], v[42:43]
	v_mov_b64_e32 v[48:49], v[42:43]
	;; [unrolled: 1-line block ×5, first 2 shown]
                                        ; implicit-def: $sgpr44_sgpr45
                                        ; implicit-def: $vgpr6
	s_and_saveexec_b64 s[38:39], vcc
	s_cbranch_execz .LBB1727_131
; %bb.116:
	ds_read2_b32 v[6:7], v76 offset0:15 offset1:16
	v_mov_b32_e32 v42, s74
	v_cmp_eq_u32_e32 vcc, v60, v61
	v_add_u32_e32 v44, 16, v77
	s_mov_b64 s[44:45], 0
	s_waitcnt lgkmcnt(0)
	v_cndmask_b32_e32 v42, v42, v6, vcc
	v_cmp_ne_u32_e32 vcc, v60, v61
                                        ; implicit-def: $sgpr46_sgpr47
                                        ; implicit-def: $vgpr6
	s_nop 1
	v_cndmask_b32_e64 v43, 0, 1, vcc
	v_cmp_gt_u32_e32 vcc, s60, v44
	v_mov_b64_e32 v[44:45], 0
	v_mov_b64_e32 v[46:47], v[44:45]
	;; [unrolled: 1-line block ×6, first 2 shown]
	s_and_saveexec_b64 s[40:41], vcc
	s_cbranch_execz .LBB1727_130
; %bb.117:
	v_mov_b32_e32 v44, s74
	v_cmp_eq_u32_e32 vcc, v61, v58
	v_add_u32_e32 v6, 17, v77
	v_mov_b64_e32 v[46:47], 0
	v_cndmask_b32_e32 v44, v44, v7, vcc
	v_cmp_ne_u32_e32 vcc, v61, v58
	s_mov_b64 s[46:47], 0
	v_mov_b64_e32 v[48:49], v[46:47]
	v_cndmask_b32_e64 v45, 0, 1, vcc
	v_cmp_gt_u32_e32 vcc, s60, v6
	v_mov_b64_e32 v[50:51], v[46:47]
	v_mov_b64_e32 v[52:53], v[46:47]
	;; [unrolled: 1-line block ×3, first 2 shown]
                                        ; implicit-def: $sgpr48_sgpr49
                                        ; implicit-def: $vgpr6
	s_and_saveexec_b64 s[42:43], vcc
	s_cbranch_execz .LBB1727_129
; %bb.118:
	ds_read2_b32 v[6:7], v76 offset0:17 offset1:18
	v_mov_b32_e32 v46, s74
	v_cmp_eq_u32_e32 vcc, v58, v59
	v_add_u32_e32 v48, 18, v77
	s_mov_b64 s[48:49], 0
	s_waitcnt lgkmcnt(0)
	v_cndmask_b32_e32 v46, v46, v6, vcc
	v_cmp_ne_u32_e32 vcc, v58, v59
                                        ; implicit-def: $sgpr50_sgpr51
                                        ; implicit-def: $vgpr6
	s_nop 1
	v_cndmask_b32_e64 v47, 0, 1, vcc
	v_cmp_gt_u32_e32 vcc, s60, v48
	v_mov_b64_e32 v[48:49], 0
	v_mov_b64_e32 v[50:51], v[48:49]
	;; [unrolled: 1-line block ×4, first 2 shown]
	s_and_saveexec_b64 s[44:45], vcc
	s_cbranch_execz .LBB1727_128
; %bb.119:
	v_mov_b32_e32 v48, s74
	v_cmp_eq_u32_e32 vcc, v59, v56
	v_add_u32_e32 v6, 19, v77
	v_mov_b64_e32 v[50:51], 0
	v_cndmask_b32_e32 v48, v48, v7, vcc
	v_cmp_ne_u32_e32 vcc, v59, v56
	s_mov_b64 s[50:51], 0
	v_mov_b64_e32 v[52:53], v[50:51]
	v_cndmask_b32_e64 v49, 0, 1, vcc
	v_cmp_gt_u32_e32 vcc, s60, v6
	v_mov_b64_e32 v[54:55], v[50:51]
                                        ; implicit-def: $sgpr56_sgpr57
                                        ; implicit-def: $vgpr6
	s_and_saveexec_b64 s[46:47], vcc
	s_cbranch_execz .LBB1727_127
; %bb.120:
	ds_read2_b32 v[6:7], v76 offset0:19 offset1:20
	v_mov_b32_e32 v50, s74
	v_cmp_eq_u32_e32 vcc, v56, v57
	v_add_u32_e32 v52, 20, v77
	s_mov_b64 s[56:57], 0
	s_waitcnt lgkmcnt(0)
	v_cndmask_b32_e32 v50, v50, v6, vcc
	v_cmp_ne_u32_e32 vcc, v56, v57
                                        ; implicit-def: $sgpr58_sgpr59
                                        ; implicit-def: $vgpr6
	s_nop 1
	v_cndmask_b32_e64 v51, 0, 1, vcc
	v_cmp_gt_u32_e32 vcc, s60, v52
	v_mov_b64_e32 v[52:53], 0
	v_mov_b64_e32 v[54:55], v[52:53]
	s_and_saveexec_b64 s[48:49], vcc
	s_cbranch_execz .LBB1727_126
; %bb.121:
	v_mov_b32_e32 v52, s74
	v_cmp_eq_u32_e32 vcc, v57, v8
	v_add_u32_e32 v6, 21, v77
	v_mov_b64_e32 v[54:55], 0
	v_cndmask_b32_e32 v52, v52, v7, vcc
	v_cmp_ne_u32_e32 vcc, v57, v8
                                        ; implicit-def: $sgpr58_sgpr59
	s_nop 1
	v_cndmask_b32_e64 v53, 0, 1, vcc
	v_cmp_gt_u32_e32 vcc, s60, v6
                                        ; implicit-def: $vgpr6
	s_and_saveexec_b64 s[50:51], vcc
	s_cbranch_execz .LBB1727_125
; %bb.122:
	ds_read2_b32 v[6:7], v76 offset0:21 offset1:22
	v_mov_b32_e32 v54, s74
	v_cmp_eq_u32_e32 vcc, v8, v9
	v_add_u32_e32 v56, 22, v77
                                        ; implicit-def: $sgpr58_sgpr59
	s_waitcnt lgkmcnt(0)
	v_cndmask_b32_e32 v54, v54, v6, vcc
	v_cmp_ne_u32_e32 vcc, v8, v9
                                        ; implicit-def: $vgpr6
	s_nop 1
	v_cndmask_b32_e64 v55, 0, 1, vcc
	v_cmp_gt_u32_e32 vcc, s60, v56
	s_and_saveexec_b64 s[60:61], vcc
	s_xor_b64 s[60:61], exec, s[60:61]
; %bb.123:
	v_mov_b32_e32 v6, s74
	v_cmp_ne_u32_e32 vcc, v9, v1
	s_mov_b64 s[56:57], exec
	s_and_b64 s[58:59], vcc, exec
	v_cndmask_b32_e32 v6, v7, v6, vcc
; %bb.124:
	s_or_b64 exec, exec, s[60:61]
	s_and_b64 s[58:59], s[58:59], exec
	s_and_b64 s[56:57], s[56:57], exec
.LBB1727_125:
	s_or_b64 exec, exec, s[50:51]
	s_and_b64 s[58:59], s[58:59], exec
	s_and_b64 s[50:51], s[56:57], exec
.LBB1727_126:
	s_or_b64 exec, exec, s[48:49]
	s_and_b64 s[56:57], s[58:59], exec
	s_and_b64 s[48:49], s[50:51], exec
.LBB1727_127:
	s_or_b64 exec, exec, s[46:47]
	s_and_b64 s[50:51], s[56:57], exec
	s_and_b64 s[46:47], s[48:49], exec
.LBB1727_128:
	s_or_b64 exec, exec, s[44:45]
	s_and_b64 s[48:49], s[50:51], exec
	s_and_b64 s[44:45], s[46:47], exec
.LBB1727_129:
	s_or_b64 exec, exec, s[42:43]
	s_and_b64 s[46:47], s[48:49], exec
	s_and_b64 s[42:43], s[44:45], exec
.LBB1727_130:
	s_or_b64 exec, exec, s[40:41]
	s_and_b64 s[44:45], s[46:47], exec
	s_and_b64 s[40:41], s[42:43], exec
.LBB1727_131:
	s_or_b64 exec, exec, s[38:39]
	s_and_b64 s[42:43], s[44:45], exec
	s_and_b64 s[38:39], s[40:41], exec
.LBB1727_132:
	s_or_b64 exec, exec, s[36:37]
	s_and_b64 s[40:41], s[42:43], exec
	s_and_b64 s[36:37], s[38:39], exec
.LBB1727_133:
	s_or_b64 exec, exec, s[34:35]
	s_and_b64 s[38:39], s[40:41], exec
	s_and_b64 s[34:35], s[36:37], exec
.LBB1727_134:
	s_or_b64 exec, exec, s[30:31]
	s_and_b64 s[36:37], s[38:39], exec
	s_and_b64 s[30:31], s[34:35], exec
.LBB1727_135:
	s_or_b64 exec, exec, s[28:29]
	s_and_b64 s[34:35], s[36:37], exec
	s_and_b64 s[28:29], s[30:31], exec
.LBB1727_136:
	s_or_b64 exec, exec, s[26:27]
	s_and_b64 s[30:31], s[34:35], exec
	s_and_b64 s[26:27], s[28:29], exec
.LBB1727_137:
	s_or_b64 exec, exec, s[24:25]
	s_and_b64 s[28:29], s[30:31], exec
	s_and_b64 s[24:25], s[26:27], exec
.LBB1727_138:
	s_or_b64 exec, exec, s[22:23]
	s_and_b64 s[26:27], s[28:29], exec
	s_and_b64 s[22:23], s[24:25], exec
.LBB1727_139:
	s_or_b64 exec, exec, s[20:21]
	s_and_b64 s[24:25], s[26:27], exec
	s_and_b64 s[20:21], s[22:23], exec
.LBB1727_140:
	s_or_b64 exec, exec, s[18:19]
	s_and_b64 s[22:23], s[24:25], exec
	s_and_b64 s[18:19], s[20:21], exec
.LBB1727_141:
	s_or_b64 exec, exec, s[16:17]
	s_and_b64 s[20:21], s[22:23], exec
	s_and_b64 s[16:17], s[18:19], exec
.LBB1727_142:
	s_or_b64 exec, exec, s[14:15]
	s_and_b64 s[18:19], s[20:21], exec
	s_and_b64 s[14:15], s[16:17], exec
.LBB1727_143:
	s_or_b64 exec, exec, s[12:13]
	s_and_b64 s[16:17], s[18:19], exec
	s_and_b64 s[12:13], s[14:15], exec
.LBB1727_144:
	s_or_b64 exec, exec, s[10:11]
	s_and_b64 s[14:15], s[16:17], exec
	s_and_b64 s[10:11], s[12:13], exec
.LBB1727_145:
	s_or_b64 exec, exec, s[8:9]
	s_and_b64 s[8:9], s[14:15], exec
	s_and_b64 s[10:11], s[10:11], exec
.LBB1727_146:
	s_or_b64 exec, exec, s[6:7]
	s_mov_b64 s[6:7], 0
	s_and_b64 vcc, exec, s[0:1]
	v_lshlrev_b32_e32 v56, 2, v0
	s_cbranch_vccz .LBB1727_152
.LBB1727_147:
	v_mov_b32_e32 v57, 0
	v_lshl_add_u64 v[6:7], v[4:5], 0, v[56:57]
	v_add_co_u32_e32 v8, vcc, 0x1000, v6
	s_movk_i32 s6, 0x58
	s_nop 0
	v_addc_co_u32_e32 v9, vcc, 0, v7, vcc
	flat_load_dword v1, v[6:7]
	flat_load_dword v14, v[6:7] offset:1024
	flat_load_dword v15, v[6:7] offset:2048
	;; [unrolled: 1-line block ×3, first 2 shown]
	flat_load_dword v17, v[8:9]
	flat_load_dword v18, v[8:9] offset:1024
	flat_load_dword v19, v[8:9] offset:2048
	;; [unrolled: 1-line block ×3, first 2 shown]
	v_add_co_u32_e32 v8, vcc, 0x2000, v6
	s_movk_i32 s11, 0x1000
	s_nop 0
	v_addc_co_u32_e32 v9, vcc, 0, v7, vcc
	v_add_co_u32_e32 v12, vcc, 0x3000, v6
	s_mov_b32 s0, 0
	s_nop 0
	v_addc_co_u32_e32 v13, vcc, 0, v7, vcc
	flat_load_dword v21, v[8:9]
	flat_load_dword v22, v[8:9] offset:1024
	flat_load_dword v23, v[8:9] offset:2048
	;; [unrolled: 1-line block ×3, first 2 shown]
	flat_load_dword v25, v[12:13]
	flat_load_dword v26, v[12:13] offset:1024
	flat_load_dword v27, v[12:13] offset:2048
	;; [unrolled: 1-line block ×3, first 2 shown]
	v_add_co_u32_e32 v8, vcc, 0x4000, v6
	s_movk_i32 s10, 0x2000
	s_nop 0
	v_addc_co_u32_e32 v9, vcc, 0, v7, vcc
	v_add_co_u32_e32 v6, vcc, 0x5000, v6
	s_movk_i32 s9, 0x3000
	s_nop 0
	v_addc_co_u32_e32 v7, vcc, 0, v7, vcc
	flat_load_dword v12, v[8:9]
	flat_load_dword v13, v[8:9] offset:1024
	flat_load_dword v29, v[8:9] offset:2048
	;; [unrolled: 1-line block ×3, first 2 shown]
	flat_load_dword v31, v[6:7]
	flat_load_dword v32, v[6:7] offset:1024
	flat_load_dword v33, v[6:7] offset:2048
	v_add_co_u32_e32 v4, vcc, 0x5000, v4
	s_movk_i32 s8, 0x4000
	s_nop 0
	v_addc_co_u32_e32 v5, vcc, 0, v5, vcc
	s_movk_i32 s1, 0x5000
	s_waitcnt vmcnt(0) lgkmcnt(0)
	ds_write2st64_b32 v56, v1, v14 offset1:4
	ds_write2st64_b32 v56, v15, v16 offset0:8 offset1:12
	ds_write2st64_b32 v56, v17, v18 offset0:16 offset1:20
	ds_write2st64_b32 v56, v19, v20 offset0:24 offset1:28
	ds_write2st64_b32 v56, v21, v22 offset0:32 offset1:36
	ds_write2st64_b32 v56, v23, v24 offset0:40 offset1:44
	ds_write2st64_b32 v56, v25, v26 offset0:48 offset1:52
	ds_write2st64_b32 v56, v27, v28 offset0:56 offset1:60
	ds_write2st64_b32 v56, v12, v13 offset0:64 offset1:68
	ds_write2st64_b32 v56, v29, v30 offset0:72 offset1:76
	ds_write2st64_b32 v56, v31, v32 offset0:80 offset1:84
	ds_write_b32 v56, v33 offset:22528
	s_waitcnt lgkmcnt(0)
	s_barrier
	flat_load_dword v1, v[4:5] offset:3072
	v_mad_u32_u24 v14, v0, s6, v56
	s_movk_i32 s6, 0xffa8
	v_mad_i32_i24 v13, v0, s6, v14
	s_movk_i32 s6, 0xff
	v_cmp_ne_u32_e32 vcc, s6, v0
	ds_read_b32 v12, v14
	ds_read2_b32 v[16:17], v14 offset0:1 offset1:2
	ds_read2_b32 v[20:21], v14 offset0:3 offset1:4
	;; [unrolled: 1-line block ×11, first 2 shown]
	s_waitcnt lgkmcnt(0)
	ds_write_b32 v13, v12 offset:24576
	s_waitcnt lgkmcnt(0)
	s_barrier
	s_and_saveexec_b64 s[6:7], vcc
	s_cbranch_execz .LBB1727_149
; %bb.148:
	s_waitcnt vmcnt(0)
	ds_read_b32 v1, v56 offset:24580
.LBB1727_149:
	s_or_b64 exec, exec, s[6:7]
	v_lshl_add_u64 v[2:3], v[2:3], 0, v[56:57]
	v_add_co_u32_e32 v18, vcc, s11, v2
	s_waitcnt lgkmcnt(0)
	s_nop 0
	v_addc_co_u32_e32 v19, vcc, 0, v3, vcc
	s_barrier
	flat_load_dword v13, v[2:3]
	flat_load_dword v15, v[2:3] offset:1024
	flat_load_dword v26, v[2:3] offset:2048
	;; [unrolled: 1-line block ×3, first 2 shown]
	flat_load_dword v30, v[18:19]
	flat_load_dword v31, v[18:19] offset:1024
	flat_load_dword v34, v[18:19] offset:2048
	flat_load_dword v35, v[18:19] offset:3072
	v_add_co_u32_e32 v18, vcc, s10, v2
	s_nop 1
	v_addc_co_u32_e32 v19, vcc, 0, v3, vcc
	v_add_co_u32_e32 v22, vcc, s9, v2
	s_nop 1
	v_addc_co_u32_e32 v23, vcc, 0, v3, vcc
	flat_load_dword v38, v[18:19]
	flat_load_dword v39, v[18:19] offset:1024
	flat_load_dword v42, v[18:19] offset:2048
	;; [unrolled: 1-line block ×3, first 2 shown]
	flat_load_dword v46, v[22:23]
	flat_load_dword v47, v[22:23] offset:1024
	flat_load_dword v48, v[22:23] offset:2048
	;; [unrolled: 1-line block ×3, first 2 shown]
	v_add_co_u32_e32 v18, vcc, s8, v2
	s_nop 1
	v_addc_co_u32_e32 v19, vcc, 0, v3, vcc
	v_add_co_u32_e32 v2, vcc, s1, v2
	s_mov_b32 s1, 1
	s_nop 0
	v_addc_co_u32_e32 v3, vcc, 0, v3, vcc
	flat_load_dword v22, v[18:19]
	flat_load_dword v23, v[18:19] offset:1024
	flat_load_dword v50, v[18:19] offset:2048
	;; [unrolled: 1-line block ×3, first 2 shown]
	flat_load_dword v52, v[2:3]
	flat_load_dword v53, v[2:3] offset:1024
	flat_load_dword v54, v[2:3] offset:2048
	v_cmp_eq_u32_e32 vcc, v12, v16
	s_waitcnt vmcnt(0) lgkmcnt(0)
	ds_write2st64_b32 v56, v13, v15 offset1:4
	ds_write2st64_b32 v56, v26, v27 offset0:8 offset1:12
	ds_write2st64_b32 v56, v30, v31 offset0:16 offset1:20
	;; [unrolled: 1-line block ×10, first 2 shown]
	ds_write_b32 v56, v54 offset:22528
	s_waitcnt lgkmcnt(0)
	s_barrier
	ds_read2_b32 v[18:19], v14 offset0:1 offset1:2
	ds_read2_b32 v[22:23], v14 offset0:3 offset1:4
	;; [unrolled: 1-line block ×11, first 2 shown]
	v_mov_b64_e32 v[12:13], s[0:1]
	v_mov_b32_e32 v15, s74
	s_and_saveexec_b64 s[0:1], vcc
	s_cbranch_execz .LBB1727_151
; %bb.150:
	ds_read_b32 v15, v14
	v_mov_b64_e32 v[12:13], 0
.LBB1727_151:
	s_or_b64 exec, exec, s[0:1]
	v_mov_b32_e32 v57, s74
	v_cmp_eq_u32_e32 vcc, v16, v17
	s_waitcnt lgkmcnt(0)
	v_or_b32_e32 v12, v12, v15
	v_cmp_ne_u32_e64 s[8:9], v5, v1
	v_cndmask_b32_e32 v14, v57, v18, vcc
	v_cmp_ne_u32_e32 vcc, v16, v17
	s_mov_b64 s[10:11], -1
                                        ; implicit-def: $sgpr6_sgpr7
	s_nop 0
	v_cndmask_b32_e64 v15, 0, 1, vcc
	v_cmp_eq_u32_e32 vcc, v17, v20
	s_nop 1
	v_cndmask_b32_e32 v16, v57, v19, vcc
	v_cmp_ne_u32_e32 vcc, v17, v20
	s_nop 1
	v_cndmask_b32_e64 v17, 0, 1, vcc
	v_cmp_eq_u32_e32 vcc, v20, v21
	s_nop 1
	v_cndmask_b32_e32 v18, v57, v22, vcc
	v_cmp_ne_u32_e32 vcc, v20, v21
	s_nop 1
	v_cndmask_b32_e64 v19, 0, 1, vcc
	v_cmp_eq_u32_e32 vcc, v21, v24
	s_nop 1
	v_cndmask_b32_e32 v20, v57, v23, vcc
	v_cmp_ne_u32_e32 vcc, v21, v24
	s_nop 1
	v_cndmask_b32_e64 v21, 0, 1, vcc
	v_cmp_eq_u32_e32 vcc, v24, v25
	s_nop 1
	v_cndmask_b32_e32 v22, v57, v26, vcc
	v_cmp_ne_u32_e32 vcc, v24, v25
	s_nop 1
	v_cndmask_b32_e64 v23, 0, 1, vcc
	v_cmp_eq_u32_e32 vcc, v25, v28
	s_nop 1
	v_cndmask_b32_e32 v24, v57, v27, vcc
	v_cmp_ne_u32_e32 vcc, v25, v28
	s_nop 1
	v_cndmask_b32_e64 v25, 0, 1, vcc
	v_cmp_eq_u32_e32 vcc, v28, v29
	s_nop 1
	v_cndmask_b32_e32 v26, v57, v30, vcc
	v_cmp_ne_u32_e32 vcc, v28, v29
	s_nop 1
	v_cndmask_b32_e64 v27, 0, 1, vcc
	v_cmp_eq_u32_e32 vcc, v29, v32
	s_nop 1
	v_cndmask_b32_e32 v28, v57, v31, vcc
	v_cmp_ne_u32_e32 vcc, v29, v32
	s_nop 1
	v_cndmask_b32_e64 v29, 0, 1, vcc
	v_cmp_eq_u32_e32 vcc, v32, v33
	s_nop 1
	v_cndmask_b32_e32 v30, v57, v34, vcc
	v_cmp_ne_u32_e32 vcc, v32, v33
	s_nop 1
	v_cndmask_b32_e64 v31, 0, 1, vcc
	v_cmp_eq_u32_e32 vcc, v33, v36
	s_nop 1
	v_cndmask_b32_e32 v32, v57, v35, vcc
	v_cmp_ne_u32_e32 vcc, v33, v36
	s_nop 1
	v_cndmask_b32_e64 v33, 0, 1, vcc
	v_cmp_eq_u32_e32 vcc, v36, v37
	s_nop 1
	v_cndmask_b32_e32 v34, v57, v38, vcc
	v_cmp_ne_u32_e32 vcc, v36, v37
	s_nop 1
	v_cndmask_b32_e64 v35, 0, 1, vcc
	v_cmp_eq_u32_e32 vcc, v37, v40
	s_nop 1
	v_cndmask_b32_e32 v36, v57, v39, vcc
	v_cmp_ne_u32_e32 vcc, v37, v40
	s_nop 1
	v_cndmask_b32_e64 v37, 0, 1, vcc
	v_cmp_eq_u32_e32 vcc, v40, v41
	s_nop 1
	v_cndmask_b32_e32 v38, v57, v42, vcc
	v_cmp_ne_u32_e32 vcc, v40, v41
	s_nop 1
	v_cndmask_b32_e64 v39, 0, 1, vcc
	v_cmp_eq_u32_e32 vcc, v41, v44
	s_nop 1
	v_cndmask_b32_e32 v40, v57, v43, vcc
	v_cmp_ne_u32_e32 vcc, v41, v44
	s_nop 1
	v_cndmask_b32_e64 v41, 0, 1, vcc
	v_cmp_eq_u32_e32 vcc, v44, v45
	s_nop 1
	v_cndmask_b32_e32 v42, v57, v46, vcc
	v_cmp_ne_u32_e32 vcc, v44, v45
	s_nop 1
	v_cndmask_b32_e64 v43, 0, 1, vcc
	v_cmp_eq_u32_e32 vcc, v45, v8
	s_nop 1
	v_cndmask_b32_e32 v44, v57, v47, vcc
	v_cmp_ne_u32_e32 vcc, v45, v8
	s_nop 1
	v_cndmask_b32_e64 v45, 0, 1, vcc
	v_cmp_eq_u32_e32 vcc, v8, v9
	s_nop 1
	v_cndmask_b32_e32 v46, v57, v48, vcc
	v_cmp_ne_u32_e32 vcc, v8, v9
	s_nop 1
	v_cndmask_b32_e64 v47, 0, 1, vcc
	v_cmp_eq_u32_e32 vcc, v9, v6
	s_nop 1
	v_cndmask_b32_e32 v48, v57, v49, vcc
	v_cmp_ne_u32_e32 vcc, v9, v6
	s_nop 1
	v_cndmask_b32_e64 v49, 0, 1, vcc
	v_cmp_eq_u32_e32 vcc, v6, v7
	s_nop 1
	v_cndmask_b32_e32 v50, v57, v52, vcc
	v_cmp_ne_u32_e32 vcc, v6, v7
	v_cndmask_b32_e64 v6, v3, v57, s[8:9]
	s_nop 0
	v_cndmask_b32_e64 v51, 0, 1, vcc
	v_cmp_eq_u32_e32 vcc, v7, v4
	s_nop 1
	v_cndmask_b32_e32 v52, v57, v53, vcc
	v_cmp_ne_u32_e32 vcc, v7, v4
	s_nop 1
	v_cndmask_b32_e64 v53, 0, 1, vcc
	v_cmp_eq_u32_e32 vcc, v4, v5
	s_nop 1
	v_cndmask_b32_e32 v54, v57, v2, vcc
	v_cmp_ne_u32_e32 vcc, v4, v5
	s_nop 1
	v_cndmask_b32_e64 v55, 0, 1, vcc
.LBB1727_152:
	v_mov_b64_e32 v[58:59], s[6:7]
	s_and_saveexec_b64 s[0:1], s[10:11]
; %bb.153:
	v_cndmask_b32_e64 v7, 0, 1, s[8:9]
	v_mov_b64_e32 v[58:59], v[6:7]
; %bb.154:
	s_or_b64 exec, exec, s[0:1]
	s_mov_b32 s0, 0
	s_cmp_lg_u32 s67, 0
	v_or_b32_e32 v57, v59, v55
	v_lshrrev_b32_e32 v1, 5, v0
	v_cmp_gt_u32_e32 vcc, 64, v0
	s_barrier
	s_cbranch_scc0 .LBB1727_193
; %bb.155:
	s_mov_b32 s1, 1
	v_cmp_gt_u64_e64 s[6:7], s[0:1], v[14:15]
	v_cmp_gt_u64_e64 s[8:9], s[0:1], v[16:17]
	v_cmp_gt_u64_e64 s[10:11], s[0:1], v[18:19]
	v_cndmask_b32_e64 v2, 0, v12, s[6:7]
	v_add_u32_e32 v2, v2, v14
	v_cndmask_b32_e64 v2, 0, v2, s[8:9]
	v_add_u32_e32 v2, v2, v16
	v_cndmask_b32_e64 v2, 0, v2, s[10:11]
	v_add_u32_e32 v2, v2, v18
	v_cmp_gt_u64_e64 s[12:13], s[0:1], v[20:21]
	v_cmp_gt_u64_e64 s[14:15], s[0:1], v[22:23]
	v_cmp_gt_u64_e64 s[16:17], s[0:1], v[24:25]
	v_cndmask_b32_e64 v2, 0, v2, s[12:13]
	v_add_u32_e32 v2, v2, v20
	v_cndmask_b32_e64 v2, 0, v2, s[14:15]
	v_add_u32_e32 v2, v2, v22
	v_cndmask_b32_e64 v2, 0, v2, s[16:17]
	v_add_u32_e32 v2, v2, v24
	;; [unrolled: 9-line block ×7, first 2 shown]
	v_cmp_gt_u64_e64 s[0:1], s[0:1], v[58:59]
	s_nop 1
	v_cndmask_b32_e64 v2, 0, v2, s[0:1]
	v_add_u32_e32 v64, v2, v58
	v_or3_b32 v2, v57, v53, v51
	v_or3_b32 v2, v2, v49, v47
	;; [unrolled: 1-line block ×10, first 2 shown]
	v_and_b32_e32 v2, 1, v2
	v_cmp_eq_u32_e64 s[0:1], 1, v2
	v_add_lshl_u32 v2, v1, v0, 3
	s_nop 0
	v_cndmask_b32_e64 v65, v13, 1, s[0:1]
	ds_write_b32 v2, v64
	ds_write_b8 v2, v65 offset:4
	s_waitcnt lgkmcnt(0)
	s_barrier
	s_and_saveexec_b64 s[50:51], vcc
	s_cbranch_execz .LBB1727_167
; %bb.156:
	v_lshrrev_b32_e32 v2, 3, v0
	v_add_lshl_u32 v4, v2, v56, 3
	ds_read2_b32 v[6:7], v4 offset0:2 offset1:4
	ds_read_b64 v[2:3], v4
	ds_read_u8 v8, v4 offset:12
	ds_read_u8 v9, v4 offset:20
	ds_read_b32 v60, v4 offset:24
	ds_read_u8 v61, v4 offset:28
	v_mov_b32_e32 v62, 0
	s_waitcnt lgkmcnt(3)
	v_cmp_eq_u16_sdwa s[0:1], v8, v62 src0_sel:BYTE_0 src1_sel:DWORD
	v_and_b32_e32 v5, 1, v3
	s_nop 0
	v_cndmask_b32_e64 v63, 0, v2, s[0:1]
	v_add_u32_e32 v6, v63, v6
	s_waitcnt lgkmcnt(2)
	v_cmp_eq_u16_sdwa s[0:1], v9, v62 src0_sel:BYTE_0 src1_sel:DWORD
	s_nop 1
	v_cndmask_b32_e64 v6, 0, v6, s[0:1]
	v_add_u32_e32 v6, v6, v7
	s_waitcnt lgkmcnt(0)
	v_cmp_eq_u16_e64 s[0:1], 0, v61
	s_nop 1
	v_cndmask_b32_e64 v6, 0, v6, s[0:1]
	v_add_u32_e32 v7, v6, v60
	v_or_b32_e32 v6, v61, v9
	v_or_b32_e32 v6, v6, v8
	v_and_b32_e32 v6, 1, v6
	v_cmp_eq_u32_e64 s[0:1], 1, v6
	v_mbcnt_lo_u32_b32 v8, -1, 0
	v_and_b32_e32 v6, 0xffffff00, v3
	v_cndmask_b32_e64 v9, v5, 1, s[0:1]
	v_mbcnt_hi_u32_b32 v8, -1, v8
	v_and_b32_e32 v61, 15, v8
	v_or_b32_sdwa v60, v6, v9 dst_sel:DWORD dst_unused:UNUSED_PAD src0_sel:DWORD src1_sel:WORD_0
	v_mov_b32_dpp v62, v7 row_shr:1 row_mask:0xf bank_mask:0xf
	v_cmp_ne_u32_e64 s[0:1], 0, v61
	v_mov_b32_dpp v63, v60 row_shr:1 row_mask:0xf bank_mask:0xf
	s_and_saveexec_b64 s[56:57], s[0:1]
; %bb.157:
	v_and_b32_e32 v60, 1, v9
	v_and_b32_e32 v63, 1, v63
	v_cmp_eq_u32_e64 s[0:1], 1, v60
	s_nop 1
	v_cndmask_b32_e64 v63, v63, 1, s[0:1]
	v_cmp_eq_u16_e64 s[0:1], 0, v9
	v_or_b32_sdwa v60, v6, v63 dst_sel:DWORD dst_unused:UNUSED_PAD src0_sel:DWORD src1_sel:WORD_0
	s_nop 0
	v_cndmask_b32_e64 v9, 0, v62, s[0:1]
	v_add_u32_e32 v7, v9, v7
	v_mov_b32_e32 v9, v63
; %bb.158:
	s_or_b64 exec, exec, s[56:57]
	v_mov_b32_dpp v62, v7 row_shr:2 row_mask:0xf bank_mask:0xf
	v_mov_b32_dpp v63, v60 row_shr:2 row_mask:0xf bank_mask:0xf
	v_cmp_lt_u32_e64 s[0:1], 1, v61
	s_and_saveexec_b64 s[56:57], s[0:1]
; %bb.159:
	v_and_b32_e32 v60, 1, v9
	v_and_b32_e32 v63, 1, v63
	v_cmp_eq_u32_e64 s[0:1], 1, v60
	s_nop 1
	v_cndmask_b32_e64 v63, v63, 1, s[0:1]
	v_cmp_eq_u16_e64 s[0:1], 0, v9
	v_or_b32_sdwa v60, v6, v63 dst_sel:DWORD dst_unused:UNUSED_PAD src0_sel:DWORD src1_sel:WORD_0
	s_nop 0
	v_cndmask_b32_e64 v9, 0, v62, s[0:1]
	v_add_u32_e32 v7, v9, v7
	v_mov_b32_e32 v9, v63
; %bb.160:
	s_or_b64 exec, exec, s[56:57]
	v_mov_b32_dpp v62, v7 row_shr:4 row_mask:0xf bank_mask:0xf
	v_mov_b32_dpp v63, v60 row_shr:4 row_mask:0xf bank_mask:0xf
	v_cmp_lt_u32_e64 s[0:1], 3, v61
	s_and_saveexec_b64 s[56:57], s[0:1]
; %bb.161:
	v_and_b32_e32 v60, 1, v9
	v_and_b32_e32 v63, 1, v63
	v_cmp_eq_u32_e64 s[0:1], 1, v60
	s_nop 1
	v_cndmask_b32_e64 v63, v63, 1, s[0:1]
	v_cmp_eq_u16_e64 s[0:1], 0, v9
	v_or_b32_sdwa v60, v6, v63 dst_sel:DWORD dst_unused:UNUSED_PAD src0_sel:DWORD src1_sel:WORD_0
	s_nop 0
	v_cndmask_b32_e64 v9, 0, v62, s[0:1]
	v_add_u32_e32 v7, v9, v7
	v_mov_b32_e32 v9, v63
; %bb.162:
	s_or_b64 exec, exec, s[56:57]
	v_mov_b32_dpp v62, v7 row_shr:8 row_mask:0xf bank_mask:0xf
	v_mov_b32_dpp v63, v60 row_shr:8 row_mask:0xf bank_mask:0xf
	v_cmp_lt_u32_e64 s[0:1], 7, v61
	s_and_saveexec_b64 s[56:57], s[0:1]
; %bb.163:
	v_and_b32_e32 v60, 1, v9
	v_and_b32_e32 v61, 1, v63
	v_cmp_eq_u32_e64 s[0:1], 1, v60
	s_nop 1
	v_cndmask_b32_e64 v61, v61, 1, s[0:1]
	v_cmp_eq_u16_e64 s[0:1], 0, v9
	v_or_b32_sdwa v60, v6, v61 dst_sel:DWORD dst_unused:UNUSED_PAD src0_sel:DWORD src1_sel:WORD_0
	s_nop 0
	v_cndmask_b32_e64 v9, 0, v62, s[0:1]
	v_add_u32_e32 v7, v9, v7
	v_mov_b32_e32 v9, v61
; %bb.164:
	s_or_b64 exec, exec, s[56:57]
	v_and_b32_e32 v63, 16, v8
	v_mov_b32_dpp v61, v7 row_bcast:15 row_mask:0xf bank_mask:0xf
	v_mov_b32_dpp v62, v60 row_bcast:15 row_mask:0xf bank_mask:0xf
	v_cmp_ne_u32_e64 s[0:1], 0, v63
	s_and_saveexec_b64 s[56:57], s[0:1]
; %bb.165:
	v_and_b32_e32 v60, 1, v9
	v_and_b32_e32 v62, 1, v62
	v_cmp_eq_u32_e64 s[0:1], 1, v60
	s_nop 1
	v_cndmask_b32_e64 v62, v62, 1, s[0:1]
	v_cmp_eq_u16_e64 s[0:1], 0, v9
	v_or_b32_sdwa v60, v6, v62 dst_sel:DWORD dst_unused:UNUSED_PAD src0_sel:DWORD src1_sel:WORD_0
	s_nop 0
	v_cndmask_b32_e64 v9, 0, v61, s[0:1]
	v_add_u32_e32 v7, v9, v7
	v_mov_b32_e32 v9, v62
; %bb.166:
	s_or_b64 exec, exec, s[56:57]
	v_mov_b32_dpp v60, v60 row_bcast:31 row_mask:0xf bank_mask:0xf
	v_and_b32_e32 v62, 1, v9
	v_and_b32_e32 v60, 1, v60
	v_cmp_eq_u32_e64 s[0:1], 1, v62
	v_mov_b32_e32 v62, 0
	v_cmp_eq_u16_sdwa s[56:57], v9, v62 src0_sel:BYTE_0 src1_sel:DWORD
	v_cndmask_b32_e64 v60, v60, 1, s[0:1]
	v_cmp_lt_u32_e64 s[0:1], 31, v8
	v_mov_b32_dpp v61, v7 row_bcast:31 row_mask:0xf bank_mask:0xf
	s_movk_i32 s58, 0xff
	v_cndmask_b32_e64 v9, v9, v60, s[0:1]
	s_and_b64 s[0:1], s[0:1], s[56:57]
	v_cndmask_b32_e64 v60, 0, v61, s[0:1]
	v_add_u32_e32 v7, v60, v7
	v_add_u32_e32 v60, -1, v8
	v_and_b32_e32 v61, 64, v8
	v_cmp_lt_i32_e64 s[0:1], v60, v61
	v_and_or_b32 v6, v9, s58, v6
	s_nop 0
	v_cndmask_b32_e64 v8, v60, v8, s[0:1]
	v_lshlrev_b32_e32 v8, 2, v8
	ds_bpermute_b32 v7, v8, v7
	ds_bpermute_b32 v6, v8, v6
	v_cmp_eq_u16_sdwa s[0:1], v3, v62 src0_sel:BYTE_0 src1_sel:DWORD
	; wave barrier
	s_waitcnt lgkmcnt(1)
	s_nop 0
	v_cndmask_b32_e64 v3, 0, v7, s[0:1]
	v_add_u32_e32 v2, v3, v2
	s_waitcnt lgkmcnt(0)
	v_and_b32_e32 v3, 1, v6
	v_cmp_eq_u32_e64 s[0:1], 1, v5
	v_cndmask_b32_e64 v5, v2, v64, s[52:53]
	s_nop 0
	v_cndmask_b32_e64 v3, v3, 1, s[0:1]
	v_cndmask_b32_e64 v6, v3, v65, s[52:53]
	ds_write_b32 v4, v5
	ds_write_b8 v4, v6 offset:4
	; wave barrier
	ds_read_u8 v7, v4 offset:12
	ds_read2_b32 v[2:3], v4 offset0:2 offset1:4
	ds_read_u8 v8, v4 offset:20
	ds_read_b32 v9, v4 offset:24
	ds_read_u8 v60, v4 offset:28
	s_waitcnt lgkmcnt(4)
	v_cmp_eq_u16_e64 s[0:1], 0, v7
	s_nop 1
	v_cndmask_b32_e64 v5, 0, v5, s[0:1]
	s_waitcnt lgkmcnt(3)
	v_add_u32_e32 v2, v5, v2
	v_and_b32_e32 v5, 1, v7
	v_cmp_eq_u32_e64 s[0:1], 1, v5
	s_nop 1
	v_cndmask_b32_e64 v5, v6, 1, s[0:1]
	s_waitcnt lgkmcnt(2)
	v_cmp_eq_u16_e64 s[0:1], 0, v8
	ds_write_b8 v4, v5 offset:12
	s_nop 0
	v_cndmask_b32_e64 v6, 0, v2, s[0:1]
	v_add_u32_e32 v3, v6, v3
	v_and_b32_e32 v6, 1, v8
	v_cmp_eq_u32_e64 s[0:1], 1, v6
	s_nop 1
	v_cndmask_b32_e64 v5, v5, 1, s[0:1]
	s_waitcnt lgkmcnt(1)
	v_cmp_eq_u16_e64 s[0:1], 0, v60
	ds_write2_b32 v4, v2, v3 offset0:2 offset1:4
	ds_write_b8 v4, v5 offset:20
	v_cndmask_b32_e64 v2, 0, v3, s[0:1]
	v_and_b32_e32 v3, 1, v60
	v_add_u32_e32 v2, v2, v9
	v_cmp_eq_u32_e64 s[0:1], 1, v3
	s_nop 1
	v_cndmask_b32_e64 v3, v5, 1, s[0:1]
	ds_write_b32 v4, v2 offset:24
	ds_write_b8 v4, v3 offset:28
.LBB1727_167:
	s_or_b64 exec, exec, s[50:51]
	s_waitcnt lgkmcnt(0)
	s_barrier
	s_and_saveexec_b64 s[0:1], s[4:5]
	s_cbranch_execz .LBB1727_169
; %bb.168:
	v_add_u32_e32 v2, -1, v0
	v_lshrrev_b32_e32 v3, 5, v2
	v_add_lshl_u32 v2, v3, v2, 3
	ds_read_b32 v64, v2
	ds_read_u8 v65, v2 offset:4
.LBB1727_169:
	s_or_b64 exec, exec, s[0:1]
	s_and_saveexec_b64 s[56:57], vcc
	s_cbranch_execz .LBB1727_192
; %bb.170:
	v_mov_b32_e32 v5, 0
	ds_read_b64 v[2:3], v5 offset:2096
	v_mbcnt_lo_u32_b32 v4, -1, 0
	v_mbcnt_hi_u32_b32 v75, -1, v4
	s_mov_b32 s59, 0
	v_cmp_eq_u32_e64 s[50:51], 0, v75
	s_waitcnt lgkmcnt(0)
	v_readfirstlane_b32 s68, v3
	s_and_saveexec_b64 s[0:1], s[50:51]
	s_cbranch_execz .LBB1727_172
; %bb.171:
	s_add_i32 s58, s67, 64
	s_lshl_b64 s[60:61], s[58:59], 4
	s_add_u32 s60, s64, s60
	s_addc_u32 s61, s65, s61
	s_and_b32 s77, s68, 0xff000000
	s_mov_b32 s76, s59
	s_and_b32 s79, s68, 0xff0000
	s_mov_b32 s78, s59
	s_or_b64 s[76:77], s[78:79], s[76:77]
	s_and_b32 s79, s68, 0xff00
	s_or_b64 s[76:77], s[76:77], s[78:79]
	s_and_b32 s79, s68, 0xff
	s_or_b64 s[58:59], s[76:77], s[78:79]
	v_mov_b32_e32 v3, s59
	v_mov_b32_e32 v4, 1
	v_mov_b64_e32 v[6:7], s[60:61]
	;;#ASMSTART
	global_store_dwordx4 v[6:7], v[2:5] off sc1	
s_waitcnt vmcnt(0)
	;;#ASMEND
.LBB1727_172:
	s_or_b64 exec, exec, s[0:1]
	v_xad_u32 v60, v75, -1, s67
	v_add_u32_e32 v4, 64, v60
	v_lshl_add_u64 v[62:63], v[4:5], 4, s[64:65]
	;;#ASMSTART
	global_load_dwordx4 v[6:9], v[62:63] off sc1	
s_waitcnt vmcnt(0)
	;;#ASMEND
	s_nop 0
	v_and_b32_e32 v3, 0xff0000, v6
	v_and_b32_e32 v4, 0xff000000, v6
	;; [unrolled: 1-line block ×3, first 2 shown]
	v_or_b32_sdwa v3, v6, v3 dst_sel:DWORD dst_unused:UNUSED_PAD src0_sel:WORD_0 src1_sel:DWORD
	v_or3_b32 v7, 0, 0, v7
	v_or3_b32 v6, v3, v4, 0
	v_cmp_eq_u16_sdwa s[58:59], v8, v5 src0_sel:BYTE_0 src1_sel:DWORD
	s_and_saveexec_b64 s[0:1], s[58:59]
	s_cbranch_execz .LBB1727_178
; %bb.173:
	s_mov_b32 s60, 1
	s_mov_b64 s[58:59], 0
	v_mov_b32_e32 v3, 0
.LBB1727_174:                           ; =>This Loop Header: Depth=1
                                        ;     Child Loop BB1727_175 Depth 2
	s_max_u32 s61, s60, 1
.LBB1727_175:                           ;   Parent Loop BB1727_174 Depth=1
                                        ; =>  This Inner Loop Header: Depth=2
	s_add_i32 s61, s61, -1
	s_cmp_eq_u32 s61, 0
	s_sleep 1
	s_cbranch_scc0 .LBB1727_175
; %bb.176:                              ;   in Loop: Header=BB1727_174 Depth=1
	s_cmp_lt_u32 s60, 32
	s_cselect_b64 s[76:77], -1, 0
	s_cmp_lg_u64 s[76:77], 0
	s_addc_u32 s60, s60, 0
	;;#ASMSTART
	global_load_dwordx4 v[6:9], v[62:63] off sc1	
s_waitcnt vmcnt(0)
	;;#ASMEND
	s_nop 0
	v_cmp_ne_u16_sdwa s[76:77], v8, v3 src0_sel:BYTE_0 src1_sel:DWORD
	s_or_b64 s[58:59], s[76:77], s[58:59]
	s_andn2_b64 exec, exec, s[58:59]
	s_cbranch_execnz .LBB1727_174
; %bb.177:
	s_or_b64 exec, exec, s[58:59]
	v_and_b32_e32 v7, 0xff, v7
.LBB1727_178:
	s_or_b64 exec, exec, s[0:1]
	v_mov_b32_e32 v3, 2
	v_cmp_eq_u16_sdwa s[0:1], v8, v3 src0_sel:BYTE_0 src1_sel:DWORD
	v_lshlrev_b64 v[4:5], v75, -1
	v_and_b32_e32 v66, 63, v75
	v_and_b32_e32 v9, s1, v5
	v_or_b32_e32 v9, 0x80000000, v9
	v_and_b32_e32 v61, s0, v4
	v_ffbl_b32_e32 v9, v9
	v_add_u32_e32 v9, 32, v9
	v_ffbl_b32_e32 v61, v61
	v_cmp_ne_u32_e32 vcc, 63, v66
	v_min_u32_e32 v9, v61, v9
	s_mov_b32 s58, 0
	v_addc_co_u32_e32 v61, vcc, 0, v75, vcc
	v_lshlrev_b32_e32 v67, 2, v61
	ds_bpermute_b32 v61, v67, v7
	ds_bpermute_b32 v62, v67, v6
	v_and_b32_e32 v63, 1, v7
	s_mov_b32 s59, 1
	v_cmp_eq_u32_e32 vcc, 1, v63
	s_waitcnt lgkmcnt(1)
	v_and_b32_e32 v61, 1, v61
	v_cmp_lt_u32_e64 s[0:1], v66, v9
	v_cndmask_b32_e64 v61, v61, 1, vcc
	v_cmp_gt_u64_e32 vcc, s[58:59], v[6:7]
	s_and_b64 vcc, s[0:1], vcc
	v_and_b32_e32 v63, 0xffff, v61
	v_cndmask_b32_e64 v70, v7, v61, s[0:1]
	s_waitcnt lgkmcnt(0)
	v_cndmask_b32_e32 v61, 0, v62, vcc
	v_cmp_gt_u32_e32 vcc, 62, v66
	v_cndmask_b32_e64 v7, v7, v63, s[0:1]
	v_add_u32_e32 v6, v61, v6
	v_cndmask_b32_e64 v62, 0, 1, vcc
	v_lshlrev_b32_e32 v62, 1, v62
	v_add_lshl_u32 v68, v62, v75, 2
	ds_bpermute_b32 v62, v68, v7
	ds_bpermute_b32 v63, v68, v6
	v_and_b32_e32 v61, 1, v70
	v_cmp_eq_u32_e32 vcc, 1, v61
	v_mov_b32_e32 v61, 0
	s_waitcnt lgkmcnt(1)
	v_and_b32_e32 v62, 1, v62
	v_add_u32_e32 v69, 2, v66
	v_cndmask_b32_e64 v62, v62, 1, vcc
	v_cmp_eq_u16_sdwa vcc, v70, v61 src0_sel:BYTE_0 src1_sel:DWORD
	v_and_b32_e32 v71, 0xffff, v62
	v_add_u32_e32 v79, 32, v66
	s_waitcnt lgkmcnt(0)
	v_cndmask_b32_e32 v63, 0, v63, vcc
	v_cmp_gt_u32_e32 vcc, v69, v9
	s_nop 1
	v_cndmask_b32_e32 v62, v62, v70, vcc
	v_cndmask_b32_e64 v63, v63, 0, vcc
	v_cndmask_b32_e32 v7, v71, v7, vcc
	v_cmp_gt_u32_e32 vcc, 60, v66
	v_add_u32_e32 v6, v63, v6
	v_and_b32_e32 v73, 1, v62
	v_cndmask_b32_e64 v70, 0, 1, vcc
	v_lshlrev_b32_e32 v70, 2, v70
	v_add_lshl_u32 v70, v70, v75, 2
	ds_bpermute_b32 v72, v70, v7
	ds_bpermute_b32 v63, v70, v6
	v_cmp_eq_u32_e32 vcc, 1, v73
	v_add_u32_e32 v71, 4, v66
	s_waitcnt lgkmcnt(1)
	v_and_b32_e32 v72, 1, v72
	v_cndmask_b32_e64 v72, v72, 1, vcc
	v_cmp_eq_u16_sdwa vcc, v62, v61 src0_sel:BYTE_0 src1_sel:DWORD
	v_and_b32_e32 v73, 0xffff, v72
	s_waitcnt lgkmcnt(0)
	v_cndmask_b32_e32 v63, 0, v63, vcc
	v_cmp_gt_u32_e32 vcc, v71, v9
	s_nop 1
	v_cndmask_b32_e32 v62, v72, v62, vcc
	v_cndmask_b32_e64 v63, v63, 0, vcc
	v_cndmask_b32_e32 v7, v73, v7, vcc
	v_cmp_gt_u32_e32 vcc, 56, v66
	v_add_u32_e32 v6, v63, v6
	v_and_b32_e32 v76, 1, v62
	v_cndmask_b32_e64 v72, 0, 1, vcc
	v_lshlrev_b32_e32 v72, 3, v72
	v_add_lshl_u32 v72, v72, v75, 2
	ds_bpermute_b32 v74, v72, v7
	ds_bpermute_b32 v63, v72, v6
	v_cmp_eq_u32_e32 vcc, 1, v76
	v_add_u32_e32 v73, 8, v66
	s_waitcnt lgkmcnt(1)
	v_and_b32_e32 v74, 1, v74
	v_cndmask_b32_e64 v74, v74, 1, vcc
	v_cmp_eq_u16_sdwa vcc, v62, v61 src0_sel:BYTE_0 src1_sel:DWORD
	v_and_b32_e32 v76, 0xffff, v74
	;; [unrolled: 22-line block ×3, first 2 shown]
	s_waitcnt lgkmcnt(0)
	v_cndmask_b32_e32 v63, 0, v63, vcc
	v_cmp_gt_u32_e32 vcc, v76, v9
	s_nop 1
	v_cndmask_b32_e32 v62, v77, v62, vcc
	v_cndmask_b32_e64 v63, v63, 0, vcc
	v_cndmask_b32_e32 v7, v78, v7, vcc
	v_cmp_gt_u32_e32 vcc, 32, v66
	v_add_u32_e32 v6, v63, v6
	s_nop 0
	v_cndmask_b32_e64 v77, 0, 1, vcc
	v_lshlrev_b32_e32 v77, 5, v77
	v_add_lshl_u32 v78, v77, v75, 2
	ds_bpermute_b32 v7, v78, v7
	ds_bpermute_b32 v63, v78, v6
	v_and_b32_e32 v75, 1, v62
	v_cmp_eq_u32_e32 vcc, 1, v75
	s_waitcnt lgkmcnt(1)
	v_and_b32_e32 v7, 1, v7
	v_cndmask_b32_e64 v7, v7, 1, vcc
	v_cmp_eq_u16_sdwa vcc, v62, v61 src0_sel:BYTE_0 src1_sel:DWORD
	s_waitcnt lgkmcnt(0)
	s_nop 0
	v_cndmask_b32_e32 v63, 0, v63, vcc
	v_cmp_gt_u32_e32 vcc, v79, v9
	s_nop 1
	v_cndmask_b32_e64 v9, v63, 0, vcc
	v_cndmask_b32_e32 v7, v7, v62, vcc
	v_add_u32_e32 v6, v9, v6
	s_branch .LBB1727_180
.LBB1727_179:                           ;   in Loop: Header=BB1727_180 Depth=1
	s_or_b64 exec, exec, s[0:1]
	v_cmp_eq_u16_sdwa s[0:1], v8, v3 src0_sel:BYTE_0 src1_sel:DWORD
	ds_bpermute_b32 v63, v67, v7
	v_and_b32_e32 v80, 1, v7
	v_and_b32_e32 v9, s1, v5
	v_or_b32_e32 v9, 0x80000000, v9
	v_and_b32_e32 v62, s0, v4
	v_ffbl_b32_e32 v9, v9
	v_add_u32_e32 v9, 32, v9
	v_ffbl_b32_e32 v62, v62
	v_min_u32_e32 v9, v62, v9
	ds_bpermute_b32 v62, v67, v6
	s_waitcnt lgkmcnt(1)
	v_and_b32_e32 v63, 1, v63
	v_cmp_eq_u32_e32 vcc, 1, v80
	v_cmp_lt_u32_e64 s[0:1], v66, v9
	v_subrev_u32_e32 v60, 64, v60
	v_cndmask_b32_e64 v63, v63, 1, vcc
	v_cmp_gt_u64_e32 vcc, s[58:59], v[6:7]
	v_and_b32_e32 v80, 0xffff, v63
	v_cndmask_b32_e64 v63, v7, v63, s[0:1]
	v_cndmask_b32_e64 v7, v7, v80, s[0:1]
	s_and_b64 vcc, s[0:1], vcc
	ds_bpermute_b32 v80, v68, v7
	s_waitcnt lgkmcnt(1)
	v_cndmask_b32_e32 v62, 0, v62, vcc
	v_add_u32_e32 v6, v62, v6
	ds_bpermute_b32 v62, v68, v6
	v_and_b32_e32 v81, 1, v63
	s_waitcnt lgkmcnt(1)
	v_and_b32_e32 v80, 1, v80
	v_cmp_eq_u32_e32 vcc, 1, v81
	s_nop 1
	v_cndmask_b32_e64 v80, v80, 1, vcc
	v_cmp_eq_u16_sdwa vcc, v63, v61 src0_sel:BYTE_0 src1_sel:DWORD
	v_and_b32_e32 v81, 0xffff, v80
	s_waitcnt lgkmcnt(0)
	v_cndmask_b32_e32 v62, 0, v62, vcc
	v_cmp_gt_u32_e32 vcc, v69, v9
	s_nop 1
	v_cndmask_b32_e32 v7, v81, v7, vcc
	v_cndmask_b32_e32 v63, v80, v63, vcc
	ds_bpermute_b32 v80, v70, v7
	v_cndmask_b32_e64 v62, v62, 0, vcc
	v_add_u32_e32 v6, v62, v6
	ds_bpermute_b32 v62, v70, v6
	v_and_b32_e32 v81, 1, v63
	s_waitcnt lgkmcnt(1)
	v_and_b32_e32 v80, 1, v80
	v_cmp_eq_u32_e32 vcc, 1, v81
	s_nop 1
	v_cndmask_b32_e64 v80, v80, 1, vcc
	v_cmp_eq_u16_sdwa vcc, v63, v61 src0_sel:BYTE_0 src1_sel:DWORD
	v_and_b32_e32 v81, 0xffff, v80
	s_waitcnt lgkmcnt(0)
	v_cndmask_b32_e32 v62, 0, v62, vcc
	v_cmp_gt_u32_e32 vcc, v71, v9
	s_nop 1
	v_cndmask_b32_e32 v7, v81, v7, vcc
	v_cndmask_b32_e32 v63, v80, v63, vcc
	ds_bpermute_b32 v80, v72, v7
	v_cndmask_b32_e64 v62, v62, 0, vcc
	;; [unrolled: 18-line block ×3, first 2 shown]
	v_add_u32_e32 v6, v62, v6
	ds_bpermute_b32 v62, v74, v6
	v_and_b32_e32 v81, 1, v63
	s_waitcnt lgkmcnt(1)
	v_and_b32_e32 v80, 1, v80
	v_cmp_eq_u32_e32 vcc, 1, v81
	s_nop 1
	v_cndmask_b32_e64 v80, v80, 1, vcc
	v_cmp_eq_u16_sdwa vcc, v63, v61 src0_sel:BYTE_0 src1_sel:DWORD
	v_and_b32_e32 v81, 0xffff, v80
	s_waitcnt lgkmcnt(0)
	v_cndmask_b32_e32 v62, 0, v62, vcc
	v_cmp_gt_u32_e32 vcc, v76, v9
	s_nop 1
	v_cndmask_b32_e64 v62, v62, 0, vcc
	v_cndmask_b32_e32 v7, v81, v7, vcc
	ds_bpermute_b32 v7, v78, v7
	v_add_u32_e32 v6, v62, v6
	ds_bpermute_b32 v62, v78, v6
	v_cndmask_b32_e32 v63, v80, v63, vcc
	v_and_b32_e32 v80, 1, v63
	v_cmp_eq_u32_e32 vcc, 1, v80
	s_waitcnt lgkmcnt(1)
	s_nop 0
	v_cndmask_b32_e64 v7, v7, 1, vcc
	v_cmp_eq_u16_sdwa vcc, v63, v61 src0_sel:BYTE_0 src1_sel:DWORD
	s_waitcnt lgkmcnt(0)
	s_nop 0
	v_cndmask_b32_e32 v62, 0, v62, vcc
	v_cmp_gt_u32_e32 vcc, v79, v9
	s_nop 1
	v_cndmask_b32_e64 v9, v62, 0, vcc
	v_cndmask_b32_e32 v7, v7, v63, vcc
	v_add_u32_e32 v6, v9, v6
	v_cmp_eq_u16_sdwa vcc, v75, v61 src0_sel:BYTE_0 src1_sel:DWORD
	v_and_b32_e32 v9, 1, v75
	v_and_b32_e32 v7, 1, v7
	v_cndmask_b32_e32 v6, 0, v6, vcc
	v_cmp_eq_u32_e32 vcc, 1, v9
	v_add_u32_e32 v6, v6, v77
	s_nop 0
	v_cndmask_b32_e64 v7, v7, 1, vcc
.LBB1727_180:                           ; =>This Loop Header: Depth=1
                                        ;     Child Loop BB1727_183 Depth 2
                                        ;       Child Loop BB1727_184 Depth 3
	v_cmp_ne_u16_sdwa s[0:1], v8, v3 src0_sel:BYTE_0 src1_sel:DWORD
	v_mov_b32_e32 v75, v7
	v_mov_b32_e32 v77, v6
	v_cndmask_b32_e64 v7, 0, 1, s[0:1]
	;;#ASMSTART
	;;#ASMEND
	s_nop 0
	v_cmp_ne_u32_e32 vcc, 0, v7
	s_cmp_lg_u64 vcc, exec
	s_cbranch_scc1 .LBB1727_187
; %bb.181:                              ;   in Loop: Header=BB1727_180 Depth=1
	v_lshl_add_u64 v[62:63], v[60:61], 4, s[64:65]
	;;#ASMSTART
	global_load_dwordx4 v[6:9], v[62:63] off sc1	
s_waitcnt vmcnt(0)
	;;#ASMEND
	s_nop 0
	v_and_b32_e32 v9, 0xff0000, v6
	v_and_b32_e32 v80, 0xff000000, v6
	;; [unrolled: 1-line block ×3, first 2 shown]
	v_or_b32_sdwa v6, v6, v9 dst_sel:DWORD dst_unused:UNUSED_PAD src0_sel:WORD_0 src1_sel:DWORD
	v_or3_b32 v7, 0, 0, v7
	v_or3_b32 v6, v6, v80, 0
	v_cmp_eq_u16_sdwa s[60:61], v8, v61 src0_sel:BYTE_0 src1_sel:DWORD
	s_and_saveexec_b64 s[0:1], s[60:61]
	s_cbranch_execz .LBB1727_179
; %bb.182:                              ;   in Loop: Header=BB1727_180 Depth=1
	s_mov_b32 s69, 1
	s_mov_b64 s[60:61], 0
.LBB1727_183:                           ;   Parent Loop BB1727_180 Depth=1
                                        ; =>  This Loop Header: Depth=2
                                        ;       Child Loop BB1727_184 Depth 3
	s_max_u32 s75, s69, 1
.LBB1727_184:                           ;   Parent Loop BB1727_180 Depth=1
                                        ;     Parent Loop BB1727_183 Depth=2
                                        ; =>    This Inner Loop Header: Depth=3
	s_add_i32 s75, s75, -1
	s_cmp_eq_u32 s75, 0
	s_sleep 1
	s_cbranch_scc0 .LBB1727_184
; %bb.185:                              ;   in Loop: Header=BB1727_183 Depth=2
	s_cmp_lt_u32 s69, 32
	s_cselect_b64 s[76:77], -1, 0
	s_cmp_lg_u64 s[76:77], 0
	s_addc_u32 s69, s69, 0
	;;#ASMSTART
	global_load_dwordx4 v[6:9], v[62:63] off sc1	
s_waitcnt vmcnt(0)
	;;#ASMEND
	s_nop 0
	v_cmp_ne_u16_sdwa s[76:77], v8, v61 src0_sel:BYTE_0 src1_sel:DWORD
	s_or_b64 s[60:61], s[76:77], s[60:61]
	s_andn2_b64 exec, exec, s[60:61]
	s_cbranch_execnz .LBB1727_183
; %bb.186:                              ;   in Loop: Header=BB1727_180 Depth=1
	s_or_b64 exec, exec, s[60:61]
	v_and_b32_e32 v7, 0xff, v7
	s_branch .LBB1727_179
.LBB1727_187:                           ;   in Loop: Header=BB1727_180 Depth=1
                                        ; implicit-def: $vgpr7
                                        ; implicit-def: $vgpr6
                                        ; implicit-def: $vgpr8
	s_cbranch_execz .LBB1727_180
; %bb.188:
	s_and_saveexec_b64 s[0:1], s[50:51]
	s_cbranch_execz .LBB1727_190
; %bb.189:
	s_and_b32 s50, s68, 0xff
	s_cmp_eq_u32 s50, 0
	s_cselect_b64 vcc, -1, 0
	s_bitcmp1_b32 s68, 0
	s_mov_b32 s51, 0
	s_cselect_b64 s[58:59], -1, 0
	s_add_i32 s50, s67, 64
	s_lshl_b64 s[50:51], s[50:51], 4
	v_cndmask_b32_e32 v3, 0, v77, vcc
	s_add_u32 s50, s64, s50
	v_add_u32_e32 v2, v3, v2
	v_and_b32_e32 v3, 1, v75
	s_addc_u32 s51, s65, s51
	v_mov_b32_e32 v5, 0
	v_cndmask_b32_e64 v3, v3, 1, s[58:59]
	v_mov_b32_e32 v4, 2
	v_mov_b64_e32 v[6:7], s[50:51]
	;;#ASMSTART
	global_store_dwordx4 v[6:7], v[2:5] off sc1	
s_waitcnt vmcnt(0)
	;;#ASMEND
.LBB1727_190:
	s_or_b64 exec, exec, s[0:1]
	s_and_b64 exec, exec, s[52:53]
	s_cbranch_execz .LBB1727_192
; %bb.191:
	v_mov_b32_e32 v2, 0
	ds_write_b32 v2, v77
	ds_write_b8 v2, v75 offset:4
.LBB1727_192:
	s_or_b64 exec, exec, s[56:57]
	v_mov_b32_e32 v2, 0
	s_waitcnt lgkmcnt(0)
	s_barrier
	ds_read_b32 v3, v2
	v_cmp_eq_u16_sdwa vcc, v65, v2 src0_sel:BYTE_0 src1_sel:DWORD
	s_waitcnt lgkmcnt(0)
	s_nop 0
	v_cndmask_b32_e32 v4, 0, v3, vcc
	v_add_u32_e32 v4, v4, v64
	v_cndmask_b32_e64 v60, v4, v3, s[52:53]
	v_and_b32_e32 v3, 0xff, v13
	v_cmp_eq_u64_e32 vcc, 0, v[2:3]
	s_nop 1
	v_cndmask_b32_e32 v2, 0, v60, vcc
	v_add_u32_e32 v61, v2, v12
	v_cndmask_b32_e64 v2, 0, v61, s[6:7]
	v_add_u32_e32 v62, v2, v14
	v_cndmask_b32_e64 v2, 0, v62, s[8:9]
	;; [unrolled: 2-line block ×21, first 2 shown]
	v_add_u32_e32 v82, v2, v54
	s_branch .LBB1727_213
.LBB1727_193:
                                        ; implicit-def: $vgpr81
                                        ; implicit-def: $vgpr80
                                        ; implicit-def: $vgpr79
                                        ; implicit-def: $vgpr78
                                        ; implicit-def: $vgpr77
                                        ; implicit-def: $vgpr76
                                        ; implicit-def: $vgpr75
                                        ; implicit-def: $vgpr74
                                        ; implicit-def: $vgpr73
                                        ; implicit-def: $vgpr72
                                        ; implicit-def: $vgpr71
                                        ; implicit-def: $vgpr70
                                        ; implicit-def: $vgpr69
                                        ; implicit-def: $vgpr68
                                        ; implicit-def: $vgpr67
                                        ; implicit-def: $vgpr66
                                        ; implicit-def: $vgpr65
                                        ; implicit-def: $vgpr64
                                        ; implicit-def: $vgpr63
                                        ; implicit-def: $vgpr62
                                        ; implicit-def: $vgpr61
                                        ; implicit-def: $vgpr60
                                        ; implicit-def: $vgpr82
	s_cbranch_execz .LBB1727_213
; %bb.194:
	s_cmp_lg_u64 s[72:73], 0
	s_cselect_b32 s7, s71, 0
	s_cselect_b32 s6, s70, 0
	s_mov_b32 s0, 0
	s_cmp_eq_u64 s[6:7], 0
	v_mov_b32_e32 v4, s74
	s_cbranch_scc1 .LBB1727_196
; %bb.195:
	v_mov_b32_e32 v2, 0
	global_load_dword v4, v2, s[6:7]
.LBB1727_196:
	s_mov_b32 s1, 1
	v_cmp_gt_u64_e32 vcc, s[0:1], v[14:15]
	v_cmp_gt_u64_e64 s[6:7], s[0:1], v[16:17]
	v_cmp_gt_u64_e64 s[8:9], s[0:1], v[18:19]
	v_cndmask_b32_e32 v2, 0, v12, vcc
	v_add_u32_e32 v2, v2, v14
	v_cndmask_b32_e64 v2, 0, v2, s[6:7]
	v_add_u32_e32 v2, v2, v16
	v_cndmask_b32_e64 v2, 0, v2, s[8:9]
	v_add_u32_e32 v2, v2, v18
	v_cmp_gt_u64_e64 s[10:11], s[0:1], v[20:21]
	v_cmp_gt_u64_e64 s[12:13], s[0:1], v[22:23]
	v_cmp_gt_u64_e64 s[14:15], s[0:1], v[24:25]
	v_cndmask_b32_e64 v2, 0, v2, s[10:11]
	v_add_u32_e32 v2, v2, v20
	v_cndmask_b32_e64 v2, 0, v2, s[12:13]
	v_add_u32_e32 v2, v2, v22
	v_cndmask_b32_e64 v2, 0, v2, s[14:15]
	v_add_u32_e32 v2, v2, v24
	v_cmp_gt_u64_e64 s[16:17], s[0:1], v[26:27]
	v_cmp_gt_u64_e64 s[18:19], s[0:1], v[28:29]
	v_cmp_gt_u64_e64 s[20:21], s[0:1], v[30:31]
	v_cndmask_b32_e64 v2, 0, v2, s[16:17]
	;; [unrolled: 9-line block ×6, first 2 shown]
	v_add_u32_e32 v2, v2, v50
	v_cndmask_b32_e64 v2, 0, v2, s[44:45]
	v_add_u32_e32 v2, v2, v52
	v_cndmask_b32_e64 v2, 0, v2, s[46:47]
	v_add_u32_e32 v2, v2, v54
	v_cmp_gt_u64_e64 s[0:1], s[0:1], v[58:59]
	v_add_lshl_u32 v1, v1, v0, 3
	s_nop 0
	v_cndmask_b32_e64 v2, 0, v2, s[0:1]
	v_add_u32_e32 v5, v2, v58
	v_or3_b32 v2, v57, v53, v51
	v_or3_b32 v2, v2, v49, v47
	;; [unrolled: 1-line block ×10, first 2 shown]
	v_and_b32_e32 v2, 1, v2
	v_cmp_eq_u32_e64 s[0:1], 1, v2
	s_nop 1
	v_cndmask_b32_e64 v6, v13, 1, s[0:1]
	v_cmp_gt_u32_e64 s[0:1], 64, v0
	ds_write_b32 v1, v5
	ds_write_b8 v1, v6 offset:4
	s_waitcnt lgkmcnt(0)
	s_barrier
	s_and_saveexec_b64 s[48:49], s[0:1]
	s_cbranch_execz .LBB1727_208
; %bb.197:
	v_lshrrev_b32_e32 v1, 3, v0
	v_add_lshl_u32 v1, v1, v56, 3
	ds_read2_b32 v[8:9], v1 offset0:2 offset1:4
	ds_read_b64 v[2:3], v1
	ds_read_u8 v15, v1 offset:12
	ds_read_u8 v17, v1 offset:20
	ds_read_b32 v19, v1 offset:24
	ds_read_u8 v21, v1 offset:28
	v_mov_b32_e32 v23, 0
	s_waitcnt lgkmcnt(3)
	v_cmp_eq_u16_sdwa s[0:1], v15, v23 src0_sel:BYTE_0 src1_sel:DWORD
	v_and_b32_e32 v7, 1, v3
	s_nop 0
	v_cndmask_b32_e64 v25, 0, v2, s[0:1]
	v_add_u32_e32 v8, v25, v8
	s_waitcnt lgkmcnt(2)
	v_cmp_eq_u16_sdwa s[0:1], v17, v23 src0_sel:BYTE_0 src1_sel:DWORD
	s_nop 1
	v_cndmask_b32_e64 v8, 0, v8, s[0:1]
	v_add_u32_e32 v8, v8, v9
	s_waitcnt lgkmcnt(0)
	v_cmp_eq_u16_e64 s[0:1], 0, v21
	s_nop 1
	v_cndmask_b32_e64 v8, 0, v8, s[0:1]
	v_add_u32_e32 v9, v8, v19
	v_or_b32_e32 v8, v21, v17
	v_or_b32_e32 v8, v8, v15
	v_and_b32_e32 v8, 1, v8
	v_cmp_eq_u32_e64 s[0:1], 1, v8
	v_mbcnt_lo_u32_b32 v15, -1, 0
	v_and_b32_e32 v8, 0xffffff00, v3
	v_cndmask_b32_e64 v17, v7, 1, s[0:1]
	v_mbcnt_hi_u32_b32 v15, -1, v15
	v_and_b32_e32 v21, 15, v15
	v_or_b32_sdwa v19, v8, v17 dst_sel:DWORD dst_unused:UNUSED_PAD src0_sel:DWORD src1_sel:WORD_0
	v_mov_b32_dpp v23, v9 row_shr:1 row_mask:0xf bank_mask:0xf
	v_cmp_ne_u32_e64 s[0:1], 0, v21
	v_mov_b32_dpp v25, v19 row_shr:1 row_mask:0xf bank_mask:0xf
	s_and_saveexec_b64 s[50:51], s[0:1]
; %bb.198:
	v_and_b32_e32 v19, 1, v17
	v_and_b32_e32 v25, 1, v25
	v_cmp_eq_u32_e64 s[0:1], 1, v19
	s_nop 1
	v_cndmask_b32_e64 v25, v25, 1, s[0:1]
	v_cmp_eq_u16_e64 s[0:1], 0, v17
	v_or_b32_sdwa v19, v8, v25 dst_sel:DWORD dst_unused:UNUSED_PAD src0_sel:DWORD src1_sel:WORD_0
	s_nop 0
	v_cndmask_b32_e64 v17, 0, v23, s[0:1]
	v_add_u32_e32 v9, v17, v9
	v_mov_b32_e32 v17, v25
; %bb.199:
	s_or_b64 exec, exec, s[50:51]
	v_mov_b32_dpp v23, v9 row_shr:2 row_mask:0xf bank_mask:0xf
	v_mov_b32_dpp v25, v19 row_shr:2 row_mask:0xf bank_mask:0xf
	v_cmp_lt_u32_e64 s[0:1], 1, v21
	s_and_saveexec_b64 s[50:51], s[0:1]
; %bb.200:
	v_and_b32_e32 v19, 1, v17
	v_and_b32_e32 v25, 1, v25
	v_cmp_eq_u32_e64 s[0:1], 1, v19
	s_nop 1
	v_cndmask_b32_e64 v25, v25, 1, s[0:1]
	v_cmp_eq_u16_e64 s[0:1], 0, v17
	v_or_b32_sdwa v19, v8, v25 dst_sel:DWORD dst_unused:UNUSED_PAD src0_sel:DWORD src1_sel:WORD_0
	s_nop 0
	v_cndmask_b32_e64 v17, 0, v23, s[0:1]
	v_add_u32_e32 v9, v17, v9
	v_mov_b32_e32 v17, v25
; %bb.201:
	s_or_b64 exec, exec, s[50:51]
	v_mov_b32_dpp v23, v9 row_shr:4 row_mask:0xf bank_mask:0xf
	v_mov_b32_dpp v25, v19 row_shr:4 row_mask:0xf bank_mask:0xf
	v_cmp_lt_u32_e64 s[0:1], 3, v21
	;; [unrolled: 18-line block ×3, first 2 shown]
	s_and_saveexec_b64 s[50:51], s[0:1]
; %bb.204:
	v_and_b32_e32 v19, 1, v17
	v_and_b32_e32 v21, 1, v25
	v_cmp_eq_u32_e64 s[0:1], 1, v19
	s_nop 1
	v_cndmask_b32_e64 v21, v21, 1, s[0:1]
	v_cmp_eq_u16_e64 s[0:1], 0, v17
	v_or_b32_sdwa v19, v8, v21 dst_sel:DWORD dst_unused:UNUSED_PAD src0_sel:DWORD src1_sel:WORD_0
	s_nop 0
	v_cndmask_b32_e64 v17, 0, v23, s[0:1]
	v_add_u32_e32 v9, v17, v9
	v_mov_b32_e32 v17, v21
; %bb.205:
	s_or_b64 exec, exec, s[50:51]
	v_and_b32_e32 v25, 16, v15
	v_mov_b32_dpp v21, v9 row_bcast:15 row_mask:0xf bank_mask:0xf
	v_mov_b32_dpp v23, v19 row_bcast:15 row_mask:0xf bank_mask:0xf
	v_cmp_ne_u32_e64 s[0:1], 0, v25
	s_and_saveexec_b64 s[50:51], s[0:1]
; %bb.206:
	v_and_b32_e32 v19, 1, v17
	v_and_b32_e32 v23, 1, v23
	v_cmp_eq_u32_e64 s[0:1], 1, v19
	s_nop 1
	v_cndmask_b32_e64 v23, v23, 1, s[0:1]
	v_cmp_eq_u16_e64 s[0:1], 0, v17
	v_or_b32_sdwa v19, v8, v23 dst_sel:DWORD dst_unused:UNUSED_PAD src0_sel:DWORD src1_sel:WORD_0
	s_nop 0
	v_cndmask_b32_e64 v17, 0, v21, s[0:1]
	v_add_u32_e32 v9, v17, v9
	v_mov_b32_e32 v17, v23
; %bb.207:
	s_or_b64 exec, exec, s[50:51]
	v_mov_b32_dpp v19, v19 row_bcast:31 row_mask:0xf bank_mask:0xf
	v_and_b32_e32 v23, 1, v17
	v_and_b32_e32 v19, 1, v19
	v_cmp_eq_u32_e64 s[0:1], 1, v23
	v_mov_b32_e32 v23, 0
	v_cmp_eq_u16_sdwa s[50:51], v17, v23 src0_sel:BYTE_0 src1_sel:DWORD
	v_cndmask_b32_e64 v19, v19, 1, s[0:1]
	v_cmp_lt_u32_e64 s[0:1], 31, v15
	v_mov_b32_dpp v21, v9 row_bcast:31 row_mask:0xf bank_mask:0xf
	s_movk_i32 s56, 0xff
	v_cndmask_b32_e64 v17, v17, v19, s[0:1]
	s_and_b64 s[0:1], s[0:1], s[50:51]
	v_cndmask_b32_e64 v19, 0, v21, s[0:1]
	v_add_u32_e32 v9, v19, v9
	v_add_u32_e32 v19, -1, v15
	v_and_b32_e32 v21, 64, v15
	v_cmp_lt_i32_e64 s[0:1], v19, v21
	v_and_or_b32 v8, v17, s56, v8
	s_nop 0
	v_cndmask_b32_e64 v15, v19, v15, s[0:1]
	v_lshlrev_b32_e32 v15, 2, v15
	ds_bpermute_b32 v9, v15, v9
	ds_bpermute_b32 v8, v15, v8
	v_cmp_eq_u16_sdwa s[0:1], v3, v23 src0_sel:BYTE_0 src1_sel:DWORD
	; wave barrier
	s_waitcnt lgkmcnt(1)
	s_nop 0
	v_cndmask_b32_e64 v3, 0, v9, s[0:1]
	v_add_u32_e32 v2, v3, v2
	s_waitcnt lgkmcnt(0)
	v_and_b32_e32 v3, 1, v8
	v_cmp_eq_u32_e64 s[0:1], 1, v7
	v_cndmask_b32_e64 v5, v2, v5, s[52:53]
	s_nop 0
	v_cndmask_b32_e64 v3, v3, 1, s[0:1]
	v_cndmask_b32_e64 v6, v3, v6, s[52:53]
	ds_write_b32 v1, v5
	ds_write_b8 v1, v6 offset:4
	; wave barrier
	ds_read_u8 v7, v1 offset:12
	ds_read2_b32 v[2:3], v1 offset0:2 offset1:4
	ds_read_u8 v8, v1 offset:20
	ds_read_b32 v9, v1 offset:24
	ds_read_u8 v15, v1 offset:28
	s_waitcnt lgkmcnt(4)
	v_cmp_eq_u16_e64 s[0:1], 0, v7
	s_nop 1
	v_cndmask_b32_e64 v5, 0, v5, s[0:1]
	s_waitcnt lgkmcnt(3)
	v_add_u32_e32 v2, v5, v2
	v_and_b32_e32 v5, 1, v7
	v_cmp_eq_u32_e64 s[0:1], 1, v5
	s_nop 1
	v_cndmask_b32_e64 v5, v6, 1, s[0:1]
	s_waitcnt lgkmcnt(2)
	v_cmp_eq_u16_e64 s[0:1], 0, v8
	ds_write_b8 v1, v5 offset:12
	s_nop 0
	v_cndmask_b32_e64 v6, 0, v2, s[0:1]
	v_add_u32_e32 v3, v6, v3
	v_and_b32_e32 v6, 1, v8
	v_cmp_eq_u32_e64 s[0:1], 1, v6
	s_nop 1
	v_cndmask_b32_e64 v5, v5, 1, s[0:1]
	s_waitcnt lgkmcnt(1)
	v_cmp_eq_u16_e64 s[0:1], 0, v15
	ds_write2_b32 v1, v2, v3 offset0:2 offset1:4
	ds_write_b8 v1, v5 offset:20
	v_cndmask_b32_e64 v2, 0, v3, s[0:1]
	v_and_b32_e32 v3, 1, v15
	v_add_u32_e32 v2, v2, v9
	v_cmp_eq_u32_e64 s[0:1], 1, v3
	s_nop 1
	v_cndmask_b32_e64 v3, v5, 1, s[0:1]
	ds_write_b32 v1, v2 offset:24
	ds_write_b8 v1, v3 offset:28
.LBB1727_208:
	s_or_b64 exec, exec, s[48:49]
	s_waitcnt vmcnt(0)
	v_mov_b32_e32 v60, v4
	s_waitcnt lgkmcnt(0)
	s_barrier
	s_and_saveexec_b64 s[48:49], s[4:5]
	s_cbranch_execz .LBB1727_210
; %bb.209:
	v_add_u32_e32 v1, -1, v0
	v_lshrrev_b32_e32 v2, 5, v1
	v_add_lshl_u32 v1, v2, v1, 3
	ds_read_u8 v2, v1 offset:4
	ds_read_b32 v1, v1
	s_waitcnt lgkmcnt(1)
	v_cmp_eq_u16_e64 s[0:1], 0, v2
	s_nop 1
	v_cndmask_b32_e64 v2, 0, v4, s[0:1]
	s_waitcnt lgkmcnt(0)
	v_add_u32_e32 v60, v2, v1
.LBB1727_210:
	s_or_b64 exec, exec, s[48:49]
	v_and_b32_e32 v3, 0xff, v13
	v_mov_b32_e32 v2, 0
	v_cmp_eq_u64_e64 s[0:1], 0, v[2:3]
	s_nop 1
	v_cndmask_b32_e64 v1, 0, v60, s[0:1]
	v_add_u32_e32 v61, v1, v12
	v_cndmask_b32_e32 v1, 0, v61, vcc
	v_add_u32_e32 v62, v1, v14
	v_cndmask_b32_e64 v1, 0, v62, s[6:7]
	v_add_u32_e32 v63, v1, v16
	v_cndmask_b32_e64 v1, 0, v63, s[8:9]
	;; [unrolled: 2-line block ×20, first 2 shown]
	s_and_saveexec_b64 s[0:1], s[52:53]
	s_cbranch_execz .LBB1727_212
; %bb.211:
	ds_read_u8 v3, v2 offset:2100
	ds_read_b32 v5, v2 offset:2096
	s_add_u32 s4, s64, 0x400
	s_addc_u32 s5, s65, 0
	v_mov_b32_e32 v6, 2
	s_waitcnt lgkmcnt(1)
	v_cmp_eq_u16_e32 vcc, 0, v3
	v_mov_b32_e32 v7, v2
	s_nop 0
	v_cndmask_b32_e32 v4, 0, v4, vcc
	s_waitcnt lgkmcnt(0)
	v_add_u32_e32 v4, v4, v5
	v_and_b32_e32 v5, 0xffff, v3
	v_mov_b64_e32 v[2:3], s[4:5]
	;;#ASMSTART
	global_store_dwordx4 v[2:3], v[4:7] off sc1	
s_waitcnt vmcnt(0)
	;;#ASMEND
.LBB1727_212:
	s_or_b64 exec, exec, s[0:1]
	v_add_u32_e32 v82, v1, v54
.LBB1727_213:
	s_add_u32 s0, s62, s54
	s_addc_u32 s1, s63, s55
	v_lshl_add_u64 v[2:3], s[0:1], 0, v[10:11]
	s_and_b64 vcc, exec, s[2:3]
	s_cbranch_vccz .LBB1727_259
; %bb.214:
	s_movk_i32 s0, 0x5c
	v_mul_i32_i24_e32 v28, 0xffffffa8, v0
	v_mul_u32_u24_e32 v1, 0x5c, v0
	v_mad_u32_u24 v4, v0, s0, v28
	s_barrier
	ds_write2_b32 v1, v60, v61 offset1:1
	ds_write2_b32 v1, v62, v63 offset0:2 offset1:3
	ds_write2_b32 v1, v64, v65 offset0:4 offset1:5
	;; [unrolled: 1-line block ×10, first 2 shown]
	ds_write_b32 v1, v82 offset:88
	s_waitcnt lgkmcnt(0)
	s_barrier
	ds_read2st64_b32 v[26:27], v4 offset0:4 offset1:8
	ds_read2st64_b32 v[24:25], v4 offset0:12 offset1:16
	;; [unrolled: 1-line block ×11, first 2 shown]
	s_add_i32 s33, s33, s66
	v_mov_b32_e32 v57, 0
	v_lshl_add_u64 v[6:7], v[2:3], 0, v[56:57]
	v_cmp_gt_u32_e32 vcc, s33, v0
	s_and_saveexec_b64 s[0:1], vcc
	s_cbranch_execz .LBB1727_216
; %bb.215:
	v_add_u32_e32 v1, v1, v28
	ds_read_b32 v1, v1
	s_waitcnt lgkmcnt(0)
	v_cvt_f32_i32_e32 v1, v1
	flat_store_dword v[6:7], v1
.LBB1727_216:
	s_or_b64 exec, exec, s[0:1]
	v_or_b32_e32 v1, 0x100, v0
	v_cmp_gt_u32_e32 vcc, s33, v1
	s_and_saveexec_b64 s[0:1], vcc
	s_cbranch_execz .LBB1727_218
; %bb.217:
	s_waitcnt lgkmcnt(0)
	v_cvt_f32_i32_e32 v1, v26
	flat_store_dword v[6:7], v1 offset:1024
.LBB1727_218:
	s_or_b64 exec, exec, s[0:1]
	v_or_b32_e32 v1, 0x200, v0
	v_cmp_gt_u32_e32 vcc, s33, v1
	s_and_saveexec_b64 s[0:1], vcc
	s_cbranch_execz .LBB1727_220
; %bb.219:
	s_waitcnt lgkmcnt(0)
	v_cvt_f32_i32_e32 v1, v27
	flat_store_dword v[6:7], v1 offset:2048
.LBB1727_220:
	;; [unrolled: 10-line block ×3, first 2 shown]
	s_or_b64 exec, exec, s[0:1]
	v_or_b32_e32 v1, 0x400, v0
	v_cmp_gt_u32_e32 vcc, s33, v1
	s_and_saveexec_b64 s[0:1], vcc
	s_cbranch_execz .LBB1727_224
; %bb.223:
	s_waitcnt lgkmcnt(0)
	v_cvt_f32_i32_e32 v1, v25
	v_add_co_u32_e32 v24, vcc, 0x1000, v6
	s_nop 1
	v_addc_co_u32_e32 v25, vcc, 0, v7, vcc
	flat_store_dword v[24:25], v1
.LBB1727_224:
	s_or_b64 exec, exec, s[0:1]
	v_or_b32_e32 v1, 0x500, v0
	v_cmp_gt_u32_e32 vcc, s33, v1
	s_and_saveexec_b64 s[0:1], vcc
	s_cbranch_execz .LBB1727_226
; %bb.225:
	s_waitcnt lgkmcnt(0)
	v_cvt_f32_i32_e32 v1, v22
	v_add_co_u32_e32 v24, vcc, 0x1000, v6
	s_nop 1
	v_addc_co_u32_e32 v25, vcc, 0, v7, vcc
	flat_store_dword v[24:25], v1 offset:1024
.LBB1727_226:
	s_or_b64 exec, exec, s[0:1]
	v_or_b32_e32 v1, 0x600, v0
	v_cmp_gt_u32_e32 vcc, s33, v1
	s_and_saveexec_b64 s[0:1], vcc
	s_cbranch_execz .LBB1727_228
; %bb.227:
	s_waitcnt lgkmcnt(0)
	v_cvt_f32_i32_e32 v1, v23
	v_add_co_u32_e32 v22, vcc, 0x1000, v6
	s_nop 1
	v_addc_co_u32_e32 v23, vcc, 0, v7, vcc
	flat_store_dword v[22:23], v1 offset:2048
.LBB1727_228:
	s_or_b64 exec, exec, s[0:1]
	v_or_b32_e32 v1, 0x700, v0
	v_cmp_gt_u32_e32 vcc, s33, v1
	s_and_saveexec_b64 s[0:1], vcc
	s_cbranch_execz .LBB1727_230
; %bb.229:
	s_waitcnt lgkmcnt(0)
	v_cvt_f32_i32_e32 v1, v20
	v_add_co_u32_e32 v22, vcc, 0x1000, v6
	s_nop 1
	v_addc_co_u32_e32 v23, vcc, 0, v7, vcc
	flat_store_dword v[22:23], v1 offset:3072
.LBB1727_230:
	s_or_b64 exec, exec, s[0:1]
	v_or_b32_e32 v1, 0x800, v0
	v_cmp_gt_u32_e32 vcc, s33, v1
	s_and_saveexec_b64 s[0:1], vcc
	s_cbranch_execz .LBB1727_232
; %bb.231:
	s_waitcnt lgkmcnt(0)
	v_cvt_f32_i32_e32 v1, v21
	v_add_co_u32_e32 v20, vcc, 0x2000, v6
	s_nop 1
	v_addc_co_u32_e32 v21, vcc, 0, v7, vcc
	flat_store_dword v[20:21], v1
.LBB1727_232:
	s_or_b64 exec, exec, s[0:1]
	v_or_b32_e32 v1, 0x900, v0
	v_cmp_gt_u32_e32 vcc, s33, v1
	s_and_saveexec_b64 s[0:1], vcc
	s_cbranch_execz .LBB1727_234
; %bb.233:
	s_waitcnt lgkmcnt(0)
	v_cvt_f32_i32_e32 v1, v18
	v_add_co_u32_e32 v20, vcc, 0x2000, v6
	s_nop 1
	v_addc_co_u32_e32 v21, vcc, 0, v7, vcc
	flat_store_dword v[20:21], v1 offset:1024
.LBB1727_234:
	s_or_b64 exec, exec, s[0:1]
	v_or_b32_e32 v1, 0xa00, v0
	v_cmp_gt_u32_e32 vcc, s33, v1
	s_and_saveexec_b64 s[0:1], vcc
	s_cbranch_execz .LBB1727_236
; %bb.235:
	s_waitcnt lgkmcnt(0)
	v_cvt_f32_i32_e32 v1, v19
	v_add_co_u32_e32 v18, vcc, 0x2000, v6
	s_nop 1
	v_addc_co_u32_e32 v19, vcc, 0, v7, vcc
	flat_store_dword v[18:19], v1 offset:2048
.LBB1727_236:
	s_or_b64 exec, exec, s[0:1]
	v_or_b32_e32 v1, 0xb00, v0
	v_cmp_gt_u32_e32 vcc, s33, v1
	s_and_saveexec_b64 s[0:1], vcc
	s_cbranch_execz .LBB1727_238
; %bb.237:
	s_waitcnt lgkmcnt(0)
	v_cvt_f32_i32_e32 v1, v16
	v_add_co_u32_e32 v18, vcc, 0x2000, v6
	s_nop 1
	v_addc_co_u32_e32 v19, vcc, 0, v7, vcc
	flat_store_dword v[18:19], v1 offset:3072
.LBB1727_238:
	;; [unrolled: 52-line block ×4, first 2 shown]
	s_or_b64 exec, exec, s[0:1]
	v_or_b32_e32 v1, 0x1400, v0
	v_cmp_gt_u32_e32 vcc, s33, v1
	s_and_saveexec_b64 s[0:1], vcc
	s_cbranch_execz .LBB1727_256
; %bb.255:
	s_waitcnt lgkmcnt(0)
	v_cvt_f32_i32_e32 v1, v9
	v_add_co_u32_e32 v8, vcc, 0x5000, v6
	s_nop 1
	v_addc_co_u32_e32 v9, vcc, 0, v7, vcc
	flat_store_dword v[8:9], v1
.LBB1727_256:
	s_or_b64 exec, exec, s[0:1]
	v_or_b32_e32 v1, 0x1500, v0
	v_cmp_gt_u32_e32 vcc, s33, v1
	s_and_saveexec_b64 s[0:1], vcc
	s_cbranch_execz .LBB1727_258
; %bb.257:
	s_waitcnt lgkmcnt(0)
	v_cvt_f32_i32_e32 v1, v4
	v_add_co_u32_e32 v6, vcc, 0x5000, v6
	s_nop 1
	v_addc_co_u32_e32 v7, vcc, 0, v7, vcc
	flat_store_dword v[6:7], v1 offset:1024
.LBB1727_258:
	s_or_b64 exec, exec, s[0:1]
	s_waitcnt lgkmcnt(0)
	v_or_b32_e32 v4, 0x1600, v0
	v_mov_b32_e32 v1, v57
	v_cmp_gt_u32_e64 s[0:1], s33, v4
	s_branch .LBB1727_261
.LBB1727_259:
	s_mov_b64 s[0:1], 0
                                        ; implicit-def: $vgpr5
	s_cbranch_execz .LBB1727_261
; %bb.260:
	s_movk_i32 s2, 0x5c
	v_mul_i32_i24_e32 v4, 0xffffffa8, v0
	v_mul_u32_u24_e32 v1, 0x5c, v0
	v_mad_u32_u24 v4, v0, s2, v4
	s_barrier
	ds_write2_b32 v1, v60, v61 offset1:1
	ds_write2_b32 v1, v62, v63 offset0:2 offset1:3
	ds_write2_b32 v1, v64, v65 offset0:4 offset1:5
	;; [unrolled: 1-line block ×10, first 2 shown]
	ds_write_b32 v1, v82 offset:88
	s_waitcnt lgkmcnt(0)
	s_barrier
	ds_read2st64_b32 v[6:7], v4 offset1:4
	ds_read2st64_b32 v[8:9], v4 offset0:8 offset1:12
	ds_read2st64_b32 v[10:11], v4 offset0:16 offset1:20
	;; [unrolled: 1-line block ×10, first 2 shown]
	ds_read_b32 v5, v4 offset:22528
	s_waitcnt lgkmcnt(0)
	v_cvt_f32_i32_e32 v4, v6
	v_mov_b32_e32 v1, 0
	v_cvt_f32_i32_e32 v6, v7
	v_mov_b32_e32 v57, v1
	v_cvt_f32_i32_e32 v7, v8
	v_lshl_add_u64 v[28:29], v[2:3], 0, v[56:57]
	v_cvt_f32_i32_e32 v8, v9
	flat_store_dword v[28:29], v4
	flat_store_dword v[28:29], v6 offset:1024
	flat_store_dword v[28:29], v7 offset:2048
	flat_store_dword v[28:29], v8 offset:3072
	v_cvt_f32_i32_e32 v4, v10
	s_movk_i32 s2, 0x1000
	v_cvt_f32_i32_e32 v8, v11
	v_add_co_u32_e32 v6, vcc, s2, v28
	v_cvt_f32_i32_e32 v9, v12
	s_nop 0
	v_addc_co_u32_e32 v7, vcc, 0, v29, vcc
	v_cvt_f32_i32_e32 v10, v13
	flat_store_dword v[6:7], v4
	flat_store_dword v[6:7], v8 offset:1024
	flat_store_dword v[6:7], v9 offset:2048
	flat_store_dword v[6:7], v10 offset:3072
	v_cvt_f32_i32_e32 v4, v14
	s_movk_i32 s2, 0x2000
	v_cvt_f32_i32_e32 v8, v15
	v_add_co_u32_e32 v6, vcc, s2, v28
	v_cvt_f32_i32_e32 v9, v16
	s_nop 0
	v_addc_co_u32_e32 v7, vcc, 0, v29, vcc
	;; [unrolled: 12-line block ×4, first 2 shown]
	v_cvt_f32_i32_e32 v10, v25
	flat_store_dword v[6:7], v4
	flat_store_dword v[6:7], v8 offset:1024
	flat_store_dword v[6:7], v9 offset:2048
	flat_store_dword v[6:7], v10 offset:3072
	v_cvt_f32_i32_e32 v4, v26
	v_cvt_f32_i32_e32 v8, v27
	v_add_co_u32_e32 v6, vcc, 0x5000, v28
	s_or_b64 s[0:1], s[0:1], exec
	s_nop 0
	v_addc_co_u32_e32 v7, vcc, 0, v29, vcc
	flat_store_dword v[6:7], v4
	flat_store_dword v[6:7], v8 offset:1024
.LBB1727_261:
	s_and_saveexec_b64 s[2:3], s[0:1]
	s_cbranch_execz .LBB1727_263
; %bb.262:
	v_lshl_add_u64 v[0:1], v[0:1], 2, v[2:3]
	v_cvt_f32_i32_e32 v2, v5
	v_add_co_u32_e32 v0, vcc, 0x5000, v0
	s_nop 1
	v_addc_co_u32_e32 v1, vcc, 0, v1, vcc
	flat_store_dword v[0:1], v2 offset:2048
	s_endpgm
.LBB1727_263:
	s_endpgm
	.section	.rodata,"a",@progbits
	.p2align	6, 0x0
	.amdhsa_kernel _ZN7rocprim17ROCPRIM_400000_NS6detail17trampoline_kernelINS0_14default_configENS1_27scan_by_key_config_selectorIiiEEZZNS1_16scan_by_key_implILNS1_25lookback_scan_determinismE0ELb1ES3_N6thrust23THRUST_200600_302600_NS6detail15normal_iteratorINS9_10device_ptrIiEEEENSB_INSC_IjEEEENSB_INSC_IfEEEEiNS9_4plusIvEENS9_8equal_toIvEEiEE10hipError_tPvRmT2_T3_T4_T5_mT6_T7_P12ihipStream_tbENKUlT_T0_E_clISt17integral_constantIbLb1EES13_EEDaSY_SZ_EUlSY_E_NS1_11comp_targetILNS1_3genE5ELNS1_11target_archE942ELNS1_3gpuE9ELNS1_3repE0EEENS1_30default_config_static_selectorELNS0_4arch9wavefront6targetE1EEEvT1_
		.amdhsa_group_segment_fixed_size 25600
		.amdhsa_private_segment_fixed_size 0
		.amdhsa_kernarg_size 112
		.amdhsa_user_sgpr_count 2
		.amdhsa_user_sgpr_dispatch_ptr 0
		.amdhsa_user_sgpr_queue_ptr 0
		.amdhsa_user_sgpr_kernarg_segment_ptr 1
		.amdhsa_user_sgpr_dispatch_id 0
		.amdhsa_user_sgpr_kernarg_preload_length 0
		.amdhsa_user_sgpr_kernarg_preload_offset 0
		.amdhsa_user_sgpr_private_segment_size 0
		.amdhsa_uses_dynamic_stack 0
		.amdhsa_enable_private_segment 0
		.amdhsa_system_sgpr_workgroup_id_x 1
		.amdhsa_system_sgpr_workgroup_id_y 0
		.amdhsa_system_sgpr_workgroup_id_z 0
		.amdhsa_system_sgpr_workgroup_info 0
		.amdhsa_system_vgpr_workitem_id 0
		.amdhsa_next_free_vgpr 83
		.amdhsa_next_free_sgpr 80
		.amdhsa_accum_offset 84
		.amdhsa_reserve_vcc 1
		.amdhsa_float_round_mode_32 0
		.amdhsa_float_round_mode_16_64 0
		.amdhsa_float_denorm_mode_32 3
		.amdhsa_float_denorm_mode_16_64 3
		.amdhsa_dx10_clamp 1
		.amdhsa_ieee_mode 1
		.amdhsa_fp16_overflow 0
		.amdhsa_tg_split 0
		.amdhsa_exception_fp_ieee_invalid_op 0
		.amdhsa_exception_fp_denorm_src 0
		.amdhsa_exception_fp_ieee_div_zero 0
		.amdhsa_exception_fp_ieee_overflow 0
		.amdhsa_exception_fp_ieee_underflow 0
		.amdhsa_exception_fp_ieee_inexact 0
		.amdhsa_exception_int_div_zero 0
	.end_amdhsa_kernel
	.section	.text._ZN7rocprim17ROCPRIM_400000_NS6detail17trampoline_kernelINS0_14default_configENS1_27scan_by_key_config_selectorIiiEEZZNS1_16scan_by_key_implILNS1_25lookback_scan_determinismE0ELb1ES3_N6thrust23THRUST_200600_302600_NS6detail15normal_iteratorINS9_10device_ptrIiEEEENSB_INSC_IjEEEENSB_INSC_IfEEEEiNS9_4plusIvEENS9_8equal_toIvEEiEE10hipError_tPvRmT2_T3_T4_T5_mT6_T7_P12ihipStream_tbENKUlT_T0_E_clISt17integral_constantIbLb1EES13_EEDaSY_SZ_EUlSY_E_NS1_11comp_targetILNS1_3genE5ELNS1_11target_archE942ELNS1_3gpuE9ELNS1_3repE0EEENS1_30default_config_static_selectorELNS0_4arch9wavefront6targetE1EEEvT1_,"axG",@progbits,_ZN7rocprim17ROCPRIM_400000_NS6detail17trampoline_kernelINS0_14default_configENS1_27scan_by_key_config_selectorIiiEEZZNS1_16scan_by_key_implILNS1_25lookback_scan_determinismE0ELb1ES3_N6thrust23THRUST_200600_302600_NS6detail15normal_iteratorINS9_10device_ptrIiEEEENSB_INSC_IjEEEENSB_INSC_IfEEEEiNS9_4plusIvEENS9_8equal_toIvEEiEE10hipError_tPvRmT2_T3_T4_T5_mT6_T7_P12ihipStream_tbENKUlT_T0_E_clISt17integral_constantIbLb1EES13_EEDaSY_SZ_EUlSY_E_NS1_11comp_targetILNS1_3genE5ELNS1_11target_archE942ELNS1_3gpuE9ELNS1_3repE0EEENS1_30default_config_static_selectorELNS0_4arch9wavefront6targetE1EEEvT1_,comdat
.Lfunc_end1727:
	.size	_ZN7rocprim17ROCPRIM_400000_NS6detail17trampoline_kernelINS0_14default_configENS1_27scan_by_key_config_selectorIiiEEZZNS1_16scan_by_key_implILNS1_25lookback_scan_determinismE0ELb1ES3_N6thrust23THRUST_200600_302600_NS6detail15normal_iteratorINS9_10device_ptrIiEEEENSB_INSC_IjEEEENSB_INSC_IfEEEEiNS9_4plusIvEENS9_8equal_toIvEEiEE10hipError_tPvRmT2_T3_T4_T5_mT6_T7_P12ihipStream_tbENKUlT_T0_E_clISt17integral_constantIbLb1EES13_EEDaSY_SZ_EUlSY_E_NS1_11comp_targetILNS1_3genE5ELNS1_11target_archE942ELNS1_3gpuE9ELNS1_3repE0EEENS1_30default_config_static_selectorELNS0_4arch9wavefront6targetE1EEEvT1_, .Lfunc_end1727-_ZN7rocprim17ROCPRIM_400000_NS6detail17trampoline_kernelINS0_14default_configENS1_27scan_by_key_config_selectorIiiEEZZNS1_16scan_by_key_implILNS1_25lookback_scan_determinismE0ELb1ES3_N6thrust23THRUST_200600_302600_NS6detail15normal_iteratorINS9_10device_ptrIiEEEENSB_INSC_IjEEEENSB_INSC_IfEEEEiNS9_4plusIvEENS9_8equal_toIvEEiEE10hipError_tPvRmT2_T3_T4_T5_mT6_T7_P12ihipStream_tbENKUlT_T0_E_clISt17integral_constantIbLb1EES13_EEDaSY_SZ_EUlSY_E_NS1_11comp_targetILNS1_3genE5ELNS1_11target_archE942ELNS1_3gpuE9ELNS1_3repE0EEENS1_30default_config_static_selectorELNS0_4arch9wavefront6targetE1EEEvT1_
                                        ; -- End function
	.section	.AMDGPU.csdata,"",@progbits
; Kernel info:
; codeLenInByte = 16104
; NumSgprs: 86
; NumVgprs: 83
; NumAgprs: 0
; TotalNumVgprs: 83
; ScratchSize: 0
; MemoryBound: 0
; FloatMode: 240
; IeeeMode: 1
; LDSByteSize: 25600 bytes/workgroup (compile time only)
; SGPRBlocks: 10
; VGPRBlocks: 10
; NumSGPRsForWavesPerEU: 86
; NumVGPRsForWavesPerEU: 83
; AccumOffset: 84
; Occupancy: 2
; WaveLimiterHint : 1
; COMPUTE_PGM_RSRC2:SCRATCH_EN: 0
; COMPUTE_PGM_RSRC2:USER_SGPR: 2
; COMPUTE_PGM_RSRC2:TRAP_HANDLER: 0
; COMPUTE_PGM_RSRC2:TGID_X_EN: 1
; COMPUTE_PGM_RSRC2:TGID_Y_EN: 0
; COMPUTE_PGM_RSRC2:TGID_Z_EN: 0
; COMPUTE_PGM_RSRC2:TIDIG_COMP_CNT: 0
; COMPUTE_PGM_RSRC3_GFX90A:ACCUM_OFFSET: 20
; COMPUTE_PGM_RSRC3_GFX90A:TG_SPLIT: 0
	.section	.text._ZN7rocprim17ROCPRIM_400000_NS6detail17trampoline_kernelINS0_14default_configENS1_27scan_by_key_config_selectorIiiEEZZNS1_16scan_by_key_implILNS1_25lookback_scan_determinismE0ELb1ES3_N6thrust23THRUST_200600_302600_NS6detail15normal_iteratorINS9_10device_ptrIiEEEENSB_INSC_IjEEEENSB_INSC_IfEEEEiNS9_4plusIvEENS9_8equal_toIvEEiEE10hipError_tPvRmT2_T3_T4_T5_mT6_T7_P12ihipStream_tbENKUlT_T0_E_clISt17integral_constantIbLb1EES13_EEDaSY_SZ_EUlSY_E_NS1_11comp_targetILNS1_3genE4ELNS1_11target_archE910ELNS1_3gpuE8ELNS1_3repE0EEENS1_30default_config_static_selectorELNS0_4arch9wavefront6targetE1EEEvT1_,"axG",@progbits,_ZN7rocprim17ROCPRIM_400000_NS6detail17trampoline_kernelINS0_14default_configENS1_27scan_by_key_config_selectorIiiEEZZNS1_16scan_by_key_implILNS1_25lookback_scan_determinismE0ELb1ES3_N6thrust23THRUST_200600_302600_NS6detail15normal_iteratorINS9_10device_ptrIiEEEENSB_INSC_IjEEEENSB_INSC_IfEEEEiNS9_4plusIvEENS9_8equal_toIvEEiEE10hipError_tPvRmT2_T3_T4_T5_mT6_T7_P12ihipStream_tbENKUlT_T0_E_clISt17integral_constantIbLb1EES13_EEDaSY_SZ_EUlSY_E_NS1_11comp_targetILNS1_3genE4ELNS1_11target_archE910ELNS1_3gpuE8ELNS1_3repE0EEENS1_30default_config_static_selectorELNS0_4arch9wavefront6targetE1EEEvT1_,comdat
	.protected	_ZN7rocprim17ROCPRIM_400000_NS6detail17trampoline_kernelINS0_14default_configENS1_27scan_by_key_config_selectorIiiEEZZNS1_16scan_by_key_implILNS1_25lookback_scan_determinismE0ELb1ES3_N6thrust23THRUST_200600_302600_NS6detail15normal_iteratorINS9_10device_ptrIiEEEENSB_INSC_IjEEEENSB_INSC_IfEEEEiNS9_4plusIvEENS9_8equal_toIvEEiEE10hipError_tPvRmT2_T3_T4_T5_mT6_T7_P12ihipStream_tbENKUlT_T0_E_clISt17integral_constantIbLb1EES13_EEDaSY_SZ_EUlSY_E_NS1_11comp_targetILNS1_3genE4ELNS1_11target_archE910ELNS1_3gpuE8ELNS1_3repE0EEENS1_30default_config_static_selectorELNS0_4arch9wavefront6targetE1EEEvT1_ ; -- Begin function _ZN7rocprim17ROCPRIM_400000_NS6detail17trampoline_kernelINS0_14default_configENS1_27scan_by_key_config_selectorIiiEEZZNS1_16scan_by_key_implILNS1_25lookback_scan_determinismE0ELb1ES3_N6thrust23THRUST_200600_302600_NS6detail15normal_iteratorINS9_10device_ptrIiEEEENSB_INSC_IjEEEENSB_INSC_IfEEEEiNS9_4plusIvEENS9_8equal_toIvEEiEE10hipError_tPvRmT2_T3_T4_T5_mT6_T7_P12ihipStream_tbENKUlT_T0_E_clISt17integral_constantIbLb1EES13_EEDaSY_SZ_EUlSY_E_NS1_11comp_targetILNS1_3genE4ELNS1_11target_archE910ELNS1_3gpuE8ELNS1_3repE0EEENS1_30default_config_static_selectorELNS0_4arch9wavefront6targetE1EEEvT1_
	.globl	_ZN7rocprim17ROCPRIM_400000_NS6detail17trampoline_kernelINS0_14default_configENS1_27scan_by_key_config_selectorIiiEEZZNS1_16scan_by_key_implILNS1_25lookback_scan_determinismE0ELb1ES3_N6thrust23THRUST_200600_302600_NS6detail15normal_iteratorINS9_10device_ptrIiEEEENSB_INSC_IjEEEENSB_INSC_IfEEEEiNS9_4plusIvEENS9_8equal_toIvEEiEE10hipError_tPvRmT2_T3_T4_T5_mT6_T7_P12ihipStream_tbENKUlT_T0_E_clISt17integral_constantIbLb1EES13_EEDaSY_SZ_EUlSY_E_NS1_11comp_targetILNS1_3genE4ELNS1_11target_archE910ELNS1_3gpuE8ELNS1_3repE0EEENS1_30default_config_static_selectorELNS0_4arch9wavefront6targetE1EEEvT1_
	.p2align	8
	.type	_ZN7rocprim17ROCPRIM_400000_NS6detail17trampoline_kernelINS0_14default_configENS1_27scan_by_key_config_selectorIiiEEZZNS1_16scan_by_key_implILNS1_25lookback_scan_determinismE0ELb1ES3_N6thrust23THRUST_200600_302600_NS6detail15normal_iteratorINS9_10device_ptrIiEEEENSB_INSC_IjEEEENSB_INSC_IfEEEEiNS9_4plusIvEENS9_8equal_toIvEEiEE10hipError_tPvRmT2_T3_T4_T5_mT6_T7_P12ihipStream_tbENKUlT_T0_E_clISt17integral_constantIbLb1EES13_EEDaSY_SZ_EUlSY_E_NS1_11comp_targetILNS1_3genE4ELNS1_11target_archE910ELNS1_3gpuE8ELNS1_3repE0EEENS1_30default_config_static_selectorELNS0_4arch9wavefront6targetE1EEEvT1_,@function
_ZN7rocprim17ROCPRIM_400000_NS6detail17trampoline_kernelINS0_14default_configENS1_27scan_by_key_config_selectorIiiEEZZNS1_16scan_by_key_implILNS1_25lookback_scan_determinismE0ELb1ES3_N6thrust23THRUST_200600_302600_NS6detail15normal_iteratorINS9_10device_ptrIiEEEENSB_INSC_IjEEEENSB_INSC_IfEEEEiNS9_4plusIvEENS9_8equal_toIvEEiEE10hipError_tPvRmT2_T3_T4_T5_mT6_T7_P12ihipStream_tbENKUlT_T0_E_clISt17integral_constantIbLb1EES13_EEDaSY_SZ_EUlSY_E_NS1_11comp_targetILNS1_3genE4ELNS1_11target_archE910ELNS1_3gpuE8ELNS1_3repE0EEENS1_30default_config_static_selectorELNS0_4arch9wavefront6targetE1EEEvT1_: ; @_ZN7rocprim17ROCPRIM_400000_NS6detail17trampoline_kernelINS0_14default_configENS1_27scan_by_key_config_selectorIiiEEZZNS1_16scan_by_key_implILNS1_25lookback_scan_determinismE0ELb1ES3_N6thrust23THRUST_200600_302600_NS6detail15normal_iteratorINS9_10device_ptrIiEEEENSB_INSC_IjEEEENSB_INSC_IfEEEEiNS9_4plusIvEENS9_8equal_toIvEEiEE10hipError_tPvRmT2_T3_T4_T5_mT6_T7_P12ihipStream_tbENKUlT_T0_E_clISt17integral_constantIbLb1EES13_EEDaSY_SZ_EUlSY_E_NS1_11comp_targetILNS1_3genE4ELNS1_11target_archE910ELNS1_3gpuE8ELNS1_3repE0EEENS1_30default_config_static_selectorELNS0_4arch9wavefront6targetE1EEEvT1_
; %bb.0:
	.section	.rodata,"a",@progbits
	.p2align	6, 0x0
	.amdhsa_kernel _ZN7rocprim17ROCPRIM_400000_NS6detail17trampoline_kernelINS0_14default_configENS1_27scan_by_key_config_selectorIiiEEZZNS1_16scan_by_key_implILNS1_25lookback_scan_determinismE0ELb1ES3_N6thrust23THRUST_200600_302600_NS6detail15normal_iteratorINS9_10device_ptrIiEEEENSB_INSC_IjEEEENSB_INSC_IfEEEEiNS9_4plusIvEENS9_8equal_toIvEEiEE10hipError_tPvRmT2_T3_T4_T5_mT6_T7_P12ihipStream_tbENKUlT_T0_E_clISt17integral_constantIbLb1EES13_EEDaSY_SZ_EUlSY_E_NS1_11comp_targetILNS1_3genE4ELNS1_11target_archE910ELNS1_3gpuE8ELNS1_3repE0EEENS1_30default_config_static_selectorELNS0_4arch9wavefront6targetE1EEEvT1_
		.amdhsa_group_segment_fixed_size 0
		.amdhsa_private_segment_fixed_size 0
		.amdhsa_kernarg_size 112
		.amdhsa_user_sgpr_count 2
		.amdhsa_user_sgpr_dispatch_ptr 0
		.amdhsa_user_sgpr_queue_ptr 0
		.amdhsa_user_sgpr_kernarg_segment_ptr 1
		.amdhsa_user_sgpr_dispatch_id 0
		.amdhsa_user_sgpr_kernarg_preload_length 0
		.amdhsa_user_sgpr_kernarg_preload_offset 0
		.amdhsa_user_sgpr_private_segment_size 0
		.amdhsa_uses_dynamic_stack 0
		.amdhsa_enable_private_segment 0
		.amdhsa_system_sgpr_workgroup_id_x 1
		.amdhsa_system_sgpr_workgroup_id_y 0
		.amdhsa_system_sgpr_workgroup_id_z 0
		.amdhsa_system_sgpr_workgroup_info 0
		.amdhsa_system_vgpr_workitem_id 0
		.amdhsa_next_free_vgpr 1
		.amdhsa_next_free_sgpr 0
		.amdhsa_accum_offset 4
		.amdhsa_reserve_vcc 0
		.amdhsa_float_round_mode_32 0
		.amdhsa_float_round_mode_16_64 0
		.amdhsa_float_denorm_mode_32 3
		.amdhsa_float_denorm_mode_16_64 3
		.amdhsa_dx10_clamp 1
		.amdhsa_ieee_mode 1
		.amdhsa_fp16_overflow 0
		.amdhsa_tg_split 0
		.amdhsa_exception_fp_ieee_invalid_op 0
		.amdhsa_exception_fp_denorm_src 0
		.amdhsa_exception_fp_ieee_div_zero 0
		.amdhsa_exception_fp_ieee_overflow 0
		.amdhsa_exception_fp_ieee_underflow 0
		.amdhsa_exception_fp_ieee_inexact 0
		.amdhsa_exception_int_div_zero 0
	.end_amdhsa_kernel
	.section	.text._ZN7rocprim17ROCPRIM_400000_NS6detail17trampoline_kernelINS0_14default_configENS1_27scan_by_key_config_selectorIiiEEZZNS1_16scan_by_key_implILNS1_25lookback_scan_determinismE0ELb1ES3_N6thrust23THRUST_200600_302600_NS6detail15normal_iteratorINS9_10device_ptrIiEEEENSB_INSC_IjEEEENSB_INSC_IfEEEEiNS9_4plusIvEENS9_8equal_toIvEEiEE10hipError_tPvRmT2_T3_T4_T5_mT6_T7_P12ihipStream_tbENKUlT_T0_E_clISt17integral_constantIbLb1EES13_EEDaSY_SZ_EUlSY_E_NS1_11comp_targetILNS1_3genE4ELNS1_11target_archE910ELNS1_3gpuE8ELNS1_3repE0EEENS1_30default_config_static_selectorELNS0_4arch9wavefront6targetE1EEEvT1_,"axG",@progbits,_ZN7rocprim17ROCPRIM_400000_NS6detail17trampoline_kernelINS0_14default_configENS1_27scan_by_key_config_selectorIiiEEZZNS1_16scan_by_key_implILNS1_25lookback_scan_determinismE0ELb1ES3_N6thrust23THRUST_200600_302600_NS6detail15normal_iteratorINS9_10device_ptrIiEEEENSB_INSC_IjEEEENSB_INSC_IfEEEEiNS9_4plusIvEENS9_8equal_toIvEEiEE10hipError_tPvRmT2_T3_T4_T5_mT6_T7_P12ihipStream_tbENKUlT_T0_E_clISt17integral_constantIbLb1EES13_EEDaSY_SZ_EUlSY_E_NS1_11comp_targetILNS1_3genE4ELNS1_11target_archE910ELNS1_3gpuE8ELNS1_3repE0EEENS1_30default_config_static_selectorELNS0_4arch9wavefront6targetE1EEEvT1_,comdat
.Lfunc_end1728:
	.size	_ZN7rocprim17ROCPRIM_400000_NS6detail17trampoline_kernelINS0_14default_configENS1_27scan_by_key_config_selectorIiiEEZZNS1_16scan_by_key_implILNS1_25lookback_scan_determinismE0ELb1ES3_N6thrust23THRUST_200600_302600_NS6detail15normal_iteratorINS9_10device_ptrIiEEEENSB_INSC_IjEEEENSB_INSC_IfEEEEiNS9_4plusIvEENS9_8equal_toIvEEiEE10hipError_tPvRmT2_T3_T4_T5_mT6_T7_P12ihipStream_tbENKUlT_T0_E_clISt17integral_constantIbLb1EES13_EEDaSY_SZ_EUlSY_E_NS1_11comp_targetILNS1_3genE4ELNS1_11target_archE910ELNS1_3gpuE8ELNS1_3repE0EEENS1_30default_config_static_selectorELNS0_4arch9wavefront6targetE1EEEvT1_, .Lfunc_end1728-_ZN7rocprim17ROCPRIM_400000_NS6detail17trampoline_kernelINS0_14default_configENS1_27scan_by_key_config_selectorIiiEEZZNS1_16scan_by_key_implILNS1_25lookback_scan_determinismE0ELb1ES3_N6thrust23THRUST_200600_302600_NS6detail15normal_iteratorINS9_10device_ptrIiEEEENSB_INSC_IjEEEENSB_INSC_IfEEEEiNS9_4plusIvEENS9_8equal_toIvEEiEE10hipError_tPvRmT2_T3_T4_T5_mT6_T7_P12ihipStream_tbENKUlT_T0_E_clISt17integral_constantIbLb1EES13_EEDaSY_SZ_EUlSY_E_NS1_11comp_targetILNS1_3genE4ELNS1_11target_archE910ELNS1_3gpuE8ELNS1_3repE0EEENS1_30default_config_static_selectorELNS0_4arch9wavefront6targetE1EEEvT1_
                                        ; -- End function
	.section	.AMDGPU.csdata,"",@progbits
; Kernel info:
; codeLenInByte = 0
; NumSgprs: 6
; NumVgprs: 0
; NumAgprs: 0
; TotalNumVgprs: 0
; ScratchSize: 0
; MemoryBound: 0
; FloatMode: 240
; IeeeMode: 1
; LDSByteSize: 0 bytes/workgroup (compile time only)
; SGPRBlocks: 0
; VGPRBlocks: 0
; NumSGPRsForWavesPerEU: 6
; NumVGPRsForWavesPerEU: 1
; AccumOffset: 4
; Occupancy: 8
; WaveLimiterHint : 0
; COMPUTE_PGM_RSRC2:SCRATCH_EN: 0
; COMPUTE_PGM_RSRC2:USER_SGPR: 2
; COMPUTE_PGM_RSRC2:TRAP_HANDLER: 0
; COMPUTE_PGM_RSRC2:TGID_X_EN: 1
; COMPUTE_PGM_RSRC2:TGID_Y_EN: 0
; COMPUTE_PGM_RSRC2:TGID_Z_EN: 0
; COMPUTE_PGM_RSRC2:TIDIG_COMP_CNT: 0
; COMPUTE_PGM_RSRC3_GFX90A:ACCUM_OFFSET: 0
; COMPUTE_PGM_RSRC3_GFX90A:TG_SPLIT: 0
	.section	.text._ZN7rocprim17ROCPRIM_400000_NS6detail17trampoline_kernelINS0_14default_configENS1_27scan_by_key_config_selectorIiiEEZZNS1_16scan_by_key_implILNS1_25lookback_scan_determinismE0ELb1ES3_N6thrust23THRUST_200600_302600_NS6detail15normal_iteratorINS9_10device_ptrIiEEEENSB_INSC_IjEEEENSB_INSC_IfEEEEiNS9_4plusIvEENS9_8equal_toIvEEiEE10hipError_tPvRmT2_T3_T4_T5_mT6_T7_P12ihipStream_tbENKUlT_T0_E_clISt17integral_constantIbLb1EES13_EEDaSY_SZ_EUlSY_E_NS1_11comp_targetILNS1_3genE3ELNS1_11target_archE908ELNS1_3gpuE7ELNS1_3repE0EEENS1_30default_config_static_selectorELNS0_4arch9wavefront6targetE1EEEvT1_,"axG",@progbits,_ZN7rocprim17ROCPRIM_400000_NS6detail17trampoline_kernelINS0_14default_configENS1_27scan_by_key_config_selectorIiiEEZZNS1_16scan_by_key_implILNS1_25lookback_scan_determinismE0ELb1ES3_N6thrust23THRUST_200600_302600_NS6detail15normal_iteratorINS9_10device_ptrIiEEEENSB_INSC_IjEEEENSB_INSC_IfEEEEiNS9_4plusIvEENS9_8equal_toIvEEiEE10hipError_tPvRmT2_T3_T4_T5_mT6_T7_P12ihipStream_tbENKUlT_T0_E_clISt17integral_constantIbLb1EES13_EEDaSY_SZ_EUlSY_E_NS1_11comp_targetILNS1_3genE3ELNS1_11target_archE908ELNS1_3gpuE7ELNS1_3repE0EEENS1_30default_config_static_selectorELNS0_4arch9wavefront6targetE1EEEvT1_,comdat
	.protected	_ZN7rocprim17ROCPRIM_400000_NS6detail17trampoline_kernelINS0_14default_configENS1_27scan_by_key_config_selectorIiiEEZZNS1_16scan_by_key_implILNS1_25lookback_scan_determinismE0ELb1ES3_N6thrust23THRUST_200600_302600_NS6detail15normal_iteratorINS9_10device_ptrIiEEEENSB_INSC_IjEEEENSB_INSC_IfEEEEiNS9_4plusIvEENS9_8equal_toIvEEiEE10hipError_tPvRmT2_T3_T4_T5_mT6_T7_P12ihipStream_tbENKUlT_T0_E_clISt17integral_constantIbLb1EES13_EEDaSY_SZ_EUlSY_E_NS1_11comp_targetILNS1_3genE3ELNS1_11target_archE908ELNS1_3gpuE7ELNS1_3repE0EEENS1_30default_config_static_selectorELNS0_4arch9wavefront6targetE1EEEvT1_ ; -- Begin function _ZN7rocprim17ROCPRIM_400000_NS6detail17trampoline_kernelINS0_14default_configENS1_27scan_by_key_config_selectorIiiEEZZNS1_16scan_by_key_implILNS1_25lookback_scan_determinismE0ELb1ES3_N6thrust23THRUST_200600_302600_NS6detail15normal_iteratorINS9_10device_ptrIiEEEENSB_INSC_IjEEEENSB_INSC_IfEEEEiNS9_4plusIvEENS9_8equal_toIvEEiEE10hipError_tPvRmT2_T3_T4_T5_mT6_T7_P12ihipStream_tbENKUlT_T0_E_clISt17integral_constantIbLb1EES13_EEDaSY_SZ_EUlSY_E_NS1_11comp_targetILNS1_3genE3ELNS1_11target_archE908ELNS1_3gpuE7ELNS1_3repE0EEENS1_30default_config_static_selectorELNS0_4arch9wavefront6targetE1EEEvT1_
	.globl	_ZN7rocprim17ROCPRIM_400000_NS6detail17trampoline_kernelINS0_14default_configENS1_27scan_by_key_config_selectorIiiEEZZNS1_16scan_by_key_implILNS1_25lookback_scan_determinismE0ELb1ES3_N6thrust23THRUST_200600_302600_NS6detail15normal_iteratorINS9_10device_ptrIiEEEENSB_INSC_IjEEEENSB_INSC_IfEEEEiNS9_4plusIvEENS9_8equal_toIvEEiEE10hipError_tPvRmT2_T3_T4_T5_mT6_T7_P12ihipStream_tbENKUlT_T0_E_clISt17integral_constantIbLb1EES13_EEDaSY_SZ_EUlSY_E_NS1_11comp_targetILNS1_3genE3ELNS1_11target_archE908ELNS1_3gpuE7ELNS1_3repE0EEENS1_30default_config_static_selectorELNS0_4arch9wavefront6targetE1EEEvT1_
	.p2align	8
	.type	_ZN7rocprim17ROCPRIM_400000_NS6detail17trampoline_kernelINS0_14default_configENS1_27scan_by_key_config_selectorIiiEEZZNS1_16scan_by_key_implILNS1_25lookback_scan_determinismE0ELb1ES3_N6thrust23THRUST_200600_302600_NS6detail15normal_iteratorINS9_10device_ptrIiEEEENSB_INSC_IjEEEENSB_INSC_IfEEEEiNS9_4plusIvEENS9_8equal_toIvEEiEE10hipError_tPvRmT2_T3_T4_T5_mT6_T7_P12ihipStream_tbENKUlT_T0_E_clISt17integral_constantIbLb1EES13_EEDaSY_SZ_EUlSY_E_NS1_11comp_targetILNS1_3genE3ELNS1_11target_archE908ELNS1_3gpuE7ELNS1_3repE0EEENS1_30default_config_static_selectorELNS0_4arch9wavefront6targetE1EEEvT1_,@function
_ZN7rocprim17ROCPRIM_400000_NS6detail17trampoline_kernelINS0_14default_configENS1_27scan_by_key_config_selectorIiiEEZZNS1_16scan_by_key_implILNS1_25lookback_scan_determinismE0ELb1ES3_N6thrust23THRUST_200600_302600_NS6detail15normal_iteratorINS9_10device_ptrIiEEEENSB_INSC_IjEEEENSB_INSC_IfEEEEiNS9_4plusIvEENS9_8equal_toIvEEiEE10hipError_tPvRmT2_T3_T4_T5_mT6_T7_P12ihipStream_tbENKUlT_T0_E_clISt17integral_constantIbLb1EES13_EEDaSY_SZ_EUlSY_E_NS1_11comp_targetILNS1_3genE3ELNS1_11target_archE908ELNS1_3gpuE7ELNS1_3repE0EEENS1_30default_config_static_selectorELNS0_4arch9wavefront6targetE1EEEvT1_: ; @_ZN7rocprim17ROCPRIM_400000_NS6detail17trampoline_kernelINS0_14default_configENS1_27scan_by_key_config_selectorIiiEEZZNS1_16scan_by_key_implILNS1_25lookback_scan_determinismE0ELb1ES3_N6thrust23THRUST_200600_302600_NS6detail15normal_iteratorINS9_10device_ptrIiEEEENSB_INSC_IjEEEENSB_INSC_IfEEEEiNS9_4plusIvEENS9_8equal_toIvEEiEE10hipError_tPvRmT2_T3_T4_T5_mT6_T7_P12ihipStream_tbENKUlT_T0_E_clISt17integral_constantIbLb1EES13_EEDaSY_SZ_EUlSY_E_NS1_11comp_targetILNS1_3genE3ELNS1_11target_archE908ELNS1_3gpuE7ELNS1_3repE0EEENS1_30default_config_static_selectorELNS0_4arch9wavefront6targetE1EEEvT1_
; %bb.0:
	.section	.rodata,"a",@progbits
	.p2align	6, 0x0
	.amdhsa_kernel _ZN7rocprim17ROCPRIM_400000_NS6detail17trampoline_kernelINS0_14default_configENS1_27scan_by_key_config_selectorIiiEEZZNS1_16scan_by_key_implILNS1_25lookback_scan_determinismE0ELb1ES3_N6thrust23THRUST_200600_302600_NS6detail15normal_iteratorINS9_10device_ptrIiEEEENSB_INSC_IjEEEENSB_INSC_IfEEEEiNS9_4plusIvEENS9_8equal_toIvEEiEE10hipError_tPvRmT2_T3_T4_T5_mT6_T7_P12ihipStream_tbENKUlT_T0_E_clISt17integral_constantIbLb1EES13_EEDaSY_SZ_EUlSY_E_NS1_11comp_targetILNS1_3genE3ELNS1_11target_archE908ELNS1_3gpuE7ELNS1_3repE0EEENS1_30default_config_static_selectorELNS0_4arch9wavefront6targetE1EEEvT1_
		.amdhsa_group_segment_fixed_size 0
		.amdhsa_private_segment_fixed_size 0
		.amdhsa_kernarg_size 112
		.amdhsa_user_sgpr_count 2
		.amdhsa_user_sgpr_dispatch_ptr 0
		.amdhsa_user_sgpr_queue_ptr 0
		.amdhsa_user_sgpr_kernarg_segment_ptr 1
		.amdhsa_user_sgpr_dispatch_id 0
		.amdhsa_user_sgpr_kernarg_preload_length 0
		.amdhsa_user_sgpr_kernarg_preload_offset 0
		.amdhsa_user_sgpr_private_segment_size 0
		.amdhsa_uses_dynamic_stack 0
		.amdhsa_enable_private_segment 0
		.amdhsa_system_sgpr_workgroup_id_x 1
		.amdhsa_system_sgpr_workgroup_id_y 0
		.amdhsa_system_sgpr_workgroup_id_z 0
		.amdhsa_system_sgpr_workgroup_info 0
		.amdhsa_system_vgpr_workitem_id 0
		.amdhsa_next_free_vgpr 1
		.amdhsa_next_free_sgpr 0
		.amdhsa_accum_offset 4
		.amdhsa_reserve_vcc 0
		.amdhsa_float_round_mode_32 0
		.amdhsa_float_round_mode_16_64 0
		.amdhsa_float_denorm_mode_32 3
		.amdhsa_float_denorm_mode_16_64 3
		.amdhsa_dx10_clamp 1
		.amdhsa_ieee_mode 1
		.amdhsa_fp16_overflow 0
		.amdhsa_tg_split 0
		.amdhsa_exception_fp_ieee_invalid_op 0
		.amdhsa_exception_fp_denorm_src 0
		.amdhsa_exception_fp_ieee_div_zero 0
		.amdhsa_exception_fp_ieee_overflow 0
		.amdhsa_exception_fp_ieee_underflow 0
		.amdhsa_exception_fp_ieee_inexact 0
		.amdhsa_exception_int_div_zero 0
	.end_amdhsa_kernel
	.section	.text._ZN7rocprim17ROCPRIM_400000_NS6detail17trampoline_kernelINS0_14default_configENS1_27scan_by_key_config_selectorIiiEEZZNS1_16scan_by_key_implILNS1_25lookback_scan_determinismE0ELb1ES3_N6thrust23THRUST_200600_302600_NS6detail15normal_iteratorINS9_10device_ptrIiEEEENSB_INSC_IjEEEENSB_INSC_IfEEEEiNS9_4plusIvEENS9_8equal_toIvEEiEE10hipError_tPvRmT2_T3_T4_T5_mT6_T7_P12ihipStream_tbENKUlT_T0_E_clISt17integral_constantIbLb1EES13_EEDaSY_SZ_EUlSY_E_NS1_11comp_targetILNS1_3genE3ELNS1_11target_archE908ELNS1_3gpuE7ELNS1_3repE0EEENS1_30default_config_static_selectorELNS0_4arch9wavefront6targetE1EEEvT1_,"axG",@progbits,_ZN7rocprim17ROCPRIM_400000_NS6detail17trampoline_kernelINS0_14default_configENS1_27scan_by_key_config_selectorIiiEEZZNS1_16scan_by_key_implILNS1_25lookback_scan_determinismE0ELb1ES3_N6thrust23THRUST_200600_302600_NS6detail15normal_iteratorINS9_10device_ptrIiEEEENSB_INSC_IjEEEENSB_INSC_IfEEEEiNS9_4plusIvEENS9_8equal_toIvEEiEE10hipError_tPvRmT2_T3_T4_T5_mT6_T7_P12ihipStream_tbENKUlT_T0_E_clISt17integral_constantIbLb1EES13_EEDaSY_SZ_EUlSY_E_NS1_11comp_targetILNS1_3genE3ELNS1_11target_archE908ELNS1_3gpuE7ELNS1_3repE0EEENS1_30default_config_static_selectorELNS0_4arch9wavefront6targetE1EEEvT1_,comdat
.Lfunc_end1729:
	.size	_ZN7rocprim17ROCPRIM_400000_NS6detail17trampoline_kernelINS0_14default_configENS1_27scan_by_key_config_selectorIiiEEZZNS1_16scan_by_key_implILNS1_25lookback_scan_determinismE0ELb1ES3_N6thrust23THRUST_200600_302600_NS6detail15normal_iteratorINS9_10device_ptrIiEEEENSB_INSC_IjEEEENSB_INSC_IfEEEEiNS9_4plusIvEENS9_8equal_toIvEEiEE10hipError_tPvRmT2_T3_T4_T5_mT6_T7_P12ihipStream_tbENKUlT_T0_E_clISt17integral_constantIbLb1EES13_EEDaSY_SZ_EUlSY_E_NS1_11comp_targetILNS1_3genE3ELNS1_11target_archE908ELNS1_3gpuE7ELNS1_3repE0EEENS1_30default_config_static_selectorELNS0_4arch9wavefront6targetE1EEEvT1_, .Lfunc_end1729-_ZN7rocprim17ROCPRIM_400000_NS6detail17trampoline_kernelINS0_14default_configENS1_27scan_by_key_config_selectorIiiEEZZNS1_16scan_by_key_implILNS1_25lookback_scan_determinismE0ELb1ES3_N6thrust23THRUST_200600_302600_NS6detail15normal_iteratorINS9_10device_ptrIiEEEENSB_INSC_IjEEEENSB_INSC_IfEEEEiNS9_4plusIvEENS9_8equal_toIvEEiEE10hipError_tPvRmT2_T3_T4_T5_mT6_T7_P12ihipStream_tbENKUlT_T0_E_clISt17integral_constantIbLb1EES13_EEDaSY_SZ_EUlSY_E_NS1_11comp_targetILNS1_3genE3ELNS1_11target_archE908ELNS1_3gpuE7ELNS1_3repE0EEENS1_30default_config_static_selectorELNS0_4arch9wavefront6targetE1EEEvT1_
                                        ; -- End function
	.section	.AMDGPU.csdata,"",@progbits
; Kernel info:
; codeLenInByte = 0
; NumSgprs: 6
; NumVgprs: 0
; NumAgprs: 0
; TotalNumVgprs: 0
; ScratchSize: 0
; MemoryBound: 0
; FloatMode: 240
; IeeeMode: 1
; LDSByteSize: 0 bytes/workgroup (compile time only)
; SGPRBlocks: 0
; VGPRBlocks: 0
; NumSGPRsForWavesPerEU: 6
; NumVGPRsForWavesPerEU: 1
; AccumOffset: 4
; Occupancy: 8
; WaveLimiterHint : 0
; COMPUTE_PGM_RSRC2:SCRATCH_EN: 0
; COMPUTE_PGM_RSRC2:USER_SGPR: 2
; COMPUTE_PGM_RSRC2:TRAP_HANDLER: 0
; COMPUTE_PGM_RSRC2:TGID_X_EN: 1
; COMPUTE_PGM_RSRC2:TGID_Y_EN: 0
; COMPUTE_PGM_RSRC2:TGID_Z_EN: 0
; COMPUTE_PGM_RSRC2:TIDIG_COMP_CNT: 0
; COMPUTE_PGM_RSRC3_GFX90A:ACCUM_OFFSET: 0
; COMPUTE_PGM_RSRC3_GFX90A:TG_SPLIT: 0
	.section	.text._ZN7rocprim17ROCPRIM_400000_NS6detail17trampoline_kernelINS0_14default_configENS1_27scan_by_key_config_selectorIiiEEZZNS1_16scan_by_key_implILNS1_25lookback_scan_determinismE0ELb1ES3_N6thrust23THRUST_200600_302600_NS6detail15normal_iteratorINS9_10device_ptrIiEEEENSB_INSC_IjEEEENSB_INSC_IfEEEEiNS9_4plusIvEENS9_8equal_toIvEEiEE10hipError_tPvRmT2_T3_T4_T5_mT6_T7_P12ihipStream_tbENKUlT_T0_E_clISt17integral_constantIbLb1EES13_EEDaSY_SZ_EUlSY_E_NS1_11comp_targetILNS1_3genE2ELNS1_11target_archE906ELNS1_3gpuE6ELNS1_3repE0EEENS1_30default_config_static_selectorELNS0_4arch9wavefront6targetE1EEEvT1_,"axG",@progbits,_ZN7rocprim17ROCPRIM_400000_NS6detail17trampoline_kernelINS0_14default_configENS1_27scan_by_key_config_selectorIiiEEZZNS1_16scan_by_key_implILNS1_25lookback_scan_determinismE0ELb1ES3_N6thrust23THRUST_200600_302600_NS6detail15normal_iteratorINS9_10device_ptrIiEEEENSB_INSC_IjEEEENSB_INSC_IfEEEEiNS9_4plusIvEENS9_8equal_toIvEEiEE10hipError_tPvRmT2_T3_T4_T5_mT6_T7_P12ihipStream_tbENKUlT_T0_E_clISt17integral_constantIbLb1EES13_EEDaSY_SZ_EUlSY_E_NS1_11comp_targetILNS1_3genE2ELNS1_11target_archE906ELNS1_3gpuE6ELNS1_3repE0EEENS1_30default_config_static_selectorELNS0_4arch9wavefront6targetE1EEEvT1_,comdat
	.protected	_ZN7rocprim17ROCPRIM_400000_NS6detail17trampoline_kernelINS0_14default_configENS1_27scan_by_key_config_selectorIiiEEZZNS1_16scan_by_key_implILNS1_25lookback_scan_determinismE0ELb1ES3_N6thrust23THRUST_200600_302600_NS6detail15normal_iteratorINS9_10device_ptrIiEEEENSB_INSC_IjEEEENSB_INSC_IfEEEEiNS9_4plusIvEENS9_8equal_toIvEEiEE10hipError_tPvRmT2_T3_T4_T5_mT6_T7_P12ihipStream_tbENKUlT_T0_E_clISt17integral_constantIbLb1EES13_EEDaSY_SZ_EUlSY_E_NS1_11comp_targetILNS1_3genE2ELNS1_11target_archE906ELNS1_3gpuE6ELNS1_3repE0EEENS1_30default_config_static_selectorELNS0_4arch9wavefront6targetE1EEEvT1_ ; -- Begin function _ZN7rocprim17ROCPRIM_400000_NS6detail17trampoline_kernelINS0_14default_configENS1_27scan_by_key_config_selectorIiiEEZZNS1_16scan_by_key_implILNS1_25lookback_scan_determinismE0ELb1ES3_N6thrust23THRUST_200600_302600_NS6detail15normal_iteratorINS9_10device_ptrIiEEEENSB_INSC_IjEEEENSB_INSC_IfEEEEiNS9_4plusIvEENS9_8equal_toIvEEiEE10hipError_tPvRmT2_T3_T4_T5_mT6_T7_P12ihipStream_tbENKUlT_T0_E_clISt17integral_constantIbLb1EES13_EEDaSY_SZ_EUlSY_E_NS1_11comp_targetILNS1_3genE2ELNS1_11target_archE906ELNS1_3gpuE6ELNS1_3repE0EEENS1_30default_config_static_selectorELNS0_4arch9wavefront6targetE1EEEvT1_
	.globl	_ZN7rocprim17ROCPRIM_400000_NS6detail17trampoline_kernelINS0_14default_configENS1_27scan_by_key_config_selectorIiiEEZZNS1_16scan_by_key_implILNS1_25lookback_scan_determinismE0ELb1ES3_N6thrust23THRUST_200600_302600_NS6detail15normal_iteratorINS9_10device_ptrIiEEEENSB_INSC_IjEEEENSB_INSC_IfEEEEiNS9_4plusIvEENS9_8equal_toIvEEiEE10hipError_tPvRmT2_T3_T4_T5_mT6_T7_P12ihipStream_tbENKUlT_T0_E_clISt17integral_constantIbLb1EES13_EEDaSY_SZ_EUlSY_E_NS1_11comp_targetILNS1_3genE2ELNS1_11target_archE906ELNS1_3gpuE6ELNS1_3repE0EEENS1_30default_config_static_selectorELNS0_4arch9wavefront6targetE1EEEvT1_
	.p2align	8
	.type	_ZN7rocprim17ROCPRIM_400000_NS6detail17trampoline_kernelINS0_14default_configENS1_27scan_by_key_config_selectorIiiEEZZNS1_16scan_by_key_implILNS1_25lookback_scan_determinismE0ELb1ES3_N6thrust23THRUST_200600_302600_NS6detail15normal_iteratorINS9_10device_ptrIiEEEENSB_INSC_IjEEEENSB_INSC_IfEEEEiNS9_4plusIvEENS9_8equal_toIvEEiEE10hipError_tPvRmT2_T3_T4_T5_mT6_T7_P12ihipStream_tbENKUlT_T0_E_clISt17integral_constantIbLb1EES13_EEDaSY_SZ_EUlSY_E_NS1_11comp_targetILNS1_3genE2ELNS1_11target_archE906ELNS1_3gpuE6ELNS1_3repE0EEENS1_30default_config_static_selectorELNS0_4arch9wavefront6targetE1EEEvT1_,@function
_ZN7rocprim17ROCPRIM_400000_NS6detail17trampoline_kernelINS0_14default_configENS1_27scan_by_key_config_selectorIiiEEZZNS1_16scan_by_key_implILNS1_25lookback_scan_determinismE0ELb1ES3_N6thrust23THRUST_200600_302600_NS6detail15normal_iteratorINS9_10device_ptrIiEEEENSB_INSC_IjEEEENSB_INSC_IfEEEEiNS9_4plusIvEENS9_8equal_toIvEEiEE10hipError_tPvRmT2_T3_T4_T5_mT6_T7_P12ihipStream_tbENKUlT_T0_E_clISt17integral_constantIbLb1EES13_EEDaSY_SZ_EUlSY_E_NS1_11comp_targetILNS1_3genE2ELNS1_11target_archE906ELNS1_3gpuE6ELNS1_3repE0EEENS1_30default_config_static_selectorELNS0_4arch9wavefront6targetE1EEEvT1_: ; @_ZN7rocprim17ROCPRIM_400000_NS6detail17trampoline_kernelINS0_14default_configENS1_27scan_by_key_config_selectorIiiEEZZNS1_16scan_by_key_implILNS1_25lookback_scan_determinismE0ELb1ES3_N6thrust23THRUST_200600_302600_NS6detail15normal_iteratorINS9_10device_ptrIiEEEENSB_INSC_IjEEEENSB_INSC_IfEEEEiNS9_4plusIvEENS9_8equal_toIvEEiEE10hipError_tPvRmT2_T3_T4_T5_mT6_T7_P12ihipStream_tbENKUlT_T0_E_clISt17integral_constantIbLb1EES13_EEDaSY_SZ_EUlSY_E_NS1_11comp_targetILNS1_3genE2ELNS1_11target_archE906ELNS1_3gpuE6ELNS1_3repE0EEENS1_30default_config_static_selectorELNS0_4arch9wavefront6targetE1EEEvT1_
; %bb.0:
	.section	.rodata,"a",@progbits
	.p2align	6, 0x0
	.amdhsa_kernel _ZN7rocprim17ROCPRIM_400000_NS6detail17trampoline_kernelINS0_14default_configENS1_27scan_by_key_config_selectorIiiEEZZNS1_16scan_by_key_implILNS1_25lookback_scan_determinismE0ELb1ES3_N6thrust23THRUST_200600_302600_NS6detail15normal_iteratorINS9_10device_ptrIiEEEENSB_INSC_IjEEEENSB_INSC_IfEEEEiNS9_4plusIvEENS9_8equal_toIvEEiEE10hipError_tPvRmT2_T3_T4_T5_mT6_T7_P12ihipStream_tbENKUlT_T0_E_clISt17integral_constantIbLb1EES13_EEDaSY_SZ_EUlSY_E_NS1_11comp_targetILNS1_3genE2ELNS1_11target_archE906ELNS1_3gpuE6ELNS1_3repE0EEENS1_30default_config_static_selectorELNS0_4arch9wavefront6targetE1EEEvT1_
		.amdhsa_group_segment_fixed_size 0
		.amdhsa_private_segment_fixed_size 0
		.amdhsa_kernarg_size 112
		.amdhsa_user_sgpr_count 2
		.amdhsa_user_sgpr_dispatch_ptr 0
		.amdhsa_user_sgpr_queue_ptr 0
		.amdhsa_user_sgpr_kernarg_segment_ptr 1
		.amdhsa_user_sgpr_dispatch_id 0
		.amdhsa_user_sgpr_kernarg_preload_length 0
		.amdhsa_user_sgpr_kernarg_preload_offset 0
		.amdhsa_user_sgpr_private_segment_size 0
		.amdhsa_uses_dynamic_stack 0
		.amdhsa_enable_private_segment 0
		.amdhsa_system_sgpr_workgroup_id_x 1
		.amdhsa_system_sgpr_workgroup_id_y 0
		.amdhsa_system_sgpr_workgroup_id_z 0
		.amdhsa_system_sgpr_workgroup_info 0
		.amdhsa_system_vgpr_workitem_id 0
		.amdhsa_next_free_vgpr 1
		.amdhsa_next_free_sgpr 0
		.amdhsa_accum_offset 4
		.amdhsa_reserve_vcc 0
		.amdhsa_float_round_mode_32 0
		.amdhsa_float_round_mode_16_64 0
		.amdhsa_float_denorm_mode_32 3
		.amdhsa_float_denorm_mode_16_64 3
		.amdhsa_dx10_clamp 1
		.amdhsa_ieee_mode 1
		.amdhsa_fp16_overflow 0
		.amdhsa_tg_split 0
		.amdhsa_exception_fp_ieee_invalid_op 0
		.amdhsa_exception_fp_denorm_src 0
		.amdhsa_exception_fp_ieee_div_zero 0
		.amdhsa_exception_fp_ieee_overflow 0
		.amdhsa_exception_fp_ieee_underflow 0
		.amdhsa_exception_fp_ieee_inexact 0
		.amdhsa_exception_int_div_zero 0
	.end_amdhsa_kernel
	.section	.text._ZN7rocprim17ROCPRIM_400000_NS6detail17trampoline_kernelINS0_14default_configENS1_27scan_by_key_config_selectorIiiEEZZNS1_16scan_by_key_implILNS1_25lookback_scan_determinismE0ELb1ES3_N6thrust23THRUST_200600_302600_NS6detail15normal_iteratorINS9_10device_ptrIiEEEENSB_INSC_IjEEEENSB_INSC_IfEEEEiNS9_4plusIvEENS9_8equal_toIvEEiEE10hipError_tPvRmT2_T3_T4_T5_mT6_T7_P12ihipStream_tbENKUlT_T0_E_clISt17integral_constantIbLb1EES13_EEDaSY_SZ_EUlSY_E_NS1_11comp_targetILNS1_3genE2ELNS1_11target_archE906ELNS1_3gpuE6ELNS1_3repE0EEENS1_30default_config_static_selectorELNS0_4arch9wavefront6targetE1EEEvT1_,"axG",@progbits,_ZN7rocprim17ROCPRIM_400000_NS6detail17trampoline_kernelINS0_14default_configENS1_27scan_by_key_config_selectorIiiEEZZNS1_16scan_by_key_implILNS1_25lookback_scan_determinismE0ELb1ES3_N6thrust23THRUST_200600_302600_NS6detail15normal_iteratorINS9_10device_ptrIiEEEENSB_INSC_IjEEEENSB_INSC_IfEEEEiNS9_4plusIvEENS9_8equal_toIvEEiEE10hipError_tPvRmT2_T3_T4_T5_mT6_T7_P12ihipStream_tbENKUlT_T0_E_clISt17integral_constantIbLb1EES13_EEDaSY_SZ_EUlSY_E_NS1_11comp_targetILNS1_3genE2ELNS1_11target_archE906ELNS1_3gpuE6ELNS1_3repE0EEENS1_30default_config_static_selectorELNS0_4arch9wavefront6targetE1EEEvT1_,comdat
.Lfunc_end1730:
	.size	_ZN7rocprim17ROCPRIM_400000_NS6detail17trampoline_kernelINS0_14default_configENS1_27scan_by_key_config_selectorIiiEEZZNS1_16scan_by_key_implILNS1_25lookback_scan_determinismE0ELb1ES3_N6thrust23THRUST_200600_302600_NS6detail15normal_iteratorINS9_10device_ptrIiEEEENSB_INSC_IjEEEENSB_INSC_IfEEEEiNS9_4plusIvEENS9_8equal_toIvEEiEE10hipError_tPvRmT2_T3_T4_T5_mT6_T7_P12ihipStream_tbENKUlT_T0_E_clISt17integral_constantIbLb1EES13_EEDaSY_SZ_EUlSY_E_NS1_11comp_targetILNS1_3genE2ELNS1_11target_archE906ELNS1_3gpuE6ELNS1_3repE0EEENS1_30default_config_static_selectorELNS0_4arch9wavefront6targetE1EEEvT1_, .Lfunc_end1730-_ZN7rocprim17ROCPRIM_400000_NS6detail17trampoline_kernelINS0_14default_configENS1_27scan_by_key_config_selectorIiiEEZZNS1_16scan_by_key_implILNS1_25lookback_scan_determinismE0ELb1ES3_N6thrust23THRUST_200600_302600_NS6detail15normal_iteratorINS9_10device_ptrIiEEEENSB_INSC_IjEEEENSB_INSC_IfEEEEiNS9_4plusIvEENS9_8equal_toIvEEiEE10hipError_tPvRmT2_T3_T4_T5_mT6_T7_P12ihipStream_tbENKUlT_T0_E_clISt17integral_constantIbLb1EES13_EEDaSY_SZ_EUlSY_E_NS1_11comp_targetILNS1_3genE2ELNS1_11target_archE906ELNS1_3gpuE6ELNS1_3repE0EEENS1_30default_config_static_selectorELNS0_4arch9wavefront6targetE1EEEvT1_
                                        ; -- End function
	.section	.AMDGPU.csdata,"",@progbits
; Kernel info:
; codeLenInByte = 0
; NumSgprs: 6
; NumVgprs: 0
; NumAgprs: 0
; TotalNumVgprs: 0
; ScratchSize: 0
; MemoryBound: 0
; FloatMode: 240
; IeeeMode: 1
; LDSByteSize: 0 bytes/workgroup (compile time only)
; SGPRBlocks: 0
; VGPRBlocks: 0
; NumSGPRsForWavesPerEU: 6
; NumVGPRsForWavesPerEU: 1
; AccumOffset: 4
; Occupancy: 8
; WaveLimiterHint : 0
; COMPUTE_PGM_RSRC2:SCRATCH_EN: 0
; COMPUTE_PGM_RSRC2:USER_SGPR: 2
; COMPUTE_PGM_RSRC2:TRAP_HANDLER: 0
; COMPUTE_PGM_RSRC2:TGID_X_EN: 1
; COMPUTE_PGM_RSRC2:TGID_Y_EN: 0
; COMPUTE_PGM_RSRC2:TGID_Z_EN: 0
; COMPUTE_PGM_RSRC2:TIDIG_COMP_CNT: 0
; COMPUTE_PGM_RSRC3_GFX90A:ACCUM_OFFSET: 0
; COMPUTE_PGM_RSRC3_GFX90A:TG_SPLIT: 0
	.section	.text._ZN7rocprim17ROCPRIM_400000_NS6detail17trampoline_kernelINS0_14default_configENS1_27scan_by_key_config_selectorIiiEEZZNS1_16scan_by_key_implILNS1_25lookback_scan_determinismE0ELb1ES3_N6thrust23THRUST_200600_302600_NS6detail15normal_iteratorINS9_10device_ptrIiEEEENSB_INSC_IjEEEENSB_INSC_IfEEEEiNS9_4plusIvEENS9_8equal_toIvEEiEE10hipError_tPvRmT2_T3_T4_T5_mT6_T7_P12ihipStream_tbENKUlT_T0_E_clISt17integral_constantIbLb1EES13_EEDaSY_SZ_EUlSY_E_NS1_11comp_targetILNS1_3genE10ELNS1_11target_archE1200ELNS1_3gpuE4ELNS1_3repE0EEENS1_30default_config_static_selectorELNS0_4arch9wavefront6targetE1EEEvT1_,"axG",@progbits,_ZN7rocprim17ROCPRIM_400000_NS6detail17trampoline_kernelINS0_14default_configENS1_27scan_by_key_config_selectorIiiEEZZNS1_16scan_by_key_implILNS1_25lookback_scan_determinismE0ELb1ES3_N6thrust23THRUST_200600_302600_NS6detail15normal_iteratorINS9_10device_ptrIiEEEENSB_INSC_IjEEEENSB_INSC_IfEEEEiNS9_4plusIvEENS9_8equal_toIvEEiEE10hipError_tPvRmT2_T3_T4_T5_mT6_T7_P12ihipStream_tbENKUlT_T0_E_clISt17integral_constantIbLb1EES13_EEDaSY_SZ_EUlSY_E_NS1_11comp_targetILNS1_3genE10ELNS1_11target_archE1200ELNS1_3gpuE4ELNS1_3repE0EEENS1_30default_config_static_selectorELNS0_4arch9wavefront6targetE1EEEvT1_,comdat
	.protected	_ZN7rocprim17ROCPRIM_400000_NS6detail17trampoline_kernelINS0_14default_configENS1_27scan_by_key_config_selectorIiiEEZZNS1_16scan_by_key_implILNS1_25lookback_scan_determinismE0ELb1ES3_N6thrust23THRUST_200600_302600_NS6detail15normal_iteratorINS9_10device_ptrIiEEEENSB_INSC_IjEEEENSB_INSC_IfEEEEiNS9_4plusIvEENS9_8equal_toIvEEiEE10hipError_tPvRmT2_T3_T4_T5_mT6_T7_P12ihipStream_tbENKUlT_T0_E_clISt17integral_constantIbLb1EES13_EEDaSY_SZ_EUlSY_E_NS1_11comp_targetILNS1_3genE10ELNS1_11target_archE1200ELNS1_3gpuE4ELNS1_3repE0EEENS1_30default_config_static_selectorELNS0_4arch9wavefront6targetE1EEEvT1_ ; -- Begin function _ZN7rocprim17ROCPRIM_400000_NS6detail17trampoline_kernelINS0_14default_configENS1_27scan_by_key_config_selectorIiiEEZZNS1_16scan_by_key_implILNS1_25lookback_scan_determinismE0ELb1ES3_N6thrust23THRUST_200600_302600_NS6detail15normal_iteratorINS9_10device_ptrIiEEEENSB_INSC_IjEEEENSB_INSC_IfEEEEiNS9_4plusIvEENS9_8equal_toIvEEiEE10hipError_tPvRmT2_T3_T4_T5_mT6_T7_P12ihipStream_tbENKUlT_T0_E_clISt17integral_constantIbLb1EES13_EEDaSY_SZ_EUlSY_E_NS1_11comp_targetILNS1_3genE10ELNS1_11target_archE1200ELNS1_3gpuE4ELNS1_3repE0EEENS1_30default_config_static_selectorELNS0_4arch9wavefront6targetE1EEEvT1_
	.globl	_ZN7rocprim17ROCPRIM_400000_NS6detail17trampoline_kernelINS0_14default_configENS1_27scan_by_key_config_selectorIiiEEZZNS1_16scan_by_key_implILNS1_25lookback_scan_determinismE0ELb1ES3_N6thrust23THRUST_200600_302600_NS6detail15normal_iteratorINS9_10device_ptrIiEEEENSB_INSC_IjEEEENSB_INSC_IfEEEEiNS9_4plusIvEENS9_8equal_toIvEEiEE10hipError_tPvRmT2_T3_T4_T5_mT6_T7_P12ihipStream_tbENKUlT_T0_E_clISt17integral_constantIbLb1EES13_EEDaSY_SZ_EUlSY_E_NS1_11comp_targetILNS1_3genE10ELNS1_11target_archE1200ELNS1_3gpuE4ELNS1_3repE0EEENS1_30default_config_static_selectorELNS0_4arch9wavefront6targetE1EEEvT1_
	.p2align	8
	.type	_ZN7rocprim17ROCPRIM_400000_NS6detail17trampoline_kernelINS0_14default_configENS1_27scan_by_key_config_selectorIiiEEZZNS1_16scan_by_key_implILNS1_25lookback_scan_determinismE0ELb1ES3_N6thrust23THRUST_200600_302600_NS6detail15normal_iteratorINS9_10device_ptrIiEEEENSB_INSC_IjEEEENSB_INSC_IfEEEEiNS9_4plusIvEENS9_8equal_toIvEEiEE10hipError_tPvRmT2_T3_T4_T5_mT6_T7_P12ihipStream_tbENKUlT_T0_E_clISt17integral_constantIbLb1EES13_EEDaSY_SZ_EUlSY_E_NS1_11comp_targetILNS1_3genE10ELNS1_11target_archE1200ELNS1_3gpuE4ELNS1_3repE0EEENS1_30default_config_static_selectorELNS0_4arch9wavefront6targetE1EEEvT1_,@function
_ZN7rocprim17ROCPRIM_400000_NS6detail17trampoline_kernelINS0_14default_configENS1_27scan_by_key_config_selectorIiiEEZZNS1_16scan_by_key_implILNS1_25lookback_scan_determinismE0ELb1ES3_N6thrust23THRUST_200600_302600_NS6detail15normal_iteratorINS9_10device_ptrIiEEEENSB_INSC_IjEEEENSB_INSC_IfEEEEiNS9_4plusIvEENS9_8equal_toIvEEiEE10hipError_tPvRmT2_T3_T4_T5_mT6_T7_P12ihipStream_tbENKUlT_T0_E_clISt17integral_constantIbLb1EES13_EEDaSY_SZ_EUlSY_E_NS1_11comp_targetILNS1_3genE10ELNS1_11target_archE1200ELNS1_3gpuE4ELNS1_3repE0EEENS1_30default_config_static_selectorELNS0_4arch9wavefront6targetE1EEEvT1_: ; @_ZN7rocprim17ROCPRIM_400000_NS6detail17trampoline_kernelINS0_14default_configENS1_27scan_by_key_config_selectorIiiEEZZNS1_16scan_by_key_implILNS1_25lookback_scan_determinismE0ELb1ES3_N6thrust23THRUST_200600_302600_NS6detail15normal_iteratorINS9_10device_ptrIiEEEENSB_INSC_IjEEEENSB_INSC_IfEEEEiNS9_4plusIvEENS9_8equal_toIvEEiEE10hipError_tPvRmT2_T3_T4_T5_mT6_T7_P12ihipStream_tbENKUlT_T0_E_clISt17integral_constantIbLb1EES13_EEDaSY_SZ_EUlSY_E_NS1_11comp_targetILNS1_3genE10ELNS1_11target_archE1200ELNS1_3gpuE4ELNS1_3repE0EEENS1_30default_config_static_selectorELNS0_4arch9wavefront6targetE1EEEvT1_
; %bb.0:
	.section	.rodata,"a",@progbits
	.p2align	6, 0x0
	.amdhsa_kernel _ZN7rocprim17ROCPRIM_400000_NS6detail17trampoline_kernelINS0_14default_configENS1_27scan_by_key_config_selectorIiiEEZZNS1_16scan_by_key_implILNS1_25lookback_scan_determinismE0ELb1ES3_N6thrust23THRUST_200600_302600_NS6detail15normal_iteratorINS9_10device_ptrIiEEEENSB_INSC_IjEEEENSB_INSC_IfEEEEiNS9_4plusIvEENS9_8equal_toIvEEiEE10hipError_tPvRmT2_T3_T4_T5_mT6_T7_P12ihipStream_tbENKUlT_T0_E_clISt17integral_constantIbLb1EES13_EEDaSY_SZ_EUlSY_E_NS1_11comp_targetILNS1_3genE10ELNS1_11target_archE1200ELNS1_3gpuE4ELNS1_3repE0EEENS1_30default_config_static_selectorELNS0_4arch9wavefront6targetE1EEEvT1_
		.amdhsa_group_segment_fixed_size 0
		.amdhsa_private_segment_fixed_size 0
		.amdhsa_kernarg_size 112
		.amdhsa_user_sgpr_count 2
		.amdhsa_user_sgpr_dispatch_ptr 0
		.amdhsa_user_sgpr_queue_ptr 0
		.amdhsa_user_sgpr_kernarg_segment_ptr 1
		.amdhsa_user_sgpr_dispatch_id 0
		.amdhsa_user_sgpr_kernarg_preload_length 0
		.amdhsa_user_sgpr_kernarg_preload_offset 0
		.amdhsa_user_sgpr_private_segment_size 0
		.amdhsa_uses_dynamic_stack 0
		.amdhsa_enable_private_segment 0
		.amdhsa_system_sgpr_workgroup_id_x 1
		.amdhsa_system_sgpr_workgroup_id_y 0
		.amdhsa_system_sgpr_workgroup_id_z 0
		.amdhsa_system_sgpr_workgroup_info 0
		.amdhsa_system_vgpr_workitem_id 0
		.amdhsa_next_free_vgpr 1
		.amdhsa_next_free_sgpr 0
		.amdhsa_accum_offset 4
		.amdhsa_reserve_vcc 0
		.amdhsa_float_round_mode_32 0
		.amdhsa_float_round_mode_16_64 0
		.amdhsa_float_denorm_mode_32 3
		.amdhsa_float_denorm_mode_16_64 3
		.amdhsa_dx10_clamp 1
		.amdhsa_ieee_mode 1
		.amdhsa_fp16_overflow 0
		.amdhsa_tg_split 0
		.amdhsa_exception_fp_ieee_invalid_op 0
		.amdhsa_exception_fp_denorm_src 0
		.amdhsa_exception_fp_ieee_div_zero 0
		.amdhsa_exception_fp_ieee_overflow 0
		.amdhsa_exception_fp_ieee_underflow 0
		.amdhsa_exception_fp_ieee_inexact 0
		.amdhsa_exception_int_div_zero 0
	.end_amdhsa_kernel
	.section	.text._ZN7rocprim17ROCPRIM_400000_NS6detail17trampoline_kernelINS0_14default_configENS1_27scan_by_key_config_selectorIiiEEZZNS1_16scan_by_key_implILNS1_25lookback_scan_determinismE0ELb1ES3_N6thrust23THRUST_200600_302600_NS6detail15normal_iteratorINS9_10device_ptrIiEEEENSB_INSC_IjEEEENSB_INSC_IfEEEEiNS9_4plusIvEENS9_8equal_toIvEEiEE10hipError_tPvRmT2_T3_T4_T5_mT6_T7_P12ihipStream_tbENKUlT_T0_E_clISt17integral_constantIbLb1EES13_EEDaSY_SZ_EUlSY_E_NS1_11comp_targetILNS1_3genE10ELNS1_11target_archE1200ELNS1_3gpuE4ELNS1_3repE0EEENS1_30default_config_static_selectorELNS0_4arch9wavefront6targetE1EEEvT1_,"axG",@progbits,_ZN7rocprim17ROCPRIM_400000_NS6detail17trampoline_kernelINS0_14default_configENS1_27scan_by_key_config_selectorIiiEEZZNS1_16scan_by_key_implILNS1_25lookback_scan_determinismE0ELb1ES3_N6thrust23THRUST_200600_302600_NS6detail15normal_iteratorINS9_10device_ptrIiEEEENSB_INSC_IjEEEENSB_INSC_IfEEEEiNS9_4plusIvEENS9_8equal_toIvEEiEE10hipError_tPvRmT2_T3_T4_T5_mT6_T7_P12ihipStream_tbENKUlT_T0_E_clISt17integral_constantIbLb1EES13_EEDaSY_SZ_EUlSY_E_NS1_11comp_targetILNS1_3genE10ELNS1_11target_archE1200ELNS1_3gpuE4ELNS1_3repE0EEENS1_30default_config_static_selectorELNS0_4arch9wavefront6targetE1EEEvT1_,comdat
.Lfunc_end1731:
	.size	_ZN7rocprim17ROCPRIM_400000_NS6detail17trampoline_kernelINS0_14default_configENS1_27scan_by_key_config_selectorIiiEEZZNS1_16scan_by_key_implILNS1_25lookback_scan_determinismE0ELb1ES3_N6thrust23THRUST_200600_302600_NS6detail15normal_iteratorINS9_10device_ptrIiEEEENSB_INSC_IjEEEENSB_INSC_IfEEEEiNS9_4plusIvEENS9_8equal_toIvEEiEE10hipError_tPvRmT2_T3_T4_T5_mT6_T7_P12ihipStream_tbENKUlT_T0_E_clISt17integral_constantIbLb1EES13_EEDaSY_SZ_EUlSY_E_NS1_11comp_targetILNS1_3genE10ELNS1_11target_archE1200ELNS1_3gpuE4ELNS1_3repE0EEENS1_30default_config_static_selectorELNS0_4arch9wavefront6targetE1EEEvT1_, .Lfunc_end1731-_ZN7rocprim17ROCPRIM_400000_NS6detail17trampoline_kernelINS0_14default_configENS1_27scan_by_key_config_selectorIiiEEZZNS1_16scan_by_key_implILNS1_25lookback_scan_determinismE0ELb1ES3_N6thrust23THRUST_200600_302600_NS6detail15normal_iteratorINS9_10device_ptrIiEEEENSB_INSC_IjEEEENSB_INSC_IfEEEEiNS9_4plusIvEENS9_8equal_toIvEEiEE10hipError_tPvRmT2_T3_T4_T5_mT6_T7_P12ihipStream_tbENKUlT_T0_E_clISt17integral_constantIbLb1EES13_EEDaSY_SZ_EUlSY_E_NS1_11comp_targetILNS1_3genE10ELNS1_11target_archE1200ELNS1_3gpuE4ELNS1_3repE0EEENS1_30default_config_static_selectorELNS0_4arch9wavefront6targetE1EEEvT1_
                                        ; -- End function
	.section	.AMDGPU.csdata,"",@progbits
; Kernel info:
; codeLenInByte = 0
; NumSgprs: 6
; NumVgprs: 0
; NumAgprs: 0
; TotalNumVgprs: 0
; ScratchSize: 0
; MemoryBound: 0
; FloatMode: 240
; IeeeMode: 1
; LDSByteSize: 0 bytes/workgroup (compile time only)
; SGPRBlocks: 0
; VGPRBlocks: 0
; NumSGPRsForWavesPerEU: 6
; NumVGPRsForWavesPerEU: 1
; AccumOffset: 4
; Occupancy: 8
; WaveLimiterHint : 0
; COMPUTE_PGM_RSRC2:SCRATCH_EN: 0
; COMPUTE_PGM_RSRC2:USER_SGPR: 2
; COMPUTE_PGM_RSRC2:TRAP_HANDLER: 0
; COMPUTE_PGM_RSRC2:TGID_X_EN: 1
; COMPUTE_PGM_RSRC2:TGID_Y_EN: 0
; COMPUTE_PGM_RSRC2:TGID_Z_EN: 0
; COMPUTE_PGM_RSRC2:TIDIG_COMP_CNT: 0
; COMPUTE_PGM_RSRC3_GFX90A:ACCUM_OFFSET: 0
; COMPUTE_PGM_RSRC3_GFX90A:TG_SPLIT: 0
	.section	.text._ZN7rocprim17ROCPRIM_400000_NS6detail17trampoline_kernelINS0_14default_configENS1_27scan_by_key_config_selectorIiiEEZZNS1_16scan_by_key_implILNS1_25lookback_scan_determinismE0ELb1ES3_N6thrust23THRUST_200600_302600_NS6detail15normal_iteratorINS9_10device_ptrIiEEEENSB_INSC_IjEEEENSB_INSC_IfEEEEiNS9_4plusIvEENS9_8equal_toIvEEiEE10hipError_tPvRmT2_T3_T4_T5_mT6_T7_P12ihipStream_tbENKUlT_T0_E_clISt17integral_constantIbLb1EES13_EEDaSY_SZ_EUlSY_E_NS1_11comp_targetILNS1_3genE9ELNS1_11target_archE1100ELNS1_3gpuE3ELNS1_3repE0EEENS1_30default_config_static_selectorELNS0_4arch9wavefront6targetE1EEEvT1_,"axG",@progbits,_ZN7rocprim17ROCPRIM_400000_NS6detail17trampoline_kernelINS0_14default_configENS1_27scan_by_key_config_selectorIiiEEZZNS1_16scan_by_key_implILNS1_25lookback_scan_determinismE0ELb1ES3_N6thrust23THRUST_200600_302600_NS6detail15normal_iteratorINS9_10device_ptrIiEEEENSB_INSC_IjEEEENSB_INSC_IfEEEEiNS9_4plusIvEENS9_8equal_toIvEEiEE10hipError_tPvRmT2_T3_T4_T5_mT6_T7_P12ihipStream_tbENKUlT_T0_E_clISt17integral_constantIbLb1EES13_EEDaSY_SZ_EUlSY_E_NS1_11comp_targetILNS1_3genE9ELNS1_11target_archE1100ELNS1_3gpuE3ELNS1_3repE0EEENS1_30default_config_static_selectorELNS0_4arch9wavefront6targetE1EEEvT1_,comdat
	.protected	_ZN7rocprim17ROCPRIM_400000_NS6detail17trampoline_kernelINS0_14default_configENS1_27scan_by_key_config_selectorIiiEEZZNS1_16scan_by_key_implILNS1_25lookback_scan_determinismE0ELb1ES3_N6thrust23THRUST_200600_302600_NS6detail15normal_iteratorINS9_10device_ptrIiEEEENSB_INSC_IjEEEENSB_INSC_IfEEEEiNS9_4plusIvEENS9_8equal_toIvEEiEE10hipError_tPvRmT2_T3_T4_T5_mT6_T7_P12ihipStream_tbENKUlT_T0_E_clISt17integral_constantIbLb1EES13_EEDaSY_SZ_EUlSY_E_NS1_11comp_targetILNS1_3genE9ELNS1_11target_archE1100ELNS1_3gpuE3ELNS1_3repE0EEENS1_30default_config_static_selectorELNS0_4arch9wavefront6targetE1EEEvT1_ ; -- Begin function _ZN7rocprim17ROCPRIM_400000_NS6detail17trampoline_kernelINS0_14default_configENS1_27scan_by_key_config_selectorIiiEEZZNS1_16scan_by_key_implILNS1_25lookback_scan_determinismE0ELb1ES3_N6thrust23THRUST_200600_302600_NS6detail15normal_iteratorINS9_10device_ptrIiEEEENSB_INSC_IjEEEENSB_INSC_IfEEEEiNS9_4plusIvEENS9_8equal_toIvEEiEE10hipError_tPvRmT2_T3_T4_T5_mT6_T7_P12ihipStream_tbENKUlT_T0_E_clISt17integral_constantIbLb1EES13_EEDaSY_SZ_EUlSY_E_NS1_11comp_targetILNS1_3genE9ELNS1_11target_archE1100ELNS1_3gpuE3ELNS1_3repE0EEENS1_30default_config_static_selectorELNS0_4arch9wavefront6targetE1EEEvT1_
	.globl	_ZN7rocprim17ROCPRIM_400000_NS6detail17trampoline_kernelINS0_14default_configENS1_27scan_by_key_config_selectorIiiEEZZNS1_16scan_by_key_implILNS1_25lookback_scan_determinismE0ELb1ES3_N6thrust23THRUST_200600_302600_NS6detail15normal_iteratorINS9_10device_ptrIiEEEENSB_INSC_IjEEEENSB_INSC_IfEEEEiNS9_4plusIvEENS9_8equal_toIvEEiEE10hipError_tPvRmT2_T3_T4_T5_mT6_T7_P12ihipStream_tbENKUlT_T0_E_clISt17integral_constantIbLb1EES13_EEDaSY_SZ_EUlSY_E_NS1_11comp_targetILNS1_3genE9ELNS1_11target_archE1100ELNS1_3gpuE3ELNS1_3repE0EEENS1_30default_config_static_selectorELNS0_4arch9wavefront6targetE1EEEvT1_
	.p2align	8
	.type	_ZN7rocprim17ROCPRIM_400000_NS6detail17trampoline_kernelINS0_14default_configENS1_27scan_by_key_config_selectorIiiEEZZNS1_16scan_by_key_implILNS1_25lookback_scan_determinismE0ELb1ES3_N6thrust23THRUST_200600_302600_NS6detail15normal_iteratorINS9_10device_ptrIiEEEENSB_INSC_IjEEEENSB_INSC_IfEEEEiNS9_4plusIvEENS9_8equal_toIvEEiEE10hipError_tPvRmT2_T3_T4_T5_mT6_T7_P12ihipStream_tbENKUlT_T0_E_clISt17integral_constantIbLb1EES13_EEDaSY_SZ_EUlSY_E_NS1_11comp_targetILNS1_3genE9ELNS1_11target_archE1100ELNS1_3gpuE3ELNS1_3repE0EEENS1_30default_config_static_selectorELNS0_4arch9wavefront6targetE1EEEvT1_,@function
_ZN7rocprim17ROCPRIM_400000_NS6detail17trampoline_kernelINS0_14default_configENS1_27scan_by_key_config_selectorIiiEEZZNS1_16scan_by_key_implILNS1_25lookback_scan_determinismE0ELb1ES3_N6thrust23THRUST_200600_302600_NS6detail15normal_iteratorINS9_10device_ptrIiEEEENSB_INSC_IjEEEENSB_INSC_IfEEEEiNS9_4plusIvEENS9_8equal_toIvEEiEE10hipError_tPvRmT2_T3_T4_T5_mT6_T7_P12ihipStream_tbENKUlT_T0_E_clISt17integral_constantIbLb1EES13_EEDaSY_SZ_EUlSY_E_NS1_11comp_targetILNS1_3genE9ELNS1_11target_archE1100ELNS1_3gpuE3ELNS1_3repE0EEENS1_30default_config_static_selectorELNS0_4arch9wavefront6targetE1EEEvT1_: ; @_ZN7rocprim17ROCPRIM_400000_NS6detail17trampoline_kernelINS0_14default_configENS1_27scan_by_key_config_selectorIiiEEZZNS1_16scan_by_key_implILNS1_25lookback_scan_determinismE0ELb1ES3_N6thrust23THRUST_200600_302600_NS6detail15normal_iteratorINS9_10device_ptrIiEEEENSB_INSC_IjEEEENSB_INSC_IfEEEEiNS9_4plusIvEENS9_8equal_toIvEEiEE10hipError_tPvRmT2_T3_T4_T5_mT6_T7_P12ihipStream_tbENKUlT_T0_E_clISt17integral_constantIbLb1EES13_EEDaSY_SZ_EUlSY_E_NS1_11comp_targetILNS1_3genE9ELNS1_11target_archE1100ELNS1_3gpuE3ELNS1_3repE0EEENS1_30default_config_static_selectorELNS0_4arch9wavefront6targetE1EEEvT1_
; %bb.0:
	.section	.rodata,"a",@progbits
	.p2align	6, 0x0
	.amdhsa_kernel _ZN7rocprim17ROCPRIM_400000_NS6detail17trampoline_kernelINS0_14default_configENS1_27scan_by_key_config_selectorIiiEEZZNS1_16scan_by_key_implILNS1_25lookback_scan_determinismE0ELb1ES3_N6thrust23THRUST_200600_302600_NS6detail15normal_iteratorINS9_10device_ptrIiEEEENSB_INSC_IjEEEENSB_INSC_IfEEEEiNS9_4plusIvEENS9_8equal_toIvEEiEE10hipError_tPvRmT2_T3_T4_T5_mT6_T7_P12ihipStream_tbENKUlT_T0_E_clISt17integral_constantIbLb1EES13_EEDaSY_SZ_EUlSY_E_NS1_11comp_targetILNS1_3genE9ELNS1_11target_archE1100ELNS1_3gpuE3ELNS1_3repE0EEENS1_30default_config_static_selectorELNS0_4arch9wavefront6targetE1EEEvT1_
		.amdhsa_group_segment_fixed_size 0
		.amdhsa_private_segment_fixed_size 0
		.amdhsa_kernarg_size 112
		.amdhsa_user_sgpr_count 2
		.amdhsa_user_sgpr_dispatch_ptr 0
		.amdhsa_user_sgpr_queue_ptr 0
		.amdhsa_user_sgpr_kernarg_segment_ptr 1
		.amdhsa_user_sgpr_dispatch_id 0
		.amdhsa_user_sgpr_kernarg_preload_length 0
		.amdhsa_user_sgpr_kernarg_preload_offset 0
		.amdhsa_user_sgpr_private_segment_size 0
		.amdhsa_uses_dynamic_stack 0
		.amdhsa_enable_private_segment 0
		.amdhsa_system_sgpr_workgroup_id_x 1
		.amdhsa_system_sgpr_workgroup_id_y 0
		.amdhsa_system_sgpr_workgroup_id_z 0
		.amdhsa_system_sgpr_workgroup_info 0
		.amdhsa_system_vgpr_workitem_id 0
		.amdhsa_next_free_vgpr 1
		.amdhsa_next_free_sgpr 0
		.amdhsa_accum_offset 4
		.amdhsa_reserve_vcc 0
		.amdhsa_float_round_mode_32 0
		.amdhsa_float_round_mode_16_64 0
		.amdhsa_float_denorm_mode_32 3
		.amdhsa_float_denorm_mode_16_64 3
		.amdhsa_dx10_clamp 1
		.amdhsa_ieee_mode 1
		.amdhsa_fp16_overflow 0
		.amdhsa_tg_split 0
		.amdhsa_exception_fp_ieee_invalid_op 0
		.amdhsa_exception_fp_denorm_src 0
		.amdhsa_exception_fp_ieee_div_zero 0
		.amdhsa_exception_fp_ieee_overflow 0
		.amdhsa_exception_fp_ieee_underflow 0
		.amdhsa_exception_fp_ieee_inexact 0
		.amdhsa_exception_int_div_zero 0
	.end_amdhsa_kernel
	.section	.text._ZN7rocprim17ROCPRIM_400000_NS6detail17trampoline_kernelINS0_14default_configENS1_27scan_by_key_config_selectorIiiEEZZNS1_16scan_by_key_implILNS1_25lookback_scan_determinismE0ELb1ES3_N6thrust23THRUST_200600_302600_NS6detail15normal_iteratorINS9_10device_ptrIiEEEENSB_INSC_IjEEEENSB_INSC_IfEEEEiNS9_4plusIvEENS9_8equal_toIvEEiEE10hipError_tPvRmT2_T3_T4_T5_mT6_T7_P12ihipStream_tbENKUlT_T0_E_clISt17integral_constantIbLb1EES13_EEDaSY_SZ_EUlSY_E_NS1_11comp_targetILNS1_3genE9ELNS1_11target_archE1100ELNS1_3gpuE3ELNS1_3repE0EEENS1_30default_config_static_selectorELNS0_4arch9wavefront6targetE1EEEvT1_,"axG",@progbits,_ZN7rocprim17ROCPRIM_400000_NS6detail17trampoline_kernelINS0_14default_configENS1_27scan_by_key_config_selectorIiiEEZZNS1_16scan_by_key_implILNS1_25lookback_scan_determinismE0ELb1ES3_N6thrust23THRUST_200600_302600_NS6detail15normal_iteratorINS9_10device_ptrIiEEEENSB_INSC_IjEEEENSB_INSC_IfEEEEiNS9_4plusIvEENS9_8equal_toIvEEiEE10hipError_tPvRmT2_T3_T4_T5_mT6_T7_P12ihipStream_tbENKUlT_T0_E_clISt17integral_constantIbLb1EES13_EEDaSY_SZ_EUlSY_E_NS1_11comp_targetILNS1_3genE9ELNS1_11target_archE1100ELNS1_3gpuE3ELNS1_3repE0EEENS1_30default_config_static_selectorELNS0_4arch9wavefront6targetE1EEEvT1_,comdat
.Lfunc_end1732:
	.size	_ZN7rocprim17ROCPRIM_400000_NS6detail17trampoline_kernelINS0_14default_configENS1_27scan_by_key_config_selectorIiiEEZZNS1_16scan_by_key_implILNS1_25lookback_scan_determinismE0ELb1ES3_N6thrust23THRUST_200600_302600_NS6detail15normal_iteratorINS9_10device_ptrIiEEEENSB_INSC_IjEEEENSB_INSC_IfEEEEiNS9_4plusIvEENS9_8equal_toIvEEiEE10hipError_tPvRmT2_T3_T4_T5_mT6_T7_P12ihipStream_tbENKUlT_T0_E_clISt17integral_constantIbLb1EES13_EEDaSY_SZ_EUlSY_E_NS1_11comp_targetILNS1_3genE9ELNS1_11target_archE1100ELNS1_3gpuE3ELNS1_3repE0EEENS1_30default_config_static_selectorELNS0_4arch9wavefront6targetE1EEEvT1_, .Lfunc_end1732-_ZN7rocprim17ROCPRIM_400000_NS6detail17trampoline_kernelINS0_14default_configENS1_27scan_by_key_config_selectorIiiEEZZNS1_16scan_by_key_implILNS1_25lookback_scan_determinismE0ELb1ES3_N6thrust23THRUST_200600_302600_NS6detail15normal_iteratorINS9_10device_ptrIiEEEENSB_INSC_IjEEEENSB_INSC_IfEEEEiNS9_4plusIvEENS9_8equal_toIvEEiEE10hipError_tPvRmT2_T3_T4_T5_mT6_T7_P12ihipStream_tbENKUlT_T0_E_clISt17integral_constantIbLb1EES13_EEDaSY_SZ_EUlSY_E_NS1_11comp_targetILNS1_3genE9ELNS1_11target_archE1100ELNS1_3gpuE3ELNS1_3repE0EEENS1_30default_config_static_selectorELNS0_4arch9wavefront6targetE1EEEvT1_
                                        ; -- End function
	.section	.AMDGPU.csdata,"",@progbits
; Kernel info:
; codeLenInByte = 0
; NumSgprs: 6
; NumVgprs: 0
; NumAgprs: 0
; TotalNumVgprs: 0
; ScratchSize: 0
; MemoryBound: 0
; FloatMode: 240
; IeeeMode: 1
; LDSByteSize: 0 bytes/workgroup (compile time only)
; SGPRBlocks: 0
; VGPRBlocks: 0
; NumSGPRsForWavesPerEU: 6
; NumVGPRsForWavesPerEU: 1
; AccumOffset: 4
; Occupancy: 8
; WaveLimiterHint : 0
; COMPUTE_PGM_RSRC2:SCRATCH_EN: 0
; COMPUTE_PGM_RSRC2:USER_SGPR: 2
; COMPUTE_PGM_RSRC2:TRAP_HANDLER: 0
; COMPUTE_PGM_RSRC2:TGID_X_EN: 1
; COMPUTE_PGM_RSRC2:TGID_Y_EN: 0
; COMPUTE_PGM_RSRC2:TGID_Z_EN: 0
; COMPUTE_PGM_RSRC2:TIDIG_COMP_CNT: 0
; COMPUTE_PGM_RSRC3_GFX90A:ACCUM_OFFSET: 0
; COMPUTE_PGM_RSRC3_GFX90A:TG_SPLIT: 0
	.section	.text._ZN7rocprim17ROCPRIM_400000_NS6detail17trampoline_kernelINS0_14default_configENS1_27scan_by_key_config_selectorIiiEEZZNS1_16scan_by_key_implILNS1_25lookback_scan_determinismE0ELb1ES3_N6thrust23THRUST_200600_302600_NS6detail15normal_iteratorINS9_10device_ptrIiEEEENSB_INSC_IjEEEENSB_INSC_IfEEEEiNS9_4plusIvEENS9_8equal_toIvEEiEE10hipError_tPvRmT2_T3_T4_T5_mT6_T7_P12ihipStream_tbENKUlT_T0_E_clISt17integral_constantIbLb1EES13_EEDaSY_SZ_EUlSY_E_NS1_11comp_targetILNS1_3genE8ELNS1_11target_archE1030ELNS1_3gpuE2ELNS1_3repE0EEENS1_30default_config_static_selectorELNS0_4arch9wavefront6targetE1EEEvT1_,"axG",@progbits,_ZN7rocprim17ROCPRIM_400000_NS6detail17trampoline_kernelINS0_14default_configENS1_27scan_by_key_config_selectorIiiEEZZNS1_16scan_by_key_implILNS1_25lookback_scan_determinismE0ELb1ES3_N6thrust23THRUST_200600_302600_NS6detail15normal_iteratorINS9_10device_ptrIiEEEENSB_INSC_IjEEEENSB_INSC_IfEEEEiNS9_4plusIvEENS9_8equal_toIvEEiEE10hipError_tPvRmT2_T3_T4_T5_mT6_T7_P12ihipStream_tbENKUlT_T0_E_clISt17integral_constantIbLb1EES13_EEDaSY_SZ_EUlSY_E_NS1_11comp_targetILNS1_3genE8ELNS1_11target_archE1030ELNS1_3gpuE2ELNS1_3repE0EEENS1_30default_config_static_selectorELNS0_4arch9wavefront6targetE1EEEvT1_,comdat
	.protected	_ZN7rocprim17ROCPRIM_400000_NS6detail17trampoline_kernelINS0_14default_configENS1_27scan_by_key_config_selectorIiiEEZZNS1_16scan_by_key_implILNS1_25lookback_scan_determinismE0ELb1ES3_N6thrust23THRUST_200600_302600_NS6detail15normal_iteratorINS9_10device_ptrIiEEEENSB_INSC_IjEEEENSB_INSC_IfEEEEiNS9_4plusIvEENS9_8equal_toIvEEiEE10hipError_tPvRmT2_T3_T4_T5_mT6_T7_P12ihipStream_tbENKUlT_T0_E_clISt17integral_constantIbLb1EES13_EEDaSY_SZ_EUlSY_E_NS1_11comp_targetILNS1_3genE8ELNS1_11target_archE1030ELNS1_3gpuE2ELNS1_3repE0EEENS1_30default_config_static_selectorELNS0_4arch9wavefront6targetE1EEEvT1_ ; -- Begin function _ZN7rocprim17ROCPRIM_400000_NS6detail17trampoline_kernelINS0_14default_configENS1_27scan_by_key_config_selectorIiiEEZZNS1_16scan_by_key_implILNS1_25lookback_scan_determinismE0ELb1ES3_N6thrust23THRUST_200600_302600_NS6detail15normal_iteratorINS9_10device_ptrIiEEEENSB_INSC_IjEEEENSB_INSC_IfEEEEiNS9_4plusIvEENS9_8equal_toIvEEiEE10hipError_tPvRmT2_T3_T4_T5_mT6_T7_P12ihipStream_tbENKUlT_T0_E_clISt17integral_constantIbLb1EES13_EEDaSY_SZ_EUlSY_E_NS1_11comp_targetILNS1_3genE8ELNS1_11target_archE1030ELNS1_3gpuE2ELNS1_3repE0EEENS1_30default_config_static_selectorELNS0_4arch9wavefront6targetE1EEEvT1_
	.globl	_ZN7rocprim17ROCPRIM_400000_NS6detail17trampoline_kernelINS0_14default_configENS1_27scan_by_key_config_selectorIiiEEZZNS1_16scan_by_key_implILNS1_25lookback_scan_determinismE0ELb1ES3_N6thrust23THRUST_200600_302600_NS6detail15normal_iteratorINS9_10device_ptrIiEEEENSB_INSC_IjEEEENSB_INSC_IfEEEEiNS9_4plusIvEENS9_8equal_toIvEEiEE10hipError_tPvRmT2_T3_T4_T5_mT6_T7_P12ihipStream_tbENKUlT_T0_E_clISt17integral_constantIbLb1EES13_EEDaSY_SZ_EUlSY_E_NS1_11comp_targetILNS1_3genE8ELNS1_11target_archE1030ELNS1_3gpuE2ELNS1_3repE0EEENS1_30default_config_static_selectorELNS0_4arch9wavefront6targetE1EEEvT1_
	.p2align	8
	.type	_ZN7rocprim17ROCPRIM_400000_NS6detail17trampoline_kernelINS0_14default_configENS1_27scan_by_key_config_selectorIiiEEZZNS1_16scan_by_key_implILNS1_25lookback_scan_determinismE0ELb1ES3_N6thrust23THRUST_200600_302600_NS6detail15normal_iteratorINS9_10device_ptrIiEEEENSB_INSC_IjEEEENSB_INSC_IfEEEEiNS9_4plusIvEENS9_8equal_toIvEEiEE10hipError_tPvRmT2_T3_T4_T5_mT6_T7_P12ihipStream_tbENKUlT_T0_E_clISt17integral_constantIbLb1EES13_EEDaSY_SZ_EUlSY_E_NS1_11comp_targetILNS1_3genE8ELNS1_11target_archE1030ELNS1_3gpuE2ELNS1_3repE0EEENS1_30default_config_static_selectorELNS0_4arch9wavefront6targetE1EEEvT1_,@function
_ZN7rocprim17ROCPRIM_400000_NS6detail17trampoline_kernelINS0_14default_configENS1_27scan_by_key_config_selectorIiiEEZZNS1_16scan_by_key_implILNS1_25lookback_scan_determinismE0ELb1ES3_N6thrust23THRUST_200600_302600_NS6detail15normal_iteratorINS9_10device_ptrIiEEEENSB_INSC_IjEEEENSB_INSC_IfEEEEiNS9_4plusIvEENS9_8equal_toIvEEiEE10hipError_tPvRmT2_T3_T4_T5_mT6_T7_P12ihipStream_tbENKUlT_T0_E_clISt17integral_constantIbLb1EES13_EEDaSY_SZ_EUlSY_E_NS1_11comp_targetILNS1_3genE8ELNS1_11target_archE1030ELNS1_3gpuE2ELNS1_3repE0EEENS1_30default_config_static_selectorELNS0_4arch9wavefront6targetE1EEEvT1_: ; @_ZN7rocprim17ROCPRIM_400000_NS6detail17trampoline_kernelINS0_14default_configENS1_27scan_by_key_config_selectorIiiEEZZNS1_16scan_by_key_implILNS1_25lookback_scan_determinismE0ELb1ES3_N6thrust23THRUST_200600_302600_NS6detail15normal_iteratorINS9_10device_ptrIiEEEENSB_INSC_IjEEEENSB_INSC_IfEEEEiNS9_4plusIvEENS9_8equal_toIvEEiEE10hipError_tPvRmT2_T3_T4_T5_mT6_T7_P12ihipStream_tbENKUlT_T0_E_clISt17integral_constantIbLb1EES13_EEDaSY_SZ_EUlSY_E_NS1_11comp_targetILNS1_3genE8ELNS1_11target_archE1030ELNS1_3gpuE2ELNS1_3repE0EEENS1_30default_config_static_selectorELNS0_4arch9wavefront6targetE1EEEvT1_
; %bb.0:
	.section	.rodata,"a",@progbits
	.p2align	6, 0x0
	.amdhsa_kernel _ZN7rocprim17ROCPRIM_400000_NS6detail17trampoline_kernelINS0_14default_configENS1_27scan_by_key_config_selectorIiiEEZZNS1_16scan_by_key_implILNS1_25lookback_scan_determinismE0ELb1ES3_N6thrust23THRUST_200600_302600_NS6detail15normal_iteratorINS9_10device_ptrIiEEEENSB_INSC_IjEEEENSB_INSC_IfEEEEiNS9_4plusIvEENS9_8equal_toIvEEiEE10hipError_tPvRmT2_T3_T4_T5_mT6_T7_P12ihipStream_tbENKUlT_T0_E_clISt17integral_constantIbLb1EES13_EEDaSY_SZ_EUlSY_E_NS1_11comp_targetILNS1_3genE8ELNS1_11target_archE1030ELNS1_3gpuE2ELNS1_3repE0EEENS1_30default_config_static_selectorELNS0_4arch9wavefront6targetE1EEEvT1_
		.amdhsa_group_segment_fixed_size 0
		.amdhsa_private_segment_fixed_size 0
		.amdhsa_kernarg_size 112
		.amdhsa_user_sgpr_count 2
		.amdhsa_user_sgpr_dispatch_ptr 0
		.amdhsa_user_sgpr_queue_ptr 0
		.amdhsa_user_sgpr_kernarg_segment_ptr 1
		.amdhsa_user_sgpr_dispatch_id 0
		.amdhsa_user_sgpr_kernarg_preload_length 0
		.amdhsa_user_sgpr_kernarg_preload_offset 0
		.amdhsa_user_sgpr_private_segment_size 0
		.amdhsa_uses_dynamic_stack 0
		.amdhsa_enable_private_segment 0
		.amdhsa_system_sgpr_workgroup_id_x 1
		.amdhsa_system_sgpr_workgroup_id_y 0
		.amdhsa_system_sgpr_workgroup_id_z 0
		.amdhsa_system_sgpr_workgroup_info 0
		.amdhsa_system_vgpr_workitem_id 0
		.amdhsa_next_free_vgpr 1
		.amdhsa_next_free_sgpr 0
		.amdhsa_accum_offset 4
		.amdhsa_reserve_vcc 0
		.amdhsa_float_round_mode_32 0
		.amdhsa_float_round_mode_16_64 0
		.amdhsa_float_denorm_mode_32 3
		.amdhsa_float_denorm_mode_16_64 3
		.amdhsa_dx10_clamp 1
		.amdhsa_ieee_mode 1
		.amdhsa_fp16_overflow 0
		.amdhsa_tg_split 0
		.amdhsa_exception_fp_ieee_invalid_op 0
		.amdhsa_exception_fp_denorm_src 0
		.amdhsa_exception_fp_ieee_div_zero 0
		.amdhsa_exception_fp_ieee_overflow 0
		.amdhsa_exception_fp_ieee_underflow 0
		.amdhsa_exception_fp_ieee_inexact 0
		.amdhsa_exception_int_div_zero 0
	.end_amdhsa_kernel
	.section	.text._ZN7rocprim17ROCPRIM_400000_NS6detail17trampoline_kernelINS0_14default_configENS1_27scan_by_key_config_selectorIiiEEZZNS1_16scan_by_key_implILNS1_25lookback_scan_determinismE0ELb1ES3_N6thrust23THRUST_200600_302600_NS6detail15normal_iteratorINS9_10device_ptrIiEEEENSB_INSC_IjEEEENSB_INSC_IfEEEEiNS9_4plusIvEENS9_8equal_toIvEEiEE10hipError_tPvRmT2_T3_T4_T5_mT6_T7_P12ihipStream_tbENKUlT_T0_E_clISt17integral_constantIbLb1EES13_EEDaSY_SZ_EUlSY_E_NS1_11comp_targetILNS1_3genE8ELNS1_11target_archE1030ELNS1_3gpuE2ELNS1_3repE0EEENS1_30default_config_static_selectorELNS0_4arch9wavefront6targetE1EEEvT1_,"axG",@progbits,_ZN7rocprim17ROCPRIM_400000_NS6detail17trampoline_kernelINS0_14default_configENS1_27scan_by_key_config_selectorIiiEEZZNS1_16scan_by_key_implILNS1_25lookback_scan_determinismE0ELb1ES3_N6thrust23THRUST_200600_302600_NS6detail15normal_iteratorINS9_10device_ptrIiEEEENSB_INSC_IjEEEENSB_INSC_IfEEEEiNS9_4plusIvEENS9_8equal_toIvEEiEE10hipError_tPvRmT2_T3_T4_T5_mT6_T7_P12ihipStream_tbENKUlT_T0_E_clISt17integral_constantIbLb1EES13_EEDaSY_SZ_EUlSY_E_NS1_11comp_targetILNS1_3genE8ELNS1_11target_archE1030ELNS1_3gpuE2ELNS1_3repE0EEENS1_30default_config_static_selectorELNS0_4arch9wavefront6targetE1EEEvT1_,comdat
.Lfunc_end1733:
	.size	_ZN7rocprim17ROCPRIM_400000_NS6detail17trampoline_kernelINS0_14default_configENS1_27scan_by_key_config_selectorIiiEEZZNS1_16scan_by_key_implILNS1_25lookback_scan_determinismE0ELb1ES3_N6thrust23THRUST_200600_302600_NS6detail15normal_iteratorINS9_10device_ptrIiEEEENSB_INSC_IjEEEENSB_INSC_IfEEEEiNS9_4plusIvEENS9_8equal_toIvEEiEE10hipError_tPvRmT2_T3_T4_T5_mT6_T7_P12ihipStream_tbENKUlT_T0_E_clISt17integral_constantIbLb1EES13_EEDaSY_SZ_EUlSY_E_NS1_11comp_targetILNS1_3genE8ELNS1_11target_archE1030ELNS1_3gpuE2ELNS1_3repE0EEENS1_30default_config_static_selectorELNS0_4arch9wavefront6targetE1EEEvT1_, .Lfunc_end1733-_ZN7rocprim17ROCPRIM_400000_NS6detail17trampoline_kernelINS0_14default_configENS1_27scan_by_key_config_selectorIiiEEZZNS1_16scan_by_key_implILNS1_25lookback_scan_determinismE0ELb1ES3_N6thrust23THRUST_200600_302600_NS6detail15normal_iteratorINS9_10device_ptrIiEEEENSB_INSC_IjEEEENSB_INSC_IfEEEEiNS9_4plusIvEENS9_8equal_toIvEEiEE10hipError_tPvRmT2_T3_T4_T5_mT6_T7_P12ihipStream_tbENKUlT_T0_E_clISt17integral_constantIbLb1EES13_EEDaSY_SZ_EUlSY_E_NS1_11comp_targetILNS1_3genE8ELNS1_11target_archE1030ELNS1_3gpuE2ELNS1_3repE0EEENS1_30default_config_static_selectorELNS0_4arch9wavefront6targetE1EEEvT1_
                                        ; -- End function
	.section	.AMDGPU.csdata,"",@progbits
; Kernel info:
; codeLenInByte = 0
; NumSgprs: 6
; NumVgprs: 0
; NumAgprs: 0
; TotalNumVgprs: 0
; ScratchSize: 0
; MemoryBound: 0
; FloatMode: 240
; IeeeMode: 1
; LDSByteSize: 0 bytes/workgroup (compile time only)
; SGPRBlocks: 0
; VGPRBlocks: 0
; NumSGPRsForWavesPerEU: 6
; NumVGPRsForWavesPerEU: 1
; AccumOffset: 4
; Occupancy: 8
; WaveLimiterHint : 0
; COMPUTE_PGM_RSRC2:SCRATCH_EN: 0
; COMPUTE_PGM_RSRC2:USER_SGPR: 2
; COMPUTE_PGM_RSRC2:TRAP_HANDLER: 0
; COMPUTE_PGM_RSRC2:TGID_X_EN: 1
; COMPUTE_PGM_RSRC2:TGID_Y_EN: 0
; COMPUTE_PGM_RSRC2:TGID_Z_EN: 0
; COMPUTE_PGM_RSRC2:TIDIG_COMP_CNT: 0
; COMPUTE_PGM_RSRC3_GFX90A:ACCUM_OFFSET: 0
; COMPUTE_PGM_RSRC3_GFX90A:TG_SPLIT: 0
	.section	.text._ZN7rocprim17ROCPRIM_400000_NS6detail17trampoline_kernelINS0_14default_configENS1_27scan_by_key_config_selectorIiiEEZZNS1_16scan_by_key_implILNS1_25lookback_scan_determinismE0ELb1ES3_N6thrust23THRUST_200600_302600_NS6detail15normal_iteratorINS9_10device_ptrIiEEEENSB_INSC_IjEEEENSB_INSC_IfEEEEiNS9_4plusIvEENS9_8equal_toIvEEiEE10hipError_tPvRmT2_T3_T4_T5_mT6_T7_P12ihipStream_tbENKUlT_T0_E_clISt17integral_constantIbLb1EES12_IbLb0EEEEDaSY_SZ_EUlSY_E_NS1_11comp_targetILNS1_3genE0ELNS1_11target_archE4294967295ELNS1_3gpuE0ELNS1_3repE0EEENS1_30default_config_static_selectorELNS0_4arch9wavefront6targetE1EEEvT1_,"axG",@progbits,_ZN7rocprim17ROCPRIM_400000_NS6detail17trampoline_kernelINS0_14default_configENS1_27scan_by_key_config_selectorIiiEEZZNS1_16scan_by_key_implILNS1_25lookback_scan_determinismE0ELb1ES3_N6thrust23THRUST_200600_302600_NS6detail15normal_iteratorINS9_10device_ptrIiEEEENSB_INSC_IjEEEENSB_INSC_IfEEEEiNS9_4plusIvEENS9_8equal_toIvEEiEE10hipError_tPvRmT2_T3_T4_T5_mT6_T7_P12ihipStream_tbENKUlT_T0_E_clISt17integral_constantIbLb1EES12_IbLb0EEEEDaSY_SZ_EUlSY_E_NS1_11comp_targetILNS1_3genE0ELNS1_11target_archE4294967295ELNS1_3gpuE0ELNS1_3repE0EEENS1_30default_config_static_selectorELNS0_4arch9wavefront6targetE1EEEvT1_,comdat
	.protected	_ZN7rocprim17ROCPRIM_400000_NS6detail17trampoline_kernelINS0_14default_configENS1_27scan_by_key_config_selectorIiiEEZZNS1_16scan_by_key_implILNS1_25lookback_scan_determinismE0ELb1ES3_N6thrust23THRUST_200600_302600_NS6detail15normal_iteratorINS9_10device_ptrIiEEEENSB_INSC_IjEEEENSB_INSC_IfEEEEiNS9_4plusIvEENS9_8equal_toIvEEiEE10hipError_tPvRmT2_T3_T4_T5_mT6_T7_P12ihipStream_tbENKUlT_T0_E_clISt17integral_constantIbLb1EES12_IbLb0EEEEDaSY_SZ_EUlSY_E_NS1_11comp_targetILNS1_3genE0ELNS1_11target_archE4294967295ELNS1_3gpuE0ELNS1_3repE0EEENS1_30default_config_static_selectorELNS0_4arch9wavefront6targetE1EEEvT1_ ; -- Begin function _ZN7rocprim17ROCPRIM_400000_NS6detail17trampoline_kernelINS0_14default_configENS1_27scan_by_key_config_selectorIiiEEZZNS1_16scan_by_key_implILNS1_25lookback_scan_determinismE0ELb1ES3_N6thrust23THRUST_200600_302600_NS6detail15normal_iteratorINS9_10device_ptrIiEEEENSB_INSC_IjEEEENSB_INSC_IfEEEEiNS9_4plusIvEENS9_8equal_toIvEEiEE10hipError_tPvRmT2_T3_T4_T5_mT6_T7_P12ihipStream_tbENKUlT_T0_E_clISt17integral_constantIbLb1EES12_IbLb0EEEEDaSY_SZ_EUlSY_E_NS1_11comp_targetILNS1_3genE0ELNS1_11target_archE4294967295ELNS1_3gpuE0ELNS1_3repE0EEENS1_30default_config_static_selectorELNS0_4arch9wavefront6targetE1EEEvT1_
	.globl	_ZN7rocprim17ROCPRIM_400000_NS6detail17trampoline_kernelINS0_14default_configENS1_27scan_by_key_config_selectorIiiEEZZNS1_16scan_by_key_implILNS1_25lookback_scan_determinismE0ELb1ES3_N6thrust23THRUST_200600_302600_NS6detail15normal_iteratorINS9_10device_ptrIiEEEENSB_INSC_IjEEEENSB_INSC_IfEEEEiNS9_4plusIvEENS9_8equal_toIvEEiEE10hipError_tPvRmT2_T3_T4_T5_mT6_T7_P12ihipStream_tbENKUlT_T0_E_clISt17integral_constantIbLb1EES12_IbLb0EEEEDaSY_SZ_EUlSY_E_NS1_11comp_targetILNS1_3genE0ELNS1_11target_archE4294967295ELNS1_3gpuE0ELNS1_3repE0EEENS1_30default_config_static_selectorELNS0_4arch9wavefront6targetE1EEEvT1_
	.p2align	8
	.type	_ZN7rocprim17ROCPRIM_400000_NS6detail17trampoline_kernelINS0_14default_configENS1_27scan_by_key_config_selectorIiiEEZZNS1_16scan_by_key_implILNS1_25lookback_scan_determinismE0ELb1ES3_N6thrust23THRUST_200600_302600_NS6detail15normal_iteratorINS9_10device_ptrIiEEEENSB_INSC_IjEEEENSB_INSC_IfEEEEiNS9_4plusIvEENS9_8equal_toIvEEiEE10hipError_tPvRmT2_T3_T4_T5_mT6_T7_P12ihipStream_tbENKUlT_T0_E_clISt17integral_constantIbLb1EES12_IbLb0EEEEDaSY_SZ_EUlSY_E_NS1_11comp_targetILNS1_3genE0ELNS1_11target_archE4294967295ELNS1_3gpuE0ELNS1_3repE0EEENS1_30default_config_static_selectorELNS0_4arch9wavefront6targetE1EEEvT1_,@function
_ZN7rocprim17ROCPRIM_400000_NS6detail17trampoline_kernelINS0_14default_configENS1_27scan_by_key_config_selectorIiiEEZZNS1_16scan_by_key_implILNS1_25lookback_scan_determinismE0ELb1ES3_N6thrust23THRUST_200600_302600_NS6detail15normal_iteratorINS9_10device_ptrIiEEEENSB_INSC_IjEEEENSB_INSC_IfEEEEiNS9_4plusIvEENS9_8equal_toIvEEiEE10hipError_tPvRmT2_T3_T4_T5_mT6_T7_P12ihipStream_tbENKUlT_T0_E_clISt17integral_constantIbLb1EES12_IbLb0EEEEDaSY_SZ_EUlSY_E_NS1_11comp_targetILNS1_3genE0ELNS1_11target_archE4294967295ELNS1_3gpuE0ELNS1_3repE0EEENS1_30default_config_static_selectorELNS0_4arch9wavefront6targetE1EEEvT1_: ; @_ZN7rocprim17ROCPRIM_400000_NS6detail17trampoline_kernelINS0_14default_configENS1_27scan_by_key_config_selectorIiiEEZZNS1_16scan_by_key_implILNS1_25lookback_scan_determinismE0ELb1ES3_N6thrust23THRUST_200600_302600_NS6detail15normal_iteratorINS9_10device_ptrIiEEEENSB_INSC_IjEEEENSB_INSC_IfEEEEiNS9_4plusIvEENS9_8equal_toIvEEiEE10hipError_tPvRmT2_T3_T4_T5_mT6_T7_P12ihipStream_tbENKUlT_T0_E_clISt17integral_constantIbLb1EES12_IbLb0EEEEDaSY_SZ_EUlSY_E_NS1_11comp_targetILNS1_3genE0ELNS1_11target_archE4294967295ELNS1_3gpuE0ELNS1_3repE0EEENS1_30default_config_static_selectorELNS0_4arch9wavefront6targetE1EEEvT1_
; %bb.0:
	.section	.rodata,"a",@progbits
	.p2align	6, 0x0
	.amdhsa_kernel _ZN7rocprim17ROCPRIM_400000_NS6detail17trampoline_kernelINS0_14default_configENS1_27scan_by_key_config_selectorIiiEEZZNS1_16scan_by_key_implILNS1_25lookback_scan_determinismE0ELb1ES3_N6thrust23THRUST_200600_302600_NS6detail15normal_iteratorINS9_10device_ptrIiEEEENSB_INSC_IjEEEENSB_INSC_IfEEEEiNS9_4plusIvEENS9_8equal_toIvEEiEE10hipError_tPvRmT2_T3_T4_T5_mT6_T7_P12ihipStream_tbENKUlT_T0_E_clISt17integral_constantIbLb1EES12_IbLb0EEEEDaSY_SZ_EUlSY_E_NS1_11comp_targetILNS1_3genE0ELNS1_11target_archE4294967295ELNS1_3gpuE0ELNS1_3repE0EEENS1_30default_config_static_selectorELNS0_4arch9wavefront6targetE1EEEvT1_
		.amdhsa_group_segment_fixed_size 0
		.amdhsa_private_segment_fixed_size 0
		.amdhsa_kernarg_size 112
		.amdhsa_user_sgpr_count 2
		.amdhsa_user_sgpr_dispatch_ptr 0
		.amdhsa_user_sgpr_queue_ptr 0
		.amdhsa_user_sgpr_kernarg_segment_ptr 1
		.amdhsa_user_sgpr_dispatch_id 0
		.amdhsa_user_sgpr_kernarg_preload_length 0
		.amdhsa_user_sgpr_kernarg_preload_offset 0
		.amdhsa_user_sgpr_private_segment_size 0
		.amdhsa_uses_dynamic_stack 0
		.amdhsa_enable_private_segment 0
		.amdhsa_system_sgpr_workgroup_id_x 1
		.amdhsa_system_sgpr_workgroup_id_y 0
		.amdhsa_system_sgpr_workgroup_id_z 0
		.amdhsa_system_sgpr_workgroup_info 0
		.amdhsa_system_vgpr_workitem_id 0
		.amdhsa_next_free_vgpr 1
		.amdhsa_next_free_sgpr 0
		.amdhsa_accum_offset 4
		.amdhsa_reserve_vcc 0
		.amdhsa_float_round_mode_32 0
		.amdhsa_float_round_mode_16_64 0
		.amdhsa_float_denorm_mode_32 3
		.amdhsa_float_denorm_mode_16_64 3
		.amdhsa_dx10_clamp 1
		.amdhsa_ieee_mode 1
		.amdhsa_fp16_overflow 0
		.amdhsa_tg_split 0
		.amdhsa_exception_fp_ieee_invalid_op 0
		.amdhsa_exception_fp_denorm_src 0
		.amdhsa_exception_fp_ieee_div_zero 0
		.amdhsa_exception_fp_ieee_overflow 0
		.amdhsa_exception_fp_ieee_underflow 0
		.amdhsa_exception_fp_ieee_inexact 0
		.amdhsa_exception_int_div_zero 0
	.end_amdhsa_kernel
	.section	.text._ZN7rocprim17ROCPRIM_400000_NS6detail17trampoline_kernelINS0_14default_configENS1_27scan_by_key_config_selectorIiiEEZZNS1_16scan_by_key_implILNS1_25lookback_scan_determinismE0ELb1ES3_N6thrust23THRUST_200600_302600_NS6detail15normal_iteratorINS9_10device_ptrIiEEEENSB_INSC_IjEEEENSB_INSC_IfEEEEiNS9_4plusIvEENS9_8equal_toIvEEiEE10hipError_tPvRmT2_T3_T4_T5_mT6_T7_P12ihipStream_tbENKUlT_T0_E_clISt17integral_constantIbLb1EES12_IbLb0EEEEDaSY_SZ_EUlSY_E_NS1_11comp_targetILNS1_3genE0ELNS1_11target_archE4294967295ELNS1_3gpuE0ELNS1_3repE0EEENS1_30default_config_static_selectorELNS0_4arch9wavefront6targetE1EEEvT1_,"axG",@progbits,_ZN7rocprim17ROCPRIM_400000_NS6detail17trampoline_kernelINS0_14default_configENS1_27scan_by_key_config_selectorIiiEEZZNS1_16scan_by_key_implILNS1_25lookback_scan_determinismE0ELb1ES3_N6thrust23THRUST_200600_302600_NS6detail15normal_iteratorINS9_10device_ptrIiEEEENSB_INSC_IjEEEENSB_INSC_IfEEEEiNS9_4plusIvEENS9_8equal_toIvEEiEE10hipError_tPvRmT2_T3_T4_T5_mT6_T7_P12ihipStream_tbENKUlT_T0_E_clISt17integral_constantIbLb1EES12_IbLb0EEEEDaSY_SZ_EUlSY_E_NS1_11comp_targetILNS1_3genE0ELNS1_11target_archE4294967295ELNS1_3gpuE0ELNS1_3repE0EEENS1_30default_config_static_selectorELNS0_4arch9wavefront6targetE1EEEvT1_,comdat
.Lfunc_end1734:
	.size	_ZN7rocprim17ROCPRIM_400000_NS6detail17trampoline_kernelINS0_14default_configENS1_27scan_by_key_config_selectorIiiEEZZNS1_16scan_by_key_implILNS1_25lookback_scan_determinismE0ELb1ES3_N6thrust23THRUST_200600_302600_NS6detail15normal_iteratorINS9_10device_ptrIiEEEENSB_INSC_IjEEEENSB_INSC_IfEEEEiNS9_4plusIvEENS9_8equal_toIvEEiEE10hipError_tPvRmT2_T3_T4_T5_mT6_T7_P12ihipStream_tbENKUlT_T0_E_clISt17integral_constantIbLb1EES12_IbLb0EEEEDaSY_SZ_EUlSY_E_NS1_11comp_targetILNS1_3genE0ELNS1_11target_archE4294967295ELNS1_3gpuE0ELNS1_3repE0EEENS1_30default_config_static_selectorELNS0_4arch9wavefront6targetE1EEEvT1_, .Lfunc_end1734-_ZN7rocprim17ROCPRIM_400000_NS6detail17trampoline_kernelINS0_14default_configENS1_27scan_by_key_config_selectorIiiEEZZNS1_16scan_by_key_implILNS1_25lookback_scan_determinismE0ELb1ES3_N6thrust23THRUST_200600_302600_NS6detail15normal_iteratorINS9_10device_ptrIiEEEENSB_INSC_IjEEEENSB_INSC_IfEEEEiNS9_4plusIvEENS9_8equal_toIvEEiEE10hipError_tPvRmT2_T3_T4_T5_mT6_T7_P12ihipStream_tbENKUlT_T0_E_clISt17integral_constantIbLb1EES12_IbLb0EEEEDaSY_SZ_EUlSY_E_NS1_11comp_targetILNS1_3genE0ELNS1_11target_archE4294967295ELNS1_3gpuE0ELNS1_3repE0EEENS1_30default_config_static_selectorELNS0_4arch9wavefront6targetE1EEEvT1_
                                        ; -- End function
	.section	.AMDGPU.csdata,"",@progbits
; Kernel info:
; codeLenInByte = 0
; NumSgprs: 6
; NumVgprs: 0
; NumAgprs: 0
; TotalNumVgprs: 0
; ScratchSize: 0
; MemoryBound: 0
; FloatMode: 240
; IeeeMode: 1
; LDSByteSize: 0 bytes/workgroup (compile time only)
; SGPRBlocks: 0
; VGPRBlocks: 0
; NumSGPRsForWavesPerEU: 6
; NumVGPRsForWavesPerEU: 1
; AccumOffset: 4
; Occupancy: 8
; WaveLimiterHint : 0
; COMPUTE_PGM_RSRC2:SCRATCH_EN: 0
; COMPUTE_PGM_RSRC2:USER_SGPR: 2
; COMPUTE_PGM_RSRC2:TRAP_HANDLER: 0
; COMPUTE_PGM_RSRC2:TGID_X_EN: 1
; COMPUTE_PGM_RSRC2:TGID_Y_EN: 0
; COMPUTE_PGM_RSRC2:TGID_Z_EN: 0
; COMPUTE_PGM_RSRC2:TIDIG_COMP_CNT: 0
; COMPUTE_PGM_RSRC3_GFX90A:ACCUM_OFFSET: 0
; COMPUTE_PGM_RSRC3_GFX90A:TG_SPLIT: 0
	.section	.text._ZN7rocprim17ROCPRIM_400000_NS6detail17trampoline_kernelINS0_14default_configENS1_27scan_by_key_config_selectorIiiEEZZNS1_16scan_by_key_implILNS1_25lookback_scan_determinismE0ELb1ES3_N6thrust23THRUST_200600_302600_NS6detail15normal_iteratorINS9_10device_ptrIiEEEENSB_INSC_IjEEEENSB_INSC_IfEEEEiNS9_4plusIvEENS9_8equal_toIvEEiEE10hipError_tPvRmT2_T3_T4_T5_mT6_T7_P12ihipStream_tbENKUlT_T0_E_clISt17integral_constantIbLb1EES12_IbLb0EEEEDaSY_SZ_EUlSY_E_NS1_11comp_targetILNS1_3genE10ELNS1_11target_archE1201ELNS1_3gpuE5ELNS1_3repE0EEENS1_30default_config_static_selectorELNS0_4arch9wavefront6targetE1EEEvT1_,"axG",@progbits,_ZN7rocprim17ROCPRIM_400000_NS6detail17trampoline_kernelINS0_14default_configENS1_27scan_by_key_config_selectorIiiEEZZNS1_16scan_by_key_implILNS1_25lookback_scan_determinismE0ELb1ES3_N6thrust23THRUST_200600_302600_NS6detail15normal_iteratorINS9_10device_ptrIiEEEENSB_INSC_IjEEEENSB_INSC_IfEEEEiNS9_4plusIvEENS9_8equal_toIvEEiEE10hipError_tPvRmT2_T3_T4_T5_mT6_T7_P12ihipStream_tbENKUlT_T0_E_clISt17integral_constantIbLb1EES12_IbLb0EEEEDaSY_SZ_EUlSY_E_NS1_11comp_targetILNS1_3genE10ELNS1_11target_archE1201ELNS1_3gpuE5ELNS1_3repE0EEENS1_30default_config_static_selectorELNS0_4arch9wavefront6targetE1EEEvT1_,comdat
	.protected	_ZN7rocprim17ROCPRIM_400000_NS6detail17trampoline_kernelINS0_14default_configENS1_27scan_by_key_config_selectorIiiEEZZNS1_16scan_by_key_implILNS1_25lookback_scan_determinismE0ELb1ES3_N6thrust23THRUST_200600_302600_NS6detail15normal_iteratorINS9_10device_ptrIiEEEENSB_INSC_IjEEEENSB_INSC_IfEEEEiNS9_4plusIvEENS9_8equal_toIvEEiEE10hipError_tPvRmT2_T3_T4_T5_mT6_T7_P12ihipStream_tbENKUlT_T0_E_clISt17integral_constantIbLb1EES12_IbLb0EEEEDaSY_SZ_EUlSY_E_NS1_11comp_targetILNS1_3genE10ELNS1_11target_archE1201ELNS1_3gpuE5ELNS1_3repE0EEENS1_30default_config_static_selectorELNS0_4arch9wavefront6targetE1EEEvT1_ ; -- Begin function _ZN7rocprim17ROCPRIM_400000_NS6detail17trampoline_kernelINS0_14default_configENS1_27scan_by_key_config_selectorIiiEEZZNS1_16scan_by_key_implILNS1_25lookback_scan_determinismE0ELb1ES3_N6thrust23THRUST_200600_302600_NS6detail15normal_iteratorINS9_10device_ptrIiEEEENSB_INSC_IjEEEENSB_INSC_IfEEEEiNS9_4plusIvEENS9_8equal_toIvEEiEE10hipError_tPvRmT2_T3_T4_T5_mT6_T7_P12ihipStream_tbENKUlT_T0_E_clISt17integral_constantIbLb1EES12_IbLb0EEEEDaSY_SZ_EUlSY_E_NS1_11comp_targetILNS1_3genE10ELNS1_11target_archE1201ELNS1_3gpuE5ELNS1_3repE0EEENS1_30default_config_static_selectorELNS0_4arch9wavefront6targetE1EEEvT1_
	.globl	_ZN7rocprim17ROCPRIM_400000_NS6detail17trampoline_kernelINS0_14default_configENS1_27scan_by_key_config_selectorIiiEEZZNS1_16scan_by_key_implILNS1_25lookback_scan_determinismE0ELb1ES3_N6thrust23THRUST_200600_302600_NS6detail15normal_iteratorINS9_10device_ptrIiEEEENSB_INSC_IjEEEENSB_INSC_IfEEEEiNS9_4plusIvEENS9_8equal_toIvEEiEE10hipError_tPvRmT2_T3_T4_T5_mT6_T7_P12ihipStream_tbENKUlT_T0_E_clISt17integral_constantIbLb1EES12_IbLb0EEEEDaSY_SZ_EUlSY_E_NS1_11comp_targetILNS1_3genE10ELNS1_11target_archE1201ELNS1_3gpuE5ELNS1_3repE0EEENS1_30default_config_static_selectorELNS0_4arch9wavefront6targetE1EEEvT1_
	.p2align	8
	.type	_ZN7rocprim17ROCPRIM_400000_NS6detail17trampoline_kernelINS0_14default_configENS1_27scan_by_key_config_selectorIiiEEZZNS1_16scan_by_key_implILNS1_25lookback_scan_determinismE0ELb1ES3_N6thrust23THRUST_200600_302600_NS6detail15normal_iteratorINS9_10device_ptrIiEEEENSB_INSC_IjEEEENSB_INSC_IfEEEEiNS9_4plusIvEENS9_8equal_toIvEEiEE10hipError_tPvRmT2_T3_T4_T5_mT6_T7_P12ihipStream_tbENKUlT_T0_E_clISt17integral_constantIbLb1EES12_IbLb0EEEEDaSY_SZ_EUlSY_E_NS1_11comp_targetILNS1_3genE10ELNS1_11target_archE1201ELNS1_3gpuE5ELNS1_3repE0EEENS1_30default_config_static_selectorELNS0_4arch9wavefront6targetE1EEEvT1_,@function
_ZN7rocprim17ROCPRIM_400000_NS6detail17trampoline_kernelINS0_14default_configENS1_27scan_by_key_config_selectorIiiEEZZNS1_16scan_by_key_implILNS1_25lookback_scan_determinismE0ELb1ES3_N6thrust23THRUST_200600_302600_NS6detail15normal_iteratorINS9_10device_ptrIiEEEENSB_INSC_IjEEEENSB_INSC_IfEEEEiNS9_4plusIvEENS9_8equal_toIvEEiEE10hipError_tPvRmT2_T3_T4_T5_mT6_T7_P12ihipStream_tbENKUlT_T0_E_clISt17integral_constantIbLb1EES12_IbLb0EEEEDaSY_SZ_EUlSY_E_NS1_11comp_targetILNS1_3genE10ELNS1_11target_archE1201ELNS1_3gpuE5ELNS1_3repE0EEENS1_30default_config_static_selectorELNS0_4arch9wavefront6targetE1EEEvT1_: ; @_ZN7rocprim17ROCPRIM_400000_NS6detail17trampoline_kernelINS0_14default_configENS1_27scan_by_key_config_selectorIiiEEZZNS1_16scan_by_key_implILNS1_25lookback_scan_determinismE0ELb1ES3_N6thrust23THRUST_200600_302600_NS6detail15normal_iteratorINS9_10device_ptrIiEEEENSB_INSC_IjEEEENSB_INSC_IfEEEEiNS9_4plusIvEENS9_8equal_toIvEEiEE10hipError_tPvRmT2_T3_T4_T5_mT6_T7_P12ihipStream_tbENKUlT_T0_E_clISt17integral_constantIbLb1EES12_IbLb0EEEEDaSY_SZ_EUlSY_E_NS1_11comp_targetILNS1_3genE10ELNS1_11target_archE1201ELNS1_3gpuE5ELNS1_3repE0EEENS1_30default_config_static_selectorELNS0_4arch9wavefront6targetE1EEEvT1_
; %bb.0:
	.section	.rodata,"a",@progbits
	.p2align	6, 0x0
	.amdhsa_kernel _ZN7rocprim17ROCPRIM_400000_NS6detail17trampoline_kernelINS0_14default_configENS1_27scan_by_key_config_selectorIiiEEZZNS1_16scan_by_key_implILNS1_25lookback_scan_determinismE0ELb1ES3_N6thrust23THRUST_200600_302600_NS6detail15normal_iteratorINS9_10device_ptrIiEEEENSB_INSC_IjEEEENSB_INSC_IfEEEEiNS9_4plusIvEENS9_8equal_toIvEEiEE10hipError_tPvRmT2_T3_T4_T5_mT6_T7_P12ihipStream_tbENKUlT_T0_E_clISt17integral_constantIbLb1EES12_IbLb0EEEEDaSY_SZ_EUlSY_E_NS1_11comp_targetILNS1_3genE10ELNS1_11target_archE1201ELNS1_3gpuE5ELNS1_3repE0EEENS1_30default_config_static_selectorELNS0_4arch9wavefront6targetE1EEEvT1_
		.amdhsa_group_segment_fixed_size 0
		.amdhsa_private_segment_fixed_size 0
		.amdhsa_kernarg_size 112
		.amdhsa_user_sgpr_count 2
		.amdhsa_user_sgpr_dispatch_ptr 0
		.amdhsa_user_sgpr_queue_ptr 0
		.amdhsa_user_sgpr_kernarg_segment_ptr 1
		.amdhsa_user_sgpr_dispatch_id 0
		.amdhsa_user_sgpr_kernarg_preload_length 0
		.amdhsa_user_sgpr_kernarg_preload_offset 0
		.amdhsa_user_sgpr_private_segment_size 0
		.amdhsa_uses_dynamic_stack 0
		.amdhsa_enable_private_segment 0
		.amdhsa_system_sgpr_workgroup_id_x 1
		.amdhsa_system_sgpr_workgroup_id_y 0
		.amdhsa_system_sgpr_workgroup_id_z 0
		.amdhsa_system_sgpr_workgroup_info 0
		.amdhsa_system_vgpr_workitem_id 0
		.amdhsa_next_free_vgpr 1
		.amdhsa_next_free_sgpr 0
		.amdhsa_accum_offset 4
		.amdhsa_reserve_vcc 0
		.amdhsa_float_round_mode_32 0
		.amdhsa_float_round_mode_16_64 0
		.amdhsa_float_denorm_mode_32 3
		.amdhsa_float_denorm_mode_16_64 3
		.amdhsa_dx10_clamp 1
		.amdhsa_ieee_mode 1
		.amdhsa_fp16_overflow 0
		.amdhsa_tg_split 0
		.amdhsa_exception_fp_ieee_invalid_op 0
		.amdhsa_exception_fp_denorm_src 0
		.amdhsa_exception_fp_ieee_div_zero 0
		.amdhsa_exception_fp_ieee_overflow 0
		.amdhsa_exception_fp_ieee_underflow 0
		.amdhsa_exception_fp_ieee_inexact 0
		.amdhsa_exception_int_div_zero 0
	.end_amdhsa_kernel
	.section	.text._ZN7rocprim17ROCPRIM_400000_NS6detail17trampoline_kernelINS0_14default_configENS1_27scan_by_key_config_selectorIiiEEZZNS1_16scan_by_key_implILNS1_25lookback_scan_determinismE0ELb1ES3_N6thrust23THRUST_200600_302600_NS6detail15normal_iteratorINS9_10device_ptrIiEEEENSB_INSC_IjEEEENSB_INSC_IfEEEEiNS9_4plusIvEENS9_8equal_toIvEEiEE10hipError_tPvRmT2_T3_T4_T5_mT6_T7_P12ihipStream_tbENKUlT_T0_E_clISt17integral_constantIbLb1EES12_IbLb0EEEEDaSY_SZ_EUlSY_E_NS1_11comp_targetILNS1_3genE10ELNS1_11target_archE1201ELNS1_3gpuE5ELNS1_3repE0EEENS1_30default_config_static_selectorELNS0_4arch9wavefront6targetE1EEEvT1_,"axG",@progbits,_ZN7rocprim17ROCPRIM_400000_NS6detail17trampoline_kernelINS0_14default_configENS1_27scan_by_key_config_selectorIiiEEZZNS1_16scan_by_key_implILNS1_25lookback_scan_determinismE0ELb1ES3_N6thrust23THRUST_200600_302600_NS6detail15normal_iteratorINS9_10device_ptrIiEEEENSB_INSC_IjEEEENSB_INSC_IfEEEEiNS9_4plusIvEENS9_8equal_toIvEEiEE10hipError_tPvRmT2_T3_T4_T5_mT6_T7_P12ihipStream_tbENKUlT_T0_E_clISt17integral_constantIbLb1EES12_IbLb0EEEEDaSY_SZ_EUlSY_E_NS1_11comp_targetILNS1_3genE10ELNS1_11target_archE1201ELNS1_3gpuE5ELNS1_3repE0EEENS1_30default_config_static_selectorELNS0_4arch9wavefront6targetE1EEEvT1_,comdat
.Lfunc_end1735:
	.size	_ZN7rocprim17ROCPRIM_400000_NS6detail17trampoline_kernelINS0_14default_configENS1_27scan_by_key_config_selectorIiiEEZZNS1_16scan_by_key_implILNS1_25lookback_scan_determinismE0ELb1ES3_N6thrust23THRUST_200600_302600_NS6detail15normal_iteratorINS9_10device_ptrIiEEEENSB_INSC_IjEEEENSB_INSC_IfEEEEiNS9_4plusIvEENS9_8equal_toIvEEiEE10hipError_tPvRmT2_T3_T4_T5_mT6_T7_P12ihipStream_tbENKUlT_T0_E_clISt17integral_constantIbLb1EES12_IbLb0EEEEDaSY_SZ_EUlSY_E_NS1_11comp_targetILNS1_3genE10ELNS1_11target_archE1201ELNS1_3gpuE5ELNS1_3repE0EEENS1_30default_config_static_selectorELNS0_4arch9wavefront6targetE1EEEvT1_, .Lfunc_end1735-_ZN7rocprim17ROCPRIM_400000_NS6detail17trampoline_kernelINS0_14default_configENS1_27scan_by_key_config_selectorIiiEEZZNS1_16scan_by_key_implILNS1_25lookback_scan_determinismE0ELb1ES3_N6thrust23THRUST_200600_302600_NS6detail15normal_iteratorINS9_10device_ptrIiEEEENSB_INSC_IjEEEENSB_INSC_IfEEEEiNS9_4plusIvEENS9_8equal_toIvEEiEE10hipError_tPvRmT2_T3_T4_T5_mT6_T7_P12ihipStream_tbENKUlT_T0_E_clISt17integral_constantIbLb1EES12_IbLb0EEEEDaSY_SZ_EUlSY_E_NS1_11comp_targetILNS1_3genE10ELNS1_11target_archE1201ELNS1_3gpuE5ELNS1_3repE0EEENS1_30default_config_static_selectorELNS0_4arch9wavefront6targetE1EEEvT1_
                                        ; -- End function
	.section	.AMDGPU.csdata,"",@progbits
; Kernel info:
; codeLenInByte = 0
; NumSgprs: 6
; NumVgprs: 0
; NumAgprs: 0
; TotalNumVgprs: 0
; ScratchSize: 0
; MemoryBound: 0
; FloatMode: 240
; IeeeMode: 1
; LDSByteSize: 0 bytes/workgroup (compile time only)
; SGPRBlocks: 0
; VGPRBlocks: 0
; NumSGPRsForWavesPerEU: 6
; NumVGPRsForWavesPerEU: 1
; AccumOffset: 4
; Occupancy: 8
; WaveLimiterHint : 0
; COMPUTE_PGM_RSRC2:SCRATCH_EN: 0
; COMPUTE_PGM_RSRC2:USER_SGPR: 2
; COMPUTE_PGM_RSRC2:TRAP_HANDLER: 0
; COMPUTE_PGM_RSRC2:TGID_X_EN: 1
; COMPUTE_PGM_RSRC2:TGID_Y_EN: 0
; COMPUTE_PGM_RSRC2:TGID_Z_EN: 0
; COMPUTE_PGM_RSRC2:TIDIG_COMP_CNT: 0
; COMPUTE_PGM_RSRC3_GFX90A:ACCUM_OFFSET: 0
; COMPUTE_PGM_RSRC3_GFX90A:TG_SPLIT: 0
	.section	.text._ZN7rocprim17ROCPRIM_400000_NS6detail17trampoline_kernelINS0_14default_configENS1_27scan_by_key_config_selectorIiiEEZZNS1_16scan_by_key_implILNS1_25lookback_scan_determinismE0ELb1ES3_N6thrust23THRUST_200600_302600_NS6detail15normal_iteratorINS9_10device_ptrIiEEEENSB_INSC_IjEEEENSB_INSC_IfEEEEiNS9_4plusIvEENS9_8equal_toIvEEiEE10hipError_tPvRmT2_T3_T4_T5_mT6_T7_P12ihipStream_tbENKUlT_T0_E_clISt17integral_constantIbLb1EES12_IbLb0EEEEDaSY_SZ_EUlSY_E_NS1_11comp_targetILNS1_3genE5ELNS1_11target_archE942ELNS1_3gpuE9ELNS1_3repE0EEENS1_30default_config_static_selectorELNS0_4arch9wavefront6targetE1EEEvT1_,"axG",@progbits,_ZN7rocprim17ROCPRIM_400000_NS6detail17trampoline_kernelINS0_14default_configENS1_27scan_by_key_config_selectorIiiEEZZNS1_16scan_by_key_implILNS1_25lookback_scan_determinismE0ELb1ES3_N6thrust23THRUST_200600_302600_NS6detail15normal_iteratorINS9_10device_ptrIiEEEENSB_INSC_IjEEEENSB_INSC_IfEEEEiNS9_4plusIvEENS9_8equal_toIvEEiEE10hipError_tPvRmT2_T3_T4_T5_mT6_T7_P12ihipStream_tbENKUlT_T0_E_clISt17integral_constantIbLb1EES12_IbLb0EEEEDaSY_SZ_EUlSY_E_NS1_11comp_targetILNS1_3genE5ELNS1_11target_archE942ELNS1_3gpuE9ELNS1_3repE0EEENS1_30default_config_static_selectorELNS0_4arch9wavefront6targetE1EEEvT1_,comdat
	.protected	_ZN7rocprim17ROCPRIM_400000_NS6detail17trampoline_kernelINS0_14default_configENS1_27scan_by_key_config_selectorIiiEEZZNS1_16scan_by_key_implILNS1_25lookback_scan_determinismE0ELb1ES3_N6thrust23THRUST_200600_302600_NS6detail15normal_iteratorINS9_10device_ptrIiEEEENSB_INSC_IjEEEENSB_INSC_IfEEEEiNS9_4plusIvEENS9_8equal_toIvEEiEE10hipError_tPvRmT2_T3_T4_T5_mT6_T7_P12ihipStream_tbENKUlT_T0_E_clISt17integral_constantIbLb1EES12_IbLb0EEEEDaSY_SZ_EUlSY_E_NS1_11comp_targetILNS1_3genE5ELNS1_11target_archE942ELNS1_3gpuE9ELNS1_3repE0EEENS1_30default_config_static_selectorELNS0_4arch9wavefront6targetE1EEEvT1_ ; -- Begin function _ZN7rocprim17ROCPRIM_400000_NS6detail17trampoline_kernelINS0_14default_configENS1_27scan_by_key_config_selectorIiiEEZZNS1_16scan_by_key_implILNS1_25lookback_scan_determinismE0ELb1ES3_N6thrust23THRUST_200600_302600_NS6detail15normal_iteratorINS9_10device_ptrIiEEEENSB_INSC_IjEEEENSB_INSC_IfEEEEiNS9_4plusIvEENS9_8equal_toIvEEiEE10hipError_tPvRmT2_T3_T4_T5_mT6_T7_P12ihipStream_tbENKUlT_T0_E_clISt17integral_constantIbLb1EES12_IbLb0EEEEDaSY_SZ_EUlSY_E_NS1_11comp_targetILNS1_3genE5ELNS1_11target_archE942ELNS1_3gpuE9ELNS1_3repE0EEENS1_30default_config_static_selectorELNS0_4arch9wavefront6targetE1EEEvT1_
	.globl	_ZN7rocprim17ROCPRIM_400000_NS6detail17trampoline_kernelINS0_14default_configENS1_27scan_by_key_config_selectorIiiEEZZNS1_16scan_by_key_implILNS1_25lookback_scan_determinismE0ELb1ES3_N6thrust23THRUST_200600_302600_NS6detail15normal_iteratorINS9_10device_ptrIiEEEENSB_INSC_IjEEEENSB_INSC_IfEEEEiNS9_4plusIvEENS9_8equal_toIvEEiEE10hipError_tPvRmT2_T3_T4_T5_mT6_T7_P12ihipStream_tbENKUlT_T0_E_clISt17integral_constantIbLb1EES12_IbLb0EEEEDaSY_SZ_EUlSY_E_NS1_11comp_targetILNS1_3genE5ELNS1_11target_archE942ELNS1_3gpuE9ELNS1_3repE0EEENS1_30default_config_static_selectorELNS0_4arch9wavefront6targetE1EEEvT1_
	.p2align	8
	.type	_ZN7rocprim17ROCPRIM_400000_NS6detail17trampoline_kernelINS0_14default_configENS1_27scan_by_key_config_selectorIiiEEZZNS1_16scan_by_key_implILNS1_25lookback_scan_determinismE0ELb1ES3_N6thrust23THRUST_200600_302600_NS6detail15normal_iteratorINS9_10device_ptrIiEEEENSB_INSC_IjEEEENSB_INSC_IfEEEEiNS9_4plusIvEENS9_8equal_toIvEEiEE10hipError_tPvRmT2_T3_T4_T5_mT6_T7_P12ihipStream_tbENKUlT_T0_E_clISt17integral_constantIbLb1EES12_IbLb0EEEEDaSY_SZ_EUlSY_E_NS1_11comp_targetILNS1_3genE5ELNS1_11target_archE942ELNS1_3gpuE9ELNS1_3repE0EEENS1_30default_config_static_selectorELNS0_4arch9wavefront6targetE1EEEvT1_,@function
_ZN7rocprim17ROCPRIM_400000_NS6detail17trampoline_kernelINS0_14default_configENS1_27scan_by_key_config_selectorIiiEEZZNS1_16scan_by_key_implILNS1_25lookback_scan_determinismE0ELb1ES3_N6thrust23THRUST_200600_302600_NS6detail15normal_iteratorINS9_10device_ptrIiEEEENSB_INSC_IjEEEENSB_INSC_IfEEEEiNS9_4plusIvEENS9_8equal_toIvEEiEE10hipError_tPvRmT2_T3_T4_T5_mT6_T7_P12ihipStream_tbENKUlT_T0_E_clISt17integral_constantIbLb1EES12_IbLb0EEEEDaSY_SZ_EUlSY_E_NS1_11comp_targetILNS1_3genE5ELNS1_11target_archE942ELNS1_3gpuE9ELNS1_3repE0EEENS1_30default_config_static_selectorELNS0_4arch9wavefront6targetE1EEEvT1_: ; @_ZN7rocprim17ROCPRIM_400000_NS6detail17trampoline_kernelINS0_14default_configENS1_27scan_by_key_config_selectorIiiEEZZNS1_16scan_by_key_implILNS1_25lookback_scan_determinismE0ELb1ES3_N6thrust23THRUST_200600_302600_NS6detail15normal_iteratorINS9_10device_ptrIiEEEENSB_INSC_IjEEEENSB_INSC_IfEEEEiNS9_4plusIvEENS9_8equal_toIvEEiEE10hipError_tPvRmT2_T3_T4_T5_mT6_T7_P12ihipStream_tbENKUlT_T0_E_clISt17integral_constantIbLb1EES12_IbLb0EEEEDaSY_SZ_EUlSY_E_NS1_11comp_targetILNS1_3genE5ELNS1_11target_archE942ELNS1_3gpuE9ELNS1_3repE0EEENS1_30default_config_static_selectorELNS0_4arch9wavefront6targetE1EEEvT1_
; %bb.0:
	s_load_dwordx8 s[48:55], s[0:1], 0x0
	s_load_dword s76, s[0:1], 0x20
	s_load_dwordx4 s[56:59], s[0:1], 0x28
	s_load_dwordx2 s[68:69], s[0:1], 0x38
	s_load_dword s3, s[0:1], 0x40
	s_load_dwordx4 s[60:63], s[0:1], 0x48
	s_waitcnt lgkmcnt(0)
	s_lshl_b64 s[64:65], s[50:51], 2
	s_add_u32 s4, s48, s64
	s_addc_u32 s5, s49, s65
	s_add_u32 s6, s52, s64
	s_mul_i32 s0, s69, s3
	s_mul_hi_u32 s1, s68, s3
	s_addc_u32 s7, s53, s65
	s_add_i32 s8, s1, s0
	s_mul_i32 s0, s2, 0x1700
	s_mov_b32 s1, 0
	s_lshl_b64 s[66:67], s[0:1], 2
	s_add_u32 s70, s4, s66
	s_addc_u32 s71, s5, s67
	s_add_u32 s52, s6, s66
	s_mul_i32 s3, s68, s3
	s_addc_u32 s53, s7, s67
	s_add_u32 s0, s3, s2
	s_addc_u32 s1, s8, 0
	s_add_u32 s6, s60, -1
	s_addc_u32 s7, s61, -1
	v_mov_b64_e32 v[2:3], s[6:7]
	v_cmp_ge_u64_e64 s[0:1], s[0:1], v[2:3]
	s_mov_b64 s[4:5], -1
	s_and_b64 vcc, exec, s[0:1]
	s_mul_i32 s33, s6, 0xffffe900
	s_barrier
	s_cbranch_vccz .LBB1736_71
; %bb.1:
	v_mov_b64_e32 v[2:3], s[70:71]
	flat_load_dword v1, v[2:3]
	s_add_i32 s3, s33, s58
	v_cmp_gt_u32_e32 vcc, s3, v0
	s_waitcnt vmcnt(0) lgkmcnt(0)
	v_mov_b32_e32 v3, v1
	s_and_saveexec_b64 s[4:5], vcc
	s_cbranch_execz .LBB1736_3
; %bb.2:
	v_lshlrev_b32_e32 v2, 2, v0
	v_mov_b32_e32 v3, 0
	v_lshl_add_u64 v[2:3], s[70:71], 0, v[2:3]
	flat_load_dword v3, v[2:3]
.LBB1736_3:
	s_or_b64 exec, exec, s[4:5]
	v_or_b32_e32 v2, 0x100, v0
	v_cmp_gt_u32_e64 s[48:49], s3, v2
	v_mov_b32_e32 v4, v1
	s_and_saveexec_b64 s[4:5], s[48:49]
	s_cbranch_execz .LBB1736_5
; %bb.4:
	v_lshlrev_b32_e32 v4, 2, v0
	v_mov_b32_e32 v5, 0
	v_lshl_add_u64 v[4:5], s[70:71], 0, v[4:5]
	flat_load_dword v4, v[4:5] offset:1024
.LBB1736_5:
	s_or_b64 exec, exec, s[4:5]
	v_or_b32_e32 v2, 0x200, v0
	v_cmp_gt_u32_e64 s[4:5], s3, v2
	v_mov_b32_e32 v5, v1
	s_and_saveexec_b64 s[6:7], s[4:5]
	s_cbranch_execz .LBB1736_7
; %bb.6:
	v_lshlrev_b32_e32 v6, 2, v0
	v_mov_b32_e32 v7, 0
	v_lshl_add_u64 v[6:7], s[70:71], 0, v[6:7]
	flat_load_dword v5, v[6:7] offset:2048
.LBB1736_7:
	;; [unrolled: 12-line block ×3, first 2 shown]
	s_or_b64 exec, exec, s[8:9]
	v_or_b32_e32 v10, 0x400, v0
	v_cmp_gt_u32_e64 s[8:9], s3, v10
	v_mov_b32_e32 v7, v1
	s_and_saveexec_b64 s[10:11], s[8:9]
	s_cbranch_execz .LBB1736_11
; %bb.10:
	v_lshlrev_b32_e32 v8, 2, v10
	v_mov_b32_e32 v9, 0
	v_lshl_add_u64 v[8:9], s[70:71], 0, v[8:9]
	flat_load_dword v7, v[8:9]
.LBB1736_11:
	s_or_b64 exec, exec, s[10:11]
	v_or_b32_e32 v11, 0x500, v0
	v_cmp_gt_u32_e64 s[10:11], s3, v11
	v_mov_b32_e32 v8, v1
	s_and_saveexec_b64 s[12:13], s[10:11]
	s_cbranch_execz .LBB1736_13
; %bb.12:
	v_lshlrev_b32_e32 v8, 2, v11
	v_mov_b32_e32 v9, 0
	v_lshl_add_u64 v[8:9], s[70:71], 0, v[8:9]
	flat_load_dword v8, v[8:9]
.LBB1736_13:
	;; [unrolled: 12-line block ×18, first 2 shown]
	s_or_b64 exec, exec, s[46:47]
	v_or_b32_e32 v28, 0x1600, v0
	v_cmp_gt_u32_e64 s[46:47], s3, v28
	s_and_saveexec_b64 s[50:51], s[46:47]
	s_cbranch_execz .LBB1736_47
; %bb.46:
	v_lshlrev_b32_e32 v44, 2, v28
	v_mov_b32_e32 v45, 0
	v_lshl_add_u64 v[44:45], s[70:71], 0, v[44:45]
	flat_load_dword v1, v[44:45]
.LBB1736_47:
	s_or_b64 exec, exec, s[50:51]
	v_lshlrev_b32_e32 v2, 2, v0
	s_waitcnt vmcnt(0) lgkmcnt(0)
	ds_write2st64_b32 v2, v3, v4 offset1:4
	ds_write2st64_b32 v2, v5, v6 offset0:8 offset1:12
	ds_write2st64_b32 v2, v7, v8 offset0:16 offset1:20
	;; [unrolled: 1-line block ×10, first 2 shown]
	ds_write_b32 v2, v1 offset:22528
	v_mov_b64_e32 v[4:5], s[70:71]
	s_waitcnt lgkmcnt(0)
	s_barrier
	flat_load_dword v1, v[4:5]
	s_movk_i32 s50, 0x58
	v_mad_u32_u24 v70, v0, s50, v2
	s_movk_i32 s50, 0xffa8
	v_mad_i32_i24 v3, v0, s50, v70
	s_movk_i32 s50, 0xff
	v_cmp_ne_u32_e64 s[50:51], s50, v0
	ds_read_b32 v72, v70
	ds_read2_b32 v[68:69], v70 offset0:1 offset1:2
	ds_read2_b32 v[66:67], v70 offset0:3 offset1:4
	;; [unrolled: 1-line block ×11, first 2 shown]
	s_waitcnt lgkmcnt(0)
	ds_write_b32 v3, v72 offset:24576
	s_waitcnt lgkmcnt(0)
	s_barrier
	s_and_saveexec_b64 s[60:61], s[50:51]
	s_cbranch_execz .LBB1736_49
; %bb.48:
	s_waitcnt vmcnt(0)
	ds_read_b32 v1, v2 offset:24580
.LBB1736_49:
	s_or_b64 exec, exec, s[60:61]
	v_mov_b32_e32 v3, 0
	s_waitcnt lgkmcnt(0)
	s_barrier
	s_waitcnt lgkmcnt(0)
                                        ; implicit-def: $vgpr29
	s_and_saveexec_b64 s[50:51], vcc
	s_cbranch_execz .LBB1736_72
; %bb.50:
	v_lshl_add_u64 v[30:31], s[52:53], 0, v[2:3]
	flat_load_dword v29, v[30:31]
	s_or_b64 exec, exec, s[50:51]
                                        ; implicit-def: $vgpr30
	s_and_saveexec_b64 s[50:51], s[48:49]
	s_cbranch_execnz .LBB1736_73
.LBB1736_51:
	s_or_b64 exec, exec, s[50:51]
                                        ; implicit-def: $vgpr31
	s_and_saveexec_b64 s[48:49], s[4:5]
	s_cbranch_execz .LBB1736_74
.LBB1736_52:
	v_mov_b32_e32 v3, 0
	v_lshl_add_u64 v[32:33], s[52:53], 0, v[2:3]
	flat_load_dword v31, v[32:33] offset:2048
	s_or_b64 exec, exec, s[48:49]
                                        ; implicit-def: $vgpr3
	s_and_saveexec_b64 s[4:5], s[6:7]
	s_cbranch_execnz .LBB1736_75
.LBB1736_53:
	s_or_b64 exec, exec, s[4:5]
                                        ; implicit-def: $vgpr32
	s_and_saveexec_b64 s[4:5], s[8:9]
	s_cbranch_execz .LBB1736_76
.LBB1736_54:
	v_lshlrev_b32_e32 v32, 2, v10
	v_mov_b32_e32 v33, 0
	v_lshl_add_u64 v[32:33], s[52:53], 0, v[32:33]
	flat_load_dword v32, v[32:33]
	s_or_b64 exec, exec, s[4:5]
                                        ; implicit-def: $vgpr10
	s_and_saveexec_b64 s[4:5], s[10:11]
	s_cbranch_execnz .LBB1736_77
.LBB1736_55:
	s_or_b64 exec, exec, s[4:5]
                                        ; implicit-def: $vgpr11
	s_and_saveexec_b64 s[4:5], s[12:13]
	s_cbranch_execz .LBB1736_78
.LBB1736_56:
	v_lshlrev_b32_e32 v34, 2, v12
	v_mov_b32_e32 v35, 0
	v_lshl_add_u64 v[34:35], s[52:53], 0, v[34:35]
	flat_load_dword v11, v[34:35]
	s_or_b64 exec, exec, s[4:5]
                                        ; implicit-def: $vgpr12
	s_and_saveexec_b64 s[4:5], s[14:15]
	s_cbranch_execnz .LBB1736_79
.LBB1736_57:
	s_or_b64 exec, exec, s[4:5]
                                        ; implicit-def: $vgpr13
	s_and_saveexec_b64 s[4:5], s[16:17]
	s_cbranch_execz .LBB1736_80
.LBB1736_58:
	v_lshlrev_b32_e32 v34, 2, v14
	v_mov_b32_e32 v35, 0
	v_lshl_add_u64 v[34:35], s[52:53], 0, v[34:35]
	flat_load_dword v13, v[34:35]
	s_or_b64 exec, exec, s[4:5]
                                        ; implicit-def: $vgpr14
	s_and_saveexec_b64 s[4:5], s[18:19]
	s_cbranch_execnz .LBB1736_81
.LBB1736_59:
	s_or_b64 exec, exec, s[4:5]
                                        ; implicit-def: $vgpr15
	s_and_saveexec_b64 s[4:5], s[20:21]
	s_cbranch_execz .LBB1736_82
.LBB1736_60:
	v_lshlrev_b32_e32 v34, 2, v16
	v_mov_b32_e32 v35, 0
	v_lshl_add_u64 v[34:35], s[52:53], 0, v[34:35]
	flat_load_dword v15, v[34:35]
	s_or_b64 exec, exec, s[4:5]
                                        ; implicit-def: $vgpr16
	s_and_saveexec_b64 s[4:5], s[22:23]
	s_cbranch_execnz .LBB1736_83
.LBB1736_61:
	s_or_b64 exec, exec, s[4:5]
                                        ; implicit-def: $vgpr17
	s_and_saveexec_b64 s[4:5], s[24:25]
	s_cbranch_execz .LBB1736_84
.LBB1736_62:
	v_lshlrev_b32_e32 v34, 2, v18
	v_mov_b32_e32 v35, 0
	v_lshl_add_u64 v[34:35], s[52:53], 0, v[34:35]
	flat_load_dword v17, v[34:35]
	s_or_b64 exec, exec, s[4:5]
                                        ; implicit-def: $vgpr18
	s_and_saveexec_b64 s[4:5], s[26:27]
	s_cbranch_execnz .LBB1736_85
.LBB1736_63:
	s_or_b64 exec, exec, s[4:5]
                                        ; implicit-def: $vgpr19
	s_and_saveexec_b64 s[4:5], s[28:29]
	s_cbranch_execz .LBB1736_86
.LBB1736_64:
	v_lshlrev_b32_e32 v34, 2, v20
	v_mov_b32_e32 v35, 0
	v_lshl_add_u64 v[34:35], s[52:53], 0, v[34:35]
	flat_load_dword v19, v[34:35]
	s_or_b64 exec, exec, s[4:5]
                                        ; implicit-def: $vgpr20
	s_and_saveexec_b64 s[4:5], s[30:31]
	s_cbranch_execnz .LBB1736_87
.LBB1736_65:
	s_or_b64 exec, exec, s[4:5]
                                        ; implicit-def: $vgpr21
	s_and_saveexec_b64 s[4:5], s[34:35]
	s_cbranch_execz .LBB1736_88
.LBB1736_66:
	v_lshlrev_b32_e32 v34, 2, v22
	v_mov_b32_e32 v35, 0
	v_lshl_add_u64 v[34:35], s[52:53], 0, v[34:35]
	flat_load_dword v21, v[34:35]
	s_or_b64 exec, exec, s[4:5]
                                        ; implicit-def: $vgpr22
	s_and_saveexec_b64 s[4:5], s[36:37]
	s_cbranch_execnz .LBB1736_89
.LBB1736_67:
	s_or_b64 exec, exec, s[4:5]
                                        ; implicit-def: $vgpr23
	s_and_saveexec_b64 s[4:5], s[38:39]
	s_cbranch_execz .LBB1736_90
.LBB1736_68:
	v_lshlrev_b32_e32 v34, 2, v24
	v_mov_b32_e32 v35, 0
	v_lshl_add_u64 v[34:35], s[52:53], 0, v[34:35]
	flat_load_dword v23, v[34:35]
	s_or_b64 exec, exec, s[4:5]
                                        ; implicit-def: $vgpr24
	s_and_saveexec_b64 s[4:5], s[40:41]
	s_cbranch_execnz .LBB1736_91
.LBB1736_69:
	s_or_b64 exec, exec, s[4:5]
                                        ; implicit-def: $vgpr25
	s_and_saveexec_b64 s[4:5], s[42:43]
	s_cbranch_execz .LBB1736_92
.LBB1736_70:
	v_lshlrev_b32_e32 v34, 2, v26
	v_mov_b32_e32 v35, 0
	v_lshl_add_u64 v[34:35], s[52:53], 0, v[34:35]
	flat_load_dword v25, v[34:35]
	s_or_b64 exec, exec, s[4:5]
                                        ; implicit-def: $vgpr26
	s_and_saveexec_b64 s[4:5], s[44:45]
	s_cbranch_execz .LBB1736_94
	s_branch .LBB1736_93
.LBB1736_71:
	s_mov_b64 s[10:11], 0
                                        ; implicit-def: $sgpr8_sgpr9
                                        ; implicit-def: $vgpr2
                                        ; implicit-def: $vgpr10_vgpr11
                                        ; implicit-def: $vgpr12_vgpr13
                                        ; implicit-def: $vgpr14_vgpr15
                                        ; implicit-def: $vgpr16_vgpr17
                                        ; implicit-def: $vgpr18_vgpr19
                                        ; implicit-def: $vgpr20_vgpr21
                                        ; implicit-def: $vgpr22_vgpr23
                                        ; implicit-def: $vgpr24_vgpr25
                                        ; implicit-def: $vgpr26_vgpr27
                                        ; implicit-def: $vgpr28_vgpr29
                                        ; implicit-def: $vgpr30_vgpr31
                                        ; implicit-def: $vgpr32_vgpr33
                                        ; implicit-def: $vgpr34_vgpr35
                                        ; implicit-def: $vgpr36_vgpr37
                                        ; implicit-def: $vgpr38_vgpr39
                                        ; implicit-def: $vgpr40_vgpr41
                                        ; implicit-def: $vgpr42_vgpr43
                                        ; implicit-def: $vgpr44_vgpr45
                                        ; implicit-def: $vgpr46_vgpr47
                                        ; implicit-def: $vgpr48_vgpr49
                                        ; implicit-def: $vgpr50_vgpr51
                                        ; implicit-def: $vgpr52_vgpr53
                                        ; implicit-def: $sgpr6_sgpr7
	s_and_b64 vcc, exec, s[4:5]
	v_lshlrev_b32_e32 v54, 2, v0
	s_cbranch_vccz .LBB1736_148
	s_branch .LBB1736_143
.LBB1736_72:
	s_or_b64 exec, exec, s[50:51]
                                        ; implicit-def: $vgpr30
	s_and_saveexec_b64 s[50:51], s[48:49]
	s_cbranch_execz .LBB1736_51
.LBB1736_73:
	v_mov_b32_e32 v3, 0
	v_lshl_add_u64 v[30:31], s[52:53], 0, v[2:3]
	flat_load_dword v30, v[30:31] offset:1024
	s_or_b64 exec, exec, s[50:51]
                                        ; implicit-def: $vgpr31
	s_and_saveexec_b64 s[48:49], s[4:5]
	s_cbranch_execnz .LBB1736_52
.LBB1736_74:
	s_or_b64 exec, exec, s[48:49]
                                        ; implicit-def: $vgpr3
	s_and_saveexec_b64 s[4:5], s[6:7]
	s_cbranch_execz .LBB1736_53
.LBB1736_75:
	v_mov_b32_e32 v3, 0
	v_lshl_add_u64 v[32:33], s[52:53], 0, v[2:3]
	flat_load_dword v3, v[32:33] offset:3072
	s_or_b64 exec, exec, s[4:5]
                                        ; implicit-def: $vgpr32
	s_and_saveexec_b64 s[4:5], s[8:9]
	s_cbranch_execnz .LBB1736_54
.LBB1736_76:
	s_or_b64 exec, exec, s[4:5]
                                        ; implicit-def: $vgpr10
	s_and_saveexec_b64 s[4:5], s[10:11]
	s_cbranch_execz .LBB1736_55
.LBB1736_77:
	v_lshlrev_b32_e32 v10, 2, v11
	v_mov_b32_e32 v11, 0
	v_lshl_add_u64 v[10:11], s[52:53], 0, v[10:11]
	flat_load_dword v10, v[10:11]
	s_or_b64 exec, exec, s[4:5]
                                        ; implicit-def: $vgpr11
	s_and_saveexec_b64 s[4:5], s[12:13]
	s_cbranch_execnz .LBB1736_56
.LBB1736_78:
	s_or_b64 exec, exec, s[4:5]
                                        ; implicit-def: $vgpr12
	s_and_saveexec_b64 s[4:5], s[14:15]
	s_cbranch_execz .LBB1736_57
.LBB1736_79:
	v_lshlrev_b32_e32 v12, 2, v13
	v_mov_b32_e32 v13, 0
	v_lshl_add_u64 v[12:13], s[52:53], 0, v[12:13]
	flat_load_dword v12, v[12:13]
	s_or_b64 exec, exec, s[4:5]
                                        ; implicit-def: $vgpr13
	s_and_saveexec_b64 s[4:5], s[16:17]
	s_cbranch_execnz .LBB1736_58
.LBB1736_80:
	s_or_b64 exec, exec, s[4:5]
                                        ; implicit-def: $vgpr14
	s_and_saveexec_b64 s[4:5], s[18:19]
	s_cbranch_execz .LBB1736_59
.LBB1736_81:
	v_lshlrev_b32_e32 v14, 2, v15
	v_mov_b32_e32 v15, 0
	v_lshl_add_u64 v[14:15], s[52:53], 0, v[14:15]
	flat_load_dword v14, v[14:15]
	s_or_b64 exec, exec, s[4:5]
                                        ; implicit-def: $vgpr15
	s_and_saveexec_b64 s[4:5], s[20:21]
	s_cbranch_execnz .LBB1736_60
.LBB1736_82:
	s_or_b64 exec, exec, s[4:5]
                                        ; implicit-def: $vgpr16
	s_and_saveexec_b64 s[4:5], s[22:23]
	s_cbranch_execz .LBB1736_61
.LBB1736_83:
	v_lshlrev_b32_e32 v16, 2, v17
	v_mov_b32_e32 v17, 0
	v_lshl_add_u64 v[16:17], s[52:53], 0, v[16:17]
	flat_load_dword v16, v[16:17]
	s_or_b64 exec, exec, s[4:5]
                                        ; implicit-def: $vgpr17
	s_and_saveexec_b64 s[4:5], s[24:25]
	s_cbranch_execnz .LBB1736_62
.LBB1736_84:
	s_or_b64 exec, exec, s[4:5]
                                        ; implicit-def: $vgpr18
	s_and_saveexec_b64 s[4:5], s[26:27]
	s_cbranch_execz .LBB1736_63
.LBB1736_85:
	v_lshlrev_b32_e32 v18, 2, v19
	v_mov_b32_e32 v19, 0
	v_lshl_add_u64 v[18:19], s[52:53], 0, v[18:19]
	flat_load_dword v18, v[18:19]
	s_or_b64 exec, exec, s[4:5]
                                        ; implicit-def: $vgpr19
	s_and_saveexec_b64 s[4:5], s[28:29]
	s_cbranch_execnz .LBB1736_64
.LBB1736_86:
	s_or_b64 exec, exec, s[4:5]
                                        ; implicit-def: $vgpr20
	s_and_saveexec_b64 s[4:5], s[30:31]
	s_cbranch_execz .LBB1736_65
.LBB1736_87:
	v_lshlrev_b32_e32 v20, 2, v21
	v_mov_b32_e32 v21, 0
	v_lshl_add_u64 v[20:21], s[52:53], 0, v[20:21]
	flat_load_dword v20, v[20:21]
	s_or_b64 exec, exec, s[4:5]
                                        ; implicit-def: $vgpr21
	s_and_saveexec_b64 s[4:5], s[34:35]
	s_cbranch_execnz .LBB1736_66
.LBB1736_88:
	s_or_b64 exec, exec, s[4:5]
                                        ; implicit-def: $vgpr22
	s_and_saveexec_b64 s[4:5], s[36:37]
	s_cbranch_execz .LBB1736_67
.LBB1736_89:
	v_lshlrev_b32_e32 v22, 2, v23
	v_mov_b32_e32 v23, 0
	v_lshl_add_u64 v[22:23], s[52:53], 0, v[22:23]
	flat_load_dword v22, v[22:23]
	s_or_b64 exec, exec, s[4:5]
                                        ; implicit-def: $vgpr23
	s_and_saveexec_b64 s[4:5], s[38:39]
	s_cbranch_execnz .LBB1736_68
.LBB1736_90:
	s_or_b64 exec, exec, s[4:5]
                                        ; implicit-def: $vgpr24
	s_and_saveexec_b64 s[4:5], s[40:41]
	s_cbranch_execz .LBB1736_69
.LBB1736_91:
	v_lshlrev_b32_e32 v24, 2, v25
	v_mov_b32_e32 v25, 0
	v_lshl_add_u64 v[24:25], s[52:53], 0, v[24:25]
	flat_load_dword v24, v[24:25]
	s_or_b64 exec, exec, s[4:5]
                                        ; implicit-def: $vgpr25
	s_and_saveexec_b64 s[4:5], s[42:43]
	s_cbranch_execnz .LBB1736_70
.LBB1736_92:
	s_or_b64 exec, exec, s[4:5]
                                        ; implicit-def: $vgpr26
	s_and_saveexec_b64 s[4:5], s[44:45]
	s_cbranch_execz .LBB1736_94
.LBB1736_93:
	v_lshlrev_b32_e32 v26, 2, v27
	v_mov_b32_e32 v27, 0
	v_lshl_add_u64 v[26:27], s[52:53], 0, v[26:27]
	flat_load_dword v26, v[26:27]
.LBB1736_94:
	s_or_b64 exec, exec, s[4:5]
	v_mul_u32_u24_e32 v71, 23, v0
                                        ; implicit-def: $vgpr27
	s_and_saveexec_b64 s[4:5], s[46:47]
	s_cbranch_execz .LBB1736_96
; %bb.95:
	v_lshlrev_b32_e32 v34, 2, v28
	v_mov_b32_e32 v35, 0
	v_lshl_add_u64 v[34:35], s[52:53], 0, v[34:35]
	flat_load_dword v27, v[34:35]
.LBB1736_96:
	s_or_b64 exec, exec, s[4:5]
	s_waitcnt vmcnt(0) lgkmcnt(0)
	ds_write2st64_b32 v2, v29, v30 offset1:4
	ds_write2st64_b32 v2, v31, v3 offset0:8 offset1:12
	ds_write2st64_b32 v2, v32, v10 offset0:16 offset1:20
	;; [unrolled: 1-line block ×10, first 2 shown]
	ds_write_b32 v2, v27 offset:22528
	v_mov_b64_e32 v[10:11], 0
	v_cmp_gt_u32_e32 vcc, s3, v71
	s_mov_b64 s[10:11], 0
	s_mov_b64 s[4:5], 0
	v_mov_b64_e32 v[12:13], v[10:11]
	v_mov_b64_e32 v[14:15], v[10:11]
	;; [unrolled: 1-line block ×21, first 2 shown]
	s_waitcnt lgkmcnt(0)
	s_barrier
	s_waitcnt lgkmcnt(0)
                                        ; implicit-def: $sgpr8_sgpr9
                                        ; implicit-def: $vgpr2
	s_and_saveexec_b64 s[6:7], vcc
	s_cbranch_execz .LBB1736_142
; %bb.97:
	ds_read_b32 v2, v70
	v_mov_b32_e32 v10, s76
	v_cmp_eq_u32_e32 vcc, v72, v68
	v_add_u32_e32 v3, 1, v71
	v_mov_b64_e32 v[12:13], 0
	s_waitcnt lgkmcnt(0)
	v_cndmask_b32_e32 v10, v10, v2, vcc
	v_cmp_ne_u32_e32 vcc, v72, v68
	s_mov_b64 s[12:13], 0
	v_mov_b64_e32 v[14:15], v[12:13]
	v_cndmask_b32_e64 v11, 0, 1, vcc
	v_cmp_gt_u32_e32 vcc, s3, v3
	v_mov_b64_e32 v[16:17], v[12:13]
	v_mov_b64_e32 v[18:19], v[12:13]
	;; [unrolled: 1-line block ×19, first 2 shown]
                                        ; implicit-def: $sgpr14_sgpr15
                                        ; implicit-def: $vgpr2
	s_and_saveexec_b64 s[8:9], vcc
	s_cbranch_execz .LBB1736_141
; %bb.98:
	ds_read2_b32 v[2:3], v70 offset0:1 offset1:2
	v_mov_b32_e32 v12, s76
	v_cmp_eq_u32_e32 vcc, v68, v69
	v_add_u32_e32 v14, 2, v71
	s_mov_b64 s[14:15], 0
	s_waitcnt lgkmcnt(0)
	v_cndmask_b32_e32 v12, v12, v2, vcc
	v_cmp_ne_u32_e32 vcc, v68, v69
                                        ; implicit-def: $sgpr16_sgpr17
                                        ; implicit-def: $vgpr2
	s_nop 1
	v_cndmask_b32_e64 v13, 0, 1, vcc
	v_cmp_gt_u32_e32 vcc, s3, v14
	v_mov_b64_e32 v[14:15], 0
	v_mov_b64_e32 v[16:17], v[14:15]
	;; [unrolled: 1-line block ×20, first 2 shown]
	s_and_saveexec_b64 s[10:11], vcc
	s_cbranch_execz .LBB1736_140
; %bb.99:
	v_mov_b32_e32 v14, s76
	v_cmp_eq_u32_e32 vcc, v69, v66
	v_add_u32_e32 v2, 3, v71
	v_mov_b64_e32 v[16:17], 0
	v_cndmask_b32_e32 v14, v14, v3, vcc
	v_cmp_ne_u32_e32 vcc, v69, v66
	s_mov_b64 s[16:17], 0
	v_mov_b64_e32 v[18:19], v[16:17]
	v_cndmask_b32_e64 v15, 0, 1, vcc
	v_cmp_gt_u32_e32 vcc, s3, v2
	v_mov_b64_e32 v[20:21], v[16:17]
	v_mov_b64_e32 v[22:23], v[16:17]
	v_mov_b64_e32 v[24:25], v[16:17]
	v_mov_b64_e32 v[26:27], v[16:17]
	v_mov_b64_e32 v[28:29], v[16:17]
	v_mov_b64_e32 v[30:31], v[16:17]
	v_mov_b64_e32 v[32:33], v[16:17]
	v_mov_b64_e32 v[34:35], v[16:17]
	v_mov_b64_e32 v[36:37], v[16:17]
	v_mov_b64_e32 v[38:39], v[16:17]
	v_mov_b64_e32 v[40:41], v[16:17]
	v_mov_b64_e32 v[42:43], v[16:17]
	v_mov_b64_e32 v[44:45], v[16:17]
	v_mov_b64_e32 v[46:47], v[16:17]
	v_mov_b64_e32 v[48:49], v[16:17]
	v_mov_b64_e32 v[50:51], v[16:17]
	v_mov_b64_e32 v[52:53], v[16:17]
                                        ; implicit-def: $sgpr18_sgpr19
                                        ; implicit-def: $vgpr2
	s_and_saveexec_b64 s[12:13], vcc
	s_cbranch_execz .LBB1736_139
; %bb.100:
	ds_read2_b32 v[2:3], v70 offset0:3 offset1:4
	v_mov_b32_e32 v16, s76
	v_cmp_eq_u32_e32 vcc, v66, v67
	v_add_u32_e32 v18, 4, v71
	s_mov_b64 s[18:19], 0
	s_waitcnt lgkmcnt(0)
	v_cndmask_b32_e32 v16, v16, v2, vcc
	v_cmp_ne_u32_e32 vcc, v66, v67
                                        ; implicit-def: $sgpr20_sgpr21
                                        ; implicit-def: $vgpr2
	s_nop 1
	v_cndmask_b32_e64 v17, 0, 1, vcc
	v_cmp_gt_u32_e32 vcc, s3, v18
	v_mov_b64_e32 v[18:19], 0
	v_mov_b64_e32 v[20:21], v[18:19]
	;; [unrolled: 1-line block ×18, first 2 shown]
	s_and_saveexec_b64 s[14:15], vcc
	s_cbranch_execz .LBB1736_138
; %bb.101:
	v_mov_b32_e32 v18, s76
	v_cmp_eq_u32_e32 vcc, v67, v64
	v_add_u32_e32 v2, 5, v71
	v_mov_b64_e32 v[20:21], 0
	v_cndmask_b32_e32 v18, v18, v3, vcc
	v_cmp_ne_u32_e32 vcc, v67, v64
	s_mov_b64 s[20:21], 0
	v_mov_b64_e32 v[22:23], v[20:21]
	v_cndmask_b32_e64 v19, 0, 1, vcc
	v_cmp_gt_u32_e32 vcc, s3, v2
	v_mov_b64_e32 v[24:25], v[20:21]
	v_mov_b64_e32 v[26:27], v[20:21]
	;; [unrolled: 1-line block ×15, first 2 shown]
                                        ; implicit-def: $sgpr22_sgpr23
                                        ; implicit-def: $vgpr2
	s_and_saveexec_b64 s[16:17], vcc
	s_cbranch_execz .LBB1736_137
; %bb.102:
	ds_read2_b32 v[2:3], v70 offset0:5 offset1:6
	v_mov_b32_e32 v20, s76
	v_cmp_eq_u32_e32 vcc, v64, v65
	v_add_u32_e32 v22, 6, v71
	s_mov_b64 s[22:23], 0
	s_waitcnt lgkmcnt(0)
	v_cndmask_b32_e32 v20, v20, v2, vcc
	v_cmp_ne_u32_e32 vcc, v64, v65
                                        ; implicit-def: $sgpr24_sgpr25
                                        ; implicit-def: $vgpr2
	s_nop 1
	v_cndmask_b32_e64 v21, 0, 1, vcc
	v_cmp_gt_u32_e32 vcc, s3, v22
	v_mov_b64_e32 v[22:23], 0
	v_mov_b64_e32 v[24:25], v[22:23]
	;; [unrolled: 1-line block ×16, first 2 shown]
	s_and_saveexec_b64 s[18:19], vcc
	s_cbranch_execz .LBB1736_136
; %bb.103:
	v_mov_b32_e32 v22, s76
	v_cmp_eq_u32_e32 vcc, v65, v62
	v_add_u32_e32 v2, 7, v71
	v_mov_b64_e32 v[24:25], 0
	v_cndmask_b32_e32 v22, v22, v3, vcc
	v_cmp_ne_u32_e32 vcc, v65, v62
	s_mov_b64 s[24:25], 0
	v_mov_b64_e32 v[26:27], v[24:25]
	v_cndmask_b32_e64 v23, 0, 1, vcc
	v_cmp_gt_u32_e32 vcc, s3, v2
	v_mov_b64_e32 v[28:29], v[24:25]
	v_mov_b64_e32 v[30:31], v[24:25]
	;; [unrolled: 1-line block ×13, first 2 shown]
                                        ; implicit-def: $sgpr26_sgpr27
                                        ; implicit-def: $vgpr2
	s_and_saveexec_b64 s[20:21], vcc
	s_cbranch_execz .LBB1736_135
; %bb.104:
	ds_read2_b32 v[2:3], v70 offset0:7 offset1:8
	v_mov_b32_e32 v24, s76
	v_cmp_eq_u32_e32 vcc, v62, v63
	v_add_u32_e32 v26, 8, v71
	s_mov_b64 s[26:27], 0
	s_waitcnt lgkmcnt(0)
	v_cndmask_b32_e32 v24, v24, v2, vcc
	v_cmp_ne_u32_e32 vcc, v62, v63
                                        ; implicit-def: $sgpr28_sgpr29
                                        ; implicit-def: $vgpr2
	s_nop 1
	v_cndmask_b32_e64 v25, 0, 1, vcc
	v_cmp_gt_u32_e32 vcc, s3, v26
	v_mov_b64_e32 v[26:27], 0
	v_mov_b64_e32 v[28:29], v[26:27]
	;; [unrolled: 1-line block ×14, first 2 shown]
	s_and_saveexec_b64 s[22:23], vcc
	s_cbranch_execz .LBB1736_134
; %bb.105:
	v_mov_b32_e32 v26, s76
	v_cmp_eq_u32_e32 vcc, v63, v60
	v_add_u32_e32 v2, 9, v71
	v_mov_b64_e32 v[28:29], 0
	v_cndmask_b32_e32 v26, v26, v3, vcc
	v_cmp_ne_u32_e32 vcc, v63, v60
	s_mov_b64 s[28:29], 0
	v_mov_b64_e32 v[30:31], v[28:29]
	v_cndmask_b32_e64 v27, 0, 1, vcc
	v_cmp_gt_u32_e32 vcc, s3, v2
	v_mov_b64_e32 v[32:33], v[28:29]
	v_mov_b64_e32 v[34:35], v[28:29]
	;; [unrolled: 1-line block ×11, first 2 shown]
                                        ; implicit-def: $sgpr30_sgpr31
                                        ; implicit-def: $vgpr2
	s_and_saveexec_b64 s[24:25], vcc
	s_cbranch_execz .LBB1736_133
; %bb.106:
	ds_read2_b32 v[2:3], v70 offset0:9 offset1:10
	v_mov_b32_e32 v28, s76
	v_cmp_eq_u32_e32 vcc, v60, v61
	v_add_u32_e32 v30, 10, v71
	s_mov_b64 s[30:31], 0
	s_waitcnt lgkmcnt(0)
	v_cndmask_b32_e32 v28, v28, v2, vcc
	v_cmp_ne_u32_e32 vcc, v60, v61
                                        ; implicit-def: $sgpr34_sgpr35
                                        ; implicit-def: $vgpr2
	s_nop 1
	v_cndmask_b32_e64 v29, 0, 1, vcc
	v_cmp_gt_u32_e32 vcc, s3, v30
	v_mov_b64_e32 v[30:31], 0
	v_mov_b64_e32 v[32:33], v[30:31]
	;; [unrolled: 1-line block ×12, first 2 shown]
	s_and_saveexec_b64 s[26:27], vcc
	s_cbranch_execz .LBB1736_132
; %bb.107:
	v_mov_b32_e32 v30, s76
	v_cmp_eq_u32_e32 vcc, v61, v58
	v_add_u32_e32 v2, 11, v71
	v_mov_b64_e32 v[32:33], 0
	v_cndmask_b32_e32 v30, v30, v3, vcc
	v_cmp_ne_u32_e32 vcc, v61, v58
	s_mov_b64 s[34:35], 0
	v_mov_b64_e32 v[34:35], v[32:33]
	v_cndmask_b32_e64 v31, 0, 1, vcc
	v_cmp_gt_u32_e32 vcc, s3, v2
	v_mov_b64_e32 v[36:37], v[32:33]
	v_mov_b64_e32 v[38:39], v[32:33]
	;; [unrolled: 1-line block ×9, first 2 shown]
                                        ; implicit-def: $sgpr36_sgpr37
                                        ; implicit-def: $vgpr2
	s_and_saveexec_b64 s[28:29], vcc
	s_cbranch_execz .LBB1736_131
; %bb.108:
	ds_read2_b32 v[2:3], v70 offset0:11 offset1:12
	v_mov_b32_e32 v32, s76
	v_cmp_eq_u32_e32 vcc, v58, v59
	v_add_u32_e32 v34, 12, v71
	s_mov_b64 s[36:37], 0
	s_waitcnt lgkmcnt(0)
	v_cndmask_b32_e32 v32, v32, v2, vcc
	v_cmp_ne_u32_e32 vcc, v58, v59
                                        ; implicit-def: $sgpr38_sgpr39
                                        ; implicit-def: $vgpr2
	s_nop 1
	v_cndmask_b32_e64 v33, 0, 1, vcc
	v_cmp_gt_u32_e32 vcc, s3, v34
	v_mov_b64_e32 v[34:35], 0
	v_mov_b64_e32 v[36:37], v[34:35]
	;; [unrolled: 1-line block ×10, first 2 shown]
	s_and_saveexec_b64 s[30:31], vcc
	s_cbranch_execz .LBB1736_130
; %bb.109:
	v_mov_b32_e32 v34, s76
	v_cmp_eq_u32_e32 vcc, v59, v56
	v_add_u32_e32 v2, 13, v71
	v_mov_b64_e32 v[36:37], 0
	v_cndmask_b32_e32 v34, v34, v3, vcc
	v_cmp_ne_u32_e32 vcc, v59, v56
	s_mov_b64 s[38:39], 0
	v_mov_b64_e32 v[38:39], v[36:37]
	v_cndmask_b32_e64 v35, 0, 1, vcc
	v_cmp_gt_u32_e32 vcc, s3, v2
	v_mov_b64_e32 v[40:41], v[36:37]
	v_mov_b64_e32 v[42:43], v[36:37]
	;; [unrolled: 1-line block ×7, first 2 shown]
                                        ; implicit-def: $sgpr40_sgpr41
                                        ; implicit-def: $vgpr2
	s_and_saveexec_b64 s[34:35], vcc
	s_cbranch_execz .LBB1736_129
; %bb.110:
	ds_read2_b32 v[2:3], v70 offset0:13 offset1:14
	v_mov_b32_e32 v36, s76
	v_cmp_eq_u32_e32 vcc, v56, v57
	v_add_u32_e32 v38, 14, v71
	s_mov_b64 s[40:41], 0
	s_waitcnt lgkmcnt(0)
	v_cndmask_b32_e32 v36, v36, v2, vcc
	v_cmp_ne_u32_e32 vcc, v56, v57
                                        ; implicit-def: $sgpr42_sgpr43
                                        ; implicit-def: $vgpr2
	s_nop 1
	v_cndmask_b32_e64 v37, 0, 1, vcc
	v_cmp_gt_u32_e32 vcc, s3, v38
	v_mov_b64_e32 v[38:39], 0
	v_mov_b64_e32 v[40:41], v[38:39]
	v_mov_b64_e32 v[42:43], v[38:39]
	v_mov_b64_e32 v[44:45], v[38:39]
	v_mov_b64_e32 v[46:47], v[38:39]
	v_mov_b64_e32 v[48:49], v[38:39]
	v_mov_b64_e32 v[50:51], v[38:39]
	v_mov_b64_e32 v[52:53], v[38:39]
	s_and_saveexec_b64 s[36:37], vcc
	s_cbranch_execz .LBB1736_128
; %bb.111:
	v_mov_b32_e32 v38, s76
	v_cmp_eq_u32_e32 vcc, v57, v54
	v_add_u32_e32 v2, 15, v71
	v_mov_b64_e32 v[40:41], 0
	v_cndmask_b32_e32 v38, v38, v3, vcc
	v_cmp_ne_u32_e32 vcc, v57, v54
	s_mov_b64 s[42:43], 0
	v_mov_b64_e32 v[42:43], v[40:41]
	v_cndmask_b32_e64 v39, 0, 1, vcc
	v_cmp_gt_u32_e32 vcc, s3, v2
	v_mov_b64_e32 v[44:45], v[40:41]
	v_mov_b64_e32 v[46:47], v[40:41]
	;; [unrolled: 1-line block ×5, first 2 shown]
                                        ; implicit-def: $sgpr44_sgpr45
                                        ; implicit-def: $vgpr2
	s_and_saveexec_b64 s[38:39], vcc
	s_cbranch_execz .LBB1736_127
; %bb.112:
	ds_read2_b32 v[2:3], v70 offset0:15 offset1:16
	v_mov_b32_e32 v40, s76
	v_cmp_eq_u32_e32 vcc, v54, v55
	v_add_u32_e32 v42, 16, v71
	s_mov_b64 s[44:45], 0
	s_waitcnt lgkmcnt(0)
	v_cndmask_b32_e32 v40, v40, v2, vcc
	v_cmp_ne_u32_e32 vcc, v54, v55
                                        ; implicit-def: $sgpr46_sgpr47
                                        ; implicit-def: $vgpr2
	s_nop 1
	v_cndmask_b32_e64 v41, 0, 1, vcc
	v_cmp_gt_u32_e32 vcc, s3, v42
	v_mov_b64_e32 v[42:43], 0
	v_mov_b64_e32 v[44:45], v[42:43]
	;; [unrolled: 1-line block ×6, first 2 shown]
	s_and_saveexec_b64 s[40:41], vcc
	s_cbranch_execz .LBB1736_126
; %bb.113:
	v_mov_b32_e32 v42, s76
	v_cmp_eq_u32_e32 vcc, v55, v8
	v_add_u32_e32 v2, 17, v71
	v_mov_b64_e32 v[44:45], 0
	v_cndmask_b32_e32 v42, v42, v3, vcc
	v_cmp_ne_u32_e32 vcc, v55, v8
	s_mov_b64 s[46:47], 0
	v_mov_b64_e32 v[46:47], v[44:45]
	v_cndmask_b32_e64 v43, 0, 1, vcc
	v_cmp_gt_u32_e32 vcc, s3, v2
	v_mov_b64_e32 v[48:49], v[44:45]
	v_mov_b64_e32 v[50:51], v[44:45]
	;; [unrolled: 1-line block ×3, first 2 shown]
                                        ; implicit-def: $sgpr48_sgpr49
                                        ; implicit-def: $vgpr2
	s_and_saveexec_b64 s[42:43], vcc
	s_cbranch_execz .LBB1736_125
; %bb.114:
	ds_read2_b32 v[2:3], v70 offset0:17 offset1:18
	v_mov_b32_e32 v44, s76
	v_cmp_eq_u32_e32 vcc, v8, v9
	v_add_u32_e32 v46, 18, v71
	s_mov_b64 s[48:49], 0
	s_waitcnt lgkmcnt(0)
	v_cndmask_b32_e32 v44, v44, v2, vcc
	v_cmp_ne_u32_e32 vcc, v8, v9
                                        ; implicit-def: $sgpr50_sgpr51
                                        ; implicit-def: $vgpr2
	s_nop 1
	v_cndmask_b32_e64 v45, 0, 1, vcc
	v_cmp_gt_u32_e32 vcc, s3, v46
	v_mov_b64_e32 v[46:47], 0
	v_mov_b64_e32 v[48:49], v[46:47]
	;; [unrolled: 1-line block ×4, first 2 shown]
	s_and_saveexec_b64 s[44:45], vcc
	s_cbranch_execz .LBB1736_124
; %bb.115:
	v_mov_b32_e32 v8, s76
	v_cmp_eq_u32_e32 vcc, v9, v6
	v_add_u32_e32 v2, 19, v71
	v_mov_b64_e32 v[48:49], 0
	v_cndmask_b32_e32 v46, v8, v3, vcc
	v_cmp_ne_u32_e32 vcc, v9, v6
	s_mov_b64 s[50:51], 0
	v_mov_b64_e32 v[50:51], v[48:49]
	v_cndmask_b32_e64 v47, 0, 1, vcc
	v_cmp_gt_u32_e32 vcc, s3, v2
	v_mov_b64_e32 v[52:53], v[48:49]
                                        ; implicit-def: $sgpr60_sgpr61
                                        ; implicit-def: $vgpr2
	s_and_saveexec_b64 s[46:47], vcc
	s_cbranch_execz .LBB1736_123
; %bb.116:
	ds_read2_b32 v[2:3], v70 offset0:19 offset1:20
	v_mov_b32_e32 v9, s76
	v_cmp_eq_u32_e32 vcc, v6, v7
	v_add_u32_e32 v8, 20, v71
	v_mov_b64_e32 v[50:51], 0
	s_waitcnt lgkmcnt(0)
	v_cndmask_b32_e32 v48, v9, v2, vcc
	v_cmp_ne_u32_e32 vcc, v6, v7
	s_mov_b64 s[60:61], 0
	v_mov_b64_e32 v[52:53], v[50:51]
	v_cndmask_b32_e64 v49, 0, 1, vcc
	v_cmp_gt_u32_e32 vcc, s3, v8
                                        ; implicit-def: $sgpr72_sgpr73
                                        ; implicit-def: $vgpr2
	s_and_saveexec_b64 s[48:49], vcc
	s_cbranch_execz .LBB1736_122
; %bb.117:
	v_mov_b32_e32 v6, s76
	v_cmp_eq_u32_e32 vcc, v7, v4
	v_add_u32_e32 v2, 21, v71
	v_mov_b64_e32 v[52:53], 0
	v_cndmask_b32_e32 v50, v6, v3, vcc
	v_cmp_ne_u32_e32 vcc, v7, v4
                                        ; implicit-def: $sgpr72_sgpr73
	s_nop 1
	v_cndmask_b32_e64 v51, 0, 1, vcc
	v_cmp_gt_u32_e32 vcc, s3, v2
                                        ; implicit-def: $vgpr2
	s_and_saveexec_b64 s[50:51], vcc
	s_cbranch_execz .LBB1736_121
; %bb.118:
	ds_read2_b32 v[2:3], v70 offset0:21 offset1:22
	v_mov_b32_e32 v7, s76
	v_cmp_eq_u32_e32 vcc, v4, v5
	v_add_u32_e32 v6, 22, v71
                                        ; implicit-def: $sgpr72_sgpr73
	s_waitcnt lgkmcnt(0)
	v_cndmask_b32_e32 v52, v7, v2, vcc
	v_cmp_ne_u32_e32 vcc, v4, v5
                                        ; implicit-def: $vgpr2
	s_nop 1
	v_cndmask_b32_e64 v53, 0, 1, vcc
	v_cmp_gt_u32_e32 vcc, s3, v6
	s_and_saveexec_b64 s[74:75], vcc
	s_xor_b64 s[74:75], exec, s[74:75]
; %bb.119:
	v_mov_b32_e32 v2, s76
	v_cmp_ne_u32_e32 vcc, v5, v1
	s_mov_b64 s[60:61], exec
	s_and_b64 s[72:73], vcc, exec
	v_cndmask_b32_e32 v2, v3, v2, vcc
; %bb.120:
	s_or_b64 exec, exec, s[74:75]
	s_and_b64 s[72:73], s[72:73], exec
	s_and_b64 s[60:61], s[60:61], exec
.LBB1736_121:
	s_or_b64 exec, exec, s[50:51]
	s_and_b64 s[72:73], s[72:73], exec
	s_and_b64 s[50:51], s[60:61], exec
.LBB1736_122:
	s_or_b64 exec, exec, s[48:49]
	s_and_b64 s[60:61], s[72:73], exec
	s_and_b64 s[48:49], s[50:51], exec
.LBB1736_123:
	s_or_b64 exec, exec, s[46:47]
	s_and_b64 s[50:51], s[60:61], exec
	s_and_b64 s[46:47], s[48:49], exec
.LBB1736_124:
	s_or_b64 exec, exec, s[44:45]
	s_and_b64 s[48:49], s[50:51], exec
	s_and_b64 s[44:45], s[46:47], exec
.LBB1736_125:
	s_or_b64 exec, exec, s[42:43]
	s_and_b64 s[46:47], s[48:49], exec
	s_and_b64 s[42:43], s[44:45], exec
.LBB1736_126:
	s_or_b64 exec, exec, s[40:41]
	s_and_b64 s[44:45], s[46:47], exec
	s_and_b64 s[40:41], s[42:43], exec
.LBB1736_127:
	s_or_b64 exec, exec, s[38:39]
	s_and_b64 s[42:43], s[44:45], exec
	s_and_b64 s[38:39], s[40:41], exec
.LBB1736_128:
	s_or_b64 exec, exec, s[36:37]
	s_and_b64 s[40:41], s[42:43], exec
	s_and_b64 s[36:37], s[38:39], exec
.LBB1736_129:
	s_or_b64 exec, exec, s[34:35]
	s_and_b64 s[38:39], s[40:41], exec
	s_and_b64 s[34:35], s[36:37], exec
.LBB1736_130:
	s_or_b64 exec, exec, s[30:31]
	s_and_b64 s[36:37], s[38:39], exec
	s_and_b64 s[30:31], s[34:35], exec
.LBB1736_131:
	s_or_b64 exec, exec, s[28:29]
	s_and_b64 s[34:35], s[36:37], exec
	s_and_b64 s[28:29], s[30:31], exec
.LBB1736_132:
	s_or_b64 exec, exec, s[26:27]
	s_and_b64 s[30:31], s[34:35], exec
	s_and_b64 s[26:27], s[28:29], exec
.LBB1736_133:
	s_or_b64 exec, exec, s[24:25]
	s_and_b64 s[28:29], s[30:31], exec
	s_and_b64 s[24:25], s[26:27], exec
.LBB1736_134:
	s_or_b64 exec, exec, s[22:23]
	s_and_b64 s[26:27], s[28:29], exec
	s_and_b64 s[22:23], s[24:25], exec
.LBB1736_135:
	s_or_b64 exec, exec, s[20:21]
	s_and_b64 s[24:25], s[26:27], exec
	s_and_b64 s[20:21], s[22:23], exec
.LBB1736_136:
	s_or_b64 exec, exec, s[18:19]
	s_and_b64 s[22:23], s[24:25], exec
	s_and_b64 s[18:19], s[20:21], exec
.LBB1736_137:
	s_or_b64 exec, exec, s[16:17]
	s_and_b64 s[20:21], s[22:23], exec
	s_and_b64 s[16:17], s[18:19], exec
.LBB1736_138:
	s_or_b64 exec, exec, s[14:15]
	s_and_b64 s[18:19], s[20:21], exec
	s_and_b64 s[14:15], s[16:17], exec
.LBB1736_139:
	s_or_b64 exec, exec, s[12:13]
	s_and_b64 s[16:17], s[18:19], exec
	s_and_b64 s[12:13], s[14:15], exec
.LBB1736_140:
	s_or_b64 exec, exec, s[10:11]
	s_and_b64 s[14:15], s[16:17], exec
	s_and_b64 s[10:11], s[12:13], exec
.LBB1736_141:
	s_or_b64 exec, exec, s[8:9]
	s_and_b64 s[8:9], s[14:15], exec
	s_and_b64 s[10:11], s[10:11], exec
.LBB1736_142:
	s_or_b64 exec, exec, s[6:7]
	s_mov_b64 s[6:7], 0
	s_and_b64 vcc, exec, s[4:5]
	v_lshlrev_b32_e32 v54, 2, v0
	s_cbranch_vccz .LBB1736_148
.LBB1736_143:
	v_mov_b32_e32 v55, 0
	v_lshl_add_u64 v[2:3], s[70:71], 0, v[54:55]
	v_add_co_u32_e32 v4, vcc, 0x1000, v2
	s_movk_i32 s6, 0x58
	s_nop 0
	v_addc_co_u32_e32 v5, vcc, 0, v3, vcc
	flat_load_dword v1, v[2:3]
	flat_load_dword v8, v[2:3] offset:1024
	flat_load_dword v9, v[2:3] offset:2048
	;; [unrolled: 1-line block ×3, first 2 shown]
	flat_load_dword v11, v[4:5]
	flat_load_dword v12, v[4:5] offset:1024
	flat_load_dword v13, v[4:5] offset:2048
	;; [unrolled: 1-line block ×3, first 2 shown]
	v_add_co_u32_e32 v4, vcc, 0x2000, v2
	s_movk_i32 s10, 0x1000
	s_nop 0
	v_addc_co_u32_e32 v5, vcc, 0, v3, vcc
	v_add_co_u32_e32 v6, vcc, 0x3000, v2
	s_mov_b32 s4, 0
	s_nop 0
	v_addc_co_u32_e32 v7, vcc, 0, v3, vcc
	flat_load_dword v15, v[4:5]
	flat_load_dword v16, v[4:5] offset:1024
	flat_load_dword v17, v[4:5] offset:2048
	;; [unrolled: 1-line block ×3, first 2 shown]
	flat_load_dword v19, v[6:7]
	flat_load_dword v20, v[6:7] offset:1024
	flat_load_dword v21, v[6:7] offset:2048
	;; [unrolled: 1-line block ×3, first 2 shown]
	v_add_co_u32_e32 v4, vcc, 0x4000, v2
	s_movk_i32 s9, 0x2000
	s_nop 0
	v_addc_co_u32_e32 v5, vcc, 0, v3, vcc
	v_add_co_u32_e32 v2, vcc, 0x5000, v2
	s_movk_i32 s8, 0x3000
	s_nop 0
	v_addc_co_u32_e32 v3, vcc, 0, v3, vcc
	flat_load_dword v6, v[4:5]
	flat_load_dword v7, v[4:5] offset:1024
	flat_load_dword v23, v[4:5] offset:2048
	;; [unrolled: 1-line block ×3, first 2 shown]
	flat_load_dword v25, v[2:3]
	flat_load_dword v26, v[2:3] offset:1024
	flat_load_dword v27, v[2:3] offset:2048
	v_mov_b32_e32 v2, s70
	v_mov_b32_e32 v3, s71
	v_add_co_u32_e32 v2, vcc, 0x5000, v2
	s_movk_i32 s5, 0x4000
	s_nop 0
	v_addc_co_u32_e32 v3, vcc, 0, v3, vcc
	s_movk_i32 s3, 0x5000
	s_waitcnt vmcnt(0) lgkmcnt(0)
	ds_write2st64_b32 v54, v1, v8 offset1:4
	ds_write2st64_b32 v54, v9, v10 offset0:8 offset1:12
	ds_write2st64_b32 v54, v11, v12 offset0:16 offset1:20
	;; [unrolled: 1-line block ×10, first 2 shown]
	ds_write_b32 v54, v27 offset:22528
	s_waitcnt lgkmcnt(0)
	s_barrier
	flat_load_dword v1, v[2:3] offset:3072
	v_mad_u32_u24 v12, v0, s6, v54
	s_movk_i32 s6, 0xffa8
	v_mad_i32_i24 v11, v0, s6, v12
	s_movk_i32 s6, 0xff
	v_cmp_ne_u32_e32 vcc, s6, v0
	ds_read_b32 v10, v12
	ds_read2_b32 v[14:15], v12 offset0:1 offset1:2
	ds_read2_b32 v[18:19], v12 offset0:3 offset1:4
	;; [unrolled: 1-line block ×11, first 2 shown]
	s_waitcnt lgkmcnt(0)
	ds_write_b32 v11, v10 offset:24576
	s_waitcnt lgkmcnt(0)
	s_barrier
	s_and_saveexec_b64 s[6:7], vcc
	s_cbranch_execz .LBB1736_145
; %bb.144:
	s_waitcnt vmcnt(0)
	ds_read_b32 v1, v54 offset:24580
.LBB1736_145:
	s_or_b64 exec, exec, s[6:7]
	v_lshl_add_u64 v[16:17], s[52:53], 0, v[54:55]
	v_add_co_u32_e32 v20, vcc, s10, v16
	s_waitcnt lgkmcnt(0)
	s_nop 0
	v_addc_co_u32_e32 v21, vcc, 0, v17, vcc
	s_barrier
	flat_load_dword v11, v[16:17]
	flat_load_dword v13, v[16:17] offset:1024
	flat_load_dword v28, v[16:17] offset:2048
	;; [unrolled: 1-line block ×3, first 2 shown]
	flat_load_dword v32, v[20:21]
	flat_load_dword v33, v[20:21] offset:1024
	flat_load_dword v36, v[20:21] offset:2048
	;; [unrolled: 1-line block ×3, first 2 shown]
	v_add_co_u32_e32 v20, vcc, s9, v16
	s_nop 1
	v_addc_co_u32_e32 v21, vcc, 0, v17, vcc
	v_add_co_u32_e32 v24, vcc, s8, v16
	s_nop 1
	v_addc_co_u32_e32 v25, vcc, 0, v17, vcc
	flat_load_dword v40, v[20:21]
	flat_load_dword v41, v[20:21] offset:1024
	flat_load_dword v42, v[20:21] offset:2048
	flat_load_dword v43, v[20:21] offset:3072
	flat_load_dword v44, v[24:25]
	flat_load_dword v45, v[24:25] offset:1024
	flat_load_dword v46, v[24:25] offset:2048
	;; [unrolled: 1-line block ×3, first 2 shown]
	v_add_co_u32_e32 v20, vcc, s5, v16
	s_mov_b32 s5, 1
	s_nop 0
	v_addc_co_u32_e32 v21, vcc, 0, v17, vcc
	v_add_co_u32_e32 v16, vcc, s3, v16
	s_nop 1
	v_addc_co_u32_e32 v17, vcc, 0, v17, vcc
	flat_load_dword v24, v[20:21]
	flat_load_dword v25, v[20:21] offset:1024
	flat_load_dword v48, v[20:21] offset:2048
	;; [unrolled: 1-line block ×3, first 2 shown]
	flat_load_dword v50, v[16:17]
	flat_load_dword v51, v[16:17] offset:1024
	flat_load_dword v52, v[16:17] offset:2048
	v_cmp_eq_u32_e32 vcc, v10, v14
	s_waitcnt vmcnt(0) lgkmcnt(0)
	ds_write2st64_b32 v54, v11, v13 offset1:4
	ds_write2st64_b32 v54, v28, v29 offset0:8 offset1:12
	ds_write2st64_b32 v54, v32, v33 offset0:16 offset1:20
	;; [unrolled: 1-line block ×10, first 2 shown]
	ds_write_b32 v54, v52 offset:22528
	s_waitcnt lgkmcnt(0)
	s_barrier
	ds_read2_b32 v[16:17], v12 offset0:1 offset1:2
	ds_read2_b32 v[20:21], v12 offset0:3 offset1:4
	;; [unrolled: 1-line block ×11, first 2 shown]
	v_mov_b64_e32 v[10:11], s[4:5]
	v_mov_b32_e32 v13, s76
	s_and_saveexec_b64 s[4:5], vcc
	s_cbranch_execz .LBB1736_147
; %bb.146:
	ds_read_b32 v13, v12
	v_mov_b64_e32 v[10:11], 0
.LBB1736_147:
	s_or_b64 exec, exec, s[4:5]
	v_mov_b32_e32 v55, s76
	v_cmp_eq_u32_e32 vcc, v14, v15
	s_waitcnt lgkmcnt(0)
	v_or_b32_e32 v10, v10, v13
	v_cmp_ne_u32_e64 s[8:9], v3, v1
	v_cndmask_b32_e32 v12, v55, v16, vcc
	v_cmp_ne_u32_e32 vcc, v14, v15
	s_mov_b64 s[10:11], -1
                                        ; implicit-def: $sgpr6_sgpr7
	s_nop 0
	v_cndmask_b32_e64 v13, 0, 1, vcc
	v_cmp_eq_u32_e32 vcc, v15, v18
	s_nop 1
	v_cndmask_b32_e32 v14, v55, v17, vcc
	v_cmp_ne_u32_e32 vcc, v15, v18
	s_nop 1
	v_cndmask_b32_e64 v15, 0, 1, vcc
	v_cmp_eq_u32_e32 vcc, v18, v19
	s_nop 1
	v_cndmask_b32_e32 v16, v55, v20, vcc
	v_cmp_ne_u32_e32 vcc, v18, v19
	;; [unrolled: 6-line block ×20, first 2 shown]
	v_cndmask_b32_e64 v2, v57, v55, s[8:9]
	s_nop 0
	v_cndmask_b32_e64 v53, 0, 1, vcc
.LBB1736_148:
	v_mov_b64_e32 v[56:57], s[6:7]
	s_and_saveexec_b64 s[4:5], s[10:11]
; %bb.149:
	v_cndmask_b32_e64 v3, 0, 1, s[8:9]
	v_mov_b64_e32 v[56:57], v[2:3]
; %bb.150:
	s_or_b64 exec, exec, s[4:5]
	s_mov_b32 s46, 0
	s_cmp_lg_u32 s2, 0
	v_or_b32_e32 v55, v57, v53
	v_lshrrev_b32_e32 v1, 5, v0
	v_cmp_gt_u32_e32 vcc, 64, v0
	s_barrier
	s_cbranch_scc0 .LBB1736_189
; %bb.151:
	s_mov_b32 s47, 1
	v_cmp_gt_u64_e64 s[50:51], s[46:47], v[12:13]
	v_cmp_gt_u64_e64 s[4:5], s[46:47], v[14:15]
	v_cmp_gt_u64_e64 s[6:7], s[46:47], v[16:17]
	v_cndmask_b32_e64 v2, 0, v10, s[50:51]
	v_add_u32_e32 v2, v2, v12
	v_cndmask_b32_e64 v2, 0, v2, s[4:5]
	v_add_u32_e32 v2, v2, v14
	v_cndmask_b32_e64 v2, 0, v2, s[6:7]
	v_add_u32_e32 v2, v2, v16
	v_cmp_gt_u64_e64 s[8:9], s[46:47], v[18:19]
	v_cmp_gt_u64_e64 s[10:11], s[46:47], v[20:21]
	v_cmp_gt_u64_e64 s[12:13], s[46:47], v[22:23]
	v_cndmask_b32_e64 v2, 0, v2, s[8:9]
	v_add_u32_e32 v2, v2, v18
	v_cndmask_b32_e64 v2, 0, v2, s[10:11]
	v_add_u32_e32 v2, v2, v20
	v_cndmask_b32_e64 v2, 0, v2, s[12:13]
	v_add_u32_e32 v2, v2, v22
	;; [unrolled: 9-line block ×7, first 2 shown]
	v_cmp_gt_u64_e64 s[46:47], s[46:47], v[56:57]
	s_nop 1
	v_cndmask_b32_e64 v2, 0, v2, s[46:47]
	v_add_u32_e32 v62, v2, v56
	v_or3_b32 v2, v55, v51, v49
	v_or3_b32 v2, v2, v47, v45
	;; [unrolled: 1-line block ×10, first 2 shown]
	v_and_b32_e32 v2, 1, v2
	v_cmp_eq_u32_e64 s[46:47], 1, v2
	v_add_lshl_u32 v2, v1, v0, 3
	s_nop 0
	v_cndmask_b32_e64 v63, v11, 1, s[46:47]
	ds_write_b32 v2, v62
	ds_write_b8 v2, v63 offset:4
	s_waitcnt lgkmcnt(0)
	s_barrier
	s_and_saveexec_b64 s[48:49], vcc
	s_cbranch_execz .LBB1736_163
; %bb.152:
	v_lshrrev_b32_e32 v2, 3, v0
	v_add_lshl_u32 v4, v2, v54, 3
	ds_read2_b32 v[6:7], v4 offset0:2 offset1:4
	ds_read_b64 v[2:3], v4
	ds_read_u8 v8, v4 offset:12
	ds_read_u8 v9, v4 offset:20
	ds_read_b32 v58, v4 offset:24
	ds_read_u8 v59, v4 offset:28
	v_mov_b32_e32 v60, 0
	s_waitcnt lgkmcnt(3)
	v_cmp_eq_u16_sdwa s[46:47], v8, v60 src0_sel:BYTE_0 src1_sel:DWORD
	v_and_b32_e32 v5, 1, v3
	s_nop 0
	v_cndmask_b32_e64 v61, 0, v2, s[46:47]
	v_add_u32_e32 v6, v61, v6
	s_waitcnt lgkmcnt(2)
	v_cmp_eq_u16_sdwa s[46:47], v9, v60 src0_sel:BYTE_0 src1_sel:DWORD
	s_nop 1
	v_cndmask_b32_e64 v6, 0, v6, s[46:47]
	v_add_u32_e32 v6, v6, v7
	s_waitcnt lgkmcnt(0)
	v_cmp_eq_u16_e64 s[46:47], 0, v59
	s_nop 1
	v_cndmask_b32_e64 v6, 0, v6, s[46:47]
	v_add_u32_e32 v7, v6, v58
	v_or_b32_e32 v6, v59, v9
	v_or_b32_e32 v6, v6, v8
	v_and_b32_e32 v6, 1, v6
	v_cmp_eq_u32_e64 s[46:47], 1, v6
	v_mbcnt_lo_u32_b32 v8, -1, 0
	v_and_b32_e32 v6, 0xffffff00, v3
	v_cndmask_b32_e64 v9, v5, 1, s[46:47]
	v_mbcnt_hi_u32_b32 v8, -1, v8
	v_and_b32_e32 v59, 15, v8
	v_or_b32_sdwa v58, v6, v9 dst_sel:DWORD dst_unused:UNUSED_PAD src0_sel:DWORD src1_sel:WORD_0
	v_mov_b32_dpp v60, v7 row_shr:1 row_mask:0xf bank_mask:0xf
	v_cmp_ne_u32_e64 s[46:47], 0, v59
	v_mov_b32_dpp v61, v58 row_shr:1 row_mask:0xf bank_mask:0xf
	s_and_saveexec_b64 s[52:53], s[46:47]
; %bb.153:
	v_and_b32_e32 v58, 1, v9
	v_and_b32_e32 v61, 1, v61
	v_cmp_eq_u32_e64 s[46:47], 1, v58
	s_nop 1
	v_cndmask_b32_e64 v61, v61, 1, s[46:47]
	v_cmp_eq_u16_e64 s[46:47], 0, v9
	v_or_b32_sdwa v58, v6, v61 dst_sel:DWORD dst_unused:UNUSED_PAD src0_sel:DWORD src1_sel:WORD_0
	s_nop 0
	v_cndmask_b32_e64 v9, 0, v60, s[46:47]
	v_add_u32_e32 v7, v9, v7
	v_mov_b32_e32 v9, v61
; %bb.154:
	s_or_b64 exec, exec, s[52:53]
	v_mov_b32_dpp v60, v7 row_shr:2 row_mask:0xf bank_mask:0xf
	v_mov_b32_dpp v61, v58 row_shr:2 row_mask:0xf bank_mask:0xf
	v_cmp_lt_u32_e64 s[46:47], 1, v59
	s_and_saveexec_b64 s[52:53], s[46:47]
; %bb.155:
	v_and_b32_e32 v58, 1, v9
	v_and_b32_e32 v61, 1, v61
	v_cmp_eq_u32_e64 s[46:47], 1, v58
	s_nop 1
	v_cndmask_b32_e64 v61, v61, 1, s[46:47]
	v_cmp_eq_u16_e64 s[46:47], 0, v9
	v_or_b32_sdwa v58, v6, v61 dst_sel:DWORD dst_unused:UNUSED_PAD src0_sel:DWORD src1_sel:WORD_0
	s_nop 0
	v_cndmask_b32_e64 v9, 0, v60, s[46:47]
	v_add_u32_e32 v7, v9, v7
	v_mov_b32_e32 v9, v61
; %bb.156:
	s_or_b64 exec, exec, s[52:53]
	v_mov_b32_dpp v60, v7 row_shr:4 row_mask:0xf bank_mask:0xf
	v_mov_b32_dpp v61, v58 row_shr:4 row_mask:0xf bank_mask:0xf
	v_cmp_lt_u32_e64 s[46:47], 3, v59
	;; [unrolled: 18-line block ×3, first 2 shown]
	s_and_saveexec_b64 s[52:53], s[46:47]
; %bb.159:
	v_and_b32_e32 v58, 1, v9
	v_and_b32_e32 v59, 1, v61
	v_cmp_eq_u32_e64 s[46:47], 1, v58
	s_nop 1
	v_cndmask_b32_e64 v59, v59, 1, s[46:47]
	v_cmp_eq_u16_e64 s[46:47], 0, v9
	v_or_b32_sdwa v58, v6, v59 dst_sel:DWORD dst_unused:UNUSED_PAD src0_sel:DWORD src1_sel:WORD_0
	s_nop 0
	v_cndmask_b32_e64 v9, 0, v60, s[46:47]
	v_add_u32_e32 v7, v9, v7
	v_mov_b32_e32 v9, v59
; %bb.160:
	s_or_b64 exec, exec, s[52:53]
	v_and_b32_e32 v61, 16, v8
	v_mov_b32_dpp v59, v7 row_bcast:15 row_mask:0xf bank_mask:0xf
	v_mov_b32_dpp v60, v58 row_bcast:15 row_mask:0xf bank_mask:0xf
	v_cmp_ne_u32_e64 s[46:47], 0, v61
	s_and_saveexec_b64 s[52:53], s[46:47]
; %bb.161:
	v_and_b32_e32 v58, 1, v9
	v_and_b32_e32 v60, 1, v60
	v_cmp_eq_u32_e64 s[46:47], 1, v58
	s_nop 1
	v_cndmask_b32_e64 v60, v60, 1, s[46:47]
	v_cmp_eq_u16_e64 s[46:47], 0, v9
	v_or_b32_sdwa v58, v6, v60 dst_sel:DWORD dst_unused:UNUSED_PAD src0_sel:DWORD src1_sel:WORD_0
	s_nop 0
	v_cndmask_b32_e64 v9, 0, v59, s[46:47]
	v_add_u32_e32 v7, v9, v7
	v_mov_b32_e32 v9, v60
; %bb.162:
	s_or_b64 exec, exec, s[52:53]
	v_mov_b32_dpp v58, v58 row_bcast:31 row_mask:0xf bank_mask:0xf
	v_and_b32_e32 v60, 1, v9
	v_and_b32_e32 v58, 1, v58
	v_cmp_eq_u32_e64 s[46:47], 1, v60
	v_mov_b32_e32 v60, 0
	v_cmp_eq_u16_sdwa s[52:53], v9, v60 src0_sel:BYTE_0 src1_sel:DWORD
	v_cndmask_b32_e64 v58, v58, 1, s[46:47]
	v_cmp_lt_u32_e64 s[46:47], 31, v8
	v_mov_b32_dpp v59, v7 row_bcast:31 row_mask:0xf bank_mask:0xf
	s_movk_i32 s3, 0xff
	v_cndmask_b32_e64 v9, v9, v58, s[46:47]
	s_and_b64 s[46:47], s[46:47], s[52:53]
	v_cndmask_b32_e64 v58, 0, v59, s[46:47]
	v_add_u32_e32 v7, v58, v7
	v_add_u32_e32 v58, -1, v8
	v_and_b32_e32 v59, 64, v8
	v_cmp_lt_i32_e64 s[46:47], v58, v59
	v_and_or_b32 v6, v9, s3, v6
	s_nop 0
	v_cndmask_b32_e64 v8, v58, v8, s[46:47]
	v_lshlrev_b32_e32 v8, 2, v8
	ds_bpermute_b32 v7, v8, v7
	ds_bpermute_b32 v6, v8, v6
	v_cmp_eq_u16_sdwa s[46:47], v3, v60 src0_sel:BYTE_0 src1_sel:DWORD
	; wave barrier
	s_waitcnt lgkmcnt(1)
	s_nop 0
	v_cndmask_b32_e64 v3, 0, v7, s[46:47]
	v_add_u32_e32 v2, v3, v2
	s_waitcnt lgkmcnt(0)
	v_and_b32_e32 v3, 1, v6
	v_cmp_eq_u32_e64 s[46:47], 1, v5
	s_nop 1
	v_cndmask_b32_e64 v3, v3, 1, s[46:47]
	v_cmp_eq_u32_e64 s[46:47], 0, v0
	s_nop 1
	v_cndmask_b32_e64 v5, v2, v62, s[46:47]
	v_cndmask_b32_e64 v6, v3, v63, s[46:47]
	ds_write_b32 v4, v5
	ds_write_b8 v4, v6 offset:4
	; wave barrier
	ds_read_u8 v7, v4 offset:12
	ds_read2_b32 v[2:3], v4 offset0:2 offset1:4
	ds_read_u8 v8, v4 offset:20
	ds_read_b32 v9, v4 offset:24
	ds_read_u8 v58, v4 offset:28
	s_waitcnt lgkmcnt(4)
	v_cmp_eq_u16_e64 s[46:47], 0, v7
	s_nop 1
	v_cndmask_b32_e64 v5, 0, v5, s[46:47]
	s_waitcnt lgkmcnt(3)
	v_add_u32_e32 v2, v5, v2
	v_and_b32_e32 v5, 1, v7
	v_cmp_eq_u32_e64 s[46:47], 1, v5
	s_nop 1
	v_cndmask_b32_e64 v5, v6, 1, s[46:47]
	s_waitcnt lgkmcnt(2)
	v_cmp_eq_u16_e64 s[46:47], 0, v8
	ds_write_b8 v4, v5 offset:12
	s_nop 0
	v_cndmask_b32_e64 v6, 0, v2, s[46:47]
	v_add_u32_e32 v3, v6, v3
	v_and_b32_e32 v6, 1, v8
	v_cmp_eq_u32_e64 s[46:47], 1, v6
	s_nop 1
	v_cndmask_b32_e64 v5, v5, 1, s[46:47]
	s_waitcnt lgkmcnt(1)
	v_cmp_eq_u16_e64 s[46:47], 0, v58
	ds_write2_b32 v4, v2, v3 offset0:2 offset1:4
	ds_write_b8 v4, v5 offset:20
	v_cndmask_b32_e64 v2, 0, v3, s[46:47]
	v_and_b32_e32 v3, 1, v58
	v_add_u32_e32 v2, v2, v9
	v_cmp_eq_u32_e64 s[46:47], 1, v3
	s_nop 1
	v_cndmask_b32_e64 v3, v5, 1, s[46:47]
	ds_write_b32 v4, v2 offset:24
	ds_write_b8 v4, v3 offset:28
.LBB1736_163:
	s_or_b64 exec, exec, s[48:49]
	v_cmp_eq_u32_e64 s[46:47], 0, v0
	v_cmp_ne_u32_e64 s[48:49], 0, v0
	s_waitcnt lgkmcnt(0)
	s_barrier
	s_and_saveexec_b64 s[52:53], s[48:49]
	s_cbranch_execz .LBB1736_165
; %bb.164:
	v_add_u32_e32 v2, -1, v0
	v_lshrrev_b32_e32 v3, 5, v2
	v_add_lshl_u32 v2, v3, v2, 3
	ds_read_b32 v62, v2
	ds_read_u8 v63, v2 offset:4
.LBB1736_165:
	s_or_b64 exec, exec, s[52:53]
	s_and_saveexec_b64 s[60:61], vcc
	s_cbranch_execz .LBB1736_188
; %bb.166:
	v_mov_b32_e32 v5, 0
	ds_read_b64 v[2:3], v5 offset:2096
	v_mbcnt_lo_u32_b32 v4, -1, 0
	v_mbcnt_hi_u32_b32 v73, -1, v4
	s_mov_b32 s71, 0
	v_cmp_eq_u32_e64 s[48:49], 0, v73
	s_waitcnt lgkmcnt(0)
	v_readfirstlane_b32 s3, v3
	s_and_saveexec_b64 s[52:53], s[48:49]
	s_cbranch_execz .LBB1736_168
; %bb.167:
	s_add_i32 s70, s2, 64
	s_lshl_b64 s[72:73], s[70:71], 4
	s_add_u32 s72, s56, s72
	s_addc_u32 s73, s57, s73
	s_and_b32 s75, s3, 0xff000000
	s_mov_b32 s74, s71
	s_and_b32 s79, s3, 0xff0000
	s_mov_b32 s78, s71
	s_or_b64 s[74:75], s[78:79], s[74:75]
	s_and_b32 s79, s3, 0xff00
	s_or_b64 s[74:75], s[74:75], s[78:79]
	s_and_b32 s79, s3, 0xff
	s_or_b64 s[70:71], s[74:75], s[78:79]
	v_mov_b32_e32 v3, s71
	v_mov_b32_e32 v4, 1
	v_mov_b64_e32 v[6:7], s[72:73]
	;;#ASMSTART
	global_store_dwordx4 v[6:7], v[2:5] off sc1	
s_waitcnt vmcnt(0)
	;;#ASMEND
.LBB1736_168:
	s_or_b64 exec, exec, s[52:53]
	v_xad_u32 v58, v73, -1, s2
	v_add_u32_e32 v4, 64, v58
	v_lshl_add_u64 v[60:61], v[4:5], 4, s[56:57]
	;;#ASMSTART
	global_load_dwordx4 v[6:9], v[60:61] off sc1	
s_waitcnt vmcnt(0)
	;;#ASMEND
	s_nop 0
	v_and_b32_e32 v3, 0xff0000, v6
	v_and_b32_e32 v4, 0xff000000, v6
	;; [unrolled: 1-line block ×3, first 2 shown]
	v_or_b32_sdwa v3, v6, v3 dst_sel:DWORD dst_unused:UNUSED_PAD src0_sel:WORD_0 src1_sel:DWORD
	v_or3_b32 v7, 0, 0, v7
	v_or3_b32 v6, v3, v4, 0
	v_cmp_eq_u16_sdwa s[70:71], v8, v5 src0_sel:BYTE_0 src1_sel:DWORD
	s_and_saveexec_b64 s[52:53], s[70:71]
	s_cbranch_execz .LBB1736_174
; %bb.169:
	s_mov_b32 s59, 1
	s_mov_b64 s[70:71], 0
	v_mov_b32_e32 v3, 0
.LBB1736_170:                           ; =>This Loop Header: Depth=1
                                        ;     Child Loop BB1736_171 Depth 2
	s_max_u32 s72, s59, 1
.LBB1736_171:                           ;   Parent Loop BB1736_170 Depth=1
                                        ; =>  This Inner Loop Header: Depth=2
	s_add_i32 s72, s72, -1
	s_cmp_eq_u32 s72, 0
	s_sleep 1
	s_cbranch_scc0 .LBB1736_171
; %bb.172:                              ;   in Loop: Header=BB1736_170 Depth=1
	s_cmp_lt_u32 s59, 32
	s_cselect_b64 s[72:73], -1, 0
	s_cmp_lg_u64 s[72:73], 0
	s_addc_u32 s59, s59, 0
	;;#ASMSTART
	global_load_dwordx4 v[6:9], v[60:61] off sc1	
s_waitcnt vmcnt(0)
	;;#ASMEND
	s_nop 0
	v_cmp_ne_u16_sdwa s[72:73], v8, v3 src0_sel:BYTE_0 src1_sel:DWORD
	s_or_b64 s[70:71], s[72:73], s[70:71]
	s_andn2_b64 exec, exec, s[70:71]
	s_cbranch_execnz .LBB1736_170
; %bb.173:
	s_or_b64 exec, exec, s[70:71]
	v_and_b32_e32 v7, 0xff, v7
.LBB1736_174:
	s_or_b64 exec, exec, s[52:53]
	v_mov_b32_e32 v3, 2
	v_cmp_eq_u16_sdwa s[52:53], v8, v3 src0_sel:BYTE_0 src1_sel:DWORD
	v_lshlrev_b64 v[4:5], v73, -1
	v_and_b32_e32 v64, 63, v73
	v_and_b32_e32 v9, s53, v5
	v_or_b32_e32 v9, 0x80000000, v9
	v_and_b32_e32 v59, s52, v4
	v_ffbl_b32_e32 v9, v9
	v_add_u32_e32 v9, 32, v9
	v_ffbl_b32_e32 v59, v59
	v_cmp_ne_u32_e32 vcc, 63, v64
	v_min_u32_e32 v9, v59, v9
	s_mov_b32 s70, 0
	v_addc_co_u32_e32 v59, vcc, 0, v73, vcc
	v_lshlrev_b32_e32 v65, 2, v59
	ds_bpermute_b32 v59, v65, v7
	ds_bpermute_b32 v60, v65, v6
	v_and_b32_e32 v61, 1, v7
	s_mov_b32 s71, 1
	v_cmp_eq_u32_e32 vcc, 1, v61
	s_waitcnt lgkmcnt(1)
	v_and_b32_e32 v59, 1, v59
	v_cmp_lt_u32_e64 s[52:53], v64, v9
	v_cndmask_b32_e64 v59, v59, 1, vcc
	v_cmp_gt_u64_e32 vcc, s[70:71], v[6:7]
	s_and_b64 vcc, s[52:53], vcc
	v_and_b32_e32 v61, 0xffff, v59
	v_cndmask_b32_e64 v68, v7, v59, s[52:53]
	s_waitcnt lgkmcnt(0)
	v_cndmask_b32_e32 v59, 0, v60, vcc
	v_cmp_gt_u32_e32 vcc, 62, v64
	v_cndmask_b32_e64 v7, v7, v61, s[52:53]
	v_add_u32_e32 v6, v59, v6
	v_cndmask_b32_e64 v60, 0, 1, vcc
	v_lshlrev_b32_e32 v60, 1, v60
	v_add_lshl_u32 v66, v60, v73, 2
	ds_bpermute_b32 v60, v66, v7
	ds_bpermute_b32 v61, v66, v6
	v_and_b32_e32 v59, 1, v68
	v_cmp_eq_u32_e32 vcc, 1, v59
	v_mov_b32_e32 v59, 0
	s_waitcnt lgkmcnt(1)
	v_and_b32_e32 v60, 1, v60
	v_add_u32_e32 v67, 2, v64
	v_cndmask_b32_e64 v60, v60, 1, vcc
	v_cmp_eq_u16_sdwa vcc, v68, v59 src0_sel:BYTE_0 src1_sel:DWORD
	v_and_b32_e32 v69, 0xffff, v60
	v_add_u32_e32 v77, 32, v64
	s_waitcnt lgkmcnt(0)
	v_cndmask_b32_e32 v61, 0, v61, vcc
	v_cmp_gt_u32_e32 vcc, v67, v9
	s_nop 1
	v_cndmask_b32_e32 v60, v60, v68, vcc
	v_cndmask_b32_e64 v61, v61, 0, vcc
	v_cndmask_b32_e32 v7, v69, v7, vcc
	v_cmp_gt_u32_e32 vcc, 60, v64
	v_add_u32_e32 v6, v61, v6
	v_and_b32_e32 v71, 1, v60
	v_cndmask_b32_e64 v68, 0, 1, vcc
	v_lshlrev_b32_e32 v68, 2, v68
	v_add_lshl_u32 v68, v68, v73, 2
	ds_bpermute_b32 v70, v68, v7
	ds_bpermute_b32 v61, v68, v6
	v_cmp_eq_u32_e32 vcc, 1, v71
	v_add_u32_e32 v69, 4, v64
	s_waitcnt lgkmcnt(1)
	v_and_b32_e32 v70, 1, v70
	v_cndmask_b32_e64 v70, v70, 1, vcc
	v_cmp_eq_u16_sdwa vcc, v60, v59 src0_sel:BYTE_0 src1_sel:DWORD
	v_and_b32_e32 v71, 0xffff, v70
	s_waitcnt lgkmcnt(0)
	v_cndmask_b32_e32 v61, 0, v61, vcc
	v_cmp_gt_u32_e32 vcc, v69, v9
	s_nop 1
	v_cndmask_b32_e32 v60, v70, v60, vcc
	v_cndmask_b32_e64 v61, v61, 0, vcc
	v_cndmask_b32_e32 v7, v71, v7, vcc
	v_cmp_gt_u32_e32 vcc, 56, v64
	v_add_u32_e32 v6, v61, v6
	v_and_b32_e32 v74, 1, v60
	v_cndmask_b32_e64 v70, 0, 1, vcc
	v_lshlrev_b32_e32 v70, 3, v70
	v_add_lshl_u32 v70, v70, v73, 2
	ds_bpermute_b32 v72, v70, v7
	ds_bpermute_b32 v61, v70, v6
	v_cmp_eq_u32_e32 vcc, 1, v74
	v_add_u32_e32 v71, 8, v64
	s_waitcnt lgkmcnt(1)
	v_and_b32_e32 v72, 1, v72
	v_cndmask_b32_e64 v72, v72, 1, vcc
	v_cmp_eq_u16_sdwa vcc, v60, v59 src0_sel:BYTE_0 src1_sel:DWORD
	v_and_b32_e32 v74, 0xffff, v72
	;; [unrolled: 22-line block ×3, first 2 shown]
	s_waitcnt lgkmcnt(0)
	v_cndmask_b32_e32 v61, 0, v61, vcc
	v_cmp_gt_u32_e32 vcc, v74, v9
	s_nop 1
	v_cndmask_b32_e32 v60, v75, v60, vcc
	v_cndmask_b32_e64 v61, v61, 0, vcc
	v_cndmask_b32_e32 v7, v76, v7, vcc
	v_cmp_gt_u32_e32 vcc, 32, v64
	v_add_u32_e32 v6, v61, v6
	s_nop 0
	v_cndmask_b32_e64 v75, 0, 1, vcc
	v_lshlrev_b32_e32 v75, 5, v75
	v_add_lshl_u32 v76, v75, v73, 2
	ds_bpermute_b32 v7, v76, v7
	ds_bpermute_b32 v61, v76, v6
	v_and_b32_e32 v73, 1, v60
	v_cmp_eq_u32_e32 vcc, 1, v73
	s_waitcnt lgkmcnt(1)
	v_and_b32_e32 v7, 1, v7
	v_cndmask_b32_e64 v7, v7, 1, vcc
	v_cmp_eq_u16_sdwa vcc, v60, v59 src0_sel:BYTE_0 src1_sel:DWORD
	s_waitcnt lgkmcnt(0)
	s_nop 0
	v_cndmask_b32_e32 v61, 0, v61, vcc
	v_cmp_gt_u32_e32 vcc, v77, v9
	s_nop 1
	v_cndmask_b32_e64 v9, v61, 0, vcc
	v_cndmask_b32_e32 v7, v7, v60, vcc
	v_add_u32_e32 v6, v9, v6
	s_branch .LBB1736_176
.LBB1736_175:                           ;   in Loop: Header=BB1736_176 Depth=1
	s_or_b64 exec, exec, s[52:53]
	v_cmp_eq_u16_sdwa s[52:53], v8, v3 src0_sel:BYTE_0 src1_sel:DWORD
	ds_bpermute_b32 v61, v65, v7
	v_and_b32_e32 v78, 1, v7
	v_and_b32_e32 v9, s53, v5
	v_or_b32_e32 v9, 0x80000000, v9
	v_and_b32_e32 v60, s52, v4
	v_ffbl_b32_e32 v9, v9
	v_add_u32_e32 v9, 32, v9
	v_ffbl_b32_e32 v60, v60
	v_min_u32_e32 v9, v60, v9
	ds_bpermute_b32 v60, v65, v6
	s_waitcnt lgkmcnt(1)
	v_and_b32_e32 v61, 1, v61
	v_cmp_eq_u32_e32 vcc, 1, v78
	v_cmp_lt_u32_e64 s[52:53], v64, v9
	v_subrev_u32_e32 v58, 64, v58
	v_cndmask_b32_e64 v61, v61, 1, vcc
	v_cmp_gt_u64_e32 vcc, s[70:71], v[6:7]
	v_and_b32_e32 v78, 0xffff, v61
	v_cndmask_b32_e64 v61, v7, v61, s[52:53]
	v_cndmask_b32_e64 v7, v7, v78, s[52:53]
	s_and_b64 vcc, s[52:53], vcc
	ds_bpermute_b32 v78, v66, v7
	s_waitcnt lgkmcnt(1)
	v_cndmask_b32_e32 v60, 0, v60, vcc
	v_add_u32_e32 v6, v60, v6
	ds_bpermute_b32 v60, v66, v6
	v_and_b32_e32 v79, 1, v61
	s_waitcnt lgkmcnt(1)
	v_and_b32_e32 v78, 1, v78
	v_cmp_eq_u32_e32 vcc, 1, v79
	s_nop 1
	v_cndmask_b32_e64 v78, v78, 1, vcc
	v_cmp_eq_u16_sdwa vcc, v61, v59 src0_sel:BYTE_0 src1_sel:DWORD
	v_and_b32_e32 v79, 0xffff, v78
	s_waitcnt lgkmcnt(0)
	v_cndmask_b32_e32 v60, 0, v60, vcc
	v_cmp_gt_u32_e32 vcc, v67, v9
	s_nop 1
	v_cndmask_b32_e32 v7, v79, v7, vcc
	v_cndmask_b32_e32 v61, v78, v61, vcc
	ds_bpermute_b32 v78, v68, v7
	v_cndmask_b32_e64 v60, v60, 0, vcc
	v_add_u32_e32 v6, v60, v6
	ds_bpermute_b32 v60, v68, v6
	v_and_b32_e32 v79, 1, v61
	s_waitcnt lgkmcnt(1)
	v_and_b32_e32 v78, 1, v78
	v_cmp_eq_u32_e32 vcc, 1, v79
	s_nop 1
	v_cndmask_b32_e64 v78, v78, 1, vcc
	v_cmp_eq_u16_sdwa vcc, v61, v59 src0_sel:BYTE_0 src1_sel:DWORD
	v_and_b32_e32 v79, 0xffff, v78
	s_waitcnt lgkmcnt(0)
	v_cndmask_b32_e32 v60, 0, v60, vcc
	v_cmp_gt_u32_e32 vcc, v69, v9
	s_nop 1
	v_cndmask_b32_e32 v7, v79, v7, vcc
	v_cndmask_b32_e32 v61, v78, v61, vcc
	ds_bpermute_b32 v78, v70, v7
	v_cndmask_b32_e64 v60, v60, 0, vcc
	;; [unrolled: 18-line block ×3, first 2 shown]
	v_add_u32_e32 v6, v60, v6
	ds_bpermute_b32 v60, v72, v6
	v_and_b32_e32 v79, 1, v61
	s_waitcnt lgkmcnt(1)
	v_and_b32_e32 v78, 1, v78
	v_cmp_eq_u32_e32 vcc, 1, v79
	s_nop 1
	v_cndmask_b32_e64 v78, v78, 1, vcc
	v_cmp_eq_u16_sdwa vcc, v61, v59 src0_sel:BYTE_0 src1_sel:DWORD
	v_and_b32_e32 v79, 0xffff, v78
	s_waitcnt lgkmcnt(0)
	v_cndmask_b32_e32 v60, 0, v60, vcc
	v_cmp_gt_u32_e32 vcc, v74, v9
	s_nop 1
	v_cndmask_b32_e64 v60, v60, 0, vcc
	v_cndmask_b32_e32 v7, v79, v7, vcc
	ds_bpermute_b32 v7, v76, v7
	v_add_u32_e32 v6, v60, v6
	ds_bpermute_b32 v60, v76, v6
	v_cndmask_b32_e32 v61, v78, v61, vcc
	v_and_b32_e32 v78, 1, v61
	v_cmp_eq_u32_e32 vcc, 1, v78
	s_waitcnt lgkmcnt(1)
	s_nop 0
	v_cndmask_b32_e64 v7, v7, 1, vcc
	v_cmp_eq_u16_sdwa vcc, v61, v59 src0_sel:BYTE_0 src1_sel:DWORD
	s_waitcnt lgkmcnt(0)
	s_nop 0
	v_cndmask_b32_e32 v60, 0, v60, vcc
	v_cmp_gt_u32_e32 vcc, v77, v9
	s_nop 1
	v_cndmask_b32_e64 v9, v60, 0, vcc
	v_cndmask_b32_e32 v7, v7, v61, vcc
	v_add_u32_e32 v6, v9, v6
	v_cmp_eq_u16_sdwa vcc, v73, v59 src0_sel:BYTE_0 src1_sel:DWORD
	v_and_b32_e32 v9, 1, v73
	v_and_b32_e32 v7, 1, v7
	v_cndmask_b32_e32 v6, 0, v6, vcc
	v_cmp_eq_u32_e32 vcc, 1, v9
	v_add_u32_e32 v6, v6, v75
	s_nop 0
	v_cndmask_b32_e64 v7, v7, 1, vcc
.LBB1736_176:                           ; =>This Loop Header: Depth=1
                                        ;     Child Loop BB1736_179 Depth 2
                                        ;       Child Loop BB1736_180 Depth 3
	v_cmp_ne_u16_sdwa s[52:53], v8, v3 src0_sel:BYTE_0 src1_sel:DWORD
	v_mov_b32_e32 v73, v7
	v_mov_b32_e32 v75, v6
	v_cndmask_b32_e64 v7, 0, 1, s[52:53]
	;;#ASMSTART
	;;#ASMEND
	s_nop 0
	v_cmp_ne_u32_e32 vcc, 0, v7
	s_cmp_lg_u64 vcc, exec
	s_cbranch_scc1 .LBB1736_183
; %bb.177:                              ;   in Loop: Header=BB1736_176 Depth=1
	v_lshl_add_u64 v[60:61], v[58:59], 4, s[56:57]
	;;#ASMSTART
	global_load_dwordx4 v[6:9], v[60:61] off sc1	
s_waitcnt vmcnt(0)
	;;#ASMEND
	s_nop 0
	v_and_b32_e32 v9, 0xff0000, v6
	v_and_b32_e32 v78, 0xff000000, v6
	;; [unrolled: 1-line block ×3, first 2 shown]
	v_or_b32_sdwa v6, v6, v9 dst_sel:DWORD dst_unused:UNUSED_PAD src0_sel:WORD_0 src1_sel:DWORD
	v_or3_b32 v7, 0, 0, v7
	v_or3_b32 v6, v6, v78, 0
	v_cmp_eq_u16_sdwa s[72:73], v8, v59 src0_sel:BYTE_0 src1_sel:DWORD
	s_and_saveexec_b64 s[52:53], s[72:73]
	s_cbranch_execz .LBB1736_175
; %bb.178:                              ;   in Loop: Header=BB1736_176 Depth=1
	s_mov_b32 s59, 1
	s_mov_b64 s[72:73], 0
.LBB1736_179:                           ;   Parent Loop BB1736_176 Depth=1
                                        ; =>  This Loop Header: Depth=2
                                        ;       Child Loop BB1736_180 Depth 3
	s_max_u32 s74, s59, 1
.LBB1736_180:                           ;   Parent Loop BB1736_176 Depth=1
                                        ;     Parent Loop BB1736_179 Depth=2
                                        ; =>    This Inner Loop Header: Depth=3
	s_add_i32 s74, s74, -1
	s_cmp_eq_u32 s74, 0
	s_sleep 1
	s_cbranch_scc0 .LBB1736_180
; %bb.181:                              ;   in Loop: Header=BB1736_179 Depth=2
	s_cmp_lt_u32 s59, 32
	s_cselect_b64 s[74:75], -1, 0
	s_cmp_lg_u64 s[74:75], 0
	s_addc_u32 s59, s59, 0
	;;#ASMSTART
	global_load_dwordx4 v[6:9], v[60:61] off sc1	
s_waitcnt vmcnt(0)
	;;#ASMEND
	s_nop 0
	v_cmp_ne_u16_sdwa s[74:75], v8, v59 src0_sel:BYTE_0 src1_sel:DWORD
	s_or_b64 s[72:73], s[74:75], s[72:73]
	s_andn2_b64 exec, exec, s[72:73]
	s_cbranch_execnz .LBB1736_179
; %bb.182:                              ;   in Loop: Header=BB1736_176 Depth=1
	s_or_b64 exec, exec, s[72:73]
	v_and_b32_e32 v7, 0xff, v7
	s_branch .LBB1736_175
.LBB1736_183:                           ;   in Loop: Header=BB1736_176 Depth=1
                                        ; implicit-def: $vgpr7
                                        ; implicit-def: $vgpr6
                                        ; implicit-def: $vgpr8
	s_cbranch_execz .LBB1736_176
; %bb.184:
	s_and_saveexec_b64 s[52:53], s[48:49]
	s_cbranch_execz .LBB1736_186
; %bb.185:
	s_and_b32 s48, s3, 0xff
	s_cmp_eq_u32 s48, 0
	s_cselect_b64 vcc, -1, 0
	s_bitcmp1_b32 s3, 0
	s_mov_b32 s49, 0
	s_cselect_b64 s[70:71], -1, 0
	s_add_i32 s48, s2, 64
	s_lshl_b64 s[2:3], s[48:49], 4
	v_cndmask_b32_e32 v3, 0, v75, vcc
	s_add_u32 s2, s56, s2
	v_add_u32_e32 v2, v3, v2
	v_and_b32_e32 v3, 1, v73
	s_addc_u32 s3, s57, s3
	v_mov_b32_e32 v5, 0
	v_cndmask_b32_e64 v3, v3, 1, s[70:71]
	v_mov_b32_e32 v4, 2
	v_mov_b64_e32 v[6:7], s[2:3]
	;;#ASMSTART
	global_store_dwordx4 v[6:7], v[2:5] off sc1	
s_waitcnt vmcnt(0)
	;;#ASMEND
.LBB1736_186:
	s_or_b64 exec, exec, s[52:53]
	s_and_b64 exec, exec, s[46:47]
	s_cbranch_execz .LBB1736_188
; %bb.187:
	v_mov_b32_e32 v2, 0
	ds_write_b32 v2, v75
	ds_write_b8 v2, v73 offset:4
.LBB1736_188:
	s_or_b64 exec, exec, s[60:61]
	v_mov_b32_e32 v2, 0
	s_waitcnt lgkmcnt(0)
	s_barrier
	ds_read_b32 v3, v2
	v_cmp_eq_u16_sdwa vcc, v63, v2 src0_sel:BYTE_0 src1_sel:DWORD
	s_waitcnt lgkmcnt(0)
	s_nop 0
	v_cndmask_b32_e32 v4, 0, v3, vcc
	v_add_u32_e32 v4, v4, v62
	v_cndmask_b32_e64 v58, v4, v3, s[46:47]
	v_and_b32_e32 v3, 0xff, v11
	v_cmp_eq_u64_e32 vcc, 0, v[2:3]
	s_nop 1
	v_cndmask_b32_e32 v2, 0, v58, vcc
	v_add_u32_e32 v59, v2, v10
	v_cndmask_b32_e64 v2, 0, v59, s[50:51]
	v_add_u32_e32 v60, v2, v12
	v_cndmask_b32_e64 v2, 0, v60, s[4:5]
	;; [unrolled: 2-line block ×21, first 2 shown]
	v_add_u32_e32 v80, v2, v52
	s_branch .LBB1736_209
.LBB1736_189:
                                        ; implicit-def: $vgpr79
                                        ; implicit-def: $vgpr78
                                        ; implicit-def: $vgpr77
                                        ; implicit-def: $vgpr76
                                        ; implicit-def: $vgpr75
                                        ; implicit-def: $vgpr74
                                        ; implicit-def: $vgpr73
                                        ; implicit-def: $vgpr72
                                        ; implicit-def: $vgpr71
                                        ; implicit-def: $vgpr70
                                        ; implicit-def: $vgpr69
                                        ; implicit-def: $vgpr68
                                        ; implicit-def: $vgpr67
                                        ; implicit-def: $vgpr66
                                        ; implicit-def: $vgpr65
                                        ; implicit-def: $vgpr64
                                        ; implicit-def: $vgpr63
                                        ; implicit-def: $vgpr62
                                        ; implicit-def: $vgpr61
                                        ; implicit-def: $vgpr60
                                        ; implicit-def: $vgpr59
                                        ; implicit-def: $vgpr58
                                        ; implicit-def: $vgpr80
	s_cbranch_execz .LBB1736_209
; %bb.190:
	s_cmp_lg_u64 s[68:69], 0
	s_cselect_b32 s3, s63, 0
	s_cselect_b32 s2, s62, 0
	s_mov_b32 s44, 0
	s_cmp_eq_u64 s[2:3], 0
	v_mov_b32_e32 v4, s76
	s_cbranch_scc1 .LBB1736_192
; %bb.191:
	v_mov_b32_e32 v2, 0
	global_load_dword v4, v2, s[2:3]
.LBB1736_192:
	s_mov_b32 s45, 1
	v_cmp_gt_u64_e32 vcc, s[44:45], v[12:13]
	v_cmp_gt_u64_e64 s[2:3], s[44:45], v[14:15]
	v_cmp_gt_u64_e64 s[4:5], s[44:45], v[16:17]
	v_cndmask_b32_e32 v2, 0, v10, vcc
	v_add_u32_e32 v2, v2, v12
	v_cndmask_b32_e64 v2, 0, v2, s[2:3]
	v_add_u32_e32 v2, v2, v14
	v_cndmask_b32_e64 v2, 0, v2, s[4:5]
	v_add_u32_e32 v2, v2, v16
	v_cmp_gt_u64_e64 s[6:7], s[44:45], v[18:19]
	v_cmp_gt_u64_e64 s[8:9], s[44:45], v[20:21]
	v_cmp_gt_u64_e64 s[10:11], s[44:45], v[22:23]
	v_cndmask_b32_e64 v2, 0, v2, s[6:7]
	v_add_u32_e32 v2, v2, v18
	v_cndmask_b32_e64 v2, 0, v2, s[8:9]
	v_add_u32_e32 v2, v2, v20
	v_cndmask_b32_e64 v2, 0, v2, s[10:11]
	v_add_u32_e32 v2, v2, v22
	v_cmp_gt_u64_e64 s[12:13], s[44:45], v[24:25]
	v_cmp_gt_u64_e64 s[14:15], s[44:45], v[26:27]
	v_cmp_gt_u64_e64 s[16:17], s[44:45], v[28:29]
	v_cndmask_b32_e64 v2, 0, v2, s[12:13]
	;; [unrolled: 9-line block ×6, first 2 shown]
	v_add_u32_e32 v2, v2, v48
	v_cndmask_b32_e64 v2, 0, v2, s[40:41]
	v_add_u32_e32 v2, v2, v50
	v_cndmask_b32_e64 v2, 0, v2, s[42:43]
	v_add_u32_e32 v2, v2, v52
	v_cmp_gt_u64_e64 s[44:45], s[44:45], v[56:57]
	v_add_lshl_u32 v1, v1, v0, 3
	s_nop 0
	v_cndmask_b32_e64 v2, 0, v2, s[44:45]
	v_add_u32_e32 v5, v2, v56
	v_or3_b32 v2, v55, v51, v49
	v_or3_b32 v2, v2, v47, v45
	;; [unrolled: 1-line block ×10, first 2 shown]
	v_and_b32_e32 v2, 1, v2
	v_cmp_eq_u32_e64 s[44:45], 1, v2
	s_nop 1
	v_cndmask_b32_e64 v6, v11, 1, s[44:45]
	v_cmp_gt_u32_e64 s[44:45], 64, v0
	ds_write_b32 v1, v5
	ds_write_b8 v1, v6 offset:4
	s_waitcnt lgkmcnt(0)
	s_barrier
	s_and_saveexec_b64 s[46:47], s[44:45]
	s_cbranch_execz .LBB1736_204
; %bb.193:
	v_lshrrev_b32_e32 v1, 3, v0
	v_add_lshl_u32 v1, v1, v54, 3
	ds_read2_b32 v[8:9], v1 offset0:2 offset1:4
	ds_read_b64 v[2:3], v1
	ds_read_u8 v13, v1 offset:12
	ds_read_u8 v15, v1 offset:20
	ds_read_b32 v17, v1 offset:24
	ds_read_u8 v19, v1 offset:28
	v_mov_b32_e32 v21, 0
	s_waitcnt lgkmcnt(3)
	v_cmp_eq_u16_sdwa s[44:45], v13, v21 src0_sel:BYTE_0 src1_sel:DWORD
	v_and_b32_e32 v7, 1, v3
	s_nop 0
	v_cndmask_b32_e64 v23, 0, v2, s[44:45]
	v_add_u32_e32 v8, v23, v8
	s_waitcnt lgkmcnt(2)
	v_cmp_eq_u16_sdwa s[44:45], v15, v21 src0_sel:BYTE_0 src1_sel:DWORD
	s_nop 1
	v_cndmask_b32_e64 v8, 0, v8, s[44:45]
	v_add_u32_e32 v8, v8, v9
	s_waitcnt lgkmcnt(0)
	v_cmp_eq_u16_e64 s[44:45], 0, v19
	s_nop 1
	v_cndmask_b32_e64 v8, 0, v8, s[44:45]
	v_add_u32_e32 v9, v8, v17
	v_or_b32_e32 v8, v19, v15
	v_or_b32_e32 v8, v8, v13
	v_and_b32_e32 v8, 1, v8
	v_cmp_eq_u32_e64 s[44:45], 1, v8
	v_mbcnt_lo_u32_b32 v13, -1, 0
	v_and_b32_e32 v8, 0xffffff00, v3
	v_cndmask_b32_e64 v15, v7, 1, s[44:45]
	v_mbcnt_hi_u32_b32 v13, -1, v13
	v_and_b32_e32 v19, 15, v13
	v_or_b32_sdwa v17, v8, v15 dst_sel:DWORD dst_unused:UNUSED_PAD src0_sel:DWORD src1_sel:WORD_0
	v_mov_b32_dpp v21, v9 row_shr:1 row_mask:0xf bank_mask:0xf
	v_cmp_ne_u32_e64 s[44:45], 0, v19
	v_mov_b32_dpp v23, v17 row_shr:1 row_mask:0xf bank_mask:0xf
	s_and_saveexec_b64 s[48:49], s[44:45]
; %bb.194:
	v_and_b32_e32 v17, 1, v15
	v_and_b32_e32 v23, 1, v23
	v_cmp_eq_u32_e64 s[44:45], 1, v17
	s_nop 1
	v_cndmask_b32_e64 v23, v23, 1, s[44:45]
	v_cmp_eq_u16_e64 s[44:45], 0, v15
	v_or_b32_sdwa v17, v8, v23 dst_sel:DWORD dst_unused:UNUSED_PAD src0_sel:DWORD src1_sel:WORD_0
	s_nop 0
	v_cndmask_b32_e64 v15, 0, v21, s[44:45]
	v_add_u32_e32 v9, v15, v9
	v_mov_b32_e32 v15, v23
; %bb.195:
	s_or_b64 exec, exec, s[48:49]
	v_mov_b32_dpp v21, v9 row_shr:2 row_mask:0xf bank_mask:0xf
	v_mov_b32_dpp v23, v17 row_shr:2 row_mask:0xf bank_mask:0xf
	v_cmp_lt_u32_e64 s[44:45], 1, v19
	s_and_saveexec_b64 s[48:49], s[44:45]
; %bb.196:
	v_and_b32_e32 v17, 1, v15
	v_and_b32_e32 v23, 1, v23
	v_cmp_eq_u32_e64 s[44:45], 1, v17
	s_nop 1
	v_cndmask_b32_e64 v23, v23, 1, s[44:45]
	v_cmp_eq_u16_e64 s[44:45], 0, v15
	v_or_b32_sdwa v17, v8, v23 dst_sel:DWORD dst_unused:UNUSED_PAD src0_sel:DWORD src1_sel:WORD_0
	s_nop 0
	v_cndmask_b32_e64 v15, 0, v21, s[44:45]
	v_add_u32_e32 v9, v15, v9
	v_mov_b32_e32 v15, v23
; %bb.197:
	s_or_b64 exec, exec, s[48:49]
	v_mov_b32_dpp v21, v9 row_shr:4 row_mask:0xf bank_mask:0xf
	v_mov_b32_dpp v23, v17 row_shr:4 row_mask:0xf bank_mask:0xf
	v_cmp_lt_u32_e64 s[44:45], 3, v19
	;; [unrolled: 18-line block ×3, first 2 shown]
	s_and_saveexec_b64 s[48:49], s[44:45]
; %bb.200:
	v_and_b32_e32 v17, 1, v15
	v_and_b32_e32 v19, 1, v23
	v_cmp_eq_u32_e64 s[44:45], 1, v17
	s_nop 1
	v_cndmask_b32_e64 v19, v19, 1, s[44:45]
	v_cmp_eq_u16_e64 s[44:45], 0, v15
	v_or_b32_sdwa v17, v8, v19 dst_sel:DWORD dst_unused:UNUSED_PAD src0_sel:DWORD src1_sel:WORD_0
	s_nop 0
	v_cndmask_b32_e64 v15, 0, v21, s[44:45]
	v_add_u32_e32 v9, v15, v9
	v_mov_b32_e32 v15, v19
; %bb.201:
	s_or_b64 exec, exec, s[48:49]
	v_and_b32_e32 v23, 16, v13
	v_mov_b32_dpp v19, v9 row_bcast:15 row_mask:0xf bank_mask:0xf
	v_mov_b32_dpp v21, v17 row_bcast:15 row_mask:0xf bank_mask:0xf
	v_cmp_ne_u32_e64 s[44:45], 0, v23
	s_and_saveexec_b64 s[48:49], s[44:45]
; %bb.202:
	v_and_b32_e32 v17, 1, v15
	v_and_b32_e32 v21, 1, v21
	v_cmp_eq_u32_e64 s[44:45], 1, v17
	s_nop 1
	v_cndmask_b32_e64 v21, v21, 1, s[44:45]
	v_cmp_eq_u16_e64 s[44:45], 0, v15
	v_or_b32_sdwa v17, v8, v21 dst_sel:DWORD dst_unused:UNUSED_PAD src0_sel:DWORD src1_sel:WORD_0
	s_nop 0
	v_cndmask_b32_e64 v15, 0, v19, s[44:45]
	v_add_u32_e32 v9, v15, v9
	v_mov_b32_e32 v15, v21
; %bb.203:
	s_or_b64 exec, exec, s[48:49]
	v_mov_b32_dpp v17, v17 row_bcast:31 row_mask:0xf bank_mask:0xf
	v_and_b32_e32 v21, 1, v15
	v_and_b32_e32 v17, 1, v17
	v_cmp_eq_u32_e64 s[44:45], 1, v21
	v_mov_b32_e32 v21, 0
	v_cmp_eq_u16_sdwa s[48:49], v15, v21 src0_sel:BYTE_0 src1_sel:DWORD
	v_cndmask_b32_e64 v17, v17, 1, s[44:45]
	v_cmp_lt_u32_e64 s[44:45], 31, v13
	v_mov_b32_dpp v19, v9 row_bcast:31 row_mask:0xf bank_mask:0xf
	s_movk_i32 s50, 0xff
	v_cndmask_b32_e64 v15, v15, v17, s[44:45]
	s_and_b64 s[44:45], s[44:45], s[48:49]
	v_cndmask_b32_e64 v17, 0, v19, s[44:45]
	v_add_u32_e32 v9, v17, v9
	v_add_u32_e32 v17, -1, v13
	v_and_b32_e32 v19, 64, v13
	v_cmp_lt_i32_e64 s[44:45], v17, v19
	v_and_or_b32 v8, v15, s50, v8
	s_nop 0
	v_cndmask_b32_e64 v13, v17, v13, s[44:45]
	v_lshlrev_b32_e32 v13, 2, v13
	ds_bpermute_b32 v9, v13, v9
	ds_bpermute_b32 v8, v13, v8
	v_cmp_eq_u16_sdwa s[44:45], v3, v21 src0_sel:BYTE_0 src1_sel:DWORD
	; wave barrier
	s_waitcnt lgkmcnt(1)
	s_nop 0
	v_cndmask_b32_e64 v3, 0, v9, s[44:45]
	v_add_u32_e32 v2, v3, v2
	s_waitcnt lgkmcnt(0)
	v_and_b32_e32 v3, 1, v8
	v_cmp_eq_u32_e64 s[44:45], 1, v7
	s_nop 1
	v_cndmask_b32_e64 v3, v3, 1, s[44:45]
	v_cmp_eq_u32_e64 s[44:45], 0, v0
	s_nop 1
	v_cndmask_b32_e64 v5, v2, v5, s[44:45]
	v_cndmask_b32_e64 v6, v3, v6, s[44:45]
	ds_write_b32 v1, v5
	ds_write_b8 v1, v6 offset:4
	; wave barrier
	ds_read_u8 v7, v1 offset:12
	ds_read2_b32 v[2:3], v1 offset0:2 offset1:4
	ds_read_u8 v8, v1 offset:20
	ds_read_b32 v9, v1 offset:24
	ds_read_u8 v13, v1 offset:28
	s_waitcnt lgkmcnt(4)
	v_cmp_eq_u16_e64 s[44:45], 0, v7
	s_nop 1
	v_cndmask_b32_e64 v5, 0, v5, s[44:45]
	s_waitcnt lgkmcnt(3)
	v_add_u32_e32 v2, v5, v2
	v_and_b32_e32 v5, 1, v7
	v_cmp_eq_u32_e64 s[44:45], 1, v5
	s_nop 1
	v_cndmask_b32_e64 v5, v6, 1, s[44:45]
	s_waitcnt lgkmcnt(2)
	v_cmp_eq_u16_e64 s[44:45], 0, v8
	ds_write_b8 v1, v5 offset:12
	s_nop 0
	v_cndmask_b32_e64 v6, 0, v2, s[44:45]
	v_add_u32_e32 v3, v6, v3
	v_and_b32_e32 v6, 1, v8
	v_cmp_eq_u32_e64 s[44:45], 1, v6
	s_nop 1
	v_cndmask_b32_e64 v5, v5, 1, s[44:45]
	s_waitcnt lgkmcnt(1)
	v_cmp_eq_u16_e64 s[44:45], 0, v13
	ds_write2_b32 v1, v2, v3 offset0:2 offset1:4
	ds_write_b8 v1, v5 offset:20
	v_cndmask_b32_e64 v2, 0, v3, s[44:45]
	v_and_b32_e32 v3, 1, v13
	v_add_u32_e32 v2, v2, v9
	v_cmp_eq_u32_e64 s[44:45], 1, v3
	s_nop 1
	v_cndmask_b32_e64 v3, v5, 1, s[44:45]
	ds_write_b32 v1, v2 offset:24
	ds_write_b8 v1, v3 offset:28
.LBB1736_204:
	s_or_b64 exec, exec, s[46:47]
	v_cmp_eq_u32_e64 s[44:45], 0, v0
	v_cmp_ne_u32_e64 s[46:47], 0, v0
	s_waitcnt vmcnt(0)
	v_mov_b32_e32 v58, v4
	s_waitcnt lgkmcnt(0)
	s_barrier
	s_and_saveexec_b64 s[48:49], s[46:47]
	s_cbranch_execz .LBB1736_206
; %bb.205:
	v_add_u32_e32 v1, -1, v0
	v_lshrrev_b32_e32 v2, 5, v1
	v_add_lshl_u32 v1, v2, v1, 3
	ds_read_u8 v2, v1 offset:4
	ds_read_b32 v1, v1
	s_waitcnt lgkmcnt(1)
	v_cmp_eq_u16_e64 s[46:47], 0, v2
	s_nop 1
	v_cndmask_b32_e64 v2, 0, v4, s[46:47]
	s_waitcnt lgkmcnt(0)
	v_add_u32_e32 v58, v2, v1
.LBB1736_206:
	s_or_b64 exec, exec, s[48:49]
	v_and_b32_e32 v3, 0xff, v11
	v_mov_b32_e32 v2, 0
	v_cmp_eq_u64_e64 s[46:47], 0, v[2:3]
	s_nop 1
	v_cndmask_b32_e64 v1, 0, v58, s[46:47]
	v_add_u32_e32 v59, v1, v10
	v_cndmask_b32_e32 v1, 0, v59, vcc
	v_add_u32_e32 v60, v1, v12
	v_cndmask_b32_e64 v1, 0, v60, s[2:3]
	v_add_u32_e32 v61, v1, v14
	v_cndmask_b32_e64 v1, 0, v61, s[4:5]
	v_add_u32_e32 v62, v1, v16
	v_cndmask_b32_e64 v1, 0, v62, s[6:7]
	v_add_u32_e32 v63, v1, v18
	v_cndmask_b32_e64 v1, 0, v63, s[8:9]
	v_add_u32_e32 v64, v1, v20
	v_cndmask_b32_e64 v1, 0, v64, s[10:11]
	v_add_u32_e32 v65, v1, v22
	v_cndmask_b32_e64 v1, 0, v65, s[12:13]
	v_add_u32_e32 v66, v1, v24
	v_cndmask_b32_e64 v1, 0, v66, s[14:15]
	v_add_u32_e32 v67, v1, v26
	v_cndmask_b32_e64 v1, 0, v67, s[16:17]
	v_add_u32_e32 v68, v1, v28
	v_cndmask_b32_e64 v1, 0, v68, s[18:19]
	v_add_u32_e32 v69, v1, v30
	v_cndmask_b32_e64 v1, 0, v69, s[20:21]
	v_add_u32_e32 v70, v1, v32
	v_cndmask_b32_e64 v1, 0, v70, s[22:23]
	v_add_u32_e32 v71, v1, v34
	v_cndmask_b32_e64 v1, 0, v71, s[24:25]
	v_add_u32_e32 v72, v1, v36
	v_cndmask_b32_e64 v1, 0, v72, s[26:27]
	v_add_u32_e32 v73, v1, v38
	v_cndmask_b32_e64 v1, 0, v73, s[28:29]
	v_add_u32_e32 v74, v1, v40
	v_cndmask_b32_e64 v1, 0, v74, s[30:31]
	v_add_u32_e32 v75, v1, v42
	v_cndmask_b32_e64 v1, 0, v75, s[34:35]
	v_add_u32_e32 v76, v1, v44
	v_cndmask_b32_e64 v1, 0, v76, s[36:37]
	v_add_u32_e32 v77, v1, v46
	v_cndmask_b32_e64 v1, 0, v77, s[38:39]
	v_add_u32_e32 v78, v1, v48
	v_cndmask_b32_e64 v1, 0, v78, s[40:41]
	v_add_u32_e32 v79, v1, v50
	v_cndmask_b32_e64 v1, 0, v79, s[42:43]
	s_and_saveexec_b64 s[2:3], s[44:45]
	s_cbranch_execz .LBB1736_208
; %bb.207:
	ds_read_u8 v3, v2 offset:2100
	ds_read_b32 v5, v2 offset:2096
	s_add_u32 s4, s56, 0x400
	s_addc_u32 s5, s57, 0
	v_mov_b32_e32 v6, 2
	s_waitcnt lgkmcnt(1)
	v_cmp_eq_u16_e32 vcc, 0, v3
	v_mov_b32_e32 v7, v2
	s_nop 0
	v_cndmask_b32_e32 v4, 0, v4, vcc
	s_waitcnt lgkmcnt(0)
	v_add_u32_e32 v4, v4, v5
	v_and_b32_e32 v5, 0xffff, v3
	v_mov_b64_e32 v[2:3], s[4:5]
	;;#ASMSTART
	global_store_dwordx4 v[2:3], v[4:7] off sc1	
s_waitcnt vmcnt(0)
	;;#ASMEND
.LBB1736_208:
	s_or_b64 exec, exec, s[2:3]
	v_add_u32_e32 v80, v1, v52
.LBB1736_209:
	s_add_u32 s2, s54, s64
	s_addc_u32 s3, s55, s65
	s_add_u32 s2, s2, s66
	s_addc_u32 s3, s3, s67
	s_and_b64 vcc, exec, s[0:1]
	s_cbranch_vccz .LBB1736_255
; %bb.210:
	s_movk_i32 s0, 0x5c
	v_mul_i32_i24_e32 v26, 0xffffffa8, v0
	v_mul_u32_u24_e32 v1, 0x5c, v0
	v_mad_u32_u24 v2, v0, s0, v26
	s_barrier
	ds_write2_b32 v1, v58, v59 offset1:1
	ds_write2_b32 v1, v60, v61 offset0:2 offset1:3
	ds_write2_b32 v1, v62, v63 offset0:4 offset1:5
	;; [unrolled: 1-line block ×10, first 2 shown]
	ds_write_b32 v1, v80 offset:88
	s_waitcnt lgkmcnt(0)
	s_barrier
	ds_read2st64_b32 v[24:25], v2 offset0:4 offset1:8
	ds_read2st64_b32 v[22:23], v2 offset0:12 offset1:16
	;; [unrolled: 1-line block ×11, first 2 shown]
	s_add_i32 s33, s33, s58
	v_mov_b32_e32 v55, 0
	v_lshl_add_u64 v[4:5], s[2:3], 0, v[54:55]
	v_cmp_gt_u32_e32 vcc, s33, v0
	s_and_saveexec_b64 s[0:1], vcc
	s_cbranch_execz .LBB1736_212
; %bb.211:
	v_add_u32_e32 v1, v1, v26
	ds_read_b32 v1, v1
	s_waitcnt lgkmcnt(0)
	v_cvt_f32_i32_e32 v1, v1
	flat_store_dword v[4:5], v1
.LBB1736_212:
	s_or_b64 exec, exec, s[0:1]
	v_or_b32_e32 v1, 0x100, v0
	v_cmp_gt_u32_e32 vcc, s33, v1
	s_and_saveexec_b64 s[0:1], vcc
	s_cbranch_execz .LBB1736_214
; %bb.213:
	s_waitcnt lgkmcnt(0)
	v_cvt_f32_i32_e32 v1, v24
	flat_store_dword v[4:5], v1 offset:1024
.LBB1736_214:
	s_or_b64 exec, exec, s[0:1]
	v_or_b32_e32 v1, 0x200, v0
	v_cmp_gt_u32_e32 vcc, s33, v1
	s_and_saveexec_b64 s[0:1], vcc
	s_cbranch_execz .LBB1736_216
; %bb.215:
	s_waitcnt lgkmcnt(0)
	v_cvt_f32_i32_e32 v1, v25
	flat_store_dword v[4:5], v1 offset:2048
.LBB1736_216:
	s_or_b64 exec, exec, s[0:1]
	v_or_b32_e32 v1, 0x300, v0
	v_cmp_gt_u32_e32 vcc, s33, v1
	s_and_saveexec_b64 s[0:1], vcc
	s_cbranch_execz .LBB1736_218
; %bb.217:
	s_waitcnt lgkmcnt(0)
	v_cvt_f32_i32_e32 v1, v22
	flat_store_dword v[4:5], v1 offset:3072
.LBB1736_218:
	s_or_b64 exec, exec, s[0:1]
	v_or_b32_e32 v1, 0x400, v0
	v_cmp_gt_u32_e32 vcc, s33, v1
	s_and_saveexec_b64 s[0:1], vcc
	s_cbranch_execz .LBB1736_220
; %bb.219:
	s_waitcnt lgkmcnt(0)
	v_cvt_f32_i32_e32 v1, v23
	v_add_co_u32_e32 v22, vcc, 0x1000, v4
	s_nop 1
	v_addc_co_u32_e32 v23, vcc, 0, v5, vcc
	flat_store_dword v[22:23], v1
.LBB1736_220:
	s_or_b64 exec, exec, s[0:1]
	v_or_b32_e32 v1, 0x500, v0
	v_cmp_gt_u32_e32 vcc, s33, v1
	s_and_saveexec_b64 s[0:1], vcc
	s_cbranch_execz .LBB1736_222
; %bb.221:
	s_waitcnt lgkmcnt(0)
	v_cvt_f32_i32_e32 v1, v20
	v_add_co_u32_e32 v22, vcc, 0x1000, v4
	s_nop 1
	v_addc_co_u32_e32 v23, vcc, 0, v5, vcc
	flat_store_dword v[22:23], v1 offset:1024
.LBB1736_222:
	s_or_b64 exec, exec, s[0:1]
	v_or_b32_e32 v1, 0x600, v0
	v_cmp_gt_u32_e32 vcc, s33, v1
	s_and_saveexec_b64 s[0:1], vcc
	s_cbranch_execz .LBB1736_224
; %bb.223:
	s_waitcnt lgkmcnt(0)
	v_cvt_f32_i32_e32 v1, v21
	v_add_co_u32_e32 v20, vcc, 0x1000, v4
	s_nop 1
	v_addc_co_u32_e32 v21, vcc, 0, v5, vcc
	flat_store_dword v[20:21], v1 offset:2048
.LBB1736_224:
	s_or_b64 exec, exec, s[0:1]
	v_or_b32_e32 v1, 0x700, v0
	v_cmp_gt_u32_e32 vcc, s33, v1
	s_and_saveexec_b64 s[0:1], vcc
	s_cbranch_execz .LBB1736_226
; %bb.225:
	s_waitcnt lgkmcnt(0)
	v_cvt_f32_i32_e32 v1, v18
	v_add_co_u32_e32 v20, vcc, 0x1000, v4
	s_nop 1
	v_addc_co_u32_e32 v21, vcc, 0, v5, vcc
	flat_store_dword v[20:21], v1 offset:3072
.LBB1736_226:
	s_or_b64 exec, exec, s[0:1]
	v_or_b32_e32 v1, 0x800, v0
	v_cmp_gt_u32_e32 vcc, s33, v1
	s_and_saveexec_b64 s[0:1], vcc
	s_cbranch_execz .LBB1736_228
; %bb.227:
	s_waitcnt lgkmcnt(0)
	v_cvt_f32_i32_e32 v1, v19
	v_add_co_u32_e32 v18, vcc, 0x2000, v4
	s_nop 1
	v_addc_co_u32_e32 v19, vcc, 0, v5, vcc
	flat_store_dword v[18:19], v1
.LBB1736_228:
	s_or_b64 exec, exec, s[0:1]
	v_or_b32_e32 v1, 0x900, v0
	v_cmp_gt_u32_e32 vcc, s33, v1
	s_and_saveexec_b64 s[0:1], vcc
	s_cbranch_execz .LBB1736_230
; %bb.229:
	s_waitcnt lgkmcnt(0)
	v_cvt_f32_i32_e32 v1, v16
	v_add_co_u32_e32 v18, vcc, 0x2000, v4
	s_nop 1
	v_addc_co_u32_e32 v19, vcc, 0, v5, vcc
	flat_store_dword v[18:19], v1 offset:1024
.LBB1736_230:
	s_or_b64 exec, exec, s[0:1]
	v_or_b32_e32 v1, 0xa00, v0
	v_cmp_gt_u32_e32 vcc, s33, v1
	s_and_saveexec_b64 s[0:1], vcc
	s_cbranch_execz .LBB1736_232
; %bb.231:
	s_waitcnt lgkmcnt(0)
	v_cvt_f32_i32_e32 v1, v17
	v_add_co_u32_e32 v16, vcc, 0x2000, v4
	s_nop 1
	v_addc_co_u32_e32 v17, vcc, 0, v5, vcc
	flat_store_dword v[16:17], v1 offset:2048
.LBB1736_232:
	s_or_b64 exec, exec, s[0:1]
	v_or_b32_e32 v1, 0xb00, v0
	v_cmp_gt_u32_e32 vcc, s33, v1
	s_and_saveexec_b64 s[0:1], vcc
	s_cbranch_execz .LBB1736_234
; %bb.233:
	s_waitcnt lgkmcnt(0)
	v_cvt_f32_i32_e32 v1, v14
	v_add_co_u32_e32 v16, vcc, 0x2000, v4
	s_nop 1
	v_addc_co_u32_e32 v17, vcc, 0, v5, vcc
	flat_store_dword v[16:17], v1 offset:3072
.LBB1736_234:
	s_or_b64 exec, exec, s[0:1]
	v_or_b32_e32 v1, 0xc00, v0
	v_cmp_gt_u32_e32 vcc, s33, v1
	s_and_saveexec_b64 s[0:1], vcc
	s_cbranch_execz .LBB1736_236
; %bb.235:
	s_waitcnt lgkmcnt(0)
	v_cvt_f32_i32_e32 v1, v15
	v_add_co_u32_e32 v14, vcc, 0x3000, v4
	s_nop 1
	v_addc_co_u32_e32 v15, vcc, 0, v5, vcc
	flat_store_dword v[14:15], v1
.LBB1736_236:
	s_or_b64 exec, exec, s[0:1]
	v_or_b32_e32 v1, 0xd00, v0
	v_cmp_gt_u32_e32 vcc, s33, v1
	s_and_saveexec_b64 s[0:1], vcc
	s_cbranch_execz .LBB1736_238
; %bb.237:
	s_waitcnt lgkmcnt(0)
	v_cvt_f32_i32_e32 v1, v12
	v_add_co_u32_e32 v14, vcc, 0x3000, v4
	s_nop 1
	v_addc_co_u32_e32 v15, vcc, 0, v5, vcc
	flat_store_dword v[14:15], v1 offset:1024
.LBB1736_238:
	s_or_b64 exec, exec, s[0:1]
	v_or_b32_e32 v1, 0xe00, v0
	v_cmp_gt_u32_e32 vcc, s33, v1
	s_and_saveexec_b64 s[0:1], vcc
	s_cbranch_execz .LBB1736_240
; %bb.239:
	s_waitcnt lgkmcnt(0)
	v_cvt_f32_i32_e32 v1, v13
	v_add_co_u32_e32 v12, vcc, 0x3000, v4
	s_nop 1
	v_addc_co_u32_e32 v13, vcc, 0, v5, vcc
	flat_store_dword v[12:13], v1 offset:2048
.LBB1736_240:
	s_or_b64 exec, exec, s[0:1]
	v_or_b32_e32 v1, 0xf00, v0
	v_cmp_gt_u32_e32 vcc, s33, v1
	s_and_saveexec_b64 s[0:1], vcc
	s_cbranch_execz .LBB1736_242
; %bb.241:
	s_waitcnt lgkmcnt(0)
	v_cvt_f32_i32_e32 v1, v10
	v_add_co_u32_e32 v12, vcc, 0x3000, v4
	s_nop 1
	v_addc_co_u32_e32 v13, vcc, 0, v5, vcc
	flat_store_dword v[12:13], v1 offset:3072
.LBB1736_242:
	s_or_b64 exec, exec, s[0:1]
	v_or_b32_e32 v1, 0x1000, v0
	v_cmp_gt_u32_e32 vcc, s33, v1
	s_and_saveexec_b64 s[0:1], vcc
	s_cbranch_execz .LBB1736_244
; %bb.243:
	s_waitcnt lgkmcnt(0)
	v_cvt_f32_i32_e32 v1, v11
	v_add_co_u32_e32 v10, vcc, 0x4000, v4
	s_nop 1
	v_addc_co_u32_e32 v11, vcc, 0, v5, vcc
	flat_store_dword v[10:11], v1
.LBB1736_244:
	s_or_b64 exec, exec, s[0:1]
	v_or_b32_e32 v1, 0x1100, v0
	v_cmp_gt_u32_e32 vcc, s33, v1
	s_and_saveexec_b64 s[0:1], vcc
	s_cbranch_execz .LBB1736_246
; %bb.245:
	s_waitcnt lgkmcnt(0)
	v_cvt_f32_i32_e32 v1, v8
	v_add_co_u32_e32 v10, vcc, 0x4000, v4
	s_nop 1
	v_addc_co_u32_e32 v11, vcc, 0, v5, vcc
	flat_store_dword v[10:11], v1 offset:1024
.LBB1736_246:
	s_or_b64 exec, exec, s[0:1]
	v_or_b32_e32 v1, 0x1200, v0
	v_cmp_gt_u32_e32 vcc, s33, v1
	s_and_saveexec_b64 s[0:1], vcc
	s_cbranch_execz .LBB1736_248
; %bb.247:
	s_waitcnt lgkmcnt(0)
	v_cvt_f32_i32_e32 v1, v9
	v_add_co_u32_e32 v8, vcc, 0x4000, v4
	s_nop 1
	v_addc_co_u32_e32 v9, vcc, 0, v5, vcc
	flat_store_dword v[8:9], v1 offset:2048
.LBB1736_248:
	s_or_b64 exec, exec, s[0:1]
	v_or_b32_e32 v1, 0x1300, v0
	v_cmp_gt_u32_e32 vcc, s33, v1
	s_and_saveexec_b64 s[0:1], vcc
	s_cbranch_execz .LBB1736_250
; %bb.249:
	s_waitcnt lgkmcnt(0)
	v_cvt_f32_i32_e32 v1, v6
	v_add_co_u32_e32 v8, vcc, 0x4000, v4
	s_nop 1
	v_addc_co_u32_e32 v9, vcc, 0, v5, vcc
	flat_store_dword v[8:9], v1 offset:3072
.LBB1736_250:
	s_or_b64 exec, exec, s[0:1]
	v_or_b32_e32 v1, 0x1400, v0
	v_cmp_gt_u32_e32 vcc, s33, v1
	s_and_saveexec_b64 s[0:1], vcc
	s_cbranch_execz .LBB1736_252
; %bb.251:
	s_waitcnt lgkmcnt(0)
	v_cvt_f32_i32_e32 v1, v7
	v_add_co_u32_e32 v6, vcc, 0x5000, v4
	s_nop 1
	v_addc_co_u32_e32 v7, vcc, 0, v5, vcc
	flat_store_dword v[6:7], v1
.LBB1736_252:
	s_or_b64 exec, exec, s[0:1]
	v_or_b32_e32 v1, 0x1500, v0
	v_cmp_gt_u32_e32 vcc, s33, v1
	s_and_saveexec_b64 s[0:1], vcc
	s_cbranch_execz .LBB1736_254
; %bb.253:
	s_waitcnt lgkmcnt(0)
	v_cvt_f32_i32_e32 v1, v2
	v_add_co_u32_e32 v4, vcc, 0x5000, v4
	s_nop 1
	v_addc_co_u32_e32 v5, vcc, 0, v5, vcc
	flat_store_dword v[4:5], v1 offset:1024
.LBB1736_254:
	s_or_b64 exec, exec, s[0:1]
	s_waitcnt lgkmcnt(0)
	v_or_b32_e32 v2, 0x1600, v0
	v_mov_b32_e32 v1, v55
	v_cmp_gt_u32_e64 s[0:1], s33, v2
	s_branch .LBB1736_257
.LBB1736_255:
	s_mov_b64 s[0:1], 0
                                        ; implicit-def: $vgpr3
	s_cbranch_execz .LBB1736_257
; %bb.256:
	s_movk_i32 s4, 0x5c
	v_mul_i32_i24_e32 v2, 0xffffffa8, v0
	v_mul_u32_u24_e32 v1, 0x5c, v0
	v_mad_u32_u24 v2, v0, s4, v2
	s_barrier
	ds_write2_b32 v1, v58, v59 offset1:1
	ds_write2_b32 v1, v60, v61 offset0:2 offset1:3
	ds_write2_b32 v1, v62, v63 offset0:4 offset1:5
	;; [unrolled: 1-line block ×10, first 2 shown]
	ds_write_b32 v1, v80 offset:88
	s_waitcnt lgkmcnt(0)
	s_barrier
	ds_read2st64_b32 v[4:5], v2 offset1:4
	ds_read2st64_b32 v[6:7], v2 offset0:8 offset1:12
	ds_read2st64_b32 v[8:9], v2 offset0:16 offset1:20
	;; [unrolled: 1-line block ×10, first 2 shown]
	ds_read_b32 v3, v2 offset:22528
	s_waitcnt lgkmcnt(0)
	v_cvt_f32_i32_e32 v2, v4
	v_mov_b32_e32 v1, 0
	v_cvt_f32_i32_e32 v4, v5
	v_mov_b32_e32 v55, v1
	v_cvt_f32_i32_e32 v5, v6
	v_lshl_add_u64 v[26:27], s[2:3], 0, v[54:55]
	v_cvt_f32_i32_e32 v6, v7
	flat_store_dword v[26:27], v2
	flat_store_dword v[26:27], v4 offset:1024
	flat_store_dword v[26:27], v5 offset:2048
	flat_store_dword v[26:27], v6 offset:3072
	v_cvt_f32_i32_e32 v2, v8
	s_movk_i32 s4, 0x1000
	v_cvt_f32_i32_e32 v6, v9
	v_add_co_u32_e32 v4, vcc, s4, v26
	v_cvt_f32_i32_e32 v7, v10
	s_nop 0
	v_addc_co_u32_e32 v5, vcc, 0, v27, vcc
	v_cvt_f32_i32_e32 v8, v11
	flat_store_dword v[4:5], v2
	flat_store_dword v[4:5], v6 offset:1024
	flat_store_dword v[4:5], v7 offset:2048
	flat_store_dword v[4:5], v8 offset:3072
	v_cvt_f32_i32_e32 v2, v12
	s_movk_i32 s4, 0x2000
	v_cvt_f32_i32_e32 v6, v13
	v_add_co_u32_e32 v4, vcc, s4, v26
	v_cvt_f32_i32_e32 v7, v14
	s_nop 0
	v_addc_co_u32_e32 v5, vcc, 0, v27, vcc
	;; [unrolled: 12-line block ×4, first 2 shown]
	v_cvt_f32_i32_e32 v8, v23
	flat_store_dword v[4:5], v2
	flat_store_dword v[4:5], v6 offset:1024
	flat_store_dword v[4:5], v7 offset:2048
	;; [unrolled: 1-line block ×3, first 2 shown]
	v_cvt_f32_i32_e32 v2, v24
	v_cvt_f32_i32_e32 v6, v25
	v_add_co_u32_e32 v4, vcc, 0x5000, v26
	s_or_b64 s[0:1], s[0:1], exec
	s_nop 0
	v_addc_co_u32_e32 v5, vcc, 0, v27, vcc
	flat_store_dword v[4:5], v2
	flat_store_dword v[4:5], v6 offset:1024
.LBB1736_257:
	s_and_saveexec_b64 s[4:5], s[0:1]
	s_cbranch_execz .LBB1736_259
; %bb.258:
	v_cvt_f32_i32_e32 v2, v3
	v_lshl_add_u64 v[0:1], v[0:1], 2, s[2:3]
	v_add_co_u32_e32 v0, vcc, 0x5000, v0
	s_nop 1
	v_addc_co_u32_e32 v1, vcc, 0, v1, vcc
	flat_store_dword v[0:1], v2 offset:2048
	s_endpgm
.LBB1736_259:
	s_endpgm
	.section	.rodata,"a",@progbits
	.p2align	6, 0x0
	.amdhsa_kernel _ZN7rocprim17ROCPRIM_400000_NS6detail17trampoline_kernelINS0_14default_configENS1_27scan_by_key_config_selectorIiiEEZZNS1_16scan_by_key_implILNS1_25lookback_scan_determinismE0ELb1ES3_N6thrust23THRUST_200600_302600_NS6detail15normal_iteratorINS9_10device_ptrIiEEEENSB_INSC_IjEEEENSB_INSC_IfEEEEiNS9_4plusIvEENS9_8equal_toIvEEiEE10hipError_tPvRmT2_T3_T4_T5_mT6_T7_P12ihipStream_tbENKUlT_T0_E_clISt17integral_constantIbLb1EES12_IbLb0EEEEDaSY_SZ_EUlSY_E_NS1_11comp_targetILNS1_3genE5ELNS1_11target_archE942ELNS1_3gpuE9ELNS1_3repE0EEENS1_30default_config_static_selectorELNS0_4arch9wavefront6targetE1EEEvT1_
		.amdhsa_group_segment_fixed_size 25600
		.amdhsa_private_segment_fixed_size 0
		.amdhsa_kernarg_size 112
		.amdhsa_user_sgpr_count 2
		.amdhsa_user_sgpr_dispatch_ptr 0
		.amdhsa_user_sgpr_queue_ptr 0
		.amdhsa_user_sgpr_kernarg_segment_ptr 1
		.amdhsa_user_sgpr_dispatch_id 0
		.amdhsa_user_sgpr_kernarg_preload_length 0
		.amdhsa_user_sgpr_kernarg_preload_offset 0
		.amdhsa_user_sgpr_private_segment_size 0
		.amdhsa_uses_dynamic_stack 0
		.amdhsa_enable_private_segment 0
		.amdhsa_system_sgpr_workgroup_id_x 1
		.amdhsa_system_sgpr_workgroup_id_y 0
		.amdhsa_system_sgpr_workgroup_id_z 0
		.amdhsa_system_sgpr_workgroup_info 0
		.amdhsa_system_vgpr_workitem_id 0
		.amdhsa_next_free_vgpr 81
		.amdhsa_next_free_sgpr 80
		.amdhsa_accum_offset 84
		.amdhsa_reserve_vcc 1
		.amdhsa_float_round_mode_32 0
		.amdhsa_float_round_mode_16_64 0
		.amdhsa_float_denorm_mode_32 3
		.amdhsa_float_denorm_mode_16_64 3
		.amdhsa_dx10_clamp 1
		.amdhsa_ieee_mode 1
		.amdhsa_fp16_overflow 0
		.amdhsa_tg_split 0
		.amdhsa_exception_fp_ieee_invalid_op 0
		.amdhsa_exception_fp_denorm_src 0
		.amdhsa_exception_fp_ieee_div_zero 0
		.amdhsa_exception_fp_ieee_overflow 0
		.amdhsa_exception_fp_ieee_underflow 0
		.amdhsa_exception_fp_ieee_inexact 0
		.amdhsa_exception_int_div_zero 0
	.end_amdhsa_kernel
	.section	.text._ZN7rocprim17ROCPRIM_400000_NS6detail17trampoline_kernelINS0_14default_configENS1_27scan_by_key_config_selectorIiiEEZZNS1_16scan_by_key_implILNS1_25lookback_scan_determinismE0ELb1ES3_N6thrust23THRUST_200600_302600_NS6detail15normal_iteratorINS9_10device_ptrIiEEEENSB_INSC_IjEEEENSB_INSC_IfEEEEiNS9_4plusIvEENS9_8equal_toIvEEiEE10hipError_tPvRmT2_T3_T4_T5_mT6_T7_P12ihipStream_tbENKUlT_T0_E_clISt17integral_constantIbLb1EES12_IbLb0EEEEDaSY_SZ_EUlSY_E_NS1_11comp_targetILNS1_3genE5ELNS1_11target_archE942ELNS1_3gpuE9ELNS1_3repE0EEENS1_30default_config_static_selectorELNS0_4arch9wavefront6targetE1EEEvT1_,"axG",@progbits,_ZN7rocprim17ROCPRIM_400000_NS6detail17trampoline_kernelINS0_14default_configENS1_27scan_by_key_config_selectorIiiEEZZNS1_16scan_by_key_implILNS1_25lookback_scan_determinismE0ELb1ES3_N6thrust23THRUST_200600_302600_NS6detail15normal_iteratorINS9_10device_ptrIiEEEENSB_INSC_IjEEEENSB_INSC_IfEEEEiNS9_4plusIvEENS9_8equal_toIvEEiEE10hipError_tPvRmT2_T3_T4_T5_mT6_T7_P12ihipStream_tbENKUlT_T0_E_clISt17integral_constantIbLb1EES12_IbLb0EEEEDaSY_SZ_EUlSY_E_NS1_11comp_targetILNS1_3genE5ELNS1_11target_archE942ELNS1_3gpuE9ELNS1_3repE0EEENS1_30default_config_static_selectorELNS0_4arch9wavefront6targetE1EEEvT1_,comdat
.Lfunc_end1736:
	.size	_ZN7rocprim17ROCPRIM_400000_NS6detail17trampoline_kernelINS0_14default_configENS1_27scan_by_key_config_selectorIiiEEZZNS1_16scan_by_key_implILNS1_25lookback_scan_determinismE0ELb1ES3_N6thrust23THRUST_200600_302600_NS6detail15normal_iteratorINS9_10device_ptrIiEEEENSB_INSC_IjEEEENSB_INSC_IfEEEEiNS9_4plusIvEENS9_8equal_toIvEEiEE10hipError_tPvRmT2_T3_T4_T5_mT6_T7_P12ihipStream_tbENKUlT_T0_E_clISt17integral_constantIbLb1EES12_IbLb0EEEEDaSY_SZ_EUlSY_E_NS1_11comp_targetILNS1_3genE5ELNS1_11target_archE942ELNS1_3gpuE9ELNS1_3repE0EEENS1_30default_config_static_selectorELNS0_4arch9wavefront6targetE1EEEvT1_, .Lfunc_end1736-_ZN7rocprim17ROCPRIM_400000_NS6detail17trampoline_kernelINS0_14default_configENS1_27scan_by_key_config_selectorIiiEEZZNS1_16scan_by_key_implILNS1_25lookback_scan_determinismE0ELb1ES3_N6thrust23THRUST_200600_302600_NS6detail15normal_iteratorINS9_10device_ptrIiEEEENSB_INSC_IjEEEENSB_INSC_IfEEEEiNS9_4plusIvEENS9_8equal_toIvEEiEE10hipError_tPvRmT2_T3_T4_T5_mT6_T7_P12ihipStream_tbENKUlT_T0_E_clISt17integral_constantIbLb1EES12_IbLb0EEEEDaSY_SZ_EUlSY_E_NS1_11comp_targetILNS1_3genE5ELNS1_11target_archE942ELNS1_3gpuE9ELNS1_3repE0EEENS1_30default_config_static_selectorELNS0_4arch9wavefront6targetE1EEEvT1_
                                        ; -- End function
	.section	.AMDGPU.csdata,"",@progbits
; Kernel info:
; codeLenInByte = 16016
; NumSgprs: 86
; NumVgprs: 81
; NumAgprs: 0
; TotalNumVgprs: 81
; ScratchSize: 0
; MemoryBound: 0
; FloatMode: 240
; IeeeMode: 1
; LDSByteSize: 25600 bytes/workgroup (compile time only)
; SGPRBlocks: 10
; VGPRBlocks: 10
; NumSGPRsForWavesPerEU: 86
; NumVGPRsForWavesPerEU: 81
; AccumOffset: 84
; Occupancy: 2
; WaveLimiterHint : 1
; COMPUTE_PGM_RSRC2:SCRATCH_EN: 0
; COMPUTE_PGM_RSRC2:USER_SGPR: 2
; COMPUTE_PGM_RSRC2:TRAP_HANDLER: 0
; COMPUTE_PGM_RSRC2:TGID_X_EN: 1
; COMPUTE_PGM_RSRC2:TGID_Y_EN: 0
; COMPUTE_PGM_RSRC2:TGID_Z_EN: 0
; COMPUTE_PGM_RSRC2:TIDIG_COMP_CNT: 0
; COMPUTE_PGM_RSRC3_GFX90A:ACCUM_OFFSET: 20
; COMPUTE_PGM_RSRC3_GFX90A:TG_SPLIT: 0
	.section	.text._ZN7rocprim17ROCPRIM_400000_NS6detail17trampoline_kernelINS0_14default_configENS1_27scan_by_key_config_selectorIiiEEZZNS1_16scan_by_key_implILNS1_25lookback_scan_determinismE0ELb1ES3_N6thrust23THRUST_200600_302600_NS6detail15normal_iteratorINS9_10device_ptrIiEEEENSB_INSC_IjEEEENSB_INSC_IfEEEEiNS9_4plusIvEENS9_8equal_toIvEEiEE10hipError_tPvRmT2_T3_T4_T5_mT6_T7_P12ihipStream_tbENKUlT_T0_E_clISt17integral_constantIbLb1EES12_IbLb0EEEEDaSY_SZ_EUlSY_E_NS1_11comp_targetILNS1_3genE4ELNS1_11target_archE910ELNS1_3gpuE8ELNS1_3repE0EEENS1_30default_config_static_selectorELNS0_4arch9wavefront6targetE1EEEvT1_,"axG",@progbits,_ZN7rocprim17ROCPRIM_400000_NS6detail17trampoline_kernelINS0_14default_configENS1_27scan_by_key_config_selectorIiiEEZZNS1_16scan_by_key_implILNS1_25lookback_scan_determinismE0ELb1ES3_N6thrust23THRUST_200600_302600_NS6detail15normal_iteratorINS9_10device_ptrIiEEEENSB_INSC_IjEEEENSB_INSC_IfEEEEiNS9_4plusIvEENS9_8equal_toIvEEiEE10hipError_tPvRmT2_T3_T4_T5_mT6_T7_P12ihipStream_tbENKUlT_T0_E_clISt17integral_constantIbLb1EES12_IbLb0EEEEDaSY_SZ_EUlSY_E_NS1_11comp_targetILNS1_3genE4ELNS1_11target_archE910ELNS1_3gpuE8ELNS1_3repE0EEENS1_30default_config_static_selectorELNS0_4arch9wavefront6targetE1EEEvT1_,comdat
	.protected	_ZN7rocprim17ROCPRIM_400000_NS6detail17trampoline_kernelINS0_14default_configENS1_27scan_by_key_config_selectorIiiEEZZNS1_16scan_by_key_implILNS1_25lookback_scan_determinismE0ELb1ES3_N6thrust23THRUST_200600_302600_NS6detail15normal_iteratorINS9_10device_ptrIiEEEENSB_INSC_IjEEEENSB_INSC_IfEEEEiNS9_4plusIvEENS9_8equal_toIvEEiEE10hipError_tPvRmT2_T3_T4_T5_mT6_T7_P12ihipStream_tbENKUlT_T0_E_clISt17integral_constantIbLb1EES12_IbLb0EEEEDaSY_SZ_EUlSY_E_NS1_11comp_targetILNS1_3genE4ELNS1_11target_archE910ELNS1_3gpuE8ELNS1_3repE0EEENS1_30default_config_static_selectorELNS0_4arch9wavefront6targetE1EEEvT1_ ; -- Begin function _ZN7rocprim17ROCPRIM_400000_NS6detail17trampoline_kernelINS0_14default_configENS1_27scan_by_key_config_selectorIiiEEZZNS1_16scan_by_key_implILNS1_25lookback_scan_determinismE0ELb1ES3_N6thrust23THRUST_200600_302600_NS6detail15normal_iteratorINS9_10device_ptrIiEEEENSB_INSC_IjEEEENSB_INSC_IfEEEEiNS9_4plusIvEENS9_8equal_toIvEEiEE10hipError_tPvRmT2_T3_T4_T5_mT6_T7_P12ihipStream_tbENKUlT_T0_E_clISt17integral_constantIbLb1EES12_IbLb0EEEEDaSY_SZ_EUlSY_E_NS1_11comp_targetILNS1_3genE4ELNS1_11target_archE910ELNS1_3gpuE8ELNS1_3repE0EEENS1_30default_config_static_selectorELNS0_4arch9wavefront6targetE1EEEvT1_
	.globl	_ZN7rocprim17ROCPRIM_400000_NS6detail17trampoline_kernelINS0_14default_configENS1_27scan_by_key_config_selectorIiiEEZZNS1_16scan_by_key_implILNS1_25lookback_scan_determinismE0ELb1ES3_N6thrust23THRUST_200600_302600_NS6detail15normal_iteratorINS9_10device_ptrIiEEEENSB_INSC_IjEEEENSB_INSC_IfEEEEiNS9_4plusIvEENS9_8equal_toIvEEiEE10hipError_tPvRmT2_T3_T4_T5_mT6_T7_P12ihipStream_tbENKUlT_T0_E_clISt17integral_constantIbLb1EES12_IbLb0EEEEDaSY_SZ_EUlSY_E_NS1_11comp_targetILNS1_3genE4ELNS1_11target_archE910ELNS1_3gpuE8ELNS1_3repE0EEENS1_30default_config_static_selectorELNS0_4arch9wavefront6targetE1EEEvT1_
	.p2align	8
	.type	_ZN7rocprim17ROCPRIM_400000_NS6detail17trampoline_kernelINS0_14default_configENS1_27scan_by_key_config_selectorIiiEEZZNS1_16scan_by_key_implILNS1_25lookback_scan_determinismE0ELb1ES3_N6thrust23THRUST_200600_302600_NS6detail15normal_iteratorINS9_10device_ptrIiEEEENSB_INSC_IjEEEENSB_INSC_IfEEEEiNS9_4plusIvEENS9_8equal_toIvEEiEE10hipError_tPvRmT2_T3_T4_T5_mT6_T7_P12ihipStream_tbENKUlT_T0_E_clISt17integral_constantIbLb1EES12_IbLb0EEEEDaSY_SZ_EUlSY_E_NS1_11comp_targetILNS1_3genE4ELNS1_11target_archE910ELNS1_3gpuE8ELNS1_3repE0EEENS1_30default_config_static_selectorELNS0_4arch9wavefront6targetE1EEEvT1_,@function
_ZN7rocprim17ROCPRIM_400000_NS6detail17trampoline_kernelINS0_14default_configENS1_27scan_by_key_config_selectorIiiEEZZNS1_16scan_by_key_implILNS1_25lookback_scan_determinismE0ELb1ES3_N6thrust23THRUST_200600_302600_NS6detail15normal_iteratorINS9_10device_ptrIiEEEENSB_INSC_IjEEEENSB_INSC_IfEEEEiNS9_4plusIvEENS9_8equal_toIvEEiEE10hipError_tPvRmT2_T3_T4_T5_mT6_T7_P12ihipStream_tbENKUlT_T0_E_clISt17integral_constantIbLb1EES12_IbLb0EEEEDaSY_SZ_EUlSY_E_NS1_11comp_targetILNS1_3genE4ELNS1_11target_archE910ELNS1_3gpuE8ELNS1_3repE0EEENS1_30default_config_static_selectorELNS0_4arch9wavefront6targetE1EEEvT1_: ; @_ZN7rocprim17ROCPRIM_400000_NS6detail17trampoline_kernelINS0_14default_configENS1_27scan_by_key_config_selectorIiiEEZZNS1_16scan_by_key_implILNS1_25lookback_scan_determinismE0ELb1ES3_N6thrust23THRUST_200600_302600_NS6detail15normal_iteratorINS9_10device_ptrIiEEEENSB_INSC_IjEEEENSB_INSC_IfEEEEiNS9_4plusIvEENS9_8equal_toIvEEiEE10hipError_tPvRmT2_T3_T4_T5_mT6_T7_P12ihipStream_tbENKUlT_T0_E_clISt17integral_constantIbLb1EES12_IbLb0EEEEDaSY_SZ_EUlSY_E_NS1_11comp_targetILNS1_3genE4ELNS1_11target_archE910ELNS1_3gpuE8ELNS1_3repE0EEENS1_30default_config_static_selectorELNS0_4arch9wavefront6targetE1EEEvT1_
; %bb.0:
	.section	.rodata,"a",@progbits
	.p2align	6, 0x0
	.amdhsa_kernel _ZN7rocprim17ROCPRIM_400000_NS6detail17trampoline_kernelINS0_14default_configENS1_27scan_by_key_config_selectorIiiEEZZNS1_16scan_by_key_implILNS1_25lookback_scan_determinismE0ELb1ES3_N6thrust23THRUST_200600_302600_NS6detail15normal_iteratorINS9_10device_ptrIiEEEENSB_INSC_IjEEEENSB_INSC_IfEEEEiNS9_4plusIvEENS9_8equal_toIvEEiEE10hipError_tPvRmT2_T3_T4_T5_mT6_T7_P12ihipStream_tbENKUlT_T0_E_clISt17integral_constantIbLb1EES12_IbLb0EEEEDaSY_SZ_EUlSY_E_NS1_11comp_targetILNS1_3genE4ELNS1_11target_archE910ELNS1_3gpuE8ELNS1_3repE0EEENS1_30default_config_static_selectorELNS0_4arch9wavefront6targetE1EEEvT1_
		.amdhsa_group_segment_fixed_size 0
		.amdhsa_private_segment_fixed_size 0
		.amdhsa_kernarg_size 112
		.amdhsa_user_sgpr_count 2
		.amdhsa_user_sgpr_dispatch_ptr 0
		.amdhsa_user_sgpr_queue_ptr 0
		.amdhsa_user_sgpr_kernarg_segment_ptr 1
		.amdhsa_user_sgpr_dispatch_id 0
		.amdhsa_user_sgpr_kernarg_preload_length 0
		.amdhsa_user_sgpr_kernarg_preload_offset 0
		.amdhsa_user_sgpr_private_segment_size 0
		.amdhsa_uses_dynamic_stack 0
		.amdhsa_enable_private_segment 0
		.amdhsa_system_sgpr_workgroup_id_x 1
		.amdhsa_system_sgpr_workgroup_id_y 0
		.amdhsa_system_sgpr_workgroup_id_z 0
		.amdhsa_system_sgpr_workgroup_info 0
		.amdhsa_system_vgpr_workitem_id 0
		.amdhsa_next_free_vgpr 1
		.amdhsa_next_free_sgpr 0
		.amdhsa_accum_offset 4
		.amdhsa_reserve_vcc 0
		.amdhsa_float_round_mode_32 0
		.amdhsa_float_round_mode_16_64 0
		.amdhsa_float_denorm_mode_32 3
		.amdhsa_float_denorm_mode_16_64 3
		.amdhsa_dx10_clamp 1
		.amdhsa_ieee_mode 1
		.amdhsa_fp16_overflow 0
		.amdhsa_tg_split 0
		.amdhsa_exception_fp_ieee_invalid_op 0
		.amdhsa_exception_fp_denorm_src 0
		.amdhsa_exception_fp_ieee_div_zero 0
		.amdhsa_exception_fp_ieee_overflow 0
		.amdhsa_exception_fp_ieee_underflow 0
		.amdhsa_exception_fp_ieee_inexact 0
		.amdhsa_exception_int_div_zero 0
	.end_amdhsa_kernel
	.section	.text._ZN7rocprim17ROCPRIM_400000_NS6detail17trampoline_kernelINS0_14default_configENS1_27scan_by_key_config_selectorIiiEEZZNS1_16scan_by_key_implILNS1_25lookback_scan_determinismE0ELb1ES3_N6thrust23THRUST_200600_302600_NS6detail15normal_iteratorINS9_10device_ptrIiEEEENSB_INSC_IjEEEENSB_INSC_IfEEEEiNS9_4plusIvEENS9_8equal_toIvEEiEE10hipError_tPvRmT2_T3_T4_T5_mT6_T7_P12ihipStream_tbENKUlT_T0_E_clISt17integral_constantIbLb1EES12_IbLb0EEEEDaSY_SZ_EUlSY_E_NS1_11comp_targetILNS1_3genE4ELNS1_11target_archE910ELNS1_3gpuE8ELNS1_3repE0EEENS1_30default_config_static_selectorELNS0_4arch9wavefront6targetE1EEEvT1_,"axG",@progbits,_ZN7rocprim17ROCPRIM_400000_NS6detail17trampoline_kernelINS0_14default_configENS1_27scan_by_key_config_selectorIiiEEZZNS1_16scan_by_key_implILNS1_25lookback_scan_determinismE0ELb1ES3_N6thrust23THRUST_200600_302600_NS6detail15normal_iteratorINS9_10device_ptrIiEEEENSB_INSC_IjEEEENSB_INSC_IfEEEEiNS9_4plusIvEENS9_8equal_toIvEEiEE10hipError_tPvRmT2_T3_T4_T5_mT6_T7_P12ihipStream_tbENKUlT_T0_E_clISt17integral_constantIbLb1EES12_IbLb0EEEEDaSY_SZ_EUlSY_E_NS1_11comp_targetILNS1_3genE4ELNS1_11target_archE910ELNS1_3gpuE8ELNS1_3repE0EEENS1_30default_config_static_selectorELNS0_4arch9wavefront6targetE1EEEvT1_,comdat
.Lfunc_end1737:
	.size	_ZN7rocprim17ROCPRIM_400000_NS6detail17trampoline_kernelINS0_14default_configENS1_27scan_by_key_config_selectorIiiEEZZNS1_16scan_by_key_implILNS1_25lookback_scan_determinismE0ELb1ES3_N6thrust23THRUST_200600_302600_NS6detail15normal_iteratorINS9_10device_ptrIiEEEENSB_INSC_IjEEEENSB_INSC_IfEEEEiNS9_4plusIvEENS9_8equal_toIvEEiEE10hipError_tPvRmT2_T3_T4_T5_mT6_T7_P12ihipStream_tbENKUlT_T0_E_clISt17integral_constantIbLb1EES12_IbLb0EEEEDaSY_SZ_EUlSY_E_NS1_11comp_targetILNS1_3genE4ELNS1_11target_archE910ELNS1_3gpuE8ELNS1_3repE0EEENS1_30default_config_static_selectorELNS0_4arch9wavefront6targetE1EEEvT1_, .Lfunc_end1737-_ZN7rocprim17ROCPRIM_400000_NS6detail17trampoline_kernelINS0_14default_configENS1_27scan_by_key_config_selectorIiiEEZZNS1_16scan_by_key_implILNS1_25lookback_scan_determinismE0ELb1ES3_N6thrust23THRUST_200600_302600_NS6detail15normal_iteratorINS9_10device_ptrIiEEEENSB_INSC_IjEEEENSB_INSC_IfEEEEiNS9_4plusIvEENS9_8equal_toIvEEiEE10hipError_tPvRmT2_T3_T4_T5_mT6_T7_P12ihipStream_tbENKUlT_T0_E_clISt17integral_constantIbLb1EES12_IbLb0EEEEDaSY_SZ_EUlSY_E_NS1_11comp_targetILNS1_3genE4ELNS1_11target_archE910ELNS1_3gpuE8ELNS1_3repE0EEENS1_30default_config_static_selectorELNS0_4arch9wavefront6targetE1EEEvT1_
                                        ; -- End function
	.section	.AMDGPU.csdata,"",@progbits
; Kernel info:
; codeLenInByte = 0
; NumSgprs: 6
; NumVgprs: 0
; NumAgprs: 0
; TotalNumVgprs: 0
; ScratchSize: 0
; MemoryBound: 0
; FloatMode: 240
; IeeeMode: 1
; LDSByteSize: 0 bytes/workgroup (compile time only)
; SGPRBlocks: 0
; VGPRBlocks: 0
; NumSGPRsForWavesPerEU: 6
; NumVGPRsForWavesPerEU: 1
; AccumOffset: 4
; Occupancy: 8
; WaveLimiterHint : 0
; COMPUTE_PGM_RSRC2:SCRATCH_EN: 0
; COMPUTE_PGM_RSRC2:USER_SGPR: 2
; COMPUTE_PGM_RSRC2:TRAP_HANDLER: 0
; COMPUTE_PGM_RSRC2:TGID_X_EN: 1
; COMPUTE_PGM_RSRC2:TGID_Y_EN: 0
; COMPUTE_PGM_RSRC2:TGID_Z_EN: 0
; COMPUTE_PGM_RSRC2:TIDIG_COMP_CNT: 0
; COMPUTE_PGM_RSRC3_GFX90A:ACCUM_OFFSET: 0
; COMPUTE_PGM_RSRC3_GFX90A:TG_SPLIT: 0
	.section	.text._ZN7rocprim17ROCPRIM_400000_NS6detail17trampoline_kernelINS0_14default_configENS1_27scan_by_key_config_selectorIiiEEZZNS1_16scan_by_key_implILNS1_25lookback_scan_determinismE0ELb1ES3_N6thrust23THRUST_200600_302600_NS6detail15normal_iteratorINS9_10device_ptrIiEEEENSB_INSC_IjEEEENSB_INSC_IfEEEEiNS9_4plusIvEENS9_8equal_toIvEEiEE10hipError_tPvRmT2_T3_T4_T5_mT6_T7_P12ihipStream_tbENKUlT_T0_E_clISt17integral_constantIbLb1EES12_IbLb0EEEEDaSY_SZ_EUlSY_E_NS1_11comp_targetILNS1_3genE3ELNS1_11target_archE908ELNS1_3gpuE7ELNS1_3repE0EEENS1_30default_config_static_selectorELNS0_4arch9wavefront6targetE1EEEvT1_,"axG",@progbits,_ZN7rocprim17ROCPRIM_400000_NS6detail17trampoline_kernelINS0_14default_configENS1_27scan_by_key_config_selectorIiiEEZZNS1_16scan_by_key_implILNS1_25lookback_scan_determinismE0ELb1ES3_N6thrust23THRUST_200600_302600_NS6detail15normal_iteratorINS9_10device_ptrIiEEEENSB_INSC_IjEEEENSB_INSC_IfEEEEiNS9_4plusIvEENS9_8equal_toIvEEiEE10hipError_tPvRmT2_T3_T4_T5_mT6_T7_P12ihipStream_tbENKUlT_T0_E_clISt17integral_constantIbLb1EES12_IbLb0EEEEDaSY_SZ_EUlSY_E_NS1_11comp_targetILNS1_3genE3ELNS1_11target_archE908ELNS1_3gpuE7ELNS1_3repE0EEENS1_30default_config_static_selectorELNS0_4arch9wavefront6targetE1EEEvT1_,comdat
	.protected	_ZN7rocprim17ROCPRIM_400000_NS6detail17trampoline_kernelINS0_14default_configENS1_27scan_by_key_config_selectorIiiEEZZNS1_16scan_by_key_implILNS1_25lookback_scan_determinismE0ELb1ES3_N6thrust23THRUST_200600_302600_NS6detail15normal_iteratorINS9_10device_ptrIiEEEENSB_INSC_IjEEEENSB_INSC_IfEEEEiNS9_4plusIvEENS9_8equal_toIvEEiEE10hipError_tPvRmT2_T3_T4_T5_mT6_T7_P12ihipStream_tbENKUlT_T0_E_clISt17integral_constantIbLb1EES12_IbLb0EEEEDaSY_SZ_EUlSY_E_NS1_11comp_targetILNS1_3genE3ELNS1_11target_archE908ELNS1_3gpuE7ELNS1_3repE0EEENS1_30default_config_static_selectorELNS0_4arch9wavefront6targetE1EEEvT1_ ; -- Begin function _ZN7rocprim17ROCPRIM_400000_NS6detail17trampoline_kernelINS0_14default_configENS1_27scan_by_key_config_selectorIiiEEZZNS1_16scan_by_key_implILNS1_25lookback_scan_determinismE0ELb1ES3_N6thrust23THRUST_200600_302600_NS6detail15normal_iteratorINS9_10device_ptrIiEEEENSB_INSC_IjEEEENSB_INSC_IfEEEEiNS9_4plusIvEENS9_8equal_toIvEEiEE10hipError_tPvRmT2_T3_T4_T5_mT6_T7_P12ihipStream_tbENKUlT_T0_E_clISt17integral_constantIbLb1EES12_IbLb0EEEEDaSY_SZ_EUlSY_E_NS1_11comp_targetILNS1_3genE3ELNS1_11target_archE908ELNS1_3gpuE7ELNS1_3repE0EEENS1_30default_config_static_selectorELNS0_4arch9wavefront6targetE1EEEvT1_
	.globl	_ZN7rocprim17ROCPRIM_400000_NS6detail17trampoline_kernelINS0_14default_configENS1_27scan_by_key_config_selectorIiiEEZZNS1_16scan_by_key_implILNS1_25lookback_scan_determinismE0ELb1ES3_N6thrust23THRUST_200600_302600_NS6detail15normal_iteratorINS9_10device_ptrIiEEEENSB_INSC_IjEEEENSB_INSC_IfEEEEiNS9_4plusIvEENS9_8equal_toIvEEiEE10hipError_tPvRmT2_T3_T4_T5_mT6_T7_P12ihipStream_tbENKUlT_T0_E_clISt17integral_constantIbLb1EES12_IbLb0EEEEDaSY_SZ_EUlSY_E_NS1_11comp_targetILNS1_3genE3ELNS1_11target_archE908ELNS1_3gpuE7ELNS1_3repE0EEENS1_30default_config_static_selectorELNS0_4arch9wavefront6targetE1EEEvT1_
	.p2align	8
	.type	_ZN7rocprim17ROCPRIM_400000_NS6detail17trampoline_kernelINS0_14default_configENS1_27scan_by_key_config_selectorIiiEEZZNS1_16scan_by_key_implILNS1_25lookback_scan_determinismE0ELb1ES3_N6thrust23THRUST_200600_302600_NS6detail15normal_iteratorINS9_10device_ptrIiEEEENSB_INSC_IjEEEENSB_INSC_IfEEEEiNS9_4plusIvEENS9_8equal_toIvEEiEE10hipError_tPvRmT2_T3_T4_T5_mT6_T7_P12ihipStream_tbENKUlT_T0_E_clISt17integral_constantIbLb1EES12_IbLb0EEEEDaSY_SZ_EUlSY_E_NS1_11comp_targetILNS1_3genE3ELNS1_11target_archE908ELNS1_3gpuE7ELNS1_3repE0EEENS1_30default_config_static_selectorELNS0_4arch9wavefront6targetE1EEEvT1_,@function
_ZN7rocprim17ROCPRIM_400000_NS6detail17trampoline_kernelINS0_14default_configENS1_27scan_by_key_config_selectorIiiEEZZNS1_16scan_by_key_implILNS1_25lookback_scan_determinismE0ELb1ES3_N6thrust23THRUST_200600_302600_NS6detail15normal_iteratorINS9_10device_ptrIiEEEENSB_INSC_IjEEEENSB_INSC_IfEEEEiNS9_4plusIvEENS9_8equal_toIvEEiEE10hipError_tPvRmT2_T3_T4_T5_mT6_T7_P12ihipStream_tbENKUlT_T0_E_clISt17integral_constantIbLb1EES12_IbLb0EEEEDaSY_SZ_EUlSY_E_NS1_11comp_targetILNS1_3genE3ELNS1_11target_archE908ELNS1_3gpuE7ELNS1_3repE0EEENS1_30default_config_static_selectorELNS0_4arch9wavefront6targetE1EEEvT1_: ; @_ZN7rocprim17ROCPRIM_400000_NS6detail17trampoline_kernelINS0_14default_configENS1_27scan_by_key_config_selectorIiiEEZZNS1_16scan_by_key_implILNS1_25lookback_scan_determinismE0ELb1ES3_N6thrust23THRUST_200600_302600_NS6detail15normal_iteratorINS9_10device_ptrIiEEEENSB_INSC_IjEEEENSB_INSC_IfEEEEiNS9_4plusIvEENS9_8equal_toIvEEiEE10hipError_tPvRmT2_T3_T4_T5_mT6_T7_P12ihipStream_tbENKUlT_T0_E_clISt17integral_constantIbLb1EES12_IbLb0EEEEDaSY_SZ_EUlSY_E_NS1_11comp_targetILNS1_3genE3ELNS1_11target_archE908ELNS1_3gpuE7ELNS1_3repE0EEENS1_30default_config_static_selectorELNS0_4arch9wavefront6targetE1EEEvT1_
; %bb.0:
	.section	.rodata,"a",@progbits
	.p2align	6, 0x0
	.amdhsa_kernel _ZN7rocprim17ROCPRIM_400000_NS6detail17trampoline_kernelINS0_14default_configENS1_27scan_by_key_config_selectorIiiEEZZNS1_16scan_by_key_implILNS1_25lookback_scan_determinismE0ELb1ES3_N6thrust23THRUST_200600_302600_NS6detail15normal_iteratorINS9_10device_ptrIiEEEENSB_INSC_IjEEEENSB_INSC_IfEEEEiNS9_4plusIvEENS9_8equal_toIvEEiEE10hipError_tPvRmT2_T3_T4_T5_mT6_T7_P12ihipStream_tbENKUlT_T0_E_clISt17integral_constantIbLb1EES12_IbLb0EEEEDaSY_SZ_EUlSY_E_NS1_11comp_targetILNS1_3genE3ELNS1_11target_archE908ELNS1_3gpuE7ELNS1_3repE0EEENS1_30default_config_static_selectorELNS0_4arch9wavefront6targetE1EEEvT1_
		.amdhsa_group_segment_fixed_size 0
		.amdhsa_private_segment_fixed_size 0
		.amdhsa_kernarg_size 112
		.amdhsa_user_sgpr_count 2
		.amdhsa_user_sgpr_dispatch_ptr 0
		.amdhsa_user_sgpr_queue_ptr 0
		.amdhsa_user_sgpr_kernarg_segment_ptr 1
		.amdhsa_user_sgpr_dispatch_id 0
		.amdhsa_user_sgpr_kernarg_preload_length 0
		.amdhsa_user_sgpr_kernarg_preload_offset 0
		.amdhsa_user_sgpr_private_segment_size 0
		.amdhsa_uses_dynamic_stack 0
		.amdhsa_enable_private_segment 0
		.amdhsa_system_sgpr_workgroup_id_x 1
		.amdhsa_system_sgpr_workgroup_id_y 0
		.amdhsa_system_sgpr_workgroup_id_z 0
		.amdhsa_system_sgpr_workgroup_info 0
		.amdhsa_system_vgpr_workitem_id 0
		.amdhsa_next_free_vgpr 1
		.amdhsa_next_free_sgpr 0
		.amdhsa_accum_offset 4
		.amdhsa_reserve_vcc 0
		.amdhsa_float_round_mode_32 0
		.amdhsa_float_round_mode_16_64 0
		.amdhsa_float_denorm_mode_32 3
		.amdhsa_float_denorm_mode_16_64 3
		.amdhsa_dx10_clamp 1
		.amdhsa_ieee_mode 1
		.amdhsa_fp16_overflow 0
		.amdhsa_tg_split 0
		.amdhsa_exception_fp_ieee_invalid_op 0
		.amdhsa_exception_fp_denorm_src 0
		.amdhsa_exception_fp_ieee_div_zero 0
		.amdhsa_exception_fp_ieee_overflow 0
		.amdhsa_exception_fp_ieee_underflow 0
		.amdhsa_exception_fp_ieee_inexact 0
		.amdhsa_exception_int_div_zero 0
	.end_amdhsa_kernel
	.section	.text._ZN7rocprim17ROCPRIM_400000_NS6detail17trampoline_kernelINS0_14default_configENS1_27scan_by_key_config_selectorIiiEEZZNS1_16scan_by_key_implILNS1_25lookback_scan_determinismE0ELb1ES3_N6thrust23THRUST_200600_302600_NS6detail15normal_iteratorINS9_10device_ptrIiEEEENSB_INSC_IjEEEENSB_INSC_IfEEEEiNS9_4plusIvEENS9_8equal_toIvEEiEE10hipError_tPvRmT2_T3_T4_T5_mT6_T7_P12ihipStream_tbENKUlT_T0_E_clISt17integral_constantIbLb1EES12_IbLb0EEEEDaSY_SZ_EUlSY_E_NS1_11comp_targetILNS1_3genE3ELNS1_11target_archE908ELNS1_3gpuE7ELNS1_3repE0EEENS1_30default_config_static_selectorELNS0_4arch9wavefront6targetE1EEEvT1_,"axG",@progbits,_ZN7rocprim17ROCPRIM_400000_NS6detail17trampoline_kernelINS0_14default_configENS1_27scan_by_key_config_selectorIiiEEZZNS1_16scan_by_key_implILNS1_25lookback_scan_determinismE0ELb1ES3_N6thrust23THRUST_200600_302600_NS6detail15normal_iteratorINS9_10device_ptrIiEEEENSB_INSC_IjEEEENSB_INSC_IfEEEEiNS9_4plusIvEENS9_8equal_toIvEEiEE10hipError_tPvRmT2_T3_T4_T5_mT6_T7_P12ihipStream_tbENKUlT_T0_E_clISt17integral_constantIbLb1EES12_IbLb0EEEEDaSY_SZ_EUlSY_E_NS1_11comp_targetILNS1_3genE3ELNS1_11target_archE908ELNS1_3gpuE7ELNS1_3repE0EEENS1_30default_config_static_selectorELNS0_4arch9wavefront6targetE1EEEvT1_,comdat
.Lfunc_end1738:
	.size	_ZN7rocprim17ROCPRIM_400000_NS6detail17trampoline_kernelINS0_14default_configENS1_27scan_by_key_config_selectorIiiEEZZNS1_16scan_by_key_implILNS1_25lookback_scan_determinismE0ELb1ES3_N6thrust23THRUST_200600_302600_NS6detail15normal_iteratorINS9_10device_ptrIiEEEENSB_INSC_IjEEEENSB_INSC_IfEEEEiNS9_4plusIvEENS9_8equal_toIvEEiEE10hipError_tPvRmT2_T3_T4_T5_mT6_T7_P12ihipStream_tbENKUlT_T0_E_clISt17integral_constantIbLb1EES12_IbLb0EEEEDaSY_SZ_EUlSY_E_NS1_11comp_targetILNS1_3genE3ELNS1_11target_archE908ELNS1_3gpuE7ELNS1_3repE0EEENS1_30default_config_static_selectorELNS0_4arch9wavefront6targetE1EEEvT1_, .Lfunc_end1738-_ZN7rocprim17ROCPRIM_400000_NS6detail17trampoline_kernelINS0_14default_configENS1_27scan_by_key_config_selectorIiiEEZZNS1_16scan_by_key_implILNS1_25lookback_scan_determinismE0ELb1ES3_N6thrust23THRUST_200600_302600_NS6detail15normal_iteratorINS9_10device_ptrIiEEEENSB_INSC_IjEEEENSB_INSC_IfEEEEiNS9_4plusIvEENS9_8equal_toIvEEiEE10hipError_tPvRmT2_T3_T4_T5_mT6_T7_P12ihipStream_tbENKUlT_T0_E_clISt17integral_constantIbLb1EES12_IbLb0EEEEDaSY_SZ_EUlSY_E_NS1_11comp_targetILNS1_3genE3ELNS1_11target_archE908ELNS1_3gpuE7ELNS1_3repE0EEENS1_30default_config_static_selectorELNS0_4arch9wavefront6targetE1EEEvT1_
                                        ; -- End function
	.section	.AMDGPU.csdata,"",@progbits
; Kernel info:
; codeLenInByte = 0
; NumSgprs: 6
; NumVgprs: 0
; NumAgprs: 0
; TotalNumVgprs: 0
; ScratchSize: 0
; MemoryBound: 0
; FloatMode: 240
; IeeeMode: 1
; LDSByteSize: 0 bytes/workgroup (compile time only)
; SGPRBlocks: 0
; VGPRBlocks: 0
; NumSGPRsForWavesPerEU: 6
; NumVGPRsForWavesPerEU: 1
; AccumOffset: 4
; Occupancy: 8
; WaveLimiterHint : 0
; COMPUTE_PGM_RSRC2:SCRATCH_EN: 0
; COMPUTE_PGM_RSRC2:USER_SGPR: 2
; COMPUTE_PGM_RSRC2:TRAP_HANDLER: 0
; COMPUTE_PGM_RSRC2:TGID_X_EN: 1
; COMPUTE_PGM_RSRC2:TGID_Y_EN: 0
; COMPUTE_PGM_RSRC2:TGID_Z_EN: 0
; COMPUTE_PGM_RSRC2:TIDIG_COMP_CNT: 0
; COMPUTE_PGM_RSRC3_GFX90A:ACCUM_OFFSET: 0
; COMPUTE_PGM_RSRC3_GFX90A:TG_SPLIT: 0
	.section	.text._ZN7rocprim17ROCPRIM_400000_NS6detail17trampoline_kernelINS0_14default_configENS1_27scan_by_key_config_selectorIiiEEZZNS1_16scan_by_key_implILNS1_25lookback_scan_determinismE0ELb1ES3_N6thrust23THRUST_200600_302600_NS6detail15normal_iteratorINS9_10device_ptrIiEEEENSB_INSC_IjEEEENSB_INSC_IfEEEEiNS9_4plusIvEENS9_8equal_toIvEEiEE10hipError_tPvRmT2_T3_T4_T5_mT6_T7_P12ihipStream_tbENKUlT_T0_E_clISt17integral_constantIbLb1EES12_IbLb0EEEEDaSY_SZ_EUlSY_E_NS1_11comp_targetILNS1_3genE2ELNS1_11target_archE906ELNS1_3gpuE6ELNS1_3repE0EEENS1_30default_config_static_selectorELNS0_4arch9wavefront6targetE1EEEvT1_,"axG",@progbits,_ZN7rocprim17ROCPRIM_400000_NS6detail17trampoline_kernelINS0_14default_configENS1_27scan_by_key_config_selectorIiiEEZZNS1_16scan_by_key_implILNS1_25lookback_scan_determinismE0ELb1ES3_N6thrust23THRUST_200600_302600_NS6detail15normal_iteratorINS9_10device_ptrIiEEEENSB_INSC_IjEEEENSB_INSC_IfEEEEiNS9_4plusIvEENS9_8equal_toIvEEiEE10hipError_tPvRmT2_T3_T4_T5_mT6_T7_P12ihipStream_tbENKUlT_T0_E_clISt17integral_constantIbLb1EES12_IbLb0EEEEDaSY_SZ_EUlSY_E_NS1_11comp_targetILNS1_3genE2ELNS1_11target_archE906ELNS1_3gpuE6ELNS1_3repE0EEENS1_30default_config_static_selectorELNS0_4arch9wavefront6targetE1EEEvT1_,comdat
	.protected	_ZN7rocprim17ROCPRIM_400000_NS6detail17trampoline_kernelINS0_14default_configENS1_27scan_by_key_config_selectorIiiEEZZNS1_16scan_by_key_implILNS1_25lookback_scan_determinismE0ELb1ES3_N6thrust23THRUST_200600_302600_NS6detail15normal_iteratorINS9_10device_ptrIiEEEENSB_INSC_IjEEEENSB_INSC_IfEEEEiNS9_4plusIvEENS9_8equal_toIvEEiEE10hipError_tPvRmT2_T3_T4_T5_mT6_T7_P12ihipStream_tbENKUlT_T0_E_clISt17integral_constantIbLb1EES12_IbLb0EEEEDaSY_SZ_EUlSY_E_NS1_11comp_targetILNS1_3genE2ELNS1_11target_archE906ELNS1_3gpuE6ELNS1_3repE0EEENS1_30default_config_static_selectorELNS0_4arch9wavefront6targetE1EEEvT1_ ; -- Begin function _ZN7rocprim17ROCPRIM_400000_NS6detail17trampoline_kernelINS0_14default_configENS1_27scan_by_key_config_selectorIiiEEZZNS1_16scan_by_key_implILNS1_25lookback_scan_determinismE0ELb1ES3_N6thrust23THRUST_200600_302600_NS6detail15normal_iteratorINS9_10device_ptrIiEEEENSB_INSC_IjEEEENSB_INSC_IfEEEEiNS9_4plusIvEENS9_8equal_toIvEEiEE10hipError_tPvRmT2_T3_T4_T5_mT6_T7_P12ihipStream_tbENKUlT_T0_E_clISt17integral_constantIbLb1EES12_IbLb0EEEEDaSY_SZ_EUlSY_E_NS1_11comp_targetILNS1_3genE2ELNS1_11target_archE906ELNS1_3gpuE6ELNS1_3repE0EEENS1_30default_config_static_selectorELNS0_4arch9wavefront6targetE1EEEvT1_
	.globl	_ZN7rocprim17ROCPRIM_400000_NS6detail17trampoline_kernelINS0_14default_configENS1_27scan_by_key_config_selectorIiiEEZZNS1_16scan_by_key_implILNS1_25lookback_scan_determinismE0ELb1ES3_N6thrust23THRUST_200600_302600_NS6detail15normal_iteratorINS9_10device_ptrIiEEEENSB_INSC_IjEEEENSB_INSC_IfEEEEiNS9_4plusIvEENS9_8equal_toIvEEiEE10hipError_tPvRmT2_T3_T4_T5_mT6_T7_P12ihipStream_tbENKUlT_T0_E_clISt17integral_constantIbLb1EES12_IbLb0EEEEDaSY_SZ_EUlSY_E_NS1_11comp_targetILNS1_3genE2ELNS1_11target_archE906ELNS1_3gpuE6ELNS1_3repE0EEENS1_30default_config_static_selectorELNS0_4arch9wavefront6targetE1EEEvT1_
	.p2align	8
	.type	_ZN7rocprim17ROCPRIM_400000_NS6detail17trampoline_kernelINS0_14default_configENS1_27scan_by_key_config_selectorIiiEEZZNS1_16scan_by_key_implILNS1_25lookback_scan_determinismE0ELb1ES3_N6thrust23THRUST_200600_302600_NS6detail15normal_iteratorINS9_10device_ptrIiEEEENSB_INSC_IjEEEENSB_INSC_IfEEEEiNS9_4plusIvEENS9_8equal_toIvEEiEE10hipError_tPvRmT2_T3_T4_T5_mT6_T7_P12ihipStream_tbENKUlT_T0_E_clISt17integral_constantIbLb1EES12_IbLb0EEEEDaSY_SZ_EUlSY_E_NS1_11comp_targetILNS1_3genE2ELNS1_11target_archE906ELNS1_3gpuE6ELNS1_3repE0EEENS1_30default_config_static_selectorELNS0_4arch9wavefront6targetE1EEEvT1_,@function
_ZN7rocprim17ROCPRIM_400000_NS6detail17trampoline_kernelINS0_14default_configENS1_27scan_by_key_config_selectorIiiEEZZNS1_16scan_by_key_implILNS1_25lookback_scan_determinismE0ELb1ES3_N6thrust23THRUST_200600_302600_NS6detail15normal_iteratorINS9_10device_ptrIiEEEENSB_INSC_IjEEEENSB_INSC_IfEEEEiNS9_4plusIvEENS9_8equal_toIvEEiEE10hipError_tPvRmT2_T3_T4_T5_mT6_T7_P12ihipStream_tbENKUlT_T0_E_clISt17integral_constantIbLb1EES12_IbLb0EEEEDaSY_SZ_EUlSY_E_NS1_11comp_targetILNS1_3genE2ELNS1_11target_archE906ELNS1_3gpuE6ELNS1_3repE0EEENS1_30default_config_static_selectorELNS0_4arch9wavefront6targetE1EEEvT1_: ; @_ZN7rocprim17ROCPRIM_400000_NS6detail17trampoline_kernelINS0_14default_configENS1_27scan_by_key_config_selectorIiiEEZZNS1_16scan_by_key_implILNS1_25lookback_scan_determinismE0ELb1ES3_N6thrust23THRUST_200600_302600_NS6detail15normal_iteratorINS9_10device_ptrIiEEEENSB_INSC_IjEEEENSB_INSC_IfEEEEiNS9_4plusIvEENS9_8equal_toIvEEiEE10hipError_tPvRmT2_T3_T4_T5_mT6_T7_P12ihipStream_tbENKUlT_T0_E_clISt17integral_constantIbLb1EES12_IbLb0EEEEDaSY_SZ_EUlSY_E_NS1_11comp_targetILNS1_3genE2ELNS1_11target_archE906ELNS1_3gpuE6ELNS1_3repE0EEENS1_30default_config_static_selectorELNS0_4arch9wavefront6targetE1EEEvT1_
; %bb.0:
	.section	.rodata,"a",@progbits
	.p2align	6, 0x0
	.amdhsa_kernel _ZN7rocprim17ROCPRIM_400000_NS6detail17trampoline_kernelINS0_14default_configENS1_27scan_by_key_config_selectorIiiEEZZNS1_16scan_by_key_implILNS1_25lookback_scan_determinismE0ELb1ES3_N6thrust23THRUST_200600_302600_NS6detail15normal_iteratorINS9_10device_ptrIiEEEENSB_INSC_IjEEEENSB_INSC_IfEEEEiNS9_4plusIvEENS9_8equal_toIvEEiEE10hipError_tPvRmT2_T3_T4_T5_mT6_T7_P12ihipStream_tbENKUlT_T0_E_clISt17integral_constantIbLb1EES12_IbLb0EEEEDaSY_SZ_EUlSY_E_NS1_11comp_targetILNS1_3genE2ELNS1_11target_archE906ELNS1_3gpuE6ELNS1_3repE0EEENS1_30default_config_static_selectorELNS0_4arch9wavefront6targetE1EEEvT1_
		.amdhsa_group_segment_fixed_size 0
		.amdhsa_private_segment_fixed_size 0
		.amdhsa_kernarg_size 112
		.amdhsa_user_sgpr_count 2
		.amdhsa_user_sgpr_dispatch_ptr 0
		.amdhsa_user_sgpr_queue_ptr 0
		.amdhsa_user_sgpr_kernarg_segment_ptr 1
		.amdhsa_user_sgpr_dispatch_id 0
		.amdhsa_user_sgpr_kernarg_preload_length 0
		.amdhsa_user_sgpr_kernarg_preload_offset 0
		.amdhsa_user_sgpr_private_segment_size 0
		.amdhsa_uses_dynamic_stack 0
		.amdhsa_enable_private_segment 0
		.amdhsa_system_sgpr_workgroup_id_x 1
		.amdhsa_system_sgpr_workgroup_id_y 0
		.amdhsa_system_sgpr_workgroup_id_z 0
		.amdhsa_system_sgpr_workgroup_info 0
		.amdhsa_system_vgpr_workitem_id 0
		.amdhsa_next_free_vgpr 1
		.amdhsa_next_free_sgpr 0
		.amdhsa_accum_offset 4
		.amdhsa_reserve_vcc 0
		.amdhsa_float_round_mode_32 0
		.amdhsa_float_round_mode_16_64 0
		.amdhsa_float_denorm_mode_32 3
		.amdhsa_float_denorm_mode_16_64 3
		.amdhsa_dx10_clamp 1
		.amdhsa_ieee_mode 1
		.amdhsa_fp16_overflow 0
		.amdhsa_tg_split 0
		.amdhsa_exception_fp_ieee_invalid_op 0
		.amdhsa_exception_fp_denorm_src 0
		.amdhsa_exception_fp_ieee_div_zero 0
		.amdhsa_exception_fp_ieee_overflow 0
		.amdhsa_exception_fp_ieee_underflow 0
		.amdhsa_exception_fp_ieee_inexact 0
		.amdhsa_exception_int_div_zero 0
	.end_amdhsa_kernel
	.section	.text._ZN7rocprim17ROCPRIM_400000_NS6detail17trampoline_kernelINS0_14default_configENS1_27scan_by_key_config_selectorIiiEEZZNS1_16scan_by_key_implILNS1_25lookback_scan_determinismE0ELb1ES3_N6thrust23THRUST_200600_302600_NS6detail15normal_iteratorINS9_10device_ptrIiEEEENSB_INSC_IjEEEENSB_INSC_IfEEEEiNS9_4plusIvEENS9_8equal_toIvEEiEE10hipError_tPvRmT2_T3_T4_T5_mT6_T7_P12ihipStream_tbENKUlT_T0_E_clISt17integral_constantIbLb1EES12_IbLb0EEEEDaSY_SZ_EUlSY_E_NS1_11comp_targetILNS1_3genE2ELNS1_11target_archE906ELNS1_3gpuE6ELNS1_3repE0EEENS1_30default_config_static_selectorELNS0_4arch9wavefront6targetE1EEEvT1_,"axG",@progbits,_ZN7rocprim17ROCPRIM_400000_NS6detail17trampoline_kernelINS0_14default_configENS1_27scan_by_key_config_selectorIiiEEZZNS1_16scan_by_key_implILNS1_25lookback_scan_determinismE0ELb1ES3_N6thrust23THRUST_200600_302600_NS6detail15normal_iteratorINS9_10device_ptrIiEEEENSB_INSC_IjEEEENSB_INSC_IfEEEEiNS9_4plusIvEENS9_8equal_toIvEEiEE10hipError_tPvRmT2_T3_T4_T5_mT6_T7_P12ihipStream_tbENKUlT_T0_E_clISt17integral_constantIbLb1EES12_IbLb0EEEEDaSY_SZ_EUlSY_E_NS1_11comp_targetILNS1_3genE2ELNS1_11target_archE906ELNS1_3gpuE6ELNS1_3repE0EEENS1_30default_config_static_selectorELNS0_4arch9wavefront6targetE1EEEvT1_,comdat
.Lfunc_end1739:
	.size	_ZN7rocprim17ROCPRIM_400000_NS6detail17trampoline_kernelINS0_14default_configENS1_27scan_by_key_config_selectorIiiEEZZNS1_16scan_by_key_implILNS1_25lookback_scan_determinismE0ELb1ES3_N6thrust23THRUST_200600_302600_NS6detail15normal_iteratorINS9_10device_ptrIiEEEENSB_INSC_IjEEEENSB_INSC_IfEEEEiNS9_4plusIvEENS9_8equal_toIvEEiEE10hipError_tPvRmT2_T3_T4_T5_mT6_T7_P12ihipStream_tbENKUlT_T0_E_clISt17integral_constantIbLb1EES12_IbLb0EEEEDaSY_SZ_EUlSY_E_NS1_11comp_targetILNS1_3genE2ELNS1_11target_archE906ELNS1_3gpuE6ELNS1_3repE0EEENS1_30default_config_static_selectorELNS0_4arch9wavefront6targetE1EEEvT1_, .Lfunc_end1739-_ZN7rocprim17ROCPRIM_400000_NS6detail17trampoline_kernelINS0_14default_configENS1_27scan_by_key_config_selectorIiiEEZZNS1_16scan_by_key_implILNS1_25lookback_scan_determinismE0ELb1ES3_N6thrust23THRUST_200600_302600_NS6detail15normal_iteratorINS9_10device_ptrIiEEEENSB_INSC_IjEEEENSB_INSC_IfEEEEiNS9_4plusIvEENS9_8equal_toIvEEiEE10hipError_tPvRmT2_T3_T4_T5_mT6_T7_P12ihipStream_tbENKUlT_T0_E_clISt17integral_constantIbLb1EES12_IbLb0EEEEDaSY_SZ_EUlSY_E_NS1_11comp_targetILNS1_3genE2ELNS1_11target_archE906ELNS1_3gpuE6ELNS1_3repE0EEENS1_30default_config_static_selectorELNS0_4arch9wavefront6targetE1EEEvT1_
                                        ; -- End function
	.section	.AMDGPU.csdata,"",@progbits
; Kernel info:
; codeLenInByte = 0
; NumSgprs: 6
; NumVgprs: 0
; NumAgprs: 0
; TotalNumVgprs: 0
; ScratchSize: 0
; MemoryBound: 0
; FloatMode: 240
; IeeeMode: 1
; LDSByteSize: 0 bytes/workgroup (compile time only)
; SGPRBlocks: 0
; VGPRBlocks: 0
; NumSGPRsForWavesPerEU: 6
; NumVGPRsForWavesPerEU: 1
; AccumOffset: 4
; Occupancy: 8
; WaveLimiterHint : 0
; COMPUTE_PGM_RSRC2:SCRATCH_EN: 0
; COMPUTE_PGM_RSRC2:USER_SGPR: 2
; COMPUTE_PGM_RSRC2:TRAP_HANDLER: 0
; COMPUTE_PGM_RSRC2:TGID_X_EN: 1
; COMPUTE_PGM_RSRC2:TGID_Y_EN: 0
; COMPUTE_PGM_RSRC2:TGID_Z_EN: 0
; COMPUTE_PGM_RSRC2:TIDIG_COMP_CNT: 0
; COMPUTE_PGM_RSRC3_GFX90A:ACCUM_OFFSET: 0
; COMPUTE_PGM_RSRC3_GFX90A:TG_SPLIT: 0
	.section	.text._ZN7rocprim17ROCPRIM_400000_NS6detail17trampoline_kernelINS0_14default_configENS1_27scan_by_key_config_selectorIiiEEZZNS1_16scan_by_key_implILNS1_25lookback_scan_determinismE0ELb1ES3_N6thrust23THRUST_200600_302600_NS6detail15normal_iteratorINS9_10device_ptrIiEEEENSB_INSC_IjEEEENSB_INSC_IfEEEEiNS9_4plusIvEENS9_8equal_toIvEEiEE10hipError_tPvRmT2_T3_T4_T5_mT6_T7_P12ihipStream_tbENKUlT_T0_E_clISt17integral_constantIbLb1EES12_IbLb0EEEEDaSY_SZ_EUlSY_E_NS1_11comp_targetILNS1_3genE10ELNS1_11target_archE1200ELNS1_3gpuE4ELNS1_3repE0EEENS1_30default_config_static_selectorELNS0_4arch9wavefront6targetE1EEEvT1_,"axG",@progbits,_ZN7rocprim17ROCPRIM_400000_NS6detail17trampoline_kernelINS0_14default_configENS1_27scan_by_key_config_selectorIiiEEZZNS1_16scan_by_key_implILNS1_25lookback_scan_determinismE0ELb1ES3_N6thrust23THRUST_200600_302600_NS6detail15normal_iteratorINS9_10device_ptrIiEEEENSB_INSC_IjEEEENSB_INSC_IfEEEEiNS9_4plusIvEENS9_8equal_toIvEEiEE10hipError_tPvRmT2_T3_T4_T5_mT6_T7_P12ihipStream_tbENKUlT_T0_E_clISt17integral_constantIbLb1EES12_IbLb0EEEEDaSY_SZ_EUlSY_E_NS1_11comp_targetILNS1_3genE10ELNS1_11target_archE1200ELNS1_3gpuE4ELNS1_3repE0EEENS1_30default_config_static_selectorELNS0_4arch9wavefront6targetE1EEEvT1_,comdat
	.protected	_ZN7rocprim17ROCPRIM_400000_NS6detail17trampoline_kernelINS0_14default_configENS1_27scan_by_key_config_selectorIiiEEZZNS1_16scan_by_key_implILNS1_25lookback_scan_determinismE0ELb1ES3_N6thrust23THRUST_200600_302600_NS6detail15normal_iteratorINS9_10device_ptrIiEEEENSB_INSC_IjEEEENSB_INSC_IfEEEEiNS9_4plusIvEENS9_8equal_toIvEEiEE10hipError_tPvRmT2_T3_T4_T5_mT6_T7_P12ihipStream_tbENKUlT_T0_E_clISt17integral_constantIbLb1EES12_IbLb0EEEEDaSY_SZ_EUlSY_E_NS1_11comp_targetILNS1_3genE10ELNS1_11target_archE1200ELNS1_3gpuE4ELNS1_3repE0EEENS1_30default_config_static_selectorELNS0_4arch9wavefront6targetE1EEEvT1_ ; -- Begin function _ZN7rocprim17ROCPRIM_400000_NS6detail17trampoline_kernelINS0_14default_configENS1_27scan_by_key_config_selectorIiiEEZZNS1_16scan_by_key_implILNS1_25lookback_scan_determinismE0ELb1ES3_N6thrust23THRUST_200600_302600_NS6detail15normal_iteratorINS9_10device_ptrIiEEEENSB_INSC_IjEEEENSB_INSC_IfEEEEiNS9_4plusIvEENS9_8equal_toIvEEiEE10hipError_tPvRmT2_T3_T4_T5_mT6_T7_P12ihipStream_tbENKUlT_T0_E_clISt17integral_constantIbLb1EES12_IbLb0EEEEDaSY_SZ_EUlSY_E_NS1_11comp_targetILNS1_3genE10ELNS1_11target_archE1200ELNS1_3gpuE4ELNS1_3repE0EEENS1_30default_config_static_selectorELNS0_4arch9wavefront6targetE1EEEvT1_
	.globl	_ZN7rocprim17ROCPRIM_400000_NS6detail17trampoline_kernelINS0_14default_configENS1_27scan_by_key_config_selectorIiiEEZZNS1_16scan_by_key_implILNS1_25lookback_scan_determinismE0ELb1ES3_N6thrust23THRUST_200600_302600_NS6detail15normal_iteratorINS9_10device_ptrIiEEEENSB_INSC_IjEEEENSB_INSC_IfEEEEiNS9_4plusIvEENS9_8equal_toIvEEiEE10hipError_tPvRmT2_T3_T4_T5_mT6_T7_P12ihipStream_tbENKUlT_T0_E_clISt17integral_constantIbLb1EES12_IbLb0EEEEDaSY_SZ_EUlSY_E_NS1_11comp_targetILNS1_3genE10ELNS1_11target_archE1200ELNS1_3gpuE4ELNS1_3repE0EEENS1_30default_config_static_selectorELNS0_4arch9wavefront6targetE1EEEvT1_
	.p2align	8
	.type	_ZN7rocprim17ROCPRIM_400000_NS6detail17trampoline_kernelINS0_14default_configENS1_27scan_by_key_config_selectorIiiEEZZNS1_16scan_by_key_implILNS1_25lookback_scan_determinismE0ELb1ES3_N6thrust23THRUST_200600_302600_NS6detail15normal_iteratorINS9_10device_ptrIiEEEENSB_INSC_IjEEEENSB_INSC_IfEEEEiNS9_4plusIvEENS9_8equal_toIvEEiEE10hipError_tPvRmT2_T3_T4_T5_mT6_T7_P12ihipStream_tbENKUlT_T0_E_clISt17integral_constantIbLb1EES12_IbLb0EEEEDaSY_SZ_EUlSY_E_NS1_11comp_targetILNS1_3genE10ELNS1_11target_archE1200ELNS1_3gpuE4ELNS1_3repE0EEENS1_30default_config_static_selectorELNS0_4arch9wavefront6targetE1EEEvT1_,@function
_ZN7rocprim17ROCPRIM_400000_NS6detail17trampoline_kernelINS0_14default_configENS1_27scan_by_key_config_selectorIiiEEZZNS1_16scan_by_key_implILNS1_25lookback_scan_determinismE0ELb1ES3_N6thrust23THRUST_200600_302600_NS6detail15normal_iteratorINS9_10device_ptrIiEEEENSB_INSC_IjEEEENSB_INSC_IfEEEEiNS9_4plusIvEENS9_8equal_toIvEEiEE10hipError_tPvRmT2_T3_T4_T5_mT6_T7_P12ihipStream_tbENKUlT_T0_E_clISt17integral_constantIbLb1EES12_IbLb0EEEEDaSY_SZ_EUlSY_E_NS1_11comp_targetILNS1_3genE10ELNS1_11target_archE1200ELNS1_3gpuE4ELNS1_3repE0EEENS1_30default_config_static_selectorELNS0_4arch9wavefront6targetE1EEEvT1_: ; @_ZN7rocprim17ROCPRIM_400000_NS6detail17trampoline_kernelINS0_14default_configENS1_27scan_by_key_config_selectorIiiEEZZNS1_16scan_by_key_implILNS1_25lookback_scan_determinismE0ELb1ES3_N6thrust23THRUST_200600_302600_NS6detail15normal_iteratorINS9_10device_ptrIiEEEENSB_INSC_IjEEEENSB_INSC_IfEEEEiNS9_4plusIvEENS9_8equal_toIvEEiEE10hipError_tPvRmT2_T3_T4_T5_mT6_T7_P12ihipStream_tbENKUlT_T0_E_clISt17integral_constantIbLb1EES12_IbLb0EEEEDaSY_SZ_EUlSY_E_NS1_11comp_targetILNS1_3genE10ELNS1_11target_archE1200ELNS1_3gpuE4ELNS1_3repE0EEENS1_30default_config_static_selectorELNS0_4arch9wavefront6targetE1EEEvT1_
; %bb.0:
	.section	.rodata,"a",@progbits
	.p2align	6, 0x0
	.amdhsa_kernel _ZN7rocprim17ROCPRIM_400000_NS6detail17trampoline_kernelINS0_14default_configENS1_27scan_by_key_config_selectorIiiEEZZNS1_16scan_by_key_implILNS1_25lookback_scan_determinismE0ELb1ES3_N6thrust23THRUST_200600_302600_NS6detail15normal_iteratorINS9_10device_ptrIiEEEENSB_INSC_IjEEEENSB_INSC_IfEEEEiNS9_4plusIvEENS9_8equal_toIvEEiEE10hipError_tPvRmT2_T3_T4_T5_mT6_T7_P12ihipStream_tbENKUlT_T0_E_clISt17integral_constantIbLb1EES12_IbLb0EEEEDaSY_SZ_EUlSY_E_NS1_11comp_targetILNS1_3genE10ELNS1_11target_archE1200ELNS1_3gpuE4ELNS1_3repE0EEENS1_30default_config_static_selectorELNS0_4arch9wavefront6targetE1EEEvT1_
		.amdhsa_group_segment_fixed_size 0
		.amdhsa_private_segment_fixed_size 0
		.amdhsa_kernarg_size 112
		.amdhsa_user_sgpr_count 2
		.amdhsa_user_sgpr_dispatch_ptr 0
		.amdhsa_user_sgpr_queue_ptr 0
		.amdhsa_user_sgpr_kernarg_segment_ptr 1
		.amdhsa_user_sgpr_dispatch_id 0
		.amdhsa_user_sgpr_kernarg_preload_length 0
		.amdhsa_user_sgpr_kernarg_preload_offset 0
		.amdhsa_user_sgpr_private_segment_size 0
		.amdhsa_uses_dynamic_stack 0
		.amdhsa_enable_private_segment 0
		.amdhsa_system_sgpr_workgroup_id_x 1
		.amdhsa_system_sgpr_workgroup_id_y 0
		.amdhsa_system_sgpr_workgroup_id_z 0
		.amdhsa_system_sgpr_workgroup_info 0
		.amdhsa_system_vgpr_workitem_id 0
		.amdhsa_next_free_vgpr 1
		.amdhsa_next_free_sgpr 0
		.amdhsa_accum_offset 4
		.amdhsa_reserve_vcc 0
		.amdhsa_float_round_mode_32 0
		.amdhsa_float_round_mode_16_64 0
		.amdhsa_float_denorm_mode_32 3
		.amdhsa_float_denorm_mode_16_64 3
		.amdhsa_dx10_clamp 1
		.amdhsa_ieee_mode 1
		.amdhsa_fp16_overflow 0
		.amdhsa_tg_split 0
		.amdhsa_exception_fp_ieee_invalid_op 0
		.amdhsa_exception_fp_denorm_src 0
		.amdhsa_exception_fp_ieee_div_zero 0
		.amdhsa_exception_fp_ieee_overflow 0
		.amdhsa_exception_fp_ieee_underflow 0
		.amdhsa_exception_fp_ieee_inexact 0
		.amdhsa_exception_int_div_zero 0
	.end_amdhsa_kernel
	.section	.text._ZN7rocprim17ROCPRIM_400000_NS6detail17trampoline_kernelINS0_14default_configENS1_27scan_by_key_config_selectorIiiEEZZNS1_16scan_by_key_implILNS1_25lookback_scan_determinismE0ELb1ES3_N6thrust23THRUST_200600_302600_NS6detail15normal_iteratorINS9_10device_ptrIiEEEENSB_INSC_IjEEEENSB_INSC_IfEEEEiNS9_4plusIvEENS9_8equal_toIvEEiEE10hipError_tPvRmT2_T3_T4_T5_mT6_T7_P12ihipStream_tbENKUlT_T0_E_clISt17integral_constantIbLb1EES12_IbLb0EEEEDaSY_SZ_EUlSY_E_NS1_11comp_targetILNS1_3genE10ELNS1_11target_archE1200ELNS1_3gpuE4ELNS1_3repE0EEENS1_30default_config_static_selectorELNS0_4arch9wavefront6targetE1EEEvT1_,"axG",@progbits,_ZN7rocprim17ROCPRIM_400000_NS6detail17trampoline_kernelINS0_14default_configENS1_27scan_by_key_config_selectorIiiEEZZNS1_16scan_by_key_implILNS1_25lookback_scan_determinismE0ELb1ES3_N6thrust23THRUST_200600_302600_NS6detail15normal_iteratorINS9_10device_ptrIiEEEENSB_INSC_IjEEEENSB_INSC_IfEEEEiNS9_4plusIvEENS9_8equal_toIvEEiEE10hipError_tPvRmT2_T3_T4_T5_mT6_T7_P12ihipStream_tbENKUlT_T0_E_clISt17integral_constantIbLb1EES12_IbLb0EEEEDaSY_SZ_EUlSY_E_NS1_11comp_targetILNS1_3genE10ELNS1_11target_archE1200ELNS1_3gpuE4ELNS1_3repE0EEENS1_30default_config_static_selectorELNS0_4arch9wavefront6targetE1EEEvT1_,comdat
.Lfunc_end1740:
	.size	_ZN7rocprim17ROCPRIM_400000_NS6detail17trampoline_kernelINS0_14default_configENS1_27scan_by_key_config_selectorIiiEEZZNS1_16scan_by_key_implILNS1_25lookback_scan_determinismE0ELb1ES3_N6thrust23THRUST_200600_302600_NS6detail15normal_iteratorINS9_10device_ptrIiEEEENSB_INSC_IjEEEENSB_INSC_IfEEEEiNS9_4plusIvEENS9_8equal_toIvEEiEE10hipError_tPvRmT2_T3_T4_T5_mT6_T7_P12ihipStream_tbENKUlT_T0_E_clISt17integral_constantIbLb1EES12_IbLb0EEEEDaSY_SZ_EUlSY_E_NS1_11comp_targetILNS1_3genE10ELNS1_11target_archE1200ELNS1_3gpuE4ELNS1_3repE0EEENS1_30default_config_static_selectorELNS0_4arch9wavefront6targetE1EEEvT1_, .Lfunc_end1740-_ZN7rocprim17ROCPRIM_400000_NS6detail17trampoline_kernelINS0_14default_configENS1_27scan_by_key_config_selectorIiiEEZZNS1_16scan_by_key_implILNS1_25lookback_scan_determinismE0ELb1ES3_N6thrust23THRUST_200600_302600_NS6detail15normal_iteratorINS9_10device_ptrIiEEEENSB_INSC_IjEEEENSB_INSC_IfEEEEiNS9_4plusIvEENS9_8equal_toIvEEiEE10hipError_tPvRmT2_T3_T4_T5_mT6_T7_P12ihipStream_tbENKUlT_T0_E_clISt17integral_constantIbLb1EES12_IbLb0EEEEDaSY_SZ_EUlSY_E_NS1_11comp_targetILNS1_3genE10ELNS1_11target_archE1200ELNS1_3gpuE4ELNS1_3repE0EEENS1_30default_config_static_selectorELNS0_4arch9wavefront6targetE1EEEvT1_
                                        ; -- End function
	.section	.AMDGPU.csdata,"",@progbits
; Kernel info:
; codeLenInByte = 0
; NumSgprs: 6
; NumVgprs: 0
; NumAgprs: 0
; TotalNumVgprs: 0
; ScratchSize: 0
; MemoryBound: 0
; FloatMode: 240
; IeeeMode: 1
; LDSByteSize: 0 bytes/workgroup (compile time only)
; SGPRBlocks: 0
; VGPRBlocks: 0
; NumSGPRsForWavesPerEU: 6
; NumVGPRsForWavesPerEU: 1
; AccumOffset: 4
; Occupancy: 8
; WaveLimiterHint : 0
; COMPUTE_PGM_RSRC2:SCRATCH_EN: 0
; COMPUTE_PGM_RSRC2:USER_SGPR: 2
; COMPUTE_PGM_RSRC2:TRAP_HANDLER: 0
; COMPUTE_PGM_RSRC2:TGID_X_EN: 1
; COMPUTE_PGM_RSRC2:TGID_Y_EN: 0
; COMPUTE_PGM_RSRC2:TGID_Z_EN: 0
; COMPUTE_PGM_RSRC2:TIDIG_COMP_CNT: 0
; COMPUTE_PGM_RSRC3_GFX90A:ACCUM_OFFSET: 0
; COMPUTE_PGM_RSRC3_GFX90A:TG_SPLIT: 0
	.section	.text._ZN7rocprim17ROCPRIM_400000_NS6detail17trampoline_kernelINS0_14default_configENS1_27scan_by_key_config_selectorIiiEEZZNS1_16scan_by_key_implILNS1_25lookback_scan_determinismE0ELb1ES3_N6thrust23THRUST_200600_302600_NS6detail15normal_iteratorINS9_10device_ptrIiEEEENSB_INSC_IjEEEENSB_INSC_IfEEEEiNS9_4plusIvEENS9_8equal_toIvEEiEE10hipError_tPvRmT2_T3_T4_T5_mT6_T7_P12ihipStream_tbENKUlT_T0_E_clISt17integral_constantIbLb1EES12_IbLb0EEEEDaSY_SZ_EUlSY_E_NS1_11comp_targetILNS1_3genE9ELNS1_11target_archE1100ELNS1_3gpuE3ELNS1_3repE0EEENS1_30default_config_static_selectorELNS0_4arch9wavefront6targetE1EEEvT1_,"axG",@progbits,_ZN7rocprim17ROCPRIM_400000_NS6detail17trampoline_kernelINS0_14default_configENS1_27scan_by_key_config_selectorIiiEEZZNS1_16scan_by_key_implILNS1_25lookback_scan_determinismE0ELb1ES3_N6thrust23THRUST_200600_302600_NS6detail15normal_iteratorINS9_10device_ptrIiEEEENSB_INSC_IjEEEENSB_INSC_IfEEEEiNS9_4plusIvEENS9_8equal_toIvEEiEE10hipError_tPvRmT2_T3_T4_T5_mT6_T7_P12ihipStream_tbENKUlT_T0_E_clISt17integral_constantIbLb1EES12_IbLb0EEEEDaSY_SZ_EUlSY_E_NS1_11comp_targetILNS1_3genE9ELNS1_11target_archE1100ELNS1_3gpuE3ELNS1_3repE0EEENS1_30default_config_static_selectorELNS0_4arch9wavefront6targetE1EEEvT1_,comdat
	.protected	_ZN7rocprim17ROCPRIM_400000_NS6detail17trampoline_kernelINS0_14default_configENS1_27scan_by_key_config_selectorIiiEEZZNS1_16scan_by_key_implILNS1_25lookback_scan_determinismE0ELb1ES3_N6thrust23THRUST_200600_302600_NS6detail15normal_iteratorINS9_10device_ptrIiEEEENSB_INSC_IjEEEENSB_INSC_IfEEEEiNS9_4plusIvEENS9_8equal_toIvEEiEE10hipError_tPvRmT2_T3_T4_T5_mT6_T7_P12ihipStream_tbENKUlT_T0_E_clISt17integral_constantIbLb1EES12_IbLb0EEEEDaSY_SZ_EUlSY_E_NS1_11comp_targetILNS1_3genE9ELNS1_11target_archE1100ELNS1_3gpuE3ELNS1_3repE0EEENS1_30default_config_static_selectorELNS0_4arch9wavefront6targetE1EEEvT1_ ; -- Begin function _ZN7rocprim17ROCPRIM_400000_NS6detail17trampoline_kernelINS0_14default_configENS1_27scan_by_key_config_selectorIiiEEZZNS1_16scan_by_key_implILNS1_25lookback_scan_determinismE0ELb1ES3_N6thrust23THRUST_200600_302600_NS6detail15normal_iteratorINS9_10device_ptrIiEEEENSB_INSC_IjEEEENSB_INSC_IfEEEEiNS9_4plusIvEENS9_8equal_toIvEEiEE10hipError_tPvRmT2_T3_T4_T5_mT6_T7_P12ihipStream_tbENKUlT_T0_E_clISt17integral_constantIbLb1EES12_IbLb0EEEEDaSY_SZ_EUlSY_E_NS1_11comp_targetILNS1_3genE9ELNS1_11target_archE1100ELNS1_3gpuE3ELNS1_3repE0EEENS1_30default_config_static_selectorELNS0_4arch9wavefront6targetE1EEEvT1_
	.globl	_ZN7rocprim17ROCPRIM_400000_NS6detail17trampoline_kernelINS0_14default_configENS1_27scan_by_key_config_selectorIiiEEZZNS1_16scan_by_key_implILNS1_25lookback_scan_determinismE0ELb1ES3_N6thrust23THRUST_200600_302600_NS6detail15normal_iteratorINS9_10device_ptrIiEEEENSB_INSC_IjEEEENSB_INSC_IfEEEEiNS9_4plusIvEENS9_8equal_toIvEEiEE10hipError_tPvRmT2_T3_T4_T5_mT6_T7_P12ihipStream_tbENKUlT_T0_E_clISt17integral_constantIbLb1EES12_IbLb0EEEEDaSY_SZ_EUlSY_E_NS1_11comp_targetILNS1_3genE9ELNS1_11target_archE1100ELNS1_3gpuE3ELNS1_3repE0EEENS1_30default_config_static_selectorELNS0_4arch9wavefront6targetE1EEEvT1_
	.p2align	8
	.type	_ZN7rocprim17ROCPRIM_400000_NS6detail17trampoline_kernelINS0_14default_configENS1_27scan_by_key_config_selectorIiiEEZZNS1_16scan_by_key_implILNS1_25lookback_scan_determinismE0ELb1ES3_N6thrust23THRUST_200600_302600_NS6detail15normal_iteratorINS9_10device_ptrIiEEEENSB_INSC_IjEEEENSB_INSC_IfEEEEiNS9_4plusIvEENS9_8equal_toIvEEiEE10hipError_tPvRmT2_T3_T4_T5_mT6_T7_P12ihipStream_tbENKUlT_T0_E_clISt17integral_constantIbLb1EES12_IbLb0EEEEDaSY_SZ_EUlSY_E_NS1_11comp_targetILNS1_3genE9ELNS1_11target_archE1100ELNS1_3gpuE3ELNS1_3repE0EEENS1_30default_config_static_selectorELNS0_4arch9wavefront6targetE1EEEvT1_,@function
_ZN7rocprim17ROCPRIM_400000_NS6detail17trampoline_kernelINS0_14default_configENS1_27scan_by_key_config_selectorIiiEEZZNS1_16scan_by_key_implILNS1_25lookback_scan_determinismE0ELb1ES3_N6thrust23THRUST_200600_302600_NS6detail15normal_iteratorINS9_10device_ptrIiEEEENSB_INSC_IjEEEENSB_INSC_IfEEEEiNS9_4plusIvEENS9_8equal_toIvEEiEE10hipError_tPvRmT2_T3_T4_T5_mT6_T7_P12ihipStream_tbENKUlT_T0_E_clISt17integral_constantIbLb1EES12_IbLb0EEEEDaSY_SZ_EUlSY_E_NS1_11comp_targetILNS1_3genE9ELNS1_11target_archE1100ELNS1_3gpuE3ELNS1_3repE0EEENS1_30default_config_static_selectorELNS0_4arch9wavefront6targetE1EEEvT1_: ; @_ZN7rocprim17ROCPRIM_400000_NS6detail17trampoline_kernelINS0_14default_configENS1_27scan_by_key_config_selectorIiiEEZZNS1_16scan_by_key_implILNS1_25lookback_scan_determinismE0ELb1ES3_N6thrust23THRUST_200600_302600_NS6detail15normal_iteratorINS9_10device_ptrIiEEEENSB_INSC_IjEEEENSB_INSC_IfEEEEiNS9_4plusIvEENS9_8equal_toIvEEiEE10hipError_tPvRmT2_T3_T4_T5_mT6_T7_P12ihipStream_tbENKUlT_T0_E_clISt17integral_constantIbLb1EES12_IbLb0EEEEDaSY_SZ_EUlSY_E_NS1_11comp_targetILNS1_3genE9ELNS1_11target_archE1100ELNS1_3gpuE3ELNS1_3repE0EEENS1_30default_config_static_selectorELNS0_4arch9wavefront6targetE1EEEvT1_
; %bb.0:
	.section	.rodata,"a",@progbits
	.p2align	6, 0x0
	.amdhsa_kernel _ZN7rocprim17ROCPRIM_400000_NS6detail17trampoline_kernelINS0_14default_configENS1_27scan_by_key_config_selectorIiiEEZZNS1_16scan_by_key_implILNS1_25lookback_scan_determinismE0ELb1ES3_N6thrust23THRUST_200600_302600_NS6detail15normal_iteratorINS9_10device_ptrIiEEEENSB_INSC_IjEEEENSB_INSC_IfEEEEiNS9_4plusIvEENS9_8equal_toIvEEiEE10hipError_tPvRmT2_T3_T4_T5_mT6_T7_P12ihipStream_tbENKUlT_T0_E_clISt17integral_constantIbLb1EES12_IbLb0EEEEDaSY_SZ_EUlSY_E_NS1_11comp_targetILNS1_3genE9ELNS1_11target_archE1100ELNS1_3gpuE3ELNS1_3repE0EEENS1_30default_config_static_selectorELNS0_4arch9wavefront6targetE1EEEvT1_
		.amdhsa_group_segment_fixed_size 0
		.amdhsa_private_segment_fixed_size 0
		.amdhsa_kernarg_size 112
		.amdhsa_user_sgpr_count 2
		.amdhsa_user_sgpr_dispatch_ptr 0
		.amdhsa_user_sgpr_queue_ptr 0
		.amdhsa_user_sgpr_kernarg_segment_ptr 1
		.amdhsa_user_sgpr_dispatch_id 0
		.amdhsa_user_sgpr_kernarg_preload_length 0
		.amdhsa_user_sgpr_kernarg_preload_offset 0
		.amdhsa_user_sgpr_private_segment_size 0
		.amdhsa_uses_dynamic_stack 0
		.amdhsa_enable_private_segment 0
		.amdhsa_system_sgpr_workgroup_id_x 1
		.amdhsa_system_sgpr_workgroup_id_y 0
		.amdhsa_system_sgpr_workgroup_id_z 0
		.amdhsa_system_sgpr_workgroup_info 0
		.amdhsa_system_vgpr_workitem_id 0
		.amdhsa_next_free_vgpr 1
		.amdhsa_next_free_sgpr 0
		.amdhsa_accum_offset 4
		.amdhsa_reserve_vcc 0
		.amdhsa_float_round_mode_32 0
		.amdhsa_float_round_mode_16_64 0
		.amdhsa_float_denorm_mode_32 3
		.amdhsa_float_denorm_mode_16_64 3
		.amdhsa_dx10_clamp 1
		.amdhsa_ieee_mode 1
		.amdhsa_fp16_overflow 0
		.amdhsa_tg_split 0
		.amdhsa_exception_fp_ieee_invalid_op 0
		.amdhsa_exception_fp_denorm_src 0
		.amdhsa_exception_fp_ieee_div_zero 0
		.amdhsa_exception_fp_ieee_overflow 0
		.amdhsa_exception_fp_ieee_underflow 0
		.amdhsa_exception_fp_ieee_inexact 0
		.amdhsa_exception_int_div_zero 0
	.end_amdhsa_kernel
	.section	.text._ZN7rocprim17ROCPRIM_400000_NS6detail17trampoline_kernelINS0_14default_configENS1_27scan_by_key_config_selectorIiiEEZZNS1_16scan_by_key_implILNS1_25lookback_scan_determinismE0ELb1ES3_N6thrust23THRUST_200600_302600_NS6detail15normal_iteratorINS9_10device_ptrIiEEEENSB_INSC_IjEEEENSB_INSC_IfEEEEiNS9_4plusIvEENS9_8equal_toIvEEiEE10hipError_tPvRmT2_T3_T4_T5_mT6_T7_P12ihipStream_tbENKUlT_T0_E_clISt17integral_constantIbLb1EES12_IbLb0EEEEDaSY_SZ_EUlSY_E_NS1_11comp_targetILNS1_3genE9ELNS1_11target_archE1100ELNS1_3gpuE3ELNS1_3repE0EEENS1_30default_config_static_selectorELNS0_4arch9wavefront6targetE1EEEvT1_,"axG",@progbits,_ZN7rocprim17ROCPRIM_400000_NS6detail17trampoline_kernelINS0_14default_configENS1_27scan_by_key_config_selectorIiiEEZZNS1_16scan_by_key_implILNS1_25lookback_scan_determinismE0ELb1ES3_N6thrust23THRUST_200600_302600_NS6detail15normal_iteratorINS9_10device_ptrIiEEEENSB_INSC_IjEEEENSB_INSC_IfEEEEiNS9_4plusIvEENS9_8equal_toIvEEiEE10hipError_tPvRmT2_T3_T4_T5_mT6_T7_P12ihipStream_tbENKUlT_T0_E_clISt17integral_constantIbLb1EES12_IbLb0EEEEDaSY_SZ_EUlSY_E_NS1_11comp_targetILNS1_3genE9ELNS1_11target_archE1100ELNS1_3gpuE3ELNS1_3repE0EEENS1_30default_config_static_selectorELNS0_4arch9wavefront6targetE1EEEvT1_,comdat
.Lfunc_end1741:
	.size	_ZN7rocprim17ROCPRIM_400000_NS6detail17trampoline_kernelINS0_14default_configENS1_27scan_by_key_config_selectorIiiEEZZNS1_16scan_by_key_implILNS1_25lookback_scan_determinismE0ELb1ES3_N6thrust23THRUST_200600_302600_NS6detail15normal_iteratorINS9_10device_ptrIiEEEENSB_INSC_IjEEEENSB_INSC_IfEEEEiNS9_4plusIvEENS9_8equal_toIvEEiEE10hipError_tPvRmT2_T3_T4_T5_mT6_T7_P12ihipStream_tbENKUlT_T0_E_clISt17integral_constantIbLb1EES12_IbLb0EEEEDaSY_SZ_EUlSY_E_NS1_11comp_targetILNS1_3genE9ELNS1_11target_archE1100ELNS1_3gpuE3ELNS1_3repE0EEENS1_30default_config_static_selectorELNS0_4arch9wavefront6targetE1EEEvT1_, .Lfunc_end1741-_ZN7rocprim17ROCPRIM_400000_NS6detail17trampoline_kernelINS0_14default_configENS1_27scan_by_key_config_selectorIiiEEZZNS1_16scan_by_key_implILNS1_25lookback_scan_determinismE0ELb1ES3_N6thrust23THRUST_200600_302600_NS6detail15normal_iteratorINS9_10device_ptrIiEEEENSB_INSC_IjEEEENSB_INSC_IfEEEEiNS9_4plusIvEENS9_8equal_toIvEEiEE10hipError_tPvRmT2_T3_T4_T5_mT6_T7_P12ihipStream_tbENKUlT_T0_E_clISt17integral_constantIbLb1EES12_IbLb0EEEEDaSY_SZ_EUlSY_E_NS1_11comp_targetILNS1_3genE9ELNS1_11target_archE1100ELNS1_3gpuE3ELNS1_3repE0EEENS1_30default_config_static_selectorELNS0_4arch9wavefront6targetE1EEEvT1_
                                        ; -- End function
	.section	.AMDGPU.csdata,"",@progbits
; Kernel info:
; codeLenInByte = 0
; NumSgprs: 6
; NumVgprs: 0
; NumAgprs: 0
; TotalNumVgprs: 0
; ScratchSize: 0
; MemoryBound: 0
; FloatMode: 240
; IeeeMode: 1
; LDSByteSize: 0 bytes/workgroup (compile time only)
; SGPRBlocks: 0
; VGPRBlocks: 0
; NumSGPRsForWavesPerEU: 6
; NumVGPRsForWavesPerEU: 1
; AccumOffset: 4
; Occupancy: 8
; WaveLimiterHint : 0
; COMPUTE_PGM_RSRC2:SCRATCH_EN: 0
; COMPUTE_PGM_RSRC2:USER_SGPR: 2
; COMPUTE_PGM_RSRC2:TRAP_HANDLER: 0
; COMPUTE_PGM_RSRC2:TGID_X_EN: 1
; COMPUTE_PGM_RSRC2:TGID_Y_EN: 0
; COMPUTE_PGM_RSRC2:TGID_Z_EN: 0
; COMPUTE_PGM_RSRC2:TIDIG_COMP_CNT: 0
; COMPUTE_PGM_RSRC3_GFX90A:ACCUM_OFFSET: 0
; COMPUTE_PGM_RSRC3_GFX90A:TG_SPLIT: 0
	.section	.text._ZN7rocprim17ROCPRIM_400000_NS6detail17trampoline_kernelINS0_14default_configENS1_27scan_by_key_config_selectorIiiEEZZNS1_16scan_by_key_implILNS1_25lookback_scan_determinismE0ELb1ES3_N6thrust23THRUST_200600_302600_NS6detail15normal_iteratorINS9_10device_ptrIiEEEENSB_INSC_IjEEEENSB_INSC_IfEEEEiNS9_4plusIvEENS9_8equal_toIvEEiEE10hipError_tPvRmT2_T3_T4_T5_mT6_T7_P12ihipStream_tbENKUlT_T0_E_clISt17integral_constantIbLb1EES12_IbLb0EEEEDaSY_SZ_EUlSY_E_NS1_11comp_targetILNS1_3genE8ELNS1_11target_archE1030ELNS1_3gpuE2ELNS1_3repE0EEENS1_30default_config_static_selectorELNS0_4arch9wavefront6targetE1EEEvT1_,"axG",@progbits,_ZN7rocprim17ROCPRIM_400000_NS6detail17trampoline_kernelINS0_14default_configENS1_27scan_by_key_config_selectorIiiEEZZNS1_16scan_by_key_implILNS1_25lookback_scan_determinismE0ELb1ES3_N6thrust23THRUST_200600_302600_NS6detail15normal_iteratorINS9_10device_ptrIiEEEENSB_INSC_IjEEEENSB_INSC_IfEEEEiNS9_4plusIvEENS9_8equal_toIvEEiEE10hipError_tPvRmT2_T3_T4_T5_mT6_T7_P12ihipStream_tbENKUlT_T0_E_clISt17integral_constantIbLb1EES12_IbLb0EEEEDaSY_SZ_EUlSY_E_NS1_11comp_targetILNS1_3genE8ELNS1_11target_archE1030ELNS1_3gpuE2ELNS1_3repE0EEENS1_30default_config_static_selectorELNS0_4arch9wavefront6targetE1EEEvT1_,comdat
	.protected	_ZN7rocprim17ROCPRIM_400000_NS6detail17trampoline_kernelINS0_14default_configENS1_27scan_by_key_config_selectorIiiEEZZNS1_16scan_by_key_implILNS1_25lookback_scan_determinismE0ELb1ES3_N6thrust23THRUST_200600_302600_NS6detail15normal_iteratorINS9_10device_ptrIiEEEENSB_INSC_IjEEEENSB_INSC_IfEEEEiNS9_4plusIvEENS9_8equal_toIvEEiEE10hipError_tPvRmT2_T3_T4_T5_mT6_T7_P12ihipStream_tbENKUlT_T0_E_clISt17integral_constantIbLb1EES12_IbLb0EEEEDaSY_SZ_EUlSY_E_NS1_11comp_targetILNS1_3genE8ELNS1_11target_archE1030ELNS1_3gpuE2ELNS1_3repE0EEENS1_30default_config_static_selectorELNS0_4arch9wavefront6targetE1EEEvT1_ ; -- Begin function _ZN7rocprim17ROCPRIM_400000_NS6detail17trampoline_kernelINS0_14default_configENS1_27scan_by_key_config_selectorIiiEEZZNS1_16scan_by_key_implILNS1_25lookback_scan_determinismE0ELb1ES3_N6thrust23THRUST_200600_302600_NS6detail15normal_iteratorINS9_10device_ptrIiEEEENSB_INSC_IjEEEENSB_INSC_IfEEEEiNS9_4plusIvEENS9_8equal_toIvEEiEE10hipError_tPvRmT2_T3_T4_T5_mT6_T7_P12ihipStream_tbENKUlT_T0_E_clISt17integral_constantIbLb1EES12_IbLb0EEEEDaSY_SZ_EUlSY_E_NS1_11comp_targetILNS1_3genE8ELNS1_11target_archE1030ELNS1_3gpuE2ELNS1_3repE0EEENS1_30default_config_static_selectorELNS0_4arch9wavefront6targetE1EEEvT1_
	.globl	_ZN7rocprim17ROCPRIM_400000_NS6detail17trampoline_kernelINS0_14default_configENS1_27scan_by_key_config_selectorIiiEEZZNS1_16scan_by_key_implILNS1_25lookback_scan_determinismE0ELb1ES3_N6thrust23THRUST_200600_302600_NS6detail15normal_iteratorINS9_10device_ptrIiEEEENSB_INSC_IjEEEENSB_INSC_IfEEEEiNS9_4plusIvEENS9_8equal_toIvEEiEE10hipError_tPvRmT2_T3_T4_T5_mT6_T7_P12ihipStream_tbENKUlT_T0_E_clISt17integral_constantIbLb1EES12_IbLb0EEEEDaSY_SZ_EUlSY_E_NS1_11comp_targetILNS1_3genE8ELNS1_11target_archE1030ELNS1_3gpuE2ELNS1_3repE0EEENS1_30default_config_static_selectorELNS0_4arch9wavefront6targetE1EEEvT1_
	.p2align	8
	.type	_ZN7rocprim17ROCPRIM_400000_NS6detail17trampoline_kernelINS0_14default_configENS1_27scan_by_key_config_selectorIiiEEZZNS1_16scan_by_key_implILNS1_25lookback_scan_determinismE0ELb1ES3_N6thrust23THRUST_200600_302600_NS6detail15normal_iteratorINS9_10device_ptrIiEEEENSB_INSC_IjEEEENSB_INSC_IfEEEEiNS9_4plusIvEENS9_8equal_toIvEEiEE10hipError_tPvRmT2_T3_T4_T5_mT6_T7_P12ihipStream_tbENKUlT_T0_E_clISt17integral_constantIbLb1EES12_IbLb0EEEEDaSY_SZ_EUlSY_E_NS1_11comp_targetILNS1_3genE8ELNS1_11target_archE1030ELNS1_3gpuE2ELNS1_3repE0EEENS1_30default_config_static_selectorELNS0_4arch9wavefront6targetE1EEEvT1_,@function
_ZN7rocprim17ROCPRIM_400000_NS6detail17trampoline_kernelINS0_14default_configENS1_27scan_by_key_config_selectorIiiEEZZNS1_16scan_by_key_implILNS1_25lookback_scan_determinismE0ELb1ES3_N6thrust23THRUST_200600_302600_NS6detail15normal_iteratorINS9_10device_ptrIiEEEENSB_INSC_IjEEEENSB_INSC_IfEEEEiNS9_4plusIvEENS9_8equal_toIvEEiEE10hipError_tPvRmT2_T3_T4_T5_mT6_T7_P12ihipStream_tbENKUlT_T0_E_clISt17integral_constantIbLb1EES12_IbLb0EEEEDaSY_SZ_EUlSY_E_NS1_11comp_targetILNS1_3genE8ELNS1_11target_archE1030ELNS1_3gpuE2ELNS1_3repE0EEENS1_30default_config_static_selectorELNS0_4arch9wavefront6targetE1EEEvT1_: ; @_ZN7rocprim17ROCPRIM_400000_NS6detail17trampoline_kernelINS0_14default_configENS1_27scan_by_key_config_selectorIiiEEZZNS1_16scan_by_key_implILNS1_25lookback_scan_determinismE0ELb1ES3_N6thrust23THRUST_200600_302600_NS6detail15normal_iteratorINS9_10device_ptrIiEEEENSB_INSC_IjEEEENSB_INSC_IfEEEEiNS9_4plusIvEENS9_8equal_toIvEEiEE10hipError_tPvRmT2_T3_T4_T5_mT6_T7_P12ihipStream_tbENKUlT_T0_E_clISt17integral_constantIbLb1EES12_IbLb0EEEEDaSY_SZ_EUlSY_E_NS1_11comp_targetILNS1_3genE8ELNS1_11target_archE1030ELNS1_3gpuE2ELNS1_3repE0EEENS1_30default_config_static_selectorELNS0_4arch9wavefront6targetE1EEEvT1_
; %bb.0:
	.section	.rodata,"a",@progbits
	.p2align	6, 0x0
	.amdhsa_kernel _ZN7rocprim17ROCPRIM_400000_NS6detail17trampoline_kernelINS0_14default_configENS1_27scan_by_key_config_selectorIiiEEZZNS1_16scan_by_key_implILNS1_25lookback_scan_determinismE0ELb1ES3_N6thrust23THRUST_200600_302600_NS6detail15normal_iteratorINS9_10device_ptrIiEEEENSB_INSC_IjEEEENSB_INSC_IfEEEEiNS9_4plusIvEENS9_8equal_toIvEEiEE10hipError_tPvRmT2_T3_T4_T5_mT6_T7_P12ihipStream_tbENKUlT_T0_E_clISt17integral_constantIbLb1EES12_IbLb0EEEEDaSY_SZ_EUlSY_E_NS1_11comp_targetILNS1_3genE8ELNS1_11target_archE1030ELNS1_3gpuE2ELNS1_3repE0EEENS1_30default_config_static_selectorELNS0_4arch9wavefront6targetE1EEEvT1_
		.amdhsa_group_segment_fixed_size 0
		.amdhsa_private_segment_fixed_size 0
		.amdhsa_kernarg_size 112
		.amdhsa_user_sgpr_count 2
		.amdhsa_user_sgpr_dispatch_ptr 0
		.amdhsa_user_sgpr_queue_ptr 0
		.amdhsa_user_sgpr_kernarg_segment_ptr 1
		.amdhsa_user_sgpr_dispatch_id 0
		.amdhsa_user_sgpr_kernarg_preload_length 0
		.amdhsa_user_sgpr_kernarg_preload_offset 0
		.amdhsa_user_sgpr_private_segment_size 0
		.amdhsa_uses_dynamic_stack 0
		.amdhsa_enable_private_segment 0
		.amdhsa_system_sgpr_workgroup_id_x 1
		.amdhsa_system_sgpr_workgroup_id_y 0
		.amdhsa_system_sgpr_workgroup_id_z 0
		.amdhsa_system_sgpr_workgroup_info 0
		.amdhsa_system_vgpr_workitem_id 0
		.amdhsa_next_free_vgpr 1
		.amdhsa_next_free_sgpr 0
		.amdhsa_accum_offset 4
		.amdhsa_reserve_vcc 0
		.amdhsa_float_round_mode_32 0
		.amdhsa_float_round_mode_16_64 0
		.amdhsa_float_denorm_mode_32 3
		.amdhsa_float_denorm_mode_16_64 3
		.amdhsa_dx10_clamp 1
		.amdhsa_ieee_mode 1
		.amdhsa_fp16_overflow 0
		.amdhsa_tg_split 0
		.amdhsa_exception_fp_ieee_invalid_op 0
		.amdhsa_exception_fp_denorm_src 0
		.amdhsa_exception_fp_ieee_div_zero 0
		.amdhsa_exception_fp_ieee_overflow 0
		.amdhsa_exception_fp_ieee_underflow 0
		.amdhsa_exception_fp_ieee_inexact 0
		.amdhsa_exception_int_div_zero 0
	.end_amdhsa_kernel
	.section	.text._ZN7rocprim17ROCPRIM_400000_NS6detail17trampoline_kernelINS0_14default_configENS1_27scan_by_key_config_selectorIiiEEZZNS1_16scan_by_key_implILNS1_25lookback_scan_determinismE0ELb1ES3_N6thrust23THRUST_200600_302600_NS6detail15normal_iteratorINS9_10device_ptrIiEEEENSB_INSC_IjEEEENSB_INSC_IfEEEEiNS9_4plusIvEENS9_8equal_toIvEEiEE10hipError_tPvRmT2_T3_T4_T5_mT6_T7_P12ihipStream_tbENKUlT_T0_E_clISt17integral_constantIbLb1EES12_IbLb0EEEEDaSY_SZ_EUlSY_E_NS1_11comp_targetILNS1_3genE8ELNS1_11target_archE1030ELNS1_3gpuE2ELNS1_3repE0EEENS1_30default_config_static_selectorELNS0_4arch9wavefront6targetE1EEEvT1_,"axG",@progbits,_ZN7rocprim17ROCPRIM_400000_NS6detail17trampoline_kernelINS0_14default_configENS1_27scan_by_key_config_selectorIiiEEZZNS1_16scan_by_key_implILNS1_25lookback_scan_determinismE0ELb1ES3_N6thrust23THRUST_200600_302600_NS6detail15normal_iteratorINS9_10device_ptrIiEEEENSB_INSC_IjEEEENSB_INSC_IfEEEEiNS9_4plusIvEENS9_8equal_toIvEEiEE10hipError_tPvRmT2_T3_T4_T5_mT6_T7_P12ihipStream_tbENKUlT_T0_E_clISt17integral_constantIbLb1EES12_IbLb0EEEEDaSY_SZ_EUlSY_E_NS1_11comp_targetILNS1_3genE8ELNS1_11target_archE1030ELNS1_3gpuE2ELNS1_3repE0EEENS1_30default_config_static_selectorELNS0_4arch9wavefront6targetE1EEEvT1_,comdat
.Lfunc_end1742:
	.size	_ZN7rocprim17ROCPRIM_400000_NS6detail17trampoline_kernelINS0_14default_configENS1_27scan_by_key_config_selectorIiiEEZZNS1_16scan_by_key_implILNS1_25lookback_scan_determinismE0ELb1ES3_N6thrust23THRUST_200600_302600_NS6detail15normal_iteratorINS9_10device_ptrIiEEEENSB_INSC_IjEEEENSB_INSC_IfEEEEiNS9_4plusIvEENS9_8equal_toIvEEiEE10hipError_tPvRmT2_T3_T4_T5_mT6_T7_P12ihipStream_tbENKUlT_T0_E_clISt17integral_constantIbLb1EES12_IbLb0EEEEDaSY_SZ_EUlSY_E_NS1_11comp_targetILNS1_3genE8ELNS1_11target_archE1030ELNS1_3gpuE2ELNS1_3repE0EEENS1_30default_config_static_selectorELNS0_4arch9wavefront6targetE1EEEvT1_, .Lfunc_end1742-_ZN7rocprim17ROCPRIM_400000_NS6detail17trampoline_kernelINS0_14default_configENS1_27scan_by_key_config_selectorIiiEEZZNS1_16scan_by_key_implILNS1_25lookback_scan_determinismE0ELb1ES3_N6thrust23THRUST_200600_302600_NS6detail15normal_iteratorINS9_10device_ptrIiEEEENSB_INSC_IjEEEENSB_INSC_IfEEEEiNS9_4plusIvEENS9_8equal_toIvEEiEE10hipError_tPvRmT2_T3_T4_T5_mT6_T7_P12ihipStream_tbENKUlT_T0_E_clISt17integral_constantIbLb1EES12_IbLb0EEEEDaSY_SZ_EUlSY_E_NS1_11comp_targetILNS1_3genE8ELNS1_11target_archE1030ELNS1_3gpuE2ELNS1_3repE0EEENS1_30default_config_static_selectorELNS0_4arch9wavefront6targetE1EEEvT1_
                                        ; -- End function
	.section	.AMDGPU.csdata,"",@progbits
; Kernel info:
; codeLenInByte = 0
; NumSgprs: 6
; NumVgprs: 0
; NumAgprs: 0
; TotalNumVgprs: 0
; ScratchSize: 0
; MemoryBound: 0
; FloatMode: 240
; IeeeMode: 1
; LDSByteSize: 0 bytes/workgroup (compile time only)
; SGPRBlocks: 0
; VGPRBlocks: 0
; NumSGPRsForWavesPerEU: 6
; NumVGPRsForWavesPerEU: 1
; AccumOffset: 4
; Occupancy: 8
; WaveLimiterHint : 0
; COMPUTE_PGM_RSRC2:SCRATCH_EN: 0
; COMPUTE_PGM_RSRC2:USER_SGPR: 2
; COMPUTE_PGM_RSRC2:TRAP_HANDLER: 0
; COMPUTE_PGM_RSRC2:TGID_X_EN: 1
; COMPUTE_PGM_RSRC2:TGID_Y_EN: 0
; COMPUTE_PGM_RSRC2:TGID_Z_EN: 0
; COMPUTE_PGM_RSRC2:TIDIG_COMP_CNT: 0
; COMPUTE_PGM_RSRC3_GFX90A:ACCUM_OFFSET: 0
; COMPUTE_PGM_RSRC3_GFX90A:TG_SPLIT: 0
	.section	.text._ZN7rocprim17ROCPRIM_400000_NS6detail17trampoline_kernelINS0_14default_configENS1_27scan_by_key_config_selectorIiiEEZZNS1_16scan_by_key_implILNS1_25lookback_scan_determinismE0ELb1ES3_N6thrust23THRUST_200600_302600_NS6detail15normal_iteratorINS9_10device_ptrIiEEEENSB_INSC_IjEEEENSB_INSC_IfEEEEiNS9_4plusIvEENS9_8equal_toIvEEiEE10hipError_tPvRmT2_T3_T4_T5_mT6_T7_P12ihipStream_tbENKUlT_T0_E_clISt17integral_constantIbLb0EES12_IbLb1EEEEDaSY_SZ_EUlSY_E_NS1_11comp_targetILNS1_3genE0ELNS1_11target_archE4294967295ELNS1_3gpuE0ELNS1_3repE0EEENS1_30default_config_static_selectorELNS0_4arch9wavefront6targetE1EEEvT1_,"axG",@progbits,_ZN7rocprim17ROCPRIM_400000_NS6detail17trampoline_kernelINS0_14default_configENS1_27scan_by_key_config_selectorIiiEEZZNS1_16scan_by_key_implILNS1_25lookback_scan_determinismE0ELb1ES3_N6thrust23THRUST_200600_302600_NS6detail15normal_iteratorINS9_10device_ptrIiEEEENSB_INSC_IjEEEENSB_INSC_IfEEEEiNS9_4plusIvEENS9_8equal_toIvEEiEE10hipError_tPvRmT2_T3_T4_T5_mT6_T7_P12ihipStream_tbENKUlT_T0_E_clISt17integral_constantIbLb0EES12_IbLb1EEEEDaSY_SZ_EUlSY_E_NS1_11comp_targetILNS1_3genE0ELNS1_11target_archE4294967295ELNS1_3gpuE0ELNS1_3repE0EEENS1_30default_config_static_selectorELNS0_4arch9wavefront6targetE1EEEvT1_,comdat
	.protected	_ZN7rocprim17ROCPRIM_400000_NS6detail17trampoline_kernelINS0_14default_configENS1_27scan_by_key_config_selectorIiiEEZZNS1_16scan_by_key_implILNS1_25lookback_scan_determinismE0ELb1ES3_N6thrust23THRUST_200600_302600_NS6detail15normal_iteratorINS9_10device_ptrIiEEEENSB_INSC_IjEEEENSB_INSC_IfEEEEiNS9_4plusIvEENS9_8equal_toIvEEiEE10hipError_tPvRmT2_T3_T4_T5_mT6_T7_P12ihipStream_tbENKUlT_T0_E_clISt17integral_constantIbLb0EES12_IbLb1EEEEDaSY_SZ_EUlSY_E_NS1_11comp_targetILNS1_3genE0ELNS1_11target_archE4294967295ELNS1_3gpuE0ELNS1_3repE0EEENS1_30default_config_static_selectorELNS0_4arch9wavefront6targetE1EEEvT1_ ; -- Begin function _ZN7rocprim17ROCPRIM_400000_NS6detail17trampoline_kernelINS0_14default_configENS1_27scan_by_key_config_selectorIiiEEZZNS1_16scan_by_key_implILNS1_25lookback_scan_determinismE0ELb1ES3_N6thrust23THRUST_200600_302600_NS6detail15normal_iteratorINS9_10device_ptrIiEEEENSB_INSC_IjEEEENSB_INSC_IfEEEEiNS9_4plusIvEENS9_8equal_toIvEEiEE10hipError_tPvRmT2_T3_T4_T5_mT6_T7_P12ihipStream_tbENKUlT_T0_E_clISt17integral_constantIbLb0EES12_IbLb1EEEEDaSY_SZ_EUlSY_E_NS1_11comp_targetILNS1_3genE0ELNS1_11target_archE4294967295ELNS1_3gpuE0ELNS1_3repE0EEENS1_30default_config_static_selectorELNS0_4arch9wavefront6targetE1EEEvT1_
	.globl	_ZN7rocprim17ROCPRIM_400000_NS6detail17trampoline_kernelINS0_14default_configENS1_27scan_by_key_config_selectorIiiEEZZNS1_16scan_by_key_implILNS1_25lookback_scan_determinismE0ELb1ES3_N6thrust23THRUST_200600_302600_NS6detail15normal_iteratorINS9_10device_ptrIiEEEENSB_INSC_IjEEEENSB_INSC_IfEEEEiNS9_4plusIvEENS9_8equal_toIvEEiEE10hipError_tPvRmT2_T3_T4_T5_mT6_T7_P12ihipStream_tbENKUlT_T0_E_clISt17integral_constantIbLb0EES12_IbLb1EEEEDaSY_SZ_EUlSY_E_NS1_11comp_targetILNS1_3genE0ELNS1_11target_archE4294967295ELNS1_3gpuE0ELNS1_3repE0EEENS1_30default_config_static_selectorELNS0_4arch9wavefront6targetE1EEEvT1_
	.p2align	8
	.type	_ZN7rocprim17ROCPRIM_400000_NS6detail17trampoline_kernelINS0_14default_configENS1_27scan_by_key_config_selectorIiiEEZZNS1_16scan_by_key_implILNS1_25lookback_scan_determinismE0ELb1ES3_N6thrust23THRUST_200600_302600_NS6detail15normal_iteratorINS9_10device_ptrIiEEEENSB_INSC_IjEEEENSB_INSC_IfEEEEiNS9_4plusIvEENS9_8equal_toIvEEiEE10hipError_tPvRmT2_T3_T4_T5_mT6_T7_P12ihipStream_tbENKUlT_T0_E_clISt17integral_constantIbLb0EES12_IbLb1EEEEDaSY_SZ_EUlSY_E_NS1_11comp_targetILNS1_3genE0ELNS1_11target_archE4294967295ELNS1_3gpuE0ELNS1_3repE0EEENS1_30default_config_static_selectorELNS0_4arch9wavefront6targetE1EEEvT1_,@function
_ZN7rocprim17ROCPRIM_400000_NS6detail17trampoline_kernelINS0_14default_configENS1_27scan_by_key_config_selectorIiiEEZZNS1_16scan_by_key_implILNS1_25lookback_scan_determinismE0ELb1ES3_N6thrust23THRUST_200600_302600_NS6detail15normal_iteratorINS9_10device_ptrIiEEEENSB_INSC_IjEEEENSB_INSC_IfEEEEiNS9_4plusIvEENS9_8equal_toIvEEiEE10hipError_tPvRmT2_T3_T4_T5_mT6_T7_P12ihipStream_tbENKUlT_T0_E_clISt17integral_constantIbLb0EES12_IbLb1EEEEDaSY_SZ_EUlSY_E_NS1_11comp_targetILNS1_3genE0ELNS1_11target_archE4294967295ELNS1_3gpuE0ELNS1_3repE0EEENS1_30default_config_static_selectorELNS0_4arch9wavefront6targetE1EEEvT1_: ; @_ZN7rocprim17ROCPRIM_400000_NS6detail17trampoline_kernelINS0_14default_configENS1_27scan_by_key_config_selectorIiiEEZZNS1_16scan_by_key_implILNS1_25lookback_scan_determinismE0ELb1ES3_N6thrust23THRUST_200600_302600_NS6detail15normal_iteratorINS9_10device_ptrIiEEEENSB_INSC_IjEEEENSB_INSC_IfEEEEiNS9_4plusIvEENS9_8equal_toIvEEiEE10hipError_tPvRmT2_T3_T4_T5_mT6_T7_P12ihipStream_tbENKUlT_T0_E_clISt17integral_constantIbLb0EES12_IbLb1EEEEDaSY_SZ_EUlSY_E_NS1_11comp_targetILNS1_3genE0ELNS1_11target_archE4294967295ELNS1_3gpuE0ELNS1_3repE0EEENS1_30default_config_static_selectorELNS0_4arch9wavefront6targetE1EEEvT1_
; %bb.0:
	.section	.rodata,"a",@progbits
	.p2align	6, 0x0
	.amdhsa_kernel _ZN7rocprim17ROCPRIM_400000_NS6detail17trampoline_kernelINS0_14default_configENS1_27scan_by_key_config_selectorIiiEEZZNS1_16scan_by_key_implILNS1_25lookback_scan_determinismE0ELb1ES3_N6thrust23THRUST_200600_302600_NS6detail15normal_iteratorINS9_10device_ptrIiEEEENSB_INSC_IjEEEENSB_INSC_IfEEEEiNS9_4plusIvEENS9_8equal_toIvEEiEE10hipError_tPvRmT2_T3_T4_T5_mT6_T7_P12ihipStream_tbENKUlT_T0_E_clISt17integral_constantIbLb0EES12_IbLb1EEEEDaSY_SZ_EUlSY_E_NS1_11comp_targetILNS1_3genE0ELNS1_11target_archE4294967295ELNS1_3gpuE0ELNS1_3repE0EEENS1_30default_config_static_selectorELNS0_4arch9wavefront6targetE1EEEvT1_
		.amdhsa_group_segment_fixed_size 0
		.amdhsa_private_segment_fixed_size 0
		.amdhsa_kernarg_size 112
		.amdhsa_user_sgpr_count 2
		.amdhsa_user_sgpr_dispatch_ptr 0
		.amdhsa_user_sgpr_queue_ptr 0
		.amdhsa_user_sgpr_kernarg_segment_ptr 1
		.amdhsa_user_sgpr_dispatch_id 0
		.amdhsa_user_sgpr_kernarg_preload_length 0
		.amdhsa_user_sgpr_kernarg_preload_offset 0
		.amdhsa_user_sgpr_private_segment_size 0
		.amdhsa_uses_dynamic_stack 0
		.amdhsa_enable_private_segment 0
		.amdhsa_system_sgpr_workgroup_id_x 1
		.amdhsa_system_sgpr_workgroup_id_y 0
		.amdhsa_system_sgpr_workgroup_id_z 0
		.amdhsa_system_sgpr_workgroup_info 0
		.amdhsa_system_vgpr_workitem_id 0
		.amdhsa_next_free_vgpr 1
		.amdhsa_next_free_sgpr 0
		.amdhsa_accum_offset 4
		.amdhsa_reserve_vcc 0
		.amdhsa_float_round_mode_32 0
		.amdhsa_float_round_mode_16_64 0
		.amdhsa_float_denorm_mode_32 3
		.amdhsa_float_denorm_mode_16_64 3
		.amdhsa_dx10_clamp 1
		.amdhsa_ieee_mode 1
		.amdhsa_fp16_overflow 0
		.amdhsa_tg_split 0
		.amdhsa_exception_fp_ieee_invalid_op 0
		.amdhsa_exception_fp_denorm_src 0
		.amdhsa_exception_fp_ieee_div_zero 0
		.amdhsa_exception_fp_ieee_overflow 0
		.amdhsa_exception_fp_ieee_underflow 0
		.amdhsa_exception_fp_ieee_inexact 0
		.amdhsa_exception_int_div_zero 0
	.end_amdhsa_kernel
	.section	.text._ZN7rocprim17ROCPRIM_400000_NS6detail17trampoline_kernelINS0_14default_configENS1_27scan_by_key_config_selectorIiiEEZZNS1_16scan_by_key_implILNS1_25lookback_scan_determinismE0ELb1ES3_N6thrust23THRUST_200600_302600_NS6detail15normal_iteratorINS9_10device_ptrIiEEEENSB_INSC_IjEEEENSB_INSC_IfEEEEiNS9_4plusIvEENS9_8equal_toIvEEiEE10hipError_tPvRmT2_T3_T4_T5_mT6_T7_P12ihipStream_tbENKUlT_T0_E_clISt17integral_constantIbLb0EES12_IbLb1EEEEDaSY_SZ_EUlSY_E_NS1_11comp_targetILNS1_3genE0ELNS1_11target_archE4294967295ELNS1_3gpuE0ELNS1_3repE0EEENS1_30default_config_static_selectorELNS0_4arch9wavefront6targetE1EEEvT1_,"axG",@progbits,_ZN7rocprim17ROCPRIM_400000_NS6detail17trampoline_kernelINS0_14default_configENS1_27scan_by_key_config_selectorIiiEEZZNS1_16scan_by_key_implILNS1_25lookback_scan_determinismE0ELb1ES3_N6thrust23THRUST_200600_302600_NS6detail15normal_iteratorINS9_10device_ptrIiEEEENSB_INSC_IjEEEENSB_INSC_IfEEEEiNS9_4plusIvEENS9_8equal_toIvEEiEE10hipError_tPvRmT2_T3_T4_T5_mT6_T7_P12ihipStream_tbENKUlT_T0_E_clISt17integral_constantIbLb0EES12_IbLb1EEEEDaSY_SZ_EUlSY_E_NS1_11comp_targetILNS1_3genE0ELNS1_11target_archE4294967295ELNS1_3gpuE0ELNS1_3repE0EEENS1_30default_config_static_selectorELNS0_4arch9wavefront6targetE1EEEvT1_,comdat
.Lfunc_end1743:
	.size	_ZN7rocprim17ROCPRIM_400000_NS6detail17trampoline_kernelINS0_14default_configENS1_27scan_by_key_config_selectorIiiEEZZNS1_16scan_by_key_implILNS1_25lookback_scan_determinismE0ELb1ES3_N6thrust23THRUST_200600_302600_NS6detail15normal_iteratorINS9_10device_ptrIiEEEENSB_INSC_IjEEEENSB_INSC_IfEEEEiNS9_4plusIvEENS9_8equal_toIvEEiEE10hipError_tPvRmT2_T3_T4_T5_mT6_T7_P12ihipStream_tbENKUlT_T0_E_clISt17integral_constantIbLb0EES12_IbLb1EEEEDaSY_SZ_EUlSY_E_NS1_11comp_targetILNS1_3genE0ELNS1_11target_archE4294967295ELNS1_3gpuE0ELNS1_3repE0EEENS1_30default_config_static_selectorELNS0_4arch9wavefront6targetE1EEEvT1_, .Lfunc_end1743-_ZN7rocprim17ROCPRIM_400000_NS6detail17trampoline_kernelINS0_14default_configENS1_27scan_by_key_config_selectorIiiEEZZNS1_16scan_by_key_implILNS1_25lookback_scan_determinismE0ELb1ES3_N6thrust23THRUST_200600_302600_NS6detail15normal_iteratorINS9_10device_ptrIiEEEENSB_INSC_IjEEEENSB_INSC_IfEEEEiNS9_4plusIvEENS9_8equal_toIvEEiEE10hipError_tPvRmT2_T3_T4_T5_mT6_T7_P12ihipStream_tbENKUlT_T0_E_clISt17integral_constantIbLb0EES12_IbLb1EEEEDaSY_SZ_EUlSY_E_NS1_11comp_targetILNS1_3genE0ELNS1_11target_archE4294967295ELNS1_3gpuE0ELNS1_3repE0EEENS1_30default_config_static_selectorELNS0_4arch9wavefront6targetE1EEEvT1_
                                        ; -- End function
	.section	.AMDGPU.csdata,"",@progbits
; Kernel info:
; codeLenInByte = 0
; NumSgprs: 6
; NumVgprs: 0
; NumAgprs: 0
; TotalNumVgprs: 0
; ScratchSize: 0
; MemoryBound: 0
; FloatMode: 240
; IeeeMode: 1
; LDSByteSize: 0 bytes/workgroup (compile time only)
; SGPRBlocks: 0
; VGPRBlocks: 0
; NumSGPRsForWavesPerEU: 6
; NumVGPRsForWavesPerEU: 1
; AccumOffset: 4
; Occupancy: 8
; WaveLimiterHint : 0
; COMPUTE_PGM_RSRC2:SCRATCH_EN: 0
; COMPUTE_PGM_RSRC2:USER_SGPR: 2
; COMPUTE_PGM_RSRC2:TRAP_HANDLER: 0
; COMPUTE_PGM_RSRC2:TGID_X_EN: 1
; COMPUTE_PGM_RSRC2:TGID_Y_EN: 0
; COMPUTE_PGM_RSRC2:TGID_Z_EN: 0
; COMPUTE_PGM_RSRC2:TIDIG_COMP_CNT: 0
; COMPUTE_PGM_RSRC3_GFX90A:ACCUM_OFFSET: 0
; COMPUTE_PGM_RSRC3_GFX90A:TG_SPLIT: 0
	.section	.text._ZN7rocprim17ROCPRIM_400000_NS6detail17trampoline_kernelINS0_14default_configENS1_27scan_by_key_config_selectorIiiEEZZNS1_16scan_by_key_implILNS1_25lookback_scan_determinismE0ELb1ES3_N6thrust23THRUST_200600_302600_NS6detail15normal_iteratorINS9_10device_ptrIiEEEENSB_INSC_IjEEEENSB_INSC_IfEEEEiNS9_4plusIvEENS9_8equal_toIvEEiEE10hipError_tPvRmT2_T3_T4_T5_mT6_T7_P12ihipStream_tbENKUlT_T0_E_clISt17integral_constantIbLb0EES12_IbLb1EEEEDaSY_SZ_EUlSY_E_NS1_11comp_targetILNS1_3genE10ELNS1_11target_archE1201ELNS1_3gpuE5ELNS1_3repE0EEENS1_30default_config_static_selectorELNS0_4arch9wavefront6targetE1EEEvT1_,"axG",@progbits,_ZN7rocprim17ROCPRIM_400000_NS6detail17trampoline_kernelINS0_14default_configENS1_27scan_by_key_config_selectorIiiEEZZNS1_16scan_by_key_implILNS1_25lookback_scan_determinismE0ELb1ES3_N6thrust23THRUST_200600_302600_NS6detail15normal_iteratorINS9_10device_ptrIiEEEENSB_INSC_IjEEEENSB_INSC_IfEEEEiNS9_4plusIvEENS9_8equal_toIvEEiEE10hipError_tPvRmT2_T3_T4_T5_mT6_T7_P12ihipStream_tbENKUlT_T0_E_clISt17integral_constantIbLb0EES12_IbLb1EEEEDaSY_SZ_EUlSY_E_NS1_11comp_targetILNS1_3genE10ELNS1_11target_archE1201ELNS1_3gpuE5ELNS1_3repE0EEENS1_30default_config_static_selectorELNS0_4arch9wavefront6targetE1EEEvT1_,comdat
	.protected	_ZN7rocprim17ROCPRIM_400000_NS6detail17trampoline_kernelINS0_14default_configENS1_27scan_by_key_config_selectorIiiEEZZNS1_16scan_by_key_implILNS1_25lookback_scan_determinismE0ELb1ES3_N6thrust23THRUST_200600_302600_NS6detail15normal_iteratorINS9_10device_ptrIiEEEENSB_INSC_IjEEEENSB_INSC_IfEEEEiNS9_4plusIvEENS9_8equal_toIvEEiEE10hipError_tPvRmT2_T3_T4_T5_mT6_T7_P12ihipStream_tbENKUlT_T0_E_clISt17integral_constantIbLb0EES12_IbLb1EEEEDaSY_SZ_EUlSY_E_NS1_11comp_targetILNS1_3genE10ELNS1_11target_archE1201ELNS1_3gpuE5ELNS1_3repE0EEENS1_30default_config_static_selectorELNS0_4arch9wavefront6targetE1EEEvT1_ ; -- Begin function _ZN7rocprim17ROCPRIM_400000_NS6detail17trampoline_kernelINS0_14default_configENS1_27scan_by_key_config_selectorIiiEEZZNS1_16scan_by_key_implILNS1_25lookback_scan_determinismE0ELb1ES3_N6thrust23THRUST_200600_302600_NS6detail15normal_iteratorINS9_10device_ptrIiEEEENSB_INSC_IjEEEENSB_INSC_IfEEEEiNS9_4plusIvEENS9_8equal_toIvEEiEE10hipError_tPvRmT2_T3_T4_T5_mT6_T7_P12ihipStream_tbENKUlT_T0_E_clISt17integral_constantIbLb0EES12_IbLb1EEEEDaSY_SZ_EUlSY_E_NS1_11comp_targetILNS1_3genE10ELNS1_11target_archE1201ELNS1_3gpuE5ELNS1_3repE0EEENS1_30default_config_static_selectorELNS0_4arch9wavefront6targetE1EEEvT1_
	.globl	_ZN7rocprim17ROCPRIM_400000_NS6detail17trampoline_kernelINS0_14default_configENS1_27scan_by_key_config_selectorIiiEEZZNS1_16scan_by_key_implILNS1_25lookback_scan_determinismE0ELb1ES3_N6thrust23THRUST_200600_302600_NS6detail15normal_iteratorINS9_10device_ptrIiEEEENSB_INSC_IjEEEENSB_INSC_IfEEEEiNS9_4plusIvEENS9_8equal_toIvEEiEE10hipError_tPvRmT2_T3_T4_T5_mT6_T7_P12ihipStream_tbENKUlT_T0_E_clISt17integral_constantIbLb0EES12_IbLb1EEEEDaSY_SZ_EUlSY_E_NS1_11comp_targetILNS1_3genE10ELNS1_11target_archE1201ELNS1_3gpuE5ELNS1_3repE0EEENS1_30default_config_static_selectorELNS0_4arch9wavefront6targetE1EEEvT1_
	.p2align	8
	.type	_ZN7rocprim17ROCPRIM_400000_NS6detail17trampoline_kernelINS0_14default_configENS1_27scan_by_key_config_selectorIiiEEZZNS1_16scan_by_key_implILNS1_25lookback_scan_determinismE0ELb1ES3_N6thrust23THRUST_200600_302600_NS6detail15normal_iteratorINS9_10device_ptrIiEEEENSB_INSC_IjEEEENSB_INSC_IfEEEEiNS9_4plusIvEENS9_8equal_toIvEEiEE10hipError_tPvRmT2_T3_T4_T5_mT6_T7_P12ihipStream_tbENKUlT_T0_E_clISt17integral_constantIbLb0EES12_IbLb1EEEEDaSY_SZ_EUlSY_E_NS1_11comp_targetILNS1_3genE10ELNS1_11target_archE1201ELNS1_3gpuE5ELNS1_3repE0EEENS1_30default_config_static_selectorELNS0_4arch9wavefront6targetE1EEEvT1_,@function
_ZN7rocprim17ROCPRIM_400000_NS6detail17trampoline_kernelINS0_14default_configENS1_27scan_by_key_config_selectorIiiEEZZNS1_16scan_by_key_implILNS1_25lookback_scan_determinismE0ELb1ES3_N6thrust23THRUST_200600_302600_NS6detail15normal_iteratorINS9_10device_ptrIiEEEENSB_INSC_IjEEEENSB_INSC_IfEEEEiNS9_4plusIvEENS9_8equal_toIvEEiEE10hipError_tPvRmT2_T3_T4_T5_mT6_T7_P12ihipStream_tbENKUlT_T0_E_clISt17integral_constantIbLb0EES12_IbLb1EEEEDaSY_SZ_EUlSY_E_NS1_11comp_targetILNS1_3genE10ELNS1_11target_archE1201ELNS1_3gpuE5ELNS1_3repE0EEENS1_30default_config_static_selectorELNS0_4arch9wavefront6targetE1EEEvT1_: ; @_ZN7rocprim17ROCPRIM_400000_NS6detail17trampoline_kernelINS0_14default_configENS1_27scan_by_key_config_selectorIiiEEZZNS1_16scan_by_key_implILNS1_25lookback_scan_determinismE0ELb1ES3_N6thrust23THRUST_200600_302600_NS6detail15normal_iteratorINS9_10device_ptrIiEEEENSB_INSC_IjEEEENSB_INSC_IfEEEEiNS9_4plusIvEENS9_8equal_toIvEEiEE10hipError_tPvRmT2_T3_T4_T5_mT6_T7_P12ihipStream_tbENKUlT_T0_E_clISt17integral_constantIbLb0EES12_IbLb1EEEEDaSY_SZ_EUlSY_E_NS1_11comp_targetILNS1_3genE10ELNS1_11target_archE1201ELNS1_3gpuE5ELNS1_3repE0EEENS1_30default_config_static_selectorELNS0_4arch9wavefront6targetE1EEEvT1_
; %bb.0:
	.section	.rodata,"a",@progbits
	.p2align	6, 0x0
	.amdhsa_kernel _ZN7rocprim17ROCPRIM_400000_NS6detail17trampoline_kernelINS0_14default_configENS1_27scan_by_key_config_selectorIiiEEZZNS1_16scan_by_key_implILNS1_25lookback_scan_determinismE0ELb1ES3_N6thrust23THRUST_200600_302600_NS6detail15normal_iteratorINS9_10device_ptrIiEEEENSB_INSC_IjEEEENSB_INSC_IfEEEEiNS9_4plusIvEENS9_8equal_toIvEEiEE10hipError_tPvRmT2_T3_T4_T5_mT6_T7_P12ihipStream_tbENKUlT_T0_E_clISt17integral_constantIbLb0EES12_IbLb1EEEEDaSY_SZ_EUlSY_E_NS1_11comp_targetILNS1_3genE10ELNS1_11target_archE1201ELNS1_3gpuE5ELNS1_3repE0EEENS1_30default_config_static_selectorELNS0_4arch9wavefront6targetE1EEEvT1_
		.amdhsa_group_segment_fixed_size 0
		.amdhsa_private_segment_fixed_size 0
		.amdhsa_kernarg_size 112
		.amdhsa_user_sgpr_count 2
		.amdhsa_user_sgpr_dispatch_ptr 0
		.amdhsa_user_sgpr_queue_ptr 0
		.amdhsa_user_sgpr_kernarg_segment_ptr 1
		.amdhsa_user_sgpr_dispatch_id 0
		.amdhsa_user_sgpr_kernarg_preload_length 0
		.amdhsa_user_sgpr_kernarg_preload_offset 0
		.amdhsa_user_sgpr_private_segment_size 0
		.amdhsa_uses_dynamic_stack 0
		.amdhsa_enable_private_segment 0
		.amdhsa_system_sgpr_workgroup_id_x 1
		.amdhsa_system_sgpr_workgroup_id_y 0
		.amdhsa_system_sgpr_workgroup_id_z 0
		.amdhsa_system_sgpr_workgroup_info 0
		.amdhsa_system_vgpr_workitem_id 0
		.amdhsa_next_free_vgpr 1
		.amdhsa_next_free_sgpr 0
		.amdhsa_accum_offset 4
		.amdhsa_reserve_vcc 0
		.amdhsa_float_round_mode_32 0
		.amdhsa_float_round_mode_16_64 0
		.amdhsa_float_denorm_mode_32 3
		.amdhsa_float_denorm_mode_16_64 3
		.amdhsa_dx10_clamp 1
		.amdhsa_ieee_mode 1
		.amdhsa_fp16_overflow 0
		.amdhsa_tg_split 0
		.amdhsa_exception_fp_ieee_invalid_op 0
		.amdhsa_exception_fp_denorm_src 0
		.amdhsa_exception_fp_ieee_div_zero 0
		.amdhsa_exception_fp_ieee_overflow 0
		.amdhsa_exception_fp_ieee_underflow 0
		.amdhsa_exception_fp_ieee_inexact 0
		.amdhsa_exception_int_div_zero 0
	.end_amdhsa_kernel
	.section	.text._ZN7rocprim17ROCPRIM_400000_NS6detail17trampoline_kernelINS0_14default_configENS1_27scan_by_key_config_selectorIiiEEZZNS1_16scan_by_key_implILNS1_25lookback_scan_determinismE0ELb1ES3_N6thrust23THRUST_200600_302600_NS6detail15normal_iteratorINS9_10device_ptrIiEEEENSB_INSC_IjEEEENSB_INSC_IfEEEEiNS9_4plusIvEENS9_8equal_toIvEEiEE10hipError_tPvRmT2_T3_T4_T5_mT6_T7_P12ihipStream_tbENKUlT_T0_E_clISt17integral_constantIbLb0EES12_IbLb1EEEEDaSY_SZ_EUlSY_E_NS1_11comp_targetILNS1_3genE10ELNS1_11target_archE1201ELNS1_3gpuE5ELNS1_3repE0EEENS1_30default_config_static_selectorELNS0_4arch9wavefront6targetE1EEEvT1_,"axG",@progbits,_ZN7rocprim17ROCPRIM_400000_NS6detail17trampoline_kernelINS0_14default_configENS1_27scan_by_key_config_selectorIiiEEZZNS1_16scan_by_key_implILNS1_25lookback_scan_determinismE0ELb1ES3_N6thrust23THRUST_200600_302600_NS6detail15normal_iteratorINS9_10device_ptrIiEEEENSB_INSC_IjEEEENSB_INSC_IfEEEEiNS9_4plusIvEENS9_8equal_toIvEEiEE10hipError_tPvRmT2_T3_T4_T5_mT6_T7_P12ihipStream_tbENKUlT_T0_E_clISt17integral_constantIbLb0EES12_IbLb1EEEEDaSY_SZ_EUlSY_E_NS1_11comp_targetILNS1_3genE10ELNS1_11target_archE1201ELNS1_3gpuE5ELNS1_3repE0EEENS1_30default_config_static_selectorELNS0_4arch9wavefront6targetE1EEEvT1_,comdat
.Lfunc_end1744:
	.size	_ZN7rocprim17ROCPRIM_400000_NS6detail17trampoline_kernelINS0_14default_configENS1_27scan_by_key_config_selectorIiiEEZZNS1_16scan_by_key_implILNS1_25lookback_scan_determinismE0ELb1ES3_N6thrust23THRUST_200600_302600_NS6detail15normal_iteratorINS9_10device_ptrIiEEEENSB_INSC_IjEEEENSB_INSC_IfEEEEiNS9_4plusIvEENS9_8equal_toIvEEiEE10hipError_tPvRmT2_T3_T4_T5_mT6_T7_P12ihipStream_tbENKUlT_T0_E_clISt17integral_constantIbLb0EES12_IbLb1EEEEDaSY_SZ_EUlSY_E_NS1_11comp_targetILNS1_3genE10ELNS1_11target_archE1201ELNS1_3gpuE5ELNS1_3repE0EEENS1_30default_config_static_selectorELNS0_4arch9wavefront6targetE1EEEvT1_, .Lfunc_end1744-_ZN7rocprim17ROCPRIM_400000_NS6detail17trampoline_kernelINS0_14default_configENS1_27scan_by_key_config_selectorIiiEEZZNS1_16scan_by_key_implILNS1_25lookback_scan_determinismE0ELb1ES3_N6thrust23THRUST_200600_302600_NS6detail15normal_iteratorINS9_10device_ptrIiEEEENSB_INSC_IjEEEENSB_INSC_IfEEEEiNS9_4plusIvEENS9_8equal_toIvEEiEE10hipError_tPvRmT2_T3_T4_T5_mT6_T7_P12ihipStream_tbENKUlT_T0_E_clISt17integral_constantIbLb0EES12_IbLb1EEEEDaSY_SZ_EUlSY_E_NS1_11comp_targetILNS1_3genE10ELNS1_11target_archE1201ELNS1_3gpuE5ELNS1_3repE0EEENS1_30default_config_static_selectorELNS0_4arch9wavefront6targetE1EEEvT1_
                                        ; -- End function
	.section	.AMDGPU.csdata,"",@progbits
; Kernel info:
; codeLenInByte = 0
; NumSgprs: 6
; NumVgprs: 0
; NumAgprs: 0
; TotalNumVgprs: 0
; ScratchSize: 0
; MemoryBound: 0
; FloatMode: 240
; IeeeMode: 1
; LDSByteSize: 0 bytes/workgroup (compile time only)
; SGPRBlocks: 0
; VGPRBlocks: 0
; NumSGPRsForWavesPerEU: 6
; NumVGPRsForWavesPerEU: 1
; AccumOffset: 4
; Occupancy: 8
; WaveLimiterHint : 0
; COMPUTE_PGM_RSRC2:SCRATCH_EN: 0
; COMPUTE_PGM_RSRC2:USER_SGPR: 2
; COMPUTE_PGM_RSRC2:TRAP_HANDLER: 0
; COMPUTE_PGM_RSRC2:TGID_X_EN: 1
; COMPUTE_PGM_RSRC2:TGID_Y_EN: 0
; COMPUTE_PGM_RSRC2:TGID_Z_EN: 0
; COMPUTE_PGM_RSRC2:TIDIG_COMP_CNT: 0
; COMPUTE_PGM_RSRC3_GFX90A:ACCUM_OFFSET: 0
; COMPUTE_PGM_RSRC3_GFX90A:TG_SPLIT: 0
	.section	.text._ZN7rocprim17ROCPRIM_400000_NS6detail17trampoline_kernelINS0_14default_configENS1_27scan_by_key_config_selectorIiiEEZZNS1_16scan_by_key_implILNS1_25lookback_scan_determinismE0ELb1ES3_N6thrust23THRUST_200600_302600_NS6detail15normal_iteratorINS9_10device_ptrIiEEEENSB_INSC_IjEEEENSB_INSC_IfEEEEiNS9_4plusIvEENS9_8equal_toIvEEiEE10hipError_tPvRmT2_T3_T4_T5_mT6_T7_P12ihipStream_tbENKUlT_T0_E_clISt17integral_constantIbLb0EES12_IbLb1EEEEDaSY_SZ_EUlSY_E_NS1_11comp_targetILNS1_3genE5ELNS1_11target_archE942ELNS1_3gpuE9ELNS1_3repE0EEENS1_30default_config_static_selectorELNS0_4arch9wavefront6targetE1EEEvT1_,"axG",@progbits,_ZN7rocprim17ROCPRIM_400000_NS6detail17trampoline_kernelINS0_14default_configENS1_27scan_by_key_config_selectorIiiEEZZNS1_16scan_by_key_implILNS1_25lookback_scan_determinismE0ELb1ES3_N6thrust23THRUST_200600_302600_NS6detail15normal_iteratorINS9_10device_ptrIiEEEENSB_INSC_IjEEEENSB_INSC_IfEEEEiNS9_4plusIvEENS9_8equal_toIvEEiEE10hipError_tPvRmT2_T3_T4_T5_mT6_T7_P12ihipStream_tbENKUlT_T0_E_clISt17integral_constantIbLb0EES12_IbLb1EEEEDaSY_SZ_EUlSY_E_NS1_11comp_targetILNS1_3genE5ELNS1_11target_archE942ELNS1_3gpuE9ELNS1_3repE0EEENS1_30default_config_static_selectorELNS0_4arch9wavefront6targetE1EEEvT1_,comdat
	.protected	_ZN7rocprim17ROCPRIM_400000_NS6detail17trampoline_kernelINS0_14default_configENS1_27scan_by_key_config_selectorIiiEEZZNS1_16scan_by_key_implILNS1_25lookback_scan_determinismE0ELb1ES3_N6thrust23THRUST_200600_302600_NS6detail15normal_iteratorINS9_10device_ptrIiEEEENSB_INSC_IjEEEENSB_INSC_IfEEEEiNS9_4plusIvEENS9_8equal_toIvEEiEE10hipError_tPvRmT2_T3_T4_T5_mT6_T7_P12ihipStream_tbENKUlT_T0_E_clISt17integral_constantIbLb0EES12_IbLb1EEEEDaSY_SZ_EUlSY_E_NS1_11comp_targetILNS1_3genE5ELNS1_11target_archE942ELNS1_3gpuE9ELNS1_3repE0EEENS1_30default_config_static_selectorELNS0_4arch9wavefront6targetE1EEEvT1_ ; -- Begin function _ZN7rocprim17ROCPRIM_400000_NS6detail17trampoline_kernelINS0_14default_configENS1_27scan_by_key_config_selectorIiiEEZZNS1_16scan_by_key_implILNS1_25lookback_scan_determinismE0ELb1ES3_N6thrust23THRUST_200600_302600_NS6detail15normal_iteratorINS9_10device_ptrIiEEEENSB_INSC_IjEEEENSB_INSC_IfEEEEiNS9_4plusIvEENS9_8equal_toIvEEiEE10hipError_tPvRmT2_T3_T4_T5_mT6_T7_P12ihipStream_tbENKUlT_T0_E_clISt17integral_constantIbLb0EES12_IbLb1EEEEDaSY_SZ_EUlSY_E_NS1_11comp_targetILNS1_3genE5ELNS1_11target_archE942ELNS1_3gpuE9ELNS1_3repE0EEENS1_30default_config_static_selectorELNS0_4arch9wavefront6targetE1EEEvT1_
	.globl	_ZN7rocprim17ROCPRIM_400000_NS6detail17trampoline_kernelINS0_14default_configENS1_27scan_by_key_config_selectorIiiEEZZNS1_16scan_by_key_implILNS1_25lookback_scan_determinismE0ELb1ES3_N6thrust23THRUST_200600_302600_NS6detail15normal_iteratorINS9_10device_ptrIiEEEENSB_INSC_IjEEEENSB_INSC_IfEEEEiNS9_4plusIvEENS9_8equal_toIvEEiEE10hipError_tPvRmT2_T3_T4_T5_mT6_T7_P12ihipStream_tbENKUlT_T0_E_clISt17integral_constantIbLb0EES12_IbLb1EEEEDaSY_SZ_EUlSY_E_NS1_11comp_targetILNS1_3genE5ELNS1_11target_archE942ELNS1_3gpuE9ELNS1_3repE0EEENS1_30default_config_static_selectorELNS0_4arch9wavefront6targetE1EEEvT1_
	.p2align	8
	.type	_ZN7rocprim17ROCPRIM_400000_NS6detail17trampoline_kernelINS0_14default_configENS1_27scan_by_key_config_selectorIiiEEZZNS1_16scan_by_key_implILNS1_25lookback_scan_determinismE0ELb1ES3_N6thrust23THRUST_200600_302600_NS6detail15normal_iteratorINS9_10device_ptrIiEEEENSB_INSC_IjEEEENSB_INSC_IfEEEEiNS9_4plusIvEENS9_8equal_toIvEEiEE10hipError_tPvRmT2_T3_T4_T5_mT6_T7_P12ihipStream_tbENKUlT_T0_E_clISt17integral_constantIbLb0EES12_IbLb1EEEEDaSY_SZ_EUlSY_E_NS1_11comp_targetILNS1_3genE5ELNS1_11target_archE942ELNS1_3gpuE9ELNS1_3repE0EEENS1_30default_config_static_selectorELNS0_4arch9wavefront6targetE1EEEvT1_,@function
_ZN7rocprim17ROCPRIM_400000_NS6detail17trampoline_kernelINS0_14default_configENS1_27scan_by_key_config_selectorIiiEEZZNS1_16scan_by_key_implILNS1_25lookback_scan_determinismE0ELb1ES3_N6thrust23THRUST_200600_302600_NS6detail15normal_iteratorINS9_10device_ptrIiEEEENSB_INSC_IjEEEENSB_INSC_IfEEEEiNS9_4plusIvEENS9_8equal_toIvEEiEE10hipError_tPvRmT2_T3_T4_T5_mT6_T7_P12ihipStream_tbENKUlT_T0_E_clISt17integral_constantIbLb0EES12_IbLb1EEEEDaSY_SZ_EUlSY_E_NS1_11comp_targetILNS1_3genE5ELNS1_11target_archE942ELNS1_3gpuE9ELNS1_3repE0EEENS1_30default_config_static_selectorELNS0_4arch9wavefront6targetE1EEEvT1_: ; @_ZN7rocprim17ROCPRIM_400000_NS6detail17trampoline_kernelINS0_14default_configENS1_27scan_by_key_config_selectorIiiEEZZNS1_16scan_by_key_implILNS1_25lookback_scan_determinismE0ELb1ES3_N6thrust23THRUST_200600_302600_NS6detail15normal_iteratorINS9_10device_ptrIiEEEENSB_INSC_IjEEEENSB_INSC_IfEEEEiNS9_4plusIvEENS9_8equal_toIvEEiEE10hipError_tPvRmT2_T3_T4_T5_mT6_T7_P12ihipStream_tbENKUlT_T0_E_clISt17integral_constantIbLb0EES12_IbLb1EEEEDaSY_SZ_EUlSY_E_NS1_11comp_targetILNS1_3genE5ELNS1_11target_archE942ELNS1_3gpuE9ELNS1_3repE0EEENS1_30default_config_static_selectorELNS0_4arch9wavefront6targetE1EEEvT1_
; %bb.0:
	s_load_dword s74, s[0:1], 0x20
	s_load_dwordx4 s[64:67], s[0:1], 0x28
	s_load_dwordx2 s[72:73], s[0:1], 0x38
	v_cmp_ne_u32_e64 s[4:5], 0, v0
	v_cmp_eq_u32_e64 s[52:53], 0, v0
	s_and_saveexec_b64 s[2:3], s[52:53]
	s_cbranch_execz .LBB1745_4
; %bb.1:
	s_mov_b64 s[8:9], exec
	v_mbcnt_lo_u32_b32 v1, s8, 0
	v_mbcnt_hi_u32_b32 v1, s9, v1
	v_cmp_eq_u32_e32 vcc, 0, v1
                                        ; implicit-def: $vgpr2
	s_and_saveexec_b64 s[6:7], vcc
	s_cbranch_execz .LBB1745_3
; %bb.2:
	s_load_dwordx2 s[10:11], s[0:1], 0x68
	s_bcnt1_i32_b64 s8, s[8:9]
	v_mov_b32_e32 v2, 0
	v_mov_b32_e32 v3, s8
	s_waitcnt lgkmcnt(0)
	global_atomic_add v2, v2, v3, s[10:11] sc0
.LBB1745_3:
	s_or_b64 exec, exec, s[6:7]
	s_waitcnt vmcnt(0)
	v_readfirstlane_b32 s6, v2
	v_mov_b32_e32 v2, 0
	s_nop 0
	v_add_u32_e32 v1, s6, v1
	ds_write_b32 v2, v1
.LBB1745_4:
	s_or_b64 exec, exec, s[2:3]
	s_load_dwordx8 s[56:63], s[0:1], 0x0
	s_load_dword s2, s[0:1], 0x40
	s_load_dwordx4 s[68:71], s[0:1], 0x48
	v_mov_b32_e32 v7, 0
	s_waitcnt lgkmcnt(0)
	s_lshl_b64 s[54:55], s[58:59], 2
	s_barrier
	ds_read_b32 v6, v7
	s_add_u32 s0, s56, s54
	s_addc_u32 s1, s57, s55
	s_add_u32 s6, s60, s54
	s_mul_i32 s3, s73, s2
	s_mul_hi_u32 s8, s72, s2
	s_addc_u32 s7, s61, s55
	s_add_i32 s3, s8, s3
	s_movk_i32 s8, 0x1700
	s_waitcnt lgkmcnt(0)
	v_mul_lo_u32 v2, v6, s8
	v_mov_b32_e32 v3, v7
	v_lshlrev_b64 v[10:11], 2, v[2:3]
	s_mul_i32 s2, s72, s2
	v_lshl_add_u64 v[2:3], s[6:7], 0, v[10:11]
	s_add_u32 s6, s68, -1
	v_readfirstlane_b32 s67, v6
	v_lshl_add_u64 v[6:7], s[2:3], 0, v[6:7]
	s_addc_u32 s7, s69, -1
	v_cmp_le_u64_e64 s[2:3], s[6:7], v[6:7]
	v_lshl_add_u64 v[4:5], s[0:1], 0, v[10:11]
	s_mov_b64 s[0:1], -1
	s_and_b64 vcc, exec, s[2:3]
	s_mul_i32 s33, s6, 0xffffe900
	s_barrier
	s_barrier
	s_cbranch_vccz .LBB1745_75
; %bb.5:
	flat_load_dword v1, v[4:5]
	s_add_i32 s60, s33, s66
	v_cmp_gt_u32_e32 vcc, s60, v0
	s_waitcnt vmcnt(0) lgkmcnt(0)
	v_mov_b32_e32 v8, v1
	s_and_saveexec_b64 s[0:1], vcc
	s_cbranch_execz .LBB1745_7
; %bb.6:
	v_lshlrev_b32_e32 v6, 2, v0
	v_mov_b32_e32 v7, 0
	v_lshl_add_u64 v[6:7], v[4:5], 0, v[6:7]
	flat_load_dword v8, v[6:7]
.LBB1745_7:
	s_or_b64 exec, exec, s[0:1]
	v_or_b32_e32 v6, 0x100, v0
	v_cmp_gt_u32_e64 s[6:7], s60, v6
	v_mov_b32_e32 v9, v1
	s_and_saveexec_b64 s[0:1], s[6:7]
	s_cbranch_execz .LBB1745_9
; %bb.8:
	v_lshlrev_b32_e32 v6, 2, v0
	v_mov_b32_e32 v7, 0
	v_lshl_add_u64 v[6:7], v[4:5], 0, v[6:7]
	flat_load_dword v9, v[6:7] offset:1024
.LBB1745_9:
	s_or_b64 exec, exec, s[0:1]
	v_or_b32_e32 v6, 0x200, v0
	v_cmp_gt_u32_e64 s[8:9], s60, v6
	v_mov_b32_e32 v49, v1
	s_and_saveexec_b64 s[0:1], s[8:9]
	s_cbranch_execz .LBB1745_11
; %bb.10:
	v_lshlrev_b32_e32 v6, 2, v0
	v_mov_b32_e32 v7, 0
	v_lshl_add_u64 v[6:7], v[4:5], 0, v[6:7]
	flat_load_dword v49, v[6:7] offset:2048
.LBB1745_11:
	;; [unrolled: 12-line block ×3, first 2 shown]
	s_or_b64 exec, exec, s[0:1]
	v_or_b32_e32 v6, 0x400, v0
	v_cmp_gt_u32_e64 s[12:13], s60, v6
	v_lshlrev_b32_e32 v6, 2, v6
	v_mov_b32_e32 v7, v1
	s_and_saveexec_b64 s[0:1], s[12:13]
	s_cbranch_execz .LBB1745_15
; %bb.14:
	v_mov_b32_e32 v7, 0
	v_lshl_add_u64 v[12:13], v[4:5], 0, v[6:7]
	flat_load_dword v7, v[12:13]
.LBB1745_15:
	s_or_b64 exec, exec, s[0:1]
	v_or_b32_e32 v12, 0x500, v0
	v_cmp_gt_u32_e64 s[14:15], s60, v12
	v_lshlrev_b32_e32 v12, 2, v12
	v_mov_b32_e32 v13, v1
	s_and_saveexec_b64 s[0:1], s[14:15]
	s_cbranch_execz .LBB1745_17
; %bb.16:
	v_mov_b32_e32 v13, 0
	v_lshl_add_u64 v[14:15], v[4:5], 0, v[12:13]
	flat_load_dword v13, v[14:15]
.LBB1745_17:
	;; [unrolled: 12-line block ×18, first 2 shown]
	s_or_b64 exec, exec, s[0:1]
	v_or_b32_e32 v46, 0x1600, v0
	v_cmp_gt_u32_e64 s[50:51], s60, v46
	v_lshlrev_b32_e32 v46, 2, v46
	s_and_saveexec_b64 s[0:1], s[50:51]
	s_cbranch_execz .LBB1745_51
; %bb.50:
	v_mov_b32_e32 v47, 0
	v_lshl_add_u64 v[52:53], v[4:5], 0, v[46:47]
	flat_load_dword v1, v[52:53]
.LBB1745_51:
	s_or_b64 exec, exec, s[0:1]
	v_lshlrev_b32_e32 v48, 2, v0
	s_waitcnt vmcnt(0) lgkmcnt(0)
	ds_write2st64_b32 v48, v8, v9 offset1:4
	ds_write2st64_b32 v48, v49, v50 offset0:8 offset1:12
	ds_write2st64_b32 v48, v7, v13 offset0:16 offset1:20
	;; [unrolled: 1-line block ×10, first 2 shown]
	ds_write_b32 v48, v1 offset:22528
	s_waitcnt lgkmcnt(0)
	s_barrier
	flat_load_dword v1, v[4:5]
	s_movk_i32 s0, 0x58
	v_mad_u32_u24 v76, v0, s0, v48
	s_movk_i32 s0, 0xffa8
	v_mad_i32_i24 v7, v0, s0, v76
	s_movk_i32 s0, 0xff
	v_cmp_ne_u32_e64 s[0:1], s0, v0
	ds_read_b32 v78, v76
	ds_read2_b32 v[74:75], v76 offset0:1 offset1:2
	ds_read2_b32 v[72:73], v76 offset0:3 offset1:4
	;; [unrolled: 1-line block ×11, first 2 shown]
	s_waitcnt lgkmcnt(0)
	ds_write_b32 v7, v78 offset:24576
	s_waitcnt lgkmcnt(0)
	s_barrier
	s_and_saveexec_b64 s[56:57], s[0:1]
	s_cbranch_execz .LBB1745_53
; %bb.52:
	s_waitcnt vmcnt(0)
	ds_read_b32 v1, v48 offset:24580
.LBB1745_53:
	s_or_b64 exec, exec, s[56:57]
	v_mov_b32_e32 v49, 0
	s_waitcnt lgkmcnt(0)
	s_barrier
	s_waitcnt lgkmcnt(0)
                                        ; implicit-def: $vgpr50
	s_and_saveexec_b64 s[0:1], vcc
	s_cbranch_execz .LBB1745_76
; %bb.54:
	v_lshl_add_u64 v[50:51], v[2:3], 0, v[48:49]
	flat_load_dword v50, v[50:51]
	s_or_b64 exec, exec, s[0:1]
                                        ; implicit-def: $vgpr51
	s_and_saveexec_b64 s[0:1], s[6:7]
	s_cbranch_execnz .LBB1745_77
.LBB1745_55:
	s_or_b64 exec, exec, s[0:1]
                                        ; implicit-def: $vgpr52
	s_and_saveexec_b64 s[0:1], s[8:9]
	s_cbranch_execz .LBB1745_78
.LBB1745_56:
	v_mov_b32_e32 v49, 0
	v_lshl_add_u64 v[52:53], v[2:3], 0, v[48:49]
	flat_load_dword v52, v[52:53] offset:2048
	s_or_b64 exec, exec, s[0:1]
                                        ; implicit-def: $vgpr49
	s_and_saveexec_b64 s[0:1], s[10:11]
	s_cbranch_execnz .LBB1745_79
.LBB1745_57:
	s_or_b64 exec, exec, s[0:1]
                                        ; implicit-def: $vgpr7
	s_and_saveexec_b64 s[0:1], s[12:13]
	s_cbranch_execz .LBB1745_80
.LBB1745_58:
	v_mov_b32_e32 v7, 0
	v_lshl_add_u64 v[6:7], v[2:3], 0, v[6:7]
	flat_load_dword v7, v[6:7]
	s_or_b64 exec, exec, s[0:1]
                                        ; implicit-def: $vgpr6
	s_and_saveexec_b64 s[0:1], s[14:15]
	s_cbranch_execnz .LBB1745_81
.LBB1745_59:
	s_or_b64 exec, exec, s[0:1]
                                        ; implicit-def: $vgpr12
	s_and_saveexec_b64 s[0:1], s[16:17]
	s_cbranch_execz .LBB1745_82
.LBB1745_60:
	v_mov_b32_e32 v15, 0
	v_lshl_add_u64 v[12:13], v[2:3], 0, v[14:15]
	flat_load_dword v12, v[12:13]
	s_or_b64 exec, exec, s[0:1]
                                        ; implicit-def: $vgpr13
	s_and_saveexec_b64 s[0:1], s[18:19]
	s_cbranch_execnz .LBB1745_83
.LBB1745_61:
	s_or_b64 exec, exec, s[0:1]
                                        ; implicit-def: $vgpr14
	s_and_saveexec_b64 s[0:1], s[20:21]
	s_cbranch_execz .LBB1745_84
.LBB1745_62:
	v_mov_b32_e32 v19, 0
	v_lshl_add_u64 v[14:15], v[2:3], 0, v[18:19]
	flat_load_dword v14, v[14:15]
	s_or_b64 exec, exec, s[0:1]
                                        ; implicit-def: $vgpr15
	s_and_saveexec_b64 s[0:1], s[22:23]
	s_cbranch_execnz .LBB1745_85
.LBB1745_63:
	s_or_b64 exec, exec, s[0:1]
                                        ; implicit-def: $vgpr16
	s_and_saveexec_b64 s[0:1], s[24:25]
	s_cbranch_execz .LBB1745_86
.LBB1745_64:
	v_mov_b32_e32 v23, 0
	v_lshl_add_u64 v[16:17], v[2:3], 0, v[22:23]
	flat_load_dword v16, v[16:17]
	s_or_b64 exec, exec, s[0:1]
                                        ; implicit-def: $vgpr17
	s_and_saveexec_b64 s[0:1], s[26:27]
	s_cbranch_execnz .LBB1745_87
.LBB1745_65:
	s_or_b64 exec, exec, s[0:1]
                                        ; implicit-def: $vgpr18
	s_and_saveexec_b64 s[0:1], s[28:29]
	s_cbranch_execz .LBB1745_88
.LBB1745_66:
	v_mov_b32_e32 v27, 0
	v_lshl_add_u64 v[18:19], v[2:3], 0, v[26:27]
	flat_load_dword v18, v[18:19]
	s_or_b64 exec, exec, s[0:1]
                                        ; implicit-def: $vgpr19
	s_and_saveexec_b64 s[0:1], s[30:31]
	s_cbranch_execnz .LBB1745_89
.LBB1745_67:
	s_or_b64 exec, exec, s[0:1]
                                        ; implicit-def: $vgpr20
	s_and_saveexec_b64 s[0:1], s[34:35]
	s_cbranch_execz .LBB1745_90
.LBB1745_68:
	v_mov_b32_e32 v31, 0
	v_lshl_add_u64 v[20:21], v[2:3], 0, v[30:31]
	flat_load_dword v20, v[20:21]
	s_or_b64 exec, exec, s[0:1]
                                        ; implicit-def: $vgpr21
	s_and_saveexec_b64 s[0:1], s[36:37]
	s_cbranch_execnz .LBB1745_91
.LBB1745_69:
	s_or_b64 exec, exec, s[0:1]
                                        ; implicit-def: $vgpr22
	s_and_saveexec_b64 s[0:1], s[38:39]
	s_cbranch_execz .LBB1745_92
.LBB1745_70:
	v_mov_b32_e32 v35, 0
	v_lshl_add_u64 v[22:23], v[2:3], 0, v[34:35]
	flat_load_dword v22, v[22:23]
	s_or_b64 exec, exec, s[0:1]
                                        ; implicit-def: $vgpr23
	s_and_saveexec_b64 s[0:1], s[40:41]
	s_cbranch_execnz .LBB1745_93
.LBB1745_71:
	s_or_b64 exec, exec, s[0:1]
                                        ; implicit-def: $vgpr24
	s_and_saveexec_b64 s[0:1], s[42:43]
	s_cbranch_execz .LBB1745_94
.LBB1745_72:
	v_mov_b32_e32 v39, 0
	v_lshl_add_u64 v[24:25], v[2:3], 0, v[38:39]
	flat_load_dword v24, v[24:25]
	s_or_b64 exec, exec, s[0:1]
                                        ; implicit-def: $vgpr25
	s_and_saveexec_b64 s[0:1], s[44:45]
	s_cbranch_execnz .LBB1745_95
.LBB1745_73:
	s_or_b64 exec, exec, s[0:1]
                                        ; implicit-def: $vgpr26
	s_and_saveexec_b64 s[0:1], s[46:47]
	s_cbranch_execz .LBB1745_96
.LBB1745_74:
	v_mov_b32_e32 v43, 0
	v_lshl_add_u64 v[26:27], v[2:3], 0, v[42:43]
	flat_load_dword v26, v[26:27]
	s_or_b64 exec, exec, s[0:1]
                                        ; implicit-def: $vgpr27
	s_and_saveexec_b64 s[0:1], s[48:49]
	s_cbranch_execz .LBB1745_98
	s_branch .LBB1745_97
.LBB1745_75:
	s_mov_b64 s[10:11], 0
                                        ; implicit-def: $sgpr8_sgpr9
                                        ; implicit-def: $vgpr6
                                        ; implicit-def: $vgpr12_vgpr13
                                        ; implicit-def: $vgpr14_vgpr15
                                        ; implicit-def: $vgpr16_vgpr17
                                        ; implicit-def: $vgpr18_vgpr19
                                        ; implicit-def: $vgpr20_vgpr21
                                        ; implicit-def: $vgpr22_vgpr23
                                        ; implicit-def: $vgpr24_vgpr25
                                        ; implicit-def: $vgpr26_vgpr27
                                        ; implicit-def: $vgpr28_vgpr29
                                        ; implicit-def: $vgpr30_vgpr31
                                        ; implicit-def: $vgpr32_vgpr33
                                        ; implicit-def: $vgpr34_vgpr35
                                        ; implicit-def: $vgpr36_vgpr37
                                        ; implicit-def: $vgpr38_vgpr39
                                        ; implicit-def: $vgpr40_vgpr41
                                        ; implicit-def: $vgpr42_vgpr43
                                        ; implicit-def: $vgpr44_vgpr45
                                        ; implicit-def: $vgpr46_vgpr47
                                        ; implicit-def: $vgpr48_vgpr49
                                        ; implicit-def: $vgpr50_vgpr51
                                        ; implicit-def: $vgpr52_vgpr53
                                        ; implicit-def: $vgpr54_vgpr55
                                        ; implicit-def: $sgpr6_sgpr7
	s_and_b64 vcc, exec, s[0:1]
	v_lshlrev_b32_e32 v56, 2, v0
	s_cbranch_vccz .LBB1745_152
	s_branch .LBB1745_147
.LBB1745_76:
	s_or_b64 exec, exec, s[0:1]
                                        ; implicit-def: $vgpr51
	s_and_saveexec_b64 s[0:1], s[6:7]
	s_cbranch_execz .LBB1745_55
.LBB1745_77:
	v_mov_b32_e32 v49, 0
	v_lshl_add_u64 v[52:53], v[2:3], 0, v[48:49]
	flat_load_dword v51, v[52:53] offset:1024
	s_or_b64 exec, exec, s[0:1]
                                        ; implicit-def: $vgpr52
	s_and_saveexec_b64 s[0:1], s[8:9]
	s_cbranch_execnz .LBB1745_56
.LBB1745_78:
	s_or_b64 exec, exec, s[0:1]
                                        ; implicit-def: $vgpr49
	s_and_saveexec_b64 s[0:1], s[10:11]
	s_cbranch_execz .LBB1745_57
.LBB1745_79:
	v_mov_b32_e32 v49, 0
	v_lshl_add_u64 v[54:55], v[2:3], 0, v[48:49]
	flat_load_dword v49, v[54:55] offset:3072
	s_or_b64 exec, exec, s[0:1]
                                        ; implicit-def: $vgpr7
	s_and_saveexec_b64 s[0:1], s[12:13]
	s_cbranch_execnz .LBB1745_58
.LBB1745_80:
	s_or_b64 exec, exec, s[0:1]
                                        ; implicit-def: $vgpr6
	s_and_saveexec_b64 s[0:1], s[14:15]
	s_cbranch_execz .LBB1745_59
.LBB1745_81:
	v_mov_b32_e32 v13, 0
	v_lshl_add_u64 v[12:13], v[2:3], 0, v[12:13]
	flat_load_dword v6, v[12:13]
	s_or_b64 exec, exec, s[0:1]
                                        ; implicit-def: $vgpr12
	s_and_saveexec_b64 s[0:1], s[16:17]
	s_cbranch_execnz .LBB1745_60
.LBB1745_82:
	s_or_b64 exec, exec, s[0:1]
                                        ; implicit-def: $vgpr13
	s_and_saveexec_b64 s[0:1], s[18:19]
	s_cbranch_execz .LBB1745_61
.LBB1745_83:
	v_mov_b32_e32 v17, 0
	v_lshl_add_u64 v[14:15], v[2:3], 0, v[16:17]
	flat_load_dword v13, v[14:15]
	s_or_b64 exec, exec, s[0:1]
                                        ; implicit-def: $vgpr14
	s_and_saveexec_b64 s[0:1], s[20:21]
	s_cbranch_execnz .LBB1745_62
.LBB1745_84:
	s_or_b64 exec, exec, s[0:1]
                                        ; implicit-def: $vgpr15
	s_and_saveexec_b64 s[0:1], s[22:23]
	s_cbranch_execz .LBB1745_63
.LBB1745_85:
	v_mov_b32_e32 v21, 0
	v_lshl_add_u64 v[16:17], v[2:3], 0, v[20:21]
	flat_load_dword v15, v[16:17]
	s_or_b64 exec, exec, s[0:1]
                                        ; implicit-def: $vgpr16
	s_and_saveexec_b64 s[0:1], s[24:25]
	s_cbranch_execnz .LBB1745_64
.LBB1745_86:
	s_or_b64 exec, exec, s[0:1]
                                        ; implicit-def: $vgpr17
	s_and_saveexec_b64 s[0:1], s[26:27]
	s_cbranch_execz .LBB1745_65
.LBB1745_87:
	v_mov_b32_e32 v25, 0
	v_lshl_add_u64 v[18:19], v[2:3], 0, v[24:25]
	flat_load_dword v17, v[18:19]
	s_or_b64 exec, exec, s[0:1]
                                        ; implicit-def: $vgpr18
	s_and_saveexec_b64 s[0:1], s[28:29]
	s_cbranch_execnz .LBB1745_66
.LBB1745_88:
	s_or_b64 exec, exec, s[0:1]
                                        ; implicit-def: $vgpr19
	s_and_saveexec_b64 s[0:1], s[30:31]
	s_cbranch_execz .LBB1745_67
.LBB1745_89:
	v_mov_b32_e32 v29, 0
	v_lshl_add_u64 v[20:21], v[2:3], 0, v[28:29]
	flat_load_dword v19, v[20:21]
	s_or_b64 exec, exec, s[0:1]
                                        ; implicit-def: $vgpr20
	s_and_saveexec_b64 s[0:1], s[34:35]
	s_cbranch_execnz .LBB1745_68
.LBB1745_90:
	s_or_b64 exec, exec, s[0:1]
                                        ; implicit-def: $vgpr21
	s_and_saveexec_b64 s[0:1], s[36:37]
	s_cbranch_execz .LBB1745_69
.LBB1745_91:
	v_mov_b32_e32 v33, 0
	v_lshl_add_u64 v[22:23], v[2:3], 0, v[32:33]
	flat_load_dword v21, v[22:23]
	s_or_b64 exec, exec, s[0:1]
                                        ; implicit-def: $vgpr22
	s_and_saveexec_b64 s[0:1], s[38:39]
	s_cbranch_execnz .LBB1745_70
.LBB1745_92:
	s_or_b64 exec, exec, s[0:1]
                                        ; implicit-def: $vgpr23
	s_and_saveexec_b64 s[0:1], s[40:41]
	s_cbranch_execz .LBB1745_71
.LBB1745_93:
	v_mov_b32_e32 v37, 0
	v_lshl_add_u64 v[24:25], v[2:3], 0, v[36:37]
	flat_load_dword v23, v[24:25]
	s_or_b64 exec, exec, s[0:1]
                                        ; implicit-def: $vgpr24
	s_and_saveexec_b64 s[0:1], s[42:43]
	s_cbranch_execnz .LBB1745_72
.LBB1745_94:
	s_or_b64 exec, exec, s[0:1]
                                        ; implicit-def: $vgpr25
	s_and_saveexec_b64 s[0:1], s[44:45]
	s_cbranch_execz .LBB1745_73
.LBB1745_95:
	v_mov_b32_e32 v41, 0
	v_lshl_add_u64 v[26:27], v[2:3], 0, v[40:41]
	flat_load_dword v25, v[26:27]
	s_or_b64 exec, exec, s[0:1]
                                        ; implicit-def: $vgpr26
	s_and_saveexec_b64 s[0:1], s[46:47]
	s_cbranch_execnz .LBB1745_74
.LBB1745_96:
	s_or_b64 exec, exec, s[0:1]
                                        ; implicit-def: $vgpr27
	s_and_saveexec_b64 s[0:1], s[48:49]
	s_cbranch_execz .LBB1745_98
.LBB1745_97:
	v_mov_b32_e32 v45, 0
	v_lshl_add_u64 v[28:29], v[2:3], 0, v[44:45]
	flat_load_dword v27, v[28:29]
.LBB1745_98:
	s_or_b64 exec, exec, s[0:1]
	v_mul_u32_u24_e32 v77, 23, v0
                                        ; implicit-def: $vgpr28
	s_and_saveexec_b64 s[0:1], s[50:51]
	s_cbranch_execz .LBB1745_100
; %bb.99:
	v_mov_b32_e32 v47, 0
	v_lshl_add_u64 v[28:29], v[2:3], 0, v[46:47]
	flat_load_dword v28, v[28:29]
.LBB1745_100:
	s_or_b64 exec, exec, s[0:1]
	s_waitcnt vmcnt(0) lgkmcnt(0)
	ds_write2st64_b32 v48, v50, v51 offset1:4
	ds_write2st64_b32 v48, v52, v49 offset0:8 offset1:12
	ds_write2st64_b32 v48, v7, v6 offset0:16 offset1:20
	ds_write2st64_b32 v48, v12, v13 offset0:24 offset1:28
	ds_write2st64_b32 v48, v14, v15 offset0:32 offset1:36
	ds_write2st64_b32 v48, v16, v17 offset0:40 offset1:44
	ds_write2st64_b32 v48, v18, v19 offset0:48 offset1:52
	ds_write2st64_b32 v48, v20, v21 offset0:56 offset1:60
	ds_write2st64_b32 v48, v22, v23 offset0:64 offset1:68
	ds_write2st64_b32 v48, v24, v25 offset0:72 offset1:76
	ds_write2st64_b32 v48, v26, v27 offset0:80 offset1:84
	ds_write_b32 v48, v28 offset:22528
	v_mov_b64_e32 v[12:13], 0
	v_cmp_gt_u32_e32 vcc, s60, v77
	s_mov_b64 s[10:11], 0
	s_mov_b64 s[0:1], 0
	v_mov_b64_e32 v[14:15], v[12:13]
	v_mov_b64_e32 v[16:17], v[12:13]
	;; [unrolled: 1-line block ×21, first 2 shown]
	s_waitcnt lgkmcnt(0)
	s_barrier
	s_waitcnt lgkmcnt(0)
                                        ; implicit-def: $sgpr8_sgpr9
                                        ; implicit-def: $vgpr6
	s_and_saveexec_b64 s[6:7], vcc
	s_cbranch_execz .LBB1745_146
; %bb.101:
	ds_read_b32 v6, v76
	v_mov_b32_e32 v12, s74
	v_cmp_eq_u32_e32 vcc, v78, v74
	v_add_u32_e32 v7, 1, v77
	v_mov_b64_e32 v[14:15], 0
	s_waitcnt lgkmcnt(0)
	v_cndmask_b32_e32 v12, v12, v6, vcc
	v_cmp_ne_u32_e32 vcc, v78, v74
	s_mov_b64 s[12:13], 0
	v_mov_b64_e32 v[16:17], v[14:15]
	v_cndmask_b32_e64 v13, 0, 1, vcc
	v_cmp_gt_u32_e32 vcc, s60, v7
	v_mov_b64_e32 v[18:19], v[14:15]
	v_mov_b64_e32 v[20:21], v[14:15]
	;; [unrolled: 1-line block ×19, first 2 shown]
                                        ; implicit-def: $sgpr14_sgpr15
                                        ; implicit-def: $vgpr6
	s_and_saveexec_b64 s[8:9], vcc
	s_cbranch_execz .LBB1745_145
; %bb.102:
	ds_read2_b32 v[6:7], v76 offset0:1 offset1:2
	v_mov_b32_e32 v14, s74
	v_cmp_eq_u32_e32 vcc, v74, v75
	v_add_u32_e32 v16, 2, v77
	s_mov_b64 s[14:15], 0
	s_waitcnt lgkmcnt(0)
	v_cndmask_b32_e32 v14, v14, v6, vcc
	v_cmp_ne_u32_e32 vcc, v74, v75
                                        ; implicit-def: $sgpr16_sgpr17
                                        ; implicit-def: $vgpr6
	s_nop 1
	v_cndmask_b32_e64 v15, 0, 1, vcc
	v_cmp_gt_u32_e32 vcc, s60, v16
	v_mov_b64_e32 v[16:17], 0
	v_mov_b64_e32 v[18:19], v[16:17]
	;; [unrolled: 1-line block ×20, first 2 shown]
	s_and_saveexec_b64 s[10:11], vcc
	s_cbranch_execz .LBB1745_144
; %bb.103:
	v_mov_b32_e32 v16, s74
	v_cmp_eq_u32_e32 vcc, v75, v72
	v_add_u32_e32 v6, 3, v77
	v_mov_b64_e32 v[18:19], 0
	v_cndmask_b32_e32 v16, v16, v7, vcc
	v_cmp_ne_u32_e32 vcc, v75, v72
	s_mov_b64 s[16:17], 0
	v_mov_b64_e32 v[20:21], v[18:19]
	v_cndmask_b32_e64 v17, 0, 1, vcc
	v_cmp_gt_u32_e32 vcc, s60, v6
	v_mov_b64_e32 v[22:23], v[18:19]
	v_mov_b64_e32 v[24:25], v[18:19]
	;; [unrolled: 1-line block ×17, first 2 shown]
                                        ; implicit-def: $sgpr18_sgpr19
                                        ; implicit-def: $vgpr6
	s_and_saveexec_b64 s[12:13], vcc
	s_cbranch_execz .LBB1745_143
; %bb.104:
	ds_read2_b32 v[6:7], v76 offset0:3 offset1:4
	v_mov_b32_e32 v18, s74
	v_cmp_eq_u32_e32 vcc, v72, v73
	v_add_u32_e32 v20, 4, v77
	s_mov_b64 s[18:19], 0
	s_waitcnt lgkmcnt(0)
	v_cndmask_b32_e32 v18, v18, v6, vcc
	v_cmp_ne_u32_e32 vcc, v72, v73
                                        ; implicit-def: $sgpr20_sgpr21
                                        ; implicit-def: $vgpr6
	s_nop 1
	v_cndmask_b32_e64 v19, 0, 1, vcc
	v_cmp_gt_u32_e32 vcc, s60, v20
	v_mov_b64_e32 v[20:21], 0
	v_mov_b64_e32 v[22:23], v[20:21]
	;; [unrolled: 1-line block ×18, first 2 shown]
	s_and_saveexec_b64 s[14:15], vcc
	s_cbranch_execz .LBB1745_142
; %bb.105:
	v_mov_b32_e32 v20, s74
	v_cmp_eq_u32_e32 vcc, v73, v70
	v_add_u32_e32 v6, 5, v77
	v_mov_b64_e32 v[22:23], 0
	v_cndmask_b32_e32 v20, v20, v7, vcc
	v_cmp_ne_u32_e32 vcc, v73, v70
	s_mov_b64 s[20:21], 0
	v_mov_b64_e32 v[24:25], v[22:23]
	v_cndmask_b32_e64 v21, 0, 1, vcc
	v_cmp_gt_u32_e32 vcc, s60, v6
	v_mov_b64_e32 v[26:27], v[22:23]
	v_mov_b64_e32 v[28:29], v[22:23]
	;; [unrolled: 1-line block ×15, first 2 shown]
                                        ; implicit-def: $sgpr22_sgpr23
                                        ; implicit-def: $vgpr6
	s_and_saveexec_b64 s[16:17], vcc
	s_cbranch_execz .LBB1745_141
; %bb.106:
	ds_read2_b32 v[6:7], v76 offset0:5 offset1:6
	v_mov_b32_e32 v22, s74
	v_cmp_eq_u32_e32 vcc, v70, v71
	v_add_u32_e32 v24, 6, v77
	s_mov_b64 s[22:23], 0
	s_waitcnt lgkmcnt(0)
	v_cndmask_b32_e32 v22, v22, v6, vcc
	v_cmp_ne_u32_e32 vcc, v70, v71
                                        ; implicit-def: $sgpr24_sgpr25
                                        ; implicit-def: $vgpr6
	s_nop 1
	v_cndmask_b32_e64 v23, 0, 1, vcc
	v_cmp_gt_u32_e32 vcc, s60, v24
	v_mov_b64_e32 v[24:25], 0
	v_mov_b64_e32 v[26:27], v[24:25]
	;; [unrolled: 1-line block ×16, first 2 shown]
	s_and_saveexec_b64 s[18:19], vcc
	s_cbranch_execz .LBB1745_140
; %bb.107:
	v_mov_b32_e32 v24, s74
	v_cmp_eq_u32_e32 vcc, v71, v68
	v_add_u32_e32 v6, 7, v77
	v_mov_b64_e32 v[26:27], 0
	v_cndmask_b32_e32 v24, v24, v7, vcc
	v_cmp_ne_u32_e32 vcc, v71, v68
	s_mov_b64 s[24:25], 0
	v_mov_b64_e32 v[28:29], v[26:27]
	v_cndmask_b32_e64 v25, 0, 1, vcc
	v_cmp_gt_u32_e32 vcc, s60, v6
	v_mov_b64_e32 v[30:31], v[26:27]
	v_mov_b64_e32 v[32:33], v[26:27]
	;; [unrolled: 1-line block ×13, first 2 shown]
                                        ; implicit-def: $sgpr26_sgpr27
                                        ; implicit-def: $vgpr6
	s_and_saveexec_b64 s[20:21], vcc
	s_cbranch_execz .LBB1745_139
; %bb.108:
	ds_read2_b32 v[6:7], v76 offset0:7 offset1:8
	v_mov_b32_e32 v26, s74
	v_cmp_eq_u32_e32 vcc, v68, v69
	v_add_u32_e32 v28, 8, v77
	s_mov_b64 s[26:27], 0
	s_waitcnt lgkmcnt(0)
	v_cndmask_b32_e32 v26, v26, v6, vcc
	v_cmp_ne_u32_e32 vcc, v68, v69
                                        ; implicit-def: $sgpr28_sgpr29
                                        ; implicit-def: $vgpr6
	s_nop 1
	v_cndmask_b32_e64 v27, 0, 1, vcc
	v_cmp_gt_u32_e32 vcc, s60, v28
	v_mov_b64_e32 v[28:29], 0
	v_mov_b64_e32 v[30:31], v[28:29]
	;; [unrolled: 1-line block ×14, first 2 shown]
	s_and_saveexec_b64 s[22:23], vcc
	s_cbranch_execz .LBB1745_138
; %bb.109:
	v_mov_b32_e32 v28, s74
	v_cmp_eq_u32_e32 vcc, v69, v66
	v_add_u32_e32 v6, 9, v77
	v_mov_b64_e32 v[30:31], 0
	v_cndmask_b32_e32 v28, v28, v7, vcc
	v_cmp_ne_u32_e32 vcc, v69, v66
	s_mov_b64 s[28:29], 0
	v_mov_b64_e32 v[32:33], v[30:31]
	v_cndmask_b32_e64 v29, 0, 1, vcc
	v_cmp_gt_u32_e32 vcc, s60, v6
	v_mov_b64_e32 v[34:35], v[30:31]
	v_mov_b64_e32 v[36:37], v[30:31]
	;; [unrolled: 1-line block ×11, first 2 shown]
                                        ; implicit-def: $sgpr30_sgpr31
                                        ; implicit-def: $vgpr6
	s_and_saveexec_b64 s[24:25], vcc
	s_cbranch_execz .LBB1745_137
; %bb.110:
	ds_read2_b32 v[6:7], v76 offset0:9 offset1:10
	v_mov_b32_e32 v30, s74
	v_cmp_eq_u32_e32 vcc, v66, v67
	v_add_u32_e32 v32, 10, v77
	s_mov_b64 s[30:31], 0
	s_waitcnt lgkmcnt(0)
	v_cndmask_b32_e32 v30, v30, v6, vcc
	v_cmp_ne_u32_e32 vcc, v66, v67
                                        ; implicit-def: $sgpr34_sgpr35
                                        ; implicit-def: $vgpr6
	s_nop 1
	v_cndmask_b32_e64 v31, 0, 1, vcc
	v_cmp_gt_u32_e32 vcc, s60, v32
	v_mov_b64_e32 v[32:33], 0
	v_mov_b64_e32 v[34:35], v[32:33]
	;; [unrolled: 1-line block ×12, first 2 shown]
	s_and_saveexec_b64 s[26:27], vcc
	s_cbranch_execz .LBB1745_136
; %bb.111:
	v_mov_b32_e32 v32, s74
	v_cmp_eq_u32_e32 vcc, v67, v64
	v_add_u32_e32 v6, 11, v77
	v_mov_b64_e32 v[34:35], 0
	v_cndmask_b32_e32 v32, v32, v7, vcc
	v_cmp_ne_u32_e32 vcc, v67, v64
	s_mov_b64 s[34:35], 0
	v_mov_b64_e32 v[36:37], v[34:35]
	v_cndmask_b32_e64 v33, 0, 1, vcc
	v_cmp_gt_u32_e32 vcc, s60, v6
	v_mov_b64_e32 v[38:39], v[34:35]
	v_mov_b64_e32 v[40:41], v[34:35]
	;; [unrolled: 1-line block ×9, first 2 shown]
                                        ; implicit-def: $sgpr36_sgpr37
                                        ; implicit-def: $vgpr6
	s_and_saveexec_b64 s[28:29], vcc
	s_cbranch_execz .LBB1745_135
; %bb.112:
	ds_read2_b32 v[6:7], v76 offset0:11 offset1:12
	v_mov_b32_e32 v34, s74
	v_cmp_eq_u32_e32 vcc, v64, v65
	v_add_u32_e32 v36, 12, v77
	s_mov_b64 s[36:37], 0
	s_waitcnt lgkmcnt(0)
	v_cndmask_b32_e32 v34, v34, v6, vcc
	v_cmp_ne_u32_e32 vcc, v64, v65
                                        ; implicit-def: $sgpr38_sgpr39
                                        ; implicit-def: $vgpr6
	s_nop 1
	v_cndmask_b32_e64 v35, 0, 1, vcc
	v_cmp_gt_u32_e32 vcc, s60, v36
	v_mov_b64_e32 v[36:37], 0
	v_mov_b64_e32 v[38:39], v[36:37]
	;; [unrolled: 1-line block ×10, first 2 shown]
	s_and_saveexec_b64 s[30:31], vcc
	s_cbranch_execz .LBB1745_134
; %bb.113:
	v_mov_b32_e32 v36, s74
	v_cmp_eq_u32_e32 vcc, v65, v62
	v_add_u32_e32 v6, 13, v77
	v_mov_b64_e32 v[38:39], 0
	v_cndmask_b32_e32 v36, v36, v7, vcc
	v_cmp_ne_u32_e32 vcc, v65, v62
	s_mov_b64 s[38:39], 0
	v_mov_b64_e32 v[40:41], v[38:39]
	v_cndmask_b32_e64 v37, 0, 1, vcc
	v_cmp_gt_u32_e32 vcc, s60, v6
	v_mov_b64_e32 v[42:43], v[38:39]
	v_mov_b64_e32 v[44:45], v[38:39]
	;; [unrolled: 1-line block ×7, first 2 shown]
                                        ; implicit-def: $sgpr40_sgpr41
                                        ; implicit-def: $vgpr6
	s_and_saveexec_b64 s[34:35], vcc
	s_cbranch_execz .LBB1745_133
; %bb.114:
	ds_read2_b32 v[6:7], v76 offset0:13 offset1:14
	v_mov_b32_e32 v38, s74
	v_cmp_eq_u32_e32 vcc, v62, v63
	v_add_u32_e32 v40, 14, v77
	s_mov_b64 s[40:41], 0
	s_waitcnt lgkmcnt(0)
	v_cndmask_b32_e32 v38, v38, v6, vcc
	v_cmp_ne_u32_e32 vcc, v62, v63
                                        ; implicit-def: $sgpr42_sgpr43
                                        ; implicit-def: $vgpr6
	s_nop 1
	v_cndmask_b32_e64 v39, 0, 1, vcc
	v_cmp_gt_u32_e32 vcc, s60, v40
	v_mov_b64_e32 v[40:41], 0
	v_mov_b64_e32 v[42:43], v[40:41]
	;; [unrolled: 1-line block ×8, first 2 shown]
	s_and_saveexec_b64 s[36:37], vcc
	s_cbranch_execz .LBB1745_132
; %bb.115:
	v_mov_b32_e32 v40, s74
	v_cmp_eq_u32_e32 vcc, v63, v60
	v_add_u32_e32 v6, 15, v77
	v_mov_b64_e32 v[42:43], 0
	v_cndmask_b32_e32 v40, v40, v7, vcc
	v_cmp_ne_u32_e32 vcc, v63, v60
	s_mov_b64 s[42:43], 0
	v_mov_b64_e32 v[44:45], v[42:43]
	v_cndmask_b32_e64 v41, 0, 1, vcc
	v_cmp_gt_u32_e32 vcc, s60, v6
	v_mov_b64_e32 v[46:47], v[42:43]
	v_mov_b64_e32 v[48:49], v[42:43]
	;; [unrolled: 1-line block ×5, first 2 shown]
                                        ; implicit-def: $sgpr44_sgpr45
                                        ; implicit-def: $vgpr6
	s_and_saveexec_b64 s[38:39], vcc
	s_cbranch_execz .LBB1745_131
; %bb.116:
	ds_read2_b32 v[6:7], v76 offset0:15 offset1:16
	v_mov_b32_e32 v42, s74
	v_cmp_eq_u32_e32 vcc, v60, v61
	v_add_u32_e32 v44, 16, v77
	s_mov_b64 s[44:45], 0
	s_waitcnt lgkmcnt(0)
	v_cndmask_b32_e32 v42, v42, v6, vcc
	v_cmp_ne_u32_e32 vcc, v60, v61
                                        ; implicit-def: $sgpr46_sgpr47
                                        ; implicit-def: $vgpr6
	s_nop 1
	v_cndmask_b32_e64 v43, 0, 1, vcc
	v_cmp_gt_u32_e32 vcc, s60, v44
	v_mov_b64_e32 v[44:45], 0
	v_mov_b64_e32 v[46:47], v[44:45]
	v_mov_b64_e32 v[48:49], v[44:45]
	v_mov_b64_e32 v[50:51], v[44:45]
	v_mov_b64_e32 v[52:53], v[44:45]
	v_mov_b64_e32 v[54:55], v[44:45]
	s_and_saveexec_b64 s[40:41], vcc
	s_cbranch_execz .LBB1745_130
; %bb.117:
	v_mov_b32_e32 v44, s74
	v_cmp_eq_u32_e32 vcc, v61, v58
	v_add_u32_e32 v6, 17, v77
	v_mov_b64_e32 v[46:47], 0
	v_cndmask_b32_e32 v44, v44, v7, vcc
	v_cmp_ne_u32_e32 vcc, v61, v58
	s_mov_b64 s[46:47], 0
	v_mov_b64_e32 v[48:49], v[46:47]
	v_cndmask_b32_e64 v45, 0, 1, vcc
	v_cmp_gt_u32_e32 vcc, s60, v6
	v_mov_b64_e32 v[50:51], v[46:47]
	v_mov_b64_e32 v[52:53], v[46:47]
	;; [unrolled: 1-line block ×3, first 2 shown]
                                        ; implicit-def: $sgpr48_sgpr49
                                        ; implicit-def: $vgpr6
	s_and_saveexec_b64 s[42:43], vcc
	s_cbranch_execz .LBB1745_129
; %bb.118:
	ds_read2_b32 v[6:7], v76 offset0:17 offset1:18
	v_mov_b32_e32 v46, s74
	v_cmp_eq_u32_e32 vcc, v58, v59
	v_add_u32_e32 v48, 18, v77
	s_mov_b64 s[48:49], 0
	s_waitcnt lgkmcnt(0)
	v_cndmask_b32_e32 v46, v46, v6, vcc
	v_cmp_ne_u32_e32 vcc, v58, v59
                                        ; implicit-def: $sgpr50_sgpr51
                                        ; implicit-def: $vgpr6
	s_nop 1
	v_cndmask_b32_e64 v47, 0, 1, vcc
	v_cmp_gt_u32_e32 vcc, s60, v48
	v_mov_b64_e32 v[48:49], 0
	v_mov_b64_e32 v[50:51], v[48:49]
	;; [unrolled: 1-line block ×4, first 2 shown]
	s_and_saveexec_b64 s[44:45], vcc
	s_cbranch_execz .LBB1745_128
; %bb.119:
	v_mov_b32_e32 v48, s74
	v_cmp_eq_u32_e32 vcc, v59, v56
	v_add_u32_e32 v6, 19, v77
	v_mov_b64_e32 v[50:51], 0
	v_cndmask_b32_e32 v48, v48, v7, vcc
	v_cmp_ne_u32_e32 vcc, v59, v56
	s_mov_b64 s[50:51], 0
	v_mov_b64_e32 v[52:53], v[50:51]
	v_cndmask_b32_e64 v49, 0, 1, vcc
	v_cmp_gt_u32_e32 vcc, s60, v6
	v_mov_b64_e32 v[54:55], v[50:51]
                                        ; implicit-def: $sgpr56_sgpr57
                                        ; implicit-def: $vgpr6
	s_and_saveexec_b64 s[46:47], vcc
	s_cbranch_execz .LBB1745_127
; %bb.120:
	ds_read2_b32 v[6:7], v76 offset0:19 offset1:20
	v_mov_b32_e32 v50, s74
	v_cmp_eq_u32_e32 vcc, v56, v57
	v_add_u32_e32 v52, 20, v77
	s_mov_b64 s[56:57], 0
	s_waitcnt lgkmcnt(0)
	v_cndmask_b32_e32 v50, v50, v6, vcc
	v_cmp_ne_u32_e32 vcc, v56, v57
                                        ; implicit-def: $sgpr58_sgpr59
                                        ; implicit-def: $vgpr6
	s_nop 1
	v_cndmask_b32_e64 v51, 0, 1, vcc
	v_cmp_gt_u32_e32 vcc, s60, v52
	v_mov_b64_e32 v[52:53], 0
	v_mov_b64_e32 v[54:55], v[52:53]
	s_and_saveexec_b64 s[48:49], vcc
	s_cbranch_execz .LBB1745_126
; %bb.121:
	v_mov_b32_e32 v52, s74
	v_cmp_eq_u32_e32 vcc, v57, v8
	v_add_u32_e32 v6, 21, v77
	v_mov_b64_e32 v[54:55], 0
	v_cndmask_b32_e32 v52, v52, v7, vcc
	v_cmp_ne_u32_e32 vcc, v57, v8
                                        ; implicit-def: $sgpr58_sgpr59
	s_nop 1
	v_cndmask_b32_e64 v53, 0, 1, vcc
	v_cmp_gt_u32_e32 vcc, s60, v6
                                        ; implicit-def: $vgpr6
	s_and_saveexec_b64 s[50:51], vcc
	s_cbranch_execz .LBB1745_125
; %bb.122:
	ds_read2_b32 v[6:7], v76 offset0:21 offset1:22
	v_mov_b32_e32 v54, s74
	v_cmp_eq_u32_e32 vcc, v8, v9
	v_add_u32_e32 v56, 22, v77
                                        ; implicit-def: $sgpr58_sgpr59
	s_waitcnt lgkmcnt(0)
	v_cndmask_b32_e32 v54, v54, v6, vcc
	v_cmp_ne_u32_e32 vcc, v8, v9
                                        ; implicit-def: $vgpr6
	s_nop 1
	v_cndmask_b32_e64 v55, 0, 1, vcc
	v_cmp_gt_u32_e32 vcc, s60, v56
	s_and_saveexec_b64 s[60:61], vcc
	s_xor_b64 s[60:61], exec, s[60:61]
; %bb.123:
	v_mov_b32_e32 v6, s74
	v_cmp_ne_u32_e32 vcc, v9, v1
	s_mov_b64 s[56:57], exec
	s_and_b64 s[58:59], vcc, exec
	v_cndmask_b32_e32 v6, v7, v6, vcc
; %bb.124:
	s_or_b64 exec, exec, s[60:61]
	s_and_b64 s[58:59], s[58:59], exec
	s_and_b64 s[56:57], s[56:57], exec
.LBB1745_125:
	s_or_b64 exec, exec, s[50:51]
	s_and_b64 s[58:59], s[58:59], exec
	s_and_b64 s[50:51], s[56:57], exec
.LBB1745_126:
	s_or_b64 exec, exec, s[48:49]
	s_and_b64 s[56:57], s[58:59], exec
	s_and_b64 s[48:49], s[50:51], exec
.LBB1745_127:
	s_or_b64 exec, exec, s[46:47]
	s_and_b64 s[50:51], s[56:57], exec
	s_and_b64 s[46:47], s[48:49], exec
.LBB1745_128:
	s_or_b64 exec, exec, s[44:45]
	s_and_b64 s[48:49], s[50:51], exec
	s_and_b64 s[44:45], s[46:47], exec
.LBB1745_129:
	s_or_b64 exec, exec, s[42:43]
	s_and_b64 s[46:47], s[48:49], exec
	s_and_b64 s[42:43], s[44:45], exec
.LBB1745_130:
	s_or_b64 exec, exec, s[40:41]
	s_and_b64 s[44:45], s[46:47], exec
	s_and_b64 s[40:41], s[42:43], exec
.LBB1745_131:
	s_or_b64 exec, exec, s[38:39]
	s_and_b64 s[42:43], s[44:45], exec
	s_and_b64 s[38:39], s[40:41], exec
.LBB1745_132:
	s_or_b64 exec, exec, s[36:37]
	s_and_b64 s[40:41], s[42:43], exec
	s_and_b64 s[36:37], s[38:39], exec
.LBB1745_133:
	s_or_b64 exec, exec, s[34:35]
	s_and_b64 s[38:39], s[40:41], exec
	s_and_b64 s[34:35], s[36:37], exec
.LBB1745_134:
	s_or_b64 exec, exec, s[30:31]
	s_and_b64 s[36:37], s[38:39], exec
	s_and_b64 s[30:31], s[34:35], exec
.LBB1745_135:
	s_or_b64 exec, exec, s[28:29]
	s_and_b64 s[34:35], s[36:37], exec
	s_and_b64 s[28:29], s[30:31], exec
.LBB1745_136:
	s_or_b64 exec, exec, s[26:27]
	s_and_b64 s[30:31], s[34:35], exec
	s_and_b64 s[26:27], s[28:29], exec
.LBB1745_137:
	s_or_b64 exec, exec, s[24:25]
	s_and_b64 s[28:29], s[30:31], exec
	s_and_b64 s[24:25], s[26:27], exec
.LBB1745_138:
	s_or_b64 exec, exec, s[22:23]
	s_and_b64 s[26:27], s[28:29], exec
	s_and_b64 s[22:23], s[24:25], exec
.LBB1745_139:
	s_or_b64 exec, exec, s[20:21]
	s_and_b64 s[24:25], s[26:27], exec
	s_and_b64 s[20:21], s[22:23], exec
.LBB1745_140:
	s_or_b64 exec, exec, s[18:19]
	s_and_b64 s[22:23], s[24:25], exec
	s_and_b64 s[18:19], s[20:21], exec
.LBB1745_141:
	s_or_b64 exec, exec, s[16:17]
	s_and_b64 s[20:21], s[22:23], exec
	s_and_b64 s[16:17], s[18:19], exec
.LBB1745_142:
	s_or_b64 exec, exec, s[14:15]
	s_and_b64 s[18:19], s[20:21], exec
	s_and_b64 s[14:15], s[16:17], exec
.LBB1745_143:
	s_or_b64 exec, exec, s[12:13]
	s_and_b64 s[16:17], s[18:19], exec
	s_and_b64 s[12:13], s[14:15], exec
.LBB1745_144:
	s_or_b64 exec, exec, s[10:11]
	s_and_b64 s[14:15], s[16:17], exec
	s_and_b64 s[10:11], s[12:13], exec
.LBB1745_145:
	s_or_b64 exec, exec, s[8:9]
	s_and_b64 s[8:9], s[14:15], exec
	s_and_b64 s[10:11], s[10:11], exec
.LBB1745_146:
	s_or_b64 exec, exec, s[6:7]
	s_mov_b64 s[6:7], 0
	s_and_b64 vcc, exec, s[0:1]
	v_lshlrev_b32_e32 v56, 2, v0
	s_cbranch_vccz .LBB1745_152
.LBB1745_147:
	v_mov_b32_e32 v57, 0
	v_lshl_add_u64 v[6:7], v[4:5], 0, v[56:57]
	v_add_co_u32_e32 v8, vcc, 0x1000, v6
	s_movk_i32 s6, 0x58
	s_nop 0
	v_addc_co_u32_e32 v9, vcc, 0, v7, vcc
	flat_load_dword v1, v[6:7]
	flat_load_dword v14, v[6:7] offset:1024
	flat_load_dword v15, v[6:7] offset:2048
	;; [unrolled: 1-line block ×3, first 2 shown]
	flat_load_dword v17, v[8:9]
	flat_load_dword v18, v[8:9] offset:1024
	flat_load_dword v19, v[8:9] offset:2048
	;; [unrolled: 1-line block ×3, first 2 shown]
	v_add_co_u32_e32 v8, vcc, 0x2000, v6
	s_movk_i32 s11, 0x1000
	s_nop 0
	v_addc_co_u32_e32 v9, vcc, 0, v7, vcc
	v_add_co_u32_e32 v12, vcc, 0x3000, v6
	s_mov_b32 s0, 0
	s_nop 0
	v_addc_co_u32_e32 v13, vcc, 0, v7, vcc
	flat_load_dword v21, v[8:9]
	flat_load_dword v22, v[8:9] offset:1024
	flat_load_dword v23, v[8:9] offset:2048
	;; [unrolled: 1-line block ×3, first 2 shown]
	flat_load_dword v25, v[12:13]
	flat_load_dword v26, v[12:13] offset:1024
	flat_load_dword v27, v[12:13] offset:2048
	;; [unrolled: 1-line block ×3, first 2 shown]
	v_add_co_u32_e32 v8, vcc, 0x4000, v6
	s_movk_i32 s10, 0x2000
	s_nop 0
	v_addc_co_u32_e32 v9, vcc, 0, v7, vcc
	v_add_co_u32_e32 v6, vcc, 0x5000, v6
	s_movk_i32 s9, 0x3000
	s_nop 0
	v_addc_co_u32_e32 v7, vcc, 0, v7, vcc
	flat_load_dword v12, v[8:9]
	flat_load_dword v13, v[8:9] offset:1024
	flat_load_dword v29, v[8:9] offset:2048
	flat_load_dword v30, v[8:9] offset:3072
	flat_load_dword v31, v[6:7]
	flat_load_dword v32, v[6:7] offset:1024
	flat_load_dword v33, v[6:7] offset:2048
	v_add_co_u32_e32 v4, vcc, 0x5000, v4
	s_movk_i32 s8, 0x4000
	s_nop 0
	v_addc_co_u32_e32 v5, vcc, 0, v5, vcc
	s_movk_i32 s1, 0x5000
	s_waitcnt vmcnt(0) lgkmcnt(0)
	ds_write2st64_b32 v56, v1, v14 offset1:4
	ds_write2st64_b32 v56, v15, v16 offset0:8 offset1:12
	ds_write2st64_b32 v56, v17, v18 offset0:16 offset1:20
	ds_write2st64_b32 v56, v19, v20 offset0:24 offset1:28
	ds_write2st64_b32 v56, v21, v22 offset0:32 offset1:36
	ds_write2st64_b32 v56, v23, v24 offset0:40 offset1:44
	ds_write2st64_b32 v56, v25, v26 offset0:48 offset1:52
	ds_write2st64_b32 v56, v27, v28 offset0:56 offset1:60
	ds_write2st64_b32 v56, v12, v13 offset0:64 offset1:68
	ds_write2st64_b32 v56, v29, v30 offset0:72 offset1:76
	ds_write2st64_b32 v56, v31, v32 offset0:80 offset1:84
	ds_write_b32 v56, v33 offset:22528
	s_waitcnt lgkmcnt(0)
	s_barrier
	flat_load_dword v1, v[4:5] offset:3072
	v_mad_u32_u24 v14, v0, s6, v56
	s_movk_i32 s6, 0xffa8
	v_mad_i32_i24 v13, v0, s6, v14
	s_movk_i32 s6, 0xff
	v_cmp_ne_u32_e32 vcc, s6, v0
	ds_read_b32 v12, v14
	ds_read2_b32 v[16:17], v14 offset0:1 offset1:2
	ds_read2_b32 v[20:21], v14 offset0:3 offset1:4
	;; [unrolled: 1-line block ×11, first 2 shown]
	s_waitcnt lgkmcnt(0)
	ds_write_b32 v13, v12 offset:24576
	s_waitcnt lgkmcnt(0)
	s_barrier
	s_and_saveexec_b64 s[6:7], vcc
	s_cbranch_execz .LBB1745_149
; %bb.148:
	s_waitcnt vmcnt(0)
	ds_read_b32 v1, v56 offset:24580
.LBB1745_149:
	s_or_b64 exec, exec, s[6:7]
	v_lshl_add_u64 v[2:3], v[2:3], 0, v[56:57]
	v_add_co_u32_e32 v18, vcc, s11, v2
	s_waitcnt lgkmcnt(0)
	s_nop 0
	v_addc_co_u32_e32 v19, vcc, 0, v3, vcc
	s_barrier
	flat_load_dword v13, v[2:3]
	flat_load_dword v15, v[2:3] offset:1024
	flat_load_dword v26, v[2:3] offset:2048
	;; [unrolled: 1-line block ×3, first 2 shown]
	flat_load_dword v30, v[18:19]
	flat_load_dword v31, v[18:19] offset:1024
	flat_load_dword v34, v[18:19] offset:2048
	;; [unrolled: 1-line block ×3, first 2 shown]
	v_add_co_u32_e32 v18, vcc, s10, v2
	s_nop 1
	v_addc_co_u32_e32 v19, vcc, 0, v3, vcc
	v_add_co_u32_e32 v22, vcc, s9, v2
	s_nop 1
	v_addc_co_u32_e32 v23, vcc, 0, v3, vcc
	flat_load_dword v38, v[18:19]
	flat_load_dword v39, v[18:19] offset:1024
	flat_load_dword v42, v[18:19] offset:2048
	;; [unrolled: 1-line block ×3, first 2 shown]
	flat_load_dword v46, v[22:23]
	flat_load_dword v47, v[22:23] offset:1024
	flat_load_dword v48, v[22:23] offset:2048
	;; [unrolled: 1-line block ×3, first 2 shown]
	v_add_co_u32_e32 v18, vcc, s8, v2
	s_nop 1
	v_addc_co_u32_e32 v19, vcc, 0, v3, vcc
	v_add_co_u32_e32 v2, vcc, s1, v2
	s_mov_b32 s1, 1
	s_nop 0
	v_addc_co_u32_e32 v3, vcc, 0, v3, vcc
	flat_load_dword v22, v[18:19]
	flat_load_dword v23, v[18:19] offset:1024
	flat_load_dword v50, v[18:19] offset:2048
	flat_load_dword v51, v[18:19] offset:3072
	flat_load_dword v52, v[2:3]
	flat_load_dword v53, v[2:3] offset:1024
	flat_load_dword v54, v[2:3] offset:2048
	v_cmp_eq_u32_e32 vcc, v12, v16
	s_waitcnt vmcnt(0) lgkmcnt(0)
	ds_write2st64_b32 v56, v13, v15 offset1:4
	ds_write2st64_b32 v56, v26, v27 offset0:8 offset1:12
	ds_write2st64_b32 v56, v30, v31 offset0:16 offset1:20
	;; [unrolled: 1-line block ×10, first 2 shown]
	ds_write_b32 v56, v54 offset:22528
	s_waitcnt lgkmcnt(0)
	s_barrier
	ds_read2_b32 v[18:19], v14 offset0:1 offset1:2
	ds_read2_b32 v[22:23], v14 offset0:3 offset1:4
	;; [unrolled: 1-line block ×11, first 2 shown]
	v_mov_b64_e32 v[12:13], s[0:1]
	v_mov_b32_e32 v15, s74
	s_and_saveexec_b64 s[0:1], vcc
	s_cbranch_execz .LBB1745_151
; %bb.150:
	ds_read_b32 v15, v14
	v_mov_b64_e32 v[12:13], 0
.LBB1745_151:
	s_or_b64 exec, exec, s[0:1]
	v_mov_b32_e32 v57, s74
	v_cmp_eq_u32_e32 vcc, v16, v17
	s_waitcnt lgkmcnt(0)
	v_or_b32_e32 v12, v12, v15
	v_cmp_ne_u32_e64 s[8:9], v5, v1
	v_cndmask_b32_e32 v14, v57, v18, vcc
	v_cmp_ne_u32_e32 vcc, v16, v17
	s_mov_b64 s[10:11], -1
                                        ; implicit-def: $sgpr6_sgpr7
	s_nop 0
	v_cndmask_b32_e64 v15, 0, 1, vcc
	v_cmp_eq_u32_e32 vcc, v17, v20
	s_nop 1
	v_cndmask_b32_e32 v16, v57, v19, vcc
	v_cmp_ne_u32_e32 vcc, v17, v20
	s_nop 1
	v_cndmask_b32_e64 v17, 0, 1, vcc
	v_cmp_eq_u32_e32 vcc, v20, v21
	s_nop 1
	v_cndmask_b32_e32 v18, v57, v22, vcc
	v_cmp_ne_u32_e32 vcc, v20, v21
	;; [unrolled: 6-line block ×18, first 2 shown]
	v_cndmask_b32_e64 v6, v3, v57, s[8:9]
	s_nop 0
	v_cndmask_b32_e64 v51, 0, 1, vcc
	v_cmp_eq_u32_e32 vcc, v7, v4
	s_nop 1
	v_cndmask_b32_e32 v52, v57, v53, vcc
	v_cmp_ne_u32_e32 vcc, v7, v4
	s_nop 1
	v_cndmask_b32_e64 v53, 0, 1, vcc
	v_cmp_eq_u32_e32 vcc, v4, v5
	s_nop 1
	v_cndmask_b32_e32 v54, v57, v2, vcc
	v_cmp_ne_u32_e32 vcc, v4, v5
	s_nop 1
	v_cndmask_b32_e64 v55, 0, 1, vcc
.LBB1745_152:
	v_mov_b64_e32 v[58:59], s[6:7]
	s_and_saveexec_b64 s[0:1], s[10:11]
; %bb.153:
	v_cndmask_b32_e64 v7, 0, 1, s[8:9]
	v_mov_b64_e32 v[58:59], v[6:7]
; %bb.154:
	s_or_b64 exec, exec, s[0:1]
	s_mov_b32 s0, 0
	s_cmp_lg_u32 s67, 0
	v_or_b32_e32 v57, v59, v55
	v_lshrrev_b32_e32 v1, 5, v0
	v_cmp_gt_u32_e32 vcc, 64, v0
	s_barrier
	s_cbranch_scc0 .LBB1745_189
; %bb.155:
	s_mov_b32 s1, 1
	v_cmp_gt_u64_e64 s[6:7], s[0:1], v[14:15]
	v_cmp_gt_u64_e64 s[8:9], s[0:1], v[16:17]
	v_cmp_gt_u64_e64 s[10:11], s[0:1], v[18:19]
	v_cndmask_b32_e64 v2, 0, v12, s[6:7]
	v_add_u32_e32 v2, v2, v14
	v_cndmask_b32_e64 v2, 0, v2, s[8:9]
	v_add_u32_e32 v2, v2, v16
	v_cndmask_b32_e64 v2, 0, v2, s[10:11]
	v_add_u32_e32 v2, v2, v18
	v_cmp_gt_u64_e64 s[12:13], s[0:1], v[20:21]
	v_cmp_gt_u64_e64 s[14:15], s[0:1], v[22:23]
	v_cmp_gt_u64_e64 s[16:17], s[0:1], v[24:25]
	v_cndmask_b32_e64 v2, 0, v2, s[12:13]
	v_add_u32_e32 v2, v2, v20
	v_cndmask_b32_e64 v2, 0, v2, s[14:15]
	v_add_u32_e32 v2, v2, v22
	v_cndmask_b32_e64 v2, 0, v2, s[16:17]
	v_add_u32_e32 v2, v2, v24
	;; [unrolled: 9-line block ×7, first 2 shown]
	v_cmp_gt_u64_e64 s[0:1], s[0:1], v[58:59]
	s_nop 1
	v_cndmask_b32_e64 v2, 0, v2, s[0:1]
	v_add_u32_e32 v64, v2, v58
	v_or3_b32 v2, v57, v53, v51
	v_or3_b32 v2, v2, v49, v47
	;; [unrolled: 1-line block ×10, first 2 shown]
	v_and_b32_e32 v2, 1, v2
	v_cmp_eq_u32_e64 s[0:1], 1, v2
	v_add_lshl_u32 v2, v1, v0, 3
	s_nop 0
	v_cndmask_b32_e64 v65, v13, 1, s[0:1]
	ds_write_b32 v2, v64
	ds_write_b8 v2, v65 offset:4
	s_waitcnt lgkmcnt(0)
	s_barrier
	s_and_saveexec_b64 s[50:51], vcc
	s_cbranch_execz .LBB1745_167
; %bb.156:
	v_lshrrev_b32_e32 v2, 3, v0
	v_add_lshl_u32 v4, v2, v56, 3
	ds_read2_b32 v[6:7], v4 offset0:2 offset1:4
	ds_read_b64 v[2:3], v4
	ds_read_u8 v8, v4 offset:12
	ds_read_u8 v9, v4 offset:20
	ds_read_b32 v60, v4 offset:24
	ds_read_u8 v61, v4 offset:28
	v_mov_b32_e32 v62, 0
	s_waitcnt lgkmcnt(3)
	v_cmp_eq_u16_sdwa s[0:1], v8, v62 src0_sel:BYTE_0 src1_sel:DWORD
	v_and_b32_e32 v5, 1, v3
	s_nop 0
	v_cndmask_b32_e64 v63, 0, v2, s[0:1]
	v_add_u32_e32 v6, v63, v6
	s_waitcnt lgkmcnt(2)
	v_cmp_eq_u16_sdwa s[0:1], v9, v62 src0_sel:BYTE_0 src1_sel:DWORD
	s_nop 1
	v_cndmask_b32_e64 v6, 0, v6, s[0:1]
	v_add_u32_e32 v6, v6, v7
	s_waitcnt lgkmcnt(0)
	v_cmp_eq_u16_e64 s[0:1], 0, v61
	s_nop 1
	v_cndmask_b32_e64 v6, 0, v6, s[0:1]
	v_add_u32_e32 v7, v6, v60
	v_or_b32_e32 v6, v61, v9
	v_or_b32_e32 v6, v6, v8
	v_and_b32_e32 v6, 1, v6
	v_cmp_eq_u32_e64 s[0:1], 1, v6
	v_mbcnt_lo_u32_b32 v8, -1, 0
	v_and_b32_e32 v6, 0xffffff00, v3
	v_cndmask_b32_e64 v9, v5, 1, s[0:1]
	v_mbcnt_hi_u32_b32 v8, -1, v8
	v_and_b32_e32 v61, 15, v8
	v_or_b32_sdwa v60, v6, v9 dst_sel:DWORD dst_unused:UNUSED_PAD src0_sel:DWORD src1_sel:WORD_0
	v_mov_b32_dpp v62, v7 row_shr:1 row_mask:0xf bank_mask:0xf
	v_cmp_ne_u32_e64 s[0:1], 0, v61
	v_mov_b32_dpp v63, v60 row_shr:1 row_mask:0xf bank_mask:0xf
	s_and_saveexec_b64 s[56:57], s[0:1]
; %bb.157:
	v_and_b32_e32 v60, 1, v9
	v_and_b32_e32 v63, 1, v63
	v_cmp_eq_u32_e64 s[0:1], 1, v60
	s_nop 1
	v_cndmask_b32_e64 v63, v63, 1, s[0:1]
	v_cmp_eq_u16_e64 s[0:1], 0, v9
	v_or_b32_sdwa v60, v6, v63 dst_sel:DWORD dst_unused:UNUSED_PAD src0_sel:DWORD src1_sel:WORD_0
	s_nop 0
	v_cndmask_b32_e64 v9, 0, v62, s[0:1]
	v_add_u32_e32 v7, v9, v7
	v_mov_b32_e32 v9, v63
; %bb.158:
	s_or_b64 exec, exec, s[56:57]
	v_mov_b32_dpp v62, v7 row_shr:2 row_mask:0xf bank_mask:0xf
	v_mov_b32_dpp v63, v60 row_shr:2 row_mask:0xf bank_mask:0xf
	v_cmp_lt_u32_e64 s[0:1], 1, v61
	s_and_saveexec_b64 s[56:57], s[0:1]
; %bb.159:
	v_and_b32_e32 v60, 1, v9
	v_and_b32_e32 v63, 1, v63
	v_cmp_eq_u32_e64 s[0:1], 1, v60
	s_nop 1
	v_cndmask_b32_e64 v63, v63, 1, s[0:1]
	v_cmp_eq_u16_e64 s[0:1], 0, v9
	v_or_b32_sdwa v60, v6, v63 dst_sel:DWORD dst_unused:UNUSED_PAD src0_sel:DWORD src1_sel:WORD_0
	s_nop 0
	v_cndmask_b32_e64 v9, 0, v62, s[0:1]
	v_add_u32_e32 v7, v9, v7
	v_mov_b32_e32 v9, v63
; %bb.160:
	s_or_b64 exec, exec, s[56:57]
	v_mov_b32_dpp v62, v7 row_shr:4 row_mask:0xf bank_mask:0xf
	v_mov_b32_dpp v63, v60 row_shr:4 row_mask:0xf bank_mask:0xf
	v_cmp_lt_u32_e64 s[0:1], 3, v61
	;; [unrolled: 18-line block ×3, first 2 shown]
	s_and_saveexec_b64 s[56:57], s[0:1]
; %bb.163:
	v_and_b32_e32 v60, 1, v9
	v_and_b32_e32 v61, 1, v63
	v_cmp_eq_u32_e64 s[0:1], 1, v60
	s_nop 1
	v_cndmask_b32_e64 v61, v61, 1, s[0:1]
	v_cmp_eq_u16_e64 s[0:1], 0, v9
	v_or_b32_sdwa v60, v6, v61 dst_sel:DWORD dst_unused:UNUSED_PAD src0_sel:DWORD src1_sel:WORD_0
	s_nop 0
	v_cndmask_b32_e64 v9, 0, v62, s[0:1]
	v_add_u32_e32 v7, v9, v7
	v_mov_b32_e32 v9, v61
; %bb.164:
	s_or_b64 exec, exec, s[56:57]
	v_and_b32_e32 v63, 16, v8
	v_mov_b32_dpp v61, v7 row_bcast:15 row_mask:0xf bank_mask:0xf
	v_mov_b32_dpp v62, v60 row_bcast:15 row_mask:0xf bank_mask:0xf
	v_cmp_ne_u32_e64 s[0:1], 0, v63
	s_and_saveexec_b64 s[56:57], s[0:1]
; %bb.165:
	v_and_b32_e32 v60, 1, v9
	v_and_b32_e32 v62, 1, v62
	v_cmp_eq_u32_e64 s[0:1], 1, v60
	s_nop 1
	v_cndmask_b32_e64 v62, v62, 1, s[0:1]
	v_cmp_eq_u16_e64 s[0:1], 0, v9
	v_or_b32_sdwa v60, v6, v62 dst_sel:DWORD dst_unused:UNUSED_PAD src0_sel:DWORD src1_sel:WORD_0
	s_nop 0
	v_cndmask_b32_e64 v9, 0, v61, s[0:1]
	v_add_u32_e32 v7, v9, v7
	v_mov_b32_e32 v9, v62
; %bb.166:
	s_or_b64 exec, exec, s[56:57]
	v_mov_b32_dpp v60, v60 row_bcast:31 row_mask:0xf bank_mask:0xf
	v_and_b32_e32 v62, 1, v9
	v_and_b32_e32 v60, 1, v60
	v_cmp_eq_u32_e64 s[0:1], 1, v62
	v_mov_b32_e32 v62, 0
	v_cmp_eq_u16_sdwa s[56:57], v9, v62 src0_sel:BYTE_0 src1_sel:DWORD
	v_cndmask_b32_e64 v60, v60, 1, s[0:1]
	v_cmp_lt_u32_e64 s[0:1], 31, v8
	v_mov_b32_dpp v61, v7 row_bcast:31 row_mask:0xf bank_mask:0xf
	s_movk_i32 s58, 0xff
	v_cndmask_b32_e64 v9, v9, v60, s[0:1]
	s_and_b64 s[0:1], s[0:1], s[56:57]
	v_cndmask_b32_e64 v60, 0, v61, s[0:1]
	v_add_u32_e32 v7, v60, v7
	v_add_u32_e32 v60, -1, v8
	v_and_b32_e32 v61, 64, v8
	v_cmp_lt_i32_e64 s[0:1], v60, v61
	v_and_or_b32 v6, v9, s58, v6
	s_nop 0
	v_cndmask_b32_e64 v8, v60, v8, s[0:1]
	v_lshlrev_b32_e32 v8, 2, v8
	ds_bpermute_b32 v7, v8, v7
	ds_bpermute_b32 v6, v8, v6
	v_cmp_eq_u16_sdwa s[0:1], v3, v62 src0_sel:BYTE_0 src1_sel:DWORD
	; wave barrier
	s_waitcnt lgkmcnt(1)
	s_nop 0
	v_cndmask_b32_e64 v3, 0, v7, s[0:1]
	v_add_u32_e32 v2, v3, v2
	s_waitcnt lgkmcnt(0)
	v_and_b32_e32 v3, 1, v6
	v_cmp_eq_u32_e64 s[0:1], 1, v5
	v_cndmask_b32_e64 v5, v2, v64, s[52:53]
	s_nop 0
	v_cndmask_b32_e64 v3, v3, 1, s[0:1]
	v_cndmask_b32_e64 v6, v3, v65, s[52:53]
	ds_write_b32 v4, v5
	ds_write_b8 v4, v6 offset:4
	; wave barrier
	ds_read_u8 v7, v4 offset:12
	ds_read2_b32 v[2:3], v4 offset0:2 offset1:4
	ds_read_u8 v8, v4 offset:20
	ds_read_b32 v9, v4 offset:24
	ds_read_u8 v60, v4 offset:28
	s_waitcnt lgkmcnt(4)
	v_cmp_eq_u16_e64 s[0:1], 0, v7
	s_nop 1
	v_cndmask_b32_e64 v5, 0, v5, s[0:1]
	s_waitcnt lgkmcnt(3)
	v_add_u32_e32 v2, v5, v2
	v_and_b32_e32 v5, 1, v7
	v_cmp_eq_u32_e64 s[0:1], 1, v5
	s_nop 1
	v_cndmask_b32_e64 v5, v6, 1, s[0:1]
	s_waitcnt lgkmcnt(2)
	v_cmp_eq_u16_e64 s[0:1], 0, v8
	ds_write_b8 v4, v5 offset:12
	s_nop 0
	v_cndmask_b32_e64 v6, 0, v2, s[0:1]
	v_add_u32_e32 v3, v6, v3
	v_and_b32_e32 v6, 1, v8
	v_cmp_eq_u32_e64 s[0:1], 1, v6
	s_nop 1
	v_cndmask_b32_e64 v5, v5, 1, s[0:1]
	s_waitcnt lgkmcnt(1)
	v_cmp_eq_u16_e64 s[0:1], 0, v60
	ds_write2_b32 v4, v2, v3 offset0:2 offset1:4
	ds_write_b8 v4, v5 offset:20
	v_cndmask_b32_e64 v2, 0, v3, s[0:1]
	v_and_b32_e32 v3, 1, v60
	v_add_u32_e32 v2, v2, v9
	v_cmp_eq_u32_e64 s[0:1], 1, v3
	s_nop 1
	v_cndmask_b32_e64 v3, v5, 1, s[0:1]
	ds_write_b32 v4, v2 offset:24
	ds_write_b8 v4, v3 offset:28
.LBB1745_167:
	s_or_b64 exec, exec, s[50:51]
	s_waitcnt lgkmcnt(0)
	s_barrier
	s_and_saveexec_b64 s[0:1], s[4:5]
	s_cbranch_execz .LBB1745_169
; %bb.168:
	v_add_u32_e32 v2, -1, v0
	v_lshrrev_b32_e32 v3, 5, v2
	v_add_lshl_u32 v2, v3, v2, 3
	ds_read_b32 v64, v2
	ds_read_u8 v65, v2 offset:4
.LBB1745_169:
	s_or_b64 exec, exec, s[0:1]
	s_and_saveexec_b64 s[56:57], vcc
	s_cbranch_execz .LBB1745_188
; %bb.170:
	v_mov_b32_e32 v5, 0
	ds_read_b64 v[2:3], v5 offset:2096
	v_mbcnt_lo_u32_b32 v4, -1, 0
	v_mbcnt_hi_u32_b32 v75, -1, v4
	s_mov_b32 s59, 0
	v_cmp_eq_u32_e64 s[50:51], 0, v75
	s_waitcnt lgkmcnt(0)
	v_readfirstlane_b32 s68, v3
	s_and_saveexec_b64 s[0:1], s[50:51]
	s_cbranch_execz .LBB1745_172
; %bb.171:
	s_add_i32 s58, s67, 64
	s_lshl_b64 s[60:61], s[58:59], 4
	s_add_u32 s60, s64, s60
	s_addc_u32 s61, s65, s61
	s_and_b32 s77, s68, 0xff000000
	s_mov_b32 s76, s59
	s_and_b32 s79, s68, 0xff0000
	s_mov_b32 s78, s59
	s_or_b64 s[76:77], s[78:79], s[76:77]
	s_and_b32 s79, s68, 0xff00
	s_or_b64 s[76:77], s[76:77], s[78:79]
	s_and_b32 s79, s68, 0xff
	s_or_b64 s[58:59], s[76:77], s[78:79]
	v_mov_b32_e32 v3, s59
	v_mov_b32_e32 v4, 1
	v_mov_b64_e32 v[6:7], s[60:61]
	;;#ASMSTART
	global_store_dwordx4 v[6:7], v[2:5] off sc1	
s_waitcnt vmcnt(0)
	;;#ASMEND
.LBB1745_172:
	s_or_b64 exec, exec, s[0:1]
	v_xad_u32 v60, v75, -1, s67
	v_add_u32_e32 v4, 64, v60
	v_lshl_add_u64 v[62:63], v[4:5], 4, s[64:65]
	;;#ASMSTART
	global_load_dwordx4 v[6:9], v[62:63] off sc1	
s_waitcnt vmcnt(0)
	;;#ASMEND
	s_nop 0
	v_and_b32_e32 v3, 0xff0000, v6
	v_and_b32_e32 v4, 0xff000000, v6
	;; [unrolled: 1-line block ×3, first 2 shown]
	v_or_b32_sdwa v3, v6, v3 dst_sel:DWORD dst_unused:UNUSED_PAD src0_sel:WORD_0 src1_sel:DWORD
	v_or3_b32 v7, 0, 0, v7
	v_or3_b32 v6, v3, v4, 0
	v_cmp_eq_u16_sdwa s[58:59], v8, v5 src0_sel:BYTE_0 src1_sel:DWORD
	s_and_saveexec_b64 s[0:1], s[58:59]
	s_cbranch_execz .LBB1745_176
; %bb.173:
	s_mov_b64 s[58:59], 0
	v_mov_b32_e32 v3, 0
.LBB1745_174:                           ; =>This Inner Loop Header: Depth=1
	;;#ASMSTART
	global_load_dwordx4 v[6:9], v[62:63] off sc1	
s_waitcnt vmcnt(0)
	;;#ASMEND
	s_nop 0
	v_cmp_ne_u16_sdwa s[60:61], v8, v3 src0_sel:BYTE_0 src1_sel:DWORD
	s_or_b64 s[58:59], s[60:61], s[58:59]
	s_andn2_b64 exec, exec, s[58:59]
	s_cbranch_execnz .LBB1745_174
; %bb.175:
	s_or_b64 exec, exec, s[58:59]
	v_and_b32_e32 v7, 0xff, v7
.LBB1745_176:
	s_or_b64 exec, exec, s[0:1]
	v_mov_b32_e32 v3, 2
	v_cmp_eq_u16_sdwa s[0:1], v8, v3 src0_sel:BYTE_0 src1_sel:DWORD
	v_lshlrev_b64 v[4:5], v75, -1
	v_and_b32_e32 v66, 63, v75
	v_and_b32_e32 v9, s1, v5
	v_or_b32_e32 v9, 0x80000000, v9
	v_and_b32_e32 v61, s0, v4
	v_ffbl_b32_e32 v9, v9
	v_add_u32_e32 v9, 32, v9
	v_ffbl_b32_e32 v61, v61
	v_cmp_ne_u32_e32 vcc, 63, v66
	v_min_u32_e32 v9, v61, v9
	s_mov_b32 s58, 0
	v_addc_co_u32_e32 v61, vcc, 0, v75, vcc
	v_lshlrev_b32_e32 v67, 2, v61
	ds_bpermute_b32 v61, v67, v7
	ds_bpermute_b32 v62, v67, v6
	v_and_b32_e32 v63, 1, v7
	s_mov_b32 s59, 1
	v_cmp_eq_u32_e32 vcc, 1, v63
	s_waitcnt lgkmcnt(1)
	v_and_b32_e32 v61, 1, v61
	v_cmp_lt_u32_e64 s[0:1], v66, v9
	v_cndmask_b32_e64 v61, v61, 1, vcc
	v_cmp_gt_u64_e32 vcc, s[58:59], v[6:7]
	s_and_b64 vcc, s[0:1], vcc
	v_and_b32_e32 v63, 0xffff, v61
	v_cndmask_b32_e64 v70, v7, v61, s[0:1]
	s_waitcnt lgkmcnt(0)
	v_cndmask_b32_e32 v61, 0, v62, vcc
	v_cmp_gt_u32_e32 vcc, 62, v66
	v_cndmask_b32_e64 v7, v7, v63, s[0:1]
	v_add_u32_e32 v6, v61, v6
	v_cndmask_b32_e64 v62, 0, 1, vcc
	v_lshlrev_b32_e32 v62, 1, v62
	v_add_lshl_u32 v68, v62, v75, 2
	ds_bpermute_b32 v62, v68, v7
	ds_bpermute_b32 v63, v68, v6
	v_and_b32_e32 v61, 1, v70
	v_cmp_eq_u32_e32 vcc, 1, v61
	v_mov_b32_e32 v61, 0
	s_waitcnt lgkmcnt(1)
	v_and_b32_e32 v62, 1, v62
	v_add_u32_e32 v69, 2, v66
	v_cndmask_b32_e64 v62, v62, 1, vcc
	v_cmp_eq_u16_sdwa vcc, v70, v61 src0_sel:BYTE_0 src1_sel:DWORD
	v_and_b32_e32 v71, 0xffff, v62
	v_add_u32_e32 v79, 32, v66
	s_waitcnt lgkmcnt(0)
	v_cndmask_b32_e32 v63, 0, v63, vcc
	v_cmp_gt_u32_e32 vcc, v69, v9
	s_nop 1
	v_cndmask_b32_e32 v62, v62, v70, vcc
	v_cndmask_b32_e64 v63, v63, 0, vcc
	v_cndmask_b32_e32 v7, v71, v7, vcc
	v_cmp_gt_u32_e32 vcc, 60, v66
	v_add_u32_e32 v6, v63, v6
	v_and_b32_e32 v73, 1, v62
	v_cndmask_b32_e64 v70, 0, 1, vcc
	v_lshlrev_b32_e32 v70, 2, v70
	v_add_lshl_u32 v70, v70, v75, 2
	ds_bpermute_b32 v72, v70, v7
	ds_bpermute_b32 v63, v70, v6
	v_cmp_eq_u32_e32 vcc, 1, v73
	v_add_u32_e32 v71, 4, v66
	s_waitcnt lgkmcnt(1)
	v_and_b32_e32 v72, 1, v72
	v_cndmask_b32_e64 v72, v72, 1, vcc
	v_cmp_eq_u16_sdwa vcc, v62, v61 src0_sel:BYTE_0 src1_sel:DWORD
	v_and_b32_e32 v73, 0xffff, v72
	s_waitcnt lgkmcnt(0)
	v_cndmask_b32_e32 v63, 0, v63, vcc
	v_cmp_gt_u32_e32 vcc, v71, v9
	s_nop 1
	v_cndmask_b32_e32 v62, v72, v62, vcc
	v_cndmask_b32_e64 v63, v63, 0, vcc
	v_cndmask_b32_e32 v7, v73, v7, vcc
	v_cmp_gt_u32_e32 vcc, 56, v66
	v_add_u32_e32 v6, v63, v6
	v_and_b32_e32 v76, 1, v62
	v_cndmask_b32_e64 v72, 0, 1, vcc
	v_lshlrev_b32_e32 v72, 3, v72
	v_add_lshl_u32 v72, v72, v75, 2
	ds_bpermute_b32 v74, v72, v7
	ds_bpermute_b32 v63, v72, v6
	v_cmp_eq_u32_e32 vcc, 1, v76
	v_add_u32_e32 v73, 8, v66
	s_waitcnt lgkmcnt(1)
	v_and_b32_e32 v74, 1, v74
	v_cndmask_b32_e64 v74, v74, 1, vcc
	v_cmp_eq_u16_sdwa vcc, v62, v61 src0_sel:BYTE_0 src1_sel:DWORD
	v_and_b32_e32 v76, 0xffff, v74
	;; [unrolled: 22-line block ×3, first 2 shown]
	s_waitcnt lgkmcnt(0)
	v_cndmask_b32_e32 v63, 0, v63, vcc
	v_cmp_gt_u32_e32 vcc, v76, v9
	s_nop 1
	v_cndmask_b32_e32 v62, v77, v62, vcc
	v_cndmask_b32_e64 v63, v63, 0, vcc
	v_cndmask_b32_e32 v7, v78, v7, vcc
	v_cmp_gt_u32_e32 vcc, 32, v66
	v_add_u32_e32 v6, v63, v6
	s_nop 0
	v_cndmask_b32_e64 v77, 0, 1, vcc
	v_lshlrev_b32_e32 v77, 5, v77
	v_add_lshl_u32 v78, v77, v75, 2
	ds_bpermute_b32 v7, v78, v7
	ds_bpermute_b32 v63, v78, v6
	v_and_b32_e32 v75, 1, v62
	v_cmp_eq_u32_e32 vcc, 1, v75
	s_waitcnt lgkmcnt(1)
	v_and_b32_e32 v7, 1, v7
	v_cndmask_b32_e64 v7, v7, 1, vcc
	v_cmp_eq_u16_sdwa vcc, v62, v61 src0_sel:BYTE_0 src1_sel:DWORD
	s_waitcnt lgkmcnt(0)
	s_nop 0
	v_cndmask_b32_e32 v63, 0, v63, vcc
	v_cmp_gt_u32_e32 vcc, v79, v9
	s_nop 1
	v_cndmask_b32_e64 v9, v63, 0, vcc
	v_cndmask_b32_e32 v7, v7, v62, vcc
	v_add_u32_e32 v6, v9, v6
	s_branch .LBB1745_178
.LBB1745_177:                           ;   in Loop: Header=BB1745_178 Depth=1
	s_or_b64 exec, exec, s[0:1]
	v_cmp_eq_u16_sdwa s[0:1], v8, v3 src0_sel:BYTE_0 src1_sel:DWORD
	ds_bpermute_b32 v63, v67, v7
	v_and_b32_e32 v80, 1, v7
	v_and_b32_e32 v9, s1, v5
	v_or_b32_e32 v9, 0x80000000, v9
	v_and_b32_e32 v62, s0, v4
	v_ffbl_b32_e32 v9, v9
	v_add_u32_e32 v9, 32, v9
	v_ffbl_b32_e32 v62, v62
	v_min_u32_e32 v9, v62, v9
	ds_bpermute_b32 v62, v67, v6
	s_waitcnt lgkmcnt(1)
	v_and_b32_e32 v63, 1, v63
	v_cmp_eq_u32_e32 vcc, 1, v80
	v_cmp_lt_u32_e64 s[0:1], v66, v9
	v_subrev_u32_e32 v60, 64, v60
	v_cndmask_b32_e64 v63, v63, 1, vcc
	v_cmp_gt_u64_e32 vcc, s[58:59], v[6:7]
	v_and_b32_e32 v80, 0xffff, v63
	v_cndmask_b32_e64 v63, v7, v63, s[0:1]
	v_cndmask_b32_e64 v7, v7, v80, s[0:1]
	s_and_b64 vcc, s[0:1], vcc
	ds_bpermute_b32 v80, v68, v7
	s_waitcnt lgkmcnt(1)
	v_cndmask_b32_e32 v62, 0, v62, vcc
	v_add_u32_e32 v6, v62, v6
	ds_bpermute_b32 v62, v68, v6
	v_and_b32_e32 v81, 1, v63
	s_waitcnt lgkmcnt(1)
	v_and_b32_e32 v80, 1, v80
	v_cmp_eq_u32_e32 vcc, 1, v81
	s_nop 1
	v_cndmask_b32_e64 v80, v80, 1, vcc
	v_cmp_eq_u16_sdwa vcc, v63, v61 src0_sel:BYTE_0 src1_sel:DWORD
	v_and_b32_e32 v81, 0xffff, v80
	s_waitcnt lgkmcnt(0)
	v_cndmask_b32_e32 v62, 0, v62, vcc
	v_cmp_gt_u32_e32 vcc, v69, v9
	s_nop 1
	v_cndmask_b32_e32 v7, v81, v7, vcc
	v_cndmask_b32_e32 v63, v80, v63, vcc
	ds_bpermute_b32 v80, v70, v7
	v_cndmask_b32_e64 v62, v62, 0, vcc
	v_add_u32_e32 v6, v62, v6
	ds_bpermute_b32 v62, v70, v6
	v_and_b32_e32 v81, 1, v63
	s_waitcnt lgkmcnt(1)
	v_and_b32_e32 v80, 1, v80
	v_cmp_eq_u32_e32 vcc, 1, v81
	s_nop 1
	v_cndmask_b32_e64 v80, v80, 1, vcc
	v_cmp_eq_u16_sdwa vcc, v63, v61 src0_sel:BYTE_0 src1_sel:DWORD
	v_and_b32_e32 v81, 0xffff, v80
	s_waitcnt lgkmcnt(0)
	v_cndmask_b32_e32 v62, 0, v62, vcc
	v_cmp_gt_u32_e32 vcc, v71, v9
	s_nop 1
	v_cndmask_b32_e32 v7, v81, v7, vcc
	v_cndmask_b32_e32 v63, v80, v63, vcc
	ds_bpermute_b32 v80, v72, v7
	v_cndmask_b32_e64 v62, v62, 0, vcc
	;; [unrolled: 18-line block ×3, first 2 shown]
	v_add_u32_e32 v6, v62, v6
	ds_bpermute_b32 v62, v74, v6
	v_and_b32_e32 v81, 1, v63
	s_waitcnt lgkmcnt(1)
	v_and_b32_e32 v80, 1, v80
	v_cmp_eq_u32_e32 vcc, 1, v81
	s_nop 1
	v_cndmask_b32_e64 v80, v80, 1, vcc
	v_cmp_eq_u16_sdwa vcc, v63, v61 src0_sel:BYTE_0 src1_sel:DWORD
	v_and_b32_e32 v81, 0xffff, v80
	s_waitcnt lgkmcnt(0)
	v_cndmask_b32_e32 v62, 0, v62, vcc
	v_cmp_gt_u32_e32 vcc, v76, v9
	s_nop 1
	v_cndmask_b32_e64 v62, v62, 0, vcc
	v_cndmask_b32_e32 v7, v81, v7, vcc
	ds_bpermute_b32 v7, v78, v7
	v_add_u32_e32 v6, v62, v6
	ds_bpermute_b32 v62, v78, v6
	v_cndmask_b32_e32 v63, v80, v63, vcc
	v_and_b32_e32 v80, 1, v63
	v_cmp_eq_u32_e32 vcc, 1, v80
	s_waitcnt lgkmcnt(1)
	s_nop 0
	v_cndmask_b32_e64 v7, v7, 1, vcc
	v_cmp_eq_u16_sdwa vcc, v63, v61 src0_sel:BYTE_0 src1_sel:DWORD
	s_waitcnt lgkmcnt(0)
	s_nop 0
	v_cndmask_b32_e32 v62, 0, v62, vcc
	v_cmp_gt_u32_e32 vcc, v79, v9
	s_nop 1
	v_cndmask_b32_e64 v9, v62, 0, vcc
	v_cndmask_b32_e32 v7, v7, v63, vcc
	v_add_u32_e32 v6, v9, v6
	v_cmp_eq_u16_sdwa vcc, v75, v61 src0_sel:BYTE_0 src1_sel:DWORD
	v_and_b32_e32 v9, 1, v75
	v_and_b32_e32 v7, 1, v7
	v_cndmask_b32_e32 v6, 0, v6, vcc
	v_cmp_eq_u32_e32 vcc, 1, v9
	v_add_u32_e32 v6, v6, v77
	s_nop 0
	v_cndmask_b32_e64 v7, v7, 1, vcc
.LBB1745_178:                           ; =>This Loop Header: Depth=1
                                        ;     Child Loop BB1745_181 Depth 2
	v_cmp_ne_u16_sdwa s[0:1], v8, v3 src0_sel:BYTE_0 src1_sel:DWORD
	v_mov_b32_e32 v75, v7
	v_mov_b32_e32 v77, v6
	v_cndmask_b32_e64 v7, 0, 1, s[0:1]
	;;#ASMSTART
	;;#ASMEND
	s_nop 0
	v_cmp_ne_u32_e32 vcc, 0, v7
	s_cmp_lg_u64 vcc, exec
	s_cbranch_scc1 .LBB1745_183
; %bb.179:                              ;   in Loop: Header=BB1745_178 Depth=1
	v_lshl_add_u64 v[62:63], v[60:61], 4, s[64:65]
	;;#ASMSTART
	global_load_dwordx4 v[6:9], v[62:63] off sc1	
s_waitcnt vmcnt(0)
	;;#ASMEND
	s_nop 0
	v_and_b32_e32 v9, 0xff0000, v6
	v_and_b32_e32 v80, 0xff000000, v6
	;; [unrolled: 1-line block ×3, first 2 shown]
	v_or_b32_sdwa v6, v6, v9 dst_sel:DWORD dst_unused:UNUSED_PAD src0_sel:WORD_0 src1_sel:DWORD
	v_or3_b32 v7, 0, 0, v7
	v_or3_b32 v6, v6, v80, 0
	v_cmp_eq_u16_sdwa s[60:61], v8, v61 src0_sel:BYTE_0 src1_sel:DWORD
	s_and_saveexec_b64 s[0:1], s[60:61]
	s_cbranch_execz .LBB1745_177
; %bb.180:                              ;   in Loop: Header=BB1745_178 Depth=1
	s_mov_b64 s[60:61], 0
.LBB1745_181:                           ;   Parent Loop BB1745_178 Depth=1
                                        ; =>  This Inner Loop Header: Depth=2
	;;#ASMSTART
	global_load_dwordx4 v[6:9], v[62:63] off sc1	
s_waitcnt vmcnt(0)
	;;#ASMEND
	s_nop 0
	v_cmp_ne_u16_sdwa s[76:77], v8, v61 src0_sel:BYTE_0 src1_sel:DWORD
	s_or_b64 s[60:61], s[76:77], s[60:61]
	s_andn2_b64 exec, exec, s[60:61]
	s_cbranch_execnz .LBB1745_181
; %bb.182:                              ;   in Loop: Header=BB1745_178 Depth=1
	s_or_b64 exec, exec, s[60:61]
	v_and_b32_e32 v7, 0xff, v7
	s_branch .LBB1745_177
.LBB1745_183:                           ;   in Loop: Header=BB1745_178 Depth=1
                                        ; implicit-def: $vgpr7
                                        ; implicit-def: $vgpr6
                                        ; implicit-def: $vgpr8
	s_cbranch_execz .LBB1745_178
; %bb.184:
	s_and_saveexec_b64 s[0:1], s[50:51]
	s_cbranch_execz .LBB1745_186
; %bb.185:
	s_and_b32 s50, s68, 0xff
	s_cmp_eq_u32 s50, 0
	s_cselect_b64 vcc, -1, 0
	s_bitcmp1_b32 s68, 0
	s_mov_b32 s51, 0
	s_cselect_b64 s[58:59], -1, 0
	s_add_i32 s50, s67, 64
	s_lshl_b64 s[50:51], s[50:51], 4
	v_cndmask_b32_e32 v3, 0, v77, vcc
	s_add_u32 s50, s64, s50
	v_add_u32_e32 v2, v3, v2
	v_and_b32_e32 v3, 1, v75
	s_addc_u32 s51, s65, s51
	v_mov_b32_e32 v5, 0
	v_cndmask_b32_e64 v3, v3, 1, s[58:59]
	v_mov_b32_e32 v4, 2
	v_mov_b64_e32 v[6:7], s[50:51]
	;;#ASMSTART
	global_store_dwordx4 v[6:7], v[2:5] off sc1	
s_waitcnt vmcnt(0)
	;;#ASMEND
.LBB1745_186:
	s_or_b64 exec, exec, s[0:1]
	s_and_b64 exec, exec, s[52:53]
	s_cbranch_execz .LBB1745_188
; %bb.187:
	v_mov_b32_e32 v2, 0
	ds_write_b32 v2, v77
	ds_write_b8 v2, v75 offset:4
.LBB1745_188:
	s_or_b64 exec, exec, s[56:57]
	v_mov_b32_e32 v2, 0
	s_waitcnt lgkmcnt(0)
	s_barrier
	ds_read_b32 v3, v2
	v_cmp_eq_u16_sdwa vcc, v65, v2 src0_sel:BYTE_0 src1_sel:DWORD
	s_waitcnt lgkmcnt(0)
	s_nop 0
	v_cndmask_b32_e32 v4, 0, v3, vcc
	v_add_u32_e32 v4, v4, v64
	v_cndmask_b32_e64 v60, v4, v3, s[52:53]
	v_and_b32_e32 v3, 0xff, v13
	v_cmp_eq_u64_e32 vcc, 0, v[2:3]
	s_nop 1
	v_cndmask_b32_e32 v2, 0, v60, vcc
	v_add_u32_e32 v61, v2, v12
	v_cndmask_b32_e64 v2, 0, v61, s[6:7]
	v_add_u32_e32 v62, v2, v14
	v_cndmask_b32_e64 v2, 0, v62, s[8:9]
	;; [unrolled: 2-line block ×21, first 2 shown]
	v_add_u32_e32 v82, v2, v54
	s_branch .LBB1745_209
.LBB1745_189:
                                        ; implicit-def: $vgpr81
                                        ; implicit-def: $vgpr80
                                        ; implicit-def: $vgpr79
                                        ; implicit-def: $vgpr78
                                        ; implicit-def: $vgpr77
                                        ; implicit-def: $vgpr76
                                        ; implicit-def: $vgpr75
                                        ; implicit-def: $vgpr74
                                        ; implicit-def: $vgpr73
                                        ; implicit-def: $vgpr72
                                        ; implicit-def: $vgpr71
                                        ; implicit-def: $vgpr70
                                        ; implicit-def: $vgpr69
                                        ; implicit-def: $vgpr68
                                        ; implicit-def: $vgpr67
                                        ; implicit-def: $vgpr66
                                        ; implicit-def: $vgpr65
                                        ; implicit-def: $vgpr64
                                        ; implicit-def: $vgpr63
                                        ; implicit-def: $vgpr62
                                        ; implicit-def: $vgpr61
                                        ; implicit-def: $vgpr60
                                        ; implicit-def: $vgpr82
	s_cbranch_execz .LBB1745_209
; %bb.190:
	s_cmp_lg_u64 s[72:73], 0
	s_cselect_b32 s7, s71, 0
	s_cselect_b32 s6, s70, 0
	s_mov_b32 s0, 0
	s_cmp_eq_u64 s[6:7], 0
	v_mov_b32_e32 v4, s74
	s_cbranch_scc1 .LBB1745_192
; %bb.191:
	v_mov_b32_e32 v2, 0
	global_load_dword v4, v2, s[6:7]
.LBB1745_192:
	s_mov_b32 s1, 1
	v_cmp_gt_u64_e32 vcc, s[0:1], v[14:15]
	v_cmp_gt_u64_e64 s[6:7], s[0:1], v[16:17]
	v_cmp_gt_u64_e64 s[8:9], s[0:1], v[18:19]
	v_cndmask_b32_e32 v2, 0, v12, vcc
	v_add_u32_e32 v2, v2, v14
	v_cndmask_b32_e64 v2, 0, v2, s[6:7]
	v_add_u32_e32 v2, v2, v16
	v_cndmask_b32_e64 v2, 0, v2, s[8:9]
	v_add_u32_e32 v2, v2, v18
	v_cmp_gt_u64_e64 s[10:11], s[0:1], v[20:21]
	v_cmp_gt_u64_e64 s[12:13], s[0:1], v[22:23]
	v_cmp_gt_u64_e64 s[14:15], s[0:1], v[24:25]
	v_cndmask_b32_e64 v2, 0, v2, s[10:11]
	v_add_u32_e32 v2, v2, v20
	v_cndmask_b32_e64 v2, 0, v2, s[12:13]
	v_add_u32_e32 v2, v2, v22
	v_cndmask_b32_e64 v2, 0, v2, s[14:15]
	v_add_u32_e32 v2, v2, v24
	v_cmp_gt_u64_e64 s[16:17], s[0:1], v[26:27]
	v_cmp_gt_u64_e64 s[18:19], s[0:1], v[28:29]
	v_cmp_gt_u64_e64 s[20:21], s[0:1], v[30:31]
	v_cndmask_b32_e64 v2, 0, v2, s[16:17]
	v_add_u32_e32 v2, v2, v26
	v_cndmask_b32_e64 v2, 0, v2, s[18:19]
	v_add_u32_e32 v2, v2, v28
	v_cndmask_b32_e64 v2, 0, v2, s[20:21]
	v_add_u32_e32 v2, v2, v30
	v_cmp_gt_u64_e64 s[22:23], s[0:1], v[32:33]
	v_cmp_gt_u64_e64 s[24:25], s[0:1], v[34:35]
	v_cmp_gt_u64_e64 s[26:27], s[0:1], v[36:37]
	v_cndmask_b32_e64 v2, 0, v2, s[22:23]
	v_add_u32_e32 v2, v2, v32
	v_cndmask_b32_e64 v2, 0, v2, s[24:25]
	v_add_u32_e32 v2, v2, v34
	v_cndmask_b32_e64 v2, 0, v2, s[26:27]
	v_add_u32_e32 v2, v2, v36
	v_cmp_gt_u64_e64 s[28:29], s[0:1], v[38:39]
	v_cmp_gt_u64_e64 s[30:31], s[0:1], v[40:41]
	v_cmp_gt_u64_e64 s[34:35], s[0:1], v[42:43]
	v_cndmask_b32_e64 v2, 0, v2, s[28:29]
	v_add_u32_e32 v2, v2, v38
	v_cndmask_b32_e64 v2, 0, v2, s[30:31]
	v_add_u32_e32 v2, v2, v40
	v_cndmask_b32_e64 v2, 0, v2, s[34:35]
	v_add_u32_e32 v2, v2, v42
	v_cmp_gt_u64_e64 s[36:37], s[0:1], v[44:45]
	v_cmp_gt_u64_e64 s[38:39], s[0:1], v[46:47]
	v_cmp_gt_u64_e64 s[40:41], s[0:1], v[48:49]
	v_cndmask_b32_e64 v2, 0, v2, s[36:37]
	v_add_u32_e32 v2, v2, v44
	v_cndmask_b32_e64 v2, 0, v2, s[38:39]
	v_add_u32_e32 v2, v2, v46
	v_cndmask_b32_e64 v2, 0, v2, s[40:41]
	v_add_u32_e32 v2, v2, v48
	v_cmp_gt_u64_e64 s[42:43], s[0:1], v[50:51]
	v_cmp_gt_u64_e64 s[44:45], s[0:1], v[52:53]
	v_cmp_gt_u64_e64 s[46:47], s[0:1], v[54:55]
	v_cndmask_b32_e64 v2, 0, v2, s[42:43]
	v_add_u32_e32 v2, v2, v50
	v_cndmask_b32_e64 v2, 0, v2, s[44:45]
	v_add_u32_e32 v2, v2, v52
	v_cndmask_b32_e64 v2, 0, v2, s[46:47]
	v_add_u32_e32 v2, v2, v54
	v_cmp_gt_u64_e64 s[0:1], s[0:1], v[58:59]
	v_add_lshl_u32 v1, v1, v0, 3
	s_nop 0
	v_cndmask_b32_e64 v2, 0, v2, s[0:1]
	v_add_u32_e32 v5, v2, v58
	v_or3_b32 v2, v57, v53, v51
	v_or3_b32 v2, v2, v49, v47
	v_or3_b32 v2, v2, v45, v43
	v_or3_b32 v2, v2, v41, v39
	v_or3_b32 v2, v2, v37, v35
	v_or3_b32 v2, v2, v33, v31
	v_or3_b32 v2, v2, v29, v27
	v_or3_b32 v2, v2, v25, v23
	v_or3_b32 v2, v2, v21, v19
	v_or3_b32 v2, v2, v17, v15
	v_and_b32_e32 v2, 1, v2
	v_cmp_eq_u32_e64 s[0:1], 1, v2
	s_nop 1
	v_cndmask_b32_e64 v6, v13, 1, s[0:1]
	v_cmp_gt_u32_e64 s[0:1], 64, v0
	ds_write_b32 v1, v5
	ds_write_b8 v1, v6 offset:4
	s_waitcnt lgkmcnt(0)
	s_barrier
	s_and_saveexec_b64 s[48:49], s[0:1]
	s_cbranch_execz .LBB1745_204
; %bb.193:
	v_lshrrev_b32_e32 v1, 3, v0
	v_add_lshl_u32 v1, v1, v56, 3
	ds_read2_b32 v[8:9], v1 offset0:2 offset1:4
	ds_read_b64 v[2:3], v1
	ds_read_u8 v15, v1 offset:12
	ds_read_u8 v17, v1 offset:20
	ds_read_b32 v19, v1 offset:24
	ds_read_u8 v21, v1 offset:28
	v_mov_b32_e32 v23, 0
	s_waitcnt lgkmcnt(3)
	v_cmp_eq_u16_sdwa s[0:1], v15, v23 src0_sel:BYTE_0 src1_sel:DWORD
	v_and_b32_e32 v7, 1, v3
	s_nop 0
	v_cndmask_b32_e64 v25, 0, v2, s[0:1]
	v_add_u32_e32 v8, v25, v8
	s_waitcnt lgkmcnt(2)
	v_cmp_eq_u16_sdwa s[0:1], v17, v23 src0_sel:BYTE_0 src1_sel:DWORD
	s_nop 1
	v_cndmask_b32_e64 v8, 0, v8, s[0:1]
	v_add_u32_e32 v8, v8, v9
	s_waitcnt lgkmcnt(0)
	v_cmp_eq_u16_e64 s[0:1], 0, v21
	s_nop 1
	v_cndmask_b32_e64 v8, 0, v8, s[0:1]
	v_add_u32_e32 v9, v8, v19
	v_or_b32_e32 v8, v21, v17
	v_or_b32_e32 v8, v8, v15
	v_and_b32_e32 v8, 1, v8
	v_cmp_eq_u32_e64 s[0:1], 1, v8
	v_mbcnt_lo_u32_b32 v15, -1, 0
	v_and_b32_e32 v8, 0xffffff00, v3
	v_cndmask_b32_e64 v17, v7, 1, s[0:1]
	v_mbcnt_hi_u32_b32 v15, -1, v15
	v_and_b32_e32 v21, 15, v15
	v_or_b32_sdwa v19, v8, v17 dst_sel:DWORD dst_unused:UNUSED_PAD src0_sel:DWORD src1_sel:WORD_0
	v_mov_b32_dpp v23, v9 row_shr:1 row_mask:0xf bank_mask:0xf
	v_cmp_ne_u32_e64 s[0:1], 0, v21
	v_mov_b32_dpp v25, v19 row_shr:1 row_mask:0xf bank_mask:0xf
	s_and_saveexec_b64 s[50:51], s[0:1]
; %bb.194:
	v_and_b32_e32 v19, 1, v17
	v_and_b32_e32 v25, 1, v25
	v_cmp_eq_u32_e64 s[0:1], 1, v19
	s_nop 1
	v_cndmask_b32_e64 v25, v25, 1, s[0:1]
	v_cmp_eq_u16_e64 s[0:1], 0, v17
	v_or_b32_sdwa v19, v8, v25 dst_sel:DWORD dst_unused:UNUSED_PAD src0_sel:DWORD src1_sel:WORD_0
	s_nop 0
	v_cndmask_b32_e64 v17, 0, v23, s[0:1]
	v_add_u32_e32 v9, v17, v9
	v_mov_b32_e32 v17, v25
; %bb.195:
	s_or_b64 exec, exec, s[50:51]
	v_mov_b32_dpp v23, v9 row_shr:2 row_mask:0xf bank_mask:0xf
	v_mov_b32_dpp v25, v19 row_shr:2 row_mask:0xf bank_mask:0xf
	v_cmp_lt_u32_e64 s[0:1], 1, v21
	s_and_saveexec_b64 s[50:51], s[0:1]
; %bb.196:
	v_and_b32_e32 v19, 1, v17
	v_and_b32_e32 v25, 1, v25
	v_cmp_eq_u32_e64 s[0:1], 1, v19
	s_nop 1
	v_cndmask_b32_e64 v25, v25, 1, s[0:1]
	v_cmp_eq_u16_e64 s[0:1], 0, v17
	v_or_b32_sdwa v19, v8, v25 dst_sel:DWORD dst_unused:UNUSED_PAD src0_sel:DWORD src1_sel:WORD_0
	s_nop 0
	v_cndmask_b32_e64 v17, 0, v23, s[0:1]
	v_add_u32_e32 v9, v17, v9
	v_mov_b32_e32 v17, v25
; %bb.197:
	s_or_b64 exec, exec, s[50:51]
	v_mov_b32_dpp v23, v9 row_shr:4 row_mask:0xf bank_mask:0xf
	v_mov_b32_dpp v25, v19 row_shr:4 row_mask:0xf bank_mask:0xf
	v_cmp_lt_u32_e64 s[0:1], 3, v21
	;; [unrolled: 18-line block ×3, first 2 shown]
	s_and_saveexec_b64 s[50:51], s[0:1]
; %bb.200:
	v_and_b32_e32 v19, 1, v17
	v_and_b32_e32 v21, 1, v25
	v_cmp_eq_u32_e64 s[0:1], 1, v19
	s_nop 1
	v_cndmask_b32_e64 v21, v21, 1, s[0:1]
	v_cmp_eq_u16_e64 s[0:1], 0, v17
	v_or_b32_sdwa v19, v8, v21 dst_sel:DWORD dst_unused:UNUSED_PAD src0_sel:DWORD src1_sel:WORD_0
	s_nop 0
	v_cndmask_b32_e64 v17, 0, v23, s[0:1]
	v_add_u32_e32 v9, v17, v9
	v_mov_b32_e32 v17, v21
; %bb.201:
	s_or_b64 exec, exec, s[50:51]
	v_and_b32_e32 v25, 16, v15
	v_mov_b32_dpp v21, v9 row_bcast:15 row_mask:0xf bank_mask:0xf
	v_mov_b32_dpp v23, v19 row_bcast:15 row_mask:0xf bank_mask:0xf
	v_cmp_ne_u32_e64 s[0:1], 0, v25
	s_and_saveexec_b64 s[50:51], s[0:1]
; %bb.202:
	v_and_b32_e32 v19, 1, v17
	v_and_b32_e32 v23, 1, v23
	v_cmp_eq_u32_e64 s[0:1], 1, v19
	s_nop 1
	v_cndmask_b32_e64 v23, v23, 1, s[0:1]
	v_cmp_eq_u16_e64 s[0:1], 0, v17
	v_or_b32_sdwa v19, v8, v23 dst_sel:DWORD dst_unused:UNUSED_PAD src0_sel:DWORD src1_sel:WORD_0
	s_nop 0
	v_cndmask_b32_e64 v17, 0, v21, s[0:1]
	v_add_u32_e32 v9, v17, v9
	v_mov_b32_e32 v17, v23
; %bb.203:
	s_or_b64 exec, exec, s[50:51]
	v_mov_b32_dpp v19, v19 row_bcast:31 row_mask:0xf bank_mask:0xf
	v_and_b32_e32 v23, 1, v17
	v_and_b32_e32 v19, 1, v19
	v_cmp_eq_u32_e64 s[0:1], 1, v23
	v_mov_b32_e32 v23, 0
	v_cmp_eq_u16_sdwa s[50:51], v17, v23 src0_sel:BYTE_0 src1_sel:DWORD
	v_cndmask_b32_e64 v19, v19, 1, s[0:1]
	v_cmp_lt_u32_e64 s[0:1], 31, v15
	v_mov_b32_dpp v21, v9 row_bcast:31 row_mask:0xf bank_mask:0xf
	s_movk_i32 s56, 0xff
	v_cndmask_b32_e64 v17, v17, v19, s[0:1]
	s_and_b64 s[0:1], s[0:1], s[50:51]
	v_cndmask_b32_e64 v19, 0, v21, s[0:1]
	v_add_u32_e32 v9, v19, v9
	v_add_u32_e32 v19, -1, v15
	v_and_b32_e32 v21, 64, v15
	v_cmp_lt_i32_e64 s[0:1], v19, v21
	v_and_or_b32 v8, v17, s56, v8
	s_nop 0
	v_cndmask_b32_e64 v15, v19, v15, s[0:1]
	v_lshlrev_b32_e32 v15, 2, v15
	ds_bpermute_b32 v9, v15, v9
	ds_bpermute_b32 v8, v15, v8
	v_cmp_eq_u16_sdwa s[0:1], v3, v23 src0_sel:BYTE_0 src1_sel:DWORD
	; wave barrier
	s_waitcnt lgkmcnt(1)
	s_nop 0
	v_cndmask_b32_e64 v3, 0, v9, s[0:1]
	v_add_u32_e32 v2, v3, v2
	s_waitcnt lgkmcnt(0)
	v_and_b32_e32 v3, 1, v8
	v_cmp_eq_u32_e64 s[0:1], 1, v7
	v_cndmask_b32_e64 v5, v2, v5, s[52:53]
	s_nop 0
	v_cndmask_b32_e64 v3, v3, 1, s[0:1]
	v_cndmask_b32_e64 v6, v3, v6, s[52:53]
	ds_write_b32 v1, v5
	ds_write_b8 v1, v6 offset:4
	; wave barrier
	ds_read_u8 v7, v1 offset:12
	ds_read2_b32 v[2:3], v1 offset0:2 offset1:4
	ds_read_u8 v8, v1 offset:20
	ds_read_b32 v9, v1 offset:24
	ds_read_u8 v15, v1 offset:28
	s_waitcnt lgkmcnt(4)
	v_cmp_eq_u16_e64 s[0:1], 0, v7
	s_nop 1
	v_cndmask_b32_e64 v5, 0, v5, s[0:1]
	s_waitcnt lgkmcnt(3)
	v_add_u32_e32 v2, v5, v2
	v_and_b32_e32 v5, 1, v7
	v_cmp_eq_u32_e64 s[0:1], 1, v5
	s_nop 1
	v_cndmask_b32_e64 v5, v6, 1, s[0:1]
	s_waitcnt lgkmcnt(2)
	v_cmp_eq_u16_e64 s[0:1], 0, v8
	ds_write_b8 v1, v5 offset:12
	s_nop 0
	v_cndmask_b32_e64 v6, 0, v2, s[0:1]
	v_add_u32_e32 v3, v6, v3
	v_and_b32_e32 v6, 1, v8
	v_cmp_eq_u32_e64 s[0:1], 1, v6
	s_nop 1
	v_cndmask_b32_e64 v5, v5, 1, s[0:1]
	s_waitcnt lgkmcnt(1)
	v_cmp_eq_u16_e64 s[0:1], 0, v15
	ds_write2_b32 v1, v2, v3 offset0:2 offset1:4
	ds_write_b8 v1, v5 offset:20
	v_cndmask_b32_e64 v2, 0, v3, s[0:1]
	v_and_b32_e32 v3, 1, v15
	v_add_u32_e32 v2, v2, v9
	v_cmp_eq_u32_e64 s[0:1], 1, v3
	s_nop 1
	v_cndmask_b32_e64 v3, v5, 1, s[0:1]
	ds_write_b32 v1, v2 offset:24
	ds_write_b8 v1, v3 offset:28
.LBB1745_204:
	s_or_b64 exec, exec, s[48:49]
	s_waitcnt vmcnt(0)
	v_mov_b32_e32 v60, v4
	s_waitcnt lgkmcnt(0)
	s_barrier
	s_and_saveexec_b64 s[48:49], s[4:5]
	s_cbranch_execz .LBB1745_206
; %bb.205:
	v_add_u32_e32 v1, -1, v0
	v_lshrrev_b32_e32 v2, 5, v1
	v_add_lshl_u32 v1, v2, v1, 3
	ds_read_u8 v2, v1 offset:4
	ds_read_b32 v1, v1
	s_waitcnt lgkmcnt(1)
	v_cmp_eq_u16_e64 s[0:1], 0, v2
	s_nop 1
	v_cndmask_b32_e64 v2, 0, v4, s[0:1]
	s_waitcnt lgkmcnt(0)
	v_add_u32_e32 v60, v2, v1
.LBB1745_206:
	s_or_b64 exec, exec, s[48:49]
	v_and_b32_e32 v3, 0xff, v13
	v_mov_b32_e32 v2, 0
	v_cmp_eq_u64_e64 s[0:1], 0, v[2:3]
	s_nop 1
	v_cndmask_b32_e64 v1, 0, v60, s[0:1]
	v_add_u32_e32 v61, v1, v12
	v_cndmask_b32_e32 v1, 0, v61, vcc
	v_add_u32_e32 v62, v1, v14
	v_cndmask_b32_e64 v1, 0, v62, s[6:7]
	v_add_u32_e32 v63, v1, v16
	v_cndmask_b32_e64 v1, 0, v63, s[8:9]
	;; [unrolled: 2-line block ×20, first 2 shown]
	s_and_saveexec_b64 s[0:1], s[52:53]
	s_cbranch_execz .LBB1745_208
; %bb.207:
	ds_read_u8 v3, v2 offset:2100
	ds_read_b32 v5, v2 offset:2096
	s_add_u32 s4, s64, 0x400
	s_addc_u32 s5, s65, 0
	v_mov_b32_e32 v6, 2
	s_waitcnt lgkmcnt(1)
	v_cmp_eq_u16_e32 vcc, 0, v3
	v_mov_b32_e32 v7, v2
	s_nop 0
	v_cndmask_b32_e32 v4, 0, v4, vcc
	s_waitcnt lgkmcnt(0)
	v_add_u32_e32 v4, v4, v5
	v_and_b32_e32 v5, 0xffff, v3
	v_mov_b64_e32 v[2:3], s[4:5]
	;;#ASMSTART
	global_store_dwordx4 v[2:3], v[4:7] off sc1	
s_waitcnt vmcnt(0)
	;;#ASMEND
.LBB1745_208:
	s_or_b64 exec, exec, s[0:1]
	v_add_u32_e32 v82, v1, v54
.LBB1745_209:
	s_add_u32 s0, s62, s54
	s_addc_u32 s1, s63, s55
	v_lshl_add_u64 v[2:3], s[0:1], 0, v[10:11]
	s_and_b64 vcc, exec, s[2:3]
	s_cbranch_vccz .LBB1745_255
; %bb.210:
	s_movk_i32 s0, 0x5c
	v_mul_i32_i24_e32 v28, 0xffffffa8, v0
	v_mul_u32_u24_e32 v1, 0x5c, v0
	v_mad_u32_u24 v4, v0, s0, v28
	s_barrier
	ds_write2_b32 v1, v60, v61 offset1:1
	ds_write2_b32 v1, v62, v63 offset0:2 offset1:3
	ds_write2_b32 v1, v64, v65 offset0:4 offset1:5
	;; [unrolled: 1-line block ×10, first 2 shown]
	ds_write_b32 v1, v82 offset:88
	s_waitcnt lgkmcnt(0)
	s_barrier
	ds_read2st64_b32 v[26:27], v4 offset0:4 offset1:8
	ds_read2st64_b32 v[24:25], v4 offset0:12 offset1:16
	;; [unrolled: 1-line block ×11, first 2 shown]
	s_add_i32 s33, s33, s66
	v_mov_b32_e32 v57, 0
	v_lshl_add_u64 v[6:7], v[2:3], 0, v[56:57]
	v_cmp_gt_u32_e32 vcc, s33, v0
	s_and_saveexec_b64 s[0:1], vcc
	s_cbranch_execz .LBB1745_212
; %bb.211:
	v_add_u32_e32 v1, v1, v28
	ds_read_b32 v1, v1
	s_waitcnt lgkmcnt(0)
	v_cvt_f32_i32_e32 v1, v1
	flat_store_dword v[6:7], v1
.LBB1745_212:
	s_or_b64 exec, exec, s[0:1]
	v_or_b32_e32 v1, 0x100, v0
	v_cmp_gt_u32_e32 vcc, s33, v1
	s_and_saveexec_b64 s[0:1], vcc
	s_cbranch_execz .LBB1745_214
; %bb.213:
	s_waitcnt lgkmcnt(0)
	v_cvt_f32_i32_e32 v1, v26
	flat_store_dword v[6:7], v1 offset:1024
.LBB1745_214:
	s_or_b64 exec, exec, s[0:1]
	v_or_b32_e32 v1, 0x200, v0
	v_cmp_gt_u32_e32 vcc, s33, v1
	s_and_saveexec_b64 s[0:1], vcc
	s_cbranch_execz .LBB1745_216
; %bb.215:
	s_waitcnt lgkmcnt(0)
	v_cvt_f32_i32_e32 v1, v27
	flat_store_dword v[6:7], v1 offset:2048
.LBB1745_216:
	;; [unrolled: 10-line block ×3, first 2 shown]
	s_or_b64 exec, exec, s[0:1]
	v_or_b32_e32 v1, 0x400, v0
	v_cmp_gt_u32_e32 vcc, s33, v1
	s_and_saveexec_b64 s[0:1], vcc
	s_cbranch_execz .LBB1745_220
; %bb.219:
	s_waitcnt lgkmcnt(0)
	v_cvt_f32_i32_e32 v1, v25
	v_add_co_u32_e32 v24, vcc, 0x1000, v6
	s_nop 1
	v_addc_co_u32_e32 v25, vcc, 0, v7, vcc
	flat_store_dword v[24:25], v1
.LBB1745_220:
	s_or_b64 exec, exec, s[0:1]
	v_or_b32_e32 v1, 0x500, v0
	v_cmp_gt_u32_e32 vcc, s33, v1
	s_and_saveexec_b64 s[0:1], vcc
	s_cbranch_execz .LBB1745_222
; %bb.221:
	s_waitcnt lgkmcnt(0)
	v_cvt_f32_i32_e32 v1, v22
	v_add_co_u32_e32 v24, vcc, 0x1000, v6
	s_nop 1
	v_addc_co_u32_e32 v25, vcc, 0, v7, vcc
	flat_store_dword v[24:25], v1 offset:1024
.LBB1745_222:
	s_or_b64 exec, exec, s[0:1]
	v_or_b32_e32 v1, 0x600, v0
	v_cmp_gt_u32_e32 vcc, s33, v1
	s_and_saveexec_b64 s[0:1], vcc
	s_cbranch_execz .LBB1745_224
; %bb.223:
	s_waitcnt lgkmcnt(0)
	v_cvt_f32_i32_e32 v1, v23
	v_add_co_u32_e32 v22, vcc, 0x1000, v6
	s_nop 1
	v_addc_co_u32_e32 v23, vcc, 0, v7, vcc
	flat_store_dword v[22:23], v1 offset:2048
.LBB1745_224:
	s_or_b64 exec, exec, s[0:1]
	v_or_b32_e32 v1, 0x700, v0
	v_cmp_gt_u32_e32 vcc, s33, v1
	s_and_saveexec_b64 s[0:1], vcc
	s_cbranch_execz .LBB1745_226
; %bb.225:
	s_waitcnt lgkmcnt(0)
	v_cvt_f32_i32_e32 v1, v20
	v_add_co_u32_e32 v22, vcc, 0x1000, v6
	s_nop 1
	v_addc_co_u32_e32 v23, vcc, 0, v7, vcc
	flat_store_dword v[22:23], v1 offset:3072
.LBB1745_226:
	s_or_b64 exec, exec, s[0:1]
	v_or_b32_e32 v1, 0x800, v0
	v_cmp_gt_u32_e32 vcc, s33, v1
	s_and_saveexec_b64 s[0:1], vcc
	s_cbranch_execz .LBB1745_228
; %bb.227:
	s_waitcnt lgkmcnt(0)
	v_cvt_f32_i32_e32 v1, v21
	v_add_co_u32_e32 v20, vcc, 0x2000, v6
	s_nop 1
	v_addc_co_u32_e32 v21, vcc, 0, v7, vcc
	flat_store_dword v[20:21], v1
.LBB1745_228:
	s_or_b64 exec, exec, s[0:1]
	v_or_b32_e32 v1, 0x900, v0
	v_cmp_gt_u32_e32 vcc, s33, v1
	s_and_saveexec_b64 s[0:1], vcc
	s_cbranch_execz .LBB1745_230
; %bb.229:
	s_waitcnt lgkmcnt(0)
	v_cvt_f32_i32_e32 v1, v18
	v_add_co_u32_e32 v20, vcc, 0x2000, v6
	s_nop 1
	v_addc_co_u32_e32 v21, vcc, 0, v7, vcc
	flat_store_dword v[20:21], v1 offset:1024
.LBB1745_230:
	s_or_b64 exec, exec, s[0:1]
	v_or_b32_e32 v1, 0xa00, v0
	v_cmp_gt_u32_e32 vcc, s33, v1
	s_and_saveexec_b64 s[0:1], vcc
	s_cbranch_execz .LBB1745_232
; %bb.231:
	s_waitcnt lgkmcnt(0)
	v_cvt_f32_i32_e32 v1, v19
	v_add_co_u32_e32 v18, vcc, 0x2000, v6
	s_nop 1
	v_addc_co_u32_e32 v19, vcc, 0, v7, vcc
	flat_store_dword v[18:19], v1 offset:2048
.LBB1745_232:
	s_or_b64 exec, exec, s[0:1]
	v_or_b32_e32 v1, 0xb00, v0
	v_cmp_gt_u32_e32 vcc, s33, v1
	s_and_saveexec_b64 s[0:1], vcc
	s_cbranch_execz .LBB1745_234
; %bb.233:
	s_waitcnt lgkmcnt(0)
	v_cvt_f32_i32_e32 v1, v16
	v_add_co_u32_e32 v18, vcc, 0x2000, v6
	s_nop 1
	v_addc_co_u32_e32 v19, vcc, 0, v7, vcc
	flat_store_dword v[18:19], v1 offset:3072
.LBB1745_234:
	;; [unrolled: 52-line block ×4, first 2 shown]
	s_or_b64 exec, exec, s[0:1]
	v_or_b32_e32 v1, 0x1400, v0
	v_cmp_gt_u32_e32 vcc, s33, v1
	s_and_saveexec_b64 s[0:1], vcc
	s_cbranch_execz .LBB1745_252
; %bb.251:
	s_waitcnt lgkmcnt(0)
	v_cvt_f32_i32_e32 v1, v9
	v_add_co_u32_e32 v8, vcc, 0x5000, v6
	s_nop 1
	v_addc_co_u32_e32 v9, vcc, 0, v7, vcc
	flat_store_dword v[8:9], v1
.LBB1745_252:
	s_or_b64 exec, exec, s[0:1]
	v_or_b32_e32 v1, 0x1500, v0
	v_cmp_gt_u32_e32 vcc, s33, v1
	s_and_saveexec_b64 s[0:1], vcc
	s_cbranch_execz .LBB1745_254
; %bb.253:
	s_waitcnt lgkmcnt(0)
	v_cvt_f32_i32_e32 v1, v4
	v_add_co_u32_e32 v6, vcc, 0x5000, v6
	s_nop 1
	v_addc_co_u32_e32 v7, vcc, 0, v7, vcc
	flat_store_dword v[6:7], v1 offset:1024
.LBB1745_254:
	s_or_b64 exec, exec, s[0:1]
	s_waitcnt lgkmcnt(0)
	v_or_b32_e32 v4, 0x1600, v0
	v_mov_b32_e32 v1, v57
	v_cmp_gt_u32_e64 s[0:1], s33, v4
	s_branch .LBB1745_257
.LBB1745_255:
	s_mov_b64 s[0:1], 0
                                        ; implicit-def: $vgpr5
	s_cbranch_execz .LBB1745_257
; %bb.256:
	s_movk_i32 s2, 0x5c
	v_mul_i32_i24_e32 v4, 0xffffffa8, v0
	v_mul_u32_u24_e32 v1, 0x5c, v0
	v_mad_u32_u24 v4, v0, s2, v4
	s_barrier
	ds_write2_b32 v1, v60, v61 offset1:1
	ds_write2_b32 v1, v62, v63 offset0:2 offset1:3
	ds_write2_b32 v1, v64, v65 offset0:4 offset1:5
	;; [unrolled: 1-line block ×10, first 2 shown]
	ds_write_b32 v1, v82 offset:88
	s_waitcnt lgkmcnt(0)
	s_barrier
	ds_read2st64_b32 v[6:7], v4 offset1:4
	ds_read2st64_b32 v[8:9], v4 offset0:8 offset1:12
	ds_read2st64_b32 v[10:11], v4 offset0:16 offset1:20
	;; [unrolled: 1-line block ×10, first 2 shown]
	ds_read_b32 v5, v4 offset:22528
	s_waitcnt lgkmcnt(0)
	v_cvt_f32_i32_e32 v4, v6
	v_mov_b32_e32 v1, 0
	v_cvt_f32_i32_e32 v6, v7
	v_mov_b32_e32 v57, v1
	v_cvt_f32_i32_e32 v7, v8
	v_lshl_add_u64 v[28:29], v[2:3], 0, v[56:57]
	v_cvt_f32_i32_e32 v8, v9
	flat_store_dword v[28:29], v4
	flat_store_dword v[28:29], v6 offset:1024
	flat_store_dword v[28:29], v7 offset:2048
	flat_store_dword v[28:29], v8 offset:3072
	v_cvt_f32_i32_e32 v4, v10
	s_movk_i32 s2, 0x1000
	v_cvt_f32_i32_e32 v8, v11
	v_add_co_u32_e32 v6, vcc, s2, v28
	v_cvt_f32_i32_e32 v9, v12
	s_nop 0
	v_addc_co_u32_e32 v7, vcc, 0, v29, vcc
	v_cvt_f32_i32_e32 v10, v13
	flat_store_dword v[6:7], v4
	flat_store_dword v[6:7], v8 offset:1024
	flat_store_dword v[6:7], v9 offset:2048
	flat_store_dword v[6:7], v10 offset:3072
	v_cvt_f32_i32_e32 v4, v14
	s_movk_i32 s2, 0x2000
	v_cvt_f32_i32_e32 v8, v15
	v_add_co_u32_e32 v6, vcc, s2, v28
	v_cvt_f32_i32_e32 v9, v16
	s_nop 0
	v_addc_co_u32_e32 v7, vcc, 0, v29, vcc
	;; [unrolled: 12-line block ×4, first 2 shown]
	v_cvt_f32_i32_e32 v10, v25
	flat_store_dword v[6:7], v4
	flat_store_dword v[6:7], v8 offset:1024
	flat_store_dword v[6:7], v9 offset:2048
	flat_store_dword v[6:7], v10 offset:3072
	v_cvt_f32_i32_e32 v4, v26
	v_cvt_f32_i32_e32 v8, v27
	v_add_co_u32_e32 v6, vcc, 0x5000, v28
	s_or_b64 s[0:1], s[0:1], exec
	s_nop 0
	v_addc_co_u32_e32 v7, vcc, 0, v29, vcc
	flat_store_dword v[6:7], v4
	flat_store_dword v[6:7], v8 offset:1024
.LBB1745_257:
	s_and_saveexec_b64 s[2:3], s[0:1]
	s_cbranch_execz .LBB1745_259
; %bb.258:
	v_lshl_add_u64 v[0:1], v[0:1], 2, v[2:3]
	v_cvt_f32_i32_e32 v2, v5
	v_add_co_u32_e32 v0, vcc, 0x5000, v0
	s_nop 1
	v_addc_co_u32_e32 v1, vcc, 0, v1, vcc
	flat_store_dword v[0:1], v2 offset:2048
	s_endpgm
.LBB1745_259:
	s_endpgm
	.section	.rodata,"a",@progbits
	.p2align	6, 0x0
	.amdhsa_kernel _ZN7rocprim17ROCPRIM_400000_NS6detail17trampoline_kernelINS0_14default_configENS1_27scan_by_key_config_selectorIiiEEZZNS1_16scan_by_key_implILNS1_25lookback_scan_determinismE0ELb1ES3_N6thrust23THRUST_200600_302600_NS6detail15normal_iteratorINS9_10device_ptrIiEEEENSB_INSC_IjEEEENSB_INSC_IfEEEEiNS9_4plusIvEENS9_8equal_toIvEEiEE10hipError_tPvRmT2_T3_T4_T5_mT6_T7_P12ihipStream_tbENKUlT_T0_E_clISt17integral_constantIbLb0EES12_IbLb1EEEEDaSY_SZ_EUlSY_E_NS1_11comp_targetILNS1_3genE5ELNS1_11target_archE942ELNS1_3gpuE9ELNS1_3repE0EEENS1_30default_config_static_selectorELNS0_4arch9wavefront6targetE1EEEvT1_
		.amdhsa_group_segment_fixed_size 25600
		.amdhsa_private_segment_fixed_size 0
		.amdhsa_kernarg_size 112
		.amdhsa_user_sgpr_count 2
		.amdhsa_user_sgpr_dispatch_ptr 0
		.amdhsa_user_sgpr_queue_ptr 0
		.amdhsa_user_sgpr_kernarg_segment_ptr 1
		.amdhsa_user_sgpr_dispatch_id 0
		.amdhsa_user_sgpr_kernarg_preload_length 0
		.amdhsa_user_sgpr_kernarg_preload_offset 0
		.amdhsa_user_sgpr_private_segment_size 0
		.amdhsa_uses_dynamic_stack 0
		.amdhsa_enable_private_segment 0
		.amdhsa_system_sgpr_workgroup_id_x 1
		.amdhsa_system_sgpr_workgroup_id_y 0
		.amdhsa_system_sgpr_workgroup_id_z 0
		.amdhsa_system_sgpr_workgroup_info 0
		.amdhsa_system_vgpr_workitem_id 0
		.amdhsa_next_free_vgpr 83
		.amdhsa_next_free_sgpr 80
		.amdhsa_accum_offset 84
		.amdhsa_reserve_vcc 1
		.amdhsa_float_round_mode_32 0
		.amdhsa_float_round_mode_16_64 0
		.amdhsa_float_denorm_mode_32 3
		.amdhsa_float_denorm_mode_16_64 3
		.amdhsa_dx10_clamp 1
		.amdhsa_ieee_mode 1
		.amdhsa_fp16_overflow 0
		.amdhsa_tg_split 0
		.amdhsa_exception_fp_ieee_invalid_op 0
		.amdhsa_exception_fp_denorm_src 0
		.amdhsa_exception_fp_ieee_div_zero 0
		.amdhsa_exception_fp_ieee_overflow 0
		.amdhsa_exception_fp_ieee_underflow 0
		.amdhsa_exception_fp_ieee_inexact 0
		.amdhsa_exception_int_div_zero 0
	.end_amdhsa_kernel
	.section	.text._ZN7rocprim17ROCPRIM_400000_NS6detail17trampoline_kernelINS0_14default_configENS1_27scan_by_key_config_selectorIiiEEZZNS1_16scan_by_key_implILNS1_25lookback_scan_determinismE0ELb1ES3_N6thrust23THRUST_200600_302600_NS6detail15normal_iteratorINS9_10device_ptrIiEEEENSB_INSC_IjEEEENSB_INSC_IfEEEEiNS9_4plusIvEENS9_8equal_toIvEEiEE10hipError_tPvRmT2_T3_T4_T5_mT6_T7_P12ihipStream_tbENKUlT_T0_E_clISt17integral_constantIbLb0EES12_IbLb1EEEEDaSY_SZ_EUlSY_E_NS1_11comp_targetILNS1_3genE5ELNS1_11target_archE942ELNS1_3gpuE9ELNS1_3repE0EEENS1_30default_config_static_selectorELNS0_4arch9wavefront6targetE1EEEvT1_,"axG",@progbits,_ZN7rocprim17ROCPRIM_400000_NS6detail17trampoline_kernelINS0_14default_configENS1_27scan_by_key_config_selectorIiiEEZZNS1_16scan_by_key_implILNS1_25lookback_scan_determinismE0ELb1ES3_N6thrust23THRUST_200600_302600_NS6detail15normal_iteratorINS9_10device_ptrIiEEEENSB_INSC_IjEEEENSB_INSC_IfEEEEiNS9_4plusIvEENS9_8equal_toIvEEiEE10hipError_tPvRmT2_T3_T4_T5_mT6_T7_P12ihipStream_tbENKUlT_T0_E_clISt17integral_constantIbLb0EES12_IbLb1EEEEDaSY_SZ_EUlSY_E_NS1_11comp_targetILNS1_3genE5ELNS1_11target_archE942ELNS1_3gpuE9ELNS1_3repE0EEENS1_30default_config_static_selectorELNS0_4arch9wavefront6targetE1EEEvT1_,comdat
.Lfunc_end1745:
	.size	_ZN7rocprim17ROCPRIM_400000_NS6detail17trampoline_kernelINS0_14default_configENS1_27scan_by_key_config_selectorIiiEEZZNS1_16scan_by_key_implILNS1_25lookback_scan_determinismE0ELb1ES3_N6thrust23THRUST_200600_302600_NS6detail15normal_iteratorINS9_10device_ptrIiEEEENSB_INSC_IjEEEENSB_INSC_IfEEEEiNS9_4plusIvEENS9_8equal_toIvEEiEE10hipError_tPvRmT2_T3_T4_T5_mT6_T7_P12ihipStream_tbENKUlT_T0_E_clISt17integral_constantIbLb0EES12_IbLb1EEEEDaSY_SZ_EUlSY_E_NS1_11comp_targetILNS1_3genE5ELNS1_11target_archE942ELNS1_3gpuE9ELNS1_3repE0EEENS1_30default_config_static_selectorELNS0_4arch9wavefront6targetE1EEEvT1_, .Lfunc_end1745-_ZN7rocprim17ROCPRIM_400000_NS6detail17trampoline_kernelINS0_14default_configENS1_27scan_by_key_config_selectorIiiEEZZNS1_16scan_by_key_implILNS1_25lookback_scan_determinismE0ELb1ES3_N6thrust23THRUST_200600_302600_NS6detail15normal_iteratorINS9_10device_ptrIiEEEENSB_INSC_IjEEEENSB_INSC_IfEEEEiNS9_4plusIvEENS9_8equal_toIvEEiEE10hipError_tPvRmT2_T3_T4_T5_mT6_T7_P12ihipStream_tbENKUlT_T0_E_clISt17integral_constantIbLb0EES12_IbLb1EEEEDaSY_SZ_EUlSY_E_NS1_11comp_targetILNS1_3genE5ELNS1_11target_archE942ELNS1_3gpuE9ELNS1_3repE0EEENS1_30default_config_static_selectorELNS0_4arch9wavefront6targetE1EEEvT1_
                                        ; -- End function
	.section	.AMDGPU.csdata,"",@progbits
; Kernel info:
; codeLenInByte = 15948
; NumSgprs: 86
; NumVgprs: 83
; NumAgprs: 0
; TotalNumVgprs: 83
; ScratchSize: 0
; MemoryBound: 0
; FloatMode: 240
; IeeeMode: 1
; LDSByteSize: 25600 bytes/workgroup (compile time only)
; SGPRBlocks: 10
; VGPRBlocks: 10
; NumSGPRsForWavesPerEU: 86
; NumVGPRsForWavesPerEU: 83
; AccumOffset: 84
; Occupancy: 2
; WaveLimiterHint : 1
; COMPUTE_PGM_RSRC2:SCRATCH_EN: 0
; COMPUTE_PGM_RSRC2:USER_SGPR: 2
; COMPUTE_PGM_RSRC2:TRAP_HANDLER: 0
; COMPUTE_PGM_RSRC2:TGID_X_EN: 1
; COMPUTE_PGM_RSRC2:TGID_Y_EN: 0
; COMPUTE_PGM_RSRC2:TGID_Z_EN: 0
; COMPUTE_PGM_RSRC2:TIDIG_COMP_CNT: 0
; COMPUTE_PGM_RSRC3_GFX90A:ACCUM_OFFSET: 20
; COMPUTE_PGM_RSRC3_GFX90A:TG_SPLIT: 0
	.section	.text._ZN7rocprim17ROCPRIM_400000_NS6detail17trampoline_kernelINS0_14default_configENS1_27scan_by_key_config_selectorIiiEEZZNS1_16scan_by_key_implILNS1_25lookback_scan_determinismE0ELb1ES3_N6thrust23THRUST_200600_302600_NS6detail15normal_iteratorINS9_10device_ptrIiEEEENSB_INSC_IjEEEENSB_INSC_IfEEEEiNS9_4plusIvEENS9_8equal_toIvEEiEE10hipError_tPvRmT2_T3_T4_T5_mT6_T7_P12ihipStream_tbENKUlT_T0_E_clISt17integral_constantIbLb0EES12_IbLb1EEEEDaSY_SZ_EUlSY_E_NS1_11comp_targetILNS1_3genE4ELNS1_11target_archE910ELNS1_3gpuE8ELNS1_3repE0EEENS1_30default_config_static_selectorELNS0_4arch9wavefront6targetE1EEEvT1_,"axG",@progbits,_ZN7rocprim17ROCPRIM_400000_NS6detail17trampoline_kernelINS0_14default_configENS1_27scan_by_key_config_selectorIiiEEZZNS1_16scan_by_key_implILNS1_25lookback_scan_determinismE0ELb1ES3_N6thrust23THRUST_200600_302600_NS6detail15normal_iteratorINS9_10device_ptrIiEEEENSB_INSC_IjEEEENSB_INSC_IfEEEEiNS9_4plusIvEENS9_8equal_toIvEEiEE10hipError_tPvRmT2_T3_T4_T5_mT6_T7_P12ihipStream_tbENKUlT_T0_E_clISt17integral_constantIbLb0EES12_IbLb1EEEEDaSY_SZ_EUlSY_E_NS1_11comp_targetILNS1_3genE4ELNS1_11target_archE910ELNS1_3gpuE8ELNS1_3repE0EEENS1_30default_config_static_selectorELNS0_4arch9wavefront6targetE1EEEvT1_,comdat
	.protected	_ZN7rocprim17ROCPRIM_400000_NS6detail17trampoline_kernelINS0_14default_configENS1_27scan_by_key_config_selectorIiiEEZZNS1_16scan_by_key_implILNS1_25lookback_scan_determinismE0ELb1ES3_N6thrust23THRUST_200600_302600_NS6detail15normal_iteratorINS9_10device_ptrIiEEEENSB_INSC_IjEEEENSB_INSC_IfEEEEiNS9_4plusIvEENS9_8equal_toIvEEiEE10hipError_tPvRmT2_T3_T4_T5_mT6_T7_P12ihipStream_tbENKUlT_T0_E_clISt17integral_constantIbLb0EES12_IbLb1EEEEDaSY_SZ_EUlSY_E_NS1_11comp_targetILNS1_3genE4ELNS1_11target_archE910ELNS1_3gpuE8ELNS1_3repE0EEENS1_30default_config_static_selectorELNS0_4arch9wavefront6targetE1EEEvT1_ ; -- Begin function _ZN7rocprim17ROCPRIM_400000_NS6detail17trampoline_kernelINS0_14default_configENS1_27scan_by_key_config_selectorIiiEEZZNS1_16scan_by_key_implILNS1_25lookback_scan_determinismE0ELb1ES3_N6thrust23THRUST_200600_302600_NS6detail15normal_iteratorINS9_10device_ptrIiEEEENSB_INSC_IjEEEENSB_INSC_IfEEEEiNS9_4plusIvEENS9_8equal_toIvEEiEE10hipError_tPvRmT2_T3_T4_T5_mT6_T7_P12ihipStream_tbENKUlT_T0_E_clISt17integral_constantIbLb0EES12_IbLb1EEEEDaSY_SZ_EUlSY_E_NS1_11comp_targetILNS1_3genE4ELNS1_11target_archE910ELNS1_3gpuE8ELNS1_3repE0EEENS1_30default_config_static_selectorELNS0_4arch9wavefront6targetE1EEEvT1_
	.globl	_ZN7rocprim17ROCPRIM_400000_NS6detail17trampoline_kernelINS0_14default_configENS1_27scan_by_key_config_selectorIiiEEZZNS1_16scan_by_key_implILNS1_25lookback_scan_determinismE0ELb1ES3_N6thrust23THRUST_200600_302600_NS6detail15normal_iteratorINS9_10device_ptrIiEEEENSB_INSC_IjEEEENSB_INSC_IfEEEEiNS9_4plusIvEENS9_8equal_toIvEEiEE10hipError_tPvRmT2_T3_T4_T5_mT6_T7_P12ihipStream_tbENKUlT_T0_E_clISt17integral_constantIbLb0EES12_IbLb1EEEEDaSY_SZ_EUlSY_E_NS1_11comp_targetILNS1_3genE4ELNS1_11target_archE910ELNS1_3gpuE8ELNS1_3repE0EEENS1_30default_config_static_selectorELNS0_4arch9wavefront6targetE1EEEvT1_
	.p2align	8
	.type	_ZN7rocprim17ROCPRIM_400000_NS6detail17trampoline_kernelINS0_14default_configENS1_27scan_by_key_config_selectorIiiEEZZNS1_16scan_by_key_implILNS1_25lookback_scan_determinismE0ELb1ES3_N6thrust23THRUST_200600_302600_NS6detail15normal_iteratorINS9_10device_ptrIiEEEENSB_INSC_IjEEEENSB_INSC_IfEEEEiNS9_4plusIvEENS9_8equal_toIvEEiEE10hipError_tPvRmT2_T3_T4_T5_mT6_T7_P12ihipStream_tbENKUlT_T0_E_clISt17integral_constantIbLb0EES12_IbLb1EEEEDaSY_SZ_EUlSY_E_NS1_11comp_targetILNS1_3genE4ELNS1_11target_archE910ELNS1_3gpuE8ELNS1_3repE0EEENS1_30default_config_static_selectorELNS0_4arch9wavefront6targetE1EEEvT1_,@function
_ZN7rocprim17ROCPRIM_400000_NS6detail17trampoline_kernelINS0_14default_configENS1_27scan_by_key_config_selectorIiiEEZZNS1_16scan_by_key_implILNS1_25lookback_scan_determinismE0ELb1ES3_N6thrust23THRUST_200600_302600_NS6detail15normal_iteratorINS9_10device_ptrIiEEEENSB_INSC_IjEEEENSB_INSC_IfEEEEiNS9_4plusIvEENS9_8equal_toIvEEiEE10hipError_tPvRmT2_T3_T4_T5_mT6_T7_P12ihipStream_tbENKUlT_T0_E_clISt17integral_constantIbLb0EES12_IbLb1EEEEDaSY_SZ_EUlSY_E_NS1_11comp_targetILNS1_3genE4ELNS1_11target_archE910ELNS1_3gpuE8ELNS1_3repE0EEENS1_30default_config_static_selectorELNS0_4arch9wavefront6targetE1EEEvT1_: ; @_ZN7rocprim17ROCPRIM_400000_NS6detail17trampoline_kernelINS0_14default_configENS1_27scan_by_key_config_selectorIiiEEZZNS1_16scan_by_key_implILNS1_25lookback_scan_determinismE0ELb1ES3_N6thrust23THRUST_200600_302600_NS6detail15normal_iteratorINS9_10device_ptrIiEEEENSB_INSC_IjEEEENSB_INSC_IfEEEEiNS9_4plusIvEENS9_8equal_toIvEEiEE10hipError_tPvRmT2_T3_T4_T5_mT6_T7_P12ihipStream_tbENKUlT_T0_E_clISt17integral_constantIbLb0EES12_IbLb1EEEEDaSY_SZ_EUlSY_E_NS1_11comp_targetILNS1_3genE4ELNS1_11target_archE910ELNS1_3gpuE8ELNS1_3repE0EEENS1_30default_config_static_selectorELNS0_4arch9wavefront6targetE1EEEvT1_
; %bb.0:
	.section	.rodata,"a",@progbits
	.p2align	6, 0x0
	.amdhsa_kernel _ZN7rocprim17ROCPRIM_400000_NS6detail17trampoline_kernelINS0_14default_configENS1_27scan_by_key_config_selectorIiiEEZZNS1_16scan_by_key_implILNS1_25lookback_scan_determinismE0ELb1ES3_N6thrust23THRUST_200600_302600_NS6detail15normal_iteratorINS9_10device_ptrIiEEEENSB_INSC_IjEEEENSB_INSC_IfEEEEiNS9_4plusIvEENS9_8equal_toIvEEiEE10hipError_tPvRmT2_T3_T4_T5_mT6_T7_P12ihipStream_tbENKUlT_T0_E_clISt17integral_constantIbLb0EES12_IbLb1EEEEDaSY_SZ_EUlSY_E_NS1_11comp_targetILNS1_3genE4ELNS1_11target_archE910ELNS1_3gpuE8ELNS1_3repE0EEENS1_30default_config_static_selectorELNS0_4arch9wavefront6targetE1EEEvT1_
		.amdhsa_group_segment_fixed_size 0
		.amdhsa_private_segment_fixed_size 0
		.amdhsa_kernarg_size 112
		.amdhsa_user_sgpr_count 2
		.amdhsa_user_sgpr_dispatch_ptr 0
		.amdhsa_user_sgpr_queue_ptr 0
		.amdhsa_user_sgpr_kernarg_segment_ptr 1
		.amdhsa_user_sgpr_dispatch_id 0
		.amdhsa_user_sgpr_kernarg_preload_length 0
		.amdhsa_user_sgpr_kernarg_preload_offset 0
		.amdhsa_user_sgpr_private_segment_size 0
		.amdhsa_uses_dynamic_stack 0
		.amdhsa_enable_private_segment 0
		.amdhsa_system_sgpr_workgroup_id_x 1
		.amdhsa_system_sgpr_workgroup_id_y 0
		.amdhsa_system_sgpr_workgroup_id_z 0
		.amdhsa_system_sgpr_workgroup_info 0
		.amdhsa_system_vgpr_workitem_id 0
		.amdhsa_next_free_vgpr 1
		.amdhsa_next_free_sgpr 0
		.amdhsa_accum_offset 4
		.amdhsa_reserve_vcc 0
		.amdhsa_float_round_mode_32 0
		.amdhsa_float_round_mode_16_64 0
		.amdhsa_float_denorm_mode_32 3
		.amdhsa_float_denorm_mode_16_64 3
		.amdhsa_dx10_clamp 1
		.amdhsa_ieee_mode 1
		.amdhsa_fp16_overflow 0
		.amdhsa_tg_split 0
		.amdhsa_exception_fp_ieee_invalid_op 0
		.amdhsa_exception_fp_denorm_src 0
		.amdhsa_exception_fp_ieee_div_zero 0
		.amdhsa_exception_fp_ieee_overflow 0
		.amdhsa_exception_fp_ieee_underflow 0
		.amdhsa_exception_fp_ieee_inexact 0
		.amdhsa_exception_int_div_zero 0
	.end_amdhsa_kernel
	.section	.text._ZN7rocprim17ROCPRIM_400000_NS6detail17trampoline_kernelINS0_14default_configENS1_27scan_by_key_config_selectorIiiEEZZNS1_16scan_by_key_implILNS1_25lookback_scan_determinismE0ELb1ES3_N6thrust23THRUST_200600_302600_NS6detail15normal_iteratorINS9_10device_ptrIiEEEENSB_INSC_IjEEEENSB_INSC_IfEEEEiNS9_4plusIvEENS9_8equal_toIvEEiEE10hipError_tPvRmT2_T3_T4_T5_mT6_T7_P12ihipStream_tbENKUlT_T0_E_clISt17integral_constantIbLb0EES12_IbLb1EEEEDaSY_SZ_EUlSY_E_NS1_11comp_targetILNS1_3genE4ELNS1_11target_archE910ELNS1_3gpuE8ELNS1_3repE0EEENS1_30default_config_static_selectorELNS0_4arch9wavefront6targetE1EEEvT1_,"axG",@progbits,_ZN7rocprim17ROCPRIM_400000_NS6detail17trampoline_kernelINS0_14default_configENS1_27scan_by_key_config_selectorIiiEEZZNS1_16scan_by_key_implILNS1_25lookback_scan_determinismE0ELb1ES3_N6thrust23THRUST_200600_302600_NS6detail15normal_iteratorINS9_10device_ptrIiEEEENSB_INSC_IjEEEENSB_INSC_IfEEEEiNS9_4plusIvEENS9_8equal_toIvEEiEE10hipError_tPvRmT2_T3_T4_T5_mT6_T7_P12ihipStream_tbENKUlT_T0_E_clISt17integral_constantIbLb0EES12_IbLb1EEEEDaSY_SZ_EUlSY_E_NS1_11comp_targetILNS1_3genE4ELNS1_11target_archE910ELNS1_3gpuE8ELNS1_3repE0EEENS1_30default_config_static_selectorELNS0_4arch9wavefront6targetE1EEEvT1_,comdat
.Lfunc_end1746:
	.size	_ZN7rocprim17ROCPRIM_400000_NS6detail17trampoline_kernelINS0_14default_configENS1_27scan_by_key_config_selectorIiiEEZZNS1_16scan_by_key_implILNS1_25lookback_scan_determinismE0ELb1ES3_N6thrust23THRUST_200600_302600_NS6detail15normal_iteratorINS9_10device_ptrIiEEEENSB_INSC_IjEEEENSB_INSC_IfEEEEiNS9_4plusIvEENS9_8equal_toIvEEiEE10hipError_tPvRmT2_T3_T4_T5_mT6_T7_P12ihipStream_tbENKUlT_T0_E_clISt17integral_constantIbLb0EES12_IbLb1EEEEDaSY_SZ_EUlSY_E_NS1_11comp_targetILNS1_3genE4ELNS1_11target_archE910ELNS1_3gpuE8ELNS1_3repE0EEENS1_30default_config_static_selectorELNS0_4arch9wavefront6targetE1EEEvT1_, .Lfunc_end1746-_ZN7rocprim17ROCPRIM_400000_NS6detail17trampoline_kernelINS0_14default_configENS1_27scan_by_key_config_selectorIiiEEZZNS1_16scan_by_key_implILNS1_25lookback_scan_determinismE0ELb1ES3_N6thrust23THRUST_200600_302600_NS6detail15normal_iteratorINS9_10device_ptrIiEEEENSB_INSC_IjEEEENSB_INSC_IfEEEEiNS9_4plusIvEENS9_8equal_toIvEEiEE10hipError_tPvRmT2_T3_T4_T5_mT6_T7_P12ihipStream_tbENKUlT_T0_E_clISt17integral_constantIbLb0EES12_IbLb1EEEEDaSY_SZ_EUlSY_E_NS1_11comp_targetILNS1_3genE4ELNS1_11target_archE910ELNS1_3gpuE8ELNS1_3repE0EEENS1_30default_config_static_selectorELNS0_4arch9wavefront6targetE1EEEvT1_
                                        ; -- End function
	.section	.AMDGPU.csdata,"",@progbits
; Kernel info:
; codeLenInByte = 0
; NumSgprs: 6
; NumVgprs: 0
; NumAgprs: 0
; TotalNumVgprs: 0
; ScratchSize: 0
; MemoryBound: 0
; FloatMode: 240
; IeeeMode: 1
; LDSByteSize: 0 bytes/workgroup (compile time only)
; SGPRBlocks: 0
; VGPRBlocks: 0
; NumSGPRsForWavesPerEU: 6
; NumVGPRsForWavesPerEU: 1
; AccumOffset: 4
; Occupancy: 8
; WaveLimiterHint : 0
; COMPUTE_PGM_RSRC2:SCRATCH_EN: 0
; COMPUTE_PGM_RSRC2:USER_SGPR: 2
; COMPUTE_PGM_RSRC2:TRAP_HANDLER: 0
; COMPUTE_PGM_RSRC2:TGID_X_EN: 1
; COMPUTE_PGM_RSRC2:TGID_Y_EN: 0
; COMPUTE_PGM_RSRC2:TGID_Z_EN: 0
; COMPUTE_PGM_RSRC2:TIDIG_COMP_CNT: 0
; COMPUTE_PGM_RSRC3_GFX90A:ACCUM_OFFSET: 0
; COMPUTE_PGM_RSRC3_GFX90A:TG_SPLIT: 0
	.section	.text._ZN7rocprim17ROCPRIM_400000_NS6detail17trampoline_kernelINS0_14default_configENS1_27scan_by_key_config_selectorIiiEEZZNS1_16scan_by_key_implILNS1_25lookback_scan_determinismE0ELb1ES3_N6thrust23THRUST_200600_302600_NS6detail15normal_iteratorINS9_10device_ptrIiEEEENSB_INSC_IjEEEENSB_INSC_IfEEEEiNS9_4plusIvEENS9_8equal_toIvEEiEE10hipError_tPvRmT2_T3_T4_T5_mT6_T7_P12ihipStream_tbENKUlT_T0_E_clISt17integral_constantIbLb0EES12_IbLb1EEEEDaSY_SZ_EUlSY_E_NS1_11comp_targetILNS1_3genE3ELNS1_11target_archE908ELNS1_3gpuE7ELNS1_3repE0EEENS1_30default_config_static_selectorELNS0_4arch9wavefront6targetE1EEEvT1_,"axG",@progbits,_ZN7rocprim17ROCPRIM_400000_NS6detail17trampoline_kernelINS0_14default_configENS1_27scan_by_key_config_selectorIiiEEZZNS1_16scan_by_key_implILNS1_25lookback_scan_determinismE0ELb1ES3_N6thrust23THRUST_200600_302600_NS6detail15normal_iteratorINS9_10device_ptrIiEEEENSB_INSC_IjEEEENSB_INSC_IfEEEEiNS9_4plusIvEENS9_8equal_toIvEEiEE10hipError_tPvRmT2_T3_T4_T5_mT6_T7_P12ihipStream_tbENKUlT_T0_E_clISt17integral_constantIbLb0EES12_IbLb1EEEEDaSY_SZ_EUlSY_E_NS1_11comp_targetILNS1_3genE3ELNS1_11target_archE908ELNS1_3gpuE7ELNS1_3repE0EEENS1_30default_config_static_selectorELNS0_4arch9wavefront6targetE1EEEvT1_,comdat
	.protected	_ZN7rocprim17ROCPRIM_400000_NS6detail17trampoline_kernelINS0_14default_configENS1_27scan_by_key_config_selectorIiiEEZZNS1_16scan_by_key_implILNS1_25lookback_scan_determinismE0ELb1ES3_N6thrust23THRUST_200600_302600_NS6detail15normal_iteratorINS9_10device_ptrIiEEEENSB_INSC_IjEEEENSB_INSC_IfEEEEiNS9_4plusIvEENS9_8equal_toIvEEiEE10hipError_tPvRmT2_T3_T4_T5_mT6_T7_P12ihipStream_tbENKUlT_T0_E_clISt17integral_constantIbLb0EES12_IbLb1EEEEDaSY_SZ_EUlSY_E_NS1_11comp_targetILNS1_3genE3ELNS1_11target_archE908ELNS1_3gpuE7ELNS1_3repE0EEENS1_30default_config_static_selectorELNS0_4arch9wavefront6targetE1EEEvT1_ ; -- Begin function _ZN7rocprim17ROCPRIM_400000_NS6detail17trampoline_kernelINS0_14default_configENS1_27scan_by_key_config_selectorIiiEEZZNS1_16scan_by_key_implILNS1_25lookback_scan_determinismE0ELb1ES3_N6thrust23THRUST_200600_302600_NS6detail15normal_iteratorINS9_10device_ptrIiEEEENSB_INSC_IjEEEENSB_INSC_IfEEEEiNS9_4plusIvEENS9_8equal_toIvEEiEE10hipError_tPvRmT2_T3_T4_T5_mT6_T7_P12ihipStream_tbENKUlT_T0_E_clISt17integral_constantIbLb0EES12_IbLb1EEEEDaSY_SZ_EUlSY_E_NS1_11comp_targetILNS1_3genE3ELNS1_11target_archE908ELNS1_3gpuE7ELNS1_3repE0EEENS1_30default_config_static_selectorELNS0_4arch9wavefront6targetE1EEEvT1_
	.globl	_ZN7rocprim17ROCPRIM_400000_NS6detail17trampoline_kernelINS0_14default_configENS1_27scan_by_key_config_selectorIiiEEZZNS1_16scan_by_key_implILNS1_25lookback_scan_determinismE0ELb1ES3_N6thrust23THRUST_200600_302600_NS6detail15normal_iteratorINS9_10device_ptrIiEEEENSB_INSC_IjEEEENSB_INSC_IfEEEEiNS9_4plusIvEENS9_8equal_toIvEEiEE10hipError_tPvRmT2_T3_T4_T5_mT6_T7_P12ihipStream_tbENKUlT_T0_E_clISt17integral_constantIbLb0EES12_IbLb1EEEEDaSY_SZ_EUlSY_E_NS1_11comp_targetILNS1_3genE3ELNS1_11target_archE908ELNS1_3gpuE7ELNS1_3repE0EEENS1_30default_config_static_selectorELNS0_4arch9wavefront6targetE1EEEvT1_
	.p2align	8
	.type	_ZN7rocprim17ROCPRIM_400000_NS6detail17trampoline_kernelINS0_14default_configENS1_27scan_by_key_config_selectorIiiEEZZNS1_16scan_by_key_implILNS1_25lookback_scan_determinismE0ELb1ES3_N6thrust23THRUST_200600_302600_NS6detail15normal_iteratorINS9_10device_ptrIiEEEENSB_INSC_IjEEEENSB_INSC_IfEEEEiNS9_4plusIvEENS9_8equal_toIvEEiEE10hipError_tPvRmT2_T3_T4_T5_mT6_T7_P12ihipStream_tbENKUlT_T0_E_clISt17integral_constantIbLb0EES12_IbLb1EEEEDaSY_SZ_EUlSY_E_NS1_11comp_targetILNS1_3genE3ELNS1_11target_archE908ELNS1_3gpuE7ELNS1_3repE0EEENS1_30default_config_static_selectorELNS0_4arch9wavefront6targetE1EEEvT1_,@function
_ZN7rocprim17ROCPRIM_400000_NS6detail17trampoline_kernelINS0_14default_configENS1_27scan_by_key_config_selectorIiiEEZZNS1_16scan_by_key_implILNS1_25lookback_scan_determinismE0ELb1ES3_N6thrust23THRUST_200600_302600_NS6detail15normal_iteratorINS9_10device_ptrIiEEEENSB_INSC_IjEEEENSB_INSC_IfEEEEiNS9_4plusIvEENS9_8equal_toIvEEiEE10hipError_tPvRmT2_T3_T4_T5_mT6_T7_P12ihipStream_tbENKUlT_T0_E_clISt17integral_constantIbLb0EES12_IbLb1EEEEDaSY_SZ_EUlSY_E_NS1_11comp_targetILNS1_3genE3ELNS1_11target_archE908ELNS1_3gpuE7ELNS1_3repE0EEENS1_30default_config_static_selectorELNS0_4arch9wavefront6targetE1EEEvT1_: ; @_ZN7rocprim17ROCPRIM_400000_NS6detail17trampoline_kernelINS0_14default_configENS1_27scan_by_key_config_selectorIiiEEZZNS1_16scan_by_key_implILNS1_25lookback_scan_determinismE0ELb1ES3_N6thrust23THRUST_200600_302600_NS6detail15normal_iteratorINS9_10device_ptrIiEEEENSB_INSC_IjEEEENSB_INSC_IfEEEEiNS9_4plusIvEENS9_8equal_toIvEEiEE10hipError_tPvRmT2_T3_T4_T5_mT6_T7_P12ihipStream_tbENKUlT_T0_E_clISt17integral_constantIbLb0EES12_IbLb1EEEEDaSY_SZ_EUlSY_E_NS1_11comp_targetILNS1_3genE3ELNS1_11target_archE908ELNS1_3gpuE7ELNS1_3repE0EEENS1_30default_config_static_selectorELNS0_4arch9wavefront6targetE1EEEvT1_
; %bb.0:
	.section	.rodata,"a",@progbits
	.p2align	6, 0x0
	.amdhsa_kernel _ZN7rocprim17ROCPRIM_400000_NS6detail17trampoline_kernelINS0_14default_configENS1_27scan_by_key_config_selectorIiiEEZZNS1_16scan_by_key_implILNS1_25lookback_scan_determinismE0ELb1ES3_N6thrust23THRUST_200600_302600_NS6detail15normal_iteratorINS9_10device_ptrIiEEEENSB_INSC_IjEEEENSB_INSC_IfEEEEiNS9_4plusIvEENS9_8equal_toIvEEiEE10hipError_tPvRmT2_T3_T4_T5_mT6_T7_P12ihipStream_tbENKUlT_T0_E_clISt17integral_constantIbLb0EES12_IbLb1EEEEDaSY_SZ_EUlSY_E_NS1_11comp_targetILNS1_3genE3ELNS1_11target_archE908ELNS1_3gpuE7ELNS1_3repE0EEENS1_30default_config_static_selectorELNS0_4arch9wavefront6targetE1EEEvT1_
		.amdhsa_group_segment_fixed_size 0
		.amdhsa_private_segment_fixed_size 0
		.amdhsa_kernarg_size 112
		.amdhsa_user_sgpr_count 2
		.amdhsa_user_sgpr_dispatch_ptr 0
		.amdhsa_user_sgpr_queue_ptr 0
		.amdhsa_user_sgpr_kernarg_segment_ptr 1
		.amdhsa_user_sgpr_dispatch_id 0
		.amdhsa_user_sgpr_kernarg_preload_length 0
		.amdhsa_user_sgpr_kernarg_preload_offset 0
		.amdhsa_user_sgpr_private_segment_size 0
		.amdhsa_uses_dynamic_stack 0
		.amdhsa_enable_private_segment 0
		.amdhsa_system_sgpr_workgroup_id_x 1
		.amdhsa_system_sgpr_workgroup_id_y 0
		.amdhsa_system_sgpr_workgroup_id_z 0
		.amdhsa_system_sgpr_workgroup_info 0
		.amdhsa_system_vgpr_workitem_id 0
		.amdhsa_next_free_vgpr 1
		.amdhsa_next_free_sgpr 0
		.amdhsa_accum_offset 4
		.amdhsa_reserve_vcc 0
		.amdhsa_float_round_mode_32 0
		.amdhsa_float_round_mode_16_64 0
		.amdhsa_float_denorm_mode_32 3
		.amdhsa_float_denorm_mode_16_64 3
		.amdhsa_dx10_clamp 1
		.amdhsa_ieee_mode 1
		.amdhsa_fp16_overflow 0
		.amdhsa_tg_split 0
		.amdhsa_exception_fp_ieee_invalid_op 0
		.amdhsa_exception_fp_denorm_src 0
		.amdhsa_exception_fp_ieee_div_zero 0
		.amdhsa_exception_fp_ieee_overflow 0
		.amdhsa_exception_fp_ieee_underflow 0
		.amdhsa_exception_fp_ieee_inexact 0
		.amdhsa_exception_int_div_zero 0
	.end_amdhsa_kernel
	.section	.text._ZN7rocprim17ROCPRIM_400000_NS6detail17trampoline_kernelINS0_14default_configENS1_27scan_by_key_config_selectorIiiEEZZNS1_16scan_by_key_implILNS1_25lookback_scan_determinismE0ELb1ES3_N6thrust23THRUST_200600_302600_NS6detail15normal_iteratorINS9_10device_ptrIiEEEENSB_INSC_IjEEEENSB_INSC_IfEEEEiNS9_4plusIvEENS9_8equal_toIvEEiEE10hipError_tPvRmT2_T3_T4_T5_mT6_T7_P12ihipStream_tbENKUlT_T0_E_clISt17integral_constantIbLb0EES12_IbLb1EEEEDaSY_SZ_EUlSY_E_NS1_11comp_targetILNS1_3genE3ELNS1_11target_archE908ELNS1_3gpuE7ELNS1_3repE0EEENS1_30default_config_static_selectorELNS0_4arch9wavefront6targetE1EEEvT1_,"axG",@progbits,_ZN7rocprim17ROCPRIM_400000_NS6detail17trampoline_kernelINS0_14default_configENS1_27scan_by_key_config_selectorIiiEEZZNS1_16scan_by_key_implILNS1_25lookback_scan_determinismE0ELb1ES3_N6thrust23THRUST_200600_302600_NS6detail15normal_iteratorINS9_10device_ptrIiEEEENSB_INSC_IjEEEENSB_INSC_IfEEEEiNS9_4plusIvEENS9_8equal_toIvEEiEE10hipError_tPvRmT2_T3_T4_T5_mT6_T7_P12ihipStream_tbENKUlT_T0_E_clISt17integral_constantIbLb0EES12_IbLb1EEEEDaSY_SZ_EUlSY_E_NS1_11comp_targetILNS1_3genE3ELNS1_11target_archE908ELNS1_3gpuE7ELNS1_3repE0EEENS1_30default_config_static_selectorELNS0_4arch9wavefront6targetE1EEEvT1_,comdat
.Lfunc_end1747:
	.size	_ZN7rocprim17ROCPRIM_400000_NS6detail17trampoline_kernelINS0_14default_configENS1_27scan_by_key_config_selectorIiiEEZZNS1_16scan_by_key_implILNS1_25lookback_scan_determinismE0ELb1ES3_N6thrust23THRUST_200600_302600_NS6detail15normal_iteratorINS9_10device_ptrIiEEEENSB_INSC_IjEEEENSB_INSC_IfEEEEiNS9_4plusIvEENS9_8equal_toIvEEiEE10hipError_tPvRmT2_T3_T4_T5_mT6_T7_P12ihipStream_tbENKUlT_T0_E_clISt17integral_constantIbLb0EES12_IbLb1EEEEDaSY_SZ_EUlSY_E_NS1_11comp_targetILNS1_3genE3ELNS1_11target_archE908ELNS1_3gpuE7ELNS1_3repE0EEENS1_30default_config_static_selectorELNS0_4arch9wavefront6targetE1EEEvT1_, .Lfunc_end1747-_ZN7rocprim17ROCPRIM_400000_NS6detail17trampoline_kernelINS0_14default_configENS1_27scan_by_key_config_selectorIiiEEZZNS1_16scan_by_key_implILNS1_25lookback_scan_determinismE0ELb1ES3_N6thrust23THRUST_200600_302600_NS6detail15normal_iteratorINS9_10device_ptrIiEEEENSB_INSC_IjEEEENSB_INSC_IfEEEEiNS9_4plusIvEENS9_8equal_toIvEEiEE10hipError_tPvRmT2_T3_T4_T5_mT6_T7_P12ihipStream_tbENKUlT_T0_E_clISt17integral_constantIbLb0EES12_IbLb1EEEEDaSY_SZ_EUlSY_E_NS1_11comp_targetILNS1_3genE3ELNS1_11target_archE908ELNS1_3gpuE7ELNS1_3repE0EEENS1_30default_config_static_selectorELNS0_4arch9wavefront6targetE1EEEvT1_
                                        ; -- End function
	.section	.AMDGPU.csdata,"",@progbits
; Kernel info:
; codeLenInByte = 0
; NumSgprs: 6
; NumVgprs: 0
; NumAgprs: 0
; TotalNumVgprs: 0
; ScratchSize: 0
; MemoryBound: 0
; FloatMode: 240
; IeeeMode: 1
; LDSByteSize: 0 bytes/workgroup (compile time only)
; SGPRBlocks: 0
; VGPRBlocks: 0
; NumSGPRsForWavesPerEU: 6
; NumVGPRsForWavesPerEU: 1
; AccumOffset: 4
; Occupancy: 8
; WaveLimiterHint : 0
; COMPUTE_PGM_RSRC2:SCRATCH_EN: 0
; COMPUTE_PGM_RSRC2:USER_SGPR: 2
; COMPUTE_PGM_RSRC2:TRAP_HANDLER: 0
; COMPUTE_PGM_RSRC2:TGID_X_EN: 1
; COMPUTE_PGM_RSRC2:TGID_Y_EN: 0
; COMPUTE_PGM_RSRC2:TGID_Z_EN: 0
; COMPUTE_PGM_RSRC2:TIDIG_COMP_CNT: 0
; COMPUTE_PGM_RSRC3_GFX90A:ACCUM_OFFSET: 0
; COMPUTE_PGM_RSRC3_GFX90A:TG_SPLIT: 0
	.section	.text._ZN7rocprim17ROCPRIM_400000_NS6detail17trampoline_kernelINS0_14default_configENS1_27scan_by_key_config_selectorIiiEEZZNS1_16scan_by_key_implILNS1_25lookback_scan_determinismE0ELb1ES3_N6thrust23THRUST_200600_302600_NS6detail15normal_iteratorINS9_10device_ptrIiEEEENSB_INSC_IjEEEENSB_INSC_IfEEEEiNS9_4plusIvEENS9_8equal_toIvEEiEE10hipError_tPvRmT2_T3_T4_T5_mT6_T7_P12ihipStream_tbENKUlT_T0_E_clISt17integral_constantIbLb0EES12_IbLb1EEEEDaSY_SZ_EUlSY_E_NS1_11comp_targetILNS1_3genE2ELNS1_11target_archE906ELNS1_3gpuE6ELNS1_3repE0EEENS1_30default_config_static_selectorELNS0_4arch9wavefront6targetE1EEEvT1_,"axG",@progbits,_ZN7rocprim17ROCPRIM_400000_NS6detail17trampoline_kernelINS0_14default_configENS1_27scan_by_key_config_selectorIiiEEZZNS1_16scan_by_key_implILNS1_25lookback_scan_determinismE0ELb1ES3_N6thrust23THRUST_200600_302600_NS6detail15normal_iteratorINS9_10device_ptrIiEEEENSB_INSC_IjEEEENSB_INSC_IfEEEEiNS9_4plusIvEENS9_8equal_toIvEEiEE10hipError_tPvRmT2_T3_T4_T5_mT6_T7_P12ihipStream_tbENKUlT_T0_E_clISt17integral_constantIbLb0EES12_IbLb1EEEEDaSY_SZ_EUlSY_E_NS1_11comp_targetILNS1_3genE2ELNS1_11target_archE906ELNS1_3gpuE6ELNS1_3repE0EEENS1_30default_config_static_selectorELNS0_4arch9wavefront6targetE1EEEvT1_,comdat
	.protected	_ZN7rocprim17ROCPRIM_400000_NS6detail17trampoline_kernelINS0_14default_configENS1_27scan_by_key_config_selectorIiiEEZZNS1_16scan_by_key_implILNS1_25lookback_scan_determinismE0ELb1ES3_N6thrust23THRUST_200600_302600_NS6detail15normal_iteratorINS9_10device_ptrIiEEEENSB_INSC_IjEEEENSB_INSC_IfEEEEiNS9_4plusIvEENS9_8equal_toIvEEiEE10hipError_tPvRmT2_T3_T4_T5_mT6_T7_P12ihipStream_tbENKUlT_T0_E_clISt17integral_constantIbLb0EES12_IbLb1EEEEDaSY_SZ_EUlSY_E_NS1_11comp_targetILNS1_3genE2ELNS1_11target_archE906ELNS1_3gpuE6ELNS1_3repE0EEENS1_30default_config_static_selectorELNS0_4arch9wavefront6targetE1EEEvT1_ ; -- Begin function _ZN7rocprim17ROCPRIM_400000_NS6detail17trampoline_kernelINS0_14default_configENS1_27scan_by_key_config_selectorIiiEEZZNS1_16scan_by_key_implILNS1_25lookback_scan_determinismE0ELb1ES3_N6thrust23THRUST_200600_302600_NS6detail15normal_iteratorINS9_10device_ptrIiEEEENSB_INSC_IjEEEENSB_INSC_IfEEEEiNS9_4plusIvEENS9_8equal_toIvEEiEE10hipError_tPvRmT2_T3_T4_T5_mT6_T7_P12ihipStream_tbENKUlT_T0_E_clISt17integral_constantIbLb0EES12_IbLb1EEEEDaSY_SZ_EUlSY_E_NS1_11comp_targetILNS1_3genE2ELNS1_11target_archE906ELNS1_3gpuE6ELNS1_3repE0EEENS1_30default_config_static_selectorELNS0_4arch9wavefront6targetE1EEEvT1_
	.globl	_ZN7rocprim17ROCPRIM_400000_NS6detail17trampoline_kernelINS0_14default_configENS1_27scan_by_key_config_selectorIiiEEZZNS1_16scan_by_key_implILNS1_25lookback_scan_determinismE0ELb1ES3_N6thrust23THRUST_200600_302600_NS6detail15normal_iteratorINS9_10device_ptrIiEEEENSB_INSC_IjEEEENSB_INSC_IfEEEEiNS9_4plusIvEENS9_8equal_toIvEEiEE10hipError_tPvRmT2_T3_T4_T5_mT6_T7_P12ihipStream_tbENKUlT_T0_E_clISt17integral_constantIbLb0EES12_IbLb1EEEEDaSY_SZ_EUlSY_E_NS1_11comp_targetILNS1_3genE2ELNS1_11target_archE906ELNS1_3gpuE6ELNS1_3repE0EEENS1_30default_config_static_selectorELNS0_4arch9wavefront6targetE1EEEvT1_
	.p2align	8
	.type	_ZN7rocprim17ROCPRIM_400000_NS6detail17trampoline_kernelINS0_14default_configENS1_27scan_by_key_config_selectorIiiEEZZNS1_16scan_by_key_implILNS1_25lookback_scan_determinismE0ELb1ES3_N6thrust23THRUST_200600_302600_NS6detail15normal_iteratorINS9_10device_ptrIiEEEENSB_INSC_IjEEEENSB_INSC_IfEEEEiNS9_4plusIvEENS9_8equal_toIvEEiEE10hipError_tPvRmT2_T3_T4_T5_mT6_T7_P12ihipStream_tbENKUlT_T0_E_clISt17integral_constantIbLb0EES12_IbLb1EEEEDaSY_SZ_EUlSY_E_NS1_11comp_targetILNS1_3genE2ELNS1_11target_archE906ELNS1_3gpuE6ELNS1_3repE0EEENS1_30default_config_static_selectorELNS0_4arch9wavefront6targetE1EEEvT1_,@function
_ZN7rocprim17ROCPRIM_400000_NS6detail17trampoline_kernelINS0_14default_configENS1_27scan_by_key_config_selectorIiiEEZZNS1_16scan_by_key_implILNS1_25lookback_scan_determinismE0ELb1ES3_N6thrust23THRUST_200600_302600_NS6detail15normal_iteratorINS9_10device_ptrIiEEEENSB_INSC_IjEEEENSB_INSC_IfEEEEiNS9_4plusIvEENS9_8equal_toIvEEiEE10hipError_tPvRmT2_T3_T4_T5_mT6_T7_P12ihipStream_tbENKUlT_T0_E_clISt17integral_constantIbLb0EES12_IbLb1EEEEDaSY_SZ_EUlSY_E_NS1_11comp_targetILNS1_3genE2ELNS1_11target_archE906ELNS1_3gpuE6ELNS1_3repE0EEENS1_30default_config_static_selectorELNS0_4arch9wavefront6targetE1EEEvT1_: ; @_ZN7rocprim17ROCPRIM_400000_NS6detail17trampoline_kernelINS0_14default_configENS1_27scan_by_key_config_selectorIiiEEZZNS1_16scan_by_key_implILNS1_25lookback_scan_determinismE0ELb1ES3_N6thrust23THRUST_200600_302600_NS6detail15normal_iteratorINS9_10device_ptrIiEEEENSB_INSC_IjEEEENSB_INSC_IfEEEEiNS9_4plusIvEENS9_8equal_toIvEEiEE10hipError_tPvRmT2_T3_T4_T5_mT6_T7_P12ihipStream_tbENKUlT_T0_E_clISt17integral_constantIbLb0EES12_IbLb1EEEEDaSY_SZ_EUlSY_E_NS1_11comp_targetILNS1_3genE2ELNS1_11target_archE906ELNS1_3gpuE6ELNS1_3repE0EEENS1_30default_config_static_selectorELNS0_4arch9wavefront6targetE1EEEvT1_
; %bb.0:
	.section	.rodata,"a",@progbits
	.p2align	6, 0x0
	.amdhsa_kernel _ZN7rocprim17ROCPRIM_400000_NS6detail17trampoline_kernelINS0_14default_configENS1_27scan_by_key_config_selectorIiiEEZZNS1_16scan_by_key_implILNS1_25lookback_scan_determinismE0ELb1ES3_N6thrust23THRUST_200600_302600_NS6detail15normal_iteratorINS9_10device_ptrIiEEEENSB_INSC_IjEEEENSB_INSC_IfEEEEiNS9_4plusIvEENS9_8equal_toIvEEiEE10hipError_tPvRmT2_T3_T4_T5_mT6_T7_P12ihipStream_tbENKUlT_T0_E_clISt17integral_constantIbLb0EES12_IbLb1EEEEDaSY_SZ_EUlSY_E_NS1_11comp_targetILNS1_3genE2ELNS1_11target_archE906ELNS1_3gpuE6ELNS1_3repE0EEENS1_30default_config_static_selectorELNS0_4arch9wavefront6targetE1EEEvT1_
		.amdhsa_group_segment_fixed_size 0
		.amdhsa_private_segment_fixed_size 0
		.amdhsa_kernarg_size 112
		.amdhsa_user_sgpr_count 2
		.amdhsa_user_sgpr_dispatch_ptr 0
		.amdhsa_user_sgpr_queue_ptr 0
		.amdhsa_user_sgpr_kernarg_segment_ptr 1
		.amdhsa_user_sgpr_dispatch_id 0
		.amdhsa_user_sgpr_kernarg_preload_length 0
		.amdhsa_user_sgpr_kernarg_preload_offset 0
		.amdhsa_user_sgpr_private_segment_size 0
		.amdhsa_uses_dynamic_stack 0
		.amdhsa_enable_private_segment 0
		.amdhsa_system_sgpr_workgroup_id_x 1
		.amdhsa_system_sgpr_workgroup_id_y 0
		.amdhsa_system_sgpr_workgroup_id_z 0
		.amdhsa_system_sgpr_workgroup_info 0
		.amdhsa_system_vgpr_workitem_id 0
		.amdhsa_next_free_vgpr 1
		.amdhsa_next_free_sgpr 0
		.amdhsa_accum_offset 4
		.amdhsa_reserve_vcc 0
		.amdhsa_float_round_mode_32 0
		.amdhsa_float_round_mode_16_64 0
		.amdhsa_float_denorm_mode_32 3
		.amdhsa_float_denorm_mode_16_64 3
		.amdhsa_dx10_clamp 1
		.amdhsa_ieee_mode 1
		.amdhsa_fp16_overflow 0
		.amdhsa_tg_split 0
		.amdhsa_exception_fp_ieee_invalid_op 0
		.amdhsa_exception_fp_denorm_src 0
		.amdhsa_exception_fp_ieee_div_zero 0
		.amdhsa_exception_fp_ieee_overflow 0
		.amdhsa_exception_fp_ieee_underflow 0
		.amdhsa_exception_fp_ieee_inexact 0
		.amdhsa_exception_int_div_zero 0
	.end_amdhsa_kernel
	.section	.text._ZN7rocprim17ROCPRIM_400000_NS6detail17trampoline_kernelINS0_14default_configENS1_27scan_by_key_config_selectorIiiEEZZNS1_16scan_by_key_implILNS1_25lookback_scan_determinismE0ELb1ES3_N6thrust23THRUST_200600_302600_NS6detail15normal_iteratorINS9_10device_ptrIiEEEENSB_INSC_IjEEEENSB_INSC_IfEEEEiNS9_4plusIvEENS9_8equal_toIvEEiEE10hipError_tPvRmT2_T3_T4_T5_mT6_T7_P12ihipStream_tbENKUlT_T0_E_clISt17integral_constantIbLb0EES12_IbLb1EEEEDaSY_SZ_EUlSY_E_NS1_11comp_targetILNS1_3genE2ELNS1_11target_archE906ELNS1_3gpuE6ELNS1_3repE0EEENS1_30default_config_static_selectorELNS0_4arch9wavefront6targetE1EEEvT1_,"axG",@progbits,_ZN7rocprim17ROCPRIM_400000_NS6detail17trampoline_kernelINS0_14default_configENS1_27scan_by_key_config_selectorIiiEEZZNS1_16scan_by_key_implILNS1_25lookback_scan_determinismE0ELb1ES3_N6thrust23THRUST_200600_302600_NS6detail15normal_iteratorINS9_10device_ptrIiEEEENSB_INSC_IjEEEENSB_INSC_IfEEEEiNS9_4plusIvEENS9_8equal_toIvEEiEE10hipError_tPvRmT2_T3_T4_T5_mT6_T7_P12ihipStream_tbENKUlT_T0_E_clISt17integral_constantIbLb0EES12_IbLb1EEEEDaSY_SZ_EUlSY_E_NS1_11comp_targetILNS1_3genE2ELNS1_11target_archE906ELNS1_3gpuE6ELNS1_3repE0EEENS1_30default_config_static_selectorELNS0_4arch9wavefront6targetE1EEEvT1_,comdat
.Lfunc_end1748:
	.size	_ZN7rocprim17ROCPRIM_400000_NS6detail17trampoline_kernelINS0_14default_configENS1_27scan_by_key_config_selectorIiiEEZZNS1_16scan_by_key_implILNS1_25lookback_scan_determinismE0ELb1ES3_N6thrust23THRUST_200600_302600_NS6detail15normal_iteratorINS9_10device_ptrIiEEEENSB_INSC_IjEEEENSB_INSC_IfEEEEiNS9_4plusIvEENS9_8equal_toIvEEiEE10hipError_tPvRmT2_T3_T4_T5_mT6_T7_P12ihipStream_tbENKUlT_T0_E_clISt17integral_constantIbLb0EES12_IbLb1EEEEDaSY_SZ_EUlSY_E_NS1_11comp_targetILNS1_3genE2ELNS1_11target_archE906ELNS1_3gpuE6ELNS1_3repE0EEENS1_30default_config_static_selectorELNS0_4arch9wavefront6targetE1EEEvT1_, .Lfunc_end1748-_ZN7rocprim17ROCPRIM_400000_NS6detail17trampoline_kernelINS0_14default_configENS1_27scan_by_key_config_selectorIiiEEZZNS1_16scan_by_key_implILNS1_25lookback_scan_determinismE0ELb1ES3_N6thrust23THRUST_200600_302600_NS6detail15normal_iteratorINS9_10device_ptrIiEEEENSB_INSC_IjEEEENSB_INSC_IfEEEEiNS9_4plusIvEENS9_8equal_toIvEEiEE10hipError_tPvRmT2_T3_T4_T5_mT6_T7_P12ihipStream_tbENKUlT_T0_E_clISt17integral_constantIbLb0EES12_IbLb1EEEEDaSY_SZ_EUlSY_E_NS1_11comp_targetILNS1_3genE2ELNS1_11target_archE906ELNS1_3gpuE6ELNS1_3repE0EEENS1_30default_config_static_selectorELNS0_4arch9wavefront6targetE1EEEvT1_
                                        ; -- End function
	.section	.AMDGPU.csdata,"",@progbits
; Kernel info:
; codeLenInByte = 0
; NumSgprs: 6
; NumVgprs: 0
; NumAgprs: 0
; TotalNumVgprs: 0
; ScratchSize: 0
; MemoryBound: 0
; FloatMode: 240
; IeeeMode: 1
; LDSByteSize: 0 bytes/workgroup (compile time only)
; SGPRBlocks: 0
; VGPRBlocks: 0
; NumSGPRsForWavesPerEU: 6
; NumVGPRsForWavesPerEU: 1
; AccumOffset: 4
; Occupancy: 8
; WaveLimiterHint : 0
; COMPUTE_PGM_RSRC2:SCRATCH_EN: 0
; COMPUTE_PGM_RSRC2:USER_SGPR: 2
; COMPUTE_PGM_RSRC2:TRAP_HANDLER: 0
; COMPUTE_PGM_RSRC2:TGID_X_EN: 1
; COMPUTE_PGM_RSRC2:TGID_Y_EN: 0
; COMPUTE_PGM_RSRC2:TGID_Z_EN: 0
; COMPUTE_PGM_RSRC2:TIDIG_COMP_CNT: 0
; COMPUTE_PGM_RSRC3_GFX90A:ACCUM_OFFSET: 0
; COMPUTE_PGM_RSRC3_GFX90A:TG_SPLIT: 0
	.section	.text._ZN7rocprim17ROCPRIM_400000_NS6detail17trampoline_kernelINS0_14default_configENS1_27scan_by_key_config_selectorIiiEEZZNS1_16scan_by_key_implILNS1_25lookback_scan_determinismE0ELb1ES3_N6thrust23THRUST_200600_302600_NS6detail15normal_iteratorINS9_10device_ptrIiEEEENSB_INSC_IjEEEENSB_INSC_IfEEEEiNS9_4plusIvEENS9_8equal_toIvEEiEE10hipError_tPvRmT2_T3_T4_T5_mT6_T7_P12ihipStream_tbENKUlT_T0_E_clISt17integral_constantIbLb0EES12_IbLb1EEEEDaSY_SZ_EUlSY_E_NS1_11comp_targetILNS1_3genE10ELNS1_11target_archE1200ELNS1_3gpuE4ELNS1_3repE0EEENS1_30default_config_static_selectorELNS0_4arch9wavefront6targetE1EEEvT1_,"axG",@progbits,_ZN7rocprim17ROCPRIM_400000_NS6detail17trampoline_kernelINS0_14default_configENS1_27scan_by_key_config_selectorIiiEEZZNS1_16scan_by_key_implILNS1_25lookback_scan_determinismE0ELb1ES3_N6thrust23THRUST_200600_302600_NS6detail15normal_iteratorINS9_10device_ptrIiEEEENSB_INSC_IjEEEENSB_INSC_IfEEEEiNS9_4plusIvEENS9_8equal_toIvEEiEE10hipError_tPvRmT2_T3_T4_T5_mT6_T7_P12ihipStream_tbENKUlT_T0_E_clISt17integral_constantIbLb0EES12_IbLb1EEEEDaSY_SZ_EUlSY_E_NS1_11comp_targetILNS1_3genE10ELNS1_11target_archE1200ELNS1_3gpuE4ELNS1_3repE0EEENS1_30default_config_static_selectorELNS0_4arch9wavefront6targetE1EEEvT1_,comdat
	.protected	_ZN7rocprim17ROCPRIM_400000_NS6detail17trampoline_kernelINS0_14default_configENS1_27scan_by_key_config_selectorIiiEEZZNS1_16scan_by_key_implILNS1_25lookback_scan_determinismE0ELb1ES3_N6thrust23THRUST_200600_302600_NS6detail15normal_iteratorINS9_10device_ptrIiEEEENSB_INSC_IjEEEENSB_INSC_IfEEEEiNS9_4plusIvEENS9_8equal_toIvEEiEE10hipError_tPvRmT2_T3_T4_T5_mT6_T7_P12ihipStream_tbENKUlT_T0_E_clISt17integral_constantIbLb0EES12_IbLb1EEEEDaSY_SZ_EUlSY_E_NS1_11comp_targetILNS1_3genE10ELNS1_11target_archE1200ELNS1_3gpuE4ELNS1_3repE0EEENS1_30default_config_static_selectorELNS0_4arch9wavefront6targetE1EEEvT1_ ; -- Begin function _ZN7rocprim17ROCPRIM_400000_NS6detail17trampoline_kernelINS0_14default_configENS1_27scan_by_key_config_selectorIiiEEZZNS1_16scan_by_key_implILNS1_25lookback_scan_determinismE0ELb1ES3_N6thrust23THRUST_200600_302600_NS6detail15normal_iteratorINS9_10device_ptrIiEEEENSB_INSC_IjEEEENSB_INSC_IfEEEEiNS9_4plusIvEENS9_8equal_toIvEEiEE10hipError_tPvRmT2_T3_T4_T5_mT6_T7_P12ihipStream_tbENKUlT_T0_E_clISt17integral_constantIbLb0EES12_IbLb1EEEEDaSY_SZ_EUlSY_E_NS1_11comp_targetILNS1_3genE10ELNS1_11target_archE1200ELNS1_3gpuE4ELNS1_3repE0EEENS1_30default_config_static_selectorELNS0_4arch9wavefront6targetE1EEEvT1_
	.globl	_ZN7rocprim17ROCPRIM_400000_NS6detail17trampoline_kernelINS0_14default_configENS1_27scan_by_key_config_selectorIiiEEZZNS1_16scan_by_key_implILNS1_25lookback_scan_determinismE0ELb1ES3_N6thrust23THRUST_200600_302600_NS6detail15normal_iteratorINS9_10device_ptrIiEEEENSB_INSC_IjEEEENSB_INSC_IfEEEEiNS9_4plusIvEENS9_8equal_toIvEEiEE10hipError_tPvRmT2_T3_T4_T5_mT6_T7_P12ihipStream_tbENKUlT_T0_E_clISt17integral_constantIbLb0EES12_IbLb1EEEEDaSY_SZ_EUlSY_E_NS1_11comp_targetILNS1_3genE10ELNS1_11target_archE1200ELNS1_3gpuE4ELNS1_3repE0EEENS1_30default_config_static_selectorELNS0_4arch9wavefront6targetE1EEEvT1_
	.p2align	8
	.type	_ZN7rocprim17ROCPRIM_400000_NS6detail17trampoline_kernelINS0_14default_configENS1_27scan_by_key_config_selectorIiiEEZZNS1_16scan_by_key_implILNS1_25lookback_scan_determinismE0ELb1ES3_N6thrust23THRUST_200600_302600_NS6detail15normal_iteratorINS9_10device_ptrIiEEEENSB_INSC_IjEEEENSB_INSC_IfEEEEiNS9_4plusIvEENS9_8equal_toIvEEiEE10hipError_tPvRmT2_T3_T4_T5_mT6_T7_P12ihipStream_tbENKUlT_T0_E_clISt17integral_constantIbLb0EES12_IbLb1EEEEDaSY_SZ_EUlSY_E_NS1_11comp_targetILNS1_3genE10ELNS1_11target_archE1200ELNS1_3gpuE4ELNS1_3repE0EEENS1_30default_config_static_selectorELNS0_4arch9wavefront6targetE1EEEvT1_,@function
_ZN7rocprim17ROCPRIM_400000_NS6detail17trampoline_kernelINS0_14default_configENS1_27scan_by_key_config_selectorIiiEEZZNS1_16scan_by_key_implILNS1_25lookback_scan_determinismE0ELb1ES3_N6thrust23THRUST_200600_302600_NS6detail15normal_iteratorINS9_10device_ptrIiEEEENSB_INSC_IjEEEENSB_INSC_IfEEEEiNS9_4plusIvEENS9_8equal_toIvEEiEE10hipError_tPvRmT2_T3_T4_T5_mT6_T7_P12ihipStream_tbENKUlT_T0_E_clISt17integral_constantIbLb0EES12_IbLb1EEEEDaSY_SZ_EUlSY_E_NS1_11comp_targetILNS1_3genE10ELNS1_11target_archE1200ELNS1_3gpuE4ELNS1_3repE0EEENS1_30default_config_static_selectorELNS0_4arch9wavefront6targetE1EEEvT1_: ; @_ZN7rocprim17ROCPRIM_400000_NS6detail17trampoline_kernelINS0_14default_configENS1_27scan_by_key_config_selectorIiiEEZZNS1_16scan_by_key_implILNS1_25lookback_scan_determinismE0ELb1ES3_N6thrust23THRUST_200600_302600_NS6detail15normal_iteratorINS9_10device_ptrIiEEEENSB_INSC_IjEEEENSB_INSC_IfEEEEiNS9_4plusIvEENS9_8equal_toIvEEiEE10hipError_tPvRmT2_T3_T4_T5_mT6_T7_P12ihipStream_tbENKUlT_T0_E_clISt17integral_constantIbLb0EES12_IbLb1EEEEDaSY_SZ_EUlSY_E_NS1_11comp_targetILNS1_3genE10ELNS1_11target_archE1200ELNS1_3gpuE4ELNS1_3repE0EEENS1_30default_config_static_selectorELNS0_4arch9wavefront6targetE1EEEvT1_
; %bb.0:
	.section	.rodata,"a",@progbits
	.p2align	6, 0x0
	.amdhsa_kernel _ZN7rocprim17ROCPRIM_400000_NS6detail17trampoline_kernelINS0_14default_configENS1_27scan_by_key_config_selectorIiiEEZZNS1_16scan_by_key_implILNS1_25lookback_scan_determinismE0ELb1ES3_N6thrust23THRUST_200600_302600_NS6detail15normal_iteratorINS9_10device_ptrIiEEEENSB_INSC_IjEEEENSB_INSC_IfEEEEiNS9_4plusIvEENS9_8equal_toIvEEiEE10hipError_tPvRmT2_T3_T4_T5_mT6_T7_P12ihipStream_tbENKUlT_T0_E_clISt17integral_constantIbLb0EES12_IbLb1EEEEDaSY_SZ_EUlSY_E_NS1_11comp_targetILNS1_3genE10ELNS1_11target_archE1200ELNS1_3gpuE4ELNS1_3repE0EEENS1_30default_config_static_selectorELNS0_4arch9wavefront6targetE1EEEvT1_
		.amdhsa_group_segment_fixed_size 0
		.amdhsa_private_segment_fixed_size 0
		.amdhsa_kernarg_size 112
		.amdhsa_user_sgpr_count 2
		.amdhsa_user_sgpr_dispatch_ptr 0
		.amdhsa_user_sgpr_queue_ptr 0
		.amdhsa_user_sgpr_kernarg_segment_ptr 1
		.amdhsa_user_sgpr_dispatch_id 0
		.amdhsa_user_sgpr_kernarg_preload_length 0
		.amdhsa_user_sgpr_kernarg_preload_offset 0
		.amdhsa_user_sgpr_private_segment_size 0
		.amdhsa_uses_dynamic_stack 0
		.amdhsa_enable_private_segment 0
		.amdhsa_system_sgpr_workgroup_id_x 1
		.amdhsa_system_sgpr_workgroup_id_y 0
		.amdhsa_system_sgpr_workgroup_id_z 0
		.amdhsa_system_sgpr_workgroup_info 0
		.amdhsa_system_vgpr_workitem_id 0
		.amdhsa_next_free_vgpr 1
		.amdhsa_next_free_sgpr 0
		.amdhsa_accum_offset 4
		.amdhsa_reserve_vcc 0
		.amdhsa_float_round_mode_32 0
		.amdhsa_float_round_mode_16_64 0
		.amdhsa_float_denorm_mode_32 3
		.amdhsa_float_denorm_mode_16_64 3
		.amdhsa_dx10_clamp 1
		.amdhsa_ieee_mode 1
		.amdhsa_fp16_overflow 0
		.amdhsa_tg_split 0
		.amdhsa_exception_fp_ieee_invalid_op 0
		.amdhsa_exception_fp_denorm_src 0
		.amdhsa_exception_fp_ieee_div_zero 0
		.amdhsa_exception_fp_ieee_overflow 0
		.amdhsa_exception_fp_ieee_underflow 0
		.amdhsa_exception_fp_ieee_inexact 0
		.amdhsa_exception_int_div_zero 0
	.end_amdhsa_kernel
	.section	.text._ZN7rocprim17ROCPRIM_400000_NS6detail17trampoline_kernelINS0_14default_configENS1_27scan_by_key_config_selectorIiiEEZZNS1_16scan_by_key_implILNS1_25lookback_scan_determinismE0ELb1ES3_N6thrust23THRUST_200600_302600_NS6detail15normal_iteratorINS9_10device_ptrIiEEEENSB_INSC_IjEEEENSB_INSC_IfEEEEiNS9_4plusIvEENS9_8equal_toIvEEiEE10hipError_tPvRmT2_T3_T4_T5_mT6_T7_P12ihipStream_tbENKUlT_T0_E_clISt17integral_constantIbLb0EES12_IbLb1EEEEDaSY_SZ_EUlSY_E_NS1_11comp_targetILNS1_3genE10ELNS1_11target_archE1200ELNS1_3gpuE4ELNS1_3repE0EEENS1_30default_config_static_selectorELNS0_4arch9wavefront6targetE1EEEvT1_,"axG",@progbits,_ZN7rocprim17ROCPRIM_400000_NS6detail17trampoline_kernelINS0_14default_configENS1_27scan_by_key_config_selectorIiiEEZZNS1_16scan_by_key_implILNS1_25lookback_scan_determinismE0ELb1ES3_N6thrust23THRUST_200600_302600_NS6detail15normal_iteratorINS9_10device_ptrIiEEEENSB_INSC_IjEEEENSB_INSC_IfEEEEiNS9_4plusIvEENS9_8equal_toIvEEiEE10hipError_tPvRmT2_T3_T4_T5_mT6_T7_P12ihipStream_tbENKUlT_T0_E_clISt17integral_constantIbLb0EES12_IbLb1EEEEDaSY_SZ_EUlSY_E_NS1_11comp_targetILNS1_3genE10ELNS1_11target_archE1200ELNS1_3gpuE4ELNS1_3repE0EEENS1_30default_config_static_selectorELNS0_4arch9wavefront6targetE1EEEvT1_,comdat
.Lfunc_end1749:
	.size	_ZN7rocprim17ROCPRIM_400000_NS6detail17trampoline_kernelINS0_14default_configENS1_27scan_by_key_config_selectorIiiEEZZNS1_16scan_by_key_implILNS1_25lookback_scan_determinismE0ELb1ES3_N6thrust23THRUST_200600_302600_NS6detail15normal_iteratorINS9_10device_ptrIiEEEENSB_INSC_IjEEEENSB_INSC_IfEEEEiNS9_4plusIvEENS9_8equal_toIvEEiEE10hipError_tPvRmT2_T3_T4_T5_mT6_T7_P12ihipStream_tbENKUlT_T0_E_clISt17integral_constantIbLb0EES12_IbLb1EEEEDaSY_SZ_EUlSY_E_NS1_11comp_targetILNS1_3genE10ELNS1_11target_archE1200ELNS1_3gpuE4ELNS1_3repE0EEENS1_30default_config_static_selectorELNS0_4arch9wavefront6targetE1EEEvT1_, .Lfunc_end1749-_ZN7rocprim17ROCPRIM_400000_NS6detail17trampoline_kernelINS0_14default_configENS1_27scan_by_key_config_selectorIiiEEZZNS1_16scan_by_key_implILNS1_25lookback_scan_determinismE0ELb1ES3_N6thrust23THRUST_200600_302600_NS6detail15normal_iteratorINS9_10device_ptrIiEEEENSB_INSC_IjEEEENSB_INSC_IfEEEEiNS9_4plusIvEENS9_8equal_toIvEEiEE10hipError_tPvRmT2_T3_T4_T5_mT6_T7_P12ihipStream_tbENKUlT_T0_E_clISt17integral_constantIbLb0EES12_IbLb1EEEEDaSY_SZ_EUlSY_E_NS1_11comp_targetILNS1_3genE10ELNS1_11target_archE1200ELNS1_3gpuE4ELNS1_3repE0EEENS1_30default_config_static_selectorELNS0_4arch9wavefront6targetE1EEEvT1_
                                        ; -- End function
	.section	.AMDGPU.csdata,"",@progbits
; Kernel info:
; codeLenInByte = 0
; NumSgprs: 6
; NumVgprs: 0
; NumAgprs: 0
; TotalNumVgprs: 0
; ScratchSize: 0
; MemoryBound: 0
; FloatMode: 240
; IeeeMode: 1
; LDSByteSize: 0 bytes/workgroup (compile time only)
; SGPRBlocks: 0
; VGPRBlocks: 0
; NumSGPRsForWavesPerEU: 6
; NumVGPRsForWavesPerEU: 1
; AccumOffset: 4
; Occupancy: 8
; WaveLimiterHint : 0
; COMPUTE_PGM_RSRC2:SCRATCH_EN: 0
; COMPUTE_PGM_RSRC2:USER_SGPR: 2
; COMPUTE_PGM_RSRC2:TRAP_HANDLER: 0
; COMPUTE_PGM_RSRC2:TGID_X_EN: 1
; COMPUTE_PGM_RSRC2:TGID_Y_EN: 0
; COMPUTE_PGM_RSRC2:TGID_Z_EN: 0
; COMPUTE_PGM_RSRC2:TIDIG_COMP_CNT: 0
; COMPUTE_PGM_RSRC3_GFX90A:ACCUM_OFFSET: 0
; COMPUTE_PGM_RSRC3_GFX90A:TG_SPLIT: 0
	.section	.text._ZN7rocprim17ROCPRIM_400000_NS6detail17trampoline_kernelINS0_14default_configENS1_27scan_by_key_config_selectorIiiEEZZNS1_16scan_by_key_implILNS1_25lookback_scan_determinismE0ELb1ES3_N6thrust23THRUST_200600_302600_NS6detail15normal_iteratorINS9_10device_ptrIiEEEENSB_INSC_IjEEEENSB_INSC_IfEEEEiNS9_4plusIvEENS9_8equal_toIvEEiEE10hipError_tPvRmT2_T3_T4_T5_mT6_T7_P12ihipStream_tbENKUlT_T0_E_clISt17integral_constantIbLb0EES12_IbLb1EEEEDaSY_SZ_EUlSY_E_NS1_11comp_targetILNS1_3genE9ELNS1_11target_archE1100ELNS1_3gpuE3ELNS1_3repE0EEENS1_30default_config_static_selectorELNS0_4arch9wavefront6targetE1EEEvT1_,"axG",@progbits,_ZN7rocprim17ROCPRIM_400000_NS6detail17trampoline_kernelINS0_14default_configENS1_27scan_by_key_config_selectorIiiEEZZNS1_16scan_by_key_implILNS1_25lookback_scan_determinismE0ELb1ES3_N6thrust23THRUST_200600_302600_NS6detail15normal_iteratorINS9_10device_ptrIiEEEENSB_INSC_IjEEEENSB_INSC_IfEEEEiNS9_4plusIvEENS9_8equal_toIvEEiEE10hipError_tPvRmT2_T3_T4_T5_mT6_T7_P12ihipStream_tbENKUlT_T0_E_clISt17integral_constantIbLb0EES12_IbLb1EEEEDaSY_SZ_EUlSY_E_NS1_11comp_targetILNS1_3genE9ELNS1_11target_archE1100ELNS1_3gpuE3ELNS1_3repE0EEENS1_30default_config_static_selectorELNS0_4arch9wavefront6targetE1EEEvT1_,comdat
	.protected	_ZN7rocprim17ROCPRIM_400000_NS6detail17trampoline_kernelINS0_14default_configENS1_27scan_by_key_config_selectorIiiEEZZNS1_16scan_by_key_implILNS1_25lookback_scan_determinismE0ELb1ES3_N6thrust23THRUST_200600_302600_NS6detail15normal_iteratorINS9_10device_ptrIiEEEENSB_INSC_IjEEEENSB_INSC_IfEEEEiNS9_4plusIvEENS9_8equal_toIvEEiEE10hipError_tPvRmT2_T3_T4_T5_mT6_T7_P12ihipStream_tbENKUlT_T0_E_clISt17integral_constantIbLb0EES12_IbLb1EEEEDaSY_SZ_EUlSY_E_NS1_11comp_targetILNS1_3genE9ELNS1_11target_archE1100ELNS1_3gpuE3ELNS1_3repE0EEENS1_30default_config_static_selectorELNS0_4arch9wavefront6targetE1EEEvT1_ ; -- Begin function _ZN7rocprim17ROCPRIM_400000_NS6detail17trampoline_kernelINS0_14default_configENS1_27scan_by_key_config_selectorIiiEEZZNS1_16scan_by_key_implILNS1_25lookback_scan_determinismE0ELb1ES3_N6thrust23THRUST_200600_302600_NS6detail15normal_iteratorINS9_10device_ptrIiEEEENSB_INSC_IjEEEENSB_INSC_IfEEEEiNS9_4plusIvEENS9_8equal_toIvEEiEE10hipError_tPvRmT2_T3_T4_T5_mT6_T7_P12ihipStream_tbENKUlT_T0_E_clISt17integral_constantIbLb0EES12_IbLb1EEEEDaSY_SZ_EUlSY_E_NS1_11comp_targetILNS1_3genE9ELNS1_11target_archE1100ELNS1_3gpuE3ELNS1_3repE0EEENS1_30default_config_static_selectorELNS0_4arch9wavefront6targetE1EEEvT1_
	.globl	_ZN7rocprim17ROCPRIM_400000_NS6detail17trampoline_kernelINS0_14default_configENS1_27scan_by_key_config_selectorIiiEEZZNS1_16scan_by_key_implILNS1_25lookback_scan_determinismE0ELb1ES3_N6thrust23THRUST_200600_302600_NS6detail15normal_iteratorINS9_10device_ptrIiEEEENSB_INSC_IjEEEENSB_INSC_IfEEEEiNS9_4plusIvEENS9_8equal_toIvEEiEE10hipError_tPvRmT2_T3_T4_T5_mT6_T7_P12ihipStream_tbENKUlT_T0_E_clISt17integral_constantIbLb0EES12_IbLb1EEEEDaSY_SZ_EUlSY_E_NS1_11comp_targetILNS1_3genE9ELNS1_11target_archE1100ELNS1_3gpuE3ELNS1_3repE0EEENS1_30default_config_static_selectorELNS0_4arch9wavefront6targetE1EEEvT1_
	.p2align	8
	.type	_ZN7rocprim17ROCPRIM_400000_NS6detail17trampoline_kernelINS0_14default_configENS1_27scan_by_key_config_selectorIiiEEZZNS1_16scan_by_key_implILNS1_25lookback_scan_determinismE0ELb1ES3_N6thrust23THRUST_200600_302600_NS6detail15normal_iteratorINS9_10device_ptrIiEEEENSB_INSC_IjEEEENSB_INSC_IfEEEEiNS9_4plusIvEENS9_8equal_toIvEEiEE10hipError_tPvRmT2_T3_T4_T5_mT6_T7_P12ihipStream_tbENKUlT_T0_E_clISt17integral_constantIbLb0EES12_IbLb1EEEEDaSY_SZ_EUlSY_E_NS1_11comp_targetILNS1_3genE9ELNS1_11target_archE1100ELNS1_3gpuE3ELNS1_3repE0EEENS1_30default_config_static_selectorELNS0_4arch9wavefront6targetE1EEEvT1_,@function
_ZN7rocprim17ROCPRIM_400000_NS6detail17trampoline_kernelINS0_14default_configENS1_27scan_by_key_config_selectorIiiEEZZNS1_16scan_by_key_implILNS1_25lookback_scan_determinismE0ELb1ES3_N6thrust23THRUST_200600_302600_NS6detail15normal_iteratorINS9_10device_ptrIiEEEENSB_INSC_IjEEEENSB_INSC_IfEEEEiNS9_4plusIvEENS9_8equal_toIvEEiEE10hipError_tPvRmT2_T3_T4_T5_mT6_T7_P12ihipStream_tbENKUlT_T0_E_clISt17integral_constantIbLb0EES12_IbLb1EEEEDaSY_SZ_EUlSY_E_NS1_11comp_targetILNS1_3genE9ELNS1_11target_archE1100ELNS1_3gpuE3ELNS1_3repE0EEENS1_30default_config_static_selectorELNS0_4arch9wavefront6targetE1EEEvT1_: ; @_ZN7rocprim17ROCPRIM_400000_NS6detail17trampoline_kernelINS0_14default_configENS1_27scan_by_key_config_selectorIiiEEZZNS1_16scan_by_key_implILNS1_25lookback_scan_determinismE0ELb1ES3_N6thrust23THRUST_200600_302600_NS6detail15normal_iteratorINS9_10device_ptrIiEEEENSB_INSC_IjEEEENSB_INSC_IfEEEEiNS9_4plusIvEENS9_8equal_toIvEEiEE10hipError_tPvRmT2_T3_T4_T5_mT6_T7_P12ihipStream_tbENKUlT_T0_E_clISt17integral_constantIbLb0EES12_IbLb1EEEEDaSY_SZ_EUlSY_E_NS1_11comp_targetILNS1_3genE9ELNS1_11target_archE1100ELNS1_3gpuE3ELNS1_3repE0EEENS1_30default_config_static_selectorELNS0_4arch9wavefront6targetE1EEEvT1_
; %bb.0:
	.section	.rodata,"a",@progbits
	.p2align	6, 0x0
	.amdhsa_kernel _ZN7rocprim17ROCPRIM_400000_NS6detail17trampoline_kernelINS0_14default_configENS1_27scan_by_key_config_selectorIiiEEZZNS1_16scan_by_key_implILNS1_25lookback_scan_determinismE0ELb1ES3_N6thrust23THRUST_200600_302600_NS6detail15normal_iteratorINS9_10device_ptrIiEEEENSB_INSC_IjEEEENSB_INSC_IfEEEEiNS9_4plusIvEENS9_8equal_toIvEEiEE10hipError_tPvRmT2_T3_T4_T5_mT6_T7_P12ihipStream_tbENKUlT_T0_E_clISt17integral_constantIbLb0EES12_IbLb1EEEEDaSY_SZ_EUlSY_E_NS1_11comp_targetILNS1_3genE9ELNS1_11target_archE1100ELNS1_3gpuE3ELNS1_3repE0EEENS1_30default_config_static_selectorELNS0_4arch9wavefront6targetE1EEEvT1_
		.amdhsa_group_segment_fixed_size 0
		.amdhsa_private_segment_fixed_size 0
		.amdhsa_kernarg_size 112
		.amdhsa_user_sgpr_count 2
		.amdhsa_user_sgpr_dispatch_ptr 0
		.amdhsa_user_sgpr_queue_ptr 0
		.amdhsa_user_sgpr_kernarg_segment_ptr 1
		.amdhsa_user_sgpr_dispatch_id 0
		.amdhsa_user_sgpr_kernarg_preload_length 0
		.amdhsa_user_sgpr_kernarg_preload_offset 0
		.amdhsa_user_sgpr_private_segment_size 0
		.amdhsa_uses_dynamic_stack 0
		.amdhsa_enable_private_segment 0
		.amdhsa_system_sgpr_workgroup_id_x 1
		.amdhsa_system_sgpr_workgroup_id_y 0
		.amdhsa_system_sgpr_workgroup_id_z 0
		.amdhsa_system_sgpr_workgroup_info 0
		.amdhsa_system_vgpr_workitem_id 0
		.amdhsa_next_free_vgpr 1
		.amdhsa_next_free_sgpr 0
		.amdhsa_accum_offset 4
		.amdhsa_reserve_vcc 0
		.amdhsa_float_round_mode_32 0
		.amdhsa_float_round_mode_16_64 0
		.amdhsa_float_denorm_mode_32 3
		.amdhsa_float_denorm_mode_16_64 3
		.amdhsa_dx10_clamp 1
		.amdhsa_ieee_mode 1
		.amdhsa_fp16_overflow 0
		.amdhsa_tg_split 0
		.amdhsa_exception_fp_ieee_invalid_op 0
		.amdhsa_exception_fp_denorm_src 0
		.amdhsa_exception_fp_ieee_div_zero 0
		.amdhsa_exception_fp_ieee_overflow 0
		.amdhsa_exception_fp_ieee_underflow 0
		.amdhsa_exception_fp_ieee_inexact 0
		.amdhsa_exception_int_div_zero 0
	.end_amdhsa_kernel
	.section	.text._ZN7rocprim17ROCPRIM_400000_NS6detail17trampoline_kernelINS0_14default_configENS1_27scan_by_key_config_selectorIiiEEZZNS1_16scan_by_key_implILNS1_25lookback_scan_determinismE0ELb1ES3_N6thrust23THRUST_200600_302600_NS6detail15normal_iteratorINS9_10device_ptrIiEEEENSB_INSC_IjEEEENSB_INSC_IfEEEEiNS9_4plusIvEENS9_8equal_toIvEEiEE10hipError_tPvRmT2_T3_T4_T5_mT6_T7_P12ihipStream_tbENKUlT_T0_E_clISt17integral_constantIbLb0EES12_IbLb1EEEEDaSY_SZ_EUlSY_E_NS1_11comp_targetILNS1_3genE9ELNS1_11target_archE1100ELNS1_3gpuE3ELNS1_3repE0EEENS1_30default_config_static_selectorELNS0_4arch9wavefront6targetE1EEEvT1_,"axG",@progbits,_ZN7rocprim17ROCPRIM_400000_NS6detail17trampoline_kernelINS0_14default_configENS1_27scan_by_key_config_selectorIiiEEZZNS1_16scan_by_key_implILNS1_25lookback_scan_determinismE0ELb1ES3_N6thrust23THRUST_200600_302600_NS6detail15normal_iteratorINS9_10device_ptrIiEEEENSB_INSC_IjEEEENSB_INSC_IfEEEEiNS9_4plusIvEENS9_8equal_toIvEEiEE10hipError_tPvRmT2_T3_T4_T5_mT6_T7_P12ihipStream_tbENKUlT_T0_E_clISt17integral_constantIbLb0EES12_IbLb1EEEEDaSY_SZ_EUlSY_E_NS1_11comp_targetILNS1_3genE9ELNS1_11target_archE1100ELNS1_3gpuE3ELNS1_3repE0EEENS1_30default_config_static_selectorELNS0_4arch9wavefront6targetE1EEEvT1_,comdat
.Lfunc_end1750:
	.size	_ZN7rocprim17ROCPRIM_400000_NS6detail17trampoline_kernelINS0_14default_configENS1_27scan_by_key_config_selectorIiiEEZZNS1_16scan_by_key_implILNS1_25lookback_scan_determinismE0ELb1ES3_N6thrust23THRUST_200600_302600_NS6detail15normal_iteratorINS9_10device_ptrIiEEEENSB_INSC_IjEEEENSB_INSC_IfEEEEiNS9_4plusIvEENS9_8equal_toIvEEiEE10hipError_tPvRmT2_T3_T4_T5_mT6_T7_P12ihipStream_tbENKUlT_T0_E_clISt17integral_constantIbLb0EES12_IbLb1EEEEDaSY_SZ_EUlSY_E_NS1_11comp_targetILNS1_3genE9ELNS1_11target_archE1100ELNS1_3gpuE3ELNS1_3repE0EEENS1_30default_config_static_selectorELNS0_4arch9wavefront6targetE1EEEvT1_, .Lfunc_end1750-_ZN7rocprim17ROCPRIM_400000_NS6detail17trampoline_kernelINS0_14default_configENS1_27scan_by_key_config_selectorIiiEEZZNS1_16scan_by_key_implILNS1_25lookback_scan_determinismE0ELb1ES3_N6thrust23THRUST_200600_302600_NS6detail15normal_iteratorINS9_10device_ptrIiEEEENSB_INSC_IjEEEENSB_INSC_IfEEEEiNS9_4plusIvEENS9_8equal_toIvEEiEE10hipError_tPvRmT2_T3_T4_T5_mT6_T7_P12ihipStream_tbENKUlT_T0_E_clISt17integral_constantIbLb0EES12_IbLb1EEEEDaSY_SZ_EUlSY_E_NS1_11comp_targetILNS1_3genE9ELNS1_11target_archE1100ELNS1_3gpuE3ELNS1_3repE0EEENS1_30default_config_static_selectorELNS0_4arch9wavefront6targetE1EEEvT1_
                                        ; -- End function
	.section	.AMDGPU.csdata,"",@progbits
; Kernel info:
; codeLenInByte = 0
; NumSgprs: 6
; NumVgprs: 0
; NumAgprs: 0
; TotalNumVgprs: 0
; ScratchSize: 0
; MemoryBound: 0
; FloatMode: 240
; IeeeMode: 1
; LDSByteSize: 0 bytes/workgroup (compile time only)
; SGPRBlocks: 0
; VGPRBlocks: 0
; NumSGPRsForWavesPerEU: 6
; NumVGPRsForWavesPerEU: 1
; AccumOffset: 4
; Occupancy: 8
; WaveLimiterHint : 0
; COMPUTE_PGM_RSRC2:SCRATCH_EN: 0
; COMPUTE_PGM_RSRC2:USER_SGPR: 2
; COMPUTE_PGM_RSRC2:TRAP_HANDLER: 0
; COMPUTE_PGM_RSRC2:TGID_X_EN: 1
; COMPUTE_PGM_RSRC2:TGID_Y_EN: 0
; COMPUTE_PGM_RSRC2:TGID_Z_EN: 0
; COMPUTE_PGM_RSRC2:TIDIG_COMP_CNT: 0
; COMPUTE_PGM_RSRC3_GFX90A:ACCUM_OFFSET: 0
; COMPUTE_PGM_RSRC3_GFX90A:TG_SPLIT: 0
	.section	.text._ZN7rocprim17ROCPRIM_400000_NS6detail17trampoline_kernelINS0_14default_configENS1_27scan_by_key_config_selectorIiiEEZZNS1_16scan_by_key_implILNS1_25lookback_scan_determinismE0ELb1ES3_N6thrust23THRUST_200600_302600_NS6detail15normal_iteratorINS9_10device_ptrIiEEEENSB_INSC_IjEEEENSB_INSC_IfEEEEiNS9_4plusIvEENS9_8equal_toIvEEiEE10hipError_tPvRmT2_T3_T4_T5_mT6_T7_P12ihipStream_tbENKUlT_T0_E_clISt17integral_constantIbLb0EES12_IbLb1EEEEDaSY_SZ_EUlSY_E_NS1_11comp_targetILNS1_3genE8ELNS1_11target_archE1030ELNS1_3gpuE2ELNS1_3repE0EEENS1_30default_config_static_selectorELNS0_4arch9wavefront6targetE1EEEvT1_,"axG",@progbits,_ZN7rocprim17ROCPRIM_400000_NS6detail17trampoline_kernelINS0_14default_configENS1_27scan_by_key_config_selectorIiiEEZZNS1_16scan_by_key_implILNS1_25lookback_scan_determinismE0ELb1ES3_N6thrust23THRUST_200600_302600_NS6detail15normal_iteratorINS9_10device_ptrIiEEEENSB_INSC_IjEEEENSB_INSC_IfEEEEiNS9_4plusIvEENS9_8equal_toIvEEiEE10hipError_tPvRmT2_T3_T4_T5_mT6_T7_P12ihipStream_tbENKUlT_T0_E_clISt17integral_constantIbLb0EES12_IbLb1EEEEDaSY_SZ_EUlSY_E_NS1_11comp_targetILNS1_3genE8ELNS1_11target_archE1030ELNS1_3gpuE2ELNS1_3repE0EEENS1_30default_config_static_selectorELNS0_4arch9wavefront6targetE1EEEvT1_,comdat
	.protected	_ZN7rocprim17ROCPRIM_400000_NS6detail17trampoline_kernelINS0_14default_configENS1_27scan_by_key_config_selectorIiiEEZZNS1_16scan_by_key_implILNS1_25lookback_scan_determinismE0ELb1ES3_N6thrust23THRUST_200600_302600_NS6detail15normal_iteratorINS9_10device_ptrIiEEEENSB_INSC_IjEEEENSB_INSC_IfEEEEiNS9_4plusIvEENS9_8equal_toIvEEiEE10hipError_tPvRmT2_T3_T4_T5_mT6_T7_P12ihipStream_tbENKUlT_T0_E_clISt17integral_constantIbLb0EES12_IbLb1EEEEDaSY_SZ_EUlSY_E_NS1_11comp_targetILNS1_3genE8ELNS1_11target_archE1030ELNS1_3gpuE2ELNS1_3repE0EEENS1_30default_config_static_selectorELNS0_4arch9wavefront6targetE1EEEvT1_ ; -- Begin function _ZN7rocprim17ROCPRIM_400000_NS6detail17trampoline_kernelINS0_14default_configENS1_27scan_by_key_config_selectorIiiEEZZNS1_16scan_by_key_implILNS1_25lookback_scan_determinismE0ELb1ES3_N6thrust23THRUST_200600_302600_NS6detail15normal_iteratorINS9_10device_ptrIiEEEENSB_INSC_IjEEEENSB_INSC_IfEEEEiNS9_4plusIvEENS9_8equal_toIvEEiEE10hipError_tPvRmT2_T3_T4_T5_mT6_T7_P12ihipStream_tbENKUlT_T0_E_clISt17integral_constantIbLb0EES12_IbLb1EEEEDaSY_SZ_EUlSY_E_NS1_11comp_targetILNS1_3genE8ELNS1_11target_archE1030ELNS1_3gpuE2ELNS1_3repE0EEENS1_30default_config_static_selectorELNS0_4arch9wavefront6targetE1EEEvT1_
	.globl	_ZN7rocprim17ROCPRIM_400000_NS6detail17trampoline_kernelINS0_14default_configENS1_27scan_by_key_config_selectorIiiEEZZNS1_16scan_by_key_implILNS1_25lookback_scan_determinismE0ELb1ES3_N6thrust23THRUST_200600_302600_NS6detail15normal_iteratorINS9_10device_ptrIiEEEENSB_INSC_IjEEEENSB_INSC_IfEEEEiNS9_4plusIvEENS9_8equal_toIvEEiEE10hipError_tPvRmT2_T3_T4_T5_mT6_T7_P12ihipStream_tbENKUlT_T0_E_clISt17integral_constantIbLb0EES12_IbLb1EEEEDaSY_SZ_EUlSY_E_NS1_11comp_targetILNS1_3genE8ELNS1_11target_archE1030ELNS1_3gpuE2ELNS1_3repE0EEENS1_30default_config_static_selectorELNS0_4arch9wavefront6targetE1EEEvT1_
	.p2align	8
	.type	_ZN7rocprim17ROCPRIM_400000_NS6detail17trampoline_kernelINS0_14default_configENS1_27scan_by_key_config_selectorIiiEEZZNS1_16scan_by_key_implILNS1_25lookback_scan_determinismE0ELb1ES3_N6thrust23THRUST_200600_302600_NS6detail15normal_iteratorINS9_10device_ptrIiEEEENSB_INSC_IjEEEENSB_INSC_IfEEEEiNS9_4plusIvEENS9_8equal_toIvEEiEE10hipError_tPvRmT2_T3_T4_T5_mT6_T7_P12ihipStream_tbENKUlT_T0_E_clISt17integral_constantIbLb0EES12_IbLb1EEEEDaSY_SZ_EUlSY_E_NS1_11comp_targetILNS1_3genE8ELNS1_11target_archE1030ELNS1_3gpuE2ELNS1_3repE0EEENS1_30default_config_static_selectorELNS0_4arch9wavefront6targetE1EEEvT1_,@function
_ZN7rocprim17ROCPRIM_400000_NS6detail17trampoline_kernelINS0_14default_configENS1_27scan_by_key_config_selectorIiiEEZZNS1_16scan_by_key_implILNS1_25lookback_scan_determinismE0ELb1ES3_N6thrust23THRUST_200600_302600_NS6detail15normal_iteratorINS9_10device_ptrIiEEEENSB_INSC_IjEEEENSB_INSC_IfEEEEiNS9_4plusIvEENS9_8equal_toIvEEiEE10hipError_tPvRmT2_T3_T4_T5_mT6_T7_P12ihipStream_tbENKUlT_T0_E_clISt17integral_constantIbLb0EES12_IbLb1EEEEDaSY_SZ_EUlSY_E_NS1_11comp_targetILNS1_3genE8ELNS1_11target_archE1030ELNS1_3gpuE2ELNS1_3repE0EEENS1_30default_config_static_selectorELNS0_4arch9wavefront6targetE1EEEvT1_: ; @_ZN7rocprim17ROCPRIM_400000_NS6detail17trampoline_kernelINS0_14default_configENS1_27scan_by_key_config_selectorIiiEEZZNS1_16scan_by_key_implILNS1_25lookback_scan_determinismE0ELb1ES3_N6thrust23THRUST_200600_302600_NS6detail15normal_iteratorINS9_10device_ptrIiEEEENSB_INSC_IjEEEENSB_INSC_IfEEEEiNS9_4plusIvEENS9_8equal_toIvEEiEE10hipError_tPvRmT2_T3_T4_T5_mT6_T7_P12ihipStream_tbENKUlT_T0_E_clISt17integral_constantIbLb0EES12_IbLb1EEEEDaSY_SZ_EUlSY_E_NS1_11comp_targetILNS1_3genE8ELNS1_11target_archE1030ELNS1_3gpuE2ELNS1_3repE0EEENS1_30default_config_static_selectorELNS0_4arch9wavefront6targetE1EEEvT1_
; %bb.0:
	.section	.rodata,"a",@progbits
	.p2align	6, 0x0
	.amdhsa_kernel _ZN7rocprim17ROCPRIM_400000_NS6detail17trampoline_kernelINS0_14default_configENS1_27scan_by_key_config_selectorIiiEEZZNS1_16scan_by_key_implILNS1_25lookback_scan_determinismE0ELb1ES3_N6thrust23THRUST_200600_302600_NS6detail15normal_iteratorINS9_10device_ptrIiEEEENSB_INSC_IjEEEENSB_INSC_IfEEEEiNS9_4plusIvEENS9_8equal_toIvEEiEE10hipError_tPvRmT2_T3_T4_T5_mT6_T7_P12ihipStream_tbENKUlT_T0_E_clISt17integral_constantIbLb0EES12_IbLb1EEEEDaSY_SZ_EUlSY_E_NS1_11comp_targetILNS1_3genE8ELNS1_11target_archE1030ELNS1_3gpuE2ELNS1_3repE0EEENS1_30default_config_static_selectorELNS0_4arch9wavefront6targetE1EEEvT1_
		.amdhsa_group_segment_fixed_size 0
		.amdhsa_private_segment_fixed_size 0
		.amdhsa_kernarg_size 112
		.amdhsa_user_sgpr_count 2
		.amdhsa_user_sgpr_dispatch_ptr 0
		.amdhsa_user_sgpr_queue_ptr 0
		.amdhsa_user_sgpr_kernarg_segment_ptr 1
		.amdhsa_user_sgpr_dispatch_id 0
		.amdhsa_user_sgpr_kernarg_preload_length 0
		.amdhsa_user_sgpr_kernarg_preload_offset 0
		.amdhsa_user_sgpr_private_segment_size 0
		.amdhsa_uses_dynamic_stack 0
		.amdhsa_enable_private_segment 0
		.amdhsa_system_sgpr_workgroup_id_x 1
		.amdhsa_system_sgpr_workgroup_id_y 0
		.amdhsa_system_sgpr_workgroup_id_z 0
		.amdhsa_system_sgpr_workgroup_info 0
		.amdhsa_system_vgpr_workitem_id 0
		.amdhsa_next_free_vgpr 1
		.amdhsa_next_free_sgpr 0
		.amdhsa_accum_offset 4
		.amdhsa_reserve_vcc 0
		.amdhsa_float_round_mode_32 0
		.amdhsa_float_round_mode_16_64 0
		.amdhsa_float_denorm_mode_32 3
		.amdhsa_float_denorm_mode_16_64 3
		.amdhsa_dx10_clamp 1
		.amdhsa_ieee_mode 1
		.amdhsa_fp16_overflow 0
		.amdhsa_tg_split 0
		.amdhsa_exception_fp_ieee_invalid_op 0
		.amdhsa_exception_fp_denorm_src 0
		.amdhsa_exception_fp_ieee_div_zero 0
		.amdhsa_exception_fp_ieee_overflow 0
		.amdhsa_exception_fp_ieee_underflow 0
		.amdhsa_exception_fp_ieee_inexact 0
		.amdhsa_exception_int_div_zero 0
	.end_amdhsa_kernel
	.section	.text._ZN7rocprim17ROCPRIM_400000_NS6detail17trampoline_kernelINS0_14default_configENS1_27scan_by_key_config_selectorIiiEEZZNS1_16scan_by_key_implILNS1_25lookback_scan_determinismE0ELb1ES3_N6thrust23THRUST_200600_302600_NS6detail15normal_iteratorINS9_10device_ptrIiEEEENSB_INSC_IjEEEENSB_INSC_IfEEEEiNS9_4plusIvEENS9_8equal_toIvEEiEE10hipError_tPvRmT2_T3_T4_T5_mT6_T7_P12ihipStream_tbENKUlT_T0_E_clISt17integral_constantIbLb0EES12_IbLb1EEEEDaSY_SZ_EUlSY_E_NS1_11comp_targetILNS1_3genE8ELNS1_11target_archE1030ELNS1_3gpuE2ELNS1_3repE0EEENS1_30default_config_static_selectorELNS0_4arch9wavefront6targetE1EEEvT1_,"axG",@progbits,_ZN7rocprim17ROCPRIM_400000_NS6detail17trampoline_kernelINS0_14default_configENS1_27scan_by_key_config_selectorIiiEEZZNS1_16scan_by_key_implILNS1_25lookback_scan_determinismE0ELb1ES3_N6thrust23THRUST_200600_302600_NS6detail15normal_iteratorINS9_10device_ptrIiEEEENSB_INSC_IjEEEENSB_INSC_IfEEEEiNS9_4plusIvEENS9_8equal_toIvEEiEE10hipError_tPvRmT2_T3_T4_T5_mT6_T7_P12ihipStream_tbENKUlT_T0_E_clISt17integral_constantIbLb0EES12_IbLb1EEEEDaSY_SZ_EUlSY_E_NS1_11comp_targetILNS1_3genE8ELNS1_11target_archE1030ELNS1_3gpuE2ELNS1_3repE0EEENS1_30default_config_static_selectorELNS0_4arch9wavefront6targetE1EEEvT1_,comdat
.Lfunc_end1751:
	.size	_ZN7rocprim17ROCPRIM_400000_NS6detail17trampoline_kernelINS0_14default_configENS1_27scan_by_key_config_selectorIiiEEZZNS1_16scan_by_key_implILNS1_25lookback_scan_determinismE0ELb1ES3_N6thrust23THRUST_200600_302600_NS6detail15normal_iteratorINS9_10device_ptrIiEEEENSB_INSC_IjEEEENSB_INSC_IfEEEEiNS9_4plusIvEENS9_8equal_toIvEEiEE10hipError_tPvRmT2_T3_T4_T5_mT6_T7_P12ihipStream_tbENKUlT_T0_E_clISt17integral_constantIbLb0EES12_IbLb1EEEEDaSY_SZ_EUlSY_E_NS1_11comp_targetILNS1_3genE8ELNS1_11target_archE1030ELNS1_3gpuE2ELNS1_3repE0EEENS1_30default_config_static_selectorELNS0_4arch9wavefront6targetE1EEEvT1_, .Lfunc_end1751-_ZN7rocprim17ROCPRIM_400000_NS6detail17trampoline_kernelINS0_14default_configENS1_27scan_by_key_config_selectorIiiEEZZNS1_16scan_by_key_implILNS1_25lookback_scan_determinismE0ELb1ES3_N6thrust23THRUST_200600_302600_NS6detail15normal_iteratorINS9_10device_ptrIiEEEENSB_INSC_IjEEEENSB_INSC_IfEEEEiNS9_4plusIvEENS9_8equal_toIvEEiEE10hipError_tPvRmT2_T3_T4_T5_mT6_T7_P12ihipStream_tbENKUlT_T0_E_clISt17integral_constantIbLb0EES12_IbLb1EEEEDaSY_SZ_EUlSY_E_NS1_11comp_targetILNS1_3genE8ELNS1_11target_archE1030ELNS1_3gpuE2ELNS1_3repE0EEENS1_30default_config_static_selectorELNS0_4arch9wavefront6targetE1EEEvT1_
                                        ; -- End function
	.section	.AMDGPU.csdata,"",@progbits
; Kernel info:
; codeLenInByte = 0
; NumSgprs: 6
; NumVgprs: 0
; NumAgprs: 0
; TotalNumVgprs: 0
; ScratchSize: 0
; MemoryBound: 0
; FloatMode: 240
; IeeeMode: 1
; LDSByteSize: 0 bytes/workgroup (compile time only)
; SGPRBlocks: 0
; VGPRBlocks: 0
; NumSGPRsForWavesPerEU: 6
; NumVGPRsForWavesPerEU: 1
; AccumOffset: 4
; Occupancy: 8
; WaveLimiterHint : 0
; COMPUTE_PGM_RSRC2:SCRATCH_EN: 0
; COMPUTE_PGM_RSRC2:USER_SGPR: 2
; COMPUTE_PGM_RSRC2:TRAP_HANDLER: 0
; COMPUTE_PGM_RSRC2:TGID_X_EN: 1
; COMPUTE_PGM_RSRC2:TGID_Y_EN: 0
; COMPUTE_PGM_RSRC2:TGID_Z_EN: 0
; COMPUTE_PGM_RSRC2:TIDIG_COMP_CNT: 0
; COMPUTE_PGM_RSRC3_GFX90A:ACCUM_OFFSET: 0
; COMPUTE_PGM_RSRC3_GFX90A:TG_SPLIT: 0
	.section	.text._ZN7rocprim17ROCPRIM_400000_NS6detail17trampoline_kernelINS0_14default_configENS1_27scan_by_key_config_selectorIiiEEZZNS1_16scan_by_key_implILNS1_25lookback_scan_determinismE0ELb1ES3_N6thrust23THRUST_200600_302600_NS6detail15normal_iteratorINS9_10device_ptrIiEEEENSB_INSC_IjEEEESE_iNS9_4plusIvEENS9_8equal_toIvEEiEE10hipError_tPvRmT2_T3_T4_T5_mT6_T7_P12ihipStream_tbENKUlT_T0_E_clISt17integral_constantIbLb0EES11_EEDaSW_SX_EUlSW_E_NS1_11comp_targetILNS1_3genE0ELNS1_11target_archE4294967295ELNS1_3gpuE0ELNS1_3repE0EEENS1_30default_config_static_selectorELNS0_4arch9wavefront6targetE1EEEvT1_,"axG",@progbits,_ZN7rocprim17ROCPRIM_400000_NS6detail17trampoline_kernelINS0_14default_configENS1_27scan_by_key_config_selectorIiiEEZZNS1_16scan_by_key_implILNS1_25lookback_scan_determinismE0ELb1ES3_N6thrust23THRUST_200600_302600_NS6detail15normal_iteratorINS9_10device_ptrIiEEEENSB_INSC_IjEEEESE_iNS9_4plusIvEENS9_8equal_toIvEEiEE10hipError_tPvRmT2_T3_T4_T5_mT6_T7_P12ihipStream_tbENKUlT_T0_E_clISt17integral_constantIbLb0EES11_EEDaSW_SX_EUlSW_E_NS1_11comp_targetILNS1_3genE0ELNS1_11target_archE4294967295ELNS1_3gpuE0ELNS1_3repE0EEENS1_30default_config_static_selectorELNS0_4arch9wavefront6targetE1EEEvT1_,comdat
	.protected	_ZN7rocprim17ROCPRIM_400000_NS6detail17trampoline_kernelINS0_14default_configENS1_27scan_by_key_config_selectorIiiEEZZNS1_16scan_by_key_implILNS1_25lookback_scan_determinismE0ELb1ES3_N6thrust23THRUST_200600_302600_NS6detail15normal_iteratorINS9_10device_ptrIiEEEENSB_INSC_IjEEEESE_iNS9_4plusIvEENS9_8equal_toIvEEiEE10hipError_tPvRmT2_T3_T4_T5_mT6_T7_P12ihipStream_tbENKUlT_T0_E_clISt17integral_constantIbLb0EES11_EEDaSW_SX_EUlSW_E_NS1_11comp_targetILNS1_3genE0ELNS1_11target_archE4294967295ELNS1_3gpuE0ELNS1_3repE0EEENS1_30default_config_static_selectorELNS0_4arch9wavefront6targetE1EEEvT1_ ; -- Begin function _ZN7rocprim17ROCPRIM_400000_NS6detail17trampoline_kernelINS0_14default_configENS1_27scan_by_key_config_selectorIiiEEZZNS1_16scan_by_key_implILNS1_25lookback_scan_determinismE0ELb1ES3_N6thrust23THRUST_200600_302600_NS6detail15normal_iteratorINS9_10device_ptrIiEEEENSB_INSC_IjEEEESE_iNS9_4plusIvEENS9_8equal_toIvEEiEE10hipError_tPvRmT2_T3_T4_T5_mT6_T7_P12ihipStream_tbENKUlT_T0_E_clISt17integral_constantIbLb0EES11_EEDaSW_SX_EUlSW_E_NS1_11comp_targetILNS1_3genE0ELNS1_11target_archE4294967295ELNS1_3gpuE0ELNS1_3repE0EEENS1_30default_config_static_selectorELNS0_4arch9wavefront6targetE1EEEvT1_
	.globl	_ZN7rocprim17ROCPRIM_400000_NS6detail17trampoline_kernelINS0_14default_configENS1_27scan_by_key_config_selectorIiiEEZZNS1_16scan_by_key_implILNS1_25lookback_scan_determinismE0ELb1ES3_N6thrust23THRUST_200600_302600_NS6detail15normal_iteratorINS9_10device_ptrIiEEEENSB_INSC_IjEEEESE_iNS9_4plusIvEENS9_8equal_toIvEEiEE10hipError_tPvRmT2_T3_T4_T5_mT6_T7_P12ihipStream_tbENKUlT_T0_E_clISt17integral_constantIbLb0EES11_EEDaSW_SX_EUlSW_E_NS1_11comp_targetILNS1_3genE0ELNS1_11target_archE4294967295ELNS1_3gpuE0ELNS1_3repE0EEENS1_30default_config_static_selectorELNS0_4arch9wavefront6targetE1EEEvT1_
	.p2align	8
	.type	_ZN7rocprim17ROCPRIM_400000_NS6detail17trampoline_kernelINS0_14default_configENS1_27scan_by_key_config_selectorIiiEEZZNS1_16scan_by_key_implILNS1_25lookback_scan_determinismE0ELb1ES3_N6thrust23THRUST_200600_302600_NS6detail15normal_iteratorINS9_10device_ptrIiEEEENSB_INSC_IjEEEESE_iNS9_4plusIvEENS9_8equal_toIvEEiEE10hipError_tPvRmT2_T3_T4_T5_mT6_T7_P12ihipStream_tbENKUlT_T0_E_clISt17integral_constantIbLb0EES11_EEDaSW_SX_EUlSW_E_NS1_11comp_targetILNS1_3genE0ELNS1_11target_archE4294967295ELNS1_3gpuE0ELNS1_3repE0EEENS1_30default_config_static_selectorELNS0_4arch9wavefront6targetE1EEEvT1_,@function
_ZN7rocprim17ROCPRIM_400000_NS6detail17trampoline_kernelINS0_14default_configENS1_27scan_by_key_config_selectorIiiEEZZNS1_16scan_by_key_implILNS1_25lookback_scan_determinismE0ELb1ES3_N6thrust23THRUST_200600_302600_NS6detail15normal_iteratorINS9_10device_ptrIiEEEENSB_INSC_IjEEEESE_iNS9_4plusIvEENS9_8equal_toIvEEiEE10hipError_tPvRmT2_T3_T4_T5_mT6_T7_P12ihipStream_tbENKUlT_T0_E_clISt17integral_constantIbLb0EES11_EEDaSW_SX_EUlSW_E_NS1_11comp_targetILNS1_3genE0ELNS1_11target_archE4294967295ELNS1_3gpuE0ELNS1_3repE0EEENS1_30default_config_static_selectorELNS0_4arch9wavefront6targetE1EEEvT1_: ; @_ZN7rocprim17ROCPRIM_400000_NS6detail17trampoline_kernelINS0_14default_configENS1_27scan_by_key_config_selectorIiiEEZZNS1_16scan_by_key_implILNS1_25lookback_scan_determinismE0ELb1ES3_N6thrust23THRUST_200600_302600_NS6detail15normal_iteratorINS9_10device_ptrIiEEEENSB_INSC_IjEEEESE_iNS9_4plusIvEENS9_8equal_toIvEEiEE10hipError_tPvRmT2_T3_T4_T5_mT6_T7_P12ihipStream_tbENKUlT_T0_E_clISt17integral_constantIbLb0EES11_EEDaSW_SX_EUlSW_E_NS1_11comp_targetILNS1_3genE0ELNS1_11target_archE4294967295ELNS1_3gpuE0ELNS1_3repE0EEENS1_30default_config_static_selectorELNS0_4arch9wavefront6targetE1EEEvT1_
; %bb.0:
	.section	.rodata,"a",@progbits
	.p2align	6, 0x0
	.amdhsa_kernel _ZN7rocprim17ROCPRIM_400000_NS6detail17trampoline_kernelINS0_14default_configENS1_27scan_by_key_config_selectorIiiEEZZNS1_16scan_by_key_implILNS1_25lookback_scan_determinismE0ELb1ES3_N6thrust23THRUST_200600_302600_NS6detail15normal_iteratorINS9_10device_ptrIiEEEENSB_INSC_IjEEEESE_iNS9_4plusIvEENS9_8equal_toIvEEiEE10hipError_tPvRmT2_T3_T4_T5_mT6_T7_P12ihipStream_tbENKUlT_T0_E_clISt17integral_constantIbLb0EES11_EEDaSW_SX_EUlSW_E_NS1_11comp_targetILNS1_3genE0ELNS1_11target_archE4294967295ELNS1_3gpuE0ELNS1_3repE0EEENS1_30default_config_static_selectorELNS0_4arch9wavefront6targetE1EEEvT1_
		.amdhsa_group_segment_fixed_size 0
		.amdhsa_private_segment_fixed_size 0
		.amdhsa_kernarg_size 112
		.amdhsa_user_sgpr_count 2
		.amdhsa_user_sgpr_dispatch_ptr 0
		.amdhsa_user_sgpr_queue_ptr 0
		.amdhsa_user_sgpr_kernarg_segment_ptr 1
		.amdhsa_user_sgpr_dispatch_id 0
		.amdhsa_user_sgpr_kernarg_preload_length 0
		.amdhsa_user_sgpr_kernarg_preload_offset 0
		.amdhsa_user_sgpr_private_segment_size 0
		.amdhsa_uses_dynamic_stack 0
		.amdhsa_enable_private_segment 0
		.amdhsa_system_sgpr_workgroup_id_x 1
		.amdhsa_system_sgpr_workgroup_id_y 0
		.amdhsa_system_sgpr_workgroup_id_z 0
		.amdhsa_system_sgpr_workgroup_info 0
		.amdhsa_system_vgpr_workitem_id 0
		.amdhsa_next_free_vgpr 1
		.amdhsa_next_free_sgpr 0
		.amdhsa_accum_offset 4
		.amdhsa_reserve_vcc 0
		.amdhsa_float_round_mode_32 0
		.amdhsa_float_round_mode_16_64 0
		.amdhsa_float_denorm_mode_32 3
		.amdhsa_float_denorm_mode_16_64 3
		.amdhsa_dx10_clamp 1
		.amdhsa_ieee_mode 1
		.amdhsa_fp16_overflow 0
		.amdhsa_tg_split 0
		.amdhsa_exception_fp_ieee_invalid_op 0
		.amdhsa_exception_fp_denorm_src 0
		.amdhsa_exception_fp_ieee_div_zero 0
		.amdhsa_exception_fp_ieee_overflow 0
		.amdhsa_exception_fp_ieee_underflow 0
		.amdhsa_exception_fp_ieee_inexact 0
		.amdhsa_exception_int_div_zero 0
	.end_amdhsa_kernel
	.section	.text._ZN7rocprim17ROCPRIM_400000_NS6detail17trampoline_kernelINS0_14default_configENS1_27scan_by_key_config_selectorIiiEEZZNS1_16scan_by_key_implILNS1_25lookback_scan_determinismE0ELb1ES3_N6thrust23THRUST_200600_302600_NS6detail15normal_iteratorINS9_10device_ptrIiEEEENSB_INSC_IjEEEESE_iNS9_4plusIvEENS9_8equal_toIvEEiEE10hipError_tPvRmT2_T3_T4_T5_mT6_T7_P12ihipStream_tbENKUlT_T0_E_clISt17integral_constantIbLb0EES11_EEDaSW_SX_EUlSW_E_NS1_11comp_targetILNS1_3genE0ELNS1_11target_archE4294967295ELNS1_3gpuE0ELNS1_3repE0EEENS1_30default_config_static_selectorELNS0_4arch9wavefront6targetE1EEEvT1_,"axG",@progbits,_ZN7rocprim17ROCPRIM_400000_NS6detail17trampoline_kernelINS0_14default_configENS1_27scan_by_key_config_selectorIiiEEZZNS1_16scan_by_key_implILNS1_25lookback_scan_determinismE0ELb1ES3_N6thrust23THRUST_200600_302600_NS6detail15normal_iteratorINS9_10device_ptrIiEEEENSB_INSC_IjEEEESE_iNS9_4plusIvEENS9_8equal_toIvEEiEE10hipError_tPvRmT2_T3_T4_T5_mT6_T7_P12ihipStream_tbENKUlT_T0_E_clISt17integral_constantIbLb0EES11_EEDaSW_SX_EUlSW_E_NS1_11comp_targetILNS1_3genE0ELNS1_11target_archE4294967295ELNS1_3gpuE0ELNS1_3repE0EEENS1_30default_config_static_selectorELNS0_4arch9wavefront6targetE1EEEvT1_,comdat
.Lfunc_end1752:
	.size	_ZN7rocprim17ROCPRIM_400000_NS6detail17trampoline_kernelINS0_14default_configENS1_27scan_by_key_config_selectorIiiEEZZNS1_16scan_by_key_implILNS1_25lookback_scan_determinismE0ELb1ES3_N6thrust23THRUST_200600_302600_NS6detail15normal_iteratorINS9_10device_ptrIiEEEENSB_INSC_IjEEEESE_iNS9_4plusIvEENS9_8equal_toIvEEiEE10hipError_tPvRmT2_T3_T4_T5_mT6_T7_P12ihipStream_tbENKUlT_T0_E_clISt17integral_constantIbLb0EES11_EEDaSW_SX_EUlSW_E_NS1_11comp_targetILNS1_3genE0ELNS1_11target_archE4294967295ELNS1_3gpuE0ELNS1_3repE0EEENS1_30default_config_static_selectorELNS0_4arch9wavefront6targetE1EEEvT1_, .Lfunc_end1752-_ZN7rocprim17ROCPRIM_400000_NS6detail17trampoline_kernelINS0_14default_configENS1_27scan_by_key_config_selectorIiiEEZZNS1_16scan_by_key_implILNS1_25lookback_scan_determinismE0ELb1ES3_N6thrust23THRUST_200600_302600_NS6detail15normal_iteratorINS9_10device_ptrIiEEEENSB_INSC_IjEEEESE_iNS9_4plusIvEENS9_8equal_toIvEEiEE10hipError_tPvRmT2_T3_T4_T5_mT6_T7_P12ihipStream_tbENKUlT_T0_E_clISt17integral_constantIbLb0EES11_EEDaSW_SX_EUlSW_E_NS1_11comp_targetILNS1_3genE0ELNS1_11target_archE4294967295ELNS1_3gpuE0ELNS1_3repE0EEENS1_30default_config_static_selectorELNS0_4arch9wavefront6targetE1EEEvT1_
                                        ; -- End function
	.section	.AMDGPU.csdata,"",@progbits
; Kernel info:
; codeLenInByte = 0
; NumSgprs: 6
; NumVgprs: 0
; NumAgprs: 0
; TotalNumVgprs: 0
; ScratchSize: 0
; MemoryBound: 0
; FloatMode: 240
; IeeeMode: 1
; LDSByteSize: 0 bytes/workgroup (compile time only)
; SGPRBlocks: 0
; VGPRBlocks: 0
; NumSGPRsForWavesPerEU: 6
; NumVGPRsForWavesPerEU: 1
; AccumOffset: 4
; Occupancy: 8
; WaveLimiterHint : 0
; COMPUTE_PGM_RSRC2:SCRATCH_EN: 0
; COMPUTE_PGM_RSRC2:USER_SGPR: 2
; COMPUTE_PGM_RSRC2:TRAP_HANDLER: 0
; COMPUTE_PGM_RSRC2:TGID_X_EN: 1
; COMPUTE_PGM_RSRC2:TGID_Y_EN: 0
; COMPUTE_PGM_RSRC2:TGID_Z_EN: 0
; COMPUTE_PGM_RSRC2:TIDIG_COMP_CNT: 0
; COMPUTE_PGM_RSRC3_GFX90A:ACCUM_OFFSET: 0
; COMPUTE_PGM_RSRC3_GFX90A:TG_SPLIT: 0
	.section	.text._ZN7rocprim17ROCPRIM_400000_NS6detail17trampoline_kernelINS0_14default_configENS1_27scan_by_key_config_selectorIiiEEZZNS1_16scan_by_key_implILNS1_25lookback_scan_determinismE0ELb1ES3_N6thrust23THRUST_200600_302600_NS6detail15normal_iteratorINS9_10device_ptrIiEEEENSB_INSC_IjEEEESE_iNS9_4plusIvEENS9_8equal_toIvEEiEE10hipError_tPvRmT2_T3_T4_T5_mT6_T7_P12ihipStream_tbENKUlT_T0_E_clISt17integral_constantIbLb0EES11_EEDaSW_SX_EUlSW_E_NS1_11comp_targetILNS1_3genE10ELNS1_11target_archE1201ELNS1_3gpuE5ELNS1_3repE0EEENS1_30default_config_static_selectorELNS0_4arch9wavefront6targetE1EEEvT1_,"axG",@progbits,_ZN7rocprim17ROCPRIM_400000_NS6detail17trampoline_kernelINS0_14default_configENS1_27scan_by_key_config_selectorIiiEEZZNS1_16scan_by_key_implILNS1_25lookback_scan_determinismE0ELb1ES3_N6thrust23THRUST_200600_302600_NS6detail15normal_iteratorINS9_10device_ptrIiEEEENSB_INSC_IjEEEESE_iNS9_4plusIvEENS9_8equal_toIvEEiEE10hipError_tPvRmT2_T3_T4_T5_mT6_T7_P12ihipStream_tbENKUlT_T0_E_clISt17integral_constantIbLb0EES11_EEDaSW_SX_EUlSW_E_NS1_11comp_targetILNS1_3genE10ELNS1_11target_archE1201ELNS1_3gpuE5ELNS1_3repE0EEENS1_30default_config_static_selectorELNS0_4arch9wavefront6targetE1EEEvT1_,comdat
	.protected	_ZN7rocprim17ROCPRIM_400000_NS6detail17trampoline_kernelINS0_14default_configENS1_27scan_by_key_config_selectorIiiEEZZNS1_16scan_by_key_implILNS1_25lookback_scan_determinismE0ELb1ES3_N6thrust23THRUST_200600_302600_NS6detail15normal_iteratorINS9_10device_ptrIiEEEENSB_INSC_IjEEEESE_iNS9_4plusIvEENS9_8equal_toIvEEiEE10hipError_tPvRmT2_T3_T4_T5_mT6_T7_P12ihipStream_tbENKUlT_T0_E_clISt17integral_constantIbLb0EES11_EEDaSW_SX_EUlSW_E_NS1_11comp_targetILNS1_3genE10ELNS1_11target_archE1201ELNS1_3gpuE5ELNS1_3repE0EEENS1_30default_config_static_selectorELNS0_4arch9wavefront6targetE1EEEvT1_ ; -- Begin function _ZN7rocprim17ROCPRIM_400000_NS6detail17trampoline_kernelINS0_14default_configENS1_27scan_by_key_config_selectorIiiEEZZNS1_16scan_by_key_implILNS1_25lookback_scan_determinismE0ELb1ES3_N6thrust23THRUST_200600_302600_NS6detail15normal_iteratorINS9_10device_ptrIiEEEENSB_INSC_IjEEEESE_iNS9_4plusIvEENS9_8equal_toIvEEiEE10hipError_tPvRmT2_T3_T4_T5_mT6_T7_P12ihipStream_tbENKUlT_T0_E_clISt17integral_constantIbLb0EES11_EEDaSW_SX_EUlSW_E_NS1_11comp_targetILNS1_3genE10ELNS1_11target_archE1201ELNS1_3gpuE5ELNS1_3repE0EEENS1_30default_config_static_selectorELNS0_4arch9wavefront6targetE1EEEvT1_
	.globl	_ZN7rocprim17ROCPRIM_400000_NS6detail17trampoline_kernelINS0_14default_configENS1_27scan_by_key_config_selectorIiiEEZZNS1_16scan_by_key_implILNS1_25lookback_scan_determinismE0ELb1ES3_N6thrust23THRUST_200600_302600_NS6detail15normal_iteratorINS9_10device_ptrIiEEEENSB_INSC_IjEEEESE_iNS9_4plusIvEENS9_8equal_toIvEEiEE10hipError_tPvRmT2_T3_T4_T5_mT6_T7_P12ihipStream_tbENKUlT_T0_E_clISt17integral_constantIbLb0EES11_EEDaSW_SX_EUlSW_E_NS1_11comp_targetILNS1_3genE10ELNS1_11target_archE1201ELNS1_3gpuE5ELNS1_3repE0EEENS1_30default_config_static_selectorELNS0_4arch9wavefront6targetE1EEEvT1_
	.p2align	8
	.type	_ZN7rocprim17ROCPRIM_400000_NS6detail17trampoline_kernelINS0_14default_configENS1_27scan_by_key_config_selectorIiiEEZZNS1_16scan_by_key_implILNS1_25lookback_scan_determinismE0ELb1ES3_N6thrust23THRUST_200600_302600_NS6detail15normal_iteratorINS9_10device_ptrIiEEEENSB_INSC_IjEEEESE_iNS9_4plusIvEENS9_8equal_toIvEEiEE10hipError_tPvRmT2_T3_T4_T5_mT6_T7_P12ihipStream_tbENKUlT_T0_E_clISt17integral_constantIbLb0EES11_EEDaSW_SX_EUlSW_E_NS1_11comp_targetILNS1_3genE10ELNS1_11target_archE1201ELNS1_3gpuE5ELNS1_3repE0EEENS1_30default_config_static_selectorELNS0_4arch9wavefront6targetE1EEEvT1_,@function
_ZN7rocprim17ROCPRIM_400000_NS6detail17trampoline_kernelINS0_14default_configENS1_27scan_by_key_config_selectorIiiEEZZNS1_16scan_by_key_implILNS1_25lookback_scan_determinismE0ELb1ES3_N6thrust23THRUST_200600_302600_NS6detail15normal_iteratorINS9_10device_ptrIiEEEENSB_INSC_IjEEEESE_iNS9_4plusIvEENS9_8equal_toIvEEiEE10hipError_tPvRmT2_T3_T4_T5_mT6_T7_P12ihipStream_tbENKUlT_T0_E_clISt17integral_constantIbLb0EES11_EEDaSW_SX_EUlSW_E_NS1_11comp_targetILNS1_3genE10ELNS1_11target_archE1201ELNS1_3gpuE5ELNS1_3repE0EEENS1_30default_config_static_selectorELNS0_4arch9wavefront6targetE1EEEvT1_: ; @_ZN7rocprim17ROCPRIM_400000_NS6detail17trampoline_kernelINS0_14default_configENS1_27scan_by_key_config_selectorIiiEEZZNS1_16scan_by_key_implILNS1_25lookback_scan_determinismE0ELb1ES3_N6thrust23THRUST_200600_302600_NS6detail15normal_iteratorINS9_10device_ptrIiEEEENSB_INSC_IjEEEESE_iNS9_4plusIvEENS9_8equal_toIvEEiEE10hipError_tPvRmT2_T3_T4_T5_mT6_T7_P12ihipStream_tbENKUlT_T0_E_clISt17integral_constantIbLb0EES11_EEDaSW_SX_EUlSW_E_NS1_11comp_targetILNS1_3genE10ELNS1_11target_archE1201ELNS1_3gpuE5ELNS1_3repE0EEENS1_30default_config_static_selectorELNS0_4arch9wavefront6targetE1EEEvT1_
; %bb.0:
	.section	.rodata,"a",@progbits
	.p2align	6, 0x0
	.amdhsa_kernel _ZN7rocprim17ROCPRIM_400000_NS6detail17trampoline_kernelINS0_14default_configENS1_27scan_by_key_config_selectorIiiEEZZNS1_16scan_by_key_implILNS1_25lookback_scan_determinismE0ELb1ES3_N6thrust23THRUST_200600_302600_NS6detail15normal_iteratorINS9_10device_ptrIiEEEENSB_INSC_IjEEEESE_iNS9_4plusIvEENS9_8equal_toIvEEiEE10hipError_tPvRmT2_T3_T4_T5_mT6_T7_P12ihipStream_tbENKUlT_T0_E_clISt17integral_constantIbLb0EES11_EEDaSW_SX_EUlSW_E_NS1_11comp_targetILNS1_3genE10ELNS1_11target_archE1201ELNS1_3gpuE5ELNS1_3repE0EEENS1_30default_config_static_selectorELNS0_4arch9wavefront6targetE1EEEvT1_
		.amdhsa_group_segment_fixed_size 0
		.amdhsa_private_segment_fixed_size 0
		.amdhsa_kernarg_size 112
		.amdhsa_user_sgpr_count 2
		.amdhsa_user_sgpr_dispatch_ptr 0
		.amdhsa_user_sgpr_queue_ptr 0
		.amdhsa_user_sgpr_kernarg_segment_ptr 1
		.amdhsa_user_sgpr_dispatch_id 0
		.amdhsa_user_sgpr_kernarg_preload_length 0
		.amdhsa_user_sgpr_kernarg_preload_offset 0
		.amdhsa_user_sgpr_private_segment_size 0
		.amdhsa_uses_dynamic_stack 0
		.amdhsa_enable_private_segment 0
		.amdhsa_system_sgpr_workgroup_id_x 1
		.amdhsa_system_sgpr_workgroup_id_y 0
		.amdhsa_system_sgpr_workgroup_id_z 0
		.amdhsa_system_sgpr_workgroup_info 0
		.amdhsa_system_vgpr_workitem_id 0
		.amdhsa_next_free_vgpr 1
		.amdhsa_next_free_sgpr 0
		.amdhsa_accum_offset 4
		.amdhsa_reserve_vcc 0
		.amdhsa_float_round_mode_32 0
		.amdhsa_float_round_mode_16_64 0
		.amdhsa_float_denorm_mode_32 3
		.amdhsa_float_denorm_mode_16_64 3
		.amdhsa_dx10_clamp 1
		.amdhsa_ieee_mode 1
		.amdhsa_fp16_overflow 0
		.amdhsa_tg_split 0
		.amdhsa_exception_fp_ieee_invalid_op 0
		.amdhsa_exception_fp_denorm_src 0
		.amdhsa_exception_fp_ieee_div_zero 0
		.amdhsa_exception_fp_ieee_overflow 0
		.amdhsa_exception_fp_ieee_underflow 0
		.amdhsa_exception_fp_ieee_inexact 0
		.amdhsa_exception_int_div_zero 0
	.end_amdhsa_kernel
	.section	.text._ZN7rocprim17ROCPRIM_400000_NS6detail17trampoline_kernelINS0_14default_configENS1_27scan_by_key_config_selectorIiiEEZZNS1_16scan_by_key_implILNS1_25lookback_scan_determinismE0ELb1ES3_N6thrust23THRUST_200600_302600_NS6detail15normal_iteratorINS9_10device_ptrIiEEEENSB_INSC_IjEEEESE_iNS9_4plusIvEENS9_8equal_toIvEEiEE10hipError_tPvRmT2_T3_T4_T5_mT6_T7_P12ihipStream_tbENKUlT_T0_E_clISt17integral_constantIbLb0EES11_EEDaSW_SX_EUlSW_E_NS1_11comp_targetILNS1_3genE10ELNS1_11target_archE1201ELNS1_3gpuE5ELNS1_3repE0EEENS1_30default_config_static_selectorELNS0_4arch9wavefront6targetE1EEEvT1_,"axG",@progbits,_ZN7rocprim17ROCPRIM_400000_NS6detail17trampoline_kernelINS0_14default_configENS1_27scan_by_key_config_selectorIiiEEZZNS1_16scan_by_key_implILNS1_25lookback_scan_determinismE0ELb1ES3_N6thrust23THRUST_200600_302600_NS6detail15normal_iteratorINS9_10device_ptrIiEEEENSB_INSC_IjEEEESE_iNS9_4plusIvEENS9_8equal_toIvEEiEE10hipError_tPvRmT2_T3_T4_T5_mT6_T7_P12ihipStream_tbENKUlT_T0_E_clISt17integral_constantIbLb0EES11_EEDaSW_SX_EUlSW_E_NS1_11comp_targetILNS1_3genE10ELNS1_11target_archE1201ELNS1_3gpuE5ELNS1_3repE0EEENS1_30default_config_static_selectorELNS0_4arch9wavefront6targetE1EEEvT1_,comdat
.Lfunc_end1753:
	.size	_ZN7rocprim17ROCPRIM_400000_NS6detail17trampoline_kernelINS0_14default_configENS1_27scan_by_key_config_selectorIiiEEZZNS1_16scan_by_key_implILNS1_25lookback_scan_determinismE0ELb1ES3_N6thrust23THRUST_200600_302600_NS6detail15normal_iteratorINS9_10device_ptrIiEEEENSB_INSC_IjEEEESE_iNS9_4plusIvEENS9_8equal_toIvEEiEE10hipError_tPvRmT2_T3_T4_T5_mT6_T7_P12ihipStream_tbENKUlT_T0_E_clISt17integral_constantIbLb0EES11_EEDaSW_SX_EUlSW_E_NS1_11comp_targetILNS1_3genE10ELNS1_11target_archE1201ELNS1_3gpuE5ELNS1_3repE0EEENS1_30default_config_static_selectorELNS0_4arch9wavefront6targetE1EEEvT1_, .Lfunc_end1753-_ZN7rocprim17ROCPRIM_400000_NS6detail17trampoline_kernelINS0_14default_configENS1_27scan_by_key_config_selectorIiiEEZZNS1_16scan_by_key_implILNS1_25lookback_scan_determinismE0ELb1ES3_N6thrust23THRUST_200600_302600_NS6detail15normal_iteratorINS9_10device_ptrIiEEEENSB_INSC_IjEEEESE_iNS9_4plusIvEENS9_8equal_toIvEEiEE10hipError_tPvRmT2_T3_T4_T5_mT6_T7_P12ihipStream_tbENKUlT_T0_E_clISt17integral_constantIbLb0EES11_EEDaSW_SX_EUlSW_E_NS1_11comp_targetILNS1_3genE10ELNS1_11target_archE1201ELNS1_3gpuE5ELNS1_3repE0EEENS1_30default_config_static_selectorELNS0_4arch9wavefront6targetE1EEEvT1_
                                        ; -- End function
	.section	.AMDGPU.csdata,"",@progbits
; Kernel info:
; codeLenInByte = 0
; NumSgprs: 6
; NumVgprs: 0
; NumAgprs: 0
; TotalNumVgprs: 0
; ScratchSize: 0
; MemoryBound: 0
; FloatMode: 240
; IeeeMode: 1
; LDSByteSize: 0 bytes/workgroup (compile time only)
; SGPRBlocks: 0
; VGPRBlocks: 0
; NumSGPRsForWavesPerEU: 6
; NumVGPRsForWavesPerEU: 1
; AccumOffset: 4
; Occupancy: 8
; WaveLimiterHint : 0
; COMPUTE_PGM_RSRC2:SCRATCH_EN: 0
; COMPUTE_PGM_RSRC2:USER_SGPR: 2
; COMPUTE_PGM_RSRC2:TRAP_HANDLER: 0
; COMPUTE_PGM_RSRC2:TGID_X_EN: 1
; COMPUTE_PGM_RSRC2:TGID_Y_EN: 0
; COMPUTE_PGM_RSRC2:TGID_Z_EN: 0
; COMPUTE_PGM_RSRC2:TIDIG_COMP_CNT: 0
; COMPUTE_PGM_RSRC3_GFX90A:ACCUM_OFFSET: 0
; COMPUTE_PGM_RSRC3_GFX90A:TG_SPLIT: 0
	.section	.text._ZN7rocprim17ROCPRIM_400000_NS6detail17trampoline_kernelINS0_14default_configENS1_27scan_by_key_config_selectorIiiEEZZNS1_16scan_by_key_implILNS1_25lookback_scan_determinismE0ELb1ES3_N6thrust23THRUST_200600_302600_NS6detail15normal_iteratorINS9_10device_ptrIiEEEENSB_INSC_IjEEEESE_iNS9_4plusIvEENS9_8equal_toIvEEiEE10hipError_tPvRmT2_T3_T4_T5_mT6_T7_P12ihipStream_tbENKUlT_T0_E_clISt17integral_constantIbLb0EES11_EEDaSW_SX_EUlSW_E_NS1_11comp_targetILNS1_3genE5ELNS1_11target_archE942ELNS1_3gpuE9ELNS1_3repE0EEENS1_30default_config_static_selectorELNS0_4arch9wavefront6targetE1EEEvT1_,"axG",@progbits,_ZN7rocprim17ROCPRIM_400000_NS6detail17trampoline_kernelINS0_14default_configENS1_27scan_by_key_config_selectorIiiEEZZNS1_16scan_by_key_implILNS1_25lookback_scan_determinismE0ELb1ES3_N6thrust23THRUST_200600_302600_NS6detail15normal_iteratorINS9_10device_ptrIiEEEENSB_INSC_IjEEEESE_iNS9_4plusIvEENS9_8equal_toIvEEiEE10hipError_tPvRmT2_T3_T4_T5_mT6_T7_P12ihipStream_tbENKUlT_T0_E_clISt17integral_constantIbLb0EES11_EEDaSW_SX_EUlSW_E_NS1_11comp_targetILNS1_3genE5ELNS1_11target_archE942ELNS1_3gpuE9ELNS1_3repE0EEENS1_30default_config_static_selectorELNS0_4arch9wavefront6targetE1EEEvT1_,comdat
	.protected	_ZN7rocprim17ROCPRIM_400000_NS6detail17trampoline_kernelINS0_14default_configENS1_27scan_by_key_config_selectorIiiEEZZNS1_16scan_by_key_implILNS1_25lookback_scan_determinismE0ELb1ES3_N6thrust23THRUST_200600_302600_NS6detail15normal_iteratorINS9_10device_ptrIiEEEENSB_INSC_IjEEEESE_iNS9_4plusIvEENS9_8equal_toIvEEiEE10hipError_tPvRmT2_T3_T4_T5_mT6_T7_P12ihipStream_tbENKUlT_T0_E_clISt17integral_constantIbLb0EES11_EEDaSW_SX_EUlSW_E_NS1_11comp_targetILNS1_3genE5ELNS1_11target_archE942ELNS1_3gpuE9ELNS1_3repE0EEENS1_30default_config_static_selectorELNS0_4arch9wavefront6targetE1EEEvT1_ ; -- Begin function _ZN7rocprim17ROCPRIM_400000_NS6detail17trampoline_kernelINS0_14default_configENS1_27scan_by_key_config_selectorIiiEEZZNS1_16scan_by_key_implILNS1_25lookback_scan_determinismE0ELb1ES3_N6thrust23THRUST_200600_302600_NS6detail15normal_iteratorINS9_10device_ptrIiEEEENSB_INSC_IjEEEESE_iNS9_4plusIvEENS9_8equal_toIvEEiEE10hipError_tPvRmT2_T3_T4_T5_mT6_T7_P12ihipStream_tbENKUlT_T0_E_clISt17integral_constantIbLb0EES11_EEDaSW_SX_EUlSW_E_NS1_11comp_targetILNS1_3genE5ELNS1_11target_archE942ELNS1_3gpuE9ELNS1_3repE0EEENS1_30default_config_static_selectorELNS0_4arch9wavefront6targetE1EEEvT1_
	.globl	_ZN7rocprim17ROCPRIM_400000_NS6detail17trampoline_kernelINS0_14default_configENS1_27scan_by_key_config_selectorIiiEEZZNS1_16scan_by_key_implILNS1_25lookback_scan_determinismE0ELb1ES3_N6thrust23THRUST_200600_302600_NS6detail15normal_iteratorINS9_10device_ptrIiEEEENSB_INSC_IjEEEESE_iNS9_4plusIvEENS9_8equal_toIvEEiEE10hipError_tPvRmT2_T3_T4_T5_mT6_T7_P12ihipStream_tbENKUlT_T0_E_clISt17integral_constantIbLb0EES11_EEDaSW_SX_EUlSW_E_NS1_11comp_targetILNS1_3genE5ELNS1_11target_archE942ELNS1_3gpuE9ELNS1_3repE0EEENS1_30default_config_static_selectorELNS0_4arch9wavefront6targetE1EEEvT1_
	.p2align	8
	.type	_ZN7rocprim17ROCPRIM_400000_NS6detail17trampoline_kernelINS0_14default_configENS1_27scan_by_key_config_selectorIiiEEZZNS1_16scan_by_key_implILNS1_25lookback_scan_determinismE0ELb1ES3_N6thrust23THRUST_200600_302600_NS6detail15normal_iteratorINS9_10device_ptrIiEEEENSB_INSC_IjEEEESE_iNS9_4plusIvEENS9_8equal_toIvEEiEE10hipError_tPvRmT2_T3_T4_T5_mT6_T7_P12ihipStream_tbENKUlT_T0_E_clISt17integral_constantIbLb0EES11_EEDaSW_SX_EUlSW_E_NS1_11comp_targetILNS1_3genE5ELNS1_11target_archE942ELNS1_3gpuE9ELNS1_3repE0EEENS1_30default_config_static_selectorELNS0_4arch9wavefront6targetE1EEEvT1_,@function
_ZN7rocprim17ROCPRIM_400000_NS6detail17trampoline_kernelINS0_14default_configENS1_27scan_by_key_config_selectorIiiEEZZNS1_16scan_by_key_implILNS1_25lookback_scan_determinismE0ELb1ES3_N6thrust23THRUST_200600_302600_NS6detail15normal_iteratorINS9_10device_ptrIiEEEENSB_INSC_IjEEEESE_iNS9_4plusIvEENS9_8equal_toIvEEiEE10hipError_tPvRmT2_T3_T4_T5_mT6_T7_P12ihipStream_tbENKUlT_T0_E_clISt17integral_constantIbLb0EES11_EEDaSW_SX_EUlSW_E_NS1_11comp_targetILNS1_3genE5ELNS1_11target_archE942ELNS1_3gpuE9ELNS1_3repE0EEENS1_30default_config_static_selectorELNS0_4arch9wavefront6targetE1EEEvT1_: ; @_ZN7rocprim17ROCPRIM_400000_NS6detail17trampoline_kernelINS0_14default_configENS1_27scan_by_key_config_selectorIiiEEZZNS1_16scan_by_key_implILNS1_25lookback_scan_determinismE0ELb1ES3_N6thrust23THRUST_200600_302600_NS6detail15normal_iteratorINS9_10device_ptrIiEEEENSB_INSC_IjEEEESE_iNS9_4plusIvEENS9_8equal_toIvEEiEE10hipError_tPvRmT2_T3_T4_T5_mT6_T7_P12ihipStream_tbENKUlT_T0_E_clISt17integral_constantIbLb0EES11_EEDaSW_SX_EUlSW_E_NS1_11comp_targetILNS1_3genE5ELNS1_11target_archE942ELNS1_3gpuE9ELNS1_3repE0EEENS1_30default_config_static_selectorELNS0_4arch9wavefront6targetE1EEEvT1_
; %bb.0:
	s_load_dwordx8 s[48:55], s[0:1], 0x0
	s_load_dword s76, s[0:1], 0x20
	s_load_dwordx4 s[56:59], s[0:1], 0x28
	s_load_dwordx2 s[68:69], s[0:1], 0x38
	s_load_dword s3, s[0:1], 0x40
	s_load_dwordx4 s[60:63], s[0:1], 0x48
	s_waitcnt lgkmcnt(0)
	s_lshl_b64 s[64:65], s[50:51], 2
	s_add_u32 s4, s48, s64
	s_addc_u32 s5, s49, s65
	s_add_u32 s6, s52, s64
	s_mul_i32 s0, s69, s3
	s_mul_hi_u32 s1, s68, s3
	s_addc_u32 s7, s53, s65
	s_add_i32 s8, s1, s0
	s_mul_i32 s0, s2, 0x1700
	s_mov_b32 s1, 0
	s_lshl_b64 s[66:67], s[0:1], 2
	s_add_u32 s70, s4, s66
	s_addc_u32 s71, s5, s67
	s_add_u32 s52, s6, s66
	s_mul_i32 s3, s68, s3
	s_addc_u32 s53, s7, s67
	s_add_u32 s0, s3, s2
	s_addc_u32 s1, s8, 0
	s_add_u32 s6, s60, -1
	s_addc_u32 s7, s61, -1
	v_mov_b64_e32 v[2:3], s[6:7]
	v_cmp_ge_u64_e64 s[0:1], s[0:1], v[2:3]
	s_mov_b64 s[4:5], -1
	s_and_b64 vcc, exec, s[0:1]
	s_mul_i32 s33, s6, 0xffffe900
	s_barrier
	s_cbranch_vccz .LBB1754_71
; %bb.1:
	v_mov_b64_e32 v[2:3], s[70:71]
	flat_load_dword v1, v[2:3]
	s_add_i32 s3, s33, s58
	v_cmp_gt_u32_e32 vcc, s3, v0
	s_waitcnt vmcnt(0) lgkmcnt(0)
	v_mov_b32_e32 v4, v1
	s_and_saveexec_b64 s[4:5], vcc
	s_cbranch_execz .LBB1754_3
; %bb.2:
	v_lshlrev_b32_e32 v2, 2, v0
	v_mov_b32_e32 v3, 0
	v_lshl_add_u64 v[2:3], s[70:71], 0, v[2:3]
	flat_load_dword v4, v[2:3]
.LBB1754_3:
	s_or_b64 exec, exec, s[4:5]
	v_or_b32_e32 v2, 0x100, v0
	v_cmp_gt_u32_e64 s[48:49], s3, v2
	v_mov_b32_e32 v5, v1
	s_and_saveexec_b64 s[4:5], s[48:49]
	s_cbranch_execz .LBB1754_5
; %bb.4:
	v_lshlrev_b32_e32 v2, 2, v0
	v_mov_b32_e32 v3, 0
	v_lshl_add_u64 v[2:3], s[70:71], 0, v[2:3]
	flat_load_dword v5, v[2:3] offset:1024
.LBB1754_5:
	s_or_b64 exec, exec, s[4:5]
	v_or_b32_e32 v2, 0x200, v0
	v_cmp_gt_u32_e64 s[4:5], s3, v2
	v_mov_b32_e32 v6, v1
	s_and_saveexec_b64 s[6:7], s[4:5]
	s_cbranch_execz .LBB1754_7
; %bb.6:
	v_lshlrev_b32_e32 v2, 2, v0
	v_mov_b32_e32 v3, 0
	v_lshl_add_u64 v[2:3], s[70:71], 0, v[2:3]
	flat_load_dword v6, v[2:3] offset:2048
.LBB1754_7:
	;; [unrolled: 12-line block ×3, first 2 shown]
	s_or_b64 exec, exec, s[8:9]
	v_or_b32_e32 v2, 0x400, v0
	v_cmp_gt_u32_e64 s[8:9], s3, v2
	v_lshlrev_b32_e32 v2, 2, v2
	v_mov_b32_e32 v3, v1
	s_and_saveexec_b64 s[10:11], s[8:9]
	s_cbranch_execz .LBB1754_11
; %bb.10:
	v_mov_b32_e32 v3, 0
	v_lshl_add_u64 v[8:9], s[70:71], 0, v[2:3]
	flat_load_dword v3, v[8:9]
.LBB1754_11:
	s_or_b64 exec, exec, s[10:11]
	v_or_b32_e32 v8, 0x500, v0
	v_cmp_gt_u32_e64 s[10:11], s3, v8
	v_lshlrev_b32_e32 v10, 2, v8
	v_mov_b32_e32 v8, v1
	s_and_saveexec_b64 s[12:13], s[10:11]
	s_cbranch_execz .LBB1754_13
; %bb.12:
	v_mov_b32_e32 v11, 0
	v_lshl_add_u64 v[8:9], s[70:71], 0, v[10:11]
	flat_load_dword v8, v[8:9]
.LBB1754_13:
	;; [unrolled: 12-line block ×18, first 2 shown]
	s_or_b64 exec, exec, s[46:47]
	v_or_b32_e32 v41, 0x1600, v0
	v_cmp_gt_u32_e64 s[46:47], s3, v41
	v_lshlrev_b32_e32 v44, 2, v41
	s_and_saveexec_b64 s[50:51], s[46:47]
	s_cbranch_execz .LBB1754_47
; %bb.46:
	v_mov_b32_e32 v45, 0
	v_lshl_add_u64 v[46:47], s[70:71], 0, v[44:45]
	flat_load_dword v1, v[46:47]
.LBB1754_47:
	s_or_b64 exec, exec, s[50:51]
	v_lshlrev_b32_e32 v46, 2, v0
	s_waitcnt vmcnt(0) lgkmcnt(0)
	ds_write2st64_b32 v46, v4, v5 offset1:4
	ds_write2st64_b32 v46, v6, v7 offset0:8 offset1:12
	ds_write2st64_b32 v46, v3, v8 offset0:16 offset1:20
	ds_write2st64_b32 v46, v9, v11 offset0:24 offset1:28
	ds_write2st64_b32 v46, v13, v15 offset0:32 offset1:36
	ds_write2st64_b32 v46, v17, v19 offset0:40 offset1:44
	ds_write2st64_b32 v46, v21, v23 offset0:48 offset1:52
	ds_write2st64_b32 v46, v25, v27 offset0:56 offset1:60
	ds_write2st64_b32 v46, v29, v31 offset0:64 offset1:68
	ds_write2st64_b32 v46, v33, v35 offset0:72 offset1:76
	ds_write2st64_b32 v46, v37, v39 offset0:80 offset1:84
	ds_write_b32 v46, v1 offset:22528
	v_mov_b64_e32 v[4:5], s[70:71]
	s_waitcnt lgkmcnt(0)
	s_barrier
	flat_load_dword v1, v[4:5]
	s_movk_i32 s50, 0x58
	v_mad_u32_u24 v70, v0, s50, v46
	s_movk_i32 s50, 0xffa8
	v_mad_i32_i24 v3, v0, s50, v70
	s_movk_i32 s50, 0xff
	v_cmp_ne_u32_e64 s[50:51], s50, v0
	ds_read_b32 v72, v70
	ds_read2_b32 v[68:69], v70 offset0:1 offset1:2
	ds_read2_b32 v[66:67], v70 offset0:3 offset1:4
	;; [unrolled: 1-line block ×11, first 2 shown]
	s_waitcnt lgkmcnt(0)
	ds_write_b32 v3, v72 offset:24576
	s_waitcnt lgkmcnt(0)
	s_barrier
	s_and_saveexec_b64 s[60:61], s[50:51]
	s_cbranch_execz .LBB1754_49
; %bb.48:
	s_waitcnt vmcnt(0)
	ds_read_b32 v1, v46 offset:24580
.LBB1754_49:
	s_or_b64 exec, exec, s[60:61]
	v_mov_b32_e32 v47, 0
	s_waitcnt lgkmcnt(0)
	s_barrier
	s_waitcnt lgkmcnt(0)
                                        ; implicit-def: $vgpr48
	s_and_saveexec_b64 s[50:51], vcc
	s_cbranch_execz .LBB1754_72
; %bb.50:
	v_lshl_add_u64 v[48:49], s[52:53], 0, v[46:47]
	flat_load_dword v48, v[48:49]
	s_or_b64 exec, exec, s[50:51]
                                        ; implicit-def: $vgpr49
	s_and_saveexec_b64 s[50:51], s[48:49]
	s_cbranch_execnz .LBB1754_73
.LBB1754_51:
	s_or_b64 exec, exec, s[50:51]
                                        ; implicit-def: $vgpr50
	s_and_saveexec_b64 s[48:49], s[4:5]
	s_cbranch_execz .LBB1754_74
.LBB1754_52:
	v_mov_b32_e32 v47, 0
	v_lshl_add_u64 v[50:51], s[52:53], 0, v[46:47]
	flat_load_dword v50, v[50:51] offset:2048
	s_or_b64 exec, exec, s[48:49]
                                        ; implicit-def: $vgpr47
	s_and_saveexec_b64 s[4:5], s[6:7]
	s_cbranch_execnz .LBB1754_75
.LBB1754_53:
	s_or_b64 exec, exec, s[4:5]
                                        ; implicit-def: $vgpr3
	s_and_saveexec_b64 s[4:5], s[8:9]
	s_cbranch_execz .LBB1754_76
.LBB1754_54:
	v_mov_b32_e32 v3, 0
	v_lshl_add_u64 v[2:3], s[52:53], 0, v[2:3]
	flat_load_dword v3, v[2:3]
	s_or_b64 exec, exec, s[4:5]
                                        ; implicit-def: $vgpr2
	s_and_saveexec_b64 s[4:5], s[10:11]
	s_cbranch_execnz .LBB1754_77
.LBB1754_55:
	s_or_b64 exec, exec, s[4:5]
                                        ; implicit-def: $vgpr10
	s_and_saveexec_b64 s[4:5], s[12:13]
	s_cbranch_execz .LBB1754_78
.LBB1754_56:
	v_mov_b32_e32 v13, 0
	v_lshl_add_u64 v[10:11], s[52:53], 0, v[12:13]
	flat_load_dword v10, v[10:11]
	s_or_b64 exec, exec, s[4:5]
                                        ; implicit-def: $vgpr11
	s_and_saveexec_b64 s[4:5], s[14:15]
	s_cbranch_execnz .LBB1754_79
.LBB1754_57:
	s_or_b64 exec, exec, s[4:5]
                                        ; implicit-def: $vgpr12
	s_and_saveexec_b64 s[4:5], s[16:17]
	s_cbranch_execz .LBB1754_80
.LBB1754_58:
	v_mov_b32_e32 v17, 0
	v_lshl_add_u64 v[12:13], s[52:53], 0, v[16:17]
	flat_load_dword v12, v[12:13]
	s_or_b64 exec, exec, s[4:5]
                                        ; implicit-def: $vgpr13
	s_and_saveexec_b64 s[4:5], s[18:19]
	s_cbranch_execnz .LBB1754_81
.LBB1754_59:
	s_or_b64 exec, exec, s[4:5]
                                        ; implicit-def: $vgpr14
	s_and_saveexec_b64 s[4:5], s[20:21]
	s_cbranch_execz .LBB1754_82
.LBB1754_60:
	v_mov_b32_e32 v21, 0
	v_lshl_add_u64 v[14:15], s[52:53], 0, v[20:21]
	flat_load_dword v14, v[14:15]
	s_or_b64 exec, exec, s[4:5]
                                        ; implicit-def: $vgpr15
	s_and_saveexec_b64 s[4:5], s[22:23]
	s_cbranch_execnz .LBB1754_83
.LBB1754_61:
	s_or_b64 exec, exec, s[4:5]
                                        ; implicit-def: $vgpr16
	s_and_saveexec_b64 s[4:5], s[24:25]
	s_cbranch_execz .LBB1754_84
.LBB1754_62:
	v_mov_b32_e32 v25, 0
	v_lshl_add_u64 v[16:17], s[52:53], 0, v[24:25]
	flat_load_dword v16, v[16:17]
	s_or_b64 exec, exec, s[4:5]
                                        ; implicit-def: $vgpr17
	s_and_saveexec_b64 s[4:5], s[26:27]
	s_cbranch_execnz .LBB1754_85
.LBB1754_63:
	s_or_b64 exec, exec, s[4:5]
                                        ; implicit-def: $vgpr18
	s_and_saveexec_b64 s[4:5], s[28:29]
	s_cbranch_execz .LBB1754_86
.LBB1754_64:
	v_mov_b32_e32 v29, 0
	v_lshl_add_u64 v[18:19], s[52:53], 0, v[28:29]
	flat_load_dword v18, v[18:19]
	s_or_b64 exec, exec, s[4:5]
                                        ; implicit-def: $vgpr19
	s_and_saveexec_b64 s[4:5], s[30:31]
	s_cbranch_execnz .LBB1754_87
.LBB1754_65:
	s_or_b64 exec, exec, s[4:5]
                                        ; implicit-def: $vgpr20
	s_and_saveexec_b64 s[4:5], s[34:35]
	s_cbranch_execz .LBB1754_88
.LBB1754_66:
	v_mov_b32_e32 v33, 0
	v_lshl_add_u64 v[20:21], s[52:53], 0, v[32:33]
	flat_load_dword v20, v[20:21]
	s_or_b64 exec, exec, s[4:5]
                                        ; implicit-def: $vgpr21
	s_and_saveexec_b64 s[4:5], s[36:37]
	s_cbranch_execnz .LBB1754_89
.LBB1754_67:
	s_or_b64 exec, exec, s[4:5]
                                        ; implicit-def: $vgpr22
	s_and_saveexec_b64 s[4:5], s[38:39]
	s_cbranch_execz .LBB1754_90
.LBB1754_68:
	v_mov_b32_e32 v37, 0
	v_lshl_add_u64 v[22:23], s[52:53], 0, v[36:37]
	flat_load_dword v22, v[22:23]
	s_or_b64 exec, exec, s[4:5]
                                        ; implicit-def: $vgpr23
	s_and_saveexec_b64 s[4:5], s[40:41]
	s_cbranch_execnz .LBB1754_91
.LBB1754_69:
	s_or_b64 exec, exec, s[4:5]
                                        ; implicit-def: $vgpr24
	s_and_saveexec_b64 s[4:5], s[42:43]
	s_cbranch_execz .LBB1754_92
.LBB1754_70:
	v_mov_b32_e32 v41, 0
	v_lshl_add_u64 v[24:25], s[52:53], 0, v[40:41]
	flat_load_dword v24, v[24:25]
	s_or_b64 exec, exec, s[4:5]
                                        ; implicit-def: $vgpr25
	s_and_saveexec_b64 s[4:5], s[44:45]
	s_cbranch_execz .LBB1754_94
	s_branch .LBB1754_93
.LBB1754_71:
	s_mov_b64 s[10:11], 0
                                        ; implicit-def: $sgpr8_sgpr9
                                        ; implicit-def: $vgpr2
                                        ; implicit-def: $vgpr10_vgpr11
                                        ; implicit-def: $vgpr12_vgpr13
                                        ; implicit-def: $vgpr14_vgpr15
                                        ; implicit-def: $vgpr16_vgpr17
                                        ; implicit-def: $vgpr18_vgpr19
                                        ; implicit-def: $vgpr20_vgpr21
                                        ; implicit-def: $vgpr22_vgpr23
                                        ; implicit-def: $vgpr24_vgpr25
                                        ; implicit-def: $vgpr26_vgpr27
                                        ; implicit-def: $vgpr28_vgpr29
                                        ; implicit-def: $vgpr30_vgpr31
                                        ; implicit-def: $vgpr32_vgpr33
                                        ; implicit-def: $vgpr34_vgpr35
                                        ; implicit-def: $vgpr36_vgpr37
                                        ; implicit-def: $vgpr38_vgpr39
                                        ; implicit-def: $vgpr40_vgpr41
                                        ; implicit-def: $vgpr42_vgpr43
                                        ; implicit-def: $vgpr44_vgpr45
                                        ; implicit-def: $vgpr46_vgpr47
                                        ; implicit-def: $vgpr48_vgpr49
                                        ; implicit-def: $vgpr50_vgpr51
                                        ; implicit-def: $vgpr52_vgpr53
                                        ; implicit-def: $sgpr6_sgpr7
	s_and_b64 vcc, exec, s[4:5]
	v_lshlrev_b32_e32 v54, 2, v0
	s_cbranch_vccz .LBB1754_148
	s_branch .LBB1754_143
.LBB1754_72:
	s_or_b64 exec, exec, s[50:51]
                                        ; implicit-def: $vgpr49
	s_and_saveexec_b64 s[50:51], s[48:49]
	s_cbranch_execz .LBB1754_51
.LBB1754_73:
	v_mov_b32_e32 v47, 0
	v_lshl_add_u64 v[50:51], s[52:53], 0, v[46:47]
	flat_load_dword v49, v[50:51] offset:1024
	s_or_b64 exec, exec, s[50:51]
                                        ; implicit-def: $vgpr50
	s_and_saveexec_b64 s[48:49], s[4:5]
	s_cbranch_execnz .LBB1754_52
.LBB1754_74:
	s_or_b64 exec, exec, s[48:49]
                                        ; implicit-def: $vgpr47
	s_and_saveexec_b64 s[4:5], s[6:7]
	s_cbranch_execz .LBB1754_53
.LBB1754_75:
	v_mov_b32_e32 v47, 0
	v_lshl_add_u64 v[52:53], s[52:53], 0, v[46:47]
	flat_load_dword v47, v[52:53] offset:3072
	s_or_b64 exec, exec, s[4:5]
                                        ; implicit-def: $vgpr3
	s_and_saveexec_b64 s[4:5], s[8:9]
	s_cbranch_execnz .LBB1754_54
.LBB1754_76:
	s_or_b64 exec, exec, s[4:5]
                                        ; implicit-def: $vgpr2
	s_and_saveexec_b64 s[4:5], s[10:11]
	s_cbranch_execz .LBB1754_55
.LBB1754_77:
	v_mov_b32_e32 v11, 0
	v_lshl_add_u64 v[10:11], s[52:53], 0, v[10:11]
	flat_load_dword v2, v[10:11]
	s_or_b64 exec, exec, s[4:5]
                                        ; implicit-def: $vgpr10
	s_and_saveexec_b64 s[4:5], s[12:13]
	s_cbranch_execnz .LBB1754_56
.LBB1754_78:
	s_or_b64 exec, exec, s[4:5]
                                        ; implicit-def: $vgpr11
	s_and_saveexec_b64 s[4:5], s[14:15]
	s_cbranch_execz .LBB1754_57
.LBB1754_79:
	v_mov_b32_e32 v15, 0
	v_lshl_add_u64 v[12:13], s[52:53], 0, v[14:15]
	flat_load_dword v11, v[12:13]
	s_or_b64 exec, exec, s[4:5]
                                        ; implicit-def: $vgpr12
	s_and_saveexec_b64 s[4:5], s[16:17]
	s_cbranch_execnz .LBB1754_58
.LBB1754_80:
	s_or_b64 exec, exec, s[4:5]
                                        ; implicit-def: $vgpr13
	s_and_saveexec_b64 s[4:5], s[18:19]
	s_cbranch_execz .LBB1754_59
.LBB1754_81:
	v_mov_b32_e32 v19, 0
	v_lshl_add_u64 v[14:15], s[52:53], 0, v[18:19]
	flat_load_dword v13, v[14:15]
	s_or_b64 exec, exec, s[4:5]
                                        ; implicit-def: $vgpr14
	s_and_saveexec_b64 s[4:5], s[20:21]
	s_cbranch_execnz .LBB1754_60
.LBB1754_82:
	s_or_b64 exec, exec, s[4:5]
                                        ; implicit-def: $vgpr15
	s_and_saveexec_b64 s[4:5], s[22:23]
	s_cbranch_execz .LBB1754_61
.LBB1754_83:
	v_mov_b32_e32 v23, 0
	v_lshl_add_u64 v[16:17], s[52:53], 0, v[22:23]
	flat_load_dword v15, v[16:17]
	s_or_b64 exec, exec, s[4:5]
                                        ; implicit-def: $vgpr16
	s_and_saveexec_b64 s[4:5], s[24:25]
	s_cbranch_execnz .LBB1754_62
.LBB1754_84:
	s_or_b64 exec, exec, s[4:5]
                                        ; implicit-def: $vgpr17
	s_and_saveexec_b64 s[4:5], s[26:27]
	s_cbranch_execz .LBB1754_63
.LBB1754_85:
	v_mov_b32_e32 v27, 0
	v_lshl_add_u64 v[18:19], s[52:53], 0, v[26:27]
	flat_load_dword v17, v[18:19]
	s_or_b64 exec, exec, s[4:5]
                                        ; implicit-def: $vgpr18
	s_and_saveexec_b64 s[4:5], s[28:29]
	s_cbranch_execnz .LBB1754_64
.LBB1754_86:
	s_or_b64 exec, exec, s[4:5]
                                        ; implicit-def: $vgpr19
	s_and_saveexec_b64 s[4:5], s[30:31]
	s_cbranch_execz .LBB1754_65
.LBB1754_87:
	v_mov_b32_e32 v31, 0
	v_lshl_add_u64 v[20:21], s[52:53], 0, v[30:31]
	flat_load_dword v19, v[20:21]
	s_or_b64 exec, exec, s[4:5]
                                        ; implicit-def: $vgpr20
	s_and_saveexec_b64 s[4:5], s[34:35]
	s_cbranch_execnz .LBB1754_66
.LBB1754_88:
	s_or_b64 exec, exec, s[4:5]
                                        ; implicit-def: $vgpr21
	s_and_saveexec_b64 s[4:5], s[36:37]
	s_cbranch_execz .LBB1754_67
.LBB1754_89:
	v_mov_b32_e32 v35, 0
	v_lshl_add_u64 v[22:23], s[52:53], 0, v[34:35]
	flat_load_dword v21, v[22:23]
	s_or_b64 exec, exec, s[4:5]
                                        ; implicit-def: $vgpr22
	s_and_saveexec_b64 s[4:5], s[38:39]
	s_cbranch_execnz .LBB1754_68
.LBB1754_90:
	s_or_b64 exec, exec, s[4:5]
                                        ; implicit-def: $vgpr23
	s_and_saveexec_b64 s[4:5], s[40:41]
	s_cbranch_execz .LBB1754_69
.LBB1754_91:
	v_mov_b32_e32 v39, 0
	v_lshl_add_u64 v[24:25], s[52:53], 0, v[38:39]
	flat_load_dword v23, v[24:25]
	s_or_b64 exec, exec, s[4:5]
                                        ; implicit-def: $vgpr24
	s_and_saveexec_b64 s[4:5], s[42:43]
	s_cbranch_execnz .LBB1754_70
.LBB1754_92:
	s_or_b64 exec, exec, s[4:5]
                                        ; implicit-def: $vgpr25
	s_and_saveexec_b64 s[4:5], s[44:45]
	s_cbranch_execz .LBB1754_94
.LBB1754_93:
	v_mov_b32_e32 v43, 0
	v_lshl_add_u64 v[26:27], s[52:53], 0, v[42:43]
	flat_load_dword v25, v[26:27]
.LBB1754_94:
	s_or_b64 exec, exec, s[4:5]
	v_mul_u32_u24_e32 v71, 23, v0
                                        ; implicit-def: $vgpr26
	s_and_saveexec_b64 s[4:5], s[46:47]
	s_cbranch_execz .LBB1754_96
; %bb.95:
	v_mov_b32_e32 v45, 0
	v_lshl_add_u64 v[26:27], s[52:53], 0, v[44:45]
	flat_load_dword v26, v[26:27]
.LBB1754_96:
	s_or_b64 exec, exec, s[4:5]
	s_waitcnt vmcnt(0) lgkmcnt(0)
	ds_write2st64_b32 v46, v48, v49 offset1:4
	ds_write2st64_b32 v46, v50, v47 offset0:8 offset1:12
	ds_write2st64_b32 v46, v3, v2 offset0:16 offset1:20
	;; [unrolled: 1-line block ×10, first 2 shown]
	ds_write_b32 v46, v26 offset:22528
	v_mov_b64_e32 v[10:11], 0
	v_cmp_gt_u32_e32 vcc, s3, v71
	s_mov_b64 s[10:11], 0
	s_mov_b64 s[4:5], 0
	v_mov_b64_e32 v[12:13], v[10:11]
	v_mov_b64_e32 v[14:15], v[10:11]
	;; [unrolled: 1-line block ×21, first 2 shown]
	s_waitcnt lgkmcnt(0)
	s_barrier
	s_waitcnt lgkmcnt(0)
                                        ; implicit-def: $sgpr8_sgpr9
                                        ; implicit-def: $vgpr2
	s_and_saveexec_b64 s[6:7], vcc
	s_cbranch_execz .LBB1754_142
; %bb.97:
	ds_read_b32 v2, v70
	v_mov_b32_e32 v10, s76
	v_cmp_eq_u32_e32 vcc, v72, v68
	v_add_u32_e32 v3, 1, v71
	v_mov_b64_e32 v[12:13], 0
	s_waitcnt lgkmcnt(0)
	v_cndmask_b32_e32 v10, v10, v2, vcc
	v_cmp_ne_u32_e32 vcc, v72, v68
	s_mov_b64 s[12:13], 0
	v_mov_b64_e32 v[14:15], v[12:13]
	v_cndmask_b32_e64 v11, 0, 1, vcc
	v_cmp_gt_u32_e32 vcc, s3, v3
	v_mov_b64_e32 v[16:17], v[12:13]
	v_mov_b64_e32 v[18:19], v[12:13]
	;; [unrolled: 1-line block ×19, first 2 shown]
                                        ; implicit-def: $sgpr14_sgpr15
                                        ; implicit-def: $vgpr2
	s_and_saveexec_b64 s[8:9], vcc
	s_cbranch_execz .LBB1754_141
; %bb.98:
	ds_read2_b32 v[2:3], v70 offset0:1 offset1:2
	v_mov_b32_e32 v12, s76
	v_cmp_eq_u32_e32 vcc, v68, v69
	v_add_u32_e32 v14, 2, v71
	s_mov_b64 s[14:15], 0
	s_waitcnt lgkmcnt(0)
	v_cndmask_b32_e32 v12, v12, v2, vcc
	v_cmp_ne_u32_e32 vcc, v68, v69
                                        ; implicit-def: $sgpr16_sgpr17
                                        ; implicit-def: $vgpr2
	s_nop 1
	v_cndmask_b32_e64 v13, 0, 1, vcc
	v_cmp_gt_u32_e32 vcc, s3, v14
	v_mov_b64_e32 v[14:15], 0
	v_mov_b64_e32 v[16:17], v[14:15]
	;; [unrolled: 1-line block ×20, first 2 shown]
	s_and_saveexec_b64 s[10:11], vcc
	s_cbranch_execz .LBB1754_140
; %bb.99:
	v_mov_b32_e32 v14, s76
	v_cmp_eq_u32_e32 vcc, v69, v66
	v_add_u32_e32 v2, 3, v71
	v_mov_b64_e32 v[16:17], 0
	v_cndmask_b32_e32 v14, v14, v3, vcc
	v_cmp_ne_u32_e32 vcc, v69, v66
	s_mov_b64 s[16:17], 0
	v_mov_b64_e32 v[18:19], v[16:17]
	v_cndmask_b32_e64 v15, 0, 1, vcc
	v_cmp_gt_u32_e32 vcc, s3, v2
	v_mov_b64_e32 v[20:21], v[16:17]
	v_mov_b64_e32 v[22:23], v[16:17]
	;; [unrolled: 1-line block ×17, first 2 shown]
                                        ; implicit-def: $sgpr18_sgpr19
                                        ; implicit-def: $vgpr2
	s_and_saveexec_b64 s[12:13], vcc
	s_cbranch_execz .LBB1754_139
; %bb.100:
	ds_read2_b32 v[2:3], v70 offset0:3 offset1:4
	v_mov_b32_e32 v16, s76
	v_cmp_eq_u32_e32 vcc, v66, v67
	v_add_u32_e32 v18, 4, v71
	s_mov_b64 s[18:19], 0
	s_waitcnt lgkmcnt(0)
	v_cndmask_b32_e32 v16, v16, v2, vcc
	v_cmp_ne_u32_e32 vcc, v66, v67
                                        ; implicit-def: $sgpr20_sgpr21
                                        ; implicit-def: $vgpr2
	s_nop 1
	v_cndmask_b32_e64 v17, 0, 1, vcc
	v_cmp_gt_u32_e32 vcc, s3, v18
	v_mov_b64_e32 v[18:19], 0
	v_mov_b64_e32 v[20:21], v[18:19]
	;; [unrolled: 1-line block ×18, first 2 shown]
	s_and_saveexec_b64 s[14:15], vcc
	s_cbranch_execz .LBB1754_138
; %bb.101:
	v_mov_b32_e32 v18, s76
	v_cmp_eq_u32_e32 vcc, v67, v64
	v_add_u32_e32 v2, 5, v71
	v_mov_b64_e32 v[20:21], 0
	v_cndmask_b32_e32 v18, v18, v3, vcc
	v_cmp_ne_u32_e32 vcc, v67, v64
	s_mov_b64 s[20:21], 0
	v_mov_b64_e32 v[22:23], v[20:21]
	v_cndmask_b32_e64 v19, 0, 1, vcc
	v_cmp_gt_u32_e32 vcc, s3, v2
	v_mov_b64_e32 v[24:25], v[20:21]
	v_mov_b64_e32 v[26:27], v[20:21]
	;; [unrolled: 1-line block ×15, first 2 shown]
                                        ; implicit-def: $sgpr22_sgpr23
                                        ; implicit-def: $vgpr2
	s_and_saveexec_b64 s[16:17], vcc
	s_cbranch_execz .LBB1754_137
; %bb.102:
	ds_read2_b32 v[2:3], v70 offset0:5 offset1:6
	v_mov_b32_e32 v20, s76
	v_cmp_eq_u32_e32 vcc, v64, v65
	v_add_u32_e32 v22, 6, v71
	s_mov_b64 s[22:23], 0
	s_waitcnt lgkmcnt(0)
	v_cndmask_b32_e32 v20, v20, v2, vcc
	v_cmp_ne_u32_e32 vcc, v64, v65
                                        ; implicit-def: $sgpr24_sgpr25
                                        ; implicit-def: $vgpr2
	s_nop 1
	v_cndmask_b32_e64 v21, 0, 1, vcc
	v_cmp_gt_u32_e32 vcc, s3, v22
	v_mov_b64_e32 v[22:23], 0
	v_mov_b64_e32 v[24:25], v[22:23]
	;; [unrolled: 1-line block ×16, first 2 shown]
	s_and_saveexec_b64 s[18:19], vcc
	s_cbranch_execz .LBB1754_136
; %bb.103:
	v_mov_b32_e32 v22, s76
	v_cmp_eq_u32_e32 vcc, v65, v62
	v_add_u32_e32 v2, 7, v71
	v_mov_b64_e32 v[24:25], 0
	v_cndmask_b32_e32 v22, v22, v3, vcc
	v_cmp_ne_u32_e32 vcc, v65, v62
	s_mov_b64 s[24:25], 0
	v_mov_b64_e32 v[26:27], v[24:25]
	v_cndmask_b32_e64 v23, 0, 1, vcc
	v_cmp_gt_u32_e32 vcc, s3, v2
	v_mov_b64_e32 v[28:29], v[24:25]
	v_mov_b64_e32 v[30:31], v[24:25]
	;; [unrolled: 1-line block ×13, first 2 shown]
                                        ; implicit-def: $sgpr26_sgpr27
                                        ; implicit-def: $vgpr2
	s_and_saveexec_b64 s[20:21], vcc
	s_cbranch_execz .LBB1754_135
; %bb.104:
	ds_read2_b32 v[2:3], v70 offset0:7 offset1:8
	v_mov_b32_e32 v24, s76
	v_cmp_eq_u32_e32 vcc, v62, v63
	v_add_u32_e32 v26, 8, v71
	s_mov_b64 s[26:27], 0
	s_waitcnt lgkmcnt(0)
	v_cndmask_b32_e32 v24, v24, v2, vcc
	v_cmp_ne_u32_e32 vcc, v62, v63
                                        ; implicit-def: $sgpr28_sgpr29
                                        ; implicit-def: $vgpr2
	s_nop 1
	v_cndmask_b32_e64 v25, 0, 1, vcc
	v_cmp_gt_u32_e32 vcc, s3, v26
	v_mov_b64_e32 v[26:27], 0
	v_mov_b64_e32 v[28:29], v[26:27]
	v_mov_b64_e32 v[30:31], v[26:27]
	v_mov_b64_e32 v[32:33], v[26:27]
	v_mov_b64_e32 v[34:35], v[26:27]
	v_mov_b64_e32 v[36:37], v[26:27]
	v_mov_b64_e32 v[38:39], v[26:27]
	v_mov_b64_e32 v[40:41], v[26:27]
	v_mov_b64_e32 v[42:43], v[26:27]
	v_mov_b64_e32 v[44:45], v[26:27]
	v_mov_b64_e32 v[46:47], v[26:27]
	v_mov_b64_e32 v[48:49], v[26:27]
	v_mov_b64_e32 v[50:51], v[26:27]
	v_mov_b64_e32 v[52:53], v[26:27]
	s_and_saveexec_b64 s[22:23], vcc
	s_cbranch_execz .LBB1754_134
; %bb.105:
	v_mov_b32_e32 v26, s76
	v_cmp_eq_u32_e32 vcc, v63, v60
	v_add_u32_e32 v2, 9, v71
	v_mov_b64_e32 v[28:29], 0
	v_cndmask_b32_e32 v26, v26, v3, vcc
	v_cmp_ne_u32_e32 vcc, v63, v60
	s_mov_b64 s[28:29], 0
	v_mov_b64_e32 v[30:31], v[28:29]
	v_cndmask_b32_e64 v27, 0, 1, vcc
	v_cmp_gt_u32_e32 vcc, s3, v2
	v_mov_b64_e32 v[32:33], v[28:29]
	v_mov_b64_e32 v[34:35], v[28:29]
	;; [unrolled: 1-line block ×11, first 2 shown]
                                        ; implicit-def: $sgpr30_sgpr31
                                        ; implicit-def: $vgpr2
	s_and_saveexec_b64 s[24:25], vcc
	s_cbranch_execz .LBB1754_133
; %bb.106:
	ds_read2_b32 v[2:3], v70 offset0:9 offset1:10
	v_mov_b32_e32 v28, s76
	v_cmp_eq_u32_e32 vcc, v60, v61
	v_add_u32_e32 v30, 10, v71
	s_mov_b64 s[30:31], 0
	s_waitcnt lgkmcnt(0)
	v_cndmask_b32_e32 v28, v28, v2, vcc
	v_cmp_ne_u32_e32 vcc, v60, v61
                                        ; implicit-def: $sgpr34_sgpr35
                                        ; implicit-def: $vgpr2
	s_nop 1
	v_cndmask_b32_e64 v29, 0, 1, vcc
	v_cmp_gt_u32_e32 vcc, s3, v30
	v_mov_b64_e32 v[30:31], 0
	v_mov_b64_e32 v[32:33], v[30:31]
	;; [unrolled: 1-line block ×12, first 2 shown]
	s_and_saveexec_b64 s[26:27], vcc
	s_cbranch_execz .LBB1754_132
; %bb.107:
	v_mov_b32_e32 v30, s76
	v_cmp_eq_u32_e32 vcc, v61, v58
	v_add_u32_e32 v2, 11, v71
	v_mov_b64_e32 v[32:33], 0
	v_cndmask_b32_e32 v30, v30, v3, vcc
	v_cmp_ne_u32_e32 vcc, v61, v58
	s_mov_b64 s[34:35], 0
	v_mov_b64_e32 v[34:35], v[32:33]
	v_cndmask_b32_e64 v31, 0, 1, vcc
	v_cmp_gt_u32_e32 vcc, s3, v2
	v_mov_b64_e32 v[36:37], v[32:33]
	v_mov_b64_e32 v[38:39], v[32:33]
	;; [unrolled: 1-line block ×9, first 2 shown]
                                        ; implicit-def: $sgpr36_sgpr37
                                        ; implicit-def: $vgpr2
	s_and_saveexec_b64 s[28:29], vcc
	s_cbranch_execz .LBB1754_131
; %bb.108:
	ds_read2_b32 v[2:3], v70 offset0:11 offset1:12
	v_mov_b32_e32 v32, s76
	v_cmp_eq_u32_e32 vcc, v58, v59
	v_add_u32_e32 v34, 12, v71
	s_mov_b64 s[36:37], 0
	s_waitcnt lgkmcnt(0)
	v_cndmask_b32_e32 v32, v32, v2, vcc
	v_cmp_ne_u32_e32 vcc, v58, v59
                                        ; implicit-def: $sgpr38_sgpr39
                                        ; implicit-def: $vgpr2
	s_nop 1
	v_cndmask_b32_e64 v33, 0, 1, vcc
	v_cmp_gt_u32_e32 vcc, s3, v34
	v_mov_b64_e32 v[34:35], 0
	v_mov_b64_e32 v[36:37], v[34:35]
	;; [unrolled: 1-line block ×10, first 2 shown]
	s_and_saveexec_b64 s[30:31], vcc
	s_cbranch_execz .LBB1754_130
; %bb.109:
	v_mov_b32_e32 v34, s76
	v_cmp_eq_u32_e32 vcc, v59, v56
	v_add_u32_e32 v2, 13, v71
	v_mov_b64_e32 v[36:37], 0
	v_cndmask_b32_e32 v34, v34, v3, vcc
	v_cmp_ne_u32_e32 vcc, v59, v56
	s_mov_b64 s[38:39], 0
	v_mov_b64_e32 v[38:39], v[36:37]
	v_cndmask_b32_e64 v35, 0, 1, vcc
	v_cmp_gt_u32_e32 vcc, s3, v2
	v_mov_b64_e32 v[40:41], v[36:37]
	v_mov_b64_e32 v[42:43], v[36:37]
	;; [unrolled: 1-line block ×7, first 2 shown]
                                        ; implicit-def: $sgpr40_sgpr41
                                        ; implicit-def: $vgpr2
	s_and_saveexec_b64 s[34:35], vcc
	s_cbranch_execz .LBB1754_129
; %bb.110:
	ds_read2_b32 v[2:3], v70 offset0:13 offset1:14
	v_mov_b32_e32 v36, s76
	v_cmp_eq_u32_e32 vcc, v56, v57
	v_add_u32_e32 v38, 14, v71
	s_mov_b64 s[40:41], 0
	s_waitcnt lgkmcnt(0)
	v_cndmask_b32_e32 v36, v36, v2, vcc
	v_cmp_ne_u32_e32 vcc, v56, v57
                                        ; implicit-def: $sgpr42_sgpr43
                                        ; implicit-def: $vgpr2
	s_nop 1
	v_cndmask_b32_e64 v37, 0, 1, vcc
	v_cmp_gt_u32_e32 vcc, s3, v38
	v_mov_b64_e32 v[38:39], 0
	v_mov_b64_e32 v[40:41], v[38:39]
	;; [unrolled: 1-line block ×8, first 2 shown]
	s_and_saveexec_b64 s[36:37], vcc
	s_cbranch_execz .LBB1754_128
; %bb.111:
	v_mov_b32_e32 v38, s76
	v_cmp_eq_u32_e32 vcc, v57, v54
	v_add_u32_e32 v2, 15, v71
	v_mov_b64_e32 v[40:41], 0
	v_cndmask_b32_e32 v38, v38, v3, vcc
	v_cmp_ne_u32_e32 vcc, v57, v54
	s_mov_b64 s[42:43], 0
	v_mov_b64_e32 v[42:43], v[40:41]
	v_cndmask_b32_e64 v39, 0, 1, vcc
	v_cmp_gt_u32_e32 vcc, s3, v2
	v_mov_b64_e32 v[44:45], v[40:41]
	v_mov_b64_e32 v[46:47], v[40:41]
	;; [unrolled: 1-line block ×5, first 2 shown]
                                        ; implicit-def: $sgpr44_sgpr45
                                        ; implicit-def: $vgpr2
	s_and_saveexec_b64 s[38:39], vcc
	s_cbranch_execz .LBB1754_127
; %bb.112:
	ds_read2_b32 v[2:3], v70 offset0:15 offset1:16
	v_mov_b32_e32 v40, s76
	v_cmp_eq_u32_e32 vcc, v54, v55
	v_add_u32_e32 v42, 16, v71
	s_mov_b64 s[44:45], 0
	s_waitcnt lgkmcnt(0)
	v_cndmask_b32_e32 v40, v40, v2, vcc
	v_cmp_ne_u32_e32 vcc, v54, v55
                                        ; implicit-def: $sgpr46_sgpr47
                                        ; implicit-def: $vgpr2
	s_nop 1
	v_cndmask_b32_e64 v41, 0, 1, vcc
	v_cmp_gt_u32_e32 vcc, s3, v42
	v_mov_b64_e32 v[42:43], 0
	v_mov_b64_e32 v[44:45], v[42:43]
	;; [unrolled: 1-line block ×6, first 2 shown]
	s_and_saveexec_b64 s[40:41], vcc
	s_cbranch_execz .LBB1754_126
; %bb.113:
	v_mov_b32_e32 v42, s76
	v_cmp_eq_u32_e32 vcc, v55, v8
	v_add_u32_e32 v2, 17, v71
	v_mov_b64_e32 v[44:45], 0
	v_cndmask_b32_e32 v42, v42, v3, vcc
	v_cmp_ne_u32_e32 vcc, v55, v8
	s_mov_b64 s[46:47], 0
	v_mov_b64_e32 v[46:47], v[44:45]
	v_cndmask_b32_e64 v43, 0, 1, vcc
	v_cmp_gt_u32_e32 vcc, s3, v2
	v_mov_b64_e32 v[48:49], v[44:45]
	v_mov_b64_e32 v[50:51], v[44:45]
	;; [unrolled: 1-line block ×3, first 2 shown]
                                        ; implicit-def: $sgpr48_sgpr49
                                        ; implicit-def: $vgpr2
	s_and_saveexec_b64 s[42:43], vcc
	s_cbranch_execz .LBB1754_125
; %bb.114:
	ds_read2_b32 v[2:3], v70 offset0:17 offset1:18
	v_mov_b32_e32 v44, s76
	v_cmp_eq_u32_e32 vcc, v8, v9
	v_add_u32_e32 v46, 18, v71
	s_mov_b64 s[48:49], 0
	s_waitcnt lgkmcnt(0)
	v_cndmask_b32_e32 v44, v44, v2, vcc
	v_cmp_ne_u32_e32 vcc, v8, v9
                                        ; implicit-def: $sgpr50_sgpr51
                                        ; implicit-def: $vgpr2
	s_nop 1
	v_cndmask_b32_e64 v45, 0, 1, vcc
	v_cmp_gt_u32_e32 vcc, s3, v46
	v_mov_b64_e32 v[46:47], 0
	v_mov_b64_e32 v[48:49], v[46:47]
	;; [unrolled: 1-line block ×4, first 2 shown]
	s_and_saveexec_b64 s[44:45], vcc
	s_cbranch_execz .LBB1754_124
; %bb.115:
	v_mov_b32_e32 v8, s76
	v_cmp_eq_u32_e32 vcc, v9, v6
	v_add_u32_e32 v2, 19, v71
	v_mov_b64_e32 v[48:49], 0
	v_cndmask_b32_e32 v46, v8, v3, vcc
	v_cmp_ne_u32_e32 vcc, v9, v6
	s_mov_b64 s[50:51], 0
	v_mov_b64_e32 v[50:51], v[48:49]
	v_cndmask_b32_e64 v47, 0, 1, vcc
	v_cmp_gt_u32_e32 vcc, s3, v2
	v_mov_b64_e32 v[52:53], v[48:49]
                                        ; implicit-def: $sgpr60_sgpr61
                                        ; implicit-def: $vgpr2
	s_and_saveexec_b64 s[46:47], vcc
	s_cbranch_execz .LBB1754_123
; %bb.116:
	ds_read2_b32 v[2:3], v70 offset0:19 offset1:20
	v_mov_b32_e32 v9, s76
	v_cmp_eq_u32_e32 vcc, v6, v7
	v_add_u32_e32 v8, 20, v71
	v_mov_b64_e32 v[50:51], 0
	s_waitcnt lgkmcnt(0)
	v_cndmask_b32_e32 v48, v9, v2, vcc
	v_cmp_ne_u32_e32 vcc, v6, v7
	s_mov_b64 s[60:61], 0
	v_mov_b64_e32 v[52:53], v[50:51]
	v_cndmask_b32_e64 v49, 0, 1, vcc
	v_cmp_gt_u32_e32 vcc, s3, v8
                                        ; implicit-def: $sgpr72_sgpr73
                                        ; implicit-def: $vgpr2
	s_and_saveexec_b64 s[48:49], vcc
	s_cbranch_execz .LBB1754_122
; %bb.117:
	v_mov_b32_e32 v6, s76
	v_cmp_eq_u32_e32 vcc, v7, v4
	v_add_u32_e32 v2, 21, v71
	v_mov_b64_e32 v[52:53], 0
	v_cndmask_b32_e32 v50, v6, v3, vcc
	v_cmp_ne_u32_e32 vcc, v7, v4
                                        ; implicit-def: $sgpr72_sgpr73
	s_nop 1
	v_cndmask_b32_e64 v51, 0, 1, vcc
	v_cmp_gt_u32_e32 vcc, s3, v2
                                        ; implicit-def: $vgpr2
	s_and_saveexec_b64 s[50:51], vcc
	s_cbranch_execz .LBB1754_121
; %bb.118:
	ds_read2_b32 v[2:3], v70 offset0:21 offset1:22
	v_mov_b32_e32 v7, s76
	v_cmp_eq_u32_e32 vcc, v4, v5
	v_add_u32_e32 v6, 22, v71
                                        ; implicit-def: $sgpr72_sgpr73
	s_waitcnt lgkmcnt(0)
	v_cndmask_b32_e32 v52, v7, v2, vcc
	v_cmp_ne_u32_e32 vcc, v4, v5
                                        ; implicit-def: $vgpr2
	s_nop 1
	v_cndmask_b32_e64 v53, 0, 1, vcc
	v_cmp_gt_u32_e32 vcc, s3, v6
	s_and_saveexec_b64 s[74:75], vcc
	s_xor_b64 s[74:75], exec, s[74:75]
; %bb.119:
	v_mov_b32_e32 v2, s76
	v_cmp_ne_u32_e32 vcc, v5, v1
	s_mov_b64 s[60:61], exec
	s_and_b64 s[72:73], vcc, exec
	v_cndmask_b32_e32 v2, v3, v2, vcc
; %bb.120:
	s_or_b64 exec, exec, s[74:75]
	s_and_b64 s[72:73], s[72:73], exec
	s_and_b64 s[60:61], s[60:61], exec
.LBB1754_121:
	s_or_b64 exec, exec, s[50:51]
	s_and_b64 s[72:73], s[72:73], exec
	s_and_b64 s[50:51], s[60:61], exec
.LBB1754_122:
	s_or_b64 exec, exec, s[48:49]
	s_and_b64 s[60:61], s[72:73], exec
	s_and_b64 s[48:49], s[50:51], exec
.LBB1754_123:
	s_or_b64 exec, exec, s[46:47]
	s_and_b64 s[50:51], s[60:61], exec
	s_and_b64 s[46:47], s[48:49], exec
.LBB1754_124:
	s_or_b64 exec, exec, s[44:45]
	s_and_b64 s[48:49], s[50:51], exec
	s_and_b64 s[44:45], s[46:47], exec
.LBB1754_125:
	s_or_b64 exec, exec, s[42:43]
	s_and_b64 s[46:47], s[48:49], exec
	s_and_b64 s[42:43], s[44:45], exec
.LBB1754_126:
	s_or_b64 exec, exec, s[40:41]
	s_and_b64 s[44:45], s[46:47], exec
	s_and_b64 s[40:41], s[42:43], exec
.LBB1754_127:
	s_or_b64 exec, exec, s[38:39]
	s_and_b64 s[42:43], s[44:45], exec
	s_and_b64 s[38:39], s[40:41], exec
.LBB1754_128:
	s_or_b64 exec, exec, s[36:37]
	s_and_b64 s[40:41], s[42:43], exec
	s_and_b64 s[36:37], s[38:39], exec
.LBB1754_129:
	s_or_b64 exec, exec, s[34:35]
	s_and_b64 s[38:39], s[40:41], exec
	s_and_b64 s[34:35], s[36:37], exec
.LBB1754_130:
	s_or_b64 exec, exec, s[30:31]
	s_and_b64 s[36:37], s[38:39], exec
	s_and_b64 s[30:31], s[34:35], exec
.LBB1754_131:
	s_or_b64 exec, exec, s[28:29]
	s_and_b64 s[34:35], s[36:37], exec
	s_and_b64 s[28:29], s[30:31], exec
.LBB1754_132:
	s_or_b64 exec, exec, s[26:27]
	s_and_b64 s[30:31], s[34:35], exec
	s_and_b64 s[26:27], s[28:29], exec
.LBB1754_133:
	s_or_b64 exec, exec, s[24:25]
	s_and_b64 s[28:29], s[30:31], exec
	s_and_b64 s[24:25], s[26:27], exec
.LBB1754_134:
	s_or_b64 exec, exec, s[22:23]
	s_and_b64 s[26:27], s[28:29], exec
	s_and_b64 s[22:23], s[24:25], exec
.LBB1754_135:
	s_or_b64 exec, exec, s[20:21]
	s_and_b64 s[24:25], s[26:27], exec
	s_and_b64 s[20:21], s[22:23], exec
.LBB1754_136:
	s_or_b64 exec, exec, s[18:19]
	s_and_b64 s[22:23], s[24:25], exec
	s_and_b64 s[18:19], s[20:21], exec
.LBB1754_137:
	s_or_b64 exec, exec, s[16:17]
	s_and_b64 s[20:21], s[22:23], exec
	s_and_b64 s[16:17], s[18:19], exec
.LBB1754_138:
	s_or_b64 exec, exec, s[14:15]
	s_and_b64 s[18:19], s[20:21], exec
	s_and_b64 s[14:15], s[16:17], exec
.LBB1754_139:
	s_or_b64 exec, exec, s[12:13]
	s_and_b64 s[16:17], s[18:19], exec
	s_and_b64 s[12:13], s[14:15], exec
.LBB1754_140:
	s_or_b64 exec, exec, s[10:11]
	s_and_b64 s[14:15], s[16:17], exec
	s_and_b64 s[10:11], s[12:13], exec
.LBB1754_141:
	s_or_b64 exec, exec, s[8:9]
	s_and_b64 s[8:9], s[14:15], exec
	s_and_b64 s[10:11], s[10:11], exec
.LBB1754_142:
	s_or_b64 exec, exec, s[6:7]
	s_mov_b64 s[6:7], 0
	s_and_b64 vcc, exec, s[4:5]
	v_lshlrev_b32_e32 v54, 2, v0
	s_cbranch_vccz .LBB1754_148
.LBB1754_143:
	v_mov_b32_e32 v55, 0
	v_lshl_add_u64 v[2:3], s[70:71], 0, v[54:55]
	v_add_co_u32_e32 v4, vcc, 0x1000, v2
	s_movk_i32 s6, 0x58
	s_nop 0
	v_addc_co_u32_e32 v5, vcc, 0, v3, vcc
	flat_load_dword v1, v[2:3]
	flat_load_dword v8, v[2:3] offset:1024
	flat_load_dword v9, v[2:3] offset:2048
	;; [unrolled: 1-line block ×3, first 2 shown]
	flat_load_dword v11, v[4:5]
	flat_load_dword v12, v[4:5] offset:1024
	flat_load_dword v13, v[4:5] offset:2048
	;; [unrolled: 1-line block ×3, first 2 shown]
	v_add_co_u32_e32 v4, vcc, 0x2000, v2
	s_movk_i32 s10, 0x1000
	s_nop 0
	v_addc_co_u32_e32 v5, vcc, 0, v3, vcc
	v_add_co_u32_e32 v6, vcc, 0x3000, v2
	s_mov_b32 s4, 0
	s_nop 0
	v_addc_co_u32_e32 v7, vcc, 0, v3, vcc
	flat_load_dword v15, v[4:5]
	flat_load_dword v16, v[4:5] offset:1024
	flat_load_dword v17, v[4:5] offset:2048
	;; [unrolled: 1-line block ×3, first 2 shown]
	flat_load_dword v19, v[6:7]
	flat_load_dword v20, v[6:7] offset:1024
	flat_load_dword v21, v[6:7] offset:2048
	;; [unrolled: 1-line block ×3, first 2 shown]
	v_add_co_u32_e32 v4, vcc, 0x4000, v2
	s_movk_i32 s9, 0x2000
	s_nop 0
	v_addc_co_u32_e32 v5, vcc, 0, v3, vcc
	v_add_co_u32_e32 v2, vcc, 0x5000, v2
	s_movk_i32 s8, 0x3000
	s_nop 0
	v_addc_co_u32_e32 v3, vcc, 0, v3, vcc
	flat_load_dword v6, v[4:5]
	flat_load_dword v7, v[4:5] offset:1024
	flat_load_dword v23, v[4:5] offset:2048
	;; [unrolled: 1-line block ×3, first 2 shown]
	flat_load_dword v25, v[2:3]
	flat_load_dword v26, v[2:3] offset:1024
	flat_load_dword v27, v[2:3] offset:2048
	v_mov_b32_e32 v2, s70
	v_mov_b32_e32 v3, s71
	v_add_co_u32_e32 v2, vcc, 0x5000, v2
	s_movk_i32 s5, 0x4000
	s_nop 0
	v_addc_co_u32_e32 v3, vcc, 0, v3, vcc
	s_movk_i32 s3, 0x5000
	s_waitcnt vmcnt(0) lgkmcnt(0)
	ds_write2st64_b32 v54, v1, v8 offset1:4
	ds_write2st64_b32 v54, v9, v10 offset0:8 offset1:12
	ds_write2st64_b32 v54, v11, v12 offset0:16 offset1:20
	;; [unrolled: 1-line block ×10, first 2 shown]
	ds_write_b32 v54, v27 offset:22528
	s_waitcnt lgkmcnt(0)
	s_barrier
	flat_load_dword v1, v[2:3] offset:3072
	v_mad_u32_u24 v12, v0, s6, v54
	s_movk_i32 s6, 0xffa8
	v_mad_i32_i24 v11, v0, s6, v12
	s_movk_i32 s6, 0xff
	v_cmp_ne_u32_e32 vcc, s6, v0
	ds_read_b32 v10, v12
	ds_read2_b32 v[14:15], v12 offset0:1 offset1:2
	ds_read2_b32 v[18:19], v12 offset0:3 offset1:4
	;; [unrolled: 1-line block ×11, first 2 shown]
	s_waitcnt lgkmcnt(0)
	ds_write_b32 v11, v10 offset:24576
	s_waitcnt lgkmcnt(0)
	s_barrier
	s_and_saveexec_b64 s[6:7], vcc
	s_cbranch_execz .LBB1754_145
; %bb.144:
	s_waitcnt vmcnt(0)
	ds_read_b32 v1, v54 offset:24580
.LBB1754_145:
	s_or_b64 exec, exec, s[6:7]
	v_lshl_add_u64 v[16:17], s[52:53], 0, v[54:55]
	v_add_co_u32_e32 v20, vcc, s10, v16
	s_waitcnt lgkmcnt(0)
	s_nop 0
	v_addc_co_u32_e32 v21, vcc, 0, v17, vcc
	s_barrier
	flat_load_dword v11, v[16:17]
	flat_load_dword v13, v[16:17] offset:1024
	flat_load_dword v28, v[16:17] offset:2048
	;; [unrolled: 1-line block ×3, first 2 shown]
	flat_load_dword v32, v[20:21]
	flat_load_dword v33, v[20:21] offset:1024
	flat_load_dword v36, v[20:21] offset:2048
	flat_load_dword v37, v[20:21] offset:3072
	v_add_co_u32_e32 v20, vcc, s9, v16
	s_nop 1
	v_addc_co_u32_e32 v21, vcc, 0, v17, vcc
	v_add_co_u32_e32 v24, vcc, s8, v16
	s_nop 1
	v_addc_co_u32_e32 v25, vcc, 0, v17, vcc
	flat_load_dword v40, v[20:21]
	flat_load_dword v41, v[20:21] offset:1024
	flat_load_dword v42, v[20:21] offset:2048
	;; [unrolled: 1-line block ×3, first 2 shown]
	flat_load_dword v44, v[24:25]
	flat_load_dword v45, v[24:25] offset:1024
	flat_load_dword v46, v[24:25] offset:2048
	;; [unrolled: 1-line block ×3, first 2 shown]
	v_add_co_u32_e32 v20, vcc, s5, v16
	s_mov_b32 s5, 1
	s_nop 0
	v_addc_co_u32_e32 v21, vcc, 0, v17, vcc
	v_add_co_u32_e32 v16, vcc, s3, v16
	s_nop 1
	v_addc_co_u32_e32 v17, vcc, 0, v17, vcc
	flat_load_dword v24, v[20:21]
	flat_load_dword v25, v[20:21] offset:1024
	flat_load_dword v48, v[20:21] offset:2048
	;; [unrolled: 1-line block ×3, first 2 shown]
	flat_load_dword v50, v[16:17]
	flat_load_dword v51, v[16:17] offset:1024
	flat_load_dword v52, v[16:17] offset:2048
	v_cmp_eq_u32_e32 vcc, v10, v14
	s_waitcnt vmcnt(0) lgkmcnt(0)
	ds_write2st64_b32 v54, v11, v13 offset1:4
	ds_write2st64_b32 v54, v28, v29 offset0:8 offset1:12
	ds_write2st64_b32 v54, v32, v33 offset0:16 offset1:20
	;; [unrolled: 1-line block ×10, first 2 shown]
	ds_write_b32 v54, v52 offset:22528
	s_waitcnt lgkmcnt(0)
	s_barrier
	ds_read2_b32 v[16:17], v12 offset0:1 offset1:2
	ds_read2_b32 v[20:21], v12 offset0:3 offset1:4
	;; [unrolled: 1-line block ×11, first 2 shown]
	v_mov_b64_e32 v[10:11], s[4:5]
	v_mov_b32_e32 v13, s76
	s_and_saveexec_b64 s[4:5], vcc
	s_cbranch_execz .LBB1754_147
; %bb.146:
	ds_read_b32 v13, v12
	v_mov_b64_e32 v[10:11], 0
.LBB1754_147:
	s_or_b64 exec, exec, s[4:5]
	v_mov_b32_e32 v55, s76
	v_cmp_eq_u32_e32 vcc, v14, v15
	s_waitcnt lgkmcnt(0)
	v_or_b32_e32 v10, v10, v13
	v_cmp_ne_u32_e64 s[8:9], v3, v1
	v_cndmask_b32_e32 v12, v55, v16, vcc
	v_cmp_ne_u32_e32 vcc, v14, v15
	s_mov_b64 s[10:11], -1
                                        ; implicit-def: $sgpr6_sgpr7
	s_nop 0
	v_cndmask_b32_e64 v13, 0, 1, vcc
	v_cmp_eq_u32_e32 vcc, v15, v18
	s_nop 1
	v_cndmask_b32_e32 v14, v55, v17, vcc
	v_cmp_ne_u32_e32 vcc, v15, v18
	s_nop 1
	v_cndmask_b32_e64 v15, 0, 1, vcc
	v_cmp_eq_u32_e32 vcc, v18, v19
	s_nop 1
	v_cndmask_b32_e32 v16, v55, v20, vcc
	v_cmp_ne_u32_e32 vcc, v18, v19
	;; [unrolled: 6-line block ×20, first 2 shown]
	v_cndmask_b32_e64 v2, v57, v55, s[8:9]
	s_nop 0
	v_cndmask_b32_e64 v53, 0, 1, vcc
.LBB1754_148:
	v_mov_b64_e32 v[56:57], s[6:7]
	s_and_saveexec_b64 s[4:5], s[10:11]
; %bb.149:
	v_cndmask_b32_e64 v3, 0, 1, s[8:9]
	v_mov_b64_e32 v[56:57], v[2:3]
; %bb.150:
	s_or_b64 exec, exec, s[4:5]
	s_mov_b32 s46, 0
	s_cmp_lg_u32 s2, 0
	v_or_b32_e32 v55, v57, v53
	v_lshrrev_b32_e32 v1, 5, v0
	v_cmp_gt_u32_e32 vcc, 64, v0
	s_barrier
	s_cbranch_scc0 .LBB1754_185
; %bb.151:
	s_mov_b32 s47, 1
	v_cmp_gt_u64_e64 s[50:51], s[46:47], v[12:13]
	v_cmp_gt_u64_e64 s[4:5], s[46:47], v[14:15]
	v_cmp_gt_u64_e64 s[6:7], s[46:47], v[16:17]
	v_cndmask_b32_e64 v2, 0, v10, s[50:51]
	v_add_u32_e32 v2, v2, v12
	v_cndmask_b32_e64 v2, 0, v2, s[4:5]
	v_add_u32_e32 v2, v2, v14
	v_cndmask_b32_e64 v2, 0, v2, s[6:7]
	v_add_u32_e32 v2, v2, v16
	v_cmp_gt_u64_e64 s[8:9], s[46:47], v[18:19]
	v_cmp_gt_u64_e64 s[10:11], s[46:47], v[20:21]
	v_cmp_gt_u64_e64 s[12:13], s[46:47], v[22:23]
	v_cndmask_b32_e64 v2, 0, v2, s[8:9]
	v_add_u32_e32 v2, v2, v18
	v_cndmask_b32_e64 v2, 0, v2, s[10:11]
	v_add_u32_e32 v2, v2, v20
	v_cndmask_b32_e64 v2, 0, v2, s[12:13]
	v_add_u32_e32 v2, v2, v22
	;; [unrolled: 9-line block ×7, first 2 shown]
	v_cmp_gt_u64_e64 s[46:47], s[46:47], v[56:57]
	s_nop 1
	v_cndmask_b32_e64 v2, 0, v2, s[46:47]
	v_add_u32_e32 v62, v2, v56
	v_or3_b32 v2, v55, v51, v49
	v_or3_b32 v2, v2, v47, v45
	;; [unrolled: 1-line block ×10, first 2 shown]
	v_and_b32_e32 v2, 1, v2
	v_cmp_eq_u32_e64 s[46:47], 1, v2
	v_add_lshl_u32 v2, v1, v0, 3
	s_nop 0
	v_cndmask_b32_e64 v63, v11, 1, s[46:47]
	ds_write_b32 v2, v62
	ds_write_b8 v2, v63 offset:4
	s_waitcnt lgkmcnt(0)
	s_barrier
	s_and_saveexec_b64 s[48:49], vcc
	s_cbranch_execz .LBB1754_163
; %bb.152:
	v_lshrrev_b32_e32 v2, 3, v0
	v_add_lshl_u32 v4, v2, v54, 3
	ds_read2_b32 v[6:7], v4 offset0:2 offset1:4
	ds_read_b64 v[2:3], v4
	ds_read_u8 v8, v4 offset:12
	ds_read_u8 v9, v4 offset:20
	ds_read_b32 v58, v4 offset:24
	ds_read_u8 v59, v4 offset:28
	v_mov_b32_e32 v60, 0
	s_waitcnt lgkmcnt(3)
	v_cmp_eq_u16_sdwa s[46:47], v8, v60 src0_sel:BYTE_0 src1_sel:DWORD
	v_and_b32_e32 v5, 1, v3
	s_nop 0
	v_cndmask_b32_e64 v61, 0, v2, s[46:47]
	v_add_u32_e32 v6, v61, v6
	s_waitcnt lgkmcnt(2)
	v_cmp_eq_u16_sdwa s[46:47], v9, v60 src0_sel:BYTE_0 src1_sel:DWORD
	s_nop 1
	v_cndmask_b32_e64 v6, 0, v6, s[46:47]
	v_add_u32_e32 v6, v6, v7
	s_waitcnt lgkmcnt(0)
	v_cmp_eq_u16_e64 s[46:47], 0, v59
	s_nop 1
	v_cndmask_b32_e64 v6, 0, v6, s[46:47]
	v_add_u32_e32 v7, v6, v58
	v_or_b32_e32 v6, v59, v9
	v_or_b32_e32 v6, v6, v8
	v_and_b32_e32 v6, 1, v6
	v_cmp_eq_u32_e64 s[46:47], 1, v6
	v_mbcnt_lo_u32_b32 v8, -1, 0
	v_and_b32_e32 v6, 0xffffff00, v3
	v_cndmask_b32_e64 v9, v5, 1, s[46:47]
	v_mbcnt_hi_u32_b32 v8, -1, v8
	v_and_b32_e32 v59, 15, v8
	v_or_b32_sdwa v58, v6, v9 dst_sel:DWORD dst_unused:UNUSED_PAD src0_sel:DWORD src1_sel:WORD_0
	v_mov_b32_dpp v60, v7 row_shr:1 row_mask:0xf bank_mask:0xf
	v_cmp_ne_u32_e64 s[46:47], 0, v59
	v_mov_b32_dpp v61, v58 row_shr:1 row_mask:0xf bank_mask:0xf
	s_and_saveexec_b64 s[52:53], s[46:47]
; %bb.153:
	v_and_b32_e32 v58, 1, v9
	v_and_b32_e32 v61, 1, v61
	v_cmp_eq_u32_e64 s[46:47], 1, v58
	s_nop 1
	v_cndmask_b32_e64 v61, v61, 1, s[46:47]
	v_cmp_eq_u16_e64 s[46:47], 0, v9
	v_or_b32_sdwa v58, v6, v61 dst_sel:DWORD dst_unused:UNUSED_PAD src0_sel:DWORD src1_sel:WORD_0
	s_nop 0
	v_cndmask_b32_e64 v9, 0, v60, s[46:47]
	v_add_u32_e32 v7, v9, v7
	v_mov_b32_e32 v9, v61
; %bb.154:
	s_or_b64 exec, exec, s[52:53]
	v_mov_b32_dpp v60, v7 row_shr:2 row_mask:0xf bank_mask:0xf
	v_mov_b32_dpp v61, v58 row_shr:2 row_mask:0xf bank_mask:0xf
	v_cmp_lt_u32_e64 s[46:47], 1, v59
	s_and_saveexec_b64 s[52:53], s[46:47]
; %bb.155:
	v_and_b32_e32 v58, 1, v9
	v_and_b32_e32 v61, 1, v61
	v_cmp_eq_u32_e64 s[46:47], 1, v58
	s_nop 1
	v_cndmask_b32_e64 v61, v61, 1, s[46:47]
	v_cmp_eq_u16_e64 s[46:47], 0, v9
	v_or_b32_sdwa v58, v6, v61 dst_sel:DWORD dst_unused:UNUSED_PAD src0_sel:DWORD src1_sel:WORD_0
	s_nop 0
	v_cndmask_b32_e64 v9, 0, v60, s[46:47]
	v_add_u32_e32 v7, v9, v7
	v_mov_b32_e32 v9, v61
; %bb.156:
	s_or_b64 exec, exec, s[52:53]
	v_mov_b32_dpp v60, v7 row_shr:4 row_mask:0xf bank_mask:0xf
	v_mov_b32_dpp v61, v58 row_shr:4 row_mask:0xf bank_mask:0xf
	v_cmp_lt_u32_e64 s[46:47], 3, v59
	;; [unrolled: 18-line block ×3, first 2 shown]
	s_and_saveexec_b64 s[52:53], s[46:47]
; %bb.159:
	v_and_b32_e32 v58, 1, v9
	v_and_b32_e32 v59, 1, v61
	v_cmp_eq_u32_e64 s[46:47], 1, v58
	s_nop 1
	v_cndmask_b32_e64 v59, v59, 1, s[46:47]
	v_cmp_eq_u16_e64 s[46:47], 0, v9
	v_or_b32_sdwa v58, v6, v59 dst_sel:DWORD dst_unused:UNUSED_PAD src0_sel:DWORD src1_sel:WORD_0
	s_nop 0
	v_cndmask_b32_e64 v9, 0, v60, s[46:47]
	v_add_u32_e32 v7, v9, v7
	v_mov_b32_e32 v9, v59
; %bb.160:
	s_or_b64 exec, exec, s[52:53]
	v_and_b32_e32 v61, 16, v8
	v_mov_b32_dpp v59, v7 row_bcast:15 row_mask:0xf bank_mask:0xf
	v_mov_b32_dpp v60, v58 row_bcast:15 row_mask:0xf bank_mask:0xf
	v_cmp_ne_u32_e64 s[46:47], 0, v61
	s_and_saveexec_b64 s[52:53], s[46:47]
; %bb.161:
	v_and_b32_e32 v58, 1, v9
	v_and_b32_e32 v60, 1, v60
	v_cmp_eq_u32_e64 s[46:47], 1, v58
	s_nop 1
	v_cndmask_b32_e64 v60, v60, 1, s[46:47]
	v_cmp_eq_u16_e64 s[46:47], 0, v9
	v_or_b32_sdwa v58, v6, v60 dst_sel:DWORD dst_unused:UNUSED_PAD src0_sel:DWORD src1_sel:WORD_0
	s_nop 0
	v_cndmask_b32_e64 v9, 0, v59, s[46:47]
	v_add_u32_e32 v7, v9, v7
	v_mov_b32_e32 v9, v60
; %bb.162:
	s_or_b64 exec, exec, s[52:53]
	v_mov_b32_dpp v58, v58 row_bcast:31 row_mask:0xf bank_mask:0xf
	v_and_b32_e32 v60, 1, v9
	v_and_b32_e32 v58, 1, v58
	v_cmp_eq_u32_e64 s[46:47], 1, v60
	v_mov_b32_e32 v60, 0
	v_cmp_eq_u16_sdwa s[52:53], v9, v60 src0_sel:BYTE_0 src1_sel:DWORD
	v_cndmask_b32_e64 v58, v58, 1, s[46:47]
	v_cmp_lt_u32_e64 s[46:47], 31, v8
	v_mov_b32_dpp v59, v7 row_bcast:31 row_mask:0xf bank_mask:0xf
	s_movk_i32 s3, 0xff
	v_cndmask_b32_e64 v9, v9, v58, s[46:47]
	s_and_b64 s[46:47], s[46:47], s[52:53]
	v_cndmask_b32_e64 v58, 0, v59, s[46:47]
	v_add_u32_e32 v7, v58, v7
	v_add_u32_e32 v58, -1, v8
	v_and_b32_e32 v59, 64, v8
	v_cmp_lt_i32_e64 s[46:47], v58, v59
	v_and_or_b32 v6, v9, s3, v6
	s_nop 0
	v_cndmask_b32_e64 v8, v58, v8, s[46:47]
	v_lshlrev_b32_e32 v8, 2, v8
	ds_bpermute_b32 v7, v8, v7
	ds_bpermute_b32 v6, v8, v6
	v_cmp_eq_u16_sdwa s[46:47], v3, v60 src0_sel:BYTE_0 src1_sel:DWORD
	; wave barrier
	s_waitcnt lgkmcnt(1)
	s_nop 0
	v_cndmask_b32_e64 v3, 0, v7, s[46:47]
	v_add_u32_e32 v2, v3, v2
	s_waitcnt lgkmcnt(0)
	v_and_b32_e32 v3, 1, v6
	v_cmp_eq_u32_e64 s[46:47], 1, v5
	s_nop 1
	v_cndmask_b32_e64 v3, v3, 1, s[46:47]
	v_cmp_eq_u32_e64 s[46:47], 0, v0
	s_nop 1
	v_cndmask_b32_e64 v5, v2, v62, s[46:47]
	v_cndmask_b32_e64 v6, v3, v63, s[46:47]
	ds_write_b32 v4, v5
	ds_write_b8 v4, v6 offset:4
	; wave barrier
	ds_read_u8 v7, v4 offset:12
	ds_read2_b32 v[2:3], v4 offset0:2 offset1:4
	ds_read_u8 v8, v4 offset:20
	ds_read_b32 v9, v4 offset:24
	ds_read_u8 v58, v4 offset:28
	s_waitcnt lgkmcnt(4)
	v_cmp_eq_u16_e64 s[46:47], 0, v7
	s_nop 1
	v_cndmask_b32_e64 v5, 0, v5, s[46:47]
	s_waitcnt lgkmcnt(3)
	v_add_u32_e32 v2, v5, v2
	v_and_b32_e32 v5, 1, v7
	v_cmp_eq_u32_e64 s[46:47], 1, v5
	s_nop 1
	v_cndmask_b32_e64 v5, v6, 1, s[46:47]
	s_waitcnt lgkmcnt(2)
	v_cmp_eq_u16_e64 s[46:47], 0, v8
	ds_write_b8 v4, v5 offset:12
	s_nop 0
	v_cndmask_b32_e64 v6, 0, v2, s[46:47]
	v_add_u32_e32 v3, v6, v3
	v_and_b32_e32 v6, 1, v8
	v_cmp_eq_u32_e64 s[46:47], 1, v6
	s_nop 1
	v_cndmask_b32_e64 v5, v5, 1, s[46:47]
	s_waitcnt lgkmcnt(1)
	v_cmp_eq_u16_e64 s[46:47], 0, v58
	ds_write2_b32 v4, v2, v3 offset0:2 offset1:4
	ds_write_b8 v4, v5 offset:20
	v_cndmask_b32_e64 v2, 0, v3, s[46:47]
	v_and_b32_e32 v3, 1, v58
	v_add_u32_e32 v2, v2, v9
	v_cmp_eq_u32_e64 s[46:47], 1, v3
	s_nop 1
	v_cndmask_b32_e64 v3, v5, 1, s[46:47]
	ds_write_b32 v4, v2 offset:24
	ds_write_b8 v4, v3 offset:28
.LBB1754_163:
	s_or_b64 exec, exec, s[48:49]
	v_cmp_eq_u32_e64 s[46:47], 0, v0
	v_cmp_ne_u32_e64 s[48:49], 0, v0
	s_waitcnt lgkmcnt(0)
	s_barrier
	s_and_saveexec_b64 s[52:53], s[48:49]
	s_cbranch_execz .LBB1754_165
; %bb.164:
	v_add_u32_e32 v2, -1, v0
	v_lshrrev_b32_e32 v3, 5, v2
	v_add_lshl_u32 v2, v3, v2, 3
	ds_read_b32 v62, v2
	ds_read_u8 v63, v2 offset:4
.LBB1754_165:
	s_or_b64 exec, exec, s[52:53]
	s_and_saveexec_b64 s[60:61], vcc
	s_cbranch_execz .LBB1754_184
; %bb.166:
	v_mov_b32_e32 v5, 0
	ds_read_b64 v[2:3], v5 offset:2096
	v_mbcnt_lo_u32_b32 v4, -1, 0
	v_mbcnt_hi_u32_b32 v73, -1, v4
	s_mov_b32 s71, 0
	v_cmp_eq_u32_e64 s[48:49], 0, v73
	s_waitcnt lgkmcnt(0)
	v_readfirstlane_b32 s3, v3
	s_and_saveexec_b64 s[52:53], s[48:49]
	s_cbranch_execz .LBB1754_168
; %bb.167:
	s_add_i32 s70, s2, 64
	s_lshl_b64 s[72:73], s[70:71], 4
	s_add_u32 s72, s56, s72
	s_addc_u32 s73, s57, s73
	s_and_b32 s75, s3, 0xff000000
	s_mov_b32 s74, s71
	s_and_b32 s79, s3, 0xff0000
	s_mov_b32 s78, s71
	s_or_b64 s[74:75], s[78:79], s[74:75]
	s_and_b32 s79, s3, 0xff00
	s_or_b64 s[74:75], s[74:75], s[78:79]
	s_and_b32 s79, s3, 0xff
	s_or_b64 s[70:71], s[74:75], s[78:79]
	v_mov_b32_e32 v3, s71
	v_mov_b32_e32 v4, 1
	v_mov_b64_e32 v[6:7], s[72:73]
	;;#ASMSTART
	global_store_dwordx4 v[6:7], v[2:5] off sc1	
s_waitcnt vmcnt(0)
	;;#ASMEND
.LBB1754_168:
	s_or_b64 exec, exec, s[52:53]
	v_xad_u32 v58, v73, -1, s2
	v_add_u32_e32 v4, 64, v58
	v_lshl_add_u64 v[60:61], v[4:5], 4, s[56:57]
	;;#ASMSTART
	global_load_dwordx4 v[6:9], v[60:61] off sc1	
s_waitcnt vmcnt(0)
	;;#ASMEND
	s_nop 0
	v_and_b32_e32 v3, 0xff0000, v6
	v_and_b32_e32 v4, 0xff000000, v6
	;; [unrolled: 1-line block ×3, first 2 shown]
	v_or_b32_sdwa v3, v6, v3 dst_sel:DWORD dst_unused:UNUSED_PAD src0_sel:WORD_0 src1_sel:DWORD
	v_or3_b32 v7, 0, 0, v7
	v_or3_b32 v6, v3, v4, 0
	v_cmp_eq_u16_sdwa s[70:71], v8, v5 src0_sel:BYTE_0 src1_sel:DWORD
	s_and_saveexec_b64 s[52:53], s[70:71]
	s_cbranch_execz .LBB1754_172
; %bb.169:
	s_mov_b64 s[70:71], 0
	v_mov_b32_e32 v3, 0
.LBB1754_170:                           ; =>This Inner Loop Header: Depth=1
	;;#ASMSTART
	global_load_dwordx4 v[6:9], v[60:61] off sc1	
s_waitcnt vmcnt(0)
	;;#ASMEND
	s_nop 0
	v_cmp_ne_u16_sdwa s[72:73], v8, v3 src0_sel:BYTE_0 src1_sel:DWORD
	s_or_b64 s[70:71], s[72:73], s[70:71]
	s_andn2_b64 exec, exec, s[70:71]
	s_cbranch_execnz .LBB1754_170
; %bb.171:
	s_or_b64 exec, exec, s[70:71]
	v_and_b32_e32 v7, 0xff, v7
.LBB1754_172:
	s_or_b64 exec, exec, s[52:53]
	v_mov_b32_e32 v3, 2
	v_cmp_eq_u16_sdwa s[52:53], v8, v3 src0_sel:BYTE_0 src1_sel:DWORD
	v_lshlrev_b64 v[4:5], v73, -1
	v_and_b32_e32 v64, 63, v73
	v_and_b32_e32 v9, s53, v5
	v_or_b32_e32 v9, 0x80000000, v9
	v_and_b32_e32 v59, s52, v4
	v_ffbl_b32_e32 v9, v9
	v_add_u32_e32 v9, 32, v9
	v_ffbl_b32_e32 v59, v59
	v_cmp_ne_u32_e32 vcc, 63, v64
	v_min_u32_e32 v9, v59, v9
	s_mov_b32 s70, 0
	v_addc_co_u32_e32 v59, vcc, 0, v73, vcc
	v_lshlrev_b32_e32 v65, 2, v59
	ds_bpermute_b32 v59, v65, v7
	ds_bpermute_b32 v60, v65, v6
	v_and_b32_e32 v61, 1, v7
	s_mov_b32 s71, 1
	v_cmp_eq_u32_e32 vcc, 1, v61
	s_waitcnt lgkmcnt(1)
	v_and_b32_e32 v59, 1, v59
	v_cmp_lt_u32_e64 s[52:53], v64, v9
	v_cndmask_b32_e64 v59, v59, 1, vcc
	v_cmp_gt_u64_e32 vcc, s[70:71], v[6:7]
	s_and_b64 vcc, s[52:53], vcc
	v_and_b32_e32 v61, 0xffff, v59
	v_cndmask_b32_e64 v68, v7, v59, s[52:53]
	s_waitcnt lgkmcnt(0)
	v_cndmask_b32_e32 v59, 0, v60, vcc
	v_cmp_gt_u32_e32 vcc, 62, v64
	v_cndmask_b32_e64 v7, v7, v61, s[52:53]
	v_add_u32_e32 v6, v59, v6
	v_cndmask_b32_e64 v60, 0, 1, vcc
	v_lshlrev_b32_e32 v60, 1, v60
	v_add_lshl_u32 v66, v60, v73, 2
	ds_bpermute_b32 v60, v66, v7
	ds_bpermute_b32 v61, v66, v6
	v_and_b32_e32 v59, 1, v68
	v_cmp_eq_u32_e32 vcc, 1, v59
	v_mov_b32_e32 v59, 0
	s_waitcnt lgkmcnt(1)
	v_and_b32_e32 v60, 1, v60
	v_add_u32_e32 v67, 2, v64
	v_cndmask_b32_e64 v60, v60, 1, vcc
	v_cmp_eq_u16_sdwa vcc, v68, v59 src0_sel:BYTE_0 src1_sel:DWORD
	v_and_b32_e32 v69, 0xffff, v60
	v_add_u32_e32 v77, 32, v64
	s_waitcnt lgkmcnt(0)
	v_cndmask_b32_e32 v61, 0, v61, vcc
	v_cmp_gt_u32_e32 vcc, v67, v9
	s_nop 1
	v_cndmask_b32_e32 v60, v60, v68, vcc
	v_cndmask_b32_e64 v61, v61, 0, vcc
	v_cndmask_b32_e32 v7, v69, v7, vcc
	v_cmp_gt_u32_e32 vcc, 60, v64
	v_add_u32_e32 v6, v61, v6
	v_and_b32_e32 v71, 1, v60
	v_cndmask_b32_e64 v68, 0, 1, vcc
	v_lshlrev_b32_e32 v68, 2, v68
	v_add_lshl_u32 v68, v68, v73, 2
	ds_bpermute_b32 v70, v68, v7
	ds_bpermute_b32 v61, v68, v6
	v_cmp_eq_u32_e32 vcc, 1, v71
	v_add_u32_e32 v69, 4, v64
	s_waitcnt lgkmcnt(1)
	v_and_b32_e32 v70, 1, v70
	v_cndmask_b32_e64 v70, v70, 1, vcc
	v_cmp_eq_u16_sdwa vcc, v60, v59 src0_sel:BYTE_0 src1_sel:DWORD
	v_and_b32_e32 v71, 0xffff, v70
	s_waitcnt lgkmcnt(0)
	v_cndmask_b32_e32 v61, 0, v61, vcc
	v_cmp_gt_u32_e32 vcc, v69, v9
	s_nop 1
	v_cndmask_b32_e32 v60, v70, v60, vcc
	v_cndmask_b32_e64 v61, v61, 0, vcc
	v_cndmask_b32_e32 v7, v71, v7, vcc
	v_cmp_gt_u32_e32 vcc, 56, v64
	v_add_u32_e32 v6, v61, v6
	v_and_b32_e32 v74, 1, v60
	v_cndmask_b32_e64 v70, 0, 1, vcc
	v_lshlrev_b32_e32 v70, 3, v70
	v_add_lshl_u32 v70, v70, v73, 2
	ds_bpermute_b32 v72, v70, v7
	ds_bpermute_b32 v61, v70, v6
	v_cmp_eq_u32_e32 vcc, 1, v74
	v_add_u32_e32 v71, 8, v64
	s_waitcnt lgkmcnt(1)
	v_and_b32_e32 v72, 1, v72
	v_cndmask_b32_e64 v72, v72, 1, vcc
	v_cmp_eq_u16_sdwa vcc, v60, v59 src0_sel:BYTE_0 src1_sel:DWORD
	v_and_b32_e32 v74, 0xffff, v72
	;; [unrolled: 22-line block ×3, first 2 shown]
	s_waitcnt lgkmcnt(0)
	v_cndmask_b32_e32 v61, 0, v61, vcc
	v_cmp_gt_u32_e32 vcc, v74, v9
	s_nop 1
	v_cndmask_b32_e32 v60, v75, v60, vcc
	v_cndmask_b32_e64 v61, v61, 0, vcc
	v_cndmask_b32_e32 v7, v76, v7, vcc
	v_cmp_gt_u32_e32 vcc, 32, v64
	v_add_u32_e32 v6, v61, v6
	s_nop 0
	v_cndmask_b32_e64 v75, 0, 1, vcc
	v_lshlrev_b32_e32 v75, 5, v75
	v_add_lshl_u32 v76, v75, v73, 2
	ds_bpermute_b32 v7, v76, v7
	ds_bpermute_b32 v61, v76, v6
	v_and_b32_e32 v73, 1, v60
	v_cmp_eq_u32_e32 vcc, 1, v73
	s_waitcnt lgkmcnt(1)
	v_and_b32_e32 v7, 1, v7
	v_cndmask_b32_e64 v7, v7, 1, vcc
	v_cmp_eq_u16_sdwa vcc, v60, v59 src0_sel:BYTE_0 src1_sel:DWORD
	s_waitcnt lgkmcnt(0)
	s_nop 0
	v_cndmask_b32_e32 v61, 0, v61, vcc
	v_cmp_gt_u32_e32 vcc, v77, v9
	s_nop 1
	v_cndmask_b32_e64 v9, v61, 0, vcc
	v_cndmask_b32_e32 v7, v7, v60, vcc
	v_add_u32_e32 v6, v9, v6
	s_branch .LBB1754_174
.LBB1754_173:                           ;   in Loop: Header=BB1754_174 Depth=1
	s_or_b64 exec, exec, s[52:53]
	v_cmp_eq_u16_sdwa s[52:53], v8, v3 src0_sel:BYTE_0 src1_sel:DWORD
	ds_bpermute_b32 v61, v65, v7
	v_and_b32_e32 v78, 1, v7
	v_and_b32_e32 v9, s53, v5
	v_or_b32_e32 v9, 0x80000000, v9
	v_and_b32_e32 v60, s52, v4
	v_ffbl_b32_e32 v9, v9
	v_add_u32_e32 v9, 32, v9
	v_ffbl_b32_e32 v60, v60
	v_min_u32_e32 v9, v60, v9
	ds_bpermute_b32 v60, v65, v6
	s_waitcnt lgkmcnt(1)
	v_and_b32_e32 v61, 1, v61
	v_cmp_eq_u32_e32 vcc, 1, v78
	v_cmp_lt_u32_e64 s[52:53], v64, v9
	v_subrev_u32_e32 v58, 64, v58
	v_cndmask_b32_e64 v61, v61, 1, vcc
	v_cmp_gt_u64_e32 vcc, s[70:71], v[6:7]
	v_and_b32_e32 v78, 0xffff, v61
	v_cndmask_b32_e64 v61, v7, v61, s[52:53]
	v_cndmask_b32_e64 v7, v7, v78, s[52:53]
	s_and_b64 vcc, s[52:53], vcc
	ds_bpermute_b32 v78, v66, v7
	s_waitcnt lgkmcnt(1)
	v_cndmask_b32_e32 v60, 0, v60, vcc
	v_add_u32_e32 v6, v60, v6
	ds_bpermute_b32 v60, v66, v6
	v_and_b32_e32 v79, 1, v61
	s_waitcnt lgkmcnt(1)
	v_and_b32_e32 v78, 1, v78
	v_cmp_eq_u32_e32 vcc, 1, v79
	s_nop 1
	v_cndmask_b32_e64 v78, v78, 1, vcc
	v_cmp_eq_u16_sdwa vcc, v61, v59 src0_sel:BYTE_0 src1_sel:DWORD
	v_and_b32_e32 v79, 0xffff, v78
	s_waitcnt lgkmcnt(0)
	v_cndmask_b32_e32 v60, 0, v60, vcc
	v_cmp_gt_u32_e32 vcc, v67, v9
	s_nop 1
	v_cndmask_b32_e32 v7, v79, v7, vcc
	v_cndmask_b32_e32 v61, v78, v61, vcc
	ds_bpermute_b32 v78, v68, v7
	v_cndmask_b32_e64 v60, v60, 0, vcc
	v_add_u32_e32 v6, v60, v6
	ds_bpermute_b32 v60, v68, v6
	v_and_b32_e32 v79, 1, v61
	s_waitcnt lgkmcnt(1)
	v_and_b32_e32 v78, 1, v78
	v_cmp_eq_u32_e32 vcc, 1, v79
	s_nop 1
	v_cndmask_b32_e64 v78, v78, 1, vcc
	v_cmp_eq_u16_sdwa vcc, v61, v59 src0_sel:BYTE_0 src1_sel:DWORD
	v_and_b32_e32 v79, 0xffff, v78
	s_waitcnt lgkmcnt(0)
	v_cndmask_b32_e32 v60, 0, v60, vcc
	v_cmp_gt_u32_e32 vcc, v69, v9
	s_nop 1
	v_cndmask_b32_e32 v7, v79, v7, vcc
	v_cndmask_b32_e32 v61, v78, v61, vcc
	ds_bpermute_b32 v78, v70, v7
	v_cndmask_b32_e64 v60, v60, 0, vcc
	;; [unrolled: 18-line block ×3, first 2 shown]
	v_add_u32_e32 v6, v60, v6
	ds_bpermute_b32 v60, v72, v6
	v_and_b32_e32 v79, 1, v61
	s_waitcnt lgkmcnt(1)
	v_and_b32_e32 v78, 1, v78
	v_cmp_eq_u32_e32 vcc, 1, v79
	s_nop 1
	v_cndmask_b32_e64 v78, v78, 1, vcc
	v_cmp_eq_u16_sdwa vcc, v61, v59 src0_sel:BYTE_0 src1_sel:DWORD
	v_and_b32_e32 v79, 0xffff, v78
	s_waitcnt lgkmcnt(0)
	v_cndmask_b32_e32 v60, 0, v60, vcc
	v_cmp_gt_u32_e32 vcc, v74, v9
	s_nop 1
	v_cndmask_b32_e64 v60, v60, 0, vcc
	v_cndmask_b32_e32 v7, v79, v7, vcc
	ds_bpermute_b32 v7, v76, v7
	v_add_u32_e32 v6, v60, v6
	ds_bpermute_b32 v60, v76, v6
	v_cndmask_b32_e32 v61, v78, v61, vcc
	v_and_b32_e32 v78, 1, v61
	v_cmp_eq_u32_e32 vcc, 1, v78
	s_waitcnt lgkmcnt(1)
	s_nop 0
	v_cndmask_b32_e64 v7, v7, 1, vcc
	v_cmp_eq_u16_sdwa vcc, v61, v59 src0_sel:BYTE_0 src1_sel:DWORD
	s_waitcnt lgkmcnt(0)
	s_nop 0
	v_cndmask_b32_e32 v60, 0, v60, vcc
	v_cmp_gt_u32_e32 vcc, v77, v9
	s_nop 1
	v_cndmask_b32_e64 v9, v60, 0, vcc
	v_cndmask_b32_e32 v7, v7, v61, vcc
	v_add_u32_e32 v6, v9, v6
	v_cmp_eq_u16_sdwa vcc, v73, v59 src0_sel:BYTE_0 src1_sel:DWORD
	v_and_b32_e32 v9, 1, v73
	v_and_b32_e32 v7, 1, v7
	v_cndmask_b32_e32 v6, 0, v6, vcc
	v_cmp_eq_u32_e32 vcc, 1, v9
	v_add_u32_e32 v6, v6, v75
	s_nop 0
	v_cndmask_b32_e64 v7, v7, 1, vcc
.LBB1754_174:                           ; =>This Loop Header: Depth=1
                                        ;     Child Loop BB1754_177 Depth 2
	v_cmp_ne_u16_sdwa s[52:53], v8, v3 src0_sel:BYTE_0 src1_sel:DWORD
	v_mov_b32_e32 v73, v7
	v_mov_b32_e32 v75, v6
	v_cndmask_b32_e64 v7, 0, 1, s[52:53]
	;;#ASMSTART
	;;#ASMEND
	s_nop 0
	v_cmp_ne_u32_e32 vcc, 0, v7
	s_cmp_lg_u64 vcc, exec
	s_cbranch_scc1 .LBB1754_179
; %bb.175:                              ;   in Loop: Header=BB1754_174 Depth=1
	v_lshl_add_u64 v[60:61], v[58:59], 4, s[56:57]
	;;#ASMSTART
	global_load_dwordx4 v[6:9], v[60:61] off sc1	
s_waitcnt vmcnt(0)
	;;#ASMEND
	s_nop 0
	v_and_b32_e32 v9, 0xff0000, v6
	v_and_b32_e32 v78, 0xff000000, v6
	;; [unrolled: 1-line block ×3, first 2 shown]
	v_or_b32_sdwa v6, v6, v9 dst_sel:DWORD dst_unused:UNUSED_PAD src0_sel:WORD_0 src1_sel:DWORD
	v_or3_b32 v7, 0, 0, v7
	v_or3_b32 v6, v6, v78, 0
	v_cmp_eq_u16_sdwa s[72:73], v8, v59 src0_sel:BYTE_0 src1_sel:DWORD
	s_and_saveexec_b64 s[52:53], s[72:73]
	s_cbranch_execz .LBB1754_173
; %bb.176:                              ;   in Loop: Header=BB1754_174 Depth=1
	s_mov_b64 s[72:73], 0
.LBB1754_177:                           ;   Parent Loop BB1754_174 Depth=1
                                        ; =>  This Inner Loop Header: Depth=2
	;;#ASMSTART
	global_load_dwordx4 v[6:9], v[60:61] off sc1	
s_waitcnt vmcnt(0)
	;;#ASMEND
	s_nop 0
	v_cmp_ne_u16_sdwa s[74:75], v8, v59 src0_sel:BYTE_0 src1_sel:DWORD
	s_or_b64 s[72:73], s[74:75], s[72:73]
	s_andn2_b64 exec, exec, s[72:73]
	s_cbranch_execnz .LBB1754_177
; %bb.178:                              ;   in Loop: Header=BB1754_174 Depth=1
	s_or_b64 exec, exec, s[72:73]
	v_and_b32_e32 v7, 0xff, v7
	s_branch .LBB1754_173
.LBB1754_179:                           ;   in Loop: Header=BB1754_174 Depth=1
                                        ; implicit-def: $vgpr7
                                        ; implicit-def: $vgpr6
                                        ; implicit-def: $vgpr8
	s_cbranch_execz .LBB1754_174
; %bb.180:
	s_and_saveexec_b64 s[52:53], s[48:49]
	s_cbranch_execz .LBB1754_182
; %bb.181:
	s_and_b32 s48, s3, 0xff
	s_cmp_eq_u32 s48, 0
	s_cselect_b64 vcc, -1, 0
	s_bitcmp1_b32 s3, 0
	s_mov_b32 s49, 0
	s_cselect_b64 s[70:71], -1, 0
	s_add_i32 s48, s2, 64
	s_lshl_b64 s[2:3], s[48:49], 4
	v_cndmask_b32_e32 v3, 0, v75, vcc
	s_add_u32 s2, s56, s2
	v_add_u32_e32 v2, v3, v2
	v_and_b32_e32 v3, 1, v73
	s_addc_u32 s3, s57, s3
	v_mov_b32_e32 v5, 0
	v_cndmask_b32_e64 v3, v3, 1, s[70:71]
	v_mov_b32_e32 v4, 2
	v_mov_b64_e32 v[6:7], s[2:3]
	;;#ASMSTART
	global_store_dwordx4 v[6:7], v[2:5] off sc1	
s_waitcnt vmcnt(0)
	;;#ASMEND
.LBB1754_182:
	s_or_b64 exec, exec, s[52:53]
	s_and_b64 exec, exec, s[46:47]
	s_cbranch_execz .LBB1754_184
; %bb.183:
	v_mov_b32_e32 v2, 0
	ds_write_b32 v2, v75
	ds_write_b8 v2, v73 offset:4
.LBB1754_184:
	s_or_b64 exec, exec, s[60:61]
	v_mov_b32_e32 v2, 0
	s_waitcnt lgkmcnt(0)
	s_barrier
	ds_read_b32 v3, v2
	v_cmp_eq_u16_sdwa vcc, v63, v2 src0_sel:BYTE_0 src1_sel:DWORD
	s_waitcnt lgkmcnt(0)
	s_nop 0
	v_cndmask_b32_e32 v4, 0, v3, vcc
	v_add_u32_e32 v4, v4, v62
	v_cndmask_b32_e64 v58, v4, v3, s[46:47]
	v_and_b32_e32 v3, 0xff, v11
	v_cmp_eq_u64_e32 vcc, 0, v[2:3]
	s_nop 1
	v_cndmask_b32_e32 v2, 0, v58, vcc
	v_add_u32_e32 v59, v2, v10
	v_cndmask_b32_e64 v2, 0, v59, s[50:51]
	v_add_u32_e32 v60, v2, v12
	v_cndmask_b32_e64 v2, 0, v60, s[4:5]
	;; [unrolled: 2-line block ×21, first 2 shown]
	v_add_u32_e32 v80, v2, v52
	s_branch .LBB1754_205
.LBB1754_185:
                                        ; implicit-def: $vgpr79
                                        ; implicit-def: $vgpr78
                                        ; implicit-def: $vgpr77
                                        ; implicit-def: $vgpr76
                                        ; implicit-def: $vgpr75
                                        ; implicit-def: $vgpr74
                                        ; implicit-def: $vgpr73
                                        ; implicit-def: $vgpr72
                                        ; implicit-def: $vgpr71
                                        ; implicit-def: $vgpr70
                                        ; implicit-def: $vgpr69
                                        ; implicit-def: $vgpr68
                                        ; implicit-def: $vgpr67
                                        ; implicit-def: $vgpr66
                                        ; implicit-def: $vgpr65
                                        ; implicit-def: $vgpr64
                                        ; implicit-def: $vgpr63
                                        ; implicit-def: $vgpr62
                                        ; implicit-def: $vgpr61
                                        ; implicit-def: $vgpr60
                                        ; implicit-def: $vgpr59
                                        ; implicit-def: $vgpr58
                                        ; implicit-def: $vgpr80
	s_cbranch_execz .LBB1754_205
; %bb.186:
	s_cmp_lg_u64 s[68:69], 0
	s_cselect_b32 s3, s63, 0
	s_cselect_b32 s2, s62, 0
	s_mov_b32 s44, 0
	s_cmp_eq_u64 s[2:3], 0
	v_mov_b32_e32 v4, s76
	s_cbranch_scc1 .LBB1754_188
; %bb.187:
	v_mov_b32_e32 v2, 0
	global_load_dword v4, v2, s[2:3]
.LBB1754_188:
	s_mov_b32 s45, 1
	v_cmp_gt_u64_e32 vcc, s[44:45], v[12:13]
	v_cmp_gt_u64_e64 s[2:3], s[44:45], v[14:15]
	v_cmp_gt_u64_e64 s[4:5], s[44:45], v[16:17]
	v_cndmask_b32_e32 v2, 0, v10, vcc
	v_add_u32_e32 v2, v2, v12
	v_cndmask_b32_e64 v2, 0, v2, s[2:3]
	v_add_u32_e32 v2, v2, v14
	v_cndmask_b32_e64 v2, 0, v2, s[4:5]
	v_add_u32_e32 v2, v2, v16
	v_cmp_gt_u64_e64 s[6:7], s[44:45], v[18:19]
	v_cmp_gt_u64_e64 s[8:9], s[44:45], v[20:21]
	v_cmp_gt_u64_e64 s[10:11], s[44:45], v[22:23]
	v_cndmask_b32_e64 v2, 0, v2, s[6:7]
	v_add_u32_e32 v2, v2, v18
	v_cndmask_b32_e64 v2, 0, v2, s[8:9]
	v_add_u32_e32 v2, v2, v20
	v_cndmask_b32_e64 v2, 0, v2, s[10:11]
	v_add_u32_e32 v2, v2, v22
	v_cmp_gt_u64_e64 s[12:13], s[44:45], v[24:25]
	v_cmp_gt_u64_e64 s[14:15], s[44:45], v[26:27]
	v_cmp_gt_u64_e64 s[16:17], s[44:45], v[28:29]
	v_cndmask_b32_e64 v2, 0, v2, s[12:13]
	;; [unrolled: 9-line block ×6, first 2 shown]
	v_add_u32_e32 v2, v2, v48
	v_cndmask_b32_e64 v2, 0, v2, s[40:41]
	v_add_u32_e32 v2, v2, v50
	v_cndmask_b32_e64 v2, 0, v2, s[42:43]
	v_add_u32_e32 v2, v2, v52
	v_cmp_gt_u64_e64 s[44:45], s[44:45], v[56:57]
	v_add_lshl_u32 v1, v1, v0, 3
	s_nop 0
	v_cndmask_b32_e64 v2, 0, v2, s[44:45]
	v_add_u32_e32 v5, v2, v56
	v_or3_b32 v2, v55, v51, v49
	v_or3_b32 v2, v2, v47, v45
	;; [unrolled: 1-line block ×10, first 2 shown]
	v_and_b32_e32 v2, 1, v2
	v_cmp_eq_u32_e64 s[44:45], 1, v2
	s_nop 1
	v_cndmask_b32_e64 v6, v11, 1, s[44:45]
	v_cmp_gt_u32_e64 s[44:45], 64, v0
	ds_write_b32 v1, v5
	ds_write_b8 v1, v6 offset:4
	s_waitcnt lgkmcnt(0)
	s_barrier
	s_and_saveexec_b64 s[46:47], s[44:45]
	s_cbranch_execz .LBB1754_200
; %bb.189:
	v_lshrrev_b32_e32 v1, 3, v0
	v_add_lshl_u32 v1, v1, v54, 3
	ds_read2_b32 v[8:9], v1 offset0:2 offset1:4
	ds_read_b64 v[2:3], v1
	ds_read_u8 v13, v1 offset:12
	ds_read_u8 v15, v1 offset:20
	ds_read_b32 v17, v1 offset:24
	ds_read_u8 v19, v1 offset:28
	v_mov_b32_e32 v21, 0
	s_waitcnt lgkmcnt(3)
	v_cmp_eq_u16_sdwa s[44:45], v13, v21 src0_sel:BYTE_0 src1_sel:DWORD
	v_and_b32_e32 v7, 1, v3
	s_nop 0
	v_cndmask_b32_e64 v23, 0, v2, s[44:45]
	v_add_u32_e32 v8, v23, v8
	s_waitcnt lgkmcnt(2)
	v_cmp_eq_u16_sdwa s[44:45], v15, v21 src0_sel:BYTE_0 src1_sel:DWORD
	s_nop 1
	v_cndmask_b32_e64 v8, 0, v8, s[44:45]
	v_add_u32_e32 v8, v8, v9
	s_waitcnt lgkmcnt(0)
	v_cmp_eq_u16_e64 s[44:45], 0, v19
	s_nop 1
	v_cndmask_b32_e64 v8, 0, v8, s[44:45]
	v_add_u32_e32 v9, v8, v17
	v_or_b32_e32 v8, v19, v15
	v_or_b32_e32 v8, v8, v13
	v_and_b32_e32 v8, 1, v8
	v_cmp_eq_u32_e64 s[44:45], 1, v8
	v_mbcnt_lo_u32_b32 v13, -1, 0
	v_and_b32_e32 v8, 0xffffff00, v3
	v_cndmask_b32_e64 v15, v7, 1, s[44:45]
	v_mbcnt_hi_u32_b32 v13, -1, v13
	v_and_b32_e32 v19, 15, v13
	v_or_b32_sdwa v17, v8, v15 dst_sel:DWORD dst_unused:UNUSED_PAD src0_sel:DWORD src1_sel:WORD_0
	v_mov_b32_dpp v21, v9 row_shr:1 row_mask:0xf bank_mask:0xf
	v_cmp_ne_u32_e64 s[44:45], 0, v19
	v_mov_b32_dpp v23, v17 row_shr:1 row_mask:0xf bank_mask:0xf
	s_and_saveexec_b64 s[48:49], s[44:45]
; %bb.190:
	v_and_b32_e32 v17, 1, v15
	v_and_b32_e32 v23, 1, v23
	v_cmp_eq_u32_e64 s[44:45], 1, v17
	s_nop 1
	v_cndmask_b32_e64 v23, v23, 1, s[44:45]
	v_cmp_eq_u16_e64 s[44:45], 0, v15
	v_or_b32_sdwa v17, v8, v23 dst_sel:DWORD dst_unused:UNUSED_PAD src0_sel:DWORD src1_sel:WORD_0
	s_nop 0
	v_cndmask_b32_e64 v15, 0, v21, s[44:45]
	v_add_u32_e32 v9, v15, v9
	v_mov_b32_e32 v15, v23
; %bb.191:
	s_or_b64 exec, exec, s[48:49]
	v_mov_b32_dpp v21, v9 row_shr:2 row_mask:0xf bank_mask:0xf
	v_mov_b32_dpp v23, v17 row_shr:2 row_mask:0xf bank_mask:0xf
	v_cmp_lt_u32_e64 s[44:45], 1, v19
	s_and_saveexec_b64 s[48:49], s[44:45]
; %bb.192:
	v_and_b32_e32 v17, 1, v15
	v_and_b32_e32 v23, 1, v23
	v_cmp_eq_u32_e64 s[44:45], 1, v17
	s_nop 1
	v_cndmask_b32_e64 v23, v23, 1, s[44:45]
	v_cmp_eq_u16_e64 s[44:45], 0, v15
	v_or_b32_sdwa v17, v8, v23 dst_sel:DWORD dst_unused:UNUSED_PAD src0_sel:DWORD src1_sel:WORD_0
	s_nop 0
	v_cndmask_b32_e64 v15, 0, v21, s[44:45]
	v_add_u32_e32 v9, v15, v9
	v_mov_b32_e32 v15, v23
; %bb.193:
	s_or_b64 exec, exec, s[48:49]
	v_mov_b32_dpp v21, v9 row_shr:4 row_mask:0xf bank_mask:0xf
	v_mov_b32_dpp v23, v17 row_shr:4 row_mask:0xf bank_mask:0xf
	v_cmp_lt_u32_e64 s[44:45], 3, v19
	;; [unrolled: 18-line block ×3, first 2 shown]
	s_and_saveexec_b64 s[48:49], s[44:45]
; %bb.196:
	v_and_b32_e32 v17, 1, v15
	v_and_b32_e32 v19, 1, v23
	v_cmp_eq_u32_e64 s[44:45], 1, v17
	s_nop 1
	v_cndmask_b32_e64 v19, v19, 1, s[44:45]
	v_cmp_eq_u16_e64 s[44:45], 0, v15
	v_or_b32_sdwa v17, v8, v19 dst_sel:DWORD dst_unused:UNUSED_PAD src0_sel:DWORD src1_sel:WORD_0
	s_nop 0
	v_cndmask_b32_e64 v15, 0, v21, s[44:45]
	v_add_u32_e32 v9, v15, v9
	v_mov_b32_e32 v15, v19
; %bb.197:
	s_or_b64 exec, exec, s[48:49]
	v_and_b32_e32 v23, 16, v13
	v_mov_b32_dpp v19, v9 row_bcast:15 row_mask:0xf bank_mask:0xf
	v_mov_b32_dpp v21, v17 row_bcast:15 row_mask:0xf bank_mask:0xf
	v_cmp_ne_u32_e64 s[44:45], 0, v23
	s_and_saveexec_b64 s[48:49], s[44:45]
; %bb.198:
	v_and_b32_e32 v17, 1, v15
	v_and_b32_e32 v21, 1, v21
	v_cmp_eq_u32_e64 s[44:45], 1, v17
	s_nop 1
	v_cndmask_b32_e64 v21, v21, 1, s[44:45]
	v_cmp_eq_u16_e64 s[44:45], 0, v15
	v_or_b32_sdwa v17, v8, v21 dst_sel:DWORD dst_unused:UNUSED_PAD src0_sel:DWORD src1_sel:WORD_0
	s_nop 0
	v_cndmask_b32_e64 v15, 0, v19, s[44:45]
	v_add_u32_e32 v9, v15, v9
	v_mov_b32_e32 v15, v21
; %bb.199:
	s_or_b64 exec, exec, s[48:49]
	v_mov_b32_dpp v17, v17 row_bcast:31 row_mask:0xf bank_mask:0xf
	v_and_b32_e32 v21, 1, v15
	v_and_b32_e32 v17, 1, v17
	v_cmp_eq_u32_e64 s[44:45], 1, v21
	v_mov_b32_e32 v21, 0
	v_cmp_eq_u16_sdwa s[48:49], v15, v21 src0_sel:BYTE_0 src1_sel:DWORD
	v_cndmask_b32_e64 v17, v17, 1, s[44:45]
	v_cmp_lt_u32_e64 s[44:45], 31, v13
	v_mov_b32_dpp v19, v9 row_bcast:31 row_mask:0xf bank_mask:0xf
	s_movk_i32 s50, 0xff
	v_cndmask_b32_e64 v15, v15, v17, s[44:45]
	s_and_b64 s[44:45], s[44:45], s[48:49]
	v_cndmask_b32_e64 v17, 0, v19, s[44:45]
	v_add_u32_e32 v9, v17, v9
	v_add_u32_e32 v17, -1, v13
	v_and_b32_e32 v19, 64, v13
	v_cmp_lt_i32_e64 s[44:45], v17, v19
	v_and_or_b32 v8, v15, s50, v8
	s_nop 0
	v_cndmask_b32_e64 v13, v17, v13, s[44:45]
	v_lshlrev_b32_e32 v13, 2, v13
	ds_bpermute_b32 v9, v13, v9
	ds_bpermute_b32 v8, v13, v8
	v_cmp_eq_u16_sdwa s[44:45], v3, v21 src0_sel:BYTE_0 src1_sel:DWORD
	; wave barrier
	s_waitcnt lgkmcnt(1)
	s_nop 0
	v_cndmask_b32_e64 v3, 0, v9, s[44:45]
	v_add_u32_e32 v2, v3, v2
	s_waitcnt lgkmcnt(0)
	v_and_b32_e32 v3, 1, v8
	v_cmp_eq_u32_e64 s[44:45], 1, v7
	s_nop 1
	v_cndmask_b32_e64 v3, v3, 1, s[44:45]
	v_cmp_eq_u32_e64 s[44:45], 0, v0
	s_nop 1
	v_cndmask_b32_e64 v5, v2, v5, s[44:45]
	v_cndmask_b32_e64 v6, v3, v6, s[44:45]
	ds_write_b32 v1, v5
	ds_write_b8 v1, v6 offset:4
	; wave barrier
	ds_read_u8 v7, v1 offset:12
	ds_read2_b32 v[2:3], v1 offset0:2 offset1:4
	ds_read_u8 v8, v1 offset:20
	ds_read_b32 v9, v1 offset:24
	ds_read_u8 v13, v1 offset:28
	s_waitcnt lgkmcnt(4)
	v_cmp_eq_u16_e64 s[44:45], 0, v7
	s_nop 1
	v_cndmask_b32_e64 v5, 0, v5, s[44:45]
	s_waitcnt lgkmcnt(3)
	v_add_u32_e32 v2, v5, v2
	v_and_b32_e32 v5, 1, v7
	v_cmp_eq_u32_e64 s[44:45], 1, v5
	s_nop 1
	v_cndmask_b32_e64 v5, v6, 1, s[44:45]
	s_waitcnt lgkmcnt(2)
	v_cmp_eq_u16_e64 s[44:45], 0, v8
	ds_write_b8 v1, v5 offset:12
	s_nop 0
	v_cndmask_b32_e64 v6, 0, v2, s[44:45]
	v_add_u32_e32 v3, v6, v3
	v_and_b32_e32 v6, 1, v8
	v_cmp_eq_u32_e64 s[44:45], 1, v6
	s_nop 1
	v_cndmask_b32_e64 v5, v5, 1, s[44:45]
	s_waitcnt lgkmcnt(1)
	v_cmp_eq_u16_e64 s[44:45], 0, v13
	ds_write2_b32 v1, v2, v3 offset0:2 offset1:4
	ds_write_b8 v1, v5 offset:20
	v_cndmask_b32_e64 v2, 0, v3, s[44:45]
	v_and_b32_e32 v3, 1, v13
	v_add_u32_e32 v2, v2, v9
	v_cmp_eq_u32_e64 s[44:45], 1, v3
	s_nop 1
	v_cndmask_b32_e64 v3, v5, 1, s[44:45]
	ds_write_b32 v1, v2 offset:24
	ds_write_b8 v1, v3 offset:28
.LBB1754_200:
	s_or_b64 exec, exec, s[46:47]
	v_cmp_eq_u32_e64 s[44:45], 0, v0
	v_cmp_ne_u32_e64 s[46:47], 0, v0
	s_waitcnt vmcnt(0)
	v_mov_b32_e32 v58, v4
	s_waitcnt lgkmcnt(0)
	s_barrier
	s_and_saveexec_b64 s[48:49], s[46:47]
	s_cbranch_execz .LBB1754_202
; %bb.201:
	v_add_u32_e32 v1, -1, v0
	v_lshrrev_b32_e32 v2, 5, v1
	v_add_lshl_u32 v1, v2, v1, 3
	ds_read_u8 v2, v1 offset:4
	ds_read_b32 v1, v1
	s_waitcnt lgkmcnt(1)
	v_cmp_eq_u16_e64 s[46:47], 0, v2
	s_nop 1
	v_cndmask_b32_e64 v2, 0, v4, s[46:47]
	s_waitcnt lgkmcnt(0)
	v_add_u32_e32 v58, v2, v1
.LBB1754_202:
	s_or_b64 exec, exec, s[48:49]
	v_and_b32_e32 v3, 0xff, v11
	v_mov_b32_e32 v2, 0
	v_cmp_eq_u64_e64 s[46:47], 0, v[2:3]
	s_nop 1
	v_cndmask_b32_e64 v1, 0, v58, s[46:47]
	v_add_u32_e32 v59, v1, v10
	v_cndmask_b32_e32 v1, 0, v59, vcc
	v_add_u32_e32 v60, v1, v12
	v_cndmask_b32_e64 v1, 0, v60, s[2:3]
	v_add_u32_e32 v61, v1, v14
	v_cndmask_b32_e64 v1, 0, v61, s[4:5]
	;; [unrolled: 2-line block ×20, first 2 shown]
	s_and_saveexec_b64 s[2:3], s[44:45]
	s_cbranch_execz .LBB1754_204
; %bb.203:
	ds_read_u8 v3, v2 offset:2100
	ds_read_b32 v5, v2 offset:2096
	s_add_u32 s4, s56, 0x400
	s_addc_u32 s5, s57, 0
	v_mov_b32_e32 v6, 2
	s_waitcnt lgkmcnt(1)
	v_cmp_eq_u16_e32 vcc, 0, v3
	v_mov_b32_e32 v7, v2
	s_nop 0
	v_cndmask_b32_e32 v4, 0, v4, vcc
	s_waitcnt lgkmcnt(0)
	v_add_u32_e32 v4, v4, v5
	v_and_b32_e32 v5, 0xffff, v3
	v_mov_b64_e32 v[2:3], s[4:5]
	;;#ASMSTART
	global_store_dwordx4 v[2:3], v[4:7] off sc1	
s_waitcnt vmcnt(0)
	;;#ASMEND
.LBB1754_204:
	s_or_b64 exec, exec, s[2:3]
	v_add_u32_e32 v80, v1, v52
.LBB1754_205:
	s_add_u32 s2, s54, s64
	s_addc_u32 s3, s55, s65
	s_add_u32 s2, s2, s66
	s_addc_u32 s3, s3, s67
	s_and_b64 vcc, exec, s[0:1]
	s_cbranch_vccz .LBB1754_251
; %bb.206:
	s_movk_i32 s0, 0x5c
	v_mul_i32_i24_e32 v26, 0xffffffa8, v0
	v_mul_u32_u24_e32 v1, 0x5c, v0
	v_mad_u32_u24 v2, v0, s0, v26
	s_barrier
	ds_write2_b32 v1, v58, v59 offset1:1
	ds_write2_b32 v1, v60, v61 offset0:2 offset1:3
	ds_write2_b32 v1, v62, v63 offset0:4 offset1:5
	;; [unrolled: 1-line block ×10, first 2 shown]
	ds_write_b32 v1, v80 offset:88
	s_waitcnt lgkmcnt(0)
	s_barrier
	ds_read2st64_b32 v[24:25], v2 offset0:4 offset1:8
	ds_read2st64_b32 v[22:23], v2 offset0:12 offset1:16
	;; [unrolled: 1-line block ×11, first 2 shown]
	s_add_i32 s33, s33, s58
	v_mov_b32_e32 v55, 0
	v_lshl_add_u64 v[4:5], s[2:3], 0, v[54:55]
	v_cmp_gt_u32_e32 vcc, s33, v0
	s_and_saveexec_b64 s[0:1], vcc
	s_cbranch_execz .LBB1754_208
; %bb.207:
	v_add_u32_e32 v1, v1, v26
	ds_read_b32 v1, v1
	s_waitcnt lgkmcnt(0)
	flat_store_dword v[4:5], v1
.LBB1754_208:
	s_or_b64 exec, exec, s[0:1]
	v_or_b32_e32 v1, 0x100, v0
	v_cmp_gt_u32_e32 vcc, s33, v1
	s_and_saveexec_b64 s[0:1], vcc
	s_cbranch_execz .LBB1754_210
; %bb.209:
	s_waitcnt lgkmcnt(0)
	flat_store_dword v[4:5], v24 offset:1024
.LBB1754_210:
	s_or_b64 exec, exec, s[0:1]
	v_or_b32_e32 v1, 0x200, v0
	v_cmp_gt_u32_e32 vcc, s33, v1
	s_and_saveexec_b64 s[0:1], vcc
	s_cbranch_execz .LBB1754_212
; %bb.211:
	s_waitcnt lgkmcnt(0)
	flat_store_dword v[4:5], v25 offset:2048
.LBB1754_212:
	s_or_b64 exec, exec, s[0:1]
	v_or_b32_e32 v1, 0x300, v0
	v_cmp_gt_u32_e32 vcc, s33, v1
	s_and_saveexec_b64 s[0:1], vcc
	s_cbranch_execz .LBB1754_214
; %bb.213:
	s_waitcnt lgkmcnt(0)
	flat_store_dword v[4:5], v22 offset:3072
.LBB1754_214:
	s_or_b64 exec, exec, s[0:1]
	v_or_b32_e32 v1, 0x400, v0
	v_cmp_gt_u32_e32 vcc, s33, v1
	s_and_saveexec_b64 s[0:1], vcc
	s_cbranch_execz .LBB1754_216
; %bb.215:
	s_waitcnt lgkmcnt(0)
	v_add_co_u32_e32 v24, vcc, 0x1000, v4
	s_nop 1
	v_addc_co_u32_e32 v25, vcc, 0, v5, vcc
	flat_store_dword v[24:25], v23
.LBB1754_216:
	s_or_b64 exec, exec, s[0:1]
	v_or_b32_e32 v1, 0x500, v0
	v_cmp_gt_u32_e32 vcc, s33, v1
	s_and_saveexec_b64 s[0:1], vcc
	s_cbranch_execz .LBB1754_218
; %bb.217:
	s_waitcnt lgkmcnt(0)
	v_add_co_u32_e32 v22, vcc, 0x1000, v4
	s_nop 1
	v_addc_co_u32_e32 v23, vcc, 0, v5, vcc
	flat_store_dword v[22:23], v20 offset:1024
.LBB1754_218:
	s_or_b64 exec, exec, s[0:1]
	v_or_b32_e32 v1, 0x600, v0
	v_cmp_gt_u32_e32 vcc, s33, v1
	s_and_saveexec_b64 s[0:1], vcc
	s_cbranch_execz .LBB1754_220
; %bb.219:
	s_waitcnt lgkmcnt(0)
	v_add_co_u32_e32 v22, vcc, 0x1000, v4
	s_nop 1
	v_addc_co_u32_e32 v23, vcc, 0, v5, vcc
	flat_store_dword v[22:23], v21 offset:2048
.LBB1754_220:
	s_or_b64 exec, exec, s[0:1]
	v_or_b32_e32 v1, 0x700, v0
	v_cmp_gt_u32_e32 vcc, s33, v1
	s_and_saveexec_b64 s[0:1], vcc
	s_cbranch_execz .LBB1754_222
; %bb.221:
	s_waitcnt lgkmcnt(0)
	v_add_co_u32_e32 v20, vcc, 0x1000, v4
	s_nop 1
	v_addc_co_u32_e32 v21, vcc, 0, v5, vcc
	flat_store_dword v[20:21], v18 offset:3072
.LBB1754_222:
	s_or_b64 exec, exec, s[0:1]
	v_or_b32_e32 v1, 0x800, v0
	v_cmp_gt_u32_e32 vcc, s33, v1
	s_and_saveexec_b64 s[0:1], vcc
	s_cbranch_execz .LBB1754_224
; %bb.223:
	s_waitcnt lgkmcnt(0)
	v_add_co_u32_e32 v20, vcc, 0x2000, v4
	s_nop 1
	v_addc_co_u32_e32 v21, vcc, 0, v5, vcc
	flat_store_dword v[20:21], v19
.LBB1754_224:
	s_or_b64 exec, exec, s[0:1]
	v_or_b32_e32 v1, 0x900, v0
	v_cmp_gt_u32_e32 vcc, s33, v1
	s_and_saveexec_b64 s[0:1], vcc
	s_cbranch_execz .LBB1754_226
; %bb.225:
	s_waitcnt lgkmcnt(0)
	v_add_co_u32_e32 v18, vcc, 0x2000, v4
	s_nop 1
	v_addc_co_u32_e32 v19, vcc, 0, v5, vcc
	flat_store_dword v[18:19], v16 offset:1024
.LBB1754_226:
	s_or_b64 exec, exec, s[0:1]
	v_or_b32_e32 v1, 0xa00, v0
	v_cmp_gt_u32_e32 vcc, s33, v1
	s_and_saveexec_b64 s[0:1], vcc
	s_cbranch_execz .LBB1754_228
; %bb.227:
	s_waitcnt lgkmcnt(0)
	v_add_co_u32_e32 v18, vcc, 0x2000, v4
	s_nop 1
	v_addc_co_u32_e32 v19, vcc, 0, v5, vcc
	flat_store_dword v[18:19], v17 offset:2048
.LBB1754_228:
	s_or_b64 exec, exec, s[0:1]
	v_or_b32_e32 v1, 0xb00, v0
	v_cmp_gt_u32_e32 vcc, s33, v1
	s_and_saveexec_b64 s[0:1], vcc
	s_cbranch_execz .LBB1754_230
; %bb.229:
	s_waitcnt lgkmcnt(0)
	v_add_co_u32_e32 v16, vcc, 0x2000, v4
	s_nop 1
	v_addc_co_u32_e32 v17, vcc, 0, v5, vcc
	flat_store_dword v[16:17], v14 offset:3072
.LBB1754_230:
	;; [unrolled: 48-line block ×4, first 2 shown]
	s_or_b64 exec, exec, s[0:1]
	v_or_b32_e32 v1, 0x1400, v0
	v_cmp_gt_u32_e32 vcc, s33, v1
	s_and_saveexec_b64 s[0:1], vcc
	s_cbranch_execz .LBB1754_248
; %bb.247:
	s_waitcnt lgkmcnt(0)
	v_add_co_u32_e32 v8, vcc, 0x5000, v4
	s_nop 1
	v_addc_co_u32_e32 v9, vcc, 0, v5, vcc
	flat_store_dword v[8:9], v7
.LBB1754_248:
	s_or_b64 exec, exec, s[0:1]
	v_or_b32_e32 v1, 0x1500, v0
	v_cmp_gt_u32_e32 vcc, s33, v1
	s_and_saveexec_b64 s[0:1], vcc
	s_cbranch_execz .LBB1754_250
; %bb.249:
	v_add_co_u32_e32 v4, vcc, 0x5000, v4
	s_nop 1
	v_addc_co_u32_e32 v5, vcc, 0, v5, vcc
	s_waitcnt lgkmcnt(0)
	flat_store_dword v[4:5], v2 offset:1024
.LBB1754_250:
	s_or_b64 exec, exec, s[0:1]
	s_waitcnt lgkmcnt(0)
	v_or_b32_e32 v2, 0x1600, v0
	v_mov_b32_e32 v1, v55
	v_cmp_gt_u32_e64 s[0:1], s33, v2
	s_branch .LBB1754_253
.LBB1754_251:
	s_mov_b64 s[0:1], 0
                                        ; implicit-def: $vgpr3
	s_cbranch_execz .LBB1754_253
; %bb.252:
	v_mul_u32_u24_e32 v1, 0x5c, v0
	s_barrier
	s_movk_i32 s4, 0x5c
	ds_write2_b32 v1, v58, v59 offset1:1
	ds_write2_b32 v1, v60, v61 offset0:2 offset1:3
	ds_write2_b32 v1, v62, v63 offset0:4 offset1:5
	;; [unrolled: 1-line block ×10, first 2 shown]
	ds_write_b32 v1, v80 offset:88
	v_mov_b32_e32 v1, 0
	v_mul_i32_i24_e32 v2, 0xffffffa8, v0
	v_mad_u32_u24 v2, v0, s4, v2
	v_mov_b32_e32 v55, v1
	s_waitcnt lgkmcnt(0)
	s_barrier
	ds_read2st64_b32 v[4:5], v2 offset1:4
	ds_read2st64_b32 v[6:7], v2 offset0:8 offset1:12
	ds_read2st64_b32 v[8:9], v2 offset0:16 offset1:20
	;; [unrolled: 1-line block ×10, first 2 shown]
	ds_read_b32 v3, v2 offset:22528
	v_lshl_add_u64 v[26:27], s[2:3], 0, v[54:55]
	s_movk_i32 s4, 0x1000
	s_waitcnt lgkmcnt(0)
	flat_store_dword v[26:27], v4
	flat_store_dword v[26:27], v5 offset:1024
	flat_store_dword v[26:27], v6 offset:2048
	;; [unrolled: 1-line block ×3, first 2 shown]
	v_add_co_u32_e32 v4, vcc, s4, v26
	s_movk_i32 s4, 0x2000
	s_nop 0
	v_addc_co_u32_e32 v5, vcc, 0, v27, vcc
	flat_store_dword v[4:5], v8
	flat_store_dword v[4:5], v9 offset:1024
	flat_store_dword v[4:5], v10 offset:2048
	;; [unrolled: 1-line block ×3, first 2 shown]
	v_add_co_u32_e32 v4, vcc, s4, v26
	s_movk_i32 s4, 0x3000
	s_nop 0
	v_addc_co_u32_e32 v5, vcc, 0, v27, vcc
	flat_store_dword v[4:5], v12
	flat_store_dword v[4:5], v13 offset:1024
	flat_store_dword v[4:5], v14 offset:2048
	;; [unrolled: 1-line block ×3, first 2 shown]
	v_add_co_u32_e32 v4, vcc, s4, v26
	s_or_b64 s[0:1], s[0:1], exec
	s_nop 0
	v_addc_co_u32_e32 v5, vcc, 0, v27, vcc
	flat_store_dword v[4:5], v16
	flat_store_dword v[4:5], v17 offset:1024
	flat_store_dword v[4:5], v18 offset:2048
	;; [unrolled: 1-line block ×3, first 2 shown]
	v_add_co_u32_e32 v4, vcc, 0x4000, v26
	s_nop 1
	v_addc_co_u32_e32 v5, vcc, 0, v27, vcc
	flat_store_dword v[4:5], v20
	flat_store_dword v[4:5], v21 offset:1024
	flat_store_dword v[4:5], v22 offset:2048
	;; [unrolled: 1-line block ×3, first 2 shown]
	v_add_co_u32_e32 v4, vcc, 0x5000, v26
	s_nop 1
	v_addc_co_u32_e32 v5, vcc, 0, v27, vcc
	flat_store_dword v[4:5], v24
	flat_store_dword v[4:5], v25 offset:1024
.LBB1754_253:
	s_and_saveexec_b64 s[4:5], s[0:1]
	s_cbranch_execz .LBB1754_255
; %bb.254:
	v_lshl_add_u64 v[0:1], v[0:1], 2, s[2:3]
	v_add_co_u32_e32 v0, vcc, 0x5000, v0
	s_nop 1
	v_addc_co_u32_e32 v1, vcc, 0, v1, vcc
	flat_store_dword v[0:1], v3 offset:2048
	s_endpgm
.LBB1754_255:
	s_endpgm
	.section	.rodata,"a",@progbits
	.p2align	6, 0x0
	.amdhsa_kernel _ZN7rocprim17ROCPRIM_400000_NS6detail17trampoline_kernelINS0_14default_configENS1_27scan_by_key_config_selectorIiiEEZZNS1_16scan_by_key_implILNS1_25lookback_scan_determinismE0ELb1ES3_N6thrust23THRUST_200600_302600_NS6detail15normal_iteratorINS9_10device_ptrIiEEEENSB_INSC_IjEEEESE_iNS9_4plusIvEENS9_8equal_toIvEEiEE10hipError_tPvRmT2_T3_T4_T5_mT6_T7_P12ihipStream_tbENKUlT_T0_E_clISt17integral_constantIbLb0EES11_EEDaSW_SX_EUlSW_E_NS1_11comp_targetILNS1_3genE5ELNS1_11target_archE942ELNS1_3gpuE9ELNS1_3repE0EEENS1_30default_config_static_selectorELNS0_4arch9wavefront6targetE1EEEvT1_
		.amdhsa_group_segment_fixed_size 25600
		.amdhsa_private_segment_fixed_size 0
		.amdhsa_kernarg_size 112
		.amdhsa_user_sgpr_count 2
		.amdhsa_user_sgpr_dispatch_ptr 0
		.amdhsa_user_sgpr_queue_ptr 0
		.amdhsa_user_sgpr_kernarg_segment_ptr 1
		.amdhsa_user_sgpr_dispatch_id 0
		.amdhsa_user_sgpr_kernarg_preload_length 0
		.amdhsa_user_sgpr_kernarg_preload_offset 0
		.amdhsa_user_sgpr_private_segment_size 0
		.amdhsa_uses_dynamic_stack 0
		.amdhsa_enable_private_segment 0
		.amdhsa_system_sgpr_workgroup_id_x 1
		.amdhsa_system_sgpr_workgroup_id_y 0
		.amdhsa_system_sgpr_workgroup_id_z 0
		.amdhsa_system_sgpr_workgroup_info 0
		.amdhsa_system_vgpr_workitem_id 0
		.amdhsa_next_free_vgpr 81
		.amdhsa_next_free_sgpr 80
		.amdhsa_accum_offset 84
		.amdhsa_reserve_vcc 1
		.amdhsa_float_round_mode_32 0
		.amdhsa_float_round_mode_16_64 0
		.amdhsa_float_denorm_mode_32 3
		.amdhsa_float_denorm_mode_16_64 3
		.amdhsa_dx10_clamp 1
		.amdhsa_ieee_mode 1
		.amdhsa_fp16_overflow 0
		.amdhsa_tg_split 0
		.amdhsa_exception_fp_ieee_invalid_op 0
		.amdhsa_exception_fp_denorm_src 0
		.amdhsa_exception_fp_ieee_div_zero 0
		.amdhsa_exception_fp_ieee_overflow 0
		.amdhsa_exception_fp_ieee_underflow 0
		.amdhsa_exception_fp_ieee_inexact 0
		.amdhsa_exception_int_div_zero 0
	.end_amdhsa_kernel
	.section	.text._ZN7rocprim17ROCPRIM_400000_NS6detail17trampoline_kernelINS0_14default_configENS1_27scan_by_key_config_selectorIiiEEZZNS1_16scan_by_key_implILNS1_25lookback_scan_determinismE0ELb1ES3_N6thrust23THRUST_200600_302600_NS6detail15normal_iteratorINS9_10device_ptrIiEEEENSB_INSC_IjEEEESE_iNS9_4plusIvEENS9_8equal_toIvEEiEE10hipError_tPvRmT2_T3_T4_T5_mT6_T7_P12ihipStream_tbENKUlT_T0_E_clISt17integral_constantIbLb0EES11_EEDaSW_SX_EUlSW_E_NS1_11comp_targetILNS1_3genE5ELNS1_11target_archE942ELNS1_3gpuE9ELNS1_3repE0EEENS1_30default_config_static_selectorELNS0_4arch9wavefront6targetE1EEEvT1_,"axG",@progbits,_ZN7rocprim17ROCPRIM_400000_NS6detail17trampoline_kernelINS0_14default_configENS1_27scan_by_key_config_selectorIiiEEZZNS1_16scan_by_key_implILNS1_25lookback_scan_determinismE0ELb1ES3_N6thrust23THRUST_200600_302600_NS6detail15normal_iteratorINS9_10device_ptrIiEEEENSB_INSC_IjEEEESE_iNS9_4plusIvEENS9_8equal_toIvEEiEE10hipError_tPvRmT2_T3_T4_T5_mT6_T7_P12ihipStream_tbENKUlT_T0_E_clISt17integral_constantIbLb0EES11_EEDaSW_SX_EUlSW_E_NS1_11comp_targetILNS1_3genE5ELNS1_11target_archE942ELNS1_3gpuE9ELNS1_3repE0EEENS1_30default_config_static_selectorELNS0_4arch9wavefront6targetE1EEEvT1_,comdat
.Lfunc_end1754:
	.size	_ZN7rocprim17ROCPRIM_400000_NS6detail17trampoline_kernelINS0_14default_configENS1_27scan_by_key_config_selectorIiiEEZZNS1_16scan_by_key_implILNS1_25lookback_scan_determinismE0ELb1ES3_N6thrust23THRUST_200600_302600_NS6detail15normal_iteratorINS9_10device_ptrIiEEEENSB_INSC_IjEEEESE_iNS9_4plusIvEENS9_8equal_toIvEEiEE10hipError_tPvRmT2_T3_T4_T5_mT6_T7_P12ihipStream_tbENKUlT_T0_E_clISt17integral_constantIbLb0EES11_EEDaSW_SX_EUlSW_E_NS1_11comp_targetILNS1_3genE5ELNS1_11target_archE942ELNS1_3gpuE9ELNS1_3repE0EEENS1_30default_config_static_selectorELNS0_4arch9wavefront6targetE1EEEvT1_, .Lfunc_end1754-_ZN7rocprim17ROCPRIM_400000_NS6detail17trampoline_kernelINS0_14default_configENS1_27scan_by_key_config_selectorIiiEEZZNS1_16scan_by_key_implILNS1_25lookback_scan_determinismE0ELb1ES3_N6thrust23THRUST_200600_302600_NS6detail15normal_iteratorINS9_10device_ptrIiEEEENSB_INSC_IjEEEESE_iNS9_4plusIvEENS9_8equal_toIvEEiEE10hipError_tPvRmT2_T3_T4_T5_mT6_T7_P12ihipStream_tbENKUlT_T0_E_clISt17integral_constantIbLb0EES11_EEDaSW_SX_EUlSW_E_NS1_11comp_targetILNS1_3genE5ELNS1_11target_archE942ELNS1_3gpuE9ELNS1_3repE0EEENS1_30default_config_static_selectorELNS0_4arch9wavefront6targetE1EEEvT1_
                                        ; -- End function
	.section	.AMDGPU.csdata,"",@progbits
; Kernel info:
; codeLenInByte = 15680
; NumSgprs: 86
; NumVgprs: 81
; NumAgprs: 0
; TotalNumVgprs: 81
; ScratchSize: 0
; MemoryBound: 0
; FloatMode: 240
; IeeeMode: 1
; LDSByteSize: 25600 bytes/workgroup (compile time only)
; SGPRBlocks: 10
; VGPRBlocks: 10
; NumSGPRsForWavesPerEU: 86
; NumVGPRsForWavesPerEU: 81
; AccumOffset: 84
; Occupancy: 2
; WaveLimiterHint : 1
; COMPUTE_PGM_RSRC2:SCRATCH_EN: 0
; COMPUTE_PGM_RSRC2:USER_SGPR: 2
; COMPUTE_PGM_RSRC2:TRAP_HANDLER: 0
; COMPUTE_PGM_RSRC2:TGID_X_EN: 1
; COMPUTE_PGM_RSRC2:TGID_Y_EN: 0
; COMPUTE_PGM_RSRC2:TGID_Z_EN: 0
; COMPUTE_PGM_RSRC2:TIDIG_COMP_CNT: 0
; COMPUTE_PGM_RSRC3_GFX90A:ACCUM_OFFSET: 20
; COMPUTE_PGM_RSRC3_GFX90A:TG_SPLIT: 0
	.section	.text._ZN7rocprim17ROCPRIM_400000_NS6detail17trampoline_kernelINS0_14default_configENS1_27scan_by_key_config_selectorIiiEEZZNS1_16scan_by_key_implILNS1_25lookback_scan_determinismE0ELb1ES3_N6thrust23THRUST_200600_302600_NS6detail15normal_iteratorINS9_10device_ptrIiEEEENSB_INSC_IjEEEESE_iNS9_4plusIvEENS9_8equal_toIvEEiEE10hipError_tPvRmT2_T3_T4_T5_mT6_T7_P12ihipStream_tbENKUlT_T0_E_clISt17integral_constantIbLb0EES11_EEDaSW_SX_EUlSW_E_NS1_11comp_targetILNS1_3genE4ELNS1_11target_archE910ELNS1_3gpuE8ELNS1_3repE0EEENS1_30default_config_static_selectorELNS0_4arch9wavefront6targetE1EEEvT1_,"axG",@progbits,_ZN7rocprim17ROCPRIM_400000_NS6detail17trampoline_kernelINS0_14default_configENS1_27scan_by_key_config_selectorIiiEEZZNS1_16scan_by_key_implILNS1_25lookback_scan_determinismE0ELb1ES3_N6thrust23THRUST_200600_302600_NS6detail15normal_iteratorINS9_10device_ptrIiEEEENSB_INSC_IjEEEESE_iNS9_4plusIvEENS9_8equal_toIvEEiEE10hipError_tPvRmT2_T3_T4_T5_mT6_T7_P12ihipStream_tbENKUlT_T0_E_clISt17integral_constantIbLb0EES11_EEDaSW_SX_EUlSW_E_NS1_11comp_targetILNS1_3genE4ELNS1_11target_archE910ELNS1_3gpuE8ELNS1_3repE0EEENS1_30default_config_static_selectorELNS0_4arch9wavefront6targetE1EEEvT1_,comdat
	.protected	_ZN7rocprim17ROCPRIM_400000_NS6detail17trampoline_kernelINS0_14default_configENS1_27scan_by_key_config_selectorIiiEEZZNS1_16scan_by_key_implILNS1_25lookback_scan_determinismE0ELb1ES3_N6thrust23THRUST_200600_302600_NS6detail15normal_iteratorINS9_10device_ptrIiEEEENSB_INSC_IjEEEESE_iNS9_4plusIvEENS9_8equal_toIvEEiEE10hipError_tPvRmT2_T3_T4_T5_mT6_T7_P12ihipStream_tbENKUlT_T0_E_clISt17integral_constantIbLb0EES11_EEDaSW_SX_EUlSW_E_NS1_11comp_targetILNS1_3genE4ELNS1_11target_archE910ELNS1_3gpuE8ELNS1_3repE0EEENS1_30default_config_static_selectorELNS0_4arch9wavefront6targetE1EEEvT1_ ; -- Begin function _ZN7rocprim17ROCPRIM_400000_NS6detail17trampoline_kernelINS0_14default_configENS1_27scan_by_key_config_selectorIiiEEZZNS1_16scan_by_key_implILNS1_25lookback_scan_determinismE0ELb1ES3_N6thrust23THRUST_200600_302600_NS6detail15normal_iteratorINS9_10device_ptrIiEEEENSB_INSC_IjEEEESE_iNS9_4plusIvEENS9_8equal_toIvEEiEE10hipError_tPvRmT2_T3_T4_T5_mT6_T7_P12ihipStream_tbENKUlT_T0_E_clISt17integral_constantIbLb0EES11_EEDaSW_SX_EUlSW_E_NS1_11comp_targetILNS1_3genE4ELNS1_11target_archE910ELNS1_3gpuE8ELNS1_3repE0EEENS1_30default_config_static_selectorELNS0_4arch9wavefront6targetE1EEEvT1_
	.globl	_ZN7rocprim17ROCPRIM_400000_NS6detail17trampoline_kernelINS0_14default_configENS1_27scan_by_key_config_selectorIiiEEZZNS1_16scan_by_key_implILNS1_25lookback_scan_determinismE0ELb1ES3_N6thrust23THRUST_200600_302600_NS6detail15normal_iteratorINS9_10device_ptrIiEEEENSB_INSC_IjEEEESE_iNS9_4plusIvEENS9_8equal_toIvEEiEE10hipError_tPvRmT2_T3_T4_T5_mT6_T7_P12ihipStream_tbENKUlT_T0_E_clISt17integral_constantIbLb0EES11_EEDaSW_SX_EUlSW_E_NS1_11comp_targetILNS1_3genE4ELNS1_11target_archE910ELNS1_3gpuE8ELNS1_3repE0EEENS1_30default_config_static_selectorELNS0_4arch9wavefront6targetE1EEEvT1_
	.p2align	8
	.type	_ZN7rocprim17ROCPRIM_400000_NS6detail17trampoline_kernelINS0_14default_configENS1_27scan_by_key_config_selectorIiiEEZZNS1_16scan_by_key_implILNS1_25lookback_scan_determinismE0ELb1ES3_N6thrust23THRUST_200600_302600_NS6detail15normal_iteratorINS9_10device_ptrIiEEEENSB_INSC_IjEEEESE_iNS9_4plusIvEENS9_8equal_toIvEEiEE10hipError_tPvRmT2_T3_T4_T5_mT6_T7_P12ihipStream_tbENKUlT_T0_E_clISt17integral_constantIbLb0EES11_EEDaSW_SX_EUlSW_E_NS1_11comp_targetILNS1_3genE4ELNS1_11target_archE910ELNS1_3gpuE8ELNS1_3repE0EEENS1_30default_config_static_selectorELNS0_4arch9wavefront6targetE1EEEvT1_,@function
_ZN7rocprim17ROCPRIM_400000_NS6detail17trampoline_kernelINS0_14default_configENS1_27scan_by_key_config_selectorIiiEEZZNS1_16scan_by_key_implILNS1_25lookback_scan_determinismE0ELb1ES3_N6thrust23THRUST_200600_302600_NS6detail15normal_iteratorINS9_10device_ptrIiEEEENSB_INSC_IjEEEESE_iNS9_4plusIvEENS9_8equal_toIvEEiEE10hipError_tPvRmT2_T3_T4_T5_mT6_T7_P12ihipStream_tbENKUlT_T0_E_clISt17integral_constantIbLb0EES11_EEDaSW_SX_EUlSW_E_NS1_11comp_targetILNS1_3genE4ELNS1_11target_archE910ELNS1_3gpuE8ELNS1_3repE0EEENS1_30default_config_static_selectorELNS0_4arch9wavefront6targetE1EEEvT1_: ; @_ZN7rocprim17ROCPRIM_400000_NS6detail17trampoline_kernelINS0_14default_configENS1_27scan_by_key_config_selectorIiiEEZZNS1_16scan_by_key_implILNS1_25lookback_scan_determinismE0ELb1ES3_N6thrust23THRUST_200600_302600_NS6detail15normal_iteratorINS9_10device_ptrIiEEEENSB_INSC_IjEEEESE_iNS9_4plusIvEENS9_8equal_toIvEEiEE10hipError_tPvRmT2_T3_T4_T5_mT6_T7_P12ihipStream_tbENKUlT_T0_E_clISt17integral_constantIbLb0EES11_EEDaSW_SX_EUlSW_E_NS1_11comp_targetILNS1_3genE4ELNS1_11target_archE910ELNS1_3gpuE8ELNS1_3repE0EEENS1_30default_config_static_selectorELNS0_4arch9wavefront6targetE1EEEvT1_
; %bb.0:
	.section	.rodata,"a",@progbits
	.p2align	6, 0x0
	.amdhsa_kernel _ZN7rocprim17ROCPRIM_400000_NS6detail17trampoline_kernelINS0_14default_configENS1_27scan_by_key_config_selectorIiiEEZZNS1_16scan_by_key_implILNS1_25lookback_scan_determinismE0ELb1ES3_N6thrust23THRUST_200600_302600_NS6detail15normal_iteratorINS9_10device_ptrIiEEEENSB_INSC_IjEEEESE_iNS9_4plusIvEENS9_8equal_toIvEEiEE10hipError_tPvRmT2_T3_T4_T5_mT6_T7_P12ihipStream_tbENKUlT_T0_E_clISt17integral_constantIbLb0EES11_EEDaSW_SX_EUlSW_E_NS1_11comp_targetILNS1_3genE4ELNS1_11target_archE910ELNS1_3gpuE8ELNS1_3repE0EEENS1_30default_config_static_selectorELNS0_4arch9wavefront6targetE1EEEvT1_
		.amdhsa_group_segment_fixed_size 0
		.amdhsa_private_segment_fixed_size 0
		.amdhsa_kernarg_size 112
		.amdhsa_user_sgpr_count 2
		.amdhsa_user_sgpr_dispatch_ptr 0
		.amdhsa_user_sgpr_queue_ptr 0
		.amdhsa_user_sgpr_kernarg_segment_ptr 1
		.amdhsa_user_sgpr_dispatch_id 0
		.amdhsa_user_sgpr_kernarg_preload_length 0
		.amdhsa_user_sgpr_kernarg_preload_offset 0
		.amdhsa_user_sgpr_private_segment_size 0
		.amdhsa_uses_dynamic_stack 0
		.amdhsa_enable_private_segment 0
		.amdhsa_system_sgpr_workgroup_id_x 1
		.amdhsa_system_sgpr_workgroup_id_y 0
		.amdhsa_system_sgpr_workgroup_id_z 0
		.amdhsa_system_sgpr_workgroup_info 0
		.amdhsa_system_vgpr_workitem_id 0
		.amdhsa_next_free_vgpr 1
		.amdhsa_next_free_sgpr 0
		.amdhsa_accum_offset 4
		.amdhsa_reserve_vcc 0
		.amdhsa_float_round_mode_32 0
		.amdhsa_float_round_mode_16_64 0
		.amdhsa_float_denorm_mode_32 3
		.amdhsa_float_denorm_mode_16_64 3
		.amdhsa_dx10_clamp 1
		.amdhsa_ieee_mode 1
		.amdhsa_fp16_overflow 0
		.amdhsa_tg_split 0
		.amdhsa_exception_fp_ieee_invalid_op 0
		.amdhsa_exception_fp_denorm_src 0
		.amdhsa_exception_fp_ieee_div_zero 0
		.amdhsa_exception_fp_ieee_overflow 0
		.amdhsa_exception_fp_ieee_underflow 0
		.amdhsa_exception_fp_ieee_inexact 0
		.amdhsa_exception_int_div_zero 0
	.end_amdhsa_kernel
	.section	.text._ZN7rocprim17ROCPRIM_400000_NS6detail17trampoline_kernelINS0_14default_configENS1_27scan_by_key_config_selectorIiiEEZZNS1_16scan_by_key_implILNS1_25lookback_scan_determinismE0ELb1ES3_N6thrust23THRUST_200600_302600_NS6detail15normal_iteratorINS9_10device_ptrIiEEEENSB_INSC_IjEEEESE_iNS9_4plusIvEENS9_8equal_toIvEEiEE10hipError_tPvRmT2_T3_T4_T5_mT6_T7_P12ihipStream_tbENKUlT_T0_E_clISt17integral_constantIbLb0EES11_EEDaSW_SX_EUlSW_E_NS1_11comp_targetILNS1_3genE4ELNS1_11target_archE910ELNS1_3gpuE8ELNS1_3repE0EEENS1_30default_config_static_selectorELNS0_4arch9wavefront6targetE1EEEvT1_,"axG",@progbits,_ZN7rocprim17ROCPRIM_400000_NS6detail17trampoline_kernelINS0_14default_configENS1_27scan_by_key_config_selectorIiiEEZZNS1_16scan_by_key_implILNS1_25lookback_scan_determinismE0ELb1ES3_N6thrust23THRUST_200600_302600_NS6detail15normal_iteratorINS9_10device_ptrIiEEEENSB_INSC_IjEEEESE_iNS9_4plusIvEENS9_8equal_toIvEEiEE10hipError_tPvRmT2_T3_T4_T5_mT6_T7_P12ihipStream_tbENKUlT_T0_E_clISt17integral_constantIbLb0EES11_EEDaSW_SX_EUlSW_E_NS1_11comp_targetILNS1_3genE4ELNS1_11target_archE910ELNS1_3gpuE8ELNS1_3repE0EEENS1_30default_config_static_selectorELNS0_4arch9wavefront6targetE1EEEvT1_,comdat
.Lfunc_end1755:
	.size	_ZN7rocprim17ROCPRIM_400000_NS6detail17trampoline_kernelINS0_14default_configENS1_27scan_by_key_config_selectorIiiEEZZNS1_16scan_by_key_implILNS1_25lookback_scan_determinismE0ELb1ES3_N6thrust23THRUST_200600_302600_NS6detail15normal_iteratorINS9_10device_ptrIiEEEENSB_INSC_IjEEEESE_iNS9_4plusIvEENS9_8equal_toIvEEiEE10hipError_tPvRmT2_T3_T4_T5_mT6_T7_P12ihipStream_tbENKUlT_T0_E_clISt17integral_constantIbLb0EES11_EEDaSW_SX_EUlSW_E_NS1_11comp_targetILNS1_3genE4ELNS1_11target_archE910ELNS1_3gpuE8ELNS1_3repE0EEENS1_30default_config_static_selectorELNS0_4arch9wavefront6targetE1EEEvT1_, .Lfunc_end1755-_ZN7rocprim17ROCPRIM_400000_NS6detail17trampoline_kernelINS0_14default_configENS1_27scan_by_key_config_selectorIiiEEZZNS1_16scan_by_key_implILNS1_25lookback_scan_determinismE0ELb1ES3_N6thrust23THRUST_200600_302600_NS6detail15normal_iteratorINS9_10device_ptrIiEEEENSB_INSC_IjEEEESE_iNS9_4plusIvEENS9_8equal_toIvEEiEE10hipError_tPvRmT2_T3_T4_T5_mT6_T7_P12ihipStream_tbENKUlT_T0_E_clISt17integral_constantIbLb0EES11_EEDaSW_SX_EUlSW_E_NS1_11comp_targetILNS1_3genE4ELNS1_11target_archE910ELNS1_3gpuE8ELNS1_3repE0EEENS1_30default_config_static_selectorELNS0_4arch9wavefront6targetE1EEEvT1_
                                        ; -- End function
	.section	.AMDGPU.csdata,"",@progbits
; Kernel info:
; codeLenInByte = 0
; NumSgprs: 6
; NumVgprs: 0
; NumAgprs: 0
; TotalNumVgprs: 0
; ScratchSize: 0
; MemoryBound: 0
; FloatMode: 240
; IeeeMode: 1
; LDSByteSize: 0 bytes/workgroup (compile time only)
; SGPRBlocks: 0
; VGPRBlocks: 0
; NumSGPRsForWavesPerEU: 6
; NumVGPRsForWavesPerEU: 1
; AccumOffset: 4
; Occupancy: 8
; WaveLimiterHint : 0
; COMPUTE_PGM_RSRC2:SCRATCH_EN: 0
; COMPUTE_PGM_RSRC2:USER_SGPR: 2
; COMPUTE_PGM_RSRC2:TRAP_HANDLER: 0
; COMPUTE_PGM_RSRC2:TGID_X_EN: 1
; COMPUTE_PGM_RSRC2:TGID_Y_EN: 0
; COMPUTE_PGM_RSRC2:TGID_Z_EN: 0
; COMPUTE_PGM_RSRC2:TIDIG_COMP_CNT: 0
; COMPUTE_PGM_RSRC3_GFX90A:ACCUM_OFFSET: 0
; COMPUTE_PGM_RSRC3_GFX90A:TG_SPLIT: 0
	.section	.text._ZN7rocprim17ROCPRIM_400000_NS6detail17trampoline_kernelINS0_14default_configENS1_27scan_by_key_config_selectorIiiEEZZNS1_16scan_by_key_implILNS1_25lookback_scan_determinismE0ELb1ES3_N6thrust23THRUST_200600_302600_NS6detail15normal_iteratorINS9_10device_ptrIiEEEENSB_INSC_IjEEEESE_iNS9_4plusIvEENS9_8equal_toIvEEiEE10hipError_tPvRmT2_T3_T4_T5_mT6_T7_P12ihipStream_tbENKUlT_T0_E_clISt17integral_constantIbLb0EES11_EEDaSW_SX_EUlSW_E_NS1_11comp_targetILNS1_3genE3ELNS1_11target_archE908ELNS1_3gpuE7ELNS1_3repE0EEENS1_30default_config_static_selectorELNS0_4arch9wavefront6targetE1EEEvT1_,"axG",@progbits,_ZN7rocprim17ROCPRIM_400000_NS6detail17trampoline_kernelINS0_14default_configENS1_27scan_by_key_config_selectorIiiEEZZNS1_16scan_by_key_implILNS1_25lookback_scan_determinismE0ELb1ES3_N6thrust23THRUST_200600_302600_NS6detail15normal_iteratorINS9_10device_ptrIiEEEENSB_INSC_IjEEEESE_iNS9_4plusIvEENS9_8equal_toIvEEiEE10hipError_tPvRmT2_T3_T4_T5_mT6_T7_P12ihipStream_tbENKUlT_T0_E_clISt17integral_constantIbLb0EES11_EEDaSW_SX_EUlSW_E_NS1_11comp_targetILNS1_3genE3ELNS1_11target_archE908ELNS1_3gpuE7ELNS1_3repE0EEENS1_30default_config_static_selectorELNS0_4arch9wavefront6targetE1EEEvT1_,comdat
	.protected	_ZN7rocprim17ROCPRIM_400000_NS6detail17trampoline_kernelINS0_14default_configENS1_27scan_by_key_config_selectorIiiEEZZNS1_16scan_by_key_implILNS1_25lookback_scan_determinismE0ELb1ES3_N6thrust23THRUST_200600_302600_NS6detail15normal_iteratorINS9_10device_ptrIiEEEENSB_INSC_IjEEEESE_iNS9_4plusIvEENS9_8equal_toIvEEiEE10hipError_tPvRmT2_T3_T4_T5_mT6_T7_P12ihipStream_tbENKUlT_T0_E_clISt17integral_constantIbLb0EES11_EEDaSW_SX_EUlSW_E_NS1_11comp_targetILNS1_3genE3ELNS1_11target_archE908ELNS1_3gpuE7ELNS1_3repE0EEENS1_30default_config_static_selectorELNS0_4arch9wavefront6targetE1EEEvT1_ ; -- Begin function _ZN7rocprim17ROCPRIM_400000_NS6detail17trampoline_kernelINS0_14default_configENS1_27scan_by_key_config_selectorIiiEEZZNS1_16scan_by_key_implILNS1_25lookback_scan_determinismE0ELb1ES3_N6thrust23THRUST_200600_302600_NS6detail15normal_iteratorINS9_10device_ptrIiEEEENSB_INSC_IjEEEESE_iNS9_4plusIvEENS9_8equal_toIvEEiEE10hipError_tPvRmT2_T3_T4_T5_mT6_T7_P12ihipStream_tbENKUlT_T0_E_clISt17integral_constantIbLb0EES11_EEDaSW_SX_EUlSW_E_NS1_11comp_targetILNS1_3genE3ELNS1_11target_archE908ELNS1_3gpuE7ELNS1_3repE0EEENS1_30default_config_static_selectorELNS0_4arch9wavefront6targetE1EEEvT1_
	.globl	_ZN7rocprim17ROCPRIM_400000_NS6detail17trampoline_kernelINS0_14default_configENS1_27scan_by_key_config_selectorIiiEEZZNS1_16scan_by_key_implILNS1_25lookback_scan_determinismE0ELb1ES3_N6thrust23THRUST_200600_302600_NS6detail15normal_iteratorINS9_10device_ptrIiEEEENSB_INSC_IjEEEESE_iNS9_4plusIvEENS9_8equal_toIvEEiEE10hipError_tPvRmT2_T3_T4_T5_mT6_T7_P12ihipStream_tbENKUlT_T0_E_clISt17integral_constantIbLb0EES11_EEDaSW_SX_EUlSW_E_NS1_11comp_targetILNS1_3genE3ELNS1_11target_archE908ELNS1_3gpuE7ELNS1_3repE0EEENS1_30default_config_static_selectorELNS0_4arch9wavefront6targetE1EEEvT1_
	.p2align	8
	.type	_ZN7rocprim17ROCPRIM_400000_NS6detail17trampoline_kernelINS0_14default_configENS1_27scan_by_key_config_selectorIiiEEZZNS1_16scan_by_key_implILNS1_25lookback_scan_determinismE0ELb1ES3_N6thrust23THRUST_200600_302600_NS6detail15normal_iteratorINS9_10device_ptrIiEEEENSB_INSC_IjEEEESE_iNS9_4plusIvEENS9_8equal_toIvEEiEE10hipError_tPvRmT2_T3_T4_T5_mT6_T7_P12ihipStream_tbENKUlT_T0_E_clISt17integral_constantIbLb0EES11_EEDaSW_SX_EUlSW_E_NS1_11comp_targetILNS1_3genE3ELNS1_11target_archE908ELNS1_3gpuE7ELNS1_3repE0EEENS1_30default_config_static_selectorELNS0_4arch9wavefront6targetE1EEEvT1_,@function
_ZN7rocprim17ROCPRIM_400000_NS6detail17trampoline_kernelINS0_14default_configENS1_27scan_by_key_config_selectorIiiEEZZNS1_16scan_by_key_implILNS1_25lookback_scan_determinismE0ELb1ES3_N6thrust23THRUST_200600_302600_NS6detail15normal_iteratorINS9_10device_ptrIiEEEENSB_INSC_IjEEEESE_iNS9_4plusIvEENS9_8equal_toIvEEiEE10hipError_tPvRmT2_T3_T4_T5_mT6_T7_P12ihipStream_tbENKUlT_T0_E_clISt17integral_constantIbLb0EES11_EEDaSW_SX_EUlSW_E_NS1_11comp_targetILNS1_3genE3ELNS1_11target_archE908ELNS1_3gpuE7ELNS1_3repE0EEENS1_30default_config_static_selectorELNS0_4arch9wavefront6targetE1EEEvT1_: ; @_ZN7rocprim17ROCPRIM_400000_NS6detail17trampoline_kernelINS0_14default_configENS1_27scan_by_key_config_selectorIiiEEZZNS1_16scan_by_key_implILNS1_25lookback_scan_determinismE0ELb1ES3_N6thrust23THRUST_200600_302600_NS6detail15normal_iteratorINS9_10device_ptrIiEEEENSB_INSC_IjEEEESE_iNS9_4plusIvEENS9_8equal_toIvEEiEE10hipError_tPvRmT2_T3_T4_T5_mT6_T7_P12ihipStream_tbENKUlT_T0_E_clISt17integral_constantIbLb0EES11_EEDaSW_SX_EUlSW_E_NS1_11comp_targetILNS1_3genE3ELNS1_11target_archE908ELNS1_3gpuE7ELNS1_3repE0EEENS1_30default_config_static_selectorELNS0_4arch9wavefront6targetE1EEEvT1_
; %bb.0:
	.section	.rodata,"a",@progbits
	.p2align	6, 0x0
	.amdhsa_kernel _ZN7rocprim17ROCPRIM_400000_NS6detail17trampoline_kernelINS0_14default_configENS1_27scan_by_key_config_selectorIiiEEZZNS1_16scan_by_key_implILNS1_25lookback_scan_determinismE0ELb1ES3_N6thrust23THRUST_200600_302600_NS6detail15normal_iteratorINS9_10device_ptrIiEEEENSB_INSC_IjEEEESE_iNS9_4plusIvEENS9_8equal_toIvEEiEE10hipError_tPvRmT2_T3_T4_T5_mT6_T7_P12ihipStream_tbENKUlT_T0_E_clISt17integral_constantIbLb0EES11_EEDaSW_SX_EUlSW_E_NS1_11comp_targetILNS1_3genE3ELNS1_11target_archE908ELNS1_3gpuE7ELNS1_3repE0EEENS1_30default_config_static_selectorELNS0_4arch9wavefront6targetE1EEEvT1_
		.amdhsa_group_segment_fixed_size 0
		.amdhsa_private_segment_fixed_size 0
		.amdhsa_kernarg_size 112
		.amdhsa_user_sgpr_count 2
		.amdhsa_user_sgpr_dispatch_ptr 0
		.amdhsa_user_sgpr_queue_ptr 0
		.amdhsa_user_sgpr_kernarg_segment_ptr 1
		.amdhsa_user_sgpr_dispatch_id 0
		.amdhsa_user_sgpr_kernarg_preload_length 0
		.amdhsa_user_sgpr_kernarg_preload_offset 0
		.amdhsa_user_sgpr_private_segment_size 0
		.amdhsa_uses_dynamic_stack 0
		.amdhsa_enable_private_segment 0
		.amdhsa_system_sgpr_workgroup_id_x 1
		.amdhsa_system_sgpr_workgroup_id_y 0
		.amdhsa_system_sgpr_workgroup_id_z 0
		.amdhsa_system_sgpr_workgroup_info 0
		.amdhsa_system_vgpr_workitem_id 0
		.amdhsa_next_free_vgpr 1
		.amdhsa_next_free_sgpr 0
		.amdhsa_accum_offset 4
		.amdhsa_reserve_vcc 0
		.amdhsa_float_round_mode_32 0
		.amdhsa_float_round_mode_16_64 0
		.amdhsa_float_denorm_mode_32 3
		.amdhsa_float_denorm_mode_16_64 3
		.amdhsa_dx10_clamp 1
		.amdhsa_ieee_mode 1
		.amdhsa_fp16_overflow 0
		.amdhsa_tg_split 0
		.amdhsa_exception_fp_ieee_invalid_op 0
		.amdhsa_exception_fp_denorm_src 0
		.amdhsa_exception_fp_ieee_div_zero 0
		.amdhsa_exception_fp_ieee_overflow 0
		.amdhsa_exception_fp_ieee_underflow 0
		.amdhsa_exception_fp_ieee_inexact 0
		.amdhsa_exception_int_div_zero 0
	.end_amdhsa_kernel
	.section	.text._ZN7rocprim17ROCPRIM_400000_NS6detail17trampoline_kernelINS0_14default_configENS1_27scan_by_key_config_selectorIiiEEZZNS1_16scan_by_key_implILNS1_25lookback_scan_determinismE0ELb1ES3_N6thrust23THRUST_200600_302600_NS6detail15normal_iteratorINS9_10device_ptrIiEEEENSB_INSC_IjEEEESE_iNS9_4plusIvEENS9_8equal_toIvEEiEE10hipError_tPvRmT2_T3_T4_T5_mT6_T7_P12ihipStream_tbENKUlT_T0_E_clISt17integral_constantIbLb0EES11_EEDaSW_SX_EUlSW_E_NS1_11comp_targetILNS1_3genE3ELNS1_11target_archE908ELNS1_3gpuE7ELNS1_3repE0EEENS1_30default_config_static_selectorELNS0_4arch9wavefront6targetE1EEEvT1_,"axG",@progbits,_ZN7rocprim17ROCPRIM_400000_NS6detail17trampoline_kernelINS0_14default_configENS1_27scan_by_key_config_selectorIiiEEZZNS1_16scan_by_key_implILNS1_25lookback_scan_determinismE0ELb1ES3_N6thrust23THRUST_200600_302600_NS6detail15normal_iteratorINS9_10device_ptrIiEEEENSB_INSC_IjEEEESE_iNS9_4plusIvEENS9_8equal_toIvEEiEE10hipError_tPvRmT2_T3_T4_T5_mT6_T7_P12ihipStream_tbENKUlT_T0_E_clISt17integral_constantIbLb0EES11_EEDaSW_SX_EUlSW_E_NS1_11comp_targetILNS1_3genE3ELNS1_11target_archE908ELNS1_3gpuE7ELNS1_3repE0EEENS1_30default_config_static_selectorELNS0_4arch9wavefront6targetE1EEEvT1_,comdat
.Lfunc_end1756:
	.size	_ZN7rocprim17ROCPRIM_400000_NS6detail17trampoline_kernelINS0_14default_configENS1_27scan_by_key_config_selectorIiiEEZZNS1_16scan_by_key_implILNS1_25lookback_scan_determinismE0ELb1ES3_N6thrust23THRUST_200600_302600_NS6detail15normal_iteratorINS9_10device_ptrIiEEEENSB_INSC_IjEEEESE_iNS9_4plusIvEENS9_8equal_toIvEEiEE10hipError_tPvRmT2_T3_T4_T5_mT6_T7_P12ihipStream_tbENKUlT_T0_E_clISt17integral_constantIbLb0EES11_EEDaSW_SX_EUlSW_E_NS1_11comp_targetILNS1_3genE3ELNS1_11target_archE908ELNS1_3gpuE7ELNS1_3repE0EEENS1_30default_config_static_selectorELNS0_4arch9wavefront6targetE1EEEvT1_, .Lfunc_end1756-_ZN7rocprim17ROCPRIM_400000_NS6detail17trampoline_kernelINS0_14default_configENS1_27scan_by_key_config_selectorIiiEEZZNS1_16scan_by_key_implILNS1_25lookback_scan_determinismE0ELb1ES3_N6thrust23THRUST_200600_302600_NS6detail15normal_iteratorINS9_10device_ptrIiEEEENSB_INSC_IjEEEESE_iNS9_4plusIvEENS9_8equal_toIvEEiEE10hipError_tPvRmT2_T3_T4_T5_mT6_T7_P12ihipStream_tbENKUlT_T0_E_clISt17integral_constantIbLb0EES11_EEDaSW_SX_EUlSW_E_NS1_11comp_targetILNS1_3genE3ELNS1_11target_archE908ELNS1_3gpuE7ELNS1_3repE0EEENS1_30default_config_static_selectorELNS0_4arch9wavefront6targetE1EEEvT1_
                                        ; -- End function
	.section	.AMDGPU.csdata,"",@progbits
; Kernel info:
; codeLenInByte = 0
; NumSgprs: 6
; NumVgprs: 0
; NumAgprs: 0
; TotalNumVgprs: 0
; ScratchSize: 0
; MemoryBound: 0
; FloatMode: 240
; IeeeMode: 1
; LDSByteSize: 0 bytes/workgroup (compile time only)
; SGPRBlocks: 0
; VGPRBlocks: 0
; NumSGPRsForWavesPerEU: 6
; NumVGPRsForWavesPerEU: 1
; AccumOffset: 4
; Occupancy: 8
; WaveLimiterHint : 0
; COMPUTE_PGM_RSRC2:SCRATCH_EN: 0
; COMPUTE_PGM_RSRC2:USER_SGPR: 2
; COMPUTE_PGM_RSRC2:TRAP_HANDLER: 0
; COMPUTE_PGM_RSRC2:TGID_X_EN: 1
; COMPUTE_PGM_RSRC2:TGID_Y_EN: 0
; COMPUTE_PGM_RSRC2:TGID_Z_EN: 0
; COMPUTE_PGM_RSRC2:TIDIG_COMP_CNT: 0
; COMPUTE_PGM_RSRC3_GFX90A:ACCUM_OFFSET: 0
; COMPUTE_PGM_RSRC3_GFX90A:TG_SPLIT: 0
	.section	.text._ZN7rocprim17ROCPRIM_400000_NS6detail17trampoline_kernelINS0_14default_configENS1_27scan_by_key_config_selectorIiiEEZZNS1_16scan_by_key_implILNS1_25lookback_scan_determinismE0ELb1ES3_N6thrust23THRUST_200600_302600_NS6detail15normal_iteratorINS9_10device_ptrIiEEEENSB_INSC_IjEEEESE_iNS9_4plusIvEENS9_8equal_toIvEEiEE10hipError_tPvRmT2_T3_T4_T5_mT6_T7_P12ihipStream_tbENKUlT_T0_E_clISt17integral_constantIbLb0EES11_EEDaSW_SX_EUlSW_E_NS1_11comp_targetILNS1_3genE2ELNS1_11target_archE906ELNS1_3gpuE6ELNS1_3repE0EEENS1_30default_config_static_selectorELNS0_4arch9wavefront6targetE1EEEvT1_,"axG",@progbits,_ZN7rocprim17ROCPRIM_400000_NS6detail17trampoline_kernelINS0_14default_configENS1_27scan_by_key_config_selectorIiiEEZZNS1_16scan_by_key_implILNS1_25lookback_scan_determinismE0ELb1ES3_N6thrust23THRUST_200600_302600_NS6detail15normal_iteratorINS9_10device_ptrIiEEEENSB_INSC_IjEEEESE_iNS9_4plusIvEENS9_8equal_toIvEEiEE10hipError_tPvRmT2_T3_T4_T5_mT6_T7_P12ihipStream_tbENKUlT_T0_E_clISt17integral_constantIbLb0EES11_EEDaSW_SX_EUlSW_E_NS1_11comp_targetILNS1_3genE2ELNS1_11target_archE906ELNS1_3gpuE6ELNS1_3repE0EEENS1_30default_config_static_selectorELNS0_4arch9wavefront6targetE1EEEvT1_,comdat
	.protected	_ZN7rocprim17ROCPRIM_400000_NS6detail17trampoline_kernelINS0_14default_configENS1_27scan_by_key_config_selectorIiiEEZZNS1_16scan_by_key_implILNS1_25lookback_scan_determinismE0ELb1ES3_N6thrust23THRUST_200600_302600_NS6detail15normal_iteratorINS9_10device_ptrIiEEEENSB_INSC_IjEEEESE_iNS9_4plusIvEENS9_8equal_toIvEEiEE10hipError_tPvRmT2_T3_T4_T5_mT6_T7_P12ihipStream_tbENKUlT_T0_E_clISt17integral_constantIbLb0EES11_EEDaSW_SX_EUlSW_E_NS1_11comp_targetILNS1_3genE2ELNS1_11target_archE906ELNS1_3gpuE6ELNS1_3repE0EEENS1_30default_config_static_selectorELNS0_4arch9wavefront6targetE1EEEvT1_ ; -- Begin function _ZN7rocprim17ROCPRIM_400000_NS6detail17trampoline_kernelINS0_14default_configENS1_27scan_by_key_config_selectorIiiEEZZNS1_16scan_by_key_implILNS1_25lookback_scan_determinismE0ELb1ES3_N6thrust23THRUST_200600_302600_NS6detail15normal_iteratorINS9_10device_ptrIiEEEENSB_INSC_IjEEEESE_iNS9_4plusIvEENS9_8equal_toIvEEiEE10hipError_tPvRmT2_T3_T4_T5_mT6_T7_P12ihipStream_tbENKUlT_T0_E_clISt17integral_constantIbLb0EES11_EEDaSW_SX_EUlSW_E_NS1_11comp_targetILNS1_3genE2ELNS1_11target_archE906ELNS1_3gpuE6ELNS1_3repE0EEENS1_30default_config_static_selectorELNS0_4arch9wavefront6targetE1EEEvT1_
	.globl	_ZN7rocprim17ROCPRIM_400000_NS6detail17trampoline_kernelINS0_14default_configENS1_27scan_by_key_config_selectorIiiEEZZNS1_16scan_by_key_implILNS1_25lookback_scan_determinismE0ELb1ES3_N6thrust23THRUST_200600_302600_NS6detail15normal_iteratorINS9_10device_ptrIiEEEENSB_INSC_IjEEEESE_iNS9_4plusIvEENS9_8equal_toIvEEiEE10hipError_tPvRmT2_T3_T4_T5_mT6_T7_P12ihipStream_tbENKUlT_T0_E_clISt17integral_constantIbLb0EES11_EEDaSW_SX_EUlSW_E_NS1_11comp_targetILNS1_3genE2ELNS1_11target_archE906ELNS1_3gpuE6ELNS1_3repE0EEENS1_30default_config_static_selectorELNS0_4arch9wavefront6targetE1EEEvT1_
	.p2align	8
	.type	_ZN7rocprim17ROCPRIM_400000_NS6detail17trampoline_kernelINS0_14default_configENS1_27scan_by_key_config_selectorIiiEEZZNS1_16scan_by_key_implILNS1_25lookback_scan_determinismE0ELb1ES3_N6thrust23THRUST_200600_302600_NS6detail15normal_iteratorINS9_10device_ptrIiEEEENSB_INSC_IjEEEESE_iNS9_4plusIvEENS9_8equal_toIvEEiEE10hipError_tPvRmT2_T3_T4_T5_mT6_T7_P12ihipStream_tbENKUlT_T0_E_clISt17integral_constantIbLb0EES11_EEDaSW_SX_EUlSW_E_NS1_11comp_targetILNS1_3genE2ELNS1_11target_archE906ELNS1_3gpuE6ELNS1_3repE0EEENS1_30default_config_static_selectorELNS0_4arch9wavefront6targetE1EEEvT1_,@function
_ZN7rocprim17ROCPRIM_400000_NS6detail17trampoline_kernelINS0_14default_configENS1_27scan_by_key_config_selectorIiiEEZZNS1_16scan_by_key_implILNS1_25lookback_scan_determinismE0ELb1ES3_N6thrust23THRUST_200600_302600_NS6detail15normal_iteratorINS9_10device_ptrIiEEEENSB_INSC_IjEEEESE_iNS9_4plusIvEENS9_8equal_toIvEEiEE10hipError_tPvRmT2_T3_T4_T5_mT6_T7_P12ihipStream_tbENKUlT_T0_E_clISt17integral_constantIbLb0EES11_EEDaSW_SX_EUlSW_E_NS1_11comp_targetILNS1_3genE2ELNS1_11target_archE906ELNS1_3gpuE6ELNS1_3repE0EEENS1_30default_config_static_selectorELNS0_4arch9wavefront6targetE1EEEvT1_: ; @_ZN7rocprim17ROCPRIM_400000_NS6detail17trampoline_kernelINS0_14default_configENS1_27scan_by_key_config_selectorIiiEEZZNS1_16scan_by_key_implILNS1_25lookback_scan_determinismE0ELb1ES3_N6thrust23THRUST_200600_302600_NS6detail15normal_iteratorINS9_10device_ptrIiEEEENSB_INSC_IjEEEESE_iNS9_4plusIvEENS9_8equal_toIvEEiEE10hipError_tPvRmT2_T3_T4_T5_mT6_T7_P12ihipStream_tbENKUlT_T0_E_clISt17integral_constantIbLb0EES11_EEDaSW_SX_EUlSW_E_NS1_11comp_targetILNS1_3genE2ELNS1_11target_archE906ELNS1_3gpuE6ELNS1_3repE0EEENS1_30default_config_static_selectorELNS0_4arch9wavefront6targetE1EEEvT1_
; %bb.0:
	.section	.rodata,"a",@progbits
	.p2align	6, 0x0
	.amdhsa_kernel _ZN7rocprim17ROCPRIM_400000_NS6detail17trampoline_kernelINS0_14default_configENS1_27scan_by_key_config_selectorIiiEEZZNS1_16scan_by_key_implILNS1_25lookback_scan_determinismE0ELb1ES3_N6thrust23THRUST_200600_302600_NS6detail15normal_iteratorINS9_10device_ptrIiEEEENSB_INSC_IjEEEESE_iNS9_4plusIvEENS9_8equal_toIvEEiEE10hipError_tPvRmT2_T3_T4_T5_mT6_T7_P12ihipStream_tbENKUlT_T0_E_clISt17integral_constantIbLb0EES11_EEDaSW_SX_EUlSW_E_NS1_11comp_targetILNS1_3genE2ELNS1_11target_archE906ELNS1_3gpuE6ELNS1_3repE0EEENS1_30default_config_static_selectorELNS0_4arch9wavefront6targetE1EEEvT1_
		.amdhsa_group_segment_fixed_size 0
		.amdhsa_private_segment_fixed_size 0
		.amdhsa_kernarg_size 112
		.amdhsa_user_sgpr_count 2
		.amdhsa_user_sgpr_dispatch_ptr 0
		.amdhsa_user_sgpr_queue_ptr 0
		.amdhsa_user_sgpr_kernarg_segment_ptr 1
		.amdhsa_user_sgpr_dispatch_id 0
		.amdhsa_user_sgpr_kernarg_preload_length 0
		.amdhsa_user_sgpr_kernarg_preload_offset 0
		.amdhsa_user_sgpr_private_segment_size 0
		.amdhsa_uses_dynamic_stack 0
		.amdhsa_enable_private_segment 0
		.amdhsa_system_sgpr_workgroup_id_x 1
		.amdhsa_system_sgpr_workgroup_id_y 0
		.amdhsa_system_sgpr_workgroup_id_z 0
		.amdhsa_system_sgpr_workgroup_info 0
		.amdhsa_system_vgpr_workitem_id 0
		.amdhsa_next_free_vgpr 1
		.amdhsa_next_free_sgpr 0
		.amdhsa_accum_offset 4
		.amdhsa_reserve_vcc 0
		.amdhsa_float_round_mode_32 0
		.amdhsa_float_round_mode_16_64 0
		.amdhsa_float_denorm_mode_32 3
		.amdhsa_float_denorm_mode_16_64 3
		.amdhsa_dx10_clamp 1
		.amdhsa_ieee_mode 1
		.amdhsa_fp16_overflow 0
		.amdhsa_tg_split 0
		.amdhsa_exception_fp_ieee_invalid_op 0
		.amdhsa_exception_fp_denorm_src 0
		.amdhsa_exception_fp_ieee_div_zero 0
		.amdhsa_exception_fp_ieee_overflow 0
		.amdhsa_exception_fp_ieee_underflow 0
		.amdhsa_exception_fp_ieee_inexact 0
		.amdhsa_exception_int_div_zero 0
	.end_amdhsa_kernel
	.section	.text._ZN7rocprim17ROCPRIM_400000_NS6detail17trampoline_kernelINS0_14default_configENS1_27scan_by_key_config_selectorIiiEEZZNS1_16scan_by_key_implILNS1_25lookback_scan_determinismE0ELb1ES3_N6thrust23THRUST_200600_302600_NS6detail15normal_iteratorINS9_10device_ptrIiEEEENSB_INSC_IjEEEESE_iNS9_4plusIvEENS9_8equal_toIvEEiEE10hipError_tPvRmT2_T3_T4_T5_mT6_T7_P12ihipStream_tbENKUlT_T0_E_clISt17integral_constantIbLb0EES11_EEDaSW_SX_EUlSW_E_NS1_11comp_targetILNS1_3genE2ELNS1_11target_archE906ELNS1_3gpuE6ELNS1_3repE0EEENS1_30default_config_static_selectorELNS0_4arch9wavefront6targetE1EEEvT1_,"axG",@progbits,_ZN7rocprim17ROCPRIM_400000_NS6detail17trampoline_kernelINS0_14default_configENS1_27scan_by_key_config_selectorIiiEEZZNS1_16scan_by_key_implILNS1_25lookback_scan_determinismE0ELb1ES3_N6thrust23THRUST_200600_302600_NS6detail15normal_iteratorINS9_10device_ptrIiEEEENSB_INSC_IjEEEESE_iNS9_4plusIvEENS9_8equal_toIvEEiEE10hipError_tPvRmT2_T3_T4_T5_mT6_T7_P12ihipStream_tbENKUlT_T0_E_clISt17integral_constantIbLb0EES11_EEDaSW_SX_EUlSW_E_NS1_11comp_targetILNS1_3genE2ELNS1_11target_archE906ELNS1_3gpuE6ELNS1_3repE0EEENS1_30default_config_static_selectorELNS0_4arch9wavefront6targetE1EEEvT1_,comdat
.Lfunc_end1757:
	.size	_ZN7rocprim17ROCPRIM_400000_NS6detail17trampoline_kernelINS0_14default_configENS1_27scan_by_key_config_selectorIiiEEZZNS1_16scan_by_key_implILNS1_25lookback_scan_determinismE0ELb1ES3_N6thrust23THRUST_200600_302600_NS6detail15normal_iteratorINS9_10device_ptrIiEEEENSB_INSC_IjEEEESE_iNS9_4plusIvEENS9_8equal_toIvEEiEE10hipError_tPvRmT2_T3_T4_T5_mT6_T7_P12ihipStream_tbENKUlT_T0_E_clISt17integral_constantIbLb0EES11_EEDaSW_SX_EUlSW_E_NS1_11comp_targetILNS1_3genE2ELNS1_11target_archE906ELNS1_3gpuE6ELNS1_3repE0EEENS1_30default_config_static_selectorELNS0_4arch9wavefront6targetE1EEEvT1_, .Lfunc_end1757-_ZN7rocprim17ROCPRIM_400000_NS6detail17trampoline_kernelINS0_14default_configENS1_27scan_by_key_config_selectorIiiEEZZNS1_16scan_by_key_implILNS1_25lookback_scan_determinismE0ELb1ES3_N6thrust23THRUST_200600_302600_NS6detail15normal_iteratorINS9_10device_ptrIiEEEENSB_INSC_IjEEEESE_iNS9_4plusIvEENS9_8equal_toIvEEiEE10hipError_tPvRmT2_T3_T4_T5_mT6_T7_P12ihipStream_tbENKUlT_T0_E_clISt17integral_constantIbLb0EES11_EEDaSW_SX_EUlSW_E_NS1_11comp_targetILNS1_3genE2ELNS1_11target_archE906ELNS1_3gpuE6ELNS1_3repE0EEENS1_30default_config_static_selectorELNS0_4arch9wavefront6targetE1EEEvT1_
                                        ; -- End function
	.section	.AMDGPU.csdata,"",@progbits
; Kernel info:
; codeLenInByte = 0
; NumSgprs: 6
; NumVgprs: 0
; NumAgprs: 0
; TotalNumVgprs: 0
; ScratchSize: 0
; MemoryBound: 0
; FloatMode: 240
; IeeeMode: 1
; LDSByteSize: 0 bytes/workgroup (compile time only)
; SGPRBlocks: 0
; VGPRBlocks: 0
; NumSGPRsForWavesPerEU: 6
; NumVGPRsForWavesPerEU: 1
; AccumOffset: 4
; Occupancy: 8
; WaveLimiterHint : 0
; COMPUTE_PGM_RSRC2:SCRATCH_EN: 0
; COMPUTE_PGM_RSRC2:USER_SGPR: 2
; COMPUTE_PGM_RSRC2:TRAP_HANDLER: 0
; COMPUTE_PGM_RSRC2:TGID_X_EN: 1
; COMPUTE_PGM_RSRC2:TGID_Y_EN: 0
; COMPUTE_PGM_RSRC2:TGID_Z_EN: 0
; COMPUTE_PGM_RSRC2:TIDIG_COMP_CNT: 0
; COMPUTE_PGM_RSRC3_GFX90A:ACCUM_OFFSET: 0
; COMPUTE_PGM_RSRC3_GFX90A:TG_SPLIT: 0
	.section	.text._ZN7rocprim17ROCPRIM_400000_NS6detail17trampoline_kernelINS0_14default_configENS1_27scan_by_key_config_selectorIiiEEZZNS1_16scan_by_key_implILNS1_25lookback_scan_determinismE0ELb1ES3_N6thrust23THRUST_200600_302600_NS6detail15normal_iteratorINS9_10device_ptrIiEEEENSB_INSC_IjEEEESE_iNS9_4plusIvEENS9_8equal_toIvEEiEE10hipError_tPvRmT2_T3_T4_T5_mT6_T7_P12ihipStream_tbENKUlT_T0_E_clISt17integral_constantIbLb0EES11_EEDaSW_SX_EUlSW_E_NS1_11comp_targetILNS1_3genE10ELNS1_11target_archE1200ELNS1_3gpuE4ELNS1_3repE0EEENS1_30default_config_static_selectorELNS0_4arch9wavefront6targetE1EEEvT1_,"axG",@progbits,_ZN7rocprim17ROCPRIM_400000_NS6detail17trampoline_kernelINS0_14default_configENS1_27scan_by_key_config_selectorIiiEEZZNS1_16scan_by_key_implILNS1_25lookback_scan_determinismE0ELb1ES3_N6thrust23THRUST_200600_302600_NS6detail15normal_iteratorINS9_10device_ptrIiEEEENSB_INSC_IjEEEESE_iNS9_4plusIvEENS9_8equal_toIvEEiEE10hipError_tPvRmT2_T3_T4_T5_mT6_T7_P12ihipStream_tbENKUlT_T0_E_clISt17integral_constantIbLb0EES11_EEDaSW_SX_EUlSW_E_NS1_11comp_targetILNS1_3genE10ELNS1_11target_archE1200ELNS1_3gpuE4ELNS1_3repE0EEENS1_30default_config_static_selectorELNS0_4arch9wavefront6targetE1EEEvT1_,comdat
	.protected	_ZN7rocprim17ROCPRIM_400000_NS6detail17trampoline_kernelINS0_14default_configENS1_27scan_by_key_config_selectorIiiEEZZNS1_16scan_by_key_implILNS1_25lookback_scan_determinismE0ELb1ES3_N6thrust23THRUST_200600_302600_NS6detail15normal_iteratorINS9_10device_ptrIiEEEENSB_INSC_IjEEEESE_iNS9_4plusIvEENS9_8equal_toIvEEiEE10hipError_tPvRmT2_T3_T4_T5_mT6_T7_P12ihipStream_tbENKUlT_T0_E_clISt17integral_constantIbLb0EES11_EEDaSW_SX_EUlSW_E_NS1_11comp_targetILNS1_3genE10ELNS1_11target_archE1200ELNS1_3gpuE4ELNS1_3repE0EEENS1_30default_config_static_selectorELNS0_4arch9wavefront6targetE1EEEvT1_ ; -- Begin function _ZN7rocprim17ROCPRIM_400000_NS6detail17trampoline_kernelINS0_14default_configENS1_27scan_by_key_config_selectorIiiEEZZNS1_16scan_by_key_implILNS1_25lookback_scan_determinismE0ELb1ES3_N6thrust23THRUST_200600_302600_NS6detail15normal_iteratorINS9_10device_ptrIiEEEENSB_INSC_IjEEEESE_iNS9_4plusIvEENS9_8equal_toIvEEiEE10hipError_tPvRmT2_T3_T4_T5_mT6_T7_P12ihipStream_tbENKUlT_T0_E_clISt17integral_constantIbLb0EES11_EEDaSW_SX_EUlSW_E_NS1_11comp_targetILNS1_3genE10ELNS1_11target_archE1200ELNS1_3gpuE4ELNS1_3repE0EEENS1_30default_config_static_selectorELNS0_4arch9wavefront6targetE1EEEvT1_
	.globl	_ZN7rocprim17ROCPRIM_400000_NS6detail17trampoline_kernelINS0_14default_configENS1_27scan_by_key_config_selectorIiiEEZZNS1_16scan_by_key_implILNS1_25lookback_scan_determinismE0ELb1ES3_N6thrust23THRUST_200600_302600_NS6detail15normal_iteratorINS9_10device_ptrIiEEEENSB_INSC_IjEEEESE_iNS9_4plusIvEENS9_8equal_toIvEEiEE10hipError_tPvRmT2_T3_T4_T5_mT6_T7_P12ihipStream_tbENKUlT_T0_E_clISt17integral_constantIbLb0EES11_EEDaSW_SX_EUlSW_E_NS1_11comp_targetILNS1_3genE10ELNS1_11target_archE1200ELNS1_3gpuE4ELNS1_3repE0EEENS1_30default_config_static_selectorELNS0_4arch9wavefront6targetE1EEEvT1_
	.p2align	8
	.type	_ZN7rocprim17ROCPRIM_400000_NS6detail17trampoline_kernelINS0_14default_configENS1_27scan_by_key_config_selectorIiiEEZZNS1_16scan_by_key_implILNS1_25lookback_scan_determinismE0ELb1ES3_N6thrust23THRUST_200600_302600_NS6detail15normal_iteratorINS9_10device_ptrIiEEEENSB_INSC_IjEEEESE_iNS9_4plusIvEENS9_8equal_toIvEEiEE10hipError_tPvRmT2_T3_T4_T5_mT6_T7_P12ihipStream_tbENKUlT_T0_E_clISt17integral_constantIbLb0EES11_EEDaSW_SX_EUlSW_E_NS1_11comp_targetILNS1_3genE10ELNS1_11target_archE1200ELNS1_3gpuE4ELNS1_3repE0EEENS1_30default_config_static_selectorELNS0_4arch9wavefront6targetE1EEEvT1_,@function
_ZN7rocprim17ROCPRIM_400000_NS6detail17trampoline_kernelINS0_14default_configENS1_27scan_by_key_config_selectorIiiEEZZNS1_16scan_by_key_implILNS1_25lookback_scan_determinismE0ELb1ES3_N6thrust23THRUST_200600_302600_NS6detail15normal_iteratorINS9_10device_ptrIiEEEENSB_INSC_IjEEEESE_iNS9_4plusIvEENS9_8equal_toIvEEiEE10hipError_tPvRmT2_T3_T4_T5_mT6_T7_P12ihipStream_tbENKUlT_T0_E_clISt17integral_constantIbLb0EES11_EEDaSW_SX_EUlSW_E_NS1_11comp_targetILNS1_3genE10ELNS1_11target_archE1200ELNS1_3gpuE4ELNS1_3repE0EEENS1_30default_config_static_selectorELNS0_4arch9wavefront6targetE1EEEvT1_: ; @_ZN7rocprim17ROCPRIM_400000_NS6detail17trampoline_kernelINS0_14default_configENS1_27scan_by_key_config_selectorIiiEEZZNS1_16scan_by_key_implILNS1_25lookback_scan_determinismE0ELb1ES3_N6thrust23THRUST_200600_302600_NS6detail15normal_iteratorINS9_10device_ptrIiEEEENSB_INSC_IjEEEESE_iNS9_4plusIvEENS9_8equal_toIvEEiEE10hipError_tPvRmT2_T3_T4_T5_mT6_T7_P12ihipStream_tbENKUlT_T0_E_clISt17integral_constantIbLb0EES11_EEDaSW_SX_EUlSW_E_NS1_11comp_targetILNS1_3genE10ELNS1_11target_archE1200ELNS1_3gpuE4ELNS1_3repE0EEENS1_30default_config_static_selectorELNS0_4arch9wavefront6targetE1EEEvT1_
; %bb.0:
	.section	.rodata,"a",@progbits
	.p2align	6, 0x0
	.amdhsa_kernel _ZN7rocprim17ROCPRIM_400000_NS6detail17trampoline_kernelINS0_14default_configENS1_27scan_by_key_config_selectorIiiEEZZNS1_16scan_by_key_implILNS1_25lookback_scan_determinismE0ELb1ES3_N6thrust23THRUST_200600_302600_NS6detail15normal_iteratorINS9_10device_ptrIiEEEENSB_INSC_IjEEEESE_iNS9_4plusIvEENS9_8equal_toIvEEiEE10hipError_tPvRmT2_T3_T4_T5_mT6_T7_P12ihipStream_tbENKUlT_T0_E_clISt17integral_constantIbLb0EES11_EEDaSW_SX_EUlSW_E_NS1_11comp_targetILNS1_3genE10ELNS1_11target_archE1200ELNS1_3gpuE4ELNS1_3repE0EEENS1_30default_config_static_selectorELNS0_4arch9wavefront6targetE1EEEvT1_
		.amdhsa_group_segment_fixed_size 0
		.amdhsa_private_segment_fixed_size 0
		.amdhsa_kernarg_size 112
		.amdhsa_user_sgpr_count 2
		.amdhsa_user_sgpr_dispatch_ptr 0
		.amdhsa_user_sgpr_queue_ptr 0
		.amdhsa_user_sgpr_kernarg_segment_ptr 1
		.amdhsa_user_sgpr_dispatch_id 0
		.amdhsa_user_sgpr_kernarg_preload_length 0
		.amdhsa_user_sgpr_kernarg_preload_offset 0
		.amdhsa_user_sgpr_private_segment_size 0
		.amdhsa_uses_dynamic_stack 0
		.amdhsa_enable_private_segment 0
		.amdhsa_system_sgpr_workgroup_id_x 1
		.amdhsa_system_sgpr_workgroup_id_y 0
		.amdhsa_system_sgpr_workgroup_id_z 0
		.amdhsa_system_sgpr_workgroup_info 0
		.amdhsa_system_vgpr_workitem_id 0
		.amdhsa_next_free_vgpr 1
		.amdhsa_next_free_sgpr 0
		.amdhsa_accum_offset 4
		.amdhsa_reserve_vcc 0
		.amdhsa_float_round_mode_32 0
		.amdhsa_float_round_mode_16_64 0
		.amdhsa_float_denorm_mode_32 3
		.amdhsa_float_denorm_mode_16_64 3
		.amdhsa_dx10_clamp 1
		.amdhsa_ieee_mode 1
		.amdhsa_fp16_overflow 0
		.amdhsa_tg_split 0
		.amdhsa_exception_fp_ieee_invalid_op 0
		.amdhsa_exception_fp_denorm_src 0
		.amdhsa_exception_fp_ieee_div_zero 0
		.amdhsa_exception_fp_ieee_overflow 0
		.amdhsa_exception_fp_ieee_underflow 0
		.amdhsa_exception_fp_ieee_inexact 0
		.amdhsa_exception_int_div_zero 0
	.end_amdhsa_kernel
	.section	.text._ZN7rocprim17ROCPRIM_400000_NS6detail17trampoline_kernelINS0_14default_configENS1_27scan_by_key_config_selectorIiiEEZZNS1_16scan_by_key_implILNS1_25lookback_scan_determinismE0ELb1ES3_N6thrust23THRUST_200600_302600_NS6detail15normal_iteratorINS9_10device_ptrIiEEEENSB_INSC_IjEEEESE_iNS9_4plusIvEENS9_8equal_toIvEEiEE10hipError_tPvRmT2_T3_T4_T5_mT6_T7_P12ihipStream_tbENKUlT_T0_E_clISt17integral_constantIbLb0EES11_EEDaSW_SX_EUlSW_E_NS1_11comp_targetILNS1_3genE10ELNS1_11target_archE1200ELNS1_3gpuE4ELNS1_3repE0EEENS1_30default_config_static_selectorELNS0_4arch9wavefront6targetE1EEEvT1_,"axG",@progbits,_ZN7rocprim17ROCPRIM_400000_NS6detail17trampoline_kernelINS0_14default_configENS1_27scan_by_key_config_selectorIiiEEZZNS1_16scan_by_key_implILNS1_25lookback_scan_determinismE0ELb1ES3_N6thrust23THRUST_200600_302600_NS6detail15normal_iteratorINS9_10device_ptrIiEEEENSB_INSC_IjEEEESE_iNS9_4plusIvEENS9_8equal_toIvEEiEE10hipError_tPvRmT2_T3_T4_T5_mT6_T7_P12ihipStream_tbENKUlT_T0_E_clISt17integral_constantIbLb0EES11_EEDaSW_SX_EUlSW_E_NS1_11comp_targetILNS1_3genE10ELNS1_11target_archE1200ELNS1_3gpuE4ELNS1_3repE0EEENS1_30default_config_static_selectorELNS0_4arch9wavefront6targetE1EEEvT1_,comdat
.Lfunc_end1758:
	.size	_ZN7rocprim17ROCPRIM_400000_NS6detail17trampoline_kernelINS0_14default_configENS1_27scan_by_key_config_selectorIiiEEZZNS1_16scan_by_key_implILNS1_25lookback_scan_determinismE0ELb1ES3_N6thrust23THRUST_200600_302600_NS6detail15normal_iteratorINS9_10device_ptrIiEEEENSB_INSC_IjEEEESE_iNS9_4plusIvEENS9_8equal_toIvEEiEE10hipError_tPvRmT2_T3_T4_T5_mT6_T7_P12ihipStream_tbENKUlT_T0_E_clISt17integral_constantIbLb0EES11_EEDaSW_SX_EUlSW_E_NS1_11comp_targetILNS1_3genE10ELNS1_11target_archE1200ELNS1_3gpuE4ELNS1_3repE0EEENS1_30default_config_static_selectorELNS0_4arch9wavefront6targetE1EEEvT1_, .Lfunc_end1758-_ZN7rocprim17ROCPRIM_400000_NS6detail17trampoline_kernelINS0_14default_configENS1_27scan_by_key_config_selectorIiiEEZZNS1_16scan_by_key_implILNS1_25lookback_scan_determinismE0ELb1ES3_N6thrust23THRUST_200600_302600_NS6detail15normal_iteratorINS9_10device_ptrIiEEEENSB_INSC_IjEEEESE_iNS9_4plusIvEENS9_8equal_toIvEEiEE10hipError_tPvRmT2_T3_T4_T5_mT6_T7_P12ihipStream_tbENKUlT_T0_E_clISt17integral_constantIbLb0EES11_EEDaSW_SX_EUlSW_E_NS1_11comp_targetILNS1_3genE10ELNS1_11target_archE1200ELNS1_3gpuE4ELNS1_3repE0EEENS1_30default_config_static_selectorELNS0_4arch9wavefront6targetE1EEEvT1_
                                        ; -- End function
	.section	.AMDGPU.csdata,"",@progbits
; Kernel info:
; codeLenInByte = 0
; NumSgprs: 6
; NumVgprs: 0
; NumAgprs: 0
; TotalNumVgprs: 0
; ScratchSize: 0
; MemoryBound: 0
; FloatMode: 240
; IeeeMode: 1
; LDSByteSize: 0 bytes/workgroup (compile time only)
; SGPRBlocks: 0
; VGPRBlocks: 0
; NumSGPRsForWavesPerEU: 6
; NumVGPRsForWavesPerEU: 1
; AccumOffset: 4
; Occupancy: 8
; WaveLimiterHint : 0
; COMPUTE_PGM_RSRC2:SCRATCH_EN: 0
; COMPUTE_PGM_RSRC2:USER_SGPR: 2
; COMPUTE_PGM_RSRC2:TRAP_HANDLER: 0
; COMPUTE_PGM_RSRC2:TGID_X_EN: 1
; COMPUTE_PGM_RSRC2:TGID_Y_EN: 0
; COMPUTE_PGM_RSRC2:TGID_Z_EN: 0
; COMPUTE_PGM_RSRC2:TIDIG_COMP_CNT: 0
; COMPUTE_PGM_RSRC3_GFX90A:ACCUM_OFFSET: 0
; COMPUTE_PGM_RSRC3_GFX90A:TG_SPLIT: 0
	.section	.text._ZN7rocprim17ROCPRIM_400000_NS6detail17trampoline_kernelINS0_14default_configENS1_27scan_by_key_config_selectorIiiEEZZNS1_16scan_by_key_implILNS1_25lookback_scan_determinismE0ELb1ES3_N6thrust23THRUST_200600_302600_NS6detail15normal_iteratorINS9_10device_ptrIiEEEENSB_INSC_IjEEEESE_iNS9_4plusIvEENS9_8equal_toIvEEiEE10hipError_tPvRmT2_T3_T4_T5_mT6_T7_P12ihipStream_tbENKUlT_T0_E_clISt17integral_constantIbLb0EES11_EEDaSW_SX_EUlSW_E_NS1_11comp_targetILNS1_3genE9ELNS1_11target_archE1100ELNS1_3gpuE3ELNS1_3repE0EEENS1_30default_config_static_selectorELNS0_4arch9wavefront6targetE1EEEvT1_,"axG",@progbits,_ZN7rocprim17ROCPRIM_400000_NS6detail17trampoline_kernelINS0_14default_configENS1_27scan_by_key_config_selectorIiiEEZZNS1_16scan_by_key_implILNS1_25lookback_scan_determinismE0ELb1ES3_N6thrust23THRUST_200600_302600_NS6detail15normal_iteratorINS9_10device_ptrIiEEEENSB_INSC_IjEEEESE_iNS9_4plusIvEENS9_8equal_toIvEEiEE10hipError_tPvRmT2_T3_T4_T5_mT6_T7_P12ihipStream_tbENKUlT_T0_E_clISt17integral_constantIbLb0EES11_EEDaSW_SX_EUlSW_E_NS1_11comp_targetILNS1_3genE9ELNS1_11target_archE1100ELNS1_3gpuE3ELNS1_3repE0EEENS1_30default_config_static_selectorELNS0_4arch9wavefront6targetE1EEEvT1_,comdat
	.protected	_ZN7rocprim17ROCPRIM_400000_NS6detail17trampoline_kernelINS0_14default_configENS1_27scan_by_key_config_selectorIiiEEZZNS1_16scan_by_key_implILNS1_25lookback_scan_determinismE0ELb1ES3_N6thrust23THRUST_200600_302600_NS6detail15normal_iteratorINS9_10device_ptrIiEEEENSB_INSC_IjEEEESE_iNS9_4plusIvEENS9_8equal_toIvEEiEE10hipError_tPvRmT2_T3_T4_T5_mT6_T7_P12ihipStream_tbENKUlT_T0_E_clISt17integral_constantIbLb0EES11_EEDaSW_SX_EUlSW_E_NS1_11comp_targetILNS1_3genE9ELNS1_11target_archE1100ELNS1_3gpuE3ELNS1_3repE0EEENS1_30default_config_static_selectorELNS0_4arch9wavefront6targetE1EEEvT1_ ; -- Begin function _ZN7rocprim17ROCPRIM_400000_NS6detail17trampoline_kernelINS0_14default_configENS1_27scan_by_key_config_selectorIiiEEZZNS1_16scan_by_key_implILNS1_25lookback_scan_determinismE0ELb1ES3_N6thrust23THRUST_200600_302600_NS6detail15normal_iteratorINS9_10device_ptrIiEEEENSB_INSC_IjEEEESE_iNS9_4plusIvEENS9_8equal_toIvEEiEE10hipError_tPvRmT2_T3_T4_T5_mT6_T7_P12ihipStream_tbENKUlT_T0_E_clISt17integral_constantIbLb0EES11_EEDaSW_SX_EUlSW_E_NS1_11comp_targetILNS1_3genE9ELNS1_11target_archE1100ELNS1_3gpuE3ELNS1_3repE0EEENS1_30default_config_static_selectorELNS0_4arch9wavefront6targetE1EEEvT1_
	.globl	_ZN7rocprim17ROCPRIM_400000_NS6detail17trampoline_kernelINS0_14default_configENS1_27scan_by_key_config_selectorIiiEEZZNS1_16scan_by_key_implILNS1_25lookback_scan_determinismE0ELb1ES3_N6thrust23THRUST_200600_302600_NS6detail15normal_iteratorINS9_10device_ptrIiEEEENSB_INSC_IjEEEESE_iNS9_4plusIvEENS9_8equal_toIvEEiEE10hipError_tPvRmT2_T3_T4_T5_mT6_T7_P12ihipStream_tbENKUlT_T0_E_clISt17integral_constantIbLb0EES11_EEDaSW_SX_EUlSW_E_NS1_11comp_targetILNS1_3genE9ELNS1_11target_archE1100ELNS1_3gpuE3ELNS1_3repE0EEENS1_30default_config_static_selectorELNS0_4arch9wavefront6targetE1EEEvT1_
	.p2align	8
	.type	_ZN7rocprim17ROCPRIM_400000_NS6detail17trampoline_kernelINS0_14default_configENS1_27scan_by_key_config_selectorIiiEEZZNS1_16scan_by_key_implILNS1_25lookback_scan_determinismE0ELb1ES3_N6thrust23THRUST_200600_302600_NS6detail15normal_iteratorINS9_10device_ptrIiEEEENSB_INSC_IjEEEESE_iNS9_4plusIvEENS9_8equal_toIvEEiEE10hipError_tPvRmT2_T3_T4_T5_mT6_T7_P12ihipStream_tbENKUlT_T0_E_clISt17integral_constantIbLb0EES11_EEDaSW_SX_EUlSW_E_NS1_11comp_targetILNS1_3genE9ELNS1_11target_archE1100ELNS1_3gpuE3ELNS1_3repE0EEENS1_30default_config_static_selectorELNS0_4arch9wavefront6targetE1EEEvT1_,@function
_ZN7rocprim17ROCPRIM_400000_NS6detail17trampoline_kernelINS0_14default_configENS1_27scan_by_key_config_selectorIiiEEZZNS1_16scan_by_key_implILNS1_25lookback_scan_determinismE0ELb1ES3_N6thrust23THRUST_200600_302600_NS6detail15normal_iteratorINS9_10device_ptrIiEEEENSB_INSC_IjEEEESE_iNS9_4plusIvEENS9_8equal_toIvEEiEE10hipError_tPvRmT2_T3_T4_T5_mT6_T7_P12ihipStream_tbENKUlT_T0_E_clISt17integral_constantIbLb0EES11_EEDaSW_SX_EUlSW_E_NS1_11comp_targetILNS1_3genE9ELNS1_11target_archE1100ELNS1_3gpuE3ELNS1_3repE0EEENS1_30default_config_static_selectorELNS0_4arch9wavefront6targetE1EEEvT1_: ; @_ZN7rocprim17ROCPRIM_400000_NS6detail17trampoline_kernelINS0_14default_configENS1_27scan_by_key_config_selectorIiiEEZZNS1_16scan_by_key_implILNS1_25lookback_scan_determinismE0ELb1ES3_N6thrust23THRUST_200600_302600_NS6detail15normal_iteratorINS9_10device_ptrIiEEEENSB_INSC_IjEEEESE_iNS9_4plusIvEENS9_8equal_toIvEEiEE10hipError_tPvRmT2_T3_T4_T5_mT6_T7_P12ihipStream_tbENKUlT_T0_E_clISt17integral_constantIbLb0EES11_EEDaSW_SX_EUlSW_E_NS1_11comp_targetILNS1_3genE9ELNS1_11target_archE1100ELNS1_3gpuE3ELNS1_3repE0EEENS1_30default_config_static_selectorELNS0_4arch9wavefront6targetE1EEEvT1_
; %bb.0:
	.section	.rodata,"a",@progbits
	.p2align	6, 0x0
	.amdhsa_kernel _ZN7rocprim17ROCPRIM_400000_NS6detail17trampoline_kernelINS0_14default_configENS1_27scan_by_key_config_selectorIiiEEZZNS1_16scan_by_key_implILNS1_25lookback_scan_determinismE0ELb1ES3_N6thrust23THRUST_200600_302600_NS6detail15normal_iteratorINS9_10device_ptrIiEEEENSB_INSC_IjEEEESE_iNS9_4plusIvEENS9_8equal_toIvEEiEE10hipError_tPvRmT2_T3_T4_T5_mT6_T7_P12ihipStream_tbENKUlT_T0_E_clISt17integral_constantIbLb0EES11_EEDaSW_SX_EUlSW_E_NS1_11comp_targetILNS1_3genE9ELNS1_11target_archE1100ELNS1_3gpuE3ELNS1_3repE0EEENS1_30default_config_static_selectorELNS0_4arch9wavefront6targetE1EEEvT1_
		.amdhsa_group_segment_fixed_size 0
		.amdhsa_private_segment_fixed_size 0
		.amdhsa_kernarg_size 112
		.amdhsa_user_sgpr_count 2
		.amdhsa_user_sgpr_dispatch_ptr 0
		.amdhsa_user_sgpr_queue_ptr 0
		.amdhsa_user_sgpr_kernarg_segment_ptr 1
		.amdhsa_user_sgpr_dispatch_id 0
		.amdhsa_user_sgpr_kernarg_preload_length 0
		.amdhsa_user_sgpr_kernarg_preload_offset 0
		.amdhsa_user_sgpr_private_segment_size 0
		.amdhsa_uses_dynamic_stack 0
		.amdhsa_enable_private_segment 0
		.amdhsa_system_sgpr_workgroup_id_x 1
		.amdhsa_system_sgpr_workgroup_id_y 0
		.amdhsa_system_sgpr_workgroup_id_z 0
		.amdhsa_system_sgpr_workgroup_info 0
		.amdhsa_system_vgpr_workitem_id 0
		.amdhsa_next_free_vgpr 1
		.amdhsa_next_free_sgpr 0
		.amdhsa_accum_offset 4
		.amdhsa_reserve_vcc 0
		.amdhsa_float_round_mode_32 0
		.amdhsa_float_round_mode_16_64 0
		.amdhsa_float_denorm_mode_32 3
		.amdhsa_float_denorm_mode_16_64 3
		.amdhsa_dx10_clamp 1
		.amdhsa_ieee_mode 1
		.amdhsa_fp16_overflow 0
		.amdhsa_tg_split 0
		.amdhsa_exception_fp_ieee_invalid_op 0
		.amdhsa_exception_fp_denorm_src 0
		.amdhsa_exception_fp_ieee_div_zero 0
		.amdhsa_exception_fp_ieee_overflow 0
		.amdhsa_exception_fp_ieee_underflow 0
		.amdhsa_exception_fp_ieee_inexact 0
		.amdhsa_exception_int_div_zero 0
	.end_amdhsa_kernel
	.section	.text._ZN7rocprim17ROCPRIM_400000_NS6detail17trampoline_kernelINS0_14default_configENS1_27scan_by_key_config_selectorIiiEEZZNS1_16scan_by_key_implILNS1_25lookback_scan_determinismE0ELb1ES3_N6thrust23THRUST_200600_302600_NS6detail15normal_iteratorINS9_10device_ptrIiEEEENSB_INSC_IjEEEESE_iNS9_4plusIvEENS9_8equal_toIvEEiEE10hipError_tPvRmT2_T3_T4_T5_mT6_T7_P12ihipStream_tbENKUlT_T0_E_clISt17integral_constantIbLb0EES11_EEDaSW_SX_EUlSW_E_NS1_11comp_targetILNS1_3genE9ELNS1_11target_archE1100ELNS1_3gpuE3ELNS1_3repE0EEENS1_30default_config_static_selectorELNS0_4arch9wavefront6targetE1EEEvT1_,"axG",@progbits,_ZN7rocprim17ROCPRIM_400000_NS6detail17trampoline_kernelINS0_14default_configENS1_27scan_by_key_config_selectorIiiEEZZNS1_16scan_by_key_implILNS1_25lookback_scan_determinismE0ELb1ES3_N6thrust23THRUST_200600_302600_NS6detail15normal_iteratorINS9_10device_ptrIiEEEENSB_INSC_IjEEEESE_iNS9_4plusIvEENS9_8equal_toIvEEiEE10hipError_tPvRmT2_T3_T4_T5_mT6_T7_P12ihipStream_tbENKUlT_T0_E_clISt17integral_constantIbLb0EES11_EEDaSW_SX_EUlSW_E_NS1_11comp_targetILNS1_3genE9ELNS1_11target_archE1100ELNS1_3gpuE3ELNS1_3repE0EEENS1_30default_config_static_selectorELNS0_4arch9wavefront6targetE1EEEvT1_,comdat
.Lfunc_end1759:
	.size	_ZN7rocprim17ROCPRIM_400000_NS6detail17trampoline_kernelINS0_14default_configENS1_27scan_by_key_config_selectorIiiEEZZNS1_16scan_by_key_implILNS1_25lookback_scan_determinismE0ELb1ES3_N6thrust23THRUST_200600_302600_NS6detail15normal_iteratorINS9_10device_ptrIiEEEENSB_INSC_IjEEEESE_iNS9_4plusIvEENS9_8equal_toIvEEiEE10hipError_tPvRmT2_T3_T4_T5_mT6_T7_P12ihipStream_tbENKUlT_T0_E_clISt17integral_constantIbLb0EES11_EEDaSW_SX_EUlSW_E_NS1_11comp_targetILNS1_3genE9ELNS1_11target_archE1100ELNS1_3gpuE3ELNS1_3repE0EEENS1_30default_config_static_selectorELNS0_4arch9wavefront6targetE1EEEvT1_, .Lfunc_end1759-_ZN7rocprim17ROCPRIM_400000_NS6detail17trampoline_kernelINS0_14default_configENS1_27scan_by_key_config_selectorIiiEEZZNS1_16scan_by_key_implILNS1_25lookback_scan_determinismE0ELb1ES3_N6thrust23THRUST_200600_302600_NS6detail15normal_iteratorINS9_10device_ptrIiEEEENSB_INSC_IjEEEESE_iNS9_4plusIvEENS9_8equal_toIvEEiEE10hipError_tPvRmT2_T3_T4_T5_mT6_T7_P12ihipStream_tbENKUlT_T0_E_clISt17integral_constantIbLb0EES11_EEDaSW_SX_EUlSW_E_NS1_11comp_targetILNS1_3genE9ELNS1_11target_archE1100ELNS1_3gpuE3ELNS1_3repE0EEENS1_30default_config_static_selectorELNS0_4arch9wavefront6targetE1EEEvT1_
                                        ; -- End function
	.section	.AMDGPU.csdata,"",@progbits
; Kernel info:
; codeLenInByte = 0
; NumSgprs: 6
; NumVgprs: 0
; NumAgprs: 0
; TotalNumVgprs: 0
; ScratchSize: 0
; MemoryBound: 0
; FloatMode: 240
; IeeeMode: 1
; LDSByteSize: 0 bytes/workgroup (compile time only)
; SGPRBlocks: 0
; VGPRBlocks: 0
; NumSGPRsForWavesPerEU: 6
; NumVGPRsForWavesPerEU: 1
; AccumOffset: 4
; Occupancy: 8
; WaveLimiterHint : 0
; COMPUTE_PGM_RSRC2:SCRATCH_EN: 0
; COMPUTE_PGM_RSRC2:USER_SGPR: 2
; COMPUTE_PGM_RSRC2:TRAP_HANDLER: 0
; COMPUTE_PGM_RSRC2:TGID_X_EN: 1
; COMPUTE_PGM_RSRC2:TGID_Y_EN: 0
; COMPUTE_PGM_RSRC2:TGID_Z_EN: 0
; COMPUTE_PGM_RSRC2:TIDIG_COMP_CNT: 0
; COMPUTE_PGM_RSRC3_GFX90A:ACCUM_OFFSET: 0
; COMPUTE_PGM_RSRC3_GFX90A:TG_SPLIT: 0
	.section	.text._ZN7rocprim17ROCPRIM_400000_NS6detail17trampoline_kernelINS0_14default_configENS1_27scan_by_key_config_selectorIiiEEZZNS1_16scan_by_key_implILNS1_25lookback_scan_determinismE0ELb1ES3_N6thrust23THRUST_200600_302600_NS6detail15normal_iteratorINS9_10device_ptrIiEEEENSB_INSC_IjEEEESE_iNS9_4plusIvEENS9_8equal_toIvEEiEE10hipError_tPvRmT2_T3_T4_T5_mT6_T7_P12ihipStream_tbENKUlT_T0_E_clISt17integral_constantIbLb0EES11_EEDaSW_SX_EUlSW_E_NS1_11comp_targetILNS1_3genE8ELNS1_11target_archE1030ELNS1_3gpuE2ELNS1_3repE0EEENS1_30default_config_static_selectorELNS0_4arch9wavefront6targetE1EEEvT1_,"axG",@progbits,_ZN7rocprim17ROCPRIM_400000_NS6detail17trampoline_kernelINS0_14default_configENS1_27scan_by_key_config_selectorIiiEEZZNS1_16scan_by_key_implILNS1_25lookback_scan_determinismE0ELb1ES3_N6thrust23THRUST_200600_302600_NS6detail15normal_iteratorINS9_10device_ptrIiEEEENSB_INSC_IjEEEESE_iNS9_4plusIvEENS9_8equal_toIvEEiEE10hipError_tPvRmT2_T3_T4_T5_mT6_T7_P12ihipStream_tbENKUlT_T0_E_clISt17integral_constantIbLb0EES11_EEDaSW_SX_EUlSW_E_NS1_11comp_targetILNS1_3genE8ELNS1_11target_archE1030ELNS1_3gpuE2ELNS1_3repE0EEENS1_30default_config_static_selectorELNS0_4arch9wavefront6targetE1EEEvT1_,comdat
	.protected	_ZN7rocprim17ROCPRIM_400000_NS6detail17trampoline_kernelINS0_14default_configENS1_27scan_by_key_config_selectorIiiEEZZNS1_16scan_by_key_implILNS1_25lookback_scan_determinismE0ELb1ES3_N6thrust23THRUST_200600_302600_NS6detail15normal_iteratorINS9_10device_ptrIiEEEENSB_INSC_IjEEEESE_iNS9_4plusIvEENS9_8equal_toIvEEiEE10hipError_tPvRmT2_T3_T4_T5_mT6_T7_P12ihipStream_tbENKUlT_T0_E_clISt17integral_constantIbLb0EES11_EEDaSW_SX_EUlSW_E_NS1_11comp_targetILNS1_3genE8ELNS1_11target_archE1030ELNS1_3gpuE2ELNS1_3repE0EEENS1_30default_config_static_selectorELNS0_4arch9wavefront6targetE1EEEvT1_ ; -- Begin function _ZN7rocprim17ROCPRIM_400000_NS6detail17trampoline_kernelINS0_14default_configENS1_27scan_by_key_config_selectorIiiEEZZNS1_16scan_by_key_implILNS1_25lookback_scan_determinismE0ELb1ES3_N6thrust23THRUST_200600_302600_NS6detail15normal_iteratorINS9_10device_ptrIiEEEENSB_INSC_IjEEEESE_iNS9_4plusIvEENS9_8equal_toIvEEiEE10hipError_tPvRmT2_T3_T4_T5_mT6_T7_P12ihipStream_tbENKUlT_T0_E_clISt17integral_constantIbLb0EES11_EEDaSW_SX_EUlSW_E_NS1_11comp_targetILNS1_3genE8ELNS1_11target_archE1030ELNS1_3gpuE2ELNS1_3repE0EEENS1_30default_config_static_selectorELNS0_4arch9wavefront6targetE1EEEvT1_
	.globl	_ZN7rocprim17ROCPRIM_400000_NS6detail17trampoline_kernelINS0_14default_configENS1_27scan_by_key_config_selectorIiiEEZZNS1_16scan_by_key_implILNS1_25lookback_scan_determinismE0ELb1ES3_N6thrust23THRUST_200600_302600_NS6detail15normal_iteratorINS9_10device_ptrIiEEEENSB_INSC_IjEEEESE_iNS9_4plusIvEENS9_8equal_toIvEEiEE10hipError_tPvRmT2_T3_T4_T5_mT6_T7_P12ihipStream_tbENKUlT_T0_E_clISt17integral_constantIbLb0EES11_EEDaSW_SX_EUlSW_E_NS1_11comp_targetILNS1_3genE8ELNS1_11target_archE1030ELNS1_3gpuE2ELNS1_3repE0EEENS1_30default_config_static_selectorELNS0_4arch9wavefront6targetE1EEEvT1_
	.p2align	8
	.type	_ZN7rocprim17ROCPRIM_400000_NS6detail17trampoline_kernelINS0_14default_configENS1_27scan_by_key_config_selectorIiiEEZZNS1_16scan_by_key_implILNS1_25lookback_scan_determinismE0ELb1ES3_N6thrust23THRUST_200600_302600_NS6detail15normal_iteratorINS9_10device_ptrIiEEEENSB_INSC_IjEEEESE_iNS9_4plusIvEENS9_8equal_toIvEEiEE10hipError_tPvRmT2_T3_T4_T5_mT6_T7_P12ihipStream_tbENKUlT_T0_E_clISt17integral_constantIbLb0EES11_EEDaSW_SX_EUlSW_E_NS1_11comp_targetILNS1_3genE8ELNS1_11target_archE1030ELNS1_3gpuE2ELNS1_3repE0EEENS1_30default_config_static_selectorELNS0_4arch9wavefront6targetE1EEEvT1_,@function
_ZN7rocprim17ROCPRIM_400000_NS6detail17trampoline_kernelINS0_14default_configENS1_27scan_by_key_config_selectorIiiEEZZNS1_16scan_by_key_implILNS1_25lookback_scan_determinismE0ELb1ES3_N6thrust23THRUST_200600_302600_NS6detail15normal_iteratorINS9_10device_ptrIiEEEENSB_INSC_IjEEEESE_iNS9_4plusIvEENS9_8equal_toIvEEiEE10hipError_tPvRmT2_T3_T4_T5_mT6_T7_P12ihipStream_tbENKUlT_T0_E_clISt17integral_constantIbLb0EES11_EEDaSW_SX_EUlSW_E_NS1_11comp_targetILNS1_3genE8ELNS1_11target_archE1030ELNS1_3gpuE2ELNS1_3repE0EEENS1_30default_config_static_selectorELNS0_4arch9wavefront6targetE1EEEvT1_: ; @_ZN7rocprim17ROCPRIM_400000_NS6detail17trampoline_kernelINS0_14default_configENS1_27scan_by_key_config_selectorIiiEEZZNS1_16scan_by_key_implILNS1_25lookback_scan_determinismE0ELb1ES3_N6thrust23THRUST_200600_302600_NS6detail15normal_iteratorINS9_10device_ptrIiEEEENSB_INSC_IjEEEESE_iNS9_4plusIvEENS9_8equal_toIvEEiEE10hipError_tPvRmT2_T3_T4_T5_mT6_T7_P12ihipStream_tbENKUlT_T0_E_clISt17integral_constantIbLb0EES11_EEDaSW_SX_EUlSW_E_NS1_11comp_targetILNS1_3genE8ELNS1_11target_archE1030ELNS1_3gpuE2ELNS1_3repE0EEENS1_30default_config_static_selectorELNS0_4arch9wavefront6targetE1EEEvT1_
; %bb.0:
	.section	.rodata,"a",@progbits
	.p2align	6, 0x0
	.amdhsa_kernel _ZN7rocprim17ROCPRIM_400000_NS6detail17trampoline_kernelINS0_14default_configENS1_27scan_by_key_config_selectorIiiEEZZNS1_16scan_by_key_implILNS1_25lookback_scan_determinismE0ELb1ES3_N6thrust23THRUST_200600_302600_NS6detail15normal_iteratorINS9_10device_ptrIiEEEENSB_INSC_IjEEEESE_iNS9_4plusIvEENS9_8equal_toIvEEiEE10hipError_tPvRmT2_T3_T4_T5_mT6_T7_P12ihipStream_tbENKUlT_T0_E_clISt17integral_constantIbLb0EES11_EEDaSW_SX_EUlSW_E_NS1_11comp_targetILNS1_3genE8ELNS1_11target_archE1030ELNS1_3gpuE2ELNS1_3repE0EEENS1_30default_config_static_selectorELNS0_4arch9wavefront6targetE1EEEvT1_
		.amdhsa_group_segment_fixed_size 0
		.amdhsa_private_segment_fixed_size 0
		.amdhsa_kernarg_size 112
		.amdhsa_user_sgpr_count 2
		.amdhsa_user_sgpr_dispatch_ptr 0
		.amdhsa_user_sgpr_queue_ptr 0
		.amdhsa_user_sgpr_kernarg_segment_ptr 1
		.amdhsa_user_sgpr_dispatch_id 0
		.amdhsa_user_sgpr_kernarg_preload_length 0
		.amdhsa_user_sgpr_kernarg_preload_offset 0
		.amdhsa_user_sgpr_private_segment_size 0
		.amdhsa_uses_dynamic_stack 0
		.amdhsa_enable_private_segment 0
		.amdhsa_system_sgpr_workgroup_id_x 1
		.amdhsa_system_sgpr_workgroup_id_y 0
		.amdhsa_system_sgpr_workgroup_id_z 0
		.amdhsa_system_sgpr_workgroup_info 0
		.amdhsa_system_vgpr_workitem_id 0
		.amdhsa_next_free_vgpr 1
		.amdhsa_next_free_sgpr 0
		.amdhsa_accum_offset 4
		.amdhsa_reserve_vcc 0
		.amdhsa_float_round_mode_32 0
		.amdhsa_float_round_mode_16_64 0
		.amdhsa_float_denorm_mode_32 3
		.amdhsa_float_denorm_mode_16_64 3
		.amdhsa_dx10_clamp 1
		.amdhsa_ieee_mode 1
		.amdhsa_fp16_overflow 0
		.amdhsa_tg_split 0
		.amdhsa_exception_fp_ieee_invalid_op 0
		.amdhsa_exception_fp_denorm_src 0
		.amdhsa_exception_fp_ieee_div_zero 0
		.amdhsa_exception_fp_ieee_overflow 0
		.amdhsa_exception_fp_ieee_underflow 0
		.amdhsa_exception_fp_ieee_inexact 0
		.amdhsa_exception_int_div_zero 0
	.end_amdhsa_kernel
	.section	.text._ZN7rocprim17ROCPRIM_400000_NS6detail17trampoline_kernelINS0_14default_configENS1_27scan_by_key_config_selectorIiiEEZZNS1_16scan_by_key_implILNS1_25lookback_scan_determinismE0ELb1ES3_N6thrust23THRUST_200600_302600_NS6detail15normal_iteratorINS9_10device_ptrIiEEEENSB_INSC_IjEEEESE_iNS9_4plusIvEENS9_8equal_toIvEEiEE10hipError_tPvRmT2_T3_T4_T5_mT6_T7_P12ihipStream_tbENKUlT_T0_E_clISt17integral_constantIbLb0EES11_EEDaSW_SX_EUlSW_E_NS1_11comp_targetILNS1_3genE8ELNS1_11target_archE1030ELNS1_3gpuE2ELNS1_3repE0EEENS1_30default_config_static_selectorELNS0_4arch9wavefront6targetE1EEEvT1_,"axG",@progbits,_ZN7rocprim17ROCPRIM_400000_NS6detail17trampoline_kernelINS0_14default_configENS1_27scan_by_key_config_selectorIiiEEZZNS1_16scan_by_key_implILNS1_25lookback_scan_determinismE0ELb1ES3_N6thrust23THRUST_200600_302600_NS6detail15normal_iteratorINS9_10device_ptrIiEEEENSB_INSC_IjEEEESE_iNS9_4plusIvEENS9_8equal_toIvEEiEE10hipError_tPvRmT2_T3_T4_T5_mT6_T7_P12ihipStream_tbENKUlT_T0_E_clISt17integral_constantIbLb0EES11_EEDaSW_SX_EUlSW_E_NS1_11comp_targetILNS1_3genE8ELNS1_11target_archE1030ELNS1_3gpuE2ELNS1_3repE0EEENS1_30default_config_static_selectorELNS0_4arch9wavefront6targetE1EEEvT1_,comdat
.Lfunc_end1760:
	.size	_ZN7rocprim17ROCPRIM_400000_NS6detail17trampoline_kernelINS0_14default_configENS1_27scan_by_key_config_selectorIiiEEZZNS1_16scan_by_key_implILNS1_25lookback_scan_determinismE0ELb1ES3_N6thrust23THRUST_200600_302600_NS6detail15normal_iteratorINS9_10device_ptrIiEEEENSB_INSC_IjEEEESE_iNS9_4plusIvEENS9_8equal_toIvEEiEE10hipError_tPvRmT2_T3_T4_T5_mT6_T7_P12ihipStream_tbENKUlT_T0_E_clISt17integral_constantIbLb0EES11_EEDaSW_SX_EUlSW_E_NS1_11comp_targetILNS1_3genE8ELNS1_11target_archE1030ELNS1_3gpuE2ELNS1_3repE0EEENS1_30default_config_static_selectorELNS0_4arch9wavefront6targetE1EEEvT1_, .Lfunc_end1760-_ZN7rocprim17ROCPRIM_400000_NS6detail17trampoline_kernelINS0_14default_configENS1_27scan_by_key_config_selectorIiiEEZZNS1_16scan_by_key_implILNS1_25lookback_scan_determinismE0ELb1ES3_N6thrust23THRUST_200600_302600_NS6detail15normal_iteratorINS9_10device_ptrIiEEEENSB_INSC_IjEEEESE_iNS9_4plusIvEENS9_8equal_toIvEEiEE10hipError_tPvRmT2_T3_T4_T5_mT6_T7_P12ihipStream_tbENKUlT_T0_E_clISt17integral_constantIbLb0EES11_EEDaSW_SX_EUlSW_E_NS1_11comp_targetILNS1_3genE8ELNS1_11target_archE1030ELNS1_3gpuE2ELNS1_3repE0EEENS1_30default_config_static_selectorELNS0_4arch9wavefront6targetE1EEEvT1_
                                        ; -- End function
	.section	.AMDGPU.csdata,"",@progbits
; Kernel info:
; codeLenInByte = 0
; NumSgprs: 6
; NumVgprs: 0
; NumAgprs: 0
; TotalNumVgprs: 0
; ScratchSize: 0
; MemoryBound: 0
; FloatMode: 240
; IeeeMode: 1
; LDSByteSize: 0 bytes/workgroup (compile time only)
; SGPRBlocks: 0
; VGPRBlocks: 0
; NumSGPRsForWavesPerEU: 6
; NumVGPRsForWavesPerEU: 1
; AccumOffset: 4
; Occupancy: 8
; WaveLimiterHint : 0
; COMPUTE_PGM_RSRC2:SCRATCH_EN: 0
; COMPUTE_PGM_RSRC2:USER_SGPR: 2
; COMPUTE_PGM_RSRC2:TRAP_HANDLER: 0
; COMPUTE_PGM_RSRC2:TGID_X_EN: 1
; COMPUTE_PGM_RSRC2:TGID_Y_EN: 0
; COMPUTE_PGM_RSRC2:TGID_Z_EN: 0
; COMPUTE_PGM_RSRC2:TIDIG_COMP_CNT: 0
; COMPUTE_PGM_RSRC3_GFX90A:ACCUM_OFFSET: 0
; COMPUTE_PGM_RSRC3_GFX90A:TG_SPLIT: 0
	.section	.text._ZN7rocprim17ROCPRIM_400000_NS6detail17trampoline_kernelINS0_14default_configENS1_27scan_by_key_config_selectorIiiEEZZNS1_16scan_by_key_implILNS1_25lookback_scan_determinismE0ELb1ES3_N6thrust23THRUST_200600_302600_NS6detail15normal_iteratorINS9_10device_ptrIiEEEENSB_INSC_IjEEEESE_iNS9_4plusIvEENS9_8equal_toIvEEiEE10hipError_tPvRmT2_T3_T4_T5_mT6_T7_P12ihipStream_tbENKUlT_T0_E_clISt17integral_constantIbLb1EES11_EEDaSW_SX_EUlSW_E_NS1_11comp_targetILNS1_3genE0ELNS1_11target_archE4294967295ELNS1_3gpuE0ELNS1_3repE0EEENS1_30default_config_static_selectorELNS0_4arch9wavefront6targetE1EEEvT1_,"axG",@progbits,_ZN7rocprim17ROCPRIM_400000_NS6detail17trampoline_kernelINS0_14default_configENS1_27scan_by_key_config_selectorIiiEEZZNS1_16scan_by_key_implILNS1_25lookback_scan_determinismE0ELb1ES3_N6thrust23THRUST_200600_302600_NS6detail15normal_iteratorINS9_10device_ptrIiEEEENSB_INSC_IjEEEESE_iNS9_4plusIvEENS9_8equal_toIvEEiEE10hipError_tPvRmT2_T3_T4_T5_mT6_T7_P12ihipStream_tbENKUlT_T0_E_clISt17integral_constantIbLb1EES11_EEDaSW_SX_EUlSW_E_NS1_11comp_targetILNS1_3genE0ELNS1_11target_archE4294967295ELNS1_3gpuE0ELNS1_3repE0EEENS1_30default_config_static_selectorELNS0_4arch9wavefront6targetE1EEEvT1_,comdat
	.protected	_ZN7rocprim17ROCPRIM_400000_NS6detail17trampoline_kernelINS0_14default_configENS1_27scan_by_key_config_selectorIiiEEZZNS1_16scan_by_key_implILNS1_25lookback_scan_determinismE0ELb1ES3_N6thrust23THRUST_200600_302600_NS6detail15normal_iteratorINS9_10device_ptrIiEEEENSB_INSC_IjEEEESE_iNS9_4plusIvEENS9_8equal_toIvEEiEE10hipError_tPvRmT2_T3_T4_T5_mT6_T7_P12ihipStream_tbENKUlT_T0_E_clISt17integral_constantIbLb1EES11_EEDaSW_SX_EUlSW_E_NS1_11comp_targetILNS1_3genE0ELNS1_11target_archE4294967295ELNS1_3gpuE0ELNS1_3repE0EEENS1_30default_config_static_selectorELNS0_4arch9wavefront6targetE1EEEvT1_ ; -- Begin function _ZN7rocprim17ROCPRIM_400000_NS6detail17trampoline_kernelINS0_14default_configENS1_27scan_by_key_config_selectorIiiEEZZNS1_16scan_by_key_implILNS1_25lookback_scan_determinismE0ELb1ES3_N6thrust23THRUST_200600_302600_NS6detail15normal_iteratorINS9_10device_ptrIiEEEENSB_INSC_IjEEEESE_iNS9_4plusIvEENS9_8equal_toIvEEiEE10hipError_tPvRmT2_T3_T4_T5_mT6_T7_P12ihipStream_tbENKUlT_T0_E_clISt17integral_constantIbLb1EES11_EEDaSW_SX_EUlSW_E_NS1_11comp_targetILNS1_3genE0ELNS1_11target_archE4294967295ELNS1_3gpuE0ELNS1_3repE0EEENS1_30default_config_static_selectorELNS0_4arch9wavefront6targetE1EEEvT1_
	.globl	_ZN7rocprim17ROCPRIM_400000_NS6detail17trampoline_kernelINS0_14default_configENS1_27scan_by_key_config_selectorIiiEEZZNS1_16scan_by_key_implILNS1_25lookback_scan_determinismE0ELb1ES3_N6thrust23THRUST_200600_302600_NS6detail15normal_iteratorINS9_10device_ptrIiEEEENSB_INSC_IjEEEESE_iNS9_4plusIvEENS9_8equal_toIvEEiEE10hipError_tPvRmT2_T3_T4_T5_mT6_T7_P12ihipStream_tbENKUlT_T0_E_clISt17integral_constantIbLb1EES11_EEDaSW_SX_EUlSW_E_NS1_11comp_targetILNS1_3genE0ELNS1_11target_archE4294967295ELNS1_3gpuE0ELNS1_3repE0EEENS1_30default_config_static_selectorELNS0_4arch9wavefront6targetE1EEEvT1_
	.p2align	8
	.type	_ZN7rocprim17ROCPRIM_400000_NS6detail17trampoline_kernelINS0_14default_configENS1_27scan_by_key_config_selectorIiiEEZZNS1_16scan_by_key_implILNS1_25lookback_scan_determinismE0ELb1ES3_N6thrust23THRUST_200600_302600_NS6detail15normal_iteratorINS9_10device_ptrIiEEEENSB_INSC_IjEEEESE_iNS9_4plusIvEENS9_8equal_toIvEEiEE10hipError_tPvRmT2_T3_T4_T5_mT6_T7_P12ihipStream_tbENKUlT_T0_E_clISt17integral_constantIbLb1EES11_EEDaSW_SX_EUlSW_E_NS1_11comp_targetILNS1_3genE0ELNS1_11target_archE4294967295ELNS1_3gpuE0ELNS1_3repE0EEENS1_30default_config_static_selectorELNS0_4arch9wavefront6targetE1EEEvT1_,@function
_ZN7rocprim17ROCPRIM_400000_NS6detail17trampoline_kernelINS0_14default_configENS1_27scan_by_key_config_selectorIiiEEZZNS1_16scan_by_key_implILNS1_25lookback_scan_determinismE0ELb1ES3_N6thrust23THRUST_200600_302600_NS6detail15normal_iteratorINS9_10device_ptrIiEEEENSB_INSC_IjEEEESE_iNS9_4plusIvEENS9_8equal_toIvEEiEE10hipError_tPvRmT2_T3_T4_T5_mT6_T7_P12ihipStream_tbENKUlT_T0_E_clISt17integral_constantIbLb1EES11_EEDaSW_SX_EUlSW_E_NS1_11comp_targetILNS1_3genE0ELNS1_11target_archE4294967295ELNS1_3gpuE0ELNS1_3repE0EEENS1_30default_config_static_selectorELNS0_4arch9wavefront6targetE1EEEvT1_: ; @_ZN7rocprim17ROCPRIM_400000_NS6detail17trampoline_kernelINS0_14default_configENS1_27scan_by_key_config_selectorIiiEEZZNS1_16scan_by_key_implILNS1_25lookback_scan_determinismE0ELb1ES3_N6thrust23THRUST_200600_302600_NS6detail15normal_iteratorINS9_10device_ptrIiEEEENSB_INSC_IjEEEESE_iNS9_4plusIvEENS9_8equal_toIvEEiEE10hipError_tPvRmT2_T3_T4_T5_mT6_T7_P12ihipStream_tbENKUlT_T0_E_clISt17integral_constantIbLb1EES11_EEDaSW_SX_EUlSW_E_NS1_11comp_targetILNS1_3genE0ELNS1_11target_archE4294967295ELNS1_3gpuE0ELNS1_3repE0EEENS1_30default_config_static_selectorELNS0_4arch9wavefront6targetE1EEEvT1_
; %bb.0:
	.section	.rodata,"a",@progbits
	.p2align	6, 0x0
	.amdhsa_kernel _ZN7rocprim17ROCPRIM_400000_NS6detail17trampoline_kernelINS0_14default_configENS1_27scan_by_key_config_selectorIiiEEZZNS1_16scan_by_key_implILNS1_25lookback_scan_determinismE0ELb1ES3_N6thrust23THRUST_200600_302600_NS6detail15normal_iteratorINS9_10device_ptrIiEEEENSB_INSC_IjEEEESE_iNS9_4plusIvEENS9_8equal_toIvEEiEE10hipError_tPvRmT2_T3_T4_T5_mT6_T7_P12ihipStream_tbENKUlT_T0_E_clISt17integral_constantIbLb1EES11_EEDaSW_SX_EUlSW_E_NS1_11comp_targetILNS1_3genE0ELNS1_11target_archE4294967295ELNS1_3gpuE0ELNS1_3repE0EEENS1_30default_config_static_selectorELNS0_4arch9wavefront6targetE1EEEvT1_
		.amdhsa_group_segment_fixed_size 0
		.amdhsa_private_segment_fixed_size 0
		.amdhsa_kernarg_size 112
		.amdhsa_user_sgpr_count 2
		.amdhsa_user_sgpr_dispatch_ptr 0
		.amdhsa_user_sgpr_queue_ptr 0
		.amdhsa_user_sgpr_kernarg_segment_ptr 1
		.amdhsa_user_sgpr_dispatch_id 0
		.amdhsa_user_sgpr_kernarg_preload_length 0
		.amdhsa_user_sgpr_kernarg_preload_offset 0
		.amdhsa_user_sgpr_private_segment_size 0
		.amdhsa_uses_dynamic_stack 0
		.amdhsa_enable_private_segment 0
		.amdhsa_system_sgpr_workgroup_id_x 1
		.amdhsa_system_sgpr_workgroup_id_y 0
		.amdhsa_system_sgpr_workgroup_id_z 0
		.amdhsa_system_sgpr_workgroup_info 0
		.amdhsa_system_vgpr_workitem_id 0
		.amdhsa_next_free_vgpr 1
		.amdhsa_next_free_sgpr 0
		.amdhsa_accum_offset 4
		.amdhsa_reserve_vcc 0
		.amdhsa_float_round_mode_32 0
		.amdhsa_float_round_mode_16_64 0
		.amdhsa_float_denorm_mode_32 3
		.amdhsa_float_denorm_mode_16_64 3
		.amdhsa_dx10_clamp 1
		.amdhsa_ieee_mode 1
		.amdhsa_fp16_overflow 0
		.amdhsa_tg_split 0
		.amdhsa_exception_fp_ieee_invalid_op 0
		.amdhsa_exception_fp_denorm_src 0
		.amdhsa_exception_fp_ieee_div_zero 0
		.amdhsa_exception_fp_ieee_overflow 0
		.amdhsa_exception_fp_ieee_underflow 0
		.amdhsa_exception_fp_ieee_inexact 0
		.amdhsa_exception_int_div_zero 0
	.end_amdhsa_kernel
	.section	.text._ZN7rocprim17ROCPRIM_400000_NS6detail17trampoline_kernelINS0_14default_configENS1_27scan_by_key_config_selectorIiiEEZZNS1_16scan_by_key_implILNS1_25lookback_scan_determinismE0ELb1ES3_N6thrust23THRUST_200600_302600_NS6detail15normal_iteratorINS9_10device_ptrIiEEEENSB_INSC_IjEEEESE_iNS9_4plusIvEENS9_8equal_toIvEEiEE10hipError_tPvRmT2_T3_T4_T5_mT6_T7_P12ihipStream_tbENKUlT_T0_E_clISt17integral_constantIbLb1EES11_EEDaSW_SX_EUlSW_E_NS1_11comp_targetILNS1_3genE0ELNS1_11target_archE4294967295ELNS1_3gpuE0ELNS1_3repE0EEENS1_30default_config_static_selectorELNS0_4arch9wavefront6targetE1EEEvT1_,"axG",@progbits,_ZN7rocprim17ROCPRIM_400000_NS6detail17trampoline_kernelINS0_14default_configENS1_27scan_by_key_config_selectorIiiEEZZNS1_16scan_by_key_implILNS1_25lookback_scan_determinismE0ELb1ES3_N6thrust23THRUST_200600_302600_NS6detail15normal_iteratorINS9_10device_ptrIiEEEENSB_INSC_IjEEEESE_iNS9_4plusIvEENS9_8equal_toIvEEiEE10hipError_tPvRmT2_T3_T4_T5_mT6_T7_P12ihipStream_tbENKUlT_T0_E_clISt17integral_constantIbLb1EES11_EEDaSW_SX_EUlSW_E_NS1_11comp_targetILNS1_3genE0ELNS1_11target_archE4294967295ELNS1_3gpuE0ELNS1_3repE0EEENS1_30default_config_static_selectorELNS0_4arch9wavefront6targetE1EEEvT1_,comdat
.Lfunc_end1761:
	.size	_ZN7rocprim17ROCPRIM_400000_NS6detail17trampoline_kernelINS0_14default_configENS1_27scan_by_key_config_selectorIiiEEZZNS1_16scan_by_key_implILNS1_25lookback_scan_determinismE0ELb1ES3_N6thrust23THRUST_200600_302600_NS6detail15normal_iteratorINS9_10device_ptrIiEEEENSB_INSC_IjEEEESE_iNS9_4plusIvEENS9_8equal_toIvEEiEE10hipError_tPvRmT2_T3_T4_T5_mT6_T7_P12ihipStream_tbENKUlT_T0_E_clISt17integral_constantIbLb1EES11_EEDaSW_SX_EUlSW_E_NS1_11comp_targetILNS1_3genE0ELNS1_11target_archE4294967295ELNS1_3gpuE0ELNS1_3repE0EEENS1_30default_config_static_selectorELNS0_4arch9wavefront6targetE1EEEvT1_, .Lfunc_end1761-_ZN7rocprim17ROCPRIM_400000_NS6detail17trampoline_kernelINS0_14default_configENS1_27scan_by_key_config_selectorIiiEEZZNS1_16scan_by_key_implILNS1_25lookback_scan_determinismE0ELb1ES3_N6thrust23THRUST_200600_302600_NS6detail15normal_iteratorINS9_10device_ptrIiEEEENSB_INSC_IjEEEESE_iNS9_4plusIvEENS9_8equal_toIvEEiEE10hipError_tPvRmT2_T3_T4_T5_mT6_T7_P12ihipStream_tbENKUlT_T0_E_clISt17integral_constantIbLb1EES11_EEDaSW_SX_EUlSW_E_NS1_11comp_targetILNS1_3genE0ELNS1_11target_archE4294967295ELNS1_3gpuE0ELNS1_3repE0EEENS1_30default_config_static_selectorELNS0_4arch9wavefront6targetE1EEEvT1_
                                        ; -- End function
	.section	.AMDGPU.csdata,"",@progbits
; Kernel info:
; codeLenInByte = 0
; NumSgprs: 6
; NumVgprs: 0
; NumAgprs: 0
; TotalNumVgprs: 0
; ScratchSize: 0
; MemoryBound: 0
; FloatMode: 240
; IeeeMode: 1
; LDSByteSize: 0 bytes/workgroup (compile time only)
; SGPRBlocks: 0
; VGPRBlocks: 0
; NumSGPRsForWavesPerEU: 6
; NumVGPRsForWavesPerEU: 1
; AccumOffset: 4
; Occupancy: 8
; WaveLimiterHint : 0
; COMPUTE_PGM_RSRC2:SCRATCH_EN: 0
; COMPUTE_PGM_RSRC2:USER_SGPR: 2
; COMPUTE_PGM_RSRC2:TRAP_HANDLER: 0
; COMPUTE_PGM_RSRC2:TGID_X_EN: 1
; COMPUTE_PGM_RSRC2:TGID_Y_EN: 0
; COMPUTE_PGM_RSRC2:TGID_Z_EN: 0
; COMPUTE_PGM_RSRC2:TIDIG_COMP_CNT: 0
; COMPUTE_PGM_RSRC3_GFX90A:ACCUM_OFFSET: 0
; COMPUTE_PGM_RSRC3_GFX90A:TG_SPLIT: 0
	.section	.text._ZN7rocprim17ROCPRIM_400000_NS6detail17trampoline_kernelINS0_14default_configENS1_27scan_by_key_config_selectorIiiEEZZNS1_16scan_by_key_implILNS1_25lookback_scan_determinismE0ELb1ES3_N6thrust23THRUST_200600_302600_NS6detail15normal_iteratorINS9_10device_ptrIiEEEENSB_INSC_IjEEEESE_iNS9_4plusIvEENS9_8equal_toIvEEiEE10hipError_tPvRmT2_T3_T4_T5_mT6_T7_P12ihipStream_tbENKUlT_T0_E_clISt17integral_constantIbLb1EES11_EEDaSW_SX_EUlSW_E_NS1_11comp_targetILNS1_3genE10ELNS1_11target_archE1201ELNS1_3gpuE5ELNS1_3repE0EEENS1_30default_config_static_selectorELNS0_4arch9wavefront6targetE1EEEvT1_,"axG",@progbits,_ZN7rocprim17ROCPRIM_400000_NS6detail17trampoline_kernelINS0_14default_configENS1_27scan_by_key_config_selectorIiiEEZZNS1_16scan_by_key_implILNS1_25lookback_scan_determinismE0ELb1ES3_N6thrust23THRUST_200600_302600_NS6detail15normal_iteratorINS9_10device_ptrIiEEEENSB_INSC_IjEEEESE_iNS9_4plusIvEENS9_8equal_toIvEEiEE10hipError_tPvRmT2_T3_T4_T5_mT6_T7_P12ihipStream_tbENKUlT_T0_E_clISt17integral_constantIbLb1EES11_EEDaSW_SX_EUlSW_E_NS1_11comp_targetILNS1_3genE10ELNS1_11target_archE1201ELNS1_3gpuE5ELNS1_3repE0EEENS1_30default_config_static_selectorELNS0_4arch9wavefront6targetE1EEEvT1_,comdat
	.protected	_ZN7rocprim17ROCPRIM_400000_NS6detail17trampoline_kernelINS0_14default_configENS1_27scan_by_key_config_selectorIiiEEZZNS1_16scan_by_key_implILNS1_25lookback_scan_determinismE0ELb1ES3_N6thrust23THRUST_200600_302600_NS6detail15normal_iteratorINS9_10device_ptrIiEEEENSB_INSC_IjEEEESE_iNS9_4plusIvEENS9_8equal_toIvEEiEE10hipError_tPvRmT2_T3_T4_T5_mT6_T7_P12ihipStream_tbENKUlT_T0_E_clISt17integral_constantIbLb1EES11_EEDaSW_SX_EUlSW_E_NS1_11comp_targetILNS1_3genE10ELNS1_11target_archE1201ELNS1_3gpuE5ELNS1_3repE0EEENS1_30default_config_static_selectorELNS0_4arch9wavefront6targetE1EEEvT1_ ; -- Begin function _ZN7rocprim17ROCPRIM_400000_NS6detail17trampoline_kernelINS0_14default_configENS1_27scan_by_key_config_selectorIiiEEZZNS1_16scan_by_key_implILNS1_25lookback_scan_determinismE0ELb1ES3_N6thrust23THRUST_200600_302600_NS6detail15normal_iteratorINS9_10device_ptrIiEEEENSB_INSC_IjEEEESE_iNS9_4plusIvEENS9_8equal_toIvEEiEE10hipError_tPvRmT2_T3_T4_T5_mT6_T7_P12ihipStream_tbENKUlT_T0_E_clISt17integral_constantIbLb1EES11_EEDaSW_SX_EUlSW_E_NS1_11comp_targetILNS1_3genE10ELNS1_11target_archE1201ELNS1_3gpuE5ELNS1_3repE0EEENS1_30default_config_static_selectorELNS0_4arch9wavefront6targetE1EEEvT1_
	.globl	_ZN7rocprim17ROCPRIM_400000_NS6detail17trampoline_kernelINS0_14default_configENS1_27scan_by_key_config_selectorIiiEEZZNS1_16scan_by_key_implILNS1_25lookback_scan_determinismE0ELb1ES3_N6thrust23THRUST_200600_302600_NS6detail15normal_iteratorINS9_10device_ptrIiEEEENSB_INSC_IjEEEESE_iNS9_4plusIvEENS9_8equal_toIvEEiEE10hipError_tPvRmT2_T3_T4_T5_mT6_T7_P12ihipStream_tbENKUlT_T0_E_clISt17integral_constantIbLb1EES11_EEDaSW_SX_EUlSW_E_NS1_11comp_targetILNS1_3genE10ELNS1_11target_archE1201ELNS1_3gpuE5ELNS1_3repE0EEENS1_30default_config_static_selectorELNS0_4arch9wavefront6targetE1EEEvT1_
	.p2align	8
	.type	_ZN7rocprim17ROCPRIM_400000_NS6detail17trampoline_kernelINS0_14default_configENS1_27scan_by_key_config_selectorIiiEEZZNS1_16scan_by_key_implILNS1_25lookback_scan_determinismE0ELb1ES3_N6thrust23THRUST_200600_302600_NS6detail15normal_iteratorINS9_10device_ptrIiEEEENSB_INSC_IjEEEESE_iNS9_4plusIvEENS9_8equal_toIvEEiEE10hipError_tPvRmT2_T3_T4_T5_mT6_T7_P12ihipStream_tbENKUlT_T0_E_clISt17integral_constantIbLb1EES11_EEDaSW_SX_EUlSW_E_NS1_11comp_targetILNS1_3genE10ELNS1_11target_archE1201ELNS1_3gpuE5ELNS1_3repE0EEENS1_30default_config_static_selectorELNS0_4arch9wavefront6targetE1EEEvT1_,@function
_ZN7rocprim17ROCPRIM_400000_NS6detail17trampoline_kernelINS0_14default_configENS1_27scan_by_key_config_selectorIiiEEZZNS1_16scan_by_key_implILNS1_25lookback_scan_determinismE0ELb1ES3_N6thrust23THRUST_200600_302600_NS6detail15normal_iteratorINS9_10device_ptrIiEEEENSB_INSC_IjEEEESE_iNS9_4plusIvEENS9_8equal_toIvEEiEE10hipError_tPvRmT2_T3_T4_T5_mT6_T7_P12ihipStream_tbENKUlT_T0_E_clISt17integral_constantIbLb1EES11_EEDaSW_SX_EUlSW_E_NS1_11comp_targetILNS1_3genE10ELNS1_11target_archE1201ELNS1_3gpuE5ELNS1_3repE0EEENS1_30default_config_static_selectorELNS0_4arch9wavefront6targetE1EEEvT1_: ; @_ZN7rocprim17ROCPRIM_400000_NS6detail17trampoline_kernelINS0_14default_configENS1_27scan_by_key_config_selectorIiiEEZZNS1_16scan_by_key_implILNS1_25lookback_scan_determinismE0ELb1ES3_N6thrust23THRUST_200600_302600_NS6detail15normal_iteratorINS9_10device_ptrIiEEEENSB_INSC_IjEEEESE_iNS9_4plusIvEENS9_8equal_toIvEEiEE10hipError_tPvRmT2_T3_T4_T5_mT6_T7_P12ihipStream_tbENKUlT_T0_E_clISt17integral_constantIbLb1EES11_EEDaSW_SX_EUlSW_E_NS1_11comp_targetILNS1_3genE10ELNS1_11target_archE1201ELNS1_3gpuE5ELNS1_3repE0EEENS1_30default_config_static_selectorELNS0_4arch9wavefront6targetE1EEEvT1_
; %bb.0:
	.section	.rodata,"a",@progbits
	.p2align	6, 0x0
	.amdhsa_kernel _ZN7rocprim17ROCPRIM_400000_NS6detail17trampoline_kernelINS0_14default_configENS1_27scan_by_key_config_selectorIiiEEZZNS1_16scan_by_key_implILNS1_25lookback_scan_determinismE0ELb1ES3_N6thrust23THRUST_200600_302600_NS6detail15normal_iteratorINS9_10device_ptrIiEEEENSB_INSC_IjEEEESE_iNS9_4plusIvEENS9_8equal_toIvEEiEE10hipError_tPvRmT2_T3_T4_T5_mT6_T7_P12ihipStream_tbENKUlT_T0_E_clISt17integral_constantIbLb1EES11_EEDaSW_SX_EUlSW_E_NS1_11comp_targetILNS1_3genE10ELNS1_11target_archE1201ELNS1_3gpuE5ELNS1_3repE0EEENS1_30default_config_static_selectorELNS0_4arch9wavefront6targetE1EEEvT1_
		.amdhsa_group_segment_fixed_size 0
		.amdhsa_private_segment_fixed_size 0
		.amdhsa_kernarg_size 112
		.amdhsa_user_sgpr_count 2
		.amdhsa_user_sgpr_dispatch_ptr 0
		.amdhsa_user_sgpr_queue_ptr 0
		.amdhsa_user_sgpr_kernarg_segment_ptr 1
		.amdhsa_user_sgpr_dispatch_id 0
		.amdhsa_user_sgpr_kernarg_preload_length 0
		.amdhsa_user_sgpr_kernarg_preload_offset 0
		.amdhsa_user_sgpr_private_segment_size 0
		.amdhsa_uses_dynamic_stack 0
		.amdhsa_enable_private_segment 0
		.amdhsa_system_sgpr_workgroup_id_x 1
		.amdhsa_system_sgpr_workgroup_id_y 0
		.amdhsa_system_sgpr_workgroup_id_z 0
		.amdhsa_system_sgpr_workgroup_info 0
		.amdhsa_system_vgpr_workitem_id 0
		.amdhsa_next_free_vgpr 1
		.amdhsa_next_free_sgpr 0
		.amdhsa_accum_offset 4
		.amdhsa_reserve_vcc 0
		.amdhsa_float_round_mode_32 0
		.amdhsa_float_round_mode_16_64 0
		.amdhsa_float_denorm_mode_32 3
		.amdhsa_float_denorm_mode_16_64 3
		.amdhsa_dx10_clamp 1
		.amdhsa_ieee_mode 1
		.amdhsa_fp16_overflow 0
		.amdhsa_tg_split 0
		.amdhsa_exception_fp_ieee_invalid_op 0
		.amdhsa_exception_fp_denorm_src 0
		.amdhsa_exception_fp_ieee_div_zero 0
		.amdhsa_exception_fp_ieee_overflow 0
		.amdhsa_exception_fp_ieee_underflow 0
		.amdhsa_exception_fp_ieee_inexact 0
		.amdhsa_exception_int_div_zero 0
	.end_amdhsa_kernel
	.section	.text._ZN7rocprim17ROCPRIM_400000_NS6detail17trampoline_kernelINS0_14default_configENS1_27scan_by_key_config_selectorIiiEEZZNS1_16scan_by_key_implILNS1_25lookback_scan_determinismE0ELb1ES3_N6thrust23THRUST_200600_302600_NS6detail15normal_iteratorINS9_10device_ptrIiEEEENSB_INSC_IjEEEESE_iNS9_4plusIvEENS9_8equal_toIvEEiEE10hipError_tPvRmT2_T3_T4_T5_mT6_T7_P12ihipStream_tbENKUlT_T0_E_clISt17integral_constantIbLb1EES11_EEDaSW_SX_EUlSW_E_NS1_11comp_targetILNS1_3genE10ELNS1_11target_archE1201ELNS1_3gpuE5ELNS1_3repE0EEENS1_30default_config_static_selectorELNS0_4arch9wavefront6targetE1EEEvT1_,"axG",@progbits,_ZN7rocprim17ROCPRIM_400000_NS6detail17trampoline_kernelINS0_14default_configENS1_27scan_by_key_config_selectorIiiEEZZNS1_16scan_by_key_implILNS1_25lookback_scan_determinismE0ELb1ES3_N6thrust23THRUST_200600_302600_NS6detail15normal_iteratorINS9_10device_ptrIiEEEENSB_INSC_IjEEEESE_iNS9_4plusIvEENS9_8equal_toIvEEiEE10hipError_tPvRmT2_T3_T4_T5_mT6_T7_P12ihipStream_tbENKUlT_T0_E_clISt17integral_constantIbLb1EES11_EEDaSW_SX_EUlSW_E_NS1_11comp_targetILNS1_3genE10ELNS1_11target_archE1201ELNS1_3gpuE5ELNS1_3repE0EEENS1_30default_config_static_selectorELNS0_4arch9wavefront6targetE1EEEvT1_,comdat
.Lfunc_end1762:
	.size	_ZN7rocprim17ROCPRIM_400000_NS6detail17trampoline_kernelINS0_14default_configENS1_27scan_by_key_config_selectorIiiEEZZNS1_16scan_by_key_implILNS1_25lookback_scan_determinismE0ELb1ES3_N6thrust23THRUST_200600_302600_NS6detail15normal_iteratorINS9_10device_ptrIiEEEENSB_INSC_IjEEEESE_iNS9_4plusIvEENS9_8equal_toIvEEiEE10hipError_tPvRmT2_T3_T4_T5_mT6_T7_P12ihipStream_tbENKUlT_T0_E_clISt17integral_constantIbLb1EES11_EEDaSW_SX_EUlSW_E_NS1_11comp_targetILNS1_3genE10ELNS1_11target_archE1201ELNS1_3gpuE5ELNS1_3repE0EEENS1_30default_config_static_selectorELNS0_4arch9wavefront6targetE1EEEvT1_, .Lfunc_end1762-_ZN7rocprim17ROCPRIM_400000_NS6detail17trampoline_kernelINS0_14default_configENS1_27scan_by_key_config_selectorIiiEEZZNS1_16scan_by_key_implILNS1_25lookback_scan_determinismE0ELb1ES3_N6thrust23THRUST_200600_302600_NS6detail15normal_iteratorINS9_10device_ptrIiEEEENSB_INSC_IjEEEESE_iNS9_4plusIvEENS9_8equal_toIvEEiEE10hipError_tPvRmT2_T3_T4_T5_mT6_T7_P12ihipStream_tbENKUlT_T0_E_clISt17integral_constantIbLb1EES11_EEDaSW_SX_EUlSW_E_NS1_11comp_targetILNS1_3genE10ELNS1_11target_archE1201ELNS1_3gpuE5ELNS1_3repE0EEENS1_30default_config_static_selectorELNS0_4arch9wavefront6targetE1EEEvT1_
                                        ; -- End function
	.section	.AMDGPU.csdata,"",@progbits
; Kernel info:
; codeLenInByte = 0
; NumSgprs: 6
; NumVgprs: 0
; NumAgprs: 0
; TotalNumVgprs: 0
; ScratchSize: 0
; MemoryBound: 0
; FloatMode: 240
; IeeeMode: 1
; LDSByteSize: 0 bytes/workgroup (compile time only)
; SGPRBlocks: 0
; VGPRBlocks: 0
; NumSGPRsForWavesPerEU: 6
; NumVGPRsForWavesPerEU: 1
; AccumOffset: 4
; Occupancy: 8
; WaveLimiterHint : 0
; COMPUTE_PGM_RSRC2:SCRATCH_EN: 0
; COMPUTE_PGM_RSRC2:USER_SGPR: 2
; COMPUTE_PGM_RSRC2:TRAP_HANDLER: 0
; COMPUTE_PGM_RSRC2:TGID_X_EN: 1
; COMPUTE_PGM_RSRC2:TGID_Y_EN: 0
; COMPUTE_PGM_RSRC2:TGID_Z_EN: 0
; COMPUTE_PGM_RSRC2:TIDIG_COMP_CNT: 0
; COMPUTE_PGM_RSRC3_GFX90A:ACCUM_OFFSET: 0
; COMPUTE_PGM_RSRC3_GFX90A:TG_SPLIT: 0
	.section	.text._ZN7rocprim17ROCPRIM_400000_NS6detail17trampoline_kernelINS0_14default_configENS1_27scan_by_key_config_selectorIiiEEZZNS1_16scan_by_key_implILNS1_25lookback_scan_determinismE0ELb1ES3_N6thrust23THRUST_200600_302600_NS6detail15normal_iteratorINS9_10device_ptrIiEEEENSB_INSC_IjEEEESE_iNS9_4plusIvEENS9_8equal_toIvEEiEE10hipError_tPvRmT2_T3_T4_T5_mT6_T7_P12ihipStream_tbENKUlT_T0_E_clISt17integral_constantIbLb1EES11_EEDaSW_SX_EUlSW_E_NS1_11comp_targetILNS1_3genE5ELNS1_11target_archE942ELNS1_3gpuE9ELNS1_3repE0EEENS1_30default_config_static_selectorELNS0_4arch9wavefront6targetE1EEEvT1_,"axG",@progbits,_ZN7rocprim17ROCPRIM_400000_NS6detail17trampoline_kernelINS0_14default_configENS1_27scan_by_key_config_selectorIiiEEZZNS1_16scan_by_key_implILNS1_25lookback_scan_determinismE0ELb1ES3_N6thrust23THRUST_200600_302600_NS6detail15normal_iteratorINS9_10device_ptrIiEEEENSB_INSC_IjEEEESE_iNS9_4plusIvEENS9_8equal_toIvEEiEE10hipError_tPvRmT2_T3_T4_T5_mT6_T7_P12ihipStream_tbENKUlT_T0_E_clISt17integral_constantIbLb1EES11_EEDaSW_SX_EUlSW_E_NS1_11comp_targetILNS1_3genE5ELNS1_11target_archE942ELNS1_3gpuE9ELNS1_3repE0EEENS1_30default_config_static_selectorELNS0_4arch9wavefront6targetE1EEEvT1_,comdat
	.protected	_ZN7rocprim17ROCPRIM_400000_NS6detail17trampoline_kernelINS0_14default_configENS1_27scan_by_key_config_selectorIiiEEZZNS1_16scan_by_key_implILNS1_25lookback_scan_determinismE0ELb1ES3_N6thrust23THRUST_200600_302600_NS6detail15normal_iteratorINS9_10device_ptrIiEEEENSB_INSC_IjEEEESE_iNS9_4plusIvEENS9_8equal_toIvEEiEE10hipError_tPvRmT2_T3_T4_T5_mT6_T7_P12ihipStream_tbENKUlT_T0_E_clISt17integral_constantIbLb1EES11_EEDaSW_SX_EUlSW_E_NS1_11comp_targetILNS1_3genE5ELNS1_11target_archE942ELNS1_3gpuE9ELNS1_3repE0EEENS1_30default_config_static_selectorELNS0_4arch9wavefront6targetE1EEEvT1_ ; -- Begin function _ZN7rocprim17ROCPRIM_400000_NS6detail17trampoline_kernelINS0_14default_configENS1_27scan_by_key_config_selectorIiiEEZZNS1_16scan_by_key_implILNS1_25lookback_scan_determinismE0ELb1ES3_N6thrust23THRUST_200600_302600_NS6detail15normal_iteratorINS9_10device_ptrIiEEEENSB_INSC_IjEEEESE_iNS9_4plusIvEENS9_8equal_toIvEEiEE10hipError_tPvRmT2_T3_T4_T5_mT6_T7_P12ihipStream_tbENKUlT_T0_E_clISt17integral_constantIbLb1EES11_EEDaSW_SX_EUlSW_E_NS1_11comp_targetILNS1_3genE5ELNS1_11target_archE942ELNS1_3gpuE9ELNS1_3repE0EEENS1_30default_config_static_selectorELNS0_4arch9wavefront6targetE1EEEvT1_
	.globl	_ZN7rocprim17ROCPRIM_400000_NS6detail17trampoline_kernelINS0_14default_configENS1_27scan_by_key_config_selectorIiiEEZZNS1_16scan_by_key_implILNS1_25lookback_scan_determinismE0ELb1ES3_N6thrust23THRUST_200600_302600_NS6detail15normal_iteratorINS9_10device_ptrIiEEEENSB_INSC_IjEEEESE_iNS9_4plusIvEENS9_8equal_toIvEEiEE10hipError_tPvRmT2_T3_T4_T5_mT6_T7_P12ihipStream_tbENKUlT_T0_E_clISt17integral_constantIbLb1EES11_EEDaSW_SX_EUlSW_E_NS1_11comp_targetILNS1_3genE5ELNS1_11target_archE942ELNS1_3gpuE9ELNS1_3repE0EEENS1_30default_config_static_selectorELNS0_4arch9wavefront6targetE1EEEvT1_
	.p2align	8
	.type	_ZN7rocprim17ROCPRIM_400000_NS6detail17trampoline_kernelINS0_14default_configENS1_27scan_by_key_config_selectorIiiEEZZNS1_16scan_by_key_implILNS1_25lookback_scan_determinismE0ELb1ES3_N6thrust23THRUST_200600_302600_NS6detail15normal_iteratorINS9_10device_ptrIiEEEENSB_INSC_IjEEEESE_iNS9_4plusIvEENS9_8equal_toIvEEiEE10hipError_tPvRmT2_T3_T4_T5_mT6_T7_P12ihipStream_tbENKUlT_T0_E_clISt17integral_constantIbLb1EES11_EEDaSW_SX_EUlSW_E_NS1_11comp_targetILNS1_3genE5ELNS1_11target_archE942ELNS1_3gpuE9ELNS1_3repE0EEENS1_30default_config_static_selectorELNS0_4arch9wavefront6targetE1EEEvT1_,@function
_ZN7rocprim17ROCPRIM_400000_NS6detail17trampoline_kernelINS0_14default_configENS1_27scan_by_key_config_selectorIiiEEZZNS1_16scan_by_key_implILNS1_25lookback_scan_determinismE0ELb1ES3_N6thrust23THRUST_200600_302600_NS6detail15normal_iteratorINS9_10device_ptrIiEEEENSB_INSC_IjEEEESE_iNS9_4plusIvEENS9_8equal_toIvEEiEE10hipError_tPvRmT2_T3_T4_T5_mT6_T7_P12ihipStream_tbENKUlT_T0_E_clISt17integral_constantIbLb1EES11_EEDaSW_SX_EUlSW_E_NS1_11comp_targetILNS1_3genE5ELNS1_11target_archE942ELNS1_3gpuE9ELNS1_3repE0EEENS1_30default_config_static_selectorELNS0_4arch9wavefront6targetE1EEEvT1_: ; @_ZN7rocprim17ROCPRIM_400000_NS6detail17trampoline_kernelINS0_14default_configENS1_27scan_by_key_config_selectorIiiEEZZNS1_16scan_by_key_implILNS1_25lookback_scan_determinismE0ELb1ES3_N6thrust23THRUST_200600_302600_NS6detail15normal_iteratorINS9_10device_ptrIiEEEENSB_INSC_IjEEEESE_iNS9_4plusIvEENS9_8equal_toIvEEiEE10hipError_tPvRmT2_T3_T4_T5_mT6_T7_P12ihipStream_tbENKUlT_T0_E_clISt17integral_constantIbLb1EES11_EEDaSW_SX_EUlSW_E_NS1_11comp_targetILNS1_3genE5ELNS1_11target_archE942ELNS1_3gpuE9ELNS1_3repE0EEENS1_30default_config_static_selectorELNS0_4arch9wavefront6targetE1EEEvT1_
; %bb.0:
	s_load_dword s74, s[0:1], 0x20
	s_load_dwordx4 s[64:67], s[0:1], 0x28
	s_load_dwordx2 s[72:73], s[0:1], 0x38
	v_cmp_ne_u32_e64 s[4:5], 0, v0
	v_cmp_eq_u32_e64 s[52:53], 0, v0
	s_and_saveexec_b64 s[2:3], s[52:53]
	s_cbranch_execz .LBB1763_4
; %bb.1:
	s_mov_b64 s[8:9], exec
	v_mbcnt_lo_u32_b32 v1, s8, 0
	v_mbcnt_hi_u32_b32 v1, s9, v1
	v_cmp_eq_u32_e32 vcc, 0, v1
                                        ; implicit-def: $vgpr2
	s_and_saveexec_b64 s[6:7], vcc
	s_cbranch_execz .LBB1763_3
; %bb.2:
	s_load_dwordx2 s[10:11], s[0:1], 0x68
	s_bcnt1_i32_b64 s8, s[8:9]
	v_mov_b32_e32 v2, 0
	v_mov_b32_e32 v3, s8
	s_waitcnt lgkmcnt(0)
	global_atomic_add v2, v2, v3, s[10:11] sc0
.LBB1763_3:
	s_or_b64 exec, exec, s[6:7]
	s_waitcnt vmcnt(0)
	v_readfirstlane_b32 s6, v2
	v_mov_b32_e32 v2, 0
	s_nop 0
	v_add_u32_e32 v1, s6, v1
	ds_write_b32 v2, v1
.LBB1763_4:
	s_or_b64 exec, exec, s[2:3]
	s_load_dwordx8 s[56:63], s[0:1], 0x0
	s_load_dword s2, s[0:1], 0x40
	s_load_dwordx4 s[68:71], s[0:1], 0x48
	v_mov_b32_e32 v7, 0
	s_waitcnt lgkmcnt(0)
	s_lshl_b64 s[54:55], s[58:59], 2
	s_barrier
	ds_read_b32 v6, v7
	s_add_u32 s0, s56, s54
	s_addc_u32 s1, s57, s55
	s_add_u32 s6, s60, s54
	s_mul_i32 s3, s73, s2
	s_mul_hi_u32 s8, s72, s2
	s_addc_u32 s7, s61, s55
	s_add_i32 s3, s8, s3
	s_movk_i32 s8, 0x1700
	s_waitcnt lgkmcnt(0)
	v_mul_lo_u32 v2, v6, s8
	v_mov_b32_e32 v3, v7
	v_lshlrev_b64 v[10:11], 2, v[2:3]
	s_mul_i32 s2, s72, s2
	v_lshl_add_u64 v[2:3], s[6:7], 0, v[10:11]
	s_add_u32 s6, s68, -1
	v_readfirstlane_b32 s67, v6
	v_lshl_add_u64 v[6:7], s[2:3], 0, v[6:7]
	s_addc_u32 s7, s69, -1
	v_cmp_le_u64_e64 s[2:3], s[6:7], v[6:7]
	v_lshl_add_u64 v[4:5], s[0:1], 0, v[10:11]
	s_mov_b64 s[0:1], -1
	s_and_b64 vcc, exec, s[2:3]
	s_mul_i32 s33, s6, 0xffffe900
	s_barrier
	s_barrier
	s_cbranch_vccz .LBB1763_75
; %bb.5:
	flat_load_dword v1, v[4:5]
	s_add_i32 s60, s33, s66
	v_cmp_gt_u32_e32 vcc, s60, v0
	s_waitcnt vmcnt(0) lgkmcnt(0)
	v_mov_b32_e32 v7, v1
	s_and_saveexec_b64 s[0:1], vcc
	s_cbranch_execz .LBB1763_7
; %bb.6:
	v_lshlrev_b32_e32 v6, 2, v0
	v_mov_b32_e32 v7, 0
	v_lshl_add_u64 v[6:7], v[4:5], 0, v[6:7]
	flat_load_dword v7, v[6:7]
.LBB1763_7:
	s_or_b64 exec, exec, s[0:1]
	v_or_b32_e32 v6, 0x100, v0
	v_cmp_gt_u32_e64 s[6:7], s60, v6
	v_mov_b32_e32 v8, v1
	s_and_saveexec_b64 s[0:1], s[6:7]
	s_cbranch_execz .LBB1763_9
; %bb.8:
	v_lshlrev_b32_e32 v8, 2, v0
	v_mov_b32_e32 v9, 0
	v_lshl_add_u64 v[8:9], v[4:5], 0, v[8:9]
	flat_load_dword v8, v[8:9] offset:1024
.LBB1763_9:
	s_or_b64 exec, exec, s[0:1]
	v_or_b32_e32 v6, 0x200, v0
	v_cmp_gt_u32_e64 s[8:9], s60, v6
	v_mov_b32_e32 v9, v1
	s_and_saveexec_b64 s[0:1], s[8:9]
	s_cbranch_execz .LBB1763_11
; %bb.10:
	v_lshlrev_b32_e32 v12, 2, v0
	v_mov_b32_e32 v13, 0
	v_lshl_add_u64 v[12:13], v[4:5], 0, v[12:13]
	flat_load_dword v9, v[12:13] offset:2048
.LBB1763_11:
	;; [unrolled: 12-line block ×3, first 2 shown]
	s_or_b64 exec, exec, s[0:1]
	v_or_b32_e32 v12, 0x400, v0
	v_cmp_gt_u32_e64 s[12:13], s60, v12
	v_mov_b32_e32 v32, v1
	s_and_saveexec_b64 s[0:1], s[12:13]
	s_cbranch_execz .LBB1763_15
; %bb.14:
	v_lshlrev_b32_e32 v14, 2, v12
	v_mov_b32_e32 v15, 0
	v_lshl_add_u64 v[14:15], v[4:5], 0, v[14:15]
	flat_load_dword v32, v[14:15]
.LBB1763_15:
	s_or_b64 exec, exec, s[0:1]
	v_or_b32_e32 v13, 0x500, v0
	v_cmp_gt_u32_e64 s[14:15], s60, v13
	v_mov_b32_e32 v33, v1
	s_and_saveexec_b64 s[0:1], s[14:15]
	s_cbranch_execz .LBB1763_17
; %bb.16:
	v_lshlrev_b32_e32 v14, 2, v13
	v_mov_b32_e32 v15, 0
	v_lshl_add_u64 v[14:15], v[4:5], 0, v[14:15]
	flat_load_dword v33, v[14:15]
.LBB1763_17:
	;; [unrolled: 12-line block ×18, first 2 shown]
	s_or_b64 exec, exec, s[0:1]
	v_or_b32_e32 v30, 0x1600, v0
	v_cmp_gt_u32_e64 s[50:51], s60, v30
	s_and_saveexec_b64 s[0:1], s[50:51]
	s_cbranch_execz .LBB1763_51
; %bb.50:
	v_lshlrev_b32_e32 v50, 2, v30
	v_mov_b32_e32 v51, 0
	v_lshl_add_u64 v[50:51], v[4:5], 0, v[50:51]
	flat_load_dword v1, v[50:51]
.LBB1763_51:
	s_or_b64 exec, exec, s[0:1]
	v_lshlrev_b32_e32 v6, 2, v0
	s_waitcnt vmcnt(0) lgkmcnt(0)
	ds_write2st64_b32 v6, v7, v8 offset1:4
	ds_write2st64_b32 v6, v9, v31 offset0:8 offset1:12
	ds_write2st64_b32 v6, v32, v33 offset0:16 offset1:20
	;; [unrolled: 1-line block ×10, first 2 shown]
	ds_write_b32 v6, v1 offset:22528
	s_waitcnt lgkmcnt(0)
	s_barrier
	flat_load_dword v1, v[4:5]
	s_movk_i32 s0, 0x58
	v_mad_u32_u24 v76, v0, s0, v6
	s_movk_i32 s0, 0xffa8
	v_mad_i32_i24 v7, v0, s0, v76
	s_movk_i32 s0, 0xff
	v_cmp_ne_u32_e64 s[0:1], s0, v0
	ds_read_b32 v78, v76
	ds_read2_b32 v[74:75], v76 offset0:1 offset1:2
	ds_read2_b32 v[72:73], v76 offset0:3 offset1:4
	;; [unrolled: 1-line block ×11, first 2 shown]
	s_waitcnt lgkmcnt(0)
	ds_write_b32 v7, v78 offset:24576
	s_waitcnt lgkmcnt(0)
	s_barrier
	s_and_saveexec_b64 s[56:57], s[0:1]
	s_cbranch_execz .LBB1763_53
; %bb.52:
	s_waitcnt vmcnt(0)
	ds_read_b32 v1, v6 offset:24580
.LBB1763_53:
	s_or_b64 exec, exec, s[56:57]
	v_mov_b32_e32 v7, 0
	s_waitcnt lgkmcnt(0)
	s_barrier
	s_waitcnt lgkmcnt(0)
                                        ; implicit-def: $vgpr31
	s_and_saveexec_b64 s[0:1], vcc
	s_cbranch_execz .LBB1763_76
; %bb.54:
	v_lshl_add_u64 v[32:33], v[2:3], 0, v[6:7]
	flat_load_dword v31, v[32:33]
	s_or_b64 exec, exec, s[0:1]
                                        ; implicit-def: $vgpr32
	s_and_saveexec_b64 s[0:1], s[6:7]
	s_cbranch_execnz .LBB1763_77
.LBB1763_55:
	s_or_b64 exec, exec, s[0:1]
                                        ; implicit-def: $vgpr33
	s_and_saveexec_b64 s[0:1], s[8:9]
	s_cbranch_execz .LBB1763_78
.LBB1763_56:
	v_mov_b32_e32 v7, 0
	v_lshl_add_u64 v[34:35], v[2:3], 0, v[6:7]
	flat_load_dword v33, v[34:35] offset:2048
	s_or_b64 exec, exec, s[0:1]
                                        ; implicit-def: $vgpr7
	s_and_saveexec_b64 s[0:1], s[10:11]
	s_cbranch_execnz .LBB1763_79
.LBB1763_57:
	s_or_b64 exec, exec, s[0:1]
                                        ; implicit-def: $vgpr34
	s_and_saveexec_b64 s[0:1], s[12:13]
	s_cbranch_execz .LBB1763_80
.LBB1763_58:
	v_lshlrev_b32_e32 v34, 2, v12
	v_mov_b32_e32 v35, 0
	v_lshl_add_u64 v[34:35], v[2:3], 0, v[34:35]
	flat_load_dword v34, v[34:35]
	s_or_b64 exec, exec, s[0:1]
                                        ; implicit-def: $vgpr12
	s_and_saveexec_b64 s[0:1], s[14:15]
	s_cbranch_execnz .LBB1763_81
.LBB1763_59:
	s_or_b64 exec, exec, s[0:1]
                                        ; implicit-def: $vgpr13
	s_and_saveexec_b64 s[0:1], s[16:17]
	s_cbranch_execz .LBB1763_82
.LBB1763_60:
	v_lshlrev_b32_e32 v36, 2, v14
	v_mov_b32_e32 v37, 0
	v_lshl_add_u64 v[36:37], v[2:3], 0, v[36:37]
	flat_load_dword v13, v[36:37]
	s_or_b64 exec, exec, s[0:1]
                                        ; implicit-def: $vgpr14
	s_and_saveexec_b64 s[0:1], s[18:19]
	s_cbranch_execnz .LBB1763_83
.LBB1763_61:
	s_or_b64 exec, exec, s[0:1]
                                        ; implicit-def: $vgpr15
	s_and_saveexec_b64 s[0:1], s[20:21]
	s_cbranch_execz .LBB1763_84
.LBB1763_62:
	v_lshlrev_b32_e32 v36, 2, v16
	v_mov_b32_e32 v37, 0
	v_lshl_add_u64 v[36:37], v[2:3], 0, v[36:37]
	flat_load_dword v15, v[36:37]
	s_or_b64 exec, exec, s[0:1]
                                        ; implicit-def: $vgpr16
	s_and_saveexec_b64 s[0:1], s[22:23]
	s_cbranch_execnz .LBB1763_85
.LBB1763_63:
	s_or_b64 exec, exec, s[0:1]
                                        ; implicit-def: $vgpr17
	s_and_saveexec_b64 s[0:1], s[24:25]
	s_cbranch_execz .LBB1763_86
.LBB1763_64:
	v_lshlrev_b32_e32 v36, 2, v18
	v_mov_b32_e32 v37, 0
	v_lshl_add_u64 v[36:37], v[2:3], 0, v[36:37]
	flat_load_dword v17, v[36:37]
	s_or_b64 exec, exec, s[0:1]
                                        ; implicit-def: $vgpr18
	s_and_saveexec_b64 s[0:1], s[26:27]
	s_cbranch_execnz .LBB1763_87
.LBB1763_65:
	s_or_b64 exec, exec, s[0:1]
                                        ; implicit-def: $vgpr19
	s_and_saveexec_b64 s[0:1], s[28:29]
	s_cbranch_execz .LBB1763_88
.LBB1763_66:
	v_lshlrev_b32_e32 v36, 2, v20
	v_mov_b32_e32 v37, 0
	v_lshl_add_u64 v[36:37], v[2:3], 0, v[36:37]
	flat_load_dword v19, v[36:37]
	s_or_b64 exec, exec, s[0:1]
                                        ; implicit-def: $vgpr20
	s_and_saveexec_b64 s[0:1], s[30:31]
	s_cbranch_execnz .LBB1763_89
.LBB1763_67:
	s_or_b64 exec, exec, s[0:1]
                                        ; implicit-def: $vgpr21
	s_and_saveexec_b64 s[0:1], s[34:35]
	s_cbranch_execz .LBB1763_90
.LBB1763_68:
	v_lshlrev_b32_e32 v36, 2, v22
	v_mov_b32_e32 v37, 0
	v_lshl_add_u64 v[36:37], v[2:3], 0, v[36:37]
	flat_load_dword v21, v[36:37]
	s_or_b64 exec, exec, s[0:1]
                                        ; implicit-def: $vgpr22
	s_and_saveexec_b64 s[0:1], s[36:37]
	s_cbranch_execnz .LBB1763_91
.LBB1763_69:
	s_or_b64 exec, exec, s[0:1]
                                        ; implicit-def: $vgpr23
	s_and_saveexec_b64 s[0:1], s[38:39]
	s_cbranch_execz .LBB1763_92
.LBB1763_70:
	v_lshlrev_b32_e32 v36, 2, v24
	v_mov_b32_e32 v37, 0
	v_lshl_add_u64 v[36:37], v[2:3], 0, v[36:37]
	flat_load_dword v23, v[36:37]
	s_or_b64 exec, exec, s[0:1]
                                        ; implicit-def: $vgpr24
	s_and_saveexec_b64 s[0:1], s[40:41]
	s_cbranch_execnz .LBB1763_93
.LBB1763_71:
	s_or_b64 exec, exec, s[0:1]
                                        ; implicit-def: $vgpr25
	s_and_saveexec_b64 s[0:1], s[42:43]
	s_cbranch_execz .LBB1763_94
.LBB1763_72:
	v_lshlrev_b32_e32 v36, 2, v26
	v_mov_b32_e32 v37, 0
	v_lshl_add_u64 v[36:37], v[2:3], 0, v[36:37]
	flat_load_dword v25, v[36:37]
	s_or_b64 exec, exec, s[0:1]
                                        ; implicit-def: $vgpr26
	s_and_saveexec_b64 s[0:1], s[44:45]
	s_cbranch_execnz .LBB1763_95
.LBB1763_73:
	s_or_b64 exec, exec, s[0:1]
                                        ; implicit-def: $vgpr27
	s_and_saveexec_b64 s[0:1], s[46:47]
	s_cbranch_execz .LBB1763_96
.LBB1763_74:
	v_lshlrev_b32_e32 v36, 2, v28
	v_mov_b32_e32 v37, 0
	v_lshl_add_u64 v[36:37], v[2:3], 0, v[36:37]
	flat_load_dword v27, v[36:37]
	s_or_b64 exec, exec, s[0:1]
                                        ; implicit-def: $vgpr28
	s_and_saveexec_b64 s[0:1], s[48:49]
	s_cbranch_execz .LBB1763_98
	s_branch .LBB1763_97
.LBB1763_75:
	s_mov_b64 s[10:11], 0
                                        ; implicit-def: $sgpr8_sgpr9
                                        ; implicit-def: $vgpr6
                                        ; implicit-def: $vgpr12_vgpr13
                                        ; implicit-def: $vgpr14_vgpr15
                                        ; implicit-def: $vgpr16_vgpr17
                                        ; implicit-def: $vgpr18_vgpr19
                                        ; implicit-def: $vgpr20_vgpr21
                                        ; implicit-def: $vgpr22_vgpr23
                                        ; implicit-def: $vgpr24_vgpr25
                                        ; implicit-def: $vgpr26_vgpr27
                                        ; implicit-def: $vgpr28_vgpr29
                                        ; implicit-def: $vgpr30_vgpr31
                                        ; implicit-def: $vgpr32_vgpr33
                                        ; implicit-def: $vgpr34_vgpr35
                                        ; implicit-def: $vgpr36_vgpr37
                                        ; implicit-def: $vgpr38_vgpr39
                                        ; implicit-def: $vgpr40_vgpr41
                                        ; implicit-def: $vgpr42_vgpr43
                                        ; implicit-def: $vgpr44_vgpr45
                                        ; implicit-def: $vgpr46_vgpr47
                                        ; implicit-def: $vgpr48_vgpr49
                                        ; implicit-def: $vgpr50_vgpr51
                                        ; implicit-def: $vgpr52_vgpr53
                                        ; implicit-def: $vgpr54_vgpr55
                                        ; implicit-def: $sgpr6_sgpr7
	s_and_b64 vcc, exec, s[0:1]
	v_lshlrev_b32_e32 v56, 2, v0
	s_cbranch_vccz .LBB1763_152
	s_branch .LBB1763_147
.LBB1763_76:
	s_or_b64 exec, exec, s[0:1]
                                        ; implicit-def: $vgpr32
	s_and_saveexec_b64 s[0:1], s[6:7]
	s_cbranch_execz .LBB1763_55
.LBB1763_77:
	v_mov_b32_e32 v7, 0
	v_lshl_add_u64 v[32:33], v[2:3], 0, v[6:7]
	flat_load_dword v32, v[32:33] offset:1024
	s_or_b64 exec, exec, s[0:1]
                                        ; implicit-def: $vgpr33
	s_and_saveexec_b64 s[0:1], s[8:9]
	s_cbranch_execnz .LBB1763_56
.LBB1763_78:
	s_or_b64 exec, exec, s[0:1]
                                        ; implicit-def: $vgpr7
	s_and_saveexec_b64 s[0:1], s[10:11]
	s_cbranch_execz .LBB1763_57
.LBB1763_79:
	v_mov_b32_e32 v7, 0
	v_lshl_add_u64 v[34:35], v[2:3], 0, v[6:7]
	flat_load_dword v7, v[34:35] offset:3072
	s_or_b64 exec, exec, s[0:1]
                                        ; implicit-def: $vgpr34
	s_and_saveexec_b64 s[0:1], s[12:13]
	s_cbranch_execnz .LBB1763_58
.LBB1763_80:
	s_or_b64 exec, exec, s[0:1]
                                        ; implicit-def: $vgpr12
	s_and_saveexec_b64 s[0:1], s[14:15]
	s_cbranch_execz .LBB1763_59
.LBB1763_81:
	v_lshlrev_b32_e32 v12, 2, v13
	v_mov_b32_e32 v13, 0
	v_lshl_add_u64 v[12:13], v[2:3], 0, v[12:13]
	flat_load_dword v12, v[12:13]
	s_or_b64 exec, exec, s[0:1]
                                        ; implicit-def: $vgpr13
	s_and_saveexec_b64 s[0:1], s[16:17]
	s_cbranch_execnz .LBB1763_60
.LBB1763_82:
	s_or_b64 exec, exec, s[0:1]
                                        ; implicit-def: $vgpr14
	s_and_saveexec_b64 s[0:1], s[18:19]
	s_cbranch_execz .LBB1763_61
.LBB1763_83:
	v_lshlrev_b32_e32 v14, 2, v15
	v_mov_b32_e32 v15, 0
	v_lshl_add_u64 v[14:15], v[2:3], 0, v[14:15]
	flat_load_dword v14, v[14:15]
	s_or_b64 exec, exec, s[0:1]
                                        ; implicit-def: $vgpr15
	s_and_saveexec_b64 s[0:1], s[20:21]
	s_cbranch_execnz .LBB1763_62
.LBB1763_84:
	s_or_b64 exec, exec, s[0:1]
                                        ; implicit-def: $vgpr16
	s_and_saveexec_b64 s[0:1], s[22:23]
	s_cbranch_execz .LBB1763_63
.LBB1763_85:
	v_lshlrev_b32_e32 v16, 2, v17
	v_mov_b32_e32 v17, 0
	v_lshl_add_u64 v[16:17], v[2:3], 0, v[16:17]
	flat_load_dword v16, v[16:17]
	s_or_b64 exec, exec, s[0:1]
                                        ; implicit-def: $vgpr17
	s_and_saveexec_b64 s[0:1], s[24:25]
	s_cbranch_execnz .LBB1763_64
.LBB1763_86:
	s_or_b64 exec, exec, s[0:1]
                                        ; implicit-def: $vgpr18
	s_and_saveexec_b64 s[0:1], s[26:27]
	s_cbranch_execz .LBB1763_65
.LBB1763_87:
	v_lshlrev_b32_e32 v18, 2, v19
	v_mov_b32_e32 v19, 0
	v_lshl_add_u64 v[18:19], v[2:3], 0, v[18:19]
	flat_load_dword v18, v[18:19]
	s_or_b64 exec, exec, s[0:1]
                                        ; implicit-def: $vgpr19
	s_and_saveexec_b64 s[0:1], s[28:29]
	s_cbranch_execnz .LBB1763_66
.LBB1763_88:
	s_or_b64 exec, exec, s[0:1]
                                        ; implicit-def: $vgpr20
	s_and_saveexec_b64 s[0:1], s[30:31]
	s_cbranch_execz .LBB1763_67
.LBB1763_89:
	v_lshlrev_b32_e32 v20, 2, v21
	v_mov_b32_e32 v21, 0
	v_lshl_add_u64 v[20:21], v[2:3], 0, v[20:21]
	flat_load_dword v20, v[20:21]
	s_or_b64 exec, exec, s[0:1]
                                        ; implicit-def: $vgpr21
	s_and_saveexec_b64 s[0:1], s[34:35]
	s_cbranch_execnz .LBB1763_68
.LBB1763_90:
	s_or_b64 exec, exec, s[0:1]
                                        ; implicit-def: $vgpr22
	s_and_saveexec_b64 s[0:1], s[36:37]
	s_cbranch_execz .LBB1763_69
.LBB1763_91:
	v_lshlrev_b32_e32 v22, 2, v23
	v_mov_b32_e32 v23, 0
	v_lshl_add_u64 v[22:23], v[2:3], 0, v[22:23]
	flat_load_dword v22, v[22:23]
	s_or_b64 exec, exec, s[0:1]
                                        ; implicit-def: $vgpr23
	s_and_saveexec_b64 s[0:1], s[38:39]
	s_cbranch_execnz .LBB1763_70
.LBB1763_92:
	s_or_b64 exec, exec, s[0:1]
                                        ; implicit-def: $vgpr24
	s_and_saveexec_b64 s[0:1], s[40:41]
	s_cbranch_execz .LBB1763_71
.LBB1763_93:
	v_lshlrev_b32_e32 v24, 2, v25
	v_mov_b32_e32 v25, 0
	v_lshl_add_u64 v[24:25], v[2:3], 0, v[24:25]
	flat_load_dword v24, v[24:25]
	s_or_b64 exec, exec, s[0:1]
                                        ; implicit-def: $vgpr25
	s_and_saveexec_b64 s[0:1], s[42:43]
	s_cbranch_execnz .LBB1763_72
.LBB1763_94:
	s_or_b64 exec, exec, s[0:1]
                                        ; implicit-def: $vgpr26
	s_and_saveexec_b64 s[0:1], s[44:45]
	s_cbranch_execz .LBB1763_73
.LBB1763_95:
	v_lshlrev_b32_e32 v26, 2, v27
	v_mov_b32_e32 v27, 0
	v_lshl_add_u64 v[26:27], v[2:3], 0, v[26:27]
	flat_load_dword v26, v[26:27]
	s_or_b64 exec, exec, s[0:1]
                                        ; implicit-def: $vgpr27
	s_and_saveexec_b64 s[0:1], s[46:47]
	s_cbranch_execnz .LBB1763_74
.LBB1763_96:
	s_or_b64 exec, exec, s[0:1]
                                        ; implicit-def: $vgpr28
	s_and_saveexec_b64 s[0:1], s[48:49]
	s_cbranch_execz .LBB1763_98
.LBB1763_97:
	v_lshlrev_b32_e32 v28, 2, v29
	v_mov_b32_e32 v29, 0
	v_lshl_add_u64 v[28:29], v[2:3], 0, v[28:29]
	flat_load_dword v28, v[28:29]
.LBB1763_98:
	s_or_b64 exec, exec, s[0:1]
	v_mul_u32_u24_e32 v77, 23, v0
                                        ; implicit-def: $vgpr29
	s_and_saveexec_b64 s[0:1], s[50:51]
	s_cbranch_execz .LBB1763_100
; %bb.99:
	v_lshlrev_b32_e32 v36, 2, v30
	v_mov_b32_e32 v37, 0
	v_lshl_add_u64 v[36:37], v[2:3], 0, v[36:37]
	flat_load_dword v29, v[36:37]
.LBB1763_100:
	s_or_b64 exec, exec, s[0:1]
	s_waitcnt vmcnt(0) lgkmcnt(0)
	ds_write2st64_b32 v6, v31, v32 offset1:4
	ds_write2st64_b32 v6, v33, v7 offset0:8 offset1:12
	ds_write2st64_b32 v6, v34, v12 offset0:16 offset1:20
	;; [unrolled: 1-line block ×10, first 2 shown]
	ds_write_b32 v6, v29 offset:22528
	v_mov_b64_e32 v[12:13], 0
	v_cmp_gt_u32_e32 vcc, s60, v77
	s_mov_b64 s[10:11], 0
	s_mov_b64 s[0:1], 0
	v_mov_b64_e32 v[14:15], v[12:13]
	v_mov_b64_e32 v[16:17], v[12:13]
	;; [unrolled: 1-line block ×21, first 2 shown]
	s_waitcnt lgkmcnt(0)
	s_barrier
	s_waitcnt lgkmcnt(0)
                                        ; implicit-def: $sgpr8_sgpr9
                                        ; implicit-def: $vgpr6
	s_and_saveexec_b64 s[6:7], vcc
	s_cbranch_execz .LBB1763_146
; %bb.101:
	ds_read_b32 v6, v76
	v_mov_b32_e32 v12, s74
	v_cmp_eq_u32_e32 vcc, v78, v74
	v_add_u32_e32 v7, 1, v77
	v_mov_b64_e32 v[14:15], 0
	s_waitcnt lgkmcnt(0)
	v_cndmask_b32_e32 v12, v12, v6, vcc
	v_cmp_ne_u32_e32 vcc, v78, v74
	s_mov_b64 s[12:13], 0
	v_mov_b64_e32 v[16:17], v[14:15]
	v_cndmask_b32_e64 v13, 0, 1, vcc
	v_cmp_gt_u32_e32 vcc, s60, v7
	v_mov_b64_e32 v[18:19], v[14:15]
	v_mov_b64_e32 v[20:21], v[14:15]
	;; [unrolled: 1-line block ×19, first 2 shown]
                                        ; implicit-def: $sgpr14_sgpr15
                                        ; implicit-def: $vgpr6
	s_and_saveexec_b64 s[8:9], vcc
	s_cbranch_execz .LBB1763_145
; %bb.102:
	ds_read2_b32 v[6:7], v76 offset0:1 offset1:2
	v_mov_b32_e32 v14, s74
	v_cmp_eq_u32_e32 vcc, v74, v75
	v_add_u32_e32 v16, 2, v77
	s_mov_b64 s[14:15], 0
	s_waitcnt lgkmcnt(0)
	v_cndmask_b32_e32 v14, v14, v6, vcc
	v_cmp_ne_u32_e32 vcc, v74, v75
                                        ; implicit-def: $sgpr16_sgpr17
                                        ; implicit-def: $vgpr6
	s_nop 1
	v_cndmask_b32_e64 v15, 0, 1, vcc
	v_cmp_gt_u32_e32 vcc, s60, v16
	v_mov_b64_e32 v[16:17], 0
	v_mov_b64_e32 v[18:19], v[16:17]
	;; [unrolled: 1-line block ×20, first 2 shown]
	s_and_saveexec_b64 s[10:11], vcc
	s_cbranch_execz .LBB1763_144
; %bb.103:
	v_mov_b32_e32 v16, s74
	v_cmp_eq_u32_e32 vcc, v75, v72
	v_add_u32_e32 v6, 3, v77
	v_mov_b64_e32 v[18:19], 0
	v_cndmask_b32_e32 v16, v16, v7, vcc
	v_cmp_ne_u32_e32 vcc, v75, v72
	s_mov_b64 s[16:17], 0
	v_mov_b64_e32 v[20:21], v[18:19]
	v_cndmask_b32_e64 v17, 0, 1, vcc
	v_cmp_gt_u32_e32 vcc, s60, v6
	v_mov_b64_e32 v[22:23], v[18:19]
	v_mov_b64_e32 v[24:25], v[18:19]
	;; [unrolled: 1-line block ×17, first 2 shown]
                                        ; implicit-def: $sgpr18_sgpr19
                                        ; implicit-def: $vgpr6
	s_and_saveexec_b64 s[12:13], vcc
	s_cbranch_execz .LBB1763_143
; %bb.104:
	ds_read2_b32 v[6:7], v76 offset0:3 offset1:4
	v_mov_b32_e32 v18, s74
	v_cmp_eq_u32_e32 vcc, v72, v73
	v_add_u32_e32 v20, 4, v77
	s_mov_b64 s[18:19], 0
	s_waitcnt lgkmcnt(0)
	v_cndmask_b32_e32 v18, v18, v6, vcc
	v_cmp_ne_u32_e32 vcc, v72, v73
                                        ; implicit-def: $sgpr20_sgpr21
                                        ; implicit-def: $vgpr6
	s_nop 1
	v_cndmask_b32_e64 v19, 0, 1, vcc
	v_cmp_gt_u32_e32 vcc, s60, v20
	v_mov_b64_e32 v[20:21], 0
	v_mov_b64_e32 v[22:23], v[20:21]
	;; [unrolled: 1-line block ×18, first 2 shown]
	s_and_saveexec_b64 s[14:15], vcc
	s_cbranch_execz .LBB1763_142
; %bb.105:
	v_mov_b32_e32 v20, s74
	v_cmp_eq_u32_e32 vcc, v73, v70
	v_add_u32_e32 v6, 5, v77
	v_mov_b64_e32 v[22:23], 0
	v_cndmask_b32_e32 v20, v20, v7, vcc
	v_cmp_ne_u32_e32 vcc, v73, v70
	s_mov_b64 s[20:21], 0
	v_mov_b64_e32 v[24:25], v[22:23]
	v_cndmask_b32_e64 v21, 0, 1, vcc
	v_cmp_gt_u32_e32 vcc, s60, v6
	v_mov_b64_e32 v[26:27], v[22:23]
	v_mov_b64_e32 v[28:29], v[22:23]
	;; [unrolled: 1-line block ×15, first 2 shown]
                                        ; implicit-def: $sgpr22_sgpr23
                                        ; implicit-def: $vgpr6
	s_and_saveexec_b64 s[16:17], vcc
	s_cbranch_execz .LBB1763_141
; %bb.106:
	ds_read2_b32 v[6:7], v76 offset0:5 offset1:6
	v_mov_b32_e32 v22, s74
	v_cmp_eq_u32_e32 vcc, v70, v71
	v_add_u32_e32 v24, 6, v77
	s_mov_b64 s[22:23], 0
	s_waitcnt lgkmcnt(0)
	v_cndmask_b32_e32 v22, v22, v6, vcc
	v_cmp_ne_u32_e32 vcc, v70, v71
                                        ; implicit-def: $sgpr24_sgpr25
                                        ; implicit-def: $vgpr6
	s_nop 1
	v_cndmask_b32_e64 v23, 0, 1, vcc
	v_cmp_gt_u32_e32 vcc, s60, v24
	v_mov_b64_e32 v[24:25], 0
	v_mov_b64_e32 v[26:27], v[24:25]
	;; [unrolled: 1-line block ×16, first 2 shown]
	s_and_saveexec_b64 s[18:19], vcc
	s_cbranch_execz .LBB1763_140
; %bb.107:
	v_mov_b32_e32 v24, s74
	v_cmp_eq_u32_e32 vcc, v71, v68
	v_add_u32_e32 v6, 7, v77
	v_mov_b64_e32 v[26:27], 0
	v_cndmask_b32_e32 v24, v24, v7, vcc
	v_cmp_ne_u32_e32 vcc, v71, v68
	s_mov_b64 s[24:25], 0
	v_mov_b64_e32 v[28:29], v[26:27]
	v_cndmask_b32_e64 v25, 0, 1, vcc
	v_cmp_gt_u32_e32 vcc, s60, v6
	v_mov_b64_e32 v[30:31], v[26:27]
	v_mov_b64_e32 v[32:33], v[26:27]
	v_mov_b64_e32 v[34:35], v[26:27]
	v_mov_b64_e32 v[36:37], v[26:27]
	v_mov_b64_e32 v[38:39], v[26:27]
	v_mov_b64_e32 v[40:41], v[26:27]
	v_mov_b64_e32 v[42:43], v[26:27]
	v_mov_b64_e32 v[44:45], v[26:27]
	v_mov_b64_e32 v[46:47], v[26:27]
	v_mov_b64_e32 v[48:49], v[26:27]
	v_mov_b64_e32 v[50:51], v[26:27]
	v_mov_b64_e32 v[52:53], v[26:27]
	v_mov_b64_e32 v[54:55], v[26:27]
                                        ; implicit-def: $sgpr26_sgpr27
                                        ; implicit-def: $vgpr6
	s_and_saveexec_b64 s[20:21], vcc
	s_cbranch_execz .LBB1763_139
; %bb.108:
	ds_read2_b32 v[6:7], v76 offset0:7 offset1:8
	v_mov_b32_e32 v26, s74
	v_cmp_eq_u32_e32 vcc, v68, v69
	v_add_u32_e32 v28, 8, v77
	s_mov_b64 s[26:27], 0
	s_waitcnt lgkmcnt(0)
	v_cndmask_b32_e32 v26, v26, v6, vcc
	v_cmp_ne_u32_e32 vcc, v68, v69
                                        ; implicit-def: $sgpr28_sgpr29
                                        ; implicit-def: $vgpr6
	s_nop 1
	v_cndmask_b32_e64 v27, 0, 1, vcc
	v_cmp_gt_u32_e32 vcc, s60, v28
	v_mov_b64_e32 v[28:29], 0
	v_mov_b64_e32 v[30:31], v[28:29]
	;; [unrolled: 1-line block ×14, first 2 shown]
	s_and_saveexec_b64 s[22:23], vcc
	s_cbranch_execz .LBB1763_138
; %bb.109:
	v_mov_b32_e32 v28, s74
	v_cmp_eq_u32_e32 vcc, v69, v66
	v_add_u32_e32 v6, 9, v77
	v_mov_b64_e32 v[30:31], 0
	v_cndmask_b32_e32 v28, v28, v7, vcc
	v_cmp_ne_u32_e32 vcc, v69, v66
	s_mov_b64 s[28:29], 0
	v_mov_b64_e32 v[32:33], v[30:31]
	v_cndmask_b32_e64 v29, 0, 1, vcc
	v_cmp_gt_u32_e32 vcc, s60, v6
	v_mov_b64_e32 v[34:35], v[30:31]
	v_mov_b64_e32 v[36:37], v[30:31]
	;; [unrolled: 1-line block ×11, first 2 shown]
                                        ; implicit-def: $sgpr30_sgpr31
                                        ; implicit-def: $vgpr6
	s_and_saveexec_b64 s[24:25], vcc
	s_cbranch_execz .LBB1763_137
; %bb.110:
	ds_read2_b32 v[6:7], v76 offset0:9 offset1:10
	v_mov_b32_e32 v30, s74
	v_cmp_eq_u32_e32 vcc, v66, v67
	v_add_u32_e32 v32, 10, v77
	s_mov_b64 s[30:31], 0
	s_waitcnt lgkmcnt(0)
	v_cndmask_b32_e32 v30, v30, v6, vcc
	v_cmp_ne_u32_e32 vcc, v66, v67
                                        ; implicit-def: $sgpr34_sgpr35
                                        ; implicit-def: $vgpr6
	s_nop 1
	v_cndmask_b32_e64 v31, 0, 1, vcc
	v_cmp_gt_u32_e32 vcc, s60, v32
	v_mov_b64_e32 v[32:33], 0
	v_mov_b64_e32 v[34:35], v[32:33]
	;; [unrolled: 1-line block ×12, first 2 shown]
	s_and_saveexec_b64 s[26:27], vcc
	s_cbranch_execz .LBB1763_136
; %bb.111:
	v_mov_b32_e32 v32, s74
	v_cmp_eq_u32_e32 vcc, v67, v64
	v_add_u32_e32 v6, 11, v77
	v_mov_b64_e32 v[34:35], 0
	v_cndmask_b32_e32 v32, v32, v7, vcc
	v_cmp_ne_u32_e32 vcc, v67, v64
	s_mov_b64 s[34:35], 0
	v_mov_b64_e32 v[36:37], v[34:35]
	v_cndmask_b32_e64 v33, 0, 1, vcc
	v_cmp_gt_u32_e32 vcc, s60, v6
	v_mov_b64_e32 v[38:39], v[34:35]
	v_mov_b64_e32 v[40:41], v[34:35]
	;; [unrolled: 1-line block ×9, first 2 shown]
                                        ; implicit-def: $sgpr36_sgpr37
                                        ; implicit-def: $vgpr6
	s_and_saveexec_b64 s[28:29], vcc
	s_cbranch_execz .LBB1763_135
; %bb.112:
	ds_read2_b32 v[6:7], v76 offset0:11 offset1:12
	v_mov_b32_e32 v34, s74
	v_cmp_eq_u32_e32 vcc, v64, v65
	v_add_u32_e32 v36, 12, v77
	s_mov_b64 s[36:37], 0
	s_waitcnt lgkmcnt(0)
	v_cndmask_b32_e32 v34, v34, v6, vcc
	v_cmp_ne_u32_e32 vcc, v64, v65
                                        ; implicit-def: $sgpr38_sgpr39
                                        ; implicit-def: $vgpr6
	s_nop 1
	v_cndmask_b32_e64 v35, 0, 1, vcc
	v_cmp_gt_u32_e32 vcc, s60, v36
	v_mov_b64_e32 v[36:37], 0
	v_mov_b64_e32 v[38:39], v[36:37]
	;; [unrolled: 1-line block ×10, first 2 shown]
	s_and_saveexec_b64 s[30:31], vcc
	s_cbranch_execz .LBB1763_134
; %bb.113:
	v_mov_b32_e32 v36, s74
	v_cmp_eq_u32_e32 vcc, v65, v62
	v_add_u32_e32 v6, 13, v77
	v_mov_b64_e32 v[38:39], 0
	v_cndmask_b32_e32 v36, v36, v7, vcc
	v_cmp_ne_u32_e32 vcc, v65, v62
	s_mov_b64 s[38:39], 0
	v_mov_b64_e32 v[40:41], v[38:39]
	v_cndmask_b32_e64 v37, 0, 1, vcc
	v_cmp_gt_u32_e32 vcc, s60, v6
	v_mov_b64_e32 v[42:43], v[38:39]
	v_mov_b64_e32 v[44:45], v[38:39]
	;; [unrolled: 1-line block ×7, first 2 shown]
                                        ; implicit-def: $sgpr40_sgpr41
                                        ; implicit-def: $vgpr6
	s_and_saveexec_b64 s[34:35], vcc
	s_cbranch_execz .LBB1763_133
; %bb.114:
	ds_read2_b32 v[6:7], v76 offset0:13 offset1:14
	v_mov_b32_e32 v38, s74
	v_cmp_eq_u32_e32 vcc, v62, v63
	v_add_u32_e32 v40, 14, v77
	s_mov_b64 s[40:41], 0
	s_waitcnt lgkmcnt(0)
	v_cndmask_b32_e32 v38, v38, v6, vcc
	v_cmp_ne_u32_e32 vcc, v62, v63
                                        ; implicit-def: $sgpr42_sgpr43
                                        ; implicit-def: $vgpr6
	s_nop 1
	v_cndmask_b32_e64 v39, 0, 1, vcc
	v_cmp_gt_u32_e32 vcc, s60, v40
	v_mov_b64_e32 v[40:41], 0
	v_mov_b64_e32 v[42:43], v[40:41]
	;; [unrolled: 1-line block ×8, first 2 shown]
	s_and_saveexec_b64 s[36:37], vcc
	s_cbranch_execz .LBB1763_132
; %bb.115:
	v_mov_b32_e32 v40, s74
	v_cmp_eq_u32_e32 vcc, v63, v60
	v_add_u32_e32 v6, 15, v77
	v_mov_b64_e32 v[42:43], 0
	v_cndmask_b32_e32 v40, v40, v7, vcc
	v_cmp_ne_u32_e32 vcc, v63, v60
	s_mov_b64 s[42:43], 0
	v_mov_b64_e32 v[44:45], v[42:43]
	v_cndmask_b32_e64 v41, 0, 1, vcc
	v_cmp_gt_u32_e32 vcc, s60, v6
	v_mov_b64_e32 v[46:47], v[42:43]
	v_mov_b64_e32 v[48:49], v[42:43]
	;; [unrolled: 1-line block ×5, first 2 shown]
                                        ; implicit-def: $sgpr44_sgpr45
                                        ; implicit-def: $vgpr6
	s_and_saveexec_b64 s[38:39], vcc
	s_cbranch_execz .LBB1763_131
; %bb.116:
	ds_read2_b32 v[6:7], v76 offset0:15 offset1:16
	v_mov_b32_e32 v42, s74
	v_cmp_eq_u32_e32 vcc, v60, v61
	v_add_u32_e32 v44, 16, v77
	s_mov_b64 s[44:45], 0
	s_waitcnt lgkmcnt(0)
	v_cndmask_b32_e32 v42, v42, v6, vcc
	v_cmp_ne_u32_e32 vcc, v60, v61
                                        ; implicit-def: $sgpr46_sgpr47
                                        ; implicit-def: $vgpr6
	s_nop 1
	v_cndmask_b32_e64 v43, 0, 1, vcc
	v_cmp_gt_u32_e32 vcc, s60, v44
	v_mov_b64_e32 v[44:45], 0
	v_mov_b64_e32 v[46:47], v[44:45]
	;; [unrolled: 1-line block ×6, first 2 shown]
	s_and_saveexec_b64 s[40:41], vcc
	s_cbranch_execz .LBB1763_130
; %bb.117:
	v_mov_b32_e32 v44, s74
	v_cmp_eq_u32_e32 vcc, v61, v58
	v_add_u32_e32 v6, 17, v77
	v_mov_b64_e32 v[46:47], 0
	v_cndmask_b32_e32 v44, v44, v7, vcc
	v_cmp_ne_u32_e32 vcc, v61, v58
	s_mov_b64 s[46:47], 0
	v_mov_b64_e32 v[48:49], v[46:47]
	v_cndmask_b32_e64 v45, 0, 1, vcc
	v_cmp_gt_u32_e32 vcc, s60, v6
	v_mov_b64_e32 v[50:51], v[46:47]
	v_mov_b64_e32 v[52:53], v[46:47]
	;; [unrolled: 1-line block ×3, first 2 shown]
                                        ; implicit-def: $sgpr48_sgpr49
                                        ; implicit-def: $vgpr6
	s_and_saveexec_b64 s[42:43], vcc
	s_cbranch_execz .LBB1763_129
; %bb.118:
	ds_read2_b32 v[6:7], v76 offset0:17 offset1:18
	v_mov_b32_e32 v46, s74
	v_cmp_eq_u32_e32 vcc, v58, v59
	v_add_u32_e32 v48, 18, v77
	s_mov_b64 s[48:49], 0
	s_waitcnt lgkmcnt(0)
	v_cndmask_b32_e32 v46, v46, v6, vcc
	v_cmp_ne_u32_e32 vcc, v58, v59
                                        ; implicit-def: $sgpr50_sgpr51
                                        ; implicit-def: $vgpr6
	s_nop 1
	v_cndmask_b32_e64 v47, 0, 1, vcc
	v_cmp_gt_u32_e32 vcc, s60, v48
	v_mov_b64_e32 v[48:49], 0
	v_mov_b64_e32 v[50:51], v[48:49]
	;; [unrolled: 1-line block ×4, first 2 shown]
	s_and_saveexec_b64 s[44:45], vcc
	s_cbranch_execz .LBB1763_128
; %bb.119:
	v_mov_b32_e32 v48, s74
	v_cmp_eq_u32_e32 vcc, v59, v56
	v_add_u32_e32 v6, 19, v77
	v_mov_b64_e32 v[50:51], 0
	v_cndmask_b32_e32 v48, v48, v7, vcc
	v_cmp_ne_u32_e32 vcc, v59, v56
	s_mov_b64 s[50:51], 0
	v_mov_b64_e32 v[52:53], v[50:51]
	v_cndmask_b32_e64 v49, 0, 1, vcc
	v_cmp_gt_u32_e32 vcc, s60, v6
	v_mov_b64_e32 v[54:55], v[50:51]
                                        ; implicit-def: $sgpr56_sgpr57
                                        ; implicit-def: $vgpr6
	s_and_saveexec_b64 s[46:47], vcc
	s_cbranch_execz .LBB1763_127
; %bb.120:
	ds_read2_b32 v[6:7], v76 offset0:19 offset1:20
	v_mov_b32_e32 v50, s74
	v_cmp_eq_u32_e32 vcc, v56, v57
	v_add_u32_e32 v52, 20, v77
	s_mov_b64 s[56:57], 0
	s_waitcnt lgkmcnt(0)
	v_cndmask_b32_e32 v50, v50, v6, vcc
	v_cmp_ne_u32_e32 vcc, v56, v57
                                        ; implicit-def: $sgpr58_sgpr59
                                        ; implicit-def: $vgpr6
	s_nop 1
	v_cndmask_b32_e64 v51, 0, 1, vcc
	v_cmp_gt_u32_e32 vcc, s60, v52
	v_mov_b64_e32 v[52:53], 0
	v_mov_b64_e32 v[54:55], v[52:53]
	s_and_saveexec_b64 s[48:49], vcc
	s_cbranch_execz .LBB1763_126
; %bb.121:
	v_mov_b32_e32 v52, s74
	v_cmp_eq_u32_e32 vcc, v57, v8
	v_add_u32_e32 v6, 21, v77
	v_mov_b64_e32 v[54:55], 0
	v_cndmask_b32_e32 v52, v52, v7, vcc
	v_cmp_ne_u32_e32 vcc, v57, v8
                                        ; implicit-def: $sgpr58_sgpr59
	s_nop 1
	v_cndmask_b32_e64 v53, 0, 1, vcc
	v_cmp_gt_u32_e32 vcc, s60, v6
                                        ; implicit-def: $vgpr6
	s_and_saveexec_b64 s[50:51], vcc
	s_cbranch_execz .LBB1763_125
; %bb.122:
	ds_read2_b32 v[6:7], v76 offset0:21 offset1:22
	v_mov_b32_e32 v54, s74
	v_cmp_eq_u32_e32 vcc, v8, v9
	v_add_u32_e32 v56, 22, v77
                                        ; implicit-def: $sgpr58_sgpr59
	s_waitcnt lgkmcnt(0)
	v_cndmask_b32_e32 v54, v54, v6, vcc
	v_cmp_ne_u32_e32 vcc, v8, v9
                                        ; implicit-def: $vgpr6
	s_nop 1
	v_cndmask_b32_e64 v55, 0, 1, vcc
	v_cmp_gt_u32_e32 vcc, s60, v56
	s_and_saveexec_b64 s[60:61], vcc
	s_xor_b64 s[60:61], exec, s[60:61]
; %bb.123:
	v_mov_b32_e32 v6, s74
	v_cmp_ne_u32_e32 vcc, v9, v1
	s_mov_b64 s[56:57], exec
	s_and_b64 s[58:59], vcc, exec
	v_cndmask_b32_e32 v6, v7, v6, vcc
; %bb.124:
	s_or_b64 exec, exec, s[60:61]
	s_and_b64 s[58:59], s[58:59], exec
	s_and_b64 s[56:57], s[56:57], exec
.LBB1763_125:
	s_or_b64 exec, exec, s[50:51]
	s_and_b64 s[58:59], s[58:59], exec
	s_and_b64 s[50:51], s[56:57], exec
.LBB1763_126:
	s_or_b64 exec, exec, s[48:49]
	s_and_b64 s[56:57], s[58:59], exec
	s_and_b64 s[48:49], s[50:51], exec
.LBB1763_127:
	s_or_b64 exec, exec, s[46:47]
	s_and_b64 s[50:51], s[56:57], exec
	s_and_b64 s[46:47], s[48:49], exec
.LBB1763_128:
	s_or_b64 exec, exec, s[44:45]
	s_and_b64 s[48:49], s[50:51], exec
	s_and_b64 s[44:45], s[46:47], exec
.LBB1763_129:
	s_or_b64 exec, exec, s[42:43]
	s_and_b64 s[46:47], s[48:49], exec
	s_and_b64 s[42:43], s[44:45], exec
.LBB1763_130:
	s_or_b64 exec, exec, s[40:41]
	s_and_b64 s[44:45], s[46:47], exec
	s_and_b64 s[40:41], s[42:43], exec
.LBB1763_131:
	s_or_b64 exec, exec, s[38:39]
	s_and_b64 s[42:43], s[44:45], exec
	s_and_b64 s[38:39], s[40:41], exec
.LBB1763_132:
	s_or_b64 exec, exec, s[36:37]
	s_and_b64 s[40:41], s[42:43], exec
	s_and_b64 s[36:37], s[38:39], exec
.LBB1763_133:
	s_or_b64 exec, exec, s[34:35]
	s_and_b64 s[38:39], s[40:41], exec
	s_and_b64 s[34:35], s[36:37], exec
.LBB1763_134:
	s_or_b64 exec, exec, s[30:31]
	s_and_b64 s[36:37], s[38:39], exec
	s_and_b64 s[30:31], s[34:35], exec
.LBB1763_135:
	s_or_b64 exec, exec, s[28:29]
	s_and_b64 s[34:35], s[36:37], exec
	s_and_b64 s[28:29], s[30:31], exec
.LBB1763_136:
	s_or_b64 exec, exec, s[26:27]
	s_and_b64 s[30:31], s[34:35], exec
	s_and_b64 s[26:27], s[28:29], exec
.LBB1763_137:
	s_or_b64 exec, exec, s[24:25]
	s_and_b64 s[28:29], s[30:31], exec
	s_and_b64 s[24:25], s[26:27], exec
.LBB1763_138:
	s_or_b64 exec, exec, s[22:23]
	s_and_b64 s[26:27], s[28:29], exec
	s_and_b64 s[22:23], s[24:25], exec
.LBB1763_139:
	s_or_b64 exec, exec, s[20:21]
	s_and_b64 s[24:25], s[26:27], exec
	s_and_b64 s[20:21], s[22:23], exec
.LBB1763_140:
	s_or_b64 exec, exec, s[18:19]
	s_and_b64 s[22:23], s[24:25], exec
	s_and_b64 s[18:19], s[20:21], exec
.LBB1763_141:
	s_or_b64 exec, exec, s[16:17]
	s_and_b64 s[20:21], s[22:23], exec
	s_and_b64 s[16:17], s[18:19], exec
.LBB1763_142:
	s_or_b64 exec, exec, s[14:15]
	s_and_b64 s[18:19], s[20:21], exec
	s_and_b64 s[14:15], s[16:17], exec
.LBB1763_143:
	s_or_b64 exec, exec, s[12:13]
	s_and_b64 s[16:17], s[18:19], exec
	s_and_b64 s[12:13], s[14:15], exec
.LBB1763_144:
	s_or_b64 exec, exec, s[10:11]
	s_and_b64 s[14:15], s[16:17], exec
	s_and_b64 s[10:11], s[12:13], exec
.LBB1763_145:
	s_or_b64 exec, exec, s[8:9]
	s_and_b64 s[8:9], s[14:15], exec
	s_and_b64 s[10:11], s[10:11], exec
.LBB1763_146:
	s_or_b64 exec, exec, s[6:7]
	s_mov_b64 s[6:7], 0
	s_and_b64 vcc, exec, s[0:1]
	v_lshlrev_b32_e32 v56, 2, v0
	s_cbranch_vccz .LBB1763_152
.LBB1763_147:
	v_mov_b32_e32 v57, 0
	v_lshl_add_u64 v[6:7], v[4:5], 0, v[56:57]
	v_add_co_u32_e32 v8, vcc, 0x1000, v6
	s_movk_i32 s6, 0x58
	s_nop 0
	v_addc_co_u32_e32 v9, vcc, 0, v7, vcc
	flat_load_dword v1, v[6:7]
	flat_load_dword v14, v[6:7] offset:1024
	flat_load_dword v15, v[6:7] offset:2048
	;; [unrolled: 1-line block ×3, first 2 shown]
	flat_load_dword v17, v[8:9]
	flat_load_dword v18, v[8:9] offset:1024
	flat_load_dword v19, v[8:9] offset:2048
	;; [unrolled: 1-line block ×3, first 2 shown]
	v_add_co_u32_e32 v8, vcc, 0x2000, v6
	s_movk_i32 s11, 0x1000
	s_nop 0
	v_addc_co_u32_e32 v9, vcc, 0, v7, vcc
	v_add_co_u32_e32 v12, vcc, 0x3000, v6
	s_mov_b32 s0, 0
	s_nop 0
	v_addc_co_u32_e32 v13, vcc, 0, v7, vcc
	flat_load_dword v21, v[8:9]
	flat_load_dword v22, v[8:9] offset:1024
	flat_load_dword v23, v[8:9] offset:2048
	;; [unrolled: 1-line block ×3, first 2 shown]
	flat_load_dword v25, v[12:13]
	flat_load_dword v26, v[12:13] offset:1024
	flat_load_dword v27, v[12:13] offset:2048
	;; [unrolled: 1-line block ×3, first 2 shown]
	v_add_co_u32_e32 v8, vcc, 0x4000, v6
	s_movk_i32 s10, 0x2000
	s_nop 0
	v_addc_co_u32_e32 v9, vcc, 0, v7, vcc
	v_add_co_u32_e32 v6, vcc, 0x5000, v6
	s_movk_i32 s9, 0x3000
	s_nop 0
	v_addc_co_u32_e32 v7, vcc, 0, v7, vcc
	flat_load_dword v12, v[8:9]
	flat_load_dword v13, v[8:9] offset:1024
	flat_load_dword v29, v[8:9] offset:2048
	;; [unrolled: 1-line block ×3, first 2 shown]
	flat_load_dword v31, v[6:7]
	flat_load_dword v32, v[6:7] offset:1024
	flat_load_dword v33, v[6:7] offset:2048
	v_add_co_u32_e32 v4, vcc, 0x5000, v4
	s_movk_i32 s8, 0x4000
	s_nop 0
	v_addc_co_u32_e32 v5, vcc, 0, v5, vcc
	s_movk_i32 s1, 0x5000
	s_waitcnt vmcnt(0) lgkmcnt(0)
	ds_write2st64_b32 v56, v1, v14 offset1:4
	ds_write2st64_b32 v56, v15, v16 offset0:8 offset1:12
	ds_write2st64_b32 v56, v17, v18 offset0:16 offset1:20
	;; [unrolled: 1-line block ×10, first 2 shown]
	ds_write_b32 v56, v33 offset:22528
	s_waitcnt lgkmcnt(0)
	s_barrier
	flat_load_dword v1, v[4:5] offset:3072
	v_mad_u32_u24 v14, v0, s6, v56
	s_movk_i32 s6, 0xffa8
	v_mad_i32_i24 v13, v0, s6, v14
	s_movk_i32 s6, 0xff
	v_cmp_ne_u32_e32 vcc, s6, v0
	ds_read_b32 v12, v14
	ds_read2_b32 v[16:17], v14 offset0:1 offset1:2
	ds_read2_b32 v[20:21], v14 offset0:3 offset1:4
	;; [unrolled: 1-line block ×11, first 2 shown]
	s_waitcnt lgkmcnt(0)
	ds_write_b32 v13, v12 offset:24576
	s_waitcnt lgkmcnt(0)
	s_barrier
	s_and_saveexec_b64 s[6:7], vcc
	s_cbranch_execz .LBB1763_149
; %bb.148:
	s_waitcnt vmcnt(0)
	ds_read_b32 v1, v56 offset:24580
.LBB1763_149:
	s_or_b64 exec, exec, s[6:7]
	v_lshl_add_u64 v[2:3], v[2:3], 0, v[56:57]
	v_add_co_u32_e32 v18, vcc, s11, v2
	s_waitcnt lgkmcnt(0)
	s_nop 0
	v_addc_co_u32_e32 v19, vcc, 0, v3, vcc
	s_barrier
	flat_load_dword v13, v[2:3]
	flat_load_dword v15, v[2:3] offset:1024
	flat_load_dword v26, v[2:3] offset:2048
	;; [unrolled: 1-line block ×3, first 2 shown]
	flat_load_dword v30, v[18:19]
	flat_load_dword v31, v[18:19] offset:1024
	flat_load_dword v34, v[18:19] offset:2048
	;; [unrolled: 1-line block ×3, first 2 shown]
	v_add_co_u32_e32 v18, vcc, s10, v2
	s_nop 1
	v_addc_co_u32_e32 v19, vcc, 0, v3, vcc
	v_add_co_u32_e32 v22, vcc, s9, v2
	s_nop 1
	v_addc_co_u32_e32 v23, vcc, 0, v3, vcc
	flat_load_dword v38, v[18:19]
	flat_load_dword v39, v[18:19] offset:1024
	flat_load_dword v42, v[18:19] offset:2048
	;; [unrolled: 1-line block ×3, first 2 shown]
	flat_load_dword v46, v[22:23]
	flat_load_dword v47, v[22:23] offset:1024
	flat_load_dword v48, v[22:23] offset:2048
	;; [unrolled: 1-line block ×3, first 2 shown]
	v_add_co_u32_e32 v18, vcc, s8, v2
	s_nop 1
	v_addc_co_u32_e32 v19, vcc, 0, v3, vcc
	v_add_co_u32_e32 v2, vcc, s1, v2
	s_mov_b32 s1, 1
	s_nop 0
	v_addc_co_u32_e32 v3, vcc, 0, v3, vcc
	flat_load_dword v22, v[18:19]
	flat_load_dword v23, v[18:19] offset:1024
	flat_load_dword v50, v[18:19] offset:2048
	;; [unrolled: 1-line block ×3, first 2 shown]
	flat_load_dword v52, v[2:3]
	flat_load_dword v53, v[2:3] offset:1024
	flat_load_dword v54, v[2:3] offset:2048
	v_cmp_eq_u32_e32 vcc, v12, v16
	s_waitcnt vmcnt(0) lgkmcnt(0)
	ds_write2st64_b32 v56, v13, v15 offset1:4
	ds_write2st64_b32 v56, v26, v27 offset0:8 offset1:12
	ds_write2st64_b32 v56, v30, v31 offset0:16 offset1:20
	;; [unrolled: 1-line block ×10, first 2 shown]
	ds_write_b32 v56, v54 offset:22528
	s_waitcnt lgkmcnt(0)
	s_barrier
	ds_read2_b32 v[18:19], v14 offset0:1 offset1:2
	ds_read2_b32 v[22:23], v14 offset0:3 offset1:4
	;; [unrolled: 1-line block ×11, first 2 shown]
	v_mov_b64_e32 v[12:13], s[0:1]
	v_mov_b32_e32 v15, s74
	s_and_saveexec_b64 s[0:1], vcc
	s_cbranch_execz .LBB1763_151
; %bb.150:
	ds_read_b32 v15, v14
	v_mov_b64_e32 v[12:13], 0
.LBB1763_151:
	s_or_b64 exec, exec, s[0:1]
	v_mov_b32_e32 v57, s74
	v_cmp_eq_u32_e32 vcc, v16, v17
	s_waitcnt lgkmcnt(0)
	v_or_b32_e32 v12, v12, v15
	v_cmp_ne_u32_e64 s[8:9], v5, v1
	v_cndmask_b32_e32 v14, v57, v18, vcc
	v_cmp_ne_u32_e32 vcc, v16, v17
	s_mov_b64 s[10:11], -1
                                        ; implicit-def: $sgpr6_sgpr7
	s_nop 0
	v_cndmask_b32_e64 v15, 0, 1, vcc
	v_cmp_eq_u32_e32 vcc, v17, v20
	s_nop 1
	v_cndmask_b32_e32 v16, v57, v19, vcc
	v_cmp_ne_u32_e32 vcc, v17, v20
	s_nop 1
	v_cndmask_b32_e64 v17, 0, 1, vcc
	v_cmp_eq_u32_e32 vcc, v20, v21
	s_nop 1
	v_cndmask_b32_e32 v18, v57, v22, vcc
	v_cmp_ne_u32_e32 vcc, v20, v21
	;; [unrolled: 6-line block ×18, first 2 shown]
	v_cndmask_b32_e64 v6, v3, v57, s[8:9]
	s_nop 0
	v_cndmask_b32_e64 v51, 0, 1, vcc
	v_cmp_eq_u32_e32 vcc, v7, v4
	s_nop 1
	v_cndmask_b32_e32 v52, v57, v53, vcc
	v_cmp_ne_u32_e32 vcc, v7, v4
	s_nop 1
	v_cndmask_b32_e64 v53, 0, 1, vcc
	v_cmp_eq_u32_e32 vcc, v4, v5
	s_nop 1
	v_cndmask_b32_e32 v54, v57, v2, vcc
	v_cmp_ne_u32_e32 vcc, v4, v5
	s_nop 1
	v_cndmask_b32_e64 v55, 0, 1, vcc
.LBB1763_152:
	v_mov_b64_e32 v[58:59], s[6:7]
	s_and_saveexec_b64 s[0:1], s[10:11]
; %bb.153:
	v_cndmask_b32_e64 v7, 0, 1, s[8:9]
	v_mov_b64_e32 v[58:59], v[6:7]
; %bb.154:
	s_or_b64 exec, exec, s[0:1]
	s_mov_b32 s0, 0
	s_cmp_lg_u32 s67, 0
	v_or_b32_e32 v57, v59, v55
	v_lshrrev_b32_e32 v1, 5, v0
	v_cmp_gt_u32_e32 vcc, 64, v0
	s_barrier
	s_cbranch_scc0 .LBB1763_193
; %bb.155:
	s_mov_b32 s1, 1
	v_cmp_gt_u64_e64 s[6:7], s[0:1], v[14:15]
	v_cmp_gt_u64_e64 s[8:9], s[0:1], v[16:17]
	v_cmp_gt_u64_e64 s[10:11], s[0:1], v[18:19]
	v_cndmask_b32_e64 v2, 0, v12, s[6:7]
	v_add_u32_e32 v2, v2, v14
	v_cndmask_b32_e64 v2, 0, v2, s[8:9]
	v_add_u32_e32 v2, v2, v16
	v_cndmask_b32_e64 v2, 0, v2, s[10:11]
	v_add_u32_e32 v2, v2, v18
	v_cmp_gt_u64_e64 s[12:13], s[0:1], v[20:21]
	v_cmp_gt_u64_e64 s[14:15], s[0:1], v[22:23]
	v_cmp_gt_u64_e64 s[16:17], s[0:1], v[24:25]
	v_cndmask_b32_e64 v2, 0, v2, s[12:13]
	v_add_u32_e32 v2, v2, v20
	v_cndmask_b32_e64 v2, 0, v2, s[14:15]
	v_add_u32_e32 v2, v2, v22
	v_cndmask_b32_e64 v2, 0, v2, s[16:17]
	v_add_u32_e32 v2, v2, v24
	;; [unrolled: 9-line block ×7, first 2 shown]
	v_cmp_gt_u64_e64 s[0:1], s[0:1], v[58:59]
	s_nop 1
	v_cndmask_b32_e64 v2, 0, v2, s[0:1]
	v_add_u32_e32 v64, v2, v58
	v_or3_b32 v2, v57, v53, v51
	v_or3_b32 v2, v2, v49, v47
	v_or3_b32 v2, v2, v45, v43
	v_or3_b32 v2, v2, v41, v39
	v_or3_b32 v2, v2, v37, v35
	v_or3_b32 v2, v2, v33, v31
	v_or3_b32 v2, v2, v29, v27
	v_or3_b32 v2, v2, v25, v23
	v_or3_b32 v2, v2, v21, v19
	v_or3_b32 v2, v2, v17, v15
	v_and_b32_e32 v2, 1, v2
	v_cmp_eq_u32_e64 s[0:1], 1, v2
	v_add_lshl_u32 v2, v1, v0, 3
	s_nop 0
	v_cndmask_b32_e64 v65, v13, 1, s[0:1]
	ds_write_b32 v2, v64
	ds_write_b8 v2, v65 offset:4
	s_waitcnt lgkmcnt(0)
	s_barrier
	s_and_saveexec_b64 s[50:51], vcc
	s_cbranch_execz .LBB1763_167
; %bb.156:
	v_lshrrev_b32_e32 v2, 3, v0
	v_add_lshl_u32 v4, v2, v56, 3
	ds_read2_b32 v[6:7], v4 offset0:2 offset1:4
	ds_read_b64 v[2:3], v4
	ds_read_u8 v8, v4 offset:12
	ds_read_u8 v9, v4 offset:20
	ds_read_b32 v60, v4 offset:24
	ds_read_u8 v61, v4 offset:28
	v_mov_b32_e32 v62, 0
	s_waitcnt lgkmcnt(3)
	v_cmp_eq_u16_sdwa s[0:1], v8, v62 src0_sel:BYTE_0 src1_sel:DWORD
	v_and_b32_e32 v5, 1, v3
	s_nop 0
	v_cndmask_b32_e64 v63, 0, v2, s[0:1]
	v_add_u32_e32 v6, v63, v6
	s_waitcnt lgkmcnt(2)
	v_cmp_eq_u16_sdwa s[0:1], v9, v62 src0_sel:BYTE_0 src1_sel:DWORD
	s_nop 1
	v_cndmask_b32_e64 v6, 0, v6, s[0:1]
	v_add_u32_e32 v6, v6, v7
	s_waitcnt lgkmcnt(0)
	v_cmp_eq_u16_e64 s[0:1], 0, v61
	s_nop 1
	v_cndmask_b32_e64 v6, 0, v6, s[0:1]
	v_add_u32_e32 v7, v6, v60
	v_or_b32_e32 v6, v61, v9
	v_or_b32_e32 v6, v6, v8
	v_and_b32_e32 v6, 1, v6
	v_cmp_eq_u32_e64 s[0:1], 1, v6
	v_mbcnt_lo_u32_b32 v8, -1, 0
	v_and_b32_e32 v6, 0xffffff00, v3
	v_cndmask_b32_e64 v9, v5, 1, s[0:1]
	v_mbcnt_hi_u32_b32 v8, -1, v8
	v_and_b32_e32 v61, 15, v8
	v_or_b32_sdwa v60, v6, v9 dst_sel:DWORD dst_unused:UNUSED_PAD src0_sel:DWORD src1_sel:WORD_0
	v_mov_b32_dpp v62, v7 row_shr:1 row_mask:0xf bank_mask:0xf
	v_cmp_ne_u32_e64 s[0:1], 0, v61
	v_mov_b32_dpp v63, v60 row_shr:1 row_mask:0xf bank_mask:0xf
	s_and_saveexec_b64 s[56:57], s[0:1]
; %bb.157:
	v_and_b32_e32 v60, 1, v9
	v_and_b32_e32 v63, 1, v63
	v_cmp_eq_u32_e64 s[0:1], 1, v60
	s_nop 1
	v_cndmask_b32_e64 v63, v63, 1, s[0:1]
	v_cmp_eq_u16_e64 s[0:1], 0, v9
	v_or_b32_sdwa v60, v6, v63 dst_sel:DWORD dst_unused:UNUSED_PAD src0_sel:DWORD src1_sel:WORD_0
	s_nop 0
	v_cndmask_b32_e64 v9, 0, v62, s[0:1]
	v_add_u32_e32 v7, v9, v7
	v_mov_b32_e32 v9, v63
; %bb.158:
	s_or_b64 exec, exec, s[56:57]
	v_mov_b32_dpp v62, v7 row_shr:2 row_mask:0xf bank_mask:0xf
	v_mov_b32_dpp v63, v60 row_shr:2 row_mask:0xf bank_mask:0xf
	v_cmp_lt_u32_e64 s[0:1], 1, v61
	s_and_saveexec_b64 s[56:57], s[0:1]
; %bb.159:
	v_and_b32_e32 v60, 1, v9
	v_and_b32_e32 v63, 1, v63
	v_cmp_eq_u32_e64 s[0:1], 1, v60
	s_nop 1
	v_cndmask_b32_e64 v63, v63, 1, s[0:1]
	v_cmp_eq_u16_e64 s[0:1], 0, v9
	v_or_b32_sdwa v60, v6, v63 dst_sel:DWORD dst_unused:UNUSED_PAD src0_sel:DWORD src1_sel:WORD_0
	s_nop 0
	v_cndmask_b32_e64 v9, 0, v62, s[0:1]
	v_add_u32_e32 v7, v9, v7
	v_mov_b32_e32 v9, v63
; %bb.160:
	s_or_b64 exec, exec, s[56:57]
	v_mov_b32_dpp v62, v7 row_shr:4 row_mask:0xf bank_mask:0xf
	v_mov_b32_dpp v63, v60 row_shr:4 row_mask:0xf bank_mask:0xf
	v_cmp_lt_u32_e64 s[0:1], 3, v61
	;; [unrolled: 18-line block ×3, first 2 shown]
	s_and_saveexec_b64 s[56:57], s[0:1]
; %bb.163:
	v_and_b32_e32 v60, 1, v9
	v_and_b32_e32 v61, 1, v63
	v_cmp_eq_u32_e64 s[0:1], 1, v60
	s_nop 1
	v_cndmask_b32_e64 v61, v61, 1, s[0:1]
	v_cmp_eq_u16_e64 s[0:1], 0, v9
	v_or_b32_sdwa v60, v6, v61 dst_sel:DWORD dst_unused:UNUSED_PAD src0_sel:DWORD src1_sel:WORD_0
	s_nop 0
	v_cndmask_b32_e64 v9, 0, v62, s[0:1]
	v_add_u32_e32 v7, v9, v7
	v_mov_b32_e32 v9, v61
; %bb.164:
	s_or_b64 exec, exec, s[56:57]
	v_and_b32_e32 v63, 16, v8
	v_mov_b32_dpp v61, v7 row_bcast:15 row_mask:0xf bank_mask:0xf
	v_mov_b32_dpp v62, v60 row_bcast:15 row_mask:0xf bank_mask:0xf
	v_cmp_ne_u32_e64 s[0:1], 0, v63
	s_and_saveexec_b64 s[56:57], s[0:1]
; %bb.165:
	v_and_b32_e32 v60, 1, v9
	v_and_b32_e32 v62, 1, v62
	v_cmp_eq_u32_e64 s[0:1], 1, v60
	s_nop 1
	v_cndmask_b32_e64 v62, v62, 1, s[0:1]
	v_cmp_eq_u16_e64 s[0:1], 0, v9
	v_or_b32_sdwa v60, v6, v62 dst_sel:DWORD dst_unused:UNUSED_PAD src0_sel:DWORD src1_sel:WORD_0
	s_nop 0
	v_cndmask_b32_e64 v9, 0, v61, s[0:1]
	v_add_u32_e32 v7, v9, v7
	v_mov_b32_e32 v9, v62
; %bb.166:
	s_or_b64 exec, exec, s[56:57]
	v_mov_b32_dpp v60, v60 row_bcast:31 row_mask:0xf bank_mask:0xf
	v_and_b32_e32 v62, 1, v9
	v_and_b32_e32 v60, 1, v60
	v_cmp_eq_u32_e64 s[0:1], 1, v62
	v_mov_b32_e32 v62, 0
	v_cmp_eq_u16_sdwa s[56:57], v9, v62 src0_sel:BYTE_0 src1_sel:DWORD
	v_cndmask_b32_e64 v60, v60, 1, s[0:1]
	v_cmp_lt_u32_e64 s[0:1], 31, v8
	v_mov_b32_dpp v61, v7 row_bcast:31 row_mask:0xf bank_mask:0xf
	s_movk_i32 s58, 0xff
	v_cndmask_b32_e64 v9, v9, v60, s[0:1]
	s_and_b64 s[0:1], s[0:1], s[56:57]
	v_cndmask_b32_e64 v60, 0, v61, s[0:1]
	v_add_u32_e32 v7, v60, v7
	v_add_u32_e32 v60, -1, v8
	v_and_b32_e32 v61, 64, v8
	v_cmp_lt_i32_e64 s[0:1], v60, v61
	v_and_or_b32 v6, v9, s58, v6
	s_nop 0
	v_cndmask_b32_e64 v8, v60, v8, s[0:1]
	v_lshlrev_b32_e32 v8, 2, v8
	ds_bpermute_b32 v7, v8, v7
	ds_bpermute_b32 v6, v8, v6
	v_cmp_eq_u16_sdwa s[0:1], v3, v62 src0_sel:BYTE_0 src1_sel:DWORD
	; wave barrier
	s_waitcnt lgkmcnt(1)
	s_nop 0
	v_cndmask_b32_e64 v3, 0, v7, s[0:1]
	v_add_u32_e32 v2, v3, v2
	s_waitcnt lgkmcnt(0)
	v_and_b32_e32 v3, 1, v6
	v_cmp_eq_u32_e64 s[0:1], 1, v5
	v_cndmask_b32_e64 v5, v2, v64, s[52:53]
	s_nop 0
	v_cndmask_b32_e64 v3, v3, 1, s[0:1]
	v_cndmask_b32_e64 v6, v3, v65, s[52:53]
	ds_write_b32 v4, v5
	ds_write_b8 v4, v6 offset:4
	; wave barrier
	ds_read_u8 v7, v4 offset:12
	ds_read2_b32 v[2:3], v4 offset0:2 offset1:4
	ds_read_u8 v8, v4 offset:20
	ds_read_b32 v9, v4 offset:24
	ds_read_u8 v60, v4 offset:28
	s_waitcnt lgkmcnt(4)
	v_cmp_eq_u16_e64 s[0:1], 0, v7
	s_nop 1
	v_cndmask_b32_e64 v5, 0, v5, s[0:1]
	s_waitcnt lgkmcnt(3)
	v_add_u32_e32 v2, v5, v2
	v_and_b32_e32 v5, 1, v7
	v_cmp_eq_u32_e64 s[0:1], 1, v5
	s_nop 1
	v_cndmask_b32_e64 v5, v6, 1, s[0:1]
	s_waitcnt lgkmcnt(2)
	v_cmp_eq_u16_e64 s[0:1], 0, v8
	ds_write_b8 v4, v5 offset:12
	s_nop 0
	v_cndmask_b32_e64 v6, 0, v2, s[0:1]
	v_add_u32_e32 v3, v6, v3
	v_and_b32_e32 v6, 1, v8
	v_cmp_eq_u32_e64 s[0:1], 1, v6
	s_nop 1
	v_cndmask_b32_e64 v5, v5, 1, s[0:1]
	s_waitcnt lgkmcnt(1)
	v_cmp_eq_u16_e64 s[0:1], 0, v60
	ds_write2_b32 v4, v2, v3 offset0:2 offset1:4
	ds_write_b8 v4, v5 offset:20
	v_cndmask_b32_e64 v2, 0, v3, s[0:1]
	v_and_b32_e32 v3, 1, v60
	v_add_u32_e32 v2, v2, v9
	v_cmp_eq_u32_e64 s[0:1], 1, v3
	s_nop 1
	v_cndmask_b32_e64 v3, v5, 1, s[0:1]
	ds_write_b32 v4, v2 offset:24
	ds_write_b8 v4, v3 offset:28
.LBB1763_167:
	s_or_b64 exec, exec, s[50:51]
	s_waitcnt lgkmcnt(0)
	s_barrier
	s_and_saveexec_b64 s[0:1], s[4:5]
	s_cbranch_execz .LBB1763_169
; %bb.168:
	v_add_u32_e32 v2, -1, v0
	v_lshrrev_b32_e32 v3, 5, v2
	v_add_lshl_u32 v2, v3, v2, 3
	ds_read_b32 v64, v2
	ds_read_u8 v65, v2 offset:4
.LBB1763_169:
	s_or_b64 exec, exec, s[0:1]
	s_and_saveexec_b64 s[56:57], vcc
	s_cbranch_execz .LBB1763_192
; %bb.170:
	v_mov_b32_e32 v5, 0
	ds_read_b64 v[2:3], v5 offset:2096
	v_mbcnt_lo_u32_b32 v4, -1, 0
	v_mbcnt_hi_u32_b32 v75, -1, v4
	s_mov_b32 s59, 0
	v_cmp_eq_u32_e64 s[50:51], 0, v75
	s_waitcnt lgkmcnt(0)
	v_readfirstlane_b32 s68, v3
	s_and_saveexec_b64 s[0:1], s[50:51]
	s_cbranch_execz .LBB1763_172
; %bb.171:
	s_add_i32 s58, s67, 64
	s_lshl_b64 s[60:61], s[58:59], 4
	s_add_u32 s60, s64, s60
	s_addc_u32 s61, s65, s61
	s_and_b32 s77, s68, 0xff000000
	s_mov_b32 s76, s59
	s_and_b32 s79, s68, 0xff0000
	s_mov_b32 s78, s59
	s_or_b64 s[76:77], s[78:79], s[76:77]
	s_and_b32 s79, s68, 0xff00
	s_or_b64 s[76:77], s[76:77], s[78:79]
	s_and_b32 s79, s68, 0xff
	s_or_b64 s[58:59], s[76:77], s[78:79]
	v_mov_b32_e32 v3, s59
	v_mov_b32_e32 v4, 1
	v_mov_b64_e32 v[6:7], s[60:61]
	;;#ASMSTART
	global_store_dwordx4 v[6:7], v[2:5] off sc1	
s_waitcnt vmcnt(0)
	;;#ASMEND
.LBB1763_172:
	s_or_b64 exec, exec, s[0:1]
	v_xad_u32 v60, v75, -1, s67
	v_add_u32_e32 v4, 64, v60
	v_lshl_add_u64 v[62:63], v[4:5], 4, s[64:65]
	;;#ASMSTART
	global_load_dwordx4 v[6:9], v[62:63] off sc1	
s_waitcnt vmcnt(0)
	;;#ASMEND
	s_nop 0
	v_and_b32_e32 v3, 0xff0000, v6
	v_and_b32_e32 v4, 0xff000000, v6
	;; [unrolled: 1-line block ×3, first 2 shown]
	v_or_b32_sdwa v3, v6, v3 dst_sel:DWORD dst_unused:UNUSED_PAD src0_sel:WORD_0 src1_sel:DWORD
	v_or3_b32 v7, 0, 0, v7
	v_or3_b32 v6, v3, v4, 0
	v_cmp_eq_u16_sdwa s[58:59], v8, v5 src0_sel:BYTE_0 src1_sel:DWORD
	s_and_saveexec_b64 s[0:1], s[58:59]
	s_cbranch_execz .LBB1763_178
; %bb.173:
	s_mov_b32 s60, 1
	s_mov_b64 s[58:59], 0
	v_mov_b32_e32 v3, 0
.LBB1763_174:                           ; =>This Loop Header: Depth=1
                                        ;     Child Loop BB1763_175 Depth 2
	s_max_u32 s61, s60, 1
.LBB1763_175:                           ;   Parent Loop BB1763_174 Depth=1
                                        ; =>  This Inner Loop Header: Depth=2
	s_add_i32 s61, s61, -1
	s_cmp_eq_u32 s61, 0
	s_sleep 1
	s_cbranch_scc0 .LBB1763_175
; %bb.176:                              ;   in Loop: Header=BB1763_174 Depth=1
	s_cmp_lt_u32 s60, 32
	s_cselect_b64 s[76:77], -1, 0
	s_cmp_lg_u64 s[76:77], 0
	s_addc_u32 s60, s60, 0
	;;#ASMSTART
	global_load_dwordx4 v[6:9], v[62:63] off sc1	
s_waitcnt vmcnt(0)
	;;#ASMEND
	s_nop 0
	v_cmp_ne_u16_sdwa s[76:77], v8, v3 src0_sel:BYTE_0 src1_sel:DWORD
	s_or_b64 s[58:59], s[76:77], s[58:59]
	s_andn2_b64 exec, exec, s[58:59]
	s_cbranch_execnz .LBB1763_174
; %bb.177:
	s_or_b64 exec, exec, s[58:59]
	v_and_b32_e32 v7, 0xff, v7
.LBB1763_178:
	s_or_b64 exec, exec, s[0:1]
	v_mov_b32_e32 v3, 2
	v_cmp_eq_u16_sdwa s[0:1], v8, v3 src0_sel:BYTE_0 src1_sel:DWORD
	v_lshlrev_b64 v[4:5], v75, -1
	v_and_b32_e32 v66, 63, v75
	v_and_b32_e32 v9, s1, v5
	v_or_b32_e32 v9, 0x80000000, v9
	v_and_b32_e32 v61, s0, v4
	v_ffbl_b32_e32 v9, v9
	v_add_u32_e32 v9, 32, v9
	v_ffbl_b32_e32 v61, v61
	v_cmp_ne_u32_e32 vcc, 63, v66
	v_min_u32_e32 v9, v61, v9
	s_mov_b32 s58, 0
	v_addc_co_u32_e32 v61, vcc, 0, v75, vcc
	v_lshlrev_b32_e32 v67, 2, v61
	ds_bpermute_b32 v61, v67, v7
	ds_bpermute_b32 v62, v67, v6
	v_and_b32_e32 v63, 1, v7
	s_mov_b32 s59, 1
	v_cmp_eq_u32_e32 vcc, 1, v63
	s_waitcnt lgkmcnt(1)
	v_and_b32_e32 v61, 1, v61
	v_cmp_lt_u32_e64 s[0:1], v66, v9
	v_cndmask_b32_e64 v61, v61, 1, vcc
	v_cmp_gt_u64_e32 vcc, s[58:59], v[6:7]
	s_and_b64 vcc, s[0:1], vcc
	v_and_b32_e32 v63, 0xffff, v61
	v_cndmask_b32_e64 v70, v7, v61, s[0:1]
	s_waitcnt lgkmcnt(0)
	v_cndmask_b32_e32 v61, 0, v62, vcc
	v_cmp_gt_u32_e32 vcc, 62, v66
	v_cndmask_b32_e64 v7, v7, v63, s[0:1]
	v_add_u32_e32 v6, v61, v6
	v_cndmask_b32_e64 v62, 0, 1, vcc
	v_lshlrev_b32_e32 v62, 1, v62
	v_add_lshl_u32 v68, v62, v75, 2
	ds_bpermute_b32 v62, v68, v7
	ds_bpermute_b32 v63, v68, v6
	v_and_b32_e32 v61, 1, v70
	v_cmp_eq_u32_e32 vcc, 1, v61
	v_mov_b32_e32 v61, 0
	s_waitcnt lgkmcnt(1)
	v_and_b32_e32 v62, 1, v62
	v_add_u32_e32 v69, 2, v66
	v_cndmask_b32_e64 v62, v62, 1, vcc
	v_cmp_eq_u16_sdwa vcc, v70, v61 src0_sel:BYTE_0 src1_sel:DWORD
	v_and_b32_e32 v71, 0xffff, v62
	v_add_u32_e32 v79, 32, v66
	s_waitcnt lgkmcnt(0)
	v_cndmask_b32_e32 v63, 0, v63, vcc
	v_cmp_gt_u32_e32 vcc, v69, v9
	s_nop 1
	v_cndmask_b32_e32 v62, v62, v70, vcc
	v_cndmask_b32_e64 v63, v63, 0, vcc
	v_cndmask_b32_e32 v7, v71, v7, vcc
	v_cmp_gt_u32_e32 vcc, 60, v66
	v_add_u32_e32 v6, v63, v6
	v_and_b32_e32 v73, 1, v62
	v_cndmask_b32_e64 v70, 0, 1, vcc
	v_lshlrev_b32_e32 v70, 2, v70
	v_add_lshl_u32 v70, v70, v75, 2
	ds_bpermute_b32 v72, v70, v7
	ds_bpermute_b32 v63, v70, v6
	v_cmp_eq_u32_e32 vcc, 1, v73
	v_add_u32_e32 v71, 4, v66
	s_waitcnt lgkmcnt(1)
	v_and_b32_e32 v72, 1, v72
	v_cndmask_b32_e64 v72, v72, 1, vcc
	v_cmp_eq_u16_sdwa vcc, v62, v61 src0_sel:BYTE_0 src1_sel:DWORD
	v_and_b32_e32 v73, 0xffff, v72
	s_waitcnt lgkmcnt(0)
	v_cndmask_b32_e32 v63, 0, v63, vcc
	v_cmp_gt_u32_e32 vcc, v71, v9
	s_nop 1
	v_cndmask_b32_e32 v62, v72, v62, vcc
	v_cndmask_b32_e64 v63, v63, 0, vcc
	v_cndmask_b32_e32 v7, v73, v7, vcc
	v_cmp_gt_u32_e32 vcc, 56, v66
	v_add_u32_e32 v6, v63, v6
	v_and_b32_e32 v76, 1, v62
	v_cndmask_b32_e64 v72, 0, 1, vcc
	v_lshlrev_b32_e32 v72, 3, v72
	v_add_lshl_u32 v72, v72, v75, 2
	ds_bpermute_b32 v74, v72, v7
	ds_bpermute_b32 v63, v72, v6
	v_cmp_eq_u32_e32 vcc, 1, v76
	v_add_u32_e32 v73, 8, v66
	s_waitcnt lgkmcnt(1)
	v_and_b32_e32 v74, 1, v74
	v_cndmask_b32_e64 v74, v74, 1, vcc
	v_cmp_eq_u16_sdwa vcc, v62, v61 src0_sel:BYTE_0 src1_sel:DWORD
	v_and_b32_e32 v76, 0xffff, v74
	;; [unrolled: 22-line block ×3, first 2 shown]
	s_waitcnt lgkmcnt(0)
	v_cndmask_b32_e32 v63, 0, v63, vcc
	v_cmp_gt_u32_e32 vcc, v76, v9
	s_nop 1
	v_cndmask_b32_e32 v62, v77, v62, vcc
	v_cndmask_b32_e64 v63, v63, 0, vcc
	v_cndmask_b32_e32 v7, v78, v7, vcc
	v_cmp_gt_u32_e32 vcc, 32, v66
	v_add_u32_e32 v6, v63, v6
	s_nop 0
	v_cndmask_b32_e64 v77, 0, 1, vcc
	v_lshlrev_b32_e32 v77, 5, v77
	v_add_lshl_u32 v78, v77, v75, 2
	ds_bpermute_b32 v7, v78, v7
	ds_bpermute_b32 v63, v78, v6
	v_and_b32_e32 v75, 1, v62
	v_cmp_eq_u32_e32 vcc, 1, v75
	s_waitcnt lgkmcnt(1)
	v_and_b32_e32 v7, 1, v7
	v_cndmask_b32_e64 v7, v7, 1, vcc
	v_cmp_eq_u16_sdwa vcc, v62, v61 src0_sel:BYTE_0 src1_sel:DWORD
	s_waitcnt lgkmcnt(0)
	s_nop 0
	v_cndmask_b32_e32 v63, 0, v63, vcc
	v_cmp_gt_u32_e32 vcc, v79, v9
	s_nop 1
	v_cndmask_b32_e64 v9, v63, 0, vcc
	v_cndmask_b32_e32 v7, v7, v62, vcc
	v_add_u32_e32 v6, v9, v6
	s_branch .LBB1763_180
.LBB1763_179:                           ;   in Loop: Header=BB1763_180 Depth=1
	s_or_b64 exec, exec, s[0:1]
	v_cmp_eq_u16_sdwa s[0:1], v8, v3 src0_sel:BYTE_0 src1_sel:DWORD
	ds_bpermute_b32 v63, v67, v7
	v_and_b32_e32 v80, 1, v7
	v_and_b32_e32 v9, s1, v5
	v_or_b32_e32 v9, 0x80000000, v9
	v_and_b32_e32 v62, s0, v4
	v_ffbl_b32_e32 v9, v9
	v_add_u32_e32 v9, 32, v9
	v_ffbl_b32_e32 v62, v62
	v_min_u32_e32 v9, v62, v9
	ds_bpermute_b32 v62, v67, v6
	s_waitcnt lgkmcnt(1)
	v_and_b32_e32 v63, 1, v63
	v_cmp_eq_u32_e32 vcc, 1, v80
	v_cmp_lt_u32_e64 s[0:1], v66, v9
	v_subrev_u32_e32 v60, 64, v60
	v_cndmask_b32_e64 v63, v63, 1, vcc
	v_cmp_gt_u64_e32 vcc, s[58:59], v[6:7]
	v_and_b32_e32 v80, 0xffff, v63
	v_cndmask_b32_e64 v63, v7, v63, s[0:1]
	v_cndmask_b32_e64 v7, v7, v80, s[0:1]
	s_and_b64 vcc, s[0:1], vcc
	ds_bpermute_b32 v80, v68, v7
	s_waitcnt lgkmcnt(1)
	v_cndmask_b32_e32 v62, 0, v62, vcc
	v_add_u32_e32 v6, v62, v6
	ds_bpermute_b32 v62, v68, v6
	v_and_b32_e32 v81, 1, v63
	s_waitcnt lgkmcnt(1)
	v_and_b32_e32 v80, 1, v80
	v_cmp_eq_u32_e32 vcc, 1, v81
	s_nop 1
	v_cndmask_b32_e64 v80, v80, 1, vcc
	v_cmp_eq_u16_sdwa vcc, v63, v61 src0_sel:BYTE_0 src1_sel:DWORD
	v_and_b32_e32 v81, 0xffff, v80
	s_waitcnt lgkmcnt(0)
	v_cndmask_b32_e32 v62, 0, v62, vcc
	v_cmp_gt_u32_e32 vcc, v69, v9
	s_nop 1
	v_cndmask_b32_e32 v7, v81, v7, vcc
	v_cndmask_b32_e32 v63, v80, v63, vcc
	ds_bpermute_b32 v80, v70, v7
	v_cndmask_b32_e64 v62, v62, 0, vcc
	v_add_u32_e32 v6, v62, v6
	ds_bpermute_b32 v62, v70, v6
	v_and_b32_e32 v81, 1, v63
	s_waitcnt lgkmcnt(1)
	v_and_b32_e32 v80, 1, v80
	v_cmp_eq_u32_e32 vcc, 1, v81
	s_nop 1
	v_cndmask_b32_e64 v80, v80, 1, vcc
	v_cmp_eq_u16_sdwa vcc, v63, v61 src0_sel:BYTE_0 src1_sel:DWORD
	v_and_b32_e32 v81, 0xffff, v80
	s_waitcnt lgkmcnt(0)
	v_cndmask_b32_e32 v62, 0, v62, vcc
	v_cmp_gt_u32_e32 vcc, v71, v9
	s_nop 1
	v_cndmask_b32_e32 v7, v81, v7, vcc
	v_cndmask_b32_e32 v63, v80, v63, vcc
	ds_bpermute_b32 v80, v72, v7
	v_cndmask_b32_e64 v62, v62, 0, vcc
	;; [unrolled: 18-line block ×3, first 2 shown]
	v_add_u32_e32 v6, v62, v6
	ds_bpermute_b32 v62, v74, v6
	v_and_b32_e32 v81, 1, v63
	s_waitcnt lgkmcnt(1)
	v_and_b32_e32 v80, 1, v80
	v_cmp_eq_u32_e32 vcc, 1, v81
	s_nop 1
	v_cndmask_b32_e64 v80, v80, 1, vcc
	v_cmp_eq_u16_sdwa vcc, v63, v61 src0_sel:BYTE_0 src1_sel:DWORD
	v_and_b32_e32 v81, 0xffff, v80
	s_waitcnt lgkmcnt(0)
	v_cndmask_b32_e32 v62, 0, v62, vcc
	v_cmp_gt_u32_e32 vcc, v76, v9
	s_nop 1
	v_cndmask_b32_e64 v62, v62, 0, vcc
	v_cndmask_b32_e32 v7, v81, v7, vcc
	ds_bpermute_b32 v7, v78, v7
	v_add_u32_e32 v6, v62, v6
	ds_bpermute_b32 v62, v78, v6
	v_cndmask_b32_e32 v63, v80, v63, vcc
	v_and_b32_e32 v80, 1, v63
	v_cmp_eq_u32_e32 vcc, 1, v80
	s_waitcnt lgkmcnt(1)
	s_nop 0
	v_cndmask_b32_e64 v7, v7, 1, vcc
	v_cmp_eq_u16_sdwa vcc, v63, v61 src0_sel:BYTE_0 src1_sel:DWORD
	s_waitcnt lgkmcnt(0)
	s_nop 0
	v_cndmask_b32_e32 v62, 0, v62, vcc
	v_cmp_gt_u32_e32 vcc, v79, v9
	s_nop 1
	v_cndmask_b32_e64 v9, v62, 0, vcc
	v_cndmask_b32_e32 v7, v7, v63, vcc
	v_add_u32_e32 v6, v9, v6
	v_cmp_eq_u16_sdwa vcc, v75, v61 src0_sel:BYTE_0 src1_sel:DWORD
	v_and_b32_e32 v9, 1, v75
	v_and_b32_e32 v7, 1, v7
	v_cndmask_b32_e32 v6, 0, v6, vcc
	v_cmp_eq_u32_e32 vcc, 1, v9
	v_add_u32_e32 v6, v6, v77
	s_nop 0
	v_cndmask_b32_e64 v7, v7, 1, vcc
.LBB1763_180:                           ; =>This Loop Header: Depth=1
                                        ;     Child Loop BB1763_183 Depth 2
                                        ;       Child Loop BB1763_184 Depth 3
	v_cmp_ne_u16_sdwa s[0:1], v8, v3 src0_sel:BYTE_0 src1_sel:DWORD
	v_mov_b32_e32 v75, v7
	v_mov_b32_e32 v77, v6
	v_cndmask_b32_e64 v7, 0, 1, s[0:1]
	;;#ASMSTART
	;;#ASMEND
	s_nop 0
	v_cmp_ne_u32_e32 vcc, 0, v7
	s_cmp_lg_u64 vcc, exec
	s_cbranch_scc1 .LBB1763_187
; %bb.181:                              ;   in Loop: Header=BB1763_180 Depth=1
	v_lshl_add_u64 v[62:63], v[60:61], 4, s[64:65]
	;;#ASMSTART
	global_load_dwordx4 v[6:9], v[62:63] off sc1	
s_waitcnt vmcnt(0)
	;;#ASMEND
	s_nop 0
	v_and_b32_e32 v9, 0xff0000, v6
	v_and_b32_e32 v80, 0xff000000, v6
	;; [unrolled: 1-line block ×3, first 2 shown]
	v_or_b32_sdwa v6, v6, v9 dst_sel:DWORD dst_unused:UNUSED_PAD src0_sel:WORD_0 src1_sel:DWORD
	v_or3_b32 v7, 0, 0, v7
	v_or3_b32 v6, v6, v80, 0
	v_cmp_eq_u16_sdwa s[60:61], v8, v61 src0_sel:BYTE_0 src1_sel:DWORD
	s_and_saveexec_b64 s[0:1], s[60:61]
	s_cbranch_execz .LBB1763_179
; %bb.182:                              ;   in Loop: Header=BB1763_180 Depth=1
	s_mov_b32 s69, 1
	s_mov_b64 s[60:61], 0
.LBB1763_183:                           ;   Parent Loop BB1763_180 Depth=1
                                        ; =>  This Loop Header: Depth=2
                                        ;       Child Loop BB1763_184 Depth 3
	s_max_u32 s75, s69, 1
.LBB1763_184:                           ;   Parent Loop BB1763_180 Depth=1
                                        ;     Parent Loop BB1763_183 Depth=2
                                        ; =>    This Inner Loop Header: Depth=3
	s_add_i32 s75, s75, -1
	s_cmp_eq_u32 s75, 0
	s_sleep 1
	s_cbranch_scc0 .LBB1763_184
; %bb.185:                              ;   in Loop: Header=BB1763_183 Depth=2
	s_cmp_lt_u32 s69, 32
	s_cselect_b64 s[76:77], -1, 0
	s_cmp_lg_u64 s[76:77], 0
	s_addc_u32 s69, s69, 0
	;;#ASMSTART
	global_load_dwordx4 v[6:9], v[62:63] off sc1	
s_waitcnt vmcnt(0)
	;;#ASMEND
	s_nop 0
	v_cmp_ne_u16_sdwa s[76:77], v8, v61 src0_sel:BYTE_0 src1_sel:DWORD
	s_or_b64 s[60:61], s[76:77], s[60:61]
	s_andn2_b64 exec, exec, s[60:61]
	s_cbranch_execnz .LBB1763_183
; %bb.186:                              ;   in Loop: Header=BB1763_180 Depth=1
	s_or_b64 exec, exec, s[60:61]
	v_and_b32_e32 v7, 0xff, v7
	s_branch .LBB1763_179
.LBB1763_187:                           ;   in Loop: Header=BB1763_180 Depth=1
                                        ; implicit-def: $vgpr7
                                        ; implicit-def: $vgpr6
                                        ; implicit-def: $vgpr8
	s_cbranch_execz .LBB1763_180
; %bb.188:
	s_and_saveexec_b64 s[0:1], s[50:51]
	s_cbranch_execz .LBB1763_190
; %bb.189:
	s_and_b32 s50, s68, 0xff
	s_cmp_eq_u32 s50, 0
	s_cselect_b64 vcc, -1, 0
	s_bitcmp1_b32 s68, 0
	s_mov_b32 s51, 0
	s_cselect_b64 s[58:59], -1, 0
	s_add_i32 s50, s67, 64
	s_lshl_b64 s[50:51], s[50:51], 4
	v_cndmask_b32_e32 v3, 0, v77, vcc
	s_add_u32 s50, s64, s50
	v_add_u32_e32 v2, v3, v2
	v_and_b32_e32 v3, 1, v75
	s_addc_u32 s51, s65, s51
	v_mov_b32_e32 v5, 0
	v_cndmask_b32_e64 v3, v3, 1, s[58:59]
	v_mov_b32_e32 v4, 2
	v_mov_b64_e32 v[6:7], s[50:51]
	;;#ASMSTART
	global_store_dwordx4 v[6:7], v[2:5] off sc1	
s_waitcnt vmcnt(0)
	;;#ASMEND
.LBB1763_190:
	s_or_b64 exec, exec, s[0:1]
	s_and_b64 exec, exec, s[52:53]
	s_cbranch_execz .LBB1763_192
; %bb.191:
	v_mov_b32_e32 v2, 0
	ds_write_b32 v2, v77
	ds_write_b8 v2, v75 offset:4
.LBB1763_192:
	s_or_b64 exec, exec, s[56:57]
	v_mov_b32_e32 v2, 0
	s_waitcnt lgkmcnt(0)
	s_barrier
	ds_read_b32 v3, v2
	v_cmp_eq_u16_sdwa vcc, v65, v2 src0_sel:BYTE_0 src1_sel:DWORD
	s_waitcnt lgkmcnt(0)
	s_nop 0
	v_cndmask_b32_e32 v4, 0, v3, vcc
	v_add_u32_e32 v4, v4, v64
	v_cndmask_b32_e64 v60, v4, v3, s[52:53]
	v_and_b32_e32 v3, 0xff, v13
	v_cmp_eq_u64_e32 vcc, 0, v[2:3]
	s_nop 1
	v_cndmask_b32_e32 v2, 0, v60, vcc
	v_add_u32_e32 v61, v2, v12
	v_cndmask_b32_e64 v2, 0, v61, s[6:7]
	v_add_u32_e32 v62, v2, v14
	v_cndmask_b32_e64 v2, 0, v62, s[8:9]
	;; [unrolled: 2-line block ×21, first 2 shown]
	v_add_u32_e32 v82, v2, v54
	s_branch .LBB1763_213
.LBB1763_193:
                                        ; implicit-def: $vgpr81
                                        ; implicit-def: $vgpr80
                                        ; implicit-def: $vgpr79
                                        ; implicit-def: $vgpr78
                                        ; implicit-def: $vgpr77
                                        ; implicit-def: $vgpr76
                                        ; implicit-def: $vgpr75
                                        ; implicit-def: $vgpr74
                                        ; implicit-def: $vgpr73
                                        ; implicit-def: $vgpr72
                                        ; implicit-def: $vgpr71
                                        ; implicit-def: $vgpr70
                                        ; implicit-def: $vgpr69
                                        ; implicit-def: $vgpr68
                                        ; implicit-def: $vgpr67
                                        ; implicit-def: $vgpr66
                                        ; implicit-def: $vgpr65
                                        ; implicit-def: $vgpr64
                                        ; implicit-def: $vgpr63
                                        ; implicit-def: $vgpr62
                                        ; implicit-def: $vgpr61
                                        ; implicit-def: $vgpr60
                                        ; implicit-def: $vgpr82
	s_cbranch_execz .LBB1763_213
; %bb.194:
	s_cmp_lg_u64 s[72:73], 0
	s_cselect_b32 s7, s71, 0
	s_cselect_b32 s6, s70, 0
	s_mov_b32 s0, 0
	s_cmp_eq_u64 s[6:7], 0
	v_mov_b32_e32 v4, s74
	s_cbranch_scc1 .LBB1763_196
; %bb.195:
	v_mov_b32_e32 v2, 0
	global_load_dword v4, v2, s[6:7]
.LBB1763_196:
	s_mov_b32 s1, 1
	v_cmp_gt_u64_e32 vcc, s[0:1], v[14:15]
	v_cmp_gt_u64_e64 s[6:7], s[0:1], v[16:17]
	v_cmp_gt_u64_e64 s[8:9], s[0:1], v[18:19]
	v_cndmask_b32_e32 v2, 0, v12, vcc
	v_add_u32_e32 v2, v2, v14
	v_cndmask_b32_e64 v2, 0, v2, s[6:7]
	v_add_u32_e32 v2, v2, v16
	v_cndmask_b32_e64 v2, 0, v2, s[8:9]
	v_add_u32_e32 v2, v2, v18
	v_cmp_gt_u64_e64 s[10:11], s[0:1], v[20:21]
	v_cmp_gt_u64_e64 s[12:13], s[0:1], v[22:23]
	v_cmp_gt_u64_e64 s[14:15], s[0:1], v[24:25]
	v_cndmask_b32_e64 v2, 0, v2, s[10:11]
	v_add_u32_e32 v2, v2, v20
	v_cndmask_b32_e64 v2, 0, v2, s[12:13]
	v_add_u32_e32 v2, v2, v22
	v_cndmask_b32_e64 v2, 0, v2, s[14:15]
	v_add_u32_e32 v2, v2, v24
	v_cmp_gt_u64_e64 s[16:17], s[0:1], v[26:27]
	v_cmp_gt_u64_e64 s[18:19], s[0:1], v[28:29]
	v_cmp_gt_u64_e64 s[20:21], s[0:1], v[30:31]
	v_cndmask_b32_e64 v2, 0, v2, s[16:17]
	;; [unrolled: 9-line block ×6, first 2 shown]
	v_add_u32_e32 v2, v2, v50
	v_cndmask_b32_e64 v2, 0, v2, s[44:45]
	v_add_u32_e32 v2, v2, v52
	v_cndmask_b32_e64 v2, 0, v2, s[46:47]
	v_add_u32_e32 v2, v2, v54
	v_cmp_gt_u64_e64 s[0:1], s[0:1], v[58:59]
	v_add_lshl_u32 v1, v1, v0, 3
	s_nop 0
	v_cndmask_b32_e64 v2, 0, v2, s[0:1]
	v_add_u32_e32 v5, v2, v58
	v_or3_b32 v2, v57, v53, v51
	v_or3_b32 v2, v2, v49, v47
	;; [unrolled: 1-line block ×10, first 2 shown]
	v_and_b32_e32 v2, 1, v2
	v_cmp_eq_u32_e64 s[0:1], 1, v2
	s_nop 1
	v_cndmask_b32_e64 v6, v13, 1, s[0:1]
	v_cmp_gt_u32_e64 s[0:1], 64, v0
	ds_write_b32 v1, v5
	ds_write_b8 v1, v6 offset:4
	s_waitcnt lgkmcnt(0)
	s_barrier
	s_and_saveexec_b64 s[48:49], s[0:1]
	s_cbranch_execz .LBB1763_208
; %bb.197:
	v_lshrrev_b32_e32 v1, 3, v0
	v_add_lshl_u32 v1, v1, v56, 3
	ds_read2_b32 v[8:9], v1 offset0:2 offset1:4
	ds_read_b64 v[2:3], v1
	ds_read_u8 v15, v1 offset:12
	ds_read_u8 v17, v1 offset:20
	ds_read_b32 v19, v1 offset:24
	ds_read_u8 v21, v1 offset:28
	v_mov_b32_e32 v23, 0
	s_waitcnt lgkmcnt(3)
	v_cmp_eq_u16_sdwa s[0:1], v15, v23 src0_sel:BYTE_0 src1_sel:DWORD
	v_and_b32_e32 v7, 1, v3
	s_nop 0
	v_cndmask_b32_e64 v25, 0, v2, s[0:1]
	v_add_u32_e32 v8, v25, v8
	s_waitcnt lgkmcnt(2)
	v_cmp_eq_u16_sdwa s[0:1], v17, v23 src0_sel:BYTE_0 src1_sel:DWORD
	s_nop 1
	v_cndmask_b32_e64 v8, 0, v8, s[0:1]
	v_add_u32_e32 v8, v8, v9
	s_waitcnt lgkmcnt(0)
	v_cmp_eq_u16_e64 s[0:1], 0, v21
	s_nop 1
	v_cndmask_b32_e64 v8, 0, v8, s[0:1]
	v_add_u32_e32 v9, v8, v19
	v_or_b32_e32 v8, v21, v17
	v_or_b32_e32 v8, v8, v15
	v_and_b32_e32 v8, 1, v8
	v_cmp_eq_u32_e64 s[0:1], 1, v8
	v_mbcnt_lo_u32_b32 v15, -1, 0
	v_and_b32_e32 v8, 0xffffff00, v3
	v_cndmask_b32_e64 v17, v7, 1, s[0:1]
	v_mbcnt_hi_u32_b32 v15, -1, v15
	v_and_b32_e32 v21, 15, v15
	v_or_b32_sdwa v19, v8, v17 dst_sel:DWORD dst_unused:UNUSED_PAD src0_sel:DWORD src1_sel:WORD_0
	v_mov_b32_dpp v23, v9 row_shr:1 row_mask:0xf bank_mask:0xf
	v_cmp_ne_u32_e64 s[0:1], 0, v21
	v_mov_b32_dpp v25, v19 row_shr:1 row_mask:0xf bank_mask:0xf
	s_and_saveexec_b64 s[50:51], s[0:1]
; %bb.198:
	v_and_b32_e32 v19, 1, v17
	v_and_b32_e32 v25, 1, v25
	v_cmp_eq_u32_e64 s[0:1], 1, v19
	s_nop 1
	v_cndmask_b32_e64 v25, v25, 1, s[0:1]
	v_cmp_eq_u16_e64 s[0:1], 0, v17
	v_or_b32_sdwa v19, v8, v25 dst_sel:DWORD dst_unused:UNUSED_PAD src0_sel:DWORD src1_sel:WORD_0
	s_nop 0
	v_cndmask_b32_e64 v17, 0, v23, s[0:1]
	v_add_u32_e32 v9, v17, v9
	v_mov_b32_e32 v17, v25
; %bb.199:
	s_or_b64 exec, exec, s[50:51]
	v_mov_b32_dpp v23, v9 row_shr:2 row_mask:0xf bank_mask:0xf
	v_mov_b32_dpp v25, v19 row_shr:2 row_mask:0xf bank_mask:0xf
	v_cmp_lt_u32_e64 s[0:1], 1, v21
	s_and_saveexec_b64 s[50:51], s[0:1]
; %bb.200:
	v_and_b32_e32 v19, 1, v17
	v_and_b32_e32 v25, 1, v25
	v_cmp_eq_u32_e64 s[0:1], 1, v19
	s_nop 1
	v_cndmask_b32_e64 v25, v25, 1, s[0:1]
	v_cmp_eq_u16_e64 s[0:1], 0, v17
	v_or_b32_sdwa v19, v8, v25 dst_sel:DWORD dst_unused:UNUSED_PAD src0_sel:DWORD src1_sel:WORD_0
	s_nop 0
	v_cndmask_b32_e64 v17, 0, v23, s[0:1]
	v_add_u32_e32 v9, v17, v9
	v_mov_b32_e32 v17, v25
; %bb.201:
	s_or_b64 exec, exec, s[50:51]
	v_mov_b32_dpp v23, v9 row_shr:4 row_mask:0xf bank_mask:0xf
	v_mov_b32_dpp v25, v19 row_shr:4 row_mask:0xf bank_mask:0xf
	v_cmp_lt_u32_e64 s[0:1], 3, v21
	;; [unrolled: 18-line block ×3, first 2 shown]
	s_and_saveexec_b64 s[50:51], s[0:1]
; %bb.204:
	v_and_b32_e32 v19, 1, v17
	v_and_b32_e32 v21, 1, v25
	v_cmp_eq_u32_e64 s[0:1], 1, v19
	s_nop 1
	v_cndmask_b32_e64 v21, v21, 1, s[0:1]
	v_cmp_eq_u16_e64 s[0:1], 0, v17
	v_or_b32_sdwa v19, v8, v21 dst_sel:DWORD dst_unused:UNUSED_PAD src0_sel:DWORD src1_sel:WORD_0
	s_nop 0
	v_cndmask_b32_e64 v17, 0, v23, s[0:1]
	v_add_u32_e32 v9, v17, v9
	v_mov_b32_e32 v17, v21
; %bb.205:
	s_or_b64 exec, exec, s[50:51]
	v_and_b32_e32 v25, 16, v15
	v_mov_b32_dpp v21, v9 row_bcast:15 row_mask:0xf bank_mask:0xf
	v_mov_b32_dpp v23, v19 row_bcast:15 row_mask:0xf bank_mask:0xf
	v_cmp_ne_u32_e64 s[0:1], 0, v25
	s_and_saveexec_b64 s[50:51], s[0:1]
; %bb.206:
	v_and_b32_e32 v19, 1, v17
	v_and_b32_e32 v23, 1, v23
	v_cmp_eq_u32_e64 s[0:1], 1, v19
	s_nop 1
	v_cndmask_b32_e64 v23, v23, 1, s[0:1]
	v_cmp_eq_u16_e64 s[0:1], 0, v17
	v_or_b32_sdwa v19, v8, v23 dst_sel:DWORD dst_unused:UNUSED_PAD src0_sel:DWORD src1_sel:WORD_0
	s_nop 0
	v_cndmask_b32_e64 v17, 0, v21, s[0:1]
	v_add_u32_e32 v9, v17, v9
	v_mov_b32_e32 v17, v23
; %bb.207:
	s_or_b64 exec, exec, s[50:51]
	v_mov_b32_dpp v19, v19 row_bcast:31 row_mask:0xf bank_mask:0xf
	v_and_b32_e32 v23, 1, v17
	v_and_b32_e32 v19, 1, v19
	v_cmp_eq_u32_e64 s[0:1], 1, v23
	v_mov_b32_e32 v23, 0
	v_cmp_eq_u16_sdwa s[50:51], v17, v23 src0_sel:BYTE_0 src1_sel:DWORD
	v_cndmask_b32_e64 v19, v19, 1, s[0:1]
	v_cmp_lt_u32_e64 s[0:1], 31, v15
	v_mov_b32_dpp v21, v9 row_bcast:31 row_mask:0xf bank_mask:0xf
	s_movk_i32 s56, 0xff
	v_cndmask_b32_e64 v17, v17, v19, s[0:1]
	s_and_b64 s[0:1], s[0:1], s[50:51]
	v_cndmask_b32_e64 v19, 0, v21, s[0:1]
	v_add_u32_e32 v9, v19, v9
	v_add_u32_e32 v19, -1, v15
	v_and_b32_e32 v21, 64, v15
	v_cmp_lt_i32_e64 s[0:1], v19, v21
	v_and_or_b32 v8, v17, s56, v8
	s_nop 0
	v_cndmask_b32_e64 v15, v19, v15, s[0:1]
	v_lshlrev_b32_e32 v15, 2, v15
	ds_bpermute_b32 v9, v15, v9
	ds_bpermute_b32 v8, v15, v8
	v_cmp_eq_u16_sdwa s[0:1], v3, v23 src0_sel:BYTE_0 src1_sel:DWORD
	; wave barrier
	s_waitcnt lgkmcnt(1)
	s_nop 0
	v_cndmask_b32_e64 v3, 0, v9, s[0:1]
	v_add_u32_e32 v2, v3, v2
	s_waitcnt lgkmcnt(0)
	v_and_b32_e32 v3, 1, v8
	v_cmp_eq_u32_e64 s[0:1], 1, v7
	v_cndmask_b32_e64 v5, v2, v5, s[52:53]
	s_nop 0
	v_cndmask_b32_e64 v3, v3, 1, s[0:1]
	v_cndmask_b32_e64 v6, v3, v6, s[52:53]
	ds_write_b32 v1, v5
	ds_write_b8 v1, v6 offset:4
	; wave barrier
	ds_read_u8 v7, v1 offset:12
	ds_read2_b32 v[2:3], v1 offset0:2 offset1:4
	ds_read_u8 v8, v1 offset:20
	ds_read_b32 v9, v1 offset:24
	ds_read_u8 v15, v1 offset:28
	s_waitcnt lgkmcnt(4)
	v_cmp_eq_u16_e64 s[0:1], 0, v7
	s_nop 1
	v_cndmask_b32_e64 v5, 0, v5, s[0:1]
	s_waitcnt lgkmcnt(3)
	v_add_u32_e32 v2, v5, v2
	v_and_b32_e32 v5, 1, v7
	v_cmp_eq_u32_e64 s[0:1], 1, v5
	s_nop 1
	v_cndmask_b32_e64 v5, v6, 1, s[0:1]
	s_waitcnt lgkmcnt(2)
	v_cmp_eq_u16_e64 s[0:1], 0, v8
	ds_write_b8 v1, v5 offset:12
	s_nop 0
	v_cndmask_b32_e64 v6, 0, v2, s[0:1]
	v_add_u32_e32 v3, v6, v3
	v_and_b32_e32 v6, 1, v8
	v_cmp_eq_u32_e64 s[0:1], 1, v6
	s_nop 1
	v_cndmask_b32_e64 v5, v5, 1, s[0:1]
	s_waitcnt lgkmcnt(1)
	v_cmp_eq_u16_e64 s[0:1], 0, v15
	ds_write2_b32 v1, v2, v3 offset0:2 offset1:4
	ds_write_b8 v1, v5 offset:20
	v_cndmask_b32_e64 v2, 0, v3, s[0:1]
	v_and_b32_e32 v3, 1, v15
	v_add_u32_e32 v2, v2, v9
	v_cmp_eq_u32_e64 s[0:1], 1, v3
	s_nop 1
	v_cndmask_b32_e64 v3, v5, 1, s[0:1]
	ds_write_b32 v1, v2 offset:24
	ds_write_b8 v1, v3 offset:28
.LBB1763_208:
	s_or_b64 exec, exec, s[48:49]
	s_waitcnt vmcnt(0)
	v_mov_b32_e32 v60, v4
	s_waitcnt lgkmcnt(0)
	s_barrier
	s_and_saveexec_b64 s[48:49], s[4:5]
	s_cbranch_execz .LBB1763_210
; %bb.209:
	v_add_u32_e32 v1, -1, v0
	v_lshrrev_b32_e32 v2, 5, v1
	v_add_lshl_u32 v1, v2, v1, 3
	ds_read_u8 v2, v1 offset:4
	ds_read_b32 v1, v1
	s_waitcnt lgkmcnt(1)
	v_cmp_eq_u16_e64 s[0:1], 0, v2
	s_nop 1
	v_cndmask_b32_e64 v2, 0, v4, s[0:1]
	s_waitcnt lgkmcnt(0)
	v_add_u32_e32 v60, v2, v1
.LBB1763_210:
	s_or_b64 exec, exec, s[48:49]
	v_and_b32_e32 v3, 0xff, v13
	v_mov_b32_e32 v2, 0
	v_cmp_eq_u64_e64 s[0:1], 0, v[2:3]
	s_nop 1
	v_cndmask_b32_e64 v1, 0, v60, s[0:1]
	v_add_u32_e32 v61, v1, v12
	v_cndmask_b32_e32 v1, 0, v61, vcc
	v_add_u32_e32 v62, v1, v14
	v_cndmask_b32_e64 v1, 0, v62, s[6:7]
	v_add_u32_e32 v63, v1, v16
	v_cndmask_b32_e64 v1, 0, v63, s[8:9]
	;; [unrolled: 2-line block ×20, first 2 shown]
	s_and_saveexec_b64 s[0:1], s[52:53]
	s_cbranch_execz .LBB1763_212
; %bb.211:
	ds_read_u8 v3, v2 offset:2100
	ds_read_b32 v5, v2 offset:2096
	s_add_u32 s4, s64, 0x400
	s_addc_u32 s5, s65, 0
	v_mov_b32_e32 v6, 2
	s_waitcnt lgkmcnt(1)
	v_cmp_eq_u16_e32 vcc, 0, v3
	v_mov_b32_e32 v7, v2
	s_nop 0
	v_cndmask_b32_e32 v4, 0, v4, vcc
	s_waitcnt lgkmcnt(0)
	v_add_u32_e32 v4, v4, v5
	v_and_b32_e32 v5, 0xffff, v3
	v_mov_b64_e32 v[2:3], s[4:5]
	;;#ASMSTART
	global_store_dwordx4 v[2:3], v[4:7] off sc1	
s_waitcnt vmcnt(0)
	;;#ASMEND
.LBB1763_212:
	s_or_b64 exec, exec, s[0:1]
	v_add_u32_e32 v82, v1, v54
.LBB1763_213:
	s_add_u32 s0, s62, s54
	s_addc_u32 s1, s63, s55
	v_lshl_add_u64 v[2:3], s[0:1], 0, v[10:11]
	s_and_b64 vcc, exec, s[2:3]
	s_cbranch_vccz .LBB1763_259
; %bb.214:
	s_movk_i32 s0, 0x5c
	v_mul_i32_i24_e32 v28, 0xffffffa8, v0
	v_mul_u32_u24_e32 v1, 0x5c, v0
	v_mad_u32_u24 v4, v0, s0, v28
	s_barrier
	ds_write2_b32 v1, v60, v61 offset1:1
	ds_write2_b32 v1, v62, v63 offset0:2 offset1:3
	ds_write2_b32 v1, v64, v65 offset0:4 offset1:5
	ds_write2_b32 v1, v66, v67 offset0:6 offset1:7
	ds_write2_b32 v1, v68, v69 offset0:8 offset1:9
	ds_write2_b32 v1, v70, v71 offset0:10 offset1:11
	ds_write2_b32 v1, v72, v73 offset0:12 offset1:13
	ds_write2_b32 v1, v74, v75 offset0:14 offset1:15
	ds_write2_b32 v1, v76, v77 offset0:16 offset1:17
	ds_write2_b32 v1, v78, v79 offset0:18 offset1:19
	ds_write2_b32 v1, v80, v81 offset0:20 offset1:21
	ds_write_b32 v1, v82 offset:88
	s_waitcnt lgkmcnt(0)
	s_barrier
	ds_read2st64_b32 v[26:27], v4 offset0:4 offset1:8
	ds_read2st64_b32 v[24:25], v4 offset0:12 offset1:16
	;; [unrolled: 1-line block ×11, first 2 shown]
	s_add_i32 s33, s33, s66
	v_mov_b32_e32 v57, 0
	v_lshl_add_u64 v[6:7], v[2:3], 0, v[56:57]
	v_cmp_gt_u32_e32 vcc, s33, v0
	s_and_saveexec_b64 s[0:1], vcc
	s_cbranch_execz .LBB1763_216
; %bb.215:
	v_add_u32_e32 v1, v1, v28
	ds_read_b32 v1, v1
	s_waitcnt lgkmcnt(0)
	flat_store_dword v[6:7], v1
.LBB1763_216:
	s_or_b64 exec, exec, s[0:1]
	v_or_b32_e32 v1, 0x100, v0
	v_cmp_gt_u32_e32 vcc, s33, v1
	s_and_saveexec_b64 s[0:1], vcc
	s_cbranch_execz .LBB1763_218
; %bb.217:
	s_waitcnt lgkmcnt(0)
	flat_store_dword v[6:7], v26 offset:1024
.LBB1763_218:
	s_or_b64 exec, exec, s[0:1]
	v_or_b32_e32 v1, 0x200, v0
	v_cmp_gt_u32_e32 vcc, s33, v1
	s_and_saveexec_b64 s[0:1], vcc
	s_cbranch_execz .LBB1763_220
; %bb.219:
	s_waitcnt lgkmcnt(0)
	flat_store_dword v[6:7], v27 offset:2048
.LBB1763_220:
	;; [unrolled: 9-line block ×3, first 2 shown]
	s_or_b64 exec, exec, s[0:1]
	v_or_b32_e32 v1, 0x400, v0
	v_cmp_gt_u32_e32 vcc, s33, v1
	s_and_saveexec_b64 s[0:1], vcc
	s_cbranch_execz .LBB1763_224
; %bb.223:
	s_waitcnt lgkmcnt(0)
	v_add_co_u32_e32 v26, vcc, 0x1000, v6
	s_nop 1
	v_addc_co_u32_e32 v27, vcc, 0, v7, vcc
	flat_store_dword v[26:27], v25
.LBB1763_224:
	s_or_b64 exec, exec, s[0:1]
	v_or_b32_e32 v1, 0x500, v0
	v_cmp_gt_u32_e32 vcc, s33, v1
	s_and_saveexec_b64 s[0:1], vcc
	s_cbranch_execz .LBB1763_226
; %bb.225:
	s_waitcnt lgkmcnt(0)
	v_add_co_u32_e32 v24, vcc, 0x1000, v6
	s_nop 1
	v_addc_co_u32_e32 v25, vcc, 0, v7, vcc
	flat_store_dword v[24:25], v22 offset:1024
.LBB1763_226:
	s_or_b64 exec, exec, s[0:1]
	v_or_b32_e32 v1, 0x600, v0
	v_cmp_gt_u32_e32 vcc, s33, v1
	s_and_saveexec_b64 s[0:1], vcc
	s_cbranch_execz .LBB1763_228
; %bb.227:
	s_waitcnt lgkmcnt(0)
	v_add_co_u32_e32 v24, vcc, 0x1000, v6
	s_nop 1
	v_addc_co_u32_e32 v25, vcc, 0, v7, vcc
	flat_store_dword v[24:25], v23 offset:2048
.LBB1763_228:
	s_or_b64 exec, exec, s[0:1]
	v_or_b32_e32 v1, 0x700, v0
	v_cmp_gt_u32_e32 vcc, s33, v1
	s_and_saveexec_b64 s[0:1], vcc
	s_cbranch_execz .LBB1763_230
; %bb.229:
	s_waitcnt lgkmcnt(0)
	v_add_co_u32_e32 v22, vcc, 0x1000, v6
	s_nop 1
	v_addc_co_u32_e32 v23, vcc, 0, v7, vcc
	flat_store_dword v[22:23], v20 offset:3072
.LBB1763_230:
	s_or_b64 exec, exec, s[0:1]
	v_or_b32_e32 v1, 0x800, v0
	v_cmp_gt_u32_e32 vcc, s33, v1
	s_and_saveexec_b64 s[0:1], vcc
	s_cbranch_execz .LBB1763_232
; %bb.231:
	s_waitcnt lgkmcnt(0)
	v_add_co_u32_e32 v22, vcc, 0x2000, v6
	s_nop 1
	v_addc_co_u32_e32 v23, vcc, 0, v7, vcc
	flat_store_dword v[22:23], v21
.LBB1763_232:
	s_or_b64 exec, exec, s[0:1]
	v_or_b32_e32 v1, 0x900, v0
	v_cmp_gt_u32_e32 vcc, s33, v1
	s_and_saveexec_b64 s[0:1], vcc
	s_cbranch_execz .LBB1763_234
; %bb.233:
	s_waitcnt lgkmcnt(0)
	v_add_co_u32_e32 v20, vcc, 0x2000, v6
	s_nop 1
	v_addc_co_u32_e32 v21, vcc, 0, v7, vcc
	flat_store_dword v[20:21], v18 offset:1024
.LBB1763_234:
	s_or_b64 exec, exec, s[0:1]
	v_or_b32_e32 v1, 0xa00, v0
	v_cmp_gt_u32_e32 vcc, s33, v1
	s_and_saveexec_b64 s[0:1], vcc
	s_cbranch_execz .LBB1763_236
; %bb.235:
	s_waitcnt lgkmcnt(0)
	v_add_co_u32_e32 v20, vcc, 0x2000, v6
	s_nop 1
	v_addc_co_u32_e32 v21, vcc, 0, v7, vcc
	flat_store_dword v[20:21], v19 offset:2048
.LBB1763_236:
	s_or_b64 exec, exec, s[0:1]
	v_or_b32_e32 v1, 0xb00, v0
	v_cmp_gt_u32_e32 vcc, s33, v1
	s_and_saveexec_b64 s[0:1], vcc
	s_cbranch_execz .LBB1763_238
; %bb.237:
	s_waitcnt lgkmcnt(0)
	v_add_co_u32_e32 v18, vcc, 0x2000, v6
	s_nop 1
	v_addc_co_u32_e32 v19, vcc, 0, v7, vcc
	flat_store_dword v[18:19], v16 offset:3072
.LBB1763_238:
	;; [unrolled: 48-line block ×4, first 2 shown]
	s_or_b64 exec, exec, s[0:1]
	v_or_b32_e32 v1, 0x1400, v0
	v_cmp_gt_u32_e32 vcc, s33, v1
	s_and_saveexec_b64 s[0:1], vcc
	s_cbranch_execz .LBB1763_256
; %bb.255:
	s_waitcnt lgkmcnt(0)
	v_add_co_u32_e32 v10, vcc, 0x5000, v6
	s_nop 1
	v_addc_co_u32_e32 v11, vcc, 0, v7, vcc
	flat_store_dword v[10:11], v9
.LBB1763_256:
	s_or_b64 exec, exec, s[0:1]
	v_or_b32_e32 v1, 0x1500, v0
	v_cmp_gt_u32_e32 vcc, s33, v1
	s_and_saveexec_b64 s[0:1], vcc
	s_cbranch_execz .LBB1763_258
; %bb.257:
	v_add_co_u32_e32 v6, vcc, 0x5000, v6
	s_nop 1
	v_addc_co_u32_e32 v7, vcc, 0, v7, vcc
	s_waitcnt lgkmcnt(0)
	flat_store_dword v[6:7], v4 offset:1024
.LBB1763_258:
	s_or_b64 exec, exec, s[0:1]
	s_waitcnt lgkmcnt(0)
	v_or_b32_e32 v4, 0x1600, v0
	v_mov_b32_e32 v1, v57
	v_cmp_gt_u32_e64 s[0:1], s33, v4
	s_branch .LBB1763_261
.LBB1763_259:
	s_mov_b64 s[0:1], 0
                                        ; implicit-def: $vgpr5
	s_cbranch_execz .LBB1763_261
; %bb.260:
	v_mul_u32_u24_e32 v1, 0x5c, v0
	s_barrier
	s_movk_i32 s2, 0x5c
	ds_write2_b32 v1, v60, v61 offset1:1
	ds_write2_b32 v1, v62, v63 offset0:2 offset1:3
	ds_write2_b32 v1, v64, v65 offset0:4 offset1:5
	;; [unrolled: 1-line block ×10, first 2 shown]
	ds_write_b32 v1, v82 offset:88
	v_mov_b32_e32 v1, 0
	v_mul_i32_i24_e32 v4, 0xffffffa8, v0
	v_mad_u32_u24 v4, v0, s2, v4
	v_mov_b32_e32 v57, v1
	s_waitcnt lgkmcnt(0)
	s_barrier
	ds_read2st64_b32 v[6:7], v4 offset1:4
	ds_read2st64_b32 v[8:9], v4 offset0:8 offset1:12
	ds_read2st64_b32 v[10:11], v4 offset0:16 offset1:20
	ds_read2st64_b32 v[12:13], v4 offset0:24 offset1:28
	ds_read2st64_b32 v[14:15], v4 offset0:32 offset1:36
	ds_read2st64_b32 v[16:17], v4 offset0:40 offset1:44
	ds_read2st64_b32 v[18:19], v4 offset0:48 offset1:52
	ds_read2st64_b32 v[20:21], v4 offset0:56 offset1:60
	ds_read2st64_b32 v[22:23], v4 offset0:64 offset1:68
	ds_read2st64_b32 v[24:25], v4 offset0:72 offset1:76
	ds_read2st64_b32 v[26:27], v4 offset0:80 offset1:84
	ds_read_b32 v5, v4 offset:22528
	v_lshl_add_u64 v[28:29], v[2:3], 0, v[56:57]
	s_movk_i32 s2, 0x1000
	s_waitcnt lgkmcnt(0)
	flat_store_dword v[28:29], v6
	flat_store_dword v[28:29], v7 offset:1024
	flat_store_dword v[28:29], v8 offset:2048
	;; [unrolled: 1-line block ×3, first 2 shown]
	v_add_co_u32_e32 v6, vcc, s2, v28
	s_movk_i32 s2, 0x2000
	s_nop 0
	v_addc_co_u32_e32 v7, vcc, 0, v29, vcc
	flat_store_dword v[6:7], v10
	flat_store_dword v[6:7], v11 offset:1024
	flat_store_dword v[6:7], v12 offset:2048
	;; [unrolled: 1-line block ×3, first 2 shown]
	v_add_co_u32_e32 v6, vcc, s2, v28
	s_movk_i32 s2, 0x3000
	s_nop 0
	v_addc_co_u32_e32 v7, vcc, 0, v29, vcc
	flat_store_dword v[6:7], v14
	flat_store_dword v[6:7], v15 offset:1024
	flat_store_dword v[6:7], v16 offset:2048
	;; [unrolled: 1-line block ×3, first 2 shown]
	v_add_co_u32_e32 v6, vcc, s2, v28
	s_or_b64 s[0:1], s[0:1], exec
	s_nop 0
	v_addc_co_u32_e32 v7, vcc, 0, v29, vcc
	flat_store_dword v[6:7], v18
	flat_store_dword v[6:7], v19 offset:1024
	flat_store_dword v[6:7], v20 offset:2048
	;; [unrolled: 1-line block ×3, first 2 shown]
	v_add_co_u32_e32 v6, vcc, 0x4000, v28
	s_nop 1
	v_addc_co_u32_e32 v7, vcc, 0, v29, vcc
	flat_store_dword v[6:7], v22
	flat_store_dword v[6:7], v23 offset:1024
	flat_store_dword v[6:7], v24 offset:2048
	;; [unrolled: 1-line block ×3, first 2 shown]
	v_add_co_u32_e32 v6, vcc, 0x5000, v28
	s_nop 1
	v_addc_co_u32_e32 v7, vcc, 0, v29, vcc
	flat_store_dword v[6:7], v26
	flat_store_dword v[6:7], v27 offset:1024
.LBB1763_261:
	s_and_saveexec_b64 s[2:3], s[0:1]
	s_cbranch_execz .LBB1763_263
; %bb.262:
	v_lshl_add_u64 v[0:1], v[0:1], 2, v[2:3]
	v_add_co_u32_e32 v0, vcc, 0x5000, v0
	s_nop 1
	v_addc_co_u32_e32 v1, vcc, 0, v1, vcc
	flat_store_dword v[0:1], v5 offset:2048
	s_endpgm
.LBB1763_263:
	s_endpgm
	.section	.rodata,"a",@progbits
	.p2align	6, 0x0
	.amdhsa_kernel _ZN7rocprim17ROCPRIM_400000_NS6detail17trampoline_kernelINS0_14default_configENS1_27scan_by_key_config_selectorIiiEEZZNS1_16scan_by_key_implILNS1_25lookback_scan_determinismE0ELb1ES3_N6thrust23THRUST_200600_302600_NS6detail15normal_iteratorINS9_10device_ptrIiEEEENSB_INSC_IjEEEESE_iNS9_4plusIvEENS9_8equal_toIvEEiEE10hipError_tPvRmT2_T3_T4_T5_mT6_T7_P12ihipStream_tbENKUlT_T0_E_clISt17integral_constantIbLb1EES11_EEDaSW_SX_EUlSW_E_NS1_11comp_targetILNS1_3genE5ELNS1_11target_archE942ELNS1_3gpuE9ELNS1_3repE0EEENS1_30default_config_static_selectorELNS0_4arch9wavefront6targetE1EEEvT1_
		.amdhsa_group_segment_fixed_size 25600
		.amdhsa_private_segment_fixed_size 0
		.amdhsa_kernarg_size 112
		.amdhsa_user_sgpr_count 2
		.amdhsa_user_sgpr_dispatch_ptr 0
		.amdhsa_user_sgpr_queue_ptr 0
		.amdhsa_user_sgpr_kernarg_segment_ptr 1
		.amdhsa_user_sgpr_dispatch_id 0
		.amdhsa_user_sgpr_kernarg_preload_length 0
		.amdhsa_user_sgpr_kernarg_preload_offset 0
		.amdhsa_user_sgpr_private_segment_size 0
		.amdhsa_uses_dynamic_stack 0
		.amdhsa_enable_private_segment 0
		.amdhsa_system_sgpr_workgroup_id_x 1
		.amdhsa_system_sgpr_workgroup_id_y 0
		.amdhsa_system_sgpr_workgroup_id_z 0
		.amdhsa_system_sgpr_workgroup_info 0
		.amdhsa_system_vgpr_workitem_id 0
		.amdhsa_next_free_vgpr 83
		.amdhsa_next_free_sgpr 80
		.amdhsa_accum_offset 84
		.amdhsa_reserve_vcc 1
		.amdhsa_float_round_mode_32 0
		.amdhsa_float_round_mode_16_64 0
		.amdhsa_float_denorm_mode_32 3
		.amdhsa_float_denorm_mode_16_64 3
		.amdhsa_dx10_clamp 1
		.amdhsa_ieee_mode 1
		.amdhsa_fp16_overflow 0
		.amdhsa_tg_split 0
		.amdhsa_exception_fp_ieee_invalid_op 0
		.amdhsa_exception_fp_denorm_src 0
		.amdhsa_exception_fp_ieee_div_zero 0
		.amdhsa_exception_fp_ieee_overflow 0
		.amdhsa_exception_fp_ieee_underflow 0
		.amdhsa_exception_fp_ieee_inexact 0
		.amdhsa_exception_int_div_zero 0
	.end_amdhsa_kernel
	.section	.text._ZN7rocprim17ROCPRIM_400000_NS6detail17trampoline_kernelINS0_14default_configENS1_27scan_by_key_config_selectorIiiEEZZNS1_16scan_by_key_implILNS1_25lookback_scan_determinismE0ELb1ES3_N6thrust23THRUST_200600_302600_NS6detail15normal_iteratorINS9_10device_ptrIiEEEENSB_INSC_IjEEEESE_iNS9_4plusIvEENS9_8equal_toIvEEiEE10hipError_tPvRmT2_T3_T4_T5_mT6_T7_P12ihipStream_tbENKUlT_T0_E_clISt17integral_constantIbLb1EES11_EEDaSW_SX_EUlSW_E_NS1_11comp_targetILNS1_3genE5ELNS1_11target_archE942ELNS1_3gpuE9ELNS1_3repE0EEENS1_30default_config_static_selectorELNS0_4arch9wavefront6targetE1EEEvT1_,"axG",@progbits,_ZN7rocprim17ROCPRIM_400000_NS6detail17trampoline_kernelINS0_14default_configENS1_27scan_by_key_config_selectorIiiEEZZNS1_16scan_by_key_implILNS1_25lookback_scan_determinismE0ELb1ES3_N6thrust23THRUST_200600_302600_NS6detail15normal_iteratorINS9_10device_ptrIiEEEENSB_INSC_IjEEEESE_iNS9_4plusIvEENS9_8equal_toIvEEiEE10hipError_tPvRmT2_T3_T4_T5_mT6_T7_P12ihipStream_tbENKUlT_T0_E_clISt17integral_constantIbLb1EES11_EEDaSW_SX_EUlSW_E_NS1_11comp_targetILNS1_3genE5ELNS1_11target_archE942ELNS1_3gpuE9ELNS1_3repE0EEENS1_30default_config_static_selectorELNS0_4arch9wavefront6targetE1EEEvT1_,comdat
.Lfunc_end1763:
	.size	_ZN7rocprim17ROCPRIM_400000_NS6detail17trampoline_kernelINS0_14default_configENS1_27scan_by_key_config_selectorIiiEEZZNS1_16scan_by_key_implILNS1_25lookback_scan_determinismE0ELb1ES3_N6thrust23THRUST_200600_302600_NS6detail15normal_iteratorINS9_10device_ptrIiEEEENSB_INSC_IjEEEESE_iNS9_4plusIvEENS9_8equal_toIvEEiEE10hipError_tPvRmT2_T3_T4_T5_mT6_T7_P12ihipStream_tbENKUlT_T0_E_clISt17integral_constantIbLb1EES11_EEDaSW_SX_EUlSW_E_NS1_11comp_targetILNS1_3genE5ELNS1_11target_archE942ELNS1_3gpuE9ELNS1_3repE0EEENS1_30default_config_static_selectorELNS0_4arch9wavefront6targetE1EEEvT1_, .Lfunc_end1763-_ZN7rocprim17ROCPRIM_400000_NS6detail17trampoline_kernelINS0_14default_configENS1_27scan_by_key_config_selectorIiiEEZZNS1_16scan_by_key_implILNS1_25lookback_scan_determinismE0ELb1ES3_N6thrust23THRUST_200600_302600_NS6detail15normal_iteratorINS9_10device_ptrIiEEEENSB_INSC_IjEEEESE_iNS9_4plusIvEENS9_8equal_toIvEEiEE10hipError_tPvRmT2_T3_T4_T5_mT6_T7_P12ihipStream_tbENKUlT_T0_E_clISt17integral_constantIbLb1EES11_EEDaSW_SX_EUlSW_E_NS1_11comp_targetILNS1_3genE5ELNS1_11target_archE942ELNS1_3gpuE9ELNS1_3repE0EEENS1_30default_config_static_selectorELNS0_4arch9wavefront6targetE1EEEvT1_
                                        ; -- End function
	.section	.AMDGPU.csdata,"",@progbits
; Kernel info:
; codeLenInByte = 15924
; NumSgprs: 86
; NumVgprs: 83
; NumAgprs: 0
; TotalNumVgprs: 83
; ScratchSize: 0
; MemoryBound: 0
; FloatMode: 240
; IeeeMode: 1
; LDSByteSize: 25600 bytes/workgroup (compile time only)
; SGPRBlocks: 10
; VGPRBlocks: 10
; NumSGPRsForWavesPerEU: 86
; NumVGPRsForWavesPerEU: 83
; AccumOffset: 84
; Occupancy: 2
; WaveLimiterHint : 1
; COMPUTE_PGM_RSRC2:SCRATCH_EN: 0
; COMPUTE_PGM_RSRC2:USER_SGPR: 2
; COMPUTE_PGM_RSRC2:TRAP_HANDLER: 0
; COMPUTE_PGM_RSRC2:TGID_X_EN: 1
; COMPUTE_PGM_RSRC2:TGID_Y_EN: 0
; COMPUTE_PGM_RSRC2:TGID_Z_EN: 0
; COMPUTE_PGM_RSRC2:TIDIG_COMP_CNT: 0
; COMPUTE_PGM_RSRC3_GFX90A:ACCUM_OFFSET: 20
; COMPUTE_PGM_RSRC3_GFX90A:TG_SPLIT: 0
	.section	.text._ZN7rocprim17ROCPRIM_400000_NS6detail17trampoline_kernelINS0_14default_configENS1_27scan_by_key_config_selectorIiiEEZZNS1_16scan_by_key_implILNS1_25lookback_scan_determinismE0ELb1ES3_N6thrust23THRUST_200600_302600_NS6detail15normal_iteratorINS9_10device_ptrIiEEEENSB_INSC_IjEEEESE_iNS9_4plusIvEENS9_8equal_toIvEEiEE10hipError_tPvRmT2_T3_T4_T5_mT6_T7_P12ihipStream_tbENKUlT_T0_E_clISt17integral_constantIbLb1EES11_EEDaSW_SX_EUlSW_E_NS1_11comp_targetILNS1_3genE4ELNS1_11target_archE910ELNS1_3gpuE8ELNS1_3repE0EEENS1_30default_config_static_selectorELNS0_4arch9wavefront6targetE1EEEvT1_,"axG",@progbits,_ZN7rocprim17ROCPRIM_400000_NS6detail17trampoline_kernelINS0_14default_configENS1_27scan_by_key_config_selectorIiiEEZZNS1_16scan_by_key_implILNS1_25lookback_scan_determinismE0ELb1ES3_N6thrust23THRUST_200600_302600_NS6detail15normal_iteratorINS9_10device_ptrIiEEEENSB_INSC_IjEEEESE_iNS9_4plusIvEENS9_8equal_toIvEEiEE10hipError_tPvRmT2_T3_T4_T5_mT6_T7_P12ihipStream_tbENKUlT_T0_E_clISt17integral_constantIbLb1EES11_EEDaSW_SX_EUlSW_E_NS1_11comp_targetILNS1_3genE4ELNS1_11target_archE910ELNS1_3gpuE8ELNS1_3repE0EEENS1_30default_config_static_selectorELNS0_4arch9wavefront6targetE1EEEvT1_,comdat
	.protected	_ZN7rocprim17ROCPRIM_400000_NS6detail17trampoline_kernelINS0_14default_configENS1_27scan_by_key_config_selectorIiiEEZZNS1_16scan_by_key_implILNS1_25lookback_scan_determinismE0ELb1ES3_N6thrust23THRUST_200600_302600_NS6detail15normal_iteratorINS9_10device_ptrIiEEEENSB_INSC_IjEEEESE_iNS9_4plusIvEENS9_8equal_toIvEEiEE10hipError_tPvRmT2_T3_T4_T5_mT6_T7_P12ihipStream_tbENKUlT_T0_E_clISt17integral_constantIbLb1EES11_EEDaSW_SX_EUlSW_E_NS1_11comp_targetILNS1_3genE4ELNS1_11target_archE910ELNS1_3gpuE8ELNS1_3repE0EEENS1_30default_config_static_selectorELNS0_4arch9wavefront6targetE1EEEvT1_ ; -- Begin function _ZN7rocprim17ROCPRIM_400000_NS6detail17trampoline_kernelINS0_14default_configENS1_27scan_by_key_config_selectorIiiEEZZNS1_16scan_by_key_implILNS1_25lookback_scan_determinismE0ELb1ES3_N6thrust23THRUST_200600_302600_NS6detail15normal_iteratorINS9_10device_ptrIiEEEENSB_INSC_IjEEEESE_iNS9_4plusIvEENS9_8equal_toIvEEiEE10hipError_tPvRmT2_T3_T4_T5_mT6_T7_P12ihipStream_tbENKUlT_T0_E_clISt17integral_constantIbLb1EES11_EEDaSW_SX_EUlSW_E_NS1_11comp_targetILNS1_3genE4ELNS1_11target_archE910ELNS1_3gpuE8ELNS1_3repE0EEENS1_30default_config_static_selectorELNS0_4arch9wavefront6targetE1EEEvT1_
	.globl	_ZN7rocprim17ROCPRIM_400000_NS6detail17trampoline_kernelINS0_14default_configENS1_27scan_by_key_config_selectorIiiEEZZNS1_16scan_by_key_implILNS1_25lookback_scan_determinismE0ELb1ES3_N6thrust23THRUST_200600_302600_NS6detail15normal_iteratorINS9_10device_ptrIiEEEENSB_INSC_IjEEEESE_iNS9_4plusIvEENS9_8equal_toIvEEiEE10hipError_tPvRmT2_T3_T4_T5_mT6_T7_P12ihipStream_tbENKUlT_T0_E_clISt17integral_constantIbLb1EES11_EEDaSW_SX_EUlSW_E_NS1_11comp_targetILNS1_3genE4ELNS1_11target_archE910ELNS1_3gpuE8ELNS1_3repE0EEENS1_30default_config_static_selectorELNS0_4arch9wavefront6targetE1EEEvT1_
	.p2align	8
	.type	_ZN7rocprim17ROCPRIM_400000_NS6detail17trampoline_kernelINS0_14default_configENS1_27scan_by_key_config_selectorIiiEEZZNS1_16scan_by_key_implILNS1_25lookback_scan_determinismE0ELb1ES3_N6thrust23THRUST_200600_302600_NS6detail15normal_iteratorINS9_10device_ptrIiEEEENSB_INSC_IjEEEESE_iNS9_4plusIvEENS9_8equal_toIvEEiEE10hipError_tPvRmT2_T3_T4_T5_mT6_T7_P12ihipStream_tbENKUlT_T0_E_clISt17integral_constantIbLb1EES11_EEDaSW_SX_EUlSW_E_NS1_11comp_targetILNS1_3genE4ELNS1_11target_archE910ELNS1_3gpuE8ELNS1_3repE0EEENS1_30default_config_static_selectorELNS0_4arch9wavefront6targetE1EEEvT1_,@function
_ZN7rocprim17ROCPRIM_400000_NS6detail17trampoline_kernelINS0_14default_configENS1_27scan_by_key_config_selectorIiiEEZZNS1_16scan_by_key_implILNS1_25lookback_scan_determinismE0ELb1ES3_N6thrust23THRUST_200600_302600_NS6detail15normal_iteratorINS9_10device_ptrIiEEEENSB_INSC_IjEEEESE_iNS9_4plusIvEENS9_8equal_toIvEEiEE10hipError_tPvRmT2_T3_T4_T5_mT6_T7_P12ihipStream_tbENKUlT_T0_E_clISt17integral_constantIbLb1EES11_EEDaSW_SX_EUlSW_E_NS1_11comp_targetILNS1_3genE4ELNS1_11target_archE910ELNS1_3gpuE8ELNS1_3repE0EEENS1_30default_config_static_selectorELNS0_4arch9wavefront6targetE1EEEvT1_: ; @_ZN7rocprim17ROCPRIM_400000_NS6detail17trampoline_kernelINS0_14default_configENS1_27scan_by_key_config_selectorIiiEEZZNS1_16scan_by_key_implILNS1_25lookback_scan_determinismE0ELb1ES3_N6thrust23THRUST_200600_302600_NS6detail15normal_iteratorINS9_10device_ptrIiEEEENSB_INSC_IjEEEESE_iNS9_4plusIvEENS9_8equal_toIvEEiEE10hipError_tPvRmT2_T3_T4_T5_mT6_T7_P12ihipStream_tbENKUlT_T0_E_clISt17integral_constantIbLb1EES11_EEDaSW_SX_EUlSW_E_NS1_11comp_targetILNS1_3genE4ELNS1_11target_archE910ELNS1_3gpuE8ELNS1_3repE0EEENS1_30default_config_static_selectorELNS0_4arch9wavefront6targetE1EEEvT1_
; %bb.0:
	.section	.rodata,"a",@progbits
	.p2align	6, 0x0
	.amdhsa_kernel _ZN7rocprim17ROCPRIM_400000_NS6detail17trampoline_kernelINS0_14default_configENS1_27scan_by_key_config_selectorIiiEEZZNS1_16scan_by_key_implILNS1_25lookback_scan_determinismE0ELb1ES3_N6thrust23THRUST_200600_302600_NS6detail15normal_iteratorINS9_10device_ptrIiEEEENSB_INSC_IjEEEESE_iNS9_4plusIvEENS9_8equal_toIvEEiEE10hipError_tPvRmT2_T3_T4_T5_mT6_T7_P12ihipStream_tbENKUlT_T0_E_clISt17integral_constantIbLb1EES11_EEDaSW_SX_EUlSW_E_NS1_11comp_targetILNS1_3genE4ELNS1_11target_archE910ELNS1_3gpuE8ELNS1_3repE0EEENS1_30default_config_static_selectorELNS0_4arch9wavefront6targetE1EEEvT1_
		.amdhsa_group_segment_fixed_size 0
		.amdhsa_private_segment_fixed_size 0
		.amdhsa_kernarg_size 112
		.amdhsa_user_sgpr_count 2
		.amdhsa_user_sgpr_dispatch_ptr 0
		.amdhsa_user_sgpr_queue_ptr 0
		.amdhsa_user_sgpr_kernarg_segment_ptr 1
		.amdhsa_user_sgpr_dispatch_id 0
		.amdhsa_user_sgpr_kernarg_preload_length 0
		.amdhsa_user_sgpr_kernarg_preload_offset 0
		.amdhsa_user_sgpr_private_segment_size 0
		.amdhsa_uses_dynamic_stack 0
		.amdhsa_enable_private_segment 0
		.amdhsa_system_sgpr_workgroup_id_x 1
		.amdhsa_system_sgpr_workgroup_id_y 0
		.amdhsa_system_sgpr_workgroup_id_z 0
		.amdhsa_system_sgpr_workgroup_info 0
		.amdhsa_system_vgpr_workitem_id 0
		.amdhsa_next_free_vgpr 1
		.amdhsa_next_free_sgpr 0
		.amdhsa_accum_offset 4
		.amdhsa_reserve_vcc 0
		.amdhsa_float_round_mode_32 0
		.amdhsa_float_round_mode_16_64 0
		.amdhsa_float_denorm_mode_32 3
		.amdhsa_float_denorm_mode_16_64 3
		.amdhsa_dx10_clamp 1
		.amdhsa_ieee_mode 1
		.amdhsa_fp16_overflow 0
		.amdhsa_tg_split 0
		.amdhsa_exception_fp_ieee_invalid_op 0
		.amdhsa_exception_fp_denorm_src 0
		.amdhsa_exception_fp_ieee_div_zero 0
		.amdhsa_exception_fp_ieee_overflow 0
		.amdhsa_exception_fp_ieee_underflow 0
		.amdhsa_exception_fp_ieee_inexact 0
		.amdhsa_exception_int_div_zero 0
	.end_amdhsa_kernel
	.section	.text._ZN7rocprim17ROCPRIM_400000_NS6detail17trampoline_kernelINS0_14default_configENS1_27scan_by_key_config_selectorIiiEEZZNS1_16scan_by_key_implILNS1_25lookback_scan_determinismE0ELb1ES3_N6thrust23THRUST_200600_302600_NS6detail15normal_iteratorINS9_10device_ptrIiEEEENSB_INSC_IjEEEESE_iNS9_4plusIvEENS9_8equal_toIvEEiEE10hipError_tPvRmT2_T3_T4_T5_mT6_T7_P12ihipStream_tbENKUlT_T0_E_clISt17integral_constantIbLb1EES11_EEDaSW_SX_EUlSW_E_NS1_11comp_targetILNS1_3genE4ELNS1_11target_archE910ELNS1_3gpuE8ELNS1_3repE0EEENS1_30default_config_static_selectorELNS0_4arch9wavefront6targetE1EEEvT1_,"axG",@progbits,_ZN7rocprim17ROCPRIM_400000_NS6detail17trampoline_kernelINS0_14default_configENS1_27scan_by_key_config_selectorIiiEEZZNS1_16scan_by_key_implILNS1_25lookback_scan_determinismE0ELb1ES3_N6thrust23THRUST_200600_302600_NS6detail15normal_iteratorINS9_10device_ptrIiEEEENSB_INSC_IjEEEESE_iNS9_4plusIvEENS9_8equal_toIvEEiEE10hipError_tPvRmT2_T3_T4_T5_mT6_T7_P12ihipStream_tbENKUlT_T0_E_clISt17integral_constantIbLb1EES11_EEDaSW_SX_EUlSW_E_NS1_11comp_targetILNS1_3genE4ELNS1_11target_archE910ELNS1_3gpuE8ELNS1_3repE0EEENS1_30default_config_static_selectorELNS0_4arch9wavefront6targetE1EEEvT1_,comdat
.Lfunc_end1764:
	.size	_ZN7rocprim17ROCPRIM_400000_NS6detail17trampoline_kernelINS0_14default_configENS1_27scan_by_key_config_selectorIiiEEZZNS1_16scan_by_key_implILNS1_25lookback_scan_determinismE0ELb1ES3_N6thrust23THRUST_200600_302600_NS6detail15normal_iteratorINS9_10device_ptrIiEEEENSB_INSC_IjEEEESE_iNS9_4plusIvEENS9_8equal_toIvEEiEE10hipError_tPvRmT2_T3_T4_T5_mT6_T7_P12ihipStream_tbENKUlT_T0_E_clISt17integral_constantIbLb1EES11_EEDaSW_SX_EUlSW_E_NS1_11comp_targetILNS1_3genE4ELNS1_11target_archE910ELNS1_3gpuE8ELNS1_3repE0EEENS1_30default_config_static_selectorELNS0_4arch9wavefront6targetE1EEEvT1_, .Lfunc_end1764-_ZN7rocprim17ROCPRIM_400000_NS6detail17trampoline_kernelINS0_14default_configENS1_27scan_by_key_config_selectorIiiEEZZNS1_16scan_by_key_implILNS1_25lookback_scan_determinismE0ELb1ES3_N6thrust23THRUST_200600_302600_NS6detail15normal_iteratorINS9_10device_ptrIiEEEENSB_INSC_IjEEEESE_iNS9_4plusIvEENS9_8equal_toIvEEiEE10hipError_tPvRmT2_T3_T4_T5_mT6_T7_P12ihipStream_tbENKUlT_T0_E_clISt17integral_constantIbLb1EES11_EEDaSW_SX_EUlSW_E_NS1_11comp_targetILNS1_3genE4ELNS1_11target_archE910ELNS1_3gpuE8ELNS1_3repE0EEENS1_30default_config_static_selectorELNS0_4arch9wavefront6targetE1EEEvT1_
                                        ; -- End function
	.section	.AMDGPU.csdata,"",@progbits
; Kernel info:
; codeLenInByte = 0
; NumSgprs: 6
; NumVgprs: 0
; NumAgprs: 0
; TotalNumVgprs: 0
; ScratchSize: 0
; MemoryBound: 0
; FloatMode: 240
; IeeeMode: 1
; LDSByteSize: 0 bytes/workgroup (compile time only)
; SGPRBlocks: 0
; VGPRBlocks: 0
; NumSGPRsForWavesPerEU: 6
; NumVGPRsForWavesPerEU: 1
; AccumOffset: 4
; Occupancy: 8
; WaveLimiterHint : 0
; COMPUTE_PGM_RSRC2:SCRATCH_EN: 0
; COMPUTE_PGM_RSRC2:USER_SGPR: 2
; COMPUTE_PGM_RSRC2:TRAP_HANDLER: 0
; COMPUTE_PGM_RSRC2:TGID_X_EN: 1
; COMPUTE_PGM_RSRC2:TGID_Y_EN: 0
; COMPUTE_PGM_RSRC2:TGID_Z_EN: 0
; COMPUTE_PGM_RSRC2:TIDIG_COMP_CNT: 0
; COMPUTE_PGM_RSRC3_GFX90A:ACCUM_OFFSET: 0
; COMPUTE_PGM_RSRC3_GFX90A:TG_SPLIT: 0
	.section	.text._ZN7rocprim17ROCPRIM_400000_NS6detail17trampoline_kernelINS0_14default_configENS1_27scan_by_key_config_selectorIiiEEZZNS1_16scan_by_key_implILNS1_25lookback_scan_determinismE0ELb1ES3_N6thrust23THRUST_200600_302600_NS6detail15normal_iteratorINS9_10device_ptrIiEEEENSB_INSC_IjEEEESE_iNS9_4plusIvEENS9_8equal_toIvEEiEE10hipError_tPvRmT2_T3_T4_T5_mT6_T7_P12ihipStream_tbENKUlT_T0_E_clISt17integral_constantIbLb1EES11_EEDaSW_SX_EUlSW_E_NS1_11comp_targetILNS1_3genE3ELNS1_11target_archE908ELNS1_3gpuE7ELNS1_3repE0EEENS1_30default_config_static_selectorELNS0_4arch9wavefront6targetE1EEEvT1_,"axG",@progbits,_ZN7rocprim17ROCPRIM_400000_NS6detail17trampoline_kernelINS0_14default_configENS1_27scan_by_key_config_selectorIiiEEZZNS1_16scan_by_key_implILNS1_25lookback_scan_determinismE0ELb1ES3_N6thrust23THRUST_200600_302600_NS6detail15normal_iteratorINS9_10device_ptrIiEEEENSB_INSC_IjEEEESE_iNS9_4plusIvEENS9_8equal_toIvEEiEE10hipError_tPvRmT2_T3_T4_T5_mT6_T7_P12ihipStream_tbENKUlT_T0_E_clISt17integral_constantIbLb1EES11_EEDaSW_SX_EUlSW_E_NS1_11comp_targetILNS1_3genE3ELNS1_11target_archE908ELNS1_3gpuE7ELNS1_3repE0EEENS1_30default_config_static_selectorELNS0_4arch9wavefront6targetE1EEEvT1_,comdat
	.protected	_ZN7rocprim17ROCPRIM_400000_NS6detail17trampoline_kernelINS0_14default_configENS1_27scan_by_key_config_selectorIiiEEZZNS1_16scan_by_key_implILNS1_25lookback_scan_determinismE0ELb1ES3_N6thrust23THRUST_200600_302600_NS6detail15normal_iteratorINS9_10device_ptrIiEEEENSB_INSC_IjEEEESE_iNS9_4plusIvEENS9_8equal_toIvEEiEE10hipError_tPvRmT2_T3_T4_T5_mT6_T7_P12ihipStream_tbENKUlT_T0_E_clISt17integral_constantIbLb1EES11_EEDaSW_SX_EUlSW_E_NS1_11comp_targetILNS1_3genE3ELNS1_11target_archE908ELNS1_3gpuE7ELNS1_3repE0EEENS1_30default_config_static_selectorELNS0_4arch9wavefront6targetE1EEEvT1_ ; -- Begin function _ZN7rocprim17ROCPRIM_400000_NS6detail17trampoline_kernelINS0_14default_configENS1_27scan_by_key_config_selectorIiiEEZZNS1_16scan_by_key_implILNS1_25lookback_scan_determinismE0ELb1ES3_N6thrust23THRUST_200600_302600_NS6detail15normal_iteratorINS9_10device_ptrIiEEEENSB_INSC_IjEEEESE_iNS9_4plusIvEENS9_8equal_toIvEEiEE10hipError_tPvRmT2_T3_T4_T5_mT6_T7_P12ihipStream_tbENKUlT_T0_E_clISt17integral_constantIbLb1EES11_EEDaSW_SX_EUlSW_E_NS1_11comp_targetILNS1_3genE3ELNS1_11target_archE908ELNS1_3gpuE7ELNS1_3repE0EEENS1_30default_config_static_selectorELNS0_4arch9wavefront6targetE1EEEvT1_
	.globl	_ZN7rocprim17ROCPRIM_400000_NS6detail17trampoline_kernelINS0_14default_configENS1_27scan_by_key_config_selectorIiiEEZZNS1_16scan_by_key_implILNS1_25lookback_scan_determinismE0ELb1ES3_N6thrust23THRUST_200600_302600_NS6detail15normal_iteratorINS9_10device_ptrIiEEEENSB_INSC_IjEEEESE_iNS9_4plusIvEENS9_8equal_toIvEEiEE10hipError_tPvRmT2_T3_T4_T5_mT6_T7_P12ihipStream_tbENKUlT_T0_E_clISt17integral_constantIbLb1EES11_EEDaSW_SX_EUlSW_E_NS1_11comp_targetILNS1_3genE3ELNS1_11target_archE908ELNS1_3gpuE7ELNS1_3repE0EEENS1_30default_config_static_selectorELNS0_4arch9wavefront6targetE1EEEvT1_
	.p2align	8
	.type	_ZN7rocprim17ROCPRIM_400000_NS6detail17trampoline_kernelINS0_14default_configENS1_27scan_by_key_config_selectorIiiEEZZNS1_16scan_by_key_implILNS1_25lookback_scan_determinismE0ELb1ES3_N6thrust23THRUST_200600_302600_NS6detail15normal_iteratorINS9_10device_ptrIiEEEENSB_INSC_IjEEEESE_iNS9_4plusIvEENS9_8equal_toIvEEiEE10hipError_tPvRmT2_T3_T4_T5_mT6_T7_P12ihipStream_tbENKUlT_T0_E_clISt17integral_constantIbLb1EES11_EEDaSW_SX_EUlSW_E_NS1_11comp_targetILNS1_3genE3ELNS1_11target_archE908ELNS1_3gpuE7ELNS1_3repE0EEENS1_30default_config_static_selectorELNS0_4arch9wavefront6targetE1EEEvT1_,@function
_ZN7rocprim17ROCPRIM_400000_NS6detail17trampoline_kernelINS0_14default_configENS1_27scan_by_key_config_selectorIiiEEZZNS1_16scan_by_key_implILNS1_25lookback_scan_determinismE0ELb1ES3_N6thrust23THRUST_200600_302600_NS6detail15normal_iteratorINS9_10device_ptrIiEEEENSB_INSC_IjEEEESE_iNS9_4plusIvEENS9_8equal_toIvEEiEE10hipError_tPvRmT2_T3_T4_T5_mT6_T7_P12ihipStream_tbENKUlT_T0_E_clISt17integral_constantIbLb1EES11_EEDaSW_SX_EUlSW_E_NS1_11comp_targetILNS1_3genE3ELNS1_11target_archE908ELNS1_3gpuE7ELNS1_3repE0EEENS1_30default_config_static_selectorELNS0_4arch9wavefront6targetE1EEEvT1_: ; @_ZN7rocprim17ROCPRIM_400000_NS6detail17trampoline_kernelINS0_14default_configENS1_27scan_by_key_config_selectorIiiEEZZNS1_16scan_by_key_implILNS1_25lookback_scan_determinismE0ELb1ES3_N6thrust23THRUST_200600_302600_NS6detail15normal_iteratorINS9_10device_ptrIiEEEENSB_INSC_IjEEEESE_iNS9_4plusIvEENS9_8equal_toIvEEiEE10hipError_tPvRmT2_T3_T4_T5_mT6_T7_P12ihipStream_tbENKUlT_T0_E_clISt17integral_constantIbLb1EES11_EEDaSW_SX_EUlSW_E_NS1_11comp_targetILNS1_3genE3ELNS1_11target_archE908ELNS1_3gpuE7ELNS1_3repE0EEENS1_30default_config_static_selectorELNS0_4arch9wavefront6targetE1EEEvT1_
; %bb.0:
	.section	.rodata,"a",@progbits
	.p2align	6, 0x0
	.amdhsa_kernel _ZN7rocprim17ROCPRIM_400000_NS6detail17trampoline_kernelINS0_14default_configENS1_27scan_by_key_config_selectorIiiEEZZNS1_16scan_by_key_implILNS1_25lookback_scan_determinismE0ELb1ES3_N6thrust23THRUST_200600_302600_NS6detail15normal_iteratorINS9_10device_ptrIiEEEENSB_INSC_IjEEEESE_iNS9_4plusIvEENS9_8equal_toIvEEiEE10hipError_tPvRmT2_T3_T4_T5_mT6_T7_P12ihipStream_tbENKUlT_T0_E_clISt17integral_constantIbLb1EES11_EEDaSW_SX_EUlSW_E_NS1_11comp_targetILNS1_3genE3ELNS1_11target_archE908ELNS1_3gpuE7ELNS1_3repE0EEENS1_30default_config_static_selectorELNS0_4arch9wavefront6targetE1EEEvT1_
		.amdhsa_group_segment_fixed_size 0
		.amdhsa_private_segment_fixed_size 0
		.amdhsa_kernarg_size 112
		.amdhsa_user_sgpr_count 2
		.amdhsa_user_sgpr_dispatch_ptr 0
		.amdhsa_user_sgpr_queue_ptr 0
		.amdhsa_user_sgpr_kernarg_segment_ptr 1
		.amdhsa_user_sgpr_dispatch_id 0
		.amdhsa_user_sgpr_kernarg_preload_length 0
		.amdhsa_user_sgpr_kernarg_preload_offset 0
		.amdhsa_user_sgpr_private_segment_size 0
		.amdhsa_uses_dynamic_stack 0
		.amdhsa_enable_private_segment 0
		.amdhsa_system_sgpr_workgroup_id_x 1
		.amdhsa_system_sgpr_workgroup_id_y 0
		.amdhsa_system_sgpr_workgroup_id_z 0
		.amdhsa_system_sgpr_workgroup_info 0
		.amdhsa_system_vgpr_workitem_id 0
		.amdhsa_next_free_vgpr 1
		.amdhsa_next_free_sgpr 0
		.amdhsa_accum_offset 4
		.amdhsa_reserve_vcc 0
		.amdhsa_float_round_mode_32 0
		.amdhsa_float_round_mode_16_64 0
		.amdhsa_float_denorm_mode_32 3
		.amdhsa_float_denorm_mode_16_64 3
		.amdhsa_dx10_clamp 1
		.amdhsa_ieee_mode 1
		.amdhsa_fp16_overflow 0
		.amdhsa_tg_split 0
		.amdhsa_exception_fp_ieee_invalid_op 0
		.amdhsa_exception_fp_denorm_src 0
		.amdhsa_exception_fp_ieee_div_zero 0
		.amdhsa_exception_fp_ieee_overflow 0
		.amdhsa_exception_fp_ieee_underflow 0
		.amdhsa_exception_fp_ieee_inexact 0
		.amdhsa_exception_int_div_zero 0
	.end_amdhsa_kernel
	.section	.text._ZN7rocprim17ROCPRIM_400000_NS6detail17trampoline_kernelINS0_14default_configENS1_27scan_by_key_config_selectorIiiEEZZNS1_16scan_by_key_implILNS1_25lookback_scan_determinismE0ELb1ES3_N6thrust23THRUST_200600_302600_NS6detail15normal_iteratorINS9_10device_ptrIiEEEENSB_INSC_IjEEEESE_iNS9_4plusIvEENS9_8equal_toIvEEiEE10hipError_tPvRmT2_T3_T4_T5_mT6_T7_P12ihipStream_tbENKUlT_T0_E_clISt17integral_constantIbLb1EES11_EEDaSW_SX_EUlSW_E_NS1_11comp_targetILNS1_3genE3ELNS1_11target_archE908ELNS1_3gpuE7ELNS1_3repE0EEENS1_30default_config_static_selectorELNS0_4arch9wavefront6targetE1EEEvT1_,"axG",@progbits,_ZN7rocprim17ROCPRIM_400000_NS6detail17trampoline_kernelINS0_14default_configENS1_27scan_by_key_config_selectorIiiEEZZNS1_16scan_by_key_implILNS1_25lookback_scan_determinismE0ELb1ES3_N6thrust23THRUST_200600_302600_NS6detail15normal_iteratorINS9_10device_ptrIiEEEENSB_INSC_IjEEEESE_iNS9_4plusIvEENS9_8equal_toIvEEiEE10hipError_tPvRmT2_T3_T4_T5_mT6_T7_P12ihipStream_tbENKUlT_T0_E_clISt17integral_constantIbLb1EES11_EEDaSW_SX_EUlSW_E_NS1_11comp_targetILNS1_3genE3ELNS1_11target_archE908ELNS1_3gpuE7ELNS1_3repE0EEENS1_30default_config_static_selectorELNS0_4arch9wavefront6targetE1EEEvT1_,comdat
.Lfunc_end1765:
	.size	_ZN7rocprim17ROCPRIM_400000_NS6detail17trampoline_kernelINS0_14default_configENS1_27scan_by_key_config_selectorIiiEEZZNS1_16scan_by_key_implILNS1_25lookback_scan_determinismE0ELb1ES3_N6thrust23THRUST_200600_302600_NS6detail15normal_iteratorINS9_10device_ptrIiEEEENSB_INSC_IjEEEESE_iNS9_4plusIvEENS9_8equal_toIvEEiEE10hipError_tPvRmT2_T3_T4_T5_mT6_T7_P12ihipStream_tbENKUlT_T0_E_clISt17integral_constantIbLb1EES11_EEDaSW_SX_EUlSW_E_NS1_11comp_targetILNS1_3genE3ELNS1_11target_archE908ELNS1_3gpuE7ELNS1_3repE0EEENS1_30default_config_static_selectorELNS0_4arch9wavefront6targetE1EEEvT1_, .Lfunc_end1765-_ZN7rocprim17ROCPRIM_400000_NS6detail17trampoline_kernelINS0_14default_configENS1_27scan_by_key_config_selectorIiiEEZZNS1_16scan_by_key_implILNS1_25lookback_scan_determinismE0ELb1ES3_N6thrust23THRUST_200600_302600_NS6detail15normal_iteratorINS9_10device_ptrIiEEEENSB_INSC_IjEEEESE_iNS9_4plusIvEENS9_8equal_toIvEEiEE10hipError_tPvRmT2_T3_T4_T5_mT6_T7_P12ihipStream_tbENKUlT_T0_E_clISt17integral_constantIbLb1EES11_EEDaSW_SX_EUlSW_E_NS1_11comp_targetILNS1_3genE3ELNS1_11target_archE908ELNS1_3gpuE7ELNS1_3repE0EEENS1_30default_config_static_selectorELNS0_4arch9wavefront6targetE1EEEvT1_
                                        ; -- End function
	.section	.AMDGPU.csdata,"",@progbits
; Kernel info:
; codeLenInByte = 0
; NumSgprs: 6
; NumVgprs: 0
; NumAgprs: 0
; TotalNumVgprs: 0
; ScratchSize: 0
; MemoryBound: 0
; FloatMode: 240
; IeeeMode: 1
; LDSByteSize: 0 bytes/workgroup (compile time only)
; SGPRBlocks: 0
; VGPRBlocks: 0
; NumSGPRsForWavesPerEU: 6
; NumVGPRsForWavesPerEU: 1
; AccumOffset: 4
; Occupancy: 8
; WaveLimiterHint : 0
; COMPUTE_PGM_RSRC2:SCRATCH_EN: 0
; COMPUTE_PGM_RSRC2:USER_SGPR: 2
; COMPUTE_PGM_RSRC2:TRAP_HANDLER: 0
; COMPUTE_PGM_RSRC2:TGID_X_EN: 1
; COMPUTE_PGM_RSRC2:TGID_Y_EN: 0
; COMPUTE_PGM_RSRC2:TGID_Z_EN: 0
; COMPUTE_PGM_RSRC2:TIDIG_COMP_CNT: 0
; COMPUTE_PGM_RSRC3_GFX90A:ACCUM_OFFSET: 0
; COMPUTE_PGM_RSRC3_GFX90A:TG_SPLIT: 0
	.section	.text._ZN7rocprim17ROCPRIM_400000_NS6detail17trampoline_kernelINS0_14default_configENS1_27scan_by_key_config_selectorIiiEEZZNS1_16scan_by_key_implILNS1_25lookback_scan_determinismE0ELb1ES3_N6thrust23THRUST_200600_302600_NS6detail15normal_iteratorINS9_10device_ptrIiEEEENSB_INSC_IjEEEESE_iNS9_4plusIvEENS9_8equal_toIvEEiEE10hipError_tPvRmT2_T3_T4_T5_mT6_T7_P12ihipStream_tbENKUlT_T0_E_clISt17integral_constantIbLb1EES11_EEDaSW_SX_EUlSW_E_NS1_11comp_targetILNS1_3genE2ELNS1_11target_archE906ELNS1_3gpuE6ELNS1_3repE0EEENS1_30default_config_static_selectorELNS0_4arch9wavefront6targetE1EEEvT1_,"axG",@progbits,_ZN7rocprim17ROCPRIM_400000_NS6detail17trampoline_kernelINS0_14default_configENS1_27scan_by_key_config_selectorIiiEEZZNS1_16scan_by_key_implILNS1_25lookback_scan_determinismE0ELb1ES3_N6thrust23THRUST_200600_302600_NS6detail15normal_iteratorINS9_10device_ptrIiEEEENSB_INSC_IjEEEESE_iNS9_4plusIvEENS9_8equal_toIvEEiEE10hipError_tPvRmT2_T3_T4_T5_mT6_T7_P12ihipStream_tbENKUlT_T0_E_clISt17integral_constantIbLb1EES11_EEDaSW_SX_EUlSW_E_NS1_11comp_targetILNS1_3genE2ELNS1_11target_archE906ELNS1_3gpuE6ELNS1_3repE0EEENS1_30default_config_static_selectorELNS0_4arch9wavefront6targetE1EEEvT1_,comdat
	.protected	_ZN7rocprim17ROCPRIM_400000_NS6detail17trampoline_kernelINS0_14default_configENS1_27scan_by_key_config_selectorIiiEEZZNS1_16scan_by_key_implILNS1_25lookback_scan_determinismE0ELb1ES3_N6thrust23THRUST_200600_302600_NS6detail15normal_iteratorINS9_10device_ptrIiEEEENSB_INSC_IjEEEESE_iNS9_4plusIvEENS9_8equal_toIvEEiEE10hipError_tPvRmT2_T3_T4_T5_mT6_T7_P12ihipStream_tbENKUlT_T0_E_clISt17integral_constantIbLb1EES11_EEDaSW_SX_EUlSW_E_NS1_11comp_targetILNS1_3genE2ELNS1_11target_archE906ELNS1_3gpuE6ELNS1_3repE0EEENS1_30default_config_static_selectorELNS0_4arch9wavefront6targetE1EEEvT1_ ; -- Begin function _ZN7rocprim17ROCPRIM_400000_NS6detail17trampoline_kernelINS0_14default_configENS1_27scan_by_key_config_selectorIiiEEZZNS1_16scan_by_key_implILNS1_25lookback_scan_determinismE0ELb1ES3_N6thrust23THRUST_200600_302600_NS6detail15normal_iteratorINS9_10device_ptrIiEEEENSB_INSC_IjEEEESE_iNS9_4plusIvEENS9_8equal_toIvEEiEE10hipError_tPvRmT2_T3_T4_T5_mT6_T7_P12ihipStream_tbENKUlT_T0_E_clISt17integral_constantIbLb1EES11_EEDaSW_SX_EUlSW_E_NS1_11comp_targetILNS1_3genE2ELNS1_11target_archE906ELNS1_3gpuE6ELNS1_3repE0EEENS1_30default_config_static_selectorELNS0_4arch9wavefront6targetE1EEEvT1_
	.globl	_ZN7rocprim17ROCPRIM_400000_NS6detail17trampoline_kernelINS0_14default_configENS1_27scan_by_key_config_selectorIiiEEZZNS1_16scan_by_key_implILNS1_25lookback_scan_determinismE0ELb1ES3_N6thrust23THRUST_200600_302600_NS6detail15normal_iteratorINS9_10device_ptrIiEEEENSB_INSC_IjEEEESE_iNS9_4plusIvEENS9_8equal_toIvEEiEE10hipError_tPvRmT2_T3_T4_T5_mT6_T7_P12ihipStream_tbENKUlT_T0_E_clISt17integral_constantIbLb1EES11_EEDaSW_SX_EUlSW_E_NS1_11comp_targetILNS1_3genE2ELNS1_11target_archE906ELNS1_3gpuE6ELNS1_3repE0EEENS1_30default_config_static_selectorELNS0_4arch9wavefront6targetE1EEEvT1_
	.p2align	8
	.type	_ZN7rocprim17ROCPRIM_400000_NS6detail17trampoline_kernelINS0_14default_configENS1_27scan_by_key_config_selectorIiiEEZZNS1_16scan_by_key_implILNS1_25lookback_scan_determinismE0ELb1ES3_N6thrust23THRUST_200600_302600_NS6detail15normal_iteratorINS9_10device_ptrIiEEEENSB_INSC_IjEEEESE_iNS9_4plusIvEENS9_8equal_toIvEEiEE10hipError_tPvRmT2_T3_T4_T5_mT6_T7_P12ihipStream_tbENKUlT_T0_E_clISt17integral_constantIbLb1EES11_EEDaSW_SX_EUlSW_E_NS1_11comp_targetILNS1_3genE2ELNS1_11target_archE906ELNS1_3gpuE6ELNS1_3repE0EEENS1_30default_config_static_selectorELNS0_4arch9wavefront6targetE1EEEvT1_,@function
_ZN7rocprim17ROCPRIM_400000_NS6detail17trampoline_kernelINS0_14default_configENS1_27scan_by_key_config_selectorIiiEEZZNS1_16scan_by_key_implILNS1_25lookback_scan_determinismE0ELb1ES3_N6thrust23THRUST_200600_302600_NS6detail15normal_iteratorINS9_10device_ptrIiEEEENSB_INSC_IjEEEESE_iNS9_4plusIvEENS9_8equal_toIvEEiEE10hipError_tPvRmT2_T3_T4_T5_mT6_T7_P12ihipStream_tbENKUlT_T0_E_clISt17integral_constantIbLb1EES11_EEDaSW_SX_EUlSW_E_NS1_11comp_targetILNS1_3genE2ELNS1_11target_archE906ELNS1_3gpuE6ELNS1_3repE0EEENS1_30default_config_static_selectorELNS0_4arch9wavefront6targetE1EEEvT1_: ; @_ZN7rocprim17ROCPRIM_400000_NS6detail17trampoline_kernelINS0_14default_configENS1_27scan_by_key_config_selectorIiiEEZZNS1_16scan_by_key_implILNS1_25lookback_scan_determinismE0ELb1ES3_N6thrust23THRUST_200600_302600_NS6detail15normal_iteratorINS9_10device_ptrIiEEEENSB_INSC_IjEEEESE_iNS9_4plusIvEENS9_8equal_toIvEEiEE10hipError_tPvRmT2_T3_T4_T5_mT6_T7_P12ihipStream_tbENKUlT_T0_E_clISt17integral_constantIbLb1EES11_EEDaSW_SX_EUlSW_E_NS1_11comp_targetILNS1_3genE2ELNS1_11target_archE906ELNS1_3gpuE6ELNS1_3repE0EEENS1_30default_config_static_selectorELNS0_4arch9wavefront6targetE1EEEvT1_
; %bb.0:
	.section	.rodata,"a",@progbits
	.p2align	6, 0x0
	.amdhsa_kernel _ZN7rocprim17ROCPRIM_400000_NS6detail17trampoline_kernelINS0_14default_configENS1_27scan_by_key_config_selectorIiiEEZZNS1_16scan_by_key_implILNS1_25lookback_scan_determinismE0ELb1ES3_N6thrust23THRUST_200600_302600_NS6detail15normal_iteratorINS9_10device_ptrIiEEEENSB_INSC_IjEEEESE_iNS9_4plusIvEENS9_8equal_toIvEEiEE10hipError_tPvRmT2_T3_T4_T5_mT6_T7_P12ihipStream_tbENKUlT_T0_E_clISt17integral_constantIbLb1EES11_EEDaSW_SX_EUlSW_E_NS1_11comp_targetILNS1_3genE2ELNS1_11target_archE906ELNS1_3gpuE6ELNS1_3repE0EEENS1_30default_config_static_selectorELNS0_4arch9wavefront6targetE1EEEvT1_
		.amdhsa_group_segment_fixed_size 0
		.amdhsa_private_segment_fixed_size 0
		.amdhsa_kernarg_size 112
		.amdhsa_user_sgpr_count 2
		.amdhsa_user_sgpr_dispatch_ptr 0
		.amdhsa_user_sgpr_queue_ptr 0
		.amdhsa_user_sgpr_kernarg_segment_ptr 1
		.amdhsa_user_sgpr_dispatch_id 0
		.amdhsa_user_sgpr_kernarg_preload_length 0
		.amdhsa_user_sgpr_kernarg_preload_offset 0
		.amdhsa_user_sgpr_private_segment_size 0
		.amdhsa_uses_dynamic_stack 0
		.amdhsa_enable_private_segment 0
		.amdhsa_system_sgpr_workgroup_id_x 1
		.amdhsa_system_sgpr_workgroup_id_y 0
		.amdhsa_system_sgpr_workgroup_id_z 0
		.amdhsa_system_sgpr_workgroup_info 0
		.amdhsa_system_vgpr_workitem_id 0
		.amdhsa_next_free_vgpr 1
		.amdhsa_next_free_sgpr 0
		.amdhsa_accum_offset 4
		.amdhsa_reserve_vcc 0
		.amdhsa_float_round_mode_32 0
		.amdhsa_float_round_mode_16_64 0
		.amdhsa_float_denorm_mode_32 3
		.amdhsa_float_denorm_mode_16_64 3
		.amdhsa_dx10_clamp 1
		.amdhsa_ieee_mode 1
		.amdhsa_fp16_overflow 0
		.amdhsa_tg_split 0
		.amdhsa_exception_fp_ieee_invalid_op 0
		.amdhsa_exception_fp_denorm_src 0
		.amdhsa_exception_fp_ieee_div_zero 0
		.amdhsa_exception_fp_ieee_overflow 0
		.amdhsa_exception_fp_ieee_underflow 0
		.amdhsa_exception_fp_ieee_inexact 0
		.amdhsa_exception_int_div_zero 0
	.end_amdhsa_kernel
	.section	.text._ZN7rocprim17ROCPRIM_400000_NS6detail17trampoline_kernelINS0_14default_configENS1_27scan_by_key_config_selectorIiiEEZZNS1_16scan_by_key_implILNS1_25lookback_scan_determinismE0ELb1ES3_N6thrust23THRUST_200600_302600_NS6detail15normal_iteratorINS9_10device_ptrIiEEEENSB_INSC_IjEEEESE_iNS9_4plusIvEENS9_8equal_toIvEEiEE10hipError_tPvRmT2_T3_T4_T5_mT6_T7_P12ihipStream_tbENKUlT_T0_E_clISt17integral_constantIbLb1EES11_EEDaSW_SX_EUlSW_E_NS1_11comp_targetILNS1_3genE2ELNS1_11target_archE906ELNS1_3gpuE6ELNS1_3repE0EEENS1_30default_config_static_selectorELNS0_4arch9wavefront6targetE1EEEvT1_,"axG",@progbits,_ZN7rocprim17ROCPRIM_400000_NS6detail17trampoline_kernelINS0_14default_configENS1_27scan_by_key_config_selectorIiiEEZZNS1_16scan_by_key_implILNS1_25lookback_scan_determinismE0ELb1ES3_N6thrust23THRUST_200600_302600_NS6detail15normal_iteratorINS9_10device_ptrIiEEEENSB_INSC_IjEEEESE_iNS9_4plusIvEENS9_8equal_toIvEEiEE10hipError_tPvRmT2_T3_T4_T5_mT6_T7_P12ihipStream_tbENKUlT_T0_E_clISt17integral_constantIbLb1EES11_EEDaSW_SX_EUlSW_E_NS1_11comp_targetILNS1_3genE2ELNS1_11target_archE906ELNS1_3gpuE6ELNS1_3repE0EEENS1_30default_config_static_selectorELNS0_4arch9wavefront6targetE1EEEvT1_,comdat
.Lfunc_end1766:
	.size	_ZN7rocprim17ROCPRIM_400000_NS6detail17trampoline_kernelINS0_14default_configENS1_27scan_by_key_config_selectorIiiEEZZNS1_16scan_by_key_implILNS1_25lookback_scan_determinismE0ELb1ES3_N6thrust23THRUST_200600_302600_NS6detail15normal_iteratorINS9_10device_ptrIiEEEENSB_INSC_IjEEEESE_iNS9_4plusIvEENS9_8equal_toIvEEiEE10hipError_tPvRmT2_T3_T4_T5_mT6_T7_P12ihipStream_tbENKUlT_T0_E_clISt17integral_constantIbLb1EES11_EEDaSW_SX_EUlSW_E_NS1_11comp_targetILNS1_3genE2ELNS1_11target_archE906ELNS1_3gpuE6ELNS1_3repE0EEENS1_30default_config_static_selectorELNS0_4arch9wavefront6targetE1EEEvT1_, .Lfunc_end1766-_ZN7rocprim17ROCPRIM_400000_NS6detail17trampoline_kernelINS0_14default_configENS1_27scan_by_key_config_selectorIiiEEZZNS1_16scan_by_key_implILNS1_25lookback_scan_determinismE0ELb1ES3_N6thrust23THRUST_200600_302600_NS6detail15normal_iteratorINS9_10device_ptrIiEEEENSB_INSC_IjEEEESE_iNS9_4plusIvEENS9_8equal_toIvEEiEE10hipError_tPvRmT2_T3_T4_T5_mT6_T7_P12ihipStream_tbENKUlT_T0_E_clISt17integral_constantIbLb1EES11_EEDaSW_SX_EUlSW_E_NS1_11comp_targetILNS1_3genE2ELNS1_11target_archE906ELNS1_3gpuE6ELNS1_3repE0EEENS1_30default_config_static_selectorELNS0_4arch9wavefront6targetE1EEEvT1_
                                        ; -- End function
	.section	.AMDGPU.csdata,"",@progbits
; Kernel info:
; codeLenInByte = 0
; NumSgprs: 6
; NumVgprs: 0
; NumAgprs: 0
; TotalNumVgprs: 0
; ScratchSize: 0
; MemoryBound: 0
; FloatMode: 240
; IeeeMode: 1
; LDSByteSize: 0 bytes/workgroup (compile time only)
; SGPRBlocks: 0
; VGPRBlocks: 0
; NumSGPRsForWavesPerEU: 6
; NumVGPRsForWavesPerEU: 1
; AccumOffset: 4
; Occupancy: 8
; WaveLimiterHint : 0
; COMPUTE_PGM_RSRC2:SCRATCH_EN: 0
; COMPUTE_PGM_RSRC2:USER_SGPR: 2
; COMPUTE_PGM_RSRC2:TRAP_HANDLER: 0
; COMPUTE_PGM_RSRC2:TGID_X_EN: 1
; COMPUTE_PGM_RSRC2:TGID_Y_EN: 0
; COMPUTE_PGM_RSRC2:TGID_Z_EN: 0
; COMPUTE_PGM_RSRC2:TIDIG_COMP_CNT: 0
; COMPUTE_PGM_RSRC3_GFX90A:ACCUM_OFFSET: 0
; COMPUTE_PGM_RSRC3_GFX90A:TG_SPLIT: 0
	.section	.text._ZN7rocprim17ROCPRIM_400000_NS6detail17trampoline_kernelINS0_14default_configENS1_27scan_by_key_config_selectorIiiEEZZNS1_16scan_by_key_implILNS1_25lookback_scan_determinismE0ELb1ES3_N6thrust23THRUST_200600_302600_NS6detail15normal_iteratorINS9_10device_ptrIiEEEENSB_INSC_IjEEEESE_iNS9_4plusIvEENS9_8equal_toIvEEiEE10hipError_tPvRmT2_T3_T4_T5_mT6_T7_P12ihipStream_tbENKUlT_T0_E_clISt17integral_constantIbLb1EES11_EEDaSW_SX_EUlSW_E_NS1_11comp_targetILNS1_3genE10ELNS1_11target_archE1200ELNS1_3gpuE4ELNS1_3repE0EEENS1_30default_config_static_selectorELNS0_4arch9wavefront6targetE1EEEvT1_,"axG",@progbits,_ZN7rocprim17ROCPRIM_400000_NS6detail17trampoline_kernelINS0_14default_configENS1_27scan_by_key_config_selectorIiiEEZZNS1_16scan_by_key_implILNS1_25lookback_scan_determinismE0ELb1ES3_N6thrust23THRUST_200600_302600_NS6detail15normal_iteratorINS9_10device_ptrIiEEEENSB_INSC_IjEEEESE_iNS9_4plusIvEENS9_8equal_toIvEEiEE10hipError_tPvRmT2_T3_T4_T5_mT6_T7_P12ihipStream_tbENKUlT_T0_E_clISt17integral_constantIbLb1EES11_EEDaSW_SX_EUlSW_E_NS1_11comp_targetILNS1_3genE10ELNS1_11target_archE1200ELNS1_3gpuE4ELNS1_3repE0EEENS1_30default_config_static_selectorELNS0_4arch9wavefront6targetE1EEEvT1_,comdat
	.protected	_ZN7rocprim17ROCPRIM_400000_NS6detail17trampoline_kernelINS0_14default_configENS1_27scan_by_key_config_selectorIiiEEZZNS1_16scan_by_key_implILNS1_25lookback_scan_determinismE0ELb1ES3_N6thrust23THRUST_200600_302600_NS6detail15normal_iteratorINS9_10device_ptrIiEEEENSB_INSC_IjEEEESE_iNS9_4plusIvEENS9_8equal_toIvEEiEE10hipError_tPvRmT2_T3_T4_T5_mT6_T7_P12ihipStream_tbENKUlT_T0_E_clISt17integral_constantIbLb1EES11_EEDaSW_SX_EUlSW_E_NS1_11comp_targetILNS1_3genE10ELNS1_11target_archE1200ELNS1_3gpuE4ELNS1_3repE0EEENS1_30default_config_static_selectorELNS0_4arch9wavefront6targetE1EEEvT1_ ; -- Begin function _ZN7rocprim17ROCPRIM_400000_NS6detail17trampoline_kernelINS0_14default_configENS1_27scan_by_key_config_selectorIiiEEZZNS1_16scan_by_key_implILNS1_25lookback_scan_determinismE0ELb1ES3_N6thrust23THRUST_200600_302600_NS6detail15normal_iteratorINS9_10device_ptrIiEEEENSB_INSC_IjEEEESE_iNS9_4plusIvEENS9_8equal_toIvEEiEE10hipError_tPvRmT2_T3_T4_T5_mT6_T7_P12ihipStream_tbENKUlT_T0_E_clISt17integral_constantIbLb1EES11_EEDaSW_SX_EUlSW_E_NS1_11comp_targetILNS1_3genE10ELNS1_11target_archE1200ELNS1_3gpuE4ELNS1_3repE0EEENS1_30default_config_static_selectorELNS0_4arch9wavefront6targetE1EEEvT1_
	.globl	_ZN7rocprim17ROCPRIM_400000_NS6detail17trampoline_kernelINS0_14default_configENS1_27scan_by_key_config_selectorIiiEEZZNS1_16scan_by_key_implILNS1_25lookback_scan_determinismE0ELb1ES3_N6thrust23THRUST_200600_302600_NS6detail15normal_iteratorINS9_10device_ptrIiEEEENSB_INSC_IjEEEESE_iNS9_4plusIvEENS9_8equal_toIvEEiEE10hipError_tPvRmT2_T3_T4_T5_mT6_T7_P12ihipStream_tbENKUlT_T0_E_clISt17integral_constantIbLb1EES11_EEDaSW_SX_EUlSW_E_NS1_11comp_targetILNS1_3genE10ELNS1_11target_archE1200ELNS1_3gpuE4ELNS1_3repE0EEENS1_30default_config_static_selectorELNS0_4arch9wavefront6targetE1EEEvT1_
	.p2align	8
	.type	_ZN7rocprim17ROCPRIM_400000_NS6detail17trampoline_kernelINS0_14default_configENS1_27scan_by_key_config_selectorIiiEEZZNS1_16scan_by_key_implILNS1_25lookback_scan_determinismE0ELb1ES3_N6thrust23THRUST_200600_302600_NS6detail15normal_iteratorINS9_10device_ptrIiEEEENSB_INSC_IjEEEESE_iNS9_4plusIvEENS9_8equal_toIvEEiEE10hipError_tPvRmT2_T3_T4_T5_mT6_T7_P12ihipStream_tbENKUlT_T0_E_clISt17integral_constantIbLb1EES11_EEDaSW_SX_EUlSW_E_NS1_11comp_targetILNS1_3genE10ELNS1_11target_archE1200ELNS1_3gpuE4ELNS1_3repE0EEENS1_30default_config_static_selectorELNS0_4arch9wavefront6targetE1EEEvT1_,@function
_ZN7rocprim17ROCPRIM_400000_NS6detail17trampoline_kernelINS0_14default_configENS1_27scan_by_key_config_selectorIiiEEZZNS1_16scan_by_key_implILNS1_25lookback_scan_determinismE0ELb1ES3_N6thrust23THRUST_200600_302600_NS6detail15normal_iteratorINS9_10device_ptrIiEEEENSB_INSC_IjEEEESE_iNS9_4plusIvEENS9_8equal_toIvEEiEE10hipError_tPvRmT2_T3_T4_T5_mT6_T7_P12ihipStream_tbENKUlT_T0_E_clISt17integral_constantIbLb1EES11_EEDaSW_SX_EUlSW_E_NS1_11comp_targetILNS1_3genE10ELNS1_11target_archE1200ELNS1_3gpuE4ELNS1_3repE0EEENS1_30default_config_static_selectorELNS0_4arch9wavefront6targetE1EEEvT1_: ; @_ZN7rocprim17ROCPRIM_400000_NS6detail17trampoline_kernelINS0_14default_configENS1_27scan_by_key_config_selectorIiiEEZZNS1_16scan_by_key_implILNS1_25lookback_scan_determinismE0ELb1ES3_N6thrust23THRUST_200600_302600_NS6detail15normal_iteratorINS9_10device_ptrIiEEEENSB_INSC_IjEEEESE_iNS9_4plusIvEENS9_8equal_toIvEEiEE10hipError_tPvRmT2_T3_T4_T5_mT6_T7_P12ihipStream_tbENKUlT_T0_E_clISt17integral_constantIbLb1EES11_EEDaSW_SX_EUlSW_E_NS1_11comp_targetILNS1_3genE10ELNS1_11target_archE1200ELNS1_3gpuE4ELNS1_3repE0EEENS1_30default_config_static_selectorELNS0_4arch9wavefront6targetE1EEEvT1_
; %bb.0:
	.section	.rodata,"a",@progbits
	.p2align	6, 0x0
	.amdhsa_kernel _ZN7rocprim17ROCPRIM_400000_NS6detail17trampoline_kernelINS0_14default_configENS1_27scan_by_key_config_selectorIiiEEZZNS1_16scan_by_key_implILNS1_25lookback_scan_determinismE0ELb1ES3_N6thrust23THRUST_200600_302600_NS6detail15normal_iteratorINS9_10device_ptrIiEEEENSB_INSC_IjEEEESE_iNS9_4plusIvEENS9_8equal_toIvEEiEE10hipError_tPvRmT2_T3_T4_T5_mT6_T7_P12ihipStream_tbENKUlT_T0_E_clISt17integral_constantIbLb1EES11_EEDaSW_SX_EUlSW_E_NS1_11comp_targetILNS1_3genE10ELNS1_11target_archE1200ELNS1_3gpuE4ELNS1_3repE0EEENS1_30default_config_static_selectorELNS0_4arch9wavefront6targetE1EEEvT1_
		.amdhsa_group_segment_fixed_size 0
		.amdhsa_private_segment_fixed_size 0
		.amdhsa_kernarg_size 112
		.amdhsa_user_sgpr_count 2
		.amdhsa_user_sgpr_dispatch_ptr 0
		.amdhsa_user_sgpr_queue_ptr 0
		.amdhsa_user_sgpr_kernarg_segment_ptr 1
		.amdhsa_user_sgpr_dispatch_id 0
		.amdhsa_user_sgpr_kernarg_preload_length 0
		.amdhsa_user_sgpr_kernarg_preload_offset 0
		.amdhsa_user_sgpr_private_segment_size 0
		.amdhsa_uses_dynamic_stack 0
		.amdhsa_enable_private_segment 0
		.amdhsa_system_sgpr_workgroup_id_x 1
		.amdhsa_system_sgpr_workgroup_id_y 0
		.amdhsa_system_sgpr_workgroup_id_z 0
		.amdhsa_system_sgpr_workgroup_info 0
		.amdhsa_system_vgpr_workitem_id 0
		.amdhsa_next_free_vgpr 1
		.amdhsa_next_free_sgpr 0
		.amdhsa_accum_offset 4
		.amdhsa_reserve_vcc 0
		.amdhsa_float_round_mode_32 0
		.amdhsa_float_round_mode_16_64 0
		.amdhsa_float_denorm_mode_32 3
		.amdhsa_float_denorm_mode_16_64 3
		.amdhsa_dx10_clamp 1
		.amdhsa_ieee_mode 1
		.amdhsa_fp16_overflow 0
		.amdhsa_tg_split 0
		.amdhsa_exception_fp_ieee_invalid_op 0
		.amdhsa_exception_fp_denorm_src 0
		.amdhsa_exception_fp_ieee_div_zero 0
		.amdhsa_exception_fp_ieee_overflow 0
		.amdhsa_exception_fp_ieee_underflow 0
		.amdhsa_exception_fp_ieee_inexact 0
		.amdhsa_exception_int_div_zero 0
	.end_amdhsa_kernel
	.section	.text._ZN7rocprim17ROCPRIM_400000_NS6detail17trampoline_kernelINS0_14default_configENS1_27scan_by_key_config_selectorIiiEEZZNS1_16scan_by_key_implILNS1_25lookback_scan_determinismE0ELb1ES3_N6thrust23THRUST_200600_302600_NS6detail15normal_iteratorINS9_10device_ptrIiEEEENSB_INSC_IjEEEESE_iNS9_4plusIvEENS9_8equal_toIvEEiEE10hipError_tPvRmT2_T3_T4_T5_mT6_T7_P12ihipStream_tbENKUlT_T0_E_clISt17integral_constantIbLb1EES11_EEDaSW_SX_EUlSW_E_NS1_11comp_targetILNS1_3genE10ELNS1_11target_archE1200ELNS1_3gpuE4ELNS1_3repE0EEENS1_30default_config_static_selectorELNS0_4arch9wavefront6targetE1EEEvT1_,"axG",@progbits,_ZN7rocprim17ROCPRIM_400000_NS6detail17trampoline_kernelINS0_14default_configENS1_27scan_by_key_config_selectorIiiEEZZNS1_16scan_by_key_implILNS1_25lookback_scan_determinismE0ELb1ES3_N6thrust23THRUST_200600_302600_NS6detail15normal_iteratorINS9_10device_ptrIiEEEENSB_INSC_IjEEEESE_iNS9_4plusIvEENS9_8equal_toIvEEiEE10hipError_tPvRmT2_T3_T4_T5_mT6_T7_P12ihipStream_tbENKUlT_T0_E_clISt17integral_constantIbLb1EES11_EEDaSW_SX_EUlSW_E_NS1_11comp_targetILNS1_3genE10ELNS1_11target_archE1200ELNS1_3gpuE4ELNS1_3repE0EEENS1_30default_config_static_selectorELNS0_4arch9wavefront6targetE1EEEvT1_,comdat
.Lfunc_end1767:
	.size	_ZN7rocprim17ROCPRIM_400000_NS6detail17trampoline_kernelINS0_14default_configENS1_27scan_by_key_config_selectorIiiEEZZNS1_16scan_by_key_implILNS1_25lookback_scan_determinismE0ELb1ES3_N6thrust23THRUST_200600_302600_NS6detail15normal_iteratorINS9_10device_ptrIiEEEENSB_INSC_IjEEEESE_iNS9_4plusIvEENS9_8equal_toIvEEiEE10hipError_tPvRmT2_T3_T4_T5_mT6_T7_P12ihipStream_tbENKUlT_T0_E_clISt17integral_constantIbLb1EES11_EEDaSW_SX_EUlSW_E_NS1_11comp_targetILNS1_3genE10ELNS1_11target_archE1200ELNS1_3gpuE4ELNS1_3repE0EEENS1_30default_config_static_selectorELNS0_4arch9wavefront6targetE1EEEvT1_, .Lfunc_end1767-_ZN7rocprim17ROCPRIM_400000_NS6detail17trampoline_kernelINS0_14default_configENS1_27scan_by_key_config_selectorIiiEEZZNS1_16scan_by_key_implILNS1_25lookback_scan_determinismE0ELb1ES3_N6thrust23THRUST_200600_302600_NS6detail15normal_iteratorINS9_10device_ptrIiEEEENSB_INSC_IjEEEESE_iNS9_4plusIvEENS9_8equal_toIvEEiEE10hipError_tPvRmT2_T3_T4_T5_mT6_T7_P12ihipStream_tbENKUlT_T0_E_clISt17integral_constantIbLb1EES11_EEDaSW_SX_EUlSW_E_NS1_11comp_targetILNS1_3genE10ELNS1_11target_archE1200ELNS1_3gpuE4ELNS1_3repE0EEENS1_30default_config_static_selectorELNS0_4arch9wavefront6targetE1EEEvT1_
                                        ; -- End function
	.section	.AMDGPU.csdata,"",@progbits
; Kernel info:
; codeLenInByte = 0
; NumSgprs: 6
; NumVgprs: 0
; NumAgprs: 0
; TotalNumVgprs: 0
; ScratchSize: 0
; MemoryBound: 0
; FloatMode: 240
; IeeeMode: 1
; LDSByteSize: 0 bytes/workgroup (compile time only)
; SGPRBlocks: 0
; VGPRBlocks: 0
; NumSGPRsForWavesPerEU: 6
; NumVGPRsForWavesPerEU: 1
; AccumOffset: 4
; Occupancy: 8
; WaveLimiterHint : 0
; COMPUTE_PGM_RSRC2:SCRATCH_EN: 0
; COMPUTE_PGM_RSRC2:USER_SGPR: 2
; COMPUTE_PGM_RSRC2:TRAP_HANDLER: 0
; COMPUTE_PGM_RSRC2:TGID_X_EN: 1
; COMPUTE_PGM_RSRC2:TGID_Y_EN: 0
; COMPUTE_PGM_RSRC2:TGID_Z_EN: 0
; COMPUTE_PGM_RSRC2:TIDIG_COMP_CNT: 0
; COMPUTE_PGM_RSRC3_GFX90A:ACCUM_OFFSET: 0
; COMPUTE_PGM_RSRC3_GFX90A:TG_SPLIT: 0
	.section	.text._ZN7rocprim17ROCPRIM_400000_NS6detail17trampoline_kernelINS0_14default_configENS1_27scan_by_key_config_selectorIiiEEZZNS1_16scan_by_key_implILNS1_25lookback_scan_determinismE0ELb1ES3_N6thrust23THRUST_200600_302600_NS6detail15normal_iteratorINS9_10device_ptrIiEEEENSB_INSC_IjEEEESE_iNS9_4plusIvEENS9_8equal_toIvEEiEE10hipError_tPvRmT2_T3_T4_T5_mT6_T7_P12ihipStream_tbENKUlT_T0_E_clISt17integral_constantIbLb1EES11_EEDaSW_SX_EUlSW_E_NS1_11comp_targetILNS1_3genE9ELNS1_11target_archE1100ELNS1_3gpuE3ELNS1_3repE0EEENS1_30default_config_static_selectorELNS0_4arch9wavefront6targetE1EEEvT1_,"axG",@progbits,_ZN7rocprim17ROCPRIM_400000_NS6detail17trampoline_kernelINS0_14default_configENS1_27scan_by_key_config_selectorIiiEEZZNS1_16scan_by_key_implILNS1_25lookback_scan_determinismE0ELb1ES3_N6thrust23THRUST_200600_302600_NS6detail15normal_iteratorINS9_10device_ptrIiEEEENSB_INSC_IjEEEESE_iNS9_4plusIvEENS9_8equal_toIvEEiEE10hipError_tPvRmT2_T3_T4_T5_mT6_T7_P12ihipStream_tbENKUlT_T0_E_clISt17integral_constantIbLb1EES11_EEDaSW_SX_EUlSW_E_NS1_11comp_targetILNS1_3genE9ELNS1_11target_archE1100ELNS1_3gpuE3ELNS1_3repE0EEENS1_30default_config_static_selectorELNS0_4arch9wavefront6targetE1EEEvT1_,comdat
	.protected	_ZN7rocprim17ROCPRIM_400000_NS6detail17trampoline_kernelINS0_14default_configENS1_27scan_by_key_config_selectorIiiEEZZNS1_16scan_by_key_implILNS1_25lookback_scan_determinismE0ELb1ES3_N6thrust23THRUST_200600_302600_NS6detail15normal_iteratorINS9_10device_ptrIiEEEENSB_INSC_IjEEEESE_iNS9_4plusIvEENS9_8equal_toIvEEiEE10hipError_tPvRmT2_T3_T4_T5_mT6_T7_P12ihipStream_tbENKUlT_T0_E_clISt17integral_constantIbLb1EES11_EEDaSW_SX_EUlSW_E_NS1_11comp_targetILNS1_3genE9ELNS1_11target_archE1100ELNS1_3gpuE3ELNS1_3repE0EEENS1_30default_config_static_selectorELNS0_4arch9wavefront6targetE1EEEvT1_ ; -- Begin function _ZN7rocprim17ROCPRIM_400000_NS6detail17trampoline_kernelINS0_14default_configENS1_27scan_by_key_config_selectorIiiEEZZNS1_16scan_by_key_implILNS1_25lookback_scan_determinismE0ELb1ES3_N6thrust23THRUST_200600_302600_NS6detail15normal_iteratorINS9_10device_ptrIiEEEENSB_INSC_IjEEEESE_iNS9_4plusIvEENS9_8equal_toIvEEiEE10hipError_tPvRmT2_T3_T4_T5_mT6_T7_P12ihipStream_tbENKUlT_T0_E_clISt17integral_constantIbLb1EES11_EEDaSW_SX_EUlSW_E_NS1_11comp_targetILNS1_3genE9ELNS1_11target_archE1100ELNS1_3gpuE3ELNS1_3repE0EEENS1_30default_config_static_selectorELNS0_4arch9wavefront6targetE1EEEvT1_
	.globl	_ZN7rocprim17ROCPRIM_400000_NS6detail17trampoline_kernelINS0_14default_configENS1_27scan_by_key_config_selectorIiiEEZZNS1_16scan_by_key_implILNS1_25lookback_scan_determinismE0ELb1ES3_N6thrust23THRUST_200600_302600_NS6detail15normal_iteratorINS9_10device_ptrIiEEEENSB_INSC_IjEEEESE_iNS9_4plusIvEENS9_8equal_toIvEEiEE10hipError_tPvRmT2_T3_T4_T5_mT6_T7_P12ihipStream_tbENKUlT_T0_E_clISt17integral_constantIbLb1EES11_EEDaSW_SX_EUlSW_E_NS1_11comp_targetILNS1_3genE9ELNS1_11target_archE1100ELNS1_3gpuE3ELNS1_3repE0EEENS1_30default_config_static_selectorELNS0_4arch9wavefront6targetE1EEEvT1_
	.p2align	8
	.type	_ZN7rocprim17ROCPRIM_400000_NS6detail17trampoline_kernelINS0_14default_configENS1_27scan_by_key_config_selectorIiiEEZZNS1_16scan_by_key_implILNS1_25lookback_scan_determinismE0ELb1ES3_N6thrust23THRUST_200600_302600_NS6detail15normal_iteratorINS9_10device_ptrIiEEEENSB_INSC_IjEEEESE_iNS9_4plusIvEENS9_8equal_toIvEEiEE10hipError_tPvRmT2_T3_T4_T5_mT6_T7_P12ihipStream_tbENKUlT_T0_E_clISt17integral_constantIbLb1EES11_EEDaSW_SX_EUlSW_E_NS1_11comp_targetILNS1_3genE9ELNS1_11target_archE1100ELNS1_3gpuE3ELNS1_3repE0EEENS1_30default_config_static_selectorELNS0_4arch9wavefront6targetE1EEEvT1_,@function
_ZN7rocprim17ROCPRIM_400000_NS6detail17trampoline_kernelINS0_14default_configENS1_27scan_by_key_config_selectorIiiEEZZNS1_16scan_by_key_implILNS1_25lookback_scan_determinismE0ELb1ES3_N6thrust23THRUST_200600_302600_NS6detail15normal_iteratorINS9_10device_ptrIiEEEENSB_INSC_IjEEEESE_iNS9_4plusIvEENS9_8equal_toIvEEiEE10hipError_tPvRmT2_T3_T4_T5_mT6_T7_P12ihipStream_tbENKUlT_T0_E_clISt17integral_constantIbLb1EES11_EEDaSW_SX_EUlSW_E_NS1_11comp_targetILNS1_3genE9ELNS1_11target_archE1100ELNS1_3gpuE3ELNS1_3repE0EEENS1_30default_config_static_selectorELNS0_4arch9wavefront6targetE1EEEvT1_: ; @_ZN7rocprim17ROCPRIM_400000_NS6detail17trampoline_kernelINS0_14default_configENS1_27scan_by_key_config_selectorIiiEEZZNS1_16scan_by_key_implILNS1_25lookback_scan_determinismE0ELb1ES3_N6thrust23THRUST_200600_302600_NS6detail15normal_iteratorINS9_10device_ptrIiEEEENSB_INSC_IjEEEESE_iNS9_4plusIvEENS9_8equal_toIvEEiEE10hipError_tPvRmT2_T3_T4_T5_mT6_T7_P12ihipStream_tbENKUlT_T0_E_clISt17integral_constantIbLb1EES11_EEDaSW_SX_EUlSW_E_NS1_11comp_targetILNS1_3genE9ELNS1_11target_archE1100ELNS1_3gpuE3ELNS1_3repE0EEENS1_30default_config_static_selectorELNS0_4arch9wavefront6targetE1EEEvT1_
; %bb.0:
	.section	.rodata,"a",@progbits
	.p2align	6, 0x0
	.amdhsa_kernel _ZN7rocprim17ROCPRIM_400000_NS6detail17trampoline_kernelINS0_14default_configENS1_27scan_by_key_config_selectorIiiEEZZNS1_16scan_by_key_implILNS1_25lookback_scan_determinismE0ELb1ES3_N6thrust23THRUST_200600_302600_NS6detail15normal_iteratorINS9_10device_ptrIiEEEENSB_INSC_IjEEEESE_iNS9_4plusIvEENS9_8equal_toIvEEiEE10hipError_tPvRmT2_T3_T4_T5_mT6_T7_P12ihipStream_tbENKUlT_T0_E_clISt17integral_constantIbLb1EES11_EEDaSW_SX_EUlSW_E_NS1_11comp_targetILNS1_3genE9ELNS1_11target_archE1100ELNS1_3gpuE3ELNS1_3repE0EEENS1_30default_config_static_selectorELNS0_4arch9wavefront6targetE1EEEvT1_
		.amdhsa_group_segment_fixed_size 0
		.amdhsa_private_segment_fixed_size 0
		.amdhsa_kernarg_size 112
		.amdhsa_user_sgpr_count 2
		.amdhsa_user_sgpr_dispatch_ptr 0
		.amdhsa_user_sgpr_queue_ptr 0
		.amdhsa_user_sgpr_kernarg_segment_ptr 1
		.amdhsa_user_sgpr_dispatch_id 0
		.amdhsa_user_sgpr_kernarg_preload_length 0
		.amdhsa_user_sgpr_kernarg_preload_offset 0
		.amdhsa_user_sgpr_private_segment_size 0
		.amdhsa_uses_dynamic_stack 0
		.amdhsa_enable_private_segment 0
		.amdhsa_system_sgpr_workgroup_id_x 1
		.amdhsa_system_sgpr_workgroup_id_y 0
		.amdhsa_system_sgpr_workgroup_id_z 0
		.amdhsa_system_sgpr_workgroup_info 0
		.amdhsa_system_vgpr_workitem_id 0
		.amdhsa_next_free_vgpr 1
		.amdhsa_next_free_sgpr 0
		.amdhsa_accum_offset 4
		.amdhsa_reserve_vcc 0
		.amdhsa_float_round_mode_32 0
		.amdhsa_float_round_mode_16_64 0
		.amdhsa_float_denorm_mode_32 3
		.amdhsa_float_denorm_mode_16_64 3
		.amdhsa_dx10_clamp 1
		.amdhsa_ieee_mode 1
		.amdhsa_fp16_overflow 0
		.amdhsa_tg_split 0
		.amdhsa_exception_fp_ieee_invalid_op 0
		.amdhsa_exception_fp_denorm_src 0
		.amdhsa_exception_fp_ieee_div_zero 0
		.amdhsa_exception_fp_ieee_overflow 0
		.amdhsa_exception_fp_ieee_underflow 0
		.amdhsa_exception_fp_ieee_inexact 0
		.amdhsa_exception_int_div_zero 0
	.end_amdhsa_kernel
	.section	.text._ZN7rocprim17ROCPRIM_400000_NS6detail17trampoline_kernelINS0_14default_configENS1_27scan_by_key_config_selectorIiiEEZZNS1_16scan_by_key_implILNS1_25lookback_scan_determinismE0ELb1ES3_N6thrust23THRUST_200600_302600_NS6detail15normal_iteratorINS9_10device_ptrIiEEEENSB_INSC_IjEEEESE_iNS9_4plusIvEENS9_8equal_toIvEEiEE10hipError_tPvRmT2_T3_T4_T5_mT6_T7_P12ihipStream_tbENKUlT_T0_E_clISt17integral_constantIbLb1EES11_EEDaSW_SX_EUlSW_E_NS1_11comp_targetILNS1_3genE9ELNS1_11target_archE1100ELNS1_3gpuE3ELNS1_3repE0EEENS1_30default_config_static_selectorELNS0_4arch9wavefront6targetE1EEEvT1_,"axG",@progbits,_ZN7rocprim17ROCPRIM_400000_NS6detail17trampoline_kernelINS0_14default_configENS1_27scan_by_key_config_selectorIiiEEZZNS1_16scan_by_key_implILNS1_25lookback_scan_determinismE0ELb1ES3_N6thrust23THRUST_200600_302600_NS6detail15normal_iteratorINS9_10device_ptrIiEEEENSB_INSC_IjEEEESE_iNS9_4plusIvEENS9_8equal_toIvEEiEE10hipError_tPvRmT2_T3_T4_T5_mT6_T7_P12ihipStream_tbENKUlT_T0_E_clISt17integral_constantIbLb1EES11_EEDaSW_SX_EUlSW_E_NS1_11comp_targetILNS1_3genE9ELNS1_11target_archE1100ELNS1_3gpuE3ELNS1_3repE0EEENS1_30default_config_static_selectorELNS0_4arch9wavefront6targetE1EEEvT1_,comdat
.Lfunc_end1768:
	.size	_ZN7rocprim17ROCPRIM_400000_NS6detail17trampoline_kernelINS0_14default_configENS1_27scan_by_key_config_selectorIiiEEZZNS1_16scan_by_key_implILNS1_25lookback_scan_determinismE0ELb1ES3_N6thrust23THRUST_200600_302600_NS6detail15normal_iteratorINS9_10device_ptrIiEEEENSB_INSC_IjEEEESE_iNS9_4plusIvEENS9_8equal_toIvEEiEE10hipError_tPvRmT2_T3_T4_T5_mT6_T7_P12ihipStream_tbENKUlT_T0_E_clISt17integral_constantIbLb1EES11_EEDaSW_SX_EUlSW_E_NS1_11comp_targetILNS1_3genE9ELNS1_11target_archE1100ELNS1_3gpuE3ELNS1_3repE0EEENS1_30default_config_static_selectorELNS0_4arch9wavefront6targetE1EEEvT1_, .Lfunc_end1768-_ZN7rocprim17ROCPRIM_400000_NS6detail17trampoline_kernelINS0_14default_configENS1_27scan_by_key_config_selectorIiiEEZZNS1_16scan_by_key_implILNS1_25lookback_scan_determinismE0ELb1ES3_N6thrust23THRUST_200600_302600_NS6detail15normal_iteratorINS9_10device_ptrIiEEEENSB_INSC_IjEEEESE_iNS9_4plusIvEENS9_8equal_toIvEEiEE10hipError_tPvRmT2_T3_T4_T5_mT6_T7_P12ihipStream_tbENKUlT_T0_E_clISt17integral_constantIbLb1EES11_EEDaSW_SX_EUlSW_E_NS1_11comp_targetILNS1_3genE9ELNS1_11target_archE1100ELNS1_3gpuE3ELNS1_3repE0EEENS1_30default_config_static_selectorELNS0_4arch9wavefront6targetE1EEEvT1_
                                        ; -- End function
	.section	.AMDGPU.csdata,"",@progbits
; Kernel info:
; codeLenInByte = 0
; NumSgprs: 6
; NumVgprs: 0
; NumAgprs: 0
; TotalNumVgprs: 0
; ScratchSize: 0
; MemoryBound: 0
; FloatMode: 240
; IeeeMode: 1
; LDSByteSize: 0 bytes/workgroup (compile time only)
; SGPRBlocks: 0
; VGPRBlocks: 0
; NumSGPRsForWavesPerEU: 6
; NumVGPRsForWavesPerEU: 1
; AccumOffset: 4
; Occupancy: 8
; WaveLimiterHint : 0
; COMPUTE_PGM_RSRC2:SCRATCH_EN: 0
; COMPUTE_PGM_RSRC2:USER_SGPR: 2
; COMPUTE_PGM_RSRC2:TRAP_HANDLER: 0
; COMPUTE_PGM_RSRC2:TGID_X_EN: 1
; COMPUTE_PGM_RSRC2:TGID_Y_EN: 0
; COMPUTE_PGM_RSRC2:TGID_Z_EN: 0
; COMPUTE_PGM_RSRC2:TIDIG_COMP_CNT: 0
; COMPUTE_PGM_RSRC3_GFX90A:ACCUM_OFFSET: 0
; COMPUTE_PGM_RSRC3_GFX90A:TG_SPLIT: 0
	.section	.text._ZN7rocprim17ROCPRIM_400000_NS6detail17trampoline_kernelINS0_14default_configENS1_27scan_by_key_config_selectorIiiEEZZNS1_16scan_by_key_implILNS1_25lookback_scan_determinismE0ELb1ES3_N6thrust23THRUST_200600_302600_NS6detail15normal_iteratorINS9_10device_ptrIiEEEENSB_INSC_IjEEEESE_iNS9_4plusIvEENS9_8equal_toIvEEiEE10hipError_tPvRmT2_T3_T4_T5_mT6_T7_P12ihipStream_tbENKUlT_T0_E_clISt17integral_constantIbLb1EES11_EEDaSW_SX_EUlSW_E_NS1_11comp_targetILNS1_3genE8ELNS1_11target_archE1030ELNS1_3gpuE2ELNS1_3repE0EEENS1_30default_config_static_selectorELNS0_4arch9wavefront6targetE1EEEvT1_,"axG",@progbits,_ZN7rocprim17ROCPRIM_400000_NS6detail17trampoline_kernelINS0_14default_configENS1_27scan_by_key_config_selectorIiiEEZZNS1_16scan_by_key_implILNS1_25lookback_scan_determinismE0ELb1ES3_N6thrust23THRUST_200600_302600_NS6detail15normal_iteratorINS9_10device_ptrIiEEEENSB_INSC_IjEEEESE_iNS9_4plusIvEENS9_8equal_toIvEEiEE10hipError_tPvRmT2_T3_T4_T5_mT6_T7_P12ihipStream_tbENKUlT_T0_E_clISt17integral_constantIbLb1EES11_EEDaSW_SX_EUlSW_E_NS1_11comp_targetILNS1_3genE8ELNS1_11target_archE1030ELNS1_3gpuE2ELNS1_3repE0EEENS1_30default_config_static_selectorELNS0_4arch9wavefront6targetE1EEEvT1_,comdat
	.protected	_ZN7rocprim17ROCPRIM_400000_NS6detail17trampoline_kernelINS0_14default_configENS1_27scan_by_key_config_selectorIiiEEZZNS1_16scan_by_key_implILNS1_25lookback_scan_determinismE0ELb1ES3_N6thrust23THRUST_200600_302600_NS6detail15normal_iteratorINS9_10device_ptrIiEEEENSB_INSC_IjEEEESE_iNS9_4plusIvEENS9_8equal_toIvEEiEE10hipError_tPvRmT2_T3_T4_T5_mT6_T7_P12ihipStream_tbENKUlT_T0_E_clISt17integral_constantIbLb1EES11_EEDaSW_SX_EUlSW_E_NS1_11comp_targetILNS1_3genE8ELNS1_11target_archE1030ELNS1_3gpuE2ELNS1_3repE0EEENS1_30default_config_static_selectorELNS0_4arch9wavefront6targetE1EEEvT1_ ; -- Begin function _ZN7rocprim17ROCPRIM_400000_NS6detail17trampoline_kernelINS0_14default_configENS1_27scan_by_key_config_selectorIiiEEZZNS1_16scan_by_key_implILNS1_25lookback_scan_determinismE0ELb1ES3_N6thrust23THRUST_200600_302600_NS6detail15normal_iteratorINS9_10device_ptrIiEEEENSB_INSC_IjEEEESE_iNS9_4plusIvEENS9_8equal_toIvEEiEE10hipError_tPvRmT2_T3_T4_T5_mT6_T7_P12ihipStream_tbENKUlT_T0_E_clISt17integral_constantIbLb1EES11_EEDaSW_SX_EUlSW_E_NS1_11comp_targetILNS1_3genE8ELNS1_11target_archE1030ELNS1_3gpuE2ELNS1_3repE0EEENS1_30default_config_static_selectorELNS0_4arch9wavefront6targetE1EEEvT1_
	.globl	_ZN7rocprim17ROCPRIM_400000_NS6detail17trampoline_kernelINS0_14default_configENS1_27scan_by_key_config_selectorIiiEEZZNS1_16scan_by_key_implILNS1_25lookback_scan_determinismE0ELb1ES3_N6thrust23THRUST_200600_302600_NS6detail15normal_iteratorINS9_10device_ptrIiEEEENSB_INSC_IjEEEESE_iNS9_4plusIvEENS9_8equal_toIvEEiEE10hipError_tPvRmT2_T3_T4_T5_mT6_T7_P12ihipStream_tbENKUlT_T0_E_clISt17integral_constantIbLb1EES11_EEDaSW_SX_EUlSW_E_NS1_11comp_targetILNS1_3genE8ELNS1_11target_archE1030ELNS1_3gpuE2ELNS1_3repE0EEENS1_30default_config_static_selectorELNS0_4arch9wavefront6targetE1EEEvT1_
	.p2align	8
	.type	_ZN7rocprim17ROCPRIM_400000_NS6detail17trampoline_kernelINS0_14default_configENS1_27scan_by_key_config_selectorIiiEEZZNS1_16scan_by_key_implILNS1_25lookback_scan_determinismE0ELb1ES3_N6thrust23THRUST_200600_302600_NS6detail15normal_iteratorINS9_10device_ptrIiEEEENSB_INSC_IjEEEESE_iNS9_4plusIvEENS9_8equal_toIvEEiEE10hipError_tPvRmT2_T3_T4_T5_mT6_T7_P12ihipStream_tbENKUlT_T0_E_clISt17integral_constantIbLb1EES11_EEDaSW_SX_EUlSW_E_NS1_11comp_targetILNS1_3genE8ELNS1_11target_archE1030ELNS1_3gpuE2ELNS1_3repE0EEENS1_30default_config_static_selectorELNS0_4arch9wavefront6targetE1EEEvT1_,@function
_ZN7rocprim17ROCPRIM_400000_NS6detail17trampoline_kernelINS0_14default_configENS1_27scan_by_key_config_selectorIiiEEZZNS1_16scan_by_key_implILNS1_25lookback_scan_determinismE0ELb1ES3_N6thrust23THRUST_200600_302600_NS6detail15normal_iteratorINS9_10device_ptrIiEEEENSB_INSC_IjEEEESE_iNS9_4plusIvEENS9_8equal_toIvEEiEE10hipError_tPvRmT2_T3_T4_T5_mT6_T7_P12ihipStream_tbENKUlT_T0_E_clISt17integral_constantIbLb1EES11_EEDaSW_SX_EUlSW_E_NS1_11comp_targetILNS1_3genE8ELNS1_11target_archE1030ELNS1_3gpuE2ELNS1_3repE0EEENS1_30default_config_static_selectorELNS0_4arch9wavefront6targetE1EEEvT1_: ; @_ZN7rocprim17ROCPRIM_400000_NS6detail17trampoline_kernelINS0_14default_configENS1_27scan_by_key_config_selectorIiiEEZZNS1_16scan_by_key_implILNS1_25lookback_scan_determinismE0ELb1ES3_N6thrust23THRUST_200600_302600_NS6detail15normal_iteratorINS9_10device_ptrIiEEEENSB_INSC_IjEEEESE_iNS9_4plusIvEENS9_8equal_toIvEEiEE10hipError_tPvRmT2_T3_T4_T5_mT6_T7_P12ihipStream_tbENKUlT_T0_E_clISt17integral_constantIbLb1EES11_EEDaSW_SX_EUlSW_E_NS1_11comp_targetILNS1_3genE8ELNS1_11target_archE1030ELNS1_3gpuE2ELNS1_3repE0EEENS1_30default_config_static_selectorELNS0_4arch9wavefront6targetE1EEEvT1_
; %bb.0:
	.section	.rodata,"a",@progbits
	.p2align	6, 0x0
	.amdhsa_kernel _ZN7rocprim17ROCPRIM_400000_NS6detail17trampoline_kernelINS0_14default_configENS1_27scan_by_key_config_selectorIiiEEZZNS1_16scan_by_key_implILNS1_25lookback_scan_determinismE0ELb1ES3_N6thrust23THRUST_200600_302600_NS6detail15normal_iteratorINS9_10device_ptrIiEEEENSB_INSC_IjEEEESE_iNS9_4plusIvEENS9_8equal_toIvEEiEE10hipError_tPvRmT2_T3_T4_T5_mT6_T7_P12ihipStream_tbENKUlT_T0_E_clISt17integral_constantIbLb1EES11_EEDaSW_SX_EUlSW_E_NS1_11comp_targetILNS1_3genE8ELNS1_11target_archE1030ELNS1_3gpuE2ELNS1_3repE0EEENS1_30default_config_static_selectorELNS0_4arch9wavefront6targetE1EEEvT1_
		.amdhsa_group_segment_fixed_size 0
		.amdhsa_private_segment_fixed_size 0
		.amdhsa_kernarg_size 112
		.amdhsa_user_sgpr_count 2
		.amdhsa_user_sgpr_dispatch_ptr 0
		.amdhsa_user_sgpr_queue_ptr 0
		.amdhsa_user_sgpr_kernarg_segment_ptr 1
		.amdhsa_user_sgpr_dispatch_id 0
		.amdhsa_user_sgpr_kernarg_preload_length 0
		.amdhsa_user_sgpr_kernarg_preload_offset 0
		.amdhsa_user_sgpr_private_segment_size 0
		.amdhsa_uses_dynamic_stack 0
		.amdhsa_enable_private_segment 0
		.amdhsa_system_sgpr_workgroup_id_x 1
		.amdhsa_system_sgpr_workgroup_id_y 0
		.amdhsa_system_sgpr_workgroup_id_z 0
		.amdhsa_system_sgpr_workgroup_info 0
		.amdhsa_system_vgpr_workitem_id 0
		.amdhsa_next_free_vgpr 1
		.amdhsa_next_free_sgpr 0
		.amdhsa_accum_offset 4
		.amdhsa_reserve_vcc 0
		.amdhsa_float_round_mode_32 0
		.amdhsa_float_round_mode_16_64 0
		.amdhsa_float_denorm_mode_32 3
		.amdhsa_float_denorm_mode_16_64 3
		.amdhsa_dx10_clamp 1
		.amdhsa_ieee_mode 1
		.amdhsa_fp16_overflow 0
		.amdhsa_tg_split 0
		.amdhsa_exception_fp_ieee_invalid_op 0
		.amdhsa_exception_fp_denorm_src 0
		.amdhsa_exception_fp_ieee_div_zero 0
		.amdhsa_exception_fp_ieee_overflow 0
		.amdhsa_exception_fp_ieee_underflow 0
		.amdhsa_exception_fp_ieee_inexact 0
		.amdhsa_exception_int_div_zero 0
	.end_amdhsa_kernel
	.section	.text._ZN7rocprim17ROCPRIM_400000_NS6detail17trampoline_kernelINS0_14default_configENS1_27scan_by_key_config_selectorIiiEEZZNS1_16scan_by_key_implILNS1_25lookback_scan_determinismE0ELb1ES3_N6thrust23THRUST_200600_302600_NS6detail15normal_iteratorINS9_10device_ptrIiEEEENSB_INSC_IjEEEESE_iNS9_4plusIvEENS9_8equal_toIvEEiEE10hipError_tPvRmT2_T3_T4_T5_mT6_T7_P12ihipStream_tbENKUlT_T0_E_clISt17integral_constantIbLb1EES11_EEDaSW_SX_EUlSW_E_NS1_11comp_targetILNS1_3genE8ELNS1_11target_archE1030ELNS1_3gpuE2ELNS1_3repE0EEENS1_30default_config_static_selectorELNS0_4arch9wavefront6targetE1EEEvT1_,"axG",@progbits,_ZN7rocprim17ROCPRIM_400000_NS6detail17trampoline_kernelINS0_14default_configENS1_27scan_by_key_config_selectorIiiEEZZNS1_16scan_by_key_implILNS1_25lookback_scan_determinismE0ELb1ES3_N6thrust23THRUST_200600_302600_NS6detail15normal_iteratorINS9_10device_ptrIiEEEENSB_INSC_IjEEEESE_iNS9_4plusIvEENS9_8equal_toIvEEiEE10hipError_tPvRmT2_T3_T4_T5_mT6_T7_P12ihipStream_tbENKUlT_T0_E_clISt17integral_constantIbLb1EES11_EEDaSW_SX_EUlSW_E_NS1_11comp_targetILNS1_3genE8ELNS1_11target_archE1030ELNS1_3gpuE2ELNS1_3repE0EEENS1_30default_config_static_selectorELNS0_4arch9wavefront6targetE1EEEvT1_,comdat
.Lfunc_end1769:
	.size	_ZN7rocprim17ROCPRIM_400000_NS6detail17trampoline_kernelINS0_14default_configENS1_27scan_by_key_config_selectorIiiEEZZNS1_16scan_by_key_implILNS1_25lookback_scan_determinismE0ELb1ES3_N6thrust23THRUST_200600_302600_NS6detail15normal_iteratorINS9_10device_ptrIiEEEENSB_INSC_IjEEEESE_iNS9_4plusIvEENS9_8equal_toIvEEiEE10hipError_tPvRmT2_T3_T4_T5_mT6_T7_P12ihipStream_tbENKUlT_T0_E_clISt17integral_constantIbLb1EES11_EEDaSW_SX_EUlSW_E_NS1_11comp_targetILNS1_3genE8ELNS1_11target_archE1030ELNS1_3gpuE2ELNS1_3repE0EEENS1_30default_config_static_selectorELNS0_4arch9wavefront6targetE1EEEvT1_, .Lfunc_end1769-_ZN7rocprim17ROCPRIM_400000_NS6detail17trampoline_kernelINS0_14default_configENS1_27scan_by_key_config_selectorIiiEEZZNS1_16scan_by_key_implILNS1_25lookback_scan_determinismE0ELb1ES3_N6thrust23THRUST_200600_302600_NS6detail15normal_iteratorINS9_10device_ptrIiEEEENSB_INSC_IjEEEESE_iNS9_4plusIvEENS9_8equal_toIvEEiEE10hipError_tPvRmT2_T3_T4_T5_mT6_T7_P12ihipStream_tbENKUlT_T0_E_clISt17integral_constantIbLb1EES11_EEDaSW_SX_EUlSW_E_NS1_11comp_targetILNS1_3genE8ELNS1_11target_archE1030ELNS1_3gpuE2ELNS1_3repE0EEENS1_30default_config_static_selectorELNS0_4arch9wavefront6targetE1EEEvT1_
                                        ; -- End function
	.section	.AMDGPU.csdata,"",@progbits
; Kernel info:
; codeLenInByte = 0
; NumSgprs: 6
; NumVgprs: 0
; NumAgprs: 0
; TotalNumVgprs: 0
; ScratchSize: 0
; MemoryBound: 0
; FloatMode: 240
; IeeeMode: 1
; LDSByteSize: 0 bytes/workgroup (compile time only)
; SGPRBlocks: 0
; VGPRBlocks: 0
; NumSGPRsForWavesPerEU: 6
; NumVGPRsForWavesPerEU: 1
; AccumOffset: 4
; Occupancy: 8
; WaveLimiterHint : 0
; COMPUTE_PGM_RSRC2:SCRATCH_EN: 0
; COMPUTE_PGM_RSRC2:USER_SGPR: 2
; COMPUTE_PGM_RSRC2:TRAP_HANDLER: 0
; COMPUTE_PGM_RSRC2:TGID_X_EN: 1
; COMPUTE_PGM_RSRC2:TGID_Y_EN: 0
; COMPUTE_PGM_RSRC2:TGID_Z_EN: 0
; COMPUTE_PGM_RSRC2:TIDIG_COMP_CNT: 0
; COMPUTE_PGM_RSRC3_GFX90A:ACCUM_OFFSET: 0
; COMPUTE_PGM_RSRC3_GFX90A:TG_SPLIT: 0
	.section	.text._ZN7rocprim17ROCPRIM_400000_NS6detail17trampoline_kernelINS0_14default_configENS1_27scan_by_key_config_selectorIiiEEZZNS1_16scan_by_key_implILNS1_25lookback_scan_determinismE0ELb1ES3_N6thrust23THRUST_200600_302600_NS6detail15normal_iteratorINS9_10device_ptrIiEEEENSB_INSC_IjEEEESE_iNS9_4plusIvEENS9_8equal_toIvEEiEE10hipError_tPvRmT2_T3_T4_T5_mT6_T7_P12ihipStream_tbENKUlT_T0_E_clISt17integral_constantIbLb1EES10_IbLb0EEEEDaSW_SX_EUlSW_E_NS1_11comp_targetILNS1_3genE0ELNS1_11target_archE4294967295ELNS1_3gpuE0ELNS1_3repE0EEENS1_30default_config_static_selectorELNS0_4arch9wavefront6targetE1EEEvT1_,"axG",@progbits,_ZN7rocprim17ROCPRIM_400000_NS6detail17trampoline_kernelINS0_14default_configENS1_27scan_by_key_config_selectorIiiEEZZNS1_16scan_by_key_implILNS1_25lookback_scan_determinismE0ELb1ES3_N6thrust23THRUST_200600_302600_NS6detail15normal_iteratorINS9_10device_ptrIiEEEENSB_INSC_IjEEEESE_iNS9_4plusIvEENS9_8equal_toIvEEiEE10hipError_tPvRmT2_T3_T4_T5_mT6_T7_P12ihipStream_tbENKUlT_T0_E_clISt17integral_constantIbLb1EES10_IbLb0EEEEDaSW_SX_EUlSW_E_NS1_11comp_targetILNS1_3genE0ELNS1_11target_archE4294967295ELNS1_3gpuE0ELNS1_3repE0EEENS1_30default_config_static_selectorELNS0_4arch9wavefront6targetE1EEEvT1_,comdat
	.protected	_ZN7rocprim17ROCPRIM_400000_NS6detail17trampoline_kernelINS0_14default_configENS1_27scan_by_key_config_selectorIiiEEZZNS1_16scan_by_key_implILNS1_25lookback_scan_determinismE0ELb1ES3_N6thrust23THRUST_200600_302600_NS6detail15normal_iteratorINS9_10device_ptrIiEEEENSB_INSC_IjEEEESE_iNS9_4plusIvEENS9_8equal_toIvEEiEE10hipError_tPvRmT2_T3_T4_T5_mT6_T7_P12ihipStream_tbENKUlT_T0_E_clISt17integral_constantIbLb1EES10_IbLb0EEEEDaSW_SX_EUlSW_E_NS1_11comp_targetILNS1_3genE0ELNS1_11target_archE4294967295ELNS1_3gpuE0ELNS1_3repE0EEENS1_30default_config_static_selectorELNS0_4arch9wavefront6targetE1EEEvT1_ ; -- Begin function _ZN7rocprim17ROCPRIM_400000_NS6detail17trampoline_kernelINS0_14default_configENS1_27scan_by_key_config_selectorIiiEEZZNS1_16scan_by_key_implILNS1_25lookback_scan_determinismE0ELb1ES3_N6thrust23THRUST_200600_302600_NS6detail15normal_iteratorINS9_10device_ptrIiEEEENSB_INSC_IjEEEESE_iNS9_4plusIvEENS9_8equal_toIvEEiEE10hipError_tPvRmT2_T3_T4_T5_mT6_T7_P12ihipStream_tbENKUlT_T0_E_clISt17integral_constantIbLb1EES10_IbLb0EEEEDaSW_SX_EUlSW_E_NS1_11comp_targetILNS1_3genE0ELNS1_11target_archE4294967295ELNS1_3gpuE0ELNS1_3repE0EEENS1_30default_config_static_selectorELNS0_4arch9wavefront6targetE1EEEvT1_
	.globl	_ZN7rocprim17ROCPRIM_400000_NS6detail17trampoline_kernelINS0_14default_configENS1_27scan_by_key_config_selectorIiiEEZZNS1_16scan_by_key_implILNS1_25lookback_scan_determinismE0ELb1ES3_N6thrust23THRUST_200600_302600_NS6detail15normal_iteratorINS9_10device_ptrIiEEEENSB_INSC_IjEEEESE_iNS9_4plusIvEENS9_8equal_toIvEEiEE10hipError_tPvRmT2_T3_T4_T5_mT6_T7_P12ihipStream_tbENKUlT_T0_E_clISt17integral_constantIbLb1EES10_IbLb0EEEEDaSW_SX_EUlSW_E_NS1_11comp_targetILNS1_3genE0ELNS1_11target_archE4294967295ELNS1_3gpuE0ELNS1_3repE0EEENS1_30default_config_static_selectorELNS0_4arch9wavefront6targetE1EEEvT1_
	.p2align	8
	.type	_ZN7rocprim17ROCPRIM_400000_NS6detail17trampoline_kernelINS0_14default_configENS1_27scan_by_key_config_selectorIiiEEZZNS1_16scan_by_key_implILNS1_25lookback_scan_determinismE0ELb1ES3_N6thrust23THRUST_200600_302600_NS6detail15normal_iteratorINS9_10device_ptrIiEEEENSB_INSC_IjEEEESE_iNS9_4plusIvEENS9_8equal_toIvEEiEE10hipError_tPvRmT2_T3_T4_T5_mT6_T7_P12ihipStream_tbENKUlT_T0_E_clISt17integral_constantIbLb1EES10_IbLb0EEEEDaSW_SX_EUlSW_E_NS1_11comp_targetILNS1_3genE0ELNS1_11target_archE4294967295ELNS1_3gpuE0ELNS1_3repE0EEENS1_30default_config_static_selectorELNS0_4arch9wavefront6targetE1EEEvT1_,@function
_ZN7rocprim17ROCPRIM_400000_NS6detail17trampoline_kernelINS0_14default_configENS1_27scan_by_key_config_selectorIiiEEZZNS1_16scan_by_key_implILNS1_25lookback_scan_determinismE0ELb1ES3_N6thrust23THRUST_200600_302600_NS6detail15normal_iteratorINS9_10device_ptrIiEEEENSB_INSC_IjEEEESE_iNS9_4plusIvEENS9_8equal_toIvEEiEE10hipError_tPvRmT2_T3_T4_T5_mT6_T7_P12ihipStream_tbENKUlT_T0_E_clISt17integral_constantIbLb1EES10_IbLb0EEEEDaSW_SX_EUlSW_E_NS1_11comp_targetILNS1_3genE0ELNS1_11target_archE4294967295ELNS1_3gpuE0ELNS1_3repE0EEENS1_30default_config_static_selectorELNS0_4arch9wavefront6targetE1EEEvT1_: ; @_ZN7rocprim17ROCPRIM_400000_NS6detail17trampoline_kernelINS0_14default_configENS1_27scan_by_key_config_selectorIiiEEZZNS1_16scan_by_key_implILNS1_25lookback_scan_determinismE0ELb1ES3_N6thrust23THRUST_200600_302600_NS6detail15normal_iteratorINS9_10device_ptrIiEEEENSB_INSC_IjEEEESE_iNS9_4plusIvEENS9_8equal_toIvEEiEE10hipError_tPvRmT2_T3_T4_T5_mT6_T7_P12ihipStream_tbENKUlT_T0_E_clISt17integral_constantIbLb1EES10_IbLb0EEEEDaSW_SX_EUlSW_E_NS1_11comp_targetILNS1_3genE0ELNS1_11target_archE4294967295ELNS1_3gpuE0ELNS1_3repE0EEENS1_30default_config_static_selectorELNS0_4arch9wavefront6targetE1EEEvT1_
; %bb.0:
	.section	.rodata,"a",@progbits
	.p2align	6, 0x0
	.amdhsa_kernel _ZN7rocprim17ROCPRIM_400000_NS6detail17trampoline_kernelINS0_14default_configENS1_27scan_by_key_config_selectorIiiEEZZNS1_16scan_by_key_implILNS1_25lookback_scan_determinismE0ELb1ES3_N6thrust23THRUST_200600_302600_NS6detail15normal_iteratorINS9_10device_ptrIiEEEENSB_INSC_IjEEEESE_iNS9_4plusIvEENS9_8equal_toIvEEiEE10hipError_tPvRmT2_T3_T4_T5_mT6_T7_P12ihipStream_tbENKUlT_T0_E_clISt17integral_constantIbLb1EES10_IbLb0EEEEDaSW_SX_EUlSW_E_NS1_11comp_targetILNS1_3genE0ELNS1_11target_archE4294967295ELNS1_3gpuE0ELNS1_3repE0EEENS1_30default_config_static_selectorELNS0_4arch9wavefront6targetE1EEEvT1_
		.amdhsa_group_segment_fixed_size 0
		.amdhsa_private_segment_fixed_size 0
		.amdhsa_kernarg_size 112
		.amdhsa_user_sgpr_count 2
		.amdhsa_user_sgpr_dispatch_ptr 0
		.amdhsa_user_sgpr_queue_ptr 0
		.amdhsa_user_sgpr_kernarg_segment_ptr 1
		.amdhsa_user_sgpr_dispatch_id 0
		.amdhsa_user_sgpr_kernarg_preload_length 0
		.amdhsa_user_sgpr_kernarg_preload_offset 0
		.amdhsa_user_sgpr_private_segment_size 0
		.amdhsa_uses_dynamic_stack 0
		.amdhsa_enable_private_segment 0
		.amdhsa_system_sgpr_workgroup_id_x 1
		.amdhsa_system_sgpr_workgroup_id_y 0
		.amdhsa_system_sgpr_workgroup_id_z 0
		.amdhsa_system_sgpr_workgroup_info 0
		.amdhsa_system_vgpr_workitem_id 0
		.amdhsa_next_free_vgpr 1
		.amdhsa_next_free_sgpr 0
		.amdhsa_accum_offset 4
		.amdhsa_reserve_vcc 0
		.amdhsa_float_round_mode_32 0
		.amdhsa_float_round_mode_16_64 0
		.amdhsa_float_denorm_mode_32 3
		.amdhsa_float_denorm_mode_16_64 3
		.amdhsa_dx10_clamp 1
		.amdhsa_ieee_mode 1
		.amdhsa_fp16_overflow 0
		.amdhsa_tg_split 0
		.amdhsa_exception_fp_ieee_invalid_op 0
		.amdhsa_exception_fp_denorm_src 0
		.amdhsa_exception_fp_ieee_div_zero 0
		.amdhsa_exception_fp_ieee_overflow 0
		.amdhsa_exception_fp_ieee_underflow 0
		.amdhsa_exception_fp_ieee_inexact 0
		.amdhsa_exception_int_div_zero 0
	.end_amdhsa_kernel
	.section	.text._ZN7rocprim17ROCPRIM_400000_NS6detail17trampoline_kernelINS0_14default_configENS1_27scan_by_key_config_selectorIiiEEZZNS1_16scan_by_key_implILNS1_25lookback_scan_determinismE0ELb1ES3_N6thrust23THRUST_200600_302600_NS6detail15normal_iteratorINS9_10device_ptrIiEEEENSB_INSC_IjEEEESE_iNS9_4plusIvEENS9_8equal_toIvEEiEE10hipError_tPvRmT2_T3_T4_T5_mT6_T7_P12ihipStream_tbENKUlT_T0_E_clISt17integral_constantIbLb1EES10_IbLb0EEEEDaSW_SX_EUlSW_E_NS1_11comp_targetILNS1_3genE0ELNS1_11target_archE4294967295ELNS1_3gpuE0ELNS1_3repE0EEENS1_30default_config_static_selectorELNS0_4arch9wavefront6targetE1EEEvT1_,"axG",@progbits,_ZN7rocprim17ROCPRIM_400000_NS6detail17trampoline_kernelINS0_14default_configENS1_27scan_by_key_config_selectorIiiEEZZNS1_16scan_by_key_implILNS1_25lookback_scan_determinismE0ELb1ES3_N6thrust23THRUST_200600_302600_NS6detail15normal_iteratorINS9_10device_ptrIiEEEENSB_INSC_IjEEEESE_iNS9_4plusIvEENS9_8equal_toIvEEiEE10hipError_tPvRmT2_T3_T4_T5_mT6_T7_P12ihipStream_tbENKUlT_T0_E_clISt17integral_constantIbLb1EES10_IbLb0EEEEDaSW_SX_EUlSW_E_NS1_11comp_targetILNS1_3genE0ELNS1_11target_archE4294967295ELNS1_3gpuE0ELNS1_3repE0EEENS1_30default_config_static_selectorELNS0_4arch9wavefront6targetE1EEEvT1_,comdat
.Lfunc_end1770:
	.size	_ZN7rocprim17ROCPRIM_400000_NS6detail17trampoline_kernelINS0_14default_configENS1_27scan_by_key_config_selectorIiiEEZZNS1_16scan_by_key_implILNS1_25lookback_scan_determinismE0ELb1ES3_N6thrust23THRUST_200600_302600_NS6detail15normal_iteratorINS9_10device_ptrIiEEEENSB_INSC_IjEEEESE_iNS9_4plusIvEENS9_8equal_toIvEEiEE10hipError_tPvRmT2_T3_T4_T5_mT6_T7_P12ihipStream_tbENKUlT_T0_E_clISt17integral_constantIbLb1EES10_IbLb0EEEEDaSW_SX_EUlSW_E_NS1_11comp_targetILNS1_3genE0ELNS1_11target_archE4294967295ELNS1_3gpuE0ELNS1_3repE0EEENS1_30default_config_static_selectorELNS0_4arch9wavefront6targetE1EEEvT1_, .Lfunc_end1770-_ZN7rocprim17ROCPRIM_400000_NS6detail17trampoline_kernelINS0_14default_configENS1_27scan_by_key_config_selectorIiiEEZZNS1_16scan_by_key_implILNS1_25lookback_scan_determinismE0ELb1ES3_N6thrust23THRUST_200600_302600_NS6detail15normal_iteratorINS9_10device_ptrIiEEEENSB_INSC_IjEEEESE_iNS9_4plusIvEENS9_8equal_toIvEEiEE10hipError_tPvRmT2_T3_T4_T5_mT6_T7_P12ihipStream_tbENKUlT_T0_E_clISt17integral_constantIbLb1EES10_IbLb0EEEEDaSW_SX_EUlSW_E_NS1_11comp_targetILNS1_3genE0ELNS1_11target_archE4294967295ELNS1_3gpuE0ELNS1_3repE0EEENS1_30default_config_static_selectorELNS0_4arch9wavefront6targetE1EEEvT1_
                                        ; -- End function
	.section	.AMDGPU.csdata,"",@progbits
; Kernel info:
; codeLenInByte = 0
; NumSgprs: 6
; NumVgprs: 0
; NumAgprs: 0
; TotalNumVgprs: 0
; ScratchSize: 0
; MemoryBound: 0
; FloatMode: 240
; IeeeMode: 1
; LDSByteSize: 0 bytes/workgroup (compile time only)
; SGPRBlocks: 0
; VGPRBlocks: 0
; NumSGPRsForWavesPerEU: 6
; NumVGPRsForWavesPerEU: 1
; AccumOffset: 4
; Occupancy: 8
; WaveLimiterHint : 0
; COMPUTE_PGM_RSRC2:SCRATCH_EN: 0
; COMPUTE_PGM_RSRC2:USER_SGPR: 2
; COMPUTE_PGM_RSRC2:TRAP_HANDLER: 0
; COMPUTE_PGM_RSRC2:TGID_X_EN: 1
; COMPUTE_PGM_RSRC2:TGID_Y_EN: 0
; COMPUTE_PGM_RSRC2:TGID_Z_EN: 0
; COMPUTE_PGM_RSRC2:TIDIG_COMP_CNT: 0
; COMPUTE_PGM_RSRC3_GFX90A:ACCUM_OFFSET: 0
; COMPUTE_PGM_RSRC3_GFX90A:TG_SPLIT: 0
	.section	.text._ZN7rocprim17ROCPRIM_400000_NS6detail17trampoline_kernelINS0_14default_configENS1_27scan_by_key_config_selectorIiiEEZZNS1_16scan_by_key_implILNS1_25lookback_scan_determinismE0ELb1ES3_N6thrust23THRUST_200600_302600_NS6detail15normal_iteratorINS9_10device_ptrIiEEEENSB_INSC_IjEEEESE_iNS9_4plusIvEENS9_8equal_toIvEEiEE10hipError_tPvRmT2_T3_T4_T5_mT6_T7_P12ihipStream_tbENKUlT_T0_E_clISt17integral_constantIbLb1EES10_IbLb0EEEEDaSW_SX_EUlSW_E_NS1_11comp_targetILNS1_3genE10ELNS1_11target_archE1201ELNS1_3gpuE5ELNS1_3repE0EEENS1_30default_config_static_selectorELNS0_4arch9wavefront6targetE1EEEvT1_,"axG",@progbits,_ZN7rocprim17ROCPRIM_400000_NS6detail17trampoline_kernelINS0_14default_configENS1_27scan_by_key_config_selectorIiiEEZZNS1_16scan_by_key_implILNS1_25lookback_scan_determinismE0ELb1ES3_N6thrust23THRUST_200600_302600_NS6detail15normal_iteratorINS9_10device_ptrIiEEEENSB_INSC_IjEEEESE_iNS9_4plusIvEENS9_8equal_toIvEEiEE10hipError_tPvRmT2_T3_T4_T5_mT6_T7_P12ihipStream_tbENKUlT_T0_E_clISt17integral_constantIbLb1EES10_IbLb0EEEEDaSW_SX_EUlSW_E_NS1_11comp_targetILNS1_3genE10ELNS1_11target_archE1201ELNS1_3gpuE5ELNS1_3repE0EEENS1_30default_config_static_selectorELNS0_4arch9wavefront6targetE1EEEvT1_,comdat
	.protected	_ZN7rocprim17ROCPRIM_400000_NS6detail17trampoline_kernelINS0_14default_configENS1_27scan_by_key_config_selectorIiiEEZZNS1_16scan_by_key_implILNS1_25lookback_scan_determinismE0ELb1ES3_N6thrust23THRUST_200600_302600_NS6detail15normal_iteratorINS9_10device_ptrIiEEEENSB_INSC_IjEEEESE_iNS9_4plusIvEENS9_8equal_toIvEEiEE10hipError_tPvRmT2_T3_T4_T5_mT6_T7_P12ihipStream_tbENKUlT_T0_E_clISt17integral_constantIbLb1EES10_IbLb0EEEEDaSW_SX_EUlSW_E_NS1_11comp_targetILNS1_3genE10ELNS1_11target_archE1201ELNS1_3gpuE5ELNS1_3repE0EEENS1_30default_config_static_selectorELNS0_4arch9wavefront6targetE1EEEvT1_ ; -- Begin function _ZN7rocprim17ROCPRIM_400000_NS6detail17trampoline_kernelINS0_14default_configENS1_27scan_by_key_config_selectorIiiEEZZNS1_16scan_by_key_implILNS1_25lookback_scan_determinismE0ELb1ES3_N6thrust23THRUST_200600_302600_NS6detail15normal_iteratorINS9_10device_ptrIiEEEENSB_INSC_IjEEEESE_iNS9_4plusIvEENS9_8equal_toIvEEiEE10hipError_tPvRmT2_T3_T4_T5_mT6_T7_P12ihipStream_tbENKUlT_T0_E_clISt17integral_constantIbLb1EES10_IbLb0EEEEDaSW_SX_EUlSW_E_NS1_11comp_targetILNS1_3genE10ELNS1_11target_archE1201ELNS1_3gpuE5ELNS1_3repE0EEENS1_30default_config_static_selectorELNS0_4arch9wavefront6targetE1EEEvT1_
	.globl	_ZN7rocprim17ROCPRIM_400000_NS6detail17trampoline_kernelINS0_14default_configENS1_27scan_by_key_config_selectorIiiEEZZNS1_16scan_by_key_implILNS1_25lookback_scan_determinismE0ELb1ES3_N6thrust23THRUST_200600_302600_NS6detail15normal_iteratorINS9_10device_ptrIiEEEENSB_INSC_IjEEEESE_iNS9_4plusIvEENS9_8equal_toIvEEiEE10hipError_tPvRmT2_T3_T4_T5_mT6_T7_P12ihipStream_tbENKUlT_T0_E_clISt17integral_constantIbLb1EES10_IbLb0EEEEDaSW_SX_EUlSW_E_NS1_11comp_targetILNS1_3genE10ELNS1_11target_archE1201ELNS1_3gpuE5ELNS1_3repE0EEENS1_30default_config_static_selectorELNS0_4arch9wavefront6targetE1EEEvT1_
	.p2align	8
	.type	_ZN7rocprim17ROCPRIM_400000_NS6detail17trampoline_kernelINS0_14default_configENS1_27scan_by_key_config_selectorIiiEEZZNS1_16scan_by_key_implILNS1_25lookback_scan_determinismE0ELb1ES3_N6thrust23THRUST_200600_302600_NS6detail15normal_iteratorINS9_10device_ptrIiEEEENSB_INSC_IjEEEESE_iNS9_4plusIvEENS9_8equal_toIvEEiEE10hipError_tPvRmT2_T3_T4_T5_mT6_T7_P12ihipStream_tbENKUlT_T0_E_clISt17integral_constantIbLb1EES10_IbLb0EEEEDaSW_SX_EUlSW_E_NS1_11comp_targetILNS1_3genE10ELNS1_11target_archE1201ELNS1_3gpuE5ELNS1_3repE0EEENS1_30default_config_static_selectorELNS0_4arch9wavefront6targetE1EEEvT1_,@function
_ZN7rocprim17ROCPRIM_400000_NS6detail17trampoline_kernelINS0_14default_configENS1_27scan_by_key_config_selectorIiiEEZZNS1_16scan_by_key_implILNS1_25lookback_scan_determinismE0ELb1ES3_N6thrust23THRUST_200600_302600_NS6detail15normal_iteratorINS9_10device_ptrIiEEEENSB_INSC_IjEEEESE_iNS9_4plusIvEENS9_8equal_toIvEEiEE10hipError_tPvRmT2_T3_T4_T5_mT6_T7_P12ihipStream_tbENKUlT_T0_E_clISt17integral_constantIbLb1EES10_IbLb0EEEEDaSW_SX_EUlSW_E_NS1_11comp_targetILNS1_3genE10ELNS1_11target_archE1201ELNS1_3gpuE5ELNS1_3repE0EEENS1_30default_config_static_selectorELNS0_4arch9wavefront6targetE1EEEvT1_: ; @_ZN7rocprim17ROCPRIM_400000_NS6detail17trampoline_kernelINS0_14default_configENS1_27scan_by_key_config_selectorIiiEEZZNS1_16scan_by_key_implILNS1_25lookback_scan_determinismE0ELb1ES3_N6thrust23THRUST_200600_302600_NS6detail15normal_iteratorINS9_10device_ptrIiEEEENSB_INSC_IjEEEESE_iNS9_4plusIvEENS9_8equal_toIvEEiEE10hipError_tPvRmT2_T3_T4_T5_mT6_T7_P12ihipStream_tbENKUlT_T0_E_clISt17integral_constantIbLb1EES10_IbLb0EEEEDaSW_SX_EUlSW_E_NS1_11comp_targetILNS1_3genE10ELNS1_11target_archE1201ELNS1_3gpuE5ELNS1_3repE0EEENS1_30default_config_static_selectorELNS0_4arch9wavefront6targetE1EEEvT1_
; %bb.0:
	.section	.rodata,"a",@progbits
	.p2align	6, 0x0
	.amdhsa_kernel _ZN7rocprim17ROCPRIM_400000_NS6detail17trampoline_kernelINS0_14default_configENS1_27scan_by_key_config_selectorIiiEEZZNS1_16scan_by_key_implILNS1_25lookback_scan_determinismE0ELb1ES3_N6thrust23THRUST_200600_302600_NS6detail15normal_iteratorINS9_10device_ptrIiEEEENSB_INSC_IjEEEESE_iNS9_4plusIvEENS9_8equal_toIvEEiEE10hipError_tPvRmT2_T3_T4_T5_mT6_T7_P12ihipStream_tbENKUlT_T0_E_clISt17integral_constantIbLb1EES10_IbLb0EEEEDaSW_SX_EUlSW_E_NS1_11comp_targetILNS1_3genE10ELNS1_11target_archE1201ELNS1_3gpuE5ELNS1_3repE0EEENS1_30default_config_static_selectorELNS0_4arch9wavefront6targetE1EEEvT1_
		.amdhsa_group_segment_fixed_size 0
		.amdhsa_private_segment_fixed_size 0
		.amdhsa_kernarg_size 112
		.amdhsa_user_sgpr_count 2
		.amdhsa_user_sgpr_dispatch_ptr 0
		.amdhsa_user_sgpr_queue_ptr 0
		.amdhsa_user_sgpr_kernarg_segment_ptr 1
		.amdhsa_user_sgpr_dispatch_id 0
		.amdhsa_user_sgpr_kernarg_preload_length 0
		.amdhsa_user_sgpr_kernarg_preload_offset 0
		.amdhsa_user_sgpr_private_segment_size 0
		.amdhsa_uses_dynamic_stack 0
		.amdhsa_enable_private_segment 0
		.amdhsa_system_sgpr_workgroup_id_x 1
		.amdhsa_system_sgpr_workgroup_id_y 0
		.amdhsa_system_sgpr_workgroup_id_z 0
		.amdhsa_system_sgpr_workgroup_info 0
		.amdhsa_system_vgpr_workitem_id 0
		.amdhsa_next_free_vgpr 1
		.amdhsa_next_free_sgpr 0
		.amdhsa_accum_offset 4
		.amdhsa_reserve_vcc 0
		.amdhsa_float_round_mode_32 0
		.amdhsa_float_round_mode_16_64 0
		.amdhsa_float_denorm_mode_32 3
		.amdhsa_float_denorm_mode_16_64 3
		.amdhsa_dx10_clamp 1
		.amdhsa_ieee_mode 1
		.amdhsa_fp16_overflow 0
		.amdhsa_tg_split 0
		.amdhsa_exception_fp_ieee_invalid_op 0
		.amdhsa_exception_fp_denorm_src 0
		.amdhsa_exception_fp_ieee_div_zero 0
		.amdhsa_exception_fp_ieee_overflow 0
		.amdhsa_exception_fp_ieee_underflow 0
		.amdhsa_exception_fp_ieee_inexact 0
		.amdhsa_exception_int_div_zero 0
	.end_amdhsa_kernel
	.section	.text._ZN7rocprim17ROCPRIM_400000_NS6detail17trampoline_kernelINS0_14default_configENS1_27scan_by_key_config_selectorIiiEEZZNS1_16scan_by_key_implILNS1_25lookback_scan_determinismE0ELb1ES3_N6thrust23THRUST_200600_302600_NS6detail15normal_iteratorINS9_10device_ptrIiEEEENSB_INSC_IjEEEESE_iNS9_4plusIvEENS9_8equal_toIvEEiEE10hipError_tPvRmT2_T3_T4_T5_mT6_T7_P12ihipStream_tbENKUlT_T0_E_clISt17integral_constantIbLb1EES10_IbLb0EEEEDaSW_SX_EUlSW_E_NS1_11comp_targetILNS1_3genE10ELNS1_11target_archE1201ELNS1_3gpuE5ELNS1_3repE0EEENS1_30default_config_static_selectorELNS0_4arch9wavefront6targetE1EEEvT1_,"axG",@progbits,_ZN7rocprim17ROCPRIM_400000_NS6detail17trampoline_kernelINS0_14default_configENS1_27scan_by_key_config_selectorIiiEEZZNS1_16scan_by_key_implILNS1_25lookback_scan_determinismE0ELb1ES3_N6thrust23THRUST_200600_302600_NS6detail15normal_iteratorINS9_10device_ptrIiEEEENSB_INSC_IjEEEESE_iNS9_4plusIvEENS9_8equal_toIvEEiEE10hipError_tPvRmT2_T3_T4_T5_mT6_T7_P12ihipStream_tbENKUlT_T0_E_clISt17integral_constantIbLb1EES10_IbLb0EEEEDaSW_SX_EUlSW_E_NS1_11comp_targetILNS1_3genE10ELNS1_11target_archE1201ELNS1_3gpuE5ELNS1_3repE0EEENS1_30default_config_static_selectorELNS0_4arch9wavefront6targetE1EEEvT1_,comdat
.Lfunc_end1771:
	.size	_ZN7rocprim17ROCPRIM_400000_NS6detail17trampoline_kernelINS0_14default_configENS1_27scan_by_key_config_selectorIiiEEZZNS1_16scan_by_key_implILNS1_25lookback_scan_determinismE0ELb1ES3_N6thrust23THRUST_200600_302600_NS6detail15normal_iteratorINS9_10device_ptrIiEEEENSB_INSC_IjEEEESE_iNS9_4plusIvEENS9_8equal_toIvEEiEE10hipError_tPvRmT2_T3_T4_T5_mT6_T7_P12ihipStream_tbENKUlT_T0_E_clISt17integral_constantIbLb1EES10_IbLb0EEEEDaSW_SX_EUlSW_E_NS1_11comp_targetILNS1_3genE10ELNS1_11target_archE1201ELNS1_3gpuE5ELNS1_3repE0EEENS1_30default_config_static_selectorELNS0_4arch9wavefront6targetE1EEEvT1_, .Lfunc_end1771-_ZN7rocprim17ROCPRIM_400000_NS6detail17trampoline_kernelINS0_14default_configENS1_27scan_by_key_config_selectorIiiEEZZNS1_16scan_by_key_implILNS1_25lookback_scan_determinismE0ELb1ES3_N6thrust23THRUST_200600_302600_NS6detail15normal_iteratorINS9_10device_ptrIiEEEENSB_INSC_IjEEEESE_iNS9_4plusIvEENS9_8equal_toIvEEiEE10hipError_tPvRmT2_T3_T4_T5_mT6_T7_P12ihipStream_tbENKUlT_T0_E_clISt17integral_constantIbLb1EES10_IbLb0EEEEDaSW_SX_EUlSW_E_NS1_11comp_targetILNS1_3genE10ELNS1_11target_archE1201ELNS1_3gpuE5ELNS1_3repE0EEENS1_30default_config_static_selectorELNS0_4arch9wavefront6targetE1EEEvT1_
                                        ; -- End function
	.section	.AMDGPU.csdata,"",@progbits
; Kernel info:
; codeLenInByte = 0
; NumSgprs: 6
; NumVgprs: 0
; NumAgprs: 0
; TotalNumVgprs: 0
; ScratchSize: 0
; MemoryBound: 0
; FloatMode: 240
; IeeeMode: 1
; LDSByteSize: 0 bytes/workgroup (compile time only)
; SGPRBlocks: 0
; VGPRBlocks: 0
; NumSGPRsForWavesPerEU: 6
; NumVGPRsForWavesPerEU: 1
; AccumOffset: 4
; Occupancy: 8
; WaveLimiterHint : 0
; COMPUTE_PGM_RSRC2:SCRATCH_EN: 0
; COMPUTE_PGM_RSRC2:USER_SGPR: 2
; COMPUTE_PGM_RSRC2:TRAP_HANDLER: 0
; COMPUTE_PGM_RSRC2:TGID_X_EN: 1
; COMPUTE_PGM_RSRC2:TGID_Y_EN: 0
; COMPUTE_PGM_RSRC2:TGID_Z_EN: 0
; COMPUTE_PGM_RSRC2:TIDIG_COMP_CNT: 0
; COMPUTE_PGM_RSRC3_GFX90A:ACCUM_OFFSET: 0
; COMPUTE_PGM_RSRC3_GFX90A:TG_SPLIT: 0
	.section	.text._ZN7rocprim17ROCPRIM_400000_NS6detail17trampoline_kernelINS0_14default_configENS1_27scan_by_key_config_selectorIiiEEZZNS1_16scan_by_key_implILNS1_25lookback_scan_determinismE0ELb1ES3_N6thrust23THRUST_200600_302600_NS6detail15normal_iteratorINS9_10device_ptrIiEEEENSB_INSC_IjEEEESE_iNS9_4plusIvEENS9_8equal_toIvEEiEE10hipError_tPvRmT2_T3_T4_T5_mT6_T7_P12ihipStream_tbENKUlT_T0_E_clISt17integral_constantIbLb1EES10_IbLb0EEEEDaSW_SX_EUlSW_E_NS1_11comp_targetILNS1_3genE5ELNS1_11target_archE942ELNS1_3gpuE9ELNS1_3repE0EEENS1_30default_config_static_selectorELNS0_4arch9wavefront6targetE1EEEvT1_,"axG",@progbits,_ZN7rocprim17ROCPRIM_400000_NS6detail17trampoline_kernelINS0_14default_configENS1_27scan_by_key_config_selectorIiiEEZZNS1_16scan_by_key_implILNS1_25lookback_scan_determinismE0ELb1ES3_N6thrust23THRUST_200600_302600_NS6detail15normal_iteratorINS9_10device_ptrIiEEEENSB_INSC_IjEEEESE_iNS9_4plusIvEENS9_8equal_toIvEEiEE10hipError_tPvRmT2_T3_T4_T5_mT6_T7_P12ihipStream_tbENKUlT_T0_E_clISt17integral_constantIbLb1EES10_IbLb0EEEEDaSW_SX_EUlSW_E_NS1_11comp_targetILNS1_3genE5ELNS1_11target_archE942ELNS1_3gpuE9ELNS1_3repE0EEENS1_30default_config_static_selectorELNS0_4arch9wavefront6targetE1EEEvT1_,comdat
	.protected	_ZN7rocprim17ROCPRIM_400000_NS6detail17trampoline_kernelINS0_14default_configENS1_27scan_by_key_config_selectorIiiEEZZNS1_16scan_by_key_implILNS1_25lookback_scan_determinismE0ELb1ES3_N6thrust23THRUST_200600_302600_NS6detail15normal_iteratorINS9_10device_ptrIiEEEENSB_INSC_IjEEEESE_iNS9_4plusIvEENS9_8equal_toIvEEiEE10hipError_tPvRmT2_T3_T4_T5_mT6_T7_P12ihipStream_tbENKUlT_T0_E_clISt17integral_constantIbLb1EES10_IbLb0EEEEDaSW_SX_EUlSW_E_NS1_11comp_targetILNS1_3genE5ELNS1_11target_archE942ELNS1_3gpuE9ELNS1_3repE0EEENS1_30default_config_static_selectorELNS0_4arch9wavefront6targetE1EEEvT1_ ; -- Begin function _ZN7rocprim17ROCPRIM_400000_NS6detail17trampoline_kernelINS0_14default_configENS1_27scan_by_key_config_selectorIiiEEZZNS1_16scan_by_key_implILNS1_25lookback_scan_determinismE0ELb1ES3_N6thrust23THRUST_200600_302600_NS6detail15normal_iteratorINS9_10device_ptrIiEEEENSB_INSC_IjEEEESE_iNS9_4plusIvEENS9_8equal_toIvEEiEE10hipError_tPvRmT2_T3_T4_T5_mT6_T7_P12ihipStream_tbENKUlT_T0_E_clISt17integral_constantIbLb1EES10_IbLb0EEEEDaSW_SX_EUlSW_E_NS1_11comp_targetILNS1_3genE5ELNS1_11target_archE942ELNS1_3gpuE9ELNS1_3repE0EEENS1_30default_config_static_selectorELNS0_4arch9wavefront6targetE1EEEvT1_
	.globl	_ZN7rocprim17ROCPRIM_400000_NS6detail17trampoline_kernelINS0_14default_configENS1_27scan_by_key_config_selectorIiiEEZZNS1_16scan_by_key_implILNS1_25lookback_scan_determinismE0ELb1ES3_N6thrust23THRUST_200600_302600_NS6detail15normal_iteratorINS9_10device_ptrIiEEEENSB_INSC_IjEEEESE_iNS9_4plusIvEENS9_8equal_toIvEEiEE10hipError_tPvRmT2_T3_T4_T5_mT6_T7_P12ihipStream_tbENKUlT_T0_E_clISt17integral_constantIbLb1EES10_IbLb0EEEEDaSW_SX_EUlSW_E_NS1_11comp_targetILNS1_3genE5ELNS1_11target_archE942ELNS1_3gpuE9ELNS1_3repE0EEENS1_30default_config_static_selectorELNS0_4arch9wavefront6targetE1EEEvT1_
	.p2align	8
	.type	_ZN7rocprim17ROCPRIM_400000_NS6detail17trampoline_kernelINS0_14default_configENS1_27scan_by_key_config_selectorIiiEEZZNS1_16scan_by_key_implILNS1_25lookback_scan_determinismE0ELb1ES3_N6thrust23THRUST_200600_302600_NS6detail15normal_iteratorINS9_10device_ptrIiEEEENSB_INSC_IjEEEESE_iNS9_4plusIvEENS9_8equal_toIvEEiEE10hipError_tPvRmT2_T3_T4_T5_mT6_T7_P12ihipStream_tbENKUlT_T0_E_clISt17integral_constantIbLb1EES10_IbLb0EEEEDaSW_SX_EUlSW_E_NS1_11comp_targetILNS1_3genE5ELNS1_11target_archE942ELNS1_3gpuE9ELNS1_3repE0EEENS1_30default_config_static_selectorELNS0_4arch9wavefront6targetE1EEEvT1_,@function
_ZN7rocprim17ROCPRIM_400000_NS6detail17trampoline_kernelINS0_14default_configENS1_27scan_by_key_config_selectorIiiEEZZNS1_16scan_by_key_implILNS1_25lookback_scan_determinismE0ELb1ES3_N6thrust23THRUST_200600_302600_NS6detail15normal_iteratorINS9_10device_ptrIiEEEENSB_INSC_IjEEEESE_iNS9_4plusIvEENS9_8equal_toIvEEiEE10hipError_tPvRmT2_T3_T4_T5_mT6_T7_P12ihipStream_tbENKUlT_T0_E_clISt17integral_constantIbLb1EES10_IbLb0EEEEDaSW_SX_EUlSW_E_NS1_11comp_targetILNS1_3genE5ELNS1_11target_archE942ELNS1_3gpuE9ELNS1_3repE0EEENS1_30default_config_static_selectorELNS0_4arch9wavefront6targetE1EEEvT1_: ; @_ZN7rocprim17ROCPRIM_400000_NS6detail17trampoline_kernelINS0_14default_configENS1_27scan_by_key_config_selectorIiiEEZZNS1_16scan_by_key_implILNS1_25lookback_scan_determinismE0ELb1ES3_N6thrust23THRUST_200600_302600_NS6detail15normal_iteratorINS9_10device_ptrIiEEEENSB_INSC_IjEEEESE_iNS9_4plusIvEENS9_8equal_toIvEEiEE10hipError_tPvRmT2_T3_T4_T5_mT6_T7_P12ihipStream_tbENKUlT_T0_E_clISt17integral_constantIbLb1EES10_IbLb0EEEEDaSW_SX_EUlSW_E_NS1_11comp_targetILNS1_3genE5ELNS1_11target_archE942ELNS1_3gpuE9ELNS1_3repE0EEENS1_30default_config_static_selectorELNS0_4arch9wavefront6targetE1EEEvT1_
; %bb.0:
	s_load_dwordx8 s[48:55], s[0:1], 0x0
	s_load_dword s76, s[0:1], 0x20
	s_load_dwordx4 s[56:59], s[0:1], 0x28
	s_load_dwordx2 s[68:69], s[0:1], 0x38
	s_load_dword s3, s[0:1], 0x40
	s_load_dwordx4 s[60:63], s[0:1], 0x48
	s_waitcnt lgkmcnt(0)
	s_lshl_b64 s[64:65], s[50:51], 2
	s_add_u32 s4, s48, s64
	s_addc_u32 s5, s49, s65
	s_add_u32 s6, s52, s64
	s_mul_i32 s0, s69, s3
	s_mul_hi_u32 s1, s68, s3
	s_addc_u32 s7, s53, s65
	s_add_i32 s8, s1, s0
	s_mul_i32 s0, s2, 0x1700
	s_mov_b32 s1, 0
	s_lshl_b64 s[66:67], s[0:1], 2
	s_add_u32 s70, s4, s66
	s_addc_u32 s71, s5, s67
	s_add_u32 s52, s6, s66
	s_mul_i32 s3, s68, s3
	s_addc_u32 s53, s7, s67
	s_add_u32 s0, s3, s2
	s_addc_u32 s1, s8, 0
	s_add_u32 s6, s60, -1
	s_addc_u32 s7, s61, -1
	v_mov_b64_e32 v[2:3], s[6:7]
	v_cmp_ge_u64_e64 s[0:1], s[0:1], v[2:3]
	s_mov_b64 s[4:5], -1
	s_and_b64 vcc, exec, s[0:1]
	s_mul_i32 s33, s6, 0xffffe900
	s_barrier
	s_cbranch_vccz .LBB1772_71
; %bb.1:
	v_mov_b64_e32 v[2:3], s[70:71]
	flat_load_dword v1, v[2:3]
	s_add_i32 s3, s33, s58
	v_cmp_gt_u32_e32 vcc, s3, v0
	s_waitcnt vmcnt(0) lgkmcnt(0)
	v_mov_b32_e32 v3, v1
	s_and_saveexec_b64 s[4:5], vcc
	s_cbranch_execz .LBB1772_3
; %bb.2:
	v_lshlrev_b32_e32 v2, 2, v0
	v_mov_b32_e32 v3, 0
	v_lshl_add_u64 v[2:3], s[70:71], 0, v[2:3]
	flat_load_dword v3, v[2:3]
.LBB1772_3:
	s_or_b64 exec, exec, s[4:5]
	v_or_b32_e32 v2, 0x100, v0
	v_cmp_gt_u32_e64 s[48:49], s3, v2
	v_mov_b32_e32 v4, v1
	s_and_saveexec_b64 s[4:5], s[48:49]
	s_cbranch_execz .LBB1772_5
; %bb.4:
	v_lshlrev_b32_e32 v4, 2, v0
	v_mov_b32_e32 v5, 0
	v_lshl_add_u64 v[4:5], s[70:71], 0, v[4:5]
	flat_load_dword v4, v[4:5] offset:1024
.LBB1772_5:
	s_or_b64 exec, exec, s[4:5]
	v_or_b32_e32 v2, 0x200, v0
	v_cmp_gt_u32_e64 s[4:5], s3, v2
	v_mov_b32_e32 v5, v1
	s_and_saveexec_b64 s[6:7], s[4:5]
	s_cbranch_execz .LBB1772_7
; %bb.6:
	v_lshlrev_b32_e32 v6, 2, v0
	v_mov_b32_e32 v7, 0
	v_lshl_add_u64 v[6:7], s[70:71], 0, v[6:7]
	flat_load_dword v5, v[6:7] offset:2048
.LBB1772_7:
	;; [unrolled: 12-line block ×3, first 2 shown]
	s_or_b64 exec, exec, s[8:9]
	v_or_b32_e32 v10, 0x400, v0
	v_cmp_gt_u32_e64 s[8:9], s3, v10
	v_mov_b32_e32 v7, v1
	s_and_saveexec_b64 s[10:11], s[8:9]
	s_cbranch_execz .LBB1772_11
; %bb.10:
	v_lshlrev_b32_e32 v8, 2, v10
	v_mov_b32_e32 v9, 0
	v_lshl_add_u64 v[8:9], s[70:71], 0, v[8:9]
	flat_load_dword v7, v[8:9]
.LBB1772_11:
	s_or_b64 exec, exec, s[10:11]
	v_or_b32_e32 v11, 0x500, v0
	v_cmp_gt_u32_e64 s[10:11], s3, v11
	v_mov_b32_e32 v8, v1
	s_and_saveexec_b64 s[12:13], s[10:11]
	s_cbranch_execz .LBB1772_13
; %bb.12:
	v_lshlrev_b32_e32 v8, 2, v11
	v_mov_b32_e32 v9, 0
	v_lshl_add_u64 v[8:9], s[70:71], 0, v[8:9]
	flat_load_dword v8, v[8:9]
.LBB1772_13:
	;; [unrolled: 12-line block ×18, first 2 shown]
	s_or_b64 exec, exec, s[46:47]
	v_or_b32_e32 v28, 0x1600, v0
	v_cmp_gt_u32_e64 s[46:47], s3, v28
	s_and_saveexec_b64 s[50:51], s[46:47]
	s_cbranch_execz .LBB1772_47
; %bb.46:
	v_lshlrev_b32_e32 v44, 2, v28
	v_mov_b32_e32 v45, 0
	v_lshl_add_u64 v[44:45], s[70:71], 0, v[44:45]
	flat_load_dword v1, v[44:45]
.LBB1772_47:
	s_or_b64 exec, exec, s[50:51]
	v_lshlrev_b32_e32 v2, 2, v0
	s_waitcnt vmcnt(0) lgkmcnt(0)
	ds_write2st64_b32 v2, v3, v4 offset1:4
	ds_write2st64_b32 v2, v5, v6 offset0:8 offset1:12
	ds_write2st64_b32 v2, v7, v8 offset0:16 offset1:20
	;; [unrolled: 1-line block ×10, first 2 shown]
	ds_write_b32 v2, v1 offset:22528
	v_mov_b64_e32 v[4:5], s[70:71]
	s_waitcnt lgkmcnt(0)
	s_barrier
	flat_load_dword v1, v[4:5]
	s_movk_i32 s50, 0x58
	v_mad_u32_u24 v70, v0, s50, v2
	s_movk_i32 s50, 0xffa8
	v_mad_i32_i24 v3, v0, s50, v70
	s_movk_i32 s50, 0xff
	v_cmp_ne_u32_e64 s[50:51], s50, v0
	ds_read_b32 v72, v70
	ds_read2_b32 v[68:69], v70 offset0:1 offset1:2
	ds_read2_b32 v[66:67], v70 offset0:3 offset1:4
	;; [unrolled: 1-line block ×11, first 2 shown]
	s_waitcnt lgkmcnt(0)
	ds_write_b32 v3, v72 offset:24576
	s_waitcnt lgkmcnt(0)
	s_barrier
	s_and_saveexec_b64 s[60:61], s[50:51]
	s_cbranch_execz .LBB1772_49
; %bb.48:
	s_waitcnt vmcnt(0)
	ds_read_b32 v1, v2 offset:24580
.LBB1772_49:
	s_or_b64 exec, exec, s[60:61]
	v_mov_b32_e32 v3, 0
	s_waitcnt lgkmcnt(0)
	s_barrier
	s_waitcnt lgkmcnt(0)
                                        ; implicit-def: $vgpr29
	s_and_saveexec_b64 s[50:51], vcc
	s_cbranch_execz .LBB1772_72
; %bb.50:
	v_lshl_add_u64 v[30:31], s[52:53], 0, v[2:3]
	flat_load_dword v29, v[30:31]
	s_or_b64 exec, exec, s[50:51]
                                        ; implicit-def: $vgpr30
	s_and_saveexec_b64 s[50:51], s[48:49]
	s_cbranch_execnz .LBB1772_73
.LBB1772_51:
	s_or_b64 exec, exec, s[50:51]
                                        ; implicit-def: $vgpr31
	s_and_saveexec_b64 s[48:49], s[4:5]
	s_cbranch_execz .LBB1772_74
.LBB1772_52:
	v_mov_b32_e32 v3, 0
	v_lshl_add_u64 v[32:33], s[52:53], 0, v[2:3]
	flat_load_dword v31, v[32:33] offset:2048
	s_or_b64 exec, exec, s[48:49]
                                        ; implicit-def: $vgpr3
	s_and_saveexec_b64 s[4:5], s[6:7]
	s_cbranch_execnz .LBB1772_75
.LBB1772_53:
	s_or_b64 exec, exec, s[4:5]
                                        ; implicit-def: $vgpr32
	s_and_saveexec_b64 s[4:5], s[8:9]
	s_cbranch_execz .LBB1772_76
.LBB1772_54:
	v_lshlrev_b32_e32 v32, 2, v10
	v_mov_b32_e32 v33, 0
	v_lshl_add_u64 v[32:33], s[52:53], 0, v[32:33]
	flat_load_dword v32, v[32:33]
	s_or_b64 exec, exec, s[4:5]
                                        ; implicit-def: $vgpr10
	s_and_saveexec_b64 s[4:5], s[10:11]
	s_cbranch_execnz .LBB1772_77
.LBB1772_55:
	s_or_b64 exec, exec, s[4:5]
                                        ; implicit-def: $vgpr11
	s_and_saveexec_b64 s[4:5], s[12:13]
	s_cbranch_execz .LBB1772_78
.LBB1772_56:
	v_lshlrev_b32_e32 v34, 2, v12
	v_mov_b32_e32 v35, 0
	v_lshl_add_u64 v[34:35], s[52:53], 0, v[34:35]
	flat_load_dword v11, v[34:35]
	s_or_b64 exec, exec, s[4:5]
                                        ; implicit-def: $vgpr12
	s_and_saveexec_b64 s[4:5], s[14:15]
	s_cbranch_execnz .LBB1772_79
.LBB1772_57:
	s_or_b64 exec, exec, s[4:5]
                                        ; implicit-def: $vgpr13
	s_and_saveexec_b64 s[4:5], s[16:17]
	s_cbranch_execz .LBB1772_80
.LBB1772_58:
	v_lshlrev_b32_e32 v34, 2, v14
	v_mov_b32_e32 v35, 0
	v_lshl_add_u64 v[34:35], s[52:53], 0, v[34:35]
	flat_load_dword v13, v[34:35]
	s_or_b64 exec, exec, s[4:5]
                                        ; implicit-def: $vgpr14
	s_and_saveexec_b64 s[4:5], s[18:19]
	s_cbranch_execnz .LBB1772_81
.LBB1772_59:
	s_or_b64 exec, exec, s[4:5]
                                        ; implicit-def: $vgpr15
	s_and_saveexec_b64 s[4:5], s[20:21]
	s_cbranch_execz .LBB1772_82
.LBB1772_60:
	v_lshlrev_b32_e32 v34, 2, v16
	v_mov_b32_e32 v35, 0
	v_lshl_add_u64 v[34:35], s[52:53], 0, v[34:35]
	flat_load_dword v15, v[34:35]
	s_or_b64 exec, exec, s[4:5]
                                        ; implicit-def: $vgpr16
	s_and_saveexec_b64 s[4:5], s[22:23]
	s_cbranch_execnz .LBB1772_83
.LBB1772_61:
	s_or_b64 exec, exec, s[4:5]
                                        ; implicit-def: $vgpr17
	s_and_saveexec_b64 s[4:5], s[24:25]
	s_cbranch_execz .LBB1772_84
.LBB1772_62:
	v_lshlrev_b32_e32 v34, 2, v18
	v_mov_b32_e32 v35, 0
	v_lshl_add_u64 v[34:35], s[52:53], 0, v[34:35]
	flat_load_dword v17, v[34:35]
	s_or_b64 exec, exec, s[4:5]
                                        ; implicit-def: $vgpr18
	s_and_saveexec_b64 s[4:5], s[26:27]
	s_cbranch_execnz .LBB1772_85
.LBB1772_63:
	s_or_b64 exec, exec, s[4:5]
                                        ; implicit-def: $vgpr19
	s_and_saveexec_b64 s[4:5], s[28:29]
	s_cbranch_execz .LBB1772_86
.LBB1772_64:
	v_lshlrev_b32_e32 v34, 2, v20
	v_mov_b32_e32 v35, 0
	v_lshl_add_u64 v[34:35], s[52:53], 0, v[34:35]
	flat_load_dword v19, v[34:35]
	s_or_b64 exec, exec, s[4:5]
                                        ; implicit-def: $vgpr20
	s_and_saveexec_b64 s[4:5], s[30:31]
	s_cbranch_execnz .LBB1772_87
.LBB1772_65:
	s_or_b64 exec, exec, s[4:5]
                                        ; implicit-def: $vgpr21
	s_and_saveexec_b64 s[4:5], s[34:35]
	s_cbranch_execz .LBB1772_88
.LBB1772_66:
	v_lshlrev_b32_e32 v34, 2, v22
	v_mov_b32_e32 v35, 0
	v_lshl_add_u64 v[34:35], s[52:53], 0, v[34:35]
	flat_load_dword v21, v[34:35]
	s_or_b64 exec, exec, s[4:5]
                                        ; implicit-def: $vgpr22
	s_and_saveexec_b64 s[4:5], s[36:37]
	s_cbranch_execnz .LBB1772_89
.LBB1772_67:
	s_or_b64 exec, exec, s[4:5]
                                        ; implicit-def: $vgpr23
	s_and_saveexec_b64 s[4:5], s[38:39]
	s_cbranch_execz .LBB1772_90
.LBB1772_68:
	v_lshlrev_b32_e32 v34, 2, v24
	v_mov_b32_e32 v35, 0
	v_lshl_add_u64 v[34:35], s[52:53], 0, v[34:35]
	flat_load_dword v23, v[34:35]
	s_or_b64 exec, exec, s[4:5]
                                        ; implicit-def: $vgpr24
	s_and_saveexec_b64 s[4:5], s[40:41]
	s_cbranch_execnz .LBB1772_91
.LBB1772_69:
	s_or_b64 exec, exec, s[4:5]
                                        ; implicit-def: $vgpr25
	s_and_saveexec_b64 s[4:5], s[42:43]
	s_cbranch_execz .LBB1772_92
.LBB1772_70:
	v_lshlrev_b32_e32 v34, 2, v26
	v_mov_b32_e32 v35, 0
	v_lshl_add_u64 v[34:35], s[52:53], 0, v[34:35]
	flat_load_dword v25, v[34:35]
	s_or_b64 exec, exec, s[4:5]
                                        ; implicit-def: $vgpr26
	s_and_saveexec_b64 s[4:5], s[44:45]
	s_cbranch_execz .LBB1772_94
	s_branch .LBB1772_93
.LBB1772_71:
	s_mov_b64 s[10:11], 0
                                        ; implicit-def: $sgpr8_sgpr9
                                        ; implicit-def: $vgpr2
                                        ; implicit-def: $vgpr10_vgpr11
                                        ; implicit-def: $vgpr12_vgpr13
                                        ; implicit-def: $vgpr14_vgpr15
                                        ; implicit-def: $vgpr16_vgpr17
                                        ; implicit-def: $vgpr18_vgpr19
                                        ; implicit-def: $vgpr20_vgpr21
                                        ; implicit-def: $vgpr22_vgpr23
                                        ; implicit-def: $vgpr24_vgpr25
                                        ; implicit-def: $vgpr26_vgpr27
                                        ; implicit-def: $vgpr28_vgpr29
                                        ; implicit-def: $vgpr30_vgpr31
                                        ; implicit-def: $vgpr32_vgpr33
                                        ; implicit-def: $vgpr34_vgpr35
                                        ; implicit-def: $vgpr36_vgpr37
                                        ; implicit-def: $vgpr38_vgpr39
                                        ; implicit-def: $vgpr40_vgpr41
                                        ; implicit-def: $vgpr42_vgpr43
                                        ; implicit-def: $vgpr44_vgpr45
                                        ; implicit-def: $vgpr46_vgpr47
                                        ; implicit-def: $vgpr48_vgpr49
                                        ; implicit-def: $vgpr50_vgpr51
                                        ; implicit-def: $vgpr52_vgpr53
                                        ; implicit-def: $sgpr6_sgpr7
	s_and_b64 vcc, exec, s[4:5]
	v_lshlrev_b32_e32 v54, 2, v0
	s_cbranch_vccz .LBB1772_148
	s_branch .LBB1772_143
.LBB1772_72:
	s_or_b64 exec, exec, s[50:51]
                                        ; implicit-def: $vgpr30
	s_and_saveexec_b64 s[50:51], s[48:49]
	s_cbranch_execz .LBB1772_51
.LBB1772_73:
	v_mov_b32_e32 v3, 0
	v_lshl_add_u64 v[30:31], s[52:53], 0, v[2:3]
	flat_load_dword v30, v[30:31] offset:1024
	s_or_b64 exec, exec, s[50:51]
                                        ; implicit-def: $vgpr31
	s_and_saveexec_b64 s[48:49], s[4:5]
	s_cbranch_execnz .LBB1772_52
.LBB1772_74:
	s_or_b64 exec, exec, s[48:49]
                                        ; implicit-def: $vgpr3
	s_and_saveexec_b64 s[4:5], s[6:7]
	s_cbranch_execz .LBB1772_53
.LBB1772_75:
	v_mov_b32_e32 v3, 0
	v_lshl_add_u64 v[32:33], s[52:53], 0, v[2:3]
	flat_load_dword v3, v[32:33] offset:3072
	s_or_b64 exec, exec, s[4:5]
                                        ; implicit-def: $vgpr32
	s_and_saveexec_b64 s[4:5], s[8:9]
	s_cbranch_execnz .LBB1772_54
.LBB1772_76:
	s_or_b64 exec, exec, s[4:5]
                                        ; implicit-def: $vgpr10
	s_and_saveexec_b64 s[4:5], s[10:11]
	s_cbranch_execz .LBB1772_55
.LBB1772_77:
	v_lshlrev_b32_e32 v10, 2, v11
	v_mov_b32_e32 v11, 0
	v_lshl_add_u64 v[10:11], s[52:53], 0, v[10:11]
	flat_load_dword v10, v[10:11]
	s_or_b64 exec, exec, s[4:5]
                                        ; implicit-def: $vgpr11
	s_and_saveexec_b64 s[4:5], s[12:13]
	s_cbranch_execnz .LBB1772_56
.LBB1772_78:
	s_or_b64 exec, exec, s[4:5]
                                        ; implicit-def: $vgpr12
	s_and_saveexec_b64 s[4:5], s[14:15]
	s_cbranch_execz .LBB1772_57
.LBB1772_79:
	v_lshlrev_b32_e32 v12, 2, v13
	v_mov_b32_e32 v13, 0
	v_lshl_add_u64 v[12:13], s[52:53], 0, v[12:13]
	flat_load_dword v12, v[12:13]
	s_or_b64 exec, exec, s[4:5]
                                        ; implicit-def: $vgpr13
	s_and_saveexec_b64 s[4:5], s[16:17]
	s_cbranch_execnz .LBB1772_58
.LBB1772_80:
	s_or_b64 exec, exec, s[4:5]
                                        ; implicit-def: $vgpr14
	s_and_saveexec_b64 s[4:5], s[18:19]
	s_cbranch_execz .LBB1772_59
.LBB1772_81:
	v_lshlrev_b32_e32 v14, 2, v15
	v_mov_b32_e32 v15, 0
	v_lshl_add_u64 v[14:15], s[52:53], 0, v[14:15]
	flat_load_dword v14, v[14:15]
	s_or_b64 exec, exec, s[4:5]
                                        ; implicit-def: $vgpr15
	s_and_saveexec_b64 s[4:5], s[20:21]
	s_cbranch_execnz .LBB1772_60
.LBB1772_82:
	s_or_b64 exec, exec, s[4:5]
                                        ; implicit-def: $vgpr16
	s_and_saveexec_b64 s[4:5], s[22:23]
	s_cbranch_execz .LBB1772_61
.LBB1772_83:
	v_lshlrev_b32_e32 v16, 2, v17
	v_mov_b32_e32 v17, 0
	v_lshl_add_u64 v[16:17], s[52:53], 0, v[16:17]
	flat_load_dword v16, v[16:17]
	s_or_b64 exec, exec, s[4:5]
                                        ; implicit-def: $vgpr17
	s_and_saveexec_b64 s[4:5], s[24:25]
	s_cbranch_execnz .LBB1772_62
.LBB1772_84:
	s_or_b64 exec, exec, s[4:5]
                                        ; implicit-def: $vgpr18
	s_and_saveexec_b64 s[4:5], s[26:27]
	s_cbranch_execz .LBB1772_63
.LBB1772_85:
	v_lshlrev_b32_e32 v18, 2, v19
	v_mov_b32_e32 v19, 0
	v_lshl_add_u64 v[18:19], s[52:53], 0, v[18:19]
	flat_load_dword v18, v[18:19]
	s_or_b64 exec, exec, s[4:5]
                                        ; implicit-def: $vgpr19
	s_and_saveexec_b64 s[4:5], s[28:29]
	s_cbranch_execnz .LBB1772_64
.LBB1772_86:
	s_or_b64 exec, exec, s[4:5]
                                        ; implicit-def: $vgpr20
	s_and_saveexec_b64 s[4:5], s[30:31]
	s_cbranch_execz .LBB1772_65
.LBB1772_87:
	v_lshlrev_b32_e32 v20, 2, v21
	v_mov_b32_e32 v21, 0
	v_lshl_add_u64 v[20:21], s[52:53], 0, v[20:21]
	flat_load_dword v20, v[20:21]
	s_or_b64 exec, exec, s[4:5]
                                        ; implicit-def: $vgpr21
	s_and_saveexec_b64 s[4:5], s[34:35]
	s_cbranch_execnz .LBB1772_66
.LBB1772_88:
	s_or_b64 exec, exec, s[4:5]
                                        ; implicit-def: $vgpr22
	s_and_saveexec_b64 s[4:5], s[36:37]
	s_cbranch_execz .LBB1772_67
.LBB1772_89:
	v_lshlrev_b32_e32 v22, 2, v23
	v_mov_b32_e32 v23, 0
	v_lshl_add_u64 v[22:23], s[52:53], 0, v[22:23]
	flat_load_dword v22, v[22:23]
	s_or_b64 exec, exec, s[4:5]
                                        ; implicit-def: $vgpr23
	s_and_saveexec_b64 s[4:5], s[38:39]
	s_cbranch_execnz .LBB1772_68
.LBB1772_90:
	s_or_b64 exec, exec, s[4:5]
                                        ; implicit-def: $vgpr24
	s_and_saveexec_b64 s[4:5], s[40:41]
	s_cbranch_execz .LBB1772_69
.LBB1772_91:
	v_lshlrev_b32_e32 v24, 2, v25
	v_mov_b32_e32 v25, 0
	v_lshl_add_u64 v[24:25], s[52:53], 0, v[24:25]
	flat_load_dword v24, v[24:25]
	s_or_b64 exec, exec, s[4:5]
                                        ; implicit-def: $vgpr25
	s_and_saveexec_b64 s[4:5], s[42:43]
	s_cbranch_execnz .LBB1772_70
.LBB1772_92:
	s_or_b64 exec, exec, s[4:5]
                                        ; implicit-def: $vgpr26
	s_and_saveexec_b64 s[4:5], s[44:45]
	s_cbranch_execz .LBB1772_94
.LBB1772_93:
	v_lshlrev_b32_e32 v26, 2, v27
	v_mov_b32_e32 v27, 0
	v_lshl_add_u64 v[26:27], s[52:53], 0, v[26:27]
	flat_load_dword v26, v[26:27]
.LBB1772_94:
	s_or_b64 exec, exec, s[4:5]
	v_mul_u32_u24_e32 v71, 23, v0
                                        ; implicit-def: $vgpr27
	s_and_saveexec_b64 s[4:5], s[46:47]
	s_cbranch_execz .LBB1772_96
; %bb.95:
	v_lshlrev_b32_e32 v34, 2, v28
	v_mov_b32_e32 v35, 0
	v_lshl_add_u64 v[34:35], s[52:53], 0, v[34:35]
	flat_load_dword v27, v[34:35]
.LBB1772_96:
	s_or_b64 exec, exec, s[4:5]
	s_waitcnt vmcnt(0) lgkmcnt(0)
	ds_write2st64_b32 v2, v29, v30 offset1:4
	ds_write2st64_b32 v2, v31, v3 offset0:8 offset1:12
	ds_write2st64_b32 v2, v32, v10 offset0:16 offset1:20
	;; [unrolled: 1-line block ×10, first 2 shown]
	ds_write_b32 v2, v27 offset:22528
	v_mov_b64_e32 v[10:11], 0
	v_cmp_gt_u32_e32 vcc, s3, v71
	s_mov_b64 s[10:11], 0
	s_mov_b64 s[4:5], 0
	v_mov_b64_e32 v[12:13], v[10:11]
	v_mov_b64_e32 v[14:15], v[10:11]
	;; [unrolled: 1-line block ×21, first 2 shown]
	s_waitcnt lgkmcnt(0)
	s_barrier
	s_waitcnt lgkmcnt(0)
                                        ; implicit-def: $sgpr8_sgpr9
                                        ; implicit-def: $vgpr2
	s_and_saveexec_b64 s[6:7], vcc
	s_cbranch_execz .LBB1772_142
; %bb.97:
	ds_read_b32 v2, v70
	v_mov_b32_e32 v10, s76
	v_cmp_eq_u32_e32 vcc, v72, v68
	v_add_u32_e32 v3, 1, v71
	v_mov_b64_e32 v[12:13], 0
	s_waitcnt lgkmcnt(0)
	v_cndmask_b32_e32 v10, v10, v2, vcc
	v_cmp_ne_u32_e32 vcc, v72, v68
	s_mov_b64 s[12:13], 0
	v_mov_b64_e32 v[14:15], v[12:13]
	v_cndmask_b32_e64 v11, 0, 1, vcc
	v_cmp_gt_u32_e32 vcc, s3, v3
	v_mov_b64_e32 v[16:17], v[12:13]
	v_mov_b64_e32 v[18:19], v[12:13]
	;; [unrolled: 1-line block ×19, first 2 shown]
                                        ; implicit-def: $sgpr14_sgpr15
                                        ; implicit-def: $vgpr2
	s_and_saveexec_b64 s[8:9], vcc
	s_cbranch_execz .LBB1772_141
; %bb.98:
	ds_read2_b32 v[2:3], v70 offset0:1 offset1:2
	v_mov_b32_e32 v12, s76
	v_cmp_eq_u32_e32 vcc, v68, v69
	v_add_u32_e32 v14, 2, v71
	s_mov_b64 s[14:15], 0
	s_waitcnt lgkmcnt(0)
	v_cndmask_b32_e32 v12, v12, v2, vcc
	v_cmp_ne_u32_e32 vcc, v68, v69
                                        ; implicit-def: $sgpr16_sgpr17
                                        ; implicit-def: $vgpr2
	s_nop 1
	v_cndmask_b32_e64 v13, 0, 1, vcc
	v_cmp_gt_u32_e32 vcc, s3, v14
	v_mov_b64_e32 v[14:15], 0
	v_mov_b64_e32 v[16:17], v[14:15]
	;; [unrolled: 1-line block ×20, first 2 shown]
	s_and_saveexec_b64 s[10:11], vcc
	s_cbranch_execz .LBB1772_140
; %bb.99:
	v_mov_b32_e32 v14, s76
	v_cmp_eq_u32_e32 vcc, v69, v66
	v_add_u32_e32 v2, 3, v71
	v_mov_b64_e32 v[16:17], 0
	v_cndmask_b32_e32 v14, v14, v3, vcc
	v_cmp_ne_u32_e32 vcc, v69, v66
	s_mov_b64 s[16:17], 0
	v_mov_b64_e32 v[18:19], v[16:17]
	v_cndmask_b32_e64 v15, 0, 1, vcc
	v_cmp_gt_u32_e32 vcc, s3, v2
	v_mov_b64_e32 v[20:21], v[16:17]
	v_mov_b64_e32 v[22:23], v[16:17]
	;; [unrolled: 1-line block ×17, first 2 shown]
                                        ; implicit-def: $sgpr18_sgpr19
                                        ; implicit-def: $vgpr2
	s_and_saveexec_b64 s[12:13], vcc
	s_cbranch_execz .LBB1772_139
; %bb.100:
	ds_read2_b32 v[2:3], v70 offset0:3 offset1:4
	v_mov_b32_e32 v16, s76
	v_cmp_eq_u32_e32 vcc, v66, v67
	v_add_u32_e32 v18, 4, v71
	s_mov_b64 s[18:19], 0
	s_waitcnt lgkmcnt(0)
	v_cndmask_b32_e32 v16, v16, v2, vcc
	v_cmp_ne_u32_e32 vcc, v66, v67
                                        ; implicit-def: $sgpr20_sgpr21
                                        ; implicit-def: $vgpr2
	s_nop 1
	v_cndmask_b32_e64 v17, 0, 1, vcc
	v_cmp_gt_u32_e32 vcc, s3, v18
	v_mov_b64_e32 v[18:19], 0
	v_mov_b64_e32 v[20:21], v[18:19]
	;; [unrolled: 1-line block ×18, first 2 shown]
	s_and_saveexec_b64 s[14:15], vcc
	s_cbranch_execz .LBB1772_138
; %bb.101:
	v_mov_b32_e32 v18, s76
	v_cmp_eq_u32_e32 vcc, v67, v64
	v_add_u32_e32 v2, 5, v71
	v_mov_b64_e32 v[20:21], 0
	v_cndmask_b32_e32 v18, v18, v3, vcc
	v_cmp_ne_u32_e32 vcc, v67, v64
	s_mov_b64 s[20:21], 0
	v_mov_b64_e32 v[22:23], v[20:21]
	v_cndmask_b32_e64 v19, 0, 1, vcc
	v_cmp_gt_u32_e32 vcc, s3, v2
	v_mov_b64_e32 v[24:25], v[20:21]
	v_mov_b64_e32 v[26:27], v[20:21]
	;; [unrolled: 1-line block ×15, first 2 shown]
                                        ; implicit-def: $sgpr22_sgpr23
                                        ; implicit-def: $vgpr2
	s_and_saveexec_b64 s[16:17], vcc
	s_cbranch_execz .LBB1772_137
; %bb.102:
	ds_read2_b32 v[2:3], v70 offset0:5 offset1:6
	v_mov_b32_e32 v20, s76
	v_cmp_eq_u32_e32 vcc, v64, v65
	v_add_u32_e32 v22, 6, v71
	s_mov_b64 s[22:23], 0
	s_waitcnt lgkmcnt(0)
	v_cndmask_b32_e32 v20, v20, v2, vcc
	v_cmp_ne_u32_e32 vcc, v64, v65
                                        ; implicit-def: $sgpr24_sgpr25
                                        ; implicit-def: $vgpr2
	s_nop 1
	v_cndmask_b32_e64 v21, 0, 1, vcc
	v_cmp_gt_u32_e32 vcc, s3, v22
	v_mov_b64_e32 v[22:23], 0
	v_mov_b64_e32 v[24:25], v[22:23]
	;; [unrolled: 1-line block ×16, first 2 shown]
	s_and_saveexec_b64 s[18:19], vcc
	s_cbranch_execz .LBB1772_136
; %bb.103:
	v_mov_b32_e32 v22, s76
	v_cmp_eq_u32_e32 vcc, v65, v62
	v_add_u32_e32 v2, 7, v71
	v_mov_b64_e32 v[24:25], 0
	v_cndmask_b32_e32 v22, v22, v3, vcc
	v_cmp_ne_u32_e32 vcc, v65, v62
	s_mov_b64 s[24:25], 0
	v_mov_b64_e32 v[26:27], v[24:25]
	v_cndmask_b32_e64 v23, 0, 1, vcc
	v_cmp_gt_u32_e32 vcc, s3, v2
	v_mov_b64_e32 v[28:29], v[24:25]
	v_mov_b64_e32 v[30:31], v[24:25]
	;; [unrolled: 1-line block ×13, first 2 shown]
                                        ; implicit-def: $sgpr26_sgpr27
                                        ; implicit-def: $vgpr2
	s_and_saveexec_b64 s[20:21], vcc
	s_cbranch_execz .LBB1772_135
; %bb.104:
	ds_read2_b32 v[2:3], v70 offset0:7 offset1:8
	v_mov_b32_e32 v24, s76
	v_cmp_eq_u32_e32 vcc, v62, v63
	v_add_u32_e32 v26, 8, v71
	s_mov_b64 s[26:27], 0
	s_waitcnt lgkmcnt(0)
	v_cndmask_b32_e32 v24, v24, v2, vcc
	v_cmp_ne_u32_e32 vcc, v62, v63
                                        ; implicit-def: $sgpr28_sgpr29
                                        ; implicit-def: $vgpr2
	s_nop 1
	v_cndmask_b32_e64 v25, 0, 1, vcc
	v_cmp_gt_u32_e32 vcc, s3, v26
	v_mov_b64_e32 v[26:27], 0
	v_mov_b64_e32 v[28:29], v[26:27]
	;; [unrolled: 1-line block ×14, first 2 shown]
	s_and_saveexec_b64 s[22:23], vcc
	s_cbranch_execz .LBB1772_134
; %bb.105:
	v_mov_b32_e32 v26, s76
	v_cmp_eq_u32_e32 vcc, v63, v60
	v_add_u32_e32 v2, 9, v71
	v_mov_b64_e32 v[28:29], 0
	v_cndmask_b32_e32 v26, v26, v3, vcc
	v_cmp_ne_u32_e32 vcc, v63, v60
	s_mov_b64 s[28:29], 0
	v_mov_b64_e32 v[30:31], v[28:29]
	v_cndmask_b32_e64 v27, 0, 1, vcc
	v_cmp_gt_u32_e32 vcc, s3, v2
	v_mov_b64_e32 v[32:33], v[28:29]
	v_mov_b64_e32 v[34:35], v[28:29]
	;; [unrolled: 1-line block ×11, first 2 shown]
                                        ; implicit-def: $sgpr30_sgpr31
                                        ; implicit-def: $vgpr2
	s_and_saveexec_b64 s[24:25], vcc
	s_cbranch_execz .LBB1772_133
; %bb.106:
	ds_read2_b32 v[2:3], v70 offset0:9 offset1:10
	v_mov_b32_e32 v28, s76
	v_cmp_eq_u32_e32 vcc, v60, v61
	v_add_u32_e32 v30, 10, v71
	s_mov_b64 s[30:31], 0
	s_waitcnt lgkmcnt(0)
	v_cndmask_b32_e32 v28, v28, v2, vcc
	v_cmp_ne_u32_e32 vcc, v60, v61
                                        ; implicit-def: $sgpr34_sgpr35
                                        ; implicit-def: $vgpr2
	s_nop 1
	v_cndmask_b32_e64 v29, 0, 1, vcc
	v_cmp_gt_u32_e32 vcc, s3, v30
	v_mov_b64_e32 v[30:31], 0
	v_mov_b64_e32 v[32:33], v[30:31]
	;; [unrolled: 1-line block ×12, first 2 shown]
	s_and_saveexec_b64 s[26:27], vcc
	s_cbranch_execz .LBB1772_132
; %bb.107:
	v_mov_b32_e32 v30, s76
	v_cmp_eq_u32_e32 vcc, v61, v58
	v_add_u32_e32 v2, 11, v71
	v_mov_b64_e32 v[32:33], 0
	v_cndmask_b32_e32 v30, v30, v3, vcc
	v_cmp_ne_u32_e32 vcc, v61, v58
	s_mov_b64 s[34:35], 0
	v_mov_b64_e32 v[34:35], v[32:33]
	v_cndmask_b32_e64 v31, 0, 1, vcc
	v_cmp_gt_u32_e32 vcc, s3, v2
	v_mov_b64_e32 v[36:37], v[32:33]
	v_mov_b64_e32 v[38:39], v[32:33]
	;; [unrolled: 1-line block ×9, first 2 shown]
                                        ; implicit-def: $sgpr36_sgpr37
                                        ; implicit-def: $vgpr2
	s_and_saveexec_b64 s[28:29], vcc
	s_cbranch_execz .LBB1772_131
; %bb.108:
	ds_read2_b32 v[2:3], v70 offset0:11 offset1:12
	v_mov_b32_e32 v32, s76
	v_cmp_eq_u32_e32 vcc, v58, v59
	v_add_u32_e32 v34, 12, v71
	s_mov_b64 s[36:37], 0
	s_waitcnt lgkmcnt(0)
	v_cndmask_b32_e32 v32, v32, v2, vcc
	v_cmp_ne_u32_e32 vcc, v58, v59
                                        ; implicit-def: $sgpr38_sgpr39
                                        ; implicit-def: $vgpr2
	s_nop 1
	v_cndmask_b32_e64 v33, 0, 1, vcc
	v_cmp_gt_u32_e32 vcc, s3, v34
	v_mov_b64_e32 v[34:35], 0
	v_mov_b64_e32 v[36:37], v[34:35]
	v_mov_b64_e32 v[38:39], v[34:35]
	v_mov_b64_e32 v[40:41], v[34:35]
	v_mov_b64_e32 v[42:43], v[34:35]
	v_mov_b64_e32 v[44:45], v[34:35]
	v_mov_b64_e32 v[46:47], v[34:35]
	v_mov_b64_e32 v[48:49], v[34:35]
	v_mov_b64_e32 v[50:51], v[34:35]
	v_mov_b64_e32 v[52:53], v[34:35]
	s_and_saveexec_b64 s[30:31], vcc
	s_cbranch_execz .LBB1772_130
; %bb.109:
	v_mov_b32_e32 v34, s76
	v_cmp_eq_u32_e32 vcc, v59, v56
	v_add_u32_e32 v2, 13, v71
	v_mov_b64_e32 v[36:37], 0
	v_cndmask_b32_e32 v34, v34, v3, vcc
	v_cmp_ne_u32_e32 vcc, v59, v56
	s_mov_b64 s[38:39], 0
	v_mov_b64_e32 v[38:39], v[36:37]
	v_cndmask_b32_e64 v35, 0, 1, vcc
	v_cmp_gt_u32_e32 vcc, s3, v2
	v_mov_b64_e32 v[40:41], v[36:37]
	v_mov_b64_e32 v[42:43], v[36:37]
	;; [unrolled: 1-line block ×7, first 2 shown]
                                        ; implicit-def: $sgpr40_sgpr41
                                        ; implicit-def: $vgpr2
	s_and_saveexec_b64 s[34:35], vcc
	s_cbranch_execz .LBB1772_129
; %bb.110:
	ds_read2_b32 v[2:3], v70 offset0:13 offset1:14
	v_mov_b32_e32 v36, s76
	v_cmp_eq_u32_e32 vcc, v56, v57
	v_add_u32_e32 v38, 14, v71
	s_mov_b64 s[40:41], 0
	s_waitcnt lgkmcnt(0)
	v_cndmask_b32_e32 v36, v36, v2, vcc
	v_cmp_ne_u32_e32 vcc, v56, v57
                                        ; implicit-def: $sgpr42_sgpr43
                                        ; implicit-def: $vgpr2
	s_nop 1
	v_cndmask_b32_e64 v37, 0, 1, vcc
	v_cmp_gt_u32_e32 vcc, s3, v38
	v_mov_b64_e32 v[38:39], 0
	v_mov_b64_e32 v[40:41], v[38:39]
	;; [unrolled: 1-line block ×8, first 2 shown]
	s_and_saveexec_b64 s[36:37], vcc
	s_cbranch_execz .LBB1772_128
; %bb.111:
	v_mov_b32_e32 v38, s76
	v_cmp_eq_u32_e32 vcc, v57, v54
	v_add_u32_e32 v2, 15, v71
	v_mov_b64_e32 v[40:41], 0
	v_cndmask_b32_e32 v38, v38, v3, vcc
	v_cmp_ne_u32_e32 vcc, v57, v54
	s_mov_b64 s[42:43], 0
	v_mov_b64_e32 v[42:43], v[40:41]
	v_cndmask_b32_e64 v39, 0, 1, vcc
	v_cmp_gt_u32_e32 vcc, s3, v2
	v_mov_b64_e32 v[44:45], v[40:41]
	v_mov_b64_e32 v[46:47], v[40:41]
	;; [unrolled: 1-line block ×5, first 2 shown]
                                        ; implicit-def: $sgpr44_sgpr45
                                        ; implicit-def: $vgpr2
	s_and_saveexec_b64 s[38:39], vcc
	s_cbranch_execz .LBB1772_127
; %bb.112:
	ds_read2_b32 v[2:3], v70 offset0:15 offset1:16
	v_mov_b32_e32 v40, s76
	v_cmp_eq_u32_e32 vcc, v54, v55
	v_add_u32_e32 v42, 16, v71
	s_mov_b64 s[44:45], 0
	s_waitcnt lgkmcnt(0)
	v_cndmask_b32_e32 v40, v40, v2, vcc
	v_cmp_ne_u32_e32 vcc, v54, v55
                                        ; implicit-def: $sgpr46_sgpr47
                                        ; implicit-def: $vgpr2
	s_nop 1
	v_cndmask_b32_e64 v41, 0, 1, vcc
	v_cmp_gt_u32_e32 vcc, s3, v42
	v_mov_b64_e32 v[42:43], 0
	v_mov_b64_e32 v[44:45], v[42:43]
	;; [unrolled: 1-line block ×6, first 2 shown]
	s_and_saveexec_b64 s[40:41], vcc
	s_cbranch_execz .LBB1772_126
; %bb.113:
	v_mov_b32_e32 v42, s76
	v_cmp_eq_u32_e32 vcc, v55, v8
	v_add_u32_e32 v2, 17, v71
	v_mov_b64_e32 v[44:45], 0
	v_cndmask_b32_e32 v42, v42, v3, vcc
	v_cmp_ne_u32_e32 vcc, v55, v8
	s_mov_b64 s[46:47], 0
	v_mov_b64_e32 v[46:47], v[44:45]
	v_cndmask_b32_e64 v43, 0, 1, vcc
	v_cmp_gt_u32_e32 vcc, s3, v2
	v_mov_b64_e32 v[48:49], v[44:45]
	v_mov_b64_e32 v[50:51], v[44:45]
	;; [unrolled: 1-line block ×3, first 2 shown]
                                        ; implicit-def: $sgpr48_sgpr49
                                        ; implicit-def: $vgpr2
	s_and_saveexec_b64 s[42:43], vcc
	s_cbranch_execz .LBB1772_125
; %bb.114:
	ds_read2_b32 v[2:3], v70 offset0:17 offset1:18
	v_mov_b32_e32 v44, s76
	v_cmp_eq_u32_e32 vcc, v8, v9
	v_add_u32_e32 v46, 18, v71
	s_mov_b64 s[48:49], 0
	s_waitcnt lgkmcnt(0)
	v_cndmask_b32_e32 v44, v44, v2, vcc
	v_cmp_ne_u32_e32 vcc, v8, v9
                                        ; implicit-def: $sgpr50_sgpr51
                                        ; implicit-def: $vgpr2
	s_nop 1
	v_cndmask_b32_e64 v45, 0, 1, vcc
	v_cmp_gt_u32_e32 vcc, s3, v46
	v_mov_b64_e32 v[46:47], 0
	v_mov_b64_e32 v[48:49], v[46:47]
	;; [unrolled: 1-line block ×4, first 2 shown]
	s_and_saveexec_b64 s[44:45], vcc
	s_cbranch_execz .LBB1772_124
; %bb.115:
	v_mov_b32_e32 v8, s76
	v_cmp_eq_u32_e32 vcc, v9, v6
	v_add_u32_e32 v2, 19, v71
	v_mov_b64_e32 v[48:49], 0
	v_cndmask_b32_e32 v46, v8, v3, vcc
	v_cmp_ne_u32_e32 vcc, v9, v6
	s_mov_b64 s[50:51], 0
	v_mov_b64_e32 v[50:51], v[48:49]
	v_cndmask_b32_e64 v47, 0, 1, vcc
	v_cmp_gt_u32_e32 vcc, s3, v2
	v_mov_b64_e32 v[52:53], v[48:49]
                                        ; implicit-def: $sgpr60_sgpr61
                                        ; implicit-def: $vgpr2
	s_and_saveexec_b64 s[46:47], vcc
	s_cbranch_execz .LBB1772_123
; %bb.116:
	ds_read2_b32 v[2:3], v70 offset0:19 offset1:20
	v_mov_b32_e32 v9, s76
	v_cmp_eq_u32_e32 vcc, v6, v7
	v_add_u32_e32 v8, 20, v71
	v_mov_b64_e32 v[50:51], 0
	s_waitcnt lgkmcnt(0)
	v_cndmask_b32_e32 v48, v9, v2, vcc
	v_cmp_ne_u32_e32 vcc, v6, v7
	s_mov_b64 s[60:61], 0
	v_mov_b64_e32 v[52:53], v[50:51]
	v_cndmask_b32_e64 v49, 0, 1, vcc
	v_cmp_gt_u32_e32 vcc, s3, v8
                                        ; implicit-def: $sgpr72_sgpr73
                                        ; implicit-def: $vgpr2
	s_and_saveexec_b64 s[48:49], vcc
	s_cbranch_execz .LBB1772_122
; %bb.117:
	v_mov_b32_e32 v6, s76
	v_cmp_eq_u32_e32 vcc, v7, v4
	v_add_u32_e32 v2, 21, v71
	v_mov_b64_e32 v[52:53], 0
	v_cndmask_b32_e32 v50, v6, v3, vcc
	v_cmp_ne_u32_e32 vcc, v7, v4
                                        ; implicit-def: $sgpr72_sgpr73
	s_nop 1
	v_cndmask_b32_e64 v51, 0, 1, vcc
	v_cmp_gt_u32_e32 vcc, s3, v2
                                        ; implicit-def: $vgpr2
	s_and_saveexec_b64 s[50:51], vcc
	s_cbranch_execz .LBB1772_121
; %bb.118:
	ds_read2_b32 v[2:3], v70 offset0:21 offset1:22
	v_mov_b32_e32 v7, s76
	v_cmp_eq_u32_e32 vcc, v4, v5
	v_add_u32_e32 v6, 22, v71
                                        ; implicit-def: $sgpr72_sgpr73
	s_waitcnt lgkmcnt(0)
	v_cndmask_b32_e32 v52, v7, v2, vcc
	v_cmp_ne_u32_e32 vcc, v4, v5
                                        ; implicit-def: $vgpr2
	s_nop 1
	v_cndmask_b32_e64 v53, 0, 1, vcc
	v_cmp_gt_u32_e32 vcc, s3, v6
	s_and_saveexec_b64 s[74:75], vcc
	s_xor_b64 s[74:75], exec, s[74:75]
; %bb.119:
	v_mov_b32_e32 v2, s76
	v_cmp_ne_u32_e32 vcc, v5, v1
	s_mov_b64 s[60:61], exec
	s_and_b64 s[72:73], vcc, exec
	v_cndmask_b32_e32 v2, v3, v2, vcc
; %bb.120:
	s_or_b64 exec, exec, s[74:75]
	s_and_b64 s[72:73], s[72:73], exec
	s_and_b64 s[60:61], s[60:61], exec
.LBB1772_121:
	s_or_b64 exec, exec, s[50:51]
	s_and_b64 s[72:73], s[72:73], exec
	s_and_b64 s[50:51], s[60:61], exec
.LBB1772_122:
	s_or_b64 exec, exec, s[48:49]
	s_and_b64 s[60:61], s[72:73], exec
	s_and_b64 s[48:49], s[50:51], exec
.LBB1772_123:
	s_or_b64 exec, exec, s[46:47]
	s_and_b64 s[50:51], s[60:61], exec
	s_and_b64 s[46:47], s[48:49], exec
.LBB1772_124:
	s_or_b64 exec, exec, s[44:45]
	s_and_b64 s[48:49], s[50:51], exec
	s_and_b64 s[44:45], s[46:47], exec
.LBB1772_125:
	s_or_b64 exec, exec, s[42:43]
	s_and_b64 s[46:47], s[48:49], exec
	s_and_b64 s[42:43], s[44:45], exec
.LBB1772_126:
	s_or_b64 exec, exec, s[40:41]
	s_and_b64 s[44:45], s[46:47], exec
	s_and_b64 s[40:41], s[42:43], exec
.LBB1772_127:
	s_or_b64 exec, exec, s[38:39]
	s_and_b64 s[42:43], s[44:45], exec
	s_and_b64 s[38:39], s[40:41], exec
.LBB1772_128:
	s_or_b64 exec, exec, s[36:37]
	s_and_b64 s[40:41], s[42:43], exec
	s_and_b64 s[36:37], s[38:39], exec
.LBB1772_129:
	s_or_b64 exec, exec, s[34:35]
	s_and_b64 s[38:39], s[40:41], exec
	s_and_b64 s[34:35], s[36:37], exec
.LBB1772_130:
	s_or_b64 exec, exec, s[30:31]
	s_and_b64 s[36:37], s[38:39], exec
	s_and_b64 s[30:31], s[34:35], exec
.LBB1772_131:
	s_or_b64 exec, exec, s[28:29]
	s_and_b64 s[34:35], s[36:37], exec
	s_and_b64 s[28:29], s[30:31], exec
.LBB1772_132:
	s_or_b64 exec, exec, s[26:27]
	s_and_b64 s[30:31], s[34:35], exec
	s_and_b64 s[26:27], s[28:29], exec
.LBB1772_133:
	s_or_b64 exec, exec, s[24:25]
	s_and_b64 s[28:29], s[30:31], exec
	s_and_b64 s[24:25], s[26:27], exec
.LBB1772_134:
	s_or_b64 exec, exec, s[22:23]
	s_and_b64 s[26:27], s[28:29], exec
	s_and_b64 s[22:23], s[24:25], exec
.LBB1772_135:
	s_or_b64 exec, exec, s[20:21]
	s_and_b64 s[24:25], s[26:27], exec
	s_and_b64 s[20:21], s[22:23], exec
.LBB1772_136:
	s_or_b64 exec, exec, s[18:19]
	s_and_b64 s[22:23], s[24:25], exec
	s_and_b64 s[18:19], s[20:21], exec
.LBB1772_137:
	s_or_b64 exec, exec, s[16:17]
	s_and_b64 s[20:21], s[22:23], exec
	s_and_b64 s[16:17], s[18:19], exec
.LBB1772_138:
	s_or_b64 exec, exec, s[14:15]
	s_and_b64 s[18:19], s[20:21], exec
	s_and_b64 s[14:15], s[16:17], exec
.LBB1772_139:
	s_or_b64 exec, exec, s[12:13]
	s_and_b64 s[16:17], s[18:19], exec
	s_and_b64 s[12:13], s[14:15], exec
.LBB1772_140:
	s_or_b64 exec, exec, s[10:11]
	s_and_b64 s[14:15], s[16:17], exec
	s_and_b64 s[10:11], s[12:13], exec
.LBB1772_141:
	s_or_b64 exec, exec, s[8:9]
	s_and_b64 s[8:9], s[14:15], exec
	s_and_b64 s[10:11], s[10:11], exec
.LBB1772_142:
	s_or_b64 exec, exec, s[6:7]
	s_mov_b64 s[6:7], 0
	s_and_b64 vcc, exec, s[4:5]
	v_lshlrev_b32_e32 v54, 2, v0
	s_cbranch_vccz .LBB1772_148
.LBB1772_143:
	v_mov_b32_e32 v55, 0
	v_lshl_add_u64 v[2:3], s[70:71], 0, v[54:55]
	v_add_co_u32_e32 v4, vcc, 0x1000, v2
	s_movk_i32 s6, 0x58
	s_nop 0
	v_addc_co_u32_e32 v5, vcc, 0, v3, vcc
	flat_load_dword v1, v[2:3]
	flat_load_dword v8, v[2:3] offset:1024
	flat_load_dword v9, v[2:3] offset:2048
	;; [unrolled: 1-line block ×3, first 2 shown]
	flat_load_dword v11, v[4:5]
	flat_load_dword v12, v[4:5] offset:1024
	flat_load_dword v13, v[4:5] offset:2048
	;; [unrolled: 1-line block ×3, first 2 shown]
	v_add_co_u32_e32 v4, vcc, 0x2000, v2
	s_movk_i32 s10, 0x1000
	s_nop 0
	v_addc_co_u32_e32 v5, vcc, 0, v3, vcc
	v_add_co_u32_e32 v6, vcc, 0x3000, v2
	s_mov_b32 s4, 0
	s_nop 0
	v_addc_co_u32_e32 v7, vcc, 0, v3, vcc
	flat_load_dword v15, v[4:5]
	flat_load_dword v16, v[4:5] offset:1024
	flat_load_dword v17, v[4:5] offset:2048
	;; [unrolled: 1-line block ×3, first 2 shown]
	flat_load_dword v19, v[6:7]
	flat_load_dword v20, v[6:7] offset:1024
	flat_load_dword v21, v[6:7] offset:2048
	;; [unrolled: 1-line block ×3, first 2 shown]
	v_add_co_u32_e32 v4, vcc, 0x4000, v2
	s_movk_i32 s9, 0x2000
	s_nop 0
	v_addc_co_u32_e32 v5, vcc, 0, v3, vcc
	v_add_co_u32_e32 v2, vcc, 0x5000, v2
	s_movk_i32 s8, 0x3000
	s_nop 0
	v_addc_co_u32_e32 v3, vcc, 0, v3, vcc
	flat_load_dword v6, v[4:5]
	flat_load_dword v7, v[4:5] offset:1024
	flat_load_dword v23, v[4:5] offset:2048
	;; [unrolled: 1-line block ×3, first 2 shown]
	flat_load_dword v25, v[2:3]
	flat_load_dword v26, v[2:3] offset:1024
	flat_load_dword v27, v[2:3] offset:2048
	v_mov_b32_e32 v2, s70
	v_mov_b32_e32 v3, s71
	v_add_co_u32_e32 v2, vcc, 0x5000, v2
	s_movk_i32 s5, 0x4000
	s_nop 0
	v_addc_co_u32_e32 v3, vcc, 0, v3, vcc
	s_movk_i32 s3, 0x5000
	s_waitcnt vmcnt(0) lgkmcnt(0)
	ds_write2st64_b32 v54, v1, v8 offset1:4
	ds_write2st64_b32 v54, v9, v10 offset0:8 offset1:12
	ds_write2st64_b32 v54, v11, v12 offset0:16 offset1:20
	;; [unrolled: 1-line block ×10, first 2 shown]
	ds_write_b32 v54, v27 offset:22528
	s_waitcnt lgkmcnt(0)
	s_barrier
	flat_load_dword v1, v[2:3] offset:3072
	v_mad_u32_u24 v12, v0, s6, v54
	s_movk_i32 s6, 0xffa8
	v_mad_i32_i24 v11, v0, s6, v12
	s_movk_i32 s6, 0xff
	v_cmp_ne_u32_e32 vcc, s6, v0
	ds_read_b32 v10, v12
	ds_read2_b32 v[14:15], v12 offset0:1 offset1:2
	ds_read2_b32 v[18:19], v12 offset0:3 offset1:4
	;; [unrolled: 1-line block ×11, first 2 shown]
	s_waitcnt lgkmcnt(0)
	ds_write_b32 v11, v10 offset:24576
	s_waitcnt lgkmcnt(0)
	s_barrier
	s_and_saveexec_b64 s[6:7], vcc
	s_cbranch_execz .LBB1772_145
; %bb.144:
	s_waitcnt vmcnt(0)
	ds_read_b32 v1, v54 offset:24580
.LBB1772_145:
	s_or_b64 exec, exec, s[6:7]
	v_lshl_add_u64 v[16:17], s[52:53], 0, v[54:55]
	v_add_co_u32_e32 v20, vcc, s10, v16
	s_waitcnt lgkmcnt(0)
	s_nop 0
	v_addc_co_u32_e32 v21, vcc, 0, v17, vcc
	s_barrier
	flat_load_dword v11, v[16:17]
	flat_load_dword v13, v[16:17] offset:1024
	flat_load_dword v28, v[16:17] offset:2048
	;; [unrolled: 1-line block ×3, first 2 shown]
	flat_load_dword v32, v[20:21]
	flat_load_dword v33, v[20:21] offset:1024
	flat_load_dword v36, v[20:21] offset:2048
	;; [unrolled: 1-line block ×3, first 2 shown]
	v_add_co_u32_e32 v20, vcc, s9, v16
	s_nop 1
	v_addc_co_u32_e32 v21, vcc, 0, v17, vcc
	v_add_co_u32_e32 v24, vcc, s8, v16
	s_nop 1
	v_addc_co_u32_e32 v25, vcc, 0, v17, vcc
	flat_load_dword v40, v[20:21]
	flat_load_dword v41, v[20:21] offset:1024
	flat_load_dword v42, v[20:21] offset:2048
	;; [unrolled: 1-line block ×3, first 2 shown]
	flat_load_dword v44, v[24:25]
	flat_load_dword v45, v[24:25] offset:1024
	flat_load_dword v46, v[24:25] offset:2048
	flat_load_dword v47, v[24:25] offset:3072
	v_add_co_u32_e32 v20, vcc, s5, v16
	s_mov_b32 s5, 1
	s_nop 0
	v_addc_co_u32_e32 v21, vcc, 0, v17, vcc
	v_add_co_u32_e32 v16, vcc, s3, v16
	s_nop 1
	v_addc_co_u32_e32 v17, vcc, 0, v17, vcc
	flat_load_dword v24, v[20:21]
	flat_load_dword v25, v[20:21] offset:1024
	flat_load_dword v48, v[20:21] offset:2048
	;; [unrolled: 1-line block ×3, first 2 shown]
	flat_load_dword v50, v[16:17]
	flat_load_dword v51, v[16:17] offset:1024
	flat_load_dword v52, v[16:17] offset:2048
	v_cmp_eq_u32_e32 vcc, v10, v14
	s_waitcnt vmcnt(0) lgkmcnt(0)
	ds_write2st64_b32 v54, v11, v13 offset1:4
	ds_write2st64_b32 v54, v28, v29 offset0:8 offset1:12
	ds_write2st64_b32 v54, v32, v33 offset0:16 offset1:20
	;; [unrolled: 1-line block ×10, first 2 shown]
	ds_write_b32 v54, v52 offset:22528
	s_waitcnt lgkmcnt(0)
	s_barrier
	ds_read2_b32 v[16:17], v12 offset0:1 offset1:2
	ds_read2_b32 v[20:21], v12 offset0:3 offset1:4
	;; [unrolled: 1-line block ×11, first 2 shown]
	v_mov_b64_e32 v[10:11], s[4:5]
	v_mov_b32_e32 v13, s76
	s_and_saveexec_b64 s[4:5], vcc
	s_cbranch_execz .LBB1772_147
; %bb.146:
	ds_read_b32 v13, v12
	v_mov_b64_e32 v[10:11], 0
.LBB1772_147:
	s_or_b64 exec, exec, s[4:5]
	v_mov_b32_e32 v55, s76
	v_cmp_eq_u32_e32 vcc, v14, v15
	s_waitcnt lgkmcnt(0)
	v_or_b32_e32 v10, v10, v13
	v_cmp_ne_u32_e64 s[8:9], v3, v1
	v_cndmask_b32_e32 v12, v55, v16, vcc
	v_cmp_ne_u32_e32 vcc, v14, v15
	s_mov_b64 s[10:11], -1
                                        ; implicit-def: $sgpr6_sgpr7
	s_nop 0
	v_cndmask_b32_e64 v13, 0, 1, vcc
	v_cmp_eq_u32_e32 vcc, v15, v18
	s_nop 1
	v_cndmask_b32_e32 v14, v55, v17, vcc
	v_cmp_ne_u32_e32 vcc, v15, v18
	s_nop 1
	v_cndmask_b32_e64 v15, 0, 1, vcc
	v_cmp_eq_u32_e32 vcc, v18, v19
	s_nop 1
	v_cndmask_b32_e32 v16, v55, v20, vcc
	v_cmp_ne_u32_e32 vcc, v18, v19
	s_nop 1
	v_cndmask_b32_e64 v17, 0, 1, vcc
	v_cmp_eq_u32_e32 vcc, v19, v22
	s_nop 1
	v_cndmask_b32_e32 v18, v55, v21, vcc
	v_cmp_ne_u32_e32 vcc, v19, v22
	s_nop 1
	v_cndmask_b32_e64 v19, 0, 1, vcc
	v_cmp_eq_u32_e32 vcc, v22, v23
	s_nop 1
	v_cndmask_b32_e32 v20, v55, v24, vcc
	v_cmp_ne_u32_e32 vcc, v22, v23
	s_nop 1
	v_cndmask_b32_e64 v21, 0, 1, vcc
	v_cmp_eq_u32_e32 vcc, v23, v26
	s_nop 1
	v_cndmask_b32_e32 v22, v55, v25, vcc
	v_cmp_ne_u32_e32 vcc, v23, v26
	s_nop 1
	v_cndmask_b32_e64 v23, 0, 1, vcc
	v_cmp_eq_u32_e32 vcc, v26, v27
	s_nop 1
	v_cndmask_b32_e32 v24, v55, v28, vcc
	v_cmp_ne_u32_e32 vcc, v26, v27
	s_nop 1
	v_cndmask_b32_e64 v25, 0, 1, vcc
	v_cmp_eq_u32_e32 vcc, v27, v30
	s_nop 1
	v_cndmask_b32_e32 v26, v55, v29, vcc
	v_cmp_ne_u32_e32 vcc, v27, v30
	s_nop 1
	v_cndmask_b32_e64 v27, 0, 1, vcc
	v_cmp_eq_u32_e32 vcc, v30, v31
	s_nop 1
	v_cndmask_b32_e32 v28, v55, v32, vcc
	v_cmp_ne_u32_e32 vcc, v30, v31
	s_nop 1
	v_cndmask_b32_e64 v29, 0, 1, vcc
	v_cmp_eq_u32_e32 vcc, v31, v34
	s_nop 1
	v_cndmask_b32_e32 v30, v55, v33, vcc
	v_cmp_ne_u32_e32 vcc, v31, v34
	s_nop 1
	v_cndmask_b32_e64 v31, 0, 1, vcc
	v_cmp_eq_u32_e32 vcc, v34, v35
	s_nop 1
	v_cndmask_b32_e32 v32, v55, v36, vcc
	v_cmp_ne_u32_e32 vcc, v34, v35
	s_nop 1
	v_cndmask_b32_e64 v33, 0, 1, vcc
	v_cmp_eq_u32_e32 vcc, v35, v38
	s_nop 1
	v_cndmask_b32_e32 v34, v55, v37, vcc
	v_cmp_ne_u32_e32 vcc, v35, v38
	s_nop 1
	v_cndmask_b32_e64 v35, 0, 1, vcc
	v_cmp_eq_u32_e32 vcc, v38, v39
	s_nop 1
	v_cndmask_b32_e32 v36, v55, v40, vcc
	v_cmp_ne_u32_e32 vcc, v38, v39
	s_nop 1
	v_cndmask_b32_e64 v37, 0, 1, vcc
	v_cmp_eq_u32_e32 vcc, v39, v8
	s_nop 1
	v_cndmask_b32_e32 v38, v55, v41, vcc
	v_cmp_ne_u32_e32 vcc, v39, v8
	s_nop 1
	v_cndmask_b32_e64 v39, 0, 1, vcc
	v_cmp_eq_u32_e32 vcc, v8, v9
	s_nop 1
	v_cndmask_b32_e32 v40, v55, v42, vcc
	v_cmp_ne_u32_e32 vcc, v8, v9
	s_nop 1
	v_cndmask_b32_e64 v41, 0, 1, vcc
	v_cmp_eq_u32_e32 vcc, v9, v6
	s_nop 1
	v_cndmask_b32_e32 v42, v55, v43, vcc
	v_cmp_ne_u32_e32 vcc, v9, v6
	s_nop 1
	v_cndmask_b32_e64 v43, 0, 1, vcc
	v_cmp_eq_u32_e32 vcc, v6, v7
	s_nop 1
	v_cndmask_b32_e32 v44, v55, v46, vcc
	v_cmp_ne_u32_e32 vcc, v6, v7
	s_nop 1
	v_cndmask_b32_e64 v45, 0, 1, vcc
	v_cmp_eq_u32_e32 vcc, v7, v4
	s_nop 1
	v_cndmask_b32_e32 v46, v55, v47, vcc
	v_cmp_ne_u32_e32 vcc, v7, v4
	s_nop 1
	v_cndmask_b32_e64 v47, 0, 1, vcc
	v_cmp_eq_u32_e32 vcc, v4, v5
	s_nop 1
	v_cndmask_b32_e32 v48, v55, v50, vcc
	v_cmp_ne_u32_e32 vcc, v4, v5
	s_nop 1
	v_cndmask_b32_e64 v49, 0, 1, vcc
	v_cmp_eq_u32_e32 vcc, v5, v2
	s_nop 1
	v_cndmask_b32_e32 v50, v55, v51, vcc
	v_cmp_ne_u32_e32 vcc, v5, v2
	s_nop 1
	v_cndmask_b32_e64 v51, 0, 1, vcc
	v_cmp_eq_u32_e32 vcc, v2, v3
	s_nop 1
	v_cndmask_b32_e32 v52, v55, v56, vcc
	v_cmp_ne_u32_e32 vcc, v2, v3
	v_cndmask_b32_e64 v2, v57, v55, s[8:9]
	s_nop 0
	v_cndmask_b32_e64 v53, 0, 1, vcc
.LBB1772_148:
	v_mov_b64_e32 v[56:57], s[6:7]
	s_and_saveexec_b64 s[4:5], s[10:11]
; %bb.149:
	v_cndmask_b32_e64 v3, 0, 1, s[8:9]
	v_mov_b64_e32 v[56:57], v[2:3]
; %bb.150:
	s_or_b64 exec, exec, s[4:5]
	s_mov_b32 s46, 0
	s_cmp_lg_u32 s2, 0
	v_or_b32_e32 v55, v57, v53
	v_lshrrev_b32_e32 v1, 5, v0
	v_cmp_gt_u32_e32 vcc, 64, v0
	s_barrier
	s_cbranch_scc0 .LBB1772_189
; %bb.151:
	s_mov_b32 s47, 1
	v_cmp_gt_u64_e64 s[50:51], s[46:47], v[12:13]
	v_cmp_gt_u64_e64 s[4:5], s[46:47], v[14:15]
	v_cmp_gt_u64_e64 s[6:7], s[46:47], v[16:17]
	v_cndmask_b32_e64 v2, 0, v10, s[50:51]
	v_add_u32_e32 v2, v2, v12
	v_cndmask_b32_e64 v2, 0, v2, s[4:5]
	v_add_u32_e32 v2, v2, v14
	v_cndmask_b32_e64 v2, 0, v2, s[6:7]
	v_add_u32_e32 v2, v2, v16
	v_cmp_gt_u64_e64 s[8:9], s[46:47], v[18:19]
	v_cmp_gt_u64_e64 s[10:11], s[46:47], v[20:21]
	v_cmp_gt_u64_e64 s[12:13], s[46:47], v[22:23]
	v_cndmask_b32_e64 v2, 0, v2, s[8:9]
	v_add_u32_e32 v2, v2, v18
	v_cndmask_b32_e64 v2, 0, v2, s[10:11]
	v_add_u32_e32 v2, v2, v20
	v_cndmask_b32_e64 v2, 0, v2, s[12:13]
	v_add_u32_e32 v2, v2, v22
	;; [unrolled: 9-line block ×7, first 2 shown]
	v_cmp_gt_u64_e64 s[46:47], s[46:47], v[56:57]
	s_nop 1
	v_cndmask_b32_e64 v2, 0, v2, s[46:47]
	v_add_u32_e32 v62, v2, v56
	v_or3_b32 v2, v55, v51, v49
	v_or3_b32 v2, v2, v47, v45
	;; [unrolled: 1-line block ×10, first 2 shown]
	v_and_b32_e32 v2, 1, v2
	v_cmp_eq_u32_e64 s[46:47], 1, v2
	v_add_lshl_u32 v2, v1, v0, 3
	s_nop 0
	v_cndmask_b32_e64 v63, v11, 1, s[46:47]
	ds_write_b32 v2, v62
	ds_write_b8 v2, v63 offset:4
	s_waitcnt lgkmcnt(0)
	s_barrier
	s_and_saveexec_b64 s[48:49], vcc
	s_cbranch_execz .LBB1772_163
; %bb.152:
	v_lshrrev_b32_e32 v2, 3, v0
	v_add_lshl_u32 v4, v2, v54, 3
	ds_read2_b32 v[6:7], v4 offset0:2 offset1:4
	ds_read_b64 v[2:3], v4
	ds_read_u8 v8, v4 offset:12
	ds_read_u8 v9, v4 offset:20
	ds_read_b32 v58, v4 offset:24
	ds_read_u8 v59, v4 offset:28
	v_mov_b32_e32 v60, 0
	s_waitcnt lgkmcnt(3)
	v_cmp_eq_u16_sdwa s[46:47], v8, v60 src0_sel:BYTE_0 src1_sel:DWORD
	v_and_b32_e32 v5, 1, v3
	s_nop 0
	v_cndmask_b32_e64 v61, 0, v2, s[46:47]
	v_add_u32_e32 v6, v61, v6
	s_waitcnt lgkmcnt(2)
	v_cmp_eq_u16_sdwa s[46:47], v9, v60 src0_sel:BYTE_0 src1_sel:DWORD
	s_nop 1
	v_cndmask_b32_e64 v6, 0, v6, s[46:47]
	v_add_u32_e32 v6, v6, v7
	s_waitcnt lgkmcnt(0)
	v_cmp_eq_u16_e64 s[46:47], 0, v59
	s_nop 1
	v_cndmask_b32_e64 v6, 0, v6, s[46:47]
	v_add_u32_e32 v7, v6, v58
	v_or_b32_e32 v6, v59, v9
	v_or_b32_e32 v6, v6, v8
	v_and_b32_e32 v6, 1, v6
	v_cmp_eq_u32_e64 s[46:47], 1, v6
	v_mbcnt_lo_u32_b32 v8, -1, 0
	v_and_b32_e32 v6, 0xffffff00, v3
	v_cndmask_b32_e64 v9, v5, 1, s[46:47]
	v_mbcnt_hi_u32_b32 v8, -1, v8
	v_and_b32_e32 v59, 15, v8
	v_or_b32_sdwa v58, v6, v9 dst_sel:DWORD dst_unused:UNUSED_PAD src0_sel:DWORD src1_sel:WORD_0
	v_mov_b32_dpp v60, v7 row_shr:1 row_mask:0xf bank_mask:0xf
	v_cmp_ne_u32_e64 s[46:47], 0, v59
	v_mov_b32_dpp v61, v58 row_shr:1 row_mask:0xf bank_mask:0xf
	s_and_saveexec_b64 s[52:53], s[46:47]
; %bb.153:
	v_and_b32_e32 v58, 1, v9
	v_and_b32_e32 v61, 1, v61
	v_cmp_eq_u32_e64 s[46:47], 1, v58
	s_nop 1
	v_cndmask_b32_e64 v61, v61, 1, s[46:47]
	v_cmp_eq_u16_e64 s[46:47], 0, v9
	v_or_b32_sdwa v58, v6, v61 dst_sel:DWORD dst_unused:UNUSED_PAD src0_sel:DWORD src1_sel:WORD_0
	s_nop 0
	v_cndmask_b32_e64 v9, 0, v60, s[46:47]
	v_add_u32_e32 v7, v9, v7
	v_mov_b32_e32 v9, v61
; %bb.154:
	s_or_b64 exec, exec, s[52:53]
	v_mov_b32_dpp v60, v7 row_shr:2 row_mask:0xf bank_mask:0xf
	v_mov_b32_dpp v61, v58 row_shr:2 row_mask:0xf bank_mask:0xf
	v_cmp_lt_u32_e64 s[46:47], 1, v59
	s_and_saveexec_b64 s[52:53], s[46:47]
; %bb.155:
	v_and_b32_e32 v58, 1, v9
	v_and_b32_e32 v61, 1, v61
	v_cmp_eq_u32_e64 s[46:47], 1, v58
	s_nop 1
	v_cndmask_b32_e64 v61, v61, 1, s[46:47]
	v_cmp_eq_u16_e64 s[46:47], 0, v9
	v_or_b32_sdwa v58, v6, v61 dst_sel:DWORD dst_unused:UNUSED_PAD src0_sel:DWORD src1_sel:WORD_0
	s_nop 0
	v_cndmask_b32_e64 v9, 0, v60, s[46:47]
	v_add_u32_e32 v7, v9, v7
	v_mov_b32_e32 v9, v61
; %bb.156:
	s_or_b64 exec, exec, s[52:53]
	v_mov_b32_dpp v60, v7 row_shr:4 row_mask:0xf bank_mask:0xf
	v_mov_b32_dpp v61, v58 row_shr:4 row_mask:0xf bank_mask:0xf
	v_cmp_lt_u32_e64 s[46:47], 3, v59
	;; [unrolled: 18-line block ×3, first 2 shown]
	s_and_saveexec_b64 s[52:53], s[46:47]
; %bb.159:
	v_and_b32_e32 v58, 1, v9
	v_and_b32_e32 v59, 1, v61
	v_cmp_eq_u32_e64 s[46:47], 1, v58
	s_nop 1
	v_cndmask_b32_e64 v59, v59, 1, s[46:47]
	v_cmp_eq_u16_e64 s[46:47], 0, v9
	v_or_b32_sdwa v58, v6, v59 dst_sel:DWORD dst_unused:UNUSED_PAD src0_sel:DWORD src1_sel:WORD_0
	s_nop 0
	v_cndmask_b32_e64 v9, 0, v60, s[46:47]
	v_add_u32_e32 v7, v9, v7
	v_mov_b32_e32 v9, v59
; %bb.160:
	s_or_b64 exec, exec, s[52:53]
	v_and_b32_e32 v61, 16, v8
	v_mov_b32_dpp v59, v7 row_bcast:15 row_mask:0xf bank_mask:0xf
	v_mov_b32_dpp v60, v58 row_bcast:15 row_mask:0xf bank_mask:0xf
	v_cmp_ne_u32_e64 s[46:47], 0, v61
	s_and_saveexec_b64 s[52:53], s[46:47]
; %bb.161:
	v_and_b32_e32 v58, 1, v9
	v_and_b32_e32 v60, 1, v60
	v_cmp_eq_u32_e64 s[46:47], 1, v58
	s_nop 1
	v_cndmask_b32_e64 v60, v60, 1, s[46:47]
	v_cmp_eq_u16_e64 s[46:47], 0, v9
	v_or_b32_sdwa v58, v6, v60 dst_sel:DWORD dst_unused:UNUSED_PAD src0_sel:DWORD src1_sel:WORD_0
	s_nop 0
	v_cndmask_b32_e64 v9, 0, v59, s[46:47]
	v_add_u32_e32 v7, v9, v7
	v_mov_b32_e32 v9, v60
; %bb.162:
	s_or_b64 exec, exec, s[52:53]
	v_mov_b32_dpp v58, v58 row_bcast:31 row_mask:0xf bank_mask:0xf
	v_and_b32_e32 v60, 1, v9
	v_and_b32_e32 v58, 1, v58
	v_cmp_eq_u32_e64 s[46:47], 1, v60
	v_mov_b32_e32 v60, 0
	v_cmp_eq_u16_sdwa s[52:53], v9, v60 src0_sel:BYTE_0 src1_sel:DWORD
	v_cndmask_b32_e64 v58, v58, 1, s[46:47]
	v_cmp_lt_u32_e64 s[46:47], 31, v8
	v_mov_b32_dpp v59, v7 row_bcast:31 row_mask:0xf bank_mask:0xf
	s_movk_i32 s3, 0xff
	v_cndmask_b32_e64 v9, v9, v58, s[46:47]
	s_and_b64 s[46:47], s[46:47], s[52:53]
	v_cndmask_b32_e64 v58, 0, v59, s[46:47]
	v_add_u32_e32 v7, v58, v7
	v_add_u32_e32 v58, -1, v8
	v_and_b32_e32 v59, 64, v8
	v_cmp_lt_i32_e64 s[46:47], v58, v59
	v_and_or_b32 v6, v9, s3, v6
	s_nop 0
	v_cndmask_b32_e64 v8, v58, v8, s[46:47]
	v_lshlrev_b32_e32 v8, 2, v8
	ds_bpermute_b32 v7, v8, v7
	ds_bpermute_b32 v6, v8, v6
	v_cmp_eq_u16_sdwa s[46:47], v3, v60 src0_sel:BYTE_0 src1_sel:DWORD
	; wave barrier
	s_waitcnt lgkmcnt(1)
	s_nop 0
	v_cndmask_b32_e64 v3, 0, v7, s[46:47]
	v_add_u32_e32 v2, v3, v2
	s_waitcnt lgkmcnt(0)
	v_and_b32_e32 v3, 1, v6
	v_cmp_eq_u32_e64 s[46:47], 1, v5
	s_nop 1
	v_cndmask_b32_e64 v3, v3, 1, s[46:47]
	v_cmp_eq_u32_e64 s[46:47], 0, v0
	s_nop 1
	v_cndmask_b32_e64 v5, v2, v62, s[46:47]
	v_cndmask_b32_e64 v6, v3, v63, s[46:47]
	ds_write_b32 v4, v5
	ds_write_b8 v4, v6 offset:4
	; wave barrier
	ds_read_u8 v7, v4 offset:12
	ds_read2_b32 v[2:3], v4 offset0:2 offset1:4
	ds_read_u8 v8, v4 offset:20
	ds_read_b32 v9, v4 offset:24
	ds_read_u8 v58, v4 offset:28
	s_waitcnt lgkmcnt(4)
	v_cmp_eq_u16_e64 s[46:47], 0, v7
	s_nop 1
	v_cndmask_b32_e64 v5, 0, v5, s[46:47]
	s_waitcnt lgkmcnt(3)
	v_add_u32_e32 v2, v5, v2
	v_and_b32_e32 v5, 1, v7
	v_cmp_eq_u32_e64 s[46:47], 1, v5
	s_nop 1
	v_cndmask_b32_e64 v5, v6, 1, s[46:47]
	s_waitcnt lgkmcnt(2)
	v_cmp_eq_u16_e64 s[46:47], 0, v8
	ds_write_b8 v4, v5 offset:12
	s_nop 0
	v_cndmask_b32_e64 v6, 0, v2, s[46:47]
	v_add_u32_e32 v3, v6, v3
	v_and_b32_e32 v6, 1, v8
	v_cmp_eq_u32_e64 s[46:47], 1, v6
	s_nop 1
	v_cndmask_b32_e64 v5, v5, 1, s[46:47]
	s_waitcnt lgkmcnt(1)
	v_cmp_eq_u16_e64 s[46:47], 0, v58
	ds_write2_b32 v4, v2, v3 offset0:2 offset1:4
	ds_write_b8 v4, v5 offset:20
	v_cndmask_b32_e64 v2, 0, v3, s[46:47]
	v_and_b32_e32 v3, 1, v58
	v_add_u32_e32 v2, v2, v9
	v_cmp_eq_u32_e64 s[46:47], 1, v3
	s_nop 1
	v_cndmask_b32_e64 v3, v5, 1, s[46:47]
	ds_write_b32 v4, v2 offset:24
	ds_write_b8 v4, v3 offset:28
.LBB1772_163:
	s_or_b64 exec, exec, s[48:49]
	v_cmp_eq_u32_e64 s[46:47], 0, v0
	v_cmp_ne_u32_e64 s[48:49], 0, v0
	s_waitcnt lgkmcnt(0)
	s_barrier
	s_and_saveexec_b64 s[52:53], s[48:49]
	s_cbranch_execz .LBB1772_165
; %bb.164:
	v_add_u32_e32 v2, -1, v0
	v_lshrrev_b32_e32 v3, 5, v2
	v_add_lshl_u32 v2, v3, v2, 3
	ds_read_b32 v62, v2
	ds_read_u8 v63, v2 offset:4
.LBB1772_165:
	s_or_b64 exec, exec, s[52:53]
	s_and_saveexec_b64 s[60:61], vcc
	s_cbranch_execz .LBB1772_188
; %bb.166:
	v_mov_b32_e32 v5, 0
	ds_read_b64 v[2:3], v5 offset:2096
	v_mbcnt_lo_u32_b32 v4, -1, 0
	v_mbcnt_hi_u32_b32 v73, -1, v4
	s_mov_b32 s71, 0
	v_cmp_eq_u32_e64 s[48:49], 0, v73
	s_waitcnt lgkmcnt(0)
	v_readfirstlane_b32 s3, v3
	s_and_saveexec_b64 s[52:53], s[48:49]
	s_cbranch_execz .LBB1772_168
; %bb.167:
	s_add_i32 s70, s2, 64
	s_lshl_b64 s[72:73], s[70:71], 4
	s_add_u32 s72, s56, s72
	s_addc_u32 s73, s57, s73
	s_and_b32 s75, s3, 0xff000000
	s_mov_b32 s74, s71
	s_and_b32 s79, s3, 0xff0000
	s_mov_b32 s78, s71
	s_or_b64 s[74:75], s[78:79], s[74:75]
	s_and_b32 s79, s3, 0xff00
	s_or_b64 s[74:75], s[74:75], s[78:79]
	s_and_b32 s79, s3, 0xff
	s_or_b64 s[70:71], s[74:75], s[78:79]
	v_mov_b32_e32 v3, s71
	v_mov_b32_e32 v4, 1
	v_mov_b64_e32 v[6:7], s[72:73]
	;;#ASMSTART
	global_store_dwordx4 v[6:7], v[2:5] off sc1	
s_waitcnt vmcnt(0)
	;;#ASMEND
.LBB1772_168:
	s_or_b64 exec, exec, s[52:53]
	v_xad_u32 v58, v73, -1, s2
	v_add_u32_e32 v4, 64, v58
	v_lshl_add_u64 v[60:61], v[4:5], 4, s[56:57]
	;;#ASMSTART
	global_load_dwordx4 v[6:9], v[60:61] off sc1	
s_waitcnt vmcnt(0)
	;;#ASMEND
	s_nop 0
	v_and_b32_e32 v3, 0xff0000, v6
	v_and_b32_e32 v4, 0xff000000, v6
	;; [unrolled: 1-line block ×3, first 2 shown]
	v_or_b32_sdwa v3, v6, v3 dst_sel:DWORD dst_unused:UNUSED_PAD src0_sel:WORD_0 src1_sel:DWORD
	v_or3_b32 v7, 0, 0, v7
	v_or3_b32 v6, v3, v4, 0
	v_cmp_eq_u16_sdwa s[70:71], v8, v5 src0_sel:BYTE_0 src1_sel:DWORD
	s_and_saveexec_b64 s[52:53], s[70:71]
	s_cbranch_execz .LBB1772_174
; %bb.169:
	s_mov_b32 s59, 1
	s_mov_b64 s[70:71], 0
	v_mov_b32_e32 v3, 0
.LBB1772_170:                           ; =>This Loop Header: Depth=1
                                        ;     Child Loop BB1772_171 Depth 2
	s_max_u32 s72, s59, 1
.LBB1772_171:                           ;   Parent Loop BB1772_170 Depth=1
                                        ; =>  This Inner Loop Header: Depth=2
	s_add_i32 s72, s72, -1
	s_cmp_eq_u32 s72, 0
	s_sleep 1
	s_cbranch_scc0 .LBB1772_171
; %bb.172:                              ;   in Loop: Header=BB1772_170 Depth=1
	s_cmp_lt_u32 s59, 32
	s_cselect_b64 s[72:73], -1, 0
	s_cmp_lg_u64 s[72:73], 0
	s_addc_u32 s59, s59, 0
	;;#ASMSTART
	global_load_dwordx4 v[6:9], v[60:61] off sc1	
s_waitcnt vmcnt(0)
	;;#ASMEND
	s_nop 0
	v_cmp_ne_u16_sdwa s[72:73], v8, v3 src0_sel:BYTE_0 src1_sel:DWORD
	s_or_b64 s[70:71], s[72:73], s[70:71]
	s_andn2_b64 exec, exec, s[70:71]
	s_cbranch_execnz .LBB1772_170
; %bb.173:
	s_or_b64 exec, exec, s[70:71]
	v_and_b32_e32 v7, 0xff, v7
.LBB1772_174:
	s_or_b64 exec, exec, s[52:53]
	v_mov_b32_e32 v3, 2
	v_cmp_eq_u16_sdwa s[52:53], v8, v3 src0_sel:BYTE_0 src1_sel:DWORD
	v_lshlrev_b64 v[4:5], v73, -1
	v_and_b32_e32 v64, 63, v73
	v_and_b32_e32 v9, s53, v5
	v_or_b32_e32 v9, 0x80000000, v9
	v_and_b32_e32 v59, s52, v4
	v_ffbl_b32_e32 v9, v9
	v_add_u32_e32 v9, 32, v9
	v_ffbl_b32_e32 v59, v59
	v_cmp_ne_u32_e32 vcc, 63, v64
	v_min_u32_e32 v9, v59, v9
	s_mov_b32 s70, 0
	v_addc_co_u32_e32 v59, vcc, 0, v73, vcc
	v_lshlrev_b32_e32 v65, 2, v59
	ds_bpermute_b32 v59, v65, v7
	ds_bpermute_b32 v60, v65, v6
	v_and_b32_e32 v61, 1, v7
	s_mov_b32 s71, 1
	v_cmp_eq_u32_e32 vcc, 1, v61
	s_waitcnt lgkmcnt(1)
	v_and_b32_e32 v59, 1, v59
	v_cmp_lt_u32_e64 s[52:53], v64, v9
	v_cndmask_b32_e64 v59, v59, 1, vcc
	v_cmp_gt_u64_e32 vcc, s[70:71], v[6:7]
	s_and_b64 vcc, s[52:53], vcc
	v_and_b32_e32 v61, 0xffff, v59
	v_cndmask_b32_e64 v68, v7, v59, s[52:53]
	s_waitcnt lgkmcnt(0)
	v_cndmask_b32_e32 v59, 0, v60, vcc
	v_cmp_gt_u32_e32 vcc, 62, v64
	v_cndmask_b32_e64 v7, v7, v61, s[52:53]
	v_add_u32_e32 v6, v59, v6
	v_cndmask_b32_e64 v60, 0, 1, vcc
	v_lshlrev_b32_e32 v60, 1, v60
	v_add_lshl_u32 v66, v60, v73, 2
	ds_bpermute_b32 v60, v66, v7
	ds_bpermute_b32 v61, v66, v6
	v_and_b32_e32 v59, 1, v68
	v_cmp_eq_u32_e32 vcc, 1, v59
	v_mov_b32_e32 v59, 0
	s_waitcnt lgkmcnt(1)
	v_and_b32_e32 v60, 1, v60
	v_add_u32_e32 v67, 2, v64
	v_cndmask_b32_e64 v60, v60, 1, vcc
	v_cmp_eq_u16_sdwa vcc, v68, v59 src0_sel:BYTE_0 src1_sel:DWORD
	v_and_b32_e32 v69, 0xffff, v60
	v_add_u32_e32 v77, 32, v64
	s_waitcnt lgkmcnt(0)
	v_cndmask_b32_e32 v61, 0, v61, vcc
	v_cmp_gt_u32_e32 vcc, v67, v9
	s_nop 1
	v_cndmask_b32_e32 v60, v60, v68, vcc
	v_cndmask_b32_e64 v61, v61, 0, vcc
	v_cndmask_b32_e32 v7, v69, v7, vcc
	v_cmp_gt_u32_e32 vcc, 60, v64
	v_add_u32_e32 v6, v61, v6
	v_and_b32_e32 v71, 1, v60
	v_cndmask_b32_e64 v68, 0, 1, vcc
	v_lshlrev_b32_e32 v68, 2, v68
	v_add_lshl_u32 v68, v68, v73, 2
	ds_bpermute_b32 v70, v68, v7
	ds_bpermute_b32 v61, v68, v6
	v_cmp_eq_u32_e32 vcc, 1, v71
	v_add_u32_e32 v69, 4, v64
	s_waitcnt lgkmcnt(1)
	v_and_b32_e32 v70, 1, v70
	v_cndmask_b32_e64 v70, v70, 1, vcc
	v_cmp_eq_u16_sdwa vcc, v60, v59 src0_sel:BYTE_0 src1_sel:DWORD
	v_and_b32_e32 v71, 0xffff, v70
	s_waitcnt lgkmcnt(0)
	v_cndmask_b32_e32 v61, 0, v61, vcc
	v_cmp_gt_u32_e32 vcc, v69, v9
	s_nop 1
	v_cndmask_b32_e32 v60, v70, v60, vcc
	v_cndmask_b32_e64 v61, v61, 0, vcc
	v_cndmask_b32_e32 v7, v71, v7, vcc
	v_cmp_gt_u32_e32 vcc, 56, v64
	v_add_u32_e32 v6, v61, v6
	v_and_b32_e32 v74, 1, v60
	v_cndmask_b32_e64 v70, 0, 1, vcc
	v_lshlrev_b32_e32 v70, 3, v70
	v_add_lshl_u32 v70, v70, v73, 2
	ds_bpermute_b32 v72, v70, v7
	ds_bpermute_b32 v61, v70, v6
	v_cmp_eq_u32_e32 vcc, 1, v74
	v_add_u32_e32 v71, 8, v64
	s_waitcnt lgkmcnt(1)
	v_and_b32_e32 v72, 1, v72
	v_cndmask_b32_e64 v72, v72, 1, vcc
	v_cmp_eq_u16_sdwa vcc, v60, v59 src0_sel:BYTE_0 src1_sel:DWORD
	v_and_b32_e32 v74, 0xffff, v72
	;; [unrolled: 22-line block ×3, first 2 shown]
	s_waitcnt lgkmcnt(0)
	v_cndmask_b32_e32 v61, 0, v61, vcc
	v_cmp_gt_u32_e32 vcc, v74, v9
	s_nop 1
	v_cndmask_b32_e32 v60, v75, v60, vcc
	v_cndmask_b32_e64 v61, v61, 0, vcc
	v_cndmask_b32_e32 v7, v76, v7, vcc
	v_cmp_gt_u32_e32 vcc, 32, v64
	v_add_u32_e32 v6, v61, v6
	s_nop 0
	v_cndmask_b32_e64 v75, 0, 1, vcc
	v_lshlrev_b32_e32 v75, 5, v75
	v_add_lshl_u32 v76, v75, v73, 2
	ds_bpermute_b32 v7, v76, v7
	ds_bpermute_b32 v61, v76, v6
	v_and_b32_e32 v73, 1, v60
	v_cmp_eq_u32_e32 vcc, 1, v73
	s_waitcnt lgkmcnt(1)
	v_and_b32_e32 v7, 1, v7
	v_cndmask_b32_e64 v7, v7, 1, vcc
	v_cmp_eq_u16_sdwa vcc, v60, v59 src0_sel:BYTE_0 src1_sel:DWORD
	s_waitcnt lgkmcnt(0)
	s_nop 0
	v_cndmask_b32_e32 v61, 0, v61, vcc
	v_cmp_gt_u32_e32 vcc, v77, v9
	s_nop 1
	v_cndmask_b32_e64 v9, v61, 0, vcc
	v_cndmask_b32_e32 v7, v7, v60, vcc
	v_add_u32_e32 v6, v9, v6
	s_branch .LBB1772_176
.LBB1772_175:                           ;   in Loop: Header=BB1772_176 Depth=1
	s_or_b64 exec, exec, s[52:53]
	v_cmp_eq_u16_sdwa s[52:53], v8, v3 src0_sel:BYTE_0 src1_sel:DWORD
	ds_bpermute_b32 v61, v65, v7
	v_and_b32_e32 v78, 1, v7
	v_and_b32_e32 v9, s53, v5
	v_or_b32_e32 v9, 0x80000000, v9
	v_and_b32_e32 v60, s52, v4
	v_ffbl_b32_e32 v9, v9
	v_add_u32_e32 v9, 32, v9
	v_ffbl_b32_e32 v60, v60
	v_min_u32_e32 v9, v60, v9
	ds_bpermute_b32 v60, v65, v6
	s_waitcnt lgkmcnt(1)
	v_and_b32_e32 v61, 1, v61
	v_cmp_eq_u32_e32 vcc, 1, v78
	v_cmp_lt_u32_e64 s[52:53], v64, v9
	v_subrev_u32_e32 v58, 64, v58
	v_cndmask_b32_e64 v61, v61, 1, vcc
	v_cmp_gt_u64_e32 vcc, s[70:71], v[6:7]
	v_and_b32_e32 v78, 0xffff, v61
	v_cndmask_b32_e64 v61, v7, v61, s[52:53]
	v_cndmask_b32_e64 v7, v7, v78, s[52:53]
	s_and_b64 vcc, s[52:53], vcc
	ds_bpermute_b32 v78, v66, v7
	s_waitcnt lgkmcnt(1)
	v_cndmask_b32_e32 v60, 0, v60, vcc
	v_add_u32_e32 v6, v60, v6
	ds_bpermute_b32 v60, v66, v6
	v_and_b32_e32 v79, 1, v61
	s_waitcnt lgkmcnt(1)
	v_and_b32_e32 v78, 1, v78
	v_cmp_eq_u32_e32 vcc, 1, v79
	s_nop 1
	v_cndmask_b32_e64 v78, v78, 1, vcc
	v_cmp_eq_u16_sdwa vcc, v61, v59 src0_sel:BYTE_0 src1_sel:DWORD
	v_and_b32_e32 v79, 0xffff, v78
	s_waitcnt lgkmcnt(0)
	v_cndmask_b32_e32 v60, 0, v60, vcc
	v_cmp_gt_u32_e32 vcc, v67, v9
	s_nop 1
	v_cndmask_b32_e32 v7, v79, v7, vcc
	v_cndmask_b32_e32 v61, v78, v61, vcc
	ds_bpermute_b32 v78, v68, v7
	v_cndmask_b32_e64 v60, v60, 0, vcc
	v_add_u32_e32 v6, v60, v6
	ds_bpermute_b32 v60, v68, v6
	v_and_b32_e32 v79, 1, v61
	s_waitcnt lgkmcnt(1)
	v_and_b32_e32 v78, 1, v78
	v_cmp_eq_u32_e32 vcc, 1, v79
	s_nop 1
	v_cndmask_b32_e64 v78, v78, 1, vcc
	v_cmp_eq_u16_sdwa vcc, v61, v59 src0_sel:BYTE_0 src1_sel:DWORD
	v_and_b32_e32 v79, 0xffff, v78
	s_waitcnt lgkmcnt(0)
	v_cndmask_b32_e32 v60, 0, v60, vcc
	v_cmp_gt_u32_e32 vcc, v69, v9
	s_nop 1
	v_cndmask_b32_e32 v7, v79, v7, vcc
	v_cndmask_b32_e32 v61, v78, v61, vcc
	ds_bpermute_b32 v78, v70, v7
	v_cndmask_b32_e64 v60, v60, 0, vcc
	v_add_u32_e32 v6, v60, v6
	ds_bpermute_b32 v60, v70, v6
	v_and_b32_e32 v79, 1, v61
	s_waitcnt lgkmcnt(1)
	v_and_b32_e32 v78, 1, v78
	v_cmp_eq_u32_e32 vcc, 1, v79
	s_nop 1
	v_cndmask_b32_e64 v78, v78, 1, vcc
	v_cmp_eq_u16_sdwa vcc, v61, v59 src0_sel:BYTE_0 src1_sel:DWORD
	v_and_b32_e32 v79, 0xffff, v78
	s_waitcnt lgkmcnt(0)
	v_cndmask_b32_e32 v60, 0, v60, vcc
	v_cmp_gt_u32_e32 vcc, v71, v9
	s_nop 1
	v_cndmask_b32_e32 v7, v79, v7, vcc
	v_cndmask_b32_e32 v61, v78, v61, vcc
	ds_bpermute_b32 v78, v72, v7
	v_cndmask_b32_e64 v60, v60, 0, vcc
	v_add_u32_e32 v6, v60, v6
	ds_bpermute_b32 v60, v72, v6
	v_and_b32_e32 v79, 1, v61
	s_waitcnt lgkmcnt(1)
	v_and_b32_e32 v78, 1, v78
	v_cmp_eq_u32_e32 vcc, 1, v79
	s_nop 1
	v_cndmask_b32_e64 v78, v78, 1, vcc
	v_cmp_eq_u16_sdwa vcc, v61, v59 src0_sel:BYTE_0 src1_sel:DWORD
	v_and_b32_e32 v79, 0xffff, v78
	s_waitcnt lgkmcnt(0)
	v_cndmask_b32_e32 v60, 0, v60, vcc
	v_cmp_gt_u32_e32 vcc, v74, v9
	s_nop 1
	v_cndmask_b32_e64 v60, v60, 0, vcc
	v_cndmask_b32_e32 v7, v79, v7, vcc
	ds_bpermute_b32 v7, v76, v7
	v_add_u32_e32 v6, v60, v6
	ds_bpermute_b32 v60, v76, v6
	v_cndmask_b32_e32 v61, v78, v61, vcc
	v_and_b32_e32 v78, 1, v61
	v_cmp_eq_u32_e32 vcc, 1, v78
	s_waitcnt lgkmcnt(1)
	s_nop 0
	v_cndmask_b32_e64 v7, v7, 1, vcc
	v_cmp_eq_u16_sdwa vcc, v61, v59 src0_sel:BYTE_0 src1_sel:DWORD
	s_waitcnt lgkmcnt(0)
	s_nop 0
	v_cndmask_b32_e32 v60, 0, v60, vcc
	v_cmp_gt_u32_e32 vcc, v77, v9
	s_nop 1
	v_cndmask_b32_e64 v9, v60, 0, vcc
	v_cndmask_b32_e32 v7, v7, v61, vcc
	v_add_u32_e32 v6, v9, v6
	v_cmp_eq_u16_sdwa vcc, v73, v59 src0_sel:BYTE_0 src1_sel:DWORD
	v_and_b32_e32 v9, 1, v73
	v_and_b32_e32 v7, 1, v7
	v_cndmask_b32_e32 v6, 0, v6, vcc
	v_cmp_eq_u32_e32 vcc, 1, v9
	v_add_u32_e32 v6, v6, v75
	s_nop 0
	v_cndmask_b32_e64 v7, v7, 1, vcc
.LBB1772_176:                           ; =>This Loop Header: Depth=1
                                        ;     Child Loop BB1772_179 Depth 2
                                        ;       Child Loop BB1772_180 Depth 3
	v_cmp_ne_u16_sdwa s[52:53], v8, v3 src0_sel:BYTE_0 src1_sel:DWORD
	v_mov_b32_e32 v73, v7
	v_mov_b32_e32 v75, v6
	v_cndmask_b32_e64 v7, 0, 1, s[52:53]
	;;#ASMSTART
	;;#ASMEND
	s_nop 0
	v_cmp_ne_u32_e32 vcc, 0, v7
	s_cmp_lg_u64 vcc, exec
	s_cbranch_scc1 .LBB1772_183
; %bb.177:                              ;   in Loop: Header=BB1772_176 Depth=1
	v_lshl_add_u64 v[60:61], v[58:59], 4, s[56:57]
	;;#ASMSTART
	global_load_dwordx4 v[6:9], v[60:61] off sc1	
s_waitcnt vmcnt(0)
	;;#ASMEND
	s_nop 0
	v_and_b32_e32 v9, 0xff0000, v6
	v_and_b32_e32 v78, 0xff000000, v6
	v_and_b32_e32 v7, 0xff, v7
	v_or_b32_sdwa v6, v6, v9 dst_sel:DWORD dst_unused:UNUSED_PAD src0_sel:WORD_0 src1_sel:DWORD
	v_or3_b32 v7, 0, 0, v7
	v_or3_b32 v6, v6, v78, 0
	v_cmp_eq_u16_sdwa s[72:73], v8, v59 src0_sel:BYTE_0 src1_sel:DWORD
	s_and_saveexec_b64 s[52:53], s[72:73]
	s_cbranch_execz .LBB1772_175
; %bb.178:                              ;   in Loop: Header=BB1772_176 Depth=1
	s_mov_b32 s59, 1
	s_mov_b64 s[72:73], 0
.LBB1772_179:                           ;   Parent Loop BB1772_176 Depth=1
                                        ; =>  This Loop Header: Depth=2
                                        ;       Child Loop BB1772_180 Depth 3
	s_max_u32 s74, s59, 1
.LBB1772_180:                           ;   Parent Loop BB1772_176 Depth=1
                                        ;     Parent Loop BB1772_179 Depth=2
                                        ; =>    This Inner Loop Header: Depth=3
	s_add_i32 s74, s74, -1
	s_cmp_eq_u32 s74, 0
	s_sleep 1
	s_cbranch_scc0 .LBB1772_180
; %bb.181:                              ;   in Loop: Header=BB1772_179 Depth=2
	s_cmp_lt_u32 s59, 32
	s_cselect_b64 s[74:75], -1, 0
	s_cmp_lg_u64 s[74:75], 0
	s_addc_u32 s59, s59, 0
	;;#ASMSTART
	global_load_dwordx4 v[6:9], v[60:61] off sc1	
s_waitcnt vmcnt(0)
	;;#ASMEND
	s_nop 0
	v_cmp_ne_u16_sdwa s[74:75], v8, v59 src0_sel:BYTE_0 src1_sel:DWORD
	s_or_b64 s[72:73], s[74:75], s[72:73]
	s_andn2_b64 exec, exec, s[72:73]
	s_cbranch_execnz .LBB1772_179
; %bb.182:                              ;   in Loop: Header=BB1772_176 Depth=1
	s_or_b64 exec, exec, s[72:73]
	v_and_b32_e32 v7, 0xff, v7
	s_branch .LBB1772_175
.LBB1772_183:                           ;   in Loop: Header=BB1772_176 Depth=1
                                        ; implicit-def: $vgpr7
                                        ; implicit-def: $vgpr6
                                        ; implicit-def: $vgpr8
	s_cbranch_execz .LBB1772_176
; %bb.184:
	s_and_saveexec_b64 s[52:53], s[48:49]
	s_cbranch_execz .LBB1772_186
; %bb.185:
	s_and_b32 s48, s3, 0xff
	s_cmp_eq_u32 s48, 0
	s_cselect_b64 vcc, -1, 0
	s_bitcmp1_b32 s3, 0
	s_mov_b32 s49, 0
	s_cselect_b64 s[70:71], -1, 0
	s_add_i32 s48, s2, 64
	s_lshl_b64 s[2:3], s[48:49], 4
	v_cndmask_b32_e32 v3, 0, v75, vcc
	s_add_u32 s2, s56, s2
	v_add_u32_e32 v2, v3, v2
	v_and_b32_e32 v3, 1, v73
	s_addc_u32 s3, s57, s3
	v_mov_b32_e32 v5, 0
	v_cndmask_b32_e64 v3, v3, 1, s[70:71]
	v_mov_b32_e32 v4, 2
	v_mov_b64_e32 v[6:7], s[2:3]
	;;#ASMSTART
	global_store_dwordx4 v[6:7], v[2:5] off sc1	
s_waitcnt vmcnt(0)
	;;#ASMEND
.LBB1772_186:
	s_or_b64 exec, exec, s[52:53]
	s_and_b64 exec, exec, s[46:47]
	s_cbranch_execz .LBB1772_188
; %bb.187:
	v_mov_b32_e32 v2, 0
	ds_write_b32 v2, v75
	ds_write_b8 v2, v73 offset:4
.LBB1772_188:
	s_or_b64 exec, exec, s[60:61]
	v_mov_b32_e32 v2, 0
	s_waitcnt lgkmcnt(0)
	s_barrier
	ds_read_b32 v3, v2
	v_cmp_eq_u16_sdwa vcc, v63, v2 src0_sel:BYTE_0 src1_sel:DWORD
	s_waitcnt lgkmcnt(0)
	s_nop 0
	v_cndmask_b32_e32 v4, 0, v3, vcc
	v_add_u32_e32 v4, v4, v62
	v_cndmask_b32_e64 v58, v4, v3, s[46:47]
	v_and_b32_e32 v3, 0xff, v11
	v_cmp_eq_u64_e32 vcc, 0, v[2:3]
	s_nop 1
	v_cndmask_b32_e32 v2, 0, v58, vcc
	v_add_u32_e32 v59, v2, v10
	v_cndmask_b32_e64 v2, 0, v59, s[50:51]
	v_add_u32_e32 v60, v2, v12
	v_cndmask_b32_e64 v2, 0, v60, s[4:5]
	v_add_u32_e32 v61, v2, v14
	v_cndmask_b32_e64 v2, 0, v61, s[6:7]
	v_add_u32_e32 v62, v2, v16
	v_cndmask_b32_e64 v2, 0, v62, s[8:9]
	v_add_u32_e32 v63, v2, v18
	v_cndmask_b32_e64 v2, 0, v63, s[10:11]
	v_add_u32_e32 v64, v2, v20
	v_cndmask_b32_e64 v2, 0, v64, s[12:13]
	v_add_u32_e32 v65, v2, v22
	v_cndmask_b32_e64 v2, 0, v65, s[14:15]
	v_add_u32_e32 v66, v2, v24
	v_cndmask_b32_e64 v2, 0, v66, s[16:17]
	v_add_u32_e32 v67, v2, v26
	v_cndmask_b32_e64 v2, 0, v67, s[18:19]
	v_add_u32_e32 v68, v2, v28
	v_cndmask_b32_e64 v2, 0, v68, s[20:21]
	v_add_u32_e32 v69, v2, v30
	v_cndmask_b32_e64 v2, 0, v69, s[22:23]
	v_add_u32_e32 v70, v2, v32
	v_cndmask_b32_e64 v2, 0, v70, s[24:25]
	v_add_u32_e32 v71, v2, v34
	v_cndmask_b32_e64 v2, 0, v71, s[26:27]
	v_add_u32_e32 v72, v2, v36
	v_cndmask_b32_e64 v2, 0, v72, s[28:29]
	v_add_u32_e32 v73, v2, v38
	v_cndmask_b32_e64 v2, 0, v73, s[30:31]
	v_add_u32_e32 v74, v2, v40
	v_cndmask_b32_e64 v2, 0, v74, s[34:35]
	v_add_u32_e32 v75, v2, v42
	v_cndmask_b32_e64 v2, 0, v75, s[36:37]
	v_add_u32_e32 v76, v2, v44
	v_cndmask_b32_e64 v2, 0, v76, s[38:39]
	v_add_u32_e32 v77, v2, v46
	v_cndmask_b32_e64 v2, 0, v77, s[40:41]
	v_add_u32_e32 v78, v2, v48
	v_cndmask_b32_e64 v2, 0, v78, s[42:43]
	v_add_u32_e32 v79, v2, v50
	v_cndmask_b32_e64 v2, 0, v79, s[44:45]
	v_add_u32_e32 v80, v2, v52
	s_branch .LBB1772_209
.LBB1772_189:
                                        ; implicit-def: $vgpr79
                                        ; implicit-def: $vgpr78
                                        ; implicit-def: $vgpr77
                                        ; implicit-def: $vgpr76
                                        ; implicit-def: $vgpr75
                                        ; implicit-def: $vgpr74
                                        ; implicit-def: $vgpr73
                                        ; implicit-def: $vgpr72
                                        ; implicit-def: $vgpr71
                                        ; implicit-def: $vgpr70
                                        ; implicit-def: $vgpr69
                                        ; implicit-def: $vgpr68
                                        ; implicit-def: $vgpr67
                                        ; implicit-def: $vgpr66
                                        ; implicit-def: $vgpr65
                                        ; implicit-def: $vgpr64
                                        ; implicit-def: $vgpr63
                                        ; implicit-def: $vgpr62
                                        ; implicit-def: $vgpr61
                                        ; implicit-def: $vgpr60
                                        ; implicit-def: $vgpr59
                                        ; implicit-def: $vgpr58
                                        ; implicit-def: $vgpr80
	s_cbranch_execz .LBB1772_209
; %bb.190:
	s_cmp_lg_u64 s[68:69], 0
	s_cselect_b32 s3, s63, 0
	s_cselect_b32 s2, s62, 0
	s_mov_b32 s44, 0
	s_cmp_eq_u64 s[2:3], 0
	v_mov_b32_e32 v4, s76
	s_cbranch_scc1 .LBB1772_192
; %bb.191:
	v_mov_b32_e32 v2, 0
	global_load_dword v4, v2, s[2:3]
.LBB1772_192:
	s_mov_b32 s45, 1
	v_cmp_gt_u64_e32 vcc, s[44:45], v[12:13]
	v_cmp_gt_u64_e64 s[2:3], s[44:45], v[14:15]
	v_cmp_gt_u64_e64 s[4:5], s[44:45], v[16:17]
	v_cndmask_b32_e32 v2, 0, v10, vcc
	v_add_u32_e32 v2, v2, v12
	v_cndmask_b32_e64 v2, 0, v2, s[2:3]
	v_add_u32_e32 v2, v2, v14
	v_cndmask_b32_e64 v2, 0, v2, s[4:5]
	v_add_u32_e32 v2, v2, v16
	v_cmp_gt_u64_e64 s[6:7], s[44:45], v[18:19]
	v_cmp_gt_u64_e64 s[8:9], s[44:45], v[20:21]
	v_cmp_gt_u64_e64 s[10:11], s[44:45], v[22:23]
	v_cndmask_b32_e64 v2, 0, v2, s[6:7]
	v_add_u32_e32 v2, v2, v18
	v_cndmask_b32_e64 v2, 0, v2, s[8:9]
	v_add_u32_e32 v2, v2, v20
	v_cndmask_b32_e64 v2, 0, v2, s[10:11]
	v_add_u32_e32 v2, v2, v22
	v_cmp_gt_u64_e64 s[12:13], s[44:45], v[24:25]
	v_cmp_gt_u64_e64 s[14:15], s[44:45], v[26:27]
	v_cmp_gt_u64_e64 s[16:17], s[44:45], v[28:29]
	v_cndmask_b32_e64 v2, 0, v2, s[12:13]
	;; [unrolled: 9-line block ×6, first 2 shown]
	v_add_u32_e32 v2, v2, v48
	v_cndmask_b32_e64 v2, 0, v2, s[40:41]
	v_add_u32_e32 v2, v2, v50
	v_cndmask_b32_e64 v2, 0, v2, s[42:43]
	v_add_u32_e32 v2, v2, v52
	v_cmp_gt_u64_e64 s[44:45], s[44:45], v[56:57]
	v_add_lshl_u32 v1, v1, v0, 3
	s_nop 0
	v_cndmask_b32_e64 v2, 0, v2, s[44:45]
	v_add_u32_e32 v5, v2, v56
	v_or3_b32 v2, v55, v51, v49
	v_or3_b32 v2, v2, v47, v45
	;; [unrolled: 1-line block ×10, first 2 shown]
	v_and_b32_e32 v2, 1, v2
	v_cmp_eq_u32_e64 s[44:45], 1, v2
	s_nop 1
	v_cndmask_b32_e64 v6, v11, 1, s[44:45]
	v_cmp_gt_u32_e64 s[44:45], 64, v0
	ds_write_b32 v1, v5
	ds_write_b8 v1, v6 offset:4
	s_waitcnt lgkmcnt(0)
	s_barrier
	s_and_saveexec_b64 s[46:47], s[44:45]
	s_cbranch_execz .LBB1772_204
; %bb.193:
	v_lshrrev_b32_e32 v1, 3, v0
	v_add_lshl_u32 v1, v1, v54, 3
	ds_read2_b32 v[8:9], v1 offset0:2 offset1:4
	ds_read_b64 v[2:3], v1
	ds_read_u8 v13, v1 offset:12
	ds_read_u8 v15, v1 offset:20
	ds_read_b32 v17, v1 offset:24
	ds_read_u8 v19, v1 offset:28
	v_mov_b32_e32 v21, 0
	s_waitcnt lgkmcnt(3)
	v_cmp_eq_u16_sdwa s[44:45], v13, v21 src0_sel:BYTE_0 src1_sel:DWORD
	v_and_b32_e32 v7, 1, v3
	s_nop 0
	v_cndmask_b32_e64 v23, 0, v2, s[44:45]
	v_add_u32_e32 v8, v23, v8
	s_waitcnt lgkmcnt(2)
	v_cmp_eq_u16_sdwa s[44:45], v15, v21 src0_sel:BYTE_0 src1_sel:DWORD
	s_nop 1
	v_cndmask_b32_e64 v8, 0, v8, s[44:45]
	v_add_u32_e32 v8, v8, v9
	s_waitcnt lgkmcnt(0)
	v_cmp_eq_u16_e64 s[44:45], 0, v19
	s_nop 1
	v_cndmask_b32_e64 v8, 0, v8, s[44:45]
	v_add_u32_e32 v9, v8, v17
	v_or_b32_e32 v8, v19, v15
	v_or_b32_e32 v8, v8, v13
	v_and_b32_e32 v8, 1, v8
	v_cmp_eq_u32_e64 s[44:45], 1, v8
	v_mbcnt_lo_u32_b32 v13, -1, 0
	v_and_b32_e32 v8, 0xffffff00, v3
	v_cndmask_b32_e64 v15, v7, 1, s[44:45]
	v_mbcnt_hi_u32_b32 v13, -1, v13
	v_and_b32_e32 v19, 15, v13
	v_or_b32_sdwa v17, v8, v15 dst_sel:DWORD dst_unused:UNUSED_PAD src0_sel:DWORD src1_sel:WORD_0
	v_mov_b32_dpp v21, v9 row_shr:1 row_mask:0xf bank_mask:0xf
	v_cmp_ne_u32_e64 s[44:45], 0, v19
	v_mov_b32_dpp v23, v17 row_shr:1 row_mask:0xf bank_mask:0xf
	s_and_saveexec_b64 s[48:49], s[44:45]
; %bb.194:
	v_and_b32_e32 v17, 1, v15
	v_and_b32_e32 v23, 1, v23
	v_cmp_eq_u32_e64 s[44:45], 1, v17
	s_nop 1
	v_cndmask_b32_e64 v23, v23, 1, s[44:45]
	v_cmp_eq_u16_e64 s[44:45], 0, v15
	v_or_b32_sdwa v17, v8, v23 dst_sel:DWORD dst_unused:UNUSED_PAD src0_sel:DWORD src1_sel:WORD_0
	s_nop 0
	v_cndmask_b32_e64 v15, 0, v21, s[44:45]
	v_add_u32_e32 v9, v15, v9
	v_mov_b32_e32 v15, v23
; %bb.195:
	s_or_b64 exec, exec, s[48:49]
	v_mov_b32_dpp v21, v9 row_shr:2 row_mask:0xf bank_mask:0xf
	v_mov_b32_dpp v23, v17 row_shr:2 row_mask:0xf bank_mask:0xf
	v_cmp_lt_u32_e64 s[44:45], 1, v19
	s_and_saveexec_b64 s[48:49], s[44:45]
; %bb.196:
	v_and_b32_e32 v17, 1, v15
	v_and_b32_e32 v23, 1, v23
	v_cmp_eq_u32_e64 s[44:45], 1, v17
	s_nop 1
	v_cndmask_b32_e64 v23, v23, 1, s[44:45]
	v_cmp_eq_u16_e64 s[44:45], 0, v15
	v_or_b32_sdwa v17, v8, v23 dst_sel:DWORD dst_unused:UNUSED_PAD src0_sel:DWORD src1_sel:WORD_0
	s_nop 0
	v_cndmask_b32_e64 v15, 0, v21, s[44:45]
	v_add_u32_e32 v9, v15, v9
	v_mov_b32_e32 v15, v23
; %bb.197:
	s_or_b64 exec, exec, s[48:49]
	v_mov_b32_dpp v21, v9 row_shr:4 row_mask:0xf bank_mask:0xf
	v_mov_b32_dpp v23, v17 row_shr:4 row_mask:0xf bank_mask:0xf
	v_cmp_lt_u32_e64 s[44:45], 3, v19
	;; [unrolled: 18-line block ×3, first 2 shown]
	s_and_saveexec_b64 s[48:49], s[44:45]
; %bb.200:
	v_and_b32_e32 v17, 1, v15
	v_and_b32_e32 v19, 1, v23
	v_cmp_eq_u32_e64 s[44:45], 1, v17
	s_nop 1
	v_cndmask_b32_e64 v19, v19, 1, s[44:45]
	v_cmp_eq_u16_e64 s[44:45], 0, v15
	v_or_b32_sdwa v17, v8, v19 dst_sel:DWORD dst_unused:UNUSED_PAD src0_sel:DWORD src1_sel:WORD_0
	s_nop 0
	v_cndmask_b32_e64 v15, 0, v21, s[44:45]
	v_add_u32_e32 v9, v15, v9
	v_mov_b32_e32 v15, v19
; %bb.201:
	s_or_b64 exec, exec, s[48:49]
	v_and_b32_e32 v23, 16, v13
	v_mov_b32_dpp v19, v9 row_bcast:15 row_mask:0xf bank_mask:0xf
	v_mov_b32_dpp v21, v17 row_bcast:15 row_mask:0xf bank_mask:0xf
	v_cmp_ne_u32_e64 s[44:45], 0, v23
	s_and_saveexec_b64 s[48:49], s[44:45]
; %bb.202:
	v_and_b32_e32 v17, 1, v15
	v_and_b32_e32 v21, 1, v21
	v_cmp_eq_u32_e64 s[44:45], 1, v17
	s_nop 1
	v_cndmask_b32_e64 v21, v21, 1, s[44:45]
	v_cmp_eq_u16_e64 s[44:45], 0, v15
	v_or_b32_sdwa v17, v8, v21 dst_sel:DWORD dst_unused:UNUSED_PAD src0_sel:DWORD src1_sel:WORD_0
	s_nop 0
	v_cndmask_b32_e64 v15, 0, v19, s[44:45]
	v_add_u32_e32 v9, v15, v9
	v_mov_b32_e32 v15, v21
; %bb.203:
	s_or_b64 exec, exec, s[48:49]
	v_mov_b32_dpp v17, v17 row_bcast:31 row_mask:0xf bank_mask:0xf
	v_and_b32_e32 v21, 1, v15
	v_and_b32_e32 v17, 1, v17
	v_cmp_eq_u32_e64 s[44:45], 1, v21
	v_mov_b32_e32 v21, 0
	v_cmp_eq_u16_sdwa s[48:49], v15, v21 src0_sel:BYTE_0 src1_sel:DWORD
	v_cndmask_b32_e64 v17, v17, 1, s[44:45]
	v_cmp_lt_u32_e64 s[44:45], 31, v13
	v_mov_b32_dpp v19, v9 row_bcast:31 row_mask:0xf bank_mask:0xf
	s_movk_i32 s50, 0xff
	v_cndmask_b32_e64 v15, v15, v17, s[44:45]
	s_and_b64 s[44:45], s[44:45], s[48:49]
	v_cndmask_b32_e64 v17, 0, v19, s[44:45]
	v_add_u32_e32 v9, v17, v9
	v_add_u32_e32 v17, -1, v13
	v_and_b32_e32 v19, 64, v13
	v_cmp_lt_i32_e64 s[44:45], v17, v19
	v_and_or_b32 v8, v15, s50, v8
	s_nop 0
	v_cndmask_b32_e64 v13, v17, v13, s[44:45]
	v_lshlrev_b32_e32 v13, 2, v13
	ds_bpermute_b32 v9, v13, v9
	ds_bpermute_b32 v8, v13, v8
	v_cmp_eq_u16_sdwa s[44:45], v3, v21 src0_sel:BYTE_0 src1_sel:DWORD
	; wave barrier
	s_waitcnt lgkmcnt(1)
	s_nop 0
	v_cndmask_b32_e64 v3, 0, v9, s[44:45]
	v_add_u32_e32 v2, v3, v2
	s_waitcnt lgkmcnt(0)
	v_and_b32_e32 v3, 1, v8
	v_cmp_eq_u32_e64 s[44:45], 1, v7
	s_nop 1
	v_cndmask_b32_e64 v3, v3, 1, s[44:45]
	v_cmp_eq_u32_e64 s[44:45], 0, v0
	s_nop 1
	v_cndmask_b32_e64 v5, v2, v5, s[44:45]
	v_cndmask_b32_e64 v6, v3, v6, s[44:45]
	ds_write_b32 v1, v5
	ds_write_b8 v1, v6 offset:4
	; wave barrier
	ds_read_u8 v7, v1 offset:12
	ds_read2_b32 v[2:3], v1 offset0:2 offset1:4
	ds_read_u8 v8, v1 offset:20
	ds_read_b32 v9, v1 offset:24
	ds_read_u8 v13, v1 offset:28
	s_waitcnt lgkmcnt(4)
	v_cmp_eq_u16_e64 s[44:45], 0, v7
	s_nop 1
	v_cndmask_b32_e64 v5, 0, v5, s[44:45]
	s_waitcnt lgkmcnt(3)
	v_add_u32_e32 v2, v5, v2
	v_and_b32_e32 v5, 1, v7
	v_cmp_eq_u32_e64 s[44:45], 1, v5
	s_nop 1
	v_cndmask_b32_e64 v5, v6, 1, s[44:45]
	s_waitcnt lgkmcnt(2)
	v_cmp_eq_u16_e64 s[44:45], 0, v8
	ds_write_b8 v1, v5 offset:12
	s_nop 0
	v_cndmask_b32_e64 v6, 0, v2, s[44:45]
	v_add_u32_e32 v3, v6, v3
	v_and_b32_e32 v6, 1, v8
	v_cmp_eq_u32_e64 s[44:45], 1, v6
	s_nop 1
	v_cndmask_b32_e64 v5, v5, 1, s[44:45]
	s_waitcnt lgkmcnt(1)
	v_cmp_eq_u16_e64 s[44:45], 0, v13
	ds_write2_b32 v1, v2, v3 offset0:2 offset1:4
	ds_write_b8 v1, v5 offset:20
	v_cndmask_b32_e64 v2, 0, v3, s[44:45]
	v_and_b32_e32 v3, 1, v13
	v_add_u32_e32 v2, v2, v9
	v_cmp_eq_u32_e64 s[44:45], 1, v3
	s_nop 1
	v_cndmask_b32_e64 v3, v5, 1, s[44:45]
	ds_write_b32 v1, v2 offset:24
	ds_write_b8 v1, v3 offset:28
.LBB1772_204:
	s_or_b64 exec, exec, s[46:47]
	v_cmp_eq_u32_e64 s[44:45], 0, v0
	v_cmp_ne_u32_e64 s[46:47], 0, v0
	s_waitcnt vmcnt(0)
	v_mov_b32_e32 v58, v4
	s_waitcnt lgkmcnt(0)
	s_barrier
	s_and_saveexec_b64 s[48:49], s[46:47]
	s_cbranch_execz .LBB1772_206
; %bb.205:
	v_add_u32_e32 v1, -1, v0
	v_lshrrev_b32_e32 v2, 5, v1
	v_add_lshl_u32 v1, v2, v1, 3
	ds_read_u8 v2, v1 offset:4
	ds_read_b32 v1, v1
	s_waitcnt lgkmcnt(1)
	v_cmp_eq_u16_e64 s[46:47], 0, v2
	s_nop 1
	v_cndmask_b32_e64 v2, 0, v4, s[46:47]
	s_waitcnt lgkmcnt(0)
	v_add_u32_e32 v58, v2, v1
.LBB1772_206:
	s_or_b64 exec, exec, s[48:49]
	v_and_b32_e32 v3, 0xff, v11
	v_mov_b32_e32 v2, 0
	v_cmp_eq_u64_e64 s[46:47], 0, v[2:3]
	s_nop 1
	v_cndmask_b32_e64 v1, 0, v58, s[46:47]
	v_add_u32_e32 v59, v1, v10
	v_cndmask_b32_e32 v1, 0, v59, vcc
	v_add_u32_e32 v60, v1, v12
	v_cndmask_b32_e64 v1, 0, v60, s[2:3]
	v_add_u32_e32 v61, v1, v14
	v_cndmask_b32_e64 v1, 0, v61, s[4:5]
	;; [unrolled: 2-line block ×20, first 2 shown]
	s_and_saveexec_b64 s[2:3], s[44:45]
	s_cbranch_execz .LBB1772_208
; %bb.207:
	ds_read_u8 v3, v2 offset:2100
	ds_read_b32 v5, v2 offset:2096
	s_add_u32 s4, s56, 0x400
	s_addc_u32 s5, s57, 0
	v_mov_b32_e32 v6, 2
	s_waitcnt lgkmcnt(1)
	v_cmp_eq_u16_e32 vcc, 0, v3
	v_mov_b32_e32 v7, v2
	s_nop 0
	v_cndmask_b32_e32 v4, 0, v4, vcc
	s_waitcnt lgkmcnt(0)
	v_add_u32_e32 v4, v4, v5
	v_and_b32_e32 v5, 0xffff, v3
	v_mov_b64_e32 v[2:3], s[4:5]
	;;#ASMSTART
	global_store_dwordx4 v[2:3], v[4:7] off sc1	
s_waitcnt vmcnt(0)
	;;#ASMEND
.LBB1772_208:
	s_or_b64 exec, exec, s[2:3]
	v_add_u32_e32 v80, v1, v52
.LBB1772_209:
	s_add_u32 s2, s54, s64
	s_addc_u32 s3, s55, s65
	s_add_u32 s2, s2, s66
	s_addc_u32 s3, s3, s67
	s_and_b64 vcc, exec, s[0:1]
	s_cbranch_vccz .LBB1772_255
; %bb.210:
	s_movk_i32 s0, 0x5c
	v_mul_i32_i24_e32 v26, 0xffffffa8, v0
	v_mul_u32_u24_e32 v1, 0x5c, v0
	v_mad_u32_u24 v2, v0, s0, v26
	s_barrier
	ds_write2_b32 v1, v58, v59 offset1:1
	ds_write2_b32 v1, v60, v61 offset0:2 offset1:3
	ds_write2_b32 v1, v62, v63 offset0:4 offset1:5
	;; [unrolled: 1-line block ×10, first 2 shown]
	ds_write_b32 v1, v80 offset:88
	s_waitcnt lgkmcnt(0)
	s_barrier
	ds_read2st64_b32 v[24:25], v2 offset0:4 offset1:8
	ds_read2st64_b32 v[22:23], v2 offset0:12 offset1:16
	;; [unrolled: 1-line block ×11, first 2 shown]
	s_add_i32 s33, s33, s58
	v_mov_b32_e32 v55, 0
	v_lshl_add_u64 v[4:5], s[2:3], 0, v[54:55]
	v_cmp_gt_u32_e32 vcc, s33, v0
	s_and_saveexec_b64 s[0:1], vcc
	s_cbranch_execz .LBB1772_212
; %bb.211:
	v_add_u32_e32 v1, v1, v26
	ds_read_b32 v1, v1
	s_waitcnt lgkmcnt(0)
	flat_store_dword v[4:5], v1
.LBB1772_212:
	s_or_b64 exec, exec, s[0:1]
	v_or_b32_e32 v1, 0x100, v0
	v_cmp_gt_u32_e32 vcc, s33, v1
	s_and_saveexec_b64 s[0:1], vcc
	s_cbranch_execz .LBB1772_214
; %bb.213:
	s_waitcnt lgkmcnt(0)
	flat_store_dword v[4:5], v24 offset:1024
.LBB1772_214:
	s_or_b64 exec, exec, s[0:1]
	v_or_b32_e32 v1, 0x200, v0
	v_cmp_gt_u32_e32 vcc, s33, v1
	s_and_saveexec_b64 s[0:1], vcc
	s_cbranch_execz .LBB1772_216
; %bb.215:
	s_waitcnt lgkmcnt(0)
	flat_store_dword v[4:5], v25 offset:2048
.LBB1772_216:
	;; [unrolled: 9-line block ×3, first 2 shown]
	s_or_b64 exec, exec, s[0:1]
	v_or_b32_e32 v1, 0x400, v0
	v_cmp_gt_u32_e32 vcc, s33, v1
	s_and_saveexec_b64 s[0:1], vcc
	s_cbranch_execz .LBB1772_220
; %bb.219:
	s_waitcnt lgkmcnt(0)
	v_add_co_u32_e32 v24, vcc, 0x1000, v4
	s_nop 1
	v_addc_co_u32_e32 v25, vcc, 0, v5, vcc
	flat_store_dword v[24:25], v23
.LBB1772_220:
	s_or_b64 exec, exec, s[0:1]
	v_or_b32_e32 v1, 0x500, v0
	v_cmp_gt_u32_e32 vcc, s33, v1
	s_and_saveexec_b64 s[0:1], vcc
	s_cbranch_execz .LBB1772_222
; %bb.221:
	s_waitcnt lgkmcnt(0)
	v_add_co_u32_e32 v22, vcc, 0x1000, v4
	s_nop 1
	v_addc_co_u32_e32 v23, vcc, 0, v5, vcc
	flat_store_dword v[22:23], v20 offset:1024
.LBB1772_222:
	s_or_b64 exec, exec, s[0:1]
	v_or_b32_e32 v1, 0x600, v0
	v_cmp_gt_u32_e32 vcc, s33, v1
	s_and_saveexec_b64 s[0:1], vcc
	s_cbranch_execz .LBB1772_224
; %bb.223:
	s_waitcnt lgkmcnt(0)
	v_add_co_u32_e32 v22, vcc, 0x1000, v4
	s_nop 1
	v_addc_co_u32_e32 v23, vcc, 0, v5, vcc
	flat_store_dword v[22:23], v21 offset:2048
.LBB1772_224:
	s_or_b64 exec, exec, s[0:1]
	v_or_b32_e32 v1, 0x700, v0
	v_cmp_gt_u32_e32 vcc, s33, v1
	s_and_saveexec_b64 s[0:1], vcc
	s_cbranch_execz .LBB1772_226
; %bb.225:
	s_waitcnt lgkmcnt(0)
	v_add_co_u32_e32 v20, vcc, 0x1000, v4
	s_nop 1
	v_addc_co_u32_e32 v21, vcc, 0, v5, vcc
	flat_store_dword v[20:21], v18 offset:3072
.LBB1772_226:
	s_or_b64 exec, exec, s[0:1]
	v_or_b32_e32 v1, 0x800, v0
	v_cmp_gt_u32_e32 vcc, s33, v1
	s_and_saveexec_b64 s[0:1], vcc
	s_cbranch_execz .LBB1772_228
; %bb.227:
	s_waitcnt lgkmcnt(0)
	v_add_co_u32_e32 v20, vcc, 0x2000, v4
	s_nop 1
	v_addc_co_u32_e32 v21, vcc, 0, v5, vcc
	flat_store_dword v[20:21], v19
.LBB1772_228:
	s_or_b64 exec, exec, s[0:1]
	v_or_b32_e32 v1, 0x900, v0
	v_cmp_gt_u32_e32 vcc, s33, v1
	s_and_saveexec_b64 s[0:1], vcc
	s_cbranch_execz .LBB1772_230
; %bb.229:
	s_waitcnt lgkmcnt(0)
	v_add_co_u32_e32 v18, vcc, 0x2000, v4
	s_nop 1
	v_addc_co_u32_e32 v19, vcc, 0, v5, vcc
	flat_store_dword v[18:19], v16 offset:1024
.LBB1772_230:
	s_or_b64 exec, exec, s[0:1]
	v_or_b32_e32 v1, 0xa00, v0
	v_cmp_gt_u32_e32 vcc, s33, v1
	s_and_saveexec_b64 s[0:1], vcc
	s_cbranch_execz .LBB1772_232
; %bb.231:
	s_waitcnt lgkmcnt(0)
	v_add_co_u32_e32 v18, vcc, 0x2000, v4
	s_nop 1
	v_addc_co_u32_e32 v19, vcc, 0, v5, vcc
	flat_store_dword v[18:19], v17 offset:2048
.LBB1772_232:
	s_or_b64 exec, exec, s[0:1]
	v_or_b32_e32 v1, 0xb00, v0
	v_cmp_gt_u32_e32 vcc, s33, v1
	s_and_saveexec_b64 s[0:1], vcc
	s_cbranch_execz .LBB1772_234
; %bb.233:
	s_waitcnt lgkmcnt(0)
	v_add_co_u32_e32 v16, vcc, 0x2000, v4
	s_nop 1
	v_addc_co_u32_e32 v17, vcc, 0, v5, vcc
	flat_store_dword v[16:17], v14 offset:3072
.LBB1772_234:
	;; [unrolled: 48-line block ×4, first 2 shown]
	s_or_b64 exec, exec, s[0:1]
	v_or_b32_e32 v1, 0x1400, v0
	v_cmp_gt_u32_e32 vcc, s33, v1
	s_and_saveexec_b64 s[0:1], vcc
	s_cbranch_execz .LBB1772_252
; %bb.251:
	s_waitcnt lgkmcnt(0)
	v_add_co_u32_e32 v8, vcc, 0x5000, v4
	s_nop 1
	v_addc_co_u32_e32 v9, vcc, 0, v5, vcc
	flat_store_dword v[8:9], v7
.LBB1772_252:
	s_or_b64 exec, exec, s[0:1]
	v_or_b32_e32 v1, 0x1500, v0
	v_cmp_gt_u32_e32 vcc, s33, v1
	s_and_saveexec_b64 s[0:1], vcc
	s_cbranch_execz .LBB1772_254
; %bb.253:
	v_add_co_u32_e32 v4, vcc, 0x5000, v4
	s_nop 1
	v_addc_co_u32_e32 v5, vcc, 0, v5, vcc
	s_waitcnt lgkmcnt(0)
	flat_store_dword v[4:5], v2 offset:1024
.LBB1772_254:
	s_or_b64 exec, exec, s[0:1]
	s_waitcnt lgkmcnt(0)
	v_or_b32_e32 v2, 0x1600, v0
	v_mov_b32_e32 v1, v55
	v_cmp_gt_u32_e64 s[0:1], s33, v2
	s_branch .LBB1772_257
.LBB1772_255:
	s_mov_b64 s[0:1], 0
                                        ; implicit-def: $vgpr3
	s_cbranch_execz .LBB1772_257
; %bb.256:
	v_mul_u32_u24_e32 v1, 0x5c, v0
	s_barrier
	s_movk_i32 s4, 0x5c
	ds_write2_b32 v1, v58, v59 offset1:1
	ds_write2_b32 v1, v60, v61 offset0:2 offset1:3
	ds_write2_b32 v1, v62, v63 offset0:4 offset1:5
	;; [unrolled: 1-line block ×10, first 2 shown]
	ds_write_b32 v1, v80 offset:88
	v_mov_b32_e32 v1, 0
	v_mul_i32_i24_e32 v2, 0xffffffa8, v0
	v_mad_u32_u24 v2, v0, s4, v2
	v_mov_b32_e32 v55, v1
	s_waitcnt lgkmcnt(0)
	s_barrier
	ds_read2st64_b32 v[4:5], v2 offset1:4
	ds_read2st64_b32 v[6:7], v2 offset0:8 offset1:12
	ds_read2st64_b32 v[8:9], v2 offset0:16 offset1:20
	ds_read2st64_b32 v[10:11], v2 offset0:24 offset1:28
	ds_read2st64_b32 v[12:13], v2 offset0:32 offset1:36
	ds_read2st64_b32 v[14:15], v2 offset0:40 offset1:44
	ds_read2st64_b32 v[16:17], v2 offset0:48 offset1:52
	ds_read2st64_b32 v[18:19], v2 offset0:56 offset1:60
	ds_read2st64_b32 v[20:21], v2 offset0:64 offset1:68
	ds_read2st64_b32 v[22:23], v2 offset0:72 offset1:76
	ds_read2st64_b32 v[24:25], v2 offset0:80 offset1:84
	ds_read_b32 v3, v2 offset:22528
	v_lshl_add_u64 v[26:27], s[2:3], 0, v[54:55]
	s_movk_i32 s4, 0x1000
	s_waitcnt lgkmcnt(0)
	flat_store_dword v[26:27], v4
	flat_store_dword v[26:27], v5 offset:1024
	flat_store_dword v[26:27], v6 offset:2048
	flat_store_dword v[26:27], v7 offset:3072
	v_add_co_u32_e32 v4, vcc, s4, v26
	s_movk_i32 s4, 0x2000
	s_nop 0
	v_addc_co_u32_e32 v5, vcc, 0, v27, vcc
	flat_store_dword v[4:5], v8
	flat_store_dword v[4:5], v9 offset:1024
	flat_store_dword v[4:5], v10 offset:2048
	;; [unrolled: 1-line block ×3, first 2 shown]
	v_add_co_u32_e32 v4, vcc, s4, v26
	s_movk_i32 s4, 0x3000
	s_nop 0
	v_addc_co_u32_e32 v5, vcc, 0, v27, vcc
	flat_store_dword v[4:5], v12
	flat_store_dword v[4:5], v13 offset:1024
	flat_store_dword v[4:5], v14 offset:2048
	flat_store_dword v[4:5], v15 offset:3072
	v_add_co_u32_e32 v4, vcc, s4, v26
	s_or_b64 s[0:1], s[0:1], exec
	s_nop 0
	v_addc_co_u32_e32 v5, vcc, 0, v27, vcc
	flat_store_dword v[4:5], v16
	flat_store_dword v[4:5], v17 offset:1024
	flat_store_dword v[4:5], v18 offset:2048
	;; [unrolled: 1-line block ×3, first 2 shown]
	v_add_co_u32_e32 v4, vcc, 0x4000, v26
	s_nop 1
	v_addc_co_u32_e32 v5, vcc, 0, v27, vcc
	flat_store_dword v[4:5], v20
	flat_store_dword v[4:5], v21 offset:1024
	flat_store_dword v[4:5], v22 offset:2048
	;; [unrolled: 1-line block ×3, first 2 shown]
	v_add_co_u32_e32 v4, vcc, 0x5000, v26
	s_nop 1
	v_addc_co_u32_e32 v5, vcc, 0, v27, vcc
	flat_store_dword v[4:5], v24
	flat_store_dword v[4:5], v25 offset:1024
.LBB1772_257:
	s_and_saveexec_b64 s[4:5], s[0:1]
	s_cbranch_execz .LBB1772_259
; %bb.258:
	v_lshl_add_u64 v[0:1], v[0:1], 2, s[2:3]
	v_add_co_u32_e32 v0, vcc, 0x5000, v0
	s_nop 1
	v_addc_co_u32_e32 v1, vcc, 0, v1, vcc
	flat_store_dword v[0:1], v3 offset:2048
	s_endpgm
.LBB1772_259:
	s_endpgm
	.section	.rodata,"a",@progbits
	.p2align	6, 0x0
	.amdhsa_kernel _ZN7rocprim17ROCPRIM_400000_NS6detail17trampoline_kernelINS0_14default_configENS1_27scan_by_key_config_selectorIiiEEZZNS1_16scan_by_key_implILNS1_25lookback_scan_determinismE0ELb1ES3_N6thrust23THRUST_200600_302600_NS6detail15normal_iteratorINS9_10device_ptrIiEEEENSB_INSC_IjEEEESE_iNS9_4plusIvEENS9_8equal_toIvEEiEE10hipError_tPvRmT2_T3_T4_T5_mT6_T7_P12ihipStream_tbENKUlT_T0_E_clISt17integral_constantIbLb1EES10_IbLb0EEEEDaSW_SX_EUlSW_E_NS1_11comp_targetILNS1_3genE5ELNS1_11target_archE942ELNS1_3gpuE9ELNS1_3repE0EEENS1_30default_config_static_selectorELNS0_4arch9wavefront6targetE1EEEvT1_
		.amdhsa_group_segment_fixed_size 25600
		.amdhsa_private_segment_fixed_size 0
		.amdhsa_kernarg_size 112
		.amdhsa_user_sgpr_count 2
		.amdhsa_user_sgpr_dispatch_ptr 0
		.amdhsa_user_sgpr_queue_ptr 0
		.amdhsa_user_sgpr_kernarg_segment_ptr 1
		.amdhsa_user_sgpr_dispatch_id 0
		.amdhsa_user_sgpr_kernarg_preload_length 0
		.amdhsa_user_sgpr_kernarg_preload_offset 0
		.amdhsa_user_sgpr_private_segment_size 0
		.amdhsa_uses_dynamic_stack 0
		.amdhsa_enable_private_segment 0
		.amdhsa_system_sgpr_workgroup_id_x 1
		.amdhsa_system_sgpr_workgroup_id_y 0
		.amdhsa_system_sgpr_workgroup_id_z 0
		.amdhsa_system_sgpr_workgroup_info 0
		.amdhsa_system_vgpr_workitem_id 0
		.amdhsa_next_free_vgpr 81
		.amdhsa_next_free_sgpr 80
		.amdhsa_accum_offset 84
		.amdhsa_reserve_vcc 1
		.amdhsa_float_round_mode_32 0
		.amdhsa_float_round_mode_16_64 0
		.amdhsa_float_denorm_mode_32 3
		.amdhsa_float_denorm_mode_16_64 3
		.amdhsa_dx10_clamp 1
		.amdhsa_ieee_mode 1
		.amdhsa_fp16_overflow 0
		.amdhsa_tg_split 0
		.amdhsa_exception_fp_ieee_invalid_op 0
		.amdhsa_exception_fp_denorm_src 0
		.amdhsa_exception_fp_ieee_div_zero 0
		.amdhsa_exception_fp_ieee_overflow 0
		.amdhsa_exception_fp_ieee_underflow 0
		.amdhsa_exception_fp_ieee_inexact 0
		.amdhsa_exception_int_div_zero 0
	.end_amdhsa_kernel
	.section	.text._ZN7rocprim17ROCPRIM_400000_NS6detail17trampoline_kernelINS0_14default_configENS1_27scan_by_key_config_selectorIiiEEZZNS1_16scan_by_key_implILNS1_25lookback_scan_determinismE0ELb1ES3_N6thrust23THRUST_200600_302600_NS6detail15normal_iteratorINS9_10device_ptrIiEEEENSB_INSC_IjEEEESE_iNS9_4plusIvEENS9_8equal_toIvEEiEE10hipError_tPvRmT2_T3_T4_T5_mT6_T7_P12ihipStream_tbENKUlT_T0_E_clISt17integral_constantIbLb1EES10_IbLb0EEEEDaSW_SX_EUlSW_E_NS1_11comp_targetILNS1_3genE5ELNS1_11target_archE942ELNS1_3gpuE9ELNS1_3repE0EEENS1_30default_config_static_selectorELNS0_4arch9wavefront6targetE1EEEvT1_,"axG",@progbits,_ZN7rocprim17ROCPRIM_400000_NS6detail17trampoline_kernelINS0_14default_configENS1_27scan_by_key_config_selectorIiiEEZZNS1_16scan_by_key_implILNS1_25lookback_scan_determinismE0ELb1ES3_N6thrust23THRUST_200600_302600_NS6detail15normal_iteratorINS9_10device_ptrIiEEEENSB_INSC_IjEEEESE_iNS9_4plusIvEENS9_8equal_toIvEEiEE10hipError_tPvRmT2_T3_T4_T5_mT6_T7_P12ihipStream_tbENKUlT_T0_E_clISt17integral_constantIbLb1EES10_IbLb0EEEEDaSW_SX_EUlSW_E_NS1_11comp_targetILNS1_3genE5ELNS1_11target_archE942ELNS1_3gpuE9ELNS1_3repE0EEENS1_30default_config_static_selectorELNS0_4arch9wavefront6targetE1EEEvT1_,comdat
.Lfunc_end1772:
	.size	_ZN7rocprim17ROCPRIM_400000_NS6detail17trampoline_kernelINS0_14default_configENS1_27scan_by_key_config_selectorIiiEEZZNS1_16scan_by_key_implILNS1_25lookback_scan_determinismE0ELb1ES3_N6thrust23THRUST_200600_302600_NS6detail15normal_iteratorINS9_10device_ptrIiEEEENSB_INSC_IjEEEESE_iNS9_4plusIvEENS9_8equal_toIvEEiEE10hipError_tPvRmT2_T3_T4_T5_mT6_T7_P12ihipStream_tbENKUlT_T0_E_clISt17integral_constantIbLb1EES10_IbLb0EEEEDaSW_SX_EUlSW_E_NS1_11comp_targetILNS1_3genE5ELNS1_11target_archE942ELNS1_3gpuE9ELNS1_3repE0EEENS1_30default_config_static_selectorELNS0_4arch9wavefront6targetE1EEEvT1_, .Lfunc_end1772-_ZN7rocprim17ROCPRIM_400000_NS6detail17trampoline_kernelINS0_14default_configENS1_27scan_by_key_config_selectorIiiEEZZNS1_16scan_by_key_implILNS1_25lookback_scan_determinismE0ELb1ES3_N6thrust23THRUST_200600_302600_NS6detail15normal_iteratorINS9_10device_ptrIiEEEENSB_INSC_IjEEEESE_iNS9_4plusIvEENS9_8equal_toIvEEiEE10hipError_tPvRmT2_T3_T4_T5_mT6_T7_P12ihipStream_tbENKUlT_T0_E_clISt17integral_constantIbLb1EES10_IbLb0EEEEDaSW_SX_EUlSW_E_NS1_11comp_targetILNS1_3genE5ELNS1_11target_archE942ELNS1_3gpuE9ELNS1_3repE0EEENS1_30default_config_static_selectorELNS0_4arch9wavefront6targetE1EEEvT1_
                                        ; -- End function
	.section	.AMDGPU.csdata,"",@progbits
; Kernel info:
; codeLenInByte = 15836
; NumSgprs: 86
; NumVgprs: 81
; NumAgprs: 0
; TotalNumVgprs: 81
; ScratchSize: 0
; MemoryBound: 0
; FloatMode: 240
; IeeeMode: 1
; LDSByteSize: 25600 bytes/workgroup (compile time only)
; SGPRBlocks: 10
; VGPRBlocks: 10
; NumSGPRsForWavesPerEU: 86
; NumVGPRsForWavesPerEU: 81
; AccumOffset: 84
; Occupancy: 2
; WaveLimiterHint : 1
; COMPUTE_PGM_RSRC2:SCRATCH_EN: 0
; COMPUTE_PGM_RSRC2:USER_SGPR: 2
; COMPUTE_PGM_RSRC2:TRAP_HANDLER: 0
; COMPUTE_PGM_RSRC2:TGID_X_EN: 1
; COMPUTE_PGM_RSRC2:TGID_Y_EN: 0
; COMPUTE_PGM_RSRC2:TGID_Z_EN: 0
; COMPUTE_PGM_RSRC2:TIDIG_COMP_CNT: 0
; COMPUTE_PGM_RSRC3_GFX90A:ACCUM_OFFSET: 20
; COMPUTE_PGM_RSRC3_GFX90A:TG_SPLIT: 0
	.section	.text._ZN7rocprim17ROCPRIM_400000_NS6detail17trampoline_kernelINS0_14default_configENS1_27scan_by_key_config_selectorIiiEEZZNS1_16scan_by_key_implILNS1_25lookback_scan_determinismE0ELb1ES3_N6thrust23THRUST_200600_302600_NS6detail15normal_iteratorINS9_10device_ptrIiEEEENSB_INSC_IjEEEESE_iNS9_4plusIvEENS9_8equal_toIvEEiEE10hipError_tPvRmT2_T3_T4_T5_mT6_T7_P12ihipStream_tbENKUlT_T0_E_clISt17integral_constantIbLb1EES10_IbLb0EEEEDaSW_SX_EUlSW_E_NS1_11comp_targetILNS1_3genE4ELNS1_11target_archE910ELNS1_3gpuE8ELNS1_3repE0EEENS1_30default_config_static_selectorELNS0_4arch9wavefront6targetE1EEEvT1_,"axG",@progbits,_ZN7rocprim17ROCPRIM_400000_NS6detail17trampoline_kernelINS0_14default_configENS1_27scan_by_key_config_selectorIiiEEZZNS1_16scan_by_key_implILNS1_25lookback_scan_determinismE0ELb1ES3_N6thrust23THRUST_200600_302600_NS6detail15normal_iteratorINS9_10device_ptrIiEEEENSB_INSC_IjEEEESE_iNS9_4plusIvEENS9_8equal_toIvEEiEE10hipError_tPvRmT2_T3_T4_T5_mT6_T7_P12ihipStream_tbENKUlT_T0_E_clISt17integral_constantIbLb1EES10_IbLb0EEEEDaSW_SX_EUlSW_E_NS1_11comp_targetILNS1_3genE4ELNS1_11target_archE910ELNS1_3gpuE8ELNS1_3repE0EEENS1_30default_config_static_selectorELNS0_4arch9wavefront6targetE1EEEvT1_,comdat
	.protected	_ZN7rocprim17ROCPRIM_400000_NS6detail17trampoline_kernelINS0_14default_configENS1_27scan_by_key_config_selectorIiiEEZZNS1_16scan_by_key_implILNS1_25lookback_scan_determinismE0ELb1ES3_N6thrust23THRUST_200600_302600_NS6detail15normal_iteratorINS9_10device_ptrIiEEEENSB_INSC_IjEEEESE_iNS9_4plusIvEENS9_8equal_toIvEEiEE10hipError_tPvRmT2_T3_T4_T5_mT6_T7_P12ihipStream_tbENKUlT_T0_E_clISt17integral_constantIbLb1EES10_IbLb0EEEEDaSW_SX_EUlSW_E_NS1_11comp_targetILNS1_3genE4ELNS1_11target_archE910ELNS1_3gpuE8ELNS1_3repE0EEENS1_30default_config_static_selectorELNS0_4arch9wavefront6targetE1EEEvT1_ ; -- Begin function _ZN7rocprim17ROCPRIM_400000_NS6detail17trampoline_kernelINS0_14default_configENS1_27scan_by_key_config_selectorIiiEEZZNS1_16scan_by_key_implILNS1_25lookback_scan_determinismE0ELb1ES3_N6thrust23THRUST_200600_302600_NS6detail15normal_iteratorINS9_10device_ptrIiEEEENSB_INSC_IjEEEESE_iNS9_4plusIvEENS9_8equal_toIvEEiEE10hipError_tPvRmT2_T3_T4_T5_mT6_T7_P12ihipStream_tbENKUlT_T0_E_clISt17integral_constantIbLb1EES10_IbLb0EEEEDaSW_SX_EUlSW_E_NS1_11comp_targetILNS1_3genE4ELNS1_11target_archE910ELNS1_3gpuE8ELNS1_3repE0EEENS1_30default_config_static_selectorELNS0_4arch9wavefront6targetE1EEEvT1_
	.globl	_ZN7rocprim17ROCPRIM_400000_NS6detail17trampoline_kernelINS0_14default_configENS1_27scan_by_key_config_selectorIiiEEZZNS1_16scan_by_key_implILNS1_25lookback_scan_determinismE0ELb1ES3_N6thrust23THRUST_200600_302600_NS6detail15normal_iteratorINS9_10device_ptrIiEEEENSB_INSC_IjEEEESE_iNS9_4plusIvEENS9_8equal_toIvEEiEE10hipError_tPvRmT2_T3_T4_T5_mT6_T7_P12ihipStream_tbENKUlT_T0_E_clISt17integral_constantIbLb1EES10_IbLb0EEEEDaSW_SX_EUlSW_E_NS1_11comp_targetILNS1_3genE4ELNS1_11target_archE910ELNS1_3gpuE8ELNS1_3repE0EEENS1_30default_config_static_selectorELNS0_4arch9wavefront6targetE1EEEvT1_
	.p2align	8
	.type	_ZN7rocprim17ROCPRIM_400000_NS6detail17trampoline_kernelINS0_14default_configENS1_27scan_by_key_config_selectorIiiEEZZNS1_16scan_by_key_implILNS1_25lookback_scan_determinismE0ELb1ES3_N6thrust23THRUST_200600_302600_NS6detail15normal_iteratorINS9_10device_ptrIiEEEENSB_INSC_IjEEEESE_iNS9_4plusIvEENS9_8equal_toIvEEiEE10hipError_tPvRmT2_T3_T4_T5_mT6_T7_P12ihipStream_tbENKUlT_T0_E_clISt17integral_constantIbLb1EES10_IbLb0EEEEDaSW_SX_EUlSW_E_NS1_11comp_targetILNS1_3genE4ELNS1_11target_archE910ELNS1_3gpuE8ELNS1_3repE0EEENS1_30default_config_static_selectorELNS0_4arch9wavefront6targetE1EEEvT1_,@function
_ZN7rocprim17ROCPRIM_400000_NS6detail17trampoline_kernelINS0_14default_configENS1_27scan_by_key_config_selectorIiiEEZZNS1_16scan_by_key_implILNS1_25lookback_scan_determinismE0ELb1ES3_N6thrust23THRUST_200600_302600_NS6detail15normal_iteratorINS9_10device_ptrIiEEEENSB_INSC_IjEEEESE_iNS9_4plusIvEENS9_8equal_toIvEEiEE10hipError_tPvRmT2_T3_T4_T5_mT6_T7_P12ihipStream_tbENKUlT_T0_E_clISt17integral_constantIbLb1EES10_IbLb0EEEEDaSW_SX_EUlSW_E_NS1_11comp_targetILNS1_3genE4ELNS1_11target_archE910ELNS1_3gpuE8ELNS1_3repE0EEENS1_30default_config_static_selectorELNS0_4arch9wavefront6targetE1EEEvT1_: ; @_ZN7rocprim17ROCPRIM_400000_NS6detail17trampoline_kernelINS0_14default_configENS1_27scan_by_key_config_selectorIiiEEZZNS1_16scan_by_key_implILNS1_25lookback_scan_determinismE0ELb1ES3_N6thrust23THRUST_200600_302600_NS6detail15normal_iteratorINS9_10device_ptrIiEEEENSB_INSC_IjEEEESE_iNS9_4plusIvEENS9_8equal_toIvEEiEE10hipError_tPvRmT2_T3_T4_T5_mT6_T7_P12ihipStream_tbENKUlT_T0_E_clISt17integral_constantIbLb1EES10_IbLb0EEEEDaSW_SX_EUlSW_E_NS1_11comp_targetILNS1_3genE4ELNS1_11target_archE910ELNS1_3gpuE8ELNS1_3repE0EEENS1_30default_config_static_selectorELNS0_4arch9wavefront6targetE1EEEvT1_
; %bb.0:
	.section	.rodata,"a",@progbits
	.p2align	6, 0x0
	.amdhsa_kernel _ZN7rocprim17ROCPRIM_400000_NS6detail17trampoline_kernelINS0_14default_configENS1_27scan_by_key_config_selectorIiiEEZZNS1_16scan_by_key_implILNS1_25lookback_scan_determinismE0ELb1ES3_N6thrust23THRUST_200600_302600_NS6detail15normal_iteratorINS9_10device_ptrIiEEEENSB_INSC_IjEEEESE_iNS9_4plusIvEENS9_8equal_toIvEEiEE10hipError_tPvRmT2_T3_T4_T5_mT6_T7_P12ihipStream_tbENKUlT_T0_E_clISt17integral_constantIbLb1EES10_IbLb0EEEEDaSW_SX_EUlSW_E_NS1_11comp_targetILNS1_3genE4ELNS1_11target_archE910ELNS1_3gpuE8ELNS1_3repE0EEENS1_30default_config_static_selectorELNS0_4arch9wavefront6targetE1EEEvT1_
		.amdhsa_group_segment_fixed_size 0
		.amdhsa_private_segment_fixed_size 0
		.amdhsa_kernarg_size 112
		.amdhsa_user_sgpr_count 2
		.amdhsa_user_sgpr_dispatch_ptr 0
		.amdhsa_user_sgpr_queue_ptr 0
		.amdhsa_user_sgpr_kernarg_segment_ptr 1
		.amdhsa_user_sgpr_dispatch_id 0
		.amdhsa_user_sgpr_kernarg_preload_length 0
		.amdhsa_user_sgpr_kernarg_preload_offset 0
		.amdhsa_user_sgpr_private_segment_size 0
		.amdhsa_uses_dynamic_stack 0
		.amdhsa_enable_private_segment 0
		.amdhsa_system_sgpr_workgroup_id_x 1
		.amdhsa_system_sgpr_workgroup_id_y 0
		.amdhsa_system_sgpr_workgroup_id_z 0
		.amdhsa_system_sgpr_workgroup_info 0
		.amdhsa_system_vgpr_workitem_id 0
		.amdhsa_next_free_vgpr 1
		.amdhsa_next_free_sgpr 0
		.amdhsa_accum_offset 4
		.amdhsa_reserve_vcc 0
		.amdhsa_float_round_mode_32 0
		.amdhsa_float_round_mode_16_64 0
		.amdhsa_float_denorm_mode_32 3
		.amdhsa_float_denorm_mode_16_64 3
		.amdhsa_dx10_clamp 1
		.amdhsa_ieee_mode 1
		.amdhsa_fp16_overflow 0
		.amdhsa_tg_split 0
		.amdhsa_exception_fp_ieee_invalid_op 0
		.amdhsa_exception_fp_denorm_src 0
		.amdhsa_exception_fp_ieee_div_zero 0
		.amdhsa_exception_fp_ieee_overflow 0
		.amdhsa_exception_fp_ieee_underflow 0
		.amdhsa_exception_fp_ieee_inexact 0
		.amdhsa_exception_int_div_zero 0
	.end_amdhsa_kernel
	.section	.text._ZN7rocprim17ROCPRIM_400000_NS6detail17trampoline_kernelINS0_14default_configENS1_27scan_by_key_config_selectorIiiEEZZNS1_16scan_by_key_implILNS1_25lookback_scan_determinismE0ELb1ES3_N6thrust23THRUST_200600_302600_NS6detail15normal_iteratorINS9_10device_ptrIiEEEENSB_INSC_IjEEEESE_iNS9_4plusIvEENS9_8equal_toIvEEiEE10hipError_tPvRmT2_T3_T4_T5_mT6_T7_P12ihipStream_tbENKUlT_T0_E_clISt17integral_constantIbLb1EES10_IbLb0EEEEDaSW_SX_EUlSW_E_NS1_11comp_targetILNS1_3genE4ELNS1_11target_archE910ELNS1_3gpuE8ELNS1_3repE0EEENS1_30default_config_static_selectorELNS0_4arch9wavefront6targetE1EEEvT1_,"axG",@progbits,_ZN7rocprim17ROCPRIM_400000_NS6detail17trampoline_kernelINS0_14default_configENS1_27scan_by_key_config_selectorIiiEEZZNS1_16scan_by_key_implILNS1_25lookback_scan_determinismE0ELb1ES3_N6thrust23THRUST_200600_302600_NS6detail15normal_iteratorINS9_10device_ptrIiEEEENSB_INSC_IjEEEESE_iNS9_4plusIvEENS9_8equal_toIvEEiEE10hipError_tPvRmT2_T3_T4_T5_mT6_T7_P12ihipStream_tbENKUlT_T0_E_clISt17integral_constantIbLb1EES10_IbLb0EEEEDaSW_SX_EUlSW_E_NS1_11comp_targetILNS1_3genE4ELNS1_11target_archE910ELNS1_3gpuE8ELNS1_3repE0EEENS1_30default_config_static_selectorELNS0_4arch9wavefront6targetE1EEEvT1_,comdat
.Lfunc_end1773:
	.size	_ZN7rocprim17ROCPRIM_400000_NS6detail17trampoline_kernelINS0_14default_configENS1_27scan_by_key_config_selectorIiiEEZZNS1_16scan_by_key_implILNS1_25lookback_scan_determinismE0ELb1ES3_N6thrust23THRUST_200600_302600_NS6detail15normal_iteratorINS9_10device_ptrIiEEEENSB_INSC_IjEEEESE_iNS9_4plusIvEENS9_8equal_toIvEEiEE10hipError_tPvRmT2_T3_T4_T5_mT6_T7_P12ihipStream_tbENKUlT_T0_E_clISt17integral_constantIbLb1EES10_IbLb0EEEEDaSW_SX_EUlSW_E_NS1_11comp_targetILNS1_3genE4ELNS1_11target_archE910ELNS1_3gpuE8ELNS1_3repE0EEENS1_30default_config_static_selectorELNS0_4arch9wavefront6targetE1EEEvT1_, .Lfunc_end1773-_ZN7rocprim17ROCPRIM_400000_NS6detail17trampoline_kernelINS0_14default_configENS1_27scan_by_key_config_selectorIiiEEZZNS1_16scan_by_key_implILNS1_25lookback_scan_determinismE0ELb1ES3_N6thrust23THRUST_200600_302600_NS6detail15normal_iteratorINS9_10device_ptrIiEEEENSB_INSC_IjEEEESE_iNS9_4plusIvEENS9_8equal_toIvEEiEE10hipError_tPvRmT2_T3_T4_T5_mT6_T7_P12ihipStream_tbENKUlT_T0_E_clISt17integral_constantIbLb1EES10_IbLb0EEEEDaSW_SX_EUlSW_E_NS1_11comp_targetILNS1_3genE4ELNS1_11target_archE910ELNS1_3gpuE8ELNS1_3repE0EEENS1_30default_config_static_selectorELNS0_4arch9wavefront6targetE1EEEvT1_
                                        ; -- End function
	.section	.AMDGPU.csdata,"",@progbits
; Kernel info:
; codeLenInByte = 0
; NumSgprs: 6
; NumVgprs: 0
; NumAgprs: 0
; TotalNumVgprs: 0
; ScratchSize: 0
; MemoryBound: 0
; FloatMode: 240
; IeeeMode: 1
; LDSByteSize: 0 bytes/workgroup (compile time only)
; SGPRBlocks: 0
; VGPRBlocks: 0
; NumSGPRsForWavesPerEU: 6
; NumVGPRsForWavesPerEU: 1
; AccumOffset: 4
; Occupancy: 8
; WaveLimiterHint : 0
; COMPUTE_PGM_RSRC2:SCRATCH_EN: 0
; COMPUTE_PGM_RSRC2:USER_SGPR: 2
; COMPUTE_PGM_RSRC2:TRAP_HANDLER: 0
; COMPUTE_PGM_RSRC2:TGID_X_EN: 1
; COMPUTE_PGM_RSRC2:TGID_Y_EN: 0
; COMPUTE_PGM_RSRC2:TGID_Z_EN: 0
; COMPUTE_PGM_RSRC2:TIDIG_COMP_CNT: 0
; COMPUTE_PGM_RSRC3_GFX90A:ACCUM_OFFSET: 0
; COMPUTE_PGM_RSRC3_GFX90A:TG_SPLIT: 0
	.section	.text._ZN7rocprim17ROCPRIM_400000_NS6detail17trampoline_kernelINS0_14default_configENS1_27scan_by_key_config_selectorIiiEEZZNS1_16scan_by_key_implILNS1_25lookback_scan_determinismE0ELb1ES3_N6thrust23THRUST_200600_302600_NS6detail15normal_iteratorINS9_10device_ptrIiEEEENSB_INSC_IjEEEESE_iNS9_4plusIvEENS9_8equal_toIvEEiEE10hipError_tPvRmT2_T3_T4_T5_mT6_T7_P12ihipStream_tbENKUlT_T0_E_clISt17integral_constantIbLb1EES10_IbLb0EEEEDaSW_SX_EUlSW_E_NS1_11comp_targetILNS1_3genE3ELNS1_11target_archE908ELNS1_3gpuE7ELNS1_3repE0EEENS1_30default_config_static_selectorELNS0_4arch9wavefront6targetE1EEEvT1_,"axG",@progbits,_ZN7rocprim17ROCPRIM_400000_NS6detail17trampoline_kernelINS0_14default_configENS1_27scan_by_key_config_selectorIiiEEZZNS1_16scan_by_key_implILNS1_25lookback_scan_determinismE0ELb1ES3_N6thrust23THRUST_200600_302600_NS6detail15normal_iteratorINS9_10device_ptrIiEEEENSB_INSC_IjEEEESE_iNS9_4plusIvEENS9_8equal_toIvEEiEE10hipError_tPvRmT2_T3_T4_T5_mT6_T7_P12ihipStream_tbENKUlT_T0_E_clISt17integral_constantIbLb1EES10_IbLb0EEEEDaSW_SX_EUlSW_E_NS1_11comp_targetILNS1_3genE3ELNS1_11target_archE908ELNS1_3gpuE7ELNS1_3repE0EEENS1_30default_config_static_selectorELNS0_4arch9wavefront6targetE1EEEvT1_,comdat
	.protected	_ZN7rocprim17ROCPRIM_400000_NS6detail17trampoline_kernelINS0_14default_configENS1_27scan_by_key_config_selectorIiiEEZZNS1_16scan_by_key_implILNS1_25lookback_scan_determinismE0ELb1ES3_N6thrust23THRUST_200600_302600_NS6detail15normal_iteratorINS9_10device_ptrIiEEEENSB_INSC_IjEEEESE_iNS9_4plusIvEENS9_8equal_toIvEEiEE10hipError_tPvRmT2_T3_T4_T5_mT6_T7_P12ihipStream_tbENKUlT_T0_E_clISt17integral_constantIbLb1EES10_IbLb0EEEEDaSW_SX_EUlSW_E_NS1_11comp_targetILNS1_3genE3ELNS1_11target_archE908ELNS1_3gpuE7ELNS1_3repE0EEENS1_30default_config_static_selectorELNS0_4arch9wavefront6targetE1EEEvT1_ ; -- Begin function _ZN7rocprim17ROCPRIM_400000_NS6detail17trampoline_kernelINS0_14default_configENS1_27scan_by_key_config_selectorIiiEEZZNS1_16scan_by_key_implILNS1_25lookback_scan_determinismE0ELb1ES3_N6thrust23THRUST_200600_302600_NS6detail15normal_iteratorINS9_10device_ptrIiEEEENSB_INSC_IjEEEESE_iNS9_4plusIvEENS9_8equal_toIvEEiEE10hipError_tPvRmT2_T3_T4_T5_mT6_T7_P12ihipStream_tbENKUlT_T0_E_clISt17integral_constantIbLb1EES10_IbLb0EEEEDaSW_SX_EUlSW_E_NS1_11comp_targetILNS1_3genE3ELNS1_11target_archE908ELNS1_3gpuE7ELNS1_3repE0EEENS1_30default_config_static_selectorELNS0_4arch9wavefront6targetE1EEEvT1_
	.globl	_ZN7rocprim17ROCPRIM_400000_NS6detail17trampoline_kernelINS0_14default_configENS1_27scan_by_key_config_selectorIiiEEZZNS1_16scan_by_key_implILNS1_25lookback_scan_determinismE0ELb1ES3_N6thrust23THRUST_200600_302600_NS6detail15normal_iteratorINS9_10device_ptrIiEEEENSB_INSC_IjEEEESE_iNS9_4plusIvEENS9_8equal_toIvEEiEE10hipError_tPvRmT2_T3_T4_T5_mT6_T7_P12ihipStream_tbENKUlT_T0_E_clISt17integral_constantIbLb1EES10_IbLb0EEEEDaSW_SX_EUlSW_E_NS1_11comp_targetILNS1_3genE3ELNS1_11target_archE908ELNS1_3gpuE7ELNS1_3repE0EEENS1_30default_config_static_selectorELNS0_4arch9wavefront6targetE1EEEvT1_
	.p2align	8
	.type	_ZN7rocprim17ROCPRIM_400000_NS6detail17trampoline_kernelINS0_14default_configENS1_27scan_by_key_config_selectorIiiEEZZNS1_16scan_by_key_implILNS1_25lookback_scan_determinismE0ELb1ES3_N6thrust23THRUST_200600_302600_NS6detail15normal_iteratorINS9_10device_ptrIiEEEENSB_INSC_IjEEEESE_iNS9_4plusIvEENS9_8equal_toIvEEiEE10hipError_tPvRmT2_T3_T4_T5_mT6_T7_P12ihipStream_tbENKUlT_T0_E_clISt17integral_constantIbLb1EES10_IbLb0EEEEDaSW_SX_EUlSW_E_NS1_11comp_targetILNS1_3genE3ELNS1_11target_archE908ELNS1_3gpuE7ELNS1_3repE0EEENS1_30default_config_static_selectorELNS0_4arch9wavefront6targetE1EEEvT1_,@function
_ZN7rocprim17ROCPRIM_400000_NS6detail17trampoline_kernelINS0_14default_configENS1_27scan_by_key_config_selectorIiiEEZZNS1_16scan_by_key_implILNS1_25lookback_scan_determinismE0ELb1ES3_N6thrust23THRUST_200600_302600_NS6detail15normal_iteratorINS9_10device_ptrIiEEEENSB_INSC_IjEEEESE_iNS9_4plusIvEENS9_8equal_toIvEEiEE10hipError_tPvRmT2_T3_T4_T5_mT6_T7_P12ihipStream_tbENKUlT_T0_E_clISt17integral_constantIbLb1EES10_IbLb0EEEEDaSW_SX_EUlSW_E_NS1_11comp_targetILNS1_3genE3ELNS1_11target_archE908ELNS1_3gpuE7ELNS1_3repE0EEENS1_30default_config_static_selectorELNS0_4arch9wavefront6targetE1EEEvT1_: ; @_ZN7rocprim17ROCPRIM_400000_NS6detail17trampoline_kernelINS0_14default_configENS1_27scan_by_key_config_selectorIiiEEZZNS1_16scan_by_key_implILNS1_25lookback_scan_determinismE0ELb1ES3_N6thrust23THRUST_200600_302600_NS6detail15normal_iteratorINS9_10device_ptrIiEEEENSB_INSC_IjEEEESE_iNS9_4plusIvEENS9_8equal_toIvEEiEE10hipError_tPvRmT2_T3_T4_T5_mT6_T7_P12ihipStream_tbENKUlT_T0_E_clISt17integral_constantIbLb1EES10_IbLb0EEEEDaSW_SX_EUlSW_E_NS1_11comp_targetILNS1_3genE3ELNS1_11target_archE908ELNS1_3gpuE7ELNS1_3repE0EEENS1_30default_config_static_selectorELNS0_4arch9wavefront6targetE1EEEvT1_
; %bb.0:
	.section	.rodata,"a",@progbits
	.p2align	6, 0x0
	.amdhsa_kernel _ZN7rocprim17ROCPRIM_400000_NS6detail17trampoline_kernelINS0_14default_configENS1_27scan_by_key_config_selectorIiiEEZZNS1_16scan_by_key_implILNS1_25lookback_scan_determinismE0ELb1ES3_N6thrust23THRUST_200600_302600_NS6detail15normal_iteratorINS9_10device_ptrIiEEEENSB_INSC_IjEEEESE_iNS9_4plusIvEENS9_8equal_toIvEEiEE10hipError_tPvRmT2_T3_T4_T5_mT6_T7_P12ihipStream_tbENKUlT_T0_E_clISt17integral_constantIbLb1EES10_IbLb0EEEEDaSW_SX_EUlSW_E_NS1_11comp_targetILNS1_3genE3ELNS1_11target_archE908ELNS1_3gpuE7ELNS1_3repE0EEENS1_30default_config_static_selectorELNS0_4arch9wavefront6targetE1EEEvT1_
		.amdhsa_group_segment_fixed_size 0
		.amdhsa_private_segment_fixed_size 0
		.amdhsa_kernarg_size 112
		.amdhsa_user_sgpr_count 2
		.amdhsa_user_sgpr_dispatch_ptr 0
		.amdhsa_user_sgpr_queue_ptr 0
		.amdhsa_user_sgpr_kernarg_segment_ptr 1
		.amdhsa_user_sgpr_dispatch_id 0
		.amdhsa_user_sgpr_kernarg_preload_length 0
		.amdhsa_user_sgpr_kernarg_preload_offset 0
		.amdhsa_user_sgpr_private_segment_size 0
		.amdhsa_uses_dynamic_stack 0
		.amdhsa_enable_private_segment 0
		.amdhsa_system_sgpr_workgroup_id_x 1
		.amdhsa_system_sgpr_workgroup_id_y 0
		.amdhsa_system_sgpr_workgroup_id_z 0
		.amdhsa_system_sgpr_workgroup_info 0
		.amdhsa_system_vgpr_workitem_id 0
		.amdhsa_next_free_vgpr 1
		.amdhsa_next_free_sgpr 0
		.amdhsa_accum_offset 4
		.amdhsa_reserve_vcc 0
		.amdhsa_float_round_mode_32 0
		.amdhsa_float_round_mode_16_64 0
		.amdhsa_float_denorm_mode_32 3
		.amdhsa_float_denorm_mode_16_64 3
		.amdhsa_dx10_clamp 1
		.amdhsa_ieee_mode 1
		.amdhsa_fp16_overflow 0
		.amdhsa_tg_split 0
		.amdhsa_exception_fp_ieee_invalid_op 0
		.amdhsa_exception_fp_denorm_src 0
		.amdhsa_exception_fp_ieee_div_zero 0
		.amdhsa_exception_fp_ieee_overflow 0
		.amdhsa_exception_fp_ieee_underflow 0
		.amdhsa_exception_fp_ieee_inexact 0
		.amdhsa_exception_int_div_zero 0
	.end_amdhsa_kernel
	.section	.text._ZN7rocprim17ROCPRIM_400000_NS6detail17trampoline_kernelINS0_14default_configENS1_27scan_by_key_config_selectorIiiEEZZNS1_16scan_by_key_implILNS1_25lookback_scan_determinismE0ELb1ES3_N6thrust23THRUST_200600_302600_NS6detail15normal_iteratorINS9_10device_ptrIiEEEENSB_INSC_IjEEEESE_iNS9_4plusIvEENS9_8equal_toIvEEiEE10hipError_tPvRmT2_T3_T4_T5_mT6_T7_P12ihipStream_tbENKUlT_T0_E_clISt17integral_constantIbLb1EES10_IbLb0EEEEDaSW_SX_EUlSW_E_NS1_11comp_targetILNS1_3genE3ELNS1_11target_archE908ELNS1_3gpuE7ELNS1_3repE0EEENS1_30default_config_static_selectorELNS0_4arch9wavefront6targetE1EEEvT1_,"axG",@progbits,_ZN7rocprim17ROCPRIM_400000_NS6detail17trampoline_kernelINS0_14default_configENS1_27scan_by_key_config_selectorIiiEEZZNS1_16scan_by_key_implILNS1_25lookback_scan_determinismE0ELb1ES3_N6thrust23THRUST_200600_302600_NS6detail15normal_iteratorINS9_10device_ptrIiEEEENSB_INSC_IjEEEESE_iNS9_4plusIvEENS9_8equal_toIvEEiEE10hipError_tPvRmT2_T3_T4_T5_mT6_T7_P12ihipStream_tbENKUlT_T0_E_clISt17integral_constantIbLb1EES10_IbLb0EEEEDaSW_SX_EUlSW_E_NS1_11comp_targetILNS1_3genE3ELNS1_11target_archE908ELNS1_3gpuE7ELNS1_3repE0EEENS1_30default_config_static_selectorELNS0_4arch9wavefront6targetE1EEEvT1_,comdat
.Lfunc_end1774:
	.size	_ZN7rocprim17ROCPRIM_400000_NS6detail17trampoline_kernelINS0_14default_configENS1_27scan_by_key_config_selectorIiiEEZZNS1_16scan_by_key_implILNS1_25lookback_scan_determinismE0ELb1ES3_N6thrust23THRUST_200600_302600_NS6detail15normal_iteratorINS9_10device_ptrIiEEEENSB_INSC_IjEEEESE_iNS9_4plusIvEENS9_8equal_toIvEEiEE10hipError_tPvRmT2_T3_T4_T5_mT6_T7_P12ihipStream_tbENKUlT_T0_E_clISt17integral_constantIbLb1EES10_IbLb0EEEEDaSW_SX_EUlSW_E_NS1_11comp_targetILNS1_3genE3ELNS1_11target_archE908ELNS1_3gpuE7ELNS1_3repE0EEENS1_30default_config_static_selectorELNS0_4arch9wavefront6targetE1EEEvT1_, .Lfunc_end1774-_ZN7rocprim17ROCPRIM_400000_NS6detail17trampoline_kernelINS0_14default_configENS1_27scan_by_key_config_selectorIiiEEZZNS1_16scan_by_key_implILNS1_25lookback_scan_determinismE0ELb1ES3_N6thrust23THRUST_200600_302600_NS6detail15normal_iteratorINS9_10device_ptrIiEEEENSB_INSC_IjEEEESE_iNS9_4plusIvEENS9_8equal_toIvEEiEE10hipError_tPvRmT2_T3_T4_T5_mT6_T7_P12ihipStream_tbENKUlT_T0_E_clISt17integral_constantIbLb1EES10_IbLb0EEEEDaSW_SX_EUlSW_E_NS1_11comp_targetILNS1_3genE3ELNS1_11target_archE908ELNS1_3gpuE7ELNS1_3repE0EEENS1_30default_config_static_selectorELNS0_4arch9wavefront6targetE1EEEvT1_
                                        ; -- End function
	.section	.AMDGPU.csdata,"",@progbits
; Kernel info:
; codeLenInByte = 0
; NumSgprs: 6
; NumVgprs: 0
; NumAgprs: 0
; TotalNumVgprs: 0
; ScratchSize: 0
; MemoryBound: 0
; FloatMode: 240
; IeeeMode: 1
; LDSByteSize: 0 bytes/workgroup (compile time only)
; SGPRBlocks: 0
; VGPRBlocks: 0
; NumSGPRsForWavesPerEU: 6
; NumVGPRsForWavesPerEU: 1
; AccumOffset: 4
; Occupancy: 8
; WaveLimiterHint : 0
; COMPUTE_PGM_RSRC2:SCRATCH_EN: 0
; COMPUTE_PGM_RSRC2:USER_SGPR: 2
; COMPUTE_PGM_RSRC2:TRAP_HANDLER: 0
; COMPUTE_PGM_RSRC2:TGID_X_EN: 1
; COMPUTE_PGM_RSRC2:TGID_Y_EN: 0
; COMPUTE_PGM_RSRC2:TGID_Z_EN: 0
; COMPUTE_PGM_RSRC2:TIDIG_COMP_CNT: 0
; COMPUTE_PGM_RSRC3_GFX90A:ACCUM_OFFSET: 0
; COMPUTE_PGM_RSRC3_GFX90A:TG_SPLIT: 0
	.section	.text._ZN7rocprim17ROCPRIM_400000_NS6detail17trampoline_kernelINS0_14default_configENS1_27scan_by_key_config_selectorIiiEEZZNS1_16scan_by_key_implILNS1_25lookback_scan_determinismE0ELb1ES3_N6thrust23THRUST_200600_302600_NS6detail15normal_iteratorINS9_10device_ptrIiEEEENSB_INSC_IjEEEESE_iNS9_4plusIvEENS9_8equal_toIvEEiEE10hipError_tPvRmT2_T3_T4_T5_mT6_T7_P12ihipStream_tbENKUlT_T0_E_clISt17integral_constantIbLb1EES10_IbLb0EEEEDaSW_SX_EUlSW_E_NS1_11comp_targetILNS1_3genE2ELNS1_11target_archE906ELNS1_3gpuE6ELNS1_3repE0EEENS1_30default_config_static_selectorELNS0_4arch9wavefront6targetE1EEEvT1_,"axG",@progbits,_ZN7rocprim17ROCPRIM_400000_NS6detail17trampoline_kernelINS0_14default_configENS1_27scan_by_key_config_selectorIiiEEZZNS1_16scan_by_key_implILNS1_25lookback_scan_determinismE0ELb1ES3_N6thrust23THRUST_200600_302600_NS6detail15normal_iteratorINS9_10device_ptrIiEEEENSB_INSC_IjEEEESE_iNS9_4plusIvEENS9_8equal_toIvEEiEE10hipError_tPvRmT2_T3_T4_T5_mT6_T7_P12ihipStream_tbENKUlT_T0_E_clISt17integral_constantIbLb1EES10_IbLb0EEEEDaSW_SX_EUlSW_E_NS1_11comp_targetILNS1_3genE2ELNS1_11target_archE906ELNS1_3gpuE6ELNS1_3repE0EEENS1_30default_config_static_selectorELNS0_4arch9wavefront6targetE1EEEvT1_,comdat
	.protected	_ZN7rocprim17ROCPRIM_400000_NS6detail17trampoline_kernelINS0_14default_configENS1_27scan_by_key_config_selectorIiiEEZZNS1_16scan_by_key_implILNS1_25lookback_scan_determinismE0ELb1ES3_N6thrust23THRUST_200600_302600_NS6detail15normal_iteratorINS9_10device_ptrIiEEEENSB_INSC_IjEEEESE_iNS9_4plusIvEENS9_8equal_toIvEEiEE10hipError_tPvRmT2_T3_T4_T5_mT6_T7_P12ihipStream_tbENKUlT_T0_E_clISt17integral_constantIbLb1EES10_IbLb0EEEEDaSW_SX_EUlSW_E_NS1_11comp_targetILNS1_3genE2ELNS1_11target_archE906ELNS1_3gpuE6ELNS1_3repE0EEENS1_30default_config_static_selectorELNS0_4arch9wavefront6targetE1EEEvT1_ ; -- Begin function _ZN7rocprim17ROCPRIM_400000_NS6detail17trampoline_kernelINS0_14default_configENS1_27scan_by_key_config_selectorIiiEEZZNS1_16scan_by_key_implILNS1_25lookback_scan_determinismE0ELb1ES3_N6thrust23THRUST_200600_302600_NS6detail15normal_iteratorINS9_10device_ptrIiEEEENSB_INSC_IjEEEESE_iNS9_4plusIvEENS9_8equal_toIvEEiEE10hipError_tPvRmT2_T3_T4_T5_mT6_T7_P12ihipStream_tbENKUlT_T0_E_clISt17integral_constantIbLb1EES10_IbLb0EEEEDaSW_SX_EUlSW_E_NS1_11comp_targetILNS1_3genE2ELNS1_11target_archE906ELNS1_3gpuE6ELNS1_3repE0EEENS1_30default_config_static_selectorELNS0_4arch9wavefront6targetE1EEEvT1_
	.globl	_ZN7rocprim17ROCPRIM_400000_NS6detail17trampoline_kernelINS0_14default_configENS1_27scan_by_key_config_selectorIiiEEZZNS1_16scan_by_key_implILNS1_25lookback_scan_determinismE0ELb1ES3_N6thrust23THRUST_200600_302600_NS6detail15normal_iteratorINS9_10device_ptrIiEEEENSB_INSC_IjEEEESE_iNS9_4plusIvEENS9_8equal_toIvEEiEE10hipError_tPvRmT2_T3_T4_T5_mT6_T7_P12ihipStream_tbENKUlT_T0_E_clISt17integral_constantIbLb1EES10_IbLb0EEEEDaSW_SX_EUlSW_E_NS1_11comp_targetILNS1_3genE2ELNS1_11target_archE906ELNS1_3gpuE6ELNS1_3repE0EEENS1_30default_config_static_selectorELNS0_4arch9wavefront6targetE1EEEvT1_
	.p2align	8
	.type	_ZN7rocprim17ROCPRIM_400000_NS6detail17trampoline_kernelINS0_14default_configENS1_27scan_by_key_config_selectorIiiEEZZNS1_16scan_by_key_implILNS1_25lookback_scan_determinismE0ELb1ES3_N6thrust23THRUST_200600_302600_NS6detail15normal_iteratorINS9_10device_ptrIiEEEENSB_INSC_IjEEEESE_iNS9_4plusIvEENS9_8equal_toIvEEiEE10hipError_tPvRmT2_T3_T4_T5_mT6_T7_P12ihipStream_tbENKUlT_T0_E_clISt17integral_constantIbLb1EES10_IbLb0EEEEDaSW_SX_EUlSW_E_NS1_11comp_targetILNS1_3genE2ELNS1_11target_archE906ELNS1_3gpuE6ELNS1_3repE0EEENS1_30default_config_static_selectorELNS0_4arch9wavefront6targetE1EEEvT1_,@function
_ZN7rocprim17ROCPRIM_400000_NS6detail17trampoline_kernelINS0_14default_configENS1_27scan_by_key_config_selectorIiiEEZZNS1_16scan_by_key_implILNS1_25lookback_scan_determinismE0ELb1ES3_N6thrust23THRUST_200600_302600_NS6detail15normal_iteratorINS9_10device_ptrIiEEEENSB_INSC_IjEEEESE_iNS9_4plusIvEENS9_8equal_toIvEEiEE10hipError_tPvRmT2_T3_T4_T5_mT6_T7_P12ihipStream_tbENKUlT_T0_E_clISt17integral_constantIbLb1EES10_IbLb0EEEEDaSW_SX_EUlSW_E_NS1_11comp_targetILNS1_3genE2ELNS1_11target_archE906ELNS1_3gpuE6ELNS1_3repE0EEENS1_30default_config_static_selectorELNS0_4arch9wavefront6targetE1EEEvT1_: ; @_ZN7rocprim17ROCPRIM_400000_NS6detail17trampoline_kernelINS0_14default_configENS1_27scan_by_key_config_selectorIiiEEZZNS1_16scan_by_key_implILNS1_25lookback_scan_determinismE0ELb1ES3_N6thrust23THRUST_200600_302600_NS6detail15normal_iteratorINS9_10device_ptrIiEEEENSB_INSC_IjEEEESE_iNS9_4plusIvEENS9_8equal_toIvEEiEE10hipError_tPvRmT2_T3_T4_T5_mT6_T7_P12ihipStream_tbENKUlT_T0_E_clISt17integral_constantIbLb1EES10_IbLb0EEEEDaSW_SX_EUlSW_E_NS1_11comp_targetILNS1_3genE2ELNS1_11target_archE906ELNS1_3gpuE6ELNS1_3repE0EEENS1_30default_config_static_selectorELNS0_4arch9wavefront6targetE1EEEvT1_
; %bb.0:
	.section	.rodata,"a",@progbits
	.p2align	6, 0x0
	.amdhsa_kernel _ZN7rocprim17ROCPRIM_400000_NS6detail17trampoline_kernelINS0_14default_configENS1_27scan_by_key_config_selectorIiiEEZZNS1_16scan_by_key_implILNS1_25lookback_scan_determinismE0ELb1ES3_N6thrust23THRUST_200600_302600_NS6detail15normal_iteratorINS9_10device_ptrIiEEEENSB_INSC_IjEEEESE_iNS9_4plusIvEENS9_8equal_toIvEEiEE10hipError_tPvRmT2_T3_T4_T5_mT6_T7_P12ihipStream_tbENKUlT_T0_E_clISt17integral_constantIbLb1EES10_IbLb0EEEEDaSW_SX_EUlSW_E_NS1_11comp_targetILNS1_3genE2ELNS1_11target_archE906ELNS1_3gpuE6ELNS1_3repE0EEENS1_30default_config_static_selectorELNS0_4arch9wavefront6targetE1EEEvT1_
		.amdhsa_group_segment_fixed_size 0
		.amdhsa_private_segment_fixed_size 0
		.amdhsa_kernarg_size 112
		.amdhsa_user_sgpr_count 2
		.amdhsa_user_sgpr_dispatch_ptr 0
		.amdhsa_user_sgpr_queue_ptr 0
		.amdhsa_user_sgpr_kernarg_segment_ptr 1
		.amdhsa_user_sgpr_dispatch_id 0
		.amdhsa_user_sgpr_kernarg_preload_length 0
		.amdhsa_user_sgpr_kernarg_preload_offset 0
		.amdhsa_user_sgpr_private_segment_size 0
		.amdhsa_uses_dynamic_stack 0
		.amdhsa_enable_private_segment 0
		.amdhsa_system_sgpr_workgroup_id_x 1
		.amdhsa_system_sgpr_workgroup_id_y 0
		.amdhsa_system_sgpr_workgroup_id_z 0
		.amdhsa_system_sgpr_workgroup_info 0
		.amdhsa_system_vgpr_workitem_id 0
		.amdhsa_next_free_vgpr 1
		.amdhsa_next_free_sgpr 0
		.amdhsa_accum_offset 4
		.amdhsa_reserve_vcc 0
		.amdhsa_float_round_mode_32 0
		.amdhsa_float_round_mode_16_64 0
		.amdhsa_float_denorm_mode_32 3
		.amdhsa_float_denorm_mode_16_64 3
		.amdhsa_dx10_clamp 1
		.amdhsa_ieee_mode 1
		.amdhsa_fp16_overflow 0
		.amdhsa_tg_split 0
		.amdhsa_exception_fp_ieee_invalid_op 0
		.amdhsa_exception_fp_denorm_src 0
		.amdhsa_exception_fp_ieee_div_zero 0
		.amdhsa_exception_fp_ieee_overflow 0
		.amdhsa_exception_fp_ieee_underflow 0
		.amdhsa_exception_fp_ieee_inexact 0
		.amdhsa_exception_int_div_zero 0
	.end_amdhsa_kernel
	.section	.text._ZN7rocprim17ROCPRIM_400000_NS6detail17trampoline_kernelINS0_14default_configENS1_27scan_by_key_config_selectorIiiEEZZNS1_16scan_by_key_implILNS1_25lookback_scan_determinismE0ELb1ES3_N6thrust23THRUST_200600_302600_NS6detail15normal_iteratorINS9_10device_ptrIiEEEENSB_INSC_IjEEEESE_iNS9_4plusIvEENS9_8equal_toIvEEiEE10hipError_tPvRmT2_T3_T4_T5_mT6_T7_P12ihipStream_tbENKUlT_T0_E_clISt17integral_constantIbLb1EES10_IbLb0EEEEDaSW_SX_EUlSW_E_NS1_11comp_targetILNS1_3genE2ELNS1_11target_archE906ELNS1_3gpuE6ELNS1_3repE0EEENS1_30default_config_static_selectorELNS0_4arch9wavefront6targetE1EEEvT1_,"axG",@progbits,_ZN7rocprim17ROCPRIM_400000_NS6detail17trampoline_kernelINS0_14default_configENS1_27scan_by_key_config_selectorIiiEEZZNS1_16scan_by_key_implILNS1_25lookback_scan_determinismE0ELb1ES3_N6thrust23THRUST_200600_302600_NS6detail15normal_iteratorINS9_10device_ptrIiEEEENSB_INSC_IjEEEESE_iNS9_4plusIvEENS9_8equal_toIvEEiEE10hipError_tPvRmT2_T3_T4_T5_mT6_T7_P12ihipStream_tbENKUlT_T0_E_clISt17integral_constantIbLb1EES10_IbLb0EEEEDaSW_SX_EUlSW_E_NS1_11comp_targetILNS1_3genE2ELNS1_11target_archE906ELNS1_3gpuE6ELNS1_3repE0EEENS1_30default_config_static_selectorELNS0_4arch9wavefront6targetE1EEEvT1_,comdat
.Lfunc_end1775:
	.size	_ZN7rocprim17ROCPRIM_400000_NS6detail17trampoline_kernelINS0_14default_configENS1_27scan_by_key_config_selectorIiiEEZZNS1_16scan_by_key_implILNS1_25lookback_scan_determinismE0ELb1ES3_N6thrust23THRUST_200600_302600_NS6detail15normal_iteratorINS9_10device_ptrIiEEEENSB_INSC_IjEEEESE_iNS9_4plusIvEENS9_8equal_toIvEEiEE10hipError_tPvRmT2_T3_T4_T5_mT6_T7_P12ihipStream_tbENKUlT_T0_E_clISt17integral_constantIbLb1EES10_IbLb0EEEEDaSW_SX_EUlSW_E_NS1_11comp_targetILNS1_3genE2ELNS1_11target_archE906ELNS1_3gpuE6ELNS1_3repE0EEENS1_30default_config_static_selectorELNS0_4arch9wavefront6targetE1EEEvT1_, .Lfunc_end1775-_ZN7rocprim17ROCPRIM_400000_NS6detail17trampoline_kernelINS0_14default_configENS1_27scan_by_key_config_selectorIiiEEZZNS1_16scan_by_key_implILNS1_25lookback_scan_determinismE0ELb1ES3_N6thrust23THRUST_200600_302600_NS6detail15normal_iteratorINS9_10device_ptrIiEEEENSB_INSC_IjEEEESE_iNS9_4plusIvEENS9_8equal_toIvEEiEE10hipError_tPvRmT2_T3_T4_T5_mT6_T7_P12ihipStream_tbENKUlT_T0_E_clISt17integral_constantIbLb1EES10_IbLb0EEEEDaSW_SX_EUlSW_E_NS1_11comp_targetILNS1_3genE2ELNS1_11target_archE906ELNS1_3gpuE6ELNS1_3repE0EEENS1_30default_config_static_selectorELNS0_4arch9wavefront6targetE1EEEvT1_
                                        ; -- End function
	.section	.AMDGPU.csdata,"",@progbits
; Kernel info:
; codeLenInByte = 0
; NumSgprs: 6
; NumVgprs: 0
; NumAgprs: 0
; TotalNumVgprs: 0
; ScratchSize: 0
; MemoryBound: 0
; FloatMode: 240
; IeeeMode: 1
; LDSByteSize: 0 bytes/workgroup (compile time only)
; SGPRBlocks: 0
; VGPRBlocks: 0
; NumSGPRsForWavesPerEU: 6
; NumVGPRsForWavesPerEU: 1
; AccumOffset: 4
; Occupancy: 8
; WaveLimiterHint : 0
; COMPUTE_PGM_RSRC2:SCRATCH_EN: 0
; COMPUTE_PGM_RSRC2:USER_SGPR: 2
; COMPUTE_PGM_RSRC2:TRAP_HANDLER: 0
; COMPUTE_PGM_RSRC2:TGID_X_EN: 1
; COMPUTE_PGM_RSRC2:TGID_Y_EN: 0
; COMPUTE_PGM_RSRC2:TGID_Z_EN: 0
; COMPUTE_PGM_RSRC2:TIDIG_COMP_CNT: 0
; COMPUTE_PGM_RSRC3_GFX90A:ACCUM_OFFSET: 0
; COMPUTE_PGM_RSRC3_GFX90A:TG_SPLIT: 0
	.section	.text._ZN7rocprim17ROCPRIM_400000_NS6detail17trampoline_kernelINS0_14default_configENS1_27scan_by_key_config_selectorIiiEEZZNS1_16scan_by_key_implILNS1_25lookback_scan_determinismE0ELb1ES3_N6thrust23THRUST_200600_302600_NS6detail15normal_iteratorINS9_10device_ptrIiEEEENSB_INSC_IjEEEESE_iNS9_4plusIvEENS9_8equal_toIvEEiEE10hipError_tPvRmT2_T3_T4_T5_mT6_T7_P12ihipStream_tbENKUlT_T0_E_clISt17integral_constantIbLb1EES10_IbLb0EEEEDaSW_SX_EUlSW_E_NS1_11comp_targetILNS1_3genE10ELNS1_11target_archE1200ELNS1_3gpuE4ELNS1_3repE0EEENS1_30default_config_static_selectorELNS0_4arch9wavefront6targetE1EEEvT1_,"axG",@progbits,_ZN7rocprim17ROCPRIM_400000_NS6detail17trampoline_kernelINS0_14default_configENS1_27scan_by_key_config_selectorIiiEEZZNS1_16scan_by_key_implILNS1_25lookback_scan_determinismE0ELb1ES3_N6thrust23THRUST_200600_302600_NS6detail15normal_iteratorINS9_10device_ptrIiEEEENSB_INSC_IjEEEESE_iNS9_4plusIvEENS9_8equal_toIvEEiEE10hipError_tPvRmT2_T3_T4_T5_mT6_T7_P12ihipStream_tbENKUlT_T0_E_clISt17integral_constantIbLb1EES10_IbLb0EEEEDaSW_SX_EUlSW_E_NS1_11comp_targetILNS1_3genE10ELNS1_11target_archE1200ELNS1_3gpuE4ELNS1_3repE0EEENS1_30default_config_static_selectorELNS0_4arch9wavefront6targetE1EEEvT1_,comdat
	.protected	_ZN7rocprim17ROCPRIM_400000_NS6detail17trampoline_kernelINS0_14default_configENS1_27scan_by_key_config_selectorIiiEEZZNS1_16scan_by_key_implILNS1_25lookback_scan_determinismE0ELb1ES3_N6thrust23THRUST_200600_302600_NS6detail15normal_iteratorINS9_10device_ptrIiEEEENSB_INSC_IjEEEESE_iNS9_4plusIvEENS9_8equal_toIvEEiEE10hipError_tPvRmT2_T3_T4_T5_mT6_T7_P12ihipStream_tbENKUlT_T0_E_clISt17integral_constantIbLb1EES10_IbLb0EEEEDaSW_SX_EUlSW_E_NS1_11comp_targetILNS1_3genE10ELNS1_11target_archE1200ELNS1_3gpuE4ELNS1_3repE0EEENS1_30default_config_static_selectorELNS0_4arch9wavefront6targetE1EEEvT1_ ; -- Begin function _ZN7rocprim17ROCPRIM_400000_NS6detail17trampoline_kernelINS0_14default_configENS1_27scan_by_key_config_selectorIiiEEZZNS1_16scan_by_key_implILNS1_25lookback_scan_determinismE0ELb1ES3_N6thrust23THRUST_200600_302600_NS6detail15normal_iteratorINS9_10device_ptrIiEEEENSB_INSC_IjEEEESE_iNS9_4plusIvEENS9_8equal_toIvEEiEE10hipError_tPvRmT2_T3_T4_T5_mT6_T7_P12ihipStream_tbENKUlT_T0_E_clISt17integral_constantIbLb1EES10_IbLb0EEEEDaSW_SX_EUlSW_E_NS1_11comp_targetILNS1_3genE10ELNS1_11target_archE1200ELNS1_3gpuE4ELNS1_3repE0EEENS1_30default_config_static_selectorELNS0_4arch9wavefront6targetE1EEEvT1_
	.globl	_ZN7rocprim17ROCPRIM_400000_NS6detail17trampoline_kernelINS0_14default_configENS1_27scan_by_key_config_selectorIiiEEZZNS1_16scan_by_key_implILNS1_25lookback_scan_determinismE0ELb1ES3_N6thrust23THRUST_200600_302600_NS6detail15normal_iteratorINS9_10device_ptrIiEEEENSB_INSC_IjEEEESE_iNS9_4plusIvEENS9_8equal_toIvEEiEE10hipError_tPvRmT2_T3_T4_T5_mT6_T7_P12ihipStream_tbENKUlT_T0_E_clISt17integral_constantIbLb1EES10_IbLb0EEEEDaSW_SX_EUlSW_E_NS1_11comp_targetILNS1_3genE10ELNS1_11target_archE1200ELNS1_3gpuE4ELNS1_3repE0EEENS1_30default_config_static_selectorELNS0_4arch9wavefront6targetE1EEEvT1_
	.p2align	8
	.type	_ZN7rocprim17ROCPRIM_400000_NS6detail17trampoline_kernelINS0_14default_configENS1_27scan_by_key_config_selectorIiiEEZZNS1_16scan_by_key_implILNS1_25lookback_scan_determinismE0ELb1ES3_N6thrust23THRUST_200600_302600_NS6detail15normal_iteratorINS9_10device_ptrIiEEEENSB_INSC_IjEEEESE_iNS9_4plusIvEENS9_8equal_toIvEEiEE10hipError_tPvRmT2_T3_T4_T5_mT6_T7_P12ihipStream_tbENKUlT_T0_E_clISt17integral_constantIbLb1EES10_IbLb0EEEEDaSW_SX_EUlSW_E_NS1_11comp_targetILNS1_3genE10ELNS1_11target_archE1200ELNS1_3gpuE4ELNS1_3repE0EEENS1_30default_config_static_selectorELNS0_4arch9wavefront6targetE1EEEvT1_,@function
_ZN7rocprim17ROCPRIM_400000_NS6detail17trampoline_kernelINS0_14default_configENS1_27scan_by_key_config_selectorIiiEEZZNS1_16scan_by_key_implILNS1_25lookback_scan_determinismE0ELb1ES3_N6thrust23THRUST_200600_302600_NS6detail15normal_iteratorINS9_10device_ptrIiEEEENSB_INSC_IjEEEESE_iNS9_4plusIvEENS9_8equal_toIvEEiEE10hipError_tPvRmT2_T3_T4_T5_mT6_T7_P12ihipStream_tbENKUlT_T0_E_clISt17integral_constantIbLb1EES10_IbLb0EEEEDaSW_SX_EUlSW_E_NS1_11comp_targetILNS1_3genE10ELNS1_11target_archE1200ELNS1_3gpuE4ELNS1_3repE0EEENS1_30default_config_static_selectorELNS0_4arch9wavefront6targetE1EEEvT1_: ; @_ZN7rocprim17ROCPRIM_400000_NS6detail17trampoline_kernelINS0_14default_configENS1_27scan_by_key_config_selectorIiiEEZZNS1_16scan_by_key_implILNS1_25lookback_scan_determinismE0ELb1ES3_N6thrust23THRUST_200600_302600_NS6detail15normal_iteratorINS9_10device_ptrIiEEEENSB_INSC_IjEEEESE_iNS9_4plusIvEENS9_8equal_toIvEEiEE10hipError_tPvRmT2_T3_T4_T5_mT6_T7_P12ihipStream_tbENKUlT_T0_E_clISt17integral_constantIbLb1EES10_IbLb0EEEEDaSW_SX_EUlSW_E_NS1_11comp_targetILNS1_3genE10ELNS1_11target_archE1200ELNS1_3gpuE4ELNS1_3repE0EEENS1_30default_config_static_selectorELNS0_4arch9wavefront6targetE1EEEvT1_
; %bb.0:
	.section	.rodata,"a",@progbits
	.p2align	6, 0x0
	.amdhsa_kernel _ZN7rocprim17ROCPRIM_400000_NS6detail17trampoline_kernelINS0_14default_configENS1_27scan_by_key_config_selectorIiiEEZZNS1_16scan_by_key_implILNS1_25lookback_scan_determinismE0ELb1ES3_N6thrust23THRUST_200600_302600_NS6detail15normal_iteratorINS9_10device_ptrIiEEEENSB_INSC_IjEEEESE_iNS9_4plusIvEENS9_8equal_toIvEEiEE10hipError_tPvRmT2_T3_T4_T5_mT6_T7_P12ihipStream_tbENKUlT_T0_E_clISt17integral_constantIbLb1EES10_IbLb0EEEEDaSW_SX_EUlSW_E_NS1_11comp_targetILNS1_3genE10ELNS1_11target_archE1200ELNS1_3gpuE4ELNS1_3repE0EEENS1_30default_config_static_selectorELNS0_4arch9wavefront6targetE1EEEvT1_
		.amdhsa_group_segment_fixed_size 0
		.amdhsa_private_segment_fixed_size 0
		.amdhsa_kernarg_size 112
		.amdhsa_user_sgpr_count 2
		.amdhsa_user_sgpr_dispatch_ptr 0
		.amdhsa_user_sgpr_queue_ptr 0
		.amdhsa_user_sgpr_kernarg_segment_ptr 1
		.amdhsa_user_sgpr_dispatch_id 0
		.amdhsa_user_sgpr_kernarg_preload_length 0
		.amdhsa_user_sgpr_kernarg_preload_offset 0
		.amdhsa_user_sgpr_private_segment_size 0
		.amdhsa_uses_dynamic_stack 0
		.amdhsa_enable_private_segment 0
		.amdhsa_system_sgpr_workgroup_id_x 1
		.amdhsa_system_sgpr_workgroup_id_y 0
		.amdhsa_system_sgpr_workgroup_id_z 0
		.amdhsa_system_sgpr_workgroup_info 0
		.amdhsa_system_vgpr_workitem_id 0
		.amdhsa_next_free_vgpr 1
		.amdhsa_next_free_sgpr 0
		.amdhsa_accum_offset 4
		.amdhsa_reserve_vcc 0
		.amdhsa_float_round_mode_32 0
		.amdhsa_float_round_mode_16_64 0
		.amdhsa_float_denorm_mode_32 3
		.amdhsa_float_denorm_mode_16_64 3
		.amdhsa_dx10_clamp 1
		.amdhsa_ieee_mode 1
		.amdhsa_fp16_overflow 0
		.amdhsa_tg_split 0
		.amdhsa_exception_fp_ieee_invalid_op 0
		.amdhsa_exception_fp_denorm_src 0
		.amdhsa_exception_fp_ieee_div_zero 0
		.amdhsa_exception_fp_ieee_overflow 0
		.amdhsa_exception_fp_ieee_underflow 0
		.amdhsa_exception_fp_ieee_inexact 0
		.amdhsa_exception_int_div_zero 0
	.end_amdhsa_kernel
	.section	.text._ZN7rocprim17ROCPRIM_400000_NS6detail17trampoline_kernelINS0_14default_configENS1_27scan_by_key_config_selectorIiiEEZZNS1_16scan_by_key_implILNS1_25lookback_scan_determinismE0ELb1ES3_N6thrust23THRUST_200600_302600_NS6detail15normal_iteratorINS9_10device_ptrIiEEEENSB_INSC_IjEEEESE_iNS9_4plusIvEENS9_8equal_toIvEEiEE10hipError_tPvRmT2_T3_T4_T5_mT6_T7_P12ihipStream_tbENKUlT_T0_E_clISt17integral_constantIbLb1EES10_IbLb0EEEEDaSW_SX_EUlSW_E_NS1_11comp_targetILNS1_3genE10ELNS1_11target_archE1200ELNS1_3gpuE4ELNS1_3repE0EEENS1_30default_config_static_selectorELNS0_4arch9wavefront6targetE1EEEvT1_,"axG",@progbits,_ZN7rocprim17ROCPRIM_400000_NS6detail17trampoline_kernelINS0_14default_configENS1_27scan_by_key_config_selectorIiiEEZZNS1_16scan_by_key_implILNS1_25lookback_scan_determinismE0ELb1ES3_N6thrust23THRUST_200600_302600_NS6detail15normal_iteratorINS9_10device_ptrIiEEEENSB_INSC_IjEEEESE_iNS9_4plusIvEENS9_8equal_toIvEEiEE10hipError_tPvRmT2_T3_T4_T5_mT6_T7_P12ihipStream_tbENKUlT_T0_E_clISt17integral_constantIbLb1EES10_IbLb0EEEEDaSW_SX_EUlSW_E_NS1_11comp_targetILNS1_3genE10ELNS1_11target_archE1200ELNS1_3gpuE4ELNS1_3repE0EEENS1_30default_config_static_selectorELNS0_4arch9wavefront6targetE1EEEvT1_,comdat
.Lfunc_end1776:
	.size	_ZN7rocprim17ROCPRIM_400000_NS6detail17trampoline_kernelINS0_14default_configENS1_27scan_by_key_config_selectorIiiEEZZNS1_16scan_by_key_implILNS1_25lookback_scan_determinismE0ELb1ES3_N6thrust23THRUST_200600_302600_NS6detail15normal_iteratorINS9_10device_ptrIiEEEENSB_INSC_IjEEEESE_iNS9_4plusIvEENS9_8equal_toIvEEiEE10hipError_tPvRmT2_T3_T4_T5_mT6_T7_P12ihipStream_tbENKUlT_T0_E_clISt17integral_constantIbLb1EES10_IbLb0EEEEDaSW_SX_EUlSW_E_NS1_11comp_targetILNS1_3genE10ELNS1_11target_archE1200ELNS1_3gpuE4ELNS1_3repE0EEENS1_30default_config_static_selectorELNS0_4arch9wavefront6targetE1EEEvT1_, .Lfunc_end1776-_ZN7rocprim17ROCPRIM_400000_NS6detail17trampoline_kernelINS0_14default_configENS1_27scan_by_key_config_selectorIiiEEZZNS1_16scan_by_key_implILNS1_25lookback_scan_determinismE0ELb1ES3_N6thrust23THRUST_200600_302600_NS6detail15normal_iteratorINS9_10device_ptrIiEEEENSB_INSC_IjEEEESE_iNS9_4plusIvEENS9_8equal_toIvEEiEE10hipError_tPvRmT2_T3_T4_T5_mT6_T7_P12ihipStream_tbENKUlT_T0_E_clISt17integral_constantIbLb1EES10_IbLb0EEEEDaSW_SX_EUlSW_E_NS1_11comp_targetILNS1_3genE10ELNS1_11target_archE1200ELNS1_3gpuE4ELNS1_3repE0EEENS1_30default_config_static_selectorELNS0_4arch9wavefront6targetE1EEEvT1_
                                        ; -- End function
	.section	.AMDGPU.csdata,"",@progbits
; Kernel info:
; codeLenInByte = 0
; NumSgprs: 6
; NumVgprs: 0
; NumAgprs: 0
; TotalNumVgprs: 0
; ScratchSize: 0
; MemoryBound: 0
; FloatMode: 240
; IeeeMode: 1
; LDSByteSize: 0 bytes/workgroup (compile time only)
; SGPRBlocks: 0
; VGPRBlocks: 0
; NumSGPRsForWavesPerEU: 6
; NumVGPRsForWavesPerEU: 1
; AccumOffset: 4
; Occupancy: 8
; WaveLimiterHint : 0
; COMPUTE_PGM_RSRC2:SCRATCH_EN: 0
; COMPUTE_PGM_RSRC2:USER_SGPR: 2
; COMPUTE_PGM_RSRC2:TRAP_HANDLER: 0
; COMPUTE_PGM_RSRC2:TGID_X_EN: 1
; COMPUTE_PGM_RSRC2:TGID_Y_EN: 0
; COMPUTE_PGM_RSRC2:TGID_Z_EN: 0
; COMPUTE_PGM_RSRC2:TIDIG_COMP_CNT: 0
; COMPUTE_PGM_RSRC3_GFX90A:ACCUM_OFFSET: 0
; COMPUTE_PGM_RSRC3_GFX90A:TG_SPLIT: 0
	.section	.text._ZN7rocprim17ROCPRIM_400000_NS6detail17trampoline_kernelINS0_14default_configENS1_27scan_by_key_config_selectorIiiEEZZNS1_16scan_by_key_implILNS1_25lookback_scan_determinismE0ELb1ES3_N6thrust23THRUST_200600_302600_NS6detail15normal_iteratorINS9_10device_ptrIiEEEENSB_INSC_IjEEEESE_iNS9_4plusIvEENS9_8equal_toIvEEiEE10hipError_tPvRmT2_T3_T4_T5_mT6_T7_P12ihipStream_tbENKUlT_T0_E_clISt17integral_constantIbLb1EES10_IbLb0EEEEDaSW_SX_EUlSW_E_NS1_11comp_targetILNS1_3genE9ELNS1_11target_archE1100ELNS1_3gpuE3ELNS1_3repE0EEENS1_30default_config_static_selectorELNS0_4arch9wavefront6targetE1EEEvT1_,"axG",@progbits,_ZN7rocprim17ROCPRIM_400000_NS6detail17trampoline_kernelINS0_14default_configENS1_27scan_by_key_config_selectorIiiEEZZNS1_16scan_by_key_implILNS1_25lookback_scan_determinismE0ELb1ES3_N6thrust23THRUST_200600_302600_NS6detail15normal_iteratorINS9_10device_ptrIiEEEENSB_INSC_IjEEEESE_iNS9_4plusIvEENS9_8equal_toIvEEiEE10hipError_tPvRmT2_T3_T4_T5_mT6_T7_P12ihipStream_tbENKUlT_T0_E_clISt17integral_constantIbLb1EES10_IbLb0EEEEDaSW_SX_EUlSW_E_NS1_11comp_targetILNS1_3genE9ELNS1_11target_archE1100ELNS1_3gpuE3ELNS1_3repE0EEENS1_30default_config_static_selectorELNS0_4arch9wavefront6targetE1EEEvT1_,comdat
	.protected	_ZN7rocprim17ROCPRIM_400000_NS6detail17trampoline_kernelINS0_14default_configENS1_27scan_by_key_config_selectorIiiEEZZNS1_16scan_by_key_implILNS1_25lookback_scan_determinismE0ELb1ES3_N6thrust23THRUST_200600_302600_NS6detail15normal_iteratorINS9_10device_ptrIiEEEENSB_INSC_IjEEEESE_iNS9_4plusIvEENS9_8equal_toIvEEiEE10hipError_tPvRmT2_T3_T4_T5_mT6_T7_P12ihipStream_tbENKUlT_T0_E_clISt17integral_constantIbLb1EES10_IbLb0EEEEDaSW_SX_EUlSW_E_NS1_11comp_targetILNS1_3genE9ELNS1_11target_archE1100ELNS1_3gpuE3ELNS1_3repE0EEENS1_30default_config_static_selectorELNS0_4arch9wavefront6targetE1EEEvT1_ ; -- Begin function _ZN7rocprim17ROCPRIM_400000_NS6detail17trampoline_kernelINS0_14default_configENS1_27scan_by_key_config_selectorIiiEEZZNS1_16scan_by_key_implILNS1_25lookback_scan_determinismE0ELb1ES3_N6thrust23THRUST_200600_302600_NS6detail15normal_iteratorINS9_10device_ptrIiEEEENSB_INSC_IjEEEESE_iNS9_4plusIvEENS9_8equal_toIvEEiEE10hipError_tPvRmT2_T3_T4_T5_mT6_T7_P12ihipStream_tbENKUlT_T0_E_clISt17integral_constantIbLb1EES10_IbLb0EEEEDaSW_SX_EUlSW_E_NS1_11comp_targetILNS1_3genE9ELNS1_11target_archE1100ELNS1_3gpuE3ELNS1_3repE0EEENS1_30default_config_static_selectorELNS0_4arch9wavefront6targetE1EEEvT1_
	.globl	_ZN7rocprim17ROCPRIM_400000_NS6detail17trampoline_kernelINS0_14default_configENS1_27scan_by_key_config_selectorIiiEEZZNS1_16scan_by_key_implILNS1_25lookback_scan_determinismE0ELb1ES3_N6thrust23THRUST_200600_302600_NS6detail15normal_iteratorINS9_10device_ptrIiEEEENSB_INSC_IjEEEESE_iNS9_4plusIvEENS9_8equal_toIvEEiEE10hipError_tPvRmT2_T3_T4_T5_mT6_T7_P12ihipStream_tbENKUlT_T0_E_clISt17integral_constantIbLb1EES10_IbLb0EEEEDaSW_SX_EUlSW_E_NS1_11comp_targetILNS1_3genE9ELNS1_11target_archE1100ELNS1_3gpuE3ELNS1_3repE0EEENS1_30default_config_static_selectorELNS0_4arch9wavefront6targetE1EEEvT1_
	.p2align	8
	.type	_ZN7rocprim17ROCPRIM_400000_NS6detail17trampoline_kernelINS0_14default_configENS1_27scan_by_key_config_selectorIiiEEZZNS1_16scan_by_key_implILNS1_25lookback_scan_determinismE0ELb1ES3_N6thrust23THRUST_200600_302600_NS6detail15normal_iteratorINS9_10device_ptrIiEEEENSB_INSC_IjEEEESE_iNS9_4plusIvEENS9_8equal_toIvEEiEE10hipError_tPvRmT2_T3_T4_T5_mT6_T7_P12ihipStream_tbENKUlT_T0_E_clISt17integral_constantIbLb1EES10_IbLb0EEEEDaSW_SX_EUlSW_E_NS1_11comp_targetILNS1_3genE9ELNS1_11target_archE1100ELNS1_3gpuE3ELNS1_3repE0EEENS1_30default_config_static_selectorELNS0_4arch9wavefront6targetE1EEEvT1_,@function
_ZN7rocprim17ROCPRIM_400000_NS6detail17trampoline_kernelINS0_14default_configENS1_27scan_by_key_config_selectorIiiEEZZNS1_16scan_by_key_implILNS1_25lookback_scan_determinismE0ELb1ES3_N6thrust23THRUST_200600_302600_NS6detail15normal_iteratorINS9_10device_ptrIiEEEENSB_INSC_IjEEEESE_iNS9_4plusIvEENS9_8equal_toIvEEiEE10hipError_tPvRmT2_T3_T4_T5_mT6_T7_P12ihipStream_tbENKUlT_T0_E_clISt17integral_constantIbLb1EES10_IbLb0EEEEDaSW_SX_EUlSW_E_NS1_11comp_targetILNS1_3genE9ELNS1_11target_archE1100ELNS1_3gpuE3ELNS1_3repE0EEENS1_30default_config_static_selectorELNS0_4arch9wavefront6targetE1EEEvT1_: ; @_ZN7rocprim17ROCPRIM_400000_NS6detail17trampoline_kernelINS0_14default_configENS1_27scan_by_key_config_selectorIiiEEZZNS1_16scan_by_key_implILNS1_25lookback_scan_determinismE0ELb1ES3_N6thrust23THRUST_200600_302600_NS6detail15normal_iteratorINS9_10device_ptrIiEEEENSB_INSC_IjEEEESE_iNS9_4plusIvEENS9_8equal_toIvEEiEE10hipError_tPvRmT2_T3_T4_T5_mT6_T7_P12ihipStream_tbENKUlT_T0_E_clISt17integral_constantIbLb1EES10_IbLb0EEEEDaSW_SX_EUlSW_E_NS1_11comp_targetILNS1_3genE9ELNS1_11target_archE1100ELNS1_3gpuE3ELNS1_3repE0EEENS1_30default_config_static_selectorELNS0_4arch9wavefront6targetE1EEEvT1_
; %bb.0:
	.section	.rodata,"a",@progbits
	.p2align	6, 0x0
	.amdhsa_kernel _ZN7rocprim17ROCPRIM_400000_NS6detail17trampoline_kernelINS0_14default_configENS1_27scan_by_key_config_selectorIiiEEZZNS1_16scan_by_key_implILNS1_25lookback_scan_determinismE0ELb1ES3_N6thrust23THRUST_200600_302600_NS6detail15normal_iteratorINS9_10device_ptrIiEEEENSB_INSC_IjEEEESE_iNS9_4plusIvEENS9_8equal_toIvEEiEE10hipError_tPvRmT2_T3_T4_T5_mT6_T7_P12ihipStream_tbENKUlT_T0_E_clISt17integral_constantIbLb1EES10_IbLb0EEEEDaSW_SX_EUlSW_E_NS1_11comp_targetILNS1_3genE9ELNS1_11target_archE1100ELNS1_3gpuE3ELNS1_3repE0EEENS1_30default_config_static_selectorELNS0_4arch9wavefront6targetE1EEEvT1_
		.amdhsa_group_segment_fixed_size 0
		.amdhsa_private_segment_fixed_size 0
		.amdhsa_kernarg_size 112
		.amdhsa_user_sgpr_count 2
		.amdhsa_user_sgpr_dispatch_ptr 0
		.amdhsa_user_sgpr_queue_ptr 0
		.amdhsa_user_sgpr_kernarg_segment_ptr 1
		.amdhsa_user_sgpr_dispatch_id 0
		.amdhsa_user_sgpr_kernarg_preload_length 0
		.amdhsa_user_sgpr_kernarg_preload_offset 0
		.amdhsa_user_sgpr_private_segment_size 0
		.amdhsa_uses_dynamic_stack 0
		.amdhsa_enable_private_segment 0
		.amdhsa_system_sgpr_workgroup_id_x 1
		.amdhsa_system_sgpr_workgroup_id_y 0
		.amdhsa_system_sgpr_workgroup_id_z 0
		.amdhsa_system_sgpr_workgroup_info 0
		.amdhsa_system_vgpr_workitem_id 0
		.amdhsa_next_free_vgpr 1
		.amdhsa_next_free_sgpr 0
		.amdhsa_accum_offset 4
		.amdhsa_reserve_vcc 0
		.amdhsa_float_round_mode_32 0
		.amdhsa_float_round_mode_16_64 0
		.amdhsa_float_denorm_mode_32 3
		.amdhsa_float_denorm_mode_16_64 3
		.amdhsa_dx10_clamp 1
		.amdhsa_ieee_mode 1
		.amdhsa_fp16_overflow 0
		.amdhsa_tg_split 0
		.amdhsa_exception_fp_ieee_invalid_op 0
		.amdhsa_exception_fp_denorm_src 0
		.amdhsa_exception_fp_ieee_div_zero 0
		.amdhsa_exception_fp_ieee_overflow 0
		.amdhsa_exception_fp_ieee_underflow 0
		.amdhsa_exception_fp_ieee_inexact 0
		.amdhsa_exception_int_div_zero 0
	.end_amdhsa_kernel
	.section	.text._ZN7rocprim17ROCPRIM_400000_NS6detail17trampoline_kernelINS0_14default_configENS1_27scan_by_key_config_selectorIiiEEZZNS1_16scan_by_key_implILNS1_25lookback_scan_determinismE0ELb1ES3_N6thrust23THRUST_200600_302600_NS6detail15normal_iteratorINS9_10device_ptrIiEEEENSB_INSC_IjEEEESE_iNS9_4plusIvEENS9_8equal_toIvEEiEE10hipError_tPvRmT2_T3_T4_T5_mT6_T7_P12ihipStream_tbENKUlT_T0_E_clISt17integral_constantIbLb1EES10_IbLb0EEEEDaSW_SX_EUlSW_E_NS1_11comp_targetILNS1_3genE9ELNS1_11target_archE1100ELNS1_3gpuE3ELNS1_3repE0EEENS1_30default_config_static_selectorELNS0_4arch9wavefront6targetE1EEEvT1_,"axG",@progbits,_ZN7rocprim17ROCPRIM_400000_NS6detail17trampoline_kernelINS0_14default_configENS1_27scan_by_key_config_selectorIiiEEZZNS1_16scan_by_key_implILNS1_25lookback_scan_determinismE0ELb1ES3_N6thrust23THRUST_200600_302600_NS6detail15normal_iteratorINS9_10device_ptrIiEEEENSB_INSC_IjEEEESE_iNS9_4plusIvEENS9_8equal_toIvEEiEE10hipError_tPvRmT2_T3_T4_T5_mT6_T7_P12ihipStream_tbENKUlT_T0_E_clISt17integral_constantIbLb1EES10_IbLb0EEEEDaSW_SX_EUlSW_E_NS1_11comp_targetILNS1_3genE9ELNS1_11target_archE1100ELNS1_3gpuE3ELNS1_3repE0EEENS1_30default_config_static_selectorELNS0_4arch9wavefront6targetE1EEEvT1_,comdat
.Lfunc_end1777:
	.size	_ZN7rocprim17ROCPRIM_400000_NS6detail17trampoline_kernelINS0_14default_configENS1_27scan_by_key_config_selectorIiiEEZZNS1_16scan_by_key_implILNS1_25lookback_scan_determinismE0ELb1ES3_N6thrust23THRUST_200600_302600_NS6detail15normal_iteratorINS9_10device_ptrIiEEEENSB_INSC_IjEEEESE_iNS9_4plusIvEENS9_8equal_toIvEEiEE10hipError_tPvRmT2_T3_T4_T5_mT6_T7_P12ihipStream_tbENKUlT_T0_E_clISt17integral_constantIbLb1EES10_IbLb0EEEEDaSW_SX_EUlSW_E_NS1_11comp_targetILNS1_3genE9ELNS1_11target_archE1100ELNS1_3gpuE3ELNS1_3repE0EEENS1_30default_config_static_selectorELNS0_4arch9wavefront6targetE1EEEvT1_, .Lfunc_end1777-_ZN7rocprim17ROCPRIM_400000_NS6detail17trampoline_kernelINS0_14default_configENS1_27scan_by_key_config_selectorIiiEEZZNS1_16scan_by_key_implILNS1_25lookback_scan_determinismE0ELb1ES3_N6thrust23THRUST_200600_302600_NS6detail15normal_iteratorINS9_10device_ptrIiEEEENSB_INSC_IjEEEESE_iNS9_4plusIvEENS9_8equal_toIvEEiEE10hipError_tPvRmT2_T3_T4_T5_mT6_T7_P12ihipStream_tbENKUlT_T0_E_clISt17integral_constantIbLb1EES10_IbLb0EEEEDaSW_SX_EUlSW_E_NS1_11comp_targetILNS1_3genE9ELNS1_11target_archE1100ELNS1_3gpuE3ELNS1_3repE0EEENS1_30default_config_static_selectorELNS0_4arch9wavefront6targetE1EEEvT1_
                                        ; -- End function
	.section	.AMDGPU.csdata,"",@progbits
; Kernel info:
; codeLenInByte = 0
; NumSgprs: 6
; NumVgprs: 0
; NumAgprs: 0
; TotalNumVgprs: 0
; ScratchSize: 0
; MemoryBound: 0
; FloatMode: 240
; IeeeMode: 1
; LDSByteSize: 0 bytes/workgroup (compile time only)
; SGPRBlocks: 0
; VGPRBlocks: 0
; NumSGPRsForWavesPerEU: 6
; NumVGPRsForWavesPerEU: 1
; AccumOffset: 4
; Occupancy: 8
; WaveLimiterHint : 0
; COMPUTE_PGM_RSRC2:SCRATCH_EN: 0
; COMPUTE_PGM_RSRC2:USER_SGPR: 2
; COMPUTE_PGM_RSRC2:TRAP_HANDLER: 0
; COMPUTE_PGM_RSRC2:TGID_X_EN: 1
; COMPUTE_PGM_RSRC2:TGID_Y_EN: 0
; COMPUTE_PGM_RSRC2:TGID_Z_EN: 0
; COMPUTE_PGM_RSRC2:TIDIG_COMP_CNT: 0
; COMPUTE_PGM_RSRC3_GFX90A:ACCUM_OFFSET: 0
; COMPUTE_PGM_RSRC3_GFX90A:TG_SPLIT: 0
	.section	.text._ZN7rocprim17ROCPRIM_400000_NS6detail17trampoline_kernelINS0_14default_configENS1_27scan_by_key_config_selectorIiiEEZZNS1_16scan_by_key_implILNS1_25lookback_scan_determinismE0ELb1ES3_N6thrust23THRUST_200600_302600_NS6detail15normal_iteratorINS9_10device_ptrIiEEEENSB_INSC_IjEEEESE_iNS9_4plusIvEENS9_8equal_toIvEEiEE10hipError_tPvRmT2_T3_T4_T5_mT6_T7_P12ihipStream_tbENKUlT_T0_E_clISt17integral_constantIbLb1EES10_IbLb0EEEEDaSW_SX_EUlSW_E_NS1_11comp_targetILNS1_3genE8ELNS1_11target_archE1030ELNS1_3gpuE2ELNS1_3repE0EEENS1_30default_config_static_selectorELNS0_4arch9wavefront6targetE1EEEvT1_,"axG",@progbits,_ZN7rocprim17ROCPRIM_400000_NS6detail17trampoline_kernelINS0_14default_configENS1_27scan_by_key_config_selectorIiiEEZZNS1_16scan_by_key_implILNS1_25lookback_scan_determinismE0ELb1ES3_N6thrust23THRUST_200600_302600_NS6detail15normal_iteratorINS9_10device_ptrIiEEEENSB_INSC_IjEEEESE_iNS9_4plusIvEENS9_8equal_toIvEEiEE10hipError_tPvRmT2_T3_T4_T5_mT6_T7_P12ihipStream_tbENKUlT_T0_E_clISt17integral_constantIbLb1EES10_IbLb0EEEEDaSW_SX_EUlSW_E_NS1_11comp_targetILNS1_3genE8ELNS1_11target_archE1030ELNS1_3gpuE2ELNS1_3repE0EEENS1_30default_config_static_selectorELNS0_4arch9wavefront6targetE1EEEvT1_,comdat
	.protected	_ZN7rocprim17ROCPRIM_400000_NS6detail17trampoline_kernelINS0_14default_configENS1_27scan_by_key_config_selectorIiiEEZZNS1_16scan_by_key_implILNS1_25lookback_scan_determinismE0ELb1ES3_N6thrust23THRUST_200600_302600_NS6detail15normal_iteratorINS9_10device_ptrIiEEEENSB_INSC_IjEEEESE_iNS9_4plusIvEENS9_8equal_toIvEEiEE10hipError_tPvRmT2_T3_T4_T5_mT6_T7_P12ihipStream_tbENKUlT_T0_E_clISt17integral_constantIbLb1EES10_IbLb0EEEEDaSW_SX_EUlSW_E_NS1_11comp_targetILNS1_3genE8ELNS1_11target_archE1030ELNS1_3gpuE2ELNS1_3repE0EEENS1_30default_config_static_selectorELNS0_4arch9wavefront6targetE1EEEvT1_ ; -- Begin function _ZN7rocprim17ROCPRIM_400000_NS6detail17trampoline_kernelINS0_14default_configENS1_27scan_by_key_config_selectorIiiEEZZNS1_16scan_by_key_implILNS1_25lookback_scan_determinismE0ELb1ES3_N6thrust23THRUST_200600_302600_NS6detail15normal_iteratorINS9_10device_ptrIiEEEENSB_INSC_IjEEEESE_iNS9_4plusIvEENS9_8equal_toIvEEiEE10hipError_tPvRmT2_T3_T4_T5_mT6_T7_P12ihipStream_tbENKUlT_T0_E_clISt17integral_constantIbLb1EES10_IbLb0EEEEDaSW_SX_EUlSW_E_NS1_11comp_targetILNS1_3genE8ELNS1_11target_archE1030ELNS1_3gpuE2ELNS1_3repE0EEENS1_30default_config_static_selectorELNS0_4arch9wavefront6targetE1EEEvT1_
	.globl	_ZN7rocprim17ROCPRIM_400000_NS6detail17trampoline_kernelINS0_14default_configENS1_27scan_by_key_config_selectorIiiEEZZNS1_16scan_by_key_implILNS1_25lookback_scan_determinismE0ELb1ES3_N6thrust23THRUST_200600_302600_NS6detail15normal_iteratorINS9_10device_ptrIiEEEENSB_INSC_IjEEEESE_iNS9_4plusIvEENS9_8equal_toIvEEiEE10hipError_tPvRmT2_T3_T4_T5_mT6_T7_P12ihipStream_tbENKUlT_T0_E_clISt17integral_constantIbLb1EES10_IbLb0EEEEDaSW_SX_EUlSW_E_NS1_11comp_targetILNS1_3genE8ELNS1_11target_archE1030ELNS1_3gpuE2ELNS1_3repE0EEENS1_30default_config_static_selectorELNS0_4arch9wavefront6targetE1EEEvT1_
	.p2align	8
	.type	_ZN7rocprim17ROCPRIM_400000_NS6detail17trampoline_kernelINS0_14default_configENS1_27scan_by_key_config_selectorIiiEEZZNS1_16scan_by_key_implILNS1_25lookback_scan_determinismE0ELb1ES3_N6thrust23THRUST_200600_302600_NS6detail15normal_iteratorINS9_10device_ptrIiEEEENSB_INSC_IjEEEESE_iNS9_4plusIvEENS9_8equal_toIvEEiEE10hipError_tPvRmT2_T3_T4_T5_mT6_T7_P12ihipStream_tbENKUlT_T0_E_clISt17integral_constantIbLb1EES10_IbLb0EEEEDaSW_SX_EUlSW_E_NS1_11comp_targetILNS1_3genE8ELNS1_11target_archE1030ELNS1_3gpuE2ELNS1_3repE0EEENS1_30default_config_static_selectorELNS0_4arch9wavefront6targetE1EEEvT1_,@function
_ZN7rocprim17ROCPRIM_400000_NS6detail17trampoline_kernelINS0_14default_configENS1_27scan_by_key_config_selectorIiiEEZZNS1_16scan_by_key_implILNS1_25lookback_scan_determinismE0ELb1ES3_N6thrust23THRUST_200600_302600_NS6detail15normal_iteratorINS9_10device_ptrIiEEEENSB_INSC_IjEEEESE_iNS9_4plusIvEENS9_8equal_toIvEEiEE10hipError_tPvRmT2_T3_T4_T5_mT6_T7_P12ihipStream_tbENKUlT_T0_E_clISt17integral_constantIbLb1EES10_IbLb0EEEEDaSW_SX_EUlSW_E_NS1_11comp_targetILNS1_3genE8ELNS1_11target_archE1030ELNS1_3gpuE2ELNS1_3repE0EEENS1_30default_config_static_selectorELNS0_4arch9wavefront6targetE1EEEvT1_: ; @_ZN7rocprim17ROCPRIM_400000_NS6detail17trampoline_kernelINS0_14default_configENS1_27scan_by_key_config_selectorIiiEEZZNS1_16scan_by_key_implILNS1_25lookback_scan_determinismE0ELb1ES3_N6thrust23THRUST_200600_302600_NS6detail15normal_iteratorINS9_10device_ptrIiEEEENSB_INSC_IjEEEESE_iNS9_4plusIvEENS9_8equal_toIvEEiEE10hipError_tPvRmT2_T3_T4_T5_mT6_T7_P12ihipStream_tbENKUlT_T0_E_clISt17integral_constantIbLb1EES10_IbLb0EEEEDaSW_SX_EUlSW_E_NS1_11comp_targetILNS1_3genE8ELNS1_11target_archE1030ELNS1_3gpuE2ELNS1_3repE0EEENS1_30default_config_static_selectorELNS0_4arch9wavefront6targetE1EEEvT1_
; %bb.0:
	.section	.rodata,"a",@progbits
	.p2align	6, 0x0
	.amdhsa_kernel _ZN7rocprim17ROCPRIM_400000_NS6detail17trampoline_kernelINS0_14default_configENS1_27scan_by_key_config_selectorIiiEEZZNS1_16scan_by_key_implILNS1_25lookback_scan_determinismE0ELb1ES3_N6thrust23THRUST_200600_302600_NS6detail15normal_iteratorINS9_10device_ptrIiEEEENSB_INSC_IjEEEESE_iNS9_4plusIvEENS9_8equal_toIvEEiEE10hipError_tPvRmT2_T3_T4_T5_mT6_T7_P12ihipStream_tbENKUlT_T0_E_clISt17integral_constantIbLb1EES10_IbLb0EEEEDaSW_SX_EUlSW_E_NS1_11comp_targetILNS1_3genE8ELNS1_11target_archE1030ELNS1_3gpuE2ELNS1_3repE0EEENS1_30default_config_static_selectorELNS0_4arch9wavefront6targetE1EEEvT1_
		.amdhsa_group_segment_fixed_size 0
		.amdhsa_private_segment_fixed_size 0
		.amdhsa_kernarg_size 112
		.amdhsa_user_sgpr_count 2
		.amdhsa_user_sgpr_dispatch_ptr 0
		.amdhsa_user_sgpr_queue_ptr 0
		.amdhsa_user_sgpr_kernarg_segment_ptr 1
		.amdhsa_user_sgpr_dispatch_id 0
		.amdhsa_user_sgpr_kernarg_preload_length 0
		.amdhsa_user_sgpr_kernarg_preload_offset 0
		.amdhsa_user_sgpr_private_segment_size 0
		.amdhsa_uses_dynamic_stack 0
		.amdhsa_enable_private_segment 0
		.amdhsa_system_sgpr_workgroup_id_x 1
		.amdhsa_system_sgpr_workgroup_id_y 0
		.amdhsa_system_sgpr_workgroup_id_z 0
		.amdhsa_system_sgpr_workgroup_info 0
		.amdhsa_system_vgpr_workitem_id 0
		.amdhsa_next_free_vgpr 1
		.amdhsa_next_free_sgpr 0
		.amdhsa_accum_offset 4
		.amdhsa_reserve_vcc 0
		.amdhsa_float_round_mode_32 0
		.amdhsa_float_round_mode_16_64 0
		.amdhsa_float_denorm_mode_32 3
		.amdhsa_float_denorm_mode_16_64 3
		.amdhsa_dx10_clamp 1
		.amdhsa_ieee_mode 1
		.amdhsa_fp16_overflow 0
		.amdhsa_tg_split 0
		.amdhsa_exception_fp_ieee_invalid_op 0
		.amdhsa_exception_fp_denorm_src 0
		.amdhsa_exception_fp_ieee_div_zero 0
		.amdhsa_exception_fp_ieee_overflow 0
		.amdhsa_exception_fp_ieee_underflow 0
		.amdhsa_exception_fp_ieee_inexact 0
		.amdhsa_exception_int_div_zero 0
	.end_amdhsa_kernel
	.section	.text._ZN7rocprim17ROCPRIM_400000_NS6detail17trampoline_kernelINS0_14default_configENS1_27scan_by_key_config_selectorIiiEEZZNS1_16scan_by_key_implILNS1_25lookback_scan_determinismE0ELb1ES3_N6thrust23THRUST_200600_302600_NS6detail15normal_iteratorINS9_10device_ptrIiEEEENSB_INSC_IjEEEESE_iNS9_4plusIvEENS9_8equal_toIvEEiEE10hipError_tPvRmT2_T3_T4_T5_mT6_T7_P12ihipStream_tbENKUlT_T0_E_clISt17integral_constantIbLb1EES10_IbLb0EEEEDaSW_SX_EUlSW_E_NS1_11comp_targetILNS1_3genE8ELNS1_11target_archE1030ELNS1_3gpuE2ELNS1_3repE0EEENS1_30default_config_static_selectorELNS0_4arch9wavefront6targetE1EEEvT1_,"axG",@progbits,_ZN7rocprim17ROCPRIM_400000_NS6detail17trampoline_kernelINS0_14default_configENS1_27scan_by_key_config_selectorIiiEEZZNS1_16scan_by_key_implILNS1_25lookback_scan_determinismE0ELb1ES3_N6thrust23THRUST_200600_302600_NS6detail15normal_iteratorINS9_10device_ptrIiEEEENSB_INSC_IjEEEESE_iNS9_4plusIvEENS9_8equal_toIvEEiEE10hipError_tPvRmT2_T3_T4_T5_mT6_T7_P12ihipStream_tbENKUlT_T0_E_clISt17integral_constantIbLb1EES10_IbLb0EEEEDaSW_SX_EUlSW_E_NS1_11comp_targetILNS1_3genE8ELNS1_11target_archE1030ELNS1_3gpuE2ELNS1_3repE0EEENS1_30default_config_static_selectorELNS0_4arch9wavefront6targetE1EEEvT1_,comdat
.Lfunc_end1778:
	.size	_ZN7rocprim17ROCPRIM_400000_NS6detail17trampoline_kernelINS0_14default_configENS1_27scan_by_key_config_selectorIiiEEZZNS1_16scan_by_key_implILNS1_25lookback_scan_determinismE0ELb1ES3_N6thrust23THRUST_200600_302600_NS6detail15normal_iteratorINS9_10device_ptrIiEEEENSB_INSC_IjEEEESE_iNS9_4plusIvEENS9_8equal_toIvEEiEE10hipError_tPvRmT2_T3_T4_T5_mT6_T7_P12ihipStream_tbENKUlT_T0_E_clISt17integral_constantIbLb1EES10_IbLb0EEEEDaSW_SX_EUlSW_E_NS1_11comp_targetILNS1_3genE8ELNS1_11target_archE1030ELNS1_3gpuE2ELNS1_3repE0EEENS1_30default_config_static_selectorELNS0_4arch9wavefront6targetE1EEEvT1_, .Lfunc_end1778-_ZN7rocprim17ROCPRIM_400000_NS6detail17trampoline_kernelINS0_14default_configENS1_27scan_by_key_config_selectorIiiEEZZNS1_16scan_by_key_implILNS1_25lookback_scan_determinismE0ELb1ES3_N6thrust23THRUST_200600_302600_NS6detail15normal_iteratorINS9_10device_ptrIiEEEENSB_INSC_IjEEEESE_iNS9_4plusIvEENS9_8equal_toIvEEiEE10hipError_tPvRmT2_T3_T4_T5_mT6_T7_P12ihipStream_tbENKUlT_T0_E_clISt17integral_constantIbLb1EES10_IbLb0EEEEDaSW_SX_EUlSW_E_NS1_11comp_targetILNS1_3genE8ELNS1_11target_archE1030ELNS1_3gpuE2ELNS1_3repE0EEENS1_30default_config_static_selectorELNS0_4arch9wavefront6targetE1EEEvT1_
                                        ; -- End function
	.section	.AMDGPU.csdata,"",@progbits
; Kernel info:
; codeLenInByte = 0
; NumSgprs: 6
; NumVgprs: 0
; NumAgprs: 0
; TotalNumVgprs: 0
; ScratchSize: 0
; MemoryBound: 0
; FloatMode: 240
; IeeeMode: 1
; LDSByteSize: 0 bytes/workgroup (compile time only)
; SGPRBlocks: 0
; VGPRBlocks: 0
; NumSGPRsForWavesPerEU: 6
; NumVGPRsForWavesPerEU: 1
; AccumOffset: 4
; Occupancy: 8
; WaveLimiterHint : 0
; COMPUTE_PGM_RSRC2:SCRATCH_EN: 0
; COMPUTE_PGM_RSRC2:USER_SGPR: 2
; COMPUTE_PGM_RSRC2:TRAP_HANDLER: 0
; COMPUTE_PGM_RSRC2:TGID_X_EN: 1
; COMPUTE_PGM_RSRC2:TGID_Y_EN: 0
; COMPUTE_PGM_RSRC2:TGID_Z_EN: 0
; COMPUTE_PGM_RSRC2:TIDIG_COMP_CNT: 0
; COMPUTE_PGM_RSRC3_GFX90A:ACCUM_OFFSET: 0
; COMPUTE_PGM_RSRC3_GFX90A:TG_SPLIT: 0
	.section	.text._ZN7rocprim17ROCPRIM_400000_NS6detail17trampoline_kernelINS0_14default_configENS1_27scan_by_key_config_selectorIiiEEZZNS1_16scan_by_key_implILNS1_25lookback_scan_determinismE0ELb1ES3_N6thrust23THRUST_200600_302600_NS6detail15normal_iteratorINS9_10device_ptrIiEEEENSB_INSC_IjEEEESE_iNS9_4plusIvEENS9_8equal_toIvEEiEE10hipError_tPvRmT2_T3_T4_T5_mT6_T7_P12ihipStream_tbENKUlT_T0_E_clISt17integral_constantIbLb0EES10_IbLb1EEEEDaSW_SX_EUlSW_E_NS1_11comp_targetILNS1_3genE0ELNS1_11target_archE4294967295ELNS1_3gpuE0ELNS1_3repE0EEENS1_30default_config_static_selectorELNS0_4arch9wavefront6targetE1EEEvT1_,"axG",@progbits,_ZN7rocprim17ROCPRIM_400000_NS6detail17trampoline_kernelINS0_14default_configENS1_27scan_by_key_config_selectorIiiEEZZNS1_16scan_by_key_implILNS1_25lookback_scan_determinismE0ELb1ES3_N6thrust23THRUST_200600_302600_NS6detail15normal_iteratorINS9_10device_ptrIiEEEENSB_INSC_IjEEEESE_iNS9_4plusIvEENS9_8equal_toIvEEiEE10hipError_tPvRmT2_T3_T4_T5_mT6_T7_P12ihipStream_tbENKUlT_T0_E_clISt17integral_constantIbLb0EES10_IbLb1EEEEDaSW_SX_EUlSW_E_NS1_11comp_targetILNS1_3genE0ELNS1_11target_archE4294967295ELNS1_3gpuE0ELNS1_3repE0EEENS1_30default_config_static_selectorELNS0_4arch9wavefront6targetE1EEEvT1_,comdat
	.protected	_ZN7rocprim17ROCPRIM_400000_NS6detail17trampoline_kernelINS0_14default_configENS1_27scan_by_key_config_selectorIiiEEZZNS1_16scan_by_key_implILNS1_25lookback_scan_determinismE0ELb1ES3_N6thrust23THRUST_200600_302600_NS6detail15normal_iteratorINS9_10device_ptrIiEEEENSB_INSC_IjEEEESE_iNS9_4plusIvEENS9_8equal_toIvEEiEE10hipError_tPvRmT2_T3_T4_T5_mT6_T7_P12ihipStream_tbENKUlT_T0_E_clISt17integral_constantIbLb0EES10_IbLb1EEEEDaSW_SX_EUlSW_E_NS1_11comp_targetILNS1_3genE0ELNS1_11target_archE4294967295ELNS1_3gpuE0ELNS1_3repE0EEENS1_30default_config_static_selectorELNS0_4arch9wavefront6targetE1EEEvT1_ ; -- Begin function _ZN7rocprim17ROCPRIM_400000_NS6detail17trampoline_kernelINS0_14default_configENS1_27scan_by_key_config_selectorIiiEEZZNS1_16scan_by_key_implILNS1_25lookback_scan_determinismE0ELb1ES3_N6thrust23THRUST_200600_302600_NS6detail15normal_iteratorINS9_10device_ptrIiEEEENSB_INSC_IjEEEESE_iNS9_4plusIvEENS9_8equal_toIvEEiEE10hipError_tPvRmT2_T3_T4_T5_mT6_T7_P12ihipStream_tbENKUlT_T0_E_clISt17integral_constantIbLb0EES10_IbLb1EEEEDaSW_SX_EUlSW_E_NS1_11comp_targetILNS1_3genE0ELNS1_11target_archE4294967295ELNS1_3gpuE0ELNS1_3repE0EEENS1_30default_config_static_selectorELNS0_4arch9wavefront6targetE1EEEvT1_
	.globl	_ZN7rocprim17ROCPRIM_400000_NS6detail17trampoline_kernelINS0_14default_configENS1_27scan_by_key_config_selectorIiiEEZZNS1_16scan_by_key_implILNS1_25lookback_scan_determinismE0ELb1ES3_N6thrust23THRUST_200600_302600_NS6detail15normal_iteratorINS9_10device_ptrIiEEEENSB_INSC_IjEEEESE_iNS9_4plusIvEENS9_8equal_toIvEEiEE10hipError_tPvRmT2_T3_T4_T5_mT6_T7_P12ihipStream_tbENKUlT_T0_E_clISt17integral_constantIbLb0EES10_IbLb1EEEEDaSW_SX_EUlSW_E_NS1_11comp_targetILNS1_3genE0ELNS1_11target_archE4294967295ELNS1_3gpuE0ELNS1_3repE0EEENS1_30default_config_static_selectorELNS0_4arch9wavefront6targetE1EEEvT1_
	.p2align	8
	.type	_ZN7rocprim17ROCPRIM_400000_NS6detail17trampoline_kernelINS0_14default_configENS1_27scan_by_key_config_selectorIiiEEZZNS1_16scan_by_key_implILNS1_25lookback_scan_determinismE0ELb1ES3_N6thrust23THRUST_200600_302600_NS6detail15normal_iteratorINS9_10device_ptrIiEEEENSB_INSC_IjEEEESE_iNS9_4plusIvEENS9_8equal_toIvEEiEE10hipError_tPvRmT2_T3_T4_T5_mT6_T7_P12ihipStream_tbENKUlT_T0_E_clISt17integral_constantIbLb0EES10_IbLb1EEEEDaSW_SX_EUlSW_E_NS1_11comp_targetILNS1_3genE0ELNS1_11target_archE4294967295ELNS1_3gpuE0ELNS1_3repE0EEENS1_30default_config_static_selectorELNS0_4arch9wavefront6targetE1EEEvT1_,@function
_ZN7rocprim17ROCPRIM_400000_NS6detail17trampoline_kernelINS0_14default_configENS1_27scan_by_key_config_selectorIiiEEZZNS1_16scan_by_key_implILNS1_25lookback_scan_determinismE0ELb1ES3_N6thrust23THRUST_200600_302600_NS6detail15normal_iteratorINS9_10device_ptrIiEEEENSB_INSC_IjEEEESE_iNS9_4plusIvEENS9_8equal_toIvEEiEE10hipError_tPvRmT2_T3_T4_T5_mT6_T7_P12ihipStream_tbENKUlT_T0_E_clISt17integral_constantIbLb0EES10_IbLb1EEEEDaSW_SX_EUlSW_E_NS1_11comp_targetILNS1_3genE0ELNS1_11target_archE4294967295ELNS1_3gpuE0ELNS1_3repE0EEENS1_30default_config_static_selectorELNS0_4arch9wavefront6targetE1EEEvT1_: ; @_ZN7rocprim17ROCPRIM_400000_NS6detail17trampoline_kernelINS0_14default_configENS1_27scan_by_key_config_selectorIiiEEZZNS1_16scan_by_key_implILNS1_25lookback_scan_determinismE0ELb1ES3_N6thrust23THRUST_200600_302600_NS6detail15normal_iteratorINS9_10device_ptrIiEEEENSB_INSC_IjEEEESE_iNS9_4plusIvEENS9_8equal_toIvEEiEE10hipError_tPvRmT2_T3_T4_T5_mT6_T7_P12ihipStream_tbENKUlT_T0_E_clISt17integral_constantIbLb0EES10_IbLb1EEEEDaSW_SX_EUlSW_E_NS1_11comp_targetILNS1_3genE0ELNS1_11target_archE4294967295ELNS1_3gpuE0ELNS1_3repE0EEENS1_30default_config_static_selectorELNS0_4arch9wavefront6targetE1EEEvT1_
; %bb.0:
	.section	.rodata,"a",@progbits
	.p2align	6, 0x0
	.amdhsa_kernel _ZN7rocprim17ROCPRIM_400000_NS6detail17trampoline_kernelINS0_14default_configENS1_27scan_by_key_config_selectorIiiEEZZNS1_16scan_by_key_implILNS1_25lookback_scan_determinismE0ELb1ES3_N6thrust23THRUST_200600_302600_NS6detail15normal_iteratorINS9_10device_ptrIiEEEENSB_INSC_IjEEEESE_iNS9_4plusIvEENS9_8equal_toIvEEiEE10hipError_tPvRmT2_T3_T4_T5_mT6_T7_P12ihipStream_tbENKUlT_T0_E_clISt17integral_constantIbLb0EES10_IbLb1EEEEDaSW_SX_EUlSW_E_NS1_11comp_targetILNS1_3genE0ELNS1_11target_archE4294967295ELNS1_3gpuE0ELNS1_3repE0EEENS1_30default_config_static_selectorELNS0_4arch9wavefront6targetE1EEEvT1_
		.amdhsa_group_segment_fixed_size 0
		.amdhsa_private_segment_fixed_size 0
		.amdhsa_kernarg_size 112
		.amdhsa_user_sgpr_count 2
		.amdhsa_user_sgpr_dispatch_ptr 0
		.amdhsa_user_sgpr_queue_ptr 0
		.amdhsa_user_sgpr_kernarg_segment_ptr 1
		.amdhsa_user_sgpr_dispatch_id 0
		.amdhsa_user_sgpr_kernarg_preload_length 0
		.amdhsa_user_sgpr_kernarg_preload_offset 0
		.amdhsa_user_sgpr_private_segment_size 0
		.amdhsa_uses_dynamic_stack 0
		.amdhsa_enable_private_segment 0
		.amdhsa_system_sgpr_workgroup_id_x 1
		.amdhsa_system_sgpr_workgroup_id_y 0
		.amdhsa_system_sgpr_workgroup_id_z 0
		.amdhsa_system_sgpr_workgroup_info 0
		.amdhsa_system_vgpr_workitem_id 0
		.amdhsa_next_free_vgpr 1
		.amdhsa_next_free_sgpr 0
		.amdhsa_accum_offset 4
		.amdhsa_reserve_vcc 0
		.amdhsa_float_round_mode_32 0
		.amdhsa_float_round_mode_16_64 0
		.amdhsa_float_denorm_mode_32 3
		.amdhsa_float_denorm_mode_16_64 3
		.amdhsa_dx10_clamp 1
		.amdhsa_ieee_mode 1
		.amdhsa_fp16_overflow 0
		.amdhsa_tg_split 0
		.amdhsa_exception_fp_ieee_invalid_op 0
		.amdhsa_exception_fp_denorm_src 0
		.amdhsa_exception_fp_ieee_div_zero 0
		.amdhsa_exception_fp_ieee_overflow 0
		.amdhsa_exception_fp_ieee_underflow 0
		.amdhsa_exception_fp_ieee_inexact 0
		.amdhsa_exception_int_div_zero 0
	.end_amdhsa_kernel
	.section	.text._ZN7rocprim17ROCPRIM_400000_NS6detail17trampoline_kernelINS0_14default_configENS1_27scan_by_key_config_selectorIiiEEZZNS1_16scan_by_key_implILNS1_25lookback_scan_determinismE0ELb1ES3_N6thrust23THRUST_200600_302600_NS6detail15normal_iteratorINS9_10device_ptrIiEEEENSB_INSC_IjEEEESE_iNS9_4plusIvEENS9_8equal_toIvEEiEE10hipError_tPvRmT2_T3_T4_T5_mT6_T7_P12ihipStream_tbENKUlT_T0_E_clISt17integral_constantIbLb0EES10_IbLb1EEEEDaSW_SX_EUlSW_E_NS1_11comp_targetILNS1_3genE0ELNS1_11target_archE4294967295ELNS1_3gpuE0ELNS1_3repE0EEENS1_30default_config_static_selectorELNS0_4arch9wavefront6targetE1EEEvT1_,"axG",@progbits,_ZN7rocprim17ROCPRIM_400000_NS6detail17trampoline_kernelINS0_14default_configENS1_27scan_by_key_config_selectorIiiEEZZNS1_16scan_by_key_implILNS1_25lookback_scan_determinismE0ELb1ES3_N6thrust23THRUST_200600_302600_NS6detail15normal_iteratorINS9_10device_ptrIiEEEENSB_INSC_IjEEEESE_iNS9_4plusIvEENS9_8equal_toIvEEiEE10hipError_tPvRmT2_T3_T4_T5_mT6_T7_P12ihipStream_tbENKUlT_T0_E_clISt17integral_constantIbLb0EES10_IbLb1EEEEDaSW_SX_EUlSW_E_NS1_11comp_targetILNS1_3genE0ELNS1_11target_archE4294967295ELNS1_3gpuE0ELNS1_3repE0EEENS1_30default_config_static_selectorELNS0_4arch9wavefront6targetE1EEEvT1_,comdat
.Lfunc_end1779:
	.size	_ZN7rocprim17ROCPRIM_400000_NS6detail17trampoline_kernelINS0_14default_configENS1_27scan_by_key_config_selectorIiiEEZZNS1_16scan_by_key_implILNS1_25lookback_scan_determinismE0ELb1ES3_N6thrust23THRUST_200600_302600_NS6detail15normal_iteratorINS9_10device_ptrIiEEEENSB_INSC_IjEEEESE_iNS9_4plusIvEENS9_8equal_toIvEEiEE10hipError_tPvRmT2_T3_T4_T5_mT6_T7_P12ihipStream_tbENKUlT_T0_E_clISt17integral_constantIbLb0EES10_IbLb1EEEEDaSW_SX_EUlSW_E_NS1_11comp_targetILNS1_3genE0ELNS1_11target_archE4294967295ELNS1_3gpuE0ELNS1_3repE0EEENS1_30default_config_static_selectorELNS0_4arch9wavefront6targetE1EEEvT1_, .Lfunc_end1779-_ZN7rocprim17ROCPRIM_400000_NS6detail17trampoline_kernelINS0_14default_configENS1_27scan_by_key_config_selectorIiiEEZZNS1_16scan_by_key_implILNS1_25lookback_scan_determinismE0ELb1ES3_N6thrust23THRUST_200600_302600_NS6detail15normal_iteratorINS9_10device_ptrIiEEEENSB_INSC_IjEEEESE_iNS9_4plusIvEENS9_8equal_toIvEEiEE10hipError_tPvRmT2_T3_T4_T5_mT6_T7_P12ihipStream_tbENKUlT_T0_E_clISt17integral_constantIbLb0EES10_IbLb1EEEEDaSW_SX_EUlSW_E_NS1_11comp_targetILNS1_3genE0ELNS1_11target_archE4294967295ELNS1_3gpuE0ELNS1_3repE0EEENS1_30default_config_static_selectorELNS0_4arch9wavefront6targetE1EEEvT1_
                                        ; -- End function
	.section	.AMDGPU.csdata,"",@progbits
; Kernel info:
; codeLenInByte = 0
; NumSgprs: 6
; NumVgprs: 0
; NumAgprs: 0
; TotalNumVgprs: 0
; ScratchSize: 0
; MemoryBound: 0
; FloatMode: 240
; IeeeMode: 1
; LDSByteSize: 0 bytes/workgroup (compile time only)
; SGPRBlocks: 0
; VGPRBlocks: 0
; NumSGPRsForWavesPerEU: 6
; NumVGPRsForWavesPerEU: 1
; AccumOffset: 4
; Occupancy: 8
; WaveLimiterHint : 0
; COMPUTE_PGM_RSRC2:SCRATCH_EN: 0
; COMPUTE_PGM_RSRC2:USER_SGPR: 2
; COMPUTE_PGM_RSRC2:TRAP_HANDLER: 0
; COMPUTE_PGM_RSRC2:TGID_X_EN: 1
; COMPUTE_PGM_RSRC2:TGID_Y_EN: 0
; COMPUTE_PGM_RSRC2:TGID_Z_EN: 0
; COMPUTE_PGM_RSRC2:TIDIG_COMP_CNT: 0
; COMPUTE_PGM_RSRC3_GFX90A:ACCUM_OFFSET: 0
; COMPUTE_PGM_RSRC3_GFX90A:TG_SPLIT: 0
	.section	.text._ZN7rocprim17ROCPRIM_400000_NS6detail17trampoline_kernelINS0_14default_configENS1_27scan_by_key_config_selectorIiiEEZZNS1_16scan_by_key_implILNS1_25lookback_scan_determinismE0ELb1ES3_N6thrust23THRUST_200600_302600_NS6detail15normal_iteratorINS9_10device_ptrIiEEEENSB_INSC_IjEEEESE_iNS9_4plusIvEENS9_8equal_toIvEEiEE10hipError_tPvRmT2_T3_T4_T5_mT6_T7_P12ihipStream_tbENKUlT_T0_E_clISt17integral_constantIbLb0EES10_IbLb1EEEEDaSW_SX_EUlSW_E_NS1_11comp_targetILNS1_3genE10ELNS1_11target_archE1201ELNS1_3gpuE5ELNS1_3repE0EEENS1_30default_config_static_selectorELNS0_4arch9wavefront6targetE1EEEvT1_,"axG",@progbits,_ZN7rocprim17ROCPRIM_400000_NS6detail17trampoline_kernelINS0_14default_configENS1_27scan_by_key_config_selectorIiiEEZZNS1_16scan_by_key_implILNS1_25lookback_scan_determinismE0ELb1ES3_N6thrust23THRUST_200600_302600_NS6detail15normal_iteratorINS9_10device_ptrIiEEEENSB_INSC_IjEEEESE_iNS9_4plusIvEENS9_8equal_toIvEEiEE10hipError_tPvRmT2_T3_T4_T5_mT6_T7_P12ihipStream_tbENKUlT_T0_E_clISt17integral_constantIbLb0EES10_IbLb1EEEEDaSW_SX_EUlSW_E_NS1_11comp_targetILNS1_3genE10ELNS1_11target_archE1201ELNS1_3gpuE5ELNS1_3repE0EEENS1_30default_config_static_selectorELNS0_4arch9wavefront6targetE1EEEvT1_,comdat
	.protected	_ZN7rocprim17ROCPRIM_400000_NS6detail17trampoline_kernelINS0_14default_configENS1_27scan_by_key_config_selectorIiiEEZZNS1_16scan_by_key_implILNS1_25lookback_scan_determinismE0ELb1ES3_N6thrust23THRUST_200600_302600_NS6detail15normal_iteratorINS9_10device_ptrIiEEEENSB_INSC_IjEEEESE_iNS9_4plusIvEENS9_8equal_toIvEEiEE10hipError_tPvRmT2_T3_T4_T5_mT6_T7_P12ihipStream_tbENKUlT_T0_E_clISt17integral_constantIbLb0EES10_IbLb1EEEEDaSW_SX_EUlSW_E_NS1_11comp_targetILNS1_3genE10ELNS1_11target_archE1201ELNS1_3gpuE5ELNS1_3repE0EEENS1_30default_config_static_selectorELNS0_4arch9wavefront6targetE1EEEvT1_ ; -- Begin function _ZN7rocprim17ROCPRIM_400000_NS6detail17trampoline_kernelINS0_14default_configENS1_27scan_by_key_config_selectorIiiEEZZNS1_16scan_by_key_implILNS1_25lookback_scan_determinismE0ELb1ES3_N6thrust23THRUST_200600_302600_NS6detail15normal_iteratorINS9_10device_ptrIiEEEENSB_INSC_IjEEEESE_iNS9_4plusIvEENS9_8equal_toIvEEiEE10hipError_tPvRmT2_T3_T4_T5_mT6_T7_P12ihipStream_tbENKUlT_T0_E_clISt17integral_constantIbLb0EES10_IbLb1EEEEDaSW_SX_EUlSW_E_NS1_11comp_targetILNS1_3genE10ELNS1_11target_archE1201ELNS1_3gpuE5ELNS1_3repE0EEENS1_30default_config_static_selectorELNS0_4arch9wavefront6targetE1EEEvT1_
	.globl	_ZN7rocprim17ROCPRIM_400000_NS6detail17trampoline_kernelINS0_14default_configENS1_27scan_by_key_config_selectorIiiEEZZNS1_16scan_by_key_implILNS1_25lookback_scan_determinismE0ELb1ES3_N6thrust23THRUST_200600_302600_NS6detail15normal_iteratorINS9_10device_ptrIiEEEENSB_INSC_IjEEEESE_iNS9_4plusIvEENS9_8equal_toIvEEiEE10hipError_tPvRmT2_T3_T4_T5_mT6_T7_P12ihipStream_tbENKUlT_T0_E_clISt17integral_constantIbLb0EES10_IbLb1EEEEDaSW_SX_EUlSW_E_NS1_11comp_targetILNS1_3genE10ELNS1_11target_archE1201ELNS1_3gpuE5ELNS1_3repE0EEENS1_30default_config_static_selectorELNS0_4arch9wavefront6targetE1EEEvT1_
	.p2align	8
	.type	_ZN7rocprim17ROCPRIM_400000_NS6detail17trampoline_kernelINS0_14default_configENS1_27scan_by_key_config_selectorIiiEEZZNS1_16scan_by_key_implILNS1_25lookback_scan_determinismE0ELb1ES3_N6thrust23THRUST_200600_302600_NS6detail15normal_iteratorINS9_10device_ptrIiEEEENSB_INSC_IjEEEESE_iNS9_4plusIvEENS9_8equal_toIvEEiEE10hipError_tPvRmT2_T3_T4_T5_mT6_T7_P12ihipStream_tbENKUlT_T0_E_clISt17integral_constantIbLb0EES10_IbLb1EEEEDaSW_SX_EUlSW_E_NS1_11comp_targetILNS1_3genE10ELNS1_11target_archE1201ELNS1_3gpuE5ELNS1_3repE0EEENS1_30default_config_static_selectorELNS0_4arch9wavefront6targetE1EEEvT1_,@function
_ZN7rocprim17ROCPRIM_400000_NS6detail17trampoline_kernelINS0_14default_configENS1_27scan_by_key_config_selectorIiiEEZZNS1_16scan_by_key_implILNS1_25lookback_scan_determinismE0ELb1ES3_N6thrust23THRUST_200600_302600_NS6detail15normal_iteratorINS9_10device_ptrIiEEEENSB_INSC_IjEEEESE_iNS9_4plusIvEENS9_8equal_toIvEEiEE10hipError_tPvRmT2_T3_T4_T5_mT6_T7_P12ihipStream_tbENKUlT_T0_E_clISt17integral_constantIbLb0EES10_IbLb1EEEEDaSW_SX_EUlSW_E_NS1_11comp_targetILNS1_3genE10ELNS1_11target_archE1201ELNS1_3gpuE5ELNS1_3repE0EEENS1_30default_config_static_selectorELNS0_4arch9wavefront6targetE1EEEvT1_: ; @_ZN7rocprim17ROCPRIM_400000_NS6detail17trampoline_kernelINS0_14default_configENS1_27scan_by_key_config_selectorIiiEEZZNS1_16scan_by_key_implILNS1_25lookback_scan_determinismE0ELb1ES3_N6thrust23THRUST_200600_302600_NS6detail15normal_iteratorINS9_10device_ptrIiEEEENSB_INSC_IjEEEESE_iNS9_4plusIvEENS9_8equal_toIvEEiEE10hipError_tPvRmT2_T3_T4_T5_mT6_T7_P12ihipStream_tbENKUlT_T0_E_clISt17integral_constantIbLb0EES10_IbLb1EEEEDaSW_SX_EUlSW_E_NS1_11comp_targetILNS1_3genE10ELNS1_11target_archE1201ELNS1_3gpuE5ELNS1_3repE0EEENS1_30default_config_static_selectorELNS0_4arch9wavefront6targetE1EEEvT1_
; %bb.0:
	.section	.rodata,"a",@progbits
	.p2align	6, 0x0
	.amdhsa_kernel _ZN7rocprim17ROCPRIM_400000_NS6detail17trampoline_kernelINS0_14default_configENS1_27scan_by_key_config_selectorIiiEEZZNS1_16scan_by_key_implILNS1_25lookback_scan_determinismE0ELb1ES3_N6thrust23THRUST_200600_302600_NS6detail15normal_iteratorINS9_10device_ptrIiEEEENSB_INSC_IjEEEESE_iNS9_4plusIvEENS9_8equal_toIvEEiEE10hipError_tPvRmT2_T3_T4_T5_mT6_T7_P12ihipStream_tbENKUlT_T0_E_clISt17integral_constantIbLb0EES10_IbLb1EEEEDaSW_SX_EUlSW_E_NS1_11comp_targetILNS1_3genE10ELNS1_11target_archE1201ELNS1_3gpuE5ELNS1_3repE0EEENS1_30default_config_static_selectorELNS0_4arch9wavefront6targetE1EEEvT1_
		.amdhsa_group_segment_fixed_size 0
		.amdhsa_private_segment_fixed_size 0
		.amdhsa_kernarg_size 112
		.amdhsa_user_sgpr_count 2
		.amdhsa_user_sgpr_dispatch_ptr 0
		.amdhsa_user_sgpr_queue_ptr 0
		.amdhsa_user_sgpr_kernarg_segment_ptr 1
		.amdhsa_user_sgpr_dispatch_id 0
		.amdhsa_user_sgpr_kernarg_preload_length 0
		.amdhsa_user_sgpr_kernarg_preload_offset 0
		.amdhsa_user_sgpr_private_segment_size 0
		.amdhsa_uses_dynamic_stack 0
		.amdhsa_enable_private_segment 0
		.amdhsa_system_sgpr_workgroup_id_x 1
		.amdhsa_system_sgpr_workgroup_id_y 0
		.amdhsa_system_sgpr_workgroup_id_z 0
		.amdhsa_system_sgpr_workgroup_info 0
		.amdhsa_system_vgpr_workitem_id 0
		.amdhsa_next_free_vgpr 1
		.amdhsa_next_free_sgpr 0
		.amdhsa_accum_offset 4
		.amdhsa_reserve_vcc 0
		.amdhsa_float_round_mode_32 0
		.amdhsa_float_round_mode_16_64 0
		.amdhsa_float_denorm_mode_32 3
		.amdhsa_float_denorm_mode_16_64 3
		.amdhsa_dx10_clamp 1
		.amdhsa_ieee_mode 1
		.amdhsa_fp16_overflow 0
		.amdhsa_tg_split 0
		.amdhsa_exception_fp_ieee_invalid_op 0
		.amdhsa_exception_fp_denorm_src 0
		.amdhsa_exception_fp_ieee_div_zero 0
		.amdhsa_exception_fp_ieee_overflow 0
		.amdhsa_exception_fp_ieee_underflow 0
		.amdhsa_exception_fp_ieee_inexact 0
		.amdhsa_exception_int_div_zero 0
	.end_amdhsa_kernel
	.section	.text._ZN7rocprim17ROCPRIM_400000_NS6detail17trampoline_kernelINS0_14default_configENS1_27scan_by_key_config_selectorIiiEEZZNS1_16scan_by_key_implILNS1_25lookback_scan_determinismE0ELb1ES3_N6thrust23THRUST_200600_302600_NS6detail15normal_iteratorINS9_10device_ptrIiEEEENSB_INSC_IjEEEESE_iNS9_4plusIvEENS9_8equal_toIvEEiEE10hipError_tPvRmT2_T3_T4_T5_mT6_T7_P12ihipStream_tbENKUlT_T0_E_clISt17integral_constantIbLb0EES10_IbLb1EEEEDaSW_SX_EUlSW_E_NS1_11comp_targetILNS1_3genE10ELNS1_11target_archE1201ELNS1_3gpuE5ELNS1_3repE0EEENS1_30default_config_static_selectorELNS0_4arch9wavefront6targetE1EEEvT1_,"axG",@progbits,_ZN7rocprim17ROCPRIM_400000_NS6detail17trampoline_kernelINS0_14default_configENS1_27scan_by_key_config_selectorIiiEEZZNS1_16scan_by_key_implILNS1_25lookback_scan_determinismE0ELb1ES3_N6thrust23THRUST_200600_302600_NS6detail15normal_iteratorINS9_10device_ptrIiEEEENSB_INSC_IjEEEESE_iNS9_4plusIvEENS9_8equal_toIvEEiEE10hipError_tPvRmT2_T3_T4_T5_mT6_T7_P12ihipStream_tbENKUlT_T0_E_clISt17integral_constantIbLb0EES10_IbLb1EEEEDaSW_SX_EUlSW_E_NS1_11comp_targetILNS1_3genE10ELNS1_11target_archE1201ELNS1_3gpuE5ELNS1_3repE0EEENS1_30default_config_static_selectorELNS0_4arch9wavefront6targetE1EEEvT1_,comdat
.Lfunc_end1780:
	.size	_ZN7rocprim17ROCPRIM_400000_NS6detail17trampoline_kernelINS0_14default_configENS1_27scan_by_key_config_selectorIiiEEZZNS1_16scan_by_key_implILNS1_25lookback_scan_determinismE0ELb1ES3_N6thrust23THRUST_200600_302600_NS6detail15normal_iteratorINS9_10device_ptrIiEEEENSB_INSC_IjEEEESE_iNS9_4plusIvEENS9_8equal_toIvEEiEE10hipError_tPvRmT2_T3_T4_T5_mT6_T7_P12ihipStream_tbENKUlT_T0_E_clISt17integral_constantIbLb0EES10_IbLb1EEEEDaSW_SX_EUlSW_E_NS1_11comp_targetILNS1_3genE10ELNS1_11target_archE1201ELNS1_3gpuE5ELNS1_3repE0EEENS1_30default_config_static_selectorELNS0_4arch9wavefront6targetE1EEEvT1_, .Lfunc_end1780-_ZN7rocprim17ROCPRIM_400000_NS6detail17trampoline_kernelINS0_14default_configENS1_27scan_by_key_config_selectorIiiEEZZNS1_16scan_by_key_implILNS1_25lookback_scan_determinismE0ELb1ES3_N6thrust23THRUST_200600_302600_NS6detail15normal_iteratorINS9_10device_ptrIiEEEENSB_INSC_IjEEEESE_iNS9_4plusIvEENS9_8equal_toIvEEiEE10hipError_tPvRmT2_T3_T4_T5_mT6_T7_P12ihipStream_tbENKUlT_T0_E_clISt17integral_constantIbLb0EES10_IbLb1EEEEDaSW_SX_EUlSW_E_NS1_11comp_targetILNS1_3genE10ELNS1_11target_archE1201ELNS1_3gpuE5ELNS1_3repE0EEENS1_30default_config_static_selectorELNS0_4arch9wavefront6targetE1EEEvT1_
                                        ; -- End function
	.section	.AMDGPU.csdata,"",@progbits
; Kernel info:
; codeLenInByte = 0
; NumSgprs: 6
; NumVgprs: 0
; NumAgprs: 0
; TotalNumVgprs: 0
; ScratchSize: 0
; MemoryBound: 0
; FloatMode: 240
; IeeeMode: 1
; LDSByteSize: 0 bytes/workgroup (compile time only)
; SGPRBlocks: 0
; VGPRBlocks: 0
; NumSGPRsForWavesPerEU: 6
; NumVGPRsForWavesPerEU: 1
; AccumOffset: 4
; Occupancy: 8
; WaveLimiterHint : 0
; COMPUTE_PGM_RSRC2:SCRATCH_EN: 0
; COMPUTE_PGM_RSRC2:USER_SGPR: 2
; COMPUTE_PGM_RSRC2:TRAP_HANDLER: 0
; COMPUTE_PGM_RSRC2:TGID_X_EN: 1
; COMPUTE_PGM_RSRC2:TGID_Y_EN: 0
; COMPUTE_PGM_RSRC2:TGID_Z_EN: 0
; COMPUTE_PGM_RSRC2:TIDIG_COMP_CNT: 0
; COMPUTE_PGM_RSRC3_GFX90A:ACCUM_OFFSET: 0
; COMPUTE_PGM_RSRC3_GFX90A:TG_SPLIT: 0
	.section	.text._ZN7rocprim17ROCPRIM_400000_NS6detail17trampoline_kernelINS0_14default_configENS1_27scan_by_key_config_selectorIiiEEZZNS1_16scan_by_key_implILNS1_25lookback_scan_determinismE0ELb1ES3_N6thrust23THRUST_200600_302600_NS6detail15normal_iteratorINS9_10device_ptrIiEEEENSB_INSC_IjEEEESE_iNS9_4plusIvEENS9_8equal_toIvEEiEE10hipError_tPvRmT2_T3_T4_T5_mT6_T7_P12ihipStream_tbENKUlT_T0_E_clISt17integral_constantIbLb0EES10_IbLb1EEEEDaSW_SX_EUlSW_E_NS1_11comp_targetILNS1_3genE5ELNS1_11target_archE942ELNS1_3gpuE9ELNS1_3repE0EEENS1_30default_config_static_selectorELNS0_4arch9wavefront6targetE1EEEvT1_,"axG",@progbits,_ZN7rocprim17ROCPRIM_400000_NS6detail17trampoline_kernelINS0_14default_configENS1_27scan_by_key_config_selectorIiiEEZZNS1_16scan_by_key_implILNS1_25lookback_scan_determinismE0ELb1ES3_N6thrust23THRUST_200600_302600_NS6detail15normal_iteratorINS9_10device_ptrIiEEEENSB_INSC_IjEEEESE_iNS9_4plusIvEENS9_8equal_toIvEEiEE10hipError_tPvRmT2_T3_T4_T5_mT6_T7_P12ihipStream_tbENKUlT_T0_E_clISt17integral_constantIbLb0EES10_IbLb1EEEEDaSW_SX_EUlSW_E_NS1_11comp_targetILNS1_3genE5ELNS1_11target_archE942ELNS1_3gpuE9ELNS1_3repE0EEENS1_30default_config_static_selectorELNS0_4arch9wavefront6targetE1EEEvT1_,comdat
	.protected	_ZN7rocprim17ROCPRIM_400000_NS6detail17trampoline_kernelINS0_14default_configENS1_27scan_by_key_config_selectorIiiEEZZNS1_16scan_by_key_implILNS1_25lookback_scan_determinismE0ELb1ES3_N6thrust23THRUST_200600_302600_NS6detail15normal_iteratorINS9_10device_ptrIiEEEENSB_INSC_IjEEEESE_iNS9_4plusIvEENS9_8equal_toIvEEiEE10hipError_tPvRmT2_T3_T4_T5_mT6_T7_P12ihipStream_tbENKUlT_T0_E_clISt17integral_constantIbLb0EES10_IbLb1EEEEDaSW_SX_EUlSW_E_NS1_11comp_targetILNS1_3genE5ELNS1_11target_archE942ELNS1_3gpuE9ELNS1_3repE0EEENS1_30default_config_static_selectorELNS0_4arch9wavefront6targetE1EEEvT1_ ; -- Begin function _ZN7rocprim17ROCPRIM_400000_NS6detail17trampoline_kernelINS0_14default_configENS1_27scan_by_key_config_selectorIiiEEZZNS1_16scan_by_key_implILNS1_25lookback_scan_determinismE0ELb1ES3_N6thrust23THRUST_200600_302600_NS6detail15normal_iteratorINS9_10device_ptrIiEEEENSB_INSC_IjEEEESE_iNS9_4plusIvEENS9_8equal_toIvEEiEE10hipError_tPvRmT2_T3_T4_T5_mT6_T7_P12ihipStream_tbENKUlT_T0_E_clISt17integral_constantIbLb0EES10_IbLb1EEEEDaSW_SX_EUlSW_E_NS1_11comp_targetILNS1_3genE5ELNS1_11target_archE942ELNS1_3gpuE9ELNS1_3repE0EEENS1_30default_config_static_selectorELNS0_4arch9wavefront6targetE1EEEvT1_
	.globl	_ZN7rocprim17ROCPRIM_400000_NS6detail17trampoline_kernelINS0_14default_configENS1_27scan_by_key_config_selectorIiiEEZZNS1_16scan_by_key_implILNS1_25lookback_scan_determinismE0ELb1ES3_N6thrust23THRUST_200600_302600_NS6detail15normal_iteratorINS9_10device_ptrIiEEEENSB_INSC_IjEEEESE_iNS9_4plusIvEENS9_8equal_toIvEEiEE10hipError_tPvRmT2_T3_T4_T5_mT6_T7_P12ihipStream_tbENKUlT_T0_E_clISt17integral_constantIbLb0EES10_IbLb1EEEEDaSW_SX_EUlSW_E_NS1_11comp_targetILNS1_3genE5ELNS1_11target_archE942ELNS1_3gpuE9ELNS1_3repE0EEENS1_30default_config_static_selectorELNS0_4arch9wavefront6targetE1EEEvT1_
	.p2align	8
	.type	_ZN7rocprim17ROCPRIM_400000_NS6detail17trampoline_kernelINS0_14default_configENS1_27scan_by_key_config_selectorIiiEEZZNS1_16scan_by_key_implILNS1_25lookback_scan_determinismE0ELb1ES3_N6thrust23THRUST_200600_302600_NS6detail15normal_iteratorINS9_10device_ptrIiEEEENSB_INSC_IjEEEESE_iNS9_4plusIvEENS9_8equal_toIvEEiEE10hipError_tPvRmT2_T3_T4_T5_mT6_T7_P12ihipStream_tbENKUlT_T0_E_clISt17integral_constantIbLb0EES10_IbLb1EEEEDaSW_SX_EUlSW_E_NS1_11comp_targetILNS1_3genE5ELNS1_11target_archE942ELNS1_3gpuE9ELNS1_3repE0EEENS1_30default_config_static_selectorELNS0_4arch9wavefront6targetE1EEEvT1_,@function
_ZN7rocprim17ROCPRIM_400000_NS6detail17trampoline_kernelINS0_14default_configENS1_27scan_by_key_config_selectorIiiEEZZNS1_16scan_by_key_implILNS1_25lookback_scan_determinismE0ELb1ES3_N6thrust23THRUST_200600_302600_NS6detail15normal_iteratorINS9_10device_ptrIiEEEENSB_INSC_IjEEEESE_iNS9_4plusIvEENS9_8equal_toIvEEiEE10hipError_tPvRmT2_T3_T4_T5_mT6_T7_P12ihipStream_tbENKUlT_T0_E_clISt17integral_constantIbLb0EES10_IbLb1EEEEDaSW_SX_EUlSW_E_NS1_11comp_targetILNS1_3genE5ELNS1_11target_archE942ELNS1_3gpuE9ELNS1_3repE0EEENS1_30default_config_static_selectorELNS0_4arch9wavefront6targetE1EEEvT1_: ; @_ZN7rocprim17ROCPRIM_400000_NS6detail17trampoline_kernelINS0_14default_configENS1_27scan_by_key_config_selectorIiiEEZZNS1_16scan_by_key_implILNS1_25lookback_scan_determinismE0ELb1ES3_N6thrust23THRUST_200600_302600_NS6detail15normal_iteratorINS9_10device_ptrIiEEEENSB_INSC_IjEEEESE_iNS9_4plusIvEENS9_8equal_toIvEEiEE10hipError_tPvRmT2_T3_T4_T5_mT6_T7_P12ihipStream_tbENKUlT_T0_E_clISt17integral_constantIbLb0EES10_IbLb1EEEEDaSW_SX_EUlSW_E_NS1_11comp_targetILNS1_3genE5ELNS1_11target_archE942ELNS1_3gpuE9ELNS1_3repE0EEENS1_30default_config_static_selectorELNS0_4arch9wavefront6targetE1EEEvT1_
; %bb.0:
	s_load_dword s74, s[0:1], 0x20
	s_load_dwordx4 s[64:67], s[0:1], 0x28
	s_load_dwordx2 s[72:73], s[0:1], 0x38
	v_cmp_ne_u32_e64 s[4:5], 0, v0
	v_cmp_eq_u32_e64 s[52:53], 0, v0
	s_and_saveexec_b64 s[2:3], s[52:53]
	s_cbranch_execz .LBB1781_4
; %bb.1:
	s_mov_b64 s[8:9], exec
	v_mbcnt_lo_u32_b32 v1, s8, 0
	v_mbcnt_hi_u32_b32 v1, s9, v1
	v_cmp_eq_u32_e32 vcc, 0, v1
                                        ; implicit-def: $vgpr2
	s_and_saveexec_b64 s[6:7], vcc
	s_cbranch_execz .LBB1781_3
; %bb.2:
	s_load_dwordx2 s[10:11], s[0:1], 0x68
	s_bcnt1_i32_b64 s8, s[8:9]
	v_mov_b32_e32 v2, 0
	v_mov_b32_e32 v3, s8
	s_waitcnt lgkmcnt(0)
	global_atomic_add v2, v2, v3, s[10:11] sc0
.LBB1781_3:
	s_or_b64 exec, exec, s[6:7]
	s_waitcnt vmcnt(0)
	v_readfirstlane_b32 s6, v2
	v_mov_b32_e32 v2, 0
	s_nop 0
	v_add_u32_e32 v1, s6, v1
	ds_write_b32 v2, v1
.LBB1781_4:
	s_or_b64 exec, exec, s[2:3]
	s_load_dwordx8 s[56:63], s[0:1], 0x0
	s_load_dword s2, s[0:1], 0x40
	s_load_dwordx4 s[68:71], s[0:1], 0x48
	v_mov_b32_e32 v7, 0
	s_waitcnt lgkmcnt(0)
	s_lshl_b64 s[54:55], s[58:59], 2
	s_barrier
	ds_read_b32 v6, v7
	s_add_u32 s0, s56, s54
	s_addc_u32 s1, s57, s55
	s_add_u32 s6, s60, s54
	s_mul_i32 s3, s73, s2
	s_mul_hi_u32 s8, s72, s2
	s_addc_u32 s7, s61, s55
	s_add_i32 s3, s8, s3
	s_movk_i32 s8, 0x1700
	s_waitcnt lgkmcnt(0)
	v_mul_lo_u32 v2, v6, s8
	v_mov_b32_e32 v3, v7
	v_lshlrev_b64 v[10:11], 2, v[2:3]
	s_mul_i32 s2, s72, s2
	v_lshl_add_u64 v[2:3], s[6:7], 0, v[10:11]
	s_add_u32 s6, s68, -1
	v_readfirstlane_b32 s67, v6
	v_lshl_add_u64 v[6:7], s[2:3], 0, v[6:7]
	s_addc_u32 s7, s69, -1
	v_cmp_le_u64_e64 s[2:3], s[6:7], v[6:7]
	v_lshl_add_u64 v[4:5], s[0:1], 0, v[10:11]
	s_mov_b64 s[0:1], -1
	s_and_b64 vcc, exec, s[2:3]
	s_mul_i32 s33, s6, 0xffffe900
	s_barrier
	s_barrier
	s_cbranch_vccz .LBB1781_75
; %bb.5:
	flat_load_dword v1, v[4:5]
	s_add_i32 s60, s33, s66
	v_cmp_gt_u32_e32 vcc, s60, v0
	s_waitcnt vmcnt(0) lgkmcnt(0)
	v_mov_b32_e32 v8, v1
	s_and_saveexec_b64 s[0:1], vcc
	s_cbranch_execz .LBB1781_7
; %bb.6:
	v_lshlrev_b32_e32 v6, 2, v0
	v_mov_b32_e32 v7, 0
	v_lshl_add_u64 v[6:7], v[4:5], 0, v[6:7]
	flat_load_dword v8, v[6:7]
.LBB1781_7:
	s_or_b64 exec, exec, s[0:1]
	v_or_b32_e32 v6, 0x100, v0
	v_cmp_gt_u32_e64 s[6:7], s60, v6
	v_mov_b32_e32 v9, v1
	s_and_saveexec_b64 s[0:1], s[6:7]
	s_cbranch_execz .LBB1781_9
; %bb.8:
	v_lshlrev_b32_e32 v6, 2, v0
	v_mov_b32_e32 v7, 0
	v_lshl_add_u64 v[6:7], v[4:5], 0, v[6:7]
	flat_load_dword v9, v[6:7] offset:1024
.LBB1781_9:
	s_or_b64 exec, exec, s[0:1]
	v_or_b32_e32 v6, 0x200, v0
	v_cmp_gt_u32_e64 s[8:9], s60, v6
	v_mov_b32_e32 v49, v1
	s_and_saveexec_b64 s[0:1], s[8:9]
	s_cbranch_execz .LBB1781_11
; %bb.10:
	v_lshlrev_b32_e32 v6, 2, v0
	v_mov_b32_e32 v7, 0
	v_lshl_add_u64 v[6:7], v[4:5], 0, v[6:7]
	flat_load_dword v49, v[6:7] offset:2048
.LBB1781_11:
	;; [unrolled: 12-line block ×3, first 2 shown]
	s_or_b64 exec, exec, s[0:1]
	v_or_b32_e32 v6, 0x400, v0
	v_cmp_gt_u32_e64 s[12:13], s60, v6
	v_lshlrev_b32_e32 v6, 2, v6
	v_mov_b32_e32 v7, v1
	s_and_saveexec_b64 s[0:1], s[12:13]
	s_cbranch_execz .LBB1781_15
; %bb.14:
	v_mov_b32_e32 v7, 0
	v_lshl_add_u64 v[12:13], v[4:5], 0, v[6:7]
	flat_load_dword v7, v[12:13]
.LBB1781_15:
	s_or_b64 exec, exec, s[0:1]
	v_or_b32_e32 v12, 0x500, v0
	v_cmp_gt_u32_e64 s[14:15], s60, v12
	v_lshlrev_b32_e32 v12, 2, v12
	v_mov_b32_e32 v13, v1
	s_and_saveexec_b64 s[0:1], s[14:15]
	s_cbranch_execz .LBB1781_17
; %bb.16:
	v_mov_b32_e32 v13, 0
	v_lshl_add_u64 v[14:15], v[4:5], 0, v[12:13]
	flat_load_dword v13, v[14:15]
.LBB1781_17:
	;; [unrolled: 12-line block ×18, first 2 shown]
	s_or_b64 exec, exec, s[0:1]
	v_or_b32_e32 v46, 0x1600, v0
	v_cmp_gt_u32_e64 s[50:51], s60, v46
	v_lshlrev_b32_e32 v46, 2, v46
	s_and_saveexec_b64 s[0:1], s[50:51]
	s_cbranch_execz .LBB1781_51
; %bb.50:
	v_mov_b32_e32 v47, 0
	v_lshl_add_u64 v[52:53], v[4:5], 0, v[46:47]
	flat_load_dword v1, v[52:53]
.LBB1781_51:
	s_or_b64 exec, exec, s[0:1]
	v_lshlrev_b32_e32 v48, 2, v0
	s_waitcnt vmcnt(0) lgkmcnt(0)
	ds_write2st64_b32 v48, v8, v9 offset1:4
	ds_write2st64_b32 v48, v49, v50 offset0:8 offset1:12
	ds_write2st64_b32 v48, v7, v13 offset0:16 offset1:20
	ds_write2st64_b32 v48, v15, v17 offset0:24 offset1:28
	ds_write2st64_b32 v48, v19, v21 offset0:32 offset1:36
	ds_write2st64_b32 v48, v23, v25 offset0:40 offset1:44
	ds_write2st64_b32 v48, v27, v29 offset0:48 offset1:52
	ds_write2st64_b32 v48, v31, v33 offset0:56 offset1:60
	ds_write2st64_b32 v48, v35, v37 offset0:64 offset1:68
	ds_write2st64_b32 v48, v39, v41 offset0:72 offset1:76
	ds_write2st64_b32 v48, v43, v45 offset0:80 offset1:84
	ds_write_b32 v48, v1 offset:22528
	s_waitcnt lgkmcnt(0)
	s_barrier
	flat_load_dword v1, v[4:5]
	s_movk_i32 s0, 0x58
	v_mad_u32_u24 v76, v0, s0, v48
	s_movk_i32 s0, 0xffa8
	v_mad_i32_i24 v7, v0, s0, v76
	s_movk_i32 s0, 0xff
	v_cmp_ne_u32_e64 s[0:1], s0, v0
	ds_read_b32 v78, v76
	ds_read2_b32 v[74:75], v76 offset0:1 offset1:2
	ds_read2_b32 v[72:73], v76 offset0:3 offset1:4
	;; [unrolled: 1-line block ×11, first 2 shown]
	s_waitcnt lgkmcnt(0)
	ds_write_b32 v7, v78 offset:24576
	s_waitcnt lgkmcnt(0)
	s_barrier
	s_and_saveexec_b64 s[56:57], s[0:1]
	s_cbranch_execz .LBB1781_53
; %bb.52:
	s_waitcnt vmcnt(0)
	ds_read_b32 v1, v48 offset:24580
.LBB1781_53:
	s_or_b64 exec, exec, s[56:57]
	v_mov_b32_e32 v49, 0
	s_waitcnt lgkmcnt(0)
	s_barrier
	s_waitcnt lgkmcnt(0)
                                        ; implicit-def: $vgpr50
	s_and_saveexec_b64 s[0:1], vcc
	s_cbranch_execz .LBB1781_76
; %bb.54:
	v_lshl_add_u64 v[50:51], v[2:3], 0, v[48:49]
	flat_load_dword v50, v[50:51]
	s_or_b64 exec, exec, s[0:1]
                                        ; implicit-def: $vgpr51
	s_and_saveexec_b64 s[0:1], s[6:7]
	s_cbranch_execnz .LBB1781_77
.LBB1781_55:
	s_or_b64 exec, exec, s[0:1]
                                        ; implicit-def: $vgpr52
	s_and_saveexec_b64 s[0:1], s[8:9]
	s_cbranch_execz .LBB1781_78
.LBB1781_56:
	v_mov_b32_e32 v49, 0
	v_lshl_add_u64 v[52:53], v[2:3], 0, v[48:49]
	flat_load_dword v52, v[52:53] offset:2048
	s_or_b64 exec, exec, s[0:1]
                                        ; implicit-def: $vgpr49
	s_and_saveexec_b64 s[0:1], s[10:11]
	s_cbranch_execnz .LBB1781_79
.LBB1781_57:
	s_or_b64 exec, exec, s[0:1]
                                        ; implicit-def: $vgpr7
	s_and_saveexec_b64 s[0:1], s[12:13]
	s_cbranch_execz .LBB1781_80
.LBB1781_58:
	v_mov_b32_e32 v7, 0
	v_lshl_add_u64 v[6:7], v[2:3], 0, v[6:7]
	flat_load_dword v7, v[6:7]
	s_or_b64 exec, exec, s[0:1]
                                        ; implicit-def: $vgpr6
	s_and_saveexec_b64 s[0:1], s[14:15]
	s_cbranch_execnz .LBB1781_81
.LBB1781_59:
	s_or_b64 exec, exec, s[0:1]
                                        ; implicit-def: $vgpr12
	s_and_saveexec_b64 s[0:1], s[16:17]
	s_cbranch_execz .LBB1781_82
.LBB1781_60:
	v_mov_b32_e32 v15, 0
	v_lshl_add_u64 v[12:13], v[2:3], 0, v[14:15]
	flat_load_dword v12, v[12:13]
	s_or_b64 exec, exec, s[0:1]
                                        ; implicit-def: $vgpr13
	s_and_saveexec_b64 s[0:1], s[18:19]
	s_cbranch_execnz .LBB1781_83
.LBB1781_61:
	s_or_b64 exec, exec, s[0:1]
                                        ; implicit-def: $vgpr14
	s_and_saveexec_b64 s[0:1], s[20:21]
	s_cbranch_execz .LBB1781_84
.LBB1781_62:
	v_mov_b32_e32 v19, 0
	v_lshl_add_u64 v[14:15], v[2:3], 0, v[18:19]
	flat_load_dword v14, v[14:15]
	s_or_b64 exec, exec, s[0:1]
                                        ; implicit-def: $vgpr15
	s_and_saveexec_b64 s[0:1], s[22:23]
	s_cbranch_execnz .LBB1781_85
.LBB1781_63:
	s_or_b64 exec, exec, s[0:1]
                                        ; implicit-def: $vgpr16
	s_and_saveexec_b64 s[0:1], s[24:25]
	s_cbranch_execz .LBB1781_86
.LBB1781_64:
	v_mov_b32_e32 v23, 0
	v_lshl_add_u64 v[16:17], v[2:3], 0, v[22:23]
	flat_load_dword v16, v[16:17]
	s_or_b64 exec, exec, s[0:1]
                                        ; implicit-def: $vgpr17
	s_and_saveexec_b64 s[0:1], s[26:27]
	s_cbranch_execnz .LBB1781_87
.LBB1781_65:
	s_or_b64 exec, exec, s[0:1]
                                        ; implicit-def: $vgpr18
	s_and_saveexec_b64 s[0:1], s[28:29]
	s_cbranch_execz .LBB1781_88
.LBB1781_66:
	v_mov_b32_e32 v27, 0
	v_lshl_add_u64 v[18:19], v[2:3], 0, v[26:27]
	flat_load_dword v18, v[18:19]
	s_or_b64 exec, exec, s[0:1]
                                        ; implicit-def: $vgpr19
	s_and_saveexec_b64 s[0:1], s[30:31]
	s_cbranch_execnz .LBB1781_89
.LBB1781_67:
	s_or_b64 exec, exec, s[0:1]
                                        ; implicit-def: $vgpr20
	s_and_saveexec_b64 s[0:1], s[34:35]
	s_cbranch_execz .LBB1781_90
.LBB1781_68:
	v_mov_b32_e32 v31, 0
	v_lshl_add_u64 v[20:21], v[2:3], 0, v[30:31]
	flat_load_dword v20, v[20:21]
	s_or_b64 exec, exec, s[0:1]
                                        ; implicit-def: $vgpr21
	s_and_saveexec_b64 s[0:1], s[36:37]
	s_cbranch_execnz .LBB1781_91
.LBB1781_69:
	s_or_b64 exec, exec, s[0:1]
                                        ; implicit-def: $vgpr22
	s_and_saveexec_b64 s[0:1], s[38:39]
	s_cbranch_execz .LBB1781_92
.LBB1781_70:
	v_mov_b32_e32 v35, 0
	v_lshl_add_u64 v[22:23], v[2:3], 0, v[34:35]
	flat_load_dword v22, v[22:23]
	s_or_b64 exec, exec, s[0:1]
                                        ; implicit-def: $vgpr23
	s_and_saveexec_b64 s[0:1], s[40:41]
	s_cbranch_execnz .LBB1781_93
.LBB1781_71:
	s_or_b64 exec, exec, s[0:1]
                                        ; implicit-def: $vgpr24
	s_and_saveexec_b64 s[0:1], s[42:43]
	s_cbranch_execz .LBB1781_94
.LBB1781_72:
	v_mov_b32_e32 v39, 0
	v_lshl_add_u64 v[24:25], v[2:3], 0, v[38:39]
	flat_load_dword v24, v[24:25]
	s_or_b64 exec, exec, s[0:1]
                                        ; implicit-def: $vgpr25
	s_and_saveexec_b64 s[0:1], s[44:45]
	s_cbranch_execnz .LBB1781_95
.LBB1781_73:
	s_or_b64 exec, exec, s[0:1]
                                        ; implicit-def: $vgpr26
	s_and_saveexec_b64 s[0:1], s[46:47]
	s_cbranch_execz .LBB1781_96
.LBB1781_74:
	v_mov_b32_e32 v43, 0
	v_lshl_add_u64 v[26:27], v[2:3], 0, v[42:43]
	flat_load_dword v26, v[26:27]
	s_or_b64 exec, exec, s[0:1]
                                        ; implicit-def: $vgpr27
	s_and_saveexec_b64 s[0:1], s[48:49]
	s_cbranch_execz .LBB1781_98
	s_branch .LBB1781_97
.LBB1781_75:
	s_mov_b64 s[10:11], 0
                                        ; implicit-def: $sgpr8_sgpr9
                                        ; implicit-def: $vgpr6
                                        ; implicit-def: $vgpr12_vgpr13
                                        ; implicit-def: $vgpr14_vgpr15
                                        ; implicit-def: $vgpr16_vgpr17
                                        ; implicit-def: $vgpr18_vgpr19
                                        ; implicit-def: $vgpr20_vgpr21
                                        ; implicit-def: $vgpr22_vgpr23
                                        ; implicit-def: $vgpr24_vgpr25
                                        ; implicit-def: $vgpr26_vgpr27
                                        ; implicit-def: $vgpr28_vgpr29
                                        ; implicit-def: $vgpr30_vgpr31
                                        ; implicit-def: $vgpr32_vgpr33
                                        ; implicit-def: $vgpr34_vgpr35
                                        ; implicit-def: $vgpr36_vgpr37
                                        ; implicit-def: $vgpr38_vgpr39
                                        ; implicit-def: $vgpr40_vgpr41
                                        ; implicit-def: $vgpr42_vgpr43
                                        ; implicit-def: $vgpr44_vgpr45
                                        ; implicit-def: $vgpr46_vgpr47
                                        ; implicit-def: $vgpr48_vgpr49
                                        ; implicit-def: $vgpr50_vgpr51
                                        ; implicit-def: $vgpr52_vgpr53
                                        ; implicit-def: $vgpr54_vgpr55
                                        ; implicit-def: $sgpr6_sgpr7
	s_and_b64 vcc, exec, s[0:1]
	v_lshlrev_b32_e32 v56, 2, v0
	s_cbranch_vccz .LBB1781_152
	s_branch .LBB1781_147
.LBB1781_76:
	s_or_b64 exec, exec, s[0:1]
                                        ; implicit-def: $vgpr51
	s_and_saveexec_b64 s[0:1], s[6:7]
	s_cbranch_execz .LBB1781_55
.LBB1781_77:
	v_mov_b32_e32 v49, 0
	v_lshl_add_u64 v[52:53], v[2:3], 0, v[48:49]
	flat_load_dword v51, v[52:53] offset:1024
	s_or_b64 exec, exec, s[0:1]
                                        ; implicit-def: $vgpr52
	s_and_saveexec_b64 s[0:1], s[8:9]
	s_cbranch_execnz .LBB1781_56
.LBB1781_78:
	s_or_b64 exec, exec, s[0:1]
                                        ; implicit-def: $vgpr49
	s_and_saveexec_b64 s[0:1], s[10:11]
	s_cbranch_execz .LBB1781_57
.LBB1781_79:
	v_mov_b32_e32 v49, 0
	v_lshl_add_u64 v[54:55], v[2:3], 0, v[48:49]
	flat_load_dword v49, v[54:55] offset:3072
	s_or_b64 exec, exec, s[0:1]
                                        ; implicit-def: $vgpr7
	s_and_saveexec_b64 s[0:1], s[12:13]
	s_cbranch_execnz .LBB1781_58
.LBB1781_80:
	s_or_b64 exec, exec, s[0:1]
                                        ; implicit-def: $vgpr6
	s_and_saveexec_b64 s[0:1], s[14:15]
	s_cbranch_execz .LBB1781_59
.LBB1781_81:
	v_mov_b32_e32 v13, 0
	v_lshl_add_u64 v[12:13], v[2:3], 0, v[12:13]
	flat_load_dword v6, v[12:13]
	s_or_b64 exec, exec, s[0:1]
                                        ; implicit-def: $vgpr12
	s_and_saveexec_b64 s[0:1], s[16:17]
	s_cbranch_execnz .LBB1781_60
.LBB1781_82:
	s_or_b64 exec, exec, s[0:1]
                                        ; implicit-def: $vgpr13
	s_and_saveexec_b64 s[0:1], s[18:19]
	s_cbranch_execz .LBB1781_61
.LBB1781_83:
	v_mov_b32_e32 v17, 0
	v_lshl_add_u64 v[14:15], v[2:3], 0, v[16:17]
	flat_load_dword v13, v[14:15]
	s_or_b64 exec, exec, s[0:1]
                                        ; implicit-def: $vgpr14
	s_and_saveexec_b64 s[0:1], s[20:21]
	s_cbranch_execnz .LBB1781_62
.LBB1781_84:
	s_or_b64 exec, exec, s[0:1]
                                        ; implicit-def: $vgpr15
	s_and_saveexec_b64 s[0:1], s[22:23]
	s_cbranch_execz .LBB1781_63
.LBB1781_85:
	v_mov_b32_e32 v21, 0
	v_lshl_add_u64 v[16:17], v[2:3], 0, v[20:21]
	flat_load_dword v15, v[16:17]
	s_or_b64 exec, exec, s[0:1]
                                        ; implicit-def: $vgpr16
	s_and_saveexec_b64 s[0:1], s[24:25]
	s_cbranch_execnz .LBB1781_64
.LBB1781_86:
	s_or_b64 exec, exec, s[0:1]
                                        ; implicit-def: $vgpr17
	s_and_saveexec_b64 s[0:1], s[26:27]
	s_cbranch_execz .LBB1781_65
.LBB1781_87:
	v_mov_b32_e32 v25, 0
	v_lshl_add_u64 v[18:19], v[2:3], 0, v[24:25]
	flat_load_dword v17, v[18:19]
	s_or_b64 exec, exec, s[0:1]
                                        ; implicit-def: $vgpr18
	s_and_saveexec_b64 s[0:1], s[28:29]
	s_cbranch_execnz .LBB1781_66
.LBB1781_88:
	s_or_b64 exec, exec, s[0:1]
                                        ; implicit-def: $vgpr19
	s_and_saveexec_b64 s[0:1], s[30:31]
	s_cbranch_execz .LBB1781_67
.LBB1781_89:
	v_mov_b32_e32 v29, 0
	v_lshl_add_u64 v[20:21], v[2:3], 0, v[28:29]
	flat_load_dword v19, v[20:21]
	s_or_b64 exec, exec, s[0:1]
                                        ; implicit-def: $vgpr20
	s_and_saveexec_b64 s[0:1], s[34:35]
	s_cbranch_execnz .LBB1781_68
.LBB1781_90:
	s_or_b64 exec, exec, s[0:1]
                                        ; implicit-def: $vgpr21
	s_and_saveexec_b64 s[0:1], s[36:37]
	s_cbranch_execz .LBB1781_69
.LBB1781_91:
	v_mov_b32_e32 v33, 0
	v_lshl_add_u64 v[22:23], v[2:3], 0, v[32:33]
	flat_load_dword v21, v[22:23]
	s_or_b64 exec, exec, s[0:1]
                                        ; implicit-def: $vgpr22
	s_and_saveexec_b64 s[0:1], s[38:39]
	s_cbranch_execnz .LBB1781_70
.LBB1781_92:
	s_or_b64 exec, exec, s[0:1]
                                        ; implicit-def: $vgpr23
	s_and_saveexec_b64 s[0:1], s[40:41]
	s_cbranch_execz .LBB1781_71
.LBB1781_93:
	v_mov_b32_e32 v37, 0
	v_lshl_add_u64 v[24:25], v[2:3], 0, v[36:37]
	flat_load_dword v23, v[24:25]
	s_or_b64 exec, exec, s[0:1]
                                        ; implicit-def: $vgpr24
	s_and_saveexec_b64 s[0:1], s[42:43]
	s_cbranch_execnz .LBB1781_72
.LBB1781_94:
	s_or_b64 exec, exec, s[0:1]
                                        ; implicit-def: $vgpr25
	s_and_saveexec_b64 s[0:1], s[44:45]
	s_cbranch_execz .LBB1781_73
.LBB1781_95:
	v_mov_b32_e32 v41, 0
	v_lshl_add_u64 v[26:27], v[2:3], 0, v[40:41]
	flat_load_dword v25, v[26:27]
	s_or_b64 exec, exec, s[0:1]
                                        ; implicit-def: $vgpr26
	s_and_saveexec_b64 s[0:1], s[46:47]
	s_cbranch_execnz .LBB1781_74
.LBB1781_96:
	s_or_b64 exec, exec, s[0:1]
                                        ; implicit-def: $vgpr27
	s_and_saveexec_b64 s[0:1], s[48:49]
	s_cbranch_execz .LBB1781_98
.LBB1781_97:
	v_mov_b32_e32 v45, 0
	v_lshl_add_u64 v[28:29], v[2:3], 0, v[44:45]
	flat_load_dword v27, v[28:29]
.LBB1781_98:
	s_or_b64 exec, exec, s[0:1]
	v_mul_u32_u24_e32 v77, 23, v0
                                        ; implicit-def: $vgpr28
	s_and_saveexec_b64 s[0:1], s[50:51]
	s_cbranch_execz .LBB1781_100
; %bb.99:
	v_mov_b32_e32 v47, 0
	v_lshl_add_u64 v[28:29], v[2:3], 0, v[46:47]
	flat_load_dword v28, v[28:29]
.LBB1781_100:
	s_or_b64 exec, exec, s[0:1]
	s_waitcnt vmcnt(0) lgkmcnt(0)
	ds_write2st64_b32 v48, v50, v51 offset1:4
	ds_write2st64_b32 v48, v52, v49 offset0:8 offset1:12
	ds_write2st64_b32 v48, v7, v6 offset0:16 offset1:20
	;; [unrolled: 1-line block ×10, first 2 shown]
	ds_write_b32 v48, v28 offset:22528
	v_mov_b64_e32 v[12:13], 0
	v_cmp_gt_u32_e32 vcc, s60, v77
	s_mov_b64 s[10:11], 0
	s_mov_b64 s[0:1], 0
	v_mov_b64_e32 v[14:15], v[12:13]
	v_mov_b64_e32 v[16:17], v[12:13]
	;; [unrolled: 1-line block ×21, first 2 shown]
	s_waitcnt lgkmcnt(0)
	s_barrier
	s_waitcnt lgkmcnt(0)
                                        ; implicit-def: $sgpr8_sgpr9
                                        ; implicit-def: $vgpr6
	s_and_saveexec_b64 s[6:7], vcc
	s_cbranch_execz .LBB1781_146
; %bb.101:
	ds_read_b32 v6, v76
	v_mov_b32_e32 v12, s74
	v_cmp_eq_u32_e32 vcc, v78, v74
	v_add_u32_e32 v7, 1, v77
	v_mov_b64_e32 v[14:15], 0
	s_waitcnt lgkmcnt(0)
	v_cndmask_b32_e32 v12, v12, v6, vcc
	v_cmp_ne_u32_e32 vcc, v78, v74
	s_mov_b64 s[12:13], 0
	v_mov_b64_e32 v[16:17], v[14:15]
	v_cndmask_b32_e64 v13, 0, 1, vcc
	v_cmp_gt_u32_e32 vcc, s60, v7
	v_mov_b64_e32 v[18:19], v[14:15]
	v_mov_b64_e32 v[20:21], v[14:15]
	;; [unrolled: 1-line block ×19, first 2 shown]
                                        ; implicit-def: $sgpr14_sgpr15
                                        ; implicit-def: $vgpr6
	s_and_saveexec_b64 s[8:9], vcc
	s_cbranch_execz .LBB1781_145
; %bb.102:
	ds_read2_b32 v[6:7], v76 offset0:1 offset1:2
	v_mov_b32_e32 v14, s74
	v_cmp_eq_u32_e32 vcc, v74, v75
	v_add_u32_e32 v16, 2, v77
	s_mov_b64 s[14:15], 0
	s_waitcnt lgkmcnt(0)
	v_cndmask_b32_e32 v14, v14, v6, vcc
	v_cmp_ne_u32_e32 vcc, v74, v75
                                        ; implicit-def: $sgpr16_sgpr17
                                        ; implicit-def: $vgpr6
	s_nop 1
	v_cndmask_b32_e64 v15, 0, 1, vcc
	v_cmp_gt_u32_e32 vcc, s60, v16
	v_mov_b64_e32 v[16:17], 0
	v_mov_b64_e32 v[18:19], v[16:17]
	;; [unrolled: 1-line block ×20, first 2 shown]
	s_and_saveexec_b64 s[10:11], vcc
	s_cbranch_execz .LBB1781_144
; %bb.103:
	v_mov_b32_e32 v16, s74
	v_cmp_eq_u32_e32 vcc, v75, v72
	v_add_u32_e32 v6, 3, v77
	v_mov_b64_e32 v[18:19], 0
	v_cndmask_b32_e32 v16, v16, v7, vcc
	v_cmp_ne_u32_e32 vcc, v75, v72
	s_mov_b64 s[16:17], 0
	v_mov_b64_e32 v[20:21], v[18:19]
	v_cndmask_b32_e64 v17, 0, 1, vcc
	v_cmp_gt_u32_e32 vcc, s60, v6
	v_mov_b64_e32 v[22:23], v[18:19]
	v_mov_b64_e32 v[24:25], v[18:19]
	;; [unrolled: 1-line block ×17, first 2 shown]
                                        ; implicit-def: $sgpr18_sgpr19
                                        ; implicit-def: $vgpr6
	s_and_saveexec_b64 s[12:13], vcc
	s_cbranch_execz .LBB1781_143
; %bb.104:
	ds_read2_b32 v[6:7], v76 offset0:3 offset1:4
	v_mov_b32_e32 v18, s74
	v_cmp_eq_u32_e32 vcc, v72, v73
	v_add_u32_e32 v20, 4, v77
	s_mov_b64 s[18:19], 0
	s_waitcnt lgkmcnt(0)
	v_cndmask_b32_e32 v18, v18, v6, vcc
	v_cmp_ne_u32_e32 vcc, v72, v73
                                        ; implicit-def: $sgpr20_sgpr21
                                        ; implicit-def: $vgpr6
	s_nop 1
	v_cndmask_b32_e64 v19, 0, 1, vcc
	v_cmp_gt_u32_e32 vcc, s60, v20
	v_mov_b64_e32 v[20:21], 0
	v_mov_b64_e32 v[22:23], v[20:21]
	;; [unrolled: 1-line block ×18, first 2 shown]
	s_and_saveexec_b64 s[14:15], vcc
	s_cbranch_execz .LBB1781_142
; %bb.105:
	v_mov_b32_e32 v20, s74
	v_cmp_eq_u32_e32 vcc, v73, v70
	v_add_u32_e32 v6, 5, v77
	v_mov_b64_e32 v[22:23], 0
	v_cndmask_b32_e32 v20, v20, v7, vcc
	v_cmp_ne_u32_e32 vcc, v73, v70
	s_mov_b64 s[20:21], 0
	v_mov_b64_e32 v[24:25], v[22:23]
	v_cndmask_b32_e64 v21, 0, 1, vcc
	v_cmp_gt_u32_e32 vcc, s60, v6
	v_mov_b64_e32 v[26:27], v[22:23]
	v_mov_b64_e32 v[28:29], v[22:23]
	;; [unrolled: 1-line block ×15, first 2 shown]
                                        ; implicit-def: $sgpr22_sgpr23
                                        ; implicit-def: $vgpr6
	s_and_saveexec_b64 s[16:17], vcc
	s_cbranch_execz .LBB1781_141
; %bb.106:
	ds_read2_b32 v[6:7], v76 offset0:5 offset1:6
	v_mov_b32_e32 v22, s74
	v_cmp_eq_u32_e32 vcc, v70, v71
	v_add_u32_e32 v24, 6, v77
	s_mov_b64 s[22:23], 0
	s_waitcnt lgkmcnt(0)
	v_cndmask_b32_e32 v22, v22, v6, vcc
	v_cmp_ne_u32_e32 vcc, v70, v71
                                        ; implicit-def: $sgpr24_sgpr25
                                        ; implicit-def: $vgpr6
	s_nop 1
	v_cndmask_b32_e64 v23, 0, 1, vcc
	v_cmp_gt_u32_e32 vcc, s60, v24
	v_mov_b64_e32 v[24:25], 0
	v_mov_b64_e32 v[26:27], v[24:25]
	;; [unrolled: 1-line block ×16, first 2 shown]
	s_and_saveexec_b64 s[18:19], vcc
	s_cbranch_execz .LBB1781_140
; %bb.107:
	v_mov_b32_e32 v24, s74
	v_cmp_eq_u32_e32 vcc, v71, v68
	v_add_u32_e32 v6, 7, v77
	v_mov_b64_e32 v[26:27], 0
	v_cndmask_b32_e32 v24, v24, v7, vcc
	v_cmp_ne_u32_e32 vcc, v71, v68
	s_mov_b64 s[24:25], 0
	v_mov_b64_e32 v[28:29], v[26:27]
	v_cndmask_b32_e64 v25, 0, 1, vcc
	v_cmp_gt_u32_e32 vcc, s60, v6
	v_mov_b64_e32 v[30:31], v[26:27]
	v_mov_b64_e32 v[32:33], v[26:27]
	;; [unrolled: 1-line block ×13, first 2 shown]
                                        ; implicit-def: $sgpr26_sgpr27
                                        ; implicit-def: $vgpr6
	s_and_saveexec_b64 s[20:21], vcc
	s_cbranch_execz .LBB1781_139
; %bb.108:
	ds_read2_b32 v[6:7], v76 offset0:7 offset1:8
	v_mov_b32_e32 v26, s74
	v_cmp_eq_u32_e32 vcc, v68, v69
	v_add_u32_e32 v28, 8, v77
	s_mov_b64 s[26:27], 0
	s_waitcnt lgkmcnt(0)
	v_cndmask_b32_e32 v26, v26, v6, vcc
	v_cmp_ne_u32_e32 vcc, v68, v69
                                        ; implicit-def: $sgpr28_sgpr29
                                        ; implicit-def: $vgpr6
	s_nop 1
	v_cndmask_b32_e64 v27, 0, 1, vcc
	v_cmp_gt_u32_e32 vcc, s60, v28
	v_mov_b64_e32 v[28:29], 0
	v_mov_b64_e32 v[30:31], v[28:29]
	;; [unrolled: 1-line block ×14, first 2 shown]
	s_and_saveexec_b64 s[22:23], vcc
	s_cbranch_execz .LBB1781_138
; %bb.109:
	v_mov_b32_e32 v28, s74
	v_cmp_eq_u32_e32 vcc, v69, v66
	v_add_u32_e32 v6, 9, v77
	v_mov_b64_e32 v[30:31], 0
	v_cndmask_b32_e32 v28, v28, v7, vcc
	v_cmp_ne_u32_e32 vcc, v69, v66
	s_mov_b64 s[28:29], 0
	v_mov_b64_e32 v[32:33], v[30:31]
	v_cndmask_b32_e64 v29, 0, 1, vcc
	v_cmp_gt_u32_e32 vcc, s60, v6
	v_mov_b64_e32 v[34:35], v[30:31]
	v_mov_b64_e32 v[36:37], v[30:31]
	;; [unrolled: 1-line block ×11, first 2 shown]
                                        ; implicit-def: $sgpr30_sgpr31
                                        ; implicit-def: $vgpr6
	s_and_saveexec_b64 s[24:25], vcc
	s_cbranch_execz .LBB1781_137
; %bb.110:
	ds_read2_b32 v[6:7], v76 offset0:9 offset1:10
	v_mov_b32_e32 v30, s74
	v_cmp_eq_u32_e32 vcc, v66, v67
	v_add_u32_e32 v32, 10, v77
	s_mov_b64 s[30:31], 0
	s_waitcnt lgkmcnt(0)
	v_cndmask_b32_e32 v30, v30, v6, vcc
	v_cmp_ne_u32_e32 vcc, v66, v67
                                        ; implicit-def: $sgpr34_sgpr35
                                        ; implicit-def: $vgpr6
	s_nop 1
	v_cndmask_b32_e64 v31, 0, 1, vcc
	v_cmp_gt_u32_e32 vcc, s60, v32
	v_mov_b64_e32 v[32:33], 0
	v_mov_b64_e32 v[34:35], v[32:33]
	;; [unrolled: 1-line block ×12, first 2 shown]
	s_and_saveexec_b64 s[26:27], vcc
	s_cbranch_execz .LBB1781_136
; %bb.111:
	v_mov_b32_e32 v32, s74
	v_cmp_eq_u32_e32 vcc, v67, v64
	v_add_u32_e32 v6, 11, v77
	v_mov_b64_e32 v[34:35], 0
	v_cndmask_b32_e32 v32, v32, v7, vcc
	v_cmp_ne_u32_e32 vcc, v67, v64
	s_mov_b64 s[34:35], 0
	v_mov_b64_e32 v[36:37], v[34:35]
	v_cndmask_b32_e64 v33, 0, 1, vcc
	v_cmp_gt_u32_e32 vcc, s60, v6
	v_mov_b64_e32 v[38:39], v[34:35]
	v_mov_b64_e32 v[40:41], v[34:35]
	;; [unrolled: 1-line block ×9, first 2 shown]
                                        ; implicit-def: $sgpr36_sgpr37
                                        ; implicit-def: $vgpr6
	s_and_saveexec_b64 s[28:29], vcc
	s_cbranch_execz .LBB1781_135
; %bb.112:
	ds_read2_b32 v[6:7], v76 offset0:11 offset1:12
	v_mov_b32_e32 v34, s74
	v_cmp_eq_u32_e32 vcc, v64, v65
	v_add_u32_e32 v36, 12, v77
	s_mov_b64 s[36:37], 0
	s_waitcnt lgkmcnt(0)
	v_cndmask_b32_e32 v34, v34, v6, vcc
	v_cmp_ne_u32_e32 vcc, v64, v65
                                        ; implicit-def: $sgpr38_sgpr39
                                        ; implicit-def: $vgpr6
	s_nop 1
	v_cndmask_b32_e64 v35, 0, 1, vcc
	v_cmp_gt_u32_e32 vcc, s60, v36
	v_mov_b64_e32 v[36:37], 0
	v_mov_b64_e32 v[38:39], v[36:37]
	v_mov_b64_e32 v[40:41], v[36:37]
	v_mov_b64_e32 v[42:43], v[36:37]
	v_mov_b64_e32 v[44:45], v[36:37]
	v_mov_b64_e32 v[46:47], v[36:37]
	v_mov_b64_e32 v[48:49], v[36:37]
	v_mov_b64_e32 v[50:51], v[36:37]
	v_mov_b64_e32 v[52:53], v[36:37]
	v_mov_b64_e32 v[54:55], v[36:37]
	s_and_saveexec_b64 s[30:31], vcc
	s_cbranch_execz .LBB1781_134
; %bb.113:
	v_mov_b32_e32 v36, s74
	v_cmp_eq_u32_e32 vcc, v65, v62
	v_add_u32_e32 v6, 13, v77
	v_mov_b64_e32 v[38:39], 0
	v_cndmask_b32_e32 v36, v36, v7, vcc
	v_cmp_ne_u32_e32 vcc, v65, v62
	s_mov_b64 s[38:39], 0
	v_mov_b64_e32 v[40:41], v[38:39]
	v_cndmask_b32_e64 v37, 0, 1, vcc
	v_cmp_gt_u32_e32 vcc, s60, v6
	v_mov_b64_e32 v[42:43], v[38:39]
	v_mov_b64_e32 v[44:45], v[38:39]
	v_mov_b64_e32 v[46:47], v[38:39]
	v_mov_b64_e32 v[48:49], v[38:39]
	v_mov_b64_e32 v[50:51], v[38:39]
	v_mov_b64_e32 v[52:53], v[38:39]
	v_mov_b64_e32 v[54:55], v[38:39]
                                        ; implicit-def: $sgpr40_sgpr41
                                        ; implicit-def: $vgpr6
	s_and_saveexec_b64 s[34:35], vcc
	s_cbranch_execz .LBB1781_133
; %bb.114:
	ds_read2_b32 v[6:7], v76 offset0:13 offset1:14
	v_mov_b32_e32 v38, s74
	v_cmp_eq_u32_e32 vcc, v62, v63
	v_add_u32_e32 v40, 14, v77
	s_mov_b64 s[40:41], 0
	s_waitcnt lgkmcnt(0)
	v_cndmask_b32_e32 v38, v38, v6, vcc
	v_cmp_ne_u32_e32 vcc, v62, v63
                                        ; implicit-def: $sgpr42_sgpr43
                                        ; implicit-def: $vgpr6
	s_nop 1
	v_cndmask_b32_e64 v39, 0, 1, vcc
	v_cmp_gt_u32_e32 vcc, s60, v40
	v_mov_b64_e32 v[40:41], 0
	v_mov_b64_e32 v[42:43], v[40:41]
	;; [unrolled: 1-line block ×8, first 2 shown]
	s_and_saveexec_b64 s[36:37], vcc
	s_cbranch_execz .LBB1781_132
; %bb.115:
	v_mov_b32_e32 v40, s74
	v_cmp_eq_u32_e32 vcc, v63, v60
	v_add_u32_e32 v6, 15, v77
	v_mov_b64_e32 v[42:43], 0
	v_cndmask_b32_e32 v40, v40, v7, vcc
	v_cmp_ne_u32_e32 vcc, v63, v60
	s_mov_b64 s[42:43], 0
	v_mov_b64_e32 v[44:45], v[42:43]
	v_cndmask_b32_e64 v41, 0, 1, vcc
	v_cmp_gt_u32_e32 vcc, s60, v6
	v_mov_b64_e32 v[46:47], v[42:43]
	v_mov_b64_e32 v[48:49], v[42:43]
	;; [unrolled: 1-line block ×5, first 2 shown]
                                        ; implicit-def: $sgpr44_sgpr45
                                        ; implicit-def: $vgpr6
	s_and_saveexec_b64 s[38:39], vcc
	s_cbranch_execz .LBB1781_131
; %bb.116:
	ds_read2_b32 v[6:7], v76 offset0:15 offset1:16
	v_mov_b32_e32 v42, s74
	v_cmp_eq_u32_e32 vcc, v60, v61
	v_add_u32_e32 v44, 16, v77
	s_mov_b64 s[44:45], 0
	s_waitcnt lgkmcnt(0)
	v_cndmask_b32_e32 v42, v42, v6, vcc
	v_cmp_ne_u32_e32 vcc, v60, v61
                                        ; implicit-def: $sgpr46_sgpr47
                                        ; implicit-def: $vgpr6
	s_nop 1
	v_cndmask_b32_e64 v43, 0, 1, vcc
	v_cmp_gt_u32_e32 vcc, s60, v44
	v_mov_b64_e32 v[44:45], 0
	v_mov_b64_e32 v[46:47], v[44:45]
	v_mov_b64_e32 v[48:49], v[44:45]
	v_mov_b64_e32 v[50:51], v[44:45]
	v_mov_b64_e32 v[52:53], v[44:45]
	v_mov_b64_e32 v[54:55], v[44:45]
	s_and_saveexec_b64 s[40:41], vcc
	s_cbranch_execz .LBB1781_130
; %bb.117:
	v_mov_b32_e32 v44, s74
	v_cmp_eq_u32_e32 vcc, v61, v58
	v_add_u32_e32 v6, 17, v77
	v_mov_b64_e32 v[46:47], 0
	v_cndmask_b32_e32 v44, v44, v7, vcc
	v_cmp_ne_u32_e32 vcc, v61, v58
	s_mov_b64 s[46:47], 0
	v_mov_b64_e32 v[48:49], v[46:47]
	v_cndmask_b32_e64 v45, 0, 1, vcc
	v_cmp_gt_u32_e32 vcc, s60, v6
	v_mov_b64_e32 v[50:51], v[46:47]
	v_mov_b64_e32 v[52:53], v[46:47]
	;; [unrolled: 1-line block ×3, first 2 shown]
                                        ; implicit-def: $sgpr48_sgpr49
                                        ; implicit-def: $vgpr6
	s_and_saveexec_b64 s[42:43], vcc
	s_cbranch_execz .LBB1781_129
; %bb.118:
	ds_read2_b32 v[6:7], v76 offset0:17 offset1:18
	v_mov_b32_e32 v46, s74
	v_cmp_eq_u32_e32 vcc, v58, v59
	v_add_u32_e32 v48, 18, v77
	s_mov_b64 s[48:49], 0
	s_waitcnt lgkmcnt(0)
	v_cndmask_b32_e32 v46, v46, v6, vcc
	v_cmp_ne_u32_e32 vcc, v58, v59
                                        ; implicit-def: $sgpr50_sgpr51
                                        ; implicit-def: $vgpr6
	s_nop 1
	v_cndmask_b32_e64 v47, 0, 1, vcc
	v_cmp_gt_u32_e32 vcc, s60, v48
	v_mov_b64_e32 v[48:49], 0
	v_mov_b64_e32 v[50:51], v[48:49]
	;; [unrolled: 1-line block ×4, first 2 shown]
	s_and_saveexec_b64 s[44:45], vcc
	s_cbranch_execz .LBB1781_128
; %bb.119:
	v_mov_b32_e32 v48, s74
	v_cmp_eq_u32_e32 vcc, v59, v56
	v_add_u32_e32 v6, 19, v77
	v_mov_b64_e32 v[50:51], 0
	v_cndmask_b32_e32 v48, v48, v7, vcc
	v_cmp_ne_u32_e32 vcc, v59, v56
	s_mov_b64 s[50:51], 0
	v_mov_b64_e32 v[52:53], v[50:51]
	v_cndmask_b32_e64 v49, 0, 1, vcc
	v_cmp_gt_u32_e32 vcc, s60, v6
	v_mov_b64_e32 v[54:55], v[50:51]
                                        ; implicit-def: $sgpr56_sgpr57
                                        ; implicit-def: $vgpr6
	s_and_saveexec_b64 s[46:47], vcc
	s_cbranch_execz .LBB1781_127
; %bb.120:
	ds_read2_b32 v[6:7], v76 offset0:19 offset1:20
	v_mov_b32_e32 v50, s74
	v_cmp_eq_u32_e32 vcc, v56, v57
	v_add_u32_e32 v52, 20, v77
	s_mov_b64 s[56:57], 0
	s_waitcnt lgkmcnt(0)
	v_cndmask_b32_e32 v50, v50, v6, vcc
	v_cmp_ne_u32_e32 vcc, v56, v57
                                        ; implicit-def: $sgpr58_sgpr59
                                        ; implicit-def: $vgpr6
	s_nop 1
	v_cndmask_b32_e64 v51, 0, 1, vcc
	v_cmp_gt_u32_e32 vcc, s60, v52
	v_mov_b64_e32 v[52:53], 0
	v_mov_b64_e32 v[54:55], v[52:53]
	s_and_saveexec_b64 s[48:49], vcc
	s_cbranch_execz .LBB1781_126
; %bb.121:
	v_mov_b32_e32 v52, s74
	v_cmp_eq_u32_e32 vcc, v57, v8
	v_add_u32_e32 v6, 21, v77
	v_mov_b64_e32 v[54:55], 0
	v_cndmask_b32_e32 v52, v52, v7, vcc
	v_cmp_ne_u32_e32 vcc, v57, v8
                                        ; implicit-def: $sgpr58_sgpr59
	s_nop 1
	v_cndmask_b32_e64 v53, 0, 1, vcc
	v_cmp_gt_u32_e32 vcc, s60, v6
                                        ; implicit-def: $vgpr6
	s_and_saveexec_b64 s[50:51], vcc
	s_cbranch_execz .LBB1781_125
; %bb.122:
	ds_read2_b32 v[6:7], v76 offset0:21 offset1:22
	v_mov_b32_e32 v54, s74
	v_cmp_eq_u32_e32 vcc, v8, v9
	v_add_u32_e32 v56, 22, v77
                                        ; implicit-def: $sgpr58_sgpr59
	s_waitcnt lgkmcnt(0)
	v_cndmask_b32_e32 v54, v54, v6, vcc
	v_cmp_ne_u32_e32 vcc, v8, v9
                                        ; implicit-def: $vgpr6
	s_nop 1
	v_cndmask_b32_e64 v55, 0, 1, vcc
	v_cmp_gt_u32_e32 vcc, s60, v56
	s_and_saveexec_b64 s[60:61], vcc
	s_xor_b64 s[60:61], exec, s[60:61]
; %bb.123:
	v_mov_b32_e32 v6, s74
	v_cmp_ne_u32_e32 vcc, v9, v1
	s_mov_b64 s[56:57], exec
	s_and_b64 s[58:59], vcc, exec
	v_cndmask_b32_e32 v6, v7, v6, vcc
; %bb.124:
	s_or_b64 exec, exec, s[60:61]
	s_and_b64 s[58:59], s[58:59], exec
	s_and_b64 s[56:57], s[56:57], exec
.LBB1781_125:
	s_or_b64 exec, exec, s[50:51]
	s_and_b64 s[58:59], s[58:59], exec
	s_and_b64 s[50:51], s[56:57], exec
.LBB1781_126:
	s_or_b64 exec, exec, s[48:49]
	s_and_b64 s[56:57], s[58:59], exec
	s_and_b64 s[48:49], s[50:51], exec
.LBB1781_127:
	s_or_b64 exec, exec, s[46:47]
	s_and_b64 s[50:51], s[56:57], exec
	s_and_b64 s[46:47], s[48:49], exec
.LBB1781_128:
	s_or_b64 exec, exec, s[44:45]
	s_and_b64 s[48:49], s[50:51], exec
	s_and_b64 s[44:45], s[46:47], exec
.LBB1781_129:
	s_or_b64 exec, exec, s[42:43]
	s_and_b64 s[46:47], s[48:49], exec
	s_and_b64 s[42:43], s[44:45], exec
.LBB1781_130:
	s_or_b64 exec, exec, s[40:41]
	s_and_b64 s[44:45], s[46:47], exec
	s_and_b64 s[40:41], s[42:43], exec
.LBB1781_131:
	s_or_b64 exec, exec, s[38:39]
	s_and_b64 s[42:43], s[44:45], exec
	s_and_b64 s[38:39], s[40:41], exec
.LBB1781_132:
	s_or_b64 exec, exec, s[36:37]
	s_and_b64 s[40:41], s[42:43], exec
	s_and_b64 s[36:37], s[38:39], exec
.LBB1781_133:
	s_or_b64 exec, exec, s[34:35]
	s_and_b64 s[38:39], s[40:41], exec
	s_and_b64 s[34:35], s[36:37], exec
.LBB1781_134:
	s_or_b64 exec, exec, s[30:31]
	s_and_b64 s[36:37], s[38:39], exec
	s_and_b64 s[30:31], s[34:35], exec
.LBB1781_135:
	s_or_b64 exec, exec, s[28:29]
	s_and_b64 s[34:35], s[36:37], exec
	s_and_b64 s[28:29], s[30:31], exec
.LBB1781_136:
	s_or_b64 exec, exec, s[26:27]
	s_and_b64 s[30:31], s[34:35], exec
	s_and_b64 s[26:27], s[28:29], exec
.LBB1781_137:
	s_or_b64 exec, exec, s[24:25]
	s_and_b64 s[28:29], s[30:31], exec
	s_and_b64 s[24:25], s[26:27], exec
.LBB1781_138:
	s_or_b64 exec, exec, s[22:23]
	s_and_b64 s[26:27], s[28:29], exec
	s_and_b64 s[22:23], s[24:25], exec
.LBB1781_139:
	s_or_b64 exec, exec, s[20:21]
	s_and_b64 s[24:25], s[26:27], exec
	s_and_b64 s[20:21], s[22:23], exec
.LBB1781_140:
	s_or_b64 exec, exec, s[18:19]
	s_and_b64 s[22:23], s[24:25], exec
	s_and_b64 s[18:19], s[20:21], exec
.LBB1781_141:
	s_or_b64 exec, exec, s[16:17]
	s_and_b64 s[20:21], s[22:23], exec
	s_and_b64 s[16:17], s[18:19], exec
.LBB1781_142:
	s_or_b64 exec, exec, s[14:15]
	s_and_b64 s[18:19], s[20:21], exec
	s_and_b64 s[14:15], s[16:17], exec
.LBB1781_143:
	s_or_b64 exec, exec, s[12:13]
	s_and_b64 s[16:17], s[18:19], exec
	s_and_b64 s[12:13], s[14:15], exec
.LBB1781_144:
	s_or_b64 exec, exec, s[10:11]
	s_and_b64 s[14:15], s[16:17], exec
	s_and_b64 s[10:11], s[12:13], exec
.LBB1781_145:
	s_or_b64 exec, exec, s[8:9]
	s_and_b64 s[8:9], s[14:15], exec
	s_and_b64 s[10:11], s[10:11], exec
.LBB1781_146:
	s_or_b64 exec, exec, s[6:7]
	s_mov_b64 s[6:7], 0
	s_and_b64 vcc, exec, s[0:1]
	v_lshlrev_b32_e32 v56, 2, v0
	s_cbranch_vccz .LBB1781_152
.LBB1781_147:
	v_mov_b32_e32 v57, 0
	v_lshl_add_u64 v[6:7], v[4:5], 0, v[56:57]
	v_add_co_u32_e32 v8, vcc, 0x1000, v6
	s_movk_i32 s6, 0x58
	s_nop 0
	v_addc_co_u32_e32 v9, vcc, 0, v7, vcc
	flat_load_dword v1, v[6:7]
	flat_load_dword v14, v[6:7] offset:1024
	flat_load_dword v15, v[6:7] offset:2048
	;; [unrolled: 1-line block ×3, first 2 shown]
	flat_load_dword v17, v[8:9]
	flat_load_dword v18, v[8:9] offset:1024
	flat_load_dword v19, v[8:9] offset:2048
	;; [unrolled: 1-line block ×3, first 2 shown]
	v_add_co_u32_e32 v8, vcc, 0x2000, v6
	s_movk_i32 s11, 0x1000
	s_nop 0
	v_addc_co_u32_e32 v9, vcc, 0, v7, vcc
	v_add_co_u32_e32 v12, vcc, 0x3000, v6
	s_mov_b32 s0, 0
	s_nop 0
	v_addc_co_u32_e32 v13, vcc, 0, v7, vcc
	flat_load_dword v21, v[8:9]
	flat_load_dword v22, v[8:9] offset:1024
	flat_load_dword v23, v[8:9] offset:2048
	;; [unrolled: 1-line block ×3, first 2 shown]
	flat_load_dword v25, v[12:13]
	flat_load_dword v26, v[12:13] offset:1024
	flat_load_dword v27, v[12:13] offset:2048
	;; [unrolled: 1-line block ×3, first 2 shown]
	v_add_co_u32_e32 v8, vcc, 0x4000, v6
	s_movk_i32 s10, 0x2000
	s_nop 0
	v_addc_co_u32_e32 v9, vcc, 0, v7, vcc
	v_add_co_u32_e32 v6, vcc, 0x5000, v6
	s_movk_i32 s9, 0x3000
	s_nop 0
	v_addc_co_u32_e32 v7, vcc, 0, v7, vcc
	flat_load_dword v12, v[8:9]
	flat_load_dword v13, v[8:9] offset:1024
	flat_load_dword v29, v[8:9] offset:2048
	;; [unrolled: 1-line block ×3, first 2 shown]
	flat_load_dword v31, v[6:7]
	flat_load_dword v32, v[6:7] offset:1024
	flat_load_dword v33, v[6:7] offset:2048
	v_add_co_u32_e32 v4, vcc, 0x5000, v4
	s_movk_i32 s8, 0x4000
	s_nop 0
	v_addc_co_u32_e32 v5, vcc, 0, v5, vcc
	s_movk_i32 s1, 0x5000
	s_waitcnt vmcnt(0) lgkmcnt(0)
	ds_write2st64_b32 v56, v1, v14 offset1:4
	ds_write2st64_b32 v56, v15, v16 offset0:8 offset1:12
	ds_write2st64_b32 v56, v17, v18 offset0:16 offset1:20
	;; [unrolled: 1-line block ×10, first 2 shown]
	ds_write_b32 v56, v33 offset:22528
	s_waitcnt lgkmcnt(0)
	s_barrier
	flat_load_dword v1, v[4:5] offset:3072
	v_mad_u32_u24 v14, v0, s6, v56
	s_movk_i32 s6, 0xffa8
	v_mad_i32_i24 v13, v0, s6, v14
	s_movk_i32 s6, 0xff
	v_cmp_ne_u32_e32 vcc, s6, v0
	ds_read_b32 v12, v14
	ds_read2_b32 v[16:17], v14 offset0:1 offset1:2
	ds_read2_b32 v[20:21], v14 offset0:3 offset1:4
	;; [unrolled: 1-line block ×11, first 2 shown]
	s_waitcnt lgkmcnt(0)
	ds_write_b32 v13, v12 offset:24576
	s_waitcnt lgkmcnt(0)
	s_barrier
	s_and_saveexec_b64 s[6:7], vcc
	s_cbranch_execz .LBB1781_149
; %bb.148:
	s_waitcnt vmcnt(0)
	ds_read_b32 v1, v56 offset:24580
.LBB1781_149:
	s_or_b64 exec, exec, s[6:7]
	v_lshl_add_u64 v[2:3], v[2:3], 0, v[56:57]
	v_add_co_u32_e32 v18, vcc, s11, v2
	s_waitcnt lgkmcnt(0)
	s_nop 0
	v_addc_co_u32_e32 v19, vcc, 0, v3, vcc
	s_barrier
	flat_load_dword v13, v[2:3]
	flat_load_dword v15, v[2:3] offset:1024
	flat_load_dword v26, v[2:3] offset:2048
	;; [unrolled: 1-line block ×3, first 2 shown]
	flat_load_dword v30, v[18:19]
	flat_load_dword v31, v[18:19] offset:1024
	flat_load_dword v34, v[18:19] offset:2048
	;; [unrolled: 1-line block ×3, first 2 shown]
	v_add_co_u32_e32 v18, vcc, s10, v2
	s_nop 1
	v_addc_co_u32_e32 v19, vcc, 0, v3, vcc
	v_add_co_u32_e32 v22, vcc, s9, v2
	s_nop 1
	v_addc_co_u32_e32 v23, vcc, 0, v3, vcc
	flat_load_dword v38, v[18:19]
	flat_load_dword v39, v[18:19] offset:1024
	flat_load_dword v42, v[18:19] offset:2048
	;; [unrolled: 1-line block ×3, first 2 shown]
	flat_load_dword v46, v[22:23]
	flat_load_dword v47, v[22:23] offset:1024
	flat_load_dword v48, v[22:23] offset:2048
	flat_load_dword v49, v[22:23] offset:3072
	v_add_co_u32_e32 v18, vcc, s8, v2
	s_nop 1
	v_addc_co_u32_e32 v19, vcc, 0, v3, vcc
	v_add_co_u32_e32 v2, vcc, s1, v2
	s_mov_b32 s1, 1
	s_nop 0
	v_addc_co_u32_e32 v3, vcc, 0, v3, vcc
	flat_load_dword v22, v[18:19]
	flat_load_dword v23, v[18:19] offset:1024
	flat_load_dword v50, v[18:19] offset:2048
	;; [unrolled: 1-line block ×3, first 2 shown]
	flat_load_dword v52, v[2:3]
	flat_load_dword v53, v[2:3] offset:1024
	flat_load_dword v54, v[2:3] offset:2048
	v_cmp_eq_u32_e32 vcc, v12, v16
	s_waitcnt vmcnt(0) lgkmcnt(0)
	ds_write2st64_b32 v56, v13, v15 offset1:4
	ds_write2st64_b32 v56, v26, v27 offset0:8 offset1:12
	ds_write2st64_b32 v56, v30, v31 offset0:16 offset1:20
	;; [unrolled: 1-line block ×10, first 2 shown]
	ds_write_b32 v56, v54 offset:22528
	s_waitcnt lgkmcnt(0)
	s_barrier
	ds_read2_b32 v[18:19], v14 offset0:1 offset1:2
	ds_read2_b32 v[22:23], v14 offset0:3 offset1:4
	;; [unrolled: 1-line block ×11, first 2 shown]
	v_mov_b64_e32 v[12:13], s[0:1]
	v_mov_b32_e32 v15, s74
	s_and_saveexec_b64 s[0:1], vcc
	s_cbranch_execz .LBB1781_151
; %bb.150:
	ds_read_b32 v15, v14
	v_mov_b64_e32 v[12:13], 0
.LBB1781_151:
	s_or_b64 exec, exec, s[0:1]
	v_mov_b32_e32 v57, s74
	v_cmp_eq_u32_e32 vcc, v16, v17
	s_waitcnt lgkmcnt(0)
	v_or_b32_e32 v12, v12, v15
	v_cmp_ne_u32_e64 s[8:9], v5, v1
	v_cndmask_b32_e32 v14, v57, v18, vcc
	v_cmp_ne_u32_e32 vcc, v16, v17
	s_mov_b64 s[10:11], -1
                                        ; implicit-def: $sgpr6_sgpr7
	s_nop 0
	v_cndmask_b32_e64 v15, 0, 1, vcc
	v_cmp_eq_u32_e32 vcc, v17, v20
	s_nop 1
	v_cndmask_b32_e32 v16, v57, v19, vcc
	v_cmp_ne_u32_e32 vcc, v17, v20
	s_nop 1
	v_cndmask_b32_e64 v17, 0, 1, vcc
	v_cmp_eq_u32_e32 vcc, v20, v21
	s_nop 1
	v_cndmask_b32_e32 v18, v57, v22, vcc
	v_cmp_ne_u32_e32 vcc, v20, v21
	;; [unrolled: 6-line block ×18, first 2 shown]
	v_cndmask_b32_e64 v6, v3, v57, s[8:9]
	s_nop 0
	v_cndmask_b32_e64 v51, 0, 1, vcc
	v_cmp_eq_u32_e32 vcc, v7, v4
	s_nop 1
	v_cndmask_b32_e32 v52, v57, v53, vcc
	v_cmp_ne_u32_e32 vcc, v7, v4
	s_nop 1
	v_cndmask_b32_e64 v53, 0, 1, vcc
	v_cmp_eq_u32_e32 vcc, v4, v5
	s_nop 1
	v_cndmask_b32_e32 v54, v57, v2, vcc
	v_cmp_ne_u32_e32 vcc, v4, v5
	s_nop 1
	v_cndmask_b32_e64 v55, 0, 1, vcc
.LBB1781_152:
	v_mov_b64_e32 v[58:59], s[6:7]
	s_and_saveexec_b64 s[0:1], s[10:11]
; %bb.153:
	v_cndmask_b32_e64 v7, 0, 1, s[8:9]
	v_mov_b64_e32 v[58:59], v[6:7]
; %bb.154:
	s_or_b64 exec, exec, s[0:1]
	s_mov_b32 s0, 0
	s_cmp_lg_u32 s67, 0
	v_or_b32_e32 v57, v59, v55
	v_lshrrev_b32_e32 v1, 5, v0
	v_cmp_gt_u32_e32 vcc, 64, v0
	s_barrier
	s_cbranch_scc0 .LBB1781_189
; %bb.155:
	s_mov_b32 s1, 1
	v_cmp_gt_u64_e64 s[6:7], s[0:1], v[14:15]
	v_cmp_gt_u64_e64 s[8:9], s[0:1], v[16:17]
	v_cmp_gt_u64_e64 s[10:11], s[0:1], v[18:19]
	v_cndmask_b32_e64 v2, 0, v12, s[6:7]
	v_add_u32_e32 v2, v2, v14
	v_cndmask_b32_e64 v2, 0, v2, s[8:9]
	v_add_u32_e32 v2, v2, v16
	v_cndmask_b32_e64 v2, 0, v2, s[10:11]
	v_add_u32_e32 v2, v2, v18
	v_cmp_gt_u64_e64 s[12:13], s[0:1], v[20:21]
	v_cmp_gt_u64_e64 s[14:15], s[0:1], v[22:23]
	v_cmp_gt_u64_e64 s[16:17], s[0:1], v[24:25]
	v_cndmask_b32_e64 v2, 0, v2, s[12:13]
	v_add_u32_e32 v2, v2, v20
	v_cndmask_b32_e64 v2, 0, v2, s[14:15]
	v_add_u32_e32 v2, v2, v22
	v_cndmask_b32_e64 v2, 0, v2, s[16:17]
	v_add_u32_e32 v2, v2, v24
	v_cmp_gt_u64_e64 s[18:19], s[0:1], v[26:27]
	v_cmp_gt_u64_e64 s[20:21], s[0:1], v[28:29]
	v_cmp_gt_u64_e64 s[22:23], s[0:1], v[30:31]
	v_cndmask_b32_e64 v2, 0, v2, s[18:19]
	v_add_u32_e32 v2, v2, v26
	v_cndmask_b32_e64 v2, 0, v2, s[20:21]
	v_add_u32_e32 v2, v2, v28
	v_cndmask_b32_e64 v2, 0, v2, s[22:23]
	v_add_u32_e32 v2, v2, v30
	v_cmp_gt_u64_e64 s[24:25], s[0:1], v[32:33]
	v_cmp_gt_u64_e64 s[26:27], s[0:1], v[34:35]
	v_cmp_gt_u64_e64 s[28:29], s[0:1], v[36:37]
	v_cndmask_b32_e64 v2, 0, v2, s[24:25]
	v_add_u32_e32 v2, v2, v32
	v_cndmask_b32_e64 v2, 0, v2, s[26:27]
	v_add_u32_e32 v2, v2, v34
	v_cndmask_b32_e64 v2, 0, v2, s[28:29]
	v_add_u32_e32 v2, v2, v36
	v_cmp_gt_u64_e64 s[30:31], s[0:1], v[38:39]
	v_cmp_gt_u64_e64 s[34:35], s[0:1], v[40:41]
	v_cmp_gt_u64_e64 s[36:37], s[0:1], v[42:43]
	v_cndmask_b32_e64 v2, 0, v2, s[30:31]
	v_add_u32_e32 v2, v2, v38
	v_cndmask_b32_e64 v2, 0, v2, s[34:35]
	v_add_u32_e32 v2, v2, v40
	v_cndmask_b32_e64 v2, 0, v2, s[36:37]
	v_add_u32_e32 v2, v2, v42
	v_cmp_gt_u64_e64 s[38:39], s[0:1], v[44:45]
	v_cmp_gt_u64_e64 s[40:41], s[0:1], v[46:47]
	v_cmp_gt_u64_e64 s[42:43], s[0:1], v[48:49]
	v_cndmask_b32_e64 v2, 0, v2, s[38:39]
	v_add_u32_e32 v2, v2, v44
	v_cndmask_b32_e64 v2, 0, v2, s[40:41]
	v_add_u32_e32 v2, v2, v46
	v_cndmask_b32_e64 v2, 0, v2, s[42:43]
	v_add_u32_e32 v2, v2, v48
	v_cmp_gt_u64_e64 s[44:45], s[0:1], v[50:51]
	v_cmp_gt_u64_e64 s[46:47], s[0:1], v[52:53]
	v_cmp_gt_u64_e64 s[48:49], s[0:1], v[54:55]
	v_cndmask_b32_e64 v2, 0, v2, s[44:45]
	v_add_u32_e32 v2, v2, v50
	v_cndmask_b32_e64 v2, 0, v2, s[46:47]
	v_add_u32_e32 v2, v2, v52
	v_cndmask_b32_e64 v2, 0, v2, s[48:49]
	v_add_u32_e32 v2, v2, v54
	v_cmp_gt_u64_e64 s[0:1], s[0:1], v[58:59]
	s_nop 1
	v_cndmask_b32_e64 v2, 0, v2, s[0:1]
	v_add_u32_e32 v64, v2, v58
	v_or3_b32 v2, v57, v53, v51
	v_or3_b32 v2, v2, v49, v47
	;; [unrolled: 1-line block ×10, first 2 shown]
	v_and_b32_e32 v2, 1, v2
	v_cmp_eq_u32_e64 s[0:1], 1, v2
	v_add_lshl_u32 v2, v1, v0, 3
	s_nop 0
	v_cndmask_b32_e64 v65, v13, 1, s[0:1]
	ds_write_b32 v2, v64
	ds_write_b8 v2, v65 offset:4
	s_waitcnt lgkmcnt(0)
	s_barrier
	s_and_saveexec_b64 s[50:51], vcc
	s_cbranch_execz .LBB1781_167
; %bb.156:
	v_lshrrev_b32_e32 v2, 3, v0
	v_add_lshl_u32 v4, v2, v56, 3
	ds_read2_b32 v[6:7], v4 offset0:2 offset1:4
	ds_read_b64 v[2:3], v4
	ds_read_u8 v8, v4 offset:12
	ds_read_u8 v9, v4 offset:20
	ds_read_b32 v60, v4 offset:24
	ds_read_u8 v61, v4 offset:28
	v_mov_b32_e32 v62, 0
	s_waitcnt lgkmcnt(3)
	v_cmp_eq_u16_sdwa s[0:1], v8, v62 src0_sel:BYTE_0 src1_sel:DWORD
	v_and_b32_e32 v5, 1, v3
	s_nop 0
	v_cndmask_b32_e64 v63, 0, v2, s[0:1]
	v_add_u32_e32 v6, v63, v6
	s_waitcnt lgkmcnt(2)
	v_cmp_eq_u16_sdwa s[0:1], v9, v62 src0_sel:BYTE_0 src1_sel:DWORD
	s_nop 1
	v_cndmask_b32_e64 v6, 0, v6, s[0:1]
	v_add_u32_e32 v6, v6, v7
	s_waitcnt lgkmcnt(0)
	v_cmp_eq_u16_e64 s[0:1], 0, v61
	s_nop 1
	v_cndmask_b32_e64 v6, 0, v6, s[0:1]
	v_add_u32_e32 v7, v6, v60
	v_or_b32_e32 v6, v61, v9
	v_or_b32_e32 v6, v6, v8
	v_and_b32_e32 v6, 1, v6
	v_cmp_eq_u32_e64 s[0:1], 1, v6
	v_mbcnt_lo_u32_b32 v8, -1, 0
	v_and_b32_e32 v6, 0xffffff00, v3
	v_cndmask_b32_e64 v9, v5, 1, s[0:1]
	v_mbcnt_hi_u32_b32 v8, -1, v8
	v_and_b32_e32 v61, 15, v8
	v_or_b32_sdwa v60, v6, v9 dst_sel:DWORD dst_unused:UNUSED_PAD src0_sel:DWORD src1_sel:WORD_0
	v_mov_b32_dpp v62, v7 row_shr:1 row_mask:0xf bank_mask:0xf
	v_cmp_ne_u32_e64 s[0:1], 0, v61
	v_mov_b32_dpp v63, v60 row_shr:1 row_mask:0xf bank_mask:0xf
	s_and_saveexec_b64 s[56:57], s[0:1]
; %bb.157:
	v_and_b32_e32 v60, 1, v9
	v_and_b32_e32 v63, 1, v63
	v_cmp_eq_u32_e64 s[0:1], 1, v60
	s_nop 1
	v_cndmask_b32_e64 v63, v63, 1, s[0:1]
	v_cmp_eq_u16_e64 s[0:1], 0, v9
	v_or_b32_sdwa v60, v6, v63 dst_sel:DWORD dst_unused:UNUSED_PAD src0_sel:DWORD src1_sel:WORD_0
	s_nop 0
	v_cndmask_b32_e64 v9, 0, v62, s[0:1]
	v_add_u32_e32 v7, v9, v7
	v_mov_b32_e32 v9, v63
; %bb.158:
	s_or_b64 exec, exec, s[56:57]
	v_mov_b32_dpp v62, v7 row_shr:2 row_mask:0xf bank_mask:0xf
	v_mov_b32_dpp v63, v60 row_shr:2 row_mask:0xf bank_mask:0xf
	v_cmp_lt_u32_e64 s[0:1], 1, v61
	s_and_saveexec_b64 s[56:57], s[0:1]
; %bb.159:
	v_and_b32_e32 v60, 1, v9
	v_and_b32_e32 v63, 1, v63
	v_cmp_eq_u32_e64 s[0:1], 1, v60
	s_nop 1
	v_cndmask_b32_e64 v63, v63, 1, s[0:1]
	v_cmp_eq_u16_e64 s[0:1], 0, v9
	v_or_b32_sdwa v60, v6, v63 dst_sel:DWORD dst_unused:UNUSED_PAD src0_sel:DWORD src1_sel:WORD_0
	s_nop 0
	v_cndmask_b32_e64 v9, 0, v62, s[0:1]
	v_add_u32_e32 v7, v9, v7
	v_mov_b32_e32 v9, v63
; %bb.160:
	s_or_b64 exec, exec, s[56:57]
	v_mov_b32_dpp v62, v7 row_shr:4 row_mask:0xf bank_mask:0xf
	v_mov_b32_dpp v63, v60 row_shr:4 row_mask:0xf bank_mask:0xf
	v_cmp_lt_u32_e64 s[0:1], 3, v61
	s_and_saveexec_b64 s[56:57], s[0:1]
; %bb.161:
	v_and_b32_e32 v60, 1, v9
	v_and_b32_e32 v63, 1, v63
	v_cmp_eq_u32_e64 s[0:1], 1, v60
	s_nop 1
	v_cndmask_b32_e64 v63, v63, 1, s[0:1]
	v_cmp_eq_u16_e64 s[0:1], 0, v9
	v_or_b32_sdwa v60, v6, v63 dst_sel:DWORD dst_unused:UNUSED_PAD src0_sel:DWORD src1_sel:WORD_0
	s_nop 0
	v_cndmask_b32_e64 v9, 0, v62, s[0:1]
	v_add_u32_e32 v7, v9, v7
	v_mov_b32_e32 v9, v63
; %bb.162:
	s_or_b64 exec, exec, s[56:57]
	v_mov_b32_dpp v62, v7 row_shr:8 row_mask:0xf bank_mask:0xf
	v_mov_b32_dpp v63, v60 row_shr:8 row_mask:0xf bank_mask:0xf
	v_cmp_lt_u32_e64 s[0:1], 7, v61
	s_and_saveexec_b64 s[56:57], s[0:1]
; %bb.163:
	v_and_b32_e32 v60, 1, v9
	v_and_b32_e32 v61, 1, v63
	v_cmp_eq_u32_e64 s[0:1], 1, v60
	s_nop 1
	v_cndmask_b32_e64 v61, v61, 1, s[0:1]
	v_cmp_eq_u16_e64 s[0:1], 0, v9
	v_or_b32_sdwa v60, v6, v61 dst_sel:DWORD dst_unused:UNUSED_PAD src0_sel:DWORD src1_sel:WORD_0
	s_nop 0
	v_cndmask_b32_e64 v9, 0, v62, s[0:1]
	v_add_u32_e32 v7, v9, v7
	v_mov_b32_e32 v9, v61
; %bb.164:
	s_or_b64 exec, exec, s[56:57]
	v_and_b32_e32 v63, 16, v8
	v_mov_b32_dpp v61, v7 row_bcast:15 row_mask:0xf bank_mask:0xf
	v_mov_b32_dpp v62, v60 row_bcast:15 row_mask:0xf bank_mask:0xf
	v_cmp_ne_u32_e64 s[0:1], 0, v63
	s_and_saveexec_b64 s[56:57], s[0:1]
; %bb.165:
	v_and_b32_e32 v60, 1, v9
	v_and_b32_e32 v62, 1, v62
	v_cmp_eq_u32_e64 s[0:1], 1, v60
	s_nop 1
	v_cndmask_b32_e64 v62, v62, 1, s[0:1]
	v_cmp_eq_u16_e64 s[0:1], 0, v9
	v_or_b32_sdwa v60, v6, v62 dst_sel:DWORD dst_unused:UNUSED_PAD src0_sel:DWORD src1_sel:WORD_0
	s_nop 0
	v_cndmask_b32_e64 v9, 0, v61, s[0:1]
	v_add_u32_e32 v7, v9, v7
	v_mov_b32_e32 v9, v62
; %bb.166:
	s_or_b64 exec, exec, s[56:57]
	v_mov_b32_dpp v60, v60 row_bcast:31 row_mask:0xf bank_mask:0xf
	v_and_b32_e32 v62, 1, v9
	v_and_b32_e32 v60, 1, v60
	v_cmp_eq_u32_e64 s[0:1], 1, v62
	v_mov_b32_e32 v62, 0
	v_cmp_eq_u16_sdwa s[56:57], v9, v62 src0_sel:BYTE_0 src1_sel:DWORD
	v_cndmask_b32_e64 v60, v60, 1, s[0:1]
	v_cmp_lt_u32_e64 s[0:1], 31, v8
	v_mov_b32_dpp v61, v7 row_bcast:31 row_mask:0xf bank_mask:0xf
	s_movk_i32 s58, 0xff
	v_cndmask_b32_e64 v9, v9, v60, s[0:1]
	s_and_b64 s[0:1], s[0:1], s[56:57]
	v_cndmask_b32_e64 v60, 0, v61, s[0:1]
	v_add_u32_e32 v7, v60, v7
	v_add_u32_e32 v60, -1, v8
	v_and_b32_e32 v61, 64, v8
	v_cmp_lt_i32_e64 s[0:1], v60, v61
	v_and_or_b32 v6, v9, s58, v6
	s_nop 0
	v_cndmask_b32_e64 v8, v60, v8, s[0:1]
	v_lshlrev_b32_e32 v8, 2, v8
	ds_bpermute_b32 v7, v8, v7
	ds_bpermute_b32 v6, v8, v6
	v_cmp_eq_u16_sdwa s[0:1], v3, v62 src0_sel:BYTE_0 src1_sel:DWORD
	; wave barrier
	s_waitcnt lgkmcnt(1)
	s_nop 0
	v_cndmask_b32_e64 v3, 0, v7, s[0:1]
	v_add_u32_e32 v2, v3, v2
	s_waitcnt lgkmcnt(0)
	v_and_b32_e32 v3, 1, v6
	v_cmp_eq_u32_e64 s[0:1], 1, v5
	v_cndmask_b32_e64 v5, v2, v64, s[52:53]
	s_nop 0
	v_cndmask_b32_e64 v3, v3, 1, s[0:1]
	v_cndmask_b32_e64 v6, v3, v65, s[52:53]
	ds_write_b32 v4, v5
	ds_write_b8 v4, v6 offset:4
	; wave barrier
	ds_read_u8 v7, v4 offset:12
	ds_read2_b32 v[2:3], v4 offset0:2 offset1:4
	ds_read_u8 v8, v4 offset:20
	ds_read_b32 v9, v4 offset:24
	ds_read_u8 v60, v4 offset:28
	s_waitcnt lgkmcnt(4)
	v_cmp_eq_u16_e64 s[0:1], 0, v7
	s_nop 1
	v_cndmask_b32_e64 v5, 0, v5, s[0:1]
	s_waitcnt lgkmcnt(3)
	v_add_u32_e32 v2, v5, v2
	v_and_b32_e32 v5, 1, v7
	v_cmp_eq_u32_e64 s[0:1], 1, v5
	s_nop 1
	v_cndmask_b32_e64 v5, v6, 1, s[0:1]
	s_waitcnt lgkmcnt(2)
	v_cmp_eq_u16_e64 s[0:1], 0, v8
	ds_write_b8 v4, v5 offset:12
	s_nop 0
	v_cndmask_b32_e64 v6, 0, v2, s[0:1]
	v_add_u32_e32 v3, v6, v3
	v_and_b32_e32 v6, 1, v8
	v_cmp_eq_u32_e64 s[0:1], 1, v6
	s_nop 1
	v_cndmask_b32_e64 v5, v5, 1, s[0:1]
	s_waitcnt lgkmcnt(1)
	v_cmp_eq_u16_e64 s[0:1], 0, v60
	ds_write2_b32 v4, v2, v3 offset0:2 offset1:4
	ds_write_b8 v4, v5 offset:20
	v_cndmask_b32_e64 v2, 0, v3, s[0:1]
	v_and_b32_e32 v3, 1, v60
	v_add_u32_e32 v2, v2, v9
	v_cmp_eq_u32_e64 s[0:1], 1, v3
	s_nop 1
	v_cndmask_b32_e64 v3, v5, 1, s[0:1]
	ds_write_b32 v4, v2 offset:24
	ds_write_b8 v4, v3 offset:28
.LBB1781_167:
	s_or_b64 exec, exec, s[50:51]
	s_waitcnt lgkmcnt(0)
	s_barrier
	s_and_saveexec_b64 s[0:1], s[4:5]
	s_cbranch_execz .LBB1781_169
; %bb.168:
	v_add_u32_e32 v2, -1, v0
	v_lshrrev_b32_e32 v3, 5, v2
	v_add_lshl_u32 v2, v3, v2, 3
	ds_read_b32 v64, v2
	ds_read_u8 v65, v2 offset:4
.LBB1781_169:
	s_or_b64 exec, exec, s[0:1]
	s_and_saveexec_b64 s[56:57], vcc
	s_cbranch_execz .LBB1781_188
; %bb.170:
	v_mov_b32_e32 v5, 0
	ds_read_b64 v[2:3], v5 offset:2096
	v_mbcnt_lo_u32_b32 v4, -1, 0
	v_mbcnt_hi_u32_b32 v75, -1, v4
	s_mov_b32 s59, 0
	v_cmp_eq_u32_e64 s[50:51], 0, v75
	s_waitcnt lgkmcnt(0)
	v_readfirstlane_b32 s68, v3
	s_and_saveexec_b64 s[0:1], s[50:51]
	s_cbranch_execz .LBB1781_172
; %bb.171:
	s_add_i32 s58, s67, 64
	s_lshl_b64 s[60:61], s[58:59], 4
	s_add_u32 s60, s64, s60
	s_addc_u32 s61, s65, s61
	s_and_b32 s77, s68, 0xff000000
	s_mov_b32 s76, s59
	s_and_b32 s79, s68, 0xff0000
	s_mov_b32 s78, s59
	s_or_b64 s[76:77], s[78:79], s[76:77]
	s_and_b32 s79, s68, 0xff00
	s_or_b64 s[76:77], s[76:77], s[78:79]
	s_and_b32 s79, s68, 0xff
	s_or_b64 s[58:59], s[76:77], s[78:79]
	v_mov_b32_e32 v3, s59
	v_mov_b32_e32 v4, 1
	v_mov_b64_e32 v[6:7], s[60:61]
	;;#ASMSTART
	global_store_dwordx4 v[6:7], v[2:5] off sc1	
s_waitcnt vmcnt(0)
	;;#ASMEND
.LBB1781_172:
	s_or_b64 exec, exec, s[0:1]
	v_xad_u32 v60, v75, -1, s67
	v_add_u32_e32 v4, 64, v60
	v_lshl_add_u64 v[62:63], v[4:5], 4, s[64:65]
	;;#ASMSTART
	global_load_dwordx4 v[6:9], v[62:63] off sc1	
s_waitcnt vmcnt(0)
	;;#ASMEND
	s_nop 0
	v_and_b32_e32 v3, 0xff0000, v6
	v_and_b32_e32 v4, 0xff000000, v6
	;; [unrolled: 1-line block ×3, first 2 shown]
	v_or_b32_sdwa v3, v6, v3 dst_sel:DWORD dst_unused:UNUSED_PAD src0_sel:WORD_0 src1_sel:DWORD
	v_or3_b32 v7, 0, 0, v7
	v_or3_b32 v6, v3, v4, 0
	v_cmp_eq_u16_sdwa s[58:59], v8, v5 src0_sel:BYTE_0 src1_sel:DWORD
	s_and_saveexec_b64 s[0:1], s[58:59]
	s_cbranch_execz .LBB1781_176
; %bb.173:
	s_mov_b64 s[58:59], 0
	v_mov_b32_e32 v3, 0
.LBB1781_174:                           ; =>This Inner Loop Header: Depth=1
	;;#ASMSTART
	global_load_dwordx4 v[6:9], v[62:63] off sc1	
s_waitcnt vmcnt(0)
	;;#ASMEND
	s_nop 0
	v_cmp_ne_u16_sdwa s[60:61], v8, v3 src0_sel:BYTE_0 src1_sel:DWORD
	s_or_b64 s[58:59], s[60:61], s[58:59]
	s_andn2_b64 exec, exec, s[58:59]
	s_cbranch_execnz .LBB1781_174
; %bb.175:
	s_or_b64 exec, exec, s[58:59]
	v_and_b32_e32 v7, 0xff, v7
.LBB1781_176:
	s_or_b64 exec, exec, s[0:1]
	v_mov_b32_e32 v3, 2
	v_cmp_eq_u16_sdwa s[0:1], v8, v3 src0_sel:BYTE_0 src1_sel:DWORD
	v_lshlrev_b64 v[4:5], v75, -1
	v_and_b32_e32 v66, 63, v75
	v_and_b32_e32 v9, s1, v5
	v_or_b32_e32 v9, 0x80000000, v9
	v_and_b32_e32 v61, s0, v4
	v_ffbl_b32_e32 v9, v9
	v_add_u32_e32 v9, 32, v9
	v_ffbl_b32_e32 v61, v61
	v_cmp_ne_u32_e32 vcc, 63, v66
	v_min_u32_e32 v9, v61, v9
	s_mov_b32 s58, 0
	v_addc_co_u32_e32 v61, vcc, 0, v75, vcc
	v_lshlrev_b32_e32 v67, 2, v61
	ds_bpermute_b32 v61, v67, v7
	ds_bpermute_b32 v62, v67, v6
	v_and_b32_e32 v63, 1, v7
	s_mov_b32 s59, 1
	v_cmp_eq_u32_e32 vcc, 1, v63
	s_waitcnt lgkmcnt(1)
	v_and_b32_e32 v61, 1, v61
	v_cmp_lt_u32_e64 s[0:1], v66, v9
	v_cndmask_b32_e64 v61, v61, 1, vcc
	v_cmp_gt_u64_e32 vcc, s[58:59], v[6:7]
	s_and_b64 vcc, s[0:1], vcc
	v_and_b32_e32 v63, 0xffff, v61
	v_cndmask_b32_e64 v70, v7, v61, s[0:1]
	s_waitcnt lgkmcnt(0)
	v_cndmask_b32_e32 v61, 0, v62, vcc
	v_cmp_gt_u32_e32 vcc, 62, v66
	v_cndmask_b32_e64 v7, v7, v63, s[0:1]
	v_add_u32_e32 v6, v61, v6
	v_cndmask_b32_e64 v62, 0, 1, vcc
	v_lshlrev_b32_e32 v62, 1, v62
	v_add_lshl_u32 v68, v62, v75, 2
	ds_bpermute_b32 v62, v68, v7
	ds_bpermute_b32 v63, v68, v6
	v_and_b32_e32 v61, 1, v70
	v_cmp_eq_u32_e32 vcc, 1, v61
	v_mov_b32_e32 v61, 0
	s_waitcnt lgkmcnt(1)
	v_and_b32_e32 v62, 1, v62
	v_add_u32_e32 v69, 2, v66
	v_cndmask_b32_e64 v62, v62, 1, vcc
	v_cmp_eq_u16_sdwa vcc, v70, v61 src0_sel:BYTE_0 src1_sel:DWORD
	v_and_b32_e32 v71, 0xffff, v62
	v_add_u32_e32 v79, 32, v66
	s_waitcnt lgkmcnt(0)
	v_cndmask_b32_e32 v63, 0, v63, vcc
	v_cmp_gt_u32_e32 vcc, v69, v9
	s_nop 1
	v_cndmask_b32_e32 v62, v62, v70, vcc
	v_cndmask_b32_e64 v63, v63, 0, vcc
	v_cndmask_b32_e32 v7, v71, v7, vcc
	v_cmp_gt_u32_e32 vcc, 60, v66
	v_add_u32_e32 v6, v63, v6
	v_and_b32_e32 v73, 1, v62
	v_cndmask_b32_e64 v70, 0, 1, vcc
	v_lshlrev_b32_e32 v70, 2, v70
	v_add_lshl_u32 v70, v70, v75, 2
	ds_bpermute_b32 v72, v70, v7
	ds_bpermute_b32 v63, v70, v6
	v_cmp_eq_u32_e32 vcc, 1, v73
	v_add_u32_e32 v71, 4, v66
	s_waitcnt lgkmcnt(1)
	v_and_b32_e32 v72, 1, v72
	v_cndmask_b32_e64 v72, v72, 1, vcc
	v_cmp_eq_u16_sdwa vcc, v62, v61 src0_sel:BYTE_0 src1_sel:DWORD
	v_and_b32_e32 v73, 0xffff, v72
	s_waitcnt lgkmcnt(0)
	v_cndmask_b32_e32 v63, 0, v63, vcc
	v_cmp_gt_u32_e32 vcc, v71, v9
	s_nop 1
	v_cndmask_b32_e32 v62, v72, v62, vcc
	v_cndmask_b32_e64 v63, v63, 0, vcc
	v_cndmask_b32_e32 v7, v73, v7, vcc
	v_cmp_gt_u32_e32 vcc, 56, v66
	v_add_u32_e32 v6, v63, v6
	v_and_b32_e32 v76, 1, v62
	v_cndmask_b32_e64 v72, 0, 1, vcc
	v_lshlrev_b32_e32 v72, 3, v72
	v_add_lshl_u32 v72, v72, v75, 2
	ds_bpermute_b32 v74, v72, v7
	ds_bpermute_b32 v63, v72, v6
	v_cmp_eq_u32_e32 vcc, 1, v76
	v_add_u32_e32 v73, 8, v66
	s_waitcnt lgkmcnt(1)
	v_and_b32_e32 v74, 1, v74
	v_cndmask_b32_e64 v74, v74, 1, vcc
	v_cmp_eq_u16_sdwa vcc, v62, v61 src0_sel:BYTE_0 src1_sel:DWORD
	v_and_b32_e32 v76, 0xffff, v74
	;; [unrolled: 22-line block ×3, first 2 shown]
	s_waitcnt lgkmcnt(0)
	v_cndmask_b32_e32 v63, 0, v63, vcc
	v_cmp_gt_u32_e32 vcc, v76, v9
	s_nop 1
	v_cndmask_b32_e32 v62, v77, v62, vcc
	v_cndmask_b32_e64 v63, v63, 0, vcc
	v_cndmask_b32_e32 v7, v78, v7, vcc
	v_cmp_gt_u32_e32 vcc, 32, v66
	v_add_u32_e32 v6, v63, v6
	s_nop 0
	v_cndmask_b32_e64 v77, 0, 1, vcc
	v_lshlrev_b32_e32 v77, 5, v77
	v_add_lshl_u32 v78, v77, v75, 2
	ds_bpermute_b32 v7, v78, v7
	ds_bpermute_b32 v63, v78, v6
	v_and_b32_e32 v75, 1, v62
	v_cmp_eq_u32_e32 vcc, 1, v75
	s_waitcnt lgkmcnt(1)
	v_and_b32_e32 v7, 1, v7
	v_cndmask_b32_e64 v7, v7, 1, vcc
	v_cmp_eq_u16_sdwa vcc, v62, v61 src0_sel:BYTE_0 src1_sel:DWORD
	s_waitcnt lgkmcnt(0)
	s_nop 0
	v_cndmask_b32_e32 v63, 0, v63, vcc
	v_cmp_gt_u32_e32 vcc, v79, v9
	s_nop 1
	v_cndmask_b32_e64 v9, v63, 0, vcc
	v_cndmask_b32_e32 v7, v7, v62, vcc
	v_add_u32_e32 v6, v9, v6
	s_branch .LBB1781_178
.LBB1781_177:                           ;   in Loop: Header=BB1781_178 Depth=1
	s_or_b64 exec, exec, s[0:1]
	v_cmp_eq_u16_sdwa s[0:1], v8, v3 src0_sel:BYTE_0 src1_sel:DWORD
	ds_bpermute_b32 v63, v67, v7
	v_and_b32_e32 v80, 1, v7
	v_and_b32_e32 v9, s1, v5
	v_or_b32_e32 v9, 0x80000000, v9
	v_and_b32_e32 v62, s0, v4
	v_ffbl_b32_e32 v9, v9
	v_add_u32_e32 v9, 32, v9
	v_ffbl_b32_e32 v62, v62
	v_min_u32_e32 v9, v62, v9
	ds_bpermute_b32 v62, v67, v6
	s_waitcnt lgkmcnt(1)
	v_and_b32_e32 v63, 1, v63
	v_cmp_eq_u32_e32 vcc, 1, v80
	v_cmp_lt_u32_e64 s[0:1], v66, v9
	v_subrev_u32_e32 v60, 64, v60
	v_cndmask_b32_e64 v63, v63, 1, vcc
	v_cmp_gt_u64_e32 vcc, s[58:59], v[6:7]
	v_and_b32_e32 v80, 0xffff, v63
	v_cndmask_b32_e64 v63, v7, v63, s[0:1]
	v_cndmask_b32_e64 v7, v7, v80, s[0:1]
	s_and_b64 vcc, s[0:1], vcc
	ds_bpermute_b32 v80, v68, v7
	s_waitcnt lgkmcnt(1)
	v_cndmask_b32_e32 v62, 0, v62, vcc
	v_add_u32_e32 v6, v62, v6
	ds_bpermute_b32 v62, v68, v6
	v_and_b32_e32 v81, 1, v63
	s_waitcnt lgkmcnt(1)
	v_and_b32_e32 v80, 1, v80
	v_cmp_eq_u32_e32 vcc, 1, v81
	s_nop 1
	v_cndmask_b32_e64 v80, v80, 1, vcc
	v_cmp_eq_u16_sdwa vcc, v63, v61 src0_sel:BYTE_0 src1_sel:DWORD
	v_and_b32_e32 v81, 0xffff, v80
	s_waitcnt lgkmcnt(0)
	v_cndmask_b32_e32 v62, 0, v62, vcc
	v_cmp_gt_u32_e32 vcc, v69, v9
	s_nop 1
	v_cndmask_b32_e32 v7, v81, v7, vcc
	v_cndmask_b32_e32 v63, v80, v63, vcc
	ds_bpermute_b32 v80, v70, v7
	v_cndmask_b32_e64 v62, v62, 0, vcc
	v_add_u32_e32 v6, v62, v6
	ds_bpermute_b32 v62, v70, v6
	v_and_b32_e32 v81, 1, v63
	s_waitcnt lgkmcnt(1)
	v_and_b32_e32 v80, 1, v80
	v_cmp_eq_u32_e32 vcc, 1, v81
	s_nop 1
	v_cndmask_b32_e64 v80, v80, 1, vcc
	v_cmp_eq_u16_sdwa vcc, v63, v61 src0_sel:BYTE_0 src1_sel:DWORD
	v_and_b32_e32 v81, 0xffff, v80
	s_waitcnt lgkmcnt(0)
	v_cndmask_b32_e32 v62, 0, v62, vcc
	v_cmp_gt_u32_e32 vcc, v71, v9
	s_nop 1
	v_cndmask_b32_e32 v7, v81, v7, vcc
	v_cndmask_b32_e32 v63, v80, v63, vcc
	ds_bpermute_b32 v80, v72, v7
	v_cndmask_b32_e64 v62, v62, 0, vcc
	;; [unrolled: 18-line block ×3, first 2 shown]
	v_add_u32_e32 v6, v62, v6
	ds_bpermute_b32 v62, v74, v6
	v_and_b32_e32 v81, 1, v63
	s_waitcnt lgkmcnt(1)
	v_and_b32_e32 v80, 1, v80
	v_cmp_eq_u32_e32 vcc, 1, v81
	s_nop 1
	v_cndmask_b32_e64 v80, v80, 1, vcc
	v_cmp_eq_u16_sdwa vcc, v63, v61 src0_sel:BYTE_0 src1_sel:DWORD
	v_and_b32_e32 v81, 0xffff, v80
	s_waitcnt lgkmcnt(0)
	v_cndmask_b32_e32 v62, 0, v62, vcc
	v_cmp_gt_u32_e32 vcc, v76, v9
	s_nop 1
	v_cndmask_b32_e64 v62, v62, 0, vcc
	v_cndmask_b32_e32 v7, v81, v7, vcc
	ds_bpermute_b32 v7, v78, v7
	v_add_u32_e32 v6, v62, v6
	ds_bpermute_b32 v62, v78, v6
	v_cndmask_b32_e32 v63, v80, v63, vcc
	v_and_b32_e32 v80, 1, v63
	v_cmp_eq_u32_e32 vcc, 1, v80
	s_waitcnt lgkmcnt(1)
	s_nop 0
	v_cndmask_b32_e64 v7, v7, 1, vcc
	v_cmp_eq_u16_sdwa vcc, v63, v61 src0_sel:BYTE_0 src1_sel:DWORD
	s_waitcnt lgkmcnt(0)
	s_nop 0
	v_cndmask_b32_e32 v62, 0, v62, vcc
	v_cmp_gt_u32_e32 vcc, v79, v9
	s_nop 1
	v_cndmask_b32_e64 v9, v62, 0, vcc
	v_cndmask_b32_e32 v7, v7, v63, vcc
	v_add_u32_e32 v6, v9, v6
	v_cmp_eq_u16_sdwa vcc, v75, v61 src0_sel:BYTE_0 src1_sel:DWORD
	v_and_b32_e32 v9, 1, v75
	v_and_b32_e32 v7, 1, v7
	v_cndmask_b32_e32 v6, 0, v6, vcc
	v_cmp_eq_u32_e32 vcc, 1, v9
	v_add_u32_e32 v6, v6, v77
	s_nop 0
	v_cndmask_b32_e64 v7, v7, 1, vcc
.LBB1781_178:                           ; =>This Loop Header: Depth=1
                                        ;     Child Loop BB1781_181 Depth 2
	v_cmp_ne_u16_sdwa s[0:1], v8, v3 src0_sel:BYTE_0 src1_sel:DWORD
	v_mov_b32_e32 v75, v7
	v_mov_b32_e32 v77, v6
	v_cndmask_b32_e64 v7, 0, 1, s[0:1]
	;;#ASMSTART
	;;#ASMEND
	s_nop 0
	v_cmp_ne_u32_e32 vcc, 0, v7
	s_cmp_lg_u64 vcc, exec
	s_cbranch_scc1 .LBB1781_183
; %bb.179:                              ;   in Loop: Header=BB1781_178 Depth=1
	v_lshl_add_u64 v[62:63], v[60:61], 4, s[64:65]
	;;#ASMSTART
	global_load_dwordx4 v[6:9], v[62:63] off sc1	
s_waitcnt vmcnt(0)
	;;#ASMEND
	s_nop 0
	v_and_b32_e32 v9, 0xff0000, v6
	v_and_b32_e32 v80, 0xff000000, v6
	;; [unrolled: 1-line block ×3, first 2 shown]
	v_or_b32_sdwa v6, v6, v9 dst_sel:DWORD dst_unused:UNUSED_PAD src0_sel:WORD_0 src1_sel:DWORD
	v_or3_b32 v7, 0, 0, v7
	v_or3_b32 v6, v6, v80, 0
	v_cmp_eq_u16_sdwa s[60:61], v8, v61 src0_sel:BYTE_0 src1_sel:DWORD
	s_and_saveexec_b64 s[0:1], s[60:61]
	s_cbranch_execz .LBB1781_177
; %bb.180:                              ;   in Loop: Header=BB1781_178 Depth=1
	s_mov_b64 s[60:61], 0
.LBB1781_181:                           ;   Parent Loop BB1781_178 Depth=1
                                        ; =>  This Inner Loop Header: Depth=2
	;;#ASMSTART
	global_load_dwordx4 v[6:9], v[62:63] off sc1	
s_waitcnt vmcnt(0)
	;;#ASMEND
	s_nop 0
	v_cmp_ne_u16_sdwa s[76:77], v8, v61 src0_sel:BYTE_0 src1_sel:DWORD
	s_or_b64 s[60:61], s[76:77], s[60:61]
	s_andn2_b64 exec, exec, s[60:61]
	s_cbranch_execnz .LBB1781_181
; %bb.182:                              ;   in Loop: Header=BB1781_178 Depth=1
	s_or_b64 exec, exec, s[60:61]
	v_and_b32_e32 v7, 0xff, v7
	s_branch .LBB1781_177
.LBB1781_183:                           ;   in Loop: Header=BB1781_178 Depth=1
                                        ; implicit-def: $vgpr7
                                        ; implicit-def: $vgpr6
                                        ; implicit-def: $vgpr8
	s_cbranch_execz .LBB1781_178
; %bb.184:
	s_and_saveexec_b64 s[0:1], s[50:51]
	s_cbranch_execz .LBB1781_186
; %bb.185:
	s_and_b32 s50, s68, 0xff
	s_cmp_eq_u32 s50, 0
	s_cselect_b64 vcc, -1, 0
	s_bitcmp1_b32 s68, 0
	s_mov_b32 s51, 0
	s_cselect_b64 s[58:59], -1, 0
	s_add_i32 s50, s67, 64
	s_lshl_b64 s[50:51], s[50:51], 4
	v_cndmask_b32_e32 v3, 0, v77, vcc
	s_add_u32 s50, s64, s50
	v_add_u32_e32 v2, v3, v2
	v_and_b32_e32 v3, 1, v75
	s_addc_u32 s51, s65, s51
	v_mov_b32_e32 v5, 0
	v_cndmask_b32_e64 v3, v3, 1, s[58:59]
	v_mov_b32_e32 v4, 2
	v_mov_b64_e32 v[6:7], s[50:51]
	;;#ASMSTART
	global_store_dwordx4 v[6:7], v[2:5] off sc1	
s_waitcnt vmcnt(0)
	;;#ASMEND
.LBB1781_186:
	s_or_b64 exec, exec, s[0:1]
	s_and_b64 exec, exec, s[52:53]
	s_cbranch_execz .LBB1781_188
; %bb.187:
	v_mov_b32_e32 v2, 0
	ds_write_b32 v2, v77
	ds_write_b8 v2, v75 offset:4
.LBB1781_188:
	s_or_b64 exec, exec, s[56:57]
	v_mov_b32_e32 v2, 0
	s_waitcnt lgkmcnt(0)
	s_barrier
	ds_read_b32 v3, v2
	v_cmp_eq_u16_sdwa vcc, v65, v2 src0_sel:BYTE_0 src1_sel:DWORD
	s_waitcnt lgkmcnt(0)
	s_nop 0
	v_cndmask_b32_e32 v4, 0, v3, vcc
	v_add_u32_e32 v4, v4, v64
	v_cndmask_b32_e64 v60, v4, v3, s[52:53]
	v_and_b32_e32 v3, 0xff, v13
	v_cmp_eq_u64_e32 vcc, 0, v[2:3]
	s_nop 1
	v_cndmask_b32_e32 v2, 0, v60, vcc
	v_add_u32_e32 v61, v2, v12
	v_cndmask_b32_e64 v2, 0, v61, s[6:7]
	v_add_u32_e32 v62, v2, v14
	v_cndmask_b32_e64 v2, 0, v62, s[8:9]
	;; [unrolled: 2-line block ×21, first 2 shown]
	v_add_u32_e32 v82, v2, v54
	s_branch .LBB1781_209
.LBB1781_189:
                                        ; implicit-def: $vgpr81
                                        ; implicit-def: $vgpr80
                                        ; implicit-def: $vgpr79
                                        ; implicit-def: $vgpr78
                                        ; implicit-def: $vgpr77
                                        ; implicit-def: $vgpr76
                                        ; implicit-def: $vgpr75
                                        ; implicit-def: $vgpr74
                                        ; implicit-def: $vgpr73
                                        ; implicit-def: $vgpr72
                                        ; implicit-def: $vgpr71
                                        ; implicit-def: $vgpr70
                                        ; implicit-def: $vgpr69
                                        ; implicit-def: $vgpr68
                                        ; implicit-def: $vgpr67
                                        ; implicit-def: $vgpr66
                                        ; implicit-def: $vgpr65
                                        ; implicit-def: $vgpr64
                                        ; implicit-def: $vgpr63
                                        ; implicit-def: $vgpr62
                                        ; implicit-def: $vgpr61
                                        ; implicit-def: $vgpr60
                                        ; implicit-def: $vgpr82
	s_cbranch_execz .LBB1781_209
; %bb.190:
	s_cmp_lg_u64 s[72:73], 0
	s_cselect_b32 s7, s71, 0
	s_cselect_b32 s6, s70, 0
	s_mov_b32 s0, 0
	s_cmp_eq_u64 s[6:7], 0
	v_mov_b32_e32 v4, s74
	s_cbranch_scc1 .LBB1781_192
; %bb.191:
	v_mov_b32_e32 v2, 0
	global_load_dword v4, v2, s[6:7]
.LBB1781_192:
	s_mov_b32 s1, 1
	v_cmp_gt_u64_e32 vcc, s[0:1], v[14:15]
	v_cmp_gt_u64_e64 s[6:7], s[0:1], v[16:17]
	v_cmp_gt_u64_e64 s[8:9], s[0:1], v[18:19]
	v_cndmask_b32_e32 v2, 0, v12, vcc
	v_add_u32_e32 v2, v2, v14
	v_cndmask_b32_e64 v2, 0, v2, s[6:7]
	v_add_u32_e32 v2, v2, v16
	v_cndmask_b32_e64 v2, 0, v2, s[8:9]
	v_add_u32_e32 v2, v2, v18
	v_cmp_gt_u64_e64 s[10:11], s[0:1], v[20:21]
	v_cmp_gt_u64_e64 s[12:13], s[0:1], v[22:23]
	v_cmp_gt_u64_e64 s[14:15], s[0:1], v[24:25]
	v_cndmask_b32_e64 v2, 0, v2, s[10:11]
	v_add_u32_e32 v2, v2, v20
	v_cndmask_b32_e64 v2, 0, v2, s[12:13]
	v_add_u32_e32 v2, v2, v22
	v_cndmask_b32_e64 v2, 0, v2, s[14:15]
	v_add_u32_e32 v2, v2, v24
	v_cmp_gt_u64_e64 s[16:17], s[0:1], v[26:27]
	v_cmp_gt_u64_e64 s[18:19], s[0:1], v[28:29]
	v_cmp_gt_u64_e64 s[20:21], s[0:1], v[30:31]
	v_cndmask_b32_e64 v2, 0, v2, s[16:17]
	;; [unrolled: 9-line block ×6, first 2 shown]
	v_add_u32_e32 v2, v2, v50
	v_cndmask_b32_e64 v2, 0, v2, s[44:45]
	v_add_u32_e32 v2, v2, v52
	v_cndmask_b32_e64 v2, 0, v2, s[46:47]
	v_add_u32_e32 v2, v2, v54
	v_cmp_gt_u64_e64 s[0:1], s[0:1], v[58:59]
	v_add_lshl_u32 v1, v1, v0, 3
	s_nop 0
	v_cndmask_b32_e64 v2, 0, v2, s[0:1]
	v_add_u32_e32 v5, v2, v58
	v_or3_b32 v2, v57, v53, v51
	v_or3_b32 v2, v2, v49, v47
	;; [unrolled: 1-line block ×10, first 2 shown]
	v_and_b32_e32 v2, 1, v2
	v_cmp_eq_u32_e64 s[0:1], 1, v2
	s_nop 1
	v_cndmask_b32_e64 v6, v13, 1, s[0:1]
	v_cmp_gt_u32_e64 s[0:1], 64, v0
	ds_write_b32 v1, v5
	ds_write_b8 v1, v6 offset:4
	s_waitcnt lgkmcnt(0)
	s_barrier
	s_and_saveexec_b64 s[48:49], s[0:1]
	s_cbranch_execz .LBB1781_204
; %bb.193:
	v_lshrrev_b32_e32 v1, 3, v0
	v_add_lshl_u32 v1, v1, v56, 3
	ds_read2_b32 v[8:9], v1 offset0:2 offset1:4
	ds_read_b64 v[2:3], v1
	ds_read_u8 v15, v1 offset:12
	ds_read_u8 v17, v1 offset:20
	ds_read_b32 v19, v1 offset:24
	ds_read_u8 v21, v1 offset:28
	v_mov_b32_e32 v23, 0
	s_waitcnt lgkmcnt(3)
	v_cmp_eq_u16_sdwa s[0:1], v15, v23 src0_sel:BYTE_0 src1_sel:DWORD
	v_and_b32_e32 v7, 1, v3
	s_nop 0
	v_cndmask_b32_e64 v25, 0, v2, s[0:1]
	v_add_u32_e32 v8, v25, v8
	s_waitcnt lgkmcnt(2)
	v_cmp_eq_u16_sdwa s[0:1], v17, v23 src0_sel:BYTE_0 src1_sel:DWORD
	s_nop 1
	v_cndmask_b32_e64 v8, 0, v8, s[0:1]
	v_add_u32_e32 v8, v8, v9
	s_waitcnt lgkmcnt(0)
	v_cmp_eq_u16_e64 s[0:1], 0, v21
	s_nop 1
	v_cndmask_b32_e64 v8, 0, v8, s[0:1]
	v_add_u32_e32 v9, v8, v19
	v_or_b32_e32 v8, v21, v17
	v_or_b32_e32 v8, v8, v15
	v_and_b32_e32 v8, 1, v8
	v_cmp_eq_u32_e64 s[0:1], 1, v8
	v_mbcnt_lo_u32_b32 v15, -1, 0
	v_and_b32_e32 v8, 0xffffff00, v3
	v_cndmask_b32_e64 v17, v7, 1, s[0:1]
	v_mbcnt_hi_u32_b32 v15, -1, v15
	v_and_b32_e32 v21, 15, v15
	v_or_b32_sdwa v19, v8, v17 dst_sel:DWORD dst_unused:UNUSED_PAD src0_sel:DWORD src1_sel:WORD_0
	v_mov_b32_dpp v23, v9 row_shr:1 row_mask:0xf bank_mask:0xf
	v_cmp_ne_u32_e64 s[0:1], 0, v21
	v_mov_b32_dpp v25, v19 row_shr:1 row_mask:0xf bank_mask:0xf
	s_and_saveexec_b64 s[50:51], s[0:1]
; %bb.194:
	v_and_b32_e32 v19, 1, v17
	v_and_b32_e32 v25, 1, v25
	v_cmp_eq_u32_e64 s[0:1], 1, v19
	s_nop 1
	v_cndmask_b32_e64 v25, v25, 1, s[0:1]
	v_cmp_eq_u16_e64 s[0:1], 0, v17
	v_or_b32_sdwa v19, v8, v25 dst_sel:DWORD dst_unused:UNUSED_PAD src0_sel:DWORD src1_sel:WORD_0
	s_nop 0
	v_cndmask_b32_e64 v17, 0, v23, s[0:1]
	v_add_u32_e32 v9, v17, v9
	v_mov_b32_e32 v17, v25
; %bb.195:
	s_or_b64 exec, exec, s[50:51]
	v_mov_b32_dpp v23, v9 row_shr:2 row_mask:0xf bank_mask:0xf
	v_mov_b32_dpp v25, v19 row_shr:2 row_mask:0xf bank_mask:0xf
	v_cmp_lt_u32_e64 s[0:1], 1, v21
	s_and_saveexec_b64 s[50:51], s[0:1]
; %bb.196:
	v_and_b32_e32 v19, 1, v17
	v_and_b32_e32 v25, 1, v25
	v_cmp_eq_u32_e64 s[0:1], 1, v19
	s_nop 1
	v_cndmask_b32_e64 v25, v25, 1, s[0:1]
	v_cmp_eq_u16_e64 s[0:1], 0, v17
	v_or_b32_sdwa v19, v8, v25 dst_sel:DWORD dst_unused:UNUSED_PAD src0_sel:DWORD src1_sel:WORD_0
	s_nop 0
	v_cndmask_b32_e64 v17, 0, v23, s[0:1]
	v_add_u32_e32 v9, v17, v9
	v_mov_b32_e32 v17, v25
; %bb.197:
	s_or_b64 exec, exec, s[50:51]
	v_mov_b32_dpp v23, v9 row_shr:4 row_mask:0xf bank_mask:0xf
	v_mov_b32_dpp v25, v19 row_shr:4 row_mask:0xf bank_mask:0xf
	v_cmp_lt_u32_e64 s[0:1], 3, v21
	;; [unrolled: 18-line block ×3, first 2 shown]
	s_and_saveexec_b64 s[50:51], s[0:1]
; %bb.200:
	v_and_b32_e32 v19, 1, v17
	v_and_b32_e32 v21, 1, v25
	v_cmp_eq_u32_e64 s[0:1], 1, v19
	s_nop 1
	v_cndmask_b32_e64 v21, v21, 1, s[0:1]
	v_cmp_eq_u16_e64 s[0:1], 0, v17
	v_or_b32_sdwa v19, v8, v21 dst_sel:DWORD dst_unused:UNUSED_PAD src0_sel:DWORD src1_sel:WORD_0
	s_nop 0
	v_cndmask_b32_e64 v17, 0, v23, s[0:1]
	v_add_u32_e32 v9, v17, v9
	v_mov_b32_e32 v17, v21
; %bb.201:
	s_or_b64 exec, exec, s[50:51]
	v_and_b32_e32 v25, 16, v15
	v_mov_b32_dpp v21, v9 row_bcast:15 row_mask:0xf bank_mask:0xf
	v_mov_b32_dpp v23, v19 row_bcast:15 row_mask:0xf bank_mask:0xf
	v_cmp_ne_u32_e64 s[0:1], 0, v25
	s_and_saveexec_b64 s[50:51], s[0:1]
; %bb.202:
	v_and_b32_e32 v19, 1, v17
	v_and_b32_e32 v23, 1, v23
	v_cmp_eq_u32_e64 s[0:1], 1, v19
	s_nop 1
	v_cndmask_b32_e64 v23, v23, 1, s[0:1]
	v_cmp_eq_u16_e64 s[0:1], 0, v17
	v_or_b32_sdwa v19, v8, v23 dst_sel:DWORD dst_unused:UNUSED_PAD src0_sel:DWORD src1_sel:WORD_0
	s_nop 0
	v_cndmask_b32_e64 v17, 0, v21, s[0:1]
	v_add_u32_e32 v9, v17, v9
	v_mov_b32_e32 v17, v23
; %bb.203:
	s_or_b64 exec, exec, s[50:51]
	v_mov_b32_dpp v19, v19 row_bcast:31 row_mask:0xf bank_mask:0xf
	v_and_b32_e32 v23, 1, v17
	v_and_b32_e32 v19, 1, v19
	v_cmp_eq_u32_e64 s[0:1], 1, v23
	v_mov_b32_e32 v23, 0
	v_cmp_eq_u16_sdwa s[50:51], v17, v23 src0_sel:BYTE_0 src1_sel:DWORD
	v_cndmask_b32_e64 v19, v19, 1, s[0:1]
	v_cmp_lt_u32_e64 s[0:1], 31, v15
	v_mov_b32_dpp v21, v9 row_bcast:31 row_mask:0xf bank_mask:0xf
	s_movk_i32 s56, 0xff
	v_cndmask_b32_e64 v17, v17, v19, s[0:1]
	s_and_b64 s[0:1], s[0:1], s[50:51]
	v_cndmask_b32_e64 v19, 0, v21, s[0:1]
	v_add_u32_e32 v9, v19, v9
	v_add_u32_e32 v19, -1, v15
	v_and_b32_e32 v21, 64, v15
	v_cmp_lt_i32_e64 s[0:1], v19, v21
	v_and_or_b32 v8, v17, s56, v8
	s_nop 0
	v_cndmask_b32_e64 v15, v19, v15, s[0:1]
	v_lshlrev_b32_e32 v15, 2, v15
	ds_bpermute_b32 v9, v15, v9
	ds_bpermute_b32 v8, v15, v8
	v_cmp_eq_u16_sdwa s[0:1], v3, v23 src0_sel:BYTE_0 src1_sel:DWORD
	; wave barrier
	s_waitcnt lgkmcnt(1)
	s_nop 0
	v_cndmask_b32_e64 v3, 0, v9, s[0:1]
	v_add_u32_e32 v2, v3, v2
	s_waitcnt lgkmcnt(0)
	v_and_b32_e32 v3, 1, v8
	v_cmp_eq_u32_e64 s[0:1], 1, v7
	v_cndmask_b32_e64 v5, v2, v5, s[52:53]
	s_nop 0
	v_cndmask_b32_e64 v3, v3, 1, s[0:1]
	v_cndmask_b32_e64 v6, v3, v6, s[52:53]
	ds_write_b32 v1, v5
	ds_write_b8 v1, v6 offset:4
	; wave barrier
	ds_read_u8 v7, v1 offset:12
	ds_read2_b32 v[2:3], v1 offset0:2 offset1:4
	ds_read_u8 v8, v1 offset:20
	ds_read_b32 v9, v1 offset:24
	ds_read_u8 v15, v1 offset:28
	s_waitcnt lgkmcnt(4)
	v_cmp_eq_u16_e64 s[0:1], 0, v7
	s_nop 1
	v_cndmask_b32_e64 v5, 0, v5, s[0:1]
	s_waitcnt lgkmcnt(3)
	v_add_u32_e32 v2, v5, v2
	v_and_b32_e32 v5, 1, v7
	v_cmp_eq_u32_e64 s[0:1], 1, v5
	s_nop 1
	v_cndmask_b32_e64 v5, v6, 1, s[0:1]
	s_waitcnt lgkmcnt(2)
	v_cmp_eq_u16_e64 s[0:1], 0, v8
	ds_write_b8 v1, v5 offset:12
	s_nop 0
	v_cndmask_b32_e64 v6, 0, v2, s[0:1]
	v_add_u32_e32 v3, v6, v3
	v_and_b32_e32 v6, 1, v8
	v_cmp_eq_u32_e64 s[0:1], 1, v6
	s_nop 1
	v_cndmask_b32_e64 v5, v5, 1, s[0:1]
	s_waitcnt lgkmcnt(1)
	v_cmp_eq_u16_e64 s[0:1], 0, v15
	ds_write2_b32 v1, v2, v3 offset0:2 offset1:4
	ds_write_b8 v1, v5 offset:20
	v_cndmask_b32_e64 v2, 0, v3, s[0:1]
	v_and_b32_e32 v3, 1, v15
	v_add_u32_e32 v2, v2, v9
	v_cmp_eq_u32_e64 s[0:1], 1, v3
	s_nop 1
	v_cndmask_b32_e64 v3, v5, 1, s[0:1]
	ds_write_b32 v1, v2 offset:24
	ds_write_b8 v1, v3 offset:28
.LBB1781_204:
	s_or_b64 exec, exec, s[48:49]
	s_waitcnt vmcnt(0)
	v_mov_b32_e32 v60, v4
	s_waitcnt lgkmcnt(0)
	s_barrier
	s_and_saveexec_b64 s[48:49], s[4:5]
	s_cbranch_execz .LBB1781_206
; %bb.205:
	v_add_u32_e32 v1, -1, v0
	v_lshrrev_b32_e32 v2, 5, v1
	v_add_lshl_u32 v1, v2, v1, 3
	ds_read_u8 v2, v1 offset:4
	ds_read_b32 v1, v1
	s_waitcnt lgkmcnt(1)
	v_cmp_eq_u16_e64 s[0:1], 0, v2
	s_nop 1
	v_cndmask_b32_e64 v2, 0, v4, s[0:1]
	s_waitcnt lgkmcnt(0)
	v_add_u32_e32 v60, v2, v1
.LBB1781_206:
	s_or_b64 exec, exec, s[48:49]
	v_and_b32_e32 v3, 0xff, v13
	v_mov_b32_e32 v2, 0
	v_cmp_eq_u64_e64 s[0:1], 0, v[2:3]
	s_nop 1
	v_cndmask_b32_e64 v1, 0, v60, s[0:1]
	v_add_u32_e32 v61, v1, v12
	v_cndmask_b32_e32 v1, 0, v61, vcc
	v_add_u32_e32 v62, v1, v14
	v_cndmask_b32_e64 v1, 0, v62, s[6:7]
	v_add_u32_e32 v63, v1, v16
	v_cndmask_b32_e64 v1, 0, v63, s[8:9]
	;; [unrolled: 2-line block ×20, first 2 shown]
	s_and_saveexec_b64 s[0:1], s[52:53]
	s_cbranch_execz .LBB1781_208
; %bb.207:
	ds_read_u8 v3, v2 offset:2100
	ds_read_b32 v5, v2 offset:2096
	s_add_u32 s4, s64, 0x400
	s_addc_u32 s5, s65, 0
	v_mov_b32_e32 v6, 2
	s_waitcnt lgkmcnt(1)
	v_cmp_eq_u16_e32 vcc, 0, v3
	v_mov_b32_e32 v7, v2
	s_nop 0
	v_cndmask_b32_e32 v4, 0, v4, vcc
	s_waitcnt lgkmcnt(0)
	v_add_u32_e32 v4, v4, v5
	v_and_b32_e32 v5, 0xffff, v3
	v_mov_b64_e32 v[2:3], s[4:5]
	;;#ASMSTART
	global_store_dwordx4 v[2:3], v[4:7] off sc1	
s_waitcnt vmcnt(0)
	;;#ASMEND
.LBB1781_208:
	s_or_b64 exec, exec, s[0:1]
	v_add_u32_e32 v82, v1, v54
.LBB1781_209:
	s_add_u32 s0, s62, s54
	s_addc_u32 s1, s63, s55
	v_lshl_add_u64 v[2:3], s[0:1], 0, v[10:11]
	s_and_b64 vcc, exec, s[2:3]
	s_cbranch_vccz .LBB1781_255
; %bb.210:
	s_movk_i32 s0, 0x5c
	v_mul_i32_i24_e32 v28, 0xffffffa8, v0
	v_mul_u32_u24_e32 v1, 0x5c, v0
	v_mad_u32_u24 v4, v0, s0, v28
	s_barrier
	ds_write2_b32 v1, v60, v61 offset1:1
	ds_write2_b32 v1, v62, v63 offset0:2 offset1:3
	ds_write2_b32 v1, v64, v65 offset0:4 offset1:5
	;; [unrolled: 1-line block ×10, first 2 shown]
	ds_write_b32 v1, v82 offset:88
	s_waitcnt lgkmcnt(0)
	s_barrier
	ds_read2st64_b32 v[26:27], v4 offset0:4 offset1:8
	ds_read2st64_b32 v[24:25], v4 offset0:12 offset1:16
	;; [unrolled: 1-line block ×11, first 2 shown]
	s_add_i32 s33, s33, s66
	v_mov_b32_e32 v57, 0
	v_lshl_add_u64 v[6:7], v[2:3], 0, v[56:57]
	v_cmp_gt_u32_e32 vcc, s33, v0
	s_and_saveexec_b64 s[0:1], vcc
	s_cbranch_execz .LBB1781_212
; %bb.211:
	v_add_u32_e32 v1, v1, v28
	ds_read_b32 v1, v1
	s_waitcnt lgkmcnt(0)
	flat_store_dword v[6:7], v1
.LBB1781_212:
	s_or_b64 exec, exec, s[0:1]
	v_or_b32_e32 v1, 0x100, v0
	v_cmp_gt_u32_e32 vcc, s33, v1
	s_and_saveexec_b64 s[0:1], vcc
	s_cbranch_execz .LBB1781_214
; %bb.213:
	s_waitcnt lgkmcnt(0)
	flat_store_dword v[6:7], v26 offset:1024
.LBB1781_214:
	s_or_b64 exec, exec, s[0:1]
	v_or_b32_e32 v1, 0x200, v0
	v_cmp_gt_u32_e32 vcc, s33, v1
	s_and_saveexec_b64 s[0:1], vcc
	s_cbranch_execz .LBB1781_216
; %bb.215:
	s_waitcnt lgkmcnt(0)
	flat_store_dword v[6:7], v27 offset:2048
.LBB1781_216:
	s_or_b64 exec, exec, s[0:1]
	v_or_b32_e32 v1, 0x300, v0
	v_cmp_gt_u32_e32 vcc, s33, v1
	s_and_saveexec_b64 s[0:1], vcc
	s_cbranch_execz .LBB1781_218
; %bb.217:
	s_waitcnt lgkmcnt(0)
	flat_store_dword v[6:7], v24 offset:3072
.LBB1781_218:
	s_or_b64 exec, exec, s[0:1]
	v_or_b32_e32 v1, 0x400, v0
	v_cmp_gt_u32_e32 vcc, s33, v1
	s_and_saveexec_b64 s[0:1], vcc
	s_cbranch_execz .LBB1781_220
; %bb.219:
	s_waitcnt lgkmcnt(0)
	v_add_co_u32_e32 v26, vcc, 0x1000, v6
	s_nop 1
	v_addc_co_u32_e32 v27, vcc, 0, v7, vcc
	flat_store_dword v[26:27], v25
.LBB1781_220:
	s_or_b64 exec, exec, s[0:1]
	v_or_b32_e32 v1, 0x500, v0
	v_cmp_gt_u32_e32 vcc, s33, v1
	s_and_saveexec_b64 s[0:1], vcc
	s_cbranch_execz .LBB1781_222
; %bb.221:
	s_waitcnt lgkmcnt(0)
	v_add_co_u32_e32 v24, vcc, 0x1000, v6
	s_nop 1
	v_addc_co_u32_e32 v25, vcc, 0, v7, vcc
	flat_store_dword v[24:25], v22 offset:1024
.LBB1781_222:
	s_or_b64 exec, exec, s[0:1]
	v_or_b32_e32 v1, 0x600, v0
	v_cmp_gt_u32_e32 vcc, s33, v1
	s_and_saveexec_b64 s[0:1], vcc
	s_cbranch_execz .LBB1781_224
; %bb.223:
	s_waitcnt lgkmcnt(0)
	v_add_co_u32_e32 v24, vcc, 0x1000, v6
	s_nop 1
	v_addc_co_u32_e32 v25, vcc, 0, v7, vcc
	flat_store_dword v[24:25], v23 offset:2048
.LBB1781_224:
	s_or_b64 exec, exec, s[0:1]
	v_or_b32_e32 v1, 0x700, v0
	v_cmp_gt_u32_e32 vcc, s33, v1
	s_and_saveexec_b64 s[0:1], vcc
	s_cbranch_execz .LBB1781_226
; %bb.225:
	s_waitcnt lgkmcnt(0)
	v_add_co_u32_e32 v22, vcc, 0x1000, v6
	s_nop 1
	v_addc_co_u32_e32 v23, vcc, 0, v7, vcc
	flat_store_dword v[22:23], v20 offset:3072
.LBB1781_226:
	s_or_b64 exec, exec, s[0:1]
	v_or_b32_e32 v1, 0x800, v0
	v_cmp_gt_u32_e32 vcc, s33, v1
	s_and_saveexec_b64 s[0:1], vcc
	s_cbranch_execz .LBB1781_228
; %bb.227:
	s_waitcnt lgkmcnt(0)
	v_add_co_u32_e32 v22, vcc, 0x2000, v6
	s_nop 1
	v_addc_co_u32_e32 v23, vcc, 0, v7, vcc
	flat_store_dword v[22:23], v21
.LBB1781_228:
	s_or_b64 exec, exec, s[0:1]
	v_or_b32_e32 v1, 0x900, v0
	v_cmp_gt_u32_e32 vcc, s33, v1
	s_and_saveexec_b64 s[0:1], vcc
	s_cbranch_execz .LBB1781_230
; %bb.229:
	s_waitcnt lgkmcnt(0)
	v_add_co_u32_e32 v20, vcc, 0x2000, v6
	s_nop 1
	v_addc_co_u32_e32 v21, vcc, 0, v7, vcc
	flat_store_dword v[20:21], v18 offset:1024
.LBB1781_230:
	s_or_b64 exec, exec, s[0:1]
	v_or_b32_e32 v1, 0xa00, v0
	v_cmp_gt_u32_e32 vcc, s33, v1
	s_and_saveexec_b64 s[0:1], vcc
	s_cbranch_execz .LBB1781_232
; %bb.231:
	s_waitcnt lgkmcnt(0)
	v_add_co_u32_e32 v20, vcc, 0x2000, v6
	s_nop 1
	v_addc_co_u32_e32 v21, vcc, 0, v7, vcc
	flat_store_dword v[20:21], v19 offset:2048
.LBB1781_232:
	s_or_b64 exec, exec, s[0:1]
	v_or_b32_e32 v1, 0xb00, v0
	v_cmp_gt_u32_e32 vcc, s33, v1
	s_and_saveexec_b64 s[0:1], vcc
	s_cbranch_execz .LBB1781_234
; %bb.233:
	s_waitcnt lgkmcnt(0)
	v_add_co_u32_e32 v18, vcc, 0x2000, v6
	s_nop 1
	v_addc_co_u32_e32 v19, vcc, 0, v7, vcc
	flat_store_dword v[18:19], v16 offset:3072
.LBB1781_234:
	;; [unrolled: 48-line block ×4, first 2 shown]
	s_or_b64 exec, exec, s[0:1]
	v_or_b32_e32 v1, 0x1400, v0
	v_cmp_gt_u32_e32 vcc, s33, v1
	s_and_saveexec_b64 s[0:1], vcc
	s_cbranch_execz .LBB1781_252
; %bb.251:
	s_waitcnt lgkmcnt(0)
	v_add_co_u32_e32 v10, vcc, 0x5000, v6
	s_nop 1
	v_addc_co_u32_e32 v11, vcc, 0, v7, vcc
	flat_store_dword v[10:11], v9
.LBB1781_252:
	s_or_b64 exec, exec, s[0:1]
	v_or_b32_e32 v1, 0x1500, v0
	v_cmp_gt_u32_e32 vcc, s33, v1
	s_and_saveexec_b64 s[0:1], vcc
	s_cbranch_execz .LBB1781_254
; %bb.253:
	v_add_co_u32_e32 v6, vcc, 0x5000, v6
	s_nop 1
	v_addc_co_u32_e32 v7, vcc, 0, v7, vcc
	s_waitcnt lgkmcnt(0)
	flat_store_dword v[6:7], v4 offset:1024
.LBB1781_254:
	s_or_b64 exec, exec, s[0:1]
	s_waitcnt lgkmcnt(0)
	v_or_b32_e32 v4, 0x1600, v0
	v_mov_b32_e32 v1, v57
	v_cmp_gt_u32_e64 s[0:1], s33, v4
	s_branch .LBB1781_257
.LBB1781_255:
	s_mov_b64 s[0:1], 0
                                        ; implicit-def: $vgpr5
	s_cbranch_execz .LBB1781_257
; %bb.256:
	v_mul_u32_u24_e32 v1, 0x5c, v0
	s_barrier
	s_movk_i32 s2, 0x5c
	ds_write2_b32 v1, v60, v61 offset1:1
	ds_write2_b32 v1, v62, v63 offset0:2 offset1:3
	ds_write2_b32 v1, v64, v65 offset0:4 offset1:5
	;; [unrolled: 1-line block ×10, first 2 shown]
	ds_write_b32 v1, v82 offset:88
	v_mov_b32_e32 v1, 0
	v_mul_i32_i24_e32 v4, 0xffffffa8, v0
	v_mad_u32_u24 v4, v0, s2, v4
	v_mov_b32_e32 v57, v1
	s_waitcnt lgkmcnt(0)
	s_barrier
	ds_read2st64_b32 v[6:7], v4 offset1:4
	ds_read2st64_b32 v[8:9], v4 offset0:8 offset1:12
	ds_read2st64_b32 v[10:11], v4 offset0:16 offset1:20
	;; [unrolled: 1-line block ×10, first 2 shown]
	ds_read_b32 v5, v4 offset:22528
	v_lshl_add_u64 v[28:29], v[2:3], 0, v[56:57]
	s_movk_i32 s2, 0x1000
	s_waitcnt lgkmcnt(0)
	flat_store_dword v[28:29], v6
	flat_store_dword v[28:29], v7 offset:1024
	flat_store_dword v[28:29], v8 offset:2048
	;; [unrolled: 1-line block ×3, first 2 shown]
	v_add_co_u32_e32 v6, vcc, s2, v28
	s_movk_i32 s2, 0x2000
	s_nop 0
	v_addc_co_u32_e32 v7, vcc, 0, v29, vcc
	flat_store_dword v[6:7], v10
	flat_store_dword v[6:7], v11 offset:1024
	flat_store_dword v[6:7], v12 offset:2048
	;; [unrolled: 1-line block ×3, first 2 shown]
	v_add_co_u32_e32 v6, vcc, s2, v28
	s_movk_i32 s2, 0x3000
	s_nop 0
	v_addc_co_u32_e32 v7, vcc, 0, v29, vcc
	flat_store_dword v[6:7], v14
	flat_store_dword v[6:7], v15 offset:1024
	flat_store_dword v[6:7], v16 offset:2048
	;; [unrolled: 1-line block ×3, first 2 shown]
	v_add_co_u32_e32 v6, vcc, s2, v28
	s_or_b64 s[0:1], s[0:1], exec
	s_nop 0
	v_addc_co_u32_e32 v7, vcc, 0, v29, vcc
	flat_store_dword v[6:7], v18
	flat_store_dword v[6:7], v19 offset:1024
	flat_store_dword v[6:7], v20 offset:2048
	;; [unrolled: 1-line block ×3, first 2 shown]
	v_add_co_u32_e32 v6, vcc, 0x4000, v28
	s_nop 1
	v_addc_co_u32_e32 v7, vcc, 0, v29, vcc
	flat_store_dword v[6:7], v22
	flat_store_dword v[6:7], v23 offset:1024
	flat_store_dword v[6:7], v24 offset:2048
	;; [unrolled: 1-line block ×3, first 2 shown]
	v_add_co_u32_e32 v6, vcc, 0x5000, v28
	s_nop 1
	v_addc_co_u32_e32 v7, vcc, 0, v29, vcc
	flat_store_dword v[6:7], v26
	flat_store_dword v[6:7], v27 offset:1024
.LBB1781_257:
	s_and_saveexec_b64 s[2:3], s[0:1]
	s_cbranch_execz .LBB1781_259
; %bb.258:
	v_lshl_add_u64 v[0:1], v[0:1], 2, v[2:3]
	v_add_co_u32_e32 v0, vcc, 0x5000, v0
	s_nop 1
	v_addc_co_u32_e32 v1, vcc, 0, v1, vcc
	flat_store_dword v[0:1], v5 offset:2048
	s_endpgm
.LBB1781_259:
	s_endpgm
	.section	.rodata,"a",@progbits
	.p2align	6, 0x0
	.amdhsa_kernel _ZN7rocprim17ROCPRIM_400000_NS6detail17trampoline_kernelINS0_14default_configENS1_27scan_by_key_config_selectorIiiEEZZNS1_16scan_by_key_implILNS1_25lookback_scan_determinismE0ELb1ES3_N6thrust23THRUST_200600_302600_NS6detail15normal_iteratorINS9_10device_ptrIiEEEENSB_INSC_IjEEEESE_iNS9_4plusIvEENS9_8equal_toIvEEiEE10hipError_tPvRmT2_T3_T4_T5_mT6_T7_P12ihipStream_tbENKUlT_T0_E_clISt17integral_constantIbLb0EES10_IbLb1EEEEDaSW_SX_EUlSW_E_NS1_11comp_targetILNS1_3genE5ELNS1_11target_archE942ELNS1_3gpuE9ELNS1_3repE0EEENS1_30default_config_static_selectorELNS0_4arch9wavefront6targetE1EEEvT1_
		.amdhsa_group_segment_fixed_size 25600
		.amdhsa_private_segment_fixed_size 0
		.amdhsa_kernarg_size 112
		.amdhsa_user_sgpr_count 2
		.amdhsa_user_sgpr_dispatch_ptr 0
		.amdhsa_user_sgpr_queue_ptr 0
		.amdhsa_user_sgpr_kernarg_segment_ptr 1
		.amdhsa_user_sgpr_dispatch_id 0
		.amdhsa_user_sgpr_kernarg_preload_length 0
		.amdhsa_user_sgpr_kernarg_preload_offset 0
		.amdhsa_user_sgpr_private_segment_size 0
		.amdhsa_uses_dynamic_stack 0
		.amdhsa_enable_private_segment 0
		.amdhsa_system_sgpr_workgroup_id_x 1
		.amdhsa_system_sgpr_workgroup_id_y 0
		.amdhsa_system_sgpr_workgroup_id_z 0
		.amdhsa_system_sgpr_workgroup_info 0
		.amdhsa_system_vgpr_workitem_id 0
		.amdhsa_next_free_vgpr 83
		.amdhsa_next_free_sgpr 80
		.amdhsa_accum_offset 84
		.amdhsa_reserve_vcc 1
		.amdhsa_float_round_mode_32 0
		.amdhsa_float_round_mode_16_64 0
		.amdhsa_float_denorm_mode_32 3
		.amdhsa_float_denorm_mode_16_64 3
		.amdhsa_dx10_clamp 1
		.amdhsa_ieee_mode 1
		.amdhsa_fp16_overflow 0
		.amdhsa_tg_split 0
		.amdhsa_exception_fp_ieee_invalid_op 0
		.amdhsa_exception_fp_denorm_src 0
		.amdhsa_exception_fp_ieee_div_zero 0
		.amdhsa_exception_fp_ieee_overflow 0
		.amdhsa_exception_fp_ieee_underflow 0
		.amdhsa_exception_fp_ieee_inexact 0
		.amdhsa_exception_int_div_zero 0
	.end_amdhsa_kernel
	.section	.text._ZN7rocprim17ROCPRIM_400000_NS6detail17trampoline_kernelINS0_14default_configENS1_27scan_by_key_config_selectorIiiEEZZNS1_16scan_by_key_implILNS1_25lookback_scan_determinismE0ELb1ES3_N6thrust23THRUST_200600_302600_NS6detail15normal_iteratorINS9_10device_ptrIiEEEENSB_INSC_IjEEEESE_iNS9_4plusIvEENS9_8equal_toIvEEiEE10hipError_tPvRmT2_T3_T4_T5_mT6_T7_P12ihipStream_tbENKUlT_T0_E_clISt17integral_constantIbLb0EES10_IbLb1EEEEDaSW_SX_EUlSW_E_NS1_11comp_targetILNS1_3genE5ELNS1_11target_archE942ELNS1_3gpuE9ELNS1_3repE0EEENS1_30default_config_static_selectorELNS0_4arch9wavefront6targetE1EEEvT1_,"axG",@progbits,_ZN7rocprim17ROCPRIM_400000_NS6detail17trampoline_kernelINS0_14default_configENS1_27scan_by_key_config_selectorIiiEEZZNS1_16scan_by_key_implILNS1_25lookback_scan_determinismE0ELb1ES3_N6thrust23THRUST_200600_302600_NS6detail15normal_iteratorINS9_10device_ptrIiEEEENSB_INSC_IjEEEESE_iNS9_4plusIvEENS9_8equal_toIvEEiEE10hipError_tPvRmT2_T3_T4_T5_mT6_T7_P12ihipStream_tbENKUlT_T0_E_clISt17integral_constantIbLb0EES10_IbLb1EEEEDaSW_SX_EUlSW_E_NS1_11comp_targetILNS1_3genE5ELNS1_11target_archE942ELNS1_3gpuE9ELNS1_3repE0EEENS1_30default_config_static_selectorELNS0_4arch9wavefront6targetE1EEEvT1_,comdat
.Lfunc_end1781:
	.size	_ZN7rocprim17ROCPRIM_400000_NS6detail17trampoline_kernelINS0_14default_configENS1_27scan_by_key_config_selectorIiiEEZZNS1_16scan_by_key_implILNS1_25lookback_scan_determinismE0ELb1ES3_N6thrust23THRUST_200600_302600_NS6detail15normal_iteratorINS9_10device_ptrIiEEEENSB_INSC_IjEEEESE_iNS9_4plusIvEENS9_8equal_toIvEEiEE10hipError_tPvRmT2_T3_T4_T5_mT6_T7_P12ihipStream_tbENKUlT_T0_E_clISt17integral_constantIbLb0EES10_IbLb1EEEEDaSW_SX_EUlSW_E_NS1_11comp_targetILNS1_3genE5ELNS1_11target_archE942ELNS1_3gpuE9ELNS1_3repE0EEENS1_30default_config_static_selectorELNS0_4arch9wavefront6targetE1EEEvT1_, .Lfunc_end1781-_ZN7rocprim17ROCPRIM_400000_NS6detail17trampoline_kernelINS0_14default_configENS1_27scan_by_key_config_selectorIiiEEZZNS1_16scan_by_key_implILNS1_25lookback_scan_determinismE0ELb1ES3_N6thrust23THRUST_200600_302600_NS6detail15normal_iteratorINS9_10device_ptrIiEEEENSB_INSC_IjEEEESE_iNS9_4plusIvEENS9_8equal_toIvEEiEE10hipError_tPvRmT2_T3_T4_T5_mT6_T7_P12ihipStream_tbENKUlT_T0_E_clISt17integral_constantIbLb0EES10_IbLb1EEEEDaSW_SX_EUlSW_E_NS1_11comp_targetILNS1_3genE5ELNS1_11target_archE942ELNS1_3gpuE9ELNS1_3repE0EEENS1_30default_config_static_selectorELNS0_4arch9wavefront6targetE1EEEvT1_
                                        ; -- End function
	.section	.AMDGPU.csdata,"",@progbits
; Kernel info:
; codeLenInByte = 15768
; NumSgprs: 86
; NumVgprs: 83
; NumAgprs: 0
; TotalNumVgprs: 83
; ScratchSize: 0
; MemoryBound: 0
; FloatMode: 240
; IeeeMode: 1
; LDSByteSize: 25600 bytes/workgroup (compile time only)
; SGPRBlocks: 10
; VGPRBlocks: 10
; NumSGPRsForWavesPerEU: 86
; NumVGPRsForWavesPerEU: 83
; AccumOffset: 84
; Occupancy: 2
; WaveLimiterHint : 1
; COMPUTE_PGM_RSRC2:SCRATCH_EN: 0
; COMPUTE_PGM_RSRC2:USER_SGPR: 2
; COMPUTE_PGM_RSRC2:TRAP_HANDLER: 0
; COMPUTE_PGM_RSRC2:TGID_X_EN: 1
; COMPUTE_PGM_RSRC2:TGID_Y_EN: 0
; COMPUTE_PGM_RSRC2:TGID_Z_EN: 0
; COMPUTE_PGM_RSRC2:TIDIG_COMP_CNT: 0
; COMPUTE_PGM_RSRC3_GFX90A:ACCUM_OFFSET: 20
; COMPUTE_PGM_RSRC3_GFX90A:TG_SPLIT: 0
	.section	.text._ZN7rocprim17ROCPRIM_400000_NS6detail17trampoline_kernelINS0_14default_configENS1_27scan_by_key_config_selectorIiiEEZZNS1_16scan_by_key_implILNS1_25lookback_scan_determinismE0ELb1ES3_N6thrust23THRUST_200600_302600_NS6detail15normal_iteratorINS9_10device_ptrIiEEEENSB_INSC_IjEEEESE_iNS9_4plusIvEENS9_8equal_toIvEEiEE10hipError_tPvRmT2_T3_T4_T5_mT6_T7_P12ihipStream_tbENKUlT_T0_E_clISt17integral_constantIbLb0EES10_IbLb1EEEEDaSW_SX_EUlSW_E_NS1_11comp_targetILNS1_3genE4ELNS1_11target_archE910ELNS1_3gpuE8ELNS1_3repE0EEENS1_30default_config_static_selectorELNS0_4arch9wavefront6targetE1EEEvT1_,"axG",@progbits,_ZN7rocprim17ROCPRIM_400000_NS6detail17trampoline_kernelINS0_14default_configENS1_27scan_by_key_config_selectorIiiEEZZNS1_16scan_by_key_implILNS1_25lookback_scan_determinismE0ELb1ES3_N6thrust23THRUST_200600_302600_NS6detail15normal_iteratorINS9_10device_ptrIiEEEENSB_INSC_IjEEEESE_iNS9_4plusIvEENS9_8equal_toIvEEiEE10hipError_tPvRmT2_T3_T4_T5_mT6_T7_P12ihipStream_tbENKUlT_T0_E_clISt17integral_constantIbLb0EES10_IbLb1EEEEDaSW_SX_EUlSW_E_NS1_11comp_targetILNS1_3genE4ELNS1_11target_archE910ELNS1_3gpuE8ELNS1_3repE0EEENS1_30default_config_static_selectorELNS0_4arch9wavefront6targetE1EEEvT1_,comdat
	.protected	_ZN7rocprim17ROCPRIM_400000_NS6detail17trampoline_kernelINS0_14default_configENS1_27scan_by_key_config_selectorIiiEEZZNS1_16scan_by_key_implILNS1_25lookback_scan_determinismE0ELb1ES3_N6thrust23THRUST_200600_302600_NS6detail15normal_iteratorINS9_10device_ptrIiEEEENSB_INSC_IjEEEESE_iNS9_4plusIvEENS9_8equal_toIvEEiEE10hipError_tPvRmT2_T3_T4_T5_mT6_T7_P12ihipStream_tbENKUlT_T0_E_clISt17integral_constantIbLb0EES10_IbLb1EEEEDaSW_SX_EUlSW_E_NS1_11comp_targetILNS1_3genE4ELNS1_11target_archE910ELNS1_3gpuE8ELNS1_3repE0EEENS1_30default_config_static_selectorELNS0_4arch9wavefront6targetE1EEEvT1_ ; -- Begin function _ZN7rocprim17ROCPRIM_400000_NS6detail17trampoline_kernelINS0_14default_configENS1_27scan_by_key_config_selectorIiiEEZZNS1_16scan_by_key_implILNS1_25lookback_scan_determinismE0ELb1ES3_N6thrust23THRUST_200600_302600_NS6detail15normal_iteratorINS9_10device_ptrIiEEEENSB_INSC_IjEEEESE_iNS9_4plusIvEENS9_8equal_toIvEEiEE10hipError_tPvRmT2_T3_T4_T5_mT6_T7_P12ihipStream_tbENKUlT_T0_E_clISt17integral_constantIbLb0EES10_IbLb1EEEEDaSW_SX_EUlSW_E_NS1_11comp_targetILNS1_3genE4ELNS1_11target_archE910ELNS1_3gpuE8ELNS1_3repE0EEENS1_30default_config_static_selectorELNS0_4arch9wavefront6targetE1EEEvT1_
	.globl	_ZN7rocprim17ROCPRIM_400000_NS6detail17trampoline_kernelINS0_14default_configENS1_27scan_by_key_config_selectorIiiEEZZNS1_16scan_by_key_implILNS1_25lookback_scan_determinismE0ELb1ES3_N6thrust23THRUST_200600_302600_NS6detail15normal_iteratorINS9_10device_ptrIiEEEENSB_INSC_IjEEEESE_iNS9_4plusIvEENS9_8equal_toIvEEiEE10hipError_tPvRmT2_T3_T4_T5_mT6_T7_P12ihipStream_tbENKUlT_T0_E_clISt17integral_constantIbLb0EES10_IbLb1EEEEDaSW_SX_EUlSW_E_NS1_11comp_targetILNS1_3genE4ELNS1_11target_archE910ELNS1_3gpuE8ELNS1_3repE0EEENS1_30default_config_static_selectorELNS0_4arch9wavefront6targetE1EEEvT1_
	.p2align	8
	.type	_ZN7rocprim17ROCPRIM_400000_NS6detail17trampoline_kernelINS0_14default_configENS1_27scan_by_key_config_selectorIiiEEZZNS1_16scan_by_key_implILNS1_25lookback_scan_determinismE0ELb1ES3_N6thrust23THRUST_200600_302600_NS6detail15normal_iteratorINS9_10device_ptrIiEEEENSB_INSC_IjEEEESE_iNS9_4plusIvEENS9_8equal_toIvEEiEE10hipError_tPvRmT2_T3_T4_T5_mT6_T7_P12ihipStream_tbENKUlT_T0_E_clISt17integral_constantIbLb0EES10_IbLb1EEEEDaSW_SX_EUlSW_E_NS1_11comp_targetILNS1_3genE4ELNS1_11target_archE910ELNS1_3gpuE8ELNS1_3repE0EEENS1_30default_config_static_selectorELNS0_4arch9wavefront6targetE1EEEvT1_,@function
_ZN7rocprim17ROCPRIM_400000_NS6detail17trampoline_kernelINS0_14default_configENS1_27scan_by_key_config_selectorIiiEEZZNS1_16scan_by_key_implILNS1_25lookback_scan_determinismE0ELb1ES3_N6thrust23THRUST_200600_302600_NS6detail15normal_iteratorINS9_10device_ptrIiEEEENSB_INSC_IjEEEESE_iNS9_4plusIvEENS9_8equal_toIvEEiEE10hipError_tPvRmT2_T3_T4_T5_mT6_T7_P12ihipStream_tbENKUlT_T0_E_clISt17integral_constantIbLb0EES10_IbLb1EEEEDaSW_SX_EUlSW_E_NS1_11comp_targetILNS1_3genE4ELNS1_11target_archE910ELNS1_3gpuE8ELNS1_3repE0EEENS1_30default_config_static_selectorELNS0_4arch9wavefront6targetE1EEEvT1_: ; @_ZN7rocprim17ROCPRIM_400000_NS6detail17trampoline_kernelINS0_14default_configENS1_27scan_by_key_config_selectorIiiEEZZNS1_16scan_by_key_implILNS1_25lookback_scan_determinismE0ELb1ES3_N6thrust23THRUST_200600_302600_NS6detail15normal_iteratorINS9_10device_ptrIiEEEENSB_INSC_IjEEEESE_iNS9_4plusIvEENS9_8equal_toIvEEiEE10hipError_tPvRmT2_T3_T4_T5_mT6_T7_P12ihipStream_tbENKUlT_T0_E_clISt17integral_constantIbLb0EES10_IbLb1EEEEDaSW_SX_EUlSW_E_NS1_11comp_targetILNS1_3genE4ELNS1_11target_archE910ELNS1_3gpuE8ELNS1_3repE0EEENS1_30default_config_static_selectorELNS0_4arch9wavefront6targetE1EEEvT1_
; %bb.0:
	.section	.rodata,"a",@progbits
	.p2align	6, 0x0
	.amdhsa_kernel _ZN7rocprim17ROCPRIM_400000_NS6detail17trampoline_kernelINS0_14default_configENS1_27scan_by_key_config_selectorIiiEEZZNS1_16scan_by_key_implILNS1_25lookback_scan_determinismE0ELb1ES3_N6thrust23THRUST_200600_302600_NS6detail15normal_iteratorINS9_10device_ptrIiEEEENSB_INSC_IjEEEESE_iNS9_4plusIvEENS9_8equal_toIvEEiEE10hipError_tPvRmT2_T3_T4_T5_mT6_T7_P12ihipStream_tbENKUlT_T0_E_clISt17integral_constantIbLb0EES10_IbLb1EEEEDaSW_SX_EUlSW_E_NS1_11comp_targetILNS1_3genE4ELNS1_11target_archE910ELNS1_3gpuE8ELNS1_3repE0EEENS1_30default_config_static_selectorELNS0_4arch9wavefront6targetE1EEEvT1_
		.amdhsa_group_segment_fixed_size 0
		.amdhsa_private_segment_fixed_size 0
		.amdhsa_kernarg_size 112
		.amdhsa_user_sgpr_count 2
		.amdhsa_user_sgpr_dispatch_ptr 0
		.amdhsa_user_sgpr_queue_ptr 0
		.amdhsa_user_sgpr_kernarg_segment_ptr 1
		.amdhsa_user_sgpr_dispatch_id 0
		.amdhsa_user_sgpr_kernarg_preload_length 0
		.amdhsa_user_sgpr_kernarg_preload_offset 0
		.amdhsa_user_sgpr_private_segment_size 0
		.amdhsa_uses_dynamic_stack 0
		.amdhsa_enable_private_segment 0
		.amdhsa_system_sgpr_workgroup_id_x 1
		.amdhsa_system_sgpr_workgroup_id_y 0
		.amdhsa_system_sgpr_workgroup_id_z 0
		.amdhsa_system_sgpr_workgroup_info 0
		.amdhsa_system_vgpr_workitem_id 0
		.amdhsa_next_free_vgpr 1
		.amdhsa_next_free_sgpr 0
		.amdhsa_accum_offset 4
		.amdhsa_reserve_vcc 0
		.amdhsa_float_round_mode_32 0
		.amdhsa_float_round_mode_16_64 0
		.amdhsa_float_denorm_mode_32 3
		.amdhsa_float_denorm_mode_16_64 3
		.amdhsa_dx10_clamp 1
		.amdhsa_ieee_mode 1
		.amdhsa_fp16_overflow 0
		.amdhsa_tg_split 0
		.amdhsa_exception_fp_ieee_invalid_op 0
		.amdhsa_exception_fp_denorm_src 0
		.amdhsa_exception_fp_ieee_div_zero 0
		.amdhsa_exception_fp_ieee_overflow 0
		.amdhsa_exception_fp_ieee_underflow 0
		.amdhsa_exception_fp_ieee_inexact 0
		.amdhsa_exception_int_div_zero 0
	.end_amdhsa_kernel
	.section	.text._ZN7rocprim17ROCPRIM_400000_NS6detail17trampoline_kernelINS0_14default_configENS1_27scan_by_key_config_selectorIiiEEZZNS1_16scan_by_key_implILNS1_25lookback_scan_determinismE0ELb1ES3_N6thrust23THRUST_200600_302600_NS6detail15normal_iteratorINS9_10device_ptrIiEEEENSB_INSC_IjEEEESE_iNS9_4plusIvEENS9_8equal_toIvEEiEE10hipError_tPvRmT2_T3_T4_T5_mT6_T7_P12ihipStream_tbENKUlT_T0_E_clISt17integral_constantIbLb0EES10_IbLb1EEEEDaSW_SX_EUlSW_E_NS1_11comp_targetILNS1_3genE4ELNS1_11target_archE910ELNS1_3gpuE8ELNS1_3repE0EEENS1_30default_config_static_selectorELNS0_4arch9wavefront6targetE1EEEvT1_,"axG",@progbits,_ZN7rocprim17ROCPRIM_400000_NS6detail17trampoline_kernelINS0_14default_configENS1_27scan_by_key_config_selectorIiiEEZZNS1_16scan_by_key_implILNS1_25lookback_scan_determinismE0ELb1ES3_N6thrust23THRUST_200600_302600_NS6detail15normal_iteratorINS9_10device_ptrIiEEEENSB_INSC_IjEEEESE_iNS9_4plusIvEENS9_8equal_toIvEEiEE10hipError_tPvRmT2_T3_T4_T5_mT6_T7_P12ihipStream_tbENKUlT_T0_E_clISt17integral_constantIbLb0EES10_IbLb1EEEEDaSW_SX_EUlSW_E_NS1_11comp_targetILNS1_3genE4ELNS1_11target_archE910ELNS1_3gpuE8ELNS1_3repE0EEENS1_30default_config_static_selectorELNS0_4arch9wavefront6targetE1EEEvT1_,comdat
.Lfunc_end1782:
	.size	_ZN7rocprim17ROCPRIM_400000_NS6detail17trampoline_kernelINS0_14default_configENS1_27scan_by_key_config_selectorIiiEEZZNS1_16scan_by_key_implILNS1_25lookback_scan_determinismE0ELb1ES3_N6thrust23THRUST_200600_302600_NS6detail15normal_iteratorINS9_10device_ptrIiEEEENSB_INSC_IjEEEESE_iNS9_4plusIvEENS9_8equal_toIvEEiEE10hipError_tPvRmT2_T3_T4_T5_mT6_T7_P12ihipStream_tbENKUlT_T0_E_clISt17integral_constantIbLb0EES10_IbLb1EEEEDaSW_SX_EUlSW_E_NS1_11comp_targetILNS1_3genE4ELNS1_11target_archE910ELNS1_3gpuE8ELNS1_3repE0EEENS1_30default_config_static_selectorELNS0_4arch9wavefront6targetE1EEEvT1_, .Lfunc_end1782-_ZN7rocprim17ROCPRIM_400000_NS6detail17trampoline_kernelINS0_14default_configENS1_27scan_by_key_config_selectorIiiEEZZNS1_16scan_by_key_implILNS1_25lookback_scan_determinismE0ELb1ES3_N6thrust23THRUST_200600_302600_NS6detail15normal_iteratorINS9_10device_ptrIiEEEENSB_INSC_IjEEEESE_iNS9_4plusIvEENS9_8equal_toIvEEiEE10hipError_tPvRmT2_T3_T4_T5_mT6_T7_P12ihipStream_tbENKUlT_T0_E_clISt17integral_constantIbLb0EES10_IbLb1EEEEDaSW_SX_EUlSW_E_NS1_11comp_targetILNS1_3genE4ELNS1_11target_archE910ELNS1_3gpuE8ELNS1_3repE0EEENS1_30default_config_static_selectorELNS0_4arch9wavefront6targetE1EEEvT1_
                                        ; -- End function
	.section	.AMDGPU.csdata,"",@progbits
; Kernel info:
; codeLenInByte = 0
; NumSgprs: 6
; NumVgprs: 0
; NumAgprs: 0
; TotalNumVgprs: 0
; ScratchSize: 0
; MemoryBound: 0
; FloatMode: 240
; IeeeMode: 1
; LDSByteSize: 0 bytes/workgroup (compile time only)
; SGPRBlocks: 0
; VGPRBlocks: 0
; NumSGPRsForWavesPerEU: 6
; NumVGPRsForWavesPerEU: 1
; AccumOffset: 4
; Occupancy: 8
; WaveLimiterHint : 0
; COMPUTE_PGM_RSRC2:SCRATCH_EN: 0
; COMPUTE_PGM_RSRC2:USER_SGPR: 2
; COMPUTE_PGM_RSRC2:TRAP_HANDLER: 0
; COMPUTE_PGM_RSRC2:TGID_X_EN: 1
; COMPUTE_PGM_RSRC2:TGID_Y_EN: 0
; COMPUTE_PGM_RSRC2:TGID_Z_EN: 0
; COMPUTE_PGM_RSRC2:TIDIG_COMP_CNT: 0
; COMPUTE_PGM_RSRC3_GFX90A:ACCUM_OFFSET: 0
; COMPUTE_PGM_RSRC3_GFX90A:TG_SPLIT: 0
	.section	.text._ZN7rocprim17ROCPRIM_400000_NS6detail17trampoline_kernelINS0_14default_configENS1_27scan_by_key_config_selectorIiiEEZZNS1_16scan_by_key_implILNS1_25lookback_scan_determinismE0ELb1ES3_N6thrust23THRUST_200600_302600_NS6detail15normal_iteratorINS9_10device_ptrIiEEEENSB_INSC_IjEEEESE_iNS9_4plusIvEENS9_8equal_toIvEEiEE10hipError_tPvRmT2_T3_T4_T5_mT6_T7_P12ihipStream_tbENKUlT_T0_E_clISt17integral_constantIbLb0EES10_IbLb1EEEEDaSW_SX_EUlSW_E_NS1_11comp_targetILNS1_3genE3ELNS1_11target_archE908ELNS1_3gpuE7ELNS1_3repE0EEENS1_30default_config_static_selectorELNS0_4arch9wavefront6targetE1EEEvT1_,"axG",@progbits,_ZN7rocprim17ROCPRIM_400000_NS6detail17trampoline_kernelINS0_14default_configENS1_27scan_by_key_config_selectorIiiEEZZNS1_16scan_by_key_implILNS1_25lookback_scan_determinismE0ELb1ES3_N6thrust23THRUST_200600_302600_NS6detail15normal_iteratorINS9_10device_ptrIiEEEENSB_INSC_IjEEEESE_iNS9_4plusIvEENS9_8equal_toIvEEiEE10hipError_tPvRmT2_T3_T4_T5_mT6_T7_P12ihipStream_tbENKUlT_T0_E_clISt17integral_constantIbLb0EES10_IbLb1EEEEDaSW_SX_EUlSW_E_NS1_11comp_targetILNS1_3genE3ELNS1_11target_archE908ELNS1_3gpuE7ELNS1_3repE0EEENS1_30default_config_static_selectorELNS0_4arch9wavefront6targetE1EEEvT1_,comdat
	.protected	_ZN7rocprim17ROCPRIM_400000_NS6detail17trampoline_kernelINS0_14default_configENS1_27scan_by_key_config_selectorIiiEEZZNS1_16scan_by_key_implILNS1_25lookback_scan_determinismE0ELb1ES3_N6thrust23THRUST_200600_302600_NS6detail15normal_iteratorINS9_10device_ptrIiEEEENSB_INSC_IjEEEESE_iNS9_4plusIvEENS9_8equal_toIvEEiEE10hipError_tPvRmT2_T3_T4_T5_mT6_T7_P12ihipStream_tbENKUlT_T0_E_clISt17integral_constantIbLb0EES10_IbLb1EEEEDaSW_SX_EUlSW_E_NS1_11comp_targetILNS1_3genE3ELNS1_11target_archE908ELNS1_3gpuE7ELNS1_3repE0EEENS1_30default_config_static_selectorELNS0_4arch9wavefront6targetE1EEEvT1_ ; -- Begin function _ZN7rocprim17ROCPRIM_400000_NS6detail17trampoline_kernelINS0_14default_configENS1_27scan_by_key_config_selectorIiiEEZZNS1_16scan_by_key_implILNS1_25lookback_scan_determinismE0ELb1ES3_N6thrust23THRUST_200600_302600_NS6detail15normal_iteratorINS9_10device_ptrIiEEEENSB_INSC_IjEEEESE_iNS9_4plusIvEENS9_8equal_toIvEEiEE10hipError_tPvRmT2_T3_T4_T5_mT6_T7_P12ihipStream_tbENKUlT_T0_E_clISt17integral_constantIbLb0EES10_IbLb1EEEEDaSW_SX_EUlSW_E_NS1_11comp_targetILNS1_3genE3ELNS1_11target_archE908ELNS1_3gpuE7ELNS1_3repE0EEENS1_30default_config_static_selectorELNS0_4arch9wavefront6targetE1EEEvT1_
	.globl	_ZN7rocprim17ROCPRIM_400000_NS6detail17trampoline_kernelINS0_14default_configENS1_27scan_by_key_config_selectorIiiEEZZNS1_16scan_by_key_implILNS1_25lookback_scan_determinismE0ELb1ES3_N6thrust23THRUST_200600_302600_NS6detail15normal_iteratorINS9_10device_ptrIiEEEENSB_INSC_IjEEEESE_iNS9_4plusIvEENS9_8equal_toIvEEiEE10hipError_tPvRmT2_T3_T4_T5_mT6_T7_P12ihipStream_tbENKUlT_T0_E_clISt17integral_constantIbLb0EES10_IbLb1EEEEDaSW_SX_EUlSW_E_NS1_11comp_targetILNS1_3genE3ELNS1_11target_archE908ELNS1_3gpuE7ELNS1_3repE0EEENS1_30default_config_static_selectorELNS0_4arch9wavefront6targetE1EEEvT1_
	.p2align	8
	.type	_ZN7rocprim17ROCPRIM_400000_NS6detail17trampoline_kernelINS0_14default_configENS1_27scan_by_key_config_selectorIiiEEZZNS1_16scan_by_key_implILNS1_25lookback_scan_determinismE0ELb1ES3_N6thrust23THRUST_200600_302600_NS6detail15normal_iteratorINS9_10device_ptrIiEEEENSB_INSC_IjEEEESE_iNS9_4plusIvEENS9_8equal_toIvEEiEE10hipError_tPvRmT2_T3_T4_T5_mT6_T7_P12ihipStream_tbENKUlT_T0_E_clISt17integral_constantIbLb0EES10_IbLb1EEEEDaSW_SX_EUlSW_E_NS1_11comp_targetILNS1_3genE3ELNS1_11target_archE908ELNS1_3gpuE7ELNS1_3repE0EEENS1_30default_config_static_selectorELNS0_4arch9wavefront6targetE1EEEvT1_,@function
_ZN7rocprim17ROCPRIM_400000_NS6detail17trampoline_kernelINS0_14default_configENS1_27scan_by_key_config_selectorIiiEEZZNS1_16scan_by_key_implILNS1_25lookback_scan_determinismE0ELb1ES3_N6thrust23THRUST_200600_302600_NS6detail15normal_iteratorINS9_10device_ptrIiEEEENSB_INSC_IjEEEESE_iNS9_4plusIvEENS9_8equal_toIvEEiEE10hipError_tPvRmT2_T3_T4_T5_mT6_T7_P12ihipStream_tbENKUlT_T0_E_clISt17integral_constantIbLb0EES10_IbLb1EEEEDaSW_SX_EUlSW_E_NS1_11comp_targetILNS1_3genE3ELNS1_11target_archE908ELNS1_3gpuE7ELNS1_3repE0EEENS1_30default_config_static_selectorELNS0_4arch9wavefront6targetE1EEEvT1_: ; @_ZN7rocprim17ROCPRIM_400000_NS6detail17trampoline_kernelINS0_14default_configENS1_27scan_by_key_config_selectorIiiEEZZNS1_16scan_by_key_implILNS1_25lookback_scan_determinismE0ELb1ES3_N6thrust23THRUST_200600_302600_NS6detail15normal_iteratorINS9_10device_ptrIiEEEENSB_INSC_IjEEEESE_iNS9_4plusIvEENS9_8equal_toIvEEiEE10hipError_tPvRmT2_T3_T4_T5_mT6_T7_P12ihipStream_tbENKUlT_T0_E_clISt17integral_constantIbLb0EES10_IbLb1EEEEDaSW_SX_EUlSW_E_NS1_11comp_targetILNS1_3genE3ELNS1_11target_archE908ELNS1_3gpuE7ELNS1_3repE0EEENS1_30default_config_static_selectorELNS0_4arch9wavefront6targetE1EEEvT1_
; %bb.0:
	.section	.rodata,"a",@progbits
	.p2align	6, 0x0
	.amdhsa_kernel _ZN7rocprim17ROCPRIM_400000_NS6detail17trampoline_kernelINS0_14default_configENS1_27scan_by_key_config_selectorIiiEEZZNS1_16scan_by_key_implILNS1_25lookback_scan_determinismE0ELb1ES3_N6thrust23THRUST_200600_302600_NS6detail15normal_iteratorINS9_10device_ptrIiEEEENSB_INSC_IjEEEESE_iNS9_4plusIvEENS9_8equal_toIvEEiEE10hipError_tPvRmT2_T3_T4_T5_mT6_T7_P12ihipStream_tbENKUlT_T0_E_clISt17integral_constantIbLb0EES10_IbLb1EEEEDaSW_SX_EUlSW_E_NS1_11comp_targetILNS1_3genE3ELNS1_11target_archE908ELNS1_3gpuE7ELNS1_3repE0EEENS1_30default_config_static_selectorELNS0_4arch9wavefront6targetE1EEEvT1_
		.amdhsa_group_segment_fixed_size 0
		.amdhsa_private_segment_fixed_size 0
		.amdhsa_kernarg_size 112
		.amdhsa_user_sgpr_count 2
		.amdhsa_user_sgpr_dispatch_ptr 0
		.amdhsa_user_sgpr_queue_ptr 0
		.amdhsa_user_sgpr_kernarg_segment_ptr 1
		.amdhsa_user_sgpr_dispatch_id 0
		.amdhsa_user_sgpr_kernarg_preload_length 0
		.amdhsa_user_sgpr_kernarg_preload_offset 0
		.amdhsa_user_sgpr_private_segment_size 0
		.amdhsa_uses_dynamic_stack 0
		.amdhsa_enable_private_segment 0
		.amdhsa_system_sgpr_workgroup_id_x 1
		.amdhsa_system_sgpr_workgroup_id_y 0
		.amdhsa_system_sgpr_workgroup_id_z 0
		.amdhsa_system_sgpr_workgroup_info 0
		.amdhsa_system_vgpr_workitem_id 0
		.amdhsa_next_free_vgpr 1
		.amdhsa_next_free_sgpr 0
		.amdhsa_accum_offset 4
		.amdhsa_reserve_vcc 0
		.amdhsa_float_round_mode_32 0
		.amdhsa_float_round_mode_16_64 0
		.amdhsa_float_denorm_mode_32 3
		.amdhsa_float_denorm_mode_16_64 3
		.amdhsa_dx10_clamp 1
		.amdhsa_ieee_mode 1
		.amdhsa_fp16_overflow 0
		.amdhsa_tg_split 0
		.amdhsa_exception_fp_ieee_invalid_op 0
		.amdhsa_exception_fp_denorm_src 0
		.amdhsa_exception_fp_ieee_div_zero 0
		.amdhsa_exception_fp_ieee_overflow 0
		.amdhsa_exception_fp_ieee_underflow 0
		.amdhsa_exception_fp_ieee_inexact 0
		.amdhsa_exception_int_div_zero 0
	.end_amdhsa_kernel
	.section	.text._ZN7rocprim17ROCPRIM_400000_NS6detail17trampoline_kernelINS0_14default_configENS1_27scan_by_key_config_selectorIiiEEZZNS1_16scan_by_key_implILNS1_25lookback_scan_determinismE0ELb1ES3_N6thrust23THRUST_200600_302600_NS6detail15normal_iteratorINS9_10device_ptrIiEEEENSB_INSC_IjEEEESE_iNS9_4plusIvEENS9_8equal_toIvEEiEE10hipError_tPvRmT2_T3_T4_T5_mT6_T7_P12ihipStream_tbENKUlT_T0_E_clISt17integral_constantIbLb0EES10_IbLb1EEEEDaSW_SX_EUlSW_E_NS1_11comp_targetILNS1_3genE3ELNS1_11target_archE908ELNS1_3gpuE7ELNS1_3repE0EEENS1_30default_config_static_selectorELNS0_4arch9wavefront6targetE1EEEvT1_,"axG",@progbits,_ZN7rocprim17ROCPRIM_400000_NS6detail17trampoline_kernelINS0_14default_configENS1_27scan_by_key_config_selectorIiiEEZZNS1_16scan_by_key_implILNS1_25lookback_scan_determinismE0ELb1ES3_N6thrust23THRUST_200600_302600_NS6detail15normal_iteratorINS9_10device_ptrIiEEEENSB_INSC_IjEEEESE_iNS9_4plusIvEENS9_8equal_toIvEEiEE10hipError_tPvRmT2_T3_T4_T5_mT6_T7_P12ihipStream_tbENKUlT_T0_E_clISt17integral_constantIbLb0EES10_IbLb1EEEEDaSW_SX_EUlSW_E_NS1_11comp_targetILNS1_3genE3ELNS1_11target_archE908ELNS1_3gpuE7ELNS1_3repE0EEENS1_30default_config_static_selectorELNS0_4arch9wavefront6targetE1EEEvT1_,comdat
.Lfunc_end1783:
	.size	_ZN7rocprim17ROCPRIM_400000_NS6detail17trampoline_kernelINS0_14default_configENS1_27scan_by_key_config_selectorIiiEEZZNS1_16scan_by_key_implILNS1_25lookback_scan_determinismE0ELb1ES3_N6thrust23THRUST_200600_302600_NS6detail15normal_iteratorINS9_10device_ptrIiEEEENSB_INSC_IjEEEESE_iNS9_4plusIvEENS9_8equal_toIvEEiEE10hipError_tPvRmT2_T3_T4_T5_mT6_T7_P12ihipStream_tbENKUlT_T0_E_clISt17integral_constantIbLb0EES10_IbLb1EEEEDaSW_SX_EUlSW_E_NS1_11comp_targetILNS1_3genE3ELNS1_11target_archE908ELNS1_3gpuE7ELNS1_3repE0EEENS1_30default_config_static_selectorELNS0_4arch9wavefront6targetE1EEEvT1_, .Lfunc_end1783-_ZN7rocprim17ROCPRIM_400000_NS6detail17trampoline_kernelINS0_14default_configENS1_27scan_by_key_config_selectorIiiEEZZNS1_16scan_by_key_implILNS1_25lookback_scan_determinismE0ELb1ES3_N6thrust23THRUST_200600_302600_NS6detail15normal_iteratorINS9_10device_ptrIiEEEENSB_INSC_IjEEEESE_iNS9_4plusIvEENS9_8equal_toIvEEiEE10hipError_tPvRmT2_T3_T4_T5_mT6_T7_P12ihipStream_tbENKUlT_T0_E_clISt17integral_constantIbLb0EES10_IbLb1EEEEDaSW_SX_EUlSW_E_NS1_11comp_targetILNS1_3genE3ELNS1_11target_archE908ELNS1_3gpuE7ELNS1_3repE0EEENS1_30default_config_static_selectorELNS0_4arch9wavefront6targetE1EEEvT1_
                                        ; -- End function
	.section	.AMDGPU.csdata,"",@progbits
; Kernel info:
; codeLenInByte = 0
; NumSgprs: 6
; NumVgprs: 0
; NumAgprs: 0
; TotalNumVgprs: 0
; ScratchSize: 0
; MemoryBound: 0
; FloatMode: 240
; IeeeMode: 1
; LDSByteSize: 0 bytes/workgroup (compile time only)
; SGPRBlocks: 0
; VGPRBlocks: 0
; NumSGPRsForWavesPerEU: 6
; NumVGPRsForWavesPerEU: 1
; AccumOffset: 4
; Occupancy: 8
; WaveLimiterHint : 0
; COMPUTE_PGM_RSRC2:SCRATCH_EN: 0
; COMPUTE_PGM_RSRC2:USER_SGPR: 2
; COMPUTE_PGM_RSRC2:TRAP_HANDLER: 0
; COMPUTE_PGM_RSRC2:TGID_X_EN: 1
; COMPUTE_PGM_RSRC2:TGID_Y_EN: 0
; COMPUTE_PGM_RSRC2:TGID_Z_EN: 0
; COMPUTE_PGM_RSRC2:TIDIG_COMP_CNT: 0
; COMPUTE_PGM_RSRC3_GFX90A:ACCUM_OFFSET: 0
; COMPUTE_PGM_RSRC3_GFX90A:TG_SPLIT: 0
	.section	.text._ZN7rocprim17ROCPRIM_400000_NS6detail17trampoline_kernelINS0_14default_configENS1_27scan_by_key_config_selectorIiiEEZZNS1_16scan_by_key_implILNS1_25lookback_scan_determinismE0ELb1ES3_N6thrust23THRUST_200600_302600_NS6detail15normal_iteratorINS9_10device_ptrIiEEEENSB_INSC_IjEEEESE_iNS9_4plusIvEENS9_8equal_toIvEEiEE10hipError_tPvRmT2_T3_T4_T5_mT6_T7_P12ihipStream_tbENKUlT_T0_E_clISt17integral_constantIbLb0EES10_IbLb1EEEEDaSW_SX_EUlSW_E_NS1_11comp_targetILNS1_3genE2ELNS1_11target_archE906ELNS1_3gpuE6ELNS1_3repE0EEENS1_30default_config_static_selectorELNS0_4arch9wavefront6targetE1EEEvT1_,"axG",@progbits,_ZN7rocprim17ROCPRIM_400000_NS6detail17trampoline_kernelINS0_14default_configENS1_27scan_by_key_config_selectorIiiEEZZNS1_16scan_by_key_implILNS1_25lookback_scan_determinismE0ELb1ES3_N6thrust23THRUST_200600_302600_NS6detail15normal_iteratorINS9_10device_ptrIiEEEENSB_INSC_IjEEEESE_iNS9_4plusIvEENS9_8equal_toIvEEiEE10hipError_tPvRmT2_T3_T4_T5_mT6_T7_P12ihipStream_tbENKUlT_T0_E_clISt17integral_constantIbLb0EES10_IbLb1EEEEDaSW_SX_EUlSW_E_NS1_11comp_targetILNS1_3genE2ELNS1_11target_archE906ELNS1_3gpuE6ELNS1_3repE0EEENS1_30default_config_static_selectorELNS0_4arch9wavefront6targetE1EEEvT1_,comdat
	.protected	_ZN7rocprim17ROCPRIM_400000_NS6detail17trampoline_kernelINS0_14default_configENS1_27scan_by_key_config_selectorIiiEEZZNS1_16scan_by_key_implILNS1_25lookback_scan_determinismE0ELb1ES3_N6thrust23THRUST_200600_302600_NS6detail15normal_iteratorINS9_10device_ptrIiEEEENSB_INSC_IjEEEESE_iNS9_4plusIvEENS9_8equal_toIvEEiEE10hipError_tPvRmT2_T3_T4_T5_mT6_T7_P12ihipStream_tbENKUlT_T0_E_clISt17integral_constantIbLb0EES10_IbLb1EEEEDaSW_SX_EUlSW_E_NS1_11comp_targetILNS1_3genE2ELNS1_11target_archE906ELNS1_3gpuE6ELNS1_3repE0EEENS1_30default_config_static_selectorELNS0_4arch9wavefront6targetE1EEEvT1_ ; -- Begin function _ZN7rocprim17ROCPRIM_400000_NS6detail17trampoline_kernelINS0_14default_configENS1_27scan_by_key_config_selectorIiiEEZZNS1_16scan_by_key_implILNS1_25lookback_scan_determinismE0ELb1ES3_N6thrust23THRUST_200600_302600_NS6detail15normal_iteratorINS9_10device_ptrIiEEEENSB_INSC_IjEEEESE_iNS9_4plusIvEENS9_8equal_toIvEEiEE10hipError_tPvRmT2_T3_T4_T5_mT6_T7_P12ihipStream_tbENKUlT_T0_E_clISt17integral_constantIbLb0EES10_IbLb1EEEEDaSW_SX_EUlSW_E_NS1_11comp_targetILNS1_3genE2ELNS1_11target_archE906ELNS1_3gpuE6ELNS1_3repE0EEENS1_30default_config_static_selectorELNS0_4arch9wavefront6targetE1EEEvT1_
	.globl	_ZN7rocprim17ROCPRIM_400000_NS6detail17trampoline_kernelINS0_14default_configENS1_27scan_by_key_config_selectorIiiEEZZNS1_16scan_by_key_implILNS1_25lookback_scan_determinismE0ELb1ES3_N6thrust23THRUST_200600_302600_NS6detail15normal_iteratorINS9_10device_ptrIiEEEENSB_INSC_IjEEEESE_iNS9_4plusIvEENS9_8equal_toIvEEiEE10hipError_tPvRmT2_T3_T4_T5_mT6_T7_P12ihipStream_tbENKUlT_T0_E_clISt17integral_constantIbLb0EES10_IbLb1EEEEDaSW_SX_EUlSW_E_NS1_11comp_targetILNS1_3genE2ELNS1_11target_archE906ELNS1_3gpuE6ELNS1_3repE0EEENS1_30default_config_static_selectorELNS0_4arch9wavefront6targetE1EEEvT1_
	.p2align	8
	.type	_ZN7rocprim17ROCPRIM_400000_NS6detail17trampoline_kernelINS0_14default_configENS1_27scan_by_key_config_selectorIiiEEZZNS1_16scan_by_key_implILNS1_25lookback_scan_determinismE0ELb1ES3_N6thrust23THRUST_200600_302600_NS6detail15normal_iteratorINS9_10device_ptrIiEEEENSB_INSC_IjEEEESE_iNS9_4plusIvEENS9_8equal_toIvEEiEE10hipError_tPvRmT2_T3_T4_T5_mT6_T7_P12ihipStream_tbENKUlT_T0_E_clISt17integral_constantIbLb0EES10_IbLb1EEEEDaSW_SX_EUlSW_E_NS1_11comp_targetILNS1_3genE2ELNS1_11target_archE906ELNS1_3gpuE6ELNS1_3repE0EEENS1_30default_config_static_selectorELNS0_4arch9wavefront6targetE1EEEvT1_,@function
_ZN7rocprim17ROCPRIM_400000_NS6detail17trampoline_kernelINS0_14default_configENS1_27scan_by_key_config_selectorIiiEEZZNS1_16scan_by_key_implILNS1_25lookback_scan_determinismE0ELb1ES3_N6thrust23THRUST_200600_302600_NS6detail15normal_iteratorINS9_10device_ptrIiEEEENSB_INSC_IjEEEESE_iNS9_4plusIvEENS9_8equal_toIvEEiEE10hipError_tPvRmT2_T3_T4_T5_mT6_T7_P12ihipStream_tbENKUlT_T0_E_clISt17integral_constantIbLb0EES10_IbLb1EEEEDaSW_SX_EUlSW_E_NS1_11comp_targetILNS1_3genE2ELNS1_11target_archE906ELNS1_3gpuE6ELNS1_3repE0EEENS1_30default_config_static_selectorELNS0_4arch9wavefront6targetE1EEEvT1_: ; @_ZN7rocprim17ROCPRIM_400000_NS6detail17trampoline_kernelINS0_14default_configENS1_27scan_by_key_config_selectorIiiEEZZNS1_16scan_by_key_implILNS1_25lookback_scan_determinismE0ELb1ES3_N6thrust23THRUST_200600_302600_NS6detail15normal_iteratorINS9_10device_ptrIiEEEENSB_INSC_IjEEEESE_iNS9_4plusIvEENS9_8equal_toIvEEiEE10hipError_tPvRmT2_T3_T4_T5_mT6_T7_P12ihipStream_tbENKUlT_T0_E_clISt17integral_constantIbLb0EES10_IbLb1EEEEDaSW_SX_EUlSW_E_NS1_11comp_targetILNS1_3genE2ELNS1_11target_archE906ELNS1_3gpuE6ELNS1_3repE0EEENS1_30default_config_static_selectorELNS0_4arch9wavefront6targetE1EEEvT1_
; %bb.0:
	.section	.rodata,"a",@progbits
	.p2align	6, 0x0
	.amdhsa_kernel _ZN7rocprim17ROCPRIM_400000_NS6detail17trampoline_kernelINS0_14default_configENS1_27scan_by_key_config_selectorIiiEEZZNS1_16scan_by_key_implILNS1_25lookback_scan_determinismE0ELb1ES3_N6thrust23THRUST_200600_302600_NS6detail15normal_iteratorINS9_10device_ptrIiEEEENSB_INSC_IjEEEESE_iNS9_4plusIvEENS9_8equal_toIvEEiEE10hipError_tPvRmT2_T3_T4_T5_mT6_T7_P12ihipStream_tbENKUlT_T0_E_clISt17integral_constantIbLb0EES10_IbLb1EEEEDaSW_SX_EUlSW_E_NS1_11comp_targetILNS1_3genE2ELNS1_11target_archE906ELNS1_3gpuE6ELNS1_3repE0EEENS1_30default_config_static_selectorELNS0_4arch9wavefront6targetE1EEEvT1_
		.amdhsa_group_segment_fixed_size 0
		.amdhsa_private_segment_fixed_size 0
		.amdhsa_kernarg_size 112
		.amdhsa_user_sgpr_count 2
		.amdhsa_user_sgpr_dispatch_ptr 0
		.amdhsa_user_sgpr_queue_ptr 0
		.amdhsa_user_sgpr_kernarg_segment_ptr 1
		.amdhsa_user_sgpr_dispatch_id 0
		.amdhsa_user_sgpr_kernarg_preload_length 0
		.amdhsa_user_sgpr_kernarg_preload_offset 0
		.amdhsa_user_sgpr_private_segment_size 0
		.amdhsa_uses_dynamic_stack 0
		.amdhsa_enable_private_segment 0
		.amdhsa_system_sgpr_workgroup_id_x 1
		.amdhsa_system_sgpr_workgroup_id_y 0
		.amdhsa_system_sgpr_workgroup_id_z 0
		.amdhsa_system_sgpr_workgroup_info 0
		.amdhsa_system_vgpr_workitem_id 0
		.amdhsa_next_free_vgpr 1
		.amdhsa_next_free_sgpr 0
		.amdhsa_accum_offset 4
		.amdhsa_reserve_vcc 0
		.amdhsa_float_round_mode_32 0
		.amdhsa_float_round_mode_16_64 0
		.amdhsa_float_denorm_mode_32 3
		.amdhsa_float_denorm_mode_16_64 3
		.amdhsa_dx10_clamp 1
		.amdhsa_ieee_mode 1
		.amdhsa_fp16_overflow 0
		.amdhsa_tg_split 0
		.amdhsa_exception_fp_ieee_invalid_op 0
		.amdhsa_exception_fp_denorm_src 0
		.amdhsa_exception_fp_ieee_div_zero 0
		.amdhsa_exception_fp_ieee_overflow 0
		.amdhsa_exception_fp_ieee_underflow 0
		.amdhsa_exception_fp_ieee_inexact 0
		.amdhsa_exception_int_div_zero 0
	.end_amdhsa_kernel
	.section	.text._ZN7rocprim17ROCPRIM_400000_NS6detail17trampoline_kernelINS0_14default_configENS1_27scan_by_key_config_selectorIiiEEZZNS1_16scan_by_key_implILNS1_25lookback_scan_determinismE0ELb1ES3_N6thrust23THRUST_200600_302600_NS6detail15normal_iteratorINS9_10device_ptrIiEEEENSB_INSC_IjEEEESE_iNS9_4plusIvEENS9_8equal_toIvEEiEE10hipError_tPvRmT2_T3_T4_T5_mT6_T7_P12ihipStream_tbENKUlT_T0_E_clISt17integral_constantIbLb0EES10_IbLb1EEEEDaSW_SX_EUlSW_E_NS1_11comp_targetILNS1_3genE2ELNS1_11target_archE906ELNS1_3gpuE6ELNS1_3repE0EEENS1_30default_config_static_selectorELNS0_4arch9wavefront6targetE1EEEvT1_,"axG",@progbits,_ZN7rocprim17ROCPRIM_400000_NS6detail17trampoline_kernelINS0_14default_configENS1_27scan_by_key_config_selectorIiiEEZZNS1_16scan_by_key_implILNS1_25lookback_scan_determinismE0ELb1ES3_N6thrust23THRUST_200600_302600_NS6detail15normal_iteratorINS9_10device_ptrIiEEEENSB_INSC_IjEEEESE_iNS9_4plusIvEENS9_8equal_toIvEEiEE10hipError_tPvRmT2_T3_T4_T5_mT6_T7_P12ihipStream_tbENKUlT_T0_E_clISt17integral_constantIbLb0EES10_IbLb1EEEEDaSW_SX_EUlSW_E_NS1_11comp_targetILNS1_3genE2ELNS1_11target_archE906ELNS1_3gpuE6ELNS1_3repE0EEENS1_30default_config_static_selectorELNS0_4arch9wavefront6targetE1EEEvT1_,comdat
.Lfunc_end1784:
	.size	_ZN7rocprim17ROCPRIM_400000_NS6detail17trampoline_kernelINS0_14default_configENS1_27scan_by_key_config_selectorIiiEEZZNS1_16scan_by_key_implILNS1_25lookback_scan_determinismE0ELb1ES3_N6thrust23THRUST_200600_302600_NS6detail15normal_iteratorINS9_10device_ptrIiEEEENSB_INSC_IjEEEESE_iNS9_4plusIvEENS9_8equal_toIvEEiEE10hipError_tPvRmT2_T3_T4_T5_mT6_T7_P12ihipStream_tbENKUlT_T0_E_clISt17integral_constantIbLb0EES10_IbLb1EEEEDaSW_SX_EUlSW_E_NS1_11comp_targetILNS1_3genE2ELNS1_11target_archE906ELNS1_3gpuE6ELNS1_3repE0EEENS1_30default_config_static_selectorELNS0_4arch9wavefront6targetE1EEEvT1_, .Lfunc_end1784-_ZN7rocprim17ROCPRIM_400000_NS6detail17trampoline_kernelINS0_14default_configENS1_27scan_by_key_config_selectorIiiEEZZNS1_16scan_by_key_implILNS1_25lookback_scan_determinismE0ELb1ES3_N6thrust23THRUST_200600_302600_NS6detail15normal_iteratorINS9_10device_ptrIiEEEENSB_INSC_IjEEEESE_iNS9_4plusIvEENS9_8equal_toIvEEiEE10hipError_tPvRmT2_T3_T4_T5_mT6_T7_P12ihipStream_tbENKUlT_T0_E_clISt17integral_constantIbLb0EES10_IbLb1EEEEDaSW_SX_EUlSW_E_NS1_11comp_targetILNS1_3genE2ELNS1_11target_archE906ELNS1_3gpuE6ELNS1_3repE0EEENS1_30default_config_static_selectorELNS0_4arch9wavefront6targetE1EEEvT1_
                                        ; -- End function
	.section	.AMDGPU.csdata,"",@progbits
; Kernel info:
; codeLenInByte = 0
; NumSgprs: 6
; NumVgprs: 0
; NumAgprs: 0
; TotalNumVgprs: 0
; ScratchSize: 0
; MemoryBound: 0
; FloatMode: 240
; IeeeMode: 1
; LDSByteSize: 0 bytes/workgroup (compile time only)
; SGPRBlocks: 0
; VGPRBlocks: 0
; NumSGPRsForWavesPerEU: 6
; NumVGPRsForWavesPerEU: 1
; AccumOffset: 4
; Occupancy: 8
; WaveLimiterHint : 0
; COMPUTE_PGM_RSRC2:SCRATCH_EN: 0
; COMPUTE_PGM_RSRC2:USER_SGPR: 2
; COMPUTE_PGM_RSRC2:TRAP_HANDLER: 0
; COMPUTE_PGM_RSRC2:TGID_X_EN: 1
; COMPUTE_PGM_RSRC2:TGID_Y_EN: 0
; COMPUTE_PGM_RSRC2:TGID_Z_EN: 0
; COMPUTE_PGM_RSRC2:TIDIG_COMP_CNT: 0
; COMPUTE_PGM_RSRC3_GFX90A:ACCUM_OFFSET: 0
; COMPUTE_PGM_RSRC3_GFX90A:TG_SPLIT: 0
	.section	.text._ZN7rocprim17ROCPRIM_400000_NS6detail17trampoline_kernelINS0_14default_configENS1_27scan_by_key_config_selectorIiiEEZZNS1_16scan_by_key_implILNS1_25lookback_scan_determinismE0ELb1ES3_N6thrust23THRUST_200600_302600_NS6detail15normal_iteratorINS9_10device_ptrIiEEEENSB_INSC_IjEEEESE_iNS9_4plusIvEENS9_8equal_toIvEEiEE10hipError_tPvRmT2_T3_T4_T5_mT6_T7_P12ihipStream_tbENKUlT_T0_E_clISt17integral_constantIbLb0EES10_IbLb1EEEEDaSW_SX_EUlSW_E_NS1_11comp_targetILNS1_3genE10ELNS1_11target_archE1200ELNS1_3gpuE4ELNS1_3repE0EEENS1_30default_config_static_selectorELNS0_4arch9wavefront6targetE1EEEvT1_,"axG",@progbits,_ZN7rocprim17ROCPRIM_400000_NS6detail17trampoline_kernelINS0_14default_configENS1_27scan_by_key_config_selectorIiiEEZZNS1_16scan_by_key_implILNS1_25lookback_scan_determinismE0ELb1ES3_N6thrust23THRUST_200600_302600_NS6detail15normal_iteratorINS9_10device_ptrIiEEEENSB_INSC_IjEEEESE_iNS9_4plusIvEENS9_8equal_toIvEEiEE10hipError_tPvRmT2_T3_T4_T5_mT6_T7_P12ihipStream_tbENKUlT_T0_E_clISt17integral_constantIbLb0EES10_IbLb1EEEEDaSW_SX_EUlSW_E_NS1_11comp_targetILNS1_3genE10ELNS1_11target_archE1200ELNS1_3gpuE4ELNS1_3repE0EEENS1_30default_config_static_selectorELNS0_4arch9wavefront6targetE1EEEvT1_,comdat
	.protected	_ZN7rocprim17ROCPRIM_400000_NS6detail17trampoline_kernelINS0_14default_configENS1_27scan_by_key_config_selectorIiiEEZZNS1_16scan_by_key_implILNS1_25lookback_scan_determinismE0ELb1ES3_N6thrust23THRUST_200600_302600_NS6detail15normal_iteratorINS9_10device_ptrIiEEEENSB_INSC_IjEEEESE_iNS9_4plusIvEENS9_8equal_toIvEEiEE10hipError_tPvRmT2_T3_T4_T5_mT6_T7_P12ihipStream_tbENKUlT_T0_E_clISt17integral_constantIbLb0EES10_IbLb1EEEEDaSW_SX_EUlSW_E_NS1_11comp_targetILNS1_3genE10ELNS1_11target_archE1200ELNS1_3gpuE4ELNS1_3repE0EEENS1_30default_config_static_selectorELNS0_4arch9wavefront6targetE1EEEvT1_ ; -- Begin function _ZN7rocprim17ROCPRIM_400000_NS6detail17trampoline_kernelINS0_14default_configENS1_27scan_by_key_config_selectorIiiEEZZNS1_16scan_by_key_implILNS1_25lookback_scan_determinismE0ELb1ES3_N6thrust23THRUST_200600_302600_NS6detail15normal_iteratorINS9_10device_ptrIiEEEENSB_INSC_IjEEEESE_iNS9_4plusIvEENS9_8equal_toIvEEiEE10hipError_tPvRmT2_T3_T4_T5_mT6_T7_P12ihipStream_tbENKUlT_T0_E_clISt17integral_constantIbLb0EES10_IbLb1EEEEDaSW_SX_EUlSW_E_NS1_11comp_targetILNS1_3genE10ELNS1_11target_archE1200ELNS1_3gpuE4ELNS1_3repE0EEENS1_30default_config_static_selectorELNS0_4arch9wavefront6targetE1EEEvT1_
	.globl	_ZN7rocprim17ROCPRIM_400000_NS6detail17trampoline_kernelINS0_14default_configENS1_27scan_by_key_config_selectorIiiEEZZNS1_16scan_by_key_implILNS1_25lookback_scan_determinismE0ELb1ES3_N6thrust23THRUST_200600_302600_NS6detail15normal_iteratorINS9_10device_ptrIiEEEENSB_INSC_IjEEEESE_iNS9_4plusIvEENS9_8equal_toIvEEiEE10hipError_tPvRmT2_T3_T4_T5_mT6_T7_P12ihipStream_tbENKUlT_T0_E_clISt17integral_constantIbLb0EES10_IbLb1EEEEDaSW_SX_EUlSW_E_NS1_11comp_targetILNS1_3genE10ELNS1_11target_archE1200ELNS1_3gpuE4ELNS1_3repE0EEENS1_30default_config_static_selectorELNS0_4arch9wavefront6targetE1EEEvT1_
	.p2align	8
	.type	_ZN7rocprim17ROCPRIM_400000_NS6detail17trampoline_kernelINS0_14default_configENS1_27scan_by_key_config_selectorIiiEEZZNS1_16scan_by_key_implILNS1_25lookback_scan_determinismE0ELb1ES3_N6thrust23THRUST_200600_302600_NS6detail15normal_iteratorINS9_10device_ptrIiEEEENSB_INSC_IjEEEESE_iNS9_4plusIvEENS9_8equal_toIvEEiEE10hipError_tPvRmT2_T3_T4_T5_mT6_T7_P12ihipStream_tbENKUlT_T0_E_clISt17integral_constantIbLb0EES10_IbLb1EEEEDaSW_SX_EUlSW_E_NS1_11comp_targetILNS1_3genE10ELNS1_11target_archE1200ELNS1_3gpuE4ELNS1_3repE0EEENS1_30default_config_static_selectorELNS0_4arch9wavefront6targetE1EEEvT1_,@function
_ZN7rocprim17ROCPRIM_400000_NS6detail17trampoline_kernelINS0_14default_configENS1_27scan_by_key_config_selectorIiiEEZZNS1_16scan_by_key_implILNS1_25lookback_scan_determinismE0ELb1ES3_N6thrust23THRUST_200600_302600_NS6detail15normal_iteratorINS9_10device_ptrIiEEEENSB_INSC_IjEEEESE_iNS9_4plusIvEENS9_8equal_toIvEEiEE10hipError_tPvRmT2_T3_T4_T5_mT6_T7_P12ihipStream_tbENKUlT_T0_E_clISt17integral_constantIbLb0EES10_IbLb1EEEEDaSW_SX_EUlSW_E_NS1_11comp_targetILNS1_3genE10ELNS1_11target_archE1200ELNS1_3gpuE4ELNS1_3repE0EEENS1_30default_config_static_selectorELNS0_4arch9wavefront6targetE1EEEvT1_: ; @_ZN7rocprim17ROCPRIM_400000_NS6detail17trampoline_kernelINS0_14default_configENS1_27scan_by_key_config_selectorIiiEEZZNS1_16scan_by_key_implILNS1_25lookback_scan_determinismE0ELb1ES3_N6thrust23THRUST_200600_302600_NS6detail15normal_iteratorINS9_10device_ptrIiEEEENSB_INSC_IjEEEESE_iNS9_4plusIvEENS9_8equal_toIvEEiEE10hipError_tPvRmT2_T3_T4_T5_mT6_T7_P12ihipStream_tbENKUlT_T0_E_clISt17integral_constantIbLb0EES10_IbLb1EEEEDaSW_SX_EUlSW_E_NS1_11comp_targetILNS1_3genE10ELNS1_11target_archE1200ELNS1_3gpuE4ELNS1_3repE0EEENS1_30default_config_static_selectorELNS0_4arch9wavefront6targetE1EEEvT1_
; %bb.0:
	.section	.rodata,"a",@progbits
	.p2align	6, 0x0
	.amdhsa_kernel _ZN7rocprim17ROCPRIM_400000_NS6detail17trampoline_kernelINS0_14default_configENS1_27scan_by_key_config_selectorIiiEEZZNS1_16scan_by_key_implILNS1_25lookback_scan_determinismE0ELb1ES3_N6thrust23THRUST_200600_302600_NS6detail15normal_iteratorINS9_10device_ptrIiEEEENSB_INSC_IjEEEESE_iNS9_4plusIvEENS9_8equal_toIvEEiEE10hipError_tPvRmT2_T3_T4_T5_mT6_T7_P12ihipStream_tbENKUlT_T0_E_clISt17integral_constantIbLb0EES10_IbLb1EEEEDaSW_SX_EUlSW_E_NS1_11comp_targetILNS1_3genE10ELNS1_11target_archE1200ELNS1_3gpuE4ELNS1_3repE0EEENS1_30default_config_static_selectorELNS0_4arch9wavefront6targetE1EEEvT1_
		.amdhsa_group_segment_fixed_size 0
		.amdhsa_private_segment_fixed_size 0
		.amdhsa_kernarg_size 112
		.amdhsa_user_sgpr_count 2
		.amdhsa_user_sgpr_dispatch_ptr 0
		.amdhsa_user_sgpr_queue_ptr 0
		.amdhsa_user_sgpr_kernarg_segment_ptr 1
		.amdhsa_user_sgpr_dispatch_id 0
		.amdhsa_user_sgpr_kernarg_preload_length 0
		.amdhsa_user_sgpr_kernarg_preload_offset 0
		.amdhsa_user_sgpr_private_segment_size 0
		.amdhsa_uses_dynamic_stack 0
		.amdhsa_enable_private_segment 0
		.amdhsa_system_sgpr_workgroup_id_x 1
		.amdhsa_system_sgpr_workgroup_id_y 0
		.amdhsa_system_sgpr_workgroup_id_z 0
		.amdhsa_system_sgpr_workgroup_info 0
		.amdhsa_system_vgpr_workitem_id 0
		.amdhsa_next_free_vgpr 1
		.amdhsa_next_free_sgpr 0
		.amdhsa_accum_offset 4
		.amdhsa_reserve_vcc 0
		.amdhsa_float_round_mode_32 0
		.amdhsa_float_round_mode_16_64 0
		.amdhsa_float_denorm_mode_32 3
		.amdhsa_float_denorm_mode_16_64 3
		.amdhsa_dx10_clamp 1
		.amdhsa_ieee_mode 1
		.amdhsa_fp16_overflow 0
		.amdhsa_tg_split 0
		.amdhsa_exception_fp_ieee_invalid_op 0
		.amdhsa_exception_fp_denorm_src 0
		.amdhsa_exception_fp_ieee_div_zero 0
		.amdhsa_exception_fp_ieee_overflow 0
		.amdhsa_exception_fp_ieee_underflow 0
		.amdhsa_exception_fp_ieee_inexact 0
		.amdhsa_exception_int_div_zero 0
	.end_amdhsa_kernel
	.section	.text._ZN7rocprim17ROCPRIM_400000_NS6detail17trampoline_kernelINS0_14default_configENS1_27scan_by_key_config_selectorIiiEEZZNS1_16scan_by_key_implILNS1_25lookback_scan_determinismE0ELb1ES3_N6thrust23THRUST_200600_302600_NS6detail15normal_iteratorINS9_10device_ptrIiEEEENSB_INSC_IjEEEESE_iNS9_4plusIvEENS9_8equal_toIvEEiEE10hipError_tPvRmT2_T3_T4_T5_mT6_T7_P12ihipStream_tbENKUlT_T0_E_clISt17integral_constantIbLb0EES10_IbLb1EEEEDaSW_SX_EUlSW_E_NS1_11comp_targetILNS1_3genE10ELNS1_11target_archE1200ELNS1_3gpuE4ELNS1_3repE0EEENS1_30default_config_static_selectorELNS0_4arch9wavefront6targetE1EEEvT1_,"axG",@progbits,_ZN7rocprim17ROCPRIM_400000_NS6detail17trampoline_kernelINS0_14default_configENS1_27scan_by_key_config_selectorIiiEEZZNS1_16scan_by_key_implILNS1_25lookback_scan_determinismE0ELb1ES3_N6thrust23THRUST_200600_302600_NS6detail15normal_iteratorINS9_10device_ptrIiEEEENSB_INSC_IjEEEESE_iNS9_4plusIvEENS9_8equal_toIvEEiEE10hipError_tPvRmT2_T3_T4_T5_mT6_T7_P12ihipStream_tbENKUlT_T0_E_clISt17integral_constantIbLb0EES10_IbLb1EEEEDaSW_SX_EUlSW_E_NS1_11comp_targetILNS1_3genE10ELNS1_11target_archE1200ELNS1_3gpuE4ELNS1_3repE0EEENS1_30default_config_static_selectorELNS0_4arch9wavefront6targetE1EEEvT1_,comdat
.Lfunc_end1785:
	.size	_ZN7rocprim17ROCPRIM_400000_NS6detail17trampoline_kernelINS0_14default_configENS1_27scan_by_key_config_selectorIiiEEZZNS1_16scan_by_key_implILNS1_25lookback_scan_determinismE0ELb1ES3_N6thrust23THRUST_200600_302600_NS6detail15normal_iteratorINS9_10device_ptrIiEEEENSB_INSC_IjEEEESE_iNS9_4plusIvEENS9_8equal_toIvEEiEE10hipError_tPvRmT2_T3_T4_T5_mT6_T7_P12ihipStream_tbENKUlT_T0_E_clISt17integral_constantIbLb0EES10_IbLb1EEEEDaSW_SX_EUlSW_E_NS1_11comp_targetILNS1_3genE10ELNS1_11target_archE1200ELNS1_3gpuE4ELNS1_3repE0EEENS1_30default_config_static_selectorELNS0_4arch9wavefront6targetE1EEEvT1_, .Lfunc_end1785-_ZN7rocprim17ROCPRIM_400000_NS6detail17trampoline_kernelINS0_14default_configENS1_27scan_by_key_config_selectorIiiEEZZNS1_16scan_by_key_implILNS1_25lookback_scan_determinismE0ELb1ES3_N6thrust23THRUST_200600_302600_NS6detail15normal_iteratorINS9_10device_ptrIiEEEENSB_INSC_IjEEEESE_iNS9_4plusIvEENS9_8equal_toIvEEiEE10hipError_tPvRmT2_T3_T4_T5_mT6_T7_P12ihipStream_tbENKUlT_T0_E_clISt17integral_constantIbLb0EES10_IbLb1EEEEDaSW_SX_EUlSW_E_NS1_11comp_targetILNS1_3genE10ELNS1_11target_archE1200ELNS1_3gpuE4ELNS1_3repE0EEENS1_30default_config_static_selectorELNS0_4arch9wavefront6targetE1EEEvT1_
                                        ; -- End function
	.section	.AMDGPU.csdata,"",@progbits
; Kernel info:
; codeLenInByte = 0
; NumSgprs: 6
; NumVgprs: 0
; NumAgprs: 0
; TotalNumVgprs: 0
; ScratchSize: 0
; MemoryBound: 0
; FloatMode: 240
; IeeeMode: 1
; LDSByteSize: 0 bytes/workgroup (compile time only)
; SGPRBlocks: 0
; VGPRBlocks: 0
; NumSGPRsForWavesPerEU: 6
; NumVGPRsForWavesPerEU: 1
; AccumOffset: 4
; Occupancy: 8
; WaveLimiterHint : 0
; COMPUTE_PGM_RSRC2:SCRATCH_EN: 0
; COMPUTE_PGM_RSRC2:USER_SGPR: 2
; COMPUTE_PGM_RSRC2:TRAP_HANDLER: 0
; COMPUTE_PGM_RSRC2:TGID_X_EN: 1
; COMPUTE_PGM_RSRC2:TGID_Y_EN: 0
; COMPUTE_PGM_RSRC2:TGID_Z_EN: 0
; COMPUTE_PGM_RSRC2:TIDIG_COMP_CNT: 0
; COMPUTE_PGM_RSRC3_GFX90A:ACCUM_OFFSET: 0
; COMPUTE_PGM_RSRC3_GFX90A:TG_SPLIT: 0
	.section	.text._ZN7rocprim17ROCPRIM_400000_NS6detail17trampoline_kernelINS0_14default_configENS1_27scan_by_key_config_selectorIiiEEZZNS1_16scan_by_key_implILNS1_25lookback_scan_determinismE0ELb1ES3_N6thrust23THRUST_200600_302600_NS6detail15normal_iteratorINS9_10device_ptrIiEEEENSB_INSC_IjEEEESE_iNS9_4plusIvEENS9_8equal_toIvEEiEE10hipError_tPvRmT2_T3_T4_T5_mT6_T7_P12ihipStream_tbENKUlT_T0_E_clISt17integral_constantIbLb0EES10_IbLb1EEEEDaSW_SX_EUlSW_E_NS1_11comp_targetILNS1_3genE9ELNS1_11target_archE1100ELNS1_3gpuE3ELNS1_3repE0EEENS1_30default_config_static_selectorELNS0_4arch9wavefront6targetE1EEEvT1_,"axG",@progbits,_ZN7rocprim17ROCPRIM_400000_NS6detail17trampoline_kernelINS0_14default_configENS1_27scan_by_key_config_selectorIiiEEZZNS1_16scan_by_key_implILNS1_25lookback_scan_determinismE0ELb1ES3_N6thrust23THRUST_200600_302600_NS6detail15normal_iteratorINS9_10device_ptrIiEEEENSB_INSC_IjEEEESE_iNS9_4plusIvEENS9_8equal_toIvEEiEE10hipError_tPvRmT2_T3_T4_T5_mT6_T7_P12ihipStream_tbENKUlT_T0_E_clISt17integral_constantIbLb0EES10_IbLb1EEEEDaSW_SX_EUlSW_E_NS1_11comp_targetILNS1_3genE9ELNS1_11target_archE1100ELNS1_3gpuE3ELNS1_3repE0EEENS1_30default_config_static_selectorELNS0_4arch9wavefront6targetE1EEEvT1_,comdat
	.protected	_ZN7rocprim17ROCPRIM_400000_NS6detail17trampoline_kernelINS0_14default_configENS1_27scan_by_key_config_selectorIiiEEZZNS1_16scan_by_key_implILNS1_25lookback_scan_determinismE0ELb1ES3_N6thrust23THRUST_200600_302600_NS6detail15normal_iteratorINS9_10device_ptrIiEEEENSB_INSC_IjEEEESE_iNS9_4plusIvEENS9_8equal_toIvEEiEE10hipError_tPvRmT2_T3_T4_T5_mT6_T7_P12ihipStream_tbENKUlT_T0_E_clISt17integral_constantIbLb0EES10_IbLb1EEEEDaSW_SX_EUlSW_E_NS1_11comp_targetILNS1_3genE9ELNS1_11target_archE1100ELNS1_3gpuE3ELNS1_3repE0EEENS1_30default_config_static_selectorELNS0_4arch9wavefront6targetE1EEEvT1_ ; -- Begin function _ZN7rocprim17ROCPRIM_400000_NS6detail17trampoline_kernelINS0_14default_configENS1_27scan_by_key_config_selectorIiiEEZZNS1_16scan_by_key_implILNS1_25lookback_scan_determinismE0ELb1ES3_N6thrust23THRUST_200600_302600_NS6detail15normal_iteratorINS9_10device_ptrIiEEEENSB_INSC_IjEEEESE_iNS9_4plusIvEENS9_8equal_toIvEEiEE10hipError_tPvRmT2_T3_T4_T5_mT6_T7_P12ihipStream_tbENKUlT_T0_E_clISt17integral_constantIbLb0EES10_IbLb1EEEEDaSW_SX_EUlSW_E_NS1_11comp_targetILNS1_3genE9ELNS1_11target_archE1100ELNS1_3gpuE3ELNS1_3repE0EEENS1_30default_config_static_selectorELNS0_4arch9wavefront6targetE1EEEvT1_
	.globl	_ZN7rocprim17ROCPRIM_400000_NS6detail17trampoline_kernelINS0_14default_configENS1_27scan_by_key_config_selectorIiiEEZZNS1_16scan_by_key_implILNS1_25lookback_scan_determinismE0ELb1ES3_N6thrust23THRUST_200600_302600_NS6detail15normal_iteratorINS9_10device_ptrIiEEEENSB_INSC_IjEEEESE_iNS9_4plusIvEENS9_8equal_toIvEEiEE10hipError_tPvRmT2_T3_T4_T5_mT6_T7_P12ihipStream_tbENKUlT_T0_E_clISt17integral_constantIbLb0EES10_IbLb1EEEEDaSW_SX_EUlSW_E_NS1_11comp_targetILNS1_3genE9ELNS1_11target_archE1100ELNS1_3gpuE3ELNS1_3repE0EEENS1_30default_config_static_selectorELNS0_4arch9wavefront6targetE1EEEvT1_
	.p2align	8
	.type	_ZN7rocprim17ROCPRIM_400000_NS6detail17trampoline_kernelINS0_14default_configENS1_27scan_by_key_config_selectorIiiEEZZNS1_16scan_by_key_implILNS1_25lookback_scan_determinismE0ELb1ES3_N6thrust23THRUST_200600_302600_NS6detail15normal_iteratorINS9_10device_ptrIiEEEENSB_INSC_IjEEEESE_iNS9_4plusIvEENS9_8equal_toIvEEiEE10hipError_tPvRmT2_T3_T4_T5_mT6_T7_P12ihipStream_tbENKUlT_T0_E_clISt17integral_constantIbLb0EES10_IbLb1EEEEDaSW_SX_EUlSW_E_NS1_11comp_targetILNS1_3genE9ELNS1_11target_archE1100ELNS1_3gpuE3ELNS1_3repE0EEENS1_30default_config_static_selectorELNS0_4arch9wavefront6targetE1EEEvT1_,@function
_ZN7rocprim17ROCPRIM_400000_NS6detail17trampoline_kernelINS0_14default_configENS1_27scan_by_key_config_selectorIiiEEZZNS1_16scan_by_key_implILNS1_25lookback_scan_determinismE0ELb1ES3_N6thrust23THRUST_200600_302600_NS6detail15normal_iteratorINS9_10device_ptrIiEEEENSB_INSC_IjEEEESE_iNS9_4plusIvEENS9_8equal_toIvEEiEE10hipError_tPvRmT2_T3_T4_T5_mT6_T7_P12ihipStream_tbENKUlT_T0_E_clISt17integral_constantIbLb0EES10_IbLb1EEEEDaSW_SX_EUlSW_E_NS1_11comp_targetILNS1_3genE9ELNS1_11target_archE1100ELNS1_3gpuE3ELNS1_3repE0EEENS1_30default_config_static_selectorELNS0_4arch9wavefront6targetE1EEEvT1_: ; @_ZN7rocprim17ROCPRIM_400000_NS6detail17trampoline_kernelINS0_14default_configENS1_27scan_by_key_config_selectorIiiEEZZNS1_16scan_by_key_implILNS1_25lookback_scan_determinismE0ELb1ES3_N6thrust23THRUST_200600_302600_NS6detail15normal_iteratorINS9_10device_ptrIiEEEENSB_INSC_IjEEEESE_iNS9_4plusIvEENS9_8equal_toIvEEiEE10hipError_tPvRmT2_T3_T4_T5_mT6_T7_P12ihipStream_tbENKUlT_T0_E_clISt17integral_constantIbLb0EES10_IbLb1EEEEDaSW_SX_EUlSW_E_NS1_11comp_targetILNS1_3genE9ELNS1_11target_archE1100ELNS1_3gpuE3ELNS1_3repE0EEENS1_30default_config_static_selectorELNS0_4arch9wavefront6targetE1EEEvT1_
; %bb.0:
	.section	.rodata,"a",@progbits
	.p2align	6, 0x0
	.amdhsa_kernel _ZN7rocprim17ROCPRIM_400000_NS6detail17trampoline_kernelINS0_14default_configENS1_27scan_by_key_config_selectorIiiEEZZNS1_16scan_by_key_implILNS1_25lookback_scan_determinismE0ELb1ES3_N6thrust23THRUST_200600_302600_NS6detail15normal_iteratorINS9_10device_ptrIiEEEENSB_INSC_IjEEEESE_iNS9_4plusIvEENS9_8equal_toIvEEiEE10hipError_tPvRmT2_T3_T4_T5_mT6_T7_P12ihipStream_tbENKUlT_T0_E_clISt17integral_constantIbLb0EES10_IbLb1EEEEDaSW_SX_EUlSW_E_NS1_11comp_targetILNS1_3genE9ELNS1_11target_archE1100ELNS1_3gpuE3ELNS1_3repE0EEENS1_30default_config_static_selectorELNS0_4arch9wavefront6targetE1EEEvT1_
		.amdhsa_group_segment_fixed_size 0
		.amdhsa_private_segment_fixed_size 0
		.amdhsa_kernarg_size 112
		.amdhsa_user_sgpr_count 2
		.amdhsa_user_sgpr_dispatch_ptr 0
		.amdhsa_user_sgpr_queue_ptr 0
		.amdhsa_user_sgpr_kernarg_segment_ptr 1
		.amdhsa_user_sgpr_dispatch_id 0
		.amdhsa_user_sgpr_kernarg_preload_length 0
		.amdhsa_user_sgpr_kernarg_preload_offset 0
		.amdhsa_user_sgpr_private_segment_size 0
		.amdhsa_uses_dynamic_stack 0
		.amdhsa_enable_private_segment 0
		.amdhsa_system_sgpr_workgroup_id_x 1
		.amdhsa_system_sgpr_workgroup_id_y 0
		.amdhsa_system_sgpr_workgroup_id_z 0
		.amdhsa_system_sgpr_workgroup_info 0
		.amdhsa_system_vgpr_workitem_id 0
		.amdhsa_next_free_vgpr 1
		.amdhsa_next_free_sgpr 0
		.amdhsa_accum_offset 4
		.amdhsa_reserve_vcc 0
		.amdhsa_float_round_mode_32 0
		.amdhsa_float_round_mode_16_64 0
		.amdhsa_float_denorm_mode_32 3
		.amdhsa_float_denorm_mode_16_64 3
		.amdhsa_dx10_clamp 1
		.amdhsa_ieee_mode 1
		.amdhsa_fp16_overflow 0
		.amdhsa_tg_split 0
		.amdhsa_exception_fp_ieee_invalid_op 0
		.amdhsa_exception_fp_denorm_src 0
		.amdhsa_exception_fp_ieee_div_zero 0
		.amdhsa_exception_fp_ieee_overflow 0
		.amdhsa_exception_fp_ieee_underflow 0
		.amdhsa_exception_fp_ieee_inexact 0
		.amdhsa_exception_int_div_zero 0
	.end_amdhsa_kernel
	.section	.text._ZN7rocprim17ROCPRIM_400000_NS6detail17trampoline_kernelINS0_14default_configENS1_27scan_by_key_config_selectorIiiEEZZNS1_16scan_by_key_implILNS1_25lookback_scan_determinismE0ELb1ES3_N6thrust23THRUST_200600_302600_NS6detail15normal_iteratorINS9_10device_ptrIiEEEENSB_INSC_IjEEEESE_iNS9_4plusIvEENS9_8equal_toIvEEiEE10hipError_tPvRmT2_T3_T4_T5_mT6_T7_P12ihipStream_tbENKUlT_T0_E_clISt17integral_constantIbLb0EES10_IbLb1EEEEDaSW_SX_EUlSW_E_NS1_11comp_targetILNS1_3genE9ELNS1_11target_archE1100ELNS1_3gpuE3ELNS1_3repE0EEENS1_30default_config_static_selectorELNS0_4arch9wavefront6targetE1EEEvT1_,"axG",@progbits,_ZN7rocprim17ROCPRIM_400000_NS6detail17trampoline_kernelINS0_14default_configENS1_27scan_by_key_config_selectorIiiEEZZNS1_16scan_by_key_implILNS1_25lookback_scan_determinismE0ELb1ES3_N6thrust23THRUST_200600_302600_NS6detail15normal_iteratorINS9_10device_ptrIiEEEENSB_INSC_IjEEEESE_iNS9_4plusIvEENS9_8equal_toIvEEiEE10hipError_tPvRmT2_T3_T4_T5_mT6_T7_P12ihipStream_tbENKUlT_T0_E_clISt17integral_constantIbLb0EES10_IbLb1EEEEDaSW_SX_EUlSW_E_NS1_11comp_targetILNS1_3genE9ELNS1_11target_archE1100ELNS1_3gpuE3ELNS1_3repE0EEENS1_30default_config_static_selectorELNS0_4arch9wavefront6targetE1EEEvT1_,comdat
.Lfunc_end1786:
	.size	_ZN7rocprim17ROCPRIM_400000_NS6detail17trampoline_kernelINS0_14default_configENS1_27scan_by_key_config_selectorIiiEEZZNS1_16scan_by_key_implILNS1_25lookback_scan_determinismE0ELb1ES3_N6thrust23THRUST_200600_302600_NS6detail15normal_iteratorINS9_10device_ptrIiEEEENSB_INSC_IjEEEESE_iNS9_4plusIvEENS9_8equal_toIvEEiEE10hipError_tPvRmT2_T3_T4_T5_mT6_T7_P12ihipStream_tbENKUlT_T0_E_clISt17integral_constantIbLb0EES10_IbLb1EEEEDaSW_SX_EUlSW_E_NS1_11comp_targetILNS1_3genE9ELNS1_11target_archE1100ELNS1_3gpuE3ELNS1_3repE0EEENS1_30default_config_static_selectorELNS0_4arch9wavefront6targetE1EEEvT1_, .Lfunc_end1786-_ZN7rocprim17ROCPRIM_400000_NS6detail17trampoline_kernelINS0_14default_configENS1_27scan_by_key_config_selectorIiiEEZZNS1_16scan_by_key_implILNS1_25lookback_scan_determinismE0ELb1ES3_N6thrust23THRUST_200600_302600_NS6detail15normal_iteratorINS9_10device_ptrIiEEEENSB_INSC_IjEEEESE_iNS9_4plusIvEENS9_8equal_toIvEEiEE10hipError_tPvRmT2_T3_T4_T5_mT6_T7_P12ihipStream_tbENKUlT_T0_E_clISt17integral_constantIbLb0EES10_IbLb1EEEEDaSW_SX_EUlSW_E_NS1_11comp_targetILNS1_3genE9ELNS1_11target_archE1100ELNS1_3gpuE3ELNS1_3repE0EEENS1_30default_config_static_selectorELNS0_4arch9wavefront6targetE1EEEvT1_
                                        ; -- End function
	.section	.AMDGPU.csdata,"",@progbits
; Kernel info:
; codeLenInByte = 0
; NumSgprs: 6
; NumVgprs: 0
; NumAgprs: 0
; TotalNumVgprs: 0
; ScratchSize: 0
; MemoryBound: 0
; FloatMode: 240
; IeeeMode: 1
; LDSByteSize: 0 bytes/workgroup (compile time only)
; SGPRBlocks: 0
; VGPRBlocks: 0
; NumSGPRsForWavesPerEU: 6
; NumVGPRsForWavesPerEU: 1
; AccumOffset: 4
; Occupancy: 8
; WaveLimiterHint : 0
; COMPUTE_PGM_RSRC2:SCRATCH_EN: 0
; COMPUTE_PGM_RSRC2:USER_SGPR: 2
; COMPUTE_PGM_RSRC2:TRAP_HANDLER: 0
; COMPUTE_PGM_RSRC2:TGID_X_EN: 1
; COMPUTE_PGM_RSRC2:TGID_Y_EN: 0
; COMPUTE_PGM_RSRC2:TGID_Z_EN: 0
; COMPUTE_PGM_RSRC2:TIDIG_COMP_CNT: 0
; COMPUTE_PGM_RSRC3_GFX90A:ACCUM_OFFSET: 0
; COMPUTE_PGM_RSRC3_GFX90A:TG_SPLIT: 0
	.section	.text._ZN7rocprim17ROCPRIM_400000_NS6detail17trampoline_kernelINS0_14default_configENS1_27scan_by_key_config_selectorIiiEEZZNS1_16scan_by_key_implILNS1_25lookback_scan_determinismE0ELb1ES3_N6thrust23THRUST_200600_302600_NS6detail15normal_iteratorINS9_10device_ptrIiEEEENSB_INSC_IjEEEESE_iNS9_4plusIvEENS9_8equal_toIvEEiEE10hipError_tPvRmT2_T3_T4_T5_mT6_T7_P12ihipStream_tbENKUlT_T0_E_clISt17integral_constantIbLb0EES10_IbLb1EEEEDaSW_SX_EUlSW_E_NS1_11comp_targetILNS1_3genE8ELNS1_11target_archE1030ELNS1_3gpuE2ELNS1_3repE0EEENS1_30default_config_static_selectorELNS0_4arch9wavefront6targetE1EEEvT1_,"axG",@progbits,_ZN7rocprim17ROCPRIM_400000_NS6detail17trampoline_kernelINS0_14default_configENS1_27scan_by_key_config_selectorIiiEEZZNS1_16scan_by_key_implILNS1_25lookback_scan_determinismE0ELb1ES3_N6thrust23THRUST_200600_302600_NS6detail15normal_iteratorINS9_10device_ptrIiEEEENSB_INSC_IjEEEESE_iNS9_4plusIvEENS9_8equal_toIvEEiEE10hipError_tPvRmT2_T3_T4_T5_mT6_T7_P12ihipStream_tbENKUlT_T0_E_clISt17integral_constantIbLb0EES10_IbLb1EEEEDaSW_SX_EUlSW_E_NS1_11comp_targetILNS1_3genE8ELNS1_11target_archE1030ELNS1_3gpuE2ELNS1_3repE0EEENS1_30default_config_static_selectorELNS0_4arch9wavefront6targetE1EEEvT1_,comdat
	.protected	_ZN7rocprim17ROCPRIM_400000_NS6detail17trampoline_kernelINS0_14default_configENS1_27scan_by_key_config_selectorIiiEEZZNS1_16scan_by_key_implILNS1_25lookback_scan_determinismE0ELb1ES3_N6thrust23THRUST_200600_302600_NS6detail15normal_iteratorINS9_10device_ptrIiEEEENSB_INSC_IjEEEESE_iNS9_4plusIvEENS9_8equal_toIvEEiEE10hipError_tPvRmT2_T3_T4_T5_mT6_T7_P12ihipStream_tbENKUlT_T0_E_clISt17integral_constantIbLb0EES10_IbLb1EEEEDaSW_SX_EUlSW_E_NS1_11comp_targetILNS1_3genE8ELNS1_11target_archE1030ELNS1_3gpuE2ELNS1_3repE0EEENS1_30default_config_static_selectorELNS0_4arch9wavefront6targetE1EEEvT1_ ; -- Begin function _ZN7rocprim17ROCPRIM_400000_NS6detail17trampoline_kernelINS0_14default_configENS1_27scan_by_key_config_selectorIiiEEZZNS1_16scan_by_key_implILNS1_25lookback_scan_determinismE0ELb1ES3_N6thrust23THRUST_200600_302600_NS6detail15normal_iteratorINS9_10device_ptrIiEEEENSB_INSC_IjEEEESE_iNS9_4plusIvEENS9_8equal_toIvEEiEE10hipError_tPvRmT2_T3_T4_T5_mT6_T7_P12ihipStream_tbENKUlT_T0_E_clISt17integral_constantIbLb0EES10_IbLb1EEEEDaSW_SX_EUlSW_E_NS1_11comp_targetILNS1_3genE8ELNS1_11target_archE1030ELNS1_3gpuE2ELNS1_3repE0EEENS1_30default_config_static_selectorELNS0_4arch9wavefront6targetE1EEEvT1_
	.globl	_ZN7rocprim17ROCPRIM_400000_NS6detail17trampoline_kernelINS0_14default_configENS1_27scan_by_key_config_selectorIiiEEZZNS1_16scan_by_key_implILNS1_25lookback_scan_determinismE0ELb1ES3_N6thrust23THRUST_200600_302600_NS6detail15normal_iteratorINS9_10device_ptrIiEEEENSB_INSC_IjEEEESE_iNS9_4plusIvEENS9_8equal_toIvEEiEE10hipError_tPvRmT2_T3_T4_T5_mT6_T7_P12ihipStream_tbENKUlT_T0_E_clISt17integral_constantIbLb0EES10_IbLb1EEEEDaSW_SX_EUlSW_E_NS1_11comp_targetILNS1_3genE8ELNS1_11target_archE1030ELNS1_3gpuE2ELNS1_3repE0EEENS1_30default_config_static_selectorELNS0_4arch9wavefront6targetE1EEEvT1_
	.p2align	8
	.type	_ZN7rocprim17ROCPRIM_400000_NS6detail17trampoline_kernelINS0_14default_configENS1_27scan_by_key_config_selectorIiiEEZZNS1_16scan_by_key_implILNS1_25lookback_scan_determinismE0ELb1ES3_N6thrust23THRUST_200600_302600_NS6detail15normal_iteratorINS9_10device_ptrIiEEEENSB_INSC_IjEEEESE_iNS9_4plusIvEENS9_8equal_toIvEEiEE10hipError_tPvRmT2_T3_T4_T5_mT6_T7_P12ihipStream_tbENKUlT_T0_E_clISt17integral_constantIbLb0EES10_IbLb1EEEEDaSW_SX_EUlSW_E_NS1_11comp_targetILNS1_3genE8ELNS1_11target_archE1030ELNS1_3gpuE2ELNS1_3repE0EEENS1_30default_config_static_selectorELNS0_4arch9wavefront6targetE1EEEvT1_,@function
_ZN7rocprim17ROCPRIM_400000_NS6detail17trampoline_kernelINS0_14default_configENS1_27scan_by_key_config_selectorIiiEEZZNS1_16scan_by_key_implILNS1_25lookback_scan_determinismE0ELb1ES3_N6thrust23THRUST_200600_302600_NS6detail15normal_iteratorINS9_10device_ptrIiEEEENSB_INSC_IjEEEESE_iNS9_4plusIvEENS9_8equal_toIvEEiEE10hipError_tPvRmT2_T3_T4_T5_mT6_T7_P12ihipStream_tbENKUlT_T0_E_clISt17integral_constantIbLb0EES10_IbLb1EEEEDaSW_SX_EUlSW_E_NS1_11comp_targetILNS1_3genE8ELNS1_11target_archE1030ELNS1_3gpuE2ELNS1_3repE0EEENS1_30default_config_static_selectorELNS0_4arch9wavefront6targetE1EEEvT1_: ; @_ZN7rocprim17ROCPRIM_400000_NS6detail17trampoline_kernelINS0_14default_configENS1_27scan_by_key_config_selectorIiiEEZZNS1_16scan_by_key_implILNS1_25lookback_scan_determinismE0ELb1ES3_N6thrust23THRUST_200600_302600_NS6detail15normal_iteratorINS9_10device_ptrIiEEEENSB_INSC_IjEEEESE_iNS9_4plusIvEENS9_8equal_toIvEEiEE10hipError_tPvRmT2_T3_T4_T5_mT6_T7_P12ihipStream_tbENKUlT_T0_E_clISt17integral_constantIbLb0EES10_IbLb1EEEEDaSW_SX_EUlSW_E_NS1_11comp_targetILNS1_3genE8ELNS1_11target_archE1030ELNS1_3gpuE2ELNS1_3repE0EEENS1_30default_config_static_selectorELNS0_4arch9wavefront6targetE1EEEvT1_
; %bb.0:
	.section	.rodata,"a",@progbits
	.p2align	6, 0x0
	.amdhsa_kernel _ZN7rocprim17ROCPRIM_400000_NS6detail17trampoline_kernelINS0_14default_configENS1_27scan_by_key_config_selectorIiiEEZZNS1_16scan_by_key_implILNS1_25lookback_scan_determinismE0ELb1ES3_N6thrust23THRUST_200600_302600_NS6detail15normal_iteratorINS9_10device_ptrIiEEEENSB_INSC_IjEEEESE_iNS9_4plusIvEENS9_8equal_toIvEEiEE10hipError_tPvRmT2_T3_T4_T5_mT6_T7_P12ihipStream_tbENKUlT_T0_E_clISt17integral_constantIbLb0EES10_IbLb1EEEEDaSW_SX_EUlSW_E_NS1_11comp_targetILNS1_3genE8ELNS1_11target_archE1030ELNS1_3gpuE2ELNS1_3repE0EEENS1_30default_config_static_selectorELNS0_4arch9wavefront6targetE1EEEvT1_
		.amdhsa_group_segment_fixed_size 0
		.amdhsa_private_segment_fixed_size 0
		.amdhsa_kernarg_size 112
		.amdhsa_user_sgpr_count 2
		.amdhsa_user_sgpr_dispatch_ptr 0
		.amdhsa_user_sgpr_queue_ptr 0
		.amdhsa_user_sgpr_kernarg_segment_ptr 1
		.amdhsa_user_sgpr_dispatch_id 0
		.amdhsa_user_sgpr_kernarg_preload_length 0
		.amdhsa_user_sgpr_kernarg_preload_offset 0
		.amdhsa_user_sgpr_private_segment_size 0
		.amdhsa_uses_dynamic_stack 0
		.amdhsa_enable_private_segment 0
		.amdhsa_system_sgpr_workgroup_id_x 1
		.amdhsa_system_sgpr_workgroup_id_y 0
		.amdhsa_system_sgpr_workgroup_id_z 0
		.amdhsa_system_sgpr_workgroup_info 0
		.amdhsa_system_vgpr_workitem_id 0
		.amdhsa_next_free_vgpr 1
		.amdhsa_next_free_sgpr 0
		.amdhsa_accum_offset 4
		.amdhsa_reserve_vcc 0
		.amdhsa_float_round_mode_32 0
		.amdhsa_float_round_mode_16_64 0
		.amdhsa_float_denorm_mode_32 3
		.amdhsa_float_denorm_mode_16_64 3
		.amdhsa_dx10_clamp 1
		.amdhsa_ieee_mode 1
		.amdhsa_fp16_overflow 0
		.amdhsa_tg_split 0
		.amdhsa_exception_fp_ieee_invalid_op 0
		.amdhsa_exception_fp_denorm_src 0
		.amdhsa_exception_fp_ieee_div_zero 0
		.amdhsa_exception_fp_ieee_overflow 0
		.amdhsa_exception_fp_ieee_underflow 0
		.amdhsa_exception_fp_ieee_inexact 0
		.amdhsa_exception_int_div_zero 0
	.end_amdhsa_kernel
	.section	.text._ZN7rocprim17ROCPRIM_400000_NS6detail17trampoline_kernelINS0_14default_configENS1_27scan_by_key_config_selectorIiiEEZZNS1_16scan_by_key_implILNS1_25lookback_scan_determinismE0ELb1ES3_N6thrust23THRUST_200600_302600_NS6detail15normal_iteratorINS9_10device_ptrIiEEEENSB_INSC_IjEEEESE_iNS9_4plusIvEENS9_8equal_toIvEEiEE10hipError_tPvRmT2_T3_T4_T5_mT6_T7_P12ihipStream_tbENKUlT_T0_E_clISt17integral_constantIbLb0EES10_IbLb1EEEEDaSW_SX_EUlSW_E_NS1_11comp_targetILNS1_3genE8ELNS1_11target_archE1030ELNS1_3gpuE2ELNS1_3repE0EEENS1_30default_config_static_selectorELNS0_4arch9wavefront6targetE1EEEvT1_,"axG",@progbits,_ZN7rocprim17ROCPRIM_400000_NS6detail17trampoline_kernelINS0_14default_configENS1_27scan_by_key_config_selectorIiiEEZZNS1_16scan_by_key_implILNS1_25lookback_scan_determinismE0ELb1ES3_N6thrust23THRUST_200600_302600_NS6detail15normal_iteratorINS9_10device_ptrIiEEEENSB_INSC_IjEEEESE_iNS9_4plusIvEENS9_8equal_toIvEEiEE10hipError_tPvRmT2_T3_T4_T5_mT6_T7_P12ihipStream_tbENKUlT_T0_E_clISt17integral_constantIbLb0EES10_IbLb1EEEEDaSW_SX_EUlSW_E_NS1_11comp_targetILNS1_3genE8ELNS1_11target_archE1030ELNS1_3gpuE2ELNS1_3repE0EEENS1_30default_config_static_selectorELNS0_4arch9wavefront6targetE1EEEvT1_,comdat
.Lfunc_end1787:
	.size	_ZN7rocprim17ROCPRIM_400000_NS6detail17trampoline_kernelINS0_14default_configENS1_27scan_by_key_config_selectorIiiEEZZNS1_16scan_by_key_implILNS1_25lookback_scan_determinismE0ELb1ES3_N6thrust23THRUST_200600_302600_NS6detail15normal_iteratorINS9_10device_ptrIiEEEENSB_INSC_IjEEEESE_iNS9_4plusIvEENS9_8equal_toIvEEiEE10hipError_tPvRmT2_T3_T4_T5_mT6_T7_P12ihipStream_tbENKUlT_T0_E_clISt17integral_constantIbLb0EES10_IbLb1EEEEDaSW_SX_EUlSW_E_NS1_11comp_targetILNS1_3genE8ELNS1_11target_archE1030ELNS1_3gpuE2ELNS1_3repE0EEENS1_30default_config_static_selectorELNS0_4arch9wavefront6targetE1EEEvT1_, .Lfunc_end1787-_ZN7rocprim17ROCPRIM_400000_NS6detail17trampoline_kernelINS0_14default_configENS1_27scan_by_key_config_selectorIiiEEZZNS1_16scan_by_key_implILNS1_25lookback_scan_determinismE0ELb1ES3_N6thrust23THRUST_200600_302600_NS6detail15normal_iteratorINS9_10device_ptrIiEEEENSB_INSC_IjEEEESE_iNS9_4plusIvEENS9_8equal_toIvEEiEE10hipError_tPvRmT2_T3_T4_T5_mT6_T7_P12ihipStream_tbENKUlT_T0_E_clISt17integral_constantIbLb0EES10_IbLb1EEEEDaSW_SX_EUlSW_E_NS1_11comp_targetILNS1_3genE8ELNS1_11target_archE1030ELNS1_3gpuE2ELNS1_3repE0EEENS1_30default_config_static_selectorELNS0_4arch9wavefront6targetE1EEEvT1_
                                        ; -- End function
	.section	.AMDGPU.csdata,"",@progbits
; Kernel info:
; codeLenInByte = 0
; NumSgprs: 6
; NumVgprs: 0
; NumAgprs: 0
; TotalNumVgprs: 0
; ScratchSize: 0
; MemoryBound: 0
; FloatMode: 240
; IeeeMode: 1
; LDSByteSize: 0 bytes/workgroup (compile time only)
; SGPRBlocks: 0
; VGPRBlocks: 0
; NumSGPRsForWavesPerEU: 6
; NumVGPRsForWavesPerEU: 1
; AccumOffset: 4
; Occupancy: 8
; WaveLimiterHint : 0
; COMPUTE_PGM_RSRC2:SCRATCH_EN: 0
; COMPUTE_PGM_RSRC2:USER_SGPR: 2
; COMPUTE_PGM_RSRC2:TRAP_HANDLER: 0
; COMPUTE_PGM_RSRC2:TGID_X_EN: 1
; COMPUTE_PGM_RSRC2:TGID_Y_EN: 0
; COMPUTE_PGM_RSRC2:TGID_Z_EN: 0
; COMPUTE_PGM_RSRC2:TIDIG_COMP_CNT: 0
; COMPUTE_PGM_RSRC3_GFX90A:ACCUM_OFFSET: 0
; COMPUTE_PGM_RSRC3_GFX90A:TG_SPLIT: 0
	.section	.text._ZN7rocprim17ROCPRIM_400000_NS6detail17trampoline_kernelINS0_14default_configENS1_27scan_by_key_config_selectorIifEEZZNS1_16scan_by_key_implILNS1_25lookback_scan_determinismE0ELb1ES3_N6thrust23THRUST_200600_302600_NS6detail15normal_iteratorINS9_10device_ptrIiEEEENSB_INSC_IjEEEESE_fNS9_4plusIvEENS9_8equal_toIvEEfEE10hipError_tPvRmT2_T3_T4_T5_mT6_T7_P12ihipStream_tbENKUlT_T0_E_clISt17integral_constantIbLb0EES11_EEDaSW_SX_EUlSW_E_NS1_11comp_targetILNS1_3genE0ELNS1_11target_archE4294967295ELNS1_3gpuE0ELNS1_3repE0EEENS1_30default_config_static_selectorELNS0_4arch9wavefront6targetE1EEEvT1_,"axG",@progbits,_ZN7rocprim17ROCPRIM_400000_NS6detail17trampoline_kernelINS0_14default_configENS1_27scan_by_key_config_selectorIifEEZZNS1_16scan_by_key_implILNS1_25lookback_scan_determinismE0ELb1ES3_N6thrust23THRUST_200600_302600_NS6detail15normal_iteratorINS9_10device_ptrIiEEEENSB_INSC_IjEEEESE_fNS9_4plusIvEENS9_8equal_toIvEEfEE10hipError_tPvRmT2_T3_T4_T5_mT6_T7_P12ihipStream_tbENKUlT_T0_E_clISt17integral_constantIbLb0EES11_EEDaSW_SX_EUlSW_E_NS1_11comp_targetILNS1_3genE0ELNS1_11target_archE4294967295ELNS1_3gpuE0ELNS1_3repE0EEENS1_30default_config_static_selectorELNS0_4arch9wavefront6targetE1EEEvT1_,comdat
	.protected	_ZN7rocprim17ROCPRIM_400000_NS6detail17trampoline_kernelINS0_14default_configENS1_27scan_by_key_config_selectorIifEEZZNS1_16scan_by_key_implILNS1_25lookback_scan_determinismE0ELb1ES3_N6thrust23THRUST_200600_302600_NS6detail15normal_iteratorINS9_10device_ptrIiEEEENSB_INSC_IjEEEESE_fNS9_4plusIvEENS9_8equal_toIvEEfEE10hipError_tPvRmT2_T3_T4_T5_mT6_T7_P12ihipStream_tbENKUlT_T0_E_clISt17integral_constantIbLb0EES11_EEDaSW_SX_EUlSW_E_NS1_11comp_targetILNS1_3genE0ELNS1_11target_archE4294967295ELNS1_3gpuE0ELNS1_3repE0EEENS1_30default_config_static_selectorELNS0_4arch9wavefront6targetE1EEEvT1_ ; -- Begin function _ZN7rocprim17ROCPRIM_400000_NS6detail17trampoline_kernelINS0_14default_configENS1_27scan_by_key_config_selectorIifEEZZNS1_16scan_by_key_implILNS1_25lookback_scan_determinismE0ELb1ES3_N6thrust23THRUST_200600_302600_NS6detail15normal_iteratorINS9_10device_ptrIiEEEENSB_INSC_IjEEEESE_fNS9_4plusIvEENS9_8equal_toIvEEfEE10hipError_tPvRmT2_T3_T4_T5_mT6_T7_P12ihipStream_tbENKUlT_T0_E_clISt17integral_constantIbLb0EES11_EEDaSW_SX_EUlSW_E_NS1_11comp_targetILNS1_3genE0ELNS1_11target_archE4294967295ELNS1_3gpuE0ELNS1_3repE0EEENS1_30default_config_static_selectorELNS0_4arch9wavefront6targetE1EEEvT1_
	.globl	_ZN7rocprim17ROCPRIM_400000_NS6detail17trampoline_kernelINS0_14default_configENS1_27scan_by_key_config_selectorIifEEZZNS1_16scan_by_key_implILNS1_25lookback_scan_determinismE0ELb1ES3_N6thrust23THRUST_200600_302600_NS6detail15normal_iteratorINS9_10device_ptrIiEEEENSB_INSC_IjEEEESE_fNS9_4plusIvEENS9_8equal_toIvEEfEE10hipError_tPvRmT2_T3_T4_T5_mT6_T7_P12ihipStream_tbENKUlT_T0_E_clISt17integral_constantIbLb0EES11_EEDaSW_SX_EUlSW_E_NS1_11comp_targetILNS1_3genE0ELNS1_11target_archE4294967295ELNS1_3gpuE0ELNS1_3repE0EEENS1_30default_config_static_selectorELNS0_4arch9wavefront6targetE1EEEvT1_
	.p2align	8
	.type	_ZN7rocprim17ROCPRIM_400000_NS6detail17trampoline_kernelINS0_14default_configENS1_27scan_by_key_config_selectorIifEEZZNS1_16scan_by_key_implILNS1_25lookback_scan_determinismE0ELb1ES3_N6thrust23THRUST_200600_302600_NS6detail15normal_iteratorINS9_10device_ptrIiEEEENSB_INSC_IjEEEESE_fNS9_4plusIvEENS9_8equal_toIvEEfEE10hipError_tPvRmT2_T3_T4_T5_mT6_T7_P12ihipStream_tbENKUlT_T0_E_clISt17integral_constantIbLb0EES11_EEDaSW_SX_EUlSW_E_NS1_11comp_targetILNS1_3genE0ELNS1_11target_archE4294967295ELNS1_3gpuE0ELNS1_3repE0EEENS1_30default_config_static_selectorELNS0_4arch9wavefront6targetE1EEEvT1_,@function
_ZN7rocprim17ROCPRIM_400000_NS6detail17trampoline_kernelINS0_14default_configENS1_27scan_by_key_config_selectorIifEEZZNS1_16scan_by_key_implILNS1_25lookback_scan_determinismE0ELb1ES3_N6thrust23THRUST_200600_302600_NS6detail15normal_iteratorINS9_10device_ptrIiEEEENSB_INSC_IjEEEESE_fNS9_4plusIvEENS9_8equal_toIvEEfEE10hipError_tPvRmT2_T3_T4_T5_mT6_T7_P12ihipStream_tbENKUlT_T0_E_clISt17integral_constantIbLb0EES11_EEDaSW_SX_EUlSW_E_NS1_11comp_targetILNS1_3genE0ELNS1_11target_archE4294967295ELNS1_3gpuE0ELNS1_3repE0EEENS1_30default_config_static_selectorELNS0_4arch9wavefront6targetE1EEEvT1_: ; @_ZN7rocprim17ROCPRIM_400000_NS6detail17trampoline_kernelINS0_14default_configENS1_27scan_by_key_config_selectorIifEEZZNS1_16scan_by_key_implILNS1_25lookback_scan_determinismE0ELb1ES3_N6thrust23THRUST_200600_302600_NS6detail15normal_iteratorINS9_10device_ptrIiEEEENSB_INSC_IjEEEESE_fNS9_4plusIvEENS9_8equal_toIvEEfEE10hipError_tPvRmT2_T3_T4_T5_mT6_T7_P12ihipStream_tbENKUlT_T0_E_clISt17integral_constantIbLb0EES11_EEDaSW_SX_EUlSW_E_NS1_11comp_targetILNS1_3genE0ELNS1_11target_archE4294967295ELNS1_3gpuE0ELNS1_3repE0EEENS1_30default_config_static_selectorELNS0_4arch9wavefront6targetE1EEEvT1_
; %bb.0:
	.section	.rodata,"a",@progbits
	.p2align	6, 0x0
	.amdhsa_kernel _ZN7rocprim17ROCPRIM_400000_NS6detail17trampoline_kernelINS0_14default_configENS1_27scan_by_key_config_selectorIifEEZZNS1_16scan_by_key_implILNS1_25lookback_scan_determinismE0ELb1ES3_N6thrust23THRUST_200600_302600_NS6detail15normal_iteratorINS9_10device_ptrIiEEEENSB_INSC_IjEEEESE_fNS9_4plusIvEENS9_8equal_toIvEEfEE10hipError_tPvRmT2_T3_T4_T5_mT6_T7_P12ihipStream_tbENKUlT_T0_E_clISt17integral_constantIbLb0EES11_EEDaSW_SX_EUlSW_E_NS1_11comp_targetILNS1_3genE0ELNS1_11target_archE4294967295ELNS1_3gpuE0ELNS1_3repE0EEENS1_30default_config_static_selectorELNS0_4arch9wavefront6targetE1EEEvT1_
		.amdhsa_group_segment_fixed_size 0
		.amdhsa_private_segment_fixed_size 0
		.amdhsa_kernarg_size 112
		.amdhsa_user_sgpr_count 2
		.amdhsa_user_sgpr_dispatch_ptr 0
		.amdhsa_user_sgpr_queue_ptr 0
		.amdhsa_user_sgpr_kernarg_segment_ptr 1
		.amdhsa_user_sgpr_dispatch_id 0
		.amdhsa_user_sgpr_kernarg_preload_length 0
		.amdhsa_user_sgpr_kernarg_preload_offset 0
		.amdhsa_user_sgpr_private_segment_size 0
		.amdhsa_uses_dynamic_stack 0
		.amdhsa_enable_private_segment 0
		.amdhsa_system_sgpr_workgroup_id_x 1
		.amdhsa_system_sgpr_workgroup_id_y 0
		.amdhsa_system_sgpr_workgroup_id_z 0
		.amdhsa_system_sgpr_workgroup_info 0
		.amdhsa_system_vgpr_workitem_id 0
		.amdhsa_next_free_vgpr 1
		.amdhsa_next_free_sgpr 0
		.amdhsa_accum_offset 4
		.amdhsa_reserve_vcc 0
		.amdhsa_float_round_mode_32 0
		.amdhsa_float_round_mode_16_64 0
		.amdhsa_float_denorm_mode_32 3
		.amdhsa_float_denorm_mode_16_64 3
		.amdhsa_dx10_clamp 1
		.amdhsa_ieee_mode 1
		.amdhsa_fp16_overflow 0
		.amdhsa_tg_split 0
		.amdhsa_exception_fp_ieee_invalid_op 0
		.amdhsa_exception_fp_denorm_src 0
		.amdhsa_exception_fp_ieee_div_zero 0
		.amdhsa_exception_fp_ieee_overflow 0
		.amdhsa_exception_fp_ieee_underflow 0
		.amdhsa_exception_fp_ieee_inexact 0
		.amdhsa_exception_int_div_zero 0
	.end_amdhsa_kernel
	.section	.text._ZN7rocprim17ROCPRIM_400000_NS6detail17trampoline_kernelINS0_14default_configENS1_27scan_by_key_config_selectorIifEEZZNS1_16scan_by_key_implILNS1_25lookback_scan_determinismE0ELb1ES3_N6thrust23THRUST_200600_302600_NS6detail15normal_iteratorINS9_10device_ptrIiEEEENSB_INSC_IjEEEESE_fNS9_4plusIvEENS9_8equal_toIvEEfEE10hipError_tPvRmT2_T3_T4_T5_mT6_T7_P12ihipStream_tbENKUlT_T0_E_clISt17integral_constantIbLb0EES11_EEDaSW_SX_EUlSW_E_NS1_11comp_targetILNS1_3genE0ELNS1_11target_archE4294967295ELNS1_3gpuE0ELNS1_3repE0EEENS1_30default_config_static_selectorELNS0_4arch9wavefront6targetE1EEEvT1_,"axG",@progbits,_ZN7rocprim17ROCPRIM_400000_NS6detail17trampoline_kernelINS0_14default_configENS1_27scan_by_key_config_selectorIifEEZZNS1_16scan_by_key_implILNS1_25lookback_scan_determinismE0ELb1ES3_N6thrust23THRUST_200600_302600_NS6detail15normal_iteratorINS9_10device_ptrIiEEEENSB_INSC_IjEEEESE_fNS9_4plusIvEENS9_8equal_toIvEEfEE10hipError_tPvRmT2_T3_T4_T5_mT6_T7_P12ihipStream_tbENKUlT_T0_E_clISt17integral_constantIbLb0EES11_EEDaSW_SX_EUlSW_E_NS1_11comp_targetILNS1_3genE0ELNS1_11target_archE4294967295ELNS1_3gpuE0ELNS1_3repE0EEENS1_30default_config_static_selectorELNS0_4arch9wavefront6targetE1EEEvT1_,comdat
.Lfunc_end1788:
	.size	_ZN7rocprim17ROCPRIM_400000_NS6detail17trampoline_kernelINS0_14default_configENS1_27scan_by_key_config_selectorIifEEZZNS1_16scan_by_key_implILNS1_25lookback_scan_determinismE0ELb1ES3_N6thrust23THRUST_200600_302600_NS6detail15normal_iteratorINS9_10device_ptrIiEEEENSB_INSC_IjEEEESE_fNS9_4plusIvEENS9_8equal_toIvEEfEE10hipError_tPvRmT2_T3_T4_T5_mT6_T7_P12ihipStream_tbENKUlT_T0_E_clISt17integral_constantIbLb0EES11_EEDaSW_SX_EUlSW_E_NS1_11comp_targetILNS1_3genE0ELNS1_11target_archE4294967295ELNS1_3gpuE0ELNS1_3repE0EEENS1_30default_config_static_selectorELNS0_4arch9wavefront6targetE1EEEvT1_, .Lfunc_end1788-_ZN7rocprim17ROCPRIM_400000_NS6detail17trampoline_kernelINS0_14default_configENS1_27scan_by_key_config_selectorIifEEZZNS1_16scan_by_key_implILNS1_25lookback_scan_determinismE0ELb1ES3_N6thrust23THRUST_200600_302600_NS6detail15normal_iteratorINS9_10device_ptrIiEEEENSB_INSC_IjEEEESE_fNS9_4plusIvEENS9_8equal_toIvEEfEE10hipError_tPvRmT2_T3_T4_T5_mT6_T7_P12ihipStream_tbENKUlT_T0_E_clISt17integral_constantIbLb0EES11_EEDaSW_SX_EUlSW_E_NS1_11comp_targetILNS1_3genE0ELNS1_11target_archE4294967295ELNS1_3gpuE0ELNS1_3repE0EEENS1_30default_config_static_selectorELNS0_4arch9wavefront6targetE1EEEvT1_
                                        ; -- End function
	.section	.AMDGPU.csdata,"",@progbits
; Kernel info:
; codeLenInByte = 0
; NumSgprs: 6
; NumVgprs: 0
; NumAgprs: 0
; TotalNumVgprs: 0
; ScratchSize: 0
; MemoryBound: 0
; FloatMode: 240
; IeeeMode: 1
; LDSByteSize: 0 bytes/workgroup (compile time only)
; SGPRBlocks: 0
; VGPRBlocks: 0
; NumSGPRsForWavesPerEU: 6
; NumVGPRsForWavesPerEU: 1
; AccumOffset: 4
; Occupancy: 8
; WaveLimiterHint : 0
; COMPUTE_PGM_RSRC2:SCRATCH_EN: 0
; COMPUTE_PGM_RSRC2:USER_SGPR: 2
; COMPUTE_PGM_RSRC2:TRAP_HANDLER: 0
; COMPUTE_PGM_RSRC2:TGID_X_EN: 1
; COMPUTE_PGM_RSRC2:TGID_Y_EN: 0
; COMPUTE_PGM_RSRC2:TGID_Z_EN: 0
; COMPUTE_PGM_RSRC2:TIDIG_COMP_CNT: 0
; COMPUTE_PGM_RSRC3_GFX90A:ACCUM_OFFSET: 0
; COMPUTE_PGM_RSRC3_GFX90A:TG_SPLIT: 0
	.section	.text._ZN7rocprim17ROCPRIM_400000_NS6detail17trampoline_kernelINS0_14default_configENS1_27scan_by_key_config_selectorIifEEZZNS1_16scan_by_key_implILNS1_25lookback_scan_determinismE0ELb1ES3_N6thrust23THRUST_200600_302600_NS6detail15normal_iteratorINS9_10device_ptrIiEEEENSB_INSC_IjEEEESE_fNS9_4plusIvEENS9_8equal_toIvEEfEE10hipError_tPvRmT2_T3_T4_T5_mT6_T7_P12ihipStream_tbENKUlT_T0_E_clISt17integral_constantIbLb0EES11_EEDaSW_SX_EUlSW_E_NS1_11comp_targetILNS1_3genE10ELNS1_11target_archE1201ELNS1_3gpuE5ELNS1_3repE0EEENS1_30default_config_static_selectorELNS0_4arch9wavefront6targetE1EEEvT1_,"axG",@progbits,_ZN7rocprim17ROCPRIM_400000_NS6detail17trampoline_kernelINS0_14default_configENS1_27scan_by_key_config_selectorIifEEZZNS1_16scan_by_key_implILNS1_25lookback_scan_determinismE0ELb1ES3_N6thrust23THRUST_200600_302600_NS6detail15normal_iteratorINS9_10device_ptrIiEEEENSB_INSC_IjEEEESE_fNS9_4plusIvEENS9_8equal_toIvEEfEE10hipError_tPvRmT2_T3_T4_T5_mT6_T7_P12ihipStream_tbENKUlT_T0_E_clISt17integral_constantIbLb0EES11_EEDaSW_SX_EUlSW_E_NS1_11comp_targetILNS1_3genE10ELNS1_11target_archE1201ELNS1_3gpuE5ELNS1_3repE0EEENS1_30default_config_static_selectorELNS0_4arch9wavefront6targetE1EEEvT1_,comdat
	.protected	_ZN7rocprim17ROCPRIM_400000_NS6detail17trampoline_kernelINS0_14default_configENS1_27scan_by_key_config_selectorIifEEZZNS1_16scan_by_key_implILNS1_25lookback_scan_determinismE0ELb1ES3_N6thrust23THRUST_200600_302600_NS6detail15normal_iteratorINS9_10device_ptrIiEEEENSB_INSC_IjEEEESE_fNS9_4plusIvEENS9_8equal_toIvEEfEE10hipError_tPvRmT2_T3_T4_T5_mT6_T7_P12ihipStream_tbENKUlT_T0_E_clISt17integral_constantIbLb0EES11_EEDaSW_SX_EUlSW_E_NS1_11comp_targetILNS1_3genE10ELNS1_11target_archE1201ELNS1_3gpuE5ELNS1_3repE0EEENS1_30default_config_static_selectorELNS0_4arch9wavefront6targetE1EEEvT1_ ; -- Begin function _ZN7rocprim17ROCPRIM_400000_NS6detail17trampoline_kernelINS0_14default_configENS1_27scan_by_key_config_selectorIifEEZZNS1_16scan_by_key_implILNS1_25lookback_scan_determinismE0ELb1ES3_N6thrust23THRUST_200600_302600_NS6detail15normal_iteratorINS9_10device_ptrIiEEEENSB_INSC_IjEEEESE_fNS9_4plusIvEENS9_8equal_toIvEEfEE10hipError_tPvRmT2_T3_T4_T5_mT6_T7_P12ihipStream_tbENKUlT_T0_E_clISt17integral_constantIbLb0EES11_EEDaSW_SX_EUlSW_E_NS1_11comp_targetILNS1_3genE10ELNS1_11target_archE1201ELNS1_3gpuE5ELNS1_3repE0EEENS1_30default_config_static_selectorELNS0_4arch9wavefront6targetE1EEEvT1_
	.globl	_ZN7rocprim17ROCPRIM_400000_NS6detail17trampoline_kernelINS0_14default_configENS1_27scan_by_key_config_selectorIifEEZZNS1_16scan_by_key_implILNS1_25lookback_scan_determinismE0ELb1ES3_N6thrust23THRUST_200600_302600_NS6detail15normal_iteratorINS9_10device_ptrIiEEEENSB_INSC_IjEEEESE_fNS9_4plusIvEENS9_8equal_toIvEEfEE10hipError_tPvRmT2_T3_T4_T5_mT6_T7_P12ihipStream_tbENKUlT_T0_E_clISt17integral_constantIbLb0EES11_EEDaSW_SX_EUlSW_E_NS1_11comp_targetILNS1_3genE10ELNS1_11target_archE1201ELNS1_3gpuE5ELNS1_3repE0EEENS1_30default_config_static_selectorELNS0_4arch9wavefront6targetE1EEEvT1_
	.p2align	8
	.type	_ZN7rocprim17ROCPRIM_400000_NS6detail17trampoline_kernelINS0_14default_configENS1_27scan_by_key_config_selectorIifEEZZNS1_16scan_by_key_implILNS1_25lookback_scan_determinismE0ELb1ES3_N6thrust23THRUST_200600_302600_NS6detail15normal_iteratorINS9_10device_ptrIiEEEENSB_INSC_IjEEEESE_fNS9_4plusIvEENS9_8equal_toIvEEfEE10hipError_tPvRmT2_T3_T4_T5_mT6_T7_P12ihipStream_tbENKUlT_T0_E_clISt17integral_constantIbLb0EES11_EEDaSW_SX_EUlSW_E_NS1_11comp_targetILNS1_3genE10ELNS1_11target_archE1201ELNS1_3gpuE5ELNS1_3repE0EEENS1_30default_config_static_selectorELNS0_4arch9wavefront6targetE1EEEvT1_,@function
_ZN7rocprim17ROCPRIM_400000_NS6detail17trampoline_kernelINS0_14default_configENS1_27scan_by_key_config_selectorIifEEZZNS1_16scan_by_key_implILNS1_25lookback_scan_determinismE0ELb1ES3_N6thrust23THRUST_200600_302600_NS6detail15normal_iteratorINS9_10device_ptrIiEEEENSB_INSC_IjEEEESE_fNS9_4plusIvEENS9_8equal_toIvEEfEE10hipError_tPvRmT2_T3_T4_T5_mT6_T7_P12ihipStream_tbENKUlT_T0_E_clISt17integral_constantIbLb0EES11_EEDaSW_SX_EUlSW_E_NS1_11comp_targetILNS1_3genE10ELNS1_11target_archE1201ELNS1_3gpuE5ELNS1_3repE0EEENS1_30default_config_static_selectorELNS0_4arch9wavefront6targetE1EEEvT1_: ; @_ZN7rocprim17ROCPRIM_400000_NS6detail17trampoline_kernelINS0_14default_configENS1_27scan_by_key_config_selectorIifEEZZNS1_16scan_by_key_implILNS1_25lookback_scan_determinismE0ELb1ES3_N6thrust23THRUST_200600_302600_NS6detail15normal_iteratorINS9_10device_ptrIiEEEENSB_INSC_IjEEEESE_fNS9_4plusIvEENS9_8equal_toIvEEfEE10hipError_tPvRmT2_T3_T4_T5_mT6_T7_P12ihipStream_tbENKUlT_T0_E_clISt17integral_constantIbLb0EES11_EEDaSW_SX_EUlSW_E_NS1_11comp_targetILNS1_3genE10ELNS1_11target_archE1201ELNS1_3gpuE5ELNS1_3repE0EEENS1_30default_config_static_selectorELNS0_4arch9wavefront6targetE1EEEvT1_
; %bb.0:
	.section	.rodata,"a",@progbits
	.p2align	6, 0x0
	.amdhsa_kernel _ZN7rocprim17ROCPRIM_400000_NS6detail17trampoline_kernelINS0_14default_configENS1_27scan_by_key_config_selectorIifEEZZNS1_16scan_by_key_implILNS1_25lookback_scan_determinismE0ELb1ES3_N6thrust23THRUST_200600_302600_NS6detail15normal_iteratorINS9_10device_ptrIiEEEENSB_INSC_IjEEEESE_fNS9_4plusIvEENS9_8equal_toIvEEfEE10hipError_tPvRmT2_T3_T4_T5_mT6_T7_P12ihipStream_tbENKUlT_T0_E_clISt17integral_constantIbLb0EES11_EEDaSW_SX_EUlSW_E_NS1_11comp_targetILNS1_3genE10ELNS1_11target_archE1201ELNS1_3gpuE5ELNS1_3repE0EEENS1_30default_config_static_selectorELNS0_4arch9wavefront6targetE1EEEvT1_
		.amdhsa_group_segment_fixed_size 0
		.amdhsa_private_segment_fixed_size 0
		.amdhsa_kernarg_size 112
		.amdhsa_user_sgpr_count 2
		.amdhsa_user_sgpr_dispatch_ptr 0
		.amdhsa_user_sgpr_queue_ptr 0
		.amdhsa_user_sgpr_kernarg_segment_ptr 1
		.amdhsa_user_sgpr_dispatch_id 0
		.amdhsa_user_sgpr_kernarg_preload_length 0
		.amdhsa_user_sgpr_kernarg_preload_offset 0
		.amdhsa_user_sgpr_private_segment_size 0
		.amdhsa_uses_dynamic_stack 0
		.amdhsa_enable_private_segment 0
		.amdhsa_system_sgpr_workgroup_id_x 1
		.amdhsa_system_sgpr_workgroup_id_y 0
		.amdhsa_system_sgpr_workgroup_id_z 0
		.amdhsa_system_sgpr_workgroup_info 0
		.amdhsa_system_vgpr_workitem_id 0
		.amdhsa_next_free_vgpr 1
		.amdhsa_next_free_sgpr 0
		.amdhsa_accum_offset 4
		.amdhsa_reserve_vcc 0
		.amdhsa_float_round_mode_32 0
		.amdhsa_float_round_mode_16_64 0
		.amdhsa_float_denorm_mode_32 3
		.amdhsa_float_denorm_mode_16_64 3
		.amdhsa_dx10_clamp 1
		.amdhsa_ieee_mode 1
		.amdhsa_fp16_overflow 0
		.amdhsa_tg_split 0
		.amdhsa_exception_fp_ieee_invalid_op 0
		.amdhsa_exception_fp_denorm_src 0
		.amdhsa_exception_fp_ieee_div_zero 0
		.amdhsa_exception_fp_ieee_overflow 0
		.amdhsa_exception_fp_ieee_underflow 0
		.amdhsa_exception_fp_ieee_inexact 0
		.amdhsa_exception_int_div_zero 0
	.end_amdhsa_kernel
	.section	.text._ZN7rocprim17ROCPRIM_400000_NS6detail17trampoline_kernelINS0_14default_configENS1_27scan_by_key_config_selectorIifEEZZNS1_16scan_by_key_implILNS1_25lookback_scan_determinismE0ELb1ES3_N6thrust23THRUST_200600_302600_NS6detail15normal_iteratorINS9_10device_ptrIiEEEENSB_INSC_IjEEEESE_fNS9_4plusIvEENS9_8equal_toIvEEfEE10hipError_tPvRmT2_T3_T4_T5_mT6_T7_P12ihipStream_tbENKUlT_T0_E_clISt17integral_constantIbLb0EES11_EEDaSW_SX_EUlSW_E_NS1_11comp_targetILNS1_3genE10ELNS1_11target_archE1201ELNS1_3gpuE5ELNS1_3repE0EEENS1_30default_config_static_selectorELNS0_4arch9wavefront6targetE1EEEvT1_,"axG",@progbits,_ZN7rocprim17ROCPRIM_400000_NS6detail17trampoline_kernelINS0_14default_configENS1_27scan_by_key_config_selectorIifEEZZNS1_16scan_by_key_implILNS1_25lookback_scan_determinismE0ELb1ES3_N6thrust23THRUST_200600_302600_NS6detail15normal_iteratorINS9_10device_ptrIiEEEENSB_INSC_IjEEEESE_fNS9_4plusIvEENS9_8equal_toIvEEfEE10hipError_tPvRmT2_T3_T4_T5_mT6_T7_P12ihipStream_tbENKUlT_T0_E_clISt17integral_constantIbLb0EES11_EEDaSW_SX_EUlSW_E_NS1_11comp_targetILNS1_3genE10ELNS1_11target_archE1201ELNS1_3gpuE5ELNS1_3repE0EEENS1_30default_config_static_selectorELNS0_4arch9wavefront6targetE1EEEvT1_,comdat
.Lfunc_end1789:
	.size	_ZN7rocprim17ROCPRIM_400000_NS6detail17trampoline_kernelINS0_14default_configENS1_27scan_by_key_config_selectorIifEEZZNS1_16scan_by_key_implILNS1_25lookback_scan_determinismE0ELb1ES3_N6thrust23THRUST_200600_302600_NS6detail15normal_iteratorINS9_10device_ptrIiEEEENSB_INSC_IjEEEESE_fNS9_4plusIvEENS9_8equal_toIvEEfEE10hipError_tPvRmT2_T3_T4_T5_mT6_T7_P12ihipStream_tbENKUlT_T0_E_clISt17integral_constantIbLb0EES11_EEDaSW_SX_EUlSW_E_NS1_11comp_targetILNS1_3genE10ELNS1_11target_archE1201ELNS1_3gpuE5ELNS1_3repE0EEENS1_30default_config_static_selectorELNS0_4arch9wavefront6targetE1EEEvT1_, .Lfunc_end1789-_ZN7rocprim17ROCPRIM_400000_NS6detail17trampoline_kernelINS0_14default_configENS1_27scan_by_key_config_selectorIifEEZZNS1_16scan_by_key_implILNS1_25lookback_scan_determinismE0ELb1ES3_N6thrust23THRUST_200600_302600_NS6detail15normal_iteratorINS9_10device_ptrIiEEEENSB_INSC_IjEEEESE_fNS9_4plusIvEENS9_8equal_toIvEEfEE10hipError_tPvRmT2_T3_T4_T5_mT6_T7_P12ihipStream_tbENKUlT_T0_E_clISt17integral_constantIbLb0EES11_EEDaSW_SX_EUlSW_E_NS1_11comp_targetILNS1_3genE10ELNS1_11target_archE1201ELNS1_3gpuE5ELNS1_3repE0EEENS1_30default_config_static_selectorELNS0_4arch9wavefront6targetE1EEEvT1_
                                        ; -- End function
	.section	.AMDGPU.csdata,"",@progbits
; Kernel info:
; codeLenInByte = 0
; NumSgprs: 6
; NumVgprs: 0
; NumAgprs: 0
; TotalNumVgprs: 0
; ScratchSize: 0
; MemoryBound: 0
; FloatMode: 240
; IeeeMode: 1
; LDSByteSize: 0 bytes/workgroup (compile time only)
; SGPRBlocks: 0
; VGPRBlocks: 0
; NumSGPRsForWavesPerEU: 6
; NumVGPRsForWavesPerEU: 1
; AccumOffset: 4
; Occupancy: 8
; WaveLimiterHint : 0
; COMPUTE_PGM_RSRC2:SCRATCH_EN: 0
; COMPUTE_PGM_RSRC2:USER_SGPR: 2
; COMPUTE_PGM_RSRC2:TRAP_HANDLER: 0
; COMPUTE_PGM_RSRC2:TGID_X_EN: 1
; COMPUTE_PGM_RSRC2:TGID_Y_EN: 0
; COMPUTE_PGM_RSRC2:TGID_Z_EN: 0
; COMPUTE_PGM_RSRC2:TIDIG_COMP_CNT: 0
; COMPUTE_PGM_RSRC3_GFX90A:ACCUM_OFFSET: 0
; COMPUTE_PGM_RSRC3_GFX90A:TG_SPLIT: 0
	.section	.text._ZN7rocprim17ROCPRIM_400000_NS6detail17trampoline_kernelINS0_14default_configENS1_27scan_by_key_config_selectorIifEEZZNS1_16scan_by_key_implILNS1_25lookback_scan_determinismE0ELb1ES3_N6thrust23THRUST_200600_302600_NS6detail15normal_iteratorINS9_10device_ptrIiEEEENSB_INSC_IjEEEESE_fNS9_4plusIvEENS9_8equal_toIvEEfEE10hipError_tPvRmT2_T3_T4_T5_mT6_T7_P12ihipStream_tbENKUlT_T0_E_clISt17integral_constantIbLb0EES11_EEDaSW_SX_EUlSW_E_NS1_11comp_targetILNS1_3genE5ELNS1_11target_archE942ELNS1_3gpuE9ELNS1_3repE0EEENS1_30default_config_static_selectorELNS0_4arch9wavefront6targetE1EEEvT1_,"axG",@progbits,_ZN7rocprim17ROCPRIM_400000_NS6detail17trampoline_kernelINS0_14default_configENS1_27scan_by_key_config_selectorIifEEZZNS1_16scan_by_key_implILNS1_25lookback_scan_determinismE0ELb1ES3_N6thrust23THRUST_200600_302600_NS6detail15normal_iteratorINS9_10device_ptrIiEEEENSB_INSC_IjEEEESE_fNS9_4plusIvEENS9_8equal_toIvEEfEE10hipError_tPvRmT2_T3_T4_T5_mT6_T7_P12ihipStream_tbENKUlT_T0_E_clISt17integral_constantIbLb0EES11_EEDaSW_SX_EUlSW_E_NS1_11comp_targetILNS1_3genE5ELNS1_11target_archE942ELNS1_3gpuE9ELNS1_3repE0EEENS1_30default_config_static_selectorELNS0_4arch9wavefront6targetE1EEEvT1_,comdat
	.protected	_ZN7rocprim17ROCPRIM_400000_NS6detail17trampoline_kernelINS0_14default_configENS1_27scan_by_key_config_selectorIifEEZZNS1_16scan_by_key_implILNS1_25lookback_scan_determinismE0ELb1ES3_N6thrust23THRUST_200600_302600_NS6detail15normal_iteratorINS9_10device_ptrIiEEEENSB_INSC_IjEEEESE_fNS9_4plusIvEENS9_8equal_toIvEEfEE10hipError_tPvRmT2_T3_T4_T5_mT6_T7_P12ihipStream_tbENKUlT_T0_E_clISt17integral_constantIbLb0EES11_EEDaSW_SX_EUlSW_E_NS1_11comp_targetILNS1_3genE5ELNS1_11target_archE942ELNS1_3gpuE9ELNS1_3repE0EEENS1_30default_config_static_selectorELNS0_4arch9wavefront6targetE1EEEvT1_ ; -- Begin function _ZN7rocprim17ROCPRIM_400000_NS6detail17trampoline_kernelINS0_14default_configENS1_27scan_by_key_config_selectorIifEEZZNS1_16scan_by_key_implILNS1_25lookback_scan_determinismE0ELb1ES3_N6thrust23THRUST_200600_302600_NS6detail15normal_iteratorINS9_10device_ptrIiEEEENSB_INSC_IjEEEESE_fNS9_4plusIvEENS9_8equal_toIvEEfEE10hipError_tPvRmT2_T3_T4_T5_mT6_T7_P12ihipStream_tbENKUlT_T0_E_clISt17integral_constantIbLb0EES11_EEDaSW_SX_EUlSW_E_NS1_11comp_targetILNS1_3genE5ELNS1_11target_archE942ELNS1_3gpuE9ELNS1_3repE0EEENS1_30default_config_static_selectorELNS0_4arch9wavefront6targetE1EEEvT1_
	.globl	_ZN7rocprim17ROCPRIM_400000_NS6detail17trampoline_kernelINS0_14default_configENS1_27scan_by_key_config_selectorIifEEZZNS1_16scan_by_key_implILNS1_25lookback_scan_determinismE0ELb1ES3_N6thrust23THRUST_200600_302600_NS6detail15normal_iteratorINS9_10device_ptrIiEEEENSB_INSC_IjEEEESE_fNS9_4plusIvEENS9_8equal_toIvEEfEE10hipError_tPvRmT2_T3_T4_T5_mT6_T7_P12ihipStream_tbENKUlT_T0_E_clISt17integral_constantIbLb0EES11_EEDaSW_SX_EUlSW_E_NS1_11comp_targetILNS1_3genE5ELNS1_11target_archE942ELNS1_3gpuE9ELNS1_3repE0EEENS1_30default_config_static_selectorELNS0_4arch9wavefront6targetE1EEEvT1_
	.p2align	8
	.type	_ZN7rocprim17ROCPRIM_400000_NS6detail17trampoline_kernelINS0_14default_configENS1_27scan_by_key_config_selectorIifEEZZNS1_16scan_by_key_implILNS1_25lookback_scan_determinismE0ELb1ES3_N6thrust23THRUST_200600_302600_NS6detail15normal_iteratorINS9_10device_ptrIiEEEENSB_INSC_IjEEEESE_fNS9_4plusIvEENS9_8equal_toIvEEfEE10hipError_tPvRmT2_T3_T4_T5_mT6_T7_P12ihipStream_tbENKUlT_T0_E_clISt17integral_constantIbLb0EES11_EEDaSW_SX_EUlSW_E_NS1_11comp_targetILNS1_3genE5ELNS1_11target_archE942ELNS1_3gpuE9ELNS1_3repE0EEENS1_30default_config_static_selectorELNS0_4arch9wavefront6targetE1EEEvT1_,@function
_ZN7rocprim17ROCPRIM_400000_NS6detail17trampoline_kernelINS0_14default_configENS1_27scan_by_key_config_selectorIifEEZZNS1_16scan_by_key_implILNS1_25lookback_scan_determinismE0ELb1ES3_N6thrust23THRUST_200600_302600_NS6detail15normal_iteratorINS9_10device_ptrIiEEEENSB_INSC_IjEEEESE_fNS9_4plusIvEENS9_8equal_toIvEEfEE10hipError_tPvRmT2_T3_T4_T5_mT6_T7_P12ihipStream_tbENKUlT_T0_E_clISt17integral_constantIbLb0EES11_EEDaSW_SX_EUlSW_E_NS1_11comp_targetILNS1_3genE5ELNS1_11target_archE942ELNS1_3gpuE9ELNS1_3repE0EEENS1_30default_config_static_selectorELNS0_4arch9wavefront6targetE1EEEvT1_: ; @_ZN7rocprim17ROCPRIM_400000_NS6detail17trampoline_kernelINS0_14default_configENS1_27scan_by_key_config_selectorIifEEZZNS1_16scan_by_key_implILNS1_25lookback_scan_determinismE0ELb1ES3_N6thrust23THRUST_200600_302600_NS6detail15normal_iteratorINS9_10device_ptrIiEEEENSB_INSC_IjEEEESE_fNS9_4plusIvEENS9_8equal_toIvEEfEE10hipError_tPvRmT2_T3_T4_T5_mT6_T7_P12ihipStream_tbENKUlT_T0_E_clISt17integral_constantIbLb0EES11_EEDaSW_SX_EUlSW_E_NS1_11comp_targetILNS1_3genE5ELNS1_11target_archE942ELNS1_3gpuE9ELNS1_3repE0EEENS1_30default_config_static_selectorELNS0_4arch9wavefront6targetE1EEEvT1_
; %bb.0:
	s_load_dwordx8 s[48:55], s[0:1], 0x0
	s_load_dword s76, s[0:1], 0x20
	s_load_dwordx4 s[56:59], s[0:1], 0x28
	s_load_dwordx2 s[66:67], s[0:1], 0x38
	s_load_dword s3, s[0:1], 0x40
	s_load_dwordx4 s[60:63], s[0:1], 0x48
	s_waitcnt lgkmcnt(0)
	s_lshl_b64 s[64:65], s[50:51], 2
	s_add_u32 s4, s48, s64
	s_addc_u32 s5, s49, s65
	s_add_u32 s6, s52, s64
	s_mul_i32 s0, s67, s3
	s_mul_hi_u32 s1, s66, s3
	s_addc_u32 s7, s53, s65
	s_add_i32 s8, s1, s0
	s_mul_i32 s0, s2, 0x1700
	s_mov_b32 s1, 0
	s_lshl_b64 s[52:53], s[0:1], 2
	s_add_u32 s70, s4, s52
	s_addc_u32 s71, s5, s53
	s_add_u32 s68, s6, s52
	s_mul_i32 s3, s66, s3
	s_addc_u32 s69, s7, s53
	s_add_u32 s0, s3, s2
	s_addc_u32 s1, s8, 0
	s_add_u32 s6, s60, -1
	s_addc_u32 s7, s61, -1
	v_mov_b64_e32 v[2:3], s[6:7]
	v_cmp_ge_u64_e64 s[0:1], s[0:1], v[2:3]
	s_mov_b64 s[4:5], -1
	s_and_b64 vcc, exec, s[0:1]
	s_mul_i32 s33, s6, 0xffffe900
	s_barrier
	s_cbranch_vccz .LBB1790_71
; %bb.1:
	v_mov_b64_e32 v[2:3], s[70:71]
	flat_load_dword v1, v[2:3]
	s_add_i32 s59, s33, s58
	v_cmp_gt_u32_e32 vcc, s59, v0
	s_waitcnt vmcnt(0) lgkmcnt(0)
	v_mov_b32_e32 v2, v1
	s_and_saveexec_b64 s[4:5], vcc
	s_cbranch_execz .LBB1790_3
; %bb.2:
	v_lshlrev_b32_e32 v2, 2, v0
	v_mov_b32_e32 v3, 0
	v_lshl_add_u64 v[2:3], s[70:71], 0, v[2:3]
	flat_load_dword v2, v[2:3]
.LBB1790_3:
	s_or_b64 exec, exec, s[4:5]
	v_or_b32_e32 v3, 0x100, v0
	v_cmp_gt_u32_e64 s[48:49], s59, v3
	v_mov_b32_e32 v3, v1
	s_and_saveexec_b64 s[4:5], s[48:49]
	s_cbranch_execz .LBB1790_5
; %bb.4:
	v_lshlrev_b32_e32 v4, 2, v0
	v_mov_b32_e32 v5, 0
	v_lshl_add_u64 v[4:5], s[70:71], 0, v[4:5]
	flat_load_dword v3, v[4:5] offset:1024
.LBB1790_5:
	s_or_b64 exec, exec, s[4:5]
	v_or_b32_e32 v4, 0x200, v0
	v_cmp_gt_u32_e64 s[4:5], s59, v4
	v_mov_b32_e32 v4, v1
	s_and_saveexec_b64 s[6:7], s[4:5]
	s_cbranch_execz .LBB1790_7
; %bb.6:
	v_lshlrev_b32_e32 v4, 2, v0
	v_mov_b32_e32 v5, 0
	v_lshl_add_u64 v[4:5], s[70:71], 0, v[4:5]
	flat_load_dword v4, v[4:5] offset:2048
.LBB1790_7:
	;; [unrolled: 12-line block ×3, first 2 shown]
	s_or_b64 exec, exec, s[8:9]
	v_or_b32_e32 v6, 0x400, v0
	v_cmp_gt_u32_e64 s[8:9], s59, v6
	v_lshlrev_b32_e32 v24, 2, v6
	v_mov_b32_e32 v6, v1
	s_and_saveexec_b64 s[10:11], s[8:9]
	s_cbranch_execz .LBB1790_11
; %bb.10:
	v_mov_b32_e32 v25, 0
	v_lshl_add_u64 v[6:7], s[70:71], 0, v[24:25]
	flat_load_dword v6, v[6:7]
.LBB1790_11:
	s_or_b64 exec, exec, s[10:11]
	v_or_b32_e32 v7, 0x500, v0
	v_cmp_gt_u32_e64 s[10:11], s59, v7
	v_lshlrev_b32_e32 v26, 2, v7
	v_mov_b32_e32 v7, v1
	s_and_saveexec_b64 s[12:13], s[10:11]
	s_cbranch_execz .LBB1790_13
; %bb.12:
	v_mov_b32_e32 v27, 0
	v_lshl_add_u64 v[8:9], s[70:71], 0, v[26:27]
	flat_load_dword v7, v[8:9]
.LBB1790_13:
	;; [unrolled: 12-line block ×18, first 2 shown]
	s_or_b64 exec, exec, s[46:47]
	v_or_b32_e32 v25, 0x1600, v0
	v_cmp_gt_u32_e64 s[46:47], s59, v25
	v_lshlrev_b32_e32 v62, 2, v25
	s_and_saveexec_b64 s[50:51], s[46:47]
	s_cbranch_execz .LBB1790_47
; %bb.46:
	v_mov_b32_e32 v63, 0
	v_lshl_add_u64 v[60:61], s[70:71], 0, v[62:63]
	flat_load_dword v1, v[60:61]
.LBB1790_47:
	s_or_b64 exec, exec, s[50:51]
	v_lshlrev_b32_e32 v60, 2, v0
	s_waitcnt vmcnt(0) lgkmcnt(0)
	ds_write2st64_b32 v60, v2, v3 offset1:4
	ds_write2st64_b32 v60, v4, v5 offset0:8 offset1:12
	ds_write2st64_b32 v60, v6, v7 offset0:16 offset1:20
	;; [unrolled: 1-line block ×10, first 2 shown]
	ds_write_b32 v60, v1 offset:22528
	v_mov_b64_e32 v[2:3], s[70:71]
	s_waitcnt lgkmcnt(0)
	s_barrier
	flat_load_dword v70, v[2:3]
	s_movk_i32 s3, 0x58
	v_mad_u32_u24 v71, v0, s3, v60
	s_movk_i32 s3, 0xffa8
	v_mad_i32_i24 v1, v0, s3, v71
	s_movk_i32 s3, 0xff
	v_cmp_ne_u32_e64 s[50:51], s3, v0
	ds_read_b32 v72, v71
	ds_read2_b32 v[22:23], v71 offset0:1 offset1:2
	ds_read2_b32 v[20:21], v71 offset0:3 offset1:4
	;; [unrolled: 1-line block ×11, first 2 shown]
	s_waitcnt lgkmcnt(0)
	ds_write_b32 v1, v72 offset:24576
	s_waitcnt lgkmcnt(0)
	s_barrier
	s_and_saveexec_b64 s[60:61], s[50:51]
	s_cbranch_execz .LBB1790_49
; %bb.48:
	s_waitcnt vmcnt(0)
	ds_read_b32 v70, v60 offset:24580
.LBB1790_49:
	s_or_b64 exec, exec, s[60:61]
	v_mov_b32_e32 v61, 0
	s_waitcnt lgkmcnt(0)
	s_barrier
	s_waitcnt lgkmcnt(0)
                                        ; implicit-def: $vgpr1
	s_and_saveexec_b64 s[50:51], vcc
	s_cbranch_execz .LBB1790_72
; %bb.50:
	v_lshl_add_u64 v[64:65], s[68:69], 0, v[60:61]
	flat_load_dword v1, v[64:65]
	s_waitcnt vmcnt(0) lgkmcnt(0)
	v_cvt_f32_u32_e32 v1, v1
	s_or_b64 exec, exec, s[50:51]
                                        ; implicit-def: $vgpr64
	s_and_saveexec_b64 s[50:51], s[48:49]
	s_cbranch_execnz .LBB1790_73
.LBB1790_51:
	s_or_b64 exec, exec, s[50:51]
                                        ; implicit-def: $vgpr65
	s_and_saveexec_b64 s[48:49], s[4:5]
	s_cbranch_execz .LBB1790_74
.LBB1790_52:
	v_mov_b32_e32 v61, 0
	v_lshl_add_u64 v[66:67], s[68:69], 0, v[60:61]
	flat_load_dword v25, v[66:67] offset:2048
	s_waitcnt vmcnt(0) lgkmcnt(0)
	v_cvt_f32_u32_e32 v65, v25
	s_or_b64 exec, exec, s[48:49]
                                        ; implicit-def: $vgpr61
	s_and_saveexec_b64 s[4:5], s[6:7]
	s_cbranch_execnz .LBB1790_75
.LBB1790_53:
	s_or_b64 exec, exec, s[4:5]
                                        ; implicit-def: $vgpr25
	s_and_saveexec_b64 s[4:5], s[8:9]
	s_cbranch_execz .LBB1790_76
.LBB1790_54:
	v_mov_b32_e32 v25, 0
	v_lshl_add_u64 v[24:25], s[68:69], 0, v[24:25]
	flat_load_dword v24, v[24:25]
	s_waitcnt vmcnt(0) lgkmcnt(0)
	v_cvt_f32_u32_e32 v25, v24
	s_or_b64 exec, exec, s[4:5]
                                        ; implicit-def: $vgpr24
	s_and_saveexec_b64 s[4:5], s[10:11]
	s_cbranch_execnz .LBB1790_77
.LBB1790_55:
	s_or_b64 exec, exec, s[4:5]
                                        ; implicit-def: $vgpr26
	s_and_saveexec_b64 s[4:5], s[12:13]
	s_cbranch_execz .LBB1790_78
.LBB1790_56:
	v_mov_b32_e32 v29, 0
	v_lshl_add_u64 v[26:27], s[68:69], 0, v[28:29]
	flat_load_dword v26, v[26:27]
	s_waitcnt vmcnt(0) lgkmcnt(0)
	v_cvt_f32_u32_e32 v26, v26
	s_or_b64 exec, exec, s[4:5]
                                        ; implicit-def: $vgpr27
	s_and_saveexec_b64 s[4:5], s[14:15]
	s_cbranch_execnz .LBB1790_79
.LBB1790_57:
	s_or_b64 exec, exec, s[4:5]
                                        ; implicit-def: $vgpr28
	s_and_saveexec_b64 s[4:5], s[16:17]
	s_cbranch_execz .LBB1790_80
.LBB1790_58:
	v_mov_b32_e32 v33, 0
	v_lshl_add_u64 v[28:29], s[68:69], 0, v[32:33]
	flat_load_dword v28, v[28:29]
	s_waitcnt vmcnt(0) lgkmcnt(0)
	v_cvt_f32_u32_e32 v28, v28
	s_or_b64 exec, exec, s[4:5]
                                        ; implicit-def: $vgpr29
	s_and_saveexec_b64 s[4:5], s[18:19]
	s_cbranch_execnz .LBB1790_81
.LBB1790_59:
	s_or_b64 exec, exec, s[4:5]
                                        ; implicit-def: $vgpr30
	s_and_saveexec_b64 s[4:5], s[20:21]
	s_cbranch_execz .LBB1790_82
.LBB1790_60:
	v_mov_b32_e32 v37, 0
	v_lshl_add_u64 v[30:31], s[68:69], 0, v[36:37]
	flat_load_dword v30, v[30:31]
	s_waitcnt vmcnt(0) lgkmcnt(0)
	v_cvt_f32_u32_e32 v30, v30
	s_or_b64 exec, exec, s[4:5]
                                        ; implicit-def: $vgpr31
	s_and_saveexec_b64 s[4:5], s[22:23]
	s_cbranch_execnz .LBB1790_83
.LBB1790_61:
	s_or_b64 exec, exec, s[4:5]
                                        ; implicit-def: $vgpr32
	s_and_saveexec_b64 s[4:5], s[24:25]
	s_cbranch_execz .LBB1790_84
.LBB1790_62:
	v_mov_b32_e32 v41, 0
	v_lshl_add_u64 v[32:33], s[68:69], 0, v[40:41]
	flat_load_dword v32, v[32:33]
	s_waitcnt vmcnt(0) lgkmcnt(0)
	v_cvt_f32_u32_e32 v32, v32
	s_or_b64 exec, exec, s[4:5]
                                        ; implicit-def: $vgpr33
	s_and_saveexec_b64 s[4:5], s[26:27]
	s_cbranch_execnz .LBB1790_85
.LBB1790_63:
	s_or_b64 exec, exec, s[4:5]
                                        ; implicit-def: $vgpr34
	s_and_saveexec_b64 s[4:5], s[28:29]
	s_cbranch_execz .LBB1790_86
.LBB1790_64:
	v_mov_b32_e32 v45, 0
	v_lshl_add_u64 v[34:35], s[68:69], 0, v[44:45]
	flat_load_dword v34, v[34:35]
	s_waitcnt vmcnt(0) lgkmcnt(0)
	v_cvt_f32_u32_e32 v34, v34
	s_or_b64 exec, exec, s[4:5]
                                        ; implicit-def: $vgpr35
	s_and_saveexec_b64 s[4:5], s[30:31]
	s_cbranch_execnz .LBB1790_87
.LBB1790_65:
	s_or_b64 exec, exec, s[4:5]
                                        ; implicit-def: $vgpr36
	s_and_saveexec_b64 s[4:5], s[34:35]
	s_cbranch_execz .LBB1790_88
.LBB1790_66:
	v_mov_b32_e32 v49, 0
	v_lshl_add_u64 v[36:37], s[68:69], 0, v[48:49]
	flat_load_dword v36, v[36:37]
	s_waitcnt vmcnt(0) lgkmcnt(0)
	v_cvt_f32_u32_e32 v36, v36
	s_or_b64 exec, exec, s[4:5]
                                        ; implicit-def: $vgpr37
	s_and_saveexec_b64 s[4:5], s[36:37]
	s_cbranch_execnz .LBB1790_89
.LBB1790_67:
	s_or_b64 exec, exec, s[4:5]
                                        ; implicit-def: $vgpr38
	s_and_saveexec_b64 s[4:5], s[38:39]
	s_cbranch_execz .LBB1790_90
.LBB1790_68:
	v_mov_b32_e32 v53, 0
	v_lshl_add_u64 v[38:39], s[68:69], 0, v[52:53]
	flat_load_dword v38, v[38:39]
	s_waitcnt vmcnt(0) lgkmcnt(0)
	v_cvt_f32_u32_e32 v38, v38
	s_or_b64 exec, exec, s[4:5]
                                        ; implicit-def: $vgpr39
	s_and_saveexec_b64 s[4:5], s[40:41]
	s_cbranch_execnz .LBB1790_91
.LBB1790_69:
	s_or_b64 exec, exec, s[4:5]
                                        ; implicit-def: $vgpr40
	s_and_saveexec_b64 s[4:5], s[42:43]
	s_cbranch_execz .LBB1790_92
.LBB1790_70:
	v_mov_b32_e32 v57, 0
	v_lshl_add_u64 v[40:41], s[68:69], 0, v[56:57]
	flat_load_dword v40, v[40:41]
	s_waitcnt vmcnt(0) lgkmcnt(0)
	v_cvt_f32_u32_e32 v40, v40
	s_or_b64 exec, exec, s[4:5]
                                        ; implicit-def: $vgpr41
	s_and_saveexec_b64 s[4:5], s[44:45]
	s_cbranch_execz .LBB1790_94
	s_branch .LBB1790_93
.LBB1790_71:
	s_mov_b64 s[10:11], 0
                                        ; implicit-def: $sgpr8_sgpr9
                                        ; implicit-def: $vgpr27
                                        ; implicit-def: $vgpr1
                                        ; implicit-def: $vgpr26
                                        ; implicit-def: $vgpr52
                                        ; implicit-def: $vgpr48
                                        ; implicit-def: $vgpr29
                                        ; implicit-def: $vgpr69
                                        ; implicit-def: $vgpr49
                                        ; implicit-def: $vgpr28
                                        ; implicit-def: $vgpr68
                                        ; implicit-def: $vgpr24
                                        ; implicit-def: $vgpr31
                                        ; implicit-def: $vgpr67
                                        ; implicit-def: $vgpr50
                                        ; implicit-def: $vgpr30
                                        ; implicit-def: $vgpr66
                                        ; implicit-def: $vgpr46
                                        ; implicit-def: $vgpr33
                                        ; implicit-def: $vgpr65
                                        ; implicit-def: $vgpr51
                                        ; implicit-def: $vgpr32
                                        ; implicit-def: $vgpr64
                                        ; implicit-def: $vgpr44
                                        ; implicit-def: $vgpr35
                                        ; implicit-def: $vgpr63
                                        ; implicit-def: $vgpr53
                                        ; implicit-def: $vgpr34
                                        ; implicit-def: $vgpr62
                                        ; implicit-def: $vgpr45
                                        ; implicit-def: $vgpr37
                                        ; implicit-def: $vgpr61
                                        ; implicit-def: $vgpr54
                                        ; implicit-def: $vgpr36
                                        ; implicit-def: $vgpr60
                                        ; implicit-def: $vgpr42
                                        ; implicit-def: $vgpr39
                                        ; implicit-def: $vgpr59
                                        ; implicit-def: $vgpr55
                                        ; implicit-def: $vgpr38
                                        ; implicit-def: $vgpr58
                                        ; implicit-def: $vgpr43
                                        ; implicit-def: $vgpr41
                                        ; implicit-def: $vgpr57
                                        ; implicit-def: $vgpr56
                                        ; implicit-def: $vgpr40
                                        ; implicit-def: $sgpr6
                                        ; implicit-def: $sgpr3
	s_and_b64 vcc, exec, s[4:5]
	v_lshlrev_b32_e32 v10, 2, v0
	s_cbranch_vccz .LBB1790_148
	s_branch .LBB1790_143
.LBB1790_72:
	s_or_b64 exec, exec, s[50:51]
                                        ; implicit-def: $vgpr64
	s_and_saveexec_b64 s[50:51], s[48:49]
	s_cbranch_execz .LBB1790_51
.LBB1790_73:
	v_mov_b32_e32 v61, 0
	v_lshl_add_u64 v[64:65], s[68:69], 0, v[60:61]
	flat_load_dword v25, v[64:65] offset:1024
	s_waitcnt vmcnt(0) lgkmcnt(0)
	v_cvt_f32_u32_e32 v64, v25
	s_or_b64 exec, exec, s[50:51]
                                        ; implicit-def: $vgpr65
	s_and_saveexec_b64 s[48:49], s[4:5]
	s_cbranch_execnz .LBB1790_52
.LBB1790_74:
	s_or_b64 exec, exec, s[48:49]
                                        ; implicit-def: $vgpr61
	s_and_saveexec_b64 s[4:5], s[6:7]
	s_cbranch_execz .LBB1790_53
.LBB1790_75:
	v_mov_b32_e32 v61, 0
	v_lshl_add_u64 v[66:67], s[68:69], 0, v[60:61]
	flat_load_dword v25, v[66:67] offset:3072
	s_waitcnt vmcnt(0) lgkmcnt(0)
	v_cvt_f32_u32_e32 v61, v25
	s_or_b64 exec, exec, s[4:5]
                                        ; implicit-def: $vgpr25
	s_and_saveexec_b64 s[4:5], s[8:9]
	s_cbranch_execnz .LBB1790_54
.LBB1790_76:
	s_or_b64 exec, exec, s[4:5]
                                        ; implicit-def: $vgpr24
	s_and_saveexec_b64 s[4:5], s[10:11]
	s_cbranch_execz .LBB1790_55
.LBB1790_77:
	v_mov_b32_e32 v27, 0
	v_lshl_add_u64 v[26:27], s[68:69], 0, v[26:27]
	flat_load_dword v24, v[26:27]
	s_waitcnt vmcnt(0) lgkmcnt(0)
	v_cvt_f32_u32_e32 v24, v24
	s_or_b64 exec, exec, s[4:5]
                                        ; implicit-def: $vgpr26
	s_and_saveexec_b64 s[4:5], s[12:13]
	s_cbranch_execnz .LBB1790_56
.LBB1790_78:
	s_or_b64 exec, exec, s[4:5]
                                        ; implicit-def: $vgpr27
	s_and_saveexec_b64 s[4:5], s[14:15]
	s_cbranch_execz .LBB1790_57
.LBB1790_79:
	v_mov_b32_e32 v31, 0
	v_lshl_add_u64 v[28:29], s[68:69], 0, v[30:31]
	flat_load_dword v27, v[28:29]
	s_waitcnt vmcnt(0) lgkmcnt(0)
	v_cvt_f32_u32_e32 v27, v27
	s_or_b64 exec, exec, s[4:5]
                                        ; implicit-def: $vgpr28
	s_and_saveexec_b64 s[4:5], s[16:17]
	s_cbranch_execnz .LBB1790_58
.LBB1790_80:
	s_or_b64 exec, exec, s[4:5]
                                        ; implicit-def: $vgpr29
	s_and_saveexec_b64 s[4:5], s[18:19]
	s_cbranch_execz .LBB1790_59
.LBB1790_81:
	v_mov_b32_e32 v35, 0
	v_lshl_add_u64 v[30:31], s[68:69], 0, v[34:35]
	flat_load_dword v29, v[30:31]
	s_waitcnt vmcnt(0) lgkmcnt(0)
	v_cvt_f32_u32_e32 v29, v29
	s_or_b64 exec, exec, s[4:5]
                                        ; implicit-def: $vgpr30
	s_and_saveexec_b64 s[4:5], s[20:21]
	s_cbranch_execnz .LBB1790_60
.LBB1790_82:
	s_or_b64 exec, exec, s[4:5]
                                        ; implicit-def: $vgpr31
	s_and_saveexec_b64 s[4:5], s[22:23]
	s_cbranch_execz .LBB1790_61
.LBB1790_83:
	v_mov_b32_e32 v39, 0
	v_lshl_add_u64 v[32:33], s[68:69], 0, v[38:39]
	flat_load_dword v31, v[32:33]
	s_waitcnt vmcnt(0) lgkmcnt(0)
	v_cvt_f32_u32_e32 v31, v31
	s_or_b64 exec, exec, s[4:5]
                                        ; implicit-def: $vgpr32
	s_and_saveexec_b64 s[4:5], s[24:25]
	s_cbranch_execnz .LBB1790_62
.LBB1790_84:
	s_or_b64 exec, exec, s[4:5]
                                        ; implicit-def: $vgpr33
	s_and_saveexec_b64 s[4:5], s[26:27]
	s_cbranch_execz .LBB1790_63
.LBB1790_85:
	v_mov_b32_e32 v43, 0
	v_lshl_add_u64 v[34:35], s[68:69], 0, v[42:43]
	flat_load_dword v33, v[34:35]
	s_waitcnt vmcnt(0) lgkmcnt(0)
	v_cvt_f32_u32_e32 v33, v33
	s_or_b64 exec, exec, s[4:5]
                                        ; implicit-def: $vgpr34
	s_and_saveexec_b64 s[4:5], s[28:29]
	s_cbranch_execnz .LBB1790_64
.LBB1790_86:
	s_or_b64 exec, exec, s[4:5]
                                        ; implicit-def: $vgpr35
	s_and_saveexec_b64 s[4:5], s[30:31]
	s_cbranch_execz .LBB1790_65
.LBB1790_87:
	v_mov_b32_e32 v47, 0
	v_lshl_add_u64 v[36:37], s[68:69], 0, v[46:47]
	flat_load_dword v35, v[36:37]
	s_waitcnt vmcnt(0) lgkmcnt(0)
	v_cvt_f32_u32_e32 v35, v35
	s_or_b64 exec, exec, s[4:5]
                                        ; implicit-def: $vgpr36
	s_and_saveexec_b64 s[4:5], s[34:35]
	s_cbranch_execnz .LBB1790_66
.LBB1790_88:
	s_or_b64 exec, exec, s[4:5]
                                        ; implicit-def: $vgpr37
	s_and_saveexec_b64 s[4:5], s[36:37]
	s_cbranch_execz .LBB1790_67
.LBB1790_89:
	v_mov_b32_e32 v51, 0
	v_lshl_add_u64 v[38:39], s[68:69], 0, v[50:51]
	flat_load_dword v37, v[38:39]
	s_waitcnt vmcnt(0) lgkmcnt(0)
	v_cvt_f32_u32_e32 v37, v37
	s_or_b64 exec, exec, s[4:5]
                                        ; implicit-def: $vgpr38
	s_and_saveexec_b64 s[4:5], s[38:39]
	s_cbranch_execnz .LBB1790_68
.LBB1790_90:
	s_or_b64 exec, exec, s[4:5]
                                        ; implicit-def: $vgpr39
	s_and_saveexec_b64 s[4:5], s[40:41]
	s_cbranch_execz .LBB1790_69
.LBB1790_91:
	v_mov_b32_e32 v55, 0
	v_lshl_add_u64 v[40:41], s[68:69], 0, v[54:55]
	flat_load_dword v39, v[40:41]
	s_waitcnt vmcnt(0) lgkmcnt(0)
	v_cvt_f32_u32_e32 v39, v39
	s_or_b64 exec, exec, s[4:5]
                                        ; implicit-def: $vgpr40
	s_and_saveexec_b64 s[4:5], s[42:43]
	s_cbranch_execnz .LBB1790_70
.LBB1790_92:
	s_or_b64 exec, exec, s[4:5]
                                        ; implicit-def: $vgpr41
	s_and_saveexec_b64 s[4:5], s[44:45]
	s_cbranch_execz .LBB1790_94
.LBB1790_93:
	v_mov_b32_e32 v59, 0
	v_lshl_add_u64 v[42:43], s[68:69], 0, v[58:59]
	flat_load_dword v41, v[42:43]
	s_waitcnt vmcnt(0) lgkmcnt(0)
	v_cvt_f32_u32_e32 v41, v41
.LBB1790_94:
	s_or_b64 exec, exec, s[4:5]
	v_mul_u32_u24_e32 v47, 23, v0
                                        ; implicit-def: $vgpr42
	s_and_saveexec_b64 s[4:5], s[46:47]
	s_cbranch_execz .LBB1790_96
; %bb.95:
	v_mov_b32_e32 v63, 0
	v_lshl_add_u64 v[42:43], s[68:69], 0, v[62:63]
	flat_load_dword v42, v[42:43]
	s_waitcnt vmcnt(0) lgkmcnt(0)
	v_cvt_f32_u32_e32 v42, v42
.LBB1790_96:
	s_or_b64 exec, exec, s[4:5]
	ds_write2st64_b32 v60, v1, v64 offset1:4
	ds_write2st64_b32 v60, v65, v61 offset0:8 offset1:12
	ds_write2st64_b32 v60, v25, v24 offset0:16 offset1:20
	;; [unrolled: 1-line block ×10, first 2 shown]
	ds_write_b32 v60, v42 offset:22528
	v_cmp_gt_u32_e32 vcc, s59, v47
	s_mov_b64 s[4:5], 0
	s_mov_b32 s3, 0
	v_mov_b32_e32 v1, 0
	v_mov_b32_e32 v26, 0
	s_mov_b64 s[10:11], 0
	v_mov_b32_e32 v52, 0
	v_mov_b32_e32 v48, 0
	;; [unrolled: 1-line block ×42, first 2 shown]
	s_waitcnt lgkmcnt(0)
	s_barrier
	s_waitcnt lgkmcnt(0)
                                        ; implicit-def: $sgpr8_sgpr9
                                        ; implicit-def: $vgpr27
	s_and_saveexec_b64 s[6:7], vcc
	s_cbranch_execz .LBB1790_142
; %bb.97:
	ds_read_b32 v24, v71
	v_add_u32_e32 v25, 1, v47
	v_cmp_ne_u32_e32 vcc, v72, v22
	v_mov_b32_e32 v26, s76
	v_mov_b32_e32 v52, 0
	v_cndmask_b32_e64 v1, 0, 1, vcc
	s_waitcnt lgkmcnt(0)
	v_cndmask_b32_e32 v48, v24, v26, vcc
	v_cmp_gt_u32_e32 vcc, s59, v25
	v_mov_b32_e32 v26, 0
	v_mov_b32_e32 v29, 0
	;; [unrolled: 1-line block ×41, first 2 shown]
                                        ; implicit-def: $sgpr12_sgpr13
                                        ; implicit-def: $vgpr27
	s_and_saveexec_b64 s[8:9], vcc
	s_cbranch_execz .LBB1790_141
; %bb.98:
	ds_read2_b32 v[24:25], v71 offset0:1 offset1:2
	v_add_u32_e32 v26, 2, v47
	v_cmp_ne_u32_e32 vcc, v22, v23
	v_mov_b32_e32 v22, s76
	s_mov_b64 s[14:15], 0
	v_cndmask_b32_e64 v49, 0, 1, vcc
	s_waitcnt lgkmcnt(0)
	v_cndmask_b32_e32 v24, v24, v22, vcc
	v_cmp_gt_u32_e32 vcc, s59, v26
	v_mov_b32_e32 v26, 0
	v_mov_b32_e32 v52, 0
	;; [unrolled: 1-line block ×40, first 2 shown]
                                        ; implicit-def: $sgpr12_sgpr13
                                        ; implicit-def: $vgpr27
	s_and_saveexec_b64 s[10:11], vcc
	s_cbranch_execz .LBB1790_140
; %bb.99:
	v_add_u32_e32 v22, 3, v47
	v_cmp_ne_u32_e32 vcc, v23, v20
	v_mov_b32_e32 v23, s76
	v_mov_b32_e32 v26, 0
	v_cndmask_b32_e64 v50, 0, 1, vcc
	v_cndmask_b32_e32 v46, v25, v23, vcc
	v_cmp_gt_u32_e32 vcc, s59, v22
	v_mov_b32_e32 v52, 0
	v_mov_b32_e32 v29, 0
	;; [unrolled: 1-line block ×37, first 2 shown]
                                        ; implicit-def: $sgpr16_sgpr17
                                        ; implicit-def: $vgpr27
	s_and_saveexec_b64 s[12:13], vcc
	s_cbranch_execz .LBB1790_139
; %bb.100:
	ds_read2_b32 v[22:23], v71 offset0:3 offset1:4
	v_add_u32_e32 v25, 4, v47
	v_cmp_ne_u32_e32 vcc, v20, v21
	v_mov_b32_e32 v20, s76
	s_mov_b64 s[18:19], 0
	v_cndmask_b32_e64 v51, 0, 1, vcc
	s_waitcnt lgkmcnt(0)
	v_cndmask_b32_e32 v44, v22, v20, vcc
	v_cmp_gt_u32_e32 vcc, s59, v25
	v_mov_b32_e32 v26, 0
	v_mov_b32_e32 v52, 0
	;; [unrolled: 1-line block ×36, first 2 shown]
                                        ; implicit-def: $sgpr16_sgpr17
                                        ; implicit-def: $vgpr27
	s_and_saveexec_b64 s[14:15], vcc
	s_cbranch_execz .LBB1790_138
; %bb.101:
	v_add_u32_e32 v20, 5, v47
	v_cmp_ne_u32_e32 vcc, v21, v18
	v_mov_b32_e32 v21, s76
	v_mov_b32_e32 v26, 0
	v_cndmask_b32_e64 v53, 0, 1, vcc
	v_cndmask_b32_e32 v45, v23, v21, vcc
	v_cmp_gt_u32_e32 vcc, s59, v20
	v_mov_b32_e32 v52, 0
	v_mov_b32_e32 v29, 0
	;; [unrolled: 1-line block ×33, first 2 shown]
                                        ; implicit-def: $sgpr20_sgpr21
                                        ; implicit-def: $vgpr27
	s_and_saveexec_b64 s[16:17], vcc
	s_cbranch_execz .LBB1790_137
; %bb.102:
	ds_read2_b32 v[20:21], v71 offset0:5 offset1:6
	v_add_u32_e32 v22, 6, v47
	v_cmp_ne_u32_e32 vcc, v18, v19
	v_mov_b32_e32 v18, s76
	s_mov_b64 s[22:23], 0
	v_cndmask_b32_e64 v54, 0, 1, vcc
	s_waitcnt lgkmcnt(0)
	v_cndmask_b32_e32 v42, v20, v18, vcc
	v_cmp_gt_u32_e32 vcc, s59, v22
	v_mov_b32_e32 v26, 0
	v_mov_b32_e32 v52, 0
	;; [unrolled: 1-line block ×32, first 2 shown]
                                        ; implicit-def: $sgpr20_sgpr21
                                        ; implicit-def: $vgpr27
	s_and_saveexec_b64 s[18:19], vcc
	s_cbranch_execz .LBB1790_136
; %bb.103:
	v_add_u32_e32 v18, 7, v47
	v_cmp_ne_u32_e32 vcc, v19, v16
	v_mov_b32_e32 v19, s76
	v_mov_b32_e32 v26, 0
	v_cndmask_b32_e64 v55, 0, 1, vcc
	v_cndmask_b32_e32 v43, v21, v19, vcc
	v_cmp_gt_u32_e32 vcc, s59, v18
	v_mov_b32_e32 v52, 0
	v_mov_b32_e32 v29, 0
	;; [unrolled: 1-line block ×29, first 2 shown]
                                        ; implicit-def: $sgpr24_sgpr25
                                        ; implicit-def: $vgpr27
	s_and_saveexec_b64 s[20:21], vcc
	s_cbranch_execz .LBB1790_135
; %bb.104:
	ds_read2_b32 v[18:19], v71 offset0:7 offset1:8
	v_add_u32_e32 v20, 8, v47
	v_cmp_ne_u32_e32 vcc, v16, v17
	v_mov_b32_e32 v16, s76
	s_mov_b64 s[26:27], 0
	v_cndmask_b32_e64 v56, 0, 1, vcc
	s_waitcnt lgkmcnt(0)
	v_cndmask_b32_e32 v40, v18, v16, vcc
	v_cmp_gt_u32_e32 vcc, s59, v20
	v_mov_b32_e32 v26, 0
	v_mov_b32_e32 v52, 0
	v_mov_b32_e32 v29, 0
	v_mov_b32_e32 v69, 0
	v_mov_b32_e32 v28, 0
	v_mov_b32_e32 v68, 0
	v_mov_b32_e32 v31, 0
	v_mov_b32_e32 v67, 0
	v_mov_b32_e32 v30, 0
	v_mov_b32_e32 v66, 0
	v_mov_b32_e32 v33, 0
	v_mov_b32_e32 v65, 0
	v_mov_b32_e32 v32, 0
	v_mov_b32_e32 v64, 0
	v_mov_b32_e32 v35, 0
	v_mov_b32_e32 v63, 0
	v_mov_b32_e32 v34, 0
	v_mov_b32_e32 v62, 0
	v_mov_b32_e32 v37, 0
	v_mov_b32_e32 v61, 0
	v_mov_b32_e32 v36, 0
	v_mov_b32_e32 v60, 0
	v_mov_b32_e32 v39, 0
	v_mov_b32_e32 v59, 0
	v_mov_b32_e32 v38, 0
	v_mov_b32_e32 v58, 0
	v_mov_b32_e32 v41, 0
	v_mov_b32_e32 v57, 0
                                        ; implicit-def: $sgpr24_sgpr25
                                        ; implicit-def: $vgpr27
	s_and_saveexec_b64 s[22:23], vcc
	s_cbranch_execz .LBB1790_134
; %bb.105:
	v_add_u32_e32 v16, 9, v47
	v_cmp_ne_u32_e32 vcc, v17, v14
	v_mov_b32_e32 v17, s76
	v_mov_b32_e32 v26, 0
	v_cndmask_b32_e64 v57, 0, 1, vcc
	v_cndmask_b32_e32 v41, v19, v17, vcc
	v_cmp_gt_u32_e32 vcc, s59, v16
	v_mov_b32_e32 v52, 0
	v_mov_b32_e32 v29, 0
	;; [unrolled: 1-line block ×25, first 2 shown]
                                        ; implicit-def: $sgpr28_sgpr29
                                        ; implicit-def: $vgpr27
	s_and_saveexec_b64 s[24:25], vcc
	s_cbranch_execz .LBB1790_133
; %bb.106:
	ds_read2_b32 v[16:17], v71 offset0:9 offset1:10
	v_add_u32_e32 v18, 10, v47
	v_cmp_ne_u32_e32 vcc, v14, v15
	v_mov_b32_e32 v14, s76
	s_mov_b64 s[30:31], 0
	v_cndmask_b32_e64 v58, 0, 1, vcc
	s_waitcnt lgkmcnt(0)
	v_cndmask_b32_e32 v38, v16, v14, vcc
	v_cmp_gt_u32_e32 vcc, s59, v18
	v_mov_b32_e32 v26, 0
	v_mov_b32_e32 v52, 0
	;; [unrolled: 1-line block ×24, first 2 shown]
                                        ; implicit-def: $sgpr28_sgpr29
                                        ; implicit-def: $vgpr27
	s_and_saveexec_b64 s[26:27], vcc
	s_cbranch_execz .LBB1790_132
; %bb.107:
	v_add_u32_e32 v14, 11, v47
	v_cmp_ne_u32_e32 vcc, v15, v12
	v_mov_b32_e32 v15, s76
	v_mov_b32_e32 v26, 0
	v_cndmask_b32_e64 v59, 0, 1, vcc
	v_cndmask_b32_e32 v39, v17, v15, vcc
	v_cmp_gt_u32_e32 vcc, s59, v14
	v_mov_b32_e32 v52, 0
	v_mov_b32_e32 v29, 0
	;; [unrolled: 1-line block ×21, first 2 shown]
                                        ; implicit-def: $sgpr34_sgpr35
                                        ; implicit-def: $vgpr27
	s_and_saveexec_b64 s[28:29], vcc
	s_cbranch_execz .LBB1790_131
; %bb.108:
	ds_read2_b32 v[14:15], v71 offset0:11 offset1:12
	v_add_u32_e32 v16, 12, v47
	v_cmp_ne_u32_e32 vcc, v12, v13
	v_mov_b32_e32 v12, s76
	s_mov_b64 s[36:37], 0
	v_cndmask_b32_e64 v60, 0, 1, vcc
	s_waitcnt lgkmcnt(0)
	v_cndmask_b32_e32 v36, v14, v12, vcc
	v_cmp_gt_u32_e32 vcc, s59, v16
	v_mov_b32_e32 v26, 0
	v_mov_b32_e32 v52, 0
	;; [unrolled: 1-line block ×20, first 2 shown]
                                        ; implicit-def: $sgpr34_sgpr35
                                        ; implicit-def: $vgpr27
	s_and_saveexec_b64 s[30:31], vcc
	s_cbranch_execz .LBB1790_130
; %bb.109:
	v_add_u32_e32 v12, 13, v47
	v_cmp_ne_u32_e32 vcc, v13, v10
	v_mov_b32_e32 v13, s76
	v_mov_b32_e32 v26, 0
	v_cndmask_b32_e64 v61, 0, 1, vcc
	v_cndmask_b32_e32 v37, v15, v13, vcc
	v_cmp_gt_u32_e32 vcc, s59, v12
	v_mov_b32_e32 v52, 0
	v_mov_b32_e32 v29, 0
	;; [unrolled: 1-line block ×17, first 2 shown]
                                        ; implicit-def: $sgpr38_sgpr39
                                        ; implicit-def: $vgpr27
	s_and_saveexec_b64 s[34:35], vcc
	s_cbranch_execz .LBB1790_129
; %bb.110:
	ds_read2_b32 v[12:13], v71 offset0:13 offset1:14
	v_add_u32_e32 v14, 14, v47
	v_cmp_ne_u32_e32 vcc, v10, v11
	v_mov_b32_e32 v10, s76
	s_mov_b64 s[40:41], 0
	v_cndmask_b32_e64 v62, 0, 1, vcc
	s_waitcnt lgkmcnt(0)
	v_cndmask_b32_e32 v34, v12, v10, vcc
	v_cmp_gt_u32_e32 vcc, s59, v14
	v_mov_b32_e32 v26, 0
	v_mov_b32_e32 v52, 0
	;; [unrolled: 1-line block ×16, first 2 shown]
                                        ; implicit-def: $sgpr38_sgpr39
                                        ; implicit-def: $vgpr27
	s_and_saveexec_b64 s[36:37], vcc
	s_cbranch_execz .LBB1790_128
; %bb.111:
	v_add_u32_e32 v10, 15, v47
	v_cmp_ne_u32_e32 vcc, v11, v8
	v_mov_b32_e32 v11, s76
	v_mov_b32_e32 v26, 0
	v_cndmask_b32_e64 v63, 0, 1, vcc
	v_cndmask_b32_e32 v35, v13, v11, vcc
	v_cmp_gt_u32_e32 vcc, s59, v10
	v_mov_b32_e32 v52, 0
	v_mov_b32_e32 v29, 0
	;; [unrolled: 1-line block ×13, first 2 shown]
                                        ; implicit-def: $sgpr42_sgpr43
                                        ; implicit-def: $vgpr27
	s_and_saveexec_b64 s[38:39], vcc
	s_cbranch_execz .LBB1790_127
; %bb.112:
	ds_read2_b32 v[10:11], v71 offset0:15 offset1:16
	v_add_u32_e32 v12, 16, v47
	v_cmp_ne_u32_e32 vcc, v8, v9
	v_mov_b32_e32 v8, s76
	s_mov_b64 s[44:45], 0
	v_cndmask_b32_e64 v64, 0, 1, vcc
	s_waitcnt lgkmcnt(0)
	v_cndmask_b32_e32 v32, v10, v8, vcc
	v_cmp_gt_u32_e32 vcc, s59, v12
	v_mov_b32_e32 v26, 0
	v_mov_b32_e32 v52, 0
	;; [unrolled: 1-line block ×12, first 2 shown]
                                        ; implicit-def: $sgpr42_sgpr43
                                        ; implicit-def: $vgpr27
	s_and_saveexec_b64 s[40:41], vcc
	s_cbranch_execz .LBB1790_126
; %bb.113:
	v_add_u32_e32 v8, 17, v47
	v_cmp_ne_u32_e32 vcc, v9, v6
	v_mov_b32_e32 v9, s76
	v_mov_b32_e32 v26, 0
	v_cndmask_b32_e64 v65, 0, 1, vcc
	v_cndmask_b32_e32 v33, v11, v9, vcc
	v_cmp_gt_u32_e32 vcc, s59, v8
	v_mov_b32_e32 v52, 0
	v_mov_b32_e32 v29, 0
	;; [unrolled: 1-line block ×9, first 2 shown]
                                        ; implicit-def: $sgpr46_sgpr47
                                        ; implicit-def: $vgpr27
	s_and_saveexec_b64 s[42:43], vcc
	s_cbranch_execz .LBB1790_125
; %bb.114:
	ds_read2_b32 v[8:9], v71 offset0:17 offset1:18
	v_add_u32_e32 v10, 18, v47
	v_cmp_ne_u32_e32 vcc, v6, v7
	v_mov_b32_e32 v6, s76
	s_mov_b64 s[48:49], 0
	v_cndmask_b32_e64 v66, 0, 1, vcc
	s_waitcnt lgkmcnt(0)
	v_cndmask_b32_e32 v30, v8, v6, vcc
	v_cmp_gt_u32_e32 vcc, s59, v10
	v_mov_b32_e32 v26, 0
	v_mov_b32_e32 v52, 0
	;; [unrolled: 1-line block ×8, first 2 shown]
                                        ; implicit-def: $sgpr46_sgpr47
                                        ; implicit-def: $vgpr27
	s_and_saveexec_b64 s[44:45], vcc
	s_cbranch_execz .LBB1790_124
; %bb.115:
	v_add_u32_e32 v6, 19, v47
	v_cmp_ne_u32_e32 vcc, v7, v4
	v_mov_b32_e32 v7, s76
	v_mov_b32_e32 v26, 0
	v_cndmask_b32_e64 v67, 0, 1, vcc
	v_cndmask_b32_e32 v31, v9, v7, vcc
	v_cmp_gt_u32_e32 vcc, s59, v6
	v_mov_b32_e32 v52, 0
	v_mov_b32_e32 v29, 0
	;; [unrolled: 1-line block ×5, first 2 shown]
                                        ; implicit-def: $sgpr50_sgpr51
                                        ; implicit-def: $vgpr27
	s_and_saveexec_b64 s[46:47], vcc
	s_cbranch_execz .LBB1790_123
; %bb.116:
	ds_read2_b32 v[6:7], v71 offset0:19 offset1:20
	v_add_u32_e32 v8, 20, v47
	v_cmp_ne_u32_e32 vcc, v4, v5
	v_mov_b32_e32 v4, s76
	s_mov_b64 s[60:61], 0
	v_cndmask_b32_e64 v68, 0, 1, vcc
	s_waitcnt lgkmcnt(0)
	v_cndmask_b32_e32 v28, v6, v4, vcc
	v_cmp_gt_u32_e32 vcc, s59, v8
	v_mov_b32_e32 v26, 0
	v_mov_b32_e32 v52, 0
	;; [unrolled: 1-line block ×4, first 2 shown]
                                        ; implicit-def: $sgpr50_sgpr51
                                        ; implicit-def: $vgpr27
	s_and_saveexec_b64 s[48:49], vcc
	s_cbranch_execz .LBB1790_122
; %bb.117:
	v_add_u32_e32 v4, 21, v47
	v_cmp_ne_u32_e32 vcc, v5, v2
	v_mov_b32_e32 v5, s76
	v_mov_b32_e32 v26, 0
	v_cndmask_b32_e64 v69, 0, 1, vcc
	v_cndmask_b32_e32 v29, v7, v5, vcc
	v_cmp_gt_u32_e32 vcc, s59, v4
	v_mov_b32_e32 v52, 0
                                        ; implicit-def: $sgpr72_sgpr73
                                        ; implicit-def: $vgpr27
	s_and_saveexec_b64 s[50:51], vcc
	s_cbranch_execz .LBB1790_121
; %bb.118:
	ds_read2_b32 v[4:5], v71 offset0:21 offset1:22
	v_add_u32_e32 v6, 22, v47
	v_cmp_ne_u32_e32 vcc, v2, v3
	v_mov_b32_e32 v2, s76
                                        ; implicit-def: $sgpr72_sgpr73
                                        ; implicit-def: $vgpr27
	s_nop 0
	v_cndmask_b32_e64 v52, 0, 1, vcc
	s_waitcnt lgkmcnt(0)
	v_cndmask_b32_e32 v26, v4, v2, vcc
	v_cmp_gt_u32_e32 vcc, s59, v6
	s_and_saveexec_b64 s[74:75], vcc
	s_xor_b64 s[74:75], exec, s[74:75]
	s_cbranch_execz .LBB1790_120
; %bb.119:
	v_mov_b32_e32 v2, s76
	s_waitcnt vmcnt(0)
	v_cmp_ne_u32_e32 vcc, v3, v70
	s_mov_b64 s[60:61], exec
	s_and_b64 s[72:73], vcc, exec
	v_cndmask_b32_e32 v27, v5, v2, vcc
.LBB1790_120:
	s_or_b64 exec, exec, s[74:75]
	s_and_b64 s[72:73], s[72:73], exec
	s_and_b64 s[60:61], s[60:61], exec
.LBB1790_121:
	s_or_b64 exec, exec, s[50:51]
	s_and_b64 s[50:51], s[72:73], exec
	s_and_b64 s[60:61], s[60:61], exec
.LBB1790_122:
	s_or_b64 exec, exec, s[48:49]
	s_and_b64 s[50:51], s[50:51], exec
	s_and_b64 s[48:49], s[60:61], exec
.LBB1790_123:
	s_or_b64 exec, exec, s[46:47]
	s_and_b64 s[46:47], s[50:51], exec
	s_and_b64 s[48:49], s[48:49], exec
.LBB1790_124:
	s_or_b64 exec, exec, s[44:45]
	s_and_b64 s[46:47], s[46:47], exec
	s_and_b64 s[44:45], s[48:49], exec
.LBB1790_125:
	s_or_b64 exec, exec, s[42:43]
	s_and_b64 s[42:43], s[46:47], exec
	s_and_b64 s[44:45], s[44:45], exec
.LBB1790_126:
	s_or_b64 exec, exec, s[40:41]
	s_and_b64 s[42:43], s[42:43], exec
	s_and_b64 s[40:41], s[44:45], exec
.LBB1790_127:
	s_or_b64 exec, exec, s[38:39]
	s_and_b64 s[38:39], s[42:43], exec
	s_and_b64 s[40:41], s[40:41], exec
.LBB1790_128:
	s_or_b64 exec, exec, s[36:37]
	s_and_b64 s[38:39], s[38:39], exec
	s_and_b64 s[36:37], s[40:41], exec
.LBB1790_129:
	s_or_b64 exec, exec, s[34:35]
	s_and_b64 s[34:35], s[38:39], exec
	s_and_b64 s[36:37], s[36:37], exec
.LBB1790_130:
	s_or_b64 exec, exec, s[30:31]
	s_and_b64 s[34:35], s[34:35], exec
	s_and_b64 s[30:31], s[36:37], exec
.LBB1790_131:
	s_or_b64 exec, exec, s[28:29]
	s_and_b64 s[28:29], s[34:35], exec
	s_and_b64 s[30:31], s[30:31], exec
.LBB1790_132:
	s_or_b64 exec, exec, s[26:27]
	s_and_b64 s[28:29], s[28:29], exec
	s_and_b64 s[26:27], s[30:31], exec
.LBB1790_133:
	s_or_b64 exec, exec, s[24:25]
	s_and_b64 s[24:25], s[28:29], exec
	s_and_b64 s[26:27], s[26:27], exec
.LBB1790_134:
	s_or_b64 exec, exec, s[22:23]
	s_and_b64 s[24:25], s[24:25], exec
	s_and_b64 s[22:23], s[26:27], exec
.LBB1790_135:
	s_or_b64 exec, exec, s[20:21]
	s_and_b64 s[20:21], s[24:25], exec
	s_and_b64 s[22:23], s[22:23], exec
.LBB1790_136:
	s_or_b64 exec, exec, s[18:19]
	s_and_b64 s[20:21], s[20:21], exec
	s_and_b64 s[18:19], s[22:23], exec
.LBB1790_137:
	s_or_b64 exec, exec, s[16:17]
	s_and_b64 s[16:17], s[20:21], exec
	s_and_b64 s[18:19], s[18:19], exec
.LBB1790_138:
	s_or_b64 exec, exec, s[14:15]
	s_and_b64 s[16:17], s[16:17], exec
	s_and_b64 s[14:15], s[18:19], exec
.LBB1790_139:
	s_or_b64 exec, exec, s[12:13]
	s_and_b64 s[12:13], s[16:17], exec
	s_and_b64 s[14:15], s[14:15], exec
.LBB1790_140:
	s_or_b64 exec, exec, s[10:11]
	s_and_b64 s[12:13], s[12:13], exec
	s_and_b64 s[10:11], s[14:15], exec
.LBB1790_141:
	s_or_b64 exec, exec, s[8:9]
	s_and_b64 s[8:9], s[12:13], exec
	s_and_b64 s[10:11], s[10:11], exec
.LBB1790_142:
	s_or_b64 exec, exec, s[6:7]
	s_mov_b32 s6, 0
	s_and_b64 vcc, exec, s[4:5]
	v_lshlrev_b32_e32 v10, 2, v0
	s_cbranch_vccz .LBB1790_148
.LBB1790_143:
	v_mov_b32_e32 v11, 0
	v_lshl_add_u64 v[2:3], s[70:71], 0, v[10:11]
	v_add_co_u32_e32 v4, vcc, 0x1000, v2
	s_movk_i32 s4, 0x58
	s_nop 0
	v_addc_co_u32_e32 v5, vcc, 0, v3, vcc
	flat_load_dword v1, v[2:3]
	flat_load_dword v8, v[2:3] offset:1024
	flat_load_dword v9, v[2:3] offset:2048
	;; [unrolled: 1-line block ×3, first 2 shown]
	flat_load_dword v13, v[4:5]
	flat_load_dword v14, v[4:5] offset:1024
	flat_load_dword v15, v[4:5] offset:2048
	;; [unrolled: 1-line block ×3, first 2 shown]
	v_add_co_u32_e32 v4, vcc, 0x2000, v2
	s_movk_i32 s9, 0x1000
	s_nop 0
	v_addc_co_u32_e32 v5, vcc, 0, v3, vcc
	v_add_co_u32_e32 v6, vcc, 0x3000, v2
	s_movk_i32 s8, 0x2000
	s_nop 0
	v_addc_co_u32_e32 v7, vcc, 0, v3, vcc
	flat_load_dword v17, v[4:5]
	flat_load_dword v18, v[4:5] offset:1024
	flat_load_dword v19, v[4:5] offset:2048
	;; [unrolled: 1-line block ×3, first 2 shown]
	flat_load_dword v21, v[6:7]
	flat_load_dword v22, v[6:7] offset:1024
	flat_load_dword v23, v[6:7] offset:2048
	;; [unrolled: 1-line block ×3, first 2 shown]
	v_add_co_u32_e32 v4, vcc, 0x4000, v2
	s_movk_i32 s7, 0x3000
	s_nop 0
	v_addc_co_u32_e32 v5, vcc, 0, v3, vcc
	v_add_co_u32_e32 v2, vcc, 0x5000, v2
	s_movk_i32 s6, 0x4000
	s_nop 0
	v_addc_co_u32_e32 v3, vcc, 0, v3, vcc
	flat_load_dword v6, v[4:5]
	flat_load_dword v7, v[4:5] offset:1024
	flat_load_dword v25, v[4:5] offset:2048
	;; [unrolled: 1-line block ×3, first 2 shown]
	flat_load_dword v27, v[2:3]
	flat_load_dword v28, v[2:3] offset:1024
	flat_load_dword v29, v[2:3] offset:2048
	v_mov_b32_e32 v2, s70
	v_mov_b32_e32 v3, s71
	v_add_co_u32_e32 v2, vcc, 0x5000, v2
	s_movk_i32 s3, 0x5000
	s_nop 0
	v_addc_co_u32_e32 v3, vcc, 0, v3, vcc
	s_waitcnt vmcnt(0) lgkmcnt(0)
	ds_write2st64_b32 v10, v1, v8 offset1:4
	ds_write2st64_b32 v10, v9, v12 offset0:8 offset1:12
	ds_write2st64_b32 v10, v13, v14 offset0:16 offset1:20
	;; [unrolled: 1-line block ×10, first 2 shown]
	ds_write_b32 v10, v29 offset:22528
	s_waitcnt lgkmcnt(0)
	s_barrier
	flat_load_dword v70, v[2:3] offset:3072
	v_mad_u32_u24 v1, v0, s4, v10
	s_movk_i32 s4, 0xffa8
	v_mad_i32_i24 v26, v0, s4, v1
	s_movk_i32 s4, 0xff
	v_cmp_ne_u32_e32 vcc, s4, v0
	ds_read_b32 v48, v1
	ds_read2_b32 v[24:25], v1 offset0:1 offset1:2
	ds_read2_b32 v[22:23], v1 offset0:3 offset1:4
	;; [unrolled: 1-line block ×11, first 2 shown]
	s_waitcnt lgkmcnt(0)
	ds_write_b32 v26, v48 offset:24576
	s_waitcnt lgkmcnt(0)
	s_barrier
	s_and_saveexec_b64 s[4:5], vcc
	s_cbranch_execz .LBB1790_145
; %bb.144:
	s_waitcnt vmcnt(0)
	ds_read_b32 v70, v10 offset:24580
.LBB1790_145:
	s_or_b64 exec, exec, s[4:5]
	v_lshl_add_u64 v[26:27], s[68:69], 0, v[10:11]
	v_add_co_u32_e32 v28, vcc, s9, v26
	s_waitcnt lgkmcnt(0)
	s_nop 0
	v_addc_co_u32_e32 v29, vcc, 0, v27, vcc
	s_barrier
	flat_load_dword v11, v[26:27]
	flat_load_dword v32, v[26:27] offset:1024
	flat_load_dword v33, v[26:27] offset:2048
	;; [unrolled: 1-line block ×3, first 2 shown]
	flat_load_dword v35, v[28:29]
	flat_load_dword v36, v[28:29] offset:1024
	flat_load_dword v37, v[28:29] offset:2048
	;; [unrolled: 1-line block ×3, first 2 shown]
	v_add_co_u32_e32 v28, vcc, s8, v26
	v_cmp_eq_u32_e64 s[4:5], v48, v24
	s_nop 0
	v_addc_co_u32_e32 v29, vcc, 0, v27, vcc
	v_add_co_u32_e32 v30, vcc, s7, v26
	s_waitcnt vmcnt(0) lgkmcnt(0)
	v_cvt_f32_u32_e32 v11, v11
	v_addc_co_u32_e32 v31, vcc, 0, v27, vcc
	flat_load_dword v39, v[28:29]
	flat_load_dword v40, v[28:29] offset:1024
	flat_load_dword v41, v[28:29] offset:2048
	;; [unrolled: 1-line block ×3, first 2 shown]
	flat_load_dword v43, v[30:31]
	flat_load_dword v44, v[30:31] offset:1024
	flat_load_dword v45, v[30:31] offset:2048
	;; [unrolled: 1-line block ×3, first 2 shown]
	v_add_co_u32_e32 v28, vcc, s6, v26
	s_nop 1
	v_addc_co_u32_e32 v29, vcc, 0, v27, vcc
	v_add_co_u32_e32 v26, vcc, s3, v26
	s_nop 1
	v_addc_co_u32_e32 v27, vcc, 0, v27, vcc
	flat_load_dword v30, v[28:29]
	flat_load_dword v31, v[28:29] offset:1024
	flat_load_dword v47, v[28:29] offset:2048
	;; [unrolled: 1-line block ×3, first 2 shown]
	flat_load_dword v50, v[26:27]
	flat_load_dword v51, v[26:27] offset:1024
	flat_load_dword v52, v[26:27] offset:2048
	v_cvt_f32_u32_e32 v26, v32
	v_cvt_f32_u32_e32 v27, v33
	;; [unrolled: 1-line block ×7, first 2 shown]
	ds_write2st64_b32 v10, v11, v26 offset1:4
	ds_write2st64_b32 v10, v27, v28 offset0:8 offset1:12
	v_cmp_ne_u32_e32 vcc, v48, v24
	v_mov_b32_e32 v48, s76
	s_waitcnt vmcnt(0) lgkmcnt(0)
	v_cvt_f32_u32_e32 v35, v39
	v_cvt_f32_u32_e32 v36, v40
	v_cvt_f32_u32_e32 v37, v41
	v_cvt_f32_u32_e32 v38, v42
	v_cvt_f32_u32_e32 v39, v43
	v_cvt_f32_u32_e32 v40, v44
	v_cvt_f32_u32_e32 v41, v45
	v_cvt_f32_u32_e32 v42, v46
	v_cvt_f32_u32_e32 v11, v30
	v_cvt_f32_u32_e32 v26, v31
	v_cvt_f32_u32_e32 v27, v47
	v_cvt_f32_u32_e32 v28, v49
	v_cvt_f32_u32_e32 v30, v50
	v_cvt_f32_u32_e32 v31, v51
	v_cvt_f32_u32_e32 v43, v52
	ds_write2st64_b32 v10, v29, v32 offset0:16 offset1:20
	ds_write2st64_b32 v10, v33, v34 offset0:24 offset1:28
	ds_write2st64_b32 v10, v35, v36 offset0:32 offset1:36
	ds_write2st64_b32 v10, v37, v38 offset0:40 offset1:44
	ds_write2st64_b32 v10, v39, v40 offset0:48 offset1:52
	ds_write2st64_b32 v10, v41, v42 offset0:56 offset1:60
	ds_write2st64_b32 v10, v11, v26 offset0:64 offset1:68
	ds_write2st64_b32 v10, v27, v28 offset0:72 offset1:76
	ds_write2st64_b32 v10, v30, v31 offset0:80 offset1:84
	ds_write_b32 v10, v43 offset:22528
	s_waitcnt lgkmcnt(0)
	s_barrier
	ds_read2_b32 v[46:47], v1 offset0:1 offset1:2
	ds_read2_b32 v[44:45], v1 offset0:3 offset1:4
	;; [unrolled: 1-line block ×11, first 2 shown]
	s_and_saveexec_b64 s[6:7], s[4:5]
	s_cbranch_execz .LBB1790_147
; %bb.146:
	ds_read_b32 v48, v1
.LBB1790_147:
	s_or_b64 exec, exec, s[6:7]
	v_cmp_ne_u32_e64 s[8:9], v23, v20
	v_cmp_ne_u32_e64 s[42:43], v5, v2
	;; [unrolled: 1-line block ×3, first 2 shown]
	v_mov_b32_e32 v2, s76
	v_cndmask_b32_e64 v1, 0, 1, vcc
	v_cmp_ne_u32_e32 vcc, v24, v25
	v_cmp_ne_u32_e64 s[4:5], v25, v22
	v_cmp_ne_u32_e64 s[6:7], v22, v23
	v_cndmask_b32_e64 v53, 0, 1, s[8:9]
	v_cmp_ne_u32_e64 s[10:11], v20, v21
	v_cmp_ne_u32_e64 s[12:13], v21, v18
	;; [unrolled: 1-line block ×15, first 2 shown]
	s_waitcnt lgkmcnt(9)
	v_cndmask_b32_e64 v45, v45, v2, s[8:9]
	v_cmp_ne_u32_e64 s[8:9], v3, v70
	v_cndmask_b32_e64 v49, 0, 1, vcc
	v_cndmask_b32_e64 v50, 0, 1, s[4:5]
	v_cndmask_b32_e64 v51, 0, 1, s[6:7]
	;; [unrolled: 1-line block ×19, first 2 shown]
	v_cndmask_b32_e32 v24, v46, v2, vcc
	v_cndmask_b32_e64 v46, v47, v2, s[4:5]
	v_cndmask_b32_e64 v44, v44, v2, s[6:7]
	s_waitcnt lgkmcnt(8)
	v_cndmask_b32_e64 v42, v42, v2, s[10:11]
	v_cndmask_b32_e64 v43, v43, v2, s[12:13]
	s_waitcnt lgkmcnt(7)
	v_cndmask_b32_e64 v40, v40, v2, s[14:15]
	v_cndmask_b32_e64 v41, v41, v2, s[16:17]
	s_waitcnt lgkmcnt(6)
	v_cndmask_b32_e64 v38, v38, v2, s[18:19]
	v_cndmask_b32_e64 v39, v39, v2, s[20:21]
	s_waitcnt lgkmcnt(5)
	v_cndmask_b32_e64 v36, v36, v2, s[22:23]
	v_cndmask_b32_e64 v37, v37, v2, s[24:25]
	s_waitcnt lgkmcnt(4)
	v_cndmask_b32_e64 v34, v34, v2, s[26:27]
	v_cndmask_b32_e64 v35, v35, v2, s[28:29]
	s_waitcnt lgkmcnt(3)
	v_cndmask_b32_e64 v32, v32, v2, s[30:31]
	v_cndmask_b32_e64 v33, v33, v2, s[34:35]
	s_waitcnt lgkmcnt(2)
	v_cndmask_b32_e64 v30, v30, v2, s[36:37]
	v_cndmask_b32_e64 v31, v31, v2, s[38:39]
	s_waitcnt lgkmcnt(1)
	v_cndmask_b32_e64 v28, v28, v2, s[40:41]
	v_cndmask_b32_e64 v29, v29, v2, s[42:43]
	s_waitcnt lgkmcnt(0)
	v_cndmask_b32_e64 v26, v26, v2, s[44:45]
	v_cndmask_b32_e64 v27, v27, v2, s[8:9]
	s_mov_b64 s[10:11], -1
                                        ; implicit-def: $sgpr6
                                        ; implicit-def: $sgpr3
.LBB1790_148:
	v_mov_b32_e32 v11, s3
	v_mov_b32_e32 v16, s6
	s_and_saveexec_b64 s[4:5], s[10:11]
; %bb.149:
	v_cndmask_b32_e64 v11, 0, 1, s[8:9]
	v_mov_b32_e32 v16, v27
; %bb.150:
	s_or_b64 exec, exec, s[4:5]
	v_or_b32_e32 v2, v11, v52
	s_cmp_lg_u32 s2, 0
	v_add_f32_e32 v19, v24, v48
	v_or_b32_e32 v18, v2, v69
	v_lshrrev_b32_e32 v17, 5, v0
	v_cmp_gt_u32_e32 vcc, 64, v0
	s_barrier
	s_cbranch_scc0 .LBB1790_209
; %bb.151:
	v_mov_b32_e32 v6, 0
	v_cmp_eq_u16_sdwa s[50:51], v49, v6 src0_sel:BYTE_0 src1_sel:DWORD
	v_cmp_eq_u16_sdwa s[4:5], v50, v6 src0_sel:BYTE_0 src1_sel:DWORD
	v_cmp_eq_u16_sdwa s[6:7], v51, v6 src0_sel:BYTE_0 src1_sel:DWORD
	v_cndmask_b32_e64 v2, v24, v19, s[50:51]
	v_add_f32_e32 v2, v46, v2
	v_cndmask_b32_e64 v2, v46, v2, s[4:5]
	v_add_f32_e32 v2, v44, v2
	v_cndmask_b32_e64 v2, v44, v2, s[6:7]
	v_add_f32_e32 v2, v45, v2
	v_cmp_eq_u16_sdwa s[8:9], v53, v6 src0_sel:BYTE_0 src1_sel:DWORD
	v_cmp_eq_u16_sdwa s[10:11], v54, v6 src0_sel:BYTE_0 src1_sel:DWORD
	v_cmp_eq_u16_sdwa s[12:13], v55, v6 src0_sel:BYTE_0 src1_sel:DWORD
	v_cndmask_b32_e64 v2, v45, v2, s[8:9]
	v_add_f32_e32 v2, v42, v2
	v_cndmask_b32_e64 v2, v42, v2, s[10:11]
	v_add_f32_e32 v2, v43, v2
	v_cndmask_b32_e64 v2, v43, v2, s[12:13]
	v_add_f32_e32 v2, v40, v2
	;; [unrolled: 9-line block ×7, first 2 shown]
	v_cmp_eq_u16_sdwa s[46:47], v11, v6 src0_sel:BYTE_0 src1_sel:DWORD
	v_and_b32_e32 v3, 0xff, v1
	s_nop 0
	v_cndmask_b32_e64 v20, v16, v2, s[46:47]
	v_or_b32_e32 v2, v18, v68
	v_or_b32_e32 v2, v2, v67
	;; [unrolled: 1-line block ×19, first 2 shown]
	v_and_b32_e32 v2, 1, v2
	v_cmp_eq_u32_e64 s[46:47], 1, v2
	v_add_lshl_u32 v2, v17, v0, 3
	s_nop 0
	v_cndmask_b32_e64 v21, v3, 1, s[46:47]
	ds_write_b32 v2, v20
	ds_write_b8 v2, v21 offset:4
	s_waitcnt lgkmcnt(0)
	s_barrier
	s_and_saveexec_b64 s[48:49], vcc
	s_cbranch_execz .LBB1790_165
; %bb.152:
	v_lshrrev_b32_e32 v2, 3, v0
	v_add_lshl_u32 v4, v2, v10, 3
	ds_read2_b32 v[8:9], v4 offset0:2 offset1:4
	ds_read_b64 v[2:3], v4
	ds_read_u8 v7, v4 offset:12
	ds_read_u8 v12, v4 offset:20
	ds_read_b32 v14, v4 offset:24
	ds_read_u8 v15, v4 offset:28
	s_waitcnt lgkmcnt(0)
	v_add_f32_e32 v5, v2, v8
	v_cmp_eq_u16_sdwa s[46:47], v7, v6 src0_sel:BYTE_0 src1_sel:DWORD
	v_and_b32_e32 v13, 0xffffff00, v3
	s_nop 0
	v_cndmask_b32_e64 v8, v8, v5, s[46:47]
	v_add_f32_e32 v8, v9, v8
	v_cmp_eq_u16_sdwa s[46:47], v12, v6 src0_sel:BYTE_0 src1_sel:DWORD
	v_and_b32_e32 v5, 1, v3
	s_nop 0
	v_cndmask_b32_e64 v6, v9, v8, s[46:47]
	v_or_b32_e32 v8, v15, v12
	v_or_b32_e32 v7, v8, v7
	v_add_f32_e32 v6, v14, v6
	v_cmp_eq_u16_e64 s[46:47], 0, v15
	v_and_b32_e32 v7, 1, v7
	s_nop 0
	v_cndmask_b32_e64 v6, v14, v6, s[46:47]
	v_cmp_eq_u32_e64 s[46:47], 1, v7
	v_mbcnt_lo_u32_b32 v7, -1, 0
	v_mbcnt_hi_u32_b32 v7, -1, v7
	v_cndmask_b32_e64 v9, v5, 1, s[46:47]
	v_or_b32_e32 v8, v9, v13
	v_and_b32_e32 v12, 15, v7
	v_mov_b32_dpp v15, v6 row_shr:1 row_mask:0xf bank_mask:0xf
	v_mov_b32_dpp v14, v8 row_shr:1 row_mask:0xf bank_mask:0xf
	v_cmp_ne_u32_e64 s[46:47], 0, v12
	s_and_saveexec_b64 s[60:61], s[46:47]
; %bb.153:
	v_add_f32_e32 v8, v6, v15
	v_cmp_eq_u32_e64 s[46:47], 0, v9
	s_nop 1
	v_cndmask_b32_e64 v6, v6, v8, s[46:47]
	v_and_b32_e32 v8, 1, v9
	v_and_b32_e32 v9, 1, v14
	v_cmp_eq_u32_e64 s[46:47], 1, v8
	s_nop 1
	v_cndmask_b32_e64 v9, v9, 1, s[46:47]
	v_or_b32_e32 v8, v9, v13
; %bb.154:
	s_or_b64 exec, exec, s[60:61]
	v_mov_b32_dpp v14, v6 row_shr:2 row_mask:0xf bank_mask:0xf
	v_mov_b32_dpp v13, v8 row_shr:2 row_mask:0xf bank_mask:0xf
	v_cmp_lt_u32_e64 s[46:47], 1, v12
	s_and_saveexec_b64 s[60:61], s[46:47]
; %bb.155:
	v_add_f32_e32 v14, v6, v14
	v_cmp_eq_u32_e64 s[46:47], 0, v9
	v_and_b32_e32 v9, 1, v9
	v_and_b32_e32 v13, 1, v13
	v_cndmask_b32_e64 v6, v6, v14, s[46:47]
	v_cmp_eq_u32_e64 s[46:47], 1, v9
	s_movk_i32 s3, 0xff00
	s_nop 0
	v_cndmask_b32_e64 v9, v13, 1, s[46:47]
	v_and_or_b32 v8, v8, s3, v9
; %bb.156:
	s_or_b64 exec, exec, s[60:61]
	v_mov_b32_dpp v14, v6 row_shr:4 row_mask:0xf bank_mask:0xf
	v_mov_b32_dpp v13, v8 row_shr:4 row_mask:0xf bank_mask:0xf
	v_cmp_lt_u32_e64 s[46:47], 3, v12
	s_and_saveexec_b64 s[60:61], s[46:47]
; %bb.157:
	v_add_f32_e32 v14, v6, v14
	v_cmp_eq_u32_e64 s[46:47], 0, v9
	v_and_b32_e32 v9, 1, v9
	v_and_b32_e32 v13, 1, v13
	v_cndmask_b32_e64 v6, v6, v14, s[46:47]
	v_cmp_eq_u32_e64 s[46:47], 1, v9
	s_movk_i32 s3, 0xff00
	s_nop 0
	v_cndmask_b32_e64 v9, v13, 1, s[46:47]
	v_and_or_b32 v8, v8, s3, v9
; %bb.158:
	s_or_b64 exec, exec, s[60:61]
	v_mov_b32_dpp v14, v6 row_shr:8 row_mask:0xf bank_mask:0xf
	v_mov_b32_dpp v13, v8 row_shr:8 row_mask:0xf bank_mask:0xf
	v_cmp_lt_u32_e64 s[46:47], 7, v12
	s_and_saveexec_b64 s[60:61], s[46:47]
; %bb.159:
	v_add_f32_e32 v12, v6, v14
	v_cmp_eq_u32_e64 s[46:47], 0, v9
	v_and_b32_e32 v9, 1, v9
	s_movk_i32 s3, 0xff00
	v_cndmask_b32_e64 v6, v6, v12, s[46:47]
	v_and_b32_e32 v12, 1, v13
	v_cmp_eq_u32_e64 s[46:47], 1, v9
	s_nop 1
	v_cndmask_b32_e64 v9, v12, 1, s[46:47]
	v_and_or_b32 v8, v8, s3, v9
; %bb.160:
	s_or_b64 exec, exec, s[60:61]
	v_and_b32_e32 v14, 16, v7
	v_mov_b32_dpp v13, v6 row_bcast:15 row_mask:0xf bank_mask:0xf
	v_mov_b32_dpp v12, v8 row_bcast:15 row_mask:0xf bank_mask:0xf
	v_cmp_ne_u32_e64 s[46:47], 0, v14
	s_and_saveexec_b64 s[60:61], s[46:47]
; %bb.161:
	v_add_f32_e32 v13, v6, v13
	v_cmp_eq_u32_e64 s[46:47], 0, v9
	v_and_b32_e32 v9, 1, v9
	v_and_b32_e32 v12, 1, v12
	v_cndmask_b32_e64 v6, v6, v13, s[46:47]
	v_cmp_eq_u32_e64 s[46:47], 1, v9
	s_movk_i32 s3, 0xff00
	s_nop 0
	v_cndmask_b32_e64 v9, v12, 1, s[46:47]
	v_and_or_b32 v8, v8, s3, v9
; %bb.162:
	s_or_b64 exec, exec, s[60:61]
	v_mov_b32_dpp v13, v6 row_bcast:31 row_mask:0xf bank_mask:0xf
	v_mov_b32_dpp v12, v8 row_bcast:31 row_mask:0xf bank_mask:0xf
	v_cmp_lt_u32_e64 s[46:47], 31, v7
	s_and_saveexec_b64 s[60:61], s[46:47]
; %bb.163:
	v_add_f32_e32 v13, v6, v13
	v_cmp_eq_u32_e64 s[46:47], 0, v9
	v_and_b32_e32 v9, 1, v9
	v_and_b32_e32 v12, 1, v12
	v_cndmask_b32_e64 v6, v6, v13, s[46:47]
	v_cmp_eq_u32_e64 s[46:47], 1, v9
	s_movk_i32 s3, 0xff00
	s_nop 0
	v_cndmask_b32_e64 v9, v12, 1, s[46:47]
	v_and_or_b32 v8, v8, s3, v9
; %bb.164:
	s_or_b64 exec, exec, s[60:61]
	v_add_u32_e32 v9, -1, v7
	v_and_b32_e32 v12, 64, v7
	v_cmp_lt_i32_e64 s[46:47], v9, v12
	; wave barrier
	s_nop 1
	v_cndmask_b32_e64 v7, v9, v7, s[46:47]
	v_lshlrev_b32_e32 v7, 2, v7
	ds_bpermute_b32 v6, v7, v6
	ds_bpermute_b32 v7, v7, v8
	v_mov_b32_e32 v8, 0
	v_cmp_eq_u32_sdwa s[46:47], v3, v8 src0_sel:BYTE_0 src1_sel:DWORD
	s_waitcnt lgkmcnt(0)
	v_add_f32_e32 v6, v2, v6
	v_cndmask_b32_e64 v2, v2, v6, s[46:47]
	v_and_b32_e32 v3, 1, v7
	v_cmp_eq_u32_e64 s[46:47], 1, v5
	s_nop 1
	v_cndmask_b32_e64 v3, v3, 1, s[46:47]
	v_cmp_eq_u32_e64 s[46:47], 0, v0
	s_nop 1
	v_cndmask_b32_e64 v5, v2, v20, s[46:47]
	v_cndmask_b32_e64 v6, v3, v21, s[46:47]
	ds_write_b32 v4, v5
	ds_write_b8 v4, v6 offset:4
	; wave barrier
	ds_read2_b32 v[2:3], v4 offset0:2 offset1:4
	ds_read_u8 v7, v4 offset:12
	ds_read_u8 v8, v4 offset:20
	ds_read_b32 v9, v4 offset:24
	ds_read_u8 v12, v4 offset:28
	s_waitcnt lgkmcnt(0)
	v_add_f32_e32 v5, v5, v2
	v_cmp_eq_u16_e64 s[46:47], 0, v7
	s_nop 1
	v_cndmask_b32_e64 v2, v2, v5, s[46:47]
	v_and_b32_e32 v5, 1, v7
	v_cmp_eq_u32_e64 s[46:47], 1, v5
	s_nop 1
	v_cndmask_b32_e64 v5, v6, 1, s[46:47]
	v_add_f32_e32 v6, v2, v3
	v_cmp_eq_u16_e64 s[46:47], 0, v8
	ds_write_b8 v4, v5 offset:12
	s_nop 0
	v_cndmask_b32_e64 v3, v3, v6, s[46:47]
	v_and_b32_e32 v6, 1, v8
	v_cmp_eq_u32_e64 s[46:47], 1, v6
	s_nop 1
	v_cndmask_b32_e64 v5, v5, 1, s[46:47]
	ds_write2_b32 v4, v2, v3 offset0:2 offset1:4
	ds_write_b8 v4, v5 offset:20
	v_add_f32_e32 v2, v3, v9
	v_cmp_eq_u16_e64 s[46:47], 0, v12
	v_and_b32_e32 v3, 1, v12
	s_nop 0
	v_cndmask_b32_e64 v2, v9, v2, s[46:47]
	v_cmp_eq_u32_e64 s[46:47], 1, v3
	s_nop 1
	v_cndmask_b32_e64 v3, v5, 1, s[46:47]
	ds_write_b32 v4, v2 offset:24
	ds_write_b8 v4, v3 offset:28
.LBB1790_165:
	s_or_b64 exec, exec, s[48:49]
	v_cmp_eq_u32_e64 s[46:47], 0, v0
	v_cmp_ne_u32_e64 s[48:49], 0, v0
	s_waitcnt lgkmcnt(0)
	s_barrier
	s_and_saveexec_b64 s[60:61], s[48:49]
	s_cbranch_execz .LBB1790_167
; %bb.166:
	v_add_u32_e32 v2, -1, v0
	v_lshrrev_b32_e32 v3, 5, v2
	v_add_lshl_u32 v2, v3, v2, 3
	ds_read_b32 v20, v2
	ds_read_u8 v21, v2 offset:4
.LBB1790_167:
	s_or_b64 exec, exec, s[60:61]
	s_and_saveexec_b64 s[60:61], vcc
	s_cbranch_execz .LBB1790_208
; %bb.168:
	v_mov_b32_e32 v5, 0
	ds_read_b64 v[2:3], v5 offset:2096
	v_mbcnt_lo_u32_b32 v4, -1, 0
	v_mbcnt_hi_u32_b32 v13, -1, v4
	s_mov_b32 s71, 0
	v_cmp_eq_u32_e64 s[48:49], 0, v13
	s_waitcnt lgkmcnt(0)
	v_readfirstlane_b32 s3, v3
	s_and_saveexec_b64 s[68:69], s[48:49]
	s_cbranch_execz .LBB1790_170
; %bb.169:
	s_add_i32 s70, s2, 64
	s_lshl_b64 s[72:73], s[70:71], 4
	s_add_u32 s72, s56, s72
	s_addc_u32 s73, s57, s73
	s_and_b32 s75, s3, 0xff000000
	s_mov_b32 s74, s71
	s_and_b32 s79, s3, 0xff0000
	s_mov_b32 s78, s71
	s_or_b64 s[74:75], s[78:79], s[74:75]
	s_and_b32 s79, s3, 0xff00
	s_or_b64 s[74:75], s[74:75], s[78:79]
	s_and_b32 s79, s3, 0xff
	s_or_b64 s[70:71], s[74:75], s[78:79]
	v_mov_b32_e32 v3, s71
	v_mov_b32_e32 v4, 1
	v_mov_b64_e32 v[6:7], s[72:73]
	;;#ASMSTART
	global_store_dwordx4 v[6:7], v[2:5] off sc1	
s_waitcnt vmcnt(0)
	;;#ASMEND
.LBB1790_170:
	s_or_b64 exec, exec, s[68:69]
	v_xad_u32 v12, v13, -1, s2
	v_add_u32_e32 v4, 64, v12
	v_lshl_add_u64 v[14:15], v[4:5], 4, s[56:57]
	;;#ASMSTART
	global_load_dwordx4 v[6:9], v[14:15] off sc1	
s_waitcnt vmcnt(0)
	;;#ASMEND
	s_nop 0
	v_cmp_eq_u16_sdwa s[70:71], v8, v5 src0_sel:BYTE_0 src1_sel:DWORD
	s_and_saveexec_b64 s[68:69], s[70:71]
	s_cbranch_execz .LBB1790_174
; %bb.171:
	s_mov_b64 s[70:71], 0
	v_mov_b32_e32 v3, 0
.LBB1790_172:                           ; =>This Inner Loop Header: Depth=1
	;;#ASMSTART
	global_load_dwordx4 v[6:9], v[14:15] off sc1	
s_waitcnt vmcnt(0)
	;;#ASMEND
	s_nop 0
	v_cmp_ne_u16_sdwa s[72:73], v8, v3 src0_sel:BYTE_0 src1_sel:DWORD
	s_or_b64 s[70:71], s[72:73], s[70:71]
	s_andn2_b64 exec, exec, s[70:71]
	s_cbranch_execnz .LBB1790_172
; %bb.173:
	s_or_b64 exec, exec, s[70:71]
.LBB1790_174:
	s_or_b64 exec, exec, s[68:69]
	v_mov_b32_e32 v3, 2
	v_cmp_eq_u16_sdwa s[68:69], v8, v3 src0_sel:BYTE_0 src1_sel:DWORD
	v_lshlrev_b64 v[4:5], v13, -1
	v_and_b32_e32 v14, 0xff, v7
	v_and_b32_e32 v3, s69, v5
	v_or_b32_e32 v3, 0x80000000, v3
	v_ffbl_b32_e32 v25, v3
	v_and_b32_e32 v3, 63, v13
	v_cmp_ne_u32_e32 vcc, 63, v3
	v_and_b32_e32 v9, s68, v4
	v_add_u32_e32 v25, 32, v25
	v_addc_co_u32_e32 v15, vcc, 0, v13, vcc
	v_lshlrev_b32_e32 v22, 2, v15
	ds_bpermute_b32 v23, v22, v6
	ds_bpermute_b32 v15, v22, v14
	v_ffbl_b32_e32 v9, v9
	v_min_u32_e32 v9, v9, v25
	v_cmp_lt_u32_e32 vcc, v3, v9
	s_and_saveexec_b64 s[68:69], vcc
	s_cbranch_execz .LBB1790_176
; %bb.175:
	v_mov_b32_e32 v14, 0
	s_waitcnt lgkmcnt(0)
	v_add_f32_e32 v23, v6, v23
	v_cmp_eq_u16_sdwa vcc, v7, v14 src0_sel:BYTE_0 src1_sel:DWORD
	v_and_b32_e32 v7, 1, v7
	v_and_b32_e32 v14, 1, v15
	v_cndmask_b32_e32 v6, v6, v23, vcc
	v_cmp_eq_u32_e32 vcc, 1, v7
	s_nop 1
	v_cndmask_b32_e64 v7, v14, 1, vcc
	v_and_b32_e32 v14, 0xffff, v7
.LBB1790_176:
	s_or_b64 exec, exec, s[68:69]
	v_cmp_gt_u32_e32 vcc, 62, v3
	v_add_u32_e32 v25, 2, v3
	s_waitcnt lgkmcnt(0)
	v_cndmask_b32_e64 v15, 0, 1, vcc
	v_lshlrev_b32_e32 v15, 1, v15
	v_add_lshl_u32 v23, v15, v13, 2
	ds_bpermute_b32 v27, v23, v6
	ds_bpermute_b32 v15, v23, v14
	v_cmp_le_u32_e32 vcc, v25, v9
	s_and_saveexec_b64 s[68:69], vcc
	s_cbranch_execz .LBB1790_178
; %bb.177:
	v_mov_b32_e32 v14, 0
	s_waitcnt lgkmcnt(0)
	v_add_f32_e32 v27, v6, v27
	v_cmp_eq_u16_sdwa vcc, v7, v14 src0_sel:BYTE_0 src1_sel:DWORD
	v_and_b32_e32 v7, 1, v7
	v_and_b32_e32 v14, 1, v15
	v_cndmask_b32_e32 v6, v6, v27, vcc
	v_cmp_eq_u32_e32 vcc, 1, v7
	s_nop 1
	v_cndmask_b32_e64 v7, v14, 1, vcc
	v_and_b32_e32 v14, 0xffff, v7
.LBB1790_178:
	s_or_b64 exec, exec, s[68:69]
	v_cmp_gt_u32_e32 vcc, 60, v3
	v_add_u32_e32 v47, 4, v3
	s_waitcnt lgkmcnt(0)
	v_cndmask_b32_e64 v15, 0, 1, vcc
	v_lshlrev_b32_e32 v15, 2, v15
	v_add_lshl_u32 v27, v15, v13, 2
	s_waitcnt vmcnt(0)
	ds_bpermute_b32 v70, v27, v6
	ds_bpermute_b32 v15, v27, v14
	v_cmp_le_u32_e32 vcc, v47, v9
	s_and_saveexec_b64 s[68:69], vcc
	s_cbranch_execz .LBB1790_180
; %bb.179:
	v_mov_b32_e32 v14, 0
	s_waitcnt lgkmcnt(1)
	v_add_f32_e32 v70, v6, v70
	v_cmp_eq_u16_sdwa vcc, v7, v14 src0_sel:BYTE_0 src1_sel:DWORD
	v_and_b32_e32 v7, 1, v7
	s_waitcnt lgkmcnt(0)
	v_and_b32_e32 v14, 1, v15
	v_cndmask_b32_e32 v6, v6, v70, vcc
	v_cmp_eq_u32_e32 vcc, 1, v7
	s_nop 1
	v_cndmask_b32_e64 v7, v14, 1, vcc
	v_and_b32_e32 v14, 0xffff, v7
.LBB1790_180:
	s_or_b64 exec, exec, s[68:69]
	v_cmp_gt_u32_e32 vcc, 56, v3
	v_add_u32_e32 v71, 8, v3
	s_waitcnt lgkmcnt(0)
	v_cndmask_b32_e64 v15, 0, 1, vcc
	v_lshlrev_b32_e32 v15, 3, v15
	v_add_lshl_u32 v70, v15, v13, 2
	ds_bpermute_b32 v72, v70, v6
	ds_bpermute_b32 v15, v70, v14
	v_cmp_le_u32_e32 vcc, v71, v9
	s_and_saveexec_b64 s[68:69], vcc
	s_cbranch_execz .LBB1790_182
; %bb.181:
	v_mov_b32_e32 v14, 0
	s_waitcnt lgkmcnt(1)
	v_add_f32_e32 v72, v6, v72
	v_cmp_eq_u16_sdwa vcc, v7, v14 src0_sel:BYTE_0 src1_sel:DWORD
	v_and_b32_e32 v7, 1, v7
	s_waitcnt lgkmcnt(0)
	v_and_b32_e32 v14, 1, v15
	v_cndmask_b32_e32 v6, v6, v72, vcc
	v_cmp_eq_u32_e32 vcc, 1, v7
	s_nop 1
	v_cndmask_b32_e64 v7, v14, 1, vcc
	v_and_b32_e32 v14, 0xffff, v7
.LBB1790_182:
	s_or_b64 exec, exec, s[68:69]
	v_cmp_gt_u32_e32 vcc, 48, v3
	v_add_u32_e32 v73, 16, v3
	s_waitcnt lgkmcnt(0)
	v_cndmask_b32_e64 v15, 0, 1, vcc
	v_lshlrev_b32_e32 v15, 4, v15
	v_add_lshl_u32 v72, v15, v13, 2
	;; [unrolled: 26-line block ×3, first 2 shown]
	ds_bpermute_b32 v15, v75, v6
	ds_bpermute_b32 v13, v75, v14
	v_cmp_le_u32_e32 vcc, v77, v9
	s_and_saveexec_b64 s[68:69], vcc
	s_cbranch_execz .LBB1790_186
; %bb.185:
	v_mov_b32_e32 v9, 0
	s_waitcnt lgkmcnt(1)
	v_add_f32_e32 v14, v6, v15
	v_cmp_eq_u16_sdwa vcc, v7, v9 src0_sel:BYTE_0 src1_sel:DWORD
	v_and_b32_e32 v7, 1, v7
	s_waitcnt lgkmcnt(0)
	v_and_b32_e32 v9, 1, v13
	v_cndmask_b32_e32 v6, v6, v14, vcc
	v_cmp_eq_u32_e32 vcc, 1, v7
	s_nop 1
	v_cndmask_b32_e64 v7, v9, 1, vcc
.LBB1790_186:
	s_or_b64 exec, exec, s[68:69]
	s_waitcnt lgkmcnt(0)
	v_mov_b32_e32 v13, 0
	v_mov_b32_e32 v78, 2
	s_branch .LBB1790_188
.LBB1790_187:                           ;   in Loop: Header=BB1790_188 Depth=1
	s_or_b64 exec, exec, s[68:69]
	s_waitcnt lgkmcnt(0)
	ds_bpermute_b32 v15, v75, v6
	ds_bpermute_b32 v14, v75, v14
	v_and_b32_e32 v79, 1, v7
	v_cmp_eq_u16_sdwa vcc, v7, v13 src0_sel:BYTE_0 src1_sel:DWORD
	v_subrev_u32_e32 v12, 64, v12
	s_waitcnt lgkmcnt(1)
	v_add_f32_e32 v15, v6, v15
	v_cndmask_b32_e32 v15, v6, v15, vcc
	v_cmp_eq_u32_e32 vcc, 1, v79
	s_waitcnt lgkmcnt(0)
	s_nop 0
	v_cndmask_b32_e64 v14, v14, 1, vcc
	v_cmp_gt_u32_e32 vcc, v77, v9
	v_and_b32_e32 v9, 1, v74
	s_nop 0
	v_cndmask_b32_e32 v6, v15, v6, vcc
	v_cndmask_b32_e32 v7, v14, v7, vcc
	v_add_f32_e32 v6, v76, v6
	v_cmp_eq_u16_sdwa vcc, v74, v13 src0_sel:BYTE_0 src1_sel:DWORD
	v_and_b32_e32 v7, 1, v7
	s_nop 0
	v_cndmask_b32_e32 v6, v76, v6, vcc
	v_cmp_eq_u32_e32 vcc, 1, v9
	s_nop 1
	v_cndmask_b32_e64 v7, v7, 1, vcc
.LBB1790_188:                           ; =>This Loop Header: Depth=1
                                        ;     Child Loop BB1790_191 Depth 2
	v_cmp_ne_u16_sdwa s[68:69], v8, v78 src0_sel:BYTE_0 src1_sel:DWORD
	v_mov_b32_e32 v74, v7
	v_mov_b32_e32 v76, v6
	v_cndmask_b32_e64 v7, 0, 1, s[68:69]
	;;#ASMSTART
	;;#ASMEND
	s_nop 0
	v_cmp_ne_u32_e32 vcc, 0, v7
	s_cmp_lg_u64 vcc, exec
	s_cbranch_scc1 .LBB1790_203
; %bb.189:                              ;   in Loop: Header=BB1790_188 Depth=1
	v_lshl_add_u64 v[14:15], v[12:13], 4, s[56:57]
	;;#ASMSTART
	global_load_dwordx4 v[6:9], v[14:15] off sc1	
s_waitcnt vmcnt(0)
	;;#ASMEND
	s_nop 0
	v_cmp_eq_u16_sdwa s[70:71], v8, v13 src0_sel:BYTE_0 src1_sel:DWORD
	s_and_saveexec_b64 s[68:69], s[70:71]
	s_cbranch_execz .LBB1790_193
; %bb.190:                              ;   in Loop: Header=BB1790_188 Depth=1
	s_mov_b64 s[70:71], 0
.LBB1790_191:                           ;   Parent Loop BB1790_188 Depth=1
                                        ; =>  This Inner Loop Header: Depth=2
	;;#ASMSTART
	global_load_dwordx4 v[6:9], v[14:15] off sc1	
s_waitcnt vmcnt(0)
	;;#ASMEND
	s_nop 0
	v_cmp_ne_u16_sdwa s[72:73], v8, v13 src0_sel:BYTE_0 src1_sel:DWORD
	s_or_b64 s[70:71], s[72:73], s[70:71]
	s_andn2_b64 exec, exec, s[70:71]
	s_cbranch_execnz .LBB1790_191
; %bb.192:                              ;   in Loop: Header=BB1790_188 Depth=1
	s_or_b64 exec, exec, s[70:71]
.LBB1790_193:                           ;   in Loop: Header=BB1790_188 Depth=1
	s_or_b64 exec, exec, s[68:69]
	v_cmp_eq_u16_sdwa s[68:69], v8, v78 src0_sel:BYTE_0 src1_sel:DWORD
	v_and_b32_e32 v14, 0xff, v7
	ds_bpermute_b32 v79, v22, v6
	v_and_b32_e32 v9, s69, v5
	v_or_b32_e32 v9, 0x80000000, v9
	ds_bpermute_b32 v15, v22, v14
	v_and_b32_e32 v80, s68, v4
	v_ffbl_b32_e32 v9, v9
	v_add_u32_e32 v9, 32, v9
	v_ffbl_b32_e32 v80, v80
	v_min_u32_e32 v9, v80, v9
	v_cmp_lt_u32_e32 vcc, v3, v9
	s_and_saveexec_b64 s[68:69], vcc
	s_cbranch_execz .LBB1790_195
; %bb.194:                              ;   in Loop: Header=BB1790_188 Depth=1
	s_waitcnt lgkmcnt(1)
	v_add_f32_e32 v14, v6, v79
	v_cmp_eq_u16_sdwa vcc, v7, v13 src0_sel:BYTE_0 src1_sel:DWORD
	v_and_b32_e32 v7, 1, v7
	s_nop 0
	v_cndmask_b32_e32 v6, v6, v14, vcc
	s_waitcnt lgkmcnt(0)
	v_and_b32_e32 v14, 1, v15
	v_cmp_eq_u32_e32 vcc, 1, v7
	s_nop 1
	v_cndmask_b32_e64 v7, v14, 1, vcc
	v_and_b32_e32 v14, 0xffff, v7
.LBB1790_195:                           ;   in Loop: Header=BB1790_188 Depth=1
	s_or_b64 exec, exec, s[68:69]
	s_waitcnt lgkmcnt(1)
	ds_bpermute_b32 v79, v23, v6
	s_waitcnt lgkmcnt(1)
	ds_bpermute_b32 v15, v23, v14
	v_cmp_le_u32_e32 vcc, v25, v9
	s_and_saveexec_b64 s[68:69], vcc
	s_cbranch_execz .LBB1790_197
; %bb.196:                              ;   in Loop: Header=BB1790_188 Depth=1
	s_waitcnt lgkmcnt(1)
	v_add_f32_e32 v14, v6, v79
	v_cmp_eq_u16_sdwa vcc, v7, v13 src0_sel:BYTE_0 src1_sel:DWORD
	v_and_b32_e32 v7, 1, v7
	s_nop 0
	v_cndmask_b32_e32 v6, v6, v14, vcc
	s_waitcnt lgkmcnt(0)
	v_and_b32_e32 v14, 1, v15
	v_cmp_eq_u32_e32 vcc, 1, v7
	s_nop 1
	v_cndmask_b32_e64 v7, v14, 1, vcc
	v_and_b32_e32 v14, 0xffff, v7
.LBB1790_197:                           ;   in Loop: Header=BB1790_188 Depth=1
	s_or_b64 exec, exec, s[68:69]
	s_waitcnt lgkmcnt(1)
	ds_bpermute_b32 v79, v27, v6
	s_waitcnt lgkmcnt(1)
	ds_bpermute_b32 v15, v27, v14
	v_cmp_le_u32_e32 vcc, v47, v9
	;; [unrolled: 22-line block ×4, first 2 shown]
	s_and_saveexec_b64 s[68:69], vcc
	s_cbranch_execz .LBB1790_187
; %bb.202:                              ;   in Loop: Header=BB1790_188 Depth=1
	s_waitcnt lgkmcnt(1)
	v_add_f32_e32 v14, v6, v79
	v_cmp_eq_u16_sdwa vcc, v7, v13 src0_sel:BYTE_0 src1_sel:DWORD
	v_and_b32_e32 v7, 1, v7
	s_nop 0
	v_cndmask_b32_e32 v6, v6, v14, vcc
	s_waitcnt lgkmcnt(0)
	v_and_b32_e32 v14, 1, v15
	v_cmp_eq_u32_e32 vcc, 1, v7
	s_nop 1
	v_cndmask_b32_e64 v7, v14, 1, vcc
	v_and_b32_e32 v14, 0xffff, v7
	s_branch .LBB1790_187
.LBB1790_203:                           ;   in Loop: Header=BB1790_188 Depth=1
                                        ; implicit-def: $vgpr7
	s_cbranch_execz .LBB1790_188
; %bb.204:
	s_and_saveexec_b64 s[68:69], s[48:49]
	s_cbranch_execz .LBB1790_206
; %bb.205:
	s_and_b32 s48, s3, 0xff
	s_cmp_eq_u32 s48, 0
	s_cselect_b64 vcc, -1, 0
	s_bitcmp1_b32 s3, 0
	s_mov_b32 s49, 0
	s_cselect_b64 s[70:71], -1, 0
	s_add_i32 s48, s2, 64
	s_lshl_b64 s[2:3], s[48:49], 4
	v_add_f32_e32 v3, v76, v2
	s_add_u32 s2, s56, s2
	v_cndmask_b32_e32 v2, v2, v3, vcc
	v_and_b32_e32 v3, 1, v74
	s_addc_u32 s3, s57, s3
	v_cndmask_b32_e64 v3, v3, 1, s[70:71]
	v_mov_b32_e32 v4, 2
	v_mov_b32_e32 v5, 0
	v_mov_b64_e32 v[6:7], s[2:3]
	;;#ASMSTART
	global_store_dwordx4 v[6:7], v[2:5] off sc1	
s_waitcnt vmcnt(0)
	;;#ASMEND
.LBB1790_206:
	s_or_b64 exec, exec, s[68:69]
	s_and_b64 exec, exec, s[46:47]
	s_cbranch_execz .LBB1790_208
; %bb.207:
	v_mov_b32_e32 v2, 0
	ds_write_b32 v2, v76
	ds_write_b8 v2, v74 offset:4
.LBB1790_208:
	s_or_b64 exec, exec, s[60:61]
	v_mov_b32_e32 v2, 0
	s_waitcnt lgkmcnt(0)
	s_barrier
	ds_read_b32 v3, v2
	v_cmp_eq_u32_e32 vcc, 0, v21
	s_waitcnt lgkmcnt(0)
	v_add_f32_e32 v4, v20, v3
	v_cndmask_b32_e32 v4, v20, v4, vcc
	v_cndmask_b32_e64 v47, v4, v3, s[46:47]
	v_add_f32_e32 v3, v48, v47
	v_cmp_eq_u16_sdwa vcc, v1, v2 src0_sel:BYTE_0 src1_sel:DWORD
	s_waitcnt vmcnt(0)
	s_nop 0
	v_cndmask_b32_e32 v70, v48, v3, vcc
	v_add_f32_e32 v2, v24, v70
	v_cndmask_b32_e64 v71, v24, v2, s[50:51]
	v_add_f32_e32 v2, v46, v71
	v_cndmask_b32_e64 v72, v46, v2, s[4:5]
	;; [unrolled: 2-line block ×21, first 2 shown]
	s_branch .LBB1790_231
.LBB1790_209:
                                        ; implicit-def: $vgpr90
                                        ; implicit-def: $vgpr89
                                        ; implicit-def: $vgpr88
                                        ; implicit-def: $vgpr87
                                        ; implicit-def: $vgpr86
                                        ; implicit-def: $vgpr85
                                        ; implicit-def: $vgpr84
                                        ; implicit-def: $vgpr83
                                        ; implicit-def: $vgpr82
                                        ; implicit-def: $vgpr81
                                        ; implicit-def: $vgpr80
                                        ; implicit-def: $vgpr79
                                        ; implicit-def: $vgpr78
                                        ; implicit-def: $vgpr77
                                        ; implicit-def: $vgpr76
                                        ; implicit-def: $vgpr75
                                        ; implicit-def: $vgpr74
                                        ; implicit-def: $vgpr73
                                        ; implicit-def: $vgpr72
                                        ; implicit-def: $vgpr71
                                        ; implicit-def: $vgpr70
                                        ; implicit-def: $vgpr47
                                        ; implicit-def: $vgpr91
	s_cbranch_execz .LBB1790_231
; %bb.210:
	s_cmp_lg_u64 s[66:67], 0
	s_cselect_b32 s3, s63, 0
	s_cselect_b32 s2, s62, 0
	s_cmp_eq_u64 s[2:3], 0
	v_mov_b32_e32 v4, s76
	s_cbranch_scc1 .LBB1790_212
; %bb.211:
	v_mov_b32_e32 v2, 0
	global_load_dword v4, v2, s[2:3]
.LBB1790_212:
	v_mov_b32_e32 v9, 0
	v_cmp_eq_u16_sdwa vcc, v49, v9 src0_sel:BYTE_0 src1_sel:DWORD
	v_cmp_eq_u16_sdwa s[2:3], v50, v9 src0_sel:BYTE_0 src1_sel:DWORD
	v_cmp_eq_u16_sdwa s[4:5], v51, v9 src0_sel:BYTE_0 src1_sel:DWORD
	v_cndmask_b32_e32 v2, v24, v19, vcc
	v_add_f32_e32 v2, v46, v2
	v_cndmask_b32_e64 v2, v46, v2, s[2:3]
	v_add_f32_e32 v2, v44, v2
	v_cndmask_b32_e64 v2, v44, v2, s[4:5]
	v_add_f32_e32 v2, v45, v2
	v_cmp_eq_u16_sdwa s[6:7], v53, v9 src0_sel:BYTE_0 src1_sel:DWORD
	v_cmp_eq_u16_sdwa s[8:9], v54, v9 src0_sel:BYTE_0 src1_sel:DWORD
	v_cmp_eq_u16_sdwa s[10:11], v55, v9 src0_sel:BYTE_0 src1_sel:DWORD
	v_cndmask_b32_e64 v2, v45, v2, s[6:7]
	v_add_f32_e32 v2, v42, v2
	v_cndmask_b32_e64 v2, v42, v2, s[8:9]
	v_add_f32_e32 v2, v43, v2
	v_cndmask_b32_e64 v2, v43, v2, s[10:11]
	v_add_f32_e32 v2, v40, v2
	v_cmp_eq_u16_sdwa s[14:15], v56, v9 src0_sel:BYTE_0 src1_sel:DWORD
	v_cmp_eq_u16_sdwa s[16:17], v57, v9 src0_sel:BYTE_0 src1_sel:DWORD
	v_cmp_eq_u16_sdwa s[18:19], v58, v9 src0_sel:BYTE_0 src1_sel:DWORD
	v_cndmask_b32_e64 v2, v40, v2, s[14:15]
	;; [unrolled: 9-line block ×6, first 2 shown]
	v_add_f32_e32 v2, v29, v2
	v_cndmask_b32_e64 v2, v29, v2, s[42:43]
	v_add_f32_e32 v2, v26, v2
	v_cndmask_b32_e64 v2, v26, v2, s[12:13]
	v_add_f32_e32 v2, v16, v2
	v_cmp_eq_u16_sdwa s[44:45], v11, v9 src0_sel:BYTE_0 src1_sel:DWORD
	v_and_b32_e32 v3, 0xff, v1
	s_nop 0
	v_cndmask_b32_e64 v6, v16, v2, s[44:45]
	v_or_b32_e32 v2, v18, v68
	v_or_b32_e32 v2, v2, v67
	;; [unrolled: 1-line block ×19, first 2 shown]
	v_and_b32_e32 v2, 1, v2
	v_cmp_eq_u32_e64 s[44:45], 1, v2
	v_add_lshl_u32 v2, v17, v0, 3
	s_nop 0
	v_cndmask_b32_e64 v7, v3, 1, s[44:45]
	v_cmp_gt_u32_e64 s[44:45], 64, v0
	ds_write_b32 v2, v6
	ds_write_b8 v2, v7 offset:4
	s_waitcnt lgkmcnt(0)
	s_barrier
	s_and_saveexec_b64 s[46:47], s[44:45]
	s_cbranch_execz .LBB1790_226
; %bb.213:
	v_lshrrev_b32_e32 v2, 3, v0
	v_add_lshl_u32 v5, v2, v10, 3
	ds_read2_b32 v[12:13], v5 offset0:2 offset1:4
	ds_read_b64 v[2:3], v5
	ds_read_u8 v11, v5 offset:12
	ds_read_u8 v14, v5 offset:20
	ds_read_b32 v16, v5 offset:24
	ds_read_u8 v17, v5 offset:28
	s_waitcnt lgkmcnt(0)
	v_add_f32_e32 v8, v2, v12
	v_cmp_eq_u16_sdwa s[44:45], v11, v9 src0_sel:BYTE_0 src1_sel:DWORD
	v_and_b32_e32 v15, 0xffffff00, v3
	s_nop 0
	v_cndmask_b32_e64 v12, v12, v8, s[44:45]
	v_add_f32_e32 v12, v13, v12
	v_cmp_eq_u16_sdwa s[44:45], v14, v9 src0_sel:BYTE_0 src1_sel:DWORD
	v_and_b32_e32 v8, 1, v3
	s_nop 0
	v_cndmask_b32_e64 v9, v13, v12, s[44:45]
	v_or_b32_e32 v12, v17, v14
	v_or_b32_e32 v11, v12, v11
	v_add_f32_e32 v9, v16, v9
	v_cmp_eq_u16_e64 s[44:45], 0, v17
	v_and_b32_e32 v11, 1, v11
	s_nop 0
	v_cndmask_b32_e64 v9, v16, v9, s[44:45]
	v_cmp_eq_u32_e64 s[44:45], 1, v11
	v_mbcnt_lo_u32_b32 v11, -1, 0
	v_mbcnt_hi_u32_b32 v11, -1, v11
	v_cndmask_b32_e64 v13, v8, 1, s[44:45]
	v_or_b32_e32 v12, v13, v15
	v_and_b32_e32 v14, 15, v11
	v_mov_b32_dpp v17, v9 row_shr:1 row_mask:0xf bank_mask:0xf
	v_mov_b32_dpp v16, v12 row_shr:1 row_mask:0xf bank_mask:0xf
	v_cmp_ne_u32_e64 s[44:45], 0, v14
	s_and_saveexec_b64 s[48:49], s[44:45]
; %bb.214:
	v_add_f32_e32 v12, v9, v17
	v_cmp_eq_u32_e64 s[44:45], 0, v13
	s_nop 1
	v_cndmask_b32_e64 v9, v9, v12, s[44:45]
	v_and_b32_e32 v12, 1, v13
	v_and_b32_e32 v13, 1, v16
	v_cmp_eq_u32_e64 s[44:45], 1, v12
	s_nop 1
	v_cndmask_b32_e64 v13, v13, 1, s[44:45]
	v_or_b32_e32 v12, v13, v15
; %bb.215:
	s_or_b64 exec, exec, s[48:49]
	v_mov_b32_dpp v16, v9 row_shr:2 row_mask:0xf bank_mask:0xf
	v_mov_b32_dpp v15, v12 row_shr:2 row_mask:0xf bank_mask:0xf
	v_cmp_lt_u32_e64 s[44:45], 1, v14
	s_and_saveexec_b64 s[48:49], s[44:45]
; %bb.216:
	v_add_f32_e32 v16, v9, v16
	v_cmp_eq_u32_e64 s[44:45], 0, v13
	v_and_b32_e32 v13, 1, v13
	v_and_b32_e32 v15, 1, v15
	v_cndmask_b32_e64 v9, v9, v16, s[44:45]
	v_cmp_eq_u32_e64 s[44:45], 1, v13
	s_nop 1
	v_cndmask_b32_e64 v13, v15, 1, s[44:45]
	s_movk_i32 s44, 0xff00
	v_and_or_b32 v12, v12, s44, v13
; %bb.217:
	s_or_b64 exec, exec, s[48:49]
	v_mov_b32_dpp v16, v9 row_shr:4 row_mask:0xf bank_mask:0xf
	v_mov_b32_dpp v15, v12 row_shr:4 row_mask:0xf bank_mask:0xf
	v_cmp_lt_u32_e64 s[44:45], 3, v14
	s_and_saveexec_b64 s[48:49], s[44:45]
; %bb.218:
	v_add_f32_e32 v16, v9, v16
	v_cmp_eq_u32_e64 s[44:45], 0, v13
	v_and_b32_e32 v13, 1, v13
	v_and_b32_e32 v15, 1, v15
	v_cndmask_b32_e64 v9, v9, v16, s[44:45]
	v_cmp_eq_u32_e64 s[44:45], 1, v13
	s_nop 1
	v_cndmask_b32_e64 v13, v15, 1, s[44:45]
	s_movk_i32 s44, 0xff00
	v_and_or_b32 v12, v12, s44, v13
; %bb.219:
	s_or_b64 exec, exec, s[48:49]
	v_mov_b32_dpp v16, v9 row_shr:8 row_mask:0xf bank_mask:0xf
	v_mov_b32_dpp v15, v12 row_shr:8 row_mask:0xf bank_mask:0xf
	v_cmp_lt_u32_e64 s[44:45], 7, v14
	s_and_saveexec_b64 s[48:49], s[44:45]
; %bb.220:
	v_add_f32_e32 v14, v9, v16
	v_cmp_eq_u32_e64 s[44:45], 0, v13
	v_and_b32_e32 v13, 1, v13
	s_nop 0
	v_cndmask_b32_e64 v9, v9, v14, s[44:45]
	v_and_b32_e32 v14, 1, v15
	v_cmp_eq_u32_e64 s[44:45], 1, v13
	s_nop 1
	v_cndmask_b32_e64 v13, v14, 1, s[44:45]
	s_movk_i32 s44, 0xff00
	v_and_or_b32 v12, v12, s44, v13
; %bb.221:
	s_or_b64 exec, exec, s[48:49]
	v_and_b32_e32 v16, 16, v11
	v_mov_b32_dpp v15, v9 row_bcast:15 row_mask:0xf bank_mask:0xf
	v_mov_b32_dpp v14, v12 row_bcast:15 row_mask:0xf bank_mask:0xf
	v_cmp_ne_u32_e64 s[44:45], 0, v16
	s_and_saveexec_b64 s[48:49], s[44:45]
; %bb.222:
	v_add_f32_e32 v15, v9, v15
	v_cmp_eq_u32_e64 s[44:45], 0, v13
	v_and_b32_e32 v13, 1, v13
	v_and_b32_e32 v14, 1, v14
	v_cndmask_b32_e64 v9, v9, v15, s[44:45]
	v_cmp_eq_u32_e64 s[44:45], 1, v13
	s_nop 1
	v_cndmask_b32_e64 v13, v14, 1, s[44:45]
	s_movk_i32 s44, 0xff00
	v_and_or_b32 v12, v12, s44, v13
; %bb.223:
	s_or_b64 exec, exec, s[48:49]
	v_mov_b32_dpp v15, v9 row_bcast:31 row_mask:0xf bank_mask:0xf
	v_mov_b32_dpp v14, v12 row_bcast:31 row_mask:0xf bank_mask:0xf
	v_cmp_lt_u32_e64 s[44:45], 31, v11
	s_and_saveexec_b64 s[48:49], s[44:45]
; %bb.224:
	v_add_f32_e32 v15, v9, v15
	v_cmp_eq_u32_e64 s[44:45], 0, v13
	v_and_b32_e32 v13, 1, v13
	v_and_b32_e32 v14, 1, v14
	v_cndmask_b32_e64 v9, v9, v15, s[44:45]
	v_cmp_eq_u32_e64 s[44:45], 1, v13
	s_nop 1
	v_cndmask_b32_e64 v13, v14, 1, s[44:45]
	s_movk_i32 s44, 0xff00
	v_and_or_b32 v12, v12, s44, v13
; %bb.225:
	s_or_b64 exec, exec, s[48:49]
	v_add_u32_e32 v13, -1, v11
	v_and_b32_e32 v14, 64, v11
	v_cmp_lt_i32_e64 s[44:45], v13, v14
	; wave barrier
	s_nop 1
	v_cndmask_b32_e64 v11, v13, v11, s[44:45]
	v_lshlrev_b32_e32 v11, 2, v11
	ds_bpermute_b32 v9, v11, v9
	ds_bpermute_b32 v11, v11, v12
	v_mov_b32_e32 v12, 0
	v_cmp_eq_u32_sdwa s[44:45], v3, v12 src0_sel:BYTE_0 src1_sel:DWORD
	s_waitcnt lgkmcnt(0)
	v_add_f32_e32 v9, v2, v9
	v_cndmask_b32_e64 v2, v2, v9, s[44:45]
	v_and_b32_e32 v3, 1, v11
	v_cmp_eq_u32_e64 s[44:45], 1, v8
	s_nop 1
	v_cndmask_b32_e64 v3, v3, 1, s[44:45]
	v_cmp_eq_u32_e64 s[44:45], 0, v0
	s_nop 1
	v_cndmask_b32_e64 v6, v2, v6, s[44:45]
	v_cndmask_b32_e64 v7, v3, v7, s[44:45]
	ds_write_b32 v5, v6
	ds_write_b8 v5, v7 offset:4
	; wave barrier
	ds_read2_b32 v[2:3], v5 offset0:2 offset1:4
	ds_read_u8 v8, v5 offset:12
	ds_read_u8 v9, v5 offset:20
	ds_read_b32 v11, v5 offset:24
	ds_read_u8 v12, v5 offset:28
	s_waitcnt lgkmcnt(0)
	v_add_f32_e32 v6, v6, v2
	v_cmp_eq_u16_e64 s[44:45], 0, v8
	s_nop 1
	v_cndmask_b32_e64 v2, v2, v6, s[44:45]
	v_and_b32_e32 v6, 1, v8
	v_cmp_eq_u32_e64 s[44:45], 1, v6
	s_nop 1
	v_cndmask_b32_e64 v6, v7, 1, s[44:45]
	v_add_f32_e32 v7, v2, v3
	v_cmp_eq_u16_e64 s[44:45], 0, v9
	ds_write_b8 v5, v6 offset:12
	s_nop 0
	v_cndmask_b32_e64 v3, v3, v7, s[44:45]
	v_and_b32_e32 v7, 1, v9
	v_cmp_eq_u32_e64 s[44:45], 1, v7
	s_nop 1
	v_cndmask_b32_e64 v6, v6, 1, s[44:45]
	ds_write2_b32 v5, v2, v3 offset0:2 offset1:4
	ds_write_b8 v5, v6 offset:20
	v_add_f32_e32 v2, v3, v11
	v_cmp_eq_u16_e64 s[44:45], 0, v12
	v_and_b32_e32 v3, 1, v12
	s_nop 0
	v_cndmask_b32_e64 v2, v11, v2, s[44:45]
	v_cmp_eq_u32_e64 s[44:45], 1, v3
	s_nop 1
	v_cndmask_b32_e64 v3, v6, 1, s[44:45]
	ds_write_b32 v5, v2 offset:24
	ds_write_b8 v5, v3 offset:28
.LBB1790_226:
	s_or_b64 exec, exec, s[46:47]
	v_cmp_eq_u32_e64 s[44:45], 0, v0
	v_cmp_ne_u32_e64 s[46:47], 0, v0
	s_waitcnt vmcnt(0)
	v_mov_b32_e32 v47, v4
	s_waitcnt lgkmcnt(0)
	s_barrier
	s_and_saveexec_b64 s[48:49], s[46:47]
	s_cbranch_execz .LBB1790_228
; %bb.227:
	v_add_u32_e32 v2, -1, v0
	v_lshrrev_b32_e32 v3, 5, v2
	v_add_lshl_u32 v2, v3, v2, 3
	ds_read_b32 v3, v2
	ds_read_u8 v2, v2 offset:4
	s_waitcnt lgkmcnt(1)
	v_add_f32_e32 v5, v4, v3
	s_waitcnt lgkmcnt(0)
	v_cmp_eq_u16_e64 s[46:47], 0, v2
	s_nop 1
	v_cndmask_b32_e64 v47, v3, v5, s[46:47]
.LBB1790_228:
	s_or_b64 exec, exec, s[48:49]
	v_mov_b32_e32 v5, 0
	v_add_f32_e32 v2, v48, v47
	v_cmp_eq_u16_sdwa s[46:47], v1, v5 src0_sel:BYTE_0 src1_sel:DWORD
	s_nop 1
	v_cndmask_b32_e64 v70, v48, v2, s[46:47]
	v_add_f32_e32 v1, v24, v70
	v_cndmask_b32_e32 v71, v24, v1, vcc
	v_add_f32_e32 v1, v46, v71
	v_cndmask_b32_e64 v72, v46, v1, s[2:3]
	v_add_f32_e32 v1, v44, v72
	v_cndmask_b32_e64 v73, v44, v1, s[4:5]
	;; [unrolled: 2-line block ×19, first 2 shown]
	v_add_f32_e32 v1, v26, v90
	s_and_saveexec_b64 s[2:3], s[44:45]
	s_cbranch_execz .LBB1790_230
; %bb.229:
	ds_read_b32 v2, v5 offset:2096
	ds_read_u8 v3, v5 offset:2100
	s_add_u32 s4, s56, 0x400
	s_addc_u32 s5, s57, 0
	v_mov_b64_e32 v[6:7], s[4:5]
	s_waitcnt lgkmcnt(1)
	v_add_f32_e32 v4, v4, v2
	s_waitcnt lgkmcnt(0)
	v_cmp_eq_u16_e32 vcc, 0, v3
	v_and_b32_e32 v3, 0xffff, v3
	s_nop 0
	v_cndmask_b32_e32 v2, v2, v4, vcc
	v_mov_b32_e32 v4, 2
	;;#ASMSTART
	global_store_dwordx4 v[6:7], v[2:5] off sc1	
s_waitcnt vmcnt(0)
	;;#ASMEND
.LBB1790_230:
	s_or_b64 exec, exec, s[2:3]
	v_cndmask_b32_e64 v91, v26, v1, s[12:13]
.LBB1790_231:
	s_add_u32 s2, s54, s64
	s_addc_u32 s3, s55, s65
	s_add_u32 s2, s2, s52
	s_addc_u32 s3, s3, s53
	s_and_b64 vcc, exec, s[0:1]
	s_cbranch_vccz .LBB1790_277
; %bb.232:
	s_movk_i32 s0, 0x5c
	v_mul_i32_i24_e32 v28, 0xffffffa8, v0
	v_mul_u32_u24_e32 v1, 0x5c, v0
	v_mad_u32_u24 v2, v0, s0, v28
	s_barrier
	s_waitcnt vmcnt(0)
	ds_write2_b32 v1, v47, v70 offset1:1
	ds_write2_b32 v1, v71, v72 offset0:2 offset1:3
	ds_write2_b32 v1, v73, v74 offset0:4 offset1:5
	;; [unrolled: 1-line block ×10, first 2 shown]
	ds_write_b32 v1, v91 offset:88
	s_waitcnt lgkmcnt(0)
	s_barrier
	ds_read2st64_b32 v[26:27], v2 offset0:4 offset1:8
	ds_read2st64_b32 v[24:25], v2 offset0:12 offset1:16
	;; [unrolled: 1-line block ×11, first 2 shown]
	s_add_i32 s33, s33, s58
	v_mov_b32_e32 v11, 0
	v_lshl_add_u64 v[4:5], s[2:3], 0, v[10:11]
	v_cmp_gt_u32_e32 vcc, s33, v0
	s_and_saveexec_b64 s[0:1], vcc
	s_cbranch_execz .LBB1790_234
; %bb.233:
	v_add_u32_e32 v1, v1, v28
	ds_read_b32 v1, v1
	s_waitcnt lgkmcnt(0)
	v_cvt_i32_f32_e32 v1, v1
	flat_store_dword v[4:5], v1
.LBB1790_234:
	s_or_b64 exec, exec, s[0:1]
	v_or_b32_e32 v1, 0x100, v0
	v_cmp_gt_u32_e32 vcc, s33, v1
	s_and_saveexec_b64 s[0:1], vcc
	s_cbranch_execz .LBB1790_236
; %bb.235:
	s_waitcnt lgkmcnt(0)
	v_cvt_i32_f32_e32 v1, v26
	flat_store_dword v[4:5], v1 offset:1024
.LBB1790_236:
	s_or_b64 exec, exec, s[0:1]
	v_or_b32_e32 v1, 0x200, v0
	v_cmp_gt_u32_e32 vcc, s33, v1
	s_and_saveexec_b64 s[0:1], vcc
	s_cbranch_execz .LBB1790_238
; %bb.237:
	s_waitcnt lgkmcnt(0)
	v_cvt_i32_f32_e32 v1, v27
	flat_store_dword v[4:5], v1 offset:2048
.LBB1790_238:
	;; [unrolled: 10-line block ×3, first 2 shown]
	s_or_b64 exec, exec, s[0:1]
	v_or_b32_e32 v1, 0x400, v0
	v_cmp_gt_u32_e32 vcc, s33, v1
	s_and_saveexec_b64 s[0:1], vcc
	s_cbranch_execz .LBB1790_242
; %bb.241:
	s_waitcnt lgkmcnt(0)
	v_cvt_i32_f32_e32 v1, v25
	v_add_co_u32_e32 v24, vcc, 0x1000, v4
	s_nop 1
	v_addc_co_u32_e32 v25, vcc, 0, v5, vcc
	flat_store_dword v[24:25], v1
.LBB1790_242:
	s_or_b64 exec, exec, s[0:1]
	v_or_b32_e32 v1, 0x500, v0
	v_cmp_gt_u32_e32 vcc, s33, v1
	s_and_saveexec_b64 s[0:1], vcc
	s_cbranch_execz .LBB1790_244
; %bb.243:
	s_waitcnt lgkmcnt(0)
	v_cvt_i32_f32_e32 v1, v22
	v_add_co_u32_e32 v24, vcc, 0x1000, v4
	s_nop 1
	v_addc_co_u32_e32 v25, vcc, 0, v5, vcc
	flat_store_dword v[24:25], v1 offset:1024
.LBB1790_244:
	s_or_b64 exec, exec, s[0:1]
	v_or_b32_e32 v1, 0x600, v0
	v_cmp_gt_u32_e32 vcc, s33, v1
	s_and_saveexec_b64 s[0:1], vcc
	s_cbranch_execz .LBB1790_246
; %bb.245:
	s_waitcnt lgkmcnt(0)
	v_cvt_i32_f32_e32 v1, v23
	v_add_co_u32_e32 v22, vcc, 0x1000, v4
	s_nop 1
	v_addc_co_u32_e32 v23, vcc, 0, v5, vcc
	flat_store_dword v[22:23], v1 offset:2048
.LBB1790_246:
	s_or_b64 exec, exec, s[0:1]
	v_or_b32_e32 v1, 0x700, v0
	v_cmp_gt_u32_e32 vcc, s33, v1
	s_and_saveexec_b64 s[0:1], vcc
	s_cbranch_execz .LBB1790_248
; %bb.247:
	s_waitcnt lgkmcnt(0)
	v_cvt_i32_f32_e32 v1, v20
	v_add_co_u32_e32 v22, vcc, 0x1000, v4
	s_nop 1
	v_addc_co_u32_e32 v23, vcc, 0, v5, vcc
	flat_store_dword v[22:23], v1 offset:3072
.LBB1790_248:
	s_or_b64 exec, exec, s[0:1]
	v_or_b32_e32 v1, 0x800, v0
	v_cmp_gt_u32_e32 vcc, s33, v1
	s_and_saveexec_b64 s[0:1], vcc
	s_cbranch_execz .LBB1790_250
; %bb.249:
	s_waitcnt lgkmcnt(0)
	v_cvt_i32_f32_e32 v1, v21
	v_add_co_u32_e32 v20, vcc, 0x2000, v4
	s_nop 1
	v_addc_co_u32_e32 v21, vcc, 0, v5, vcc
	flat_store_dword v[20:21], v1
.LBB1790_250:
	s_or_b64 exec, exec, s[0:1]
	v_or_b32_e32 v1, 0x900, v0
	v_cmp_gt_u32_e32 vcc, s33, v1
	s_and_saveexec_b64 s[0:1], vcc
	s_cbranch_execz .LBB1790_252
; %bb.251:
	s_waitcnt lgkmcnt(0)
	v_cvt_i32_f32_e32 v1, v18
	v_add_co_u32_e32 v20, vcc, 0x2000, v4
	s_nop 1
	v_addc_co_u32_e32 v21, vcc, 0, v5, vcc
	flat_store_dword v[20:21], v1 offset:1024
.LBB1790_252:
	s_or_b64 exec, exec, s[0:1]
	v_or_b32_e32 v1, 0xa00, v0
	v_cmp_gt_u32_e32 vcc, s33, v1
	s_and_saveexec_b64 s[0:1], vcc
	s_cbranch_execz .LBB1790_254
; %bb.253:
	s_waitcnt lgkmcnt(0)
	v_cvt_i32_f32_e32 v1, v19
	v_add_co_u32_e32 v18, vcc, 0x2000, v4
	s_nop 1
	v_addc_co_u32_e32 v19, vcc, 0, v5, vcc
	flat_store_dword v[18:19], v1 offset:2048
.LBB1790_254:
	s_or_b64 exec, exec, s[0:1]
	v_or_b32_e32 v1, 0xb00, v0
	v_cmp_gt_u32_e32 vcc, s33, v1
	s_and_saveexec_b64 s[0:1], vcc
	s_cbranch_execz .LBB1790_256
; %bb.255:
	s_waitcnt lgkmcnt(0)
	v_cvt_i32_f32_e32 v1, v16
	v_add_co_u32_e32 v18, vcc, 0x2000, v4
	s_nop 1
	v_addc_co_u32_e32 v19, vcc, 0, v5, vcc
	flat_store_dword v[18:19], v1 offset:3072
.LBB1790_256:
	;; [unrolled: 52-line block ×4, first 2 shown]
	s_or_b64 exec, exec, s[0:1]
	v_or_b32_e32 v1, 0x1400, v0
	v_cmp_gt_u32_e32 vcc, s33, v1
	s_and_saveexec_b64 s[0:1], vcc
	s_cbranch_execz .LBB1790_274
; %bb.273:
	s_waitcnt lgkmcnt(0)
	v_cvt_i32_f32_e32 v1, v7
	v_add_co_u32_e32 v6, vcc, 0x5000, v4
	s_nop 1
	v_addc_co_u32_e32 v7, vcc, 0, v5, vcc
	flat_store_dword v[6:7], v1
.LBB1790_274:
	s_or_b64 exec, exec, s[0:1]
	v_or_b32_e32 v1, 0x1500, v0
	v_cmp_gt_u32_e32 vcc, s33, v1
	s_and_saveexec_b64 s[0:1], vcc
	s_cbranch_execz .LBB1790_276
; %bb.275:
	s_waitcnt lgkmcnt(0)
	v_cvt_i32_f32_e32 v1, v2
	v_add_co_u32_e32 v4, vcc, 0x5000, v4
	s_nop 1
	v_addc_co_u32_e32 v5, vcc, 0, v5, vcc
	flat_store_dword v[4:5], v1 offset:1024
.LBB1790_276:
	s_or_b64 exec, exec, s[0:1]
	s_waitcnt lgkmcnt(0)
	v_or_b32_e32 v2, 0x1600, v0
	v_mov_b32_e32 v1, v11
	v_cmp_gt_u32_e64 s[0:1], s33, v2
	s_branch .LBB1790_279
.LBB1790_277:
	s_mov_b64 s[0:1], 0
                                        ; implicit-def: $vgpr3
	s_cbranch_execz .LBB1790_279
; %bb.278:
	s_movk_i32 s4, 0x5c
	v_mul_i32_i24_e32 v2, 0xffffffa8, v0
	v_mul_u32_u24_e32 v1, 0x5c, v0
	v_mad_u32_u24 v2, v0, s4, v2
	s_barrier
	s_waitcnt vmcnt(0)
	ds_write2_b32 v1, v47, v70 offset1:1
	ds_write2_b32 v1, v71, v72 offset0:2 offset1:3
	ds_write2_b32 v1, v73, v74 offset0:4 offset1:5
	;; [unrolled: 1-line block ×10, first 2 shown]
	ds_write_b32 v1, v91 offset:88
	s_waitcnt lgkmcnt(0)
	s_barrier
	ds_read2st64_b32 v[4:5], v2 offset1:4
	ds_read2st64_b32 v[6:7], v2 offset0:8 offset1:12
	ds_read2st64_b32 v[8:9], v2 offset0:16 offset1:20
	;; [unrolled: 1-line block ×10, first 2 shown]
	ds_read_b32 v3, v2 offset:22528
	s_waitcnt lgkmcnt(11)
	v_cvt_i32_f32_e32 v2, v4
	v_mov_b32_e32 v1, 0
	v_cvt_i32_f32_e32 v4, v5
	v_mov_b32_e32 v11, v1
	s_waitcnt lgkmcnt(10)
	v_cvt_i32_f32_e32 v5, v6
	v_lshl_add_u64 v[10:11], s[2:3], 0, v[10:11]
	v_cvt_i32_f32_e32 v6, v7
	flat_store_dword v[10:11], v2
	flat_store_dword v[10:11], v4 offset:1024
	flat_store_dword v[10:11], v5 offset:2048
	;; [unrolled: 1-line block ×3, first 2 shown]
	s_waitcnt lgkmcnt(0)
	v_cvt_i32_f32_e32 v2, v8
	s_movk_i32 s4, 0x1000
	v_cvt_i32_f32_e32 v6, v9
	v_add_co_u32_e32 v4, vcc, s4, v10
	v_cvt_i32_f32_e32 v7, v12
	s_nop 0
	v_addc_co_u32_e32 v5, vcc, 0, v11, vcc
	v_cvt_i32_f32_e32 v8, v13
	flat_store_dword v[4:5], v2
	flat_store_dword v[4:5], v6 offset:1024
	flat_store_dword v[4:5], v7 offset:2048
	flat_store_dword v[4:5], v8 offset:3072
	v_cvt_i32_f32_e32 v2, v14
	s_movk_i32 s4, 0x2000
	v_cvt_i32_f32_e32 v6, v15
	v_add_co_u32_e32 v4, vcc, s4, v10
	v_cvt_i32_f32_e32 v7, v16
	s_nop 0
	v_addc_co_u32_e32 v5, vcc, 0, v11, vcc
	v_cvt_i32_f32_e32 v8, v17
	flat_store_dword v[4:5], v2
	flat_store_dword v[4:5], v6 offset:1024
	flat_store_dword v[4:5], v7 offset:2048
	flat_store_dword v[4:5], v8 offset:3072
	v_cvt_i32_f32_e32 v2, v18
	s_movk_i32 s4, 0x3000
	v_cvt_i32_f32_e32 v6, v19
	v_add_co_u32_e32 v4, vcc, s4, v10
	v_cvt_i32_f32_e32 v7, v20
	s_nop 0
	v_addc_co_u32_e32 v5, vcc, 0, v11, vcc
	v_cvt_i32_f32_e32 v8, v21
	flat_store_dword v[4:5], v2
	flat_store_dword v[4:5], v6 offset:1024
	flat_store_dword v[4:5], v7 offset:2048
	flat_store_dword v[4:5], v8 offset:3072
	v_cvt_i32_f32_e32 v2, v22
	s_movk_i32 s4, 0x4000
	v_cvt_i32_f32_e32 v6, v23
	v_add_co_u32_e32 v4, vcc, s4, v10
	v_cvt_i32_f32_e32 v7, v24
	s_nop 0
	v_addc_co_u32_e32 v5, vcc, 0, v11, vcc
	v_cvt_i32_f32_e32 v8, v25
	flat_store_dword v[4:5], v2
	flat_store_dword v[4:5], v6 offset:1024
	flat_store_dword v[4:5], v7 offset:2048
	flat_store_dword v[4:5], v8 offset:3072
	v_cvt_i32_f32_e32 v2, v26
	v_cvt_i32_f32_e32 v6, v27
	v_add_co_u32_e32 v4, vcc, 0x5000, v10
	s_or_b64 s[0:1], s[0:1], exec
	s_nop 0
	v_addc_co_u32_e32 v5, vcc, 0, v11, vcc
	flat_store_dword v[4:5], v2
	flat_store_dword v[4:5], v6 offset:1024
.LBB1790_279:
	s_and_saveexec_b64 s[4:5], s[0:1]
	s_cbranch_execz .LBB1790_281
; %bb.280:
	v_cvt_i32_f32_e32 v2, v3
	v_lshl_add_u64 v[0:1], v[0:1], 2, s[2:3]
	v_add_co_u32_e32 v0, vcc, 0x5000, v0
	s_nop 1
	v_addc_co_u32_e32 v1, vcc, 0, v1, vcc
	flat_store_dword v[0:1], v2 offset:2048
	s_endpgm
.LBB1790_281:
	s_endpgm
	.section	.rodata,"a",@progbits
	.p2align	6, 0x0
	.amdhsa_kernel _ZN7rocprim17ROCPRIM_400000_NS6detail17trampoline_kernelINS0_14default_configENS1_27scan_by_key_config_selectorIifEEZZNS1_16scan_by_key_implILNS1_25lookback_scan_determinismE0ELb1ES3_N6thrust23THRUST_200600_302600_NS6detail15normal_iteratorINS9_10device_ptrIiEEEENSB_INSC_IjEEEESE_fNS9_4plusIvEENS9_8equal_toIvEEfEE10hipError_tPvRmT2_T3_T4_T5_mT6_T7_P12ihipStream_tbENKUlT_T0_E_clISt17integral_constantIbLb0EES11_EEDaSW_SX_EUlSW_E_NS1_11comp_targetILNS1_3genE5ELNS1_11target_archE942ELNS1_3gpuE9ELNS1_3repE0EEENS1_30default_config_static_selectorELNS0_4arch9wavefront6targetE1EEEvT1_
		.amdhsa_group_segment_fixed_size 25600
		.amdhsa_private_segment_fixed_size 0
		.amdhsa_kernarg_size 112
		.amdhsa_user_sgpr_count 2
		.amdhsa_user_sgpr_dispatch_ptr 0
		.amdhsa_user_sgpr_queue_ptr 0
		.amdhsa_user_sgpr_kernarg_segment_ptr 1
		.amdhsa_user_sgpr_dispatch_id 0
		.amdhsa_user_sgpr_kernarg_preload_length 0
		.amdhsa_user_sgpr_kernarg_preload_offset 0
		.amdhsa_user_sgpr_private_segment_size 0
		.amdhsa_uses_dynamic_stack 0
		.amdhsa_enable_private_segment 0
		.amdhsa_system_sgpr_workgroup_id_x 1
		.amdhsa_system_sgpr_workgroup_id_y 0
		.amdhsa_system_sgpr_workgroup_id_z 0
		.amdhsa_system_sgpr_workgroup_info 0
		.amdhsa_system_vgpr_workitem_id 0
		.amdhsa_next_free_vgpr 92
		.amdhsa_next_free_sgpr 80
		.amdhsa_accum_offset 92
		.amdhsa_reserve_vcc 1
		.amdhsa_float_round_mode_32 0
		.amdhsa_float_round_mode_16_64 0
		.amdhsa_float_denorm_mode_32 3
		.amdhsa_float_denorm_mode_16_64 3
		.amdhsa_dx10_clamp 1
		.amdhsa_ieee_mode 1
		.amdhsa_fp16_overflow 0
		.amdhsa_tg_split 0
		.amdhsa_exception_fp_ieee_invalid_op 0
		.amdhsa_exception_fp_denorm_src 0
		.amdhsa_exception_fp_ieee_div_zero 0
		.amdhsa_exception_fp_ieee_overflow 0
		.amdhsa_exception_fp_ieee_underflow 0
		.amdhsa_exception_fp_ieee_inexact 0
		.amdhsa_exception_int_div_zero 0
	.end_amdhsa_kernel
	.section	.text._ZN7rocprim17ROCPRIM_400000_NS6detail17trampoline_kernelINS0_14default_configENS1_27scan_by_key_config_selectorIifEEZZNS1_16scan_by_key_implILNS1_25lookback_scan_determinismE0ELb1ES3_N6thrust23THRUST_200600_302600_NS6detail15normal_iteratorINS9_10device_ptrIiEEEENSB_INSC_IjEEEESE_fNS9_4plusIvEENS9_8equal_toIvEEfEE10hipError_tPvRmT2_T3_T4_T5_mT6_T7_P12ihipStream_tbENKUlT_T0_E_clISt17integral_constantIbLb0EES11_EEDaSW_SX_EUlSW_E_NS1_11comp_targetILNS1_3genE5ELNS1_11target_archE942ELNS1_3gpuE9ELNS1_3repE0EEENS1_30default_config_static_selectorELNS0_4arch9wavefront6targetE1EEEvT1_,"axG",@progbits,_ZN7rocprim17ROCPRIM_400000_NS6detail17trampoline_kernelINS0_14default_configENS1_27scan_by_key_config_selectorIifEEZZNS1_16scan_by_key_implILNS1_25lookback_scan_determinismE0ELb1ES3_N6thrust23THRUST_200600_302600_NS6detail15normal_iteratorINS9_10device_ptrIiEEEENSB_INSC_IjEEEESE_fNS9_4plusIvEENS9_8equal_toIvEEfEE10hipError_tPvRmT2_T3_T4_T5_mT6_T7_P12ihipStream_tbENKUlT_T0_E_clISt17integral_constantIbLb0EES11_EEDaSW_SX_EUlSW_E_NS1_11comp_targetILNS1_3genE5ELNS1_11target_archE942ELNS1_3gpuE9ELNS1_3repE0EEENS1_30default_config_static_selectorELNS0_4arch9wavefront6targetE1EEEvT1_,comdat
.Lfunc_end1790:
	.size	_ZN7rocprim17ROCPRIM_400000_NS6detail17trampoline_kernelINS0_14default_configENS1_27scan_by_key_config_selectorIifEEZZNS1_16scan_by_key_implILNS1_25lookback_scan_determinismE0ELb1ES3_N6thrust23THRUST_200600_302600_NS6detail15normal_iteratorINS9_10device_ptrIiEEEENSB_INSC_IjEEEESE_fNS9_4plusIvEENS9_8equal_toIvEEfEE10hipError_tPvRmT2_T3_T4_T5_mT6_T7_P12ihipStream_tbENKUlT_T0_E_clISt17integral_constantIbLb0EES11_EEDaSW_SX_EUlSW_E_NS1_11comp_targetILNS1_3genE5ELNS1_11target_archE942ELNS1_3gpuE9ELNS1_3repE0EEENS1_30default_config_static_selectorELNS0_4arch9wavefront6targetE1EEEvT1_, .Lfunc_end1790-_ZN7rocprim17ROCPRIM_400000_NS6detail17trampoline_kernelINS0_14default_configENS1_27scan_by_key_config_selectorIifEEZZNS1_16scan_by_key_implILNS1_25lookback_scan_determinismE0ELb1ES3_N6thrust23THRUST_200600_302600_NS6detail15normal_iteratorINS9_10device_ptrIiEEEENSB_INSC_IjEEEESE_fNS9_4plusIvEENS9_8equal_toIvEEfEE10hipError_tPvRmT2_T3_T4_T5_mT6_T7_P12ihipStream_tbENKUlT_T0_E_clISt17integral_constantIbLb0EES11_EEDaSW_SX_EUlSW_E_NS1_11comp_targetILNS1_3genE5ELNS1_11target_archE942ELNS1_3gpuE9ELNS1_3repE0EEENS1_30default_config_static_selectorELNS0_4arch9wavefront6targetE1EEEvT1_
                                        ; -- End function
	.section	.AMDGPU.csdata,"",@progbits
; Kernel info:
; codeLenInByte = 16760
; NumSgprs: 86
; NumVgprs: 92
; NumAgprs: 0
; TotalNumVgprs: 92
; ScratchSize: 0
; MemoryBound: 0
; FloatMode: 240
; IeeeMode: 1
; LDSByteSize: 25600 bytes/workgroup (compile time only)
; SGPRBlocks: 10
; VGPRBlocks: 11
; NumSGPRsForWavesPerEU: 86
; NumVGPRsForWavesPerEU: 92
; AccumOffset: 92
; Occupancy: 2
; WaveLimiterHint : 1
; COMPUTE_PGM_RSRC2:SCRATCH_EN: 0
; COMPUTE_PGM_RSRC2:USER_SGPR: 2
; COMPUTE_PGM_RSRC2:TRAP_HANDLER: 0
; COMPUTE_PGM_RSRC2:TGID_X_EN: 1
; COMPUTE_PGM_RSRC2:TGID_Y_EN: 0
; COMPUTE_PGM_RSRC2:TGID_Z_EN: 0
; COMPUTE_PGM_RSRC2:TIDIG_COMP_CNT: 0
; COMPUTE_PGM_RSRC3_GFX90A:ACCUM_OFFSET: 22
; COMPUTE_PGM_RSRC3_GFX90A:TG_SPLIT: 0
	.section	.text._ZN7rocprim17ROCPRIM_400000_NS6detail17trampoline_kernelINS0_14default_configENS1_27scan_by_key_config_selectorIifEEZZNS1_16scan_by_key_implILNS1_25lookback_scan_determinismE0ELb1ES3_N6thrust23THRUST_200600_302600_NS6detail15normal_iteratorINS9_10device_ptrIiEEEENSB_INSC_IjEEEESE_fNS9_4plusIvEENS9_8equal_toIvEEfEE10hipError_tPvRmT2_T3_T4_T5_mT6_T7_P12ihipStream_tbENKUlT_T0_E_clISt17integral_constantIbLb0EES11_EEDaSW_SX_EUlSW_E_NS1_11comp_targetILNS1_3genE4ELNS1_11target_archE910ELNS1_3gpuE8ELNS1_3repE0EEENS1_30default_config_static_selectorELNS0_4arch9wavefront6targetE1EEEvT1_,"axG",@progbits,_ZN7rocprim17ROCPRIM_400000_NS6detail17trampoline_kernelINS0_14default_configENS1_27scan_by_key_config_selectorIifEEZZNS1_16scan_by_key_implILNS1_25lookback_scan_determinismE0ELb1ES3_N6thrust23THRUST_200600_302600_NS6detail15normal_iteratorINS9_10device_ptrIiEEEENSB_INSC_IjEEEESE_fNS9_4plusIvEENS9_8equal_toIvEEfEE10hipError_tPvRmT2_T3_T4_T5_mT6_T7_P12ihipStream_tbENKUlT_T0_E_clISt17integral_constantIbLb0EES11_EEDaSW_SX_EUlSW_E_NS1_11comp_targetILNS1_3genE4ELNS1_11target_archE910ELNS1_3gpuE8ELNS1_3repE0EEENS1_30default_config_static_selectorELNS0_4arch9wavefront6targetE1EEEvT1_,comdat
	.protected	_ZN7rocprim17ROCPRIM_400000_NS6detail17trampoline_kernelINS0_14default_configENS1_27scan_by_key_config_selectorIifEEZZNS1_16scan_by_key_implILNS1_25lookback_scan_determinismE0ELb1ES3_N6thrust23THRUST_200600_302600_NS6detail15normal_iteratorINS9_10device_ptrIiEEEENSB_INSC_IjEEEESE_fNS9_4plusIvEENS9_8equal_toIvEEfEE10hipError_tPvRmT2_T3_T4_T5_mT6_T7_P12ihipStream_tbENKUlT_T0_E_clISt17integral_constantIbLb0EES11_EEDaSW_SX_EUlSW_E_NS1_11comp_targetILNS1_3genE4ELNS1_11target_archE910ELNS1_3gpuE8ELNS1_3repE0EEENS1_30default_config_static_selectorELNS0_4arch9wavefront6targetE1EEEvT1_ ; -- Begin function _ZN7rocprim17ROCPRIM_400000_NS6detail17trampoline_kernelINS0_14default_configENS1_27scan_by_key_config_selectorIifEEZZNS1_16scan_by_key_implILNS1_25lookback_scan_determinismE0ELb1ES3_N6thrust23THRUST_200600_302600_NS6detail15normal_iteratorINS9_10device_ptrIiEEEENSB_INSC_IjEEEESE_fNS9_4plusIvEENS9_8equal_toIvEEfEE10hipError_tPvRmT2_T3_T4_T5_mT6_T7_P12ihipStream_tbENKUlT_T0_E_clISt17integral_constantIbLb0EES11_EEDaSW_SX_EUlSW_E_NS1_11comp_targetILNS1_3genE4ELNS1_11target_archE910ELNS1_3gpuE8ELNS1_3repE0EEENS1_30default_config_static_selectorELNS0_4arch9wavefront6targetE1EEEvT1_
	.globl	_ZN7rocprim17ROCPRIM_400000_NS6detail17trampoline_kernelINS0_14default_configENS1_27scan_by_key_config_selectorIifEEZZNS1_16scan_by_key_implILNS1_25lookback_scan_determinismE0ELb1ES3_N6thrust23THRUST_200600_302600_NS6detail15normal_iteratorINS9_10device_ptrIiEEEENSB_INSC_IjEEEESE_fNS9_4plusIvEENS9_8equal_toIvEEfEE10hipError_tPvRmT2_T3_T4_T5_mT6_T7_P12ihipStream_tbENKUlT_T0_E_clISt17integral_constantIbLb0EES11_EEDaSW_SX_EUlSW_E_NS1_11comp_targetILNS1_3genE4ELNS1_11target_archE910ELNS1_3gpuE8ELNS1_3repE0EEENS1_30default_config_static_selectorELNS0_4arch9wavefront6targetE1EEEvT1_
	.p2align	8
	.type	_ZN7rocprim17ROCPRIM_400000_NS6detail17trampoline_kernelINS0_14default_configENS1_27scan_by_key_config_selectorIifEEZZNS1_16scan_by_key_implILNS1_25lookback_scan_determinismE0ELb1ES3_N6thrust23THRUST_200600_302600_NS6detail15normal_iteratorINS9_10device_ptrIiEEEENSB_INSC_IjEEEESE_fNS9_4plusIvEENS9_8equal_toIvEEfEE10hipError_tPvRmT2_T3_T4_T5_mT6_T7_P12ihipStream_tbENKUlT_T0_E_clISt17integral_constantIbLb0EES11_EEDaSW_SX_EUlSW_E_NS1_11comp_targetILNS1_3genE4ELNS1_11target_archE910ELNS1_3gpuE8ELNS1_3repE0EEENS1_30default_config_static_selectorELNS0_4arch9wavefront6targetE1EEEvT1_,@function
_ZN7rocprim17ROCPRIM_400000_NS6detail17trampoline_kernelINS0_14default_configENS1_27scan_by_key_config_selectorIifEEZZNS1_16scan_by_key_implILNS1_25lookback_scan_determinismE0ELb1ES3_N6thrust23THRUST_200600_302600_NS6detail15normal_iteratorINS9_10device_ptrIiEEEENSB_INSC_IjEEEESE_fNS9_4plusIvEENS9_8equal_toIvEEfEE10hipError_tPvRmT2_T3_T4_T5_mT6_T7_P12ihipStream_tbENKUlT_T0_E_clISt17integral_constantIbLb0EES11_EEDaSW_SX_EUlSW_E_NS1_11comp_targetILNS1_3genE4ELNS1_11target_archE910ELNS1_3gpuE8ELNS1_3repE0EEENS1_30default_config_static_selectorELNS0_4arch9wavefront6targetE1EEEvT1_: ; @_ZN7rocprim17ROCPRIM_400000_NS6detail17trampoline_kernelINS0_14default_configENS1_27scan_by_key_config_selectorIifEEZZNS1_16scan_by_key_implILNS1_25lookback_scan_determinismE0ELb1ES3_N6thrust23THRUST_200600_302600_NS6detail15normal_iteratorINS9_10device_ptrIiEEEENSB_INSC_IjEEEESE_fNS9_4plusIvEENS9_8equal_toIvEEfEE10hipError_tPvRmT2_T3_T4_T5_mT6_T7_P12ihipStream_tbENKUlT_T0_E_clISt17integral_constantIbLb0EES11_EEDaSW_SX_EUlSW_E_NS1_11comp_targetILNS1_3genE4ELNS1_11target_archE910ELNS1_3gpuE8ELNS1_3repE0EEENS1_30default_config_static_selectorELNS0_4arch9wavefront6targetE1EEEvT1_
; %bb.0:
	.section	.rodata,"a",@progbits
	.p2align	6, 0x0
	.amdhsa_kernel _ZN7rocprim17ROCPRIM_400000_NS6detail17trampoline_kernelINS0_14default_configENS1_27scan_by_key_config_selectorIifEEZZNS1_16scan_by_key_implILNS1_25lookback_scan_determinismE0ELb1ES3_N6thrust23THRUST_200600_302600_NS6detail15normal_iteratorINS9_10device_ptrIiEEEENSB_INSC_IjEEEESE_fNS9_4plusIvEENS9_8equal_toIvEEfEE10hipError_tPvRmT2_T3_T4_T5_mT6_T7_P12ihipStream_tbENKUlT_T0_E_clISt17integral_constantIbLb0EES11_EEDaSW_SX_EUlSW_E_NS1_11comp_targetILNS1_3genE4ELNS1_11target_archE910ELNS1_3gpuE8ELNS1_3repE0EEENS1_30default_config_static_selectorELNS0_4arch9wavefront6targetE1EEEvT1_
		.amdhsa_group_segment_fixed_size 0
		.amdhsa_private_segment_fixed_size 0
		.amdhsa_kernarg_size 112
		.amdhsa_user_sgpr_count 2
		.amdhsa_user_sgpr_dispatch_ptr 0
		.amdhsa_user_sgpr_queue_ptr 0
		.amdhsa_user_sgpr_kernarg_segment_ptr 1
		.amdhsa_user_sgpr_dispatch_id 0
		.amdhsa_user_sgpr_kernarg_preload_length 0
		.amdhsa_user_sgpr_kernarg_preload_offset 0
		.amdhsa_user_sgpr_private_segment_size 0
		.amdhsa_uses_dynamic_stack 0
		.amdhsa_enable_private_segment 0
		.amdhsa_system_sgpr_workgroup_id_x 1
		.amdhsa_system_sgpr_workgroup_id_y 0
		.amdhsa_system_sgpr_workgroup_id_z 0
		.amdhsa_system_sgpr_workgroup_info 0
		.amdhsa_system_vgpr_workitem_id 0
		.amdhsa_next_free_vgpr 1
		.amdhsa_next_free_sgpr 0
		.amdhsa_accum_offset 4
		.amdhsa_reserve_vcc 0
		.amdhsa_float_round_mode_32 0
		.amdhsa_float_round_mode_16_64 0
		.amdhsa_float_denorm_mode_32 3
		.amdhsa_float_denorm_mode_16_64 3
		.amdhsa_dx10_clamp 1
		.amdhsa_ieee_mode 1
		.amdhsa_fp16_overflow 0
		.amdhsa_tg_split 0
		.amdhsa_exception_fp_ieee_invalid_op 0
		.amdhsa_exception_fp_denorm_src 0
		.amdhsa_exception_fp_ieee_div_zero 0
		.amdhsa_exception_fp_ieee_overflow 0
		.amdhsa_exception_fp_ieee_underflow 0
		.amdhsa_exception_fp_ieee_inexact 0
		.amdhsa_exception_int_div_zero 0
	.end_amdhsa_kernel
	.section	.text._ZN7rocprim17ROCPRIM_400000_NS6detail17trampoline_kernelINS0_14default_configENS1_27scan_by_key_config_selectorIifEEZZNS1_16scan_by_key_implILNS1_25lookback_scan_determinismE0ELb1ES3_N6thrust23THRUST_200600_302600_NS6detail15normal_iteratorINS9_10device_ptrIiEEEENSB_INSC_IjEEEESE_fNS9_4plusIvEENS9_8equal_toIvEEfEE10hipError_tPvRmT2_T3_T4_T5_mT6_T7_P12ihipStream_tbENKUlT_T0_E_clISt17integral_constantIbLb0EES11_EEDaSW_SX_EUlSW_E_NS1_11comp_targetILNS1_3genE4ELNS1_11target_archE910ELNS1_3gpuE8ELNS1_3repE0EEENS1_30default_config_static_selectorELNS0_4arch9wavefront6targetE1EEEvT1_,"axG",@progbits,_ZN7rocprim17ROCPRIM_400000_NS6detail17trampoline_kernelINS0_14default_configENS1_27scan_by_key_config_selectorIifEEZZNS1_16scan_by_key_implILNS1_25lookback_scan_determinismE0ELb1ES3_N6thrust23THRUST_200600_302600_NS6detail15normal_iteratorINS9_10device_ptrIiEEEENSB_INSC_IjEEEESE_fNS9_4plusIvEENS9_8equal_toIvEEfEE10hipError_tPvRmT2_T3_T4_T5_mT6_T7_P12ihipStream_tbENKUlT_T0_E_clISt17integral_constantIbLb0EES11_EEDaSW_SX_EUlSW_E_NS1_11comp_targetILNS1_3genE4ELNS1_11target_archE910ELNS1_3gpuE8ELNS1_3repE0EEENS1_30default_config_static_selectorELNS0_4arch9wavefront6targetE1EEEvT1_,comdat
.Lfunc_end1791:
	.size	_ZN7rocprim17ROCPRIM_400000_NS6detail17trampoline_kernelINS0_14default_configENS1_27scan_by_key_config_selectorIifEEZZNS1_16scan_by_key_implILNS1_25lookback_scan_determinismE0ELb1ES3_N6thrust23THRUST_200600_302600_NS6detail15normal_iteratorINS9_10device_ptrIiEEEENSB_INSC_IjEEEESE_fNS9_4plusIvEENS9_8equal_toIvEEfEE10hipError_tPvRmT2_T3_T4_T5_mT6_T7_P12ihipStream_tbENKUlT_T0_E_clISt17integral_constantIbLb0EES11_EEDaSW_SX_EUlSW_E_NS1_11comp_targetILNS1_3genE4ELNS1_11target_archE910ELNS1_3gpuE8ELNS1_3repE0EEENS1_30default_config_static_selectorELNS0_4arch9wavefront6targetE1EEEvT1_, .Lfunc_end1791-_ZN7rocprim17ROCPRIM_400000_NS6detail17trampoline_kernelINS0_14default_configENS1_27scan_by_key_config_selectorIifEEZZNS1_16scan_by_key_implILNS1_25lookback_scan_determinismE0ELb1ES3_N6thrust23THRUST_200600_302600_NS6detail15normal_iteratorINS9_10device_ptrIiEEEENSB_INSC_IjEEEESE_fNS9_4plusIvEENS9_8equal_toIvEEfEE10hipError_tPvRmT2_T3_T4_T5_mT6_T7_P12ihipStream_tbENKUlT_T0_E_clISt17integral_constantIbLb0EES11_EEDaSW_SX_EUlSW_E_NS1_11comp_targetILNS1_3genE4ELNS1_11target_archE910ELNS1_3gpuE8ELNS1_3repE0EEENS1_30default_config_static_selectorELNS0_4arch9wavefront6targetE1EEEvT1_
                                        ; -- End function
	.section	.AMDGPU.csdata,"",@progbits
; Kernel info:
; codeLenInByte = 0
; NumSgprs: 6
; NumVgprs: 0
; NumAgprs: 0
; TotalNumVgprs: 0
; ScratchSize: 0
; MemoryBound: 0
; FloatMode: 240
; IeeeMode: 1
; LDSByteSize: 0 bytes/workgroup (compile time only)
; SGPRBlocks: 0
; VGPRBlocks: 0
; NumSGPRsForWavesPerEU: 6
; NumVGPRsForWavesPerEU: 1
; AccumOffset: 4
; Occupancy: 8
; WaveLimiterHint : 0
; COMPUTE_PGM_RSRC2:SCRATCH_EN: 0
; COMPUTE_PGM_RSRC2:USER_SGPR: 2
; COMPUTE_PGM_RSRC2:TRAP_HANDLER: 0
; COMPUTE_PGM_RSRC2:TGID_X_EN: 1
; COMPUTE_PGM_RSRC2:TGID_Y_EN: 0
; COMPUTE_PGM_RSRC2:TGID_Z_EN: 0
; COMPUTE_PGM_RSRC2:TIDIG_COMP_CNT: 0
; COMPUTE_PGM_RSRC3_GFX90A:ACCUM_OFFSET: 0
; COMPUTE_PGM_RSRC3_GFX90A:TG_SPLIT: 0
	.section	.text._ZN7rocprim17ROCPRIM_400000_NS6detail17trampoline_kernelINS0_14default_configENS1_27scan_by_key_config_selectorIifEEZZNS1_16scan_by_key_implILNS1_25lookback_scan_determinismE0ELb1ES3_N6thrust23THRUST_200600_302600_NS6detail15normal_iteratorINS9_10device_ptrIiEEEENSB_INSC_IjEEEESE_fNS9_4plusIvEENS9_8equal_toIvEEfEE10hipError_tPvRmT2_T3_T4_T5_mT6_T7_P12ihipStream_tbENKUlT_T0_E_clISt17integral_constantIbLb0EES11_EEDaSW_SX_EUlSW_E_NS1_11comp_targetILNS1_3genE3ELNS1_11target_archE908ELNS1_3gpuE7ELNS1_3repE0EEENS1_30default_config_static_selectorELNS0_4arch9wavefront6targetE1EEEvT1_,"axG",@progbits,_ZN7rocprim17ROCPRIM_400000_NS6detail17trampoline_kernelINS0_14default_configENS1_27scan_by_key_config_selectorIifEEZZNS1_16scan_by_key_implILNS1_25lookback_scan_determinismE0ELb1ES3_N6thrust23THRUST_200600_302600_NS6detail15normal_iteratorINS9_10device_ptrIiEEEENSB_INSC_IjEEEESE_fNS9_4plusIvEENS9_8equal_toIvEEfEE10hipError_tPvRmT2_T3_T4_T5_mT6_T7_P12ihipStream_tbENKUlT_T0_E_clISt17integral_constantIbLb0EES11_EEDaSW_SX_EUlSW_E_NS1_11comp_targetILNS1_3genE3ELNS1_11target_archE908ELNS1_3gpuE7ELNS1_3repE0EEENS1_30default_config_static_selectorELNS0_4arch9wavefront6targetE1EEEvT1_,comdat
	.protected	_ZN7rocprim17ROCPRIM_400000_NS6detail17trampoline_kernelINS0_14default_configENS1_27scan_by_key_config_selectorIifEEZZNS1_16scan_by_key_implILNS1_25lookback_scan_determinismE0ELb1ES3_N6thrust23THRUST_200600_302600_NS6detail15normal_iteratorINS9_10device_ptrIiEEEENSB_INSC_IjEEEESE_fNS9_4plusIvEENS9_8equal_toIvEEfEE10hipError_tPvRmT2_T3_T4_T5_mT6_T7_P12ihipStream_tbENKUlT_T0_E_clISt17integral_constantIbLb0EES11_EEDaSW_SX_EUlSW_E_NS1_11comp_targetILNS1_3genE3ELNS1_11target_archE908ELNS1_3gpuE7ELNS1_3repE0EEENS1_30default_config_static_selectorELNS0_4arch9wavefront6targetE1EEEvT1_ ; -- Begin function _ZN7rocprim17ROCPRIM_400000_NS6detail17trampoline_kernelINS0_14default_configENS1_27scan_by_key_config_selectorIifEEZZNS1_16scan_by_key_implILNS1_25lookback_scan_determinismE0ELb1ES3_N6thrust23THRUST_200600_302600_NS6detail15normal_iteratorINS9_10device_ptrIiEEEENSB_INSC_IjEEEESE_fNS9_4plusIvEENS9_8equal_toIvEEfEE10hipError_tPvRmT2_T3_T4_T5_mT6_T7_P12ihipStream_tbENKUlT_T0_E_clISt17integral_constantIbLb0EES11_EEDaSW_SX_EUlSW_E_NS1_11comp_targetILNS1_3genE3ELNS1_11target_archE908ELNS1_3gpuE7ELNS1_3repE0EEENS1_30default_config_static_selectorELNS0_4arch9wavefront6targetE1EEEvT1_
	.globl	_ZN7rocprim17ROCPRIM_400000_NS6detail17trampoline_kernelINS0_14default_configENS1_27scan_by_key_config_selectorIifEEZZNS1_16scan_by_key_implILNS1_25lookback_scan_determinismE0ELb1ES3_N6thrust23THRUST_200600_302600_NS6detail15normal_iteratorINS9_10device_ptrIiEEEENSB_INSC_IjEEEESE_fNS9_4plusIvEENS9_8equal_toIvEEfEE10hipError_tPvRmT2_T3_T4_T5_mT6_T7_P12ihipStream_tbENKUlT_T0_E_clISt17integral_constantIbLb0EES11_EEDaSW_SX_EUlSW_E_NS1_11comp_targetILNS1_3genE3ELNS1_11target_archE908ELNS1_3gpuE7ELNS1_3repE0EEENS1_30default_config_static_selectorELNS0_4arch9wavefront6targetE1EEEvT1_
	.p2align	8
	.type	_ZN7rocprim17ROCPRIM_400000_NS6detail17trampoline_kernelINS0_14default_configENS1_27scan_by_key_config_selectorIifEEZZNS1_16scan_by_key_implILNS1_25lookback_scan_determinismE0ELb1ES3_N6thrust23THRUST_200600_302600_NS6detail15normal_iteratorINS9_10device_ptrIiEEEENSB_INSC_IjEEEESE_fNS9_4plusIvEENS9_8equal_toIvEEfEE10hipError_tPvRmT2_T3_T4_T5_mT6_T7_P12ihipStream_tbENKUlT_T0_E_clISt17integral_constantIbLb0EES11_EEDaSW_SX_EUlSW_E_NS1_11comp_targetILNS1_3genE3ELNS1_11target_archE908ELNS1_3gpuE7ELNS1_3repE0EEENS1_30default_config_static_selectorELNS0_4arch9wavefront6targetE1EEEvT1_,@function
_ZN7rocprim17ROCPRIM_400000_NS6detail17trampoline_kernelINS0_14default_configENS1_27scan_by_key_config_selectorIifEEZZNS1_16scan_by_key_implILNS1_25lookback_scan_determinismE0ELb1ES3_N6thrust23THRUST_200600_302600_NS6detail15normal_iteratorINS9_10device_ptrIiEEEENSB_INSC_IjEEEESE_fNS9_4plusIvEENS9_8equal_toIvEEfEE10hipError_tPvRmT2_T3_T4_T5_mT6_T7_P12ihipStream_tbENKUlT_T0_E_clISt17integral_constantIbLb0EES11_EEDaSW_SX_EUlSW_E_NS1_11comp_targetILNS1_3genE3ELNS1_11target_archE908ELNS1_3gpuE7ELNS1_3repE0EEENS1_30default_config_static_selectorELNS0_4arch9wavefront6targetE1EEEvT1_: ; @_ZN7rocprim17ROCPRIM_400000_NS6detail17trampoline_kernelINS0_14default_configENS1_27scan_by_key_config_selectorIifEEZZNS1_16scan_by_key_implILNS1_25lookback_scan_determinismE0ELb1ES3_N6thrust23THRUST_200600_302600_NS6detail15normal_iteratorINS9_10device_ptrIiEEEENSB_INSC_IjEEEESE_fNS9_4plusIvEENS9_8equal_toIvEEfEE10hipError_tPvRmT2_T3_T4_T5_mT6_T7_P12ihipStream_tbENKUlT_T0_E_clISt17integral_constantIbLb0EES11_EEDaSW_SX_EUlSW_E_NS1_11comp_targetILNS1_3genE3ELNS1_11target_archE908ELNS1_3gpuE7ELNS1_3repE0EEENS1_30default_config_static_selectorELNS0_4arch9wavefront6targetE1EEEvT1_
; %bb.0:
	.section	.rodata,"a",@progbits
	.p2align	6, 0x0
	.amdhsa_kernel _ZN7rocprim17ROCPRIM_400000_NS6detail17trampoline_kernelINS0_14default_configENS1_27scan_by_key_config_selectorIifEEZZNS1_16scan_by_key_implILNS1_25lookback_scan_determinismE0ELb1ES3_N6thrust23THRUST_200600_302600_NS6detail15normal_iteratorINS9_10device_ptrIiEEEENSB_INSC_IjEEEESE_fNS9_4plusIvEENS9_8equal_toIvEEfEE10hipError_tPvRmT2_T3_T4_T5_mT6_T7_P12ihipStream_tbENKUlT_T0_E_clISt17integral_constantIbLb0EES11_EEDaSW_SX_EUlSW_E_NS1_11comp_targetILNS1_3genE3ELNS1_11target_archE908ELNS1_3gpuE7ELNS1_3repE0EEENS1_30default_config_static_selectorELNS0_4arch9wavefront6targetE1EEEvT1_
		.amdhsa_group_segment_fixed_size 0
		.amdhsa_private_segment_fixed_size 0
		.amdhsa_kernarg_size 112
		.amdhsa_user_sgpr_count 2
		.amdhsa_user_sgpr_dispatch_ptr 0
		.amdhsa_user_sgpr_queue_ptr 0
		.amdhsa_user_sgpr_kernarg_segment_ptr 1
		.amdhsa_user_sgpr_dispatch_id 0
		.amdhsa_user_sgpr_kernarg_preload_length 0
		.amdhsa_user_sgpr_kernarg_preload_offset 0
		.amdhsa_user_sgpr_private_segment_size 0
		.amdhsa_uses_dynamic_stack 0
		.amdhsa_enable_private_segment 0
		.amdhsa_system_sgpr_workgroup_id_x 1
		.amdhsa_system_sgpr_workgroup_id_y 0
		.amdhsa_system_sgpr_workgroup_id_z 0
		.amdhsa_system_sgpr_workgroup_info 0
		.amdhsa_system_vgpr_workitem_id 0
		.amdhsa_next_free_vgpr 1
		.amdhsa_next_free_sgpr 0
		.amdhsa_accum_offset 4
		.amdhsa_reserve_vcc 0
		.amdhsa_float_round_mode_32 0
		.amdhsa_float_round_mode_16_64 0
		.amdhsa_float_denorm_mode_32 3
		.amdhsa_float_denorm_mode_16_64 3
		.amdhsa_dx10_clamp 1
		.amdhsa_ieee_mode 1
		.amdhsa_fp16_overflow 0
		.amdhsa_tg_split 0
		.amdhsa_exception_fp_ieee_invalid_op 0
		.amdhsa_exception_fp_denorm_src 0
		.amdhsa_exception_fp_ieee_div_zero 0
		.amdhsa_exception_fp_ieee_overflow 0
		.amdhsa_exception_fp_ieee_underflow 0
		.amdhsa_exception_fp_ieee_inexact 0
		.amdhsa_exception_int_div_zero 0
	.end_amdhsa_kernel
	.section	.text._ZN7rocprim17ROCPRIM_400000_NS6detail17trampoline_kernelINS0_14default_configENS1_27scan_by_key_config_selectorIifEEZZNS1_16scan_by_key_implILNS1_25lookback_scan_determinismE0ELb1ES3_N6thrust23THRUST_200600_302600_NS6detail15normal_iteratorINS9_10device_ptrIiEEEENSB_INSC_IjEEEESE_fNS9_4plusIvEENS9_8equal_toIvEEfEE10hipError_tPvRmT2_T3_T4_T5_mT6_T7_P12ihipStream_tbENKUlT_T0_E_clISt17integral_constantIbLb0EES11_EEDaSW_SX_EUlSW_E_NS1_11comp_targetILNS1_3genE3ELNS1_11target_archE908ELNS1_3gpuE7ELNS1_3repE0EEENS1_30default_config_static_selectorELNS0_4arch9wavefront6targetE1EEEvT1_,"axG",@progbits,_ZN7rocprim17ROCPRIM_400000_NS6detail17trampoline_kernelINS0_14default_configENS1_27scan_by_key_config_selectorIifEEZZNS1_16scan_by_key_implILNS1_25lookback_scan_determinismE0ELb1ES3_N6thrust23THRUST_200600_302600_NS6detail15normal_iteratorINS9_10device_ptrIiEEEENSB_INSC_IjEEEESE_fNS9_4plusIvEENS9_8equal_toIvEEfEE10hipError_tPvRmT2_T3_T4_T5_mT6_T7_P12ihipStream_tbENKUlT_T0_E_clISt17integral_constantIbLb0EES11_EEDaSW_SX_EUlSW_E_NS1_11comp_targetILNS1_3genE3ELNS1_11target_archE908ELNS1_3gpuE7ELNS1_3repE0EEENS1_30default_config_static_selectorELNS0_4arch9wavefront6targetE1EEEvT1_,comdat
.Lfunc_end1792:
	.size	_ZN7rocprim17ROCPRIM_400000_NS6detail17trampoline_kernelINS0_14default_configENS1_27scan_by_key_config_selectorIifEEZZNS1_16scan_by_key_implILNS1_25lookback_scan_determinismE0ELb1ES3_N6thrust23THRUST_200600_302600_NS6detail15normal_iteratorINS9_10device_ptrIiEEEENSB_INSC_IjEEEESE_fNS9_4plusIvEENS9_8equal_toIvEEfEE10hipError_tPvRmT2_T3_T4_T5_mT6_T7_P12ihipStream_tbENKUlT_T0_E_clISt17integral_constantIbLb0EES11_EEDaSW_SX_EUlSW_E_NS1_11comp_targetILNS1_3genE3ELNS1_11target_archE908ELNS1_3gpuE7ELNS1_3repE0EEENS1_30default_config_static_selectorELNS0_4arch9wavefront6targetE1EEEvT1_, .Lfunc_end1792-_ZN7rocprim17ROCPRIM_400000_NS6detail17trampoline_kernelINS0_14default_configENS1_27scan_by_key_config_selectorIifEEZZNS1_16scan_by_key_implILNS1_25lookback_scan_determinismE0ELb1ES3_N6thrust23THRUST_200600_302600_NS6detail15normal_iteratorINS9_10device_ptrIiEEEENSB_INSC_IjEEEESE_fNS9_4plusIvEENS9_8equal_toIvEEfEE10hipError_tPvRmT2_T3_T4_T5_mT6_T7_P12ihipStream_tbENKUlT_T0_E_clISt17integral_constantIbLb0EES11_EEDaSW_SX_EUlSW_E_NS1_11comp_targetILNS1_3genE3ELNS1_11target_archE908ELNS1_3gpuE7ELNS1_3repE0EEENS1_30default_config_static_selectorELNS0_4arch9wavefront6targetE1EEEvT1_
                                        ; -- End function
	.section	.AMDGPU.csdata,"",@progbits
; Kernel info:
; codeLenInByte = 0
; NumSgprs: 6
; NumVgprs: 0
; NumAgprs: 0
; TotalNumVgprs: 0
; ScratchSize: 0
; MemoryBound: 0
; FloatMode: 240
; IeeeMode: 1
; LDSByteSize: 0 bytes/workgroup (compile time only)
; SGPRBlocks: 0
; VGPRBlocks: 0
; NumSGPRsForWavesPerEU: 6
; NumVGPRsForWavesPerEU: 1
; AccumOffset: 4
; Occupancy: 8
; WaveLimiterHint : 0
; COMPUTE_PGM_RSRC2:SCRATCH_EN: 0
; COMPUTE_PGM_RSRC2:USER_SGPR: 2
; COMPUTE_PGM_RSRC2:TRAP_HANDLER: 0
; COMPUTE_PGM_RSRC2:TGID_X_EN: 1
; COMPUTE_PGM_RSRC2:TGID_Y_EN: 0
; COMPUTE_PGM_RSRC2:TGID_Z_EN: 0
; COMPUTE_PGM_RSRC2:TIDIG_COMP_CNT: 0
; COMPUTE_PGM_RSRC3_GFX90A:ACCUM_OFFSET: 0
; COMPUTE_PGM_RSRC3_GFX90A:TG_SPLIT: 0
	.section	.text._ZN7rocprim17ROCPRIM_400000_NS6detail17trampoline_kernelINS0_14default_configENS1_27scan_by_key_config_selectorIifEEZZNS1_16scan_by_key_implILNS1_25lookback_scan_determinismE0ELb1ES3_N6thrust23THRUST_200600_302600_NS6detail15normal_iteratorINS9_10device_ptrIiEEEENSB_INSC_IjEEEESE_fNS9_4plusIvEENS9_8equal_toIvEEfEE10hipError_tPvRmT2_T3_T4_T5_mT6_T7_P12ihipStream_tbENKUlT_T0_E_clISt17integral_constantIbLb0EES11_EEDaSW_SX_EUlSW_E_NS1_11comp_targetILNS1_3genE2ELNS1_11target_archE906ELNS1_3gpuE6ELNS1_3repE0EEENS1_30default_config_static_selectorELNS0_4arch9wavefront6targetE1EEEvT1_,"axG",@progbits,_ZN7rocprim17ROCPRIM_400000_NS6detail17trampoline_kernelINS0_14default_configENS1_27scan_by_key_config_selectorIifEEZZNS1_16scan_by_key_implILNS1_25lookback_scan_determinismE0ELb1ES3_N6thrust23THRUST_200600_302600_NS6detail15normal_iteratorINS9_10device_ptrIiEEEENSB_INSC_IjEEEESE_fNS9_4plusIvEENS9_8equal_toIvEEfEE10hipError_tPvRmT2_T3_T4_T5_mT6_T7_P12ihipStream_tbENKUlT_T0_E_clISt17integral_constantIbLb0EES11_EEDaSW_SX_EUlSW_E_NS1_11comp_targetILNS1_3genE2ELNS1_11target_archE906ELNS1_3gpuE6ELNS1_3repE0EEENS1_30default_config_static_selectorELNS0_4arch9wavefront6targetE1EEEvT1_,comdat
	.protected	_ZN7rocprim17ROCPRIM_400000_NS6detail17trampoline_kernelINS0_14default_configENS1_27scan_by_key_config_selectorIifEEZZNS1_16scan_by_key_implILNS1_25lookback_scan_determinismE0ELb1ES3_N6thrust23THRUST_200600_302600_NS6detail15normal_iteratorINS9_10device_ptrIiEEEENSB_INSC_IjEEEESE_fNS9_4plusIvEENS9_8equal_toIvEEfEE10hipError_tPvRmT2_T3_T4_T5_mT6_T7_P12ihipStream_tbENKUlT_T0_E_clISt17integral_constantIbLb0EES11_EEDaSW_SX_EUlSW_E_NS1_11comp_targetILNS1_3genE2ELNS1_11target_archE906ELNS1_3gpuE6ELNS1_3repE0EEENS1_30default_config_static_selectorELNS0_4arch9wavefront6targetE1EEEvT1_ ; -- Begin function _ZN7rocprim17ROCPRIM_400000_NS6detail17trampoline_kernelINS0_14default_configENS1_27scan_by_key_config_selectorIifEEZZNS1_16scan_by_key_implILNS1_25lookback_scan_determinismE0ELb1ES3_N6thrust23THRUST_200600_302600_NS6detail15normal_iteratorINS9_10device_ptrIiEEEENSB_INSC_IjEEEESE_fNS9_4plusIvEENS9_8equal_toIvEEfEE10hipError_tPvRmT2_T3_T4_T5_mT6_T7_P12ihipStream_tbENKUlT_T0_E_clISt17integral_constantIbLb0EES11_EEDaSW_SX_EUlSW_E_NS1_11comp_targetILNS1_3genE2ELNS1_11target_archE906ELNS1_3gpuE6ELNS1_3repE0EEENS1_30default_config_static_selectorELNS0_4arch9wavefront6targetE1EEEvT1_
	.globl	_ZN7rocprim17ROCPRIM_400000_NS6detail17trampoline_kernelINS0_14default_configENS1_27scan_by_key_config_selectorIifEEZZNS1_16scan_by_key_implILNS1_25lookback_scan_determinismE0ELb1ES3_N6thrust23THRUST_200600_302600_NS6detail15normal_iteratorINS9_10device_ptrIiEEEENSB_INSC_IjEEEESE_fNS9_4plusIvEENS9_8equal_toIvEEfEE10hipError_tPvRmT2_T3_T4_T5_mT6_T7_P12ihipStream_tbENKUlT_T0_E_clISt17integral_constantIbLb0EES11_EEDaSW_SX_EUlSW_E_NS1_11comp_targetILNS1_3genE2ELNS1_11target_archE906ELNS1_3gpuE6ELNS1_3repE0EEENS1_30default_config_static_selectorELNS0_4arch9wavefront6targetE1EEEvT1_
	.p2align	8
	.type	_ZN7rocprim17ROCPRIM_400000_NS6detail17trampoline_kernelINS0_14default_configENS1_27scan_by_key_config_selectorIifEEZZNS1_16scan_by_key_implILNS1_25lookback_scan_determinismE0ELb1ES3_N6thrust23THRUST_200600_302600_NS6detail15normal_iteratorINS9_10device_ptrIiEEEENSB_INSC_IjEEEESE_fNS9_4plusIvEENS9_8equal_toIvEEfEE10hipError_tPvRmT2_T3_T4_T5_mT6_T7_P12ihipStream_tbENKUlT_T0_E_clISt17integral_constantIbLb0EES11_EEDaSW_SX_EUlSW_E_NS1_11comp_targetILNS1_3genE2ELNS1_11target_archE906ELNS1_3gpuE6ELNS1_3repE0EEENS1_30default_config_static_selectorELNS0_4arch9wavefront6targetE1EEEvT1_,@function
_ZN7rocprim17ROCPRIM_400000_NS6detail17trampoline_kernelINS0_14default_configENS1_27scan_by_key_config_selectorIifEEZZNS1_16scan_by_key_implILNS1_25lookback_scan_determinismE0ELb1ES3_N6thrust23THRUST_200600_302600_NS6detail15normal_iteratorINS9_10device_ptrIiEEEENSB_INSC_IjEEEESE_fNS9_4plusIvEENS9_8equal_toIvEEfEE10hipError_tPvRmT2_T3_T4_T5_mT6_T7_P12ihipStream_tbENKUlT_T0_E_clISt17integral_constantIbLb0EES11_EEDaSW_SX_EUlSW_E_NS1_11comp_targetILNS1_3genE2ELNS1_11target_archE906ELNS1_3gpuE6ELNS1_3repE0EEENS1_30default_config_static_selectorELNS0_4arch9wavefront6targetE1EEEvT1_: ; @_ZN7rocprim17ROCPRIM_400000_NS6detail17trampoline_kernelINS0_14default_configENS1_27scan_by_key_config_selectorIifEEZZNS1_16scan_by_key_implILNS1_25lookback_scan_determinismE0ELb1ES3_N6thrust23THRUST_200600_302600_NS6detail15normal_iteratorINS9_10device_ptrIiEEEENSB_INSC_IjEEEESE_fNS9_4plusIvEENS9_8equal_toIvEEfEE10hipError_tPvRmT2_T3_T4_T5_mT6_T7_P12ihipStream_tbENKUlT_T0_E_clISt17integral_constantIbLb0EES11_EEDaSW_SX_EUlSW_E_NS1_11comp_targetILNS1_3genE2ELNS1_11target_archE906ELNS1_3gpuE6ELNS1_3repE0EEENS1_30default_config_static_selectorELNS0_4arch9wavefront6targetE1EEEvT1_
; %bb.0:
	.section	.rodata,"a",@progbits
	.p2align	6, 0x0
	.amdhsa_kernel _ZN7rocprim17ROCPRIM_400000_NS6detail17trampoline_kernelINS0_14default_configENS1_27scan_by_key_config_selectorIifEEZZNS1_16scan_by_key_implILNS1_25lookback_scan_determinismE0ELb1ES3_N6thrust23THRUST_200600_302600_NS6detail15normal_iteratorINS9_10device_ptrIiEEEENSB_INSC_IjEEEESE_fNS9_4plusIvEENS9_8equal_toIvEEfEE10hipError_tPvRmT2_T3_T4_T5_mT6_T7_P12ihipStream_tbENKUlT_T0_E_clISt17integral_constantIbLb0EES11_EEDaSW_SX_EUlSW_E_NS1_11comp_targetILNS1_3genE2ELNS1_11target_archE906ELNS1_3gpuE6ELNS1_3repE0EEENS1_30default_config_static_selectorELNS0_4arch9wavefront6targetE1EEEvT1_
		.amdhsa_group_segment_fixed_size 0
		.amdhsa_private_segment_fixed_size 0
		.amdhsa_kernarg_size 112
		.amdhsa_user_sgpr_count 2
		.amdhsa_user_sgpr_dispatch_ptr 0
		.amdhsa_user_sgpr_queue_ptr 0
		.amdhsa_user_sgpr_kernarg_segment_ptr 1
		.amdhsa_user_sgpr_dispatch_id 0
		.amdhsa_user_sgpr_kernarg_preload_length 0
		.amdhsa_user_sgpr_kernarg_preload_offset 0
		.amdhsa_user_sgpr_private_segment_size 0
		.amdhsa_uses_dynamic_stack 0
		.amdhsa_enable_private_segment 0
		.amdhsa_system_sgpr_workgroup_id_x 1
		.amdhsa_system_sgpr_workgroup_id_y 0
		.amdhsa_system_sgpr_workgroup_id_z 0
		.amdhsa_system_sgpr_workgroup_info 0
		.amdhsa_system_vgpr_workitem_id 0
		.amdhsa_next_free_vgpr 1
		.amdhsa_next_free_sgpr 0
		.amdhsa_accum_offset 4
		.amdhsa_reserve_vcc 0
		.amdhsa_float_round_mode_32 0
		.amdhsa_float_round_mode_16_64 0
		.amdhsa_float_denorm_mode_32 3
		.amdhsa_float_denorm_mode_16_64 3
		.amdhsa_dx10_clamp 1
		.amdhsa_ieee_mode 1
		.amdhsa_fp16_overflow 0
		.amdhsa_tg_split 0
		.amdhsa_exception_fp_ieee_invalid_op 0
		.amdhsa_exception_fp_denorm_src 0
		.amdhsa_exception_fp_ieee_div_zero 0
		.amdhsa_exception_fp_ieee_overflow 0
		.amdhsa_exception_fp_ieee_underflow 0
		.amdhsa_exception_fp_ieee_inexact 0
		.amdhsa_exception_int_div_zero 0
	.end_amdhsa_kernel
	.section	.text._ZN7rocprim17ROCPRIM_400000_NS6detail17trampoline_kernelINS0_14default_configENS1_27scan_by_key_config_selectorIifEEZZNS1_16scan_by_key_implILNS1_25lookback_scan_determinismE0ELb1ES3_N6thrust23THRUST_200600_302600_NS6detail15normal_iteratorINS9_10device_ptrIiEEEENSB_INSC_IjEEEESE_fNS9_4plusIvEENS9_8equal_toIvEEfEE10hipError_tPvRmT2_T3_T4_T5_mT6_T7_P12ihipStream_tbENKUlT_T0_E_clISt17integral_constantIbLb0EES11_EEDaSW_SX_EUlSW_E_NS1_11comp_targetILNS1_3genE2ELNS1_11target_archE906ELNS1_3gpuE6ELNS1_3repE0EEENS1_30default_config_static_selectorELNS0_4arch9wavefront6targetE1EEEvT1_,"axG",@progbits,_ZN7rocprim17ROCPRIM_400000_NS6detail17trampoline_kernelINS0_14default_configENS1_27scan_by_key_config_selectorIifEEZZNS1_16scan_by_key_implILNS1_25lookback_scan_determinismE0ELb1ES3_N6thrust23THRUST_200600_302600_NS6detail15normal_iteratorINS9_10device_ptrIiEEEENSB_INSC_IjEEEESE_fNS9_4plusIvEENS9_8equal_toIvEEfEE10hipError_tPvRmT2_T3_T4_T5_mT6_T7_P12ihipStream_tbENKUlT_T0_E_clISt17integral_constantIbLb0EES11_EEDaSW_SX_EUlSW_E_NS1_11comp_targetILNS1_3genE2ELNS1_11target_archE906ELNS1_3gpuE6ELNS1_3repE0EEENS1_30default_config_static_selectorELNS0_4arch9wavefront6targetE1EEEvT1_,comdat
.Lfunc_end1793:
	.size	_ZN7rocprim17ROCPRIM_400000_NS6detail17trampoline_kernelINS0_14default_configENS1_27scan_by_key_config_selectorIifEEZZNS1_16scan_by_key_implILNS1_25lookback_scan_determinismE0ELb1ES3_N6thrust23THRUST_200600_302600_NS6detail15normal_iteratorINS9_10device_ptrIiEEEENSB_INSC_IjEEEESE_fNS9_4plusIvEENS9_8equal_toIvEEfEE10hipError_tPvRmT2_T3_T4_T5_mT6_T7_P12ihipStream_tbENKUlT_T0_E_clISt17integral_constantIbLb0EES11_EEDaSW_SX_EUlSW_E_NS1_11comp_targetILNS1_3genE2ELNS1_11target_archE906ELNS1_3gpuE6ELNS1_3repE0EEENS1_30default_config_static_selectorELNS0_4arch9wavefront6targetE1EEEvT1_, .Lfunc_end1793-_ZN7rocprim17ROCPRIM_400000_NS6detail17trampoline_kernelINS0_14default_configENS1_27scan_by_key_config_selectorIifEEZZNS1_16scan_by_key_implILNS1_25lookback_scan_determinismE0ELb1ES3_N6thrust23THRUST_200600_302600_NS6detail15normal_iteratorINS9_10device_ptrIiEEEENSB_INSC_IjEEEESE_fNS9_4plusIvEENS9_8equal_toIvEEfEE10hipError_tPvRmT2_T3_T4_T5_mT6_T7_P12ihipStream_tbENKUlT_T0_E_clISt17integral_constantIbLb0EES11_EEDaSW_SX_EUlSW_E_NS1_11comp_targetILNS1_3genE2ELNS1_11target_archE906ELNS1_3gpuE6ELNS1_3repE0EEENS1_30default_config_static_selectorELNS0_4arch9wavefront6targetE1EEEvT1_
                                        ; -- End function
	.section	.AMDGPU.csdata,"",@progbits
; Kernel info:
; codeLenInByte = 0
; NumSgprs: 6
; NumVgprs: 0
; NumAgprs: 0
; TotalNumVgprs: 0
; ScratchSize: 0
; MemoryBound: 0
; FloatMode: 240
; IeeeMode: 1
; LDSByteSize: 0 bytes/workgroup (compile time only)
; SGPRBlocks: 0
; VGPRBlocks: 0
; NumSGPRsForWavesPerEU: 6
; NumVGPRsForWavesPerEU: 1
; AccumOffset: 4
; Occupancy: 8
; WaveLimiterHint : 0
; COMPUTE_PGM_RSRC2:SCRATCH_EN: 0
; COMPUTE_PGM_RSRC2:USER_SGPR: 2
; COMPUTE_PGM_RSRC2:TRAP_HANDLER: 0
; COMPUTE_PGM_RSRC2:TGID_X_EN: 1
; COMPUTE_PGM_RSRC2:TGID_Y_EN: 0
; COMPUTE_PGM_RSRC2:TGID_Z_EN: 0
; COMPUTE_PGM_RSRC2:TIDIG_COMP_CNT: 0
; COMPUTE_PGM_RSRC3_GFX90A:ACCUM_OFFSET: 0
; COMPUTE_PGM_RSRC3_GFX90A:TG_SPLIT: 0
	.section	.text._ZN7rocprim17ROCPRIM_400000_NS6detail17trampoline_kernelINS0_14default_configENS1_27scan_by_key_config_selectorIifEEZZNS1_16scan_by_key_implILNS1_25lookback_scan_determinismE0ELb1ES3_N6thrust23THRUST_200600_302600_NS6detail15normal_iteratorINS9_10device_ptrIiEEEENSB_INSC_IjEEEESE_fNS9_4plusIvEENS9_8equal_toIvEEfEE10hipError_tPvRmT2_T3_T4_T5_mT6_T7_P12ihipStream_tbENKUlT_T0_E_clISt17integral_constantIbLb0EES11_EEDaSW_SX_EUlSW_E_NS1_11comp_targetILNS1_3genE10ELNS1_11target_archE1200ELNS1_3gpuE4ELNS1_3repE0EEENS1_30default_config_static_selectorELNS0_4arch9wavefront6targetE1EEEvT1_,"axG",@progbits,_ZN7rocprim17ROCPRIM_400000_NS6detail17trampoline_kernelINS0_14default_configENS1_27scan_by_key_config_selectorIifEEZZNS1_16scan_by_key_implILNS1_25lookback_scan_determinismE0ELb1ES3_N6thrust23THRUST_200600_302600_NS6detail15normal_iteratorINS9_10device_ptrIiEEEENSB_INSC_IjEEEESE_fNS9_4plusIvEENS9_8equal_toIvEEfEE10hipError_tPvRmT2_T3_T4_T5_mT6_T7_P12ihipStream_tbENKUlT_T0_E_clISt17integral_constantIbLb0EES11_EEDaSW_SX_EUlSW_E_NS1_11comp_targetILNS1_3genE10ELNS1_11target_archE1200ELNS1_3gpuE4ELNS1_3repE0EEENS1_30default_config_static_selectorELNS0_4arch9wavefront6targetE1EEEvT1_,comdat
	.protected	_ZN7rocprim17ROCPRIM_400000_NS6detail17trampoline_kernelINS0_14default_configENS1_27scan_by_key_config_selectorIifEEZZNS1_16scan_by_key_implILNS1_25lookback_scan_determinismE0ELb1ES3_N6thrust23THRUST_200600_302600_NS6detail15normal_iteratorINS9_10device_ptrIiEEEENSB_INSC_IjEEEESE_fNS9_4plusIvEENS9_8equal_toIvEEfEE10hipError_tPvRmT2_T3_T4_T5_mT6_T7_P12ihipStream_tbENKUlT_T0_E_clISt17integral_constantIbLb0EES11_EEDaSW_SX_EUlSW_E_NS1_11comp_targetILNS1_3genE10ELNS1_11target_archE1200ELNS1_3gpuE4ELNS1_3repE0EEENS1_30default_config_static_selectorELNS0_4arch9wavefront6targetE1EEEvT1_ ; -- Begin function _ZN7rocprim17ROCPRIM_400000_NS6detail17trampoline_kernelINS0_14default_configENS1_27scan_by_key_config_selectorIifEEZZNS1_16scan_by_key_implILNS1_25lookback_scan_determinismE0ELb1ES3_N6thrust23THRUST_200600_302600_NS6detail15normal_iteratorINS9_10device_ptrIiEEEENSB_INSC_IjEEEESE_fNS9_4plusIvEENS9_8equal_toIvEEfEE10hipError_tPvRmT2_T3_T4_T5_mT6_T7_P12ihipStream_tbENKUlT_T0_E_clISt17integral_constantIbLb0EES11_EEDaSW_SX_EUlSW_E_NS1_11comp_targetILNS1_3genE10ELNS1_11target_archE1200ELNS1_3gpuE4ELNS1_3repE0EEENS1_30default_config_static_selectorELNS0_4arch9wavefront6targetE1EEEvT1_
	.globl	_ZN7rocprim17ROCPRIM_400000_NS6detail17trampoline_kernelINS0_14default_configENS1_27scan_by_key_config_selectorIifEEZZNS1_16scan_by_key_implILNS1_25lookback_scan_determinismE0ELb1ES3_N6thrust23THRUST_200600_302600_NS6detail15normal_iteratorINS9_10device_ptrIiEEEENSB_INSC_IjEEEESE_fNS9_4plusIvEENS9_8equal_toIvEEfEE10hipError_tPvRmT2_T3_T4_T5_mT6_T7_P12ihipStream_tbENKUlT_T0_E_clISt17integral_constantIbLb0EES11_EEDaSW_SX_EUlSW_E_NS1_11comp_targetILNS1_3genE10ELNS1_11target_archE1200ELNS1_3gpuE4ELNS1_3repE0EEENS1_30default_config_static_selectorELNS0_4arch9wavefront6targetE1EEEvT1_
	.p2align	8
	.type	_ZN7rocprim17ROCPRIM_400000_NS6detail17trampoline_kernelINS0_14default_configENS1_27scan_by_key_config_selectorIifEEZZNS1_16scan_by_key_implILNS1_25lookback_scan_determinismE0ELb1ES3_N6thrust23THRUST_200600_302600_NS6detail15normal_iteratorINS9_10device_ptrIiEEEENSB_INSC_IjEEEESE_fNS9_4plusIvEENS9_8equal_toIvEEfEE10hipError_tPvRmT2_T3_T4_T5_mT6_T7_P12ihipStream_tbENKUlT_T0_E_clISt17integral_constantIbLb0EES11_EEDaSW_SX_EUlSW_E_NS1_11comp_targetILNS1_3genE10ELNS1_11target_archE1200ELNS1_3gpuE4ELNS1_3repE0EEENS1_30default_config_static_selectorELNS0_4arch9wavefront6targetE1EEEvT1_,@function
_ZN7rocprim17ROCPRIM_400000_NS6detail17trampoline_kernelINS0_14default_configENS1_27scan_by_key_config_selectorIifEEZZNS1_16scan_by_key_implILNS1_25lookback_scan_determinismE0ELb1ES3_N6thrust23THRUST_200600_302600_NS6detail15normal_iteratorINS9_10device_ptrIiEEEENSB_INSC_IjEEEESE_fNS9_4plusIvEENS9_8equal_toIvEEfEE10hipError_tPvRmT2_T3_T4_T5_mT6_T7_P12ihipStream_tbENKUlT_T0_E_clISt17integral_constantIbLb0EES11_EEDaSW_SX_EUlSW_E_NS1_11comp_targetILNS1_3genE10ELNS1_11target_archE1200ELNS1_3gpuE4ELNS1_3repE0EEENS1_30default_config_static_selectorELNS0_4arch9wavefront6targetE1EEEvT1_: ; @_ZN7rocprim17ROCPRIM_400000_NS6detail17trampoline_kernelINS0_14default_configENS1_27scan_by_key_config_selectorIifEEZZNS1_16scan_by_key_implILNS1_25lookback_scan_determinismE0ELb1ES3_N6thrust23THRUST_200600_302600_NS6detail15normal_iteratorINS9_10device_ptrIiEEEENSB_INSC_IjEEEESE_fNS9_4plusIvEENS9_8equal_toIvEEfEE10hipError_tPvRmT2_T3_T4_T5_mT6_T7_P12ihipStream_tbENKUlT_T0_E_clISt17integral_constantIbLb0EES11_EEDaSW_SX_EUlSW_E_NS1_11comp_targetILNS1_3genE10ELNS1_11target_archE1200ELNS1_3gpuE4ELNS1_3repE0EEENS1_30default_config_static_selectorELNS0_4arch9wavefront6targetE1EEEvT1_
; %bb.0:
	.section	.rodata,"a",@progbits
	.p2align	6, 0x0
	.amdhsa_kernel _ZN7rocprim17ROCPRIM_400000_NS6detail17trampoline_kernelINS0_14default_configENS1_27scan_by_key_config_selectorIifEEZZNS1_16scan_by_key_implILNS1_25lookback_scan_determinismE0ELb1ES3_N6thrust23THRUST_200600_302600_NS6detail15normal_iteratorINS9_10device_ptrIiEEEENSB_INSC_IjEEEESE_fNS9_4plusIvEENS9_8equal_toIvEEfEE10hipError_tPvRmT2_T3_T4_T5_mT6_T7_P12ihipStream_tbENKUlT_T0_E_clISt17integral_constantIbLb0EES11_EEDaSW_SX_EUlSW_E_NS1_11comp_targetILNS1_3genE10ELNS1_11target_archE1200ELNS1_3gpuE4ELNS1_3repE0EEENS1_30default_config_static_selectorELNS0_4arch9wavefront6targetE1EEEvT1_
		.amdhsa_group_segment_fixed_size 0
		.amdhsa_private_segment_fixed_size 0
		.amdhsa_kernarg_size 112
		.amdhsa_user_sgpr_count 2
		.amdhsa_user_sgpr_dispatch_ptr 0
		.amdhsa_user_sgpr_queue_ptr 0
		.amdhsa_user_sgpr_kernarg_segment_ptr 1
		.amdhsa_user_sgpr_dispatch_id 0
		.amdhsa_user_sgpr_kernarg_preload_length 0
		.amdhsa_user_sgpr_kernarg_preload_offset 0
		.amdhsa_user_sgpr_private_segment_size 0
		.amdhsa_uses_dynamic_stack 0
		.amdhsa_enable_private_segment 0
		.amdhsa_system_sgpr_workgroup_id_x 1
		.amdhsa_system_sgpr_workgroup_id_y 0
		.amdhsa_system_sgpr_workgroup_id_z 0
		.amdhsa_system_sgpr_workgroup_info 0
		.amdhsa_system_vgpr_workitem_id 0
		.amdhsa_next_free_vgpr 1
		.amdhsa_next_free_sgpr 0
		.amdhsa_accum_offset 4
		.amdhsa_reserve_vcc 0
		.amdhsa_float_round_mode_32 0
		.amdhsa_float_round_mode_16_64 0
		.amdhsa_float_denorm_mode_32 3
		.amdhsa_float_denorm_mode_16_64 3
		.amdhsa_dx10_clamp 1
		.amdhsa_ieee_mode 1
		.amdhsa_fp16_overflow 0
		.amdhsa_tg_split 0
		.amdhsa_exception_fp_ieee_invalid_op 0
		.amdhsa_exception_fp_denorm_src 0
		.amdhsa_exception_fp_ieee_div_zero 0
		.amdhsa_exception_fp_ieee_overflow 0
		.amdhsa_exception_fp_ieee_underflow 0
		.amdhsa_exception_fp_ieee_inexact 0
		.amdhsa_exception_int_div_zero 0
	.end_amdhsa_kernel
	.section	.text._ZN7rocprim17ROCPRIM_400000_NS6detail17trampoline_kernelINS0_14default_configENS1_27scan_by_key_config_selectorIifEEZZNS1_16scan_by_key_implILNS1_25lookback_scan_determinismE0ELb1ES3_N6thrust23THRUST_200600_302600_NS6detail15normal_iteratorINS9_10device_ptrIiEEEENSB_INSC_IjEEEESE_fNS9_4plusIvEENS9_8equal_toIvEEfEE10hipError_tPvRmT2_T3_T4_T5_mT6_T7_P12ihipStream_tbENKUlT_T0_E_clISt17integral_constantIbLb0EES11_EEDaSW_SX_EUlSW_E_NS1_11comp_targetILNS1_3genE10ELNS1_11target_archE1200ELNS1_3gpuE4ELNS1_3repE0EEENS1_30default_config_static_selectorELNS0_4arch9wavefront6targetE1EEEvT1_,"axG",@progbits,_ZN7rocprim17ROCPRIM_400000_NS6detail17trampoline_kernelINS0_14default_configENS1_27scan_by_key_config_selectorIifEEZZNS1_16scan_by_key_implILNS1_25lookback_scan_determinismE0ELb1ES3_N6thrust23THRUST_200600_302600_NS6detail15normal_iteratorINS9_10device_ptrIiEEEENSB_INSC_IjEEEESE_fNS9_4plusIvEENS9_8equal_toIvEEfEE10hipError_tPvRmT2_T3_T4_T5_mT6_T7_P12ihipStream_tbENKUlT_T0_E_clISt17integral_constantIbLb0EES11_EEDaSW_SX_EUlSW_E_NS1_11comp_targetILNS1_3genE10ELNS1_11target_archE1200ELNS1_3gpuE4ELNS1_3repE0EEENS1_30default_config_static_selectorELNS0_4arch9wavefront6targetE1EEEvT1_,comdat
.Lfunc_end1794:
	.size	_ZN7rocprim17ROCPRIM_400000_NS6detail17trampoline_kernelINS0_14default_configENS1_27scan_by_key_config_selectorIifEEZZNS1_16scan_by_key_implILNS1_25lookback_scan_determinismE0ELb1ES3_N6thrust23THRUST_200600_302600_NS6detail15normal_iteratorINS9_10device_ptrIiEEEENSB_INSC_IjEEEESE_fNS9_4plusIvEENS9_8equal_toIvEEfEE10hipError_tPvRmT2_T3_T4_T5_mT6_T7_P12ihipStream_tbENKUlT_T0_E_clISt17integral_constantIbLb0EES11_EEDaSW_SX_EUlSW_E_NS1_11comp_targetILNS1_3genE10ELNS1_11target_archE1200ELNS1_3gpuE4ELNS1_3repE0EEENS1_30default_config_static_selectorELNS0_4arch9wavefront6targetE1EEEvT1_, .Lfunc_end1794-_ZN7rocprim17ROCPRIM_400000_NS6detail17trampoline_kernelINS0_14default_configENS1_27scan_by_key_config_selectorIifEEZZNS1_16scan_by_key_implILNS1_25lookback_scan_determinismE0ELb1ES3_N6thrust23THRUST_200600_302600_NS6detail15normal_iteratorINS9_10device_ptrIiEEEENSB_INSC_IjEEEESE_fNS9_4plusIvEENS9_8equal_toIvEEfEE10hipError_tPvRmT2_T3_T4_T5_mT6_T7_P12ihipStream_tbENKUlT_T0_E_clISt17integral_constantIbLb0EES11_EEDaSW_SX_EUlSW_E_NS1_11comp_targetILNS1_3genE10ELNS1_11target_archE1200ELNS1_3gpuE4ELNS1_3repE0EEENS1_30default_config_static_selectorELNS0_4arch9wavefront6targetE1EEEvT1_
                                        ; -- End function
	.section	.AMDGPU.csdata,"",@progbits
; Kernel info:
; codeLenInByte = 0
; NumSgprs: 6
; NumVgprs: 0
; NumAgprs: 0
; TotalNumVgprs: 0
; ScratchSize: 0
; MemoryBound: 0
; FloatMode: 240
; IeeeMode: 1
; LDSByteSize: 0 bytes/workgroup (compile time only)
; SGPRBlocks: 0
; VGPRBlocks: 0
; NumSGPRsForWavesPerEU: 6
; NumVGPRsForWavesPerEU: 1
; AccumOffset: 4
; Occupancy: 8
; WaveLimiterHint : 0
; COMPUTE_PGM_RSRC2:SCRATCH_EN: 0
; COMPUTE_PGM_RSRC2:USER_SGPR: 2
; COMPUTE_PGM_RSRC2:TRAP_HANDLER: 0
; COMPUTE_PGM_RSRC2:TGID_X_EN: 1
; COMPUTE_PGM_RSRC2:TGID_Y_EN: 0
; COMPUTE_PGM_RSRC2:TGID_Z_EN: 0
; COMPUTE_PGM_RSRC2:TIDIG_COMP_CNT: 0
; COMPUTE_PGM_RSRC3_GFX90A:ACCUM_OFFSET: 0
; COMPUTE_PGM_RSRC3_GFX90A:TG_SPLIT: 0
	.section	.text._ZN7rocprim17ROCPRIM_400000_NS6detail17trampoline_kernelINS0_14default_configENS1_27scan_by_key_config_selectorIifEEZZNS1_16scan_by_key_implILNS1_25lookback_scan_determinismE0ELb1ES3_N6thrust23THRUST_200600_302600_NS6detail15normal_iteratorINS9_10device_ptrIiEEEENSB_INSC_IjEEEESE_fNS9_4plusIvEENS9_8equal_toIvEEfEE10hipError_tPvRmT2_T3_T4_T5_mT6_T7_P12ihipStream_tbENKUlT_T0_E_clISt17integral_constantIbLb0EES11_EEDaSW_SX_EUlSW_E_NS1_11comp_targetILNS1_3genE9ELNS1_11target_archE1100ELNS1_3gpuE3ELNS1_3repE0EEENS1_30default_config_static_selectorELNS0_4arch9wavefront6targetE1EEEvT1_,"axG",@progbits,_ZN7rocprim17ROCPRIM_400000_NS6detail17trampoline_kernelINS0_14default_configENS1_27scan_by_key_config_selectorIifEEZZNS1_16scan_by_key_implILNS1_25lookback_scan_determinismE0ELb1ES3_N6thrust23THRUST_200600_302600_NS6detail15normal_iteratorINS9_10device_ptrIiEEEENSB_INSC_IjEEEESE_fNS9_4plusIvEENS9_8equal_toIvEEfEE10hipError_tPvRmT2_T3_T4_T5_mT6_T7_P12ihipStream_tbENKUlT_T0_E_clISt17integral_constantIbLb0EES11_EEDaSW_SX_EUlSW_E_NS1_11comp_targetILNS1_3genE9ELNS1_11target_archE1100ELNS1_3gpuE3ELNS1_3repE0EEENS1_30default_config_static_selectorELNS0_4arch9wavefront6targetE1EEEvT1_,comdat
	.protected	_ZN7rocprim17ROCPRIM_400000_NS6detail17trampoline_kernelINS0_14default_configENS1_27scan_by_key_config_selectorIifEEZZNS1_16scan_by_key_implILNS1_25lookback_scan_determinismE0ELb1ES3_N6thrust23THRUST_200600_302600_NS6detail15normal_iteratorINS9_10device_ptrIiEEEENSB_INSC_IjEEEESE_fNS9_4plusIvEENS9_8equal_toIvEEfEE10hipError_tPvRmT2_T3_T4_T5_mT6_T7_P12ihipStream_tbENKUlT_T0_E_clISt17integral_constantIbLb0EES11_EEDaSW_SX_EUlSW_E_NS1_11comp_targetILNS1_3genE9ELNS1_11target_archE1100ELNS1_3gpuE3ELNS1_3repE0EEENS1_30default_config_static_selectorELNS0_4arch9wavefront6targetE1EEEvT1_ ; -- Begin function _ZN7rocprim17ROCPRIM_400000_NS6detail17trampoline_kernelINS0_14default_configENS1_27scan_by_key_config_selectorIifEEZZNS1_16scan_by_key_implILNS1_25lookback_scan_determinismE0ELb1ES3_N6thrust23THRUST_200600_302600_NS6detail15normal_iteratorINS9_10device_ptrIiEEEENSB_INSC_IjEEEESE_fNS9_4plusIvEENS9_8equal_toIvEEfEE10hipError_tPvRmT2_T3_T4_T5_mT6_T7_P12ihipStream_tbENKUlT_T0_E_clISt17integral_constantIbLb0EES11_EEDaSW_SX_EUlSW_E_NS1_11comp_targetILNS1_3genE9ELNS1_11target_archE1100ELNS1_3gpuE3ELNS1_3repE0EEENS1_30default_config_static_selectorELNS0_4arch9wavefront6targetE1EEEvT1_
	.globl	_ZN7rocprim17ROCPRIM_400000_NS6detail17trampoline_kernelINS0_14default_configENS1_27scan_by_key_config_selectorIifEEZZNS1_16scan_by_key_implILNS1_25lookback_scan_determinismE0ELb1ES3_N6thrust23THRUST_200600_302600_NS6detail15normal_iteratorINS9_10device_ptrIiEEEENSB_INSC_IjEEEESE_fNS9_4plusIvEENS9_8equal_toIvEEfEE10hipError_tPvRmT2_T3_T4_T5_mT6_T7_P12ihipStream_tbENKUlT_T0_E_clISt17integral_constantIbLb0EES11_EEDaSW_SX_EUlSW_E_NS1_11comp_targetILNS1_3genE9ELNS1_11target_archE1100ELNS1_3gpuE3ELNS1_3repE0EEENS1_30default_config_static_selectorELNS0_4arch9wavefront6targetE1EEEvT1_
	.p2align	8
	.type	_ZN7rocprim17ROCPRIM_400000_NS6detail17trampoline_kernelINS0_14default_configENS1_27scan_by_key_config_selectorIifEEZZNS1_16scan_by_key_implILNS1_25lookback_scan_determinismE0ELb1ES3_N6thrust23THRUST_200600_302600_NS6detail15normal_iteratorINS9_10device_ptrIiEEEENSB_INSC_IjEEEESE_fNS9_4plusIvEENS9_8equal_toIvEEfEE10hipError_tPvRmT2_T3_T4_T5_mT6_T7_P12ihipStream_tbENKUlT_T0_E_clISt17integral_constantIbLb0EES11_EEDaSW_SX_EUlSW_E_NS1_11comp_targetILNS1_3genE9ELNS1_11target_archE1100ELNS1_3gpuE3ELNS1_3repE0EEENS1_30default_config_static_selectorELNS0_4arch9wavefront6targetE1EEEvT1_,@function
_ZN7rocprim17ROCPRIM_400000_NS6detail17trampoline_kernelINS0_14default_configENS1_27scan_by_key_config_selectorIifEEZZNS1_16scan_by_key_implILNS1_25lookback_scan_determinismE0ELb1ES3_N6thrust23THRUST_200600_302600_NS6detail15normal_iteratorINS9_10device_ptrIiEEEENSB_INSC_IjEEEESE_fNS9_4plusIvEENS9_8equal_toIvEEfEE10hipError_tPvRmT2_T3_T4_T5_mT6_T7_P12ihipStream_tbENKUlT_T0_E_clISt17integral_constantIbLb0EES11_EEDaSW_SX_EUlSW_E_NS1_11comp_targetILNS1_3genE9ELNS1_11target_archE1100ELNS1_3gpuE3ELNS1_3repE0EEENS1_30default_config_static_selectorELNS0_4arch9wavefront6targetE1EEEvT1_: ; @_ZN7rocprim17ROCPRIM_400000_NS6detail17trampoline_kernelINS0_14default_configENS1_27scan_by_key_config_selectorIifEEZZNS1_16scan_by_key_implILNS1_25lookback_scan_determinismE0ELb1ES3_N6thrust23THRUST_200600_302600_NS6detail15normal_iteratorINS9_10device_ptrIiEEEENSB_INSC_IjEEEESE_fNS9_4plusIvEENS9_8equal_toIvEEfEE10hipError_tPvRmT2_T3_T4_T5_mT6_T7_P12ihipStream_tbENKUlT_T0_E_clISt17integral_constantIbLb0EES11_EEDaSW_SX_EUlSW_E_NS1_11comp_targetILNS1_3genE9ELNS1_11target_archE1100ELNS1_3gpuE3ELNS1_3repE0EEENS1_30default_config_static_selectorELNS0_4arch9wavefront6targetE1EEEvT1_
; %bb.0:
	.section	.rodata,"a",@progbits
	.p2align	6, 0x0
	.amdhsa_kernel _ZN7rocprim17ROCPRIM_400000_NS6detail17trampoline_kernelINS0_14default_configENS1_27scan_by_key_config_selectorIifEEZZNS1_16scan_by_key_implILNS1_25lookback_scan_determinismE0ELb1ES3_N6thrust23THRUST_200600_302600_NS6detail15normal_iteratorINS9_10device_ptrIiEEEENSB_INSC_IjEEEESE_fNS9_4plusIvEENS9_8equal_toIvEEfEE10hipError_tPvRmT2_T3_T4_T5_mT6_T7_P12ihipStream_tbENKUlT_T0_E_clISt17integral_constantIbLb0EES11_EEDaSW_SX_EUlSW_E_NS1_11comp_targetILNS1_3genE9ELNS1_11target_archE1100ELNS1_3gpuE3ELNS1_3repE0EEENS1_30default_config_static_selectorELNS0_4arch9wavefront6targetE1EEEvT1_
		.amdhsa_group_segment_fixed_size 0
		.amdhsa_private_segment_fixed_size 0
		.amdhsa_kernarg_size 112
		.amdhsa_user_sgpr_count 2
		.amdhsa_user_sgpr_dispatch_ptr 0
		.amdhsa_user_sgpr_queue_ptr 0
		.amdhsa_user_sgpr_kernarg_segment_ptr 1
		.amdhsa_user_sgpr_dispatch_id 0
		.amdhsa_user_sgpr_kernarg_preload_length 0
		.amdhsa_user_sgpr_kernarg_preload_offset 0
		.amdhsa_user_sgpr_private_segment_size 0
		.amdhsa_uses_dynamic_stack 0
		.amdhsa_enable_private_segment 0
		.amdhsa_system_sgpr_workgroup_id_x 1
		.amdhsa_system_sgpr_workgroup_id_y 0
		.amdhsa_system_sgpr_workgroup_id_z 0
		.amdhsa_system_sgpr_workgroup_info 0
		.amdhsa_system_vgpr_workitem_id 0
		.amdhsa_next_free_vgpr 1
		.amdhsa_next_free_sgpr 0
		.amdhsa_accum_offset 4
		.amdhsa_reserve_vcc 0
		.amdhsa_float_round_mode_32 0
		.amdhsa_float_round_mode_16_64 0
		.amdhsa_float_denorm_mode_32 3
		.amdhsa_float_denorm_mode_16_64 3
		.amdhsa_dx10_clamp 1
		.amdhsa_ieee_mode 1
		.amdhsa_fp16_overflow 0
		.amdhsa_tg_split 0
		.amdhsa_exception_fp_ieee_invalid_op 0
		.amdhsa_exception_fp_denorm_src 0
		.amdhsa_exception_fp_ieee_div_zero 0
		.amdhsa_exception_fp_ieee_overflow 0
		.amdhsa_exception_fp_ieee_underflow 0
		.amdhsa_exception_fp_ieee_inexact 0
		.amdhsa_exception_int_div_zero 0
	.end_amdhsa_kernel
	.section	.text._ZN7rocprim17ROCPRIM_400000_NS6detail17trampoline_kernelINS0_14default_configENS1_27scan_by_key_config_selectorIifEEZZNS1_16scan_by_key_implILNS1_25lookback_scan_determinismE0ELb1ES3_N6thrust23THRUST_200600_302600_NS6detail15normal_iteratorINS9_10device_ptrIiEEEENSB_INSC_IjEEEESE_fNS9_4plusIvEENS9_8equal_toIvEEfEE10hipError_tPvRmT2_T3_T4_T5_mT6_T7_P12ihipStream_tbENKUlT_T0_E_clISt17integral_constantIbLb0EES11_EEDaSW_SX_EUlSW_E_NS1_11comp_targetILNS1_3genE9ELNS1_11target_archE1100ELNS1_3gpuE3ELNS1_3repE0EEENS1_30default_config_static_selectorELNS0_4arch9wavefront6targetE1EEEvT1_,"axG",@progbits,_ZN7rocprim17ROCPRIM_400000_NS6detail17trampoline_kernelINS0_14default_configENS1_27scan_by_key_config_selectorIifEEZZNS1_16scan_by_key_implILNS1_25lookback_scan_determinismE0ELb1ES3_N6thrust23THRUST_200600_302600_NS6detail15normal_iteratorINS9_10device_ptrIiEEEENSB_INSC_IjEEEESE_fNS9_4plusIvEENS9_8equal_toIvEEfEE10hipError_tPvRmT2_T3_T4_T5_mT6_T7_P12ihipStream_tbENKUlT_T0_E_clISt17integral_constantIbLb0EES11_EEDaSW_SX_EUlSW_E_NS1_11comp_targetILNS1_3genE9ELNS1_11target_archE1100ELNS1_3gpuE3ELNS1_3repE0EEENS1_30default_config_static_selectorELNS0_4arch9wavefront6targetE1EEEvT1_,comdat
.Lfunc_end1795:
	.size	_ZN7rocprim17ROCPRIM_400000_NS6detail17trampoline_kernelINS0_14default_configENS1_27scan_by_key_config_selectorIifEEZZNS1_16scan_by_key_implILNS1_25lookback_scan_determinismE0ELb1ES3_N6thrust23THRUST_200600_302600_NS6detail15normal_iteratorINS9_10device_ptrIiEEEENSB_INSC_IjEEEESE_fNS9_4plusIvEENS9_8equal_toIvEEfEE10hipError_tPvRmT2_T3_T4_T5_mT6_T7_P12ihipStream_tbENKUlT_T0_E_clISt17integral_constantIbLb0EES11_EEDaSW_SX_EUlSW_E_NS1_11comp_targetILNS1_3genE9ELNS1_11target_archE1100ELNS1_3gpuE3ELNS1_3repE0EEENS1_30default_config_static_selectorELNS0_4arch9wavefront6targetE1EEEvT1_, .Lfunc_end1795-_ZN7rocprim17ROCPRIM_400000_NS6detail17trampoline_kernelINS0_14default_configENS1_27scan_by_key_config_selectorIifEEZZNS1_16scan_by_key_implILNS1_25lookback_scan_determinismE0ELb1ES3_N6thrust23THRUST_200600_302600_NS6detail15normal_iteratorINS9_10device_ptrIiEEEENSB_INSC_IjEEEESE_fNS9_4plusIvEENS9_8equal_toIvEEfEE10hipError_tPvRmT2_T3_T4_T5_mT6_T7_P12ihipStream_tbENKUlT_T0_E_clISt17integral_constantIbLb0EES11_EEDaSW_SX_EUlSW_E_NS1_11comp_targetILNS1_3genE9ELNS1_11target_archE1100ELNS1_3gpuE3ELNS1_3repE0EEENS1_30default_config_static_selectorELNS0_4arch9wavefront6targetE1EEEvT1_
                                        ; -- End function
	.section	.AMDGPU.csdata,"",@progbits
; Kernel info:
; codeLenInByte = 0
; NumSgprs: 6
; NumVgprs: 0
; NumAgprs: 0
; TotalNumVgprs: 0
; ScratchSize: 0
; MemoryBound: 0
; FloatMode: 240
; IeeeMode: 1
; LDSByteSize: 0 bytes/workgroup (compile time only)
; SGPRBlocks: 0
; VGPRBlocks: 0
; NumSGPRsForWavesPerEU: 6
; NumVGPRsForWavesPerEU: 1
; AccumOffset: 4
; Occupancy: 8
; WaveLimiterHint : 0
; COMPUTE_PGM_RSRC2:SCRATCH_EN: 0
; COMPUTE_PGM_RSRC2:USER_SGPR: 2
; COMPUTE_PGM_RSRC2:TRAP_HANDLER: 0
; COMPUTE_PGM_RSRC2:TGID_X_EN: 1
; COMPUTE_PGM_RSRC2:TGID_Y_EN: 0
; COMPUTE_PGM_RSRC2:TGID_Z_EN: 0
; COMPUTE_PGM_RSRC2:TIDIG_COMP_CNT: 0
; COMPUTE_PGM_RSRC3_GFX90A:ACCUM_OFFSET: 0
; COMPUTE_PGM_RSRC3_GFX90A:TG_SPLIT: 0
	.section	.text._ZN7rocprim17ROCPRIM_400000_NS6detail17trampoline_kernelINS0_14default_configENS1_27scan_by_key_config_selectorIifEEZZNS1_16scan_by_key_implILNS1_25lookback_scan_determinismE0ELb1ES3_N6thrust23THRUST_200600_302600_NS6detail15normal_iteratorINS9_10device_ptrIiEEEENSB_INSC_IjEEEESE_fNS9_4plusIvEENS9_8equal_toIvEEfEE10hipError_tPvRmT2_T3_T4_T5_mT6_T7_P12ihipStream_tbENKUlT_T0_E_clISt17integral_constantIbLb0EES11_EEDaSW_SX_EUlSW_E_NS1_11comp_targetILNS1_3genE8ELNS1_11target_archE1030ELNS1_3gpuE2ELNS1_3repE0EEENS1_30default_config_static_selectorELNS0_4arch9wavefront6targetE1EEEvT1_,"axG",@progbits,_ZN7rocprim17ROCPRIM_400000_NS6detail17trampoline_kernelINS0_14default_configENS1_27scan_by_key_config_selectorIifEEZZNS1_16scan_by_key_implILNS1_25lookback_scan_determinismE0ELb1ES3_N6thrust23THRUST_200600_302600_NS6detail15normal_iteratorINS9_10device_ptrIiEEEENSB_INSC_IjEEEESE_fNS9_4plusIvEENS9_8equal_toIvEEfEE10hipError_tPvRmT2_T3_T4_T5_mT6_T7_P12ihipStream_tbENKUlT_T0_E_clISt17integral_constantIbLb0EES11_EEDaSW_SX_EUlSW_E_NS1_11comp_targetILNS1_3genE8ELNS1_11target_archE1030ELNS1_3gpuE2ELNS1_3repE0EEENS1_30default_config_static_selectorELNS0_4arch9wavefront6targetE1EEEvT1_,comdat
	.protected	_ZN7rocprim17ROCPRIM_400000_NS6detail17trampoline_kernelINS0_14default_configENS1_27scan_by_key_config_selectorIifEEZZNS1_16scan_by_key_implILNS1_25lookback_scan_determinismE0ELb1ES3_N6thrust23THRUST_200600_302600_NS6detail15normal_iteratorINS9_10device_ptrIiEEEENSB_INSC_IjEEEESE_fNS9_4plusIvEENS9_8equal_toIvEEfEE10hipError_tPvRmT2_T3_T4_T5_mT6_T7_P12ihipStream_tbENKUlT_T0_E_clISt17integral_constantIbLb0EES11_EEDaSW_SX_EUlSW_E_NS1_11comp_targetILNS1_3genE8ELNS1_11target_archE1030ELNS1_3gpuE2ELNS1_3repE0EEENS1_30default_config_static_selectorELNS0_4arch9wavefront6targetE1EEEvT1_ ; -- Begin function _ZN7rocprim17ROCPRIM_400000_NS6detail17trampoline_kernelINS0_14default_configENS1_27scan_by_key_config_selectorIifEEZZNS1_16scan_by_key_implILNS1_25lookback_scan_determinismE0ELb1ES3_N6thrust23THRUST_200600_302600_NS6detail15normal_iteratorINS9_10device_ptrIiEEEENSB_INSC_IjEEEESE_fNS9_4plusIvEENS9_8equal_toIvEEfEE10hipError_tPvRmT2_T3_T4_T5_mT6_T7_P12ihipStream_tbENKUlT_T0_E_clISt17integral_constantIbLb0EES11_EEDaSW_SX_EUlSW_E_NS1_11comp_targetILNS1_3genE8ELNS1_11target_archE1030ELNS1_3gpuE2ELNS1_3repE0EEENS1_30default_config_static_selectorELNS0_4arch9wavefront6targetE1EEEvT1_
	.globl	_ZN7rocprim17ROCPRIM_400000_NS6detail17trampoline_kernelINS0_14default_configENS1_27scan_by_key_config_selectorIifEEZZNS1_16scan_by_key_implILNS1_25lookback_scan_determinismE0ELb1ES3_N6thrust23THRUST_200600_302600_NS6detail15normal_iteratorINS9_10device_ptrIiEEEENSB_INSC_IjEEEESE_fNS9_4plusIvEENS9_8equal_toIvEEfEE10hipError_tPvRmT2_T3_T4_T5_mT6_T7_P12ihipStream_tbENKUlT_T0_E_clISt17integral_constantIbLb0EES11_EEDaSW_SX_EUlSW_E_NS1_11comp_targetILNS1_3genE8ELNS1_11target_archE1030ELNS1_3gpuE2ELNS1_3repE0EEENS1_30default_config_static_selectorELNS0_4arch9wavefront6targetE1EEEvT1_
	.p2align	8
	.type	_ZN7rocprim17ROCPRIM_400000_NS6detail17trampoline_kernelINS0_14default_configENS1_27scan_by_key_config_selectorIifEEZZNS1_16scan_by_key_implILNS1_25lookback_scan_determinismE0ELb1ES3_N6thrust23THRUST_200600_302600_NS6detail15normal_iteratorINS9_10device_ptrIiEEEENSB_INSC_IjEEEESE_fNS9_4plusIvEENS9_8equal_toIvEEfEE10hipError_tPvRmT2_T3_T4_T5_mT6_T7_P12ihipStream_tbENKUlT_T0_E_clISt17integral_constantIbLb0EES11_EEDaSW_SX_EUlSW_E_NS1_11comp_targetILNS1_3genE8ELNS1_11target_archE1030ELNS1_3gpuE2ELNS1_3repE0EEENS1_30default_config_static_selectorELNS0_4arch9wavefront6targetE1EEEvT1_,@function
_ZN7rocprim17ROCPRIM_400000_NS6detail17trampoline_kernelINS0_14default_configENS1_27scan_by_key_config_selectorIifEEZZNS1_16scan_by_key_implILNS1_25lookback_scan_determinismE0ELb1ES3_N6thrust23THRUST_200600_302600_NS6detail15normal_iteratorINS9_10device_ptrIiEEEENSB_INSC_IjEEEESE_fNS9_4plusIvEENS9_8equal_toIvEEfEE10hipError_tPvRmT2_T3_T4_T5_mT6_T7_P12ihipStream_tbENKUlT_T0_E_clISt17integral_constantIbLb0EES11_EEDaSW_SX_EUlSW_E_NS1_11comp_targetILNS1_3genE8ELNS1_11target_archE1030ELNS1_3gpuE2ELNS1_3repE0EEENS1_30default_config_static_selectorELNS0_4arch9wavefront6targetE1EEEvT1_: ; @_ZN7rocprim17ROCPRIM_400000_NS6detail17trampoline_kernelINS0_14default_configENS1_27scan_by_key_config_selectorIifEEZZNS1_16scan_by_key_implILNS1_25lookback_scan_determinismE0ELb1ES3_N6thrust23THRUST_200600_302600_NS6detail15normal_iteratorINS9_10device_ptrIiEEEENSB_INSC_IjEEEESE_fNS9_4plusIvEENS9_8equal_toIvEEfEE10hipError_tPvRmT2_T3_T4_T5_mT6_T7_P12ihipStream_tbENKUlT_T0_E_clISt17integral_constantIbLb0EES11_EEDaSW_SX_EUlSW_E_NS1_11comp_targetILNS1_3genE8ELNS1_11target_archE1030ELNS1_3gpuE2ELNS1_3repE0EEENS1_30default_config_static_selectorELNS0_4arch9wavefront6targetE1EEEvT1_
; %bb.0:
	.section	.rodata,"a",@progbits
	.p2align	6, 0x0
	.amdhsa_kernel _ZN7rocprim17ROCPRIM_400000_NS6detail17trampoline_kernelINS0_14default_configENS1_27scan_by_key_config_selectorIifEEZZNS1_16scan_by_key_implILNS1_25lookback_scan_determinismE0ELb1ES3_N6thrust23THRUST_200600_302600_NS6detail15normal_iteratorINS9_10device_ptrIiEEEENSB_INSC_IjEEEESE_fNS9_4plusIvEENS9_8equal_toIvEEfEE10hipError_tPvRmT2_T3_T4_T5_mT6_T7_P12ihipStream_tbENKUlT_T0_E_clISt17integral_constantIbLb0EES11_EEDaSW_SX_EUlSW_E_NS1_11comp_targetILNS1_3genE8ELNS1_11target_archE1030ELNS1_3gpuE2ELNS1_3repE0EEENS1_30default_config_static_selectorELNS0_4arch9wavefront6targetE1EEEvT1_
		.amdhsa_group_segment_fixed_size 0
		.amdhsa_private_segment_fixed_size 0
		.amdhsa_kernarg_size 112
		.amdhsa_user_sgpr_count 2
		.amdhsa_user_sgpr_dispatch_ptr 0
		.amdhsa_user_sgpr_queue_ptr 0
		.amdhsa_user_sgpr_kernarg_segment_ptr 1
		.amdhsa_user_sgpr_dispatch_id 0
		.amdhsa_user_sgpr_kernarg_preload_length 0
		.amdhsa_user_sgpr_kernarg_preload_offset 0
		.amdhsa_user_sgpr_private_segment_size 0
		.amdhsa_uses_dynamic_stack 0
		.amdhsa_enable_private_segment 0
		.amdhsa_system_sgpr_workgroup_id_x 1
		.amdhsa_system_sgpr_workgroup_id_y 0
		.amdhsa_system_sgpr_workgroup_id_z 0
		.amdhsa_system_sgpr_workgroup_info 0
		.amdhsa_system_vgpr_workitem_id 0
		.amdhsa_next_free_vgpr 1
		.amdhsa_next_free_sgpr 0
		.amdhsa_accum_offset 4
		.amdhsa_reserve_vcc 0
		.amdhsa_float_round_mode_32 0
		.amdhsa_float_round_mode_16_64 0
		.amdhsa_float_denorm_mode_32 3
		.amdhsa_float_denorm_mode_16_64 3
		.amdhsa_dx10_clamp 1
		.amdhsa_ieee_mode 1
		.amdhsa_fp16_overflow 0
		.amdhsa_tg_split 0
		.amdhsa_exception_fp_ieee_invalid_op 0
		.amdhsa_exception_fp_denorm_src 0
		.amdhsa_exception_fp_ieee_div_zero 0
		.amdhsa_exception_fp_ieee_overflow 0
		.amdhsa_exception_fp_ieee_underflow 0
		.amdhsa_exception_fp_ieee_inexact 0
		.amdhsa_exception_int_div_zero 0
	.end_amdhsa_kernel
	.section	.text._ZN7rocprim17ROCPRIM_400000_NS6detail17trampoline_kernelINS0_14default_configENS1_27scan_by_key_config_selectorIifEEZZNS1_16scan_by_key_implILNS1_25lookback_scan_determinismE0ELb1ES3_N6thrust23THRUST_200600_302600_NS6detail15normal_iteratorINS9_10device_ptrIiEEEENSB_INSC_IjEEEESE_fNS9_4plusIvEENS9_8equal_toIvEEfEE10hipError_tPvRmT2_T3_T4_T5_mT6_T7_P12ihipStream_tbENKUlT_T0_E_clISt17integral_constantIbLb0EES11_EEDaSW_SX_EUlSW_E_NS1_11comp_targetILNS1_3genE8ELNS1_11target_archE1030ELNS1_3gpuE2ELNS1_3repE0EEENS1_30default_config_static_selectorELNS0_4arch9wavefront6targetE1EEEvT1_,"axG",@progbits,_ZN7rocprim17ROCPRIM_400000_NS6detail17trampoline_kernelINS0_14default_configENS1_27scan_by_key_config_selectorIifEEZZNS1_16scan_by_key_implILNS1_25lookback_scan_determinismE0ELb1ES3_N6thrust23THRUST_200600_302600_NS6detail15normal_iteratorINS9_10device_ptrIiEEEENSB_INSC_IjEEEESE_fNS9_4plusIvEENS9_8equal_toIvEEfEE10hipError_tPvRmT2_T3_T4_T5_mT6_T7_P12ihipStream_tbENKUlT_T0_E_clISt17integral_constantIbLb0EES11_EEDaSW_SX_EUlSW_E_NS1_11comp_targetILNS1_3genE8ELNS1_11target_archE1030ELNS1_3gpuE2ELNS1_3repE0EEENS1_30default_config_static_selectorELNS0_4arch9wavefront6targetE1EEEvT1_,comdat
.Lfunc_end1796:
	.size	_ZN7rocprim17ROCPRIM_400000_NS6detail17trampoline_kernelINS0_14default_configENS1_27scan_by_key_config_selectorIifEEZZNS1_16scan_by_key_implILNS1_25lookback_scan_determinismE0ELb1ES3_N6thrust23THRUST_200600_302600_NS6detail15normal_iteratorINS9_10device_ptrIiEEEENSB_INSC_IjEEEESE_fNS9_4plusIvEENS9_8equal_toIvEEfEE10hipError_tPvRmT2_T3_T4_T5_mT6_T7_P12ihipStream_tbENKUlT_T0_E_clISt17integral_constantIbLb0EES11_EEDaSW_SX_EUlSW_E_NS1_11comp_targetILNS1_3genE8ELNS1_11target_archE1030ELNS1_3gpuE2ELNS1_3repE0EEENS1_30default_config_static_selectorELNS0_4arch9wavefront6targetE1EEEvT1_, .Lfunc_end1796-_ZN7rocprim17ROCPRIM_400000_NS6detail17trampoline_kernelINS0_14default_configENS1_27scan_by_key_config_selectorIifEEZZNS1_16scan_by_key_implILNS1_25lookback_scan_determinismE0ELb1ES3_N6thrust23THRUST_200600_302600_NS6detail15normal_iteratorINS9_10device_ptrIiEEEENSB_INSC_IjEEEESE_fNS9_4plusIvEENS9_8equal_toIvEEfEE10hipError_tPvRmT2_T3_T4_T5_mT6_T7_P12ihipStream_tbENKUlT_T0_E_clISt17integral_constantIbLb0EES11_EEDaSW_SX_EUlSW_E_NS1_11comp_targetILNS1_3genE8ELNS1_11target_archE1030ELNS1_3gpuE2ELNS1_3repE0EEENS1_30default_config_static_selectorELNS0_4arch9wavefront6targetE1EEEvT1_
                                        ; -- End function
	.section	.AMDGPU.csdata,"",@progbits
; Kernel info:
; codeLenInByte = 0
; NumSgprs: 6
; NumVgprs: 0
; NumAgprs: 0
; TotalNumVgprs: 0
; ScratchSize: 0
; MemoryBound: 0
; FloatMode: 240
; IeeeMode: 1
; LDSByteSize: 0 bytes/workgroup (compile time only)
; SGPRBlocks: 0
; VGPRBlocks: 0
; NumSGPRsForWavesPerEU: 6
; NumVGPRsForWavesPerEU: 1
; AccumOffset: 4
; Occupancy: 8
; WaveLimiterHint : 0
; COMPUTE_PGM_RSRC2:SCRATCH_EN: 0
; COMPUTE_PGM_RSRC2:USER_SGPR: 2
; COMPUTE_PGM_RSRC2:TRAP_HANDLER: 0
; COMPUTE_PGM_RSRC2:TGID_X_EN: 1
; COMPUTE_PGM_RSRC2:TGID_Y_EN: 0
; COMPUTE_PGM_RSRC2:TGID_Z_EN: 0
; COMPUTE_PGM_RSRC2:TIDIG_COMP_CNT: 0
; COMPUTE_PGM_RSRC3_GFX90A:ACCUM_OFFSET: 0
; COMPUTE_PGM_RSRC3_GFX90A:TG_SPLIT: 0
	.section	.text._ZN7rocprim17ROCPRIM_400000_NS6detail17trampoline_kernelINS0_14default_configENS1_27scan_by_key_config_selectorIifEEZZNS1_16scan_by_key_implILNS1_25lookback_scan_determinismE0ELb1ES3_N6thrust23THRUST_200600_302600_NS6detail15normal_iteratorINS9_10device_ptrIiEEEENSB_INSC_IjEEEESE_fNS9_4plusIvEENS9_8equal_toIvEEfEE10hipError_tPvRmT2_T3_T4_T5_mT6_T7_P12ihipStream_tbENKUlT_T0_E_clISt17integral_constantIbLb1EES11_EEDaSW_SX_EUlSW_E_NS1_11comp_targetILNS1_3genE0ELNS1_11target_archE4294967295ELNS1_3gpuE0ELNS1_3repE0EEENS1_30default_config_static_selectorELNS0_4arch9wavefront6targetE1EEEvT1_,"axG",@progbits,_ZN7rocprim17ROCPRIM_400000_NS6detail17trampoline_kernelINS0_14default_configENS1_27scan_by_key_config_selectorIifEEZZNS1_16scan_by_key_implILNS1_25lookback_scan_determinismE0ELb1ES3_N6thrust23THRUST_200600_302600_NS6detail15normal_iteratorINS9_10device_ptrIiEEEENSB_INSC_IjEEEESE_fNS9_4plusIvEENS9_8equal_toIvEEfEE10hipError_tPvRmT2_T3_T4_T5_mT6_T7_P12ihipStream_tbENKUlT_T0_E_clISt17integral_constantIbLb1EES11_EEDaSW_SX_EUlSW_E_NS1_11comp_targetILNS1_3genE0ELNS1_11target_archE4294967295ELNS1_3gpuE0ELNS1_3repE0EEENS1_30default_config_static_selectorELNS0_4arch9wavefront6targetE1EEEvT1_,comdat
	.protected	_ZN7rocprim17ROCPRIM_400000_NS6detail17trampoline_kernelINS0_14default_configENS1_27scan_by_key_config_selectorIifEEZZNS1_16scan_by_key_implILNS1_25lookback_scan_determinismE0ELb1ES3_N6thrust23THRUST_200600_302600_NS6detail15normal_iteratorINS9_10device_ptrIiEEEENSB_INSC_IjEEEESE_fNS9_4plusIvEENS9_8equal_toIvEEfEE10hipError_tPvRmT2_T3_T4_T5_mT6_T7_P12ihipStream_tbENKUlT_T0_E_clISt17integral_constantIbLb1EES11_EEDaSW_SX_EUlSW_E_NS1_11comp_targetILNS1_3genE0ELNS1_11target_archE4294967295ELNS1_3gpuE0ELNS1_3repE0EEENS1_30default_config_static_selectorELNS0_4arch9wavefront6targetE1EEEvT1_ ; -- Begin function _ZN7rocprim17ROCPRIM_400000_NS6detail17trampoline_kernelINS0_14default_configENS1_27scan_by_key_config_selectorIifEEZZNS1_16scan_by_key_implILNS1_25lookback_scan_determinismE0ELb1ES3_N6thrust23THRUST_200600_302600_NS6detail15normal_iteratorINS9_10device_ptrIiEEEENSB_INSC_IjEEEESE_fNS9_4plusIvEENS9_8equal_toIvEEfEE10hipError_tPvRmT2_T3_T4_T5_mT6_T7_P12ihipStream_tbENKUlT_T0_E_clISt17integral_constantIbLb1EES11_EEDaSW_SX_EUlSW_E_NS1_11comp_targetILNS1_3genE0ELNS1_11target_archE4294967295ELNS1_3gpuE0ELNS1_3repE0EEENS1_30default_config_static_selectorELNS0_4arch9wavefront6targetE1EEEvT1_
	.globl	_ZN7rocprim17ROCPRIM_400000_NS6detail17trampoline_kernelINS0_14default_configENS1_27scan_by_key_config_selectorIifEEZZNS1_16scan_by_key_implILNS1_25lookback_scan_determinismE0ELb1ES3_N6thrust23THRUST_200600_302600_NS6detail15normal_iteratorINS9_10device_ptrIiEEEENSB_INSC_IjEEEESE_fNS9_4plusIvEENS9_8equal_toIvEEfEE10hipError_tPvRmT2_T3_T4_T5_mT6_T7_P12ihipStream_tbENKUlT_T0_E_clISt17integral_constantIbLb1EES11_EEDaSW_SX_EUlSW_E_NS1_11comp_targetILNS1_3genE0ELNS1_11target_archE4294967295ELNS1_3gpuE0ELNS1_3repE0EEENS1_30default_config_static_selectorELNS0_4arch9wavefront6targetE1EEEvT1_
	.p2align	8
	.type	_ZN7rocprim17ROCPRIM_400000_NS6detail17trampoline_kernelINS0_14default_configENS1_27scan_by_key_config_selectorIifEEZZNS1_16scan_by_key_implILNS1_25lookback_scan_determinismE0ELb1ES3_N6thrust23THRUST_200600_302600_NS6detail15normal_iteratorINS9_10device_ptrIiEEEENSB_INSC_IjEEEESE_fNS9_4plusIvEENS9_8equal_toIvEEfEE10hipError_tPvRmT2_T3_T4_T5_mT6_T7_P12ihipStream_tbENKUlT_T0_E_clISt17integral_constantIbLb1EES11_EEDaSW_SX_EUlSW_E_NS1_11comp_targetILNS1_3genE0ELNS1_11target_archE4294967295ELNS1_3gpuE0ELNS1_3repE0EEENS1_30default_config_static_selectorELNS0_4arch9wavefront6targetE1EEEvT1_,@function
_ZN7rocprim17ROCPRIM_400000_NS6detail17trampoline_kernelINS0_14default_configENS1_27scan_by_key_config_selectorIifEEZZNS1_16scan_by_key_implILNS1_25lookback_scan_determinismE0ELb1ES3_N6thrust23THRUST_200600_302600_NS6detail15normal_iteratorINS9_10device_ptrIiEEEENSB_INSC_IjEEEESE_fNS9_4plusIvEENS9_8equal_toIvEEfEE10hipError_tPvRmT2_T3_T4_T5_mT6_T7_P12ihipStream_tbENKUlT_T0_E_clISt17integral_constantIbLb1EES11_EEDaSW_SX_EUlSW_E_NS1_11comp_targetILNS1_3genE0ELNS1_11target_archE4294967295ELNS1_3gpuE0ELNS1_3repE0EEENS1_30default_config_static_selectorELNS0_4arch9wavefront6targetE1EEEvT1_: ; @_ZN7rocprim17ROCPRIM_400000_NS6detail17trampoline_kernelINS0_14default_configENS1_27scan_by_key_config_selectorIifEEZZNS1_16scan_by_key_implILNS1_25lookback_scan_determinismE0ELb1ES3_N6thrust23THRUST_200600_302600_NS6detail15normal_iteratorINS9_10device_ptrIiEEEENSB_INSC_IjEEEESE_fNS9_4plusIvEENS9_8equal_toIvEEfEE10hipError_tPvRmT2_T3_T4_T5_mT6_T7_P12ihipStream_tbENKUlT_T0_E_clISt17integral_constantIbLb1EES11_EEDaSW_SX_EUlSW_E_NS1_11comp_targetILNS1_3genE0ELNS1_11target_archE4294967295ELNS1_3gpuE0ELNS1_3repE0EEENS1_30default_config_static_selectorELNS0_4arch9wavefront6targetE1EEEvT1_
; %bb.0:
	.section	.rodata,"a",@progbits
	.p2align	6, 0x0
	.amdhsa_kernel _ZN7rocprim17ROCPRIM_400000_NS6detail17trampoline_kernelINS0_14default_configENS1_27scan_by_key_config_selectorIifEEZZNS1_16scan_by_key_implILNS1_25lookback_scan_determinismE0ELb1ES3_N6thrust23THRUST_200600_302600_NS6detail15normal_iteratorINS9_10device_ptrIiEEEENSB_INSC_IjEEEESE_fNS9_4plusIvEENS9_8equal_toIvEEfEE10hipError_tPvRmT2_T3_T4_T5_mT6_T7_P12ihipStream_tbENKUlT_T0_E_clISt17integral_constantIbLb1EES11_EEDaSW_SX_EUlSW_E_NS1_11comp_targetILNS1_3genE0ELNS1_11target_archE4294967295ELNS1_3gpuE0ELNS1_3repE0EEENS1_30default_config_static_selectorELNS0_4arch9wavefront6targetE1EEEvT1_
		.amdhsa_group_segment_fixed_size 0
		.amdhsa_private_segment_fixed_size 0
		.amdhsa_kernarg_size 112
		.amdhsa_user_sgpr_count 2
		.amdhsa_user_sgpr_dispatch_ptr 0
		.amdhsa_user_sgpr_queue_ptr 0
		.amdhsa_user_sgpr_kernarg_segment_ptr 1
		.amdhsa_user_sgpr_dispatch_id 0
		.amdhsa_user_sgpr_kernarg_preload_length 0
		.amdhsa_user_sgpr_kernarg_preload_offset 0
		.amdhsa_user_sgpr_private_segment_size 0
		.amdhsa_uses_dynamic_stack 0
		.amdhsa_enable_private_segment 0
		.amdhsa_system_sgpr_workgroup_id_x 1
		.amdhsa_system_sgpr_workgroup_id_y 0
		.amdhsa_system_sgpr_workgroup_id_z 0
		.amdhsa_system_sgpr_workgroup_info 0
		.amdhsa_system_vgpr_workitem_id 0
		.amdhsa_next_free_vgpr 1
		.amdhsa_next_free_sgpr 0
		.amdhsa_accum_offset 4
		.amdhsa_reserve_vcc 0
		.amdhsa_float_round_mode_32 0
		.amdhsa_float_round_mode_16_64 0
		.amdhsa_float_denorm_mode_32 3
		.amdhsa_float_denorm_mode_16_64 3
		.amdhsa_dx10_clamp 1
		.amdhsa_ieee_mode 1
		.amdhsa_fp16_overflow 0
		.amdhsa_tg_split 0
		.amdhsa_exception_fp_ieee_invalid_op 0
		.amdhsa_exception_fp_denorm_src 0
		.amdhsa_exception_fp_ieee_div_zero 0
		.amdhsa_exception_fp_ieee_overflow 0
		.amdhsa_exception_fp_ieee_underflow 0
		.amdhsa_exception_fp_ieee_inexact 0
		.amdhsa_exception_int_div_zero 0
	.end_amdhsa_kernel
	.section	.text._ZN7rocprim17ROCPRIM_400000_NS6detail17trampoline_kernelINS0_14default_configENS1_27scan_by_key_config_selectorIifEEZZNS1_16scan_by_key_implILNS1_25lookback_scan_determinismE0ELb1ES3_N6thrust23THRUST_200600_302600_NS6detail15normal_iteratorINS9_10device_ptrIiEEEENSB_INSC_IjEEEESE_fNS9_4plusIvEENS9_8equal_toIvEEfEE10hipError_tPvRmT2_T3_T4_T5_mT6_T7_P12ihipStream_tbENKUlT_T0_E_clISt17integral_constantIbLb1EES11_EEDaSW_SX_EUlSW_E_NS1_11comp_targetILNS1_3genE0ELNS1_11target_archE4294967295ELNS1_3gpuE0ELNS1_3repE0EEENS1_30default_config_static_selectorELNS0_4arch9wavefront6targetE1EEEvT1_,"axG",@progbits,_ZN7rocprim17ROCPRIM_400000_NS6detail17trampoline_kernelINS0_14default_configENS1_27scan_by_key_config_selectorIifEEZZNS1_16scan_by_key_implILNS1_25lookback_scan_determinismE0ELb1ES3_N6thrust23THRUST_200600_302600_NS6detail15normal_iteratorINS9_10device_ptrIiEEEENSB_INSC_IjEEEESE_fNS9_4plusIvEENS9_8equal_toIvEEfEE10hipError_tPvRmT2_T3_T4_T5_mT6_T7_P12ihipStream_tbENKUlT_T0_E_clISt17integral_constantIbLb1EES11_EEDaSW_SX_EUlSW_E_NS1_11comp_targetILNS1_3genE0ELNS1_11target_archE4294967295ELNS1_3gpuE0ELNS1_3repE0EEENS1_30default_config_static_selectorELNS0_4arch9wavefront6targetE1EEEvT1_,comdat
.Lfunc_end1797:
	.size	_ZN7rocprim17ROCPRIM_400000_NS6detail17trampoline_kernelINS0_14default_configENS1_27scan_by_key_config_selectorIifEEZZNS1_16scan_by_key_implILNS1_25lookback_scan_determinismE0ELb1ES3_N6thrust23THRUST_200600_302600_NS6detail15normal_iteratorINS9_10device_ptrIiEEEENSB_INSC_IjEEEESE_fNS9_4plusIvEENS9_8equal_toIvEEfEE10hipError_tPvRmT2_T3_T4_T5_mT6_T7_P12ihipStream_tbENKUlT_T0_E_clISt17integral_constantIbLb1EES11_EEDaSW_SX_EUlSW_E_NS1_11comp_targetILNS1_3genE0ELNS1_11target_archE4294967295ELNS1_3gpuE0ELNS1_3repE0EEENS1_30default_config_static_selectorELNS0_4arch9wavefront6targetE1EEEvT1_, .Lfunc_end1797-_ZN7rocprim17ROCPRIM_400000_NS6detail17trampoline_kernelINS0_14default_configENS1_27scan_by_key_config_selectorIifEEZZNS1_16scan_by_key_implILNS1_25lookback_scan_determinismE0ELb1ES3_N6thrust23THRUST_200600_302600_NS6detail15normal_iteratorINS9_10device_ptrIiEEEENSB_INSC_IjEEEESE_fNS9_4plusIvEENS9_8equal_toIvEEfEE10hipError_tPvRmT2_T3_T4_T5_mT6_T7_P12ihipStream_tbENKUlT_T0_E_clISt17integral_constantIbLb1EES11_EEDaSW_SX_EUlSW_E_NS1_11comp_targetILNS1_3genE0ELNS1_11target_archE4294967295ELNS1_3gpuE0ELNS1_3repE0EEENS1_30default_config_static_selectorELNS0_4arch9wavefront6targetE1EEEvT1_
                                        ; -- End function
	.section	.AMDGPU.csdata,"",@progbits
; Kernel info:
; codeLenInByte = 0
; NumSgprs: 6
; NumVgprs: 0
; NumAgprs: 0
; TotalNumVgprs: 0
; ScratchSize: 0
; MemoryBound: 0
; FloatMode: 240
; IeeeMode: 1
; LDSByteSize: 0 bytes/workgroup (compile time only)
; SGPRBlocks: 0
; VGPRBlocks: 0
; NumSGPRsForWavesPerEU: 6
; NumVGPRsForWavesPerEU: 1
; AccumOffset: 4
; Occupancy: 8
; WaveLimiterHint : 0
; COMPUTE_PGM_RSRC2:SCRATCH_EN: 0
; COMPUTE_PGM_RSRC2:USER_SGPR: 2
; COMPUTE_PGM_RSRC2:TRAP_HANDLER: 0
; COMPUTE_PGM_RSRC2:TGID_X_EN: 1
; COMPUTE_PGM_RSRC2:TGID_Y_EN: 0
; COMPUTE_PGM_RSRC2:TGID_Z_EN: 0
; COMPUTE_PGM_RSRC2:TIDIG_COMP_CNT: 0
; COMPUTE_PGM_RSRC3_GFX90A:ACCUM_OFFSET: 0
; COMPUTE_PGM_RSRC3_GFX90A:TG_SPLIT: 0
	.section	.text._ZN7rocprim17ROCPRIM_400000_NS6detail17trampoline_kernelINS0_14default_configENS1_27scan_by_key_config_selectorIifEEZZNS1_16scan_by_key_implILNS1_25lookback_scan_determinismE0ELb1ES3_N6thrust23THRUST_200600_302600_NS6detail15normal_iteratorINS9_10device_ptrIiEEEENSB_INSC_IjEEEESE_fNS9_4plusIvEENS9_8equal_toIvEEfEE10hipError_tPvRmT2_T3_T4_T5_mT6_T7_P12ihipStream_tbENKUlT_T0_E_clISt17integral_constantIbLb1EES11_EEDaSW_SX_EUlSW_E_NS1_11comp_targetILNS1_3genE10ELNS1_11target_archE1201ELNS1_3gpuE5ELNS1_3repE0EEENS1_30default_config_static_selectorELNS0_4arch9wavefront6targetE1EEEvT1_,"axG",@progbits,_ZN7rocprim17ROCPRIM_400000_NS6detail17trampoline_kernelINS0_14default_configENS1_27scan_by_key_config_selectorIifEEZZNS1_16scan_by_key_implILNS1_25lookback_scan_determinismE0ELb1ES3_N6thrust23THRUST_200600_302600_NS6detail15normal_iteratorINS9_10device_ptrIiEEEENSB_INSC_IjEEEESE_fNS9_4plusIvEENS9_8equal_toIvEEfEE10hipError_tPvRmT2_T3_T4_T5_mT6_T7_P12ihipStream_tbENKUlT_T0_E_clISt17integral_constantIbLb1EES11_EEDaSW_SX_EUlSW_E_NS1_11comp_targetILNS1_3genE10ELNS1_11target_archE1201ELNS1_3gpuE5ELNS1_3repE0EEENS1_30default_config_static_selectorELNS0_4arch9wavefront6targetE1EEEvT1_,comdat
	.protected	_ZN7rocprim17ROCPRIM_400000_NS6detail17trampoline_kernelINS0_14default_configENS1_27scan_by_key_config_selectorIifEEZZNS1_16scan_by_key_implILNS1_25lookback_scan_determinismE0ELb1ES3_N6thrust23THRUST_200600_302600_NS6detail15normal_iteratorINS9_10device_ptrIiEEEENSB_INSC_IjEEEESE_fNS9_4plusIvEENS9_8equal_toIvEEfEE10hipError_tPvRmT2_T3_T4_T5_mT6_T7_P12ihipStream_tbENKUlT_T0_E_clISt17integral_constantIbLb1EES11_EEDaSW_SX_EUlSW_E_NS1_11comp_targetILNS1_3genE10ELNS1_11target_archE1201ELNS1_3gpuE5ELNS1_3repE0EEENS1_30default_config_static_selectorELNS0_4arch9wavefront6targetE1EEEvT1_ ; -- Begin function _ZN7rocprim17ROCPRIM_400000_NS6detail17trampoline_kernelINS0_14default_configENS1_27scan_by_key_config_selectorIifEEZZNS1_16scan_by_key_implILNS1_25lookback_scan_determinismE0ELb1ES3_N6thrust23THRUST_200600_302600_NS6detail15normal_iteratorINS9_10device_ptrIiEEEENSB_INSC_IjEEEESE_fNS9_4plusIvEENS9_8equal_toIvEEfEE10hipError_tPvRmT2_T3_T4_T5_mT6_T7_P12ihipStream_tbENKUlT_T0_E_clISt17integral_constantIbLb1EES11_EEDaSW_SX_EUlSW_E_NS1_11comp_targetILNS1_3genE10ELNS1_11target_archE1201ELNS1_3gpuE5ELNS1_3repE0EEENS1_30default_config_static_selectorELNS0_4arch9wavefront6targetE1EEEvT1_
	.globl	_ZN7rocprim17ROCPRIM_400000_NS6detail17trampoline_kernelINS0_14default_configENS1_27scan_by_key_config_selectorIifEEZZNS1_16scan_by_key_implILNS1_25lookback_scan_determinismE0ELb1ES3_N6thrust23THRUST_200600_302600_NS6detail15normal_iteratorINS9_10device_ptrIiEEEENSB_INSC_IjEEEESE_fNS9_4plusIvEENS9_8equal_toIvEEfEE10hipError_tPvRmT2_T3_T4_T5_mT6_T7_P12ihipStream_tbENKUlT_T0_E_clISt17integral_constantIbLb1EES11_EEDaSW_SX_EUlSW_E_NS1_11comp_targetILNS1_3genE10ELNS1_11target_archE1201ELNS1_3gpuE5ELNS1_3repE0EEENS1_30default_config_static_selectorELNS0_4arch9wavefront6targetE1EEEvT1_
	.p2align	8
	.type	_ZN7rocprim17ROCPRIM_400000_NS6detail17trampoline_kernelINS0_14default_configENS1_27scan_by_key_config_selectorIifEEZZNS1_16scan_by_key_implILNS1_25lookback_scan_determinismE0ELb1ES3_N6thrust23THRUST_200600_302600_NS6detail15normal_iteratorINS9_10device_ptrIiEEEENSB_INSC_IjEEEESE_fNS9_4plusIvEENS9_8equal_toIvEEfEE10hipError_tPvRmT2_T3_T4_T5_mT6_T7_P12ihipStream_tbENKUlT_T0_E_clISt17integral_constantIbLb1EES11_EEDaSW_SX_EUlSW_E_NS1_11comp_targetILNS1_3genE10ELNS1_11target_archE1201ELNS1_3gpuE5ELNS1_3repE0EEENS1_30default_config_static_selectorELNS0_4arch9wavefront6targetE1EEEvT1_,@function
_ZN7rocprim17ROCPRIM_400000_NS6detail17trampoline_kernelINS0_14default_configENS1_27scan_by_key_config_selectorIifEEZZNS1_16scan_by_key_implILNS1_25lookback_scan_determinismE0ELb1ES3_N6thrust23THRUST_200600_302600_NS6detail15normal_iteratorINS9_10device_ptrIiEEEENSB_INSC_IjEEEESE_fNS9_4plusIvEENS9_8equal_toIvEEfEE10hipError_tPvRmT2_T3_T4_T5_mT6_T7_P12ihipStream_tbENKUlT_T0_E_clISt17integral_constantIbLb1EES11_EEDaSW_SX_EUlSW_E_NS1_11comp_targetILNS1_3genE10ELNS1_11target_archE1201ELNS1_3gpuE5ELNS1_3repE0EEENS1_30default_config_static_selectorELNS0_4arch9wavefront6targetE1EEEvT1_: ; @_ZN7rocprim17ROCPRIM_400000_NS6detail17trampoline_kernelINS0_14default_configENS1_27scan_by_key_config_selectorIifEEZZNS1_16scan_by_key_implILNS1_25lookback_scan_determinismE0ELb1ES3_N6thrust23THRUST_200600_302600_NS6detail15normal_iteratorINS9_10device_ptrIiEEEENSB_INSC_IjEEEESE_fNS9_4plusIvEENS9_8equal_toIvEEfEE10hipError_tPvRmT2_T3_T4_T5_mT6_T7_P12ihipStream_tbENKUlT_T0_E_clISt17integral_constantIbLb1EES11_EEDaSW_SX_EUlSW_E_NS1_11comp_targetILNS1_3genE10ELNS1_11target_archE1201ELNS1_3gpuE5ELNS1_3repE0EEENS1_30default_config_static_selectorELNS0_4arch9wavefront6targetE1EEEvT1_
; %bb.0:
	.section	.rodata,"a",@progbits
	.p2align	6, 0x0
	.amdhsa_kernel _ZN7rocprim17ROCPRIM_400000_NS6detail17trampoline_kernelINS0_14default_configENS1_27scan_by_key_config_selectorIifEEZZNS1_16scan_by_key_implILNS1_25lookback_scan_determinismE0ELb1ES3_N6thrust23THRUST_200600_302600_NS6detail15normal_iteratorINS9_10device_ptrIiEEEENSB_INSC_IjEEEESE_fNS9_4plusIvEENS9_8equal_toIvEEfEE10hipError_tPvRmT2_T3_T4_T5_mT6_T7_P12ihipStream_tbENKUlT_T0_E_clISt17integral_constantIbLb1EES11_EEDaSW_SX_EUlSW_E_NS1_11comp_targetILNS1_3genE10ELNS1_11target_archE1201ELNS1_3gpuE5ELNS1_3repE0EEENS1_30default_config_static_selectorELNS0_4arch9wavefront6targetE1EEEvT1_
		.amdhsa_group_segment_fixed_size 0
		.amdhsa_private_segment_fixed_size 0
		.amdhsa_kernarg_size 112
		.amdhsa_user_sgpr_count 2
		.amdhsa_user_sgpr_dispatch_ptr 0
		.amdhsa_user_sgpr_queue_ptr 0
		.amdhsa_user_sgpr_kernarg_segment_ptr 1
		.amdhsa_user_sgpr_dispatch_id 0
		.amdhsa_user_sgpr_kernarg_preload_length 0
		.amdhsa_user_sgpr_kernarg_preload_offset 0
		.amdhsa_user_sgpr_private_segment_size 0
		.amdhsa_uses_dynamic_stack 0
		.amdhsa_enable_private_segment 0
		.amdhsa_system_sgpr_workgroup_id_x 1
		.amdhsa_system_sgpr_workgroup_id_y 0
		.amdhsa_system_sgpr_workgroup_id_z 0
		.amdhsa_system_sgpr_workgroup_info 0
		.amdhsa_system_vgpr_workitem_id 0
		.amdhsa_next_free_vgpr 1
		.amdhsa_next_free_sgpr 0
		.amdhsa_accum_offset 4
		.amdhsa_reserve_vcc 0
		.amdhsa_float_round_mode_32 0
		.amdhsa_float_round_mode_16_64 0
		.amdhsa_float_denorm_mode_32 3
		.amdhsa_float_denorm_mode_16_64 3
		.amdhsa_dx10_clamp 1
		.amdhsa_ieee_mode 1
		.amdhsa_fp16_overflow 0
		.amdhsa_tg_split 0
		.amdhsa_exception_fp_ieee_invalid_op 0
		.amdhsa_exception_fp_denorm_src 0
		.amdhsa_exception_fp_ieee_div_zero 0
		.amdhsa_exception_fp_ieee_overflow 0
		.amdhsa_exception_fp_ieee_underflow 0
		.amdhsa_exception_fp_ieee_inexact 0
		.amdhsa_exception_int_div_zero 0
	.end_amdhsa_kernel
	.section	.text._ZN7rocprim17ROCPRIM_400000_NS6detail17trampoline_kernelINS0_14default_configENS1_27scan_by_key_config_selectorIifEEZZNS1_16scan_by_key_implILNS1_25lookback_scan_determinismE0ELb1ES3_N6thrust23THRUST_200600_302600_NS6detail15normal_iteratorINS9_10device_ptrIiEEEENSB_INSC_IjEEEESE_fNS9_4plusIvEENS9_8equal_toIvEEfEE10hipError_tPvRmT2_T3_T4_T5_mT6_T7_P12ihipStream_tbENKUlT_T0_E_clISt17integral_constantIbLb1EES11_EEDaSW_SX_EUlSW_E_NS1_11comp_targetILNS1_3genE10ELNS1_11target_archE1201ELNS1_3gpuE5ELNS1_3repE0EEENS1_30default_config_static_selectorELNS0_4arch9wavefront6targetE1EEEvT1_,"axG",@progbits,_ZN7rocprim17ROCPRIM_400000_NS6detail17trampoline_kernelINS0_14default_configENS1_27scan_by_key_config_selectorIifEEZZNS1_16scan_by_key_implILNS1_25lookback_scan_determinismE0ELb1ES3_N6thrust23THRUST_200600_302600_NS6detail15normal_iteratorINS9_10device_ptrIiEEEENSB_INSC_IjEEEESE_fNS9_4plusIvEENS9_8equal_toIvEEfEE10hipError_tPvRmT2_T3_T4_T5_mT6_T7_P12ihipStream_tbENKUlT_T0_E_clISt17integral_constantIbLb1EES11_EEDaSW_SX_EUlSW_E_NS1_11comp_targetILNS1_3genE10ELNS1_11target_archE1201ELNS1_3gpuE5ELNS1_3repE0EEENS1_30default_config_static_selectorELNS0_4arch9wavefront6targetE1EEEvT1_,comdat
.Lfunc_end1798:
	.size	_ZN7rocprim17ROCPRIM_400000_NS6detail17trampoline_kernelINS0_14default_configENS1_27scan_by_key_config_selectorIifEEZZNS1_16scan_by_key_implILNS1_25lookback_scan_determinismE0ELb1ES3_N6thrust23THRUST_200600_302600_NS6detail15normal_iteratorINS9_10device_ptrIiEEEENSB_INSC_IjEEEESE_fNS9_4plusIvEENS9_8equal_toIvEEfEE10hipError_tPvRmT2_T3_T4_T5_mT6_T7_P12ihipStream_tbENKUlT_T0_E_clISt17integral_constantIbLb1EES11_EEDaSW_SX_EUlSW_E_NS1_11comp_targetILNS1_3genE10ELNS1_11target_archE1201ELNS1_3gpuE5ELNS1_3repE0EEENS1_30default_config_static_selectorELNS0_4arch9wavefront6targetE1EEEvT1_, .Lfunc_end1798-_ZN7rocprim17ROCPRIM_400000_NS6detail17trampoline_kernelINS0_14default_configENS1_27scan_by_key_config_selectorIifEEZZNS1_16scan_by_key_implILNS1_25lookback_scan_determinismE0ELb1ES3_N6thrust23THRUST_200600_302600_NS6detail15normal_iteratorINS9_10device_ptrIiEEEENSB_INSC_IjEEEESE_fNS9_4plusIvEENS9_8equal_toIvEEfEE10hipError_tPvRmT2_T3_T4_T5_mT6_T7_P12ihipStream_tbENKUlT_T0_E_clISt17integral_constantIbLb1EES11_EEDaSW_SX_EUlSW_E_NS1_11comp_targetILNS1_3genE10ELNS1_11target_archE1201ELNS1_3gpuE5ELNS1_3repE0EEENS1_30default_config_static_selectorELNS0_4arch9wavefront6targetE1EEEvT1_
                                        ; -- End function
	.section	.AMDGPU.csdata,"",@progbits
; Kernel info:
; codeLenInByte = 0
; NumSgprs: 6
; NumVgprs: 0
; NumAgprs: 0
; TotalNumVgprs: 0
; ScratchSize: 0
; MemoryBound: 0
; FloatMode: 240
; IeeeMode: 1
; LDSByteSize: 0 bytes/workgroup (compile time only)
; SGPRBlocks: 0
; VGPRBlocks: 0
; NumSGPRsForWavesPerEU: 6
; NumVGPRsForWavesPerEU: 1
; AccumOffset: 4
; Occupancy: 8
; WaveLimiterHint : 0
; COMPUTE_PGM_RSRC2:SCRATCH_EN: 0
; COMPUTE_PGM_RSRC2:USER_SGPR: 2
; COMPUTE_PGM_RSRC2:TRAP_HANDLER: 0
; COMPUTE_PGM_RSRC2:TGID_X_EN: 1
; COMPUTE_PGM_RSRC2:TGID_Y_EN: 0
; COMPUTE_PGM_RSRC2:TGID_Z_EN: 0
; COMPUTE_PGM_RSRC2:TIDIG_COMP_CNT: 0
; COMPUTE_PGM_RSRC3_GFX90A:ACCUM_OFFSET: 0
; COMPUTE_PGM_RSRC3_GFX90A:TG_SPLIT: 0
	.section	.text._ZN7rocprim17ROCPRIM_400000_NS6detail17trampoline_kernelINS0_14default_configENS1_27scan_by_key_config_selectorIifEEZZNS1_16scan_by_key_implILNS1_25lookback_scan_determinismE0ELb1ES3_N6thrust23THRUST_200600_302600_NS6detail15normal_iteratorINS9_10device_ptrIiEEEENSB_INSC_IjEEEESE_fNS9_4plusIvEENS9_8equal_toIvEEfEE10hipError_tPvRmT2_T3_T4_T5_mT6_T7_P12ihipStream_tbENKUlT_T0_E_clISt17integral_constantIbLb1EES11_EEDaSW_SX_EUlSW_E_NS1_11comp_targetILNS1_3genE5ELNS1_11target_archE942ELNS1_3gpuE9ELNS1_3repE0EEENS1_30default_config_static_selectorELNS0_4arch9wavefront6targetE1EEEvT1_,"axG",@progbits,_ZN7rocprim17ROCPRIM_400000_NS6detail17trampoline_kernelINS0_14default_configENS1_27scan_by_key_config_selectorIifEEZZNS1_16scan_by_key_implILNS1_25lookback_scan_determinismE0ELb1ES3_N6thrust23THRUST_200600_302600_NS6detail15normal_iteratorINS9_10device_ptrIiEEEENSB_INSC_IjEEEESE_fNS9_4plusIvEENS9_8equal_toIvEEfEE10hipError_tPvRmT2_T3_T4_T5_mT6_T7_P12ihipStream_tbENKUlT_T0_E_clISt17integral_constantIbLb1EES11_EEDaSW_SX_EUlSW_E_NS1_11comp_targetILNS1_3genE5ELNS1_11target_archE942ELNS1_3gpuE9ELNS1_3repE0EEENS1_30default_config_static_selectorELNS0_4arch9wavefront6targetE1EEEvT1_,comdat
	.protected	_ZN7rocprim17ROCPRIM_400000_NS6detail17trampoline_kernelINS0_14default_configENS1_27scan_by_key_config_selectorIifEEZZNS1_16scan_by_key_implILNS1_25lookback_scan_determinismE0ELb1ES3_N6thrust23THRUST_200600_302600_NS6detail15normal_iteratorINS9_10device_ptrIiEEEENSB_INSC_IjEEEESE_fNS9_4plusIvEENS9_8equal_toIvEEfEE10hipError_tPvRmT2_T3_T4_T5_mT6_T7_P12ihipStream_tbENKUlT_T0_E_clISt17integral_constantIbLb1EES11_EEDaSW_SX_EUlSW_E_NS1_11comp_targetILNS1_3genE5ELNS1_11target_archE942ELNS1_3gpuE9ELNS1_3repE0EEENS1_30default_config_static_selectorELNS0_4arch9wavefront6targetE1EEEvT1_ ; -- Begin function _ZN7rocprim17ROCPRIM_400000_NS6detail17trampoline_kernelINS0_14default_configENS1_27scan_by_key_config_selectorIifEEZZNS1_16scan_by_key_implILNS1_25lookback_scan_determinismE0ELb1ES3_N6thrust23THRUST_200600_302600_NS6detail15normal_iteratorINS9_10device_ptrIiEEEENSB_INSC_IjEEEESE_fNS9_4plusIvEENS9_8equal_toIvEEfEE10hipError_tPvRmT2_T3_T4_T5_mT6_T7_P12ihipStream_tbENKUlT_T0_E_clISt17integral_constantIbLb1EES11_EEDaSW_SX_EUlSW_E_NS1_11comp_targetILNS1_3genE5ELNS1_11target_archE942ELNS1_3gpuE9ELNS1_3repE0EEENS1_30default_config_static_selectorELNS0_4arch9wavefront6targetE1EEEvT1_
	.globl	_ZN7rocprim17ROCPRIM_400000_NS6detail17trampoline_kernelINS0_14default_configENS1_27scan_by_key_config_selectorIifEEZZNS1_16scan_by_key_implILNS1_25lookback_scan_determinismE0ELb1ES3_N6thrust23THRUST_200600_302600_NS6detail15normal_iteratorINS9_10device_ptrIiEEEENSB_INSC_IjEEEESE_fNS9_4plusIvEENS9_8equal_toIvEEfEE10hipError_tPvRmT2_T3_T4_T5_mT6_T7_P12ihipStream_tbENKUlT_T0_E_clISt17integral_constantIbLb1EES11_EEDaSW_SX_EUlSW_E_NS1_11comp_targetILNS1_3genE5ELNS1_11target_archE942ELNS1_3gpuE9ELNS1_3repE0EEENS1_30default_config_static_selectorELNS0_4arch9wavefront6targetE1EEEvT1_
	.p2align	8
	.type	_ZN7rocprim17ROCPRIM_400000_NS6detail17trampoline_kernelINS0_14default_configENS1_27scan_by_key_config_selectorIifEEZZNS1_16scan_by_key_implILNS1_25lookback_scan_determinismE0ELb1ES3_N6thrust23THRUST_200600_302600_NS6detail15normal_iteratorINS9_10device_ptrIiEEEENSB_INSC_IjEEEESE_fNS9_4plusIvEENS9_8equal_toIvEEfEE10hipError_tPvRmT2_T3_T4_T5_mT6_T7_P12ihipStream_tbENKUlT_T0_E_clISt17integral_constantIbLb1EES11_EEDaSW_SX_EUlSW_E_NS1_11comp_targetILNS1_3genE5ELNS1_11target_archE942ELNS1_3gpuE9ELNS1_3repE0EEENS1_30default_config_static_selectorELNS0_4arch9wavefront6targetE1EEEvT1_,@function
_ZN7rocprim17ROCPRIM_400000_NS6detail17trampoline_kernelINS0_14default_configENS1_27scan_by_key_config_selectorIifEEZZNS1_16scan_by_key_implILNS1_25lookback_scan_determinismE0ELb1ES3_N6thrust23THRUST_200600_302600_NS6detail15normal_iteratorINS9_10device_ptrIiEEEENSB_INSC_IjEEEESE_fNS9_4plusIvEENS9_8equal_toIvEEfEE10hipError_tPvRmT2_T3_T4_T5_mT6_T7_P12ihipStream_tbENKUlT_T0_E_clISt17integral_constantIbLb1EES11_EEDaSW_SX_EUlSW_E_NS1_11comp_targetILNS1_3genE5ELNS1_11target_archE942ELNS1_3gpuE9ELNS1_3repE0EEENS1_30default_config_static_selectorELNS0_4arch9wavefront6targetE1EEEvT1_: ; @_ZN7rocprim17ROCPRIM_400000_NS6detail17trampoline_kernelINS0_14default_configENS1_27scan_by_key_config_selectorIifEEZZNS1_16scan_by_key_implILNS1_25lookback_scan_determinismE0ELb1ES3_N6thrust23THRUST_200600_302600_NS6detail15normal_iteratorINS9_10device_ptrIiEEEENSB_INSC_IjEEEESE_fNS9_4plusIvEENS9_8equal_toIvEEfEE10hipError_tPvRmT2_T3_T4_T5_mT6_T7_P12ihipStream_tbENKUlT_T0_E_clISt17integral_constantIbLb1EES11_EEDaSW_SX_EUlSW_E_NS1_11comp_targetILNS1_3genE5ELNS1_11target_archE942ELNS1_3gpuE9ELNS1_3repE0EEENS1_30default_config_static_selectorELNS0_4arch9wavefront6targetE1EEEvT1_
; %bb.0:
	s_load_dword s74, s[0:1], 0x20
	s_load_dwordx4 s[64:67], s[0:1], 0x28
	s_load_dwordx2 s[72:73], s[0:1], 0x38
	v_cmp_ne_u32_e64 s[4:5], 0, v0
	v_cmp_eq_u32_e64 s[52:53], 0, v0
	s_and_saveexec_b64 s[2:3], s[52:53]
	s_cbranch_execz .LBB1799_4
; %bb.1:
	s_mov_b64 s[8:9], exec
	v_mbcnt_lo_u32_b32 v1, s8, 0
	v_mbcnt_hi_u32_b32 v1, s9, v1
	v_cmp_eq_u32_e32 vcc, 0, v1
                                        ; implicit-def: $vgpr2
	s_and_saveexec_b64 s[6:7], vcc
	s_cbranch_execz .LBB1799_3
; %bb.2:
	s_load_dwordx2 s[10:11], s[0:1], 0x68
	s_bcnt1_i32_b64 s8, s[8:9]
	v_mov_b32_e32 v2, 0
	v_mov_b32_e32 v3, s8
	s_waitcnt lgkmcnt(0)
	global_atomic_add v2, v2, v3, s[10:11] sc0
.LBB1799_3:
	s_or_b64 exec, exec, s[6:7]
	s_waitcnt vmcnt(0)
	v_readfirstlane_b32 s6, v2
	v_mov_b32_e32 v2, 0
	s_nop 0
	v_add_u32_e32 v1, s6, v1
	ds_write_b32 v2, v1
.LBB1799_4:
	s_or_b64 exec, exec, s[2:3]
	s_load_dwordx8 s[56:63], s[0:1], 0x0
	s_load_dword s2, s[0:1], 0x40
	s_load_dwordx4 s[68:71], s[0:1], 0x48
	v_mov_b32_e32 v7, 0
	s_waitcnt lgkmcnt(0)
	s_lshl_b64 s[54:55], s[58:59], 2
	s_barrier
	ds_read_b32 v6, v7
	s_add_u32 s0, s56, s54
	s_addc_u32 s1, s57, s55
	s_add_u32 s6, s60, s54
	s_mul_i32 s3, s73, s2
	s_mul_hi_u32 s8, s72, s2
	s_addc_u32 s7, s61, s55
	s_add_i32 s3, s8, s3
	s_movk_i32 s8, 0x1700
	s_waitcnt lgkmcnt(0)
	v_mul_lo_u32 v2, v6, s8
	v_mov_b32_e32 v3, v7
	v_lshlrev_b64 v[10:11], 2, v[2:3]
	s_mul_i32 s2, s72, s2
	v_lshl_add_u64 v[2:3], s[6:7], 0, v[10:11]
	s_add_u32 s6, s68, -1
	v_readfirstlane_b32 s67, v6
	v_lshl_add_u64 v[6:7], s[2:3], 0, v[6:7]
	s_addc_u32 s7, s69, -1
	v_cmp_le_u64_e64 s[2:3], s[6:7], v[6:7]
	v_lshl_add_u64 v[4:5], s[0:1], 0, v[10:11]
	s_mov_b64 s[0:1], -1
	s_and_b64 vcc, exec, s[2:3]
	s_mul_i32 s33, s6, 0xffffe900
	s_barrier
	s_barrier
	s_cbranch_vccz .LBB1799_75
; %bb.5:
	flat_load_dword v6, v[4:5]
	s_add_i32 s60, s33, s66
	v_cmp_gt_u32_e32 vcc, s60, v0
	s_waitcnt vmcnt(0) lgkmcnt(0)
	v_mov_b32_e32 v7, v6
	s_and_saveexec_b64 s[0:1], vcc
	s_cbranch_execz .LBB1799_7
; %bb.6:
	v_lshlrev_b32_e32 v8, 2, v0
	v_mov_b32_e32 v9, 0
	v_lshl_add_u64 v[8:9], v[4:5], 0, v[8:9]
	flat_load_dword v7, v[8:9]
.LBB1799_7:
	s_or_b64 exec, exec, s[0:1]
	v_or_b32_e32 v1, 0x100, v0
	v_cmp_gt_u32_e64 s[6:7], s60, v1
	v_mov_b32_e32 v8, v6
	s_and_saveexec_b64 s[0:1], s[6:7]
	s_cbranch_execz .LBB1799_9
; %bb.8:
	v_lshlrev_b32_e32 v8, 2, v0
	v_mov_b32_e32 v9, 0
	v_lshl_add_u64 v[8:9], v[4:5], 0, v[8:9]
	flat_load_dword v8, v[8:9] offset:1024
.LBB1799_9:
	s_or_b64 exec, exec, s[0:1]
	v_or_b32_e32 v1, 0x200, v0
	v_cmp_gt_u32_e64 s[8:9], s60, v1
	v_mov_b32_e32 v9, v6
	s_and_saveexec_b64 s[0:1], s[8:9]
	s_cbranch_execz .LBB1799_11
; %bb.10:
	v_lshlrev_b32_e32 v12, 2, v0
	v_mov_b32_e32 v13, 0
	v_lshl_add_u64 v[12:13], v[4:5], 0, v[12:13]
	flat_load_dword v9, v[12:13] offset:2048
.LBB1799_11:
	;; [unrolled: 12-line block ×3, first 2 shown]
	s_or_b64 exec, exec, s[0:1]
	v_or_b32_e32 v1, 0x400, v0
	v_cmp_gt_u32_e64 s[12:13], s60, v1
	v_mov_b32_e32 v13, v6
	s_and_saveexec_b64 s[0:1], s[12:13]
	s_cbranch_execz .LBB1799_15
; %bb.14:
	v_lshlrev_b32_e32 v14, 2, v1
	v_mov_b32_e32 v15, 0
	v_lshl_add_u64 v[14:15], v[4:5], 0, v[14:15]
	flat_load_dword v13, v[14:15]
.LBB1799_15:
	s_or_b64 exec, exec, s[0:1]
	v_or_b32_e32 v32, 0x500, v0
	v_cmp_gt_u32_e64 s[14:15], s60, v32
	v_mov_b32_e32 v14, v6
	s_and_saveexec_b64 s[0:1], s[14:15]
	s_cbranch_execz .LBB1799_17
; %bb.16:
	v_lshlrev_b32_e32 v14, 2, v32
	v_mov_b32_e32 v15, 0
	v_lshl_add_u64 v[14:15], v[4:5], 0, v[14:15]
	flat_load_dword v14, v[14:15]
.LBB1799_17:
	;; [unrolled: 12-line block ×18, first 2 shown]
	s_or_b64 exec, exec, s[0:1]
	v_or_b32_e32 v49, 0x1600, v0
	v_cmp_gt_u32_e64 s[50:51], s60, v49
	s_and_saveexec_b64 s[0:1], s[50:51]
	s_cbranch_execz .LBB1799_51
; %bb.50:
	v_lshlrev_b32_e32 v50, 2, v49
	v_mov_b32_e32 v51, 0
	v_lshl_add_u64 v[50:51], v[4:5], 0, v[50:51]
	flat_load_dword v6, v[50:51]
.LBB1799_51:
	s_or_b64 exec, exec, s[0:1]
	v_lshlrev_b32_e32 v30, 2, v0
	s_waitcnt vmcnt(0) lgkmcnt(0)
	ds_write2st64_b32 v30, v7, v8 offset1:4
	ds_write2st64_b32 v30, v9, v12 offset0:8 offset1:12
	ds_write2st64_b32 v30, v13, v14 offset0:16 offset1:20
	;; [unrolled: 1-line block ×10, first 2 shown]
	ds_write_b32 v30, v6 offset:22528
	s_waitcnt lgkmcnt(0)
	s_barrier
	flat_load_dword v75, v[4:5]
	s_movk_i32 s0, 0x58
	v_mad_u32_u24 v76, v0, s0, v30
	s_movk_i32 s0, 0xffa8
	v_mad_i32_i24 v31, v0, s0, v76
	s_movk_i32 s0, 0xff
	v_cmp_ne_u32_e64 s[0:1], s0, v0
	ds_read_b32 v78, v76
	ds_read2_b32 v[28:29], v76 offset0:1 offset1:2
	ds_read2_b32 v[26:27], v76 offset0:3 offset1:4
	;; [unrolled: 1-line block ×11, first 2 shown]
	s_waitcnt lgkmcnt(0)
	ds_write_b32 v31, v78 offset:24576
	s_waitcnt lgkmcnt(0)
	s_barrier
	s_and_saveexec_b64 s[56:57], s[0:1]
	s_cbranch_execz .LBB1799_53
; %bb.52:
	s_waitcnt vmcnt(0)
	ds_read_b32 v75, v30 offset:24580
.LBB1799_53:
	s_or_b64 exec, exec, s[56:57]
	v_mov_b32_e32 v31, 0
	s_waitcnt lgkmcnt(0)
	s_barrier
	s_waitcnt lgkmcnt(0)
                                        ; implicit-def: $vgpr50
	s_and_saveexec_b64 s[0:1], vcc
	s_cbranch_execz .LBB1799_76
; %bb.54:
	v_lshl_add_u64 v[50:51], v[2:3], 0, v[30:31]
	flat_load_dword v31, v[50:51]
	s_waitcnt vmcnt(0) lgkmcnt(0)
	v_cvt_f32_u32_e32 v50, v31
	s_or_b64 exec, exec, s[0:1]
                                        ; implicit-def: $vgpr51
	s_and_saveexec_b64 s[0:1], s[6:7]
	s_cbranch_execnz .LBB1799_77
.LBB1799_55:
	s_or_b64 exec, exec, s[0:1]
                                        ; implicit-def: $vgpr52
	s_and_saveexec_b64 s[0:1], s[8:9]
	s_cbranch_execz .LBB1799_78
.LBB1799_56:
	v_mov_b32_e32 v31, 0
	v_lshl_add_u64 v[52:53], v[2:3], 0, v[30:31]
	flat_load_dword v31, v[52:53] offset:2048
	s_waitcnt vmcnt(0) lgkmcnt(0)
	v_cvt_f32_u32_e32 v52, v31
	s_or_b64 exec, exec, s[0:1]
                                        ; implicit-def: $vgpr31
	s_and_saveexec_b64 s[0:1], s[10:11]
	s_cbranch_execnz .LBB1799_79
.LBB1799_57:
	s_or_b64 exec, exec, s[0:1]
                                        ; implicit-def: $vgpr53
	s_and_saveexec_b64 s[0:1], s[12:13]
	s_cbranch_execz .LBB1799_80
.LBB1799_58:
	v_lshlrev_b32_e32 v54, 2, v1
	v_mov_b32_e32 v55, 0
	v_lshl_add_u64 v[54:55], v[2:3], 0, v[54:55]
	flat_load_dword v1, v[54:55]
	s_waitcnt vmcnt(0) lgkmcnt(0)
	v_cvt_f32_u32_e32 v53, v1
	s_or_b64 exec, exec, s[0:1]
                                        ; implicit-def: $vgpr1
	s_and_saveexec_b64 s[0:1], s[14:15]
	s_cbranch_execnz .LBB1799_81
.LBB1799_59:
	s_or_b64 exec, exec, s[0:1]
                                        ; implicit-def: $vgpr32
	s_and_saveexec_b64 s[0:1], s[16:17]
	s_cbranch_execz .LBB1799_82
.LBB1799_60:
	v_lshlrev_b32_e32 v32, 2, v33
	v_mov_b32_e32 v33, 0
	v_lshl_add_u64 v[32:33], v[2:3], 0, v[32:33]
	flat_load_dword v32, v[32:33]
	s_waitcnt vmcnt(0) lgkmcnt(0)
	v_cvt_f32_u32_e32 v32, v32
	s_or_b64 exec, exec, s[0:1]
                                        ; implicit-def: $vgpr33
	s_and_saveexec_b64 s[0:1], s[18:19]
	s_cbranch_execnz .LBB1799_83
.LBB1799_61:
	s_or_b64 exec, exec, s[0:1]
                                        ; implicit-def: $vgpr34
	s_and_saveexec_b64 s[0:1], s[20:21]
	s_cbranch_execz .LBB1799_84
.LBB1799_62:
	v_lshlrev_b32_e32 v34, 2, v35
	v_mov_b32_e32 v35, 0
	v_lshl_add_u64 v[34:35], v[2:3], 0, v[34:35]
	flat_load_dword v34, v[34:35]
	s_waitcnt vmcnt(0) lgkmcnt(0)
	v_cvt_f32_u32_e32 v34, v34
	s_or_b64 exec, exec, s[0:1]
                                        ; implicit-def: $vgpr35
	s_and_saveexec_b64 s[0:1], s[22:23]
	s_cbranch_execnz .LBB1799_85
.LBB1799_63:
	s_or_b64 exec, exec, s[0:1]
                                        ; implicit-def: $vgpr36
	s_and_saveexec_b64 s[0:1], s[24:25]
	s_cbranch_execz .LBB1799_86
.LBB1799_64:
	v_lshlrev_b32_e32 v36, 2, v37
	v_mov_b32_e32 v37, 0
	v_lshl_add_u64 v[36:37], v[2:3], 0, v[36:37]
	flat_load_dword v36, v[36:37]
	s_waitcnt vmcnt(0) lgkmcnt(0)
	v_cvt_f32_u32_e32 v36, v36
	s_or_b64 exec, exec, s[0:1]
                                        ; implicit-def: $vgpr37
	s_and_saveexec_b64 s[0:1], s[26:27]
	s_cbranch_execnz .LBB1799_87
.LBB1799_65:
	s_or_b64 exec, exec, s[0:1]
                                        ; implicit-def: $vgpr38
	s_and_saveexec_b64 s[0:1], s[28:29]
	s_cbranch_execz .LBB1799_88
.LBB1799_66:
	v_lshlrev_b32_e32 v38, 2, v39
	v_mov_b32_e32 v39, 0
	v_lshl_add_u64 v[38:39], v[2:3], 0, v[38:39]
	flat_load_dword v38, v[38:39]
	s_waitcnt vmcnt(0) lgkmcnt(0)
	v_cvt_f32_u32_e32 v38, v38
	s_or_b64 exec, exec, s[0:1]
                                        ; implicit-def: $vgpr39
	s_and_saveexec_b64 s[0:1], s[30:31]
	s_cbranch_execnz .LBB1799_89
.LBB1799_67:
	s_or_b64 exec, exec, s[0:1]
                                        ; implicit-def: $vgpr40
	s_and_saveexec_b64 s[0:1], s[34:35]
	s_cbranch_execz .LBB1799_90
.LBB1799_68:
	v_lshlrev_b32_e32 v40, 2, v41
	v_mov_b32_e32 v41, 0
	v_lshl_add_u64 v[40:41], v[2:3], 0, v[40:41]
	flat_load_dword v40, v[40:41]
	s_waitcnt vmcnt(0) lgkmcnt(0)
	v_cvt_f32_u32_e32 v40, v40
	s_or_b64 exec, exec, s[0:1]
                                        ; implicit-def: $vgpr41
	s_and_saveexec_b64 s[0:1], s[36:37]
	s_cbranch_execnz .LBB1799_91
.LBB1799_69:
	s_or_b64 exec, exec, s[0:1]
                                        ; implicit-def: $vgpr42
	s_and_saveexec_b64 s[0:1], s[38:39]
	s_cbranch_execz .LBB1799_92
.LBB1799_70:
	v_lshlrev_b32_e32 v42, 2, v43
	v_mov_b32_e32 v43, 0
	v_lshl_add_u64 v[42:43], v[2:3], 0, v[42:43]
	flat_load_dword v42, v[42:43]
	s_waitcnt vmcnt(0) lgkmcnt(0)
	v_cvt_f32_u32_e32 v42, v42
	s_or_b64 exec, exec, s[0:1]
                                        ; implicit-def: $vgpr43
	s_and_saveexec_b64 s[0:1], s[40:41]
	s_cbranch_execnz .LBB1799_93
.LBB1799_71:
	s_or_b64 exec, exec, s[0:1]
                                        ; implicit-def: $vgpr44
	s_and_saveexec_b64 s[0:1], s[42:43]
	s_cbranch_execz .LBB1799_94
.LBB1799_72:
	v_lshlrev_b32_e32 v44, 2, v45
	v_mov_b32_e32 v45, 0
	v_lshl_add_u64 v[44:45], v[2:3], 0, v[44:45]
	flat_load_dword v44, v[44:45]
	s_waitcnt vmcnt(0) lgkmcnt(0)
	v_cvt_f32_u32_e32 v44, v44
	s_or_b64 exec, exec, s[0:1]
                                        ; implicit-def: $vgpr45
	s_and_saveexec_b64 s[0:1], s[44:45]
	s_cbranch_execnz .LBB1799_95
.LBB1799_73:
	s_or_b64 exec, exec, s[0:1]
                                        ; implicit-def: $vgpr46
	s_and_saveexec_b64 s[0:1], s[46:47]
	s_cbranch_execz .LBB1799_96
.LBB1799_74:
	v_lshlrev_b32_e32 v46, 2, v47
	v_mov_b32_e32 v47, 0
	v_lshl_add_u64 v[46:47], v[2:3], 0, v[46:47]
	flat_load_dword v46, v[46:47]
	s_waitcnt vmcnt(0) lgkmcnt(0)
	v_cvt_f32_u32_e32 v46, v46
	s_or_b64 exec, exec, s[0:1]
                                        ; implicit-def: $vgpr47
	s_and_saveexec_b64 s[0:1], s[48:49]
	s_cbranch_execz .LBB1799_98
	s_branch .LBB1799_97
.LBB1799_75:
	s_mov_b64 s[10:11], 0
                                        ; implicit-def: $sgpr8_sgpr9
                                        ; implicit-def: $vgpr74
                                        ; implicit-def: $vgpr1
                                        ; implicit-def: $vgpr30
                                        ; implicit-def: $vgpr54
                                        ; implicit-def: $vgpr50
                                        ; implicit-def: $vgpr62
                                        ; implicit-def: $vgpr73
                                        ; implicit-def: $vgpr51
                                        ; implicit-def: $vgpr60
                                        ; implicit-def: $vgpr72
                                        ; implicit-def: $vgpr48
                                        ; implicit-def: $vgpr33
                                        ; implicit-def: $vgpr71
                                        ; implicit-def: $vgpr52
                                        ; implicit-def: $vgpr32
                                        ; implicit-def: $vgpr70
                                        ; implicit-def: $vgpr49
                                        ; implicit-def: $vgpr35
                                        ; implicit-def: $vgpr69
                                        ; implicit-def: $vgpr53
                                        ; implicit-def: $vgpr34
                                        ; implicit-def: $vgpr68
                                        ; implicit-def: $vgpr46
                                        ; implicit-def: $vgpr37
                                        ; implicit-def: $vgpr67
                                        ; implicit-def: $vgpr55
                                        ; implicit-def: $vgpr36
                                        ; implicit-def: $vgpr66
                                        ; implicit-def: $vgpr47
                                        ; implicit-def: $vgpr39
                                        ; implicit-def: $vgpr65
                                        ; implicit-def: $vgpr56
                                        ; implicit-def: $vgpr38
                                        ; implicit-def: $vgpr64
                                        ; implicit-def: $vgpr44
                                        ; implicit-def: $vgpr41
                                        ; implicit-def: $vgpr63
                                        ; implicit-def: $vgpr57
                                        ; implicit-def: $vgpr40
                                        ; implicit-def: $vgpr61
                                        ; implicit-def: $vgpr45
                                        ; implicit-def: $vgpr43
                                        ; implicit-def: $vgpr59
                                        ; implicit-def: $vgpr58
                                        ; implicit-def: $vgpr42
                                        ; implicit-def: $sgpr6
                                        ; implicit-def: $sgpr68
	s_and_b64 vcc, exec, s[0:1]
	v_lshlrev_b32_e32 v12, 2, v0
	s_cbranch_vccz .LBB1799_152
	s_branch .LBB1799_147
.LBB1799_76:
	s_or_b64 exec, exec, s[0:1]
                                        ; implicit-def: $vgpr51
	s_and_saveexec_b64 s[0:1], s[6:7]
	s_cbranch_execz .LBB1799_55
.LBB1799_77:
	v_mov_b32_e32 v31, 0
	v_lshl_add_u64 v[52:53], v[2:3], 0, v[30:31]
	flat_load_dword v31, v[52:53] offset:1024
	s_waitcnt vmcnt(0) lgkmcnt(0)
	v_cvt_f32_u32_e32 v51, v31
	s_or_b64 exec, exec, s[0:1]
                                        ; implicit-def: $vgpr52
	s_and_saveexec_b64 s[0:1], s[8:9]
	s_cbranch_execnz .LBB1799_56
.LBB1799_78:
	s_or_b64 exec, exec, s[0:1]
                                        ; implicit-def: $vgpr31
	s_and_saveexec_b64 s[0:1], s[10:11]
	s_cbranch_execz .LBB1799_57
.LBB1799_79:
	v_mov_b32_e32 v31, 0
	v_lshl_add_u64 v[54:55], v[2:3], 0, v[30:31]
	flat_load_dword v31, v[54:55] offset:3072
	s_waitcnt vmcnt(0) lgkmcnt(0)
	v_cvt_f32_u32_e32 v31, v31
	s_or_b64 exec, exec, s[0:1]
                                        ; implicit-def: $vgpr53
	s_and_saveexec_b64 s[0:1], s[12:13]
	s_cbranch_execnz .LBB1799_58
.LBB1799_80:
	s_or_b64 exec, exec, s[0:1]
                                        ; implicit-def: $vgpr1
	s_and_saveexec_b64 s[0:1], s[14:15]
	s_cbranch_execz .LBB1799_59
.LBB1799_81:
	v_lshlrev_b32_e32 v54, 2, v32
	v_mov_b32_e32 v55, 0
	v_lshl_add_u64 v[54:55], v[2:3], 0, v[54:55]
	flat_load_dword v1, v[54:55]
	s_waitcnt vmcnt(0) lgkmcnt(0)
	v_cvt_f32_u32_e32 v1, v1
	s_or_b64 exec, exec, s[0:1]
                                        ; implicit-def: $vgpr32
	s_and_saveexec_b64 s[0:1], s[16:17]
	s_cbranch_execnz .LBB1799_60
.LBB1799_82:
	s_or_b64 exec, exec, s[0:1]
                                        ; implicit-def: $vgpr33
	s_and_saveexec_b64 s[0:1], s[18:19]
	s_cbranch_execz .LBB1799_61
.LBB1799_83:
	v_lshlrev_b32_e32 v54, 2, v34
	v_mov_b32_e32 v55, 0
	v_lshl_add_u64 v[54:55], v[2:3], 0, v[54:55]
	flat_load_dword v33, v[54:55]
	s_waitcnt vmcnt(0) lgkmcnt(0)
	v_cvt_f32_u32_e32 v33, v33
	s_or_b64 exec, exec, s[0:1]
                                        ; implicit-def: $vgpr34
	s_and_saveexec_b64 s[0:1], s[20:21]
	s_cbranch_execnz .LBB1799_62
.LBB1799_84:
	s_or_b64 exec, exec, s[0:1]
                                        ; implicit-def: $vgpr35
	s_and_saveexec_b64 s[0:1], s[22:23]
	s_cbranch_execz .LBB1799_63
.LBB1799_85:
	v_lshlrev_b32_e32 v54, 2, v36
	v_mov_b32_e32 v55, 0
	v_lshl_add_u64 v[54:55], v[2:3], 0, v[54:55]
	flat_load_dword v35, v[54:55]
	s_waitcnt vmcnt(0) lgkmcnt(0)
	v_cvt_f32_u32_e32 v35, v35
	s_or_b64 exec, exec, s[0:1]
                                        ; implicit-def: $vgpr36
	s_and_saveexec_b64 s[0:1], s[24:25]
	s_cbranch_execnz .LBB1799_64
.LBB1799_86:
	s_or_b64 exec, exec, s[0:1]
                                        ; implicit-def: $vgpr37
	s_and_saveexec_b64 s[0:1], s[26:27]
	s_cbranch_execz .LBB1799_65
.LBB1799_87:
	v_lshlrev_b32_e32 v54, 2, v38
	v_mov_b32_e32 v55, 0
	v_lshl_add_u64 v[54:55], v[2:3], 0, v[54:55]
	flat_load_dword v37, v[54:55]
	s_waitcnt vmcnt(0) lgkmcnt(0)
	v_cvt_f32_u32_e32 v37, v37
	s_or_b64 exec, exec, s[0:1]
                                        ; implicit-def: $vgpr38
	s_and_saveexec_b64 s[0:1], s[28:29]
	s_cbranch_execnz .LBB1799_66
.LBB1799_88:
	s_or_b64 exec, exec, s[0:1]
                                        ; implicit-def: $vgpr39
	s_and_saveexec_b64 s[0:1], s[30:31]
	s_cbranch_execz .LBB1799_67
.LBB1799_89:
	v_lshlrev_b32_e32 v54, 2, v40
	v_mov_b32_e32 v55, 0
	v_lshl_add_u64 v[54:55], v[2:3], 0, v[54:55]
	flat_load_dword v39, v[54:55]
	s_waitcnt vmcnt(0) lgkmcnt(0)
	v_cvt_f32_u32_e32 v39, v39
	s_or_b64 exec, exec, s[0:1]
                                        ; implicit-def: $vgpr40
	s_and_saveexec_b64 s[0:1], s[34:35]
	s_cbranch_execnz .LBB1799_68
.LBB1799_90:
	s_or_b64 exec, exec, s[0:1]
                                        ; implicit-def: $vgpr41
	s_and_saveexec_b64 s[0:1], s[36:37]
	s_cbranch_execz .LBB1799_69
.LBB1799_91:
	v_lshlrev_b32_e32 v54, 2, v42
	v_mov_b32_e32 v55, 0
	v_lshl_add_u64 v[54:55], v[2:3], 0, v[54:55]
	flat_load_dword v41, v[54:55]
	s_waitcnt vmcnt(0) lgkmcnt(0)
	v_cvt_f32_u32_e32 v41, v41
	s_or_b64 exec, exec, s[0:1]
                                        ; implicit-def: $vgpr42
	s_and_saveexec_b64 s[0:1], s[38:39]
	s_cbranch_execnz .LBB1799_70
.LBB1799_92:
	s_or_b64 exec, exec, s[0:1]
                                        ; implicit-def: $vgpr43
	s_and_saveexec_b64 s[0:1], s[40:41]
	s_cbranch_execz .LBB1799_71
.LBB1799_93:
	v_lshlrev_b32_e32 v54, 2, v44
	v_mov_b32_e32 v55, 0
	v_lshl_add_u64 v[54:55], v[2:3], 0, v[54:55]
	flat_load_dword v43, v[54:55]
	s_waitcnt vmcnt(0) lgkmcnt(0)
	v_cvt_f32_u32_e32 v43, v43
	s_or_b64 exec, exec, s[0:1]
                                        ; implicit-def: $vgpr44
	s_and_saveexec_b64 s[0:1], s[42:43]
	s_cbranch_execnz .LBB1799_72
.LBB1799_94:
	s_or_b64 exec, exec, s[0:1]
                                        ; implicit-def: $vgpr45
	s_and_saveexec_b64 s[0:1], s[44:45]
	s_cbranch_execz .LBB1799_73
.LBB1799_95:
	v_lshlrev_b32_e32 v54, 2, v46
	v_mov_b32_e32 v55, 0
	v_lshl_add_u64 v[54:55], v[2:3], 0, v[54:55]
	flat_load_dword v45, v[54:55]
	s_waitcnt vmcnt(0) lgkmcnt(0)
	v_cvt_f32_u32_e32 v45, v45
	s_or_b64 exec, exec, s[0:1]
                                        ; implicit-def: $vgpr46
	s_and_saveexec_b64 s[0:1], s[46:47]
	s_cbranch_execnz .LBB1799_74
.LBB1799_96:
	s_or_b64 exec, exec, s[0:1]
                                        ; implicit-def: $vgpr47
	s_and_saveexec_b64 s[0:1], s[48:49]
	s_cbranch_execz .LBB1799_98
.LBB1799_97:
	v_lshlrev_b32_e32 v54, 2, v48
	v_mov_b32_e32 v55, 0
	v_lshl_add_u64 v[54:55], v[2:3], 0, v[54:55]
	flat_load_dword v47, v[54:55]
	s_waitcnt vmcnt(0) lgkmcnt(0)
	v_cvt_f32_u32_e32 v47, v47
.LBB1799_98:
	s_or_b64 exec, exec, s[0:1]
	v_mul_u32_u24_e32 v77, 23, v0
                                        ; implicit-def: $vgpr48
	s_and_saveexec_b64 s[0:1], s[50:51]
	s_cbranch_execz .LBB1799_100
; %bb.99:
	v_lshlrev_b32_e32 v48, 2, v49
	v_mov_b32_e32 v49, 0
	v_lshl_add_u64 v[48:49], v[2:3], 0, v[48:49]
	flat_load_dword v48, v[48:49]
	s_waitcnt vmcnt(0) lgkmcnt(0)
	v_cvt_f32_u32_e32 v48, v48
.LBB1799_100:
	s_or_b64 exec, exec, s[0:1]
	ds_write2st64_b32 v30, v50, v51 offset1:4
	ds_write2st64_b32 v30, v52, v31 offset0:8 offset1:12
	ds_write2st64_b32 v30, v53, v1 offset0:16 offset1:20
	;; [unrolled: 1-line block ×10, first 2 shown]
	ds_write_b32 v30, v48 offset:22528
	v_cmp_gt_u32_e32 vcc, s60, v77
	s_mov_b64 s[0:1], 0
	s_mov_b32 s68, 0
	v_mov_b32_e32 v1, 0
	v_mov_b32_e32 v30, 0
	s_mov_b64 s[10:11], 0
	v_mov_b32_e32 v54, 0
	v_mov_b32_e32 v50, 0
	;; [unrolled: 1-line block ×42, first 2 shown]
	s_waitcnt lgkmcnt(0)
	s_barrier
	s_waitcnt lgkmcnt(0)
                                        ; implicit-def: $sgpr8_sgpr9
                                        ; implicit-def: $vgpr74
	s_and_saveexec_b64 s[6:7], vcc
	s_cbranch_execz .LBB1799_146
; %bb.101:
	ds_read_b32 v30, v76
	v_add_u32_e32 v31, 1, v77
	v_cmp_ne_u32_e32 vcc, v78, v28
	v_mov_b32_e32 v32, s74
	v_mov_b32_e32 v54, 0
	v_cndmask_b32_e64 v1, 0, 1, vcc
	s_waitcnt lgkmcnt(0)
	v_cndmask_b32_e32 v50, v30, v32, vcc
	v_cmp_gt_u32_e32 vcc, s60, v31
	v_mov_b32_e32 v30, 0
	v_mov_b32_e32 v62, 0
	;; [unrolled: 1-line block ×41, first 2 shown]
                                        ; implicit-def: $sgpr12_sgpr13
                                        ; implicit-def: $vgpr74
	s_and_saveexec_b64 s[8:9], vcc
	s_cbranch_execz .LBB1799_145
; %bb.102:
	ds_read2_b32 v[30:31], v76 offset0:1 offset1:2
	v_add_u32_e32 v32, 2, v77
	v_cmp_ne_u32_e32 vcc, v28, v29
	v_mov_b32_e32 v28, s74
	s_mov_b64 s[14:15], 0
	v_cndmask_b32_e64 v51, 0, 1, vcc
	s_waitcnt lgkmcnt(0)
	v_cndmask_b32_e32 v48, v30, v28, vcc
	v_cmp_gt_u32_e32 vcc, s60, v32
	v_mov_b32_e32 v30, 0
	v_mov_b32_e32 v54, 0
	;; [unrolled: 1-line block ×40, first 2 shown]
                                        ; implicit-def: $sgpr12_sgpr13
                                        ; implicit-def: $vgpr74
	s_and_saveexec_b64 s[10:11], vcc
	s_cbranch_execz .LBB1799_144
; %bb.103:
	v_add_u32_e32 v28, 3, v77
	v_cmp_ne_u32_e32 vcc, v29, v26
	v_mov_b32_e32 v29, s74
	v_mov_b32_e32 v30, 0
	v_cndmask_b32_e64 v52, 0, 1, vcc
	v_cndmask_b32_e32 v49, v31, v29, vcc
	v_cmp_gt_u32_e32 vcc, s60, v28
	v_mov_b32_e32 v54, 0
	v_mov_b32_e32 v62, 0
	;; [unrolled: 1-line block ×37, first 2 shown]
                                        ; implicit-def: $sgpr16_sgpr17
                                        ; implicit-def: $vgpr74
	s_and_saveexec_b64 s[12:13], vcc
	s_cbranch_execz .LBB1799_143
; %bb.104:
	ds_read2_b32 v[28:29], v76 offset0:3 offset1:4
	v_add_u32_e32 v30, 4, v77
	v_cmp_ne_u32_e32 vcc, v26, v27
	v_mov_b32_e32 v26, s74
	s_mov_b64 s[18:19], 0
	v_cndmask_b32_e64 v53, 0, 1, vcc
	s_waitcnt lgkmcnt(0)
	v_cndmask_b32_e32 v46, v28, v26, vcc
	v_cmp_gt_u32_e32 vcc, s60, v30
	v_mov_b32_e32 v30, 0
	v_mov_b32_e32 v54, 0
	;; [unrolled: 1-line block ×36, first 2 shown]
                                        ; implicit-def: $sgpr16_sgpr17
                                        ; implicit-def: $vgpr74
	s_and_saveexec_b64 s[14:15], vcc
	s_cbranch_execz .LBB1799_142
; %bb.105:
	v_add_u32_e32 v26, 5, v77
	v_cmp_ne_u32_e32 vcc, v27, v24
	v_mov_b32_e32 v27, s74
	v_mov_b32_e32 v30, 0
	v_cndmask_b32_e64 v55, 0, 1, vcc
	v_cndmask_b32_e32 v47, v29, v27, vcc
	v_cmp_gt_u32_e32 vcc, s60, v26
	v_mov_b32_e32 v54, 0
	v_mov_b32_e32 v62, 0
	;; [unrolled: 1-line block ×33, first 2 shown]
                                        ; implicit-def: $sgpr20_sgpr21
                                        ; implicit-def: $vgpr74
	s_and_saveexec_b64 s[16:17], vcc
	s_cbranch_execz .LBB1799_141
; %bb.106:
	ds_read2_b32 v[26:27], v76 offset0:5 offset1:6
	v_add_u32_e32 v28, 6, v77
	v_cmp_ne_u32_e32 vcc, v24, v25
	v_mov_b32_e32 v24, s74
	s_mov_b64 s[22:23], 0
	v_cndmask_b32_e64 v56, 0, 1, vcc
	s_waitcnt lgkmcnt(0)
	v_cndmask_b32_e32 v44, v26, v24, vcc
	v_cmp_gt_u32_e32 vcc, s60, v28
	v_mov_b32_e32 v30, 0
	v_mov_b32_e32 v54, 0
	;; [unrolled: 1-line block ×32, first 2 shown]
                                        ; implicit-def: $sgpr20_sgpr21
                                        ; implicit-def: $vgpr74
	s_and_saveexec_b64 s[18:19], vcc
	s_cbranch_execz .LBB1799_140
; %bb.107:
	v_add_u32_e32 v24, 7, v77
	v_cmp_ne_u32_e32 vcc, v25, v22
	v_mov_b32_e32 v25, s74
	v_mov_b32_e32 v30, 0
	v_cndmask_b32_e64 v57, 0, 1, vcc
	v_cndmask_b32_e32 v45, v27, v25, vcc
	v_cmp_gt_u32_e32 vcc, s60, v24
	v_mov_b32_e32 v54, 0
	v_mov_b32_e32 v62, 0
	;; [unrolled: 1-line block ×29, first 2 shown]
                                        ; implicit-def: $sgpr24_sgpr25
                                        ; implicit-def: $vgpr74
	s_and_saveexec_b64 s[20:21], vcc
	s_cbranch_execz .LBB1799_139
; %bb.108:
	ds_read2_b32 v[24:25], v76 offset0:7 offset1:8
	v_add_u32_e32 v26, 8, v77
	v_cmp_ne_u32_e32 vcc, v22, v23
	v_mov_b32_e32 v22, s74
	s_mov_b64 s[26:27], 0
	v_cndmask_b32_e64 v58, 0, 1, vcc
	s_waitcnt lgkmcnt(0)
	v_cndmask_b32_e32 v42, v24, v22, vcc
	v_cmp_gt_u32_e32 vcc, s60, v26
	v_mov_b32_e32 v30, 0
	v_mov_b32_e32 v54, 0
	;; [unrolled: 1-line block ×28, first 2 shown]
                                        ; implicit-def: $sgpr24_sgpr25
                                        ; implicit-def: $vgpr74
	s_and_saveexec_b64 s[22:23], vcc
	s_cbranch_execz .LBB1799_138
; %bb.109:
	v_add_u32_e32 v22, 9, v77
	v_cmp_ne_u32_e32 vcc, v23, v20
	v_mov_b32_e32 v23, s74
	v_mov_b32_e32 v30, 0
	v_cndmask_b32_e64 v59, 0, 1, vcc
	v_cndmask_b32_e32 v43, v25, v23, vcc
	v_cmp_gt_u32_e32 vcc, s60, v22
	v_mov_b32_e32 v54, 0
	v_mov_b32_e32 v62, 0
	;; [unrolled: 1-line block ×25, first 2 shown]
                                        ; implicit-def: $sgpr28_sgpr29
                                        ; implicit-def: $vgpr74
	s_and_saveexec_b64 s[24:25], vcc
	s_cbranch_execz .LBB1799_137
; %bb.110:
	ds_read2_b32 v[22:23], v76 offset0:9 offset1:10
	v_add_u32_e32 v24, 10, v77
	v_cmp_ne_u32_e32 vcc, v20, v21
	v_mov_b32_e32 v20, s74
	s_mov_b64 s[30:31], 0
	v_cndmask_b32_e64 v61, 0, 1, vcc
	s_waitcnt lgkmcnt(0)
	v_cndmask_b32_e32 v40, v22, v20, vcc
	v_cmp_gt_u32_e32 vcc, s60, v24
	v_mov_b32_e32 v30, 0
	v_mov_b32_e32 v54, 0
	;; [unrolled: 1-line block ×24, first 2 shown]
                                        ; implicit-def: $sgpr28_sgpr29
                                        ; implicit-def: $vgpr74
	s_and_saveexec_b64 s[26:27], vcc
	s_cbranch_execz .LBB1799_136
; %bb.111:
	v_add_u32_e32 v20, 11, v77
	v_cmp_ne_u32_e32 vcc, v21, v18
	v_mov_b32_e32 v21, s74
	v_mov_b32_e32 v30, 0
	v_cndmask_b32_e64 v63, 0, 1, vcc
	v_cndmask_b32_e32 v41, v23, v21, vcc
	v_cmp_gt_u32_e32 vcc, s60, v20
	v_mov_b32_e32 v54, 0
	v_mov_b32_e32 v62, 0
	;; [unrolled: 1-line block ×21, first 2 shown]
                                        ; implicit-def: $sgpr34_sgpr35
                                        ; implicit-def: $vgpr74
	s_and_saveexec_b64 s[28:29], vcc
	s_cbranch_execz .LBB1799_135
; %bb.112:
	ds_read2_b32 v[20:21], v76 offset0:11 offset1:12
	v_add_u32_e32 v22, 12, v77
	v_cmp_ne_u32_e32 vcc, v18, v19
	v_mov_b32_e32 v18, s74
	s_mov_b64 s[36:37], 0
	v_cndmask_b32_e64 v64, 0, 1, vcc
	s_waitcnt lgkmcnt(0)
	v_cndmask_b32_e32 v38, v20, v18, vcc
	v_cmp_gt_u32_e32 vcc, s60, v22
	v_mov_b32_e32 v30, 0
	v_mov_b32_e32 v54, 0
	;; [unrolled: 1-line block ×20, first 2 shown]
                                        ; implicit-def: $sgpr34_sgpr35
                                        ; implicit-def: $vgpr74
	s_and_saveexec_b64 s[30:31], vcc
	s_cbranch_execz .LBB1799_134
; %bb.113:
	v_add_u32_e32 v18, 13, v77
	v_cmp_ne_u32_e32 vcc, v19, v16
	v_mov_b32_e32 v19, s74
	v_mov_b32_e32 v30, 0
	v_cndmask_b32_e64 v65, 0, 1, vcc
	v_cndmask_b32_e32 v39, v21, v19, vcc
	v_cmp_gt_u32_e32 vcc, s60, v18
	v_mov_b32_e32 v54, 0
	v_mov_b32_e32 v62, 0
	;; [unrolled: 1-line block ×17, first 2 shown]
                                        ; implicit-def: $sgpr38_sgpr39
                                        ; implicit-def: $vgpr74
	s_and_saveexec_b64 s[34:35], vcc
	s_cbranch_execz .LBB1799_133
; %bb.114:
	ds_read2_b32 v[18:19], v76 offset0:13 offset1:14
	v_add_u32_e32 v20, 14, v77
	v_cmp_ne_u32_e32 vcc, v16, v17
	v_mov_b32_e32 v16, s74
	s_mov_b64 s[40:41], 0
	v_cndmask_b32_e64 v66, 0, 1, vcc
	s_waitcnt lgkmcnt(0)
	v_cndmask_b32_e32 v36, v18, v16, vcc
	v_cmp_gt_u32_e32 vcc, s60, v20
	v_mov_b32_e32 v30, 0
	v_mov_b32_e32 v54, 0
	;; [unrolled: 1-line block ×16, first 2 shown]
                                        ; implicit-def: $sgpr38_sgpr39
                                        ; implicit-def: $vgpr74
	s_and_saveexec_b64 s[36:37], vcc
	s_cbranch_execz .LBB1799_132
; %bb.115:
	v_add_u32_e32 v16, 15, v77
	v_cmp_ne_u32_e32 vcc, v17, v14
	v_mov_b32_e32 v17, s74
	v_mov_b32_e32 v30, 0
	v_cndmask_b32_e64 v67, 0, 1, vcc
	v_cndmask_b32_e32 v37, v19, v17, vcc
	v_cmp_gt_u32_e32 vcc, s60, v16
	v_mov_b32_e32 v54, 0
	v_mov_b32_e32 v62, 0
	;; [unrolled: 1-line block ×13, first 2 shown]
                                        ; implicit-def: $sgpr42_sgpr43
                                        ; implicit-def: $vgpr74
	s_and_saveexec_b64 s[38:39], vcc
	s_cbranch_execz .LBB1799_131
; %bb.116:
	ds_read2_b32 v[16:17], v76 offset0:15 offset1:16
	v_add_u32_e32 v18, 16, v77
	v_cmp_ne_u32_e32 vcc, v14, v15
	v_mov_b32_e32 v14, s74
	s_mov_b64 s[44:45], 0
	v_cndmask_b32_e64 v68, 0, 1, vcc
	s_waitcnt lgkmcnt(0)
	v_cndmask_b32_e32 v34, v16, v14, vcc
	v_cmp_gt_u32_e32 vcc, s60, v18
	v_mov_b32_e32 v30, 0
	v_mov_b32_e32 v54, 0
	v_mov_b32_e32 v62, 0
	v_mov_b32_e32 v73, 0
	v_mov_b32_e32 v60, 0
	v_mov_b32_e32 v72, 0
	v_mov_b32_e32 v33, 0
	v_mov_b32_e32 v71, 0
	v_mov_b32_e32 v32, 0
	v_mov_b32_e32 v70, 0
	v_mov_b32_e32 v35, 0
	v_mov_b32_e32 v69, 0
                                        ; implicit-def: $sgpr42_sgpr43
                                        ; implicit-def: $vgpr74
	s_and_saveexec_b64 s[40:41], vcc
	s_cbranch_execz .LBB1799_130
; %bb.117:
	v_add_u32_e32 v14, 17, v77
	v_cmp_ne_u32_e32 vcc, v15, v12
	v_mov_b32_e32 v15, s74
	v_mov_b32_e32 v30, 0
	v_cndmask_b32_e64 v69, 0, 1, vcc
	v_cndmask_b32_e32 v35, v17, v15, vcc
	v_cmp_gt_u32_e32 vcc, s60, v14
	v_mov_b32_e32 v54, 0
	v_mov_b32_e32 v62, 0
	;; [unrolled: 1-line block ×9, first 2 shown]
                                        ; implicit-def: $sgpr46_sgpr47
                                        ; implicit-def: $vgpr74
	s_and_saveexec_b64 s[42:43], vcc
	s_cbranch_execz .LBB1799_129
; %bb.118:
	ds_read2_b32 v[14:15], v76 offset0:17 offset1:18
	v_add_u32_e32 v16, 18, v77
	v_cmp_ne_u32_e32 vcc, v12, v13
	v_mov_b32_e32 v12, s74
	s_mov_b64 s[48:49], 0
	v_cndmask_b32_e64 v70, 0, 1, vcc
	s_waitcnt lgkmcnt(0)
	v_cndmask_b32_e32 v32, v14, v12, vcc
	v_cmp_gt_u32_e32 vcc, s60, v16
	v_mov_b32_e32 v30, 0
	v_mov_b32_e32 v54, 0
	v_mov_b32_e32 v62, 0
	v_mov_b32_e32 v73, 0
	v_mov_b32_e32 v60, 0
	v_mov_b32_e32 v72, 0
	v_mov_b32_e32 v33, 0
	v_mov_b32_e32 v71, 0
                                        ; implicit-def: $sgpr46_sgpr47
                                        ; implicit-def: $vgpr74
	s_and_saveexec_b64 s[44:45], vcc
	s_cbranch_execz .LBB1799_128
; %bb.119:
	v_add_u32_e32 v12, 19, v77
	v_cmp_ne_u32_e32 vcc, v13, v8
	v_mov_b32_e32 v13, s74
	v_mov_b32_e32 v30, 0
	v_cndmask_b32_e64 v71, 0, 1, vcc
	v_cndmask_b32_e32 v33, v15, v13, vcc
	v_cmp_gt_u32_e32 vcc, s60, v12
	v_mov_b32_e32 v54, 0
	v_mov_b32_e32 v62, 0
	;; [unrolled: 1-line block ×5, first 2 shown]
                                        ; implicit-def: $sgpr50_sgpr51
                                        ; implicit-def: $vgpr74
	s_and_saveexec_b64 s[46:47], vcc
	s_cbranch_execz .LBB1799_127
; %bb.120:
	ds_read2_b32 v[12:13], v76 offset0:19 offset1:20
	v_add_u32_e32 v14, 20, v77
	v_cmp_ne_u32_e32 vcc, v8, v9
	v_mov_b32_e32 v8, s74
	s_mov_b64 s[56:57], 0
	v_cndmask_b32_e64 v72, 0, 1, vcc
	s_waitcnt lgkmcnt(0)
	v_cndmask_b32_e32 v60, v12, v8, vcc
	v_cmp_gt_u32_e32 vcc, s60, v14
	v_mov_b32_e32 v30, 0
	v_mov_b32_e32 v54, 0
	v_mov_b32_e32 v62, 0
	v_mov_b32_e32 v73, 0
                                        ; implicit-def: $sgpr50_sgpr51
                                        ; implicit-def: $vgpr74
	s_and_saveexec_b64 s[48:49], vcc
	s_cbranch_execz .LBB1799_126
; %bb.121:
	v_add_u32_e32 v8, 21, v77
	v_cmp_ne_u32_e32 vcc, v9, v6
	v_mov_b32_e32 v9, s74
	v_mov_b32_e32 v30, 0
	v_cndmask_b32_e64 v73, 0, 1, vcc
	v_cndmask_b32_e32 v62, v13, v9, vcc
	v_cmp_gt_u32_e32 vcc, s60, v8
	v_mov_b32_e32 v54, 0
                                        ; implicit-def: $sgpr58_sgpr59
                                        ; implicit-def: $vgpr74
	s_and_saveexec_b64 s[50:51], vcc
	s_cbranch_execz .LBB1799_125
; %bb.122:
	ds_read2_b32 v[8:9], v76 offset0:21 offset1:22
	v_add_u32_e32 v12, 22, v77
	v_cmp_ne_u32_e32 vcc, v6, v7
	v_mov_b32_e32 v6, s74
                                        ; implicit-def: $sgpr58_sgpr59
                                        ; implicit-def: $vgpr74
	s_nop 0
	v_cndmask_b32_e64 v54, 0, 1, vcc
	s_waitcnt lgkmcnt(0)
	v_cndmask_b32_e32 v30, v8, v6, vcc
	v_cmp_gt_u32_e32 vcc, s60, v12
	s_and_saveexec_b64 s[60:61], vcc
	s_xor_b64 s[60:61], exec, s[60:61]
	s_cbranch_execz .LBB1799_124
; %bb.123:
	v_mov_b32_e32 v6, s74
	s_waitcnt vmcnt(0)
	v_cmp_ne_u32_e32 vcc, v7, v75
	s_mov_b64 s[56:57], exec
	s_and_b64 s[58:59], vcc, exec
	v_cndmask_b32_e32 v74, v9, v6, vcc
.LBB1799_124:
	s_or_b64 exec, exec, s[60:61]
	s_and_b64 s[58:59], s[58:59], exec
	s_and_b64 s[56:57], s[56:57], exec
.LBB1799_125:
	s_or_b64 exec, exec, s[50:51]
	s_and_b64 s[50:51], s[58:59], exec
	s_and_b64 s[56:57], s[56:57], exec
.LBB1799_126:
	s_or_b64 exec, exec, s[48:49]
	s_and_b64 s[50:51], s[50:51], exec
	s_and_b64 s[48:49], s[56:57], exec
.LBB1799_127:
	s_or_b64 exec, exec, s[46:47]
	s_and_b64 s[46:47], s[50:51], exec
	s_and_b64 s[48:49], s[48:49], exec
.LBB1799_128:
	s_or_b64 exec, exec, s[44:45]
	s_and_b64 s[46:47], s[46:47], exec
	s_and_b64 s[44:45], s[48:49], exec
.LBB1799_129:
	s_or_b64 exec, exec, s[42:43]
	s_and_b64 s[42:43], s[46:47], exec
	s_and_b64 s[44:45], s[44:45], exec
.LBB1799_130:
	s_or_b64 exec, exec, s[40:41]
	s_and_b64 s[42:43], s[42:43], exec
	s_and_b64 s[40:41], s[44:45], exec
.LBB1799_131:
	s_or_b64 exec, exec, s[38:39]
	s_and_b64 s[38:39], s[42:43], exec
	s_and_b64 s[40:41], s[40:41], exec
.LBB1799_132:
	s_or_b64 exec, exec, s[36:37]
	s_and_b64 s[38:39], s[38:39], exec
	s_and_b64 s[36:37], s[40:41], exec
.LBB1799_133:
	s_or_b64 exec, exec, s[34:35]
	s_and_b64 s[34:35], s[38:39], exec
	s_and_b64 s[36:37], s[36:37], exec
.LBB1799_134:
	s_or_b64 exec, exec, s[30:31]
	s_and_b64 s[34:35], s[34:35], exec
	s_and_b64 s[30:31], s[36:37], exec
.LBB1799_135:
	s_or_b64 exec, exec, s[28:29]
	s_and_b64 s[28:29], s[34:35], exec
	s_and_b64 s[30:31], s[30:31], exec
.LBB1799_136:
	s_or_b64 exec, exec, s[26:27]
	s_and_b64 s[28:29], s[28:29], exec
	s_and_b64 s[26:27], s[30:31], exec
.LBB1799_137:
	s_or_b64 exec, exec, s[24:25]
	s_and_b64 s[24:25], s[28:29], exec
	s_and_b64 s[26:27], s[26:27], exec
.LBB1799_138:
	s_or_b64 exec, exec, s[22:23]
	s_and_b64 s[24:25], s[24:25], exec
	s_and_b64 s[22:23], s[26:27], exec
.LBB1799_139:
	s_or_b64 exec, exec, s[20:21]
	s_and_b64 s[20:21], s[24:25], exec
	s_and_b64 s[22:23], s[22:23], exec
.LBB1799_140:
	s_or_b64 exec, exec, s[18:19]
	s_and_b64 s[20:21], s[20:21], exec
	s_and_b64 s[18:19], s[22:23], exec
.LBB1799_141:
	s_or_b64 exec, exec, s[16:17]
	s_and_b64 s[16:17], s[20:21], exec
	s_and_b64 s[18:19], s[18:19], exec
.LBB1799_142:
	s_or_b64 exec, exec, s[14:15]
	s_and_b64 s[16:17], s[16:17], exec
	s_and_b64 s[14:15], s[18:19], exec
.LBB1799_143:
	s_or_b64 exec, exec, s[12:13]
	s_and_b64 s[12:13], s[16:17], exec
	s_and_b64 s[14:15], s[14:15], exec
.LBB1799_144:
	s_or_b64 exec, exec, s[10:11]
	s_and_b64 s[12:13], s[12:13], exec
	s_and_b64 s[10:11], s[14:15], exec
.LBB1799_145:
	s_or_b64 exec, exec, s[8:9]
	s_and_b64 s[8:9], s[12:13], exec
	s_and_b64 s[10:11], s[10:11], exec
.LBB1799_146:
	s_or_b64 exec, exec, s[6:7]
	s_mov_b32 s6, 0
	s_and_b64 vcc, exec, s[0:1]
	v_lshlrev_b32_e32 v12, 2, v0
	s_cbranch_vccz .LBB1799_152
.LBB1799_147:
	v_mov_b32_e32 v13, 0
	v_lshl_add_u64 v[6:7], v[4:5], 0, v[12:13]
	v_add_co_u32_e32 v8, vcc, 0x1000, v6
	s_movk_i32 s0, 0x58
	s_nop 0
	v_addc_co_u32_e32 v9, vcc, 0, v7, vcc
	flat_load_dword v1, v[6:7]
	flat_load_dword v16, v[6:7] offset:1024
	flat_load_dword v17, v[6:7] offset:2048
	;; [unrolled: 1-line block ×3, first 2 shown]
	flat_load_dword v19, v[8:9]
	flat_load_dword v20, v[8:9] offset:1024
	flat_load_dword v21, v[8:9] offset:2048
	;; [unrolled: 1-line block ×3, first 2 shown]
	v_add_co_u32_e32 v8, vcc, 0x2000, v6
	s_movk_i32 s10, 0x1000
	s_nop 0
	v_addc_co_u32_e32 v9, vcc, 0, v7, vcc
	v_add_co_u32_e32 v14, vcc, 0x3000, v6
	s_movk_i32 s9, 0x2000
	s_nop 0
	v_addc_co_u32_e32 v15, vcc, 0, v7, vcc
	flat_load_dword v23, v[8:9]
	flat_load_dword v24, v[8:9] offset:1024
	flat_load_dword v25, v[8:9] offset:2048
	;; [unrolled: 1-line block ×3, first 2 shown]
	flat_load_dword v27, v[14:15]
	flat_load_dword v28, v[14:15] offset:1024
	flat_load_dword v29, v[14:15] offset:2048
	;; [unrolled: 1-line block ×3, first 2 shown]
	v_add_co_u32_e32 v8, vcc, 0x4000, v6
	s_movk_i32 s8, 0x3000
	s_nop 0
	v_addc_co_u32_e32 v9, vcc, 0, v7, vcc
	v_add_co_u32_e32 v6, vcc, 0x5000, v6
	s_movk_i32 s7, 0x4000
	s_nop 0
	v_addc_co_u32_e32 v7, vcc, 0, v7, vcc
	flat_load_dword v14, v[8:9]
	flat_load_dword v15, v[8:9] offset:1024
	flat_load_dword v31, v[8:9] offset:2048
	;; [unrolled: 1-line block ×3, first 2 shown]
	flat_load_dword v33, v[6:7]
	flat_load_dword v34, v[6:7] offset:1024
	flat_load_dword v35, v[6:7] offset:2048
	v_add_co_u32_e32 v4, vcc, 0x5000, v4
	s_movk_i32 s6, 0x5000
	s_nop 0
	v_addc_co_u32_e32 v5, vcc, 0, v5, vcc
	s_waitcnt vmcnt(0) lgkmcnt(0)
	ds_write2st64_b32 v12, v1, v16 offset1:4
	ds_write2st64_b32 v12, v17, v18 offset0:8 offset1:12
	ds_write2st64_b32 v12, v19, v20 offset0:16 offset1:20
	;; [unrolled: 1-line block ×10, first 2 shown]
	ds_write_b32 v12, v35 offset:22528
	s_waitcnt lgkmcnt(0)
	s_barrier
	flat_load_dword v74, v[4:5] offset:3072
	v_mad_u32_u24 v1, v0, s0, v12
	s_movk_i32 s0, 0xffa8
	v_mad_i32_i24 v30, v0, s0, v1
	s_movk_i32 s0, 0xff
	v_cmp_ne_u32_e32 vcc, s0, v0
	ds_read_b32 v50, v1
	ds_read2_b32 v[28:29], v1 offset0:1 offset1:2
	ds_read2_b32 v[26:27], v1 offset0:3 offset1:4
	;; [unrolled: 1-line block ×11, first 2 shown]
	s_waitcnt lgkmcnt(0)
	ds_write_b32 v30, v50 offset:24576
	s_waitcnt lgkmcnt(0)
	s_barrier
	s_and_saveexec_b64 s[0:1], vcc
	s_cbranch_execz .LBB1799_149
; %bb.148:
	s_waitcnt vmcnt(0)
	ds_read_b32 v74, v12 offset:24580
.LBB1799_149:
	s_or_b64 exec, exec, s[0:1]
	v_lshl_add_u64 v[2:3], v[2:3], 0, v[12:13]
	v_add_co_u32_e32 v30, vcc, s10, v2
	s_waitcnt lgkmcnt(0)
	s_nop 0
	v_addc_co_u32_e32 v31, vcc, 0, v3, vcc
	s_barrier
	flat_load_dword v13, v[2:3]
	flat_load_dword v34, v[2:3] offset:1024
	flat_load_dword v35, v[2:3] offset:2048
	;; [unrolled: 1-line block ×3, first 2 shown]
	flat_load_dword v37, v[30:31]
	flat_load_dword v38, v[30:31] offset:1024
	flat_load_dword v39, v[30:31] offset:2048
	;; [unrolled: 1-line block ×3, first 2 shown]
	v_add_co_u32_e32 v30, vcc, s9, v2
	v_cmp_eq_u32_e64 s[0:1], v50, v28
	s_nop 0
	v_addc_co_u32_e32 v31, vcc, 0, v3, vcc
	v_add_co_u32_e32 v32, vcc, s8, v2
	s_nop 1
	v_addc_co_u32_e32 v33, vcc, 0, v3, vcc
	flat_load_dword v41, v[30:31]
	flat_load_dword v42, v[30:31] offset:1024
	flat_load_dword v43, v[30:31] offset:2048
	;; [unrolled: 1-line block ×3, first 2 shown]
	flat_load_dword v45, v[32:33]
	flat_load_dword v46, v[32:33] offset:1024
	flat_load_dword v47, v[32:33] offset:2048
	;; [unrolled: 1-line block ×3, first 2 shown]
	v_add_co_u32_e32 v30, vcc, s7, v2
	s_nop 1
	v_addc_co_u32_e32 v31, vcc, 0, v3, vcc
	v_add_co_u32_e32 v2, vcc, s6, v2
	s_nop 1
	v_addc_co_u32_e32 v3, vcc, 0, v3, vcc
	flat_load_dword v32, v[30:31]
	flat_load_dword v33, v[30:31] offset:1024
	flat_load_dword v49, v[30:31] offset:2048
	;; [unrolled: 1-line block ×3, first 2 shown]
	flat_load_dword v52, v[2:3]
	flat_load_dword v53, v[2:3] offset:1024
	flat_load_dword v54, v[2:3] offset:2048
	v_cmp_ne_u32_e32 vcc, v50, v28
	v_mov_b32_e32 v50, s74
	s_waitcnt vmcnt(0) lgkmcnt(0)
	v_cvt_f32_u32_e32 v2, v13
	v_cvt_f32_u32_e32 v3, v34
	;; [unrolled: 1-line block ×8, first 2 shown]
	ds_write2st64_b32 v12, v2, v3 offset1:4
	ds_write2st64_b32 v12, v13, v30 offset0:8 offset1:12
	v_cvt_f32_u32_e32 v37, v41
	v_cvt_f32_u32_e32 v38, v42
	v_cvt_f32_u32_e32 v39, v43
	v_cvt_f32_u32_e32 v40, v44
	v_cvt_f32_u32_e32 v41, v45
	v_cvt_f32_u32_e32 v42, v46
	v_cvt_f32_u32_e32 v43, v47
	v_cvt_f32_u32_e32 v44, v48
	v_cvt_f32_u32_e32 v2, v32
	v_cvt_f32_u32_e32 v3, v33
	v_cvt_f32_u32_e32 v13, v49
	v_cvt_f32_u32_e32 v30, v51
	v_cvt_f32_u32_e32 v32, v52
	v_cvt_f32_u32_e32 v33, v53
	v_cvt_f32_u32_e32 v45, v54
	ds_write2st64_b32 v12, v31, v34 offset0:16 offset1:20
	ds_write2st64_b32 v12, v35, v36 offset0:24 offset1:28
	;; [unrolled: 1-line block ×9, first 2 shown]
	ds_write_b32 v12, v45 offset:22528
	s_waitcnt lgkmcnt(0)
	s_barrier
	ds_read2_b32 v[48:49], v1 offset0:1 offset1:2
	ds_read2_b32 v[46:47], v1 offset0:3 offset1:4
	;; [unrolled: 1-line block ×11, first 2 shown]
	s_and_saveexec_b64 s[6:7], s[0:1]
	s_cbranch_execz .LBB1799_151
; %bb.150:
	ds_read_b32 v50, v1
.LBB1799_151:
	s_or_b64 exec, exec, s[6:7]
	v_cmp_ne_u32_e64 s[8:9], v27, v24
	v_cmp_ne_u32_e64 s[42:43], v7, v4
	;; [unrolled: 1-line block ×3, first 2 shown]
	v_mov_b32_e32 v4, s74
	v_cndmask_b32_e64 v1, 0, 1, vcc
	v_cmp_ne_u32_e32 vcc, v28, v29
	v_cmp_ne_u32_e64 s[0:1], v29, v26
	v_cmp_ne_u32_e64 s[6:7], v26, v27
	v_cndmask_b32_e64 v55, 0, 1, s[8:9]
	v_cmp_ne_u32_e64 s[10:11], v24, v25
	v_cmp_ne_u32_e64 s[12:13], v25, v22
	;; [unrolled: 1-line block ×15, first 2 shown]
	s_waitcnt lgkmcnt(9)
	v_cndmask_b32_e64 v47, v47, v4, s[8:9]
	v_cmp_ne_u32_e64 s[8:9], v5, v74
	v_cndmask_b32_e64 v51, 0, 1, vcc
	v_cndmask_b32_e64 v52, 0, 1, s[0:1]
	v_cndmask_b32_e64 v53, 0, 1, s[6:7]
	;; [unrolled: 1-line block ×19, first 2 shown]
	v_cndmask_b32_e32 v48, v48, v4, vcc
	v_cndmask_b32_e64 v49, v49, v4, s[0:1]
	v_cndmask_b32_e64 v46, v46, v4, s[6:7]
	s_waitcnt lgkmcnt(8)
	v_cndmask_b32_e64 v44, v44, v4, s[10:11]
	v_cndmask_b32_e64 v45, v45, v4, s[12:13]
	s_waitcnt lgkmcnt(7)
	;; [unrolled: 3-line block ×9, first 2 shown]
	v_cndmask_b32_e64 v30, v2, v4, s[44:45]
	v_cndmask_b32_e64 v74, v3, v4, s[8:9]
	s_mov_b64 s[10:11], -1
                                        ; implicit-def: $sgpr6
                                        ; implicit-def: $sgpr68
.LBB1799_152:
	v_mov_b32_e32 v13, s68
	v_mov_b32_e32 v18, s6
	s_and_saveexec_b64 s[0:1], s[10:11]
; %bb.153:
	v_cndmask_b32_e64 v13, 0, 1, s[8:9]
	v_mov_b32_e32 v18, v74
; %bb.154:
	s_or_b64 exec, exec, s[0:1]
	v_or_b32_e32 v2, v13, v54
	s_cmp_lg_u32 s67, 0
	v_add_f32_e32 v21, v48, v50
	v_or_b32_e32 v20, v2, v73
	v_lshrrev_b32_e32 v19, 5, v0
	v_cmp_gt_u32_e32 vcc, 64, v0
	s_barrier
	s_cbranch_scc0 .LBB1799_217
; %bb.155:
	v_mov_b32_e32 v6, 0
	v_cmp_eq_u16_sdwa s[6:7], v51, v6 src0_sel:BYTE_0 src1_sel:DWORD
	v_cmp_eq_u16_sdwa s[8:9], v52, v6 src0_sel:BYTE_0 src1_sel:DWORD
	v_cmp_eq_u16_sdwa s[10:11], v53, v6 src0_sel:BYTE_0 src1_sel:DWORD
	v_cndmask_b32_e64 v2, v48, v21, s[6:7]
	v_add_f32_e32 v2, v49, v2
	v_cndmask_b32_e64 v2, v49, v2, s[8:9]
	v_add_f32_e32 v2, v46, v2
	v_cndmask_b32_e64 v2, v46, v2, s[10:11]
	v_add_f32_e32 v2, v47, v2
	v_cmp_eq_u16_sdwa s[12:13], v55, v6 src0_sel:BYTE_0 src1_sel:DWORD
	v_cmp_eq_u16_sdwa s[14:15], v56, v6 src0_sel:BYTE_0 src1_sel:DWORD
	v_cmp_eq_u16_sdwa s[16:17], v57, v6 src0_sel:BYTE_0 src1_sel:DWORD
	v_cndmask_b32_e64 v2, v47, v2, s[12:13]
	v_add_f32_e32 v2, v44, v2
	v_cndmask_b32_e64 v2, v44, v2, s[14:15]
	v_add_f32_e32 v2, v45, v2
	v_cndmask_b32_e64 v2, v45, v2, s[16:17]
	v_add_f32_e32 v2, v42, v2
	;; [unrolled: 9-line block ×7, first 2 shown]
	v_cmp_eq_u16_sdwa s[0:1], v13, v6 src0_sel:BYTE_0 src1_sel:DWORD
	v_and_b32_e32 v3, 0xff, v1
	s_nop 0
	v_cndmask_b32_e64 v22, v18, v2, s[0:1]
	v_or_b32_e32 v2, v20, v72
	v_or_b32_e32 v2, v2, v71
	;; [unrolled: 1-line block ×19, first 2 shown]
	v_and_b32_e32 v2, 1, v2
	v_cmp_eq_u32_e64 s[0:1], 1, v2
	v_add_lshl_u32 v2, v19, v0, 3
	s_nop 0
	v_cndmask_b32_e64 v23, v3, 1, s[0:1]
	ds_write_b32 v2, v22
	ds_write_b8 v2, v23 offset:4
	s_waitcnt lgkmcnt(0)
	s_barrier
	s_and_saveexec_b64 s[50:51], vcc
	s_cbranch_execz .LBB1799_169
; %bb.156:
	v_lshrrev_b32_e32 v2, 3, v0
	v_add_lshl_u32 v4, v2, v12, 3
	ds_read2_b32 v[8:9], v4 offset0:2 offset1:4
	ds_read_b64 v[2:3], v4
	ds_read_u8 v7, v4 offset:12
	ds_read_u8 v14, v4 offset:20
	ds_read_b32 v16, v4 offset:24
	ds_read_u8 v17, v4 offset:28
	s_waitcnt lgkmcnt(0)
	v_add_f32_e32 v5, v2, v8
	v_cmp_eq_u16_sdwa s[0:1], v7, v6 src0_sel:BYTE_0 src1_sel:DWORD
	v_and_b32_e32 v15, 0xffffff00, v3
	s_nop 0
	v_cndmask_b32_e64 v8, v8, v5, s[0:1]
	v_add_f32_e32 v8, v9, v8
	v_cmp_eq_u16_sdwa s[0:1], v14, v6 src0_sel:BYTE_0 src1_sel:DWORD
	v_and_b32_e32 v5, 1, v3
	s_nop 0
	v_cndmask_b32_e64 v6, v9, v8, s[0:1]
	v_or_b32_e32 v8, v17, v14
	v_or_b32_e32 v7, v8, v7
	v_add_f32_e32 v6, v16, v6
	v_cmp_eq_u16_e64 s[0:1], 0, v17
	v_and_b32_e32 v7, 1, v7
	s_nop 0
	v_cndmask_b32_e64 v6, v16, v6, s[0:1]
	v_cmp_eq_u32_e64 s[0:1], 1, v7
	v_mbcnt_lo_u32_b32 v7, -1, 0
	v_mbcnt_hi_u32_b32 v7, -1, v7
	v_cndmask_b32_e64 v9, v5, 1, s[0:1]
	v_or_b32_e32 v8, v9, v15
	v_and_b32_e32 v14, 15, v7
	v_mov_b32_dpp v17, v6 row_shr:1 row_mask:0xf bank_mask:0xf
	v_mov_b32_dpp v16, v8 row_shr:1 row_mask:0xf bank_mask:0xf
	v_cmp_ne_u32_e64 s[0:1], 0, v14
	s_and_saveexec_b64 s[56:57], s[0:1]
; %bb.157:
	v_add_f32_e32 v8, v6, v17
	v_cmp_eq_u32_e64 s[0:1], 0, v9
	s_nop 1
	v_cndmask_b32_e64 v6, v6, v8, s[0:1]
	v_and_b32_e32 v8, 1, v9
	v_and_b32_e32 v9, 1, v16
	v_cmp_eq_u32_e64 s[0:1], 1, v8
	s_nop 1
	v_cndmask_b32_e64 v9, v9, 1, s[0:1]
	v_or_b32_e32 v8, v9, v15
; %bb.158:
	s_or_b64 exec, exec, s[56:57]
	v_mov_b32_dpp v16, v6 row_shr:2 row_mask:0xf bank_mask:0xf
	v_mov_b32_dpp v15, v8 row_shr:2 row_mask:0xf bank_mask:0xf
	v_cmp_lt_u32_e64 s[0:1], 1, v14
	s_and_saveexec_b64 s[56:57], s[0:1]
; %bb.159:
	v_add_f32_e32 v16, v6, v16
	v_cmp_eq_u32_e64 s[0:1], 0, v9
	v_and_b32_e32 v9, 1, v9
	v_and_b32_e32 v15, 1, v15
	v_cndmask_b32_e64 v6, v6, v16, s[0:1]
	v_cmp_eq_u32_e64 s[0:1], 1, v9
	s_nop 1
	v_cndmask_b32_e64 v9, v15, 1, s[0:1]
	s_movk_i32 s0, 0xff00
	v_and_or_b32 v8, v8, s0, v9
; %bb.160:
	s_or_b64 exec, exec, s[56:57]
	v_mov_b32_dpp v16, v6 row_shr:4 row_mask:0xf bank_mask:0xf
	v_mov_b32_dpp v15, v8 row_shr:4 row_mask:0xf bank_mask:0xf
	v_cmp_lt_u32_e64 s[0:1], 3, v14
	s_and_saveexec_b64 s[56:57], s[0:1]
; %bb.161:
	v_add_f32_e32 v16, v6, v16
	v_cmp_eq_u32_e64 s[0:1], 0, v9
	v_and_b32_e32 v9, 1, v9
	v_and_b32_e32 v15, 1, v15
	v_cndmask_b32_e64 v6, v6, v16, s[0:1]
	v_cmp_eq_u32_e64 s[0:1], 1, v9
	s_nop 1
	v_cndmask_b32_e64 v9, v15, 1, s[0:1]
	s_movk_i32 s0, 0xff00
	v_and_or_b32 v8, v8, s0, v9
; %bb.162:
	s_or_b64 exec, exec, s[56:57]
	v_mov_b32_dpp v16, v6 row_shr:8 row_mask:0xf bank_mask:0xf
	v_mov_b32_dpp v15, v8 row_shr:8 row_mask:0xf bank_mask:0xf
	v_cmp_lt_u32_e64 s[0:1], 7, v14
	s_and_saveexec_b64 s[56:57], s[0:1]
; %bb.163:
	v_add_f32_e32 v14, v6, v16
	v_cmp_eq_u32_e64 s[0:1], 0, v9
	v_and_b32_e32 v9, 1, v9
	s_nop 0
	v_cndmask_b32_e64 v6, v6, v14, s[0:1]
	v_and_b32_e32 v14, 1, v15
	v_cmp_eq_u32_e64 s[0:1], 1, v9
	s_nop 1
	v_cndmask_b32_e64 v9, v14, 1, s[0:1]
	s_movk_i32 s0, 0xff00
	v_and_or_b32 v8, v8, s0, v9
; %bb.164:
	s_or_b64 exec, exec, s[56:57]
	v_and_b32_e32 v16, 16, v7
	v_mov_b32_dpp v15, v6 row_bcast:15 row_mask:0xf bank_mask:0xf
	v_mov_b32_dpp v14, v8 row_bcast:15 row_mask:0xf bank_mask:0xf
	v_cmp_ne_u32_e64 s[0:1], 0, v16
	s_and_saveexec_b64 s[56:57], s[0:1]
; %bb.165:
	v_add_f32_e32 v15, v6, v15
	v_cmp_eq_u32_e64 s[0:1], 0, v9
	v_and_b32_e32 v9, 1, v9
	v_and_b32_e32 v14, 1, v14
	v_cndmask_b32_e64 v6, v6, v15, s[0:1]
	v_cmp_eq_u32_e64 s[0:1], 1, v9
	s_nop 1
	v_cndmask_b32_e64 v9, v14, 1, s[0:1]
	s_movk_i32 s0, 0xff00
	v_and_or_b32 v8, v8, s0, v9
; %bb.166:
	s_or_b64 exec, exec, s[56:57]
	v_mov_b32_dpp v15, v6 row_bcast:31 row_mask:0xf bank_mask:0xf
	v_mov_b32_dpp v14, v8 row_bcast:31 row_mask:0xf bank_mask:0xf
	v_cmp_lt_u32_e64 s[0:1], 31, v7
	s_and_saveexec_b64 s[56:57], s[0:1]
; %bb.167:
	v_add_f32_e32 v15, v6, v15
	v_cmp_eq_u32_e64 s[0:1], 0, v9
	v_and_b32_e32 v9, 1, v9
	v_and_b32_e32 v14, 1, v14
	v_cndmask_b32_e64 v6, v6, v15, s[0:1]
	v_cmp_eq_u32_e64 s[0:1], 1, v9
	s_nop 1
	v_cndmask_b32_e64 v9, v14, 1, s[0:1]
	s_movk_i32 s0, 0xff00
	v_and_or_b32 v8, v8, s0, v9
; %bb.168:
	s_or_b64 exec, exec, s[56:57]
	v_add_u32_e32 v9, -1, v7
	v_and_b32_e32 v14, 64, v7
	v_cmp_lt_i32_e64 s[0:1], v9, v14
	; wave barrier
	s_nop 1
	v_cndmask_b32_e64 v7, v9, v7, s[0:1]
	v_lshlrev_b32_e32 v7, 2, v7
	ds_bpermute_b32 v6, v7, v6
	ds_bpermute_b32 v7, v7, v8
	v_mov_b32_e32 v8, 0
	v_cmp_eq_u32_sdwa s[0:1], v3, v8 src0_sel:BYTE_0 src1_sel:DWORD
	s_waitcnt lgkmcnt(0)
	v_add_f32_e32 v6, v2, v6
	v_cndmask_b32_e64 v2, v2, v6, s[0:1]
	v_and_b32_e32 v3, 1, v7
	v_cmp_eq_u32_e64 s[0:1], 1, v5
	v_cndmask_b32_e64 v5, v2, v22, s[52:53]
	s_nop 0
	v_cndmask_b32_e64 v3, v3, 1, s[0:1]
	v_cndmask_b32_e64 v6, v3, v23, s[52:53]
	ds_write_b32 v4, v5
	ds_write_b8 v4, v6 offset:4
	; wave barrier
	ds_read2_b32 v[2:3], v4 offset0:2 offset1:4
	ds_read_u8 v7, v4 offset:12
	ds_read_u8 v8, v4 offset:20
	ds_read_b32 v9, v4 offset:24
	ds_read_u8 v14, v4 offset:28
	s_waitcnt lgkmcnt(0)
	v_add_f32_e32 v5, v5, v2
	v_cmp_eq_u16_e64 s[0:1], 0, v7
	s_nop 1
	v_cndmask_b32_e64 v2, v2, v5, s[0:1]
	v_and_b32_e32 v5, 1, v7
	v_cmp_eq_u32_e64 s[0:1], 1, v5
	s_nop 1
	v_cndmask_b32_e64 v5, v6, 1, s[0:1]
	v_add_f32_e32 v6, v2, v3
	v_cmp_eq_u16_e64 s[0:1], 0, v8
	ds_write_b8 v4, v5 offset:12
	s_nop 0
	v_cndmask_b32_e64 v3, v3, v6, s[0:1]
	v_and_b32_e32 v6, 1, v8
	v_cmp_eq_u32_e64 s[0:1], 1, v6
	s_nop 1
	v_cndmask_b32_e64 v5, v5, 1, s[0:1]
	ds_write2_b32 v4, v2, v3 offset0:2 offset1:4
	ds_write_b8 v4, v5 offset:20
	v_add_f32_e32 v2, v3, v9
	v_cmp_eq_u16_e64 s[0:1], 0, v14
	v_and_b32_e32 v3, 1, v14
	s_nop 0
	v_cndmask_b32_e64 v2, v9, v2, s[0:1]
	v_cmp_eq_u32_e64 s[0:1], 1, v3
	s_nop 1
	v_cndmask_b32_e64 v3, v5, 1, s[0:1]
	ds_write_b32 v4, v2 offset:24
	ds_write_b8 v4, v3 offset:28
.LBB1799_169:
	s_or_b64 exec, exec, s[50:51]
	s_waitcnt lgkmcnt(0)
	s_barrier
	s_and_saveexec_b64 s[0:1], s[4:5]
	s_cbranch_execz .LBB1799_171
; %bb.170:
	v_add_u32_e32 v2, -1, v0
	v_lshrrev_b32_e32 v3, 5, v2
	v_add_lshl_u32 v2, v3, v2, 3
	ds_read_b32 v22, v2
	ds_read_u8 v23, v2 offset:4
.LBB1799_171:
	s_or_b64 exec, exec, s[0:1]
	s_and_saveexec_b64 s[0:1], vcc
	s_cbranch_execz .LBB1799_216
; %bb.172:
	v_mov_b32_e32 v5, 0
	ds_read_b64 v[2:3], v5 offset:2096
	v_mbcnt_lo_u32_b32 v4, -1, 0
	v_mbcnt_hi_u32_b32 v15, -1, v4
	s_mov_b32 s59, 0
	v_cmp_eq_u32_e64 s[50:51], 0, v15
	s_waitcnt lgkmcnt(0)
	v_readfirstlane_b32 s60, v3
	s_and_saveexec_b64 s[56:57], s[50:51]
	s_cbranch_execz .LBB1799_174
; %bb.173:
	s_add_i32 s58, s67, 64
	s_lshl_b64 s[68:69], s[58:59], 4
	s_add_u32 s68, s64, s68
	s_addc_u32 s69, s65, s69
	s_and_b32 s77, s60, 0xff000000
	s_mov_b32 s76, s59
	s_and_b32 s79, s60, 0xff0000
	s_mov_b32 s78, s59
	s_or_b64 s[76:77], s[78:79], s[76:77]
	s_and_b32 s79, s60, 0xff00
	s_or_b64 s[76:77], s[76:77], s[78:79]
	s_and_b32 s79, s60, 0xff
	s_or_b64 s[58:59], s[76:77], s[78:79]
	v_mov_b32_e32 v3, s59
	v_mov_b32_e32 v4, 1
	v_mov_b64_e32 v[6:7], s[68:69]
	;;#ASMSTART
	global_store_dwordx4 v[6:7], v[2:5] off sc1	
s_waitcnt vmcnt(0)
	;;#ASMEND
.LBB1799_174:
	s_or_b64 exec, exec, s[56:57]
	v_xad_u32 v14, v15, -1, s67
	v_add_u32_e32 v4, 64, v14
	v_lshl_add_u64 v[16:17], v[4:5], 4, s[64:65]
	;;#ASMSTART
	global_load_dwordx4 v[6:9], v[16:17] off sc1	
s_waitcnt vmcnt(0)
	;;#ASMEND
	s_nop 0
	v_cmp_eq_u16_sdwa s[58:59], v8, v5 src0_sel:BYTE_0 src1_sel:DWORD
	s_and_saveexec_b64 s[56:57], s[58:59]
	s_cbranch_execz .LBB1799_180
; %bb.175:
	s_mov_b32 s61, 1
	s_mov_b64 s[58:59], 0
	v_mov_b32_e32 v3, 0
.LBB1799_176:                           ; =>This Loop Header: Depth=1
                                        ;     Child Loop BB1799_177 Depth 2
	s_max_u32 s68, s61, 1
.LBB1799_177:                           ;   Parent Loop BB1799_176 Depth=1
                                        ; =>  This Inner Loop Header: Depth=2
	s_add_i32 s68, s68, -1
	s_cmp_eq_u32 s68, 0
	s_sleep 1
	s_cbranch_scc0 .LBB1799_177
; %bb.178:                              ;   in Loop: Header=BB1799_176 Depth=1
	s_cmp_lt_u32 s61, 32
	s_cselect_b64 s[68:69], -1, 0
	s_cmp_lg_u64 s[68:69], 0
	s_addc_u32 s61, s61, 0
	;;#ASMSTART
	global_load_dwordx4 v[6:9], v[16:17] off sc1	
s_waitcnt vmcnt(0)
	;;#ASMEND
	s_nop 0
	v_cmp_ne_u16_sdwa s[68:69], v8, v3 src0_sel:BYTE_0 src1_sel:DWORD
	s_or_b64 s[58:59], s[68:69], s[58:59]
	s_andn2_b64 exec, exec, s[58:59]
	s_cbranch_execnz .LBB1799_176
; %bb.179:
	s_or_b64 exec, exec, s[58:59]
.LBB1799_180:
	s_or_b64 exec, exec, s[56:57]
	v_mov_b32_e32 v3, 2
	v_cmp_eq_u16_sdwa s[56:57], v8, v3 src0_sel:BYTE_0 src1_sel:DWORD
	v_lshlrev_b64 v[4:5], v15, -1
	v_and_b32_e32 v16, 0xff, v7
	v_and_b32_e32 v3, s57, v5
	v_or_b32_e32 v3, 0x80000000, v3
	v_ffbl_b32_e32 v26, v3
	v_and_b32_e32 v3, 63, v15
	v_cmp_ne_u32_e32 vcc, 63, v3
	v_and_b32_e32 v9, s56, v4
	v_add_u32_e32 v26, 32, v26
	v_addc_co_u32_e32 v17, vcc, 0, v15, vcc
	v_lshlrev_b32_e32 v24, 2, v17
	ds_bpermute_b32 v25, v24, v6
	ds_bpermute_b32 v17, v24, v16
	v_ffbl_b32_e32 v9, v9
	v_min_u32_e32 v9, v9, v26
	v_cmp_lt_u32_e32 vcc, v3, v9
	s_and_saveexec_b64 s[56:57], vcc
	s_cbranch_execz .LBB1799_182
; %bb.181:
	v_mov_b32_e32 v16, 0
	s_waitcnt lgkmcnt(0)
	v_add_f32_e32 v25, v6, v25
	v_cmp_eq_u16_sdwa vcc, v7, v16 src0_sel:BYTE_0 src1_sel:DWORD
	v_and_b32_e32 v7, 1, v7
	v_and_b32_e32 v16, 1, v17
	v_cndmask_b32_e32 v6, v6, v25, vcc
	v_cmp_eq_u32_e32 vcc, 1, v7
	s_nop 1
	v_cndmask_b32_e64 v7, v16, 1, vcc
	v_and_b32_e32 v16, 0xffff, v7
.LBB1799_182:
	s_or_b64 exec, exec, s[56:57]
	v_cmp_gt_u32_e32 vcc, 62, v3
	v_add_u32_e32 v26, 2, v3
	s_waitcnt lgkmcnt(0)
	v_cndmask_b32_e64 v17, 0, 1, vcc
	v_lshlrev_b32_e32 v17, 1, v17
	v_add_lshl_u32 v25, v17, v15, 2
	ds_bpermute_b32 v27, v25, v6
	ds_bpermute_b32 v17, v25, v16
	v_cmp_le_u32_e32 vcc, v26, v9
	s_and_saveexec_b64 s[56:57], vcc
	s_cbranch_execz .LBB1799_184
; %bb.183:
	v_mov_b32_e32 v16, 0
	s_waitcnt lgkmcnt(0)
	v_add_f32_e32 v27, v6, v27
	v_cmp_eq_u16_sdwa vcc, v7, v16 src0_sel:BYTE_0 src1_sel:DWORD
	v_and_b32_e32 v7, 1, v7
	v_and_b32_e32 v16, 1, v17
	v_cndmask_b32_e32 v6, v6, v27, vcc
	v_cmp_eq_u32_e32 vcc, 1, v7
	s_nop 1
	v_cndmask_b32_e64 v7, v16, 1, vcc
	v_and_b32_e32 v16, 0xffff, v7
.LBB1799_184:
	s_or_b64 exec, exec, s[56:57]
	v_cmp_gt_u32_e32 vcc, 60, v3
	v_add_u32_e32 v28, 4, v3
	s_waitcnt lgkmcnt(0)
	v_cndmask_b32_e64 v17, 0, 1, vcc
	v_lshlrev_b32_e32 v17, 2, v17
	v_add_lshl_u32 v27, v17, v15, 2
	ds_bpermute_b32 v29, v27, v6
	ds_bpermute_b32 v17, v27, v16
	v_cmp_le_u32_e32 vcc, v28, v9
	;; [unrolled: 25-line block ×3, first 2 shown]
	s_and_saveexec_b64 s[56:57], vcc
	s_cbranch_execz .LBB1799_188
; %bb.187:
	v_mov_b32_e32 v16, 0
	s_waitcnt lgkmcnt(0)
	v_add_f32_e32 v74, v6, v74
	v_cmp_eq_u16_sdwa vcc, v7, v16 src0_sel:BYTE_0 src1_sel:DWORD
	v_and_b32_e32 v7, 1, v7
	v_and_b32_e32 v16, 1, v17
	v_cndmask_b32_e32 v6, v6, v74, vcc
	v_cmp_eq_u32_e32 vcc, 1, v7
	s_nop 1
	v_cndmask_b32_e64 v7, v16, 1, vcc
	v_and_b32_e32 v16, 0xffff, v7
.LBB1799_188:
	s_or_b64 exec, exec, s[56:57]
	v_cmp_gt_u32_e32 vcc, 48, v3
	s_waitcnt vmcnt(0)
	v_add_u32_e32 v75, 16, v3
	s_waitcnt lgkmcnt(0)
	v_cndmask_b32_e64 v17, 0, 1, vcc
	v_lshlrev_b32_e32 v17, 4, v17
	v_add_lshl_u32 v74, v17, v15, 2
	ds_bpermute_b32 v76, v74, v6
	ds_bpermute_b32 v17, v74, v16
	v_cmp_le_u32_e32 vcc, v75, v9
	s_and_saveexec_b64 s[56:57], vcc
	s_cbranch_execz .LBB1799_190
; %bb.189:
	v_mov_b32_e32 v16, 0
	s_waitcnt lgkmcnt(1)
	v_add_f32_e32 v76, v6, v76
	v_cmp_eq_u16_sdwa vcc, v7, v16 src0_sel:BYTE_0 src1_sel:DWORD
	v_and_b32_e32 v7, 1, v7
	s_waitcnt lgkmcnt(0)
	v_and_b32_e32 v16, 1, v17
	v_cndmask_b32_e32 v6, v6, v76, vcc
	v_cmp_eq_u32_e32 vcc, 1, v7
	s_nop 1
	v_cndmask_b32_e64 v7, v16, 1, vcc
	v_and_b32_e32 v16, 0xffff, v7
.LBB1799_190:
	s_or_b64 exec, exec, s[56:57]
	v_cmp_gt_u32_e32 vcc, 32, v3
	v_add_u32_e32 v79, 32, v3
	s_waitcnt lgkmcnt(0)
	v_cndmask_b32_e64 v17, 0, 1, vcc
	v_lshlrev_b32_e32 v17, 5, v17
	v_add_lshl_u32 v77, v17, v15, 2
	ds_bpermute_b32 v17, v77, v6
	ds_bpermute_b32 v15, v77, v16
	v_cmp_le_u32_e32 vcc, v79, v9
	s_and_saveexec_b64 s[56:57], vcc
	s_cbranch_execz .LBB1799_192
; %bb.191:
	v_mov_b32_e32 v9, 0
	s_waitcnt lgkmcnt(1)
	v_add_f32_e32 v16, v6, v17
	v_cmp_eq_u16_sdwa vcc, v7, v9 src0_sel:BYTE_0 src1_sel:DWORD
	v_and_b32_e32 v7, 1, v7
	s_waitcnt lgkmcnt(0)
	v_and_b32_e32 v9, 1, v15
	v_cndmask_b32_e32 v6, v6, v16, vcc
	v_cmp_eq_u32_e32 vcc, 1, v7
	s_nop 1
	v_cndmask_b32_e64 v7, v9, 1, vcc
.LBB1799_192:
	s_or_b64 exec, exec, s[56:57]
	s_waitcnt lgkmcnt(0)
	v_mov_b32_e32 v15, 0
	v_mov_b32_e32 v80, 2
	s_branch .LBB1799_194
.LBB1799_193:                           ;   in Loop: Header=BB1799_194 Depth=1
	s_or_b64 exec, exec, s[56:57]
	s_waitcnt lgkmcnt(0)
	ds_bpermute_b32 v17, v77, v6
	ds_bpermute_b32 v16, v77, v16
	v_and_b32_e32 v81, 1, v7
	v_cmp_eq_u16_sdwa vcc, v7, v15 src0_sel:BYTE_0 src1_sel:DWORD
	v_subrev_u32_e32 v14, 64, v14
	s_waitcnt lgkmcnt(1)
	v_add_f32_e32 v17, v6, v17
	v_cndmask_b32_e32 v17, v6, v17, vcc
	v_cmp_eq_u32_e32 vcc, 1, v81
	s_waitcnt lgkmcnt(0)
	s_nop 0
	v_cndmask_b32_e64 v16, v16, 1, vcc
	v_cmp_gt_u32_e32 vcc, v79, v9
	v_and_b32_e32 v9, 1, v76
	s_nop 0
	v_cndmask_b32_e32 v6, v17, v6, vcc
	v_cndmask_b32_e32 v7, v16, v7, vcc
	v_add_f32_e32 v6, v78, v6
	v_cmp_eq_u16_sdwa vcc, v76, v15 src0_sel:BYTE_0 src1_sel:DWORD
	v_and_b32_e32 v7, 1, v7
	s_nop 0
	v_cndmask_b32_e32 v6, v78, v6, vcc
	v_cmp_eq_u32_e32 vcc, 1, v9
	s_nop 1
	v_cndmask_b32_e64 v7, v7, 1, vcc
.LBB1799_194:                           ; =>This Loop Header: Depth=1
                                        ;     Child Loop BB1799_197 Depth 2
                                        ;       Child Loop BB1799_198 Depth 3
	v_cmp_ne_u16_sdwa s[56:57], v8, v80 src0_sel:BYTE_0 src1_sel:DWORD
	v_mov_b32_e32 v76, v7
	v_mov_b32_e32 v78, v6
	v_cndmask_b32_e64 v7, 0, 1, s[56:57]
	;;#ASMSTART
	;;#ASMEND
	s_nop 0
	v_cmp_ne_u32_e32 vcc, 0, v7
	s_cmp_lg_u64 vcc, exec
	s_cbranch_scc1 .LBB1799_211
; %bb.195:                              ;   in Loop: Header=BB1799_194 Depth=1
	v_lshl_add_u64 v[16:17], v[14:15], 4, s[64:65]
	;;#ASMSTART
	global_load_dwordx4 v[6:9], v[16:17] off sc1	
s_waitcnt vmcnt(0)
	;;#ASMEND
	s_nop 0
	v_cmp_eq_u16_sdwa s[58:59], v8, v15 src0_sel:BYTE_0 src1_sel:DWORD
	s_and_saveexec_b64 s[56:57], s[58:59]
	s_cbranch_execz .LBB1799_201
; %bb.196:                              ;   in Loop: Header=BB1799_194 Depth=1
	s_mov_b32 s61, 1
	s_mov_b64 s[58:59], 0
.LBB1799_197:                           ;   Parent Loop BB1799_194 Depth=1
                                        ; =>  This Loop Header: Depth=2
                                        ;       Child Loop BB1799_198 Depth 3
	s_max_u32 s68, s61, 1
.LBB1799_198:                           ;   Parent Loop BB1799_194 Depth=1
                                        ;     Parent Loop BB1799_197 Depth=2
                                        ; =>    This Inner Loop Header: Depth=3
	s_add_i32 s68, s68, -1
	s_cmp_eq_u32 s68, 0
	s_sleep 1
	s_cbranch_scc0 .LBB1799_198
; %bb.199:                              ;   in Loop: Header=BB1799_197 Depth=2
	s_cmp_lt_u32 s61, 32
	s_cselect_b64 s[68:69], -1, 0
	s_cmp_lg_u64 s[68:69], 0
	s_addc_u32 s61, s61, 0
	;;#ASMSTART
	global_load_dwordx4 v[6:9], v[16:17] off sc1	
s_waitcnt vmcnt(0)
	;;#ASMEND
	s_nop 0
	v_cmp_ne_u16_sdwa s[68:69], v8, v15 src0_sel:BYTE_0 src1_sel:DWORD
	s_or_b64 s[58:59], s[68:69], s[58:59]
	s_andn2_b64 exec, exec, s[58:59]
	s_cbranch_execnz .LBB1799_197
; %bb.200:                              ;   in Loop: Header=BB1799_194 Depth=1
	s_or_b64 exec, exec, s[58:59]
.LBB1799_201:                           ;   in Loop: Header=BB1799_194 Depth=1
	s_or_b64 exec, exec, s[56:57]
	v_cmp_eq_u16_sdwa s[56:57], v8, v80 src0_sel:BYTE_0 src1_sel:DWORD
	v_and_b32_e32 v16, 0xff, v7
	ds_bpermute_b32 v81, v24, v6
	v_and_b32_e32 v9, s57, v5
	v_or_b32_e32 v9, 0x80000000, v9
	ds_bpermute_b32 v17, v24, v16
	v_and_b32_e32 v82, s56, v4
	v_ffbl_b32_e32 v9, v9
	v_add_u32_e32 v9, 32, v9
	v_ffbl_b32_e32 v82, v82
	v_min_u32_e32 v9, v82, v9
	v_cmp_lt_u32_e32 vcc, v3, v9
	s_and_saveexec_b64 s[56:57], vcc
	s_cbranch_execz .LBB1799_203
; %bb.202:                              ;   in Loop: Header=BB1799_194 Depth=1
	s_waitcnt lgkmcnt(1)
	v_add_f32_e32 v16, v6, v81
	v_cmp_eq_u16_sdwa vcc, v7, v15 src0_sel:BYTE_0 src1_sel:DWORD
	v_and_b32_e32 v7, 1, v7
	s_nop 0
	v_cndmask_b32_e32 v6, v6, v16, vcc
	s_waitcnt lgkmcnt(0)
	v_and_b32_e32 v16, 1, v17
	v_cmp_eq_u32_e32 vcc, 1, v7
	s_nop 1
	v_cndmask_b32_e64 v7, v16, 1, vcc
	v_and_b32_e32 v16, 0xffff, v7
.LBB1799_203:                           ;   in Loop: Header=BB1799_194 Depth=1
	s_or_b64 exec, exec, s[56:57]
	s_waitcnt lgkmcnt(1)
	ds_bpermute_b32 v81, v25, v6
	s_waitcnt lgkmcnt(1)
	ds_bpermute_b32 v17, v25, v16
	v_cmp_le_u32_e32 vcc, v26, v9
	s_and_saveexec_b64 s[56:57], vcc
	s_cbranch_execz .LBB1799_205
; %bb.204:                              ;   in Loop: Header=BB1799_194 Depth=1
	s_waitcnt lgkmcnt(1)
	v_add_f32_e32 v16, v6, v81
	v_cmp_eq_u16_sdwa vcc, v7, v15 src0_sel:BYTE_0 src1_sel:DWORD
	v_and_b32_e32 v7, 1, v7
	s_nop 0
	v_cndmask_b32_e32 v6, v6, v16, vcc
	s_waitcnt lgkmcnt(0)
	v_and_b32_e32 v16, 1, v17
	v_cmp_eq_u32_e32 vcc, 1, v7
	s_nop 1
	v_cndmask_b32_e64 v7, v16, 1, vcc
	v_and_b32_e32 v16, 0xffff, v7
.LBB1799_205:                           ;   in Loop: Header=BB1799_194 Depth=1
	s_or_b64 exec, exec, s[56:57]
	s_waitcnt lgkmcnt(1)
	ds_bpermute_b32 v81, v27, v6
	s_waitcnt lgkmcnt(1)
	ds_bpermute_b32 v17, v27, v16
	v_cmp_le_u32_e32 vcc, v28, v9
	;; [unrolled: 22-line block ×4, first 2 shown]
	s_and_saveexec_b64 s[56:57], vcc
	s_cbranch_execz .LBB1799_193
; %bb.210:                              ;   in Loop: Header=BB1799_194 Depth=1
	s_waitcnt lgkmcnt(1)
	v_add_f32_e32 v16, v6, v81
	v_cmp_eq_u16_sdwa vcc, v7, v15 src0_sel:BYTE_0 src1_sel:DWORD
	v_and_b32_e32 v7, 1, v7
	s_nop 0
	v_cndmask_b32_e32 v6, v6, v16, vcc
	s_waitcnt lgkmcnt(0)
	v_and_b32_e32 v16, 1, v17
	v_cmp_eq_u32_e32 vcc, 1, v7
	s_nop 1
	v_cndmask_b32_e64 v7, v16, 1, vcc
	v_and_b32_e32 v16, 0xffff, v7
	s_branch .LBB1799_193
.LBB1799_211:                           ;   in Loop: Header=BB1799_194 Depth=1
                                        ; implicit-def: $vgpr7
	s_cbranch_execz .LBB1799_194
; %bb.212:
	s_and_saveexec_b64 s[56:57], s[50:51]
	s_cbranch_execz .LBB1799_214
; %bb.213:
	s_and_b32 s50, s60, 0xff
	s_cmp_eq_u32 s50, 0
	s_cselect_b64 vcc, -1, 0
	s_bitcmp1_b32 s60, 0
	s_mov_b32 s51, 0
	s_cselect_b64 s[58:59], -1, 0
	s_add_i32 s50, s67, 64
	s_lshl_b64 s[50:51], s[50:51], 4
	v_add_f32_e32 v3, v78, v2
	s_add_u32 s50, s64, s50
	v_cndmask_b32_e32 v2, v2, v3, vcc
	v_and_b32_e32 v3, 1, v76
	s_addc_u32 s51, s65, s51
	v_cndmask_b32_e64 v3, v3, 1, s[58:59]
	v_mov_b32_e32 v4, 2
	v_mov_b32_e32 v5, 0
	v_mov_b64_e32 v[6:7], s[50:51]
	;;#ASMSTART
	global_store_dwordx4 v[6:7], v[2:5] off sc1	
s_waitcnt vmcnt(0)
	;;#ASMEND
.LBB1799_214:
	s_or_b64 exec, exec, s[56:57]
	s_and_b64 exec, exec, s[52:53]
	s_cbranch_execz .LBB1799_216
; %bb.215:
	v_mov_b32_e32 v2, 0
	ds_write_b32 v2, v78
	ds_write_b8 v2, v76 offset:4
.LBB1799_216:
	s_or_b64 exec, exec, s[0:1]
	v_mov_b32_e32 v2, 0
	s_waitcnt lgkmcnt(0)
	s_barrier
	ds_read_b32 v3, v2
	v_cmp_eq_u32_e32 vcc, 0, v23
	s_waitcnt lgkmcnt(0)
	v_add_f32_e32 v4, v22, v3
	v_cndmask_b32_e32 v4, v22, v4, vcc
	v_cndmask_b32_e64 v31, v4, v3, s[52:53]
	v_add_f32_e32 v3, v50, v31
	v_cmp_eq_u16_sdwa vcc, v1, v2 src0_sel:BYTE_0 src1_sel:DWORD
	s_nop 1
	v_cndmask_b32_e32 v74, v50, v3, vcc
	v_add_f32_e32 v2, v48, v74
	s_waitcnt vmcnt(0)
	v_cndmask_b32_e64 v75, v48, v2, s[6:7]
	v_add_f32_e32 v2, v49, v75
	v_cndmask_b32_e64 v76, v49, v2, s[8:9]
	v_add_f32_e32 v2, v46, v76
	;; [unrolled: 2-line block ×20, first 2 shown]
	v_cndmask_b32_e64 v95, v30, v2, s[48:49]
	s_branch .LBB1799_239
.LBB1799_217:
                                        ; implicit-def: $vgpr94
                                        ; implicit-def: $vgpr93
                                        ; implicit-def: $vgpr92
                                        ; implicit-def: $vgpr91
                                        ; implicit-def: $vgpr90
                                        ; implicit-def: $vgpr89
                                        ; implicit-def: $vgpr88
                                        ; implicit-def: $vgpr87
                                        ; implicit-def: $vgpr86
                                        ; implicit-def: $vgpr85
                                        ; implicit-def: $vgpr84
                                        ; implicit-def: $vgpr83
                                        ; implicit-def: $vgpr82
                                        ; implicit-def: $vgpr81
                                        ; implicit-def: $vgpr80
                                        ; implicit-def: $vgpr79
                                        ; implicit-def: $vgpr78
                                        ; implicit-def: $vgpr77
                                        ; implicit-def: $vgpr76
                                        ; implicit-def: $vgpr75
                                        ; implicit-def: $vgpr74
                                        ; implicit-def: $vgpr31
                                        ; implicit-def: $vgpr95
	s_cbranch_execz .LBB1799_239
; %bb.218:
	s_cmp_lg_u64 s[72:73], 0
	s_cselect_b32 s1, s71, 0
	s_cselect_b32 s0, s70, 0
	s_cmp_eq_u64 s[0:1], 0
	v_mov_b32_e32 v4, s74
	s_cbranch_scc1 .LBB1799_220
; %bb.219:
	v_mov_b32_e32 v2, 0
	global_load_dword v4, v2, s[0:1]
.LBB1799_220:
	v_mov_b32_e32 v9, 0
	v_cmp_eq_u16_sdwa vcc, v51, v9 src0_sel:BYTE_0 src1_sel:DWORD
	v_cmp_eq_u16_sdwa s[6:7], v52, v9 src0_sel:BYTE_0 src1_sel:DWORD
	v_cmp_eq_u16_sdwa s[8:9], v53, v9 src0_sel:BYTE_0 src1_sel:DWORD
	v_cndmask_b32_e32 v2, v48, v21, vcc
	v_add_f32_e32 v2, v49, v2
	v_cndmask_b32_e64 v2, v49, v2, s[6:7]
	v_add_f32_e32 v2, v46, v2
	v_cndmask_b32_e64 v2, v46, v2, s[8:9]
	v_add_f32_e32 v2, v47, v2
	v_cmp_eq_u16_sdwa s[10:11], v55, v9 src0_sel:BYTE_0 src1_sel:DWORD
	v_cmp_eq_u16_sdwa s[12:13], v56, v9 src0_sel:BYTE_0 src1_sel:DWORD
	v_cmp_eq_u16_sdwa s[14:15], v57, v9 src0_sel:BYTE_0 src1_sel:DWORD
	v_cndmask_b32_e64 v2, v47, v2, s[10:11]
	v_add_f32_e32 v2, v44, v2
	v_cndmask_b32_e64 v2, v44, v2, s[12:13]
	v_add_f32_e32 v2, v45, v2
	v_cndmask_b32_e64 v2, v45, v2, s[14:15]
	v_add_f32_e32 v2, v42, v2
	v_cmp_eq_u16_sdwa s[18:19], v58, v9 src0_sel:BYTE_0 src1_sel:DWORD
	v_cmp_eq_u16_sdwa s[20:21], v59, v9 src0_sel:BYTE_0 src1_sel:DWORD
	v_cmp_eq_u16_sdwa s[22:23], v61, v9 src0_sel:BYTE_0 src1_sel:DWORD
	v_cndmask_b32_e64 v2, v42, v2, s[18:19]
	;; [unrolled: 9-line block ×6, first 2 shown]
	v_add_f32_e32 v2, v62, v2
	v_cndmask_b32_e64 v2, v62, v2, s[46:47]
	v_add_f32_e32 v2, v30, v2
	v_cndmask_b32_e64 v2, v30, v2, s[16:17]
	v_add_f32_e32 v2, v18, v2
	v_cmp_eq_u16_sdwa s[0:1], v13, v9 src0_sel:BYTE_0 src1_sel:DWORD
	v_and_b32_e32 v3, 0xff, v1
	s_nop 0
	v_cndmask_b32_e64 v6, v18, v2, s[0:1]
	v_or_b32_e32 v2, v20, v72
	v_or_b32_e32 v2, v2, v71
	;; [unrolled: 1-line block ×19, first 2 shown]
	v_and_b32_e32 v2, 1, v2
	v_cmp_eq_u32_e64 s[0:1], 1, v2
	v_add_lshl_u32 v2, v19, v0, 3
	s_nop 0
	v_cndmask_b32_e64 v7, v3, 1, s[0:1]
	v_cmp_gt_u32_e64 s[0:1], 64, v0
	ds_write_b32 v2, v6
	ds_write_b8 v2, v7 offset:4
	s_waitcnt lgkmcnt(0)
	s_barrier
	s_and_saveexec_b64 s[48:49], s[0:1]
	s_cbranch_execz .LBB1799_234
; %bb.221:
	v_lshrrev_b32_e32 v2, 3, v0
	v_add_lshl_u32 v5, v2, v12, 3
	ds_read2_b32 v[14:15], v5 offset0:2 offset1:4
	ds_read_b64 v[2:3], v5
	ds_read_u8 v13, v5 offset:12
	ds_read_u8 v16, v5 offset:20
	ds_read_b32 v18, v5 offset:24
	ds_read_u8 v19, v5 offset:28
	s_waitcnt lgkmcnt(0)
	v_add_f32_e32 v8, v2, v14
	v_cmp_eq_u16_sdwa s[0:1], v13, v9 src0_sel:BYTE_0 src1_sel:DWORD
	v_and_b32_e32 v17, 0xffffff00, v3
	s_nop 0
	v_cndmask_b32_e64 v14, v14, v8, s[0:1]
	v_add_f32_e32 v14, v15, v14
	v_cmp_eq_u16_sdwa s[0:1], v16, v9 src0_sel:BYTE_0 src1_sel:DWORD
	v_and_b32_e32 v8, 1, v3
	s_nop 0
	v_cndmask_b32_e64 v9, v15, v14, s[0:1]
	v_or_b32_e32 v14, v19, v16
	v_or_b32_e32 v13, v14, v13
	v_add_f32_e32 v9, v18, v9
	v_cmp_eq_u16_e64 s[0:1], 0, v19
	v_and_b32_e32 v13, 1, v13
	s_nop 0
	v_cndmask_b32_e64 v9, v18, v9, s[0:1]
	v_cmp_eq_u32_e64 s[0:1], 1, v13
	v_mbcnt_lo_u32_b32 v13, -1, 0
	v_mbcnt_hi_u32_b32 v13, -1, v13
	v_cndmask_b32_e64 v15, v8, 1, s[0:1]
	v_or_b32_e32 v14, v15, v17
	v_and_b32_e32 v16, 15, v13
	v_mov_b32_dpp v19, v9 row_shr:1 row_mask:0xf bank_mask:0xf
	v_mov_b32_dpp v18, v14 row_shr:1 row_mask:0xf bank_mask:0xf
	v_cmp_ne_u32_e64 s[0:1], 0, v16
	s_and_saveexec_b64 s[50:51], s[0:1]
; %bb.222:
	v_add_f32_e32 v14, v9, v19
	v_cmp_eq_u32_e64 s[0:1], 0, v15
	s_nop 1
	v_cndmask_b32_e64 v9, v9, v14, s[0:1]
	v_and_b32_e32 v14, 1, v15
	v_and_b32_e32 v15, 1, v18
	v_cmp_eq_u32_e64 s[0:1], 1, v14
	s_nop 1
	v_cndmask_b32_e64 v15, v15, 1, s[0:1]
	v_or_b32_e32 v14, v15, v17
; %bb.223:
	s_or_b64 exec, exec, s[50:51]
	v_mov_b32_dpp v18, v9 row_shr:2 row_mask:0xf bank_mask:0xf
	v_mov_b32_dpp v17, v14 row_shr:2 row_mask:0xf bank_mask:0xf
	v_cmp_lt_u32_e64 s[0:1], 1, v16
	s_and_saveexec_b64 s[50:51], s[0:1]
; %bb.224:
	v_add_f32_e32 v18, v9, v18
	v_cmp_eq_u32_e64 s[0:1], 0, v15
	v_and_b32_e32 v15, 1, v15
	v_and_b32_e32 v17, 1, v17
	v_cndmask_b32_e64 v9, v9, v18, s[0:1]
	v_cmp_eq_u32_e64 s[0:1], 1, v15
	s_nop 1
	v_cndmask_b32_e64 v15, v17, 1, s[0:1]
	s_movk_i32 s0, 0xff00
	v_and_or_b32 v14, v14, s0, v15
; %bb.225:
	s_or_b64 exec, exec, s[50:51]
	v_mov_b32_dpp v18, v9 row_shr:4 row_mask:0xf bank_mask:0xf
	v_mov_b32_dpp v17, v14 row_shr:4 row_mask:0xf bank_mask:0xf
	v_cmp_lt_u32_e64 s[0:1], 3, v16
	s_and_saveexec_b64 s[50:51], s[0:1]
; %bb.226:
	v_add_f32_e32 v18, v9, v18
	v_cmp_eq_u32_e64 s[0:1], 0, v15
	v_and_b32_e32 v15, 1, v15
	v_and_b32_e32 v17, 1, v17
	v_cndmask_b32_e64 v9, v9, v18, s[0:1]
	v_cmp_eq_u32_e64 s[0:1], 1, v15
	s_nop 1
	v_cndmask_b32_e64 v15, v17, 1, s[0:1]
	s_movk_i32 s0, 0xff00
	v_and_or_b32 v14, v14, s0, v15
; %bb.227:
	s_or_b64 exec, exec, s[50:51]
	v_mov_b32_dpp v18, v9 row_shr:8 row_mask:0xf bank_mask:0xf
	v_mov_b32_dpp v17, v14 row_shr:8 row_mask:0xf bank_mask:0xf
	v_cmp_lt_u32_e64 s[0:1], 7, v16
	s_and_saveexec_b64 s[50:51], s[0:1]
; %bb.228:
	v_add_f32_e32 v16, v9, v18
	v_cmp_eq_u32_e64 s[0:1], 0, v15
	v_and_b32_e32 v15, 1, v15
	s_nop 0
	v_cndmask_b32_e64 v9, v9, v16, s[0:1]
	v_and_b32_e32 v16, 1, v17
	v_cmp_eq_u32_e64 s[0:1], 1, v15
	s_nop 1
	v_cndmask_b32_e64 v15, v16, 1, s[0:1]
	s_movk_i32 s0, 0xff00
	v_and_or_b32 v14, v14, s0, v15
; %bb.229:
	s_or_b64 exec, exec, s[50:51]
	v_and_b32_e32 v18, 16, v13
	v_mov_b32_dpp v17, v9 row_bcast:15 row_mask:0xf bank_mask:0xf
	v_mov_b32_dpp v16, v14 row_bcast:15 row_mask:0xf bank_mask:0xf
	v_cmp_ne_u32_e64 s[0:1], 0, v18
	s_and_saveexec_b64 s[50:51], s[0:1]
; %bb.230:
	v_add_f32_e32 v17, v9, v17
	v_cmp_eq_u32_e64 s[0:1], 0, v15
	v_and_b32_e32 v15, 1, v15
	v_and_b32_e32 v16, 1, v16
	v_cndmask_b32_e64 v9, v9, v17, s[0:1]
	v_cmp_eq_u32_e64 s[0:1], 1, v15
	s_nop 1
	v_cndmask_b32_e64 v15, v16, 1, s[0:1]
	s_movk_i32 s0, 0xff00
	v_and_or_b32 v14, v14, s0, v15
; %bb.231:
	s_or_b64 exec, exec, s[50:51]
	v_mov_b32_dpp v17, v9 row_bcast:31 row_mask:0xf bank_mask:0xf
	v_mov_b32_dpp v16, v14 row_bcast:31 row_mask:0xf bank_mask:0xf
	v_cmp_lt_u32_e64 s[0:1], 31, v13
	s_and_saveexec_b64 s[50:51], s[0:1]
; %bb.232:
	v_add_f32_e32 v17, v9, v17
	v_cmp_eq_u32_e64 s[0:1], 0, v15
	v_and_b32_e32 v15, 1, v15
	v_and_b32_e32 v16, 1, v16
	v_cndmask_b32_e64 v9, v9, v17, s[0:1]
	v_cmp_eq_u32_e64 s[0:1], 1, v15
	s_nop 1
	v_cndmask_b32_e64 v15, v16, 1, s[0:1]
	s_movk_i32 s0, 0xff00
	v_and_or_b32 v14, v14, s0, v15
; %bb.233:
	s_or_b64 exec, exec, s[50:51]
	v_add_u32_e32 v15, -1, v13
	v_and_b32_e32 v16, 64, v13
	v_cmp_lt_i32_e64 s[0:1], v15, v16
	; wave barrier
	s_nop 1
	v_cndmask_b32_e64 v13, v15, v13, s[0:1]
	v_lshlrev_b32_e32 v13, 2, v13
	ds_bpermute_b32 v9, v13, v9
	ds_bpermute_b32 v13, v13, v14
	v_mov_b32_e32 v14, 0
	v_cmp_eq_u32_sdwa s[0:1], v3, v14 src0_sel:BYTE_0 src1_sel:DWORD
	s_waitcnt lgkmcnt(0)
	v_add_f32_e32 v9, v2, v9
	v_cndmask_b32_e64 v2, v2, v9, s[0:1]
	v_and_b32_e32 v3, 1, v13
	v_cmp_eq_u32_e64 s[0:1], 1, v8
	v_cndmask_b32_e64 v6, v2, v6, s[52:53]
	s_nop 0
	v_cndmask_b32_e64 v3, v3, 1, s[0:1]
	v_cndmask_b32_e64 v7, v3, v7, s[52:53]
	ds_write_b32 v5, v6
	ds_write_b8 v5, v7 offset:4
	; wave barrier
	ds_read2_b32 v[2:3], v5 offset0:2 offset1:4
	ds_read_u8 v8, v5 offset:12
	ds_read_u8 v9, v5 offset:20
	ds_read_b32 v13, v5 offset:24
	ds_read_u8 v14, v5 offset:28
	s_waitcnt lgkmcnt(0)
	v_add_f32_e32 v6, v6, v2
	v_cmp_eq_u16_e64 s[0:1], 0, v8
	s_nop 1
	v_cndmask_b32_e64 v2, v2, v6, s[0:1]
	v_and_b32_e32 v6, 1, v8
	v_cmp_eq_u32_e64 s[0:1], 1, v6
	s_nop 1
	v_cndmask_b32_e64 v6, v7, 1, s[0:1]
	v_add_f32_e32 v7, v2, v3
	v_cmp_eq_u16_e64 s[0:1], 0, v9
	ds_write_b8 v5, v6 offset:12
	s_nop 0
	v_cndmask_b32_e64 v3, v3, v7, s[0:1]
	v_and_b32_e32 v7, 1, v9
	v_cmp_eq_u32_e64 s[0:1], 1, v7
	s_nop 1
	v_cndmask_b32_e64 v6, v6, 1, s[0:1]
	ds_write2_b32 v5, v2, v3 offset0:2 offset1:4
	ds_write_b8 v5, v6 offset:20
	v_add_f32_e32 v2, v3, v13
	v_cmp_eq_u16_e64 s[0:1], 0, v14
	v_and_b32_e32 v3, 1, v14
	s_nop 0
	v_cndmask_b32_e64 v2, v13, v2, s[0:1]
	v_cmp_eq_u32_e64 s[0:1], 1, v3
	s_nop 1
	v_cndmask_b32_e64 v3, v6, 1, s[0:1]
	ds_write_b32 v5, v2 offset:24
	ds_write_b8 v5, v3 offset:28
.LBB1799_234:
	s_or_b64 exec, exec, s[48:49]
	s_waitcnt vmcnt(0)
	v_mov_b32_e32 v31, v4
	s_waitcnt lgkmcnt(0)
	s_barrier
	s_and_saveexec_b64 s[48:49], s[4:5]
	s_cbranch_execz .LBB1799_236
; %bb.235:
	v_add_u32_e32 v2, -1, v0
	v_lshrrev_b32_e32 v3, 5, v2
	v_add_lshl_u32 v2, v3, v2, 3
	ds_read_b32 v3, v2
	ds_read_u8 v2, v2 offset:4
	s_waitcnt lgkmcnt(1)
	v_add_f32_e32 v5, v4, v3
	s_waitcnt lgkmcnt(0)
	v_cmp_eq_u16_e64 s[0:1], 0, v2
	s_nop 1
	v_cndmask_b32_e64 v31, v3, v5, s[0:1]
.LBB1799_236:
	s_or_b64 exec, exec, s[48:49]
	v_mov_b32_e32 v5, 0
	v_add_f32_e32 v2, v50, v31
	v_cmp_eq_u16_sdwa s[0:1], v1, v5 src0_sel:BYTE_0 src1_sel:DWORD
	s_nop 1
	v_cndmask_b32_e64 v74, v50, v2, s[0:1]
	v_add_f32_e32 v1, v48, v74
	v_cndmask_b32_e32 v75, v48, v1, vcc
	v_add_f32_e32 v1, v49, v75
	v_cndmask_b32_e64 v76, v49, v1, s[6:7]
	v_add_f32_e32 v1, v46, v76
	v_cndmask_b32_e64 v77, v46, v1, s[8:9]
	;; [unrolled: 2-line block ×19, first 2 shown]
	v_add_f32_e32 v1, v30, v94
	s_and_saveexec_b64 s[0:1], s[52:53]
	s_cbranch_execz .LBB1799_238
; %bb.237:
	ds_read_b32 v2, v5 offset:2096
	ds_read_u8 v3, v5 offset:2100
	s_add_u32 s4, s64, 0x400
	s_addc_u32 s5, s65, 0
	v_mov_b64_e32 v[6:7], s[4:5]
	s_waitcnt lgkmcnt(1)
	v_add_f32_e32 v4, v4, v2
	s_waitcnt lgkmcnt(0)
	v_cmp_eq_u16_e32 vcc, 0, v3
	v_and_b32_e32 v3, 0xffff, v3
	s_nop 0
	v_cndmask_b32_e32 v2, v2, v4, vcc
	v_mov_b32_e32 v4, 2
	;;#ASMSTART
	global_store_dwordx4 v[6:7], v[2:5] off sc1	
s_waitcnt vmcnt(0)
	;;#ASMEND
.LBB1799_238:
	s_or_b64 exec, exec, s[0:1]
	v_cndmask_b32_e64 v95, v30, v1, s[16:17]
.LBB1799_239:
	s_add_u32 s0, s62, s54
	s_addc_u32 s1, s63, s55
	v_lshl_add_u64 v[2:3], s[0:1], 0, v[10:11]
	s_and_b64 vcc, exec, s[2:3]
	s_cbranch_vccz .LBB1799_285
; %bb.240:
	s_movk_i32 s0, 0x5c
	v_mul_i32_i24_e32 v30, 0xffffffa8, v0
	v_mul_u32_u24_e32 v1, 0x5c, v0
	v_mad_u32_u24 v4, v0, s0, v30
	s_barrier
	ds_write2_b32 v1, v31, v74 offset1:1
	s_waitcnt vmcnt(0)
	ds_write2_b32 v1, v75, v76 offset0:2 offset1:3
	ds_write2_b32 v1, v77, v78 offset0:4 offset1:5
	;; [unrolled: 1-line block ×10, first 2 shown]
	ds_write_b32 v1, v95 offset:88
	s_waitcnt lgkmcnt(0)
	s_barrier
	ds_read2st64_b32 v[28:29], v4 offset0:4 offset1:8
	ds_read2st64_b32 v[26:27], v4 offset0:12 offset1:16
	;; [unrolled: 1-line block ×11, first 2 shown]
	s_add_i32 s33, s33, s66
	v_mov_b32_e32 v13, 0
	v_lshl_add_u64 v[6:7], v[2:3], 0, v[12:13]
	v_cmp_gt_u32_e32 vcc, s33, v0
	s_and_saveexec_b64 s[0:1], vcc
	s_cbranch_execz .LBB1799_242
; %bb.241:
	v_add_u32_e32 v1, v1, v30
	ds_read_b32 v1, v1
	s_waitcnt lgkmcnt(0)
	v_cvt_i32_f32_e32 v1, v1
	flat_store_dword v[6:7], v1
.LBB1799_242:
	s_or_b64 exec, exec, s[0:1]
	v_or_b32_e32 v1, 0x100, v0
	v_cmp_gt_u32_e32 vcc, s33, v1
	s_and_saveexec_b64 s[0:1], vcc
	s_cbranch_execz .LBB1799_244
; %bb.243:
	s_waitcnt lgkmcnt(0)
	v_cvt_i32_f32_e32 v1, v28
	flat_store_dword v[6:7], v1 offset:1024
.LBB1799_244:
	s_or_b64 exec, exec, s[0:1]
	v_or_b32_e32 v1, 0x200, v0
	v_cmp_gt_u32_e32 vcc, s33, v1
	s_and_saveexec_b64 s[0:1], vcc
	s_cbranch_execz .LBB1799_246
; %bb.245:
	s_waitcnt lgkmcnt(0)
	v_cvt_i32_f32_e32 v1, v29
	flat_store_dword v[6:7], v1 offset:2048
.LBB1799_246:
	s_or_b64 exec, exec, s[0:1]
	v_or_b32_e32 v1, 0x300, v0
	v_cmp_gt_u32_e32 vcc, s33, v1
	s_and_saveexec_b64 s[0:1], vcc
	s_cbranch_execz .LBB1799_248
; %bb.247:
	s_waitcnt lgkmcnt(0)
	v_cvt_i32_f32_e32 v1, v26
	flat_store_dword v[6:7], v1 offset:3072
.LBB1799_248:
	s_or_b64 exec, exec, s[0:1]
	v_or_b32_e32 v1, 0x400, v0
	v_cmp_gt_u32_e32 vcc, s33, v1
	s_and_saveexec_b64 s[0:1], vcc
	s_cbranch_execz .LBB1799_250
; %bb.249:
	s_waitcnt lgkmcnt(0)
	v_cvt_i32_f32_e32 v1, v27
	v_add_co_u32_e32 v26, vcc, 0x1000, v6
	s_nop 1
	v_addc_co_u32_e32 v27, vcc, 0, v7, vcc
	flat_store_dword v[26:27], v1
.LBB1799_250:
	s_or_b64 exec, exec, s[0:1]
	v_or_b32_e32 v1, 0x500, v0
	v_cmp_gt_u32_e32 vcc, s33, v1
	s_and_saveexec_b64 s[0:1], vcc
	s_cbranch_execz .LBB1799_252
; %bb.251:
	s_waitcnt lgkmcnt(0)
	v_cvt_i32_f32_e32 v1, v24
	v_add_co_u32_e32 v26, vcc, 0x1000, v6
	s_nop 1
	v_addc_co_u32_e32 v27, vcc, 0, v7, vcc
	flat_store_dword v[26:27], v1 offset:1024
.LBB1799_252:
	s_or_b64 exec, exec, s[0:1]
	v_or_b32_e32 v1, 0x600, v0
	v_cmp_gt_u32_e32 vcc, s33, v1
	s_and_saveexec_b64 s[0:1], vcc
	s_cbranch_execz .LBB1799_254
; %bb.253:
	s_waitcnt lgkmcnt(0)
	v_cvt_i32_f32_e32 v1, v25
	v_add_co_u32_e32 v24, vcc, 0x1000, v6
	s_nop 1
	v_addc_co_u32_e32 v25, vcc, 0, v7, vcc
	flat_store_dword v[24:25], v1 offset:2048
.LBB1799_254:
	s_or_b64 exec, exec, s[0:1]
	v_or_b32_e32 v1, 0x700, v0
	v_cmp_gt_u32_e32 vcc, s33, v1
	s_and_saveexec_b64 s[0:1], vcc
	s_cbranch_execz .LBB1799_256
; %bb.255:
	s_waitcnt lgkmcnt(0)
	v_cvt_i32_f32_e32 v1, v22
	v_add_co_u32_e32 v24, vcc, 0x1000, v6
	s_nop 1
	v_addc_co_u32_e32 v25, vcc, 0, v7, vcc
	flat_store_dword v[24:25], v1 offset:3072
.LBB1799_256:
	s_or_b64 exec, exec, s[0:1]
	v_or_b32_e32 v1, 0x800, v0
	v_cmp_gt_u32_e32 vcc, s33, v1
	s_and_saveexec_b64 s[0:1], vcc
	s_cbranch_execz .LBB1799_258
; %bb.257:
	s_waitcnt lgkmcnt(0)
	v_cvt_i32_f32_e32 v1, v23
	v_add_co_u32_e32 v22, vcc, 0x2000, v6
	s_nop 1
	v_addc_co_u32_e32 v23, vcc, 0, v7, vcc
	flat_store_dword v[22:23], v1
.LBB1799_258:
	s_or_b64 exec, exec, s[0:1]
	v_or_b32_e32 v1, 0x900, v0
	v_cmp_gt_u32_e32 vcc, s33, v1
	s_and_saveexec_b64 s[0:1], vcc
	s_cbranch_execz .LBB1799_260
; %bb.259:
	s_waitcnt lgkmcnt(0)
	v_cvt_i32_f32_e32 v1, v20
	v_add_co_u32_e32 v22, vcc, 0x2000, v6
	s_nop 1
	v_addc_co_u32_e32 v23, vcc, 0, v7, vcc
	flat_store_dword v[22:23], v1 offset:1024
.LBB1799_260:
	s_or_b64 exec, exec, s[0:1]
	v_or_b32_e32 v1, 0xa00, v0
	v_cmp_gt_u32_e32 vcc, s33, v1
	s_and_saveexec_b64 s[0:1], vcc
	s_cbranch_execz .LBB1799_262
; %bb.261:
	s_waitcnt lgkmcnt(0)
	v_cvt_i32_f32_e32 v1, v21
	v_add_co_u32_e32 v20, vcc, 0x2000, v6
	s_nop 1
	v_addc_co_u32_e32 v21, vcc, 0, v7, vcc
	flat_store_dword v[20:21], v1 offset:2048
.LBB1799_262:
	s_or_b64 exec, exec, s[0:1]
	v_or_b32_e32 v1, 0xb00, v0
	v_cmp_gt_u32_e32 vcc, s33, v1
	s_and_saveexec_b64 s[0:1], vcc
	s_cbranch_execz .LBB1799_264
; %bb.263:
	s_waitcnt lgkmcnt(0)
	v_cvt_i32_f32_e32 v1, v18
	v_add_co_u32_e32 v20, vcc, 0x2000, v6
	s_nop 1
	v_addc_co_u32_e32 v21, vcc, 0, v7, vcc
	flat_store_dword v[20:21], v1 offset:3072
.LBB1799_264:
	;; [unrolled: 52-line block ×4, first 2 shown]
	s_or_b64 exec, exec, s[0:1]
	v_or_b32_e32 v1, 0x1400, v0
	v_cmp_gt_u32_e32 vcc, s33, v1
	s_and_saveexec_b64 s[0:1], vcc
	s_cbranch_execz .LBB1799_282
; %bb.281:
	s_waitcnt lgkmcnt(0)
	v_cvt_i32_f32_e32 v1, v9
	v_add_co_u32_e32 v8, vcc, 0x5000, v6
	s_nop 1
	v_addc_co_u32_e32 v9, vcc, 0, v7, vcc
	flat_store_dword v[8:9], v1
.LBB1799_282:
	s_or_b64 exec, exec, s[0:1]
	v_or_b32_e32 v1, 0x1500, v0
	v_cmp_gt_u32_e32 vcc, s33, v1
	s_and_saveexec_b64 s[0:1], vcc
	s_cbranch_execz .LBB1799_284
; %bb.283:
	s_waitcnt lgkmcnt(0)
	v_cvt_i32_f32_e32 v1, v4
	v_add_co_u32_e32 v6, vcc, 0x5000, v6
	s_nop 1
	v_addc_co_u32_e32 v7, vcc, 0, v7, vcc
	flat_store_dword v[6:7], v1 offset:1024
.LBB1799_284:
	s_or_b64 exec, exec, s[0:1]
	s_waitcnt lgkmcnt(0)
	v_or_b32_e32 v4, 0x1600, v0
	v_mov_b32_e32 v1, v13
	v_cmp_gt_u32_e64 s[0:1], s33, v4
	s_branch .LBB1799_287
.LBB1799_285:
	s_mov_b64 s[0:1], 0
                                        ; implicit-def: $vgpr5
	s_cbranch_execz .LBB1799_287
; %bb.286:
	s_movk_i32 s2, 0x5c
	v_mul_i32_i24_e32 v4, 0xffffffa8, v0
	v_mul_u32_u24_e32 v1, 0x5c, v0
	v_mad_u32_u24 v4, v0, s2, v4
	s_barrier
	ds_write2_b32 v1, v31, v74 offset1:1
	s_waitcnt vmcnt(0)
	ds_write2_b32 v1, v75, v76 offset0:2 offset1:3
	ds_write2_b32 v1, v77, v78 offset0:4 offset1:5
	;; [unrolled: 1-line block ×10, first 2 shown]
	ds_write_b32 v1, v95 offset:88
	s_waitcnt lgkmcnt(0)
	s_barrier
	ds_read2st64_b32 v[6:7], v4 offset1:4
	ds_read2st64_b32 v[8:9], v4 offset0:8 offset1:12
	ds_read2st64_b32 v[10:11], v4 offset0:16 offset1:20
	;; [unrolled: 1-line block ×10, first 2 shown]
	ds_read_b32 v5, v4 offset:22528
	s_waitcnt lgkmcnt(11)
	v_cvt_i32_f32_e32 v4, v6
	v_mov_b32_e32 v1, 0
	v_cvt_i32_f32_e32 v6, v7
	v_mov_b32_e32 v13, v1
	s_waitcnt lgkmcnt(10)
	v_cvt_i32_f32_e32 v7, v8
	v_lshl_add_u64 v[12:13], v[2:3], 0, v[12:13]
	v_cvt_i32_f32_e32 v8, v9
	flat_store_dword v[12:13], v4
	flat_store_dword v[12:13], v6 offset:1024
	flat_store_dword v[12:13], v7 offset:2048
	;; [unrolled: 1-line block ×3, first 2 shown]
	s_waitcnt lgkmcnt(0)
	v_cvt_i32_f32_e32 v4, v10
	s_movk_i32 s2, 0x1000
	v_cvt_i32_f32_e32 v8, v11
	v_add_co_u32_e32 v6, vcc, s2, v12
	v_cvt_i32_f32_e32 v9, v14
	s_nop 0
	v_addc_co_u32_e32 v7, vcc, 0, v13, vcc
	v_cvt_i32_f32_e32 v10, v15
	flat_store_dword v[6:7], v4
	flat_store_dword v[6:7], v8 offset:1024
	flat_store_dword v[6:7], v9 offset:2048
	flat_store_dword v[6:7], v10 offset:3072
	v_cvt_i32_f32_e32 v4, v16
	s_movk_i32 s2, 0x2000
	v_cvt_i32_f32_e32 v8, v17
	v_add_co_u32_e32 v6, vcc, s2, v12
	v_cvt_i32_f32_e32 v9, v18
	s_nop 0
	v_addc_co_u32_e32 v7, vcc, 0, v13, vcc
	v_cvt_i32_f32_e32 v10, v19
	flat_store_dword v[6:7], v4
	flat_store_dword v[6:7], v8 offset:1024
	flat_store_dword v[6:7], v9 offset:2048
	flat_store_dword v[6:7], v10 offset:3072
	;; [unrolled: 12-line block ×4, first 2 shown]
	v_cvt_i32_f32_e32 v4, v28
	v_cvt_i32_f32_e32 v8, v29
	v_add_co_u32_e32 v6, vcc, 0x5000, v12
	s_or_b64 s[0:1], s[0:1], exec
	s_nop 0
	v_addc_co_u32_e32 v7, vcc, 0, v13, vcc
	flat_store_dword v[6:7], v4
	flat_store_dword v[6:7], v8 offset:1024
.LBB1799_287:
	s_and_saveexec_b64 s[2:3], s[0:1]
	s_cbranch_execz .LBB1799_289
; %bb.288:
	v_lshl_add_u64 v[0:1], v[0:1], 2, v[2:3]
	v_cvt_i32_f32_e32 v2, v5
	v_add_co_u32_e32 v0, vcc, 0x5000, v0
	s_nop 1
	v_addc_co_u32_e32 v1, vcc, 0, v1, vcc
	flat_store_dword v[0:1], v2 offset:2048
	s_endpgm
.LBB1799_289:
	s_endpgm
	.section	.rodata,"a",@progbits
	.p2align	6, 0x0
	.amdhsa_kernel _ZN7rocprim17ROCPRIM_400000_NS6detail17trampoline_kernelINS0_14default_configENS1_27scan_by_key_config_selectorIifEEZZNS1_16scan_by_key_implILNS1_25lookback_scan_determinismE0ELb1ES3_N6thrust23THRUST_200600_302600_NS6detail15normal_iteratorINS9_10device_ptrIiEEEENSB_INSC_IjEEEESE_fNS9_4plusIvEENS9_8equal_toIvEEfEE10hipError_tPvRmT2_T3_T4_T5_mT6_T7_P12ihipStream_tbENKUlT_T0_E_clISt17integral_constantIbLb1EES11_EEDaSW_SX_EUlSW_E_NS1_11comp_targetILNS1_3genE5ELNS1_11target_archE942ELNS1_3gpuE9ELNS1_3repE0EEENS1_30default_config_static_selectorELNS0_4arch9wavefront6targetE1EEEvT1_
		.amdhsa_group_segment_fixed_size 25600
		.amdhsa_private_segment_fixed_size 0
		.amdhsa_kernarg_size 112
		.amdhsa_user_sgpr_count 2
		.amdhsa_user_sgpr_dispatch_ptr 0
		.amdhsa_user_sgpr_queue_ptr 0
		.amdhsa_user_sgpr_kernarg_segment_ptr 1
		.amdhsa_user_sgpr_dispatch_id 0
		.amdhsa_user_sgpr_kernarg_preload_length 0
		.amdhsa_user_sgpr_kernarg_preload_offset 0
		.amdhsa_user_sgpr_private_segment_size 0
		.amdhsa_uses_dynamic_stack 0
		.amdhsa_enable_private_segment 0
		.amdhsa_system_sgpr_workgroup_id_x 1
		.amdhsa_system_sgpr_workgroup_id_y 0
		.amdhsa_system_sgpr_workgroup_id_z 0
		.amdhsa_system_sgpr_workgroup_info 0
		.amdhsa_system_vgpr_workitem_id 0
		.amdhsa_next_free_vgpr 96
		.amdhsa_next_free_sgpr 80
		.amdhsa_accum_offset 96
		.amdhsa_reserve_vcc 1
		.amdhsa_float_round_mode_32 0
		.amdhsa_float_round_mode_16_64 0
		.amdhsa_float_denorm_mode_32 3
		.amdhsa_float_denorm_mode_16_64 3
		.amdhsa_dx10_clamp 1
		.amdhsa_ieee_mode 1
		.amdhsa_fp16_overflow 0
		.amdhsa_tg_split 0
		.amdhsa_exception_fp_ieee_invalid_op 0
		.amdhsa_exception_fp_denorm_src 0
		.amdhsa_exception_fp_ieee_div_zero 0
		.amdhsa_exception_fp_ieee_overflow 0
		.amdhsa_exception_fp_ieee_underflow 0
		.amdhsa_exception_fp_ieee_inexact 0
		.amdhsa_exception_int_div_zero 0
	.end_amdhsa_kernel
	.section	.text._ZN7rocprim17ROCPRIM_400000_NS6detail17trampoline_kernelINS0_14default_configENS1_27scan_by_key_config_selectorIifEEZZNS1_16scan_by_key_implILNS1_25lookback_scan_determinismE0ELb1ES3_N6thrust23THRUST_200600_302600_NS6detail15normal_iteratorINS9_10device_ptrIiEEEENSB_INSC_IjEEEESE_fNS9_4plusIvEENS9_8equal_toIvEEfEE10hipError_tPvRmT2_T3_T4_T5_mT6_T7_P12ihipStream_tbENKUlT_T0_E_clISt17integral_constantIbLb1EES11_EEDaSW_SX_EUlSW_E_NS1_11comp_targetILNS1_3genE5ELNS1_11target_archE942ELNS1_3gpuE9ELNS1_3repE0EEENS1_30default_config_static_selectorELNS0_4arch9wavefront6targetE1EEEvT1_,"axG",@progbits,_ZN7rocprim17ROCPRIM_400000_NS6detail17trampoline_kernelINS0_14default_configENS1_27scan_by_key_config_selectorIifEEZZNS1_16scan_by_key_implILNS1_25lookback_scan_determinismE0ELb1ES3_N6thrust23THRUST_200600_302600_NS6detail15normal_iteratorINS9_10device_ptrIiEEEENSB_INSC_IjEEEESE_fNS9_4plusIvEENS9_8equal_toIvEEfEE10hipError_tPvRmT2_T3_T4_T5_mT6_T7_P12ihipStream_tbENKUlT_T0_E_clISt17integral_constantIbLb1EES11_EEDaSW_SX_EUlSW_E_NS1_11comp_targetILNS1_3genE5ELNS1_11target_archE942ELNS1_3gpuE9ELNS1_3repE0EEENS1_30default_config_static_selectorELNS0_4arch9wavefront6targetE1EEEvT1_,comdat
.Lfunc_end1799:
	.size	_ZN7rocprim17ROCPRIM_400000_NS6detail17trampoline_kernelINS0_14default_configENS1_27scan_by_key_config_selectorIifEEZZNS1_16scan_by_key_implILNS1_25lookback_scan_determinismE0ELb1ES3_N6thrust23THRUST_200600_302600_NS6detail15normal_iteratorINS9_10device_ptrIiEEEENSB_INSC_IjEEEESE_fNS9_4plusIvEENS9_8equal_toIvEEfEE10hipError_tPvRmT2_T3_T4_T5_mT6_T7_P12ihipStream_tbENKUlT_T0_E_clISt17integral_constantIbLb1EES11_EEDaSW_SX_EUlSW_E_NS1_11comp_targetILNS1_3genE5ELNS1_11target_archE942ELNS1_3gpuE9ELNS1_3repE0EEENS1_30default_config_static_selectorELNS0_4arch9wavefront6targetE1EEEvT1_, .Lfunc_end1799-_ZN7rocprim17ROCPRIM_400000_NS6detail17trampoline_kernelINS0_14default_configENS1_27scan_by_key_config_selectorIifEEZZNS1_16scan_by_key_implILNS1_25lookback_scan_determinismE0ELb1ES3_N6thrust23THRUST_200600_302600_NS6detail15normal_iteratorINS9_10device_ptrIiEEEENSB_INSC_IjEEEESE_fNS9_4plusIvEENS9_8equal_toIvEEfEE10hipError_tPvRmT2_T3_T4_T5_mT6_T7_P12ihipStream_tbENKUlT_T0_E_clISt17integral_constantIbLb1EES11_EEDaSW_SX_EUlSW_E_NS1_11comp_targetILNS1_3genE5ELNS1_11target_archE942ELNS1_3gpuE9ELNS1_3repE0EEENS1_30default_config_static_selectorELNS0_4arch9wavefront6targetE1EEEvT1_
                                        ; -- End function
	.section	.AMDGPU.csdata,"",@progbits
; Kernel info:
; codeLenInByte = 16996
; NumSgprs: 86
; NumVgprs: 96
; NumAgprs: 0
; TotalNumVgprs: 96
; ScratchSize: 0
; MemoryBound: 0
; FloatMode: 240
; IeeeMode: 1
; LDSByteSize: 25600 bytes/workgroup (compile time only)
; SGPRBlocks: 10
; VGPRBlocks: 11
; NumSGPRsForWavesPerEU: 86
; NumVGPRsForWavesPerEU: 96
; AccumOffset: 96
; Occupancy: 2
; WaveLimiterHint : 1
; COMPUTE_PGM_RSRC2:SCRATCH_EN: 0
; COMPUTE_PGM_RSRC2:USER_SGPR: 2
; COMPUTE_PGM_RSRC2:TRAP_HANDLER: 0
; COMPUTE_PGM_RSRC2:TGID_X_EN: 1
; COMPUTE_PGM_RSRC2:TGID_Y_EN: 0
; COMPUTE_PGM_RSRC2:TGID_Z_EN: 0
; COMPUTE_PGM_RSRC2:TIDIG_COMP_CNT: 0
; COMPUTE_PGM_RSRC3_GFX90A:ACCUM_OFFSET: 23
; COMPUTE_PGM_RSRC3_GFX90A:TG_SPLIT: 0
	.section	.text._ZN7rocprim17ROCPRIM_400000_NS6detail17trampoline_kernelINS0_14default_configENS1_27scan_by_key_config_selectorIifEEZZNS1_16scan_by_key_implILNS1_25lookback_scan_determinismE0ELb1ES3_N6thrust23THRUST_200600_302600_NS6detail15normal_iteratorINS9_10device_ptrIiEEEENSB_INSC_IjEEEESE_fNS9_4plusIvEENS9_8equal_toIvEEfEE10hipError_tPvRmT2_T3_T4_T5_mT6_T7_P12ihipStream_tbENKUlT_T0_E_clISt17integral_constantIbLb1EES11_EEDaSW_SX_EUlSW_E_NS1_11comp_targetILNS1_3genE4ELNS1_11target_archE910ELNS1_3gpuE8ELNS1_3repE0EEENS1_30default_config_static_selectorELNS0_4arch9wavefront6targetE1EEEvT1_,"axG",@progbits,_ZN7rocprim17ROCPRIM_400000_NS6detail17trampoline_kernelINS0_14default_configENS1_27scan_by_key_config_selectorIifEEZZNS1_16scan_by_key_implILNS1_25lookback_scan_determinismE0ELb1ES3_N6thrust23THRUST_200600_302600_NS6detail15normal_iteratorINS9_10device_ptrIiEEEENSB_INSC_IjEEEESE_fNS9_4plusIvEENS9_8equal_toIvEEfEE10hipError_tPvRmT2_T3_T4_T5_mT6_T7_P12ihipStream_tbENKUlT_T0_E_clISt17integral_constantIbLb1EES11_EEDaSW_SX_EUlSW_E_NS1_11comp_targetILNS1_3genE4ELNS1_11target_archE910ELNS1_3gpuE8ELNS1_3repE0EEENS1_30default_config_static_selectorELNS0_4arch9wavefront6targetE1EEEvT1_,comdat
	.protected	_ZN7rocprim17ROCPRIM_400000_NS6detail17trampoline_kernelINS0_14default_configENS1_27scan_by_key_config_selectorIifEEZZNS1_16scan_by_key_implILNS1_25lookback_scan_determinismE0ELb1ES3_N6thrust23THRUST_200600_302600_NS6detail15normal_iteratorINS9_10device_ptrIiEEEENSB_INSC_IjEEEESE_fNS9_4plusIvEENS9_8equal_toIvEEfEE10hipError_tPvRmT2_T3_T4_T5_mT6_T7_P12ihipStream_tbENKUlT_T0_E_clISt17integral_constantIbLb1EES11_EEDaSW_SX_EUlSW_E_NS1_11comp_targetILNS1_3genE4ELNS1_11target_archE910ELNS1_3gpuE8ELNS1_3repE0EEENS1_30default_config_static_selectorELNS0_4arch9wavefront6targetE1EEEvT1_ ; -- Begin function _ZN7rocprim17ROCPRIM_400000_NS6detail17trampoline_kernelINS0_14default_configENS1_27scan_by_key_config_selectorIifEEZZNS1_16scan_by_key_implILNS1_25lookback_scan_determinismE0ELb1ES3_N6thrust23THRUST_200600_302600_NS6detail15normal_iteratorINS9_10device_ptrIiEEEENSB_INSC_IjEEEESE_fNS9_4plusIvEENS9_8equal_toIvEEfEE10hipError_tPvRmT2_T3_T4_T5_mT6_T7_P12ihipStream_tbENKUlT_T0_E_clISt17integral_constantIbLb1EES11_EEDaSW_SX_EUlSW_E_NS1_11comp_targetILNS1_3genE4ELNS1_11target_archE910ELNS1_3gpuE8ELNS1_3repE0EEENS1_30default_config_static_selectorELNS0_4arch9wavefront6targetE1EEEvT1_
	.globl	_ZN7rocprim17ROCPRIM_400000_NS6detail17trampoline_kernelINS0_14default_configENS1_27scan_by_key_config_selectorIifEEZZNS1_16scan_by_key_implILNS1_25lookback_scan_determinismE0ELb1ES3_N6thrust23THRUST_200600_302600_NS6detail15normal_iteratorINS9_10device_ptrIiEEEENSB_INSC_IjEEEESE_fNS9_4plusIvEENS9_8equal_toIvEEfEE10hipError_tPvRmT2_T3_T4_T5_mT6_T7_P12ihipStream_tbENKUlT_T0_E_clISt17integral_constantIbLb1EES11_EEDaSW_SX_EUlSW_E_NS1_11comp_targetILNS1_3genE4ELNS1_11target_archE910ELNS1_3gpuE8ELNS1_3repE0EEENS1_30default_config_static_selectorELNS0_4arch9wavefront6targetE1EEEvT1_
	.p2align	8
	.type	_ZN7rocprim17ROCPRIM_400000_NS6detail17trampoline_kernelINS0_14default_configENS1_27scan_by_key_config_selectorIifEEZZNS1_16scan_by_key_implILNS1_25lookback_scan_determinismE0ELb1ES3_N6thrust23THRUST_200600_302600_NS6detail15normal_iteratorINS9_10device_ptrIiEEEENSB_INSC_IjEEEESE_fNS9_4plusIvEENS9_8equal_toIvEEfEE10hipError_tPvRmT2_T3_T4_T5_mT6_T7_P12ihipStream_tbENKUlT_T0_E_clISt17integral_constantIbLb1EES11_EEDaSW_SX_EUlSW_E_NS1_11comp_targetILNS1_3genE4ELNS1_11target_archE910ELNS1_3gpuE8ELNS1_3repE0EEENS1_30default_config_static_selectorELNS0_4arch9wavefront6targetE1EEEvT1_,@function
_ZN7rocprim17ROCPRIM_400000_NS6detail17trampoline_kernelINS0_14default_configENS1_27scan_by_key_config_selectorIifEEZZNS1_16scan_by_key_implILNS1_25lookback_scan_determinismE0ELb1ES3_N6thrust23THRUST_200600_302600_NS6detail15normal_iteratorINS9_10device_ptrIiEEEENSB_INSC_IjEEEESE_fNS9_4plusIvEENS9_8equal_toIvEEfEE10hipError_tPvRmT2_T3_T4_T5_mT6_T7_P12ihipStream_tbENKUlT_T0_E_clISt17integral_constantIbLb1EES11_EEDaSW_SX_EUlSW_E_NS1_11comp_targetILNS1_3genE4ELNS1_11target_archE910ELNS1_3gpuE8ELNS1_3repE0EEENS1_30default_config_static_selectorELNS0_4arch9wavefront6targetE1EEEvT1_: ; @_ZN7rocprim17ROCPRIM_400000_NS6detail17trampoline_kernelINS0_14default_configENS1_27scan_by_key_config_selectorIifEEZZNS1_16scan_by_key_implILNS1_25lookback_scan_determinismE0ELb1ES3_N6thrust23THRUST_200600_302600_NS6detail15normal_iteratorINS9_10device_ptrIiEEEENSB_INSC_IjEEEESE_fNS9_4plusIvEENS9_8equal_toIvEEfEE10hipError_tPvRmT2_T3_T4_T5_mT6_T7_P12ihipStream_tbENKUlT_T0_E_clISt17integral_constantIbLb1EES11_EEDaSW_SX_EUlSW_E_NS1_11comp_targetILNS1_3genE4ELNS1_11target_archE910ELNS1_3gpuE8ELNS1_3repE0EEENS1_30default_config_static_selectorELNS0_4arch9wavefront6targetE1EEEvT1_
; %bb.0:
	.section	.rodata,"a",@progbits
	.p2align	6, 0x0
	.amdhsa_kernel _ZN7rocprim17ROCPRIM_400000_NS6detail17trampoline_kernelINS0_14default_configENS1_27scan_by_key_config_selectorIifEEZZNS1_16scan_by_key_implILNS1_25lookback_scan_determinismE0ELb1ES3_N6thrust23THRUST_200600_302600_NS6detail15normal_iteratorINS9_10device_ptrIiEEEENSB_INSC_IjEEEESE_fNS9_4plusIvEENS9_8equal_toIvEEfEE10hipError_tPvRmT2_T3_T4_T5_mT6_T7_P12ihipStream_tbENKUlT_T0_E_clISt17integral_constantIbLb1EES11_EEDaSW_SX_EUlSW_E_NS1_11comp_targetILNS1_3genE4ELNS1_11target_archE910ELNS1_3gpuE8ELNS1_3repE0EEENS1_30default_config_static_selectorELNS0_4arch9wavefront6targetE1EEEvT1_
		.amdhsa_group_segment_fixed_size 0
		.amdhsa_private_segment_fixed_size 0
		.amdhsa_kernarg_size 112
		.amdhsa_user_sgpr_count 2
		.amdhsa_user_sgpr_dispatch_ptr 0
		.amdhsa_user_sgpr_queue_ptr 0
		.amdhsa_user_sgpr_kernarg_segment_ptr 1
		.amdhsa_user_sgpr_dispatch_id 0
		.amdhsa_user_sgpr_kernarg_preload_length 0
		.amdhsa_user_sgpr_kernarg_preload_offset 0
		.amdhsa_user_sgpr_private_segment_size 0
		.amdhsa_uses_dynamic_stack 0
		.amdhsa_enable_private_segment 0
		.amdhsa_system_sgpr_workgroup_id_x 1
		.amdhsa_system_sgpr_workgroup_id_y 0
		.amdhsa_system_sgpr_workgroup_id_z 0
		.amdhsa_system_sgpr_workgroup_info 0
		.amdhsa_system_vgpr_workitem_id 0
		.amdhsa_next_free_vgpr 1
		.amdhsa_next_free_sgpr 0
		.amdhsa_accum_offset 4
		.amdhsa_reserve_vcc 0
		.amdhsa_float_round_mode_32 0
		.amdhsa_float_round_mode_16_64 0
		.amdhsa_float_denorm_mode_32 3
		.amdhsa_float_denorm_mode_16_64 3
		.amdhsa_dx10_clamp 1
		.amdhsa_ieee_mode 1
		.amdhsa_fp16_overflow 0
		.amdhsa_tg_split 0
		.amdhsa_exception_fp_ieee_invalid_op 0
		.amdhsa_exception_fp_denorm_src 0
		.amdhsa_exception_fp_ieee_div_zero 0
		.amdhsa_exception_fp_ieee_overflow 0
		.amdhsa_exception_fp_ieee_underflow 0
		.amdhsa_exception_fp_ieee_inexact 0
		.amdhsa_exception_int_div_zero 0
	.end_amdhsa_kernel
	.section	.text._ZN7rocprim17ROCPRIM_400000_NS6detail17trampoline_kernelINS0_14default_configENS1_27scan_by_key_config_selectorIifEEZZNS1_16scan_by_key_implILNS1_25lookback_scan_determinismE0ELb1ES3_N6thrust23THRUST_200600_302600_NS6detail15normal_iteratorINS9_10device_ptrIiEEEENSB_INSC_IjEEEESE_fNS9_4plusIvEENS9_8equal_toIvEEfEE10hipError_tPvRmT2_T3_T4_T5_mT6_T7_P12ihipStream_tbENKUlT_T0_E_clISt17integral_constantIbLb1EES11_EEDaSW_SX_EUlSW_E_NS1_11comp_targetILNS1_3genE4ELNS1_11target_archE910ELNS1_3gpuE8ELNS1_3repE0EEENS1_30default_config_static_selectorELNS0_4arch9wavefront6targetE1EEEvT1_,"axG",@progbits,_ZN7rocprim17ROCPRIM_400000_NS6detail17trampoline_kernelINS0_14default_configENS1_27scan_by_key_config_selectorIifEEZZNS1_16scan_by_key_implILNS1_25lookback_scan_determinismE0ELb1ES3_N6thrust23THRUST_200600_302600_NS6detail15normal_iteratorINS9_10device_ptrIiEEEENSB_INSC_IjEEEESE_fNS9_4plusIvEENS9_8equal_toIvEEfEE10hipError_tPvRmT2_T3_T4_T5_mT6_T7_P12ihipStream_tbENKUlT_T0_E_clISt17integral_constantIbLb1EES11_EEDaSW_SX_EUlSW_E_NS1_11comp_targetILNS1_3genE4ELNS1_11target_archE910ELNS1_3gpuE8ELNS1_3repE0EEENS1_30default_config_static_selectorELNS0_4arch9wavefront6targetE1EEEvT1_,comdat
.Lfunc_end1800:
	.size	_ZN7rocprim17ROCPRIM_400000_NS6detail17trampoline_kernelINS0_14default_configENS1_27scan_by_key_config_selectorIifEEZZNS1_16scan_by_key_implILNS1_25lookback_scan_determinismE0ELb1ES3_N6thrust23THRUST_200600_302600_NS6detail15normal_iteratorINS9_10device_ptrIiEEEENSB_INSC_IjEEEESE_fNS9_4plusIvEENS9_8equal_toIvEEfEE10hipError_tPvRmT2_T3_T4_T5_mT6_T7_P12ihipStream_tbENKUlT_T0_E_clISt17integral_constantIbLb1EES11_EEDaSW_SX_EUlSW_E_NS1_11comp_targetILNS1_3genE4ELNS1_11target_archE910ELNS1_3gpuE8ELNS1_3repE0EEENS1_30default_config_static_selectorELNS0_4arch9wavefront6targetE1EEEvT1_, .Lfunc_end1800-_ZN7rocprim17ROCPRIM_400000_NS6detail17trampoline_kernelINS0_14default_configENS1_27scan_by_key_config_selectorIifEEZZNS1_16scan_by_key_implILNS1_25lookback_scan_determinismE0ELb1ES3_N6thrust23THRUST_200600_302600_NS6detail15normal_iteratorINS9_10device_ptrIiEEEENSB_INSC_IjEEEESE_fNS9_4plusIvEENS9_8equal_toIvEEfEE10hipError_tPvRmT2_T3_T4_T5_mT6_T7_P12ihipStream_tbENKUlT_T0_E_clISt17integral_constantIbLb1EES11_EEDaSW_SX_EUlSW_E_NS1_11comp_targetILNS1_3genE4ELNS1_11target_archE910ELNS1_3gpuE8ELNS1_3repE0EEENS1_30default_config_static_selectorELNS0_4arch9wavefront6targetE1EEEvT1_
                                        ; -- End function
	.section	.AMDGPU.csdata,"",@progbits
; Kernel info:
; codeLenInByte = 0
; NumSgprs: 6
; NumVgprs: 0
; NumAgprs: 0
; TotalNumVgprs: 0
; ScratchSize: 0
; MemoryBound: 0
; FloatMode: 240
; IeeeMode: 1
; LDSByteSize: 0 bytes/workgroup (compile time only)
; SGPRBlocks: 0
; VGPRBlocks: 0
; NumSGPRsForWavesPerEU: 6
; NumVGPRsForWavesPerEU: 1
; AccumOffset: 4
; Occupancy: 8
; WaveLimiterHint : 0
; COMPUTE_PGM_RSRC2:SCRATCH_EN: 0
; COMPUTE_PGM_RSRC2:USER_SGPR: 2
; COMPUTE_PGM_RSRC2:TRAP_HANDLER: 0
; COMPUTE_PGM_RSRC2:TGID_X_EN: 1
; COMPUTE_PGM_RSRC2:TGID_Y_EN: 0
; COMPUTE_PGM_RSRC2:TGID_Z_EN: 0
; COMPUTE_PGM_RSRC2:TIDIG_COMP_CNT: 0
; COMPUTE_PGM_RSRC3_GFX90A:ACCUM_OFFSET: 0
; COMPUTE_PGM_RSRC3_GFX90A:TG_SPLIT: 0
	.section	.text._ZN7rocprim17ROCPRIM_400000_NS6detail17trampoline_kernelINS0_14default_configENS1_27scan_by_key_config_selectorIifEEZZNS1_16scan_by_key_implILNS1_25lookback_scan_determinismE0ELb1ES3_N6thrust23THRUST_200600_302600_NS6detail15normal_iteratorINS9_10device_ptrIiEEEENSB_INSC_IjEEEESE_fNS9_4plusIvEENS9_8equal_toIvEEfEE10hipError_tPvRmT2_T3_T4_T5_mT6_T7_P12ihipStream_tbENKUlT_T0_E_clISt17integral_constantIbLb1EES11_EEDaSW_SX_EUlSW_E_NS1_11comp_targetILNS1_3genE3ELNS1_11target_archE908ELNS1_3gpuE7ELNS1_3repE0EEENS1_30default_config_static_selectorELNS0_4arch9wavefront6targetE1EEEvT1_,"axG",@progbits,_ZN7rocprim17ROCPRIM_400000_NS6detail17trampoline_kernelINS0_14default_configENS1_27scan_by_key_config_selectorIifEEZZNS1_16scan_by_key_implILNS1_25lookback_scan_determinismE0ELb1ES3_N6thrust23THRUST_200600_302600_NS6detail15normal_iteratorINS9_10device_ptrIiEEEENSB_INSC_IjEEEESE_fNS9_4plusIvEENS9_8equal_toIvEEfEE10hipError_tPvRmT2_T3_T4_T5_mT6_T7_P12ihipStream_tbENKUlT_T0_E_clISt17integral_constantIbLb1EES11_EEDaSW_SX_EUlSW_E_NS1_11comp_targetILNS1_3genE3ELNS1_11target_archE908ELNS1_3gpuE7ELNS1_3repE0EEENS1_30default_config_static_selectorELNS0_4arch9wavefront6targetE1EEEvT1_,comdat
	.protected	_ZN7rocprim17ROCPRIM_400000_NS6detail17trampoline_kernelINS0_14default_configENS1_27scan_by_key_config_selectorIifEEZZNS1_16scan_by_key_implILNS1_25lookback_scan_determinismE0ELb1ES3_N6thrust23THRUST_200600_302600_NS6detail15normal_iteratorINS9_10device_ptrIiEEEENSB_INSC_IjEEEESE_fNS9_4plusIvEENS9_8equal_toIvEEfEE10hipError_tPvRmT2_T3_T4_T5_mT6_T7_P12ihipStream_tbENKUlT_T0_E_clISt17integral_constantIbLb1EES11_EEDaSW_SX_EUlSW_E_NS1_11comp_targetILNS1_3genE3ELNS1_11target_archE908ELNS1_3gpuE7ELNS1_3repE0EEENS1_30default_config_static_selectorELNS0_4arch9wavefront6targetE1EEEvT1_ ; -- Begin function _ZN7rocprim17ROCPRIM_400000_NS6detail17trampoline_kernelINS0_14default_configENS1_27scan_by_key_config_selectorIifEEZZNS1_16scan_by_key_implILNS1_25lookback_scan_determinismE0ELb1ES3_N6thrust23THRUST_200600_302600_NS6detail15normal_iteratorINS9_10device_ptrIiEEEENSB_INSC_IjEEEESE_fNS9_4plusIvEENS9_8equal_toIvEEfEE10hipError_tPvRmT2_T3_T4_T5_mT6_T7_P12ihipStream_tbENKUlT_T0_E_clISt17integral_constantIbLb1EES11_EEDaSW_SX_EUlSW_E_NS1_11comp_targetILNS1_3genE3ELNS1_11target_archE908ELNS1_3gpuE7ELNS1_3repE0EEENS1_30default_config_static_selectorELNS0_4arch9wavefront6targetE1EEEvT1_
	.globl	_ZN7rocprim17ROCPRIM_400000_NS6detail17trampoline_kernelINS0_14default_configENS1_27scan_by_key_config_selectorIifEEZZNS1_16scan_by_key_implILNS1_25lookback_scan_determinismE0ELb1ES3_N6thrust23THRUST_200600_302600_NS6detail15normal_iteratorINS9_10device_ptrIiEEEENSB_INSC_IjEEEESE_fNS9_4plusIvEENS9_8equal_toIvEEfEE10hipError_tPvRmT2_T3_T4_T5_mT6_T7_P12ihipStream_tbENKUlT_T0_E_clISt17integral_constantIbLb1EES11_EEDaSW_SX_EUlSW_E_NS1_11comp_targetILNS1_3genE3ELNS1_11target_archE908ELNS1_3gpuE7ELNS1_3repE0EEENS1_30default_config_static_selectorELNS0_4arch9wavefront6targetE1EEEvT1_
	.p2align	8
	.type	_ZN7rocprim17ROCPRIM_400000_NS6detail17trampoline_kernelINS0_14default_configENS1_27scan_by_key_config_selectorIifEEZZNS1_16scan_by_key_implILNS1_25lookback_scan_determinismE0ELb1ES3_N6thrust23THRUST_200600_302600_NS6detail15normal_iteratorINS9_10device_ptrIiEEEENSB_INSC_IjEEEESE_fNS9_4plusIvEENS9_8equal_toIvEEfEE10hipError_tPvRmT2_T3_T4_T5_mT6_T7_P12ihipStream_tbENKUlT_T0_E_clISt17integral_constantIbLb1EES11_EEDaSW_SX_EUlSW_E_NS1_11comp_targetILNS1_3genE3ELNS1_11target_archE908ELNS1_3gpuE7ELNS1_3repE0EEENS1_30default_config_static_selectorELNS0_4arch9wavefront6targetE1EEEvT1_,@function
_ZN7rocprim17ROCPRIM_400000_NS6detail17trampoline_kernelINS0_14default_configENS1_27scan_by_key_config_selectorIifEEZZNS1_16scan_by_key_implILNS1_25lookback_scan_determinismE0ELb1ES3_N6thrust23THRUST_200600_302600_NS6detail15normal_iteratorINS9_10device_ptrIiEEEENSB_INSC_IjEEEESE_fNS9_4plusIvEENS9_8equal_toIvEEfEE10hipError_tPvRmT2_T3_T4_T5_mT6_T7_P12ihipStream_tbENKUlT_T0_E_clISt17integral_constantIbLb1EES11_EEDaSW_SX_EUlSW_E_NS1_11comp_targetILNS1_3genE3ELNS1_11target_archE908ELNS1_3gpuE7ELNS1_3repE0EEENS1_30default_config_static_selectorELNS0_4arch9wavefront6targetE1EEEvT1_: ; @_ZN7rocprim17ROCPRIM_400000_NS6detail17trampoline_kernelINS0_14default_configENS1_27scan_by_key_config_selectorIifEEZZNS1_16scan_by_key_implILNS1_25lookback_scan_determinismE0ELb1ES3_N6thrust23THRUST_200600_302600_NS6detail15normal_iteratorINS9_10device_ptrIiEEEENSB_INSC_IjEEEESE_fNS9_4plusIvEENS9_8equal_toIvEEfEE10hipError_tPvRmT2_T3_T4_T5_mT6_T7_P12ihipStream_tbENKUlT_T0_E_clISt17integral_constantIbLb1EES11_EEDaSW_SX_EUlSW_E_NS1_11comp_targetILNS1_3genE3ELNS1_11target_archE908ELNS1_3gpuE7ELNS1_3repE0EEENS1_30default_config_static_selectorELNS0_4arch9wavefront6targetE1EEEvT1_
; %bb.0:
	.section	.rodata,"a",@progbits
	.p2align	6, 0x0
	.amdhsa_kernel _ZN7rocprim17ROCPRIM_400000_NS6detail17trampoline_kernelINS0_14default_configENS1_27scan_by_key_config_selectorIifEEZZNS1_16scan_by_key_implILNS1_25lookback_scan_determinismE0ELb1ES3_N6thrust23THRUST_200600_302600_NS6detail15normal_iteratorINS9_10device_ptrIiEEEENSB_INSC_IjEEEESE_fNS9_4plusIvEENS9_8equal_toIvEEfEE10hipError_tPvRmT2_T3_T4_T5_mT6_T7_P12ihipStream_tbENKUlT_T0_E_clISt17integral_constantIbLb1EES11_EEDaSW_SX_EUlSW_E_NS1_11comp_targetILNS1_3genE3ELNS1_11target_archE908ELNS1_3gpuE7ELNS1_3repE0EEENS1_30default_config_static_selectorELNS0_4arch9wavefront6targetE1EEEvT1_
		.amdhsa_group_segment_fixed_size 0
		.amdhsa_private_segment_fixed_size 0
		.amdhsa_kernarg_size 112
		.amdhsa_user_sgpr_count 2
		.amdhsa_user_sgpr_dispatch_ptr 0
		.amdhsa_user_sgpr_queue_ptr 0
		.amdhsa_user_sgpr_kernarg_segment_ptr 1
		.amdhsa_user_sgpr_dispatch_id 0
		.amdhsa_user_sgpr_kernarg_preload_length 0
		.amdhsa_user_sgpr_kernarg_preload_offset 0
		.amdhsa_user_sgpr_private_segment_size 0
		.amdhsa_uses_dynamic_stack 0
		.amdhsa_enable_private_segment 0
		.amdhsa_system_sgpr_workgroup_id_x 1
		.amdhsa_system_sgpr_workgroup_id_y 0
		.amdhsa_system_sgpr_workgroup_id_z 0
		.amdhsa_system_sgpr_workgroup_info 0
		.amdhsa_system_vgpr_workitem_id 0
		.amdhsa_next_free_vgpr 1
		.amdhsa_next_free_sgpr 0
		.amdhsa_accum_offset 4
		.amdhsa_reserve_vcc 0
		.amdhsa_float_round_mode_32 0
		.amdhsa_float_round_mode_16_64 0
		.amdhsa_float_denorm_mode_32 3
		.amdhsa_float_denorm_mode_16_64 3
		.amdhsa_dx10_clamp 1
		.amdhsa_ieee_mode 1
		.amdhsa_fp16_overflow 0
		.amdhsa_tg_split 0
		.amdhsa_exception_fp_ieee_invalid_op 0
		.amdhsa_exception_fp_denorm_src 0
		.amdhsa_exception_fp_ieee_div_zero 0
		.amdhsa_exception_fp_ieee_overflow 0
		.amdhsa_exception_fp_ieee_underflow 0
		.amdhsa_exception_fp_ieee_inexact 0
		.amdhsa_exception_int_div_zero 0
	.end_amdhsa_kernel
	.section	.text._ZN7rocprim17ROCPRIM_400000_NS6detail17trampoline_kernelINS0_14default_configENS1_27scan_by_key_config_selectorIifEEZZNS1_16scan_by_key_implILNS1_25lookback_scan_determinismE0ELb1ES3_N6thrust23THRUST_200600_302600_NS6detail15normal_iteratorINS9_10device_ptrIiEEEENSB_INSC_IjEEEESE_fNS9_4plusIvEENS9_8equal_toIvEEfEE10hipError_tPvRmT2_T3_T4_T5_mT6_T7_P12ihipStream_tbENKUlT_T0_E_clISt17integral_constantIbLb1EES11_EEDaSW_SX_EUlSW_E_NS1_11comp_targetILNS1_3genE3ELNS1_11target_archE908ELNS1_3gpuE7ELNS1_3repE0EEENS1_30default_config_static_selectorELNS0_4arch9wavefront6targetE1EEEvT1_,"axG",@progbits,_ZN7rocprim17ROCPRIM_400000_NS6detail17trampoline_kernelINS0_14default_configENS1_27scan_by_key_config_selectorIifEEZZNS1_16scan_by_key_implILNS1_25lookback_scan_determinismE0ELb1ES3_N6thrust23THRUST_200600_302600_NS6detail15normal_iteratorINS9_10device_ptrIiEEEENSB_INSC_IjEEEESE_fNS9_4plusIvEENS9_8equal_toIvEEfEE10hipError_tPvRmT2_T3_T4_T5_mT6_T7_P12ihipStream_tbENKUlT_T0_E_clISt17integral_constantIbLb1EES11_EEDaSW_SX_EUlSW_E_NS1_11comp_targetILNS1_3genE3ELNS1_11target_archE908ELNS1_3gpuE7ELNS1_3repE0EEENS1_30default_config_static_selectorELNS0_4arch9wavefront6targetE1EEEvT1_,comdat
.Lfunc_end1801:
	.size	_ZN7rocprim17ROCPRIM_400000_NS6detail17trampoline_kernelINS0_14default_configENS1_27scan_by_key_config_selectorIifEEZZNS1_16scan_by_key_implILNS1_25lookback_scan_determinismE0ELb1ES3_N6thrust23THRUST_200600_302600_NS6detail15normal_iteratorINS9_10device_ptrIiEEEENSB_INSC_IjEEEESE_fNS9_4plusIvEENS9_8equal_toIvEEfEE10hipError_tPvRmT2_T3_T4_T5_mT6_T7_P12ihipStream_tbENKUlT_T0_E_clISt17integral_constantIbLb1EES11_EEDaSW_SX_EUlSW_E_NS1_11comp_targetILNS1_3genE3ELNS1_11target_archE908ELNS1_3gpuE7ELNS1_3repE0EEENS1_30default_config_static_selectorELNS0_4arch9wavefront6targetE1EEEvT1_, .Lfunc_end1801-_ZN7rocprim17ROCPRIM_400000_NS6detail17trampoline_kernelINS0_14default_configENS1_27scan_by_key_config_selectorIifEEZZNS1_16scan_by_key_implILNS1_25lookback_scan_determinismE0ELb1ES3_N6thrust23THRUST_200600_302600_NS6detail15normal_iteratorINS9_10device_ptrIiEEEENSB_INSC_IjEEEESE_fNS9_4plusIvEENS9_8equal_toIvEEfEE10hipError_tPvRmT2_T3_T4_T5_mT6_T7_P12ihipStream_tbENKUlT_T0_E_clISt17integral_constantIbLb1EES11_EEDaSW_SX_EUlSW_E_NS1_11comp_targetILNS1_3genE3ELNS1_11target_archE908ELNS1_3gpuE7ELNS1_3repE0EEENS1_30default_config_static_selectorELNS0_4arch9wavefront6targetE1EEEvT1_
                                        ; -- End function
	.section	.AMDGPU.csdata,"",@progbits
; Kernel info:
; codeLenInByte = 0
; NumSgprs: 6
; NumVgprs: 0
; NumAgprs: 0
; TotalNumVgprs: 0
; ScratchSize: 0
; MemoryBound: 0
; FloatMode: 240
; IeeeMode: 1
; LDSByteSize: 0 bytes/workgroup (compile time only)
; SGPRBlocks: 0
; VGPRBlocks: 0
; NumSGPRsForWavesPerEU: 6
; NumVGPRsForWavesPerEU: 1
; AccumOffset: 4
; Occupancy: 8
; WaveLimiterHint : 0
; COMPUTE_PGM_RSRC2:SCRATCH_EN: 0
; COMPUTE_PGM_RSRC2:USER_SGPR: 2
; COMPUTE_PGM_RSRC2:TRAP_HANDLER: 0
; COMPUTE_PGM_RSRC2:TGID_X_EN: 1
; COMPUTE_PGM_RSRC2:TGID_Y_EN: 0
; COMPUTE_PGM_RSRC2:TGID_Z_EN: 0
; COMPUTE_PGM_RSRC2:TIDIG_COMP_CNT: 0
; COMPUTE_PGM_RSRC3_GFX90A:ACCUM_OFFSET: 0
; COMPUTE_PGM_RSRC3_GFX90A:TG_SPLIT: 0
	.section	.text._ZN7rocprim17ROCPRIM_400000_NS6detail17trampoline_kernelINS0_14default_configENS1_27scan_by_key_config_selectorIifEEZZNS1_16scan_by_key_implILNS1_25lookback_scan_determinismE0ELb1ES3_N6thrust23THRUST_200600_302600_NS6detail15normal_iteratorINS9_10device_ptrIiEEEENSB_INSC_IjEEEESE_fNS9_4plusIvEENS9_8equal_toIvEEfEE10hipError_tPvRmT2_T3_T4_T5_mT6_T7_P12ihipStream_tbENKUlT_T0_E_clISt17integral_constantIbLb1EES11_EEDaSW_SX_EUlSW_E_NS1_11comp_targetILNS1_3genE2ELNS1_11target_archE906ELNS1_3gpuE6ELNS1_3repE0EEENS1_30default_config_static_selectorELNS0_4arch9wavefront6targetE1EEEvT1_,"axG",@progbits,_ZN7rocprim17ROCPRIM_400000_NS6detail17trampoline_kernelINS0_14default_configENS1_27scan_by_key_config_selectorIifEEZZNS1_16scan_by_key_implILNS1_25lookback_scan_determinismE0ELb1ES3_N6thrust23THRUST_200600_302600_NS6detail15normal_iteratorINS9_10device_ptrIiEEEENSB_INSC_IjEEEESE_fNS9_4plusIvEENS9_8equal_toIvEEfEE10hipError_tPvRmT2_T3_T4_T5_mT6_T7_P12ihipStream_tbENKUlT_T0_E_clISt17integral_constantIbLb1EES11_EEDaSW_SX_EUlSW_E_NS1_11comp_targetILNS1_3genE2ELNS1_11target_archE906ELNS1_3gpuE6ELNS1_3repE0EEENS1_30default_config_static_selectorELNS0_4arch9wavefront6targetE1EEEvT1_,comdat
	.protected	_ZN7rocprim17ROCPRIM_400000_NS6detail17trampoline_kernelINS0_14default_configENS1_27scan_by_key_config_selectorIifEEZZNS1_16scan_by_key_implILNS1_25lookback_scan_determinismE0ELb1ES3_N6thrust23THRUST_200600_302600_NS6detail15normal_iteratorINS9_10device_ptrIiEEEENSB_INSC_IjEEEESE_fNS9_4plusIvEENS9_8equal_toIvEEfEE10hipError_tPvRmT2_T3_T4_T5_mT6_T7_P12ihipStream_tbENKUlT_T0_E_clISt17integral_constantIbLb1EES11_EEDaSW_SX_EUlSW_E_NS1_11comp_targetILNS1_3genE2ELNS1_11target_archE906ELNS1_3gpuE6ELNS1_3repE0EEENS1_30default_config_static_selectorELNS0_4arch9wavefront6targetE1EEEvT1_ ; -- Begin function _ZN7rocprim17ROCPRIM_400000_NS6detail17trampoline_kernelINS0_14default_configENS1_27scan_by_key_config_selectorIifEEZZNS1_16scan_by_key_implILNS1_25lookback_scan_determinismE0ELb1ES3_N6thrust23THRUST_200600_302600_NS6detail15normal_iteratorINS9_10device_ptrIiEEEENSB_INSC_IjEEEESE_fNS9_4plusIvEENS9_8equal_toIvEEfEE10hipError_tPvRmT2_T3_T4_T5_mT6_T7_P12ihipStream_tbENKUlT_T0_E_clISt17integral_constantIbLb1EES11_EEDaSW_SX_EUlSW_E_NS1_11comp_targetILNS1_3genE2ELNS1_11target_archE906ELNS1_3gpuE6ELNS1_3repE0EEENS1_30default_config_static_selectorELNS0_4arch9wavefront6targetE1EEEvT1_
	.globl	_ZN7rocprim17ROCPRIM_400000_NS6detail17trampoline_kernelINS0_14default_configENS1_27scan_by_key_config_selectorIifEEZZNS1_16scan_by_key_implILNS1_25lookback_scan_determinismE0ELb1ES3_N6thrust23THRUST_200600_302600_NS6detail15normal_iteratorINS9_10device_ptrIiEEEENSB_INSC_IjEEEESE_fNS9_4plusIvEENS9_8equal_toIvEEfEE10hipError_tPvRmT2_T3_T4_T5_mT6_T7_P12ihipStream_tbENKUlT_T0_E_clISt17integral_constantIbLb1EES11_EEDaSW_SX_EUlSW_E_NS1_11comp_targetILNS1_3genE2ELNS1_11target_archE906ELNS1_3gpuE6ELNS1_3repE0EEENS1_30default_config_static_selectorELNS0_4arch9wavefront6targetE1EEEvT1_
	.p2align	8
	.type	_ZN7rocprim17ROCPRIM_400000_NS6detail17trampoline_kernelINS0_14default_configENS1_27scan_by_key_config_selectorIifEEZZNS1_16scan_by_key_implILNS1_25lookback_scan_determinismE0ELb1ES3_N6thrust23THRUST_200600_302600_NS6detail15normal_iteratorINS9_10device_ptrIiEEEENSB_INSC_IjEEEESE_fNS9_4plusIvEENS9_8equal_toIvEEfEE10hipError_tPvRmT2_T3_T4_T5_mT6_T7_P12ihipStream_tbENKUlT_T0_E_clISt17integral_constantIbLb1EES11_EEDaSW_SX_EUlSW_E_NS1_11comp_targetILNS1_3genE2ELNS1_11target_archE906ELNS1_3gpuE6ELNS1_3repE0EEENS1_30default_config_static_selectorELNS0_4arch9wavefront6targetE1EEEvT1_,@function
_ZN7rocprim17ROCPRIM_400000_NS6detail17trampoline_kernelINS0_14default_configENS1_27scan_by_key_config_selectorIifEEZZNS1_16scan_by_key_implILNS1_25lookback_scan_determinismE0ELb1ES3_N6thrust23THRUST_200600_302600_NS6detail15normal_iteratorINS9_10device_ptrIiEEEENSB_INSC_IjEEEESE_fNS9_4plusIvEENS9_8equal_toIvEEfEE10hipError_tPvRmT2_T3_T4_T5_mT6_T7_P12ihipStream_tbENKUlT_T0_E_clISt17integral_constantIbLb1EES11_EEDaSW_SX_EUlSW_E_NS1_11comp_targetILNS1_3genE2ELNS1_11target_archE906ELNS1_3gpuE6ELNS1_3repE0EEENS1_30default_config_static_selectorELNS0_4arch9wavefront6targetE1EEEvT1_: ; @_ZN7rocprim17ROCPRIM_400000_NS6detail17trampoline_kernelINS0_14default_configENS1_27scan_by_key_config_selectorIifEEZZNS1_16scan_by_key_implILNS1_25lookback_scan_determinismE0ELb1ES3_N6thrust23THRUST_200600_302600_NS6detail15normal_iteratorINS9_10device_ptrIiEEEENSB_INSC_IjEEEESE_fNS9_4plusIvEENS9_8equal_toIvEEfEE10hipError_tPvRmT2_T3_T4_T5_mT6_T7_P12ihipStream_tbENKUlT_T0_E_clISt17integral_constantIbLb1EES11_EEDaSW_SX_EUlSW_E_NS1_11comp_targetILNS1_3genE2ELNS1_11target_archE906ELNS1_3gpuE6ELNS1_3repE0EEENS1_30default_config_static_selectorELNS0_4arch9wavefront6targetE1EEEvT1_
; %bb.0:
	.section	.rodata,"a",@progbits
	.p2align	6, 0x0
	.amdhsa_kernel _ZN7rocprim17ROCPRIM_400000_NS6detail17trampoline_kernelINS0_14default_configENS1_27scan_by_key_config_selectorIifEEZZNS1_16scan_by_key_implILNS1_25lookback_scan_determinismE0ELb1ES3_N6thrust23THRUST_200600_302600_NS6detail15normal_iteratorINS9_10device_ptrIiEEEENSB_INSC_IjEEEESE_fNS9_4plusIvEENS9_8equal_toIvEEfEE10hipError_tPvRmT2_T3_T4_T5_mT6_T7_P12ihipStream_tbENKUlT_T0_E_clISt17integral_constantIbLb1EES11_EEDaSW_SX_EUlSW_E_NS1_11comp_targetILNS1_3genE2ELNS1_11target_archE906ELNS1_3gpuE6ELNS1_3repE0EEENS1_30default_config_static_selectorELNS0_4arch9wavefront6targetE1EEEvT1_
		.amdhsa_group_segment_fixed_size 0
		.amdhsa_private_segment_fixed_size 0
		.amdhsa_kernarg_size 112
		.amdhsa_user_sgpr_count 2
		.amdhsa_user_sgpr_dispatch_ptr 0
		.amdhsa_user_sgpr_queue_ptr 0
		.amdhsa_user_sgpr_kernarg_segment_ptr 1
		.amdhsa_user_sgpr_dispatch_id 0
		.amdhsa_user_sgpr_kernarg_preload_length 0
		.amdhsa_user_sgpr_kernarg_preload_offset 0
		.amdhsa_user_sgpr_private_segment_size 0
		.amdhsa_uses_dynamic_stack 0
		.amdhsa_enable_private_segment 0
		.amdhsa_system_sgpr_workgroup_id_x 1
		.amdhsa_system_sgpr_workgroup_id_y 0
		.amdhsa_system_sgpr_workgroup_id_z 0
		.amdhsa_system_sgpr_workgroup_info 0
		.amdhsa_system_vgpr_workitem_id 0
		.amdhsa_next_free_vgpr 1
		.amdhsa_next_free_sgpr 0
		.amdhsa_accum_offset 4
		.amdhsa_reserve_vcc 0
		.amdhsa_float_round_mode_32 0
		.amdhsa_float_round_mode_16_64 0
		.amdhsa_float_denorm_mode_32 3
		.amdhsa_float_denorm_mode_16_64 3
		.amdhsa_dx10_clamp 1
		.amdhsa_ieee_mode 1
		.amdhsa_fp16_overflow 0
		.amdhsa_tg_split 0
		.amdhsa_exception_fp_ieee_invalid_op 0
		.amdhsa_exception_fp_denorm_src 0
		.amdhsa_exception_fp_ieee_div_zero 0
		.amdhsa_exception_fp_ieee_overflow 0
		.amdhsa_exception_fp_ieee_underflow 0
		.amdhsa_exception_fp_ieee_inexact 0
		.amdhsa_exception_int_div_zero 0
	.end_amdhsa_kernel
	.section	.text._ZN7rocprim17ROCPRIM_400000_NS6detail17trampoline_kernelINS0_14default_configENS1_27scan_by_key_config_selectorIifEEZZNS1_16scan_by_key_implILNS1_25lookback_scan_determinismE0ELb1ES3_N6thrust23THRUST_200600_302600_NS6detail15normal_iteratorINS9_10device_ptrIiEEEENSB_INSC_IjEEEESE_fNS9_4plusIvEENS9_8equal_toIvEEfEE10hipError_tPvRmT2_T3_T4_T5_mT6_T7_P12ihipStream_tbENKUlT_T0_E_clISt17integral_constantIbLb1EES11_EEDaSW_SX_EUlSW_E_NS1_11comp_targetILNS1_3genE2ELNS1_11target_archE906ELNS1_3gpuE6ELNS1_3repE0EEENS1_30default_config_static_selectorELNS0_4arch9wavefront6targetE1EEEvT1_,"axG",@progbits,_ZN7rocprim17ROCPRIM_400000_NS6detail17trampoline_kernelINS0_14default_configENS1_27scan_by_key_config_selectorIifEEZZNS1_16scan_by_key_implILNS1_25lookback_scan_determinismE0ELb1ES3_N6thrust23THRUST_200600_302600_NS6detail15normal_iteratorINS9_10device_ptrIiEEEENSB_INSC_IjEEEESE_fNS9_4plusIvEENS9_8equal_toIvEEfEE10hipError_tPvRmT2_T3_T4_T5_mT6_T7_P12ihipStream_tbENKUlT_T0_E_clISt17integral_constantIbLb1EES11_EEDaSW_SX_EUlSW_E_NS1_11comp_targetILNS1_3genE2ELNS1_11target_archE906ELNS1_3gpuE6ELNS1_3repE0EEENS1_30default_config_static_selectorELNS0_4arch9wavefront6targetE1EEEvT1_,comdat
.Lfunc_end1802:
	.size	_ZN7rocprim17ROCPRIM_400000_NS6detail17trampoline_kernelINS0_14default_configENS1_27scan_by_key_config_selectorIifEEZZNS1_16scan_by_key_implILNS1_25lookback_scan_determinismE0ELb1ES3_N6thrust23THRUST_200600_302600_NS6detail15normal_iteratorINS9_10device_ptrIiEEEENSB_INSC_IjEEEESE_fNS9_4plusIvEENS9_8equal_toIvEEfEE10hipError_tPvRmT2_T3_T4_T5_mT6_T7_P12ihipStream_tbENKUlT_T0_E_clISt17integral_constantIbLb1EES11_EEDaSW_SX_EUlSW_E_NS1_11comp_targetILNS1_3genE2ELNS1_11target_archE906ELNS1_3gpuE6ELNS1_3repE0EEENS1_30default_config_static_selectorELNS0_4arch9wavefront6targetE1EEEvT1_, .Lfunc_end1802-_ZN7rocprim17ROCPRIM_400000_NS6detail17trampoline_kernelINS0_14default_configENS1_27scan_by_key_config_selectorIifEEZZNS1_16scan_by_key_implILNS1_25lookback_scan_determinismE0ELb1ES3_N6thrust23THRUST_200600_302600_NS6detail15normal_iteratorINS9_10device_ptrIiEEEENSB_INSC_IjEEEESE_fNS9_4plusIvEENS9_8equal_toIvEEfEE10hipError_tPvRmT2_T3_T4_T5_mT6_T7_P12ihipStream_tbENKUlT_T0_E_clISt17integral_constantIbLb1EES11_EEDaSW_SX_EUlSW_E_NS1_11comp_targetILNS1_3genE2ELNS1_11target_archE906ELNS1_3gpuE6ELNS1_3repE0EEENS1_30default_config_static_selectorELNS0_4arch9wavefront6targetE1EEEvT1_
                                        ; -- End function
	.section	.AMDGPU.csdata,"",@progbits
; Kernel info:
; codeLenInByte = 0
; NumSgprs: 6
; NumVgprs: 0
; NumAgprs: 0
; TotalNumVgprs: 0
; ScratchSize: 0
; MemoryBound: 0
; FloatMode: 240
; IeeeMode: 1
; LDSByteSize: 0 bytes/workgroup (compile time only)
; SGPRBlocks: 0
; VGPRBlocks: 0
; NumSGPRsForWavesPerEU: 6
; NumVGPRsForWavesPerEU: 1
; AccumOffset: 4
; Occupancy: 8
; WaveLimiterHint : 0
; COMPUTE_PGM_RSRC2:SCRATCH_EN: 0
; COMPUTE_PGM_RSRC2:USER_SGPR: 2
; COMPUTE_PGM_RSRC2:TRAP_HANDLER: 0
; COMPUTE_PGM_RSRC2:TGID_X_EN: 1
; COMPUTE_PGM_RSRC2:TGID_Y_EN: 0
; COMPUTE_PGM_RSRC2:TGID_Z_EN: 0
; COMPUTE_PGM_RSRC2:TIDIG_COMP_CNT: 0
; COMPUTE_PGM_RSRC3_GFX90A:ACCUM_OFFSET: 0
; COMPUTE_PGM_RSRC3_GFX90A:TG_SPLIT: 0
	.section	.text._ZN7rocprim17ROCPRIM_400000_NS6detail17trampoline_kernelINS0_14default_configENS1_27scan_by_key_config_selectorIifEEZZNS1_16scan_by_key_implILNS1_25lookback_scan_determinismE0ELb1ES3_N6thrust23THRUST_200600_302600_NS6detail15normal_iteratorINS9_10device_ptrIiEEEENSB_INSC_IjEEEESE_fNS9_4plusIvEENS9_8equal_toIvEEfEE10hipError_tPvRmT2_T3_T4_T5_mT6_T7_P12ihipStream_tbENKUlT_T0_E_clISt17integral_constantIbLb1EES11_EEDaSW_SX_EUlSW_E_NS1_11comp_targetILNS1_3genE10ELNS1_11target_archE1200ELNS1_3gpuE4ELNS1_3repE0EEENS1_30default_config_static_selectorELNS0_4arch9wavefront6targetE1EEEvT1_,"axG",@progbits,_ZN7rocprim17ROCPRIM_400000_NS6detail17trampoline_kernelINS0_14default_configENS1_27scan_by_key_config_selectorIifEEZZNS1_16scan_by_key_implILNS1_25lookback_scan_determinismE0ELb1ES3_N6thrust23THRUST_200600_302600_NS6detail15normal_iteratorINS9_10device_ptrIiEEEENSB_INSC_IjEEEESE_fNS9_4plusIvEENS9_8equal_toIvEEfEE10hipError_tPvRmT2_T3_T4_T5_mT6_T7_P12ihipStream_tbENKUlT_T0_E_clISt17integral_constantIbLb1EES11_EEDaSW_SX_EUlSW_E_NS1_11comp_targetILNS1_3genE10ELNS1_11target_archE1200ELNS1_3gpuE4ELNS1_3repE0EEENS1_30default_config_static_selectorELNS0_4arch9wavefront6targetE1EEEvT1_,comdat
	.protected	_ZN7rocprim17ROCPRIM_400000_NS6detail17trampoline_kernelINS0_14default_configENS1_27scan_by_key_config_selectorIifEEZZNS1_16scan_by_key_implILNS1_25lookback_scan_determinismE0ELb1ES3_N6thrust23THRUST_200600_302600_NS6detail15normal_iteratorINS9_10device_ptrIiEEEENSB_INSC_IjEEEESE_fNS9_4plusIvEENS9_8equal_toIvEEfEE10hipError_tPvRmT2_T3_T4_T5_mT6_T7_P12ihipStream_tbENKUlT_T0_E_clISt17integral_constantIbLb1EES11_EEDaSW_SX_EUlSW_E_NS1_11comp_targetILNS1_3genE10ELNS1_11target_archE1200ELNS1_3gpuE4ELNS1_3repE0EEENS1_30default_config_static_selectorELNS0_4arch9wavefront6targetE1EEEvT1_ ; -- Begin function _ZN7rocprim17ROCPRIM_400000_NS6detail17trampoline_kernelINS0_14default_configENS1_27scan_by_key_config_selectorIifEEZZNS1_16scan_by_key_implILNS1_25lookback_scan_determinismE0ELb1ES3_N6thrust23THRUST_200600_302600_NS6detail15normal_iteratorINS9_10device_ptrIiEEEENSB_INSC_IjEEEESE_fNS9_4plusIvEENS9_8equal_toIvEEfEE10hipError_tPvRmT2_T3_T4_T5_mT6_T7_P12ihipStream_tbENKUlT_T0_E_clISt17integral_constantIbLb1EES11_EEDaSW_SX_EUlSW_E_NS1_11comp_targetILNS1_3genE10ELNS1_11target_archE1200ELNS1_3gpuE4ELNS1_3repE0EEENS1_30default_config_static_selectorELNS0_4arch9wavefront6targetE1EEEvT1_
	.globl	_ZN7rocprim17ROCPRIM_400000_NS6detail17trampoline_kernelINS0_14default_configENS1_27scan_by_key_config_selectorIifEEZZNS1_16scan_by_key_implILNS1_25lookback_scan_determinismE0ELb1ES3_N6thrust23THRUST_200600_302600_NS6detail15normal_iteratorINS9_10device_ptrIiEEEENSB_INSC_IjEEEESE_fNS9_4plusIvEENS9_8equal_toIvEEfEE10hipError_tPvRmT2_T3_T4_T5_mT6_T7_P12ihipStream_tbENKUlT_T0_E_clISt17integral_constantIbLb1EES11_EEDaSW_SX_EUlSW_E_NS1_11comp_targetILNS1_3genE10ELNS1_11target_archE1200ELNS1_3gpuE4ELNS1_3repE0EEENS1_30default_config_static_selectorELNS0_4arch9wavefront6targetE1EEEvT1_
	.p2align	8
	.type	_ZN7rocprim17ROCPRIM_400000_NS6detail17trampoline_kernelINS0_14default_configENS1_27scan_by_key_config_selectorIifEEZZNS1_16scan_by_key_implILNS1_25lookback_scan_determinismE0ELb1ES3_N6thrust23THRUST_200600_302600_NS6detail15normal_iteratorINS9_10device_ptrIiEEEENSB_INSC_IjEEEESE_fNS9_4plusIvEENS9_8equal_toIvEEfEE10hipError_tPvRmT2_T3_T4_T5_mT6_T7_P12ihipStream_tbENKUlT_T0_E_clISt17integral_constantIbLb1EES11_EEDaSW_SX_EUlSW_E_NS1_11comp_targetILNS1_3genE10ELNS1_11target_archE1200ELNS1_3gpuE4ELNS1_3repE0EEENS1_30default_config_static_selectorELNS0_4arch9wavefront6targetE1EEEvT1_,@function
_ZN7rocprim17ROCPRIM_400000_NS6detail17trampoline_kernelINS0_14default_configENS1_27scan_by_key_config_selectorIifEEZZNS1_16scan_by_key_implILNS1_25lookback_scan_determinismE0ELb1ES3_N6thrust23THRUST_200600_302600_NS6detail15normal_iteratorINS9_10device_ptrIiEEEENSB_INSC_IjEEEESE_fNS9_4plusIvEENS9_8equal_toIvEEfEE10hipError_tPvRmT2_T3_T4_T5_mT6_T7_P12ihipStream_tbENKUlT_T0_E_clISt17integral_constantIbLb1EES11_EEDaSW_SX_EUlSW_E_NS1_11comp_targetILNS1_3genE10ELNS1_11target_archE1200ELNS1_3gpuE4ELNS1_3repE0EEENS1_30default_config_static_selectorELNS0_4arch9wavefront6targetE1EEEvT1_: ; @_ZN7rocprim17ROCPRIM_400000_NS6detail17trampoline_kernelINS0_14default_configENS1_27scan_by_key_config_selectorIifEEZZNS1_16scan_by_key_implILNS1_25lookback_scan_determinismE0ELb1ES3_N6thrust23THRUST_200600_302600_NS6detail15normal_iteratorINS9_10device_ptrIiEEEENSB_INSC_IjEEEESE_fNS9_4plusIvEENS9_8equal_toIvEEfEE10hipError_tPvRmT2_T3_T4_T5_mT6_T7_P12ihipStream_tbENKUlT_T0_E_clISt17integral_constantIbLb1EES11_EEDaSW_SX_EUlSW_E_NS1_11comp_targetILNS1_3genE10ELNS1_11target_archE1200ELNS1_3gpuE4ELNS1_3repE0EEENS1_30default_config_static_selectorELNS0_4arch9wavefront6targetE1EEEvT1_
; %bb.0:
	.section	.rodata,"a",@progbits
	.p2align	6, 0x0
	.amdhsa_kernel _ZN7rocprim17ROCPRIM_400000_NS6detail17trampoline_kernelINS0_14default_configENS1_27scan_by_key_config_selectorIifEEZZNS1_16scan_by_key_implILNS1_25lookback_scan_determinismE0ELb1ES3_N6thrust23THRUST_200600_302600_NS6detail15normal_iteratorINS9_10device_ptrIiEEEENSB_INSC_IjEEEESE_fNS9_4plusIvEENS9_8equal_toIvEEfEE10hipError_tPvRmT2_T3_T4_T5_mT6_T7_P12ihipStream_tbENKUlT_T0_E_clISt17integral_constantIbLb1EES11_EEDaSW_SX_EUlSW_E_NS1_11comp_targetILNS1_3genE10ELNS1_11target_archE1200ELNS1_3gpuE4ELNS1_3repE0EEENS1_30default_config_static_selectorELNS0_4arch9wavefront6targetE1EEEvT1_
		.amdhsa_group_segment_fixed_size 0
		.amdhsa_private_segment_fixed_size 0
		.amdhsa_kernarg_size 112
		.amdhsa_user_sgpr_count 2
		.amdhsa_user_sgpr_dispatch_ptr 0
		.amdhsa_user_sgpr_queue_ptr 0
		.amdhsa_user_sgpr_kernarg_segment_ptr 1
		.amdhsa_user_sgpr_dispatch_id 0
		.amdhsa_user_sgpr_kernarg_preload_length 0
		.amdhsa_user_sgpr_kernarg_preload_offset 0
		.amdhsa_user_sgpr_private_segment_size 0
		.amdhsa_uses_dynamic_stack 0
		.amdhsa_enable_private_segment 0
		.amdhsa_system_sgpr_workgroup_id_x 1
		.amdhsa_system_sgpr_workgroup_id_y 0
		.amdhsa_system_sgpr_workgroup_id_z 0
		.amdhsa_system_sgpr_workgroup_info 0
		.amdhsa_system_vgpr_workitem_id 0
		.amdhsa_next_free_vgpr 1
		.amdhsa_next_free_sgpr 0
		.amdhsa_accum_offset 4
		.amdhsa_reserve_vcc 0
		.amdhsa_float_round_mode_32 0
		.amdhsa_float_round_mode_16_64 0
		.amdhsa_float_denorm_mode_32 3
		.amdhsa_float_denorm_mode_16_64 3
		.amdhsa_dx10_clamp 1
		.amdhsa_ieee_mode 1
		.amdhsa_fp16_overflow 0
		.amdhsa_tg_split 0
		.amdhsa_exception_fp_ieee_invalid_op 0
		.amdhsa_exception_fp_denorm_src 0
		.amdhsa_exception_fp_ieee_div_zero 0
		.amdhsa_exception_fp_ieee_overflow 0
		.amdhsa_exception_fp_ieee_underflow 0
		.amdhsa_exception_fp_ieee_inexact 0
		.amdhsa_exception_int_div_zero 0
	.end_amdhsa_kernel
	.section	.text._ZN7rocprim17ROCPRIM_400000_NS6detail17trampoline_kernelINS0_14default_configENS1_27scan_by_key_config_selectorIifEEZZNS1_16scan_by_key_implILNS1_25lookback_scan_determinismE0ELb1ES3_N6thrust23THRUST_200600_302600_NS6detail15normal_iteratorINS9_10device_ptrIiEEEENSB_INSC_IjEEEESE_fNS9_4plusIvEENS9_8equal_toIvEEfEE10hipError_tPvRmT2_T3_T4_T5_mT6_T7_P12ihipStream_tbENKUlT_T0_E_clISt17integral_constantIbLb1EES11_EEDaSW_SX_EUlSW_E_NS1_11comp_targetILNS1_3genE10ELNS1_11target_archE1200ELNS1_3gpuE4ELNS1_3repE0EEENS1_30default_config_static_selectorELNS0_4arch9wavefront6targetE1EEEvT1_,"axG",@progbits,_ZN7rocprim17ROCPRIM_400000_NS6detail17trampoline_kernelINS0_14default_configENS1_27scan_by_key_config_selectorIifEEZZNS1_16scan_by_key_implILNS1_25lookback_scan_determinismE0ELb1ES3_N6thrust23THRUST_200600_302600_NS6detail15normal_iteratorINS9_10device_ptrIiEEEENSB_INSC_IjEEEESE_fNS9_4plusIvEENS9_8equal_toIvEEfEE10hipError_tPvRmT2_T3_T4_T5_mT6_T7_P12ihipStream_tbENKUlT_T0_E_clISt17integral_constantIbLb1EES11_EEDaSW_SX_EUlSW_E_NS1_11comp_targetILNS1_3genE10ELNS1_11target_archE1200ELNS1_3gpuE4ELNS1_3repE0EEENS1_30default_config_static_selectorELNS0_4arch9wavefront6targetE1EEEvT1_,comdat
.Lfunc_end1803:
	.size	_ZN7rocprim17ROCPRIM_400000_NS6detail17trampoline_kernelINS0_14default_configENS1_27scan_by_key_config_selectorIifEEZZNS1_16scan_by_key_implILNS1_25lookback_scan_determinismE0ELb1ES3_N6thrust23THRUST_200600_302600_NS6detail15normal_iteratorINS9_10device_ptrIiEEEENSB_INSC_IjEEEESE_fNS9_4plusIvEENS9_8equal_toIvEEfEE10hipError_tPvRmT2_T3_T4_T5_mT6_T7_P12ihipStream_tbENKUlT_T0_E_clISt17integral_constantIbLb1EES11_EEDaSW_SX_EUlSW_E_NS1_11comp_targetILNS1_3genE10ELNS1_11target_archE1200ELNS1_3gpuE4ELNS1_3repE0EEENS1_30default_config_static_selectorELNS0_4arch9wavefront6targetE1EEEvT1_, .Lfunc_end1803-_ZN7rocprim17ROCPRIM_400000_NS6detail17trampoline_kernelINS0_14default_configENS1_27scan_by_key_config_selectorIifEEZZNS1_16scan_by_key_implILNS1_25lookback_scan_determinismE0ELb1ES3_N6thrust23THRUST_200600_302600_NS6detail15normal_iteratorINS9_10device_ptrIiEEEENSB_INSC_IjEEEESE_fNS9_4plusIvEENS9_8equal_toIvEEfEE10hipError_tPvRmT2_T3_T4_T5_mT6_T7_P12ihipStream_tbENKUlT_T0_E_clISt17integral_constantIbLb1EES11_EEDaSW_SX_EUlSW_E_NS1_11comp_targetILNS1_3genE10ELNS1_11target_archE1200ELNS1_3gpuE4ELNS1_3repE0EEENS1_30default_config_static_selectorELNS0_4arch9wavefront6targetE1EEEvT1_
                                        ; -- End function
	.section	.AMDGPU.csdata,"",@progbits
; Kernel info:
; codeLenInByte = 0
; NumSgprs: 6
; NumVgprs: 0
; NumAgprs: 0
; TotalNumVgprs: 0
; ScratchSize: 0
; MemoryBound: 0
; FloatMode: 240
; IeeeMode: 1
; LDSByteSize: 0 bytes/workgroup (compile time only)
; SGPRBlocks: 0
; VGPRBlocks: 0
; NumSGPRsForWavesPerEU: 6
; NumVGPRsForWavesPerEU: 1
; AccumOffset: 4
; Occupancy: 8
; WaveLimiterHint : 0
; COMPUTE_PGM_RSRC2:SCRATCH_EN: 0
; COMPUTE_PGM_RSRC2:USER_SGPR: 2
; COMPUTE_PGM_RSRC2:TRAP_HANDLER: 0
; COMPUTE_PGM_RSRC2:TGID_X_EN: 1
; COMPUTE_PGM_RSRC2:TGID_Y_EN: 0
; COMPUTE_PGM_RSRC2:TGID_Z_EN: 0
; COMPUTE_PGM_RSRC2:TIDIG_COMP_CNT: 0
; COMPUTE_PGM_RSRC3_GFX90A:ACCUM_OFFSET: 0
; COMPUTE_PGM_RSRC3_GFX90A:TG_SPLIT: 0
	.section	.text._ZN7rocprim17ROCPRIM_400000_NS6detail17trampoline_kernelINS0_14default_configENS1_27scan_by_key_config_selectorIifEEZZNS1_16scan_by_key_implILNS1_25lookback_scan_determinismE0ELb1ES3_N6thrust23THRUST_200600_302600_NS6detail15normal_iteratorINS9_10device_ptrIiEEEENSB_INSC_IjEEEESE_fNS9_4plusIvEENS9_8equal_toIvEEfEE10hipError_tPvRmT2_T3_T4_T5_mT6_T7_P12ihipStream_tbENKUlT_T0_E_clISt17integral_constantIbLb1EES11_EEDaSW_SX_EUlSW_E_NS1_11comp_targetILNS1_3genE9ELNS1_11target_archE1100ELNS1_3gpuE3ELNS1_3repE0EEENS1_30default_config_static_selectorELNS0_4arch9wavefront6targetE1EEEvT1_,"axG",@progbits,_ZN7rocprim17ROCPRIM_400000_NS6detail17trampoline_kernelINS0_14default_configENS1_27scan_by_key_config_selectorIifEEZZNS1_16scan_by_key_implILNS1_25lookback_scan_determinismE0ELb1ES3_N6thrust23THRUST_200600_302600_NS6detail15normal_iteratorINS9_10device_ptrIiEEEENSB_INSC_IjEEEESE_fNS9_4plusIvEENS9_8equal_toIvEEfEE10hipError_tPvRmT2_T3_T4_T5_mT6_T7_P12ihipStream_tbENKUlT_T0_E_clISt17integral_constantIbLb1EES11_EEDaSW_SX_EUlSW_E_NS1_11comp_targetILNS1_3genE9ELNS1_11target_archE1100ELNS1_3gpuE3ELNS1_3repE0EEENS1_30default_config_static_selectorELNS0_4arch9wavefront6targetE1EEEvT1_,comdat
	.protected	_ZN7rocprim17ROCPRIM_400000_NS6detail17trampoline_kernelINS0_14default_configENS1_27scan_by_key_config_selectorIifEEZZNS1_16scan_by_key_implILNS1_25lookback_scan_determinismE0ELb1ES3_N6thrust23THRUST_200600_302600_NS6detail15normal_iteratorINS9_10device_ptrIiEEEENSB_INSC_IjEEEESE_fNS9_4plusIvEENS9_8equal_toIvEEfEE10hipError_tPvRmT2_T3_T4_T5_mT6_T7_P12ihipStream_tbENKUlT_T0_E_clISt17integral_constantIbLb1EES11_EEDaSW_SX_EUlSW_E_NS1_11comp_targetILNS1_3genE9ELNS1_11target_archE1100ELNS1_3gpuE3ELNS1_3repE0EEENS1_30default_config_static_selectorELNS0_4arch9wavefront6targetE1EEEvT1_ ; -- Begin function _ZN7rocprim17ROCPRIM_400000_NS6detail17trampoline_kernelINS0_14default_configENS1_27scan_by_key_config_selectorIifEEZZNS1_16scan_by_key_implILNS1_25lookback_scan_determinismE0ELb1ES3_N6thrust23THRUST_200600_302600_NS6detail15normal_iteratorINS9_10device_ptrIiEEEENSB_INSC_IjEEEESE_fNS9_4plusIvEENS9_8equal_toIvEEfEE10hipError_tPvRmT2_T3_T4_T5_mT6_T7_P12ihipStream_tbENKUlT_T0_E_clISt17integral_constantIbLb1EES11_EEDaSW_SX_EUlSW_E_NS1_11comp_targetILNS1_3genE9ELNS1_11target_archE1100ELNS1_3gpuE3ELNS1_3repE0EEENS1_30default_config_static_selectorELNS0_4arch9wavefront6targetE1EEEvT1_
	.globl	_ZN7rocprim17ROCPRIM_400000_NS6detail17trampoline_kernelINS0_14default_configENS1_27scan_by_key_config_selectorIifEEZZNS1_16scan_by_key_implILNS1_25lookback_scan_determinismE0ELb1ES3_N6thrust23THRUST_200600_302600_NS6detail15normal_iteratorINS9_10device_ptrIiEEEENSB_INSC_IjEEEESE_fNS9_4plusIvEENS9_8equal_toIvEEfEE10hipError_tPvRmT2_T3_T4_T5_mT6_T7_P12ihipStream_tbENKUlT_T0_E_clISt17integral_constantIbLb1EES11_EEDaSW_SX_EUlSW_E_NS1_11comp_targetILNS1_3genE9ELNS1_11target_archE1100ELNS1_3gpuE3ELNS1_3repE0EEENS1_30default_config_static_selectorELNS0_4arch9wavefront6targetE1EEEvT1_
	.p2align	8
	.type	_ZN7rocprim17ROCPRIM_400000_NS6detail17trampoline_kernelINS0_14default_configENS1_27scan_by_key_config_selectorIifEEZZNS1_16scan_by_key_implILNS1_25lookback_scan_determinismE0ELb1ES3_N6thrust23THRUST_200600_302600_NS6detail15normal_iteratorINS9_10device_ptrIiEEEENSB_INSC_IjEEEESE_fNS9_4plusIvEENS9_8equal_toIvEEfEE10hipError_tPvRmT2_T3_T4_T5_mT6_T7_P12ihipStream_tbENKUlT_T0_E_clISt17integral_constantIbLb1EES11_EEDaSW_SX_EUlSW_E_NS1_11comp_targetILNS1_3genE9ELNS1_11target_archE1100ELNS1_3gpuE3ELNS1_3repE0EEENS1_30default_config_static_selectorELNS0_4arch9wavefront6targetE1EEEvT1_,@function
_ZN7rocprim17ROCPRIM_400000_NS6detail17trampoline_kernelINS0_14default_configENS1_27scan_by_key_config_selectorIifEEZZNS1_16scan_by_key_implILNS1_25lookback_scan_determinismE0ELb1ES3_N6thrust23THRUST_200600_302600_NS6detail15normal_iteratorINS9_10device_ptrIiEEEENSB_INSC_IjEEEESE_fNS9_4plusIvEENS9_8equal_toIvEEfEE10hipError_tPvRmT2_T3_T4_T5_mT6_T7_P12ihipStream_tbENKUlT_T0_E_clISt17integral_constantIbLb1EES11_EEDaSW_SX_EUlSW_E_NS1_11comp_targetILNS1_3genE9ELNS1_11target_archE1100ELNS1_3gpuE3ELNS1_3repE0EEENS1_30default_config_static_selectorELNS0_4arch9wavefront6targetE1EEEvT1_: ; @_ZN7rocprim17ROCPRIM_400000_NS6detail17trampoline_kernelINS0_14default_configENS1_27scan_by_key_config_selectorIifEEZZNS1_16scan_by_key_implILNS1_25lookback_scan_determinismE0ELb1ES3_N6thrust23THRUST_200600_302600_NS6detail15normal_iteratorINS9_10device_ptrIiEEEENSB_INSC_IjEEEESE_fNS9_4plusIvEENS9_8equal_toIvEEfEE10hipError_tPvRmT2_T3_T4_T5_mT6_T7_P12ihipStream_tbENKUlT_T0_E_clISt17integral_constantIbLb1EES11_EEDaSW_SX_EUlSW_E_NS1_11comp_targetILNS1_3genE9ELNS1_11target_archE1100ELNS1_3gpuE3ELNS1_3repE0EEENS1_30default_config_static_selectorELNS0_4arch9wavefront6targetE1EEEvT1_
; %bb.0:
	.section	.rodata,"a",@progbits
	.p2align	6, 0x0
	.amdhsa_kernel _ZN7rocprim17ROCPRIM_400000_NS6detail17trampoline_kernelINS0_14default_configENS1_27scan_by_key_config_selectorIifEEZZNS1_16scan_by_key_implILNS1_25lookback_scan_determinismE0ELb1ES3_N6thrust23THRUST_200600_302600_NS6detail15normal_iteratorINS9_10device_ptrIiEEEENSB_INSC_IjEEEESE_fNS9_4plusIvEENS9_8equal_toIvEEfEE10hipError_tPvRmT2_T3_T4_T5_mT6_T7_P12ihipStream_tbENKUlT_T0_E_clISt17integral_constantIbLb1EES11_EEDaSW_SX_EUlSW_E_NS1_11comp_targetILNS1_3genE9ELNS1_11target_archE1100ELNS1_3gpuE3ELNS1_3repE0EEENS1_30default_config_static_selectorELNS0_4arch9wavefront6targetE1EEEvT1_
		.amdhsa_group_segment_fixed_size 0
		.amdhsa_private_segment_fixed_size 0
		.amdhsa_kernarg_size 112
		.amdhsa_user_sgpr_count 2
		.amdhsa_user_sgpr_dispatch_ptr 0
		.amdhsa_user_sgpr_queue_ptr 0
		.amdhsa_user_sgpr_kernarg_segment_ptr 1
		.amdhsa_user_sgpr_dispatch_id 0
		.amdhsa_user_sgpr_kernarg_preload_length 0
		.amdhsa_user_sgpr_kernarg_preload_offset 0
		.amdhsa_user_sgpr_private_segment_size 0
		.amdhsa_uses_dynamic_stack 0
		.amdhsa_enable_private_segment 0
		.amdhsa_system_sgpr_workgroup_id_x 1
		.amdhsa_system_sgpr_workgroup_id_y 0
		.amdhsa_system_sgpr_workgroup_id_z 0
		.amdhsa_system_sgpr_workgroup_info 0
		.amdhsa_system_vgpr_workitem_id 0
		.amdhsa_next_free_vgpr 1
		.amdhsa_next_free_sgpr 0
		.amdhsa_accum_offset 4
		.amdhsa_reserve_vcc 0
		.amdhsa_float_round_mode_32 0
		.amdhsa_float_round_mode_16_64 0
		.amdhsa_float_denorm_mode_32 3
		.amdhsa_float_denorm_mode_16_64 3
		.amdhsa_dx10_clamp 1
		.amdhsa_ieee_mode 1
		.amdhsa_fp16_overflow 0
		.amdhsa_tg_split 0
		.amdhsa_exception_fp_ieee_invalid_op 0
		.amdhsa_exception_fp_denorm_src 0
		.amdhsa_exception_fp_ieee_div_zero 0
		.amdhsa_exception_fp_ieee_overflow 0
		.amdhsa_exception_fp_ieee_underflow 0
		.amdhsa_exception_fp_ieee_inexact 0
		.amdhsa_exception_int_div_zero 0
	.end_amdhsa_kernel
	.section	.text._ZN7rocprim17ROCPRIM_400000_NS6detail17trampoline_kernelINS0_14default_configENS1_27scan_by_key_config_selectorIifEEZZNS1_16scan_by_key_implILNS1_25lookback_scan_determinismE0ELb1ES3_N6thrust23THRUST_200600_302600_NS6detail15normal_iteratorINS9_10device_ptrIiEEEENSB_INSC_IjEEEESE_fNS9_4plusIvEENS9_8equal_toIvEEfEE10hipError_tPvRmT2_T3_T4_T5_mT6_T7_P12ihipStream_tbENKUlT_T0_E_clISt17integral_constantIbLb1EES11_EEDaSW_SX_EUlSW_E_NS1_11comp_targetILNS1_3genE9ELNS1_11target_archE1100ELNS1_3gpuE3ELNS1_3repE0EEENS1_30default_config_static_selectorELNS0_4arch9wavefront6targetE1EEEvT1_,"axG",@progbits,_ZN7rocprim17ROCPRIM_400000_NS6detail17trampoline_kernelINS0_14default_configENS1_27scan_by_key_config_selectorIifEEZZNS1_16scan_by_key_implILNS1_25lookback_scan_determinismE0ELb1ES3_N6thrust23THRUST_200600_302600_NS6detail15normal_iteratorINS9_10device_ptrIiEEEENSB_INSC_IjEEEESE_fNS9_4plusIvEENS9_8equal_toIvEEfEE10hipError_tPvRmT2_T3_T4_T5_mT6_T7_P12ihipStream_tbENKUlT_T0_E_clISt17integral_constantIbLb1EES11_EEDaSW_SX_EUlSW_E_NS1_11comp_targetILNS1_3genE9ELNS1_11target_archE1100ELNS1_3gpuE3ELNS1_3repE0EEENS1_30default_config_static_selectorELNS0_4arch9wavefront6targetE1EEEvT1_,comdat
.Lfunc_end1804:
	.size	_ZN7rocprim17ROCPRIM_400000_NS6detail17trampoline_kernelINS0_14default_configENS1_27scan_by_key_config_selectorIifEEZZNS1_16scan_by_key_implILNS1_25lookback_scan_determinismE0ELb1ES3_N6thrust23THRUST_200600_302600_NS6detail15normal_iteratorINS9_10device_ptrIiEEEENSB_INSC_IjEEEESE_fNS9_4plusIvEENS9_8equal_toIvEEfEE10hipError_tPvRmT2_T3_T4_T5_mT6_T7_P12ihipStream_tbENKUlT_T0_E_clISt17integral_constantIbLb1EES11_EEDaSW_SX_EUlSW_E_NS1_11comp_targetILNS1_3genE9ELNS1_11target_archE1100ELNS1_3gpuE3ELNS1_3repE0EEENS1_30default_config_static_selectorELNS0_4arch9wavefront6targetE1EEEvT1_, .Lfunc_end1804-_ZN7rocprim17ROCPRIM_400000_NS6detail17trampoline_kernelINS0_14default_configENS1_27scan_by_key_config_selectorIifEEZZNS1_16scan_by_key_implILNS1_25lookback_scan_determinismE0ELb1ES3_N6thrust23THRUST_200600_302600_NS6detail15normal_iteratorINS9_10device_ptrIiEEEENSB_INSC_IjEEEESE_fNS9_4plusIvEENS9_8equal_toIvEEfEE10hipError_tPvRmT2_T3_T4_T5_mT6_T7_P12ihipStream_tbENKUlT_T0_E_clISt17integral_constantIbLb1EES11_EEDaSW_SX_EUlSW_E_NS1_11comp_targetILNS1_3genE9ELNS1_11target_archE1100ELNS1_3gpuE3ELNS1_3repE0EEENS1_30default_config_static_selectorELNS0_4arch9wavefront6targetE1EEEvT1_
                                        ; -- End function
	.section	.AMDGPU.csdata,"",@progbits
; Kernel info:
; codeLenInByte = 0
; NumSgprs: 6
; NumVgprs: 0
; NumAgprs: 0
; TotalNumVgprs: 0
; ScratchSize: 0
; MemoryBound: 0
; FloatMode: 240
; IeeeMode: 1
; LDSByteSize: 0 bytes/workgroup (compile time only)
; SGPRBlocks: 0
; VGPRBlocks: 0
; NumSGPRsForWavesPerEU: 6
; NumVGPRsForWavesPerEU: 1
; AccumOffset: 4
; Occupancy: 8
; WaveLimiterHint : 0
; COMPUTE_PGM_RSRC2:SCRATCH_EN: 0
; COMPUTE_PGM_RSRC2:USER_SGPR: 2
; COMPUTE_PGM_RSRC2:TRAP_HANDLER: 0
; COMPUTE_PGM_RSRC2:TGID_X_EN: 1
; COMPUTE_PGM_RSRC2:TGID_Y_EN: 0
; COMPUTE_PGM_RSRC2:TGID_Z_EN: 0
; COMPUTE_PGM_RSRC2:TIDIG_COMP_CNT: 0
; COMPUTE_PGM_RSRC3_GFX90A:ACCUM_OFFSET: 0
; COMPUTE_PGM_RSRC3_GFX90A:TG_SPLIT: 0
	.section	.text._ZN7rocprim17ROCPRIM_400000_NS6detail17trampoline_kernelINS0_14default_configENS1_27scan_by_key_config_selectorIifEEZZNS1_16scan_by_key_implILNS1_25lookback_scan_determinismE0ELb1ES3_N6thrust23THRUST_200600_302600_NS6detail15normal_iteratorINS9_10device_ptrIiEEEENSB_INSC_IjEEEESE_fNS9_4plusIvEENS9_8equal_toIvEEfEE10hipError_tPvRmT2_T3_T4_T5_mT6_T7_P12ihipStream_tbENKUlT_T0_E_clISt17integral_constantIbLb1EES11_EEDaSW_SX_EUlSW_E_NS1_11comp_targetILNS1_3genE8ELNS1_11target_archE1030ELNS1_3gpuE2ELNS1_3repE0EEENS1_30default_config_static_selectorELNS0_4arch9wavefront6targetE1EEEvT1_,"axG",@progbits,_ZN7rocprim17ROCPRIM_400000_NS6detail17trampoline_kernelINS0_14default_configENS1_27scan_by_key_config_selectorIifEEZZNS1_16scan_by_key_implILNS1_25lookback_scan_determinismE0ELb1ES3_N6thrust23THRUST_200600_302600_NS6detail15normal_iteratorINS9_10device_ptrIiEEEENSB_INSC_IjEEEESE_fNS9_4plusIvEENS9_8equal_toIvEEfEE10hipError_tPvRmT2_T3_T4_T5_mT6_T7_P12ihipStream_tbENKUlT_T0_E_clISt17integral_constantIbLb1EES11_EEDaSW_SX_EUlSW_E_NS1_11comp_targetILNS1_3genE8ELNS1_11target_archE1030ELNS1_3gpuE2ELNS1_3repE0EEENS1_30default_config_static_selectorELNS0_4arch9wavefront6targetE1EEEvT1_,comdat
	.protected	_ZN7rocprim17ROCPRIM_400000_NS6detail17trampoline_kernelINS0_14default_configENS1_27scan_by_key_config_selectorIifEEZZNS1_16scan_by_key_implILNS1_25lookback_scan_determinismE0ELb1ES3_N6thrust23THRUST_200600_302600_NS6detail15normal_iteratorINS9_10device_ptrIiEEEENSB_INSC_IjEEEESE_fNS9_4plusIvEENS9_8equal_toIvEEfEE10hipError_tPvRmT2_T3_T4_T5_mT6_T7_P12ihipStream_tbENKUlT_T0_E_clISt17integral_constantIbLb1EES11_EEDaSW_SX_EUlSW_E_NS1_11comp_targetILNS1_3genE8ELNS1_11target_archE1030ELNS1_3gpuE2ELNS1_3repE0EEENS1_30default_config_static_selectorELNS0_4arch9wavefront6targetE1EEEvT1_ ; -- Begin function _ZN7rocprim17ROCPRIM_400000_NS6detail17trampoline_kernelINS0_14default_configENS1_27scan_by_key_config_selectorIifEEZZNS1_16scan_by_key_implILNS1_25lookback_scan_determinismE0ELb1ES3_N6thrust23THRUST_200600_302600_NS6detail15normal_iteratorINS9_10device_ptrIiEEEENSB_INSC_IjEEEESE_fNS9_4plusIvEENS9_8equal_toIvEEfEE10hipError_tPvRmT2_T3_T4_T5_mT6_T7_P12ihipStream_tbENKUlT_T0_E_clISt17integral_constantIbLb1EES11_EEDaSW_SX_EUlSW_E_NS1_11comp_targetILNS1_3genE8ELNS1_11target_archE1030ELNS1_3gpuE2ELNS1_3repE0EEENS1_30default_config_static_selectorELNS0_4arch9wavefront6targetE1EEEvT1_
	.globl	_ZN7rocprim17ROCPRIM_400000_NS6detail17trampoline_kernelINS0_14default_configENS1_27scan_by_key_config_selectorIifEEZZNS1_16scan_by_key_implILNS1_25lookback_scan_determinismE0ELb1ES3_N6thrust23THRUST_200600_302600_NS6detail15normal_iteratorINS9_10device_ptrIiEEEENSB_INSC_IjEEEESE_fNS9_4plusIvEENS9_8equal_toIvEEfEE10hipError_tPvRmT2_T3_T4_T5_mT6_T7_P12ihipStream_tbENKUlT_T0_E_clISt17integral_constantIbLb1EES11_EEDaSW_SX_EUlSW_E_NS1_11comp_targetILNS1_3genE8ELNS1_11target_archE1030ELNS1_3gpuE2ELNS1_3repE0EEENS1_30default_config_static_selectorELNS0_4arch9wavefront6targetE1EEEvT1_
	.p2align	8
	.type	_ZN7rocprim17ROCPRIM_400000_NS6detail17trampoline_kernelINS0_14default_configENS1_27scan_by_key_config_selectorIifEEZZNS1_16scan_by_key_implILNS1_25lookback_scan_determinismE0ELb1ES3_N6thrust23THRUST_200600_302600_NS6detail15normal_iteratorINS9_10device_ptrIiEEEENSB_INSC_IjEEEESE_fNS9_4plusIvEENS9_8equal_toIvEEfEE10hipError_tPvRmT2_T3_T4_T5_mT6_T7_P12ihipStream_tbENKUlT_T0_E_clISt17integral_constantIbLb1EES11_EEDaSW_SX_EUlSW_E_NS1_11comp_targetILNS1_3genE8ELNS1_11target_archE1030ELNS1_3gpuE2ELNS1_3repE0EEENS1_30default_config_static_selectorELNS0_4arch9wavefront6targetE1EEEvT1_,@function
_ZN7rocprim17ROCPRIM_400000_NS6detail17trampoline_kernelINS0_14default_configENS1_27scan_by_key_config_selectorIifEEZZNS1_16scan_by_key_implILNS1_25lookback_scan_determinismE0ELb1ES3_N6thrust23THRUST_200600_302600_NS6detail15normal_iteratorINS9_10device_ptrIiEEEENSB_INSC_IjEEEESE_fNS9_4plusIvEENS9_8equal_toIvEEfEE10hipError_tPvRmT2_T3_T4_T5_mT6_T7_P12ihipStream_tbENKUlT_T0_E_clISt17integral_constantIbLb1EES11_EEDaSW_SX_EUlSW_E_NS1_11comp_targetILNS1_3genE8ELNS1_11target_archE1030ELNS1_3gpuE2ELNS1_3repE0EEENS1_30default_config_static_selectorELNS0_4arch9wavefront6targetE1EEEvT1_: ; @_ZN7rocprim17ROCPRIM_400000_NS6detail17trampoline_kernelINS0_14default_configENS1_27scan_by_key_config_selectorIifEEZZNS1_16scan_by_key_implILNS1_25lookback_scan_determinismE0ELb1ES3_N6thrust23THRUST_200600_302600_NS6detail15normal_iteratorINS9_10device_ptrIiEEEENSB_INSC_IjEEEESE_fNS9_4plusIvEENS9_8equal_toIvEEfEE10hipError_tPvRmT2_T3_T4_T5_mT6_T7_P12ihipStream_tbENKUlT_T0_E_clISt17integral_constantIbLb1EES11_EEDaSW_SX_EUlSW_E_NS1_11comp_targetILNS1_3genE8ELNS1_11target_archE1030ELNS1_3gpuE2ELNS1_3repE0EEENS1_30default_config_static_selectorELNS0_4arch9wavefront6targetE1EEEvT1_
; %bb.0:
	.section	.rodata,"a",@progbits
	.p2align	6, 0x0
	.amdhsa_kernel _ZN7rocprim17ROCPRIM_400000_NS6detail17trampoline_kernelINS0_14default_configENS1_27scan_by_key_config_selectorIifEEZZNS1_16scan_by_key_implILNS1_25lookback_scan_determinismE0ELb1ES3_N6thrust23THRUST_200600_302600_NS6detail15normal_iteratorINS9_10device_ptrIiEEEENSB_INSC_IjEEEESE_fNS9_4plusIvEENS9_8equal_toIvEEfEE10hipError_tPvRmT2_T3_T4_T5_mT6_T7_P12ihipStream_tbENKUlT_T0_E_clISt17integral_constantIbLb1EES11_EEDaSW_SX_EUlSW_E_NS1_11comp_targetILNS1_3genE8ELNS1_11target_archE1030ELNS1_3gpuE2ELNS1_3repE0EEENS1_30default_config_static_selectorELNS0_4arch9wavefront6targetE1EEEvT1_
		.amdhsa_group_segment_fixed_size 0
		.amdhsa_private_segment_fixed_size 0
		.amdhsa_kernarg_size 112
		.amdhsa_user_sgpr_count 2
		.amdhsa_user_sgpr_dispatch_ptr 0
		.amdhsa_user_sgpr_queue_ptr 0
		.amdhsa_user_sgpr_kernarg_segment_ptr 1
		.amdhsa_user_sgpr_dispatch_id 0
		.amdhsa_user_sgpr_kernarg_preload_length 0
		.amdhsa_user_sgpr_kernarg_preload_offset 0
		.amdhsa_user_sgpr_private_segment_size 0
		.amdhsa_uses_dynamic_stack 0
		.amdhsa_enable_private_segment 0
		.amdhsa_system_sgpr_workgroup_id_x 1
		.amdhsa_system_sgpr_workgroup_id_y 0
		.amdhsa_system_sgpr_workgroup_id_z 0
		.amdhsa_system_sgpr_workgroup_info 0
		.amdhsa_system_vgpr_workitem_id 0
		.amdhsa_next_free_vgpr 1
		.amdhsa_next_free_sgpr 0
		.amdhsa_accum_offset 4
		.amdhsa_reserve_vcc 0
		.amdhsa_float_round_mode_32 0
		.amdhsa_float_round_mode_16_64 0
		.amdhsa_float_denorm_mode_32 3
		.amdhsa_float_denorm_mode_16_64 3
		.amdhsa_dx10_clamp 1
		.amdhsa_ieee_mode 1
		.amdhsa_fp16_overflow 0
		.amdhsa_tg_split 0
		.amdhsa_exception_fp_ieee_invalid_op 0
		.amdhsa_exception_fp_denorm_src 0
		.amdhsa_exception_fp_ieee_div_zero 0
		.amdhsa_exception_fp_ieee_overflow 0
		.amdhsa_exception_fp_ieee_underflow 0
		.amdhsa_exception_fp_ieee_inexact 0
		.amdhsa_exception_int_div_zero 0
	.end_amdhsa_kernel
	.section	.text._ZN7rocprim17ROCPRIM_400000_NS6detail17trampoline_kernelINS0_14default_configENS1_27scan_by_key_config_selectorIifEEZZNS1_16scan_by_key_implILNS1_25lookback_scan_determinismE0ELb1ES3_N6thrust23THRUST_200600_302600_NS6detail15normal_iteratorINS9_10device_ptrIiEEEENSB_INSC_IjEEEESE_fNS9_4plusIvEENS9_8equal_toIvEEfEE10hipError_tPvRmT2_T3_T4_T5_mT6_T7_P12ihipStream_tbENKUlT_T0_E_clISt17integral_constantIbLb1EES11_EEDaSW_SX_EUlSW_E_NS1_11comp_targetILNS1_3genE8ELNS1_11target_archE1030ELNS1_3gpuE2ELNS1_3repE0EEENS1_30default_config_static_selectorELNS0_4arch9wavefront6targetE1EEEvT1_,"axG",@progbits,_ZN7rocprim17ROCPRIM_400000_NS6detail17trampoline_kernelINS0_14default_configENS1_27scan_by_key_config_selectorIifEEZZNS1_16scan_by_key_implILNS1_25lookback_scan_determinismE0ELb1ES3_N6thrust23THRUST_200600_302600_NS6detail15normal_iteratorINS9_10device_ptrIiEEEENSB_INSC_IjEEEESE_fNS9_4plusIvEENS9_8equal_toIvEEfEE10hipError_tPvRmT2_T3_T4_T5_mT6_T7_P12ihipStream_tbENKUlT_T0_E_clISt17integral_constantIbLb1EES11_EEDaSW_SX_EUlSW_E_NS1_11comp_targetILNS1_3genE8ELNS1_11target_archE1030ELNS1_3gpuE2ELNS1_3repE0EEENS1_30default_config_static_selectorELNS0_4arch9wavefront6targetE1EEEvT1_,comdat
.Lfunc_end1805:
	.size	_ZN7rocprim17ROCPRIM_400000_NS6detail17trampoline_kernelINS0_14default_configENS1_27scan_by_key_config_selectorIifEEZZNS1_16scan_by_key_implILNS1_25lookback_scan_determinismE0ELb1ES3_N6thrust23THRUST_200600_302600_NS6detail15normal_iteratorINS9_10device_ptrIiEEEENSB_INSC_IjEEEESE_fNS9_4plusIvEENS9_8equal_toIvEEfEE10hipError_tPvRmT2_T3_T4_T5_mT6_T7_P12ihipStream_tbENKUlT_T0_E_clISt17integral_constantIbLb1EES11_EEDaSW_SX_EUlSW_E_NS1_11comp_targetILNS1_3genE8ELNS1_11target_archE1030ELNS1_3gpuE2ELNS1_3repE0EEENS1_30default_config_static_selectorELNS0_4arch9wavefront6targetE1EEEvT1_, .Lfunc_end1805-_ZN7rocprim17ROCPRIM_400000_NS6detail17trampoline_kernelINS0_14default_configENS1_27scan_by_key_config_selectorIifEEZZNS1_16scan_by_key_implILNS1_25lookback_scan_determinismE0ELb1ES3_N6thrust23THRUST_200600_302600_NS6detail15normal_iteratorINS9_10device_ptrIiEEEENSB_INSC_IjEEEESE_fNS9_4plusIvEENS9_8equal_toIvEEfEE10hipError_tPvRmT2_T3_T4_T5_mT6_T7_P12ihipStream_tbENKUlT_T0_E_clISt17integral_constantIbLb1EES11_EEDaSW_SX_EUlSW_E_NS1_11comp_targetILNS1_3genE8ELNS1_11target_archE1030ELNS1_3gpuE2ELNS1_3repE0EEENS1_30default_config_static_selectorELNS0_4arch9wavefront6targetE1EEEvT1_
                                        ; -- End function
	.section	.AMDGPU.csdata,"",@progbits
; Kernel info:
; codeLenInByte = 0
; NumSgprs: 6
; NumVgprs: 0
; NumAgprs: 0
; TotalNumVgprs: 0
; ScratchSize: 0
; MemoryBound: 0
; FloatMode: 240
; IeeeMode: 1
; LDSByteSize: 0 bytes/workgroup (compile time only)
; SGPRBlocks: 0
; VGPRBlocks: 0
; NumSGPRsForWavesPerEU: 6
; NumVGPRsForWavesPerEU: 1
; AccumOffset: 4
; Occupancy: 8
; WaveLimiterHint : 0
; COMPUTE_PGM_RSRC2:SCRATCH_EN: 0
; COMPUTE_PGM_RSRC2:USER_SGPR: 2
; COMPUTE_PGM_RSRC2:TRAP_HANDLER: 0
; COMPUTE_PGM_RSRC2:TGID_X_EN: 1
; COMPUTE_PGM_RSRC2:TGID_Y_EN: 0
; COMPUTE_PGM_RSRC2:TGID_Z_EN: 0
; COMPUTE_PGM_RSRC2:TIDIG_COMP_CNT: 0
; COMPUTE_PGM_RSRC3_GFX90A:ACCUM_OFFSET: 0
; COMPUTE_PGM_RSRC3_GFX90A:TG_SPLIT: 0
	.section	.text._ZN7rocprim17ROCPRIM_400000_NS6detail17trampoline_kernelINS0_14default_configENS1_27scan_by_key_config_selectorIifEEZZNS1_16scan_by_key_implILNS1_25lookback_scan_determinismE0ELb1ES3_N6thrust23THRUST_200600_302600_NS6detail15normal_iteratorINS9_10device_ptrIiEEEENSB_INSC_IjEEEESE_fNS9_4plusIvEENS9_8equal_toIvEEfEE10hipError_tPvRmT2_T3_T4_T5_mT6_T7_P12ihipStream_tbENKUlT_T0_E_clISt17integral_constantIbLb1EES10_IbLb0EEEEDaSW_SX_EUlSW_E_NS1_11comp_targetILNS1_3genE0ELNS1_11target_archE4294967295ELNS1_3gpuE0ELNS1_3repE0EEENS1_30default_config_static_selectorELNS0_4arch9wavefront6targetE1EEEvT1_,"axG",@progbits,_ZN7rocprim17ROCPRIM_400000_NS6detail17trampoline_kernelINS0_14default_configENS1_27scan_by_key_config_selectorIifEEZZNS1_16scan_by_key_implILNS1_25lookback_scan_determinismE0ELb1ES3_N6thrust23THRUST_200600_302600_NS6detail15normal_iteratorINS9_10device_ptrIiEEEENSB_INSC_IjEEEESE_fNS9_4plusIvEENS9_8equal_toIvEEfEE10hipError_tPvRmT2_T3_T4_T5_mT6_T7_P12ihipStream_tbENKUlT_T0_E_clISt17integral_constantIbLb1EES10_IbLb0EEEEDaSW_SX_EUlSW_E_NS1_11comp_targetILNS1_3genE0ELNS1_11target_archE4294967295ELNS1_3gpuE0ELNS1_3repE0EEENS1_30default_config_static_selectorELNS0_4arch9wavefront6targetE1EEEvT1_,comdat
	.protected	_ZN7rocprim17ROCPRIM_400000_NS6detail17trampoline_kernelINS0_14default_configENS1_27scan_by_key_config_selectorIifEEZZNS1_16scan_by_key_implILNS1_25lookback_scan_determinismE0ELb1ES3_N6thrust23THRUST_200600_302600_NS6detail15normal_iteratorINS9_10device_ptrIiEEEENSB_INSC_IjEEEESE_fNS9_4plusIvEENS9_8equal_toIvEEfEE10hipError_tPvRmT2_T3_T4_T5_mT6_T7_P12ihipStream_tbENKUlT_T0_E_clISt17integral_constantIbLb1EES10_IbLb0EEEEDaSW_SX_EUlSW_E_NS1_11comp_targetILNS1_3genE0ELNS1_11target_archE4294967295ELNS1_3gpuE0ELNS1_3repE0EEENS1_30default_config_static_selectorELNS0_4arch9wavefront6targetE1EEEvT1_ ; -- Begin function _ZN7rocprim17ROCPRIM_400000_NS6detail17trampoline_kernelINS0_14default_configENS1_27scan_by_key_config_selectorIifEEZZNS1_16scan_by_key_implILNS1_25lookback_scan_determinismE0ELb1ES3_N6thrust23THRUST_200600_302600_NS6detail15normal_iteratorINS9_10device_ptrIiEEEENSB_INSC_IjEEEESE_fNS9_4plusIvEENS9_8equal_toIvEEfEE10hipError_tPvRmT2_T3_T4_T5_mT6_T7_P12ihipStream_tbENKUlT_T0_E_clISt17integral_constantIbLb1EES10_IbLb0EEEEDaSW_SX_EUlSW_E_NS1_11comp_targetILNS1_3genE0ELNS1_11target_archE4294967295ELNS1_3gpuE0ELNS1_3repE0EEENS1_30default_config_static_selectorELNS0_4arch9wavefront6targetE1EEEvT1_
	.globl	_ZN7rocprim17ROCPRIM_400000_NS6detail17trampoline_kernelINS0_14default_configENS1_27scan_by_key_config_selectorIifEEZZNS1_16scan_by_key_implILNS1_25lookback_scan_determinismE0ELb1ES3_N6thrust23THRUST_200600_302600_NS6detail15normal_iteratorINS9_10device_ptrIiEEEENSB_INSC_IjEEEESE_fNS9_4plusIvEENS9_8equal_toIvEEfEE10hipError_tPvRmT2_T3_T4_T5_mT6_T7_P12ihipStream_tbENKUlT_T0_E_clISt17integral_constantIbLb1EES10_IbLb0EEEEDaSW_SX_EUlSW_E_NS1_11comp_targetILNS1_3genE0ELNS1_11target_archE4294967295ELNS1_3gpuE0ELNS1_3repE0EEENS1_30default_config_static_selectorELNS0_4arch9wavefront6targetE1EEEvT1_
	.p2align	8
	.type	_ZN7rocprim17ROCPRIM_400000_NS6detail17trampoline_kernelINS0_14default_configENS1_27scan_by_key_config_selectorIifEEZZNS1_16scan_by_key_implILNS1_25lookback_scan_determinismE0ELb1ES3_N6thrust23THRUST_200600_302600_NS6detail15normal_iteratorINS9_10device_ptrIiEEEENSB_INSC_IjEEEESE_fNS9_4plusIvEENS9_8equal_toIvEEfEE10hipError_tPvRmT2_T3_T4_T5_mT6_T7_P12ihipStream_tbENKUlT_T0_E_clISt17integral_constantIbLb1EES10_IbLb0EEEEDaSW_SX_EUlSW_E_NS1_11comp_targetILNS1_3genE0ELNS1_11target_archE4294967295ELNS1_3gpuE0ELNS1_3repE0EEENS1_30default_config_static_selectorELNS0_4arch9wavefront6targetE1EEEvT1_,@function
_ZN7rocprim17ROCPRIM_400000_NS6detail17trampoline_kernelINS0_14default_configENS1_27scan_by_key_config_selectorIifEEZZNS1_16scan_by_key_implILNS1_25lookback_scan_determinismE0ELb1ES3_N6thrust23THRUST_200600_302600_NS6detail15normal_iteratorINS9_10device_ptrIiEEEENSB_INSC_IjEEEESE_fNS9_4plusIvEENS9_8equal_toIvEEfEE10hipError_tPvRmT2_T3_T4_T5_mT6_T7_P12ihipStream_tbENKUlT_T0_E_clISt17integral_constantIbLb1EES10_IbLb0EEEEDaSW_SX_EUlSW_E_NS1_11comp_targetILNS1_3genE0ELNS1_11target_archE4294967295ELNS1_3gpuE0ELNS1_3repE0EEENS1_30default_config_static_selectorELNS0_4arch9wavefront6targetE1EEEvT1_: ; @_ZN7rocprim17ROCPRIM_400000_NS6detail17trampoline_kernelINS0_14default_configENS1_27scan_by_key_config_selectorIifEEZZNS1_16scan_by_key_implILNS1_25lookback_scan_determinismE0ELb1ES3_N6thrust23THRUST_200600_302600_NS6detail15normal_iteratorINS9_10device_ptrIiEEEENSB_INSC_IjEEEESE_fNS9_4plusIvEENS9_8equal_toIvEEfEE10hipError_tPvRmT2_T3_T4_T5_mT6_T7_P12ihipStream_tbENKUlT_T0_E_clISt17integral_constantIbLb1EES10_IbLb0EEEEDaSW_SX_EUlSW_E_NS1_11comp_targetILNS1_3genE0ELNS1_11target_archE4294967295ELNS1_3gpuE0ELNS1_3repE0EEENS1_30default_config_static_selectorELNS0_4arch9wavefront6targetE1EEEvT1_
; %bb.0:
	.section	.rodata,"a",@progbits
	.p2align	6, 0x0
	.amdhsa_kernel _ZN7rocprim17ROCPRIM_400000_NS6detail17trampoline_kernelINS0_14default_configENS1_27scan_by_key_config_selectorIifEEZZNS1_16scan_by_key_implILNS1_25lookback_scan_determinismE0ELb1ES3_N6thrust23THRUST_200600_302600_NS6detail15normal_iteratorINS9_10device_ptrIiEEEENSB_INSC_IjEEEESE_fNS9_4plusIvEENS9_8equal_toIvEEfEE10hipError_tPvRmT2_T3_T4_T5_mT6_T7_P12ihipStream_tbENKUlT_T0_E_clISt17integral_constantIbLb1EES10_IbLb0EEEEDaSW_SX_EUlSW_E_NS1_11comp_targetILNS1_3genE0ELNS1_11target_archE4294967295ELNS1_3gpuE0ELNS1_3repE0EEENS1_30default_config_static_selectorELNS0_4arch9wavefront6targetE1EEEvT1_
		.amdhsa_group_segment_fixed_size 0
		.amdhsa_private_segment_fixed_size 0
		.amdhsa_kernarg_size 112
		.amdhsa_user_sgpr_count 2
		.amdhsa_user_sgpr_dispatch_ptr 0
		.amdhsa_user_sgpr_queue_ptr 0
		.amdhsa_user_sgpr_kernarg_segment_ptr 1
		.amdhsa_user_sgpr_dispatch_id 0
		.amdhsa_user_sgpr_kernarg_preload_length 0
		.amdhsa_user_sgpr_kernarg_preload_offset 0
		.amdhsa_user_sgpr_private_segment_size 0
		.amdhsa_uses_dynamic_stack 0
		.amdhsa_enable_private_segment 0
		.amdhsa_system_sgpr_workgroup_id_x 1
		.amdhsa_system_sgpr_workgroup_id_y 0
		.amdhsa_system_sgpr_workgroup_id_z 0
		.amdhsa_system_sgpr_workgroup_info 0
		.amdhsa_system_vgpr_workitem_id 0
		.amdhsa_next_free_vgpr 1
		.amdhsa_next_free_sgpr 0
		.amdhsa_accum_offset 4
		.amdhsa_reserve_vcc 0
		.amdhsa_float_round_mode_32 0
		.amdhsa_float_round_mode_16_64 0
		.amdhsa_float_denorm_mode_32 3
		.amdhsa_float_denorm_mode_16_64 3
		.amdhsa_dx10_clamp 1
		.amdhsa_ieee_mode 1
		.amdhsa_fp16_overflow 0
		.amdhsa_tg_split 0
		.amdhsa_exception_fp_ieee_invalid_op 0
		.amdhsa_exception_fp_denorm_src 0
		.amdhsa_exception_fp_ieee_div_zero 0
		.amdhsa_exception_fp_ieee_overflow 0
		.amdhsa_exception_fp_ieee_underflow 0
		.amdhsa_exception_fp_ieee_inexact 0
		.amdhsa_exception_int_div_zero 0
	.end_amdhsa_kernel
	.section	.text._ZN7rocprim17ROCPRIM_400000_NS6detail17trampoline_kernelINS0_14default_configENS1_27scan_by_key_config_selectorIifEEZZNS1_16scan_by_key_implILNS1_25lookback_scan_determinismE0ELb1ES3_N6thrust23THRUST_200600_302600_NS6detail15normal_iteratorINS9_10device_ptrIiEEEENSB_INSC_IjEEEESE_fNS9_4plusIvEENS9_8equal_toIvEEfEE10hipError_tPvRmT2_T3_T4_T5_mT6_T7_P12ihipStream_tbENKUlT_T0_E_clISt17integral_constantIbLb1EES10_IbLb0EEEEDaSW_SX_EUlSW_E_NS1_11comp_targetILNS1_3genE0ELNS1_11target_archE4294967295ELNS1_3gpuE0ELNS1_3repE0EEENS1_30default_config_static_selectorELNS0_4arch9wavefront6targetE1EEEvT1_,"axG",@progbits,_ZN7rocprim17ROCPRIM_400000_NS6detail17trampoline_kernelINS0_14default_configENS1_27scan_by_key_config_selectorIifEEZZNS1_16scan_by_key_implILNS1_25lookback_scan_determinismE0ELb1ES3_N6thrust23THRUST_200600_302600_NS6detail15normal_iteratorINS9_10device_ptrIiEEEENSB_INSC_IjEEEESE_fNS9_4plusIvEENS9_8equal_toIvEEfEE10hipError_tPvRmT2_T3_T4_T5_mT6_T7_P12ihipStream_tbENKUlT_T0_E_clISt17integral_constantIbLb1EES10_IbLb0EEEEDaSW_SX_EUlSW_E_NS1_11comp_targetILNS1_3genE0ELNS1_11target_archE4294967295ELNS1_3gpuE0ELNS1_3repE0EEENS1_30default_config_static_selectorELNS0_4arch9wavefront6targetE1EEEvT1_,comdat
.Lfunc_end1806:
	.size	_ZN7rocprim17ROCPRIM_400000_NS6detail17trampoline_kernelINS0_14default_configENS1_27scan_by_key_config_selectorIifEEZZNS1_16scan_by_key_implILNS1_25lookback_scan_determinismE0ELb1ES3_N6thrust23THRUST_200600_302600_NS6detail15normal_iteratorINS9_10device_ptrIiEEEENSB_INSC_IjEEEESE_fNS9_4plusIvEENS9_8equal_toIvEEfEE10hipError_tPvRmT2_T3_T4_T5_mT6_T7_P12ihipStream_tbENKUlT_T0_E_clISt17integral_constantIbLb1EES10_IbLb0EEEEDaSW_SX_EUlSW_E_NS1_11comp_targetILNS1_3genE0ELNS1_11target_archE4294967295ELNS1_3gpuE0ELNS1_3repE0EEENS1_30default_config_static_selectorELNS0_4arch9wavefront6targetE1EEEvT1_, .Lfunc_end1806-_ZN7rocprim17ROCPRIM_400000_NS6detail17trampoline_kernelINS0_14default_configENS1_27scan_by_key_config_selectorIifEEZZNS1_16scan_by_key_implILNS1_25lookback_scan_determinismE0ELb1ES3_N6thrust23THRUST_200600_302600_NS6detail15normal_iteratorINS9_10device_ptrIiEEEENSB_INSC_IjEEEESE_fNS9_4plusIvEENS9_8equal_toIvEEfEE10hipError_tPvRmT2_T3_T4_T5_mT6_T7_P12ihipStream_tbENKUlT_T0_E_clISt17integral_constantIbLb1EES10_IbLb0EEEEDaSW_SX_EUlSW_E_NS1_11comp_targetILNS1_3genE0ELNS1_11target_archE4294967295ELNS1_3gpuE0ELNS1_3repE0EEENS1_30default_config_static_selectorELNS0_4arch9wavefront6targetE1EEEvT1_
                                        ; -- End function
	.section	.AMDGPU.csdata,"",@progbits
; Kernel info:
; codeLenInByte = 0
; NumSgprs: 6
; NumVgprs: 0
; NumAgprs: 0
; TotalNumVgprs: 0
; ScratchSize: 0
; MemoryBound: 0
; FloatMode: 240
; IeeeMode: 1
; LDSByteSize: 0 bytes/workgroup (compile time only)
; SGPRBlocks: 0
; VGPRBlocks: 0
; NumSGPRsForWavesPerEU: 6
; NumVGPRsForWavesPerEU: 1
; AccumOffset: 4
; Occupancy: 8
; WaveLimiterHint : 0
; COMPUTE_PGM_RSRC2:SCRATCH_EN: 0
; COMPUTE_PGM_RSRC2:USER_SGPR: 2
; COMPUTE_PGM_RSRC2:TRAP_HANDLER: 0
; COMPUTE_PGM_RSRC2:TGID_X_EN: 1
; COMPUTE_PGM_RSRC2:TGID_Y_EN: 0
; COMPUTE_PGM_RSRC2:TGID_Z_EN: 0
; COMPUTE_PGM_RSRC2:TIDIG_COMP_CNT: 0
; COMPUTE_PGM_RSRC3_GFX90A:ACCUM_OFFSET: 0
; COMPUTE_PGM_RSRC3_GFX90A:TG_SPLIT: 0
	.section	.text._ZN7rocprim17ROCPRIM_400000_NS6detail17trampoline_kernelINS0_14default_configENS1_27scan_by_key_config_selectorIifEEZZNS1_16scan_by_key_implILNS1_25lookback_scan_determinismE0ELb1ES3_N6thrust23THRUST_200600_302600_NS6detail15normal_iteratorINS9_10device_ptrIiEEEENSB_INSC_IjEEEESE_fNS9_4plusIvEENS9_8equal_toIvEEfEE10hipError_tPvRmT2_T3_T4_T5_mT6_T7_P12ihipStream_tbENKUlT_T0_E_clISt17integral_constantIbLb1EES10_IbLb0EEEEDaSW_SX_EUlSW_E_NS1_11comp_targetILNS1_3genE10ELNS1_11target_archE1201ELNS1_3gpuE5ELNS1_3repE0EEENS1_30default_config_static_selectorELNS0_4arch9wavefront6targetE1EEEvT1_,"axG",@progbits,_ZN7rocprim17ROCPRIM_400000_NS6detail17trampoline_kernelINS0_14default_configENS1_27scan_by_key_config_selectorIifEEZZNS1_16scan_by_key_implILNS1_25lookback_scan_determinismE0ELb1ES3_N6thrust23THRUST_200600_302600_NS6detail15normal_iteratorINS9_10device_ptrIiEEEENSB_INSC_IjEEEESE_fNS9_4plusIvEENS9_8equal_toIvEEfEE10hipError_tPvRmT2_T3_T4_T5_mT6_T7_P12ihipStream_tbENKUlT_T0_E_clISt17integral_constantIbLb1EES10_IbLb0EEEEDaSW_SX_EUlSW_E_NS1_11comp_targetILNS1_3genE10ELNS1_11target_archE1201ELNS1_3gpuE5ELNS1_3repE0EEENS1_30default_config_static_selectorELNS0_4arch9wavefront6targetE1EEEvT1_,comdat
	.protected	_ZN7rocprim17ROCPRIM_400000_NS6detail17trampoline_kernelINS0_14default_configENS1_27scan_by_key_config_selectorIifEEZZNS1_16scan_by_key_implILNS1_25lookback_scan_determinismE0ELb1ES3_N6thrust23THRUST_200600_302600_NS6detail15normal_iteratorINS9_10device_ptrIiEEEENSB_INSC_IjEEEESE_fNS9_4plusIvEENS9_8equal_toIvEEfEE10hipError_tPvRmT2_T3_T4_T5_mT6_T7_P12ihipStream_tbENKUlT_T0_E_clISt17integral_constantIbLb1EES10_IbLb0EEEEDaSW_SX_EUlSW_E_NS1_11comp_targetILNS1_3genE10ELNS1_11target_archE1201ELNS1_3gpuE5ELNS1_3repE0EEENS1_30default_config_static_selectorELNS0_4arch9wavefront6targetE1EEEvT1_ ; -- Begin function _ZN7rocprim17ROCPRIM_400000_NS6detail17trampoline_kernelINS0_14default_configENS1_27scan_by_key_config_selectorIifEEZZNS1_16scan_by_key_implILNS1_25lookback_scan_determinismE0ELb1ES3_N6thrust23THRUST_200600_302600_NS6detail15normal_iteratorINS9_10device_ptrIiEEEENSB_INSC_IjEEEESE_fNS9_4plusIvEENS9_8equal_toIvEEfEE10hipError_tPvRmT2_T3_T4_T5_mT6_T7_P12ihipStream_tbENKUlT_T0_E_clISt17integral_constantIbLb1EES10_IbLb0EEEEDaSW_SX_EUlSW_E_NS1_11comp_targetILNS1_3genE10ELNS1_11target_archE1201ELNS1_3gpuE5ELNS1_3repE0EEENS1_30default_config_static_selectorELNS0_4arch9wavefront6targetE1EEEvT1_
	.globl	_ZN7rocprim17ROCPRIM_400000_NS6detail17trampoline_kernelINS0_14default_configENS1_27scan_by_key_config_selectorIifEEZZNS1_16scan_by_key_implILNS1_25lookback_scan_determinismE0ELb1ES3_N6thrust23THRUST_200600_302600_NS6detail15normal_iteratorINS9_10device_ptrIiEEEENSB_INSC_IjEEEESE_fNS9_4plusIvEENS9_8equal_toIvEEfEE10hipError_tPvRmT2_T3_T4_T5_mT6_T7_P12ihipStream_tbENKUlT_T0_E_clISt17integral_constantIbLb1EES10_IbLb0EEEEDaSW_SX_EUlSW_E_NS1_11comp_targetILNS1_3genE10ELNS1_11target_archE1201ELNS1_3gpuE5ELNS1_3repE0EEENS1_30default_config_static_selectorELNS0_4arch9wavefront6targetE1EEEvT1_
	.p2align	8
	.type	_ZN7rocprim17ROCPRIM_400000_NS6detail17trampoline_kernelINS0_14default_configENS1_27scan_by_key_config_selectorIifEEZZNS1_16scan_by_key_implILNS1_25lookback_scan_determinismE0ELb1ES3_N6thrust23THRUST_200600_302600_NS6detail15normal_iteratorINS9_10device_ptrIiEEEENSB_INSC_IjEEEESE_fNS9_4plusIvEENS9_8equal_toIvEEfEE10hipError_tPvRmT2_T3_T4_T5_mT6_T7_P12ihipStream_tbENKUlT_T0_E_clISt17integral_constantIbLb1EES10_IbLb0EEEEDaSW_SX_EUlSW_E_NS1_11comp_targetILNS1_3genE10ELNS1_11target_archE1201ELNS1_3gpuE5ELNS1_3repE0EEENS1_30default_config_static_selectorELNS0_4arch9wavefront6targetE1EEEvT1_,@function
_ZN7rocprim17ROCPRIM_400000_NS6detail17trampoline_kernelINS0_14default_configENS1_27scan_by_key_config_selectorIifEEZZNS1_16scan_by_key_implILNS1_25lookback_scan_determinismE0ELb1ES3_N6thrust23THRUST_200600_302600_NS6detail15normal_iteratorINS9_10device_ptrIiEEEENSB_INSC_IjEEEESE_fNS9_4plusIvEENS9_8equal_toIvEEfEE10hipError_tPvRmT2_T3_T4_T5_mT6_T7_P12ihipStream_tbENKUlT_T0_E_clISt17integral_constantIbLb1EES10_IbLb0EEEEDaSW_SX_EUlSW_E_NS1_11comp_targetILNS1_3genE10ELNS1_11target_archE1201ELNS1_3gpuE5ELNS1_3repE0EEENS1_30default_config_static_selectorELNS0_4arch9wavefront6targetE1EEEvT1_: ; @_ZN7rocprim17ROCPRIM_400000_NS6detail17trampoline_kernelINS0_14default_configENS1_27scan_by_key_config_selectorIifEEZZNS1_16scan_by_key_implILNS1_25lookback_scan_determinismE0ELb1ES3_N6thrust23THRUST_200600_302600_NS6detail15normal_iteratorINS9_10device_ptrIiEEEENSB_INSC_IjEEEESE_fNS9_4plusIvEENS9_8equal_toIvEEfEE10hipError_tPvRmT2_T3_T4_T5_mT6_T7_P12ihipStream_tbENKUlT_T0_E_clISt17integral_constantIbLb1EES10_IbLb0EEEEDaSW_SX_EUlSW_E_NS1_11comp_targetILNS1_3genE10ELNS1_11target_archE1201ELNS1_3gpuE5ELNS1_3repE0EEENS1_30default_config_static_selectorELNS0_4arch9wavefront6targetE1EEEvT1_
; %bb.0:
	.section	.rodata,"a",@progbits
	.p2align	6, 0x0
	.amdhsa_kernel _ZN7rocprim17ROCPRIM_400000_NS6detail17trampoline_kernelINS0_14default_configENS1_27scan_by_key_config_selectorIifEEZZNS1_16scan_by_key_implILNS1_25lookback_scan_determinismE0ELb1ES3_N6thrust23THRUST_200600_302600_NS6detail15normal_iteratorINS9_10device_ptrIiEEEENSB_INSC_IjEEEESE_fNS9_4plusIvEENS9_8equal_toIvEEfEE10hipError_tPvRmT2_T3_T4_T5_mT6_T7_P12ihipStream_tbENKUlT_T0_E_clISt17integral_constantIbLb1EES10_IbLb0EEEEDaSW_SX_EUlSW_E_NS1_11comp_targetILNS1_3genE10ELNS1_11target_archE1201ELNS1_3gpuE5ELNS1_3repE0EEENS1_30default_config_static_selectorELNS0_4arch9wavefront6targetE1EEEvT1_
		.amdhsa_group_segment_fixed_size 0
		.amdhsa_private_segment_fixed_size 0
		.amdhsa_kernarg_size 112
		.amdhsa_user_sgpr_count 2
		.amdhsa_user_sgpr_dispatch_ptr 0
		.amdhsa_user_sgpr_queue_ptr 0
		.amdhsa_user_sgpr_kernarg_segment_ptr 1
		.amdhsa_user_sgpr_dispatch_id 0
		.amdhsa_user_sgpr_kernarg_preload_length 0
		.amdhsa_user_sgpr_kernarg_preload_offset 0
		.amdhsa_user_sgpr_private_segment_size 0
		.amdhsa_uses_dynamic_stack 0
		.amdhsa_enable_private_segment 0
		.amdhsa_system_sgpr_workgroup_id_x 1
		.amdhsa_system_sgpr_workgroup_id_y 0
		.amdhsa_system_sgpr_workgroup_id_z 0
		.amdhsa_system_sgpr_workgroup_info 0
		.amdhsa_system_vgpr_workitem_id 0
		.amdhsa_next_free_vgpr 1
		.amdhsa_next_free_sgpr 0
		.amdhsa_accum_offset 4
		.amdhsa_reserve_vcc 0
		.amdhsa_float_round_mode_32 0
		.amdhsa_float_round_mode_16_64 0
		.amdhsa_float_denorm_mode_32 3
		.amdhsa_float_denorm_mode_16_64 3
		.amdhsa_dx10_clamp 1
		.amdhsa_ieee_mode 1
		.amdhsa_fp16_overflow 0
		.amdhsa_tg_split 0
		.amdhsa_exception_fp_ieee_invalid_op 0
		.amdhsa_exception_fp_denorm_src 0
		.amdhsa_exception_fp_ieee_div_zero 0
		.amdhsa_exception_fp_ieee_overflow 0
		.amdhsa_exception_fp_ieee_underflow 0
		.amdhsa_exception_fp_ieee_inexact 0
		.amdhsa_exception_int_div_zero 0
	.end_amdhsa_kernel
	.section	.text._ZN7rocprim17ROCPRIM_400000_NS6detail17trampoline_kernelINS0_14default_configENS1_27scan_by_key_config_selectorIifEEZZNS1_16scan_by_key_implILNS1_25lookback_scan_determinismE0ELb1ES3_N6thrust23THRUST_200600_302600_NS6detail15normal_iteratorINS9_10device_ptrIiEEEENSB_INSC_IjEEEESE_fNS9_4plusIvEENS9_8equal_toIvEEfEE10hipError_tPvRmT2_T3_T4_T5_mT6_T7_P12ihipStream_tbENKUlT_T0_E_clISt17integral_constantIbLb1EES10_IbLb0EEEEDaSW_SX_EUlSW_E_NS1_11comp_targetILNS1_3genE10ELNS1_11target_archE1201ELNS1_3gpuE5ELNS1_3repE0EEENS1_30default_config_static_selectorELNS0_4arch9wavefront6targetE1EEEvT1_,"axG",@progbits,_ZN7rocprim17ROCPRIM_400000_NS6detail17trampoline_kernelINS0_14default_configENS1_27scan_by_key_config_selectorIifEEZZNS1_16scan_by_key_implILNS1_25lookback_scan_determinismE0ELb1ES3_N6thrust23THRUST_200600_302600_NS6detail15normal_iteratorINS9_10device_ptrIiEEEENSB_INSC_IjEEEESE_fNS9_4plusIvEENS9_8equal_toIvEEfEE10hipError_tPvRmT2_T3_T4_T5_mT6_T7_P12ihipStream_tbENKUlT_T0_E_clISt17integral_constantIbLb1EES10_IbLb0EEEEDaSW_SX_EUlSW_E_NS1_11comp_targetILNS1_3genE10ELNS1_11target_archE1201ELNS1_3gpuE5ELNS1_3repE0EEENS1_30default_config_static_selectorELNS0_4arch9wavefront6targetE1EEEvT1_,comdat
.Lfunc_end1807:
	.size	_ZN7rocprim17ROCPRIM_400000_NS6detail17trampoline_kernelINS0_14default_configENS1_27scan_by_key_config_selectorIifEEZZNS1_16scan_by_key_implILNS1_25lookback_scan_determinismE0ELb1ES3_N6thrust23THRUST_200600_302600_NS6detail15normal_iteratorINS9_10device_ptrIiEEEENSB_INSC_IjEEEESE_fNS9_4plusIvEENS9_8equal_toIvEEfEE10hipError_tPvRmT2_T3_T4_T5_mT6_T7_P12ihipStream_tbENKUlT_T0_E_clISt17integral_constantIbLb1EES10_IbLb0EEEEDaSW_SX_EUlSW_E_NS1_11comp_targetILNS1_3genE10ELNS1_11target_archE1201ELNS1_3gpuE5ELNS1_3repE0EEENS1_30default_config_static_selectorELNS0_4arch9wavefront6targetE1EEEvT1_, .Lfunc_end1807-_ZN7rocprim17ROCPRIM_400000_NS6detail17trampoline_kernelINS0_14default_configENS1_27scan_by_key_config_selectorIifEEZZNS1_16scan_by_key_implILNS1_25lookback_scan_determinismE0ELb1ES3_N6thrust23THRUST_200600_302600_NS6detail15normal_iteratorINS9_10device_ptrIiEEEENSB_INSC_IjEEEESE_fNS9_4plusIvEENS9_8equal_toIvEEfEE10hipError_tPvRmT2_T3_T4_T5_mT6_T7_P12ihipStream_tbENKUlT_T0_E_clISt17integral_constantIbLb1EES10_IbLb0EEEEDaSW_SX_EUlSW_E_NS1_11comp_targetILNS1_3genE10ELNS1_11target_archE1201ELNS1_3gpuE5ELNS1_3repE0EEENS1_30default_config_static_selectorELNS0_4arch9wavefront6targetE1EEEvT1_
                                        ; -- End function
	.section	.AMDGPU.csdata,"",@progbits
; Kernel info:
; codeLenInByte = 0
; NumSgprs: 6
; NumVgprs: 0
; NumAgprs: 0
; TotalNumVgprs: 0
; ScratchSize: 0
; MemoryBound: 0
; FloatMode: 240
; IeeeMode: 1
; LDSByteSize: 0 bytes/workgroup (compile time only)
; SGPRBlocks: 0
; VGPRBlocks: 0
; NumSGPRsForWavesPerEU: 6
; NumVGPRsForWavesPerEU: 1
; AccumOffset: 4
; Occupancy: 8
; WaveLimiterHint : 0
; COMPUTE_PGM_RSRC2:SCRATCH_EN: 0
; COMPUTE_PGM_RSRC2:USER_SGPR: 2
; COMPUTE_PGM_RSRC2:TRAP_HANDLER: 0
; COMPUTE_PGM_RSRC2:TGID_X_EN: 1
; COMPUTE_PGM_RSRC2:TGID_Y_EN: 0
; COMPUTE_PGM_RSRC2:TGID_Z_EN: 0
; COMPUTE_PGM_RSRC2:TIDIG_COMP_CNT: 0
; COMPUTE_PGM_RSRC3_GFX90A:ACCUM_OFFSET: 0
; COMPUTE_PGM_RSRC3_GFX90A:TG_SPLIT: 0
	.section	.text._ZN7rocprim17ROCPRIM_400000_NS6detail17trampoline_kernelINS0_14default_configENS1_27scan_by_key_config_selectorIifEEZZNS1_16scan_by_key_implILNS1_25lookback_scan_determinismE0ELb1ES3_N6thrust23THRUST_200600_302600_NS6detail15normal_iteratorINS9_10device_ptrIiEEEENSB_INSC_IjEEEESE_fNS9_4plusIvEENS9_8equal_toIvEEfEE10hipError_tPvRmT2_T3_T4_T5_mT6_T7_P12ihipStream_tbENKUlT_T0_E_clISt17integral_constantIbLb1EES10_IbLb0EEEEDaSW_SX_EUlSW_E_NS1_11comp_targetILNS1_3genE5ELNS1_11target_archE942ELNS1_3gpuE9ELNS1_3repE0EEENS1_30default_config_static_selectorELNS0_4arch9wavefront6targetE1EEEvT1_,"axG",@progbits,_ZN7rocprim17ROCPRIM_400000_NS6detail17trampoline_kernelINS0_14default_configENS1_27scan_by_key_config_selectorIifEEZZNS1_16scan_by_key_implILNS1_25lookback_scan_determinismE0ELb1ES3_N6thrust23THRUST_200600_302600_NS6detail15normal_iteratorINS9_10device_ptrIiEEEENSB_INSC_IjEEEESE_fNS9_4plusIvEENS9_8equal_toIvEEfEE10hipError_tPvRmT2_T3_T4_T5_mT6_T7_P12ihipStream_tbENKUlT_T0_E_clISt17integral_constantIbLb1EES10_IbLb0EEEEDaSW_SX_EUlSW_E_NS1_11comp_targetILNS1_3genE5ELNS1_11target_archE942ELNS1_3gpuE9ELNS1_3repE0EEENS1_30default_config_static_selectorELNS0_4arch9wavefront6targetE1EEEvT1_,comdat
	.protected	_ZN7rocprim17ROCPRIM_400000_NS6detail17trampoline_kernelINS0_14default_configENS1_27scan_by_key_config_selectorIifEEZZNS1_16scan_by_key_implILNS1_25lookback_scan_determinismE0ELb1ES3_N6thrust23THRUST_200600_302600_NS6detail15normal_iteratorINS9_10device_ptrIiEEEENSB_INSC_IjEEEESE_fNS9_4plusIvEENS9_8equal_toIvEEfEE10hipError_tPvRmT2_T3_T4_T5_mT6_T7_P12ihipStream_tbENKUlT_T0_E_clISt17integral_constantIbLb1EES10_IbLb0EEEEDaSW_SX_EUlSW_E_NS1_11comp_targetILNS1_3genE5ELNS1_11target_archE942ELNS1_3gpuE9ELNS1_3repE0EEENS1_30default_config_static_selectorELNS0_4arch9wavefront6targetE1EEEvT1_ ; -- Begin function _ZN7rocprim17ROCPRIM_400000_NS6detail17trampoline_kernelINS0_14default_configENS1_27scan_by_key_config_selectorIifEEZZNS1_16scan_by_key_implILNS1_25lookback_scan_determinismE0ELb1ES3_N6thrust23THRUST_200600_302600_NS6detail15normal_iteratorINS9_10device_ptrIiEEEENSB_INSC_IjEEEESE_fNS9_4plusIvEENS9_8equal_toIvEEfEE10hipError_tPvRmT2_T3_T4_T5_mT6_T7_P12ihipStream_tbENKUlT_T0_E_clISt17integral_constantIbLb1EES10_IbLb0EEEEDaSW_SX_EUlSW_E_NS1_11comp_targetILNS1_3genE5ELNS1_11target_archE942ELNS1_3gpuE9ELNS1_3repE0EEENS1_30default_config_static_selectorELNS0_4arch9wavefront6targetE1EEEvT1_
	.globl	_ZN7rocprim17ROCPRIM_400000_NS6detail17trampoline_kernelINS0_14default_configENS1_27scan_by_key_config_selectorIifEEZZNS1_16scan_by_key_implILNS1_25lookback_scan_determinismE0ELb1ES3_N6thrust23THRUST_200600_302600_NS6detail15normal_iteratorINS9_10device_ptrIiEEEENSB_INSC_IjEEEESE_fNS9_4plusIvEENS9_8equal_toIvEEfEE10hipError_tPvRmT2_T3_T4_T5_mT6_T7_P12ihipStream_tbENKUlT_T0_E_clISt17integral_constantIbLb1EES10_IbLb0EEEEDaSW_SX_EUlSW_E_NS1_11comp_targetILNS1_3genE5ELNS1_11target_archE942ELNS1_3gpuE9ELNS1_3repE0EEENS1_30default_config_static_selectorELNS0_4arch9wavefront6targetE1EEEvT1_
	.p2align	8
	.type	_ZN7rocprim17ROCPRIM_400000_NS6detail17trampoline_kernelINS0_14default_configENS1_27scan_by_key_config_selectorIifEEZZNS1_16scan_by_key_implILNS1_25lookback_scan_determinismE0ELb1ES3_N6thrust23THRUST_200600_302600_NS6detail15normal_iteratorINS9_10device_ptrIiEEEENSB_INSC_IjEEEESE_fNS9_4plusIvEENS9_8equal_toIvEEfEE10hipError_tPvRmT2_T3_T4_T5_mT6_T7_P12ihipStream_tbENKUlT_T0_E_clISt17integral_constantIbLb1EES10_IbLb0EEEEDaSW_SX_EUlSW_E_NS1_11comp_targetILNS1_3genE5ELNS1_11target_archE942ELNS1_3gpuE9ELNS1_3repE0EEENS1_30default_config_static_selectorELNS0_4arch9wavefront6targetE1EEEvT1_,@function
_ZN7rocprim17ROCPRIM_400000_NS6detail17trampoline_kernelINS0_14default_configENS1_27scan_by_key_config_selectorIifEEZZNS1_16scan_by_key_implILNS1_25lookback_scan_determinismE0ELb1ES3_N6thrust23THRUST_200600_302600_NS6detail15normal_iteratorINS9_10device_ptrIiEEEENSB_INSC_IjEEEESE_fNS9_4plusIvEENS9_8equal_toIvEEfEE10hipError_tPvRmT2_T3_T4_T5_mT6_T7_P12ihipStream_tbENKUlT_T0_E_clISt17integral_constantIbLb1EES10_IbLb0EEEEDaSW_SX_EUlSW_E_NS1_11comp_targetILNS1_3genE5ELNS1_11target_archE942ELNS1_3gpuE9ELNS1_3repE0EEENS1_30default_config_static_selectorELNS0_4arch9wavefront6targetE1EEEvT1_: ; @_ZN7rocprim17ROCPRIM_400000_NS6detail17trampoline_kernelINS0_14default_configENS1_27scan_by_key_config_selectorIifEEZZNS1_16scan_by_key_implILNS1_25lookback_scan_determinismE0ELb1ES3_N6thrust23THRUST_200600_302600_NS6detail15normal_iteratorINS9_10device_ptrIiEEEENSB_INSC_IjEEEESE_fNS9_4plusIvEENS9_8equal_toIvEEfEE10hipError_tPvRmT2_T3_T4_T5_mT6_T7_P12ihipStream_tbENKUlT_T0_E_clISt17integral_constantIbLb1EES10_IbLb0EEEEDaSW_SX_EUlSW_E_NS1_11comp_targetILNS1_3genE5ELNS1_11target_archE942ELNS1_3gpuE9ELNS1_3repE0EEENS1_30default_config_static_selectorELNS0_4arch9wavefront6targetE1EEEvT1_
; %bb.0:
	s_load_dwordx8 s[48:55], s[0:1], 0x0
	s_load_dword s76, s[0:1], 0x20
	s_load_dwordx4 s[56:59], s[0:1], 0x28
	s_load_dwordx2 s[66:67], s[0:1], 0x38
	s_load_dword s3, s[0:1], 0x40
	s_load_dwordx4 s[60:63], s[0:1], 0x48
	s_waitcnt lgkmcnt(0)
	s_lshl_b64 s[64:65], s[50:51], 2
	s_add_u32 s4, s48, s64
	s_addc_u32 s5, s49, s65
	s_add_u32 s6, s52, s64
	s_mul_i32 s0, s67, s3
	s_mul_hi_u32 s1, s66, s3
	s_addc_u32 s7, s53, s65
	s_add_i32 s8, s1, s0
	s_mul_i32 s0, s2, 0x1700
	s_mov_b32 s1, 0
	s_lshl_b64 s[52:53], s[0:1], 2
	s_add_u32 s70, s4, s52
	s_addc_u32 s71, s5, s53
	s_add_u32 s68, s6, s52
	s_mul_i32 s3, s66, s3
	s_addc_u32 s69, s7, s53
	s_add_u32 s0, s3, s2
	s_addc_u32 s1, s8, 0
	s_add_u32 s6, s60, -1
	s_addc_u32 s7, s61, -1
	v_mov_b64_e32 v[2:3], s[6:7]
	v_cmp_ge_u64_e64 s[0:1], s[0:1], v[2:3]
	s_mov_b64 s[4:5], -1
	s_and_b64 vcc, exec, s[0:1]
	s_mul_i32 s33, s6, 0xffffe900
	s_barrier
	s_cbranch_vccz .LBB1808_71
; %bb.1:
	v_mov_b64_e32 v[2:3], s[70:71]
	flat_load_dword v2, v[2:3]
	s_add_i32 s59, s33, s58
	v_cmp_gt_u32_e32 vcc, s59, v0
	s_waitcnt vmcnt(0) lgkmcnt(0)
	v_mov_b32_e32 v3, v2
	s_and_saveexec_b64 s[4:5], vcc
	s_cbranch_execz .LBB1808_3
; %bb.2:
	v_lshlrev_b32_e32 v4, 2, v0
	v_mov_b32_e32 v5, 0
	v_lshl_add_u64 v[4:5], s[70:71], 0, v[4:5]
	flat_load_dword v3, v[4:5]
.LBB1808_3:
	s_or_b64 exec, exec, s[4:5]
	v_or_b32_e32 v1, 0x100, v0
	v_cmp_gt_u32_e64 s[48:49], s59, v1
	v_mov_b32_e32 v4, v2
	s_and_saveexec_b64 s[4:5], s[48:49]
	s_cbranch_execz .LBB1808_5
; %bb.4:
	v_lshlrev_b32_e32 v4, 2, v0
	v_mov_b32_e32 v5, 0
	v_lshl_add_u64 v[4:5], s[70:71], 0, v[4:5]
	flat_load_dword v4, v[4:5] offset:1024
.LBB1808_5:
	s_or_b64 exec, exec, s[4:5]
	v_or_b32_e32 v1, 0x200, v0
	v_cmp_gt_u32_e64 s[4:5], s59, v1
	v_mov_b32_e32 v5, v2
	s_and_saveexec_b64 s[6:7], s[4:5]
	s_cbranch_execz .LBB1808_7
; %bb.6:
	v_lshlrev_b32_e32 v6, 2, v0
	v_mov_b32_e32 v7, 0
	v_lshl_add_u64 v[6:7], s[70:71], 0, v[6:7]
	flat_load_dword v5, v[6:7] offset:2048
.LBB1808_7:
	;; [unrolled: 12-line block ×3, first 2 shown]
	s_or_b64 exec, exec, s[8:9]
	v_or_b32_e32 v1, 0x400, v0
	v_cmp_gt_u32_e64 s[8:9], s59, v1
	v_mov_b32_e32 v7, v2
	s_and_saveexec_b64 s[10:11], s[8:9]
	s_cbranch_execz .LBB1808_11
; %bb.10:
	v_lshlrev_b32_e32 v8, 2, v1
	v_mov_b32_e32 v9, 0
	v_lshl_add_u64 v[8:9], s[70:71], 0, v[8:9]
	flat_load_dword v7, v[8:9]
.LBB1808_11:
	s_or_b64 exec, exec, s[10:11]
	v_or_b32_e32 v26, 0x500, v0
	v_cmp_gt_u32_e64 s[10:11], s59, v26
	v_mov_b32_e32 v8, v2
	s_and_saveexec_b64 s[12:13], s[10:11]
	s_cbranch_execz .LBB1808_13
; %bb.12:
	v_lshlrev_b32_e32 v8, 2, v26
	v_mov_b32_e32 v9, 0
	v_lshl_add_u64 v[8:9], s[70:71], 0, v[8:9]
	flat_load_dword v8, v[8:9]
.LBB1808_13:
	;; [unrolled: 12-line block ×18, first 2 shown]
	s_or_b64 exec, exec, s[46:47]
	v_or_b32_e32 v43, 0x1600, v0
	v_cmp_gt_u32_e64 s[46:47], s59, v43
	s_and_saveexec_b64 s[50:51], s[46:47]
	s_cbranch_execz .LBB1808_47
; %bb.46:
	v_lshlrev_b32_e32 v44, 2, v43
	v_mov_b32_e32 v45, 0
	v_lshl_add_u64 v[44:45], s[70:71], 0, v[44:45]
	flat_load_dword v2, v[44:45]
.LBB1808_47:
	s_or_b64 exec, exec, s[50:51]
	v_lshlrev_b32_e32 v24, 2, v0
	s_waitcnt vmcnt(0) lgkmcnt(0)
	ds_write2st64_b32 v24, v3, v4 offset1:4
	ds_write2st64_b32 v24, v5, v6 offset0:8 offset1:12
	ds_write2st64_b32 v24, v7, v8 offset0:16 offset1:20
	;; [unrolled: 1-line block ×10, first 2 shown]
	ds_write_b32 v24, v2 offset:22528
	v_mov_b64_e32 v[2:3], s[70:71]
	s_waitcnt lgkmcnt(0)
	s_barrier
	flat_load_dword v47, v[2:3]
	s_movk_i32 s3, 0x58
	v_mad_u32_u24 v70, v0, s3, v24
	s_movk_i32 s3, 0xffa8
	v_mad_i32_i24 v25, v0, s3, v70
	s_movk_i32 s3, 0xff
	v_cmp_ne_u32_e64 s[50:51], s3, v0
	ds_read_b32 v72, v70
	ds_read2_b32 v[22:23], v70 offset0:1 offset1:2
	ds_read2_b32 v[20:21], v70 offset0:3 offset1:4
	ds_read2_b32 v[18:19], v70 offset0:5 offset1:6
	ds_read2_b32 v[16:17], v70 offset0:7 offset1:8
	ds_read2_b32 v[14:15], v70 offset0:9 offset1:10
	ds_read2_b32 v[12:13], v70 offset0:11 offset1:12
	ds_read2_b32 v[10:11], v70 offset0:13 offset1:14
	ds_read2_b32 v[8:9], v70 offset0:15 offset1:16
	ds_read2_b32 v[6:7], v70 offset0:17 offset1:18
	ds_read2_b32 v[4:5], v70 offset0:19 offset1:20
	ds_read2_b32 v[2:3], v70 offset0:21 offset1:22
	s_waitcnt lgkmcnt(0)
	ds_write_b32 v25, v72 offset:24576
	s_waitcnt lgkmcnt(0)
	s_barrier
	s_and_saveexec_b64 s[60:61], s[50:51]
	s_cbranch_execz .LBB1808_49
; %bb.48:
	s_waitcnt vmcnt(0)
	ds_read_b32 v47, v24 offset:24580
.LBB1808_49:
	s_or_b64 exec, exec, s[60:61]
	v_mov_b32_e32 v25, 0
	s_waitcnt lgkmcnt(0)
	s_barrier
	s_waitcnt lgkmcnt(0)
                                        ; implicit-def: $vgpr44
	s_and_saveexec_b64 s[50:51], vcc
	s_cbranch_execz .LBB1808_72
; %bb.50:
	v_lshl_add_u64 v[44:45], s[68:69], 0, v[24:25]
	flat_load_dword v25, v[44:45]
	s_waitcnt vmcnt(0) lgkmcnt(0)
	v_cvt_f32_u32_e32 v44, v25
	s_or_b64 exec, exec, s[50:51]
                                        ; implicit-def: $vgpr45
	s_and_saveexec_b64 s[50:51], s[48:49]
	s_cbranch_execnz .LBB1808_73
.LBB1808_51:
	s_or_b64 exec, exec, s[50:51]
                                        ; implicit-def: $vgpr46
	s_and_saveexec_b64 s[48:49], s[4:5]
	s_cbranch_execz .LBB1808_74
.LBB1808_52:
	v_mov_b32_e32 v25, 0
	v_lshl_add_u64 v[48:49], s[68:69], 0, v[24:25]
	flat_load_dword v25, v[48:49] offset:2048
	s_waitcnt vmcnt(0) lgkmcnt(0)
	v_cvt_f32_u32_e32 v46, v25
	s_or_b64 exec, exec, s[48:49]
                                        ; implicit-def: $vgpr25
	s_and_saveexec_b64 s[4:5], s[6:7]
	s_cbranch_execnz .LBB1808_75
.LBB1808_53:
	s_or_b64 exec, exec, s[4:5]
                                        ; implicit-def: $vgpr48
	s_and_saveexec_b64 s[4:5], s[8:9]
	s_cbranch_execz .LBB1808_76
.LBB1808_54:
	v_lshlrev_b32_e32 v48, 2, v1
	v_mov_b32_e32 v49, 0
	v_lshl_add_u64 v[48:49], s[68:69], 0, v[48:49]
	flat_load_dword v1, v[48:49]
	s_waitcnt vmcnt(0) lgkmcnt(0)
	v_cvt_f32_u32_e32 v48, v1
	s_or_b64 exec, exec, s[4:5]
                                        ; implicit-def: $vgpr1
	s_and_saveexec_b64 s[4:5], s[10:11]
	s_cbranch_execnz .LBB1808_77
.LBB1808_55:
	s_or_b64 exec, exec, s[4:5]
                                        ; implicit-def: $vgpr26
	s_and_saveexec_b64 s[4:5], s[12:13]
	s_cbranch_execz .LBB1808_78
.LBB1808_56:
	v_lshlrev_b32_e32 v26, 2, v27
	v_mov_b32_e32 v27, 0
	v_lshl_add_u64 v[26:27], s[68:69], 0, v[26:27]
	flat_load_dword v26, v[26:27]
	s_waitcnt vmcnt(0) lgkmcnt(0)
	v_cvt_f32_u32_e32 v26, v26
	s_or_b64 exec, exec, s[4:5]
                                        ; implicit-def: $vgpr27
	s_and_saveexec_b64 s[4:5], s[14:15]
	s_cbranch_execnz .LBB1808_79
.LBB1808_57:
	s_or_b64 exec, exec, s[4:5]
                                        ; implicit-def: $vgpr28
	s_and_saveexec_b64 s[4:5], s[16:17]
	s_cbranch_execz .LBB1808_80
.LBB1808_58:
	v_lshlrev_b32_e32 v28, 2, v29
	v_mov_b32_e32 v29, 0
	v_lshl_add_u64 v[28:29], s[68:69], 0, v[28:29]
	flat_load_dword v28, v[28:29]
	s_waitcnt vmcnt(0) lgkmcnt(0)
	v_cvt_f32_u32_e32 v28, v28
	s_or_b64 exec, exec, s[4:5]
                                        ; implicit-def: $vgpr29
	s_and_saveexec_b64 s[4:5], s[18:19]
	s_cbranch_execnz .LBB1808_81
.LBB1808_59:
	s_or_b64 exec, exec, s[4:5]
                                        ; implicit-def: $vgpr30
	s_and_saveexec_b64 s[4:5], s[20:21]
	s_cbranch_execz .LBB1808_82
.LBB1808_60:
	v_lshlrev_b32_e32 v30, 2, v31
	v_mov_b32_e32 v31, 0
	v_lshl_add_u64 v[30:31], s[68:69], 0, v[30:31]
	flat_load_dword v30, v[30:31]
	s_waitcnt vmcnt(0) lgkmcnt(0)
	v_cvt_f32_u32_e32 v30, v30
	s_or_b64 exec, exec, s[4:5]
                                        ; implicit-def: $vgpr31
	s_and_saveexec_b64 s[4:5], s[22:23]
	s_cbranch_execnz .LBB1808_83
.LBB1808_61:
	s_or_b64 exec, exec, s[4:5]
                                        ; implicit-def: $vgpr32
	s_and_saveexec_b64 s[4:5], s[24:25]
	s_cbranch_execz .LBB1808_84
.LBB1808_62:
	v_lshlrev_b32_e32 v32, 2, v33
	v_mov_b32_e32 v33, 0
	v_lshl_add_u64 v[32:33], s[68:69], 0, v[32:33]
	flat_load_dword v32, v[32:33]
	s_waitcnt vmcnt(0) lgkmcnt(0)
	v_cvt_f32_u32_e32 v32, v32
	s_or_b64 exec, exec, s[4:5]
                                        ; implicit-def: $vgpr33
	s_and_saveexec_b64 s[4:5], s[26:27]
	s_cbranch_execnz .LBB1808_85
.LBB1808_63:
	s_or_b64 exec, exec, s[4:5]
                                        ; implicit-def: $vgpr34
	s_and_saveexec_b64 s[4:5], s[28:29]
	s_cbranch_execz .LBB1808_86
.LBB1808_64:
	v_lshlrev_b32_e32 v34, 2, v35
	v_mov_b32_e32 v35, 0
	v_lshl_add_u64 v[34:35], s[68:69], 0, v[34:35]
	flat_load_dword v34, v[34:35]
	s_waitcnt vmcnt(0) lgkmcnt(0)
	v_cvt_f32_u32_e32 v34, v34
	s_or_b64 exec, exec, s[4:5]
                                        ; implicit-def: $vgpr35
	s_and_saveexec_b64 s[4:5], s[30:31]
	s_cbranch_execnz .LBB1808_87
.LBB1808_65:
	s_or_b64 exec, exec, s[4:5]
                                        ; implicit-def: $vgpr36
	s_and_saveexec_b64 s[4:5], s[34:35]
	s_cbranch_execz .LBB1808_88
.LBB1808_66:
	v_lshlrev_b32_e32 v36, 2, v37
	v_mov_b32_e32 v37, 0
	v_lshl_add_u64 v[36:37], s[68:69], 0, v[36:37]
	flat_load_dword v36, v[36:37]
	s_waitcnt vmcnt(0) lgkmcnt(0)
	v_cvt_f32_u32_e32 v36, v36
	s_or_b64 exec, exec, s[4:5]
                                        ; implicit-def: $vgpr37
	s_and_saveexec_b64 s[4:5], s[36:37]
	s_cbranch_execnz .LBB1808_89
.LBB1808_67:
	s_or_b64 exec, exec, s[4:5]
                                        ; implicit-def: $vgpr38
	s_and_saveexec_b64 s[4:5], s[38:39]
	s_cbranch_execz .LBB1808_90
.LBB1808_68:
	v_lshlrev_b32_e32 v38, 2, v39
	v_mov_b32_e32 v39, 0
	v_lshl_add_u64 v[38:39], s[68:69], 0, v[38:39]
	flat_load_dword v38, v[38:39]
	s_waitcnt vmcnt(0) lgkmcnt(0)
	v_cvt_f32_u32_e32 v38, v38
	s_or_b64 exec, exec, s[4:5]
                                        ; implicit-def: $vgpr39
	s_and_saveexec_b64 s[4:5], s[40:41]
	s_cbranch_execnz .LBB1808_91
.LBB1808_69:
	s_or_b64 exec, exec, s[4:5]
                                        ; implicit-def: $vgpr40
	s_and_saveexec_b64 s[4:5], s[42:43]
	s_cbranch_execz .LBB1808_92
.LBB1808_70:
	v_lshlrev_b32_e32 v40, 2, v41
	v_mov_b32_e32 v41, 0
	v_lshl_add_u64 v[40:41], s[68:69], 0, v[40:41]
	flat_load_dword v40, v[40:41]
	s_waitcnt vmcnt(0) lgkmcnt(0)
	v_cvt_f32_u32_e32 v40, v40
	s_or_b64 exec, exec, s[4:5]
                                        ; implicit-def: $vgpr41
	s_and_saveexec_b64 s[4:5], s[44:45]
	s_cbranch_execz .LBB1808_94
	s_branch .LBB1808_93
.LBB1808_71:
	s_mov_b64 s[10:11], 0
                                        ; implicit-def: $sgpr8_sgpr9
                                        ; implicit-def: $vgpr27
                                        ; implicit-def: $vgpr1
                                        ; implicit-def: $vgpr26
                                        ; implicit-def: $vgpr52
                                        ; implicit-def: $vgpr48
                                        ; implicit-def: $vgpr29
                                        ; implicit-def: $vgpr69
                                        ; implicit-def: $vgpr49
                                        ; implicit-def: $vgpr28
                                        ; implicit-def: $vgpr68
                                        ; implicit-def: $vgpr24
                                        ; implicit-def: $vgpr31
                                        ; implicit-def: $vgpr67
                                        ; implicit-def: $vgpr50
                                        ; implicit-def: $vgpr30
                                        ; implicit-def: $vgpr66
                                        ; implicit-def: $vgpr46
                                        ; implicit-def: $vgpr33
                                        ; implicit-def: $vgpr65
                                        ; implicit-def: $vgpr51
                                        ; implicit-def: $vgpr32
                                        ; implicit-def: $vgpr64
                                        ; implicit-def: $vgpr44
                                        ; implicit-def: $vgpr35
                                        ; implicit-def: $vgpr63
                                        ; implicit-def: $vgpr53
                                        ; implicit-def: $vgpr34
                                        ; implicit-def: $vgpr62
                                        ; implicit-def: $vgpr45
                                        ; implicit-def: $vgpr37
                                        ; implicit-def: $vgpr61
                                        ; implicit-def: $vgpr54
                                        ; implicit-def: $vgpr36
                                        ; implicit-def: $vgpr60
                                        ; implicit-def: $vgpr42
                                        ; implicit-def: $vgpr39
                                        ; implicit-def: $vgpr59
                                        ; implicit-def: $vgpr55
                                        ; implicit-def: $vgpr38
                                        ; implicit-def: $vgpr58
                                        ; implicit-def: $vgpr43
                                        ; implicit-def: $vgpr41
                                        ; implicit-def: $vgpr57
                                        ; implicit-def: $vgpr56
                                        ; implicit-def: $vgpr40
                                        ; implicit-def: $sgpr6
                                        ; implicit-def: $sgpr3
	s_and_b64 vcc, exec, s[4:5]
	v_lshlrev_b32_e32 v10, 2, v0
	s_cbranch_vccz .LBB1808_148
	s_branch .LBB1808_143
.LBB1808_72:
	s_or_b64 exec, exec, s[50:51]
                                        ; implicit-def: $vgpr45
	s_and_saveexec_b64 s[50:51], s[48:49]
	s_cbranch_execz .LBB1808_51
.LBB1808_73:
	v_mov_b32_e32 v25, 0
	v_lshl_add_u64 v[48:49], s[68:69], 0, v[24:25]
	flat_load_dword v25, v[48:49] offset:1024
	s_waitcnt vmcnt(0) lgkmcnt(0)
	v_cvt_f32_u32_e32 v45, v25
	s_or_b64 exec, exec, s[50:51]
                                        ; implicit-def: $vgpr46
	s_and_saveexec_b64 s[48:49], s[4:5]
	s_cbranch_execnz .LBB1808_52
.LBB1808_74:
	s_or_b64 exec, exec, s[48:49]
                                        ; implicit-def: $vgpr25
	s_and_saveexec_b64 s[4:5], s[6:7]
	s_cbranch_execz .LBB1808_53
.LBB1808_75:
	v_mov_b32_e32 v25, 0
	v_lshl_add_u64 v[48:49], s[68:69], 0, v[24:25]
	flat_load_dword v25, v[48:49] offset:3072
	s_waitcnt vmcnt(0) lgkmcnt(0)
	v_cvt_f32_u32_e32 v25, v25
	s_or_b64 exec, exec, s[4:5]
                                        ; implicit-def: $vgpr48
	s_and_saveexec_b64 s[4:5], s[8:9]
	s_cbranch_execnz .LBB1808_54
.LBB1808_76:
	s_or_b64 exec, exec, s[4:5]
                                        ; implicit-def: $vgpr1
	s_and_saveexec_b64 s[4:5], s[10:11]
	s_cbranch_execz .LBB1808_55
.LBB1808_77:
	v_lshlrev_b32_e32 v50, 2, v26
	v_mov_b32_e32 v51, 0
	v_lshl_add_u64 v[50:51], s[68:69], 0, v[50:51]
	flat_load_dword v1, v[50:51]
	s_waitcnt vmcnt(0) lgkmcnt(0)
	v_cvt_f32_u32_e32 v1, v1
	s_or_b64 exec, exec, s[4:5]
                                        ; implicit-def: $vgpr26
	s_and_saveexec_b64 s[4:5], s[12:13]
	s_cbranch_execnz .LBB1808_56
.LBB1808_78:
	s_or_b64 exec, exec, s[4:5]
                                        ; implicit-def: $vgpr27
	s_and_saveexec_b64 s[4:5], s[14:15]
	s_cbranch_execz .LBB1808_57
.LBB1808_79:
	v_lshlrev_b32_e32 v50, 2, v28
	v_mov_b32_e32 v51, 0
	v_lshl_add_u64 v[50:51], s[68:69], 0, v[50:51]
	flat_load_dword v27, v[50:51]
	s_waitcnt vmcnt(0) lgkmcnt(0)
	v_cvt_f32_u32_e32 v27, v27
	s_or_b64 exec, exec, s[4:5]
                                        ; implicit-def: $vgpr28
	s_and_saveexec_b64 s[4:5], s[16:17]
	s_cbranch_execnz .LBB1808_58
.LBB1808_80:
	s_or_b64 exec, exec, s[4:5]
                                        ; implicit-def: $vgpr29
	s_and_saveexec_b64 s[4:5], s[18:19]
	s_cbranch_execz .LBB1808_59
.LBB1808_81:
	v_lshlrev_b32_e32 v50, 2, v30
	v_mov_b32_e32 v51, 0
	v_lshl_add_u64 v[50:51], s[68:69], 0, v[50:51]
	flat_load_dword v29, v[50:51]
	s_waitcnt vmcnt(0) lgkmcnt(0)
	v_cvt_f32_u32_e32 v29, v29
	s_or_b64 exec, exec, s[4:5]
                                        ; implicit-def: $vgpr30
	s_and_saveexec_b64 s[4:5], s[20:21]
	s_cbranch_execnz .LBB1808_60
.LBB1808_82:
	s_or_b64 exec, exec, s[4:5]
                                        ; implicit-def: $vgpr31
	s_and_saveexec_b64 s[4:5], s[22:23]
	s_cbranch_execz .LBB1808_61
.LBB1808_83:
	v_lshlrev_b32_e32 v50, 2, v32
	v_mov_b32_e32 v51, 0
	v_lshl_add_u64 v[50:51], s[68:69], 0, v[50:51]
	flat_load_dword v31, v[50:51]
	s_waitcnt vmcnt(0) lgkmcnt(0)
	v_cvt_f32_u32_e32 v31, v31
	s_or_b64 exec, exec, s[4:5]
                                        ; implicit-def: $vgpr32
	s_and_saveexec_b64 s[4:5], s[24:25]
	s_cbranch_execnz .LBB1808_62
.LBB1808_84:
	s_or_b64 exec, exec, s[4:5]
                                        ; implicit-def: $vgpr33
	s_and_saveexec_b64 s[4:5], s[26:27]
	s_cbranch_execz .LBB1808_63
.LBB1808_85:
	v_lshlrev_b32_e32 v50, 2, v34
	v_mov_b32_e32 v51, 0
	v_lshl_add_u64 v[50:51], s[68:69], 0, v[50:51]
	flat_load_dword v33, v[50:51]
	s_waitcnt vmcnt(0) lgkmcnt(0)
	v_cvt_f32_u32_e32 v33, v33
	s_or_b64 exec, exec, s[4:5]
                                        ; implicit-def: $vgpr34
	s_and_saveexec_b64 s[4:5], s[28:29]
	s_cbranch_execnz .LBB1808_64
.LBB1808_86:
	s_or_b64 exec, exec, s[4:5]
                                        ; implicit-def: $vgpr35
	s_and_saveexec_b64 s[4:5], s[30:31]
	s_cbranch_execz .LBB1808_65
.LBB1808_87:
	v_lshlrev_b32_e32 v50, 2, v36
	v_mov_b32_e32 v51, 0
	v_lshl_add_u64 v[50:51], s[68:69], 0, v[50:51]
	flat_load_dword v35, v[50:51]
	s_waitcnt vmcnt(0) lgkmcnt(0)
	v_cvt_f32_u32_e32 v35, v35
	s_or_b64 exec, exec, s[4:5]
                                        ; implicit-def: $vgpr36
	s_and_saveexec_b64 s[4:5], s[34:35]
	s_cbranch_execnz .LBB1808_66
.LBB1808_88:
	s_or_b64 exec, exec, s[4:5]
                                        ; implicit-def: $vgpr37
	s_and_saveexec_b64 s[4:5], s[36:37]
	s_cbranch_execz .LBB1808_67
.LBB1808_89:
	v_lshlrev_b32_e32 v50, 2, v38
	v_mov_b32_e32 v51, 0
	v_lshl_add_u64 v[50:51], s[68:69], 0, v[50:51]
	flat_load_dword v37, v[50:51]
	s_waitcnt vmcnt(0) lgkmcnt(0)
	v_cvt_f32_u32_e32 v37, v37
	s_or_b64 exec, exec, s[4:5]
                                        ; implicit-def: $vgpr38
	s_and_saveexec_b64 s[4:5], s[38:39]
	s_cbranch_execnz .LBB1808_68
.LBB1808_90:
	s_or_b64 exec, exec, s[4:5]
                                        ; implicit-def: $vgpr39
	s_and_saveexec_b64 s[4:5], s[40:41]
	s_cbranch_execz .LBB1808_69
.LBB1808_91:
	v_lshlrev_b32_e32 v50, 2, v40
	v_mov_b32_e32 v51, 0
	v_lshl_add_u64 v[50:51], s[68:69], 0, v[50:51]
	flat_load_dword v39, v[50:51]
	s_waitcnt vmcnt(0) lgkmcnt(0)
	v_cvt_f32_u32_e32 v39, v39
	s_or_b64 exec, exec, s[4:5]
                                        ; implicit-def: $vgpr40
	s_and_saveexec_b64 s[4:5], s[42:43]
	s_cbranch_execnz .LBB1808_70
.LBB1808_92:
	s_or_b64 exec, exec, s[4:5]
                                        ; implicit-def: $vgpr41
	s_and_saveexec_b64 s[4:5], s[44:45]
	s_cbranch_execz .LBB1808_94
.LBB1808_93:
	v_lshlrev_b32_e32 v50, 2, v42
	v_mov_b32_e32 v51, 0
	v_lshl_add_u64 v[50:51], s[68:69], 0, v[50:51]
	flat_load_dword v41, v[50:51]
	s_waitcnt vmcnt(0) lgkmcnt(0)
	v_cvt_f32_u32_e32 v41, v41
.LBB1808_94:
	s_or_b64 exec, exec, s[4:5]
	v_mul_u32_u24_e32 v71, 23, v0
                                        ; implicit-def: $vgpr42
	s_and_saveexec_b64 s[4:5], s[46:47]
	s_cbranch_execz .LBB1808_96
; %bb.95:
	v_lshlrev_b32_e32 v42, 2, v43
	v_mov_b32_e32 v43, 0
	v_lshl_add_u64 v[42:43], s[68:69], 0, v[42:43]
	flat_load_dword v42, v[42:43]
	s_waitcnt vmcnt(0) lgkmcnt(0)
	v_cvt_f32_u32_e32 v42, v42
.LBB1808_96:
	s_or_b64 exec, exec, s[4:5]
	ds_write2st64_b32 v24, v44, v45 offset1:4
	ds_write2st64_b32 v24, v46, v25 offset0:8 offset1:12
	ds_write2st64_b32 v24, v48, v1 offset0:16 offset1:20
	ds_write2st64_b32 v24, v26, v27 offset0:24 offset1:28
	ds_write2st64_b32 v24, v28, v29 offset0:32 offset1:36
	ds_write2st64_b32 v24, v30, v31 offset0:40 offset1:44
	ds_write2st64_b32 v24, v32, v33 offset0:48 offset1:52
	ds_write2st64_b32 v24, v34, v35 offset0:56 offset1:60
	ds_write2st64_b32 v24, v36, v37 offset0:64 offset1:68
	ds_write2st64_b32 v24, v38, v39 offset0:72 offset1:76
	ds_write2st64_b32 v24, v40, v41 offset0:80 offset1:84
	ds_write_b32 v24, v42 offset:22528
	v_cmp_gt_u32_e32 vcc, s59, v71
	s_mov_b64 s[4:5], 0
	s_mov_b32 s3, 0
	v_mov_b32_e32 v1, 0
	v_mov_b32_e32 v26, 0
	s_mov_b64 s[10:11], 0
	v_mov_b32_e32 v52, 0
	v_mov_b32_e32 v48, 0
	;; [unrolled: 1-line block ×42, first 2 shown]
	s_waitcnt lgkmcnt(0)
	s_barrier
	s_waitcnt lgkmcnt(0)
                                        ; implicit-def: $sgpr8_sgpr9
                                        ; implicit-def: $vgpr27
	s_and_saveexec_b64 s[6:7], vcc
	s_cbranch_execz .LBB1808_142
; %bb.97:
	ds_read_b32 v24, v70
	v_add_u32_e32 v25, 1, v71
	v_cmp_ne_u32_e32 vcc, v72, v22
	v_mov_b32_e32 v26, s76
	v_mov_b32_e32 v52, 0
	v_cndmask_b32_e64 v1, 0, 1, vcc
	s_waitcnt lgkmcnt(0)
	v_cndmask_b32_e32 v48, v24, v26, vcc
	v_cmp_gt_u32_e32 vcc, s59, v25
	v_mov_b32_e32 v26, 0
	v_mov_b32_e32 v29, 0
	;; [unrolled: 1-line block ×41, first 2 shown]
                                        ; implicit-def: $sgpr12_sgpr13
                                        ; implicit-def: $vgpr27
	s_and_saveexec_b64 s[8:9], vcc
	s_cbranch_execz .LBB1808_141
; %bb.98:
	ds_read2_b32 v[24:25], v70 offset0:1 offset1:2
	v_add_u32_e32 v26, 2, v71
	v_cmp_ne_u32_e32 vcc, v22, v23
	v_mov_b32_e32 v22, s76
	s_mov_b64 s[14:15], 0
	v_cndmask_b32_e64 v49, 0, 1, vcc
	s_waitcnt lgkmcnt(0)
	v_cndmask_b32_e32 v24, v24, v22, vcc
	v_cmp_gt_u32_e32 vcc, s59, v26
	v_mov_b32_e32 v26, 0
	v_mov_b32_e32 v52, 0
	;; [unrolled: 1-line block ×40, first 2 shown]
                                        ; implicit-def: $sgpr12_sgpr13
                                        ; implicit-def: $vgpr27
	s_and_saveexec_b64 s[10:11], vcc
	s_cbranch_execz .LBB1808_140
; %bb.99:
	v_add_u32_e32 v22, 3, v71
	v_cmp_ne_u32_e32 vcc, v23, v20
	v_mov_b32_e32 v23, s76
	v_mov_b32_e32 v26, 0
	v_cndmask_b32_e64 v50, 0, 1, vcc
	v_cndmask_b32_e32 v46, v25, v23, vcc
	v_cmp_gt_u32_e32 vcc, s59, v22
	v_mov_b32_e32 v52, 0
	v_mov_b32_e32 v29, 0
	;; [unrolled: 1-line block ×37, first 2 shown]
                                        ; implicit-def: $sgpr16_sgpr17
                                        ; implicit-def: $vgpr27
	s_and_saveexec_b64 s[12:13], vcc
	s_cbranch_execz .LBB1808_139
; %bb.100:
	ds_read2_b32 v[22:23], v70 offset0:3 offset1:4
	v_add_u32_e32 v25, 4, v71
	v_cmp_ne_u32_e32 vcc, v20, v21
	v_mov_b32_e32 v20, s76
	s_mov_b64 s[18:19], 0
	v_cndmask_b32_e64 v51, 0, 1, vcc
	s_waitcnt lgkmcnt(0)
	v_cndmask_b32_e32 v44, v22, v20, vcc
	v_cmp_gt_u32_e32 vcc, s59, v25
	v_mov_b32_e32 v26, 0
	v_mov_b32_e32 v52, 0
	;; [unrolled: 1-line block ×36, first 2 shown]
                                        ; implicit-def: $sgpr16_sgpr17
                                        ; implicit-def: $vgpr27
	s_and_saveexec_b64 s[14:15], vcc
	s_cbranch_execz .LBB1808_138
; %bb.101:
	v_add_u32_e32 v20, 5, v71
	v_cmp_ne_u32_e32 vcc, v21, v18
	v_mov_b32_e32 v21, s76
	v_mov_b32_e32 v26, 0
	v_cndmask_b32_e64 v53, 0, 1, vcc
	v_cndmask_b32_e32 v45, v23, v21, vcc
	v_cmp_gt_u32_e32 vcc, s59, v20
	v_mov_b32_e32 v52, 0
	v_mov_b32_e32 v29, 0
	v_mov_b32_e32 v69, 0
	v_mov_b32_e32 v28, 0
	v_mov_b32_e32 v68, 0
	v_mov_b32_e32 v31, 0
	v_mov_b32_e32 v67, 0
	v_mov_b32_e32 v30, 0
	v_mov_b32_e32 v66, 0
	v_mov_b32_e32 v33, 0
	v_mov_b32_e32 v65, 0
	v_mov_b32_e32 v32, 0
	v_mov_b32_e32 v64, 0
	v_mov_b32_e32 v35, 0
	v_mov_b32_e32 v63, 0
	v_mov_b32_e32 v34, 0
	v_mov_b32_e32 v62, 0
	v_mov_b32_e32 v37, 0
	v_mov_b32_e32 v61, 0
	v_mov_b32_e32 v54, 0
	v_mov_b32_e32 v36, 0
	v_mov_b32_e32 v60, 0
	v_mov_b32_e32 v42, 0
	v_mov_b32_e32 v39, 0
	v_mov_b32_e32 v59, 0
	v_mov_b32_e32 v55, 0
	v_mov_b32_e32 v38, 0
	v_mov_b32_e32 v58, 0
	v_mov_b32_e32 v43, 0
	v_mov_b32_e32 v41, 0
	v_mov_b32_e32 v57, 0
	v_mov_b32_e32 v56, 0
	v_mov_b32_e32 v40, 0
                                        ; implicit-def: $sgpr20_sgpr21
                                        ; implicit-def: $vgpr27
	s_and_saveexec_b64 s[16:17], vcc
	s_cbranch_execz .LBB1808_137
; %bb.102:
	ds_read2_b32 v[20:21], v70 offset0:5 offset1:6
	v_add_u32_e32 v22, 6, v71
	v_cmp_ne_u32_e32 vcc, v18, v19
	v_mov_b32_e32 v18, s76
	s_mov_b64 s[22:23], 0
	v_cndmask_b32_e64 v54, 0, 1, vcc
	s_waitcnt lgkmcnt(0)
	v_cndmask_b32_e32 v42, v20, v18, vcc
	v_cmp_gt_u32_e32 vcc, s59, v22
	v_mov_b32_e32 v26, 0
	v_mov_b32_e32 v52, 0
	;; [unrolled: 1-line block ×32, first 2 shown]
                                        ; implicit-def: $sgpr20_sgpr21
                                        ; implicit-def: $vgpr27
	s_and_saveexec_b64 s[18:19], vcc
	s_cbranch_execz .LBB1808_136
; %bb.103:
	v_add_u32_e32 v18, 7, v71
	v_cmp_ne_u32_e32 vcc, v19, v16
	v_mov_b32_e32 v19, s76
	v_mov_b32_e32 v26, 0
	v_cndmask_b32_e64 v55, 0, 1, vcc
	v_cndmask_b32_e32 v43, v21, v19, vcc
	v_cmp_gt_u32_e32 vcc, s59, v18
	v_mov_b32_e32 v52, 0
	v_mov_b32_e32 v29, 0
	;; [unrolled: 1-line block ×29, first 2 shown]
                                        ; implicit-def: $sgpr24_sgpr25
                                        ; implicit-def: $vgpr27
	s_and_saveexec_b64 s[20:21], vcc
	s_cbranch_execz .LBB1808_135
; %bb.104:
	ds_read2_b32 v[18:19], v70 offset0:7 offset1:8
	v_add_u32_e32 v20, 8, v71
	v_cmp_ne_u32_e32 vcc, v16, v17
	v_mov_b32_e32 v16, s76
	s_mov_b64 s[26:27], 0
	v_cndmask_b32_e64 v56, 0, 1, vcc
	s_waitcnt lgkmcnt(0)
	v_cndmask_b32_e32 v40, v18, v16, vcc
	v_cmp_gt_u32_e32 vcc, s59, v20
	v_mov_b32_e32 v26, 0
	v_mov_b32_e32 v52, 0
	;; [unrolled: 1-line block ×28, first 2 shown]
                                        ; implicit-def: $sgpr24_sgpr25
                                        ; implicit-def: $vgpr27
	s_and_saveexec_b64 s[22:23], vcc
	s_cbranch_execz .LBB1808_134
; %bb.105:
	v_add_u32_e32 v16, 9, v71
	v_cmp_ne_u32_e32 vcc, v17, v14
	v_mov_b32_e32 v17, s76
	v_mov_b32_e32 v26, 0
	v_cndmask_b32_e64 v57, 0, 1, vcc
	v_cndmask_b32_e32 v41, v19, v17, vcc
	v_cmp_gt_u32_e32 vcc, s59, v16
	v_mov_b32_e32 v52, 0
	v_mov_b32_e32 v29, 0
	;; [unrolled: 1-line block ×25, first 2 shown]
                                        ; implicit-def: $sgpr28_sgpr29
                                        ; implicit-def: $vgpr27
	s_and_saveexec_b64 s[24:25], vcc
	s_cbranch_execz .LBB1808_133
; %bb.106:
	ds_read2_b32 v[16:17], v70 offset0:9 offset1:10
	v_add_u32_e32 v18, 10, v71
	v_cmp_ne_u32_e32 vcc, v14, v15
	v_mov_b32_e32 v14, s76
	s_mov_b64 s[30:31], 0
	v_cndmask_b32_e64 v58, 0, 1, vcc
	s_waitcnt lgkmcnt(0)
	v_cndmask_b32_e32 v38, v16, v14, vcc
	v_cmp_gt_u32_e32 vcc, s59, v18
	v_mov_b32_e32 v26, 0
	v_mov_b32_e32 v52, 0
	;; [unrolled: 1-line block ×24, first 2 shown]
                                        ; implicit-def: $sgpr28_sgpr29
                                        ; implicit-def: $vgpr27
	s_and_saveexec_b64 s[26:27], vcc
	s_cbranch_execz .LBB1808_132
; %bb.107:
	v_add_u32_e32 v14, 11, v71
	v_cmp_ne_u32_e32 vcc, v15, v12
	v_mov_b32_e32 v15, s76
	v_mov_b32_e32 v26, 0
	v_cndmask_b32_e64 v59, 0, 1, vcc
	v_cndmask_b32_e32 v39, v17, v15, vcc
	v_cmp_gt_u32_e32 vcc, s59, v14
	v_mov_b32_e32 v52, 0
	v_mov_b32_e32 v29, 0
	;; [unrolled: 1-line block ×21, first 2 shown]
                                        ; implicit-def: $sgpr34_sgpr35
                                        ; implicit-def: $vgpr27
	s_and_saveexec_b64 s[28:29], vcc
	s_cbranch_execz .LBB1808_131
; %bb.108:
	ds_read2_b32 v[14:15], v70 offset0:11 offset1:12
	v_add_u32_e32 v16, 12, v71
	v_cmp_ne_u32_e32 vcc, v12, v13
	v_mov_b32_e32 v12, s76
	s_mov_b64 s[36:37], 0
	v_cndmask_b32_e64 v60, 0, 1, vcc
	s_waitcnt lgkmcnt(0)
	v_cndmask_b32_e32 v36, v14, v12, vcc
	v_cmp_gt_u32_e32 vcc, s59, v16
	v_mov_b32_e32 v26, 0
	v_mov_b32_e32 v52, 0
	v_mov_b32_e32 v29, 0
	v_mov_b32_e32 v69, 0
	v_mov_b32_e32 v28, 0
	v_mov_b32_e32 v68, 0
	v_mov_b32_e32 v31, 0
	v_mov_b32_e32 v67, 0
	v_mov_b32_e32 v30, 0
	v_mov_b32_e32 v66, 0
	v_mov_b32_e32 v33, 0
	v_mov_b32_e32 v65, 0
	v_mov_b32_e32 v32, 0
	v_mov_b32_e32 v64, 0
	v_mov_b32_e32 v35, 0
	v_mov_b32_e32 v63, 0
	v_mov_b32_e32 v34, 0
	v_mov_b32_e32 v62, 0
	v_mov_b32_e32 v37, 0
	v_mov_b32_e32 v61, 0
                                        ; implicit-def: $sgpr34_sgpr35
                                        ; implicit-def: $vgpr27
	s_and_saveexec_b64 s[30:31], vcc
	s_cbranch_execz .LBB1808_130
; %bb.109:
	v_add_u32_e32 v12, 13, v71
	v_cmp_ne_u32_e32 vcc, v13, v10
	v_mov_b32_e32 v13, s76
	v_mov_b32_e32 v26, 0
	v_cndmask_b32_e64 v61, 0, 1, vcc
	v_cndmask_b32_e32 v37, v15, v13, vcc
	v_cmp_gt_u32_e32 vcc, s59, v12
	v_mov_b32_e32 v52, 0
	v_mov_b32_e32 v29, 0
	;; [unrolled: 1-line block ×17, first 2 shown]
                                        ; implicit-def: $sgpr38_sgpr39
                                        ; implicit-def: $vgpr27
	s_and_saveexec_b64 s[34:35], vcc
	s_cbranch_execz .LBB1808_129
; %bb.110:
	ds_read2_b32 v[12:13], v70 offset0:13 offset1:14
	v_add_u32_e32 v14, 14, v71
	v_cmp_ne_u32_e32 vcc, v10, v11
	v_mov_b32_e32 v10, s76
	s_mov_b64 s[40:41], 0
	v_cndmask_b32_e64 v62, 0, 1, vcc
	s_waitcnt lgkmcnt(0)
	v_cndmask_b32_e32 v34, v12, v10, vcc
	v_cmp_gt_u32_e32 vcc, s59, v14
	v_mov_b32_e32 v26, 0
	v_mov_b32_e32 v52, 0
	;; [unrolled: 1-line block ×16, first 2 shown]
                                        ; implicit-def: $sgpr38_sgpr39
                                        ; implicit-def: $vgpr27
	s_and_saveexec_b64 s[36:37], vcc
	s_cbranch_execz .LBB1808_128
; %bb.111:
	v_add_u32_e32 v10, 15, v71
	v_cmp_ne_u32_e32 vcc, v11, v8
	v_mov_b32_e32 v11, s76
	v_mov_b32_e32 v26, 0
	v_cndmask_b32_e64 v63, 0, 1, vcc
	v_cndmask_b32_e32 v35, v13, v11, vcc
	v_cmp_gt_u32_e32 vcc, s59, v10
	v_mov_b32_e32 v52, 0
	v_mov_b32_e32 v29, 0
	;; [unrolled: 1-line block ×13, first 2 shown]
                                        ; implicit-def: $sgpr42_sgpr43
                                        ; implicit-def: $vgpr27
	s_and_saveexec_b64 s[38:39], vcc
	s_cbranch_execz .LBB1808_127
; %bb.112:
	ds_read2_b32 v[10:11], v70 offset0:15 offset1:16
	v_add_u32_e32 v12, 16, v71
	v_cmp_ne_u32_e32 vcc, v8, v9
	v_mov_b32_e32 v8, s76
	s_mov_b64 s[44:45], 0
	v_cndmask_b32_e64 v64, 0, 1, vcc
	s_waitcnt lgkmcnt(0)
	v_cndmask_b32_e32 v32, v10, v8, vcc
	v_cmp_gt_u32_e32 vcc, s59, v12
	v_mov_b32_e32 v26, 0
	v_mov_b32_e32 v52, 0
	;; [unrolled: 1-line block ×12, first 2 shown]
                                        ; implicit-def: $sgpr42_sgpr43
                                        ; implicit-def: $vgpr27
	s_and_saveexec_b64 s[40:41], vcc
	s_cbranch_execz .LBB1808_126
; %bb.113:
	v_add_u32_e32 v8, 17, v71
	v_cmp_ne_u32_e32 vcc, v9, v6
	v_mov_b32_e32 v9, s76
	v_mov_b32_e32 v26, 0
	v_cndmask_b32_e64 v65, 0, 1, vcc
	v_cndmask_b32_e32 v33, v11, v9, vcc
	v_cmp_gt_u32_e32 vcc, s59, v8
	v_mov_b32_e32 v52, 0
	v_mov_b32_e32 v29, 0
	;; [unrolled: 1-line block ×9, first 2 shown]
                                        ; implicit-def: $sgpr46_sgpr47
                                        ; implicit-def: $vgpr27
	s_and_saveexec_b64 s[42:43], vcc
	s_cbranch_execz .LBB1808_125
; %bb.114:
	ds_read2_b32 v[8:9], v70 offset0:17 offset1:18
	v_add_u32_e32 v10, 18, v71
	v_cmp_ne_u32_e32 vcc, v6, v7
	v_mov_b32_e32 v6, s76
	s_mov_b64 s[48:49], 0
	v_cndmask_b32_e64 v66, 0, 1, vcc
	s_waitcnt lgkmcnt(0)
	v_cndmask_b32_e32 v30, v8, v6, vcc
	v_cmp_gt_u32_e32 vcc, s59, v10
	v_mov_b32_e32 v26, 0
	v_mov_b32_e32 v52, 0
	;; [unrolled: 1-line block ×8, first 2 shown]
                                        ; implicit-def: $sgpr46_sgpr47
                                        ; implicit-def: $vgpr27
	s_and_saveexec_b64 s[44:45], vcc
	s_cbranch_execz .LBB1808_124
; %bb.115:
	v_add_u32_e32 v6, 19, v71
	v_cmp_ne_u32_e32 vcc, v7, v4
	v_mov_b32_e32 v7, s76
	v_mov_b32_e32 v26, 0
	v_cndmask_b32_e64 v67, 0, 1, vcc
	v_cndmask_b32_e32 v31, v9, v7, vcc
	v_cmp_gt_u32_e32 vcc, s59, v6
	v_mov_b32_e32 v52, 0
	v_mov_b32_e32 v29, 0
	;; [unrolled: 1-line block ×5, first 2 shown]
                                        ; implicit-def: $sgpr50_sgpr51
                                        ; implicit-def: $vgpr27
	s_and_saveexec_b64 s[46:47], vcc
	s_cbranch_execz .LBB1808_123
; %bb.116:
	ds_read2_b32 v[6:7], v70 offset0:19 offset1:20
	v_add_u32_e32 v8, 20, v71
	v_cmp_ne_u32_e32 vcc, v4, v5
	v_mov_b32_e32 v4, s76
	s_mov_b64 s[60:61], 0
	v_cndmask_b32_e64 v68, 0, 1, vcc
	s_waitcnt lgkmcnt(0)
	v_cndmask_b32_e32 v28, v6, v4, vcc
	v_cmp_gt_u32_e32 vcc, s59, v8
	v_mov_b32_e32 v26, 0
	v_mov_b32_e32 v52, 0
	;; [unrolled: 1-line block ×4, first 2 shown]
                                        ; implicit-def: $sgpr50_sgpr51
                                        ; implicit-def: $vgpr27
	s_and_saveexec_b64 s[48:49], vcc
	s_cbranch_execz .LBB1808_122
; %bb.117:
	v_add_u32_e32 v4, 21, v71
	v_cmp_ne_u32_e32 vcc, v5, v2
	v_mov_b32_e32 v5, s76
	v_mov_b32_e32 v26, 0
	v_cndmask_b32_e64 v69, 0, 1, vcc
	v_cndmask_b32_e32 v29, v7, v5, vcc
	v_cmp_gt_u32_e32 vcc, s59, v4
	v_mov_b32_e32 v52, 0
                                        ; implicit-def: $sgpr72_sgpr73
                                        ; implicit-def: $vgpr27
	s_and_saveexec_b64 s[50:51], vcc
	s_cbranch_execz .LBB1808_121
; %bb.118:
	ds_read2_b32 v[4:5], v70 offset0:21 offset1:22
	v_add_u32_e32 v6, 22, v71
	v_cmp_ne_u32_e32 vcc, v2, v3
	v_mov_b32_e32 v2, s76
                                        ; implicit-def: $sgpr72_sgpr73
                                        ; implicit-def: $vgpr27
	s_nop 0
	v_cndmask_b32_e64 v52, 0, 1, vcc
	s_waitcnt lgkmcnt(0)
	v_cndmask_b32_e32 v26, v4, v2, vcc
	v_cmp_gt_u32_e32 vcc, s59, v6
	s_and_saveexec_b64 s[74:75], vcc
	s_xor_b64 s[74:75], exec, s[74:75]
	s_cbranch_execz .LBB1808_120
; %bb.119:
	v_mov_b32_e32 v2, s76
	s_waitcnt vmcnt(0)
	v_cmp_ne_u32_e32 vcc, v3, v47
	s_mov_b64 s[60:61], exec
	s_and_b64 s[72:73], vcc, exec
	v_cndmask_b32_e32 v27, v5, v2, vcc
.LBB1808_120:
	s_or_b64 exec, exec, s[74:75]
	s_and_b64 s[72:73], s[72:73], exec
	s_and_b64 s[60:61], s[60:61], exec
.LBB1808_121:
	s_or_b64 exec, exec, s[50:51]
	s_and_b64 s[50:51], s[72:73], exec
	s_and_b64 s[60:61], s[60:61], exec
.LBB1808_122:
	s_or_b64 exec, exec, s[48:49]
	s_and_b64 s[50:51], s[50:51], exec
	s_and_b64 s[48:49], s[60:61], exec
.LBB1808_123:
	s_or_b64 exec, exec, s[46:47]
	s_and_b64 s[46:47], s[50:51], exec
	s_and_b64 s[48:49], s[48:49], exec
.LBB1808_124:
	s_or_b64 exec, exec, s[44:45]
	s_and_b64 s[46:47], s[46:47], exec
	s_and_b64 s[44:45], s[48:49], exec
.LBB1808_125:
	s_or_b64 exec, exec, s[42:43]
	s_and_b64 s[42:43], s[46:47], exec
	s_and_b64 s[44:45], s[44:45], exec
.LBB1808_126:
	s_or_b64 exec, exec, s[40:41]
	s_and_b64 s[42:43], s[42:43], exec
	s_and_b64 s[40:41], s[44:45], exec
.LBB1808_127:
	s_or_b64 exec, exec, s[38:39]
	s_and_b64 s[38:39], s[42:43], exec
	s_and_b64 s[40:41], s[40:41], exec
.LBB1808_128:
	s_or_b64 exec, exec, s[36:37]
	s_and_b64 s[38:39], s[38:39], exec
	s_and_b64 s[36:37], s[40:41], exec
.LBB1808_129:
	s_or_b64 exec, exec, s[34:35]
	s_and_b64 s[34:35], s[38:39], exec
	s_and_b64 s[36:37], s[36:37], exec
.LBB1808_130:
	s_or_b64 exec, exec, s[30:31]
	s_and_b64 s[34:35], s[34:35], exec
	s_and_b64 s[30:31], s[36:37], exec
.LBB1808_131:
	s_or_b64 exec, exec, s[28:29]
	s_and_b64 s[28:29], s[34:35], exec
	s_and_b64 s[30:31], s[30:31], exec
.LBB1808_132:
	s_or_b64 exec, exec, s[26:27]
	s_and_b64 s[28:29], s[28:29], exec
	s_and_b64 s[26:27], s[30:31], exec
.LBB1808_133:
	s_or_b64 exec, exec, s[24:25]
	s_and_b64 s[24:25], s[28:29], exec
	s_and_b64 s[26:27], s[26:27], exec
.LBB1808_134:
	s_or_b64 exec, exec, s[22:23]
	s_and_b64 s[24:25], s[24:25], exec
	s_and_b64 s[22:23], s[26:27], exec
.LBB1808_135:
	s_or_b64 exec, exec, s[20:21]
	s_and_b64 s[20:21], s[24:25], exec
	s_and_b64 s[22:23], s[22:23], exec
.LBB1808_136:
	s_or_b64 exec, exec, s[18:19]
	s_and_b64 s[20:21], s[20:21], exec
	s_and_b64 s[18:19], s[22:23], exec
.LBB1808_137:
	s_or_b64 exec, exec, s[16:17]
	s_and_b64 s[16:17], s[20:21], exec
	s_and_b64 s[18:19], s[18:19], exec
.LBB1808_138:
	s_or_b64 exec, exec, s[14:15]
	s_and_b64 s[16:17], s[16:17], exec
	s_and_b64 s[14:15], s[18:19], exec
.LBB1808_139:
	s_or_b64 exec, exec, s[12:13]
	s_and_b64 s[12:13], s[16:17], exec
	s_and_b64 s[14:15], s[14:15], exec
.LBB1808_140:
	s_or_b64 exec, exec, s[10:11]
	s_and_b64 s[12:13], s[12:13], exec
	s_and_b64 s[10:11], s[14:15], exec
.LBB1808_141:
	s_or_b64 exec, exec, s[8:9]
	s_and_b64 s[8:9], s[12:13], exec
	s_and_b64 s[10:11], s[10:11], exec
.LBB1808_142:
	s_or_b64 exec, exec, s[6:7]
	s_mov_b32 s6, 0
	s_and_b64 vcc, exec, s[4:5]
	v_lshlrev_b32_e32 v10, 2, v0
	s_cbranch_vccz .LBB1808_148
.LBB1808_143:
	v_mov_b32_e32 v11, 0
	v_lshl_add_u64 v[2:3], s[70:71], 0, v[10:11]
	v_add_co_u32_e32 v4, vcc, 0x1000, v2
	s_movk_i32 s4, 0x58
	s_nop 0
	v_addc_co_u32_e32 v5, vcc, 0, v3, vcc
	flat_load_dword v1, v[2:3]
	flat_load_dword v8, v[2:3] offset:1024
	flat_load_dword v9, v[2:3] offset:2048
	;; [unrolled: 1-line block ×3, first 2 shown]
	flat_load_dword v13, v[4:5]
	flat_load_dword v14, v[4:5] offset:1024
	flat_load_dword v15, v[4:5] offset:2048
	;; [unrolled: 1-line block ×3, first 2 shown]
	v_add_co_u32_e32 v4, vcc, 0x2000, v2
	s_movk_i32 s9, 0x1000
	s_nop 0
	v_addc_co_u32_e32 v5, vcc, 0, v3, vcc
	v_add_co_u32_e32 v6, vcc, 0x3000, v2
	s_movk_i32 s8, 0x2000
	s_nop 0
	v_addc_co_u32_e32 v7, vcc, 0, v3, vcc
	flat_load_dword v17, v[4:5]
	flat_load_dword v18, v[4:5] offset:1024
	flat_load_dword v19, v[4:5] offset:2048
	;; [unrolled: 1-line block ×3, first 2 shown]
	flat_load_dword v21, v[6:7]
	flat_load_dword v22, v[6:7] offset:1024
	flat_load_dword v23, v[6:7] offset:2048
	;; [unrolled: 1-line block ×3, first 2 shown]
	v_add_co_u32_e32 v4, vcc, 0x4000, v2
	s_movk_i32 s7, 0x3000
	s_nop 0
	v_addc_co_u32_e32 v5, vcc, 0, v3, vcc
	v_add_co_u32_e32 v2, vcc, 0x5000, v2
	s_movk_i32 s6, 0x4000
	s_nop 0
	v_addc_co_u32_e32 v3, vcc, 0, v3, vcc
	flat_load_dword v6, v[4:5]
	flat_load_dword v7, v[4:5] offset:1024
	flat_load_dword v25, v[4:5] offset:2048
	;; [unrolled: 1-line block ×3, first 2 shown]
	flat_load_dword v27, v[2:3]
	flat_load_dword v28, v[2:3] offset:1024
	flat_load_dword v29, v[2:3] offset:2048
	v_mov_b32_e32 v2, s70
	v_mov_b32_e32 v3, s71
	v_add_co_u32_e32 v2, vcc, 0x5000, v2
	s_movk_i32 s3, 0x5000
	s_nop 0
	v_addc_co_u32_e32 v3, vcc, 0, v3, vcc
	s_waitcnt vmcnt(0) lgkmcnt(0)
	ds_write2st64_b32 v10, v1, v8 offset1:4
	ds_write2st64_b32 v10, v9, v12 offset0:8 offset1:12
	ds_write2st64_b32 v10, v13, v14 offset0:16 offset1:20
	;; [unrolled: 1-line block ×10, first 2 shown]
	ds_write_b32 v10, v29 offset:22528
	s_waitcnt lgkmcnt(0)
	s_barrier
	flat_load_dword v70, v[2:3] offset:3072
	v_mad_u32_u24 v1, v0, s4, v10
	s_movk_i32 s4, 0xffa8
	v_mad_i32_i24 v26, v0, s4, v1
	s_movk_i32 s4, 0xff
	v_cmp_ne_u32_e32 vcc, s4, v0
	ds_read_b32 v48, v1
	ds_read2_b32 v[24:25], v1 offset0:1 offset1:2
	ds_read2_b32 v[22:23], v1 offset0:3 offset1:4
	;; [unrolled: 1-line block ×11, first 2 shown]
	s_waitcnt lgkmcnt(0)
	ds_write_b32 v26, v48 offset:24576
	s_waitcnt lgkmcnt(0)
	s_barrier
	s_and_saveexec_b64 s[4:5], vcc
	s_cbranch_execz .LBB1808_145
; %bb.144:
	s_waitcnt vmcnt(0)
	ds_read_b32 v70, v10 offset:24580
.LBB1808_145:
	s_or_b64 exec, exec, s[4:5]
	v_lshl_add_u64 v[26:27], s[68:69], 0, v[10:11]
	v_add_co_u32_e32 v28, vcc, s9, v26
	s_waitcnt lgkmcnt(0)
	s_nop 0
	v_addc_co_u32_e32 v29, vcc, 0, v27, vcc
	s_barrier
	flat_load_dword v11, v[26:27]
	flat_load_dword v32, v[26:27] offset:1024
	flat_load_dword v33, v[26:27] offset:2048
	;; [unrolled: 1-line block ×3, first 2 shown]
	flat_load_dword v35, v[28:29]
	flat_load_dword v36, v[28:29] offset:1024
	flat_load_dword v37, v[28:29] offset:2048
	;; [unrolled: 1-line block ×3, first 2 shown]
	v_add_co_u32_e32 v28, vcc, s8, v26
	v_cmp_eq_u32_e64 s[4:5], v48, v24
	s_nop 0
	v_addc_co_u32_e32 v29, vcc, 0, v27, vcc
	v_add_co_u32_e32 v30, vcc, s7, v26
	s_waitcnt vmcnt(0) lgkmcnt(0)
	v_cvt_f32_u32_e32 v11, v11
	v_addc_co_u32_e32 v31, vcc, 0, v27, vcc
	flat_load_dword v39, v[28:29]
	flat_load_dword v40, v[28:29] offset:1024
	flat_load_dword v41, v[28:29] offset:2048
	;; [unrolled: 1-line block ×3, first 2 shown]
	flat_load_dword v43, v[30:31]
	flat_load_dword v44, v[30:31] offset:1024
	flat_load_dword v45, v[30:31] offset:2048
	;; [unrolled: 1-line block ×3, first 2 shown]
	v_add_co_u32_e32 v28, vcc, s6, v26
	s_nop 1
	v_addc_co_u32_e32 v29, vcc, 0, v27, vcc
	v_add_co_u32_e32 v26, vcc, s3, v26
	s_nop 1
	v_addc_co_u32_e32 v27, vcc, 0, v27, vcc
	flat_load_dword v30, v[28:29]
	flat_load_dword v31, v[28:29] offset:1024
	flat_load_dword v47, v[28:29] offset:2048
	;; [unrolled: 1-line block ×3, first 2 shown]
	flat_load_dword v50, v[26:27]
	flat_load_dword v51, v[26:27] offset:1024
	flat_load_dword v52, v[26:27] offset:2048
	v_cvt_f32_u32_e32 v26, v32
	v_cvt_f32_u32_e32 v27, v33
	;; [unrolled: 1-line block ×7, first 2 shown]
	ds_write2st64_b32 v10, v11, v26 offset1:4
	ds_write2st64_b32 v10, v27, v28 offset0:8 offset1:12
	v_cmp_ne_u32_e32 vcc, v48, v24
	v_mov_b32_e32 v48, s76
	s_waitcnt vmcnt(0) lgkmcnt(0)
	v_cvt_f32_u32_e32 v35, v39
	v_cvt_f32_u32_e32 v36, v40
	;; [unrolled: 1-line block ×15, first 2 shown]
	ds_write2st64_b32 v10, v29, v32 offset0:16 offset1:20
	ds_write2st64_b32 v10, v33, v34 offset0:24 offset1:28
	ds_write2st64_b32 v10, v35, v36 offset0:32 offset1:36
	ds_write2st64_b32 v10, v37, v38 offset0:40 offset1:44
	ds_write2st64_b32 v10, v39, v40 offset0:48 offset1:52
	ds_write2st64_b32 v10, v41, v42 offset0:56 offset1:60
	ds_write2st64_b32 v10, v11, v26 offset0:64 offset1:68
	ds_write2st64_b32 v10, v27, v28 offset0:72 offset1:76
	ds_write2st64_b32 v10, v30, v31 offset0:80 offset1:84
	ds_write_b32 v10, v43 offset:22528
	s_waitcnt lgkmcnt(0)
	s_barrier
	ds_read2_b32 v[46:47], v1 offset0:1 offset1:2
	ds_read2_b32 v[44:45], v1 offset0:3 offset1:4
	;; [unrolled: 1-line block ×11, first 2 shown]
	s_and_saveexec_b64 s[6:7], s[4:5]
	s_cbranch_execz .LBB1808_147
; %bb.146:
	ds_read_b32 v48, v1
.LBB1808_147:
	s_or_b64 exec, exec, s[6:7]
	v_cmp_ne_u32_e64 s[8:9], v23, v20
	v_cmp_ne_u32_e64 s[42:43], v5, v2
	v_cmp_ne_u32_e64 s[44:45], v2, v3
	v_mov_b32_e32 v2, s76
	v_cndmask_b32_e64 v1, 0, 1, vcc
	v_cmp_ne_u32_e32 vcc, v24, v25
	v_cmp_ne_u32_e64 s[4:5], v25, v22
	v_cmp_ne_u32_e64 s[6:7], v22, v23
	v_cndmask_b32_e64 v53, 0, 1, s[8:9]
	v_cmp_ne_u32_e64 s[10:11], v20, v21
	v_cmp_ne_u32_e64 s[12:13], v21, v18
	;; [unrolled: 1-line block ×15, first 2 shown]
	s_waitcnt lgkmcnt(9)
	v_cndmask_b32_e64 v45, v45, v2, s[8:9]
	v_cmp_ne_u32_e64 s[8:9], v3, v70
	v_cndmask_b32_e64 v49, 0, 1, vcc
	v_cndmask_b32_e64 v50, 0, 1, s[4:5]
	v_cndmask_b32_e64 v51, 0, 1, s[6:7]
	v_cndmask_b32_e64 v54, 0, 1, s[10:11]
	v_cndmask_b32_e64 v55, 0, 1, s[12:13]
	v_cndmask_b32_e64 v56, 0, 1, s[14:15]
	v_cndmask_b32_e64 v57, 0, 1, s[16:17]
	v_cndmask_b32_e64 v58, 0, 1, s[18:19]
	v_cndmask_b32_e64 v59, 0, 1, s[20:21]
	v_cndmask_b32_e64 v60, 0, 1, s[22:23]
	v_cndmask_b32_e64 v61, 0, 1, s[24:25]
	v_cndmask_b32_e64 v62, 0, 1, s[26:27]
	v_cndmask_b32_e64 v63, 0, 1, s[28:29]
	v_cndmask_b32_e64 v64, 0, 1, s[30:31]
	v_cndmask_b32_e64 v65, 0, 1, s[34:35]
	v_cndmask_b32_e64 v66, 0, 1, s[36:37]
	v_cndmask_b32_e64 v67, 0, 1, s[38:39]
	v_cndmask_b32_e64 v68, 0, 1, s[40:41]
	v_cndmask_b32_e64 v69, 0, 1, s[42:43]
	v_cndmask_b32_e64 v52, 0, 1, s[44:45]
	v_cndmask_b32_e32 v24, v46, v2, vcc
	v_cndmask_b32_e64 v46, v47, v2, s[4:5]
	v_cndmask_b32_e64 v44, v44, v2, s[6:7]
	s_waitcnt lgkmcnt(8)
	v_cndmask_b32_e64 v42, v42, v2, s[10:11]
	v_cndmask_b32_e64 v43, v43, v2, s[12:13]
	s_waitcnt lgkmcnt(7)
	;; [unrolled: 3-line block ×9, first 2 shown]
	v_cndmask_b32_e64 v26, v26, v2, s[44:45]
	v_cndmask_b32_e64 v27, v27, v2, s[8:9]
	s_mov_b64 s[10:11], -1
                                        ; implicit-def: $sgpr6
                                        ; implicit-def: $sgpr3
.LBB1808_148:
	v_mov_b32_e32 v11, s3
	v_mov_b32_e32 v16, s6
	s_and_saveexec_b64 s[4:5], s[10:11]
; %bb.149:
	v_cndmask_b32_e64 v11, 0, 1, s[8:9]
	v_mov_b32_e32 v16, v27
; %bb.150:
	s_or_b64 exec, exec, s[4:5]
	v_or_b32_e32 v2, v11, v52
	s_cmp_lg_u32 s2, 0
	v_add_f32_e32 v19, v24, v48
	v_or_b32_e32 v18, v2, v69
	v_lshrrev_b32_e32 v17, 5, v0
	v_cmp_gt_u32_e32 vcc, 64, v0
	s_barrier
	s_cbranch_scc0 .LBB1808_213
; %bb.151:
	v_mov_b32_e32 v6, 0
	v_cmp_eq_u16_sdwa s[50:51], v49, v6 src0_sel:BYTE_0 src1_sel:DWORD
	v_cmp_eq_u16_sdwa s[4:5], v50, v6 src0_sel:BYTE_0 src1_sel:DWORD
	v_cmp_eq_u16_sdwa s[6:7], v51, v6 src0_sel:BYTE_0 src1_sel:DWORD
	v_cndmask_b32_e64 v2, v24, v19, s[50:51]
	v_add_f32_e32 v2, v46, v2
	v_cndmask_b32_e64 v2, v46, v2, s[4:5]
	v_add_f32_e32 v2, v44, v2
	v_cndmask_b32_e64 v2, v44, v2, s[6:7]
	v_add_f32_e32 v2, v45, v2
	v_cmp_eq_u16_sdwa s[8:9], v53, v6 src0_sel:BYTE_0 src1_sel:DWORD
	v_cmp_eq_u16_sdwa s[10:11], v54, v6 src0_sel:BYTE_0 src1_sel:DWORD
	v_cmp_eq_u16_sdwa s[12:13], v55, v6 src0_sel:BYTE_0 src1_sel:DWORD
	v_cndmask_b32_e64 v2, v45, v2, s[8:9]
	v_add_f32_e32 v2, v42, v2
	v_cndmask_b32_e64 v2, v42, v2, s[10:11]
	v_add_f32_e32 v2, v43, v2
	v_cndmask_b32_e64 v2, v43, v2, s[12:13]
	v_add_f32_e32 v2, v40, v2
	;; [unrolled: 9-line block ×7, first 2 shown]
	v_cmp_eq_u16_sdwa s[46:47], v11, v6 src0_sel:BYTE_0 src1_sel:DWORD
	v_and_b32_e32 v3, 0xff, v1
	s_nop 0
	v_cndmask_b32_e64 v20, v16, v2, s[46:47]
	v_or_b32_e32 v2, v18, v68
	v_or_b32_e32 v2, v2, v67
	;; [unrolled: 1-line block ×19, first 2 shown]
	v_and_b32_e32 v2, 1, v2
	v_cmp_eq_u32_e64 s[46:47], 1, v2
	v_add_lshl_u32 v2, v17, v0, 3
	s_nop 0
	v_cndmask_b32_e64 v21, v3, 1, s[46:47]
	ds_write_b32 v2, v20
	ds_write_b8 v2, v21 offset:4
	s_waitcnt lgkmcnt(0)
	s_barrier
	s_and_saveexec_b64 s[48:49], vcc
	s_cbranch_execz .LBB1808_165
; %bb.152:
	v_lshrrev_b32_e32 v2, 3, v0
	v_add_lshl_u32 v4, v2, v10, 3
	ds_read2_b32 v[8:9], v4 offset0:2 offset1:4
	ds_read_b64 v[2:3], v4
	ds_read_u8 v7, v4 offset:12
	ds_read_u8 v12, v4 offset:20
	ds_read_b32 v14, v4 offset:24
	ds_read_u8 v15, v4 offset:28
	s_waitcnt lgkmcnt(0)
	v_add_f32_e32 v5, v2, v8
	v_cmp_eq_u16_sdwa s[46:47], v7, v6 src0_sel:BYTE_0 src1_sel:DWORD
	v_and_b32_e32 v13, 0xffffff00, v3
	s_nop 0
	v_cndmask_b32_e64 v8, v8, v5, s[46:47]
	v_add_f32_e32 v8, v9, v8
	v_cmp_eq_u16_sdwa s[46:47], v12, v6 src0_sel:BYTE_0 src1_sel:DWORD
	v_and_b32_e32 v5, 1, v3
	s_nop 0
	v_cndmask_b32_e64 v6, v9, v8, s[46:47]
	v_or_b32_e32 v8, v15, v12
	v_or_b32_e32 v7, v8, v7
	v_add_f32_e32 v6, v14, v6
	v_cmp_eq_u16_e64 s[46:47], 0, v15
	v_and_b32_e32 v7, 1, v7
	s_nop 0
	v_cndmask_b32_e64 v6, v14, v6, s[46:47]
	v_cmp_eq_u32_e64 s[46:47], 1, v7
	v_mbcnt_lo_u32_b32 v7, -1, 0
	v_mbcnt_hi_u32_b32 v7, -1, v7
	v_cndmask_b32_e64 v9, v5, 1, s[46:47]
	v_or_b32_e32 v8, v9, v13
	v_and_b32_e32 v12, 15, v7
	v_mov_b32_dpp v15, v6 row_shr:1 row_mask:0xf bank_mask:0xf
	v_mov_b32_dpp v14, v8 row_shr:1 row_mask:0xf bank_mask:0xf
	v_cmp_ne_u32_e64 s[46:47], 0, v12
	s_and_saveexec_b64 s[60:61], s[46:47]
; %bb.153:
	v_add_f32_e32 v8, v6, v15
	v_cmp_eq_u32_e64 s[46:47], 0, v9
	s_nop 1
	v_cndmask_b32_e64 v6, v6, v8, s[46:47]
	v_and_b32_e32 v8, 1, v9
	v_and_b32_e32 v9, 1, v14
	v_cmp_eq_u32_e64 s[46:47], 1, v8
	s_nop 1
	v_cndmask_b32_e64 v9, v9, 1, s[46:47]
	v_or_b32_e32 v8, v9, v13
; %bb.154:
	s_or_b64 exec, exec, s[60:61]
	v_mov_b32_dpp v14, v6 row_shr:2 row_mask:0xf bank_mask:0xf
	v_mov_b32_dpp v13, v8 row_shr:2 row_mask:0xf bank_mask:0xf
	v_cmp_lt_u32_e64 s[46:47], 1, v12
	s_and_saveexec_b64 s[60:61], s[46:47]
; %bb.155:
	v_add_f32_e32 v14, v6, v14
	v_cmp_eq_u32_e64 s[46:47], 0, v9
	v_and_b32_e32 v9, 1, v9
	v_and_b32_e32 v13, 1, v13
	v_cndmask_b32_e64 v6, v6, v14, s[46:47]
	v_cmp_eq_u32_e64 s[46:47], 1, v9
	s_movk_i32 s3, 0xff00
	s_nop 0
	v_cndmask_b32_e64 v9, v13, 1, s[46:47]
	v_and_or_b32 v8, v8, s3, v9
; %bb.156:
	s_or_b64 exec, exec, s[60:61]
	v_mov_b32_dpp v14, v6 row_shr:4 row_mask:0xf bank_mask:0xf
	v_mov_b32_dpp v13, v8 row_shr:4 row_mask:0xf bank_mask:0xf
	v_cmp_lt_u32_e64 s[46:47], 3, v12
	s_and_saveexec_b64 s[60:61], s[46:47]
; %bb.157:
	v_add_f32_e32 v14, v6, v14
	v_cmp_eq_u32_e64 s[46:47], 0, v9
	v_and_b32_e32 v9, 1, v9
	v_and_b32_e32 v13, 1, v13
	v_cndmask_b32_e64 v6, v6, v14, s[46:47]
	v_cmp_eq_u32_e64 s[46:47], 1, v9
	s_movk_i32 s3, 0xff00
	s_nop 0
	v_cndmask_b32_e64 v9, v13, 1, s[46:47]
	v_and_or_b32 v8, v8, s3, v9
; %bb.158:
	s_or_b64 exec, exec, s[60:61]
	v_mov_b32_dpp v14, v6 row_shr:8 row_mask:0xf bank_mask:0xf
	v_mov_b32_dpp v13, v8 row_shr:8 row_mask:0xf bank_mask:0xf
	v_cmp_lt_u32_e64 s[46:47], 7, v12
	s_and_saveexec_b64 s[60:61], s[46:47]
; %bb.159:
	v_add_f32_e32 v12, v6, v14
	v_cmp_eq_u32_e64 s[46:47], 0, v9
	v_and_b32_e32 v9, 1, v9
	s_movk_i32 s3, 0xff00
	v_cndmask_b32_e64 v6, v6, v12, s[46:47]
	v_and_b32_e32 v12, 1, v13
	v_cmp_eq_u32_e64 s[46:47], 1, v9
	s_nop 1
	v_cndmask_b32_e64 v9, v12, 1, s[46:47]
	v_and_or_b32 v8, v8, s3, v9
; %bb.160:
	s_or_b64 exec, exec, s[60:61]
	v_and_b32_e32 v14, 16, v7
	v_mov_b32_dpp v13, v6 row_bcast:15 row_mask:0xf bank_mask:0xf
	v_mov_b32_dpp v12, v8 row_bcast:15 row_mask:0xf bank_mask:0xf
	v_cmp_ne_u32_e64 s[46:47], 0, v14
	s_and_saveexec_b64 s[60:61], s[46:47]
; %bb.161:
	v_add_f32_e32 v13, v6, v13
	v_cmp_eq_u32_e64 s[46:47], 0, v9
	v_and_b32_e32 v9, 1, v9
	v_and_b32_e32 v12, 1, v12
	v_cndmask_b32_e64 v6, v6, v13, s[46:47]
	v_cmp_eq_u32_e64 s[46:47], 1, v9
	s_movk_i32 s3, 0xff00
	s_nop 0
	v_cndmask_b32_e64 v9, v12, 1, s[46:47]
	v_and_or_b32 v8, v8, s3, v9
; %bb.162:
	s_or_b64 exec, exec, s[60:61]
	v_mov_b32_dpp v13, v6 row_bcast:31 row_mask:0xf bank_mask:0xf
	v_mov_b32_dpp v12, v8 row_bcast:31 row_mask:0xf bank_mask:0xf
	v_cmp_lt_u32_e64 s[46:47], 31, v7
	s_and_saveexec_b64 s[60:61], s[46:47]
; %bb.163:
	v_add_f32_e32 v13, v6, v13
	v_cmp_eq_u32_e64 s[46:47], 0, v9
	v_and_b32_e32 v9, 1, v9
	v_and_b32_e32 v12, 1, v12
	v_cndmask_b32_e64 v6, v6, v13, s[46:47]
	v_cmp_eq_u32_e64 s[46:47], 1, v9
	s_movk_i32 s3, 0xff00
	s_nop 0
	v_cndmask_b32_e64 v9, v12, 1, s[46:47]
	v_and_or_b32 v8, v8, s3, v9
; %bb.164:
	s_or_b64 exec, exec, s[60:61]
	v_add_u32_e32 v9, -1, v7
	v_and_b32_e32 v12, 64, v7
	v_cmp_lt_i32_e64 s[46:47], v9, v12
	; wave barrier
	s_nop 1
	v_cndmask_b32_e64 v7, v9, v7, s[46:47]
	v_lshlrev_b32_e32 v7, 2, v7
	ds_bpermute_b32 v6, v7, v6
	ds_bpermute_b32 v7, v7, v8
	v_mov_b32_e32 v8, 0
	v_cmp_eq_u32_sdwa s[46:47], v3, v8 src0_sel:BYTE_0 src1_sel:DWORD
	s_waitcnt lgkmcnt(0)
	v_add_f32_e32 v6, v2, v6
	v_cndmask_b32_e64 v2, v2, v6, s[46:47]
	v_and_b32_e32 v3, 1, v7
	v_cmp_eq_u32_e64 s[46:47], 1, v5
	s_nop 1
	v_cndmask_b32_e64 v3, v3, 1, s[46:47]
	v_cmp_eq_u32_e64 s[46:47], 0, v0
	s_nop 1
	v_cndmask_b32_e64 v5, v2, v20, s[46:47]
	v_cndmask_b32_e64 v6, v3, v21, s[46:47]
	ds_write_b32 v4, v5
	ds_write_b8 v4, v6 offset:4
	; wave barrier
	ds_read2_b32 v[2:3], v4 offset0:2 offset1:4
	ds_read_u8 v7, v4 offset:12
	ds_read_u8 v8, v4 offset:20
	ds_read_b32 v9, v4 offset:24
	ds_read_u8 v12, v4 offset:28
	s_waitcnt lgkmcnt(0)
	v_add_f32_e32 v5, v5, v2
	v_cmp_eq_u16_e64 s[46:47], 0, v7
	s_nop 1
	v_cndmask_b32_e64 v2, v2, v5, s[46:47]
	v_and_b32_e32 v5, 1, v7
	v_cmp_eq_u32_e64 s[46:47], 1, v5
	s_nop 1
	v_cndmask_b32_e64 v5, v6, 1, s[46:47]
	v_add_f32_e32 v6, v2, v3
	v_cmp_eq_u16_e64 s[46:47], 0, v8
	ds_write_b8 v4, v5 offset:12
	s_nop 0
	v_cndmask_b32_e64 v3, v3, v6, s[46:47]
	v_and_b32_e32 v6, 1, v8
	v_cmp_eq_u32_e64 s[46:47], 1, v6
	s_nop 1
	v_cndmask_b32_e64 v5, v5, 1, s[46:47]
	ds_write2_b32 v4, v2, v3 offset0:2 offset1:4
	ds_write_b8 v4, v5 offset:20
	v_add_f32_e32 v2, v3, v9
	v_cmp_eq_u16_e64 s[46:47], 0, v12
	v_and_b32_e32 v3, 1, v12
	s_nop 0
	v_cndmask_b32_e64 v2, v9, v2, s[46:47]
	v_cmp_eq_u32_e64 s[46:47], 1, v3
	s_nop 1
	v_cndmask_b32_e64 v3, v5, 1, s[46:47]
	ds_write_b32 v4, v2 offset:24
	ds_write_b8 v4, v3 offset:28
.LBB1808_165:
	s_or_b64 exec, exec, s[48:49]
	v_cmp_eq_u32_e64 s[46:47], 0, v0
	v_cmp_ne_u32_e64 s[48:49], 0, v0
	s_waitcnt lgkmcnt(0)
	s_barrier
	s_and_saveexec_b64 s[60:61], s[48:49]
	s_cbranch_execz .LBB1808_167
; %bb.166:
	v_add_u32_e32 v2, -1, v0
	v_lshrrev_b32_e32 v3, 5, v2
	v_add_lshl_u32 v2, v3, v2, 3
	ds_read_b32 v20, v2
	ds_read_u8 v21, v2 offset:4
.LBB1808_167:
	s_or_b64 exec, exec, s[60:61]
	s_and_saveexec_b64 s[60:61], vcc
	s_cbranch_execz .LBB1808_212
; %bb.168:
	v_mov_b32_e32 v5, 0
	ds_read_b64 v[2:3], v5 offset:2096
	v_mbcnt_lo_u32_b32 v4, -1, 0
	v_mbcnt_hi_u32_b32 v13, -1, v4
	s_mov_b32 s71, 0
	v_cmp_eq_u32_e64 s[48:49], 0, v13
	s_waitcnt lgkmcnt(0)
	v_readfirstlane_b32 s3, v3
	s_and_saveexec_b64 s[68:69], s[48:49]
	s_cbranch_execz .LBB1808_170
; %bb.169:
	s_add_i32 s70, s2, 64
	s_lshl_b64 s[72:73], s[70:71], 4
	s_add_u32 s72, s56, s72
	s_addc_u32 s73, s57, s73
	s_and_b32 s75, s3, 0xff000000
	s_mov_b32 s74, s71
	s_and_b32 s79, s3, 0xff0000
	s_mov_b32 s78, s71
	s_or_b64 s[74:75], s[78:79], s[74:75]
	s_and_b32 s79, s3, 0xff00
	s_or_b64 s[74:75], s[74:75], s[78:79]
	s_and_b32 s79, s3, 0xff
	s_or_b64 s[70:71], s[74:75], s[78:79]
	v_mov_b32_e32 v3, s71
	v_mov_b32_e32 v4, 1
	v_mov_b64_e32 v[6:7], s[72:73]
	;;#ASMSTART
	global_store_dwordx4 v[6:7], v[2:5] off sc1	
s_waitcnt vmcnt(0)
	;;#ASMEND
.LBB1808_170:
	s_or_b64 exec, exec, s[68:69]
	v_xad_u32 v12, v13, -1, s2
	v_add_u32_e32 v4, 64, v12
	v_lshl_add_u64 v[14:15], v[4:5], 4, s[56:57]
	;;#ASMSTART
	global_load_dwordx4 v[6:9], v[14:15] off sc1	
s_waitcnt vmcnt(0)
	;;#ASMEND
	s_nop 0
	v_cmp_eq_u16_sdwa s[70:71], v8, v5 src0_sel:BYTE_0 src1_sel:DWORD
	s_and_saveexec_b64 s[68:69], s[70:71]
	s_cbranch_execz .LBB1808_176
; %bb.171:
	s_mov_b32 s59, 1
	s_mov_b64 s[70:71], 0
	v_mov_b32_e32 v3, 0
.LBB1808_172:                           ; =>This Loop Header: Depth=1
                                        ;     Child Loop BB1808_173 Depth 2
	s_max_u32 s72, s59, 1
.LBB1808_173:                           ;   Parent Loop BB1808_172 Depth=1
                                        ; =>  This Inner Loop Header: Depth=2
	s_add_i32 s72, s72, -1
	s_cmp_eq_u32 s72, 0
	s_sleep 1
	s_cbranch_scc0 .LBB1808_173
; %bb.174:                              ;   in Loop: Header=BB1808_172 Depth=1
	s_cmp_lt_u32 s59, 32
	s_cselect_b64 s[72:73], -1, 0
	s_cmp_lg_u64 s[72:73], 0
	s_addc_u32 s59, s59, 0
	;;#ASMSTART
	global_load_dwordx4 v[6:9], v[14:15] off sc1	
s_waitcnt vmcnt(0)
	;;#ASMEND
	s_nop 0
	v_cmp_ne_u16_sdwa s[72:73], v8, v3 src0_sel:BYTE_0 src1_sel:DWORD
	s_or_b64 s[70:71], s[72:73], s[70:71]
	s_andn2_b64 exec, exec, s[70:71]
	s_cbranch_execnz .LBB1808_172
; %bb.175:
	s_or_b64 exec, exec, s[70:71]
.LBB1808_176:
	s_or_b64 exec, exec, s[68:69]
	v_mov_b32_e32 v3, 2
	v_cmp_eq_u16_sdwa s[68:69], v8, v3 src0_sel:BYTE_0 src1_sel:DWORD
	v_lshlrev_b64 v[4:5], v13, -1
	v_and_b32_e32 v14, 0xff, v7
	v_and_b32_e32 v3, s69, v5
	v_or_b32_e32 v3, 0x80000000, v3
	v_ffbl_b32_e32 v25, v3
	v_and_b32_e32 v3, 63, v13
	v_cmp_ne_u32_e32 vcc, 63, v3
	v_and_b32_e32 v9, s68, v4
	v_add_u32_e32 v25, 32, v25
	v_addc_co_u32_e32 v15, vcc, 0, v13, vcc
	v_lshlrev_b32_e32 v22, 2, v15
	ds_bpermute_b32 v23, v22, v6
	ds_bpermute_b32 v15, v22, v14
	v_ffbl_b32_e32 v9, v9
	v_min_u32_e32 v9, v9, v25
	v_cmp_lt_u32_e32 vcc, v3, v9
	s_and_saveexec_b64 s[68:69], vcc
	s_cbranch_execz .LBB1808_178
; %bb.177:
	v_mov_b32_e32 v14, 0
	s_waitcnt lgkmcnt(0)
	v_add_f32_e32 v23, v6, v23
	v_cmp_eq_u16_sdwa vcc, v7, v14 src0_sel:BYTE_0 src1_sel:DWORD
	v_and_b32_e32 v7, 1, v7
	v_and_b32_e32 v14, 1, v15
	v_cndmask_b32_e32 v6, v6, v23, vcc
	v_cmp_eq_u32_e32 vcc, 1, v7
	s_nop 1
	v_cndmask_b32_e64 v7, v14, 1, vcc
	v_and_b32_e32 v14, 0xffff, v7
.LBB1808_178:
	s_or_b64 exec, exec, s[68:69]
	v_cmp_gt_u32_e32 vcc, 62, v3
	v_add_u32_e32 v25, 2, v3
	s_waitcnt lgkmcnt(0)
	v_cndmask_b32_e64 v15, 0, 1, vcc
	v_lshlrev_b32_e32 v15, 1, v15
	v_add_lshl_u32 v23, v15, v13, 2
	ds_bpermute_b32 v27, v23, v6
	ds_bpermute_b32 v15, v23, v14
	v_cmp_le_u32_e32 vcc, v25, v9
	s_and_saveexec_b64 s[68:69], vcc
	s_cbranch_execz .LBB1808_180
; %bb.179:
	v_mov_b32_e32 v14, 0
	s_waitcnt lgkmcnt(0)
	v_add_f32_e32 v27, v6, v27
	v_cmp_eq_u16_sdwa vcc, v7, v14 src0_sel:BYTE_0 src1_sel:DWORD
	v_and_b32_e32 v7, 1, v7
	v_and_b32_e32 v14, 1, v15
	v_cndmask_b32_e32 v6, v6, v27, vcc
	v_cmp_eq_u32_e32 vcc, 1, v7
	s_nop 1
	v_cndmask_b32_e64 v7, v14, 1, vcc
	v_and_b32_e32 v14, 0xffff, v7
.LBB1808_180:
	s_or_b64 exec, exec, s[68:69]
	v_cmp_gt_u32_e32 vcc, 60, v3
	s_waitcnt vmcnt(0)
	v_add_u32_e32 v47, 4, v3
	s_waitcnt lgkmcnt(0)
	v_cndmask_b32_e64 v15, 0, 1, vcc
	v_lshlrev_b32_e32 v15, 2, v15
	v_add_lshl_u32 v27, v15, v13, 2
	ds_bpermute_b32 v70, v27, v6
	ds_bpermute_b32 v15, v27, v14
	v_cmp_le_u32_e32 vcc, v47, v9
	s_and_saveexec_b64 s[68:69], vcc
	s_cbranch_execz .LBB1808_182
; %bb.181:
	v_mov_b32_e32 v14, 0
	s_waitcnt lgkmcnt(1)
	v_add_f32_e32 v70, v6, v70
	v_cmp_eq_u16_sdwa vcc, v7, v14 src0_sel:BYTE_0 src1_sel:DWORD
	v_and_b32_e32 v7, 1, v7
	s_waitcnt lgkmcnt(0)
	v_and_b32_e32 v14, 1, v15
	v_cndmask_b32_e32 v6, v6, v70, vcc
	v_cmp_eq_u32_e32 vcc, 1, v7
	s_nop 1
	v_cndmask_b32_e64 v7, v14, 1, vcc
	v_and_b32_e32 v14, 0xffff, v7
.LBB1808_182:
	s_or_b64 exec, exec, s[68:69]
	v_cmp_gt_u32_e32 vcc, 56, v3
	v_add_u32_e32 v71, 8, v3
	s_waitcnt lgkmcnt(0)
	v_cndmask_b32_e64 v15, 0, 1, vcc
	v_lshlrev_b32_e32 v15, 3, v15
	v_add_lshl_u32 v70, v15, v13, 2
	ds_bpermute_b32 v72, v70, v6
	ds_bpermute_b32 v15, v70, v14
	v_cmp_le_u32_e32 vcc, v71, v9
	s_and_saveexec_b64 s[68:69], vcc
	s_cbranch_execz .LBB1808_184
; %bb.183:
	v_mov_b32_e32 v14, 0
	s_waitcnt lgkmcnt(1)
	v_add_f32_e32 v72, v6, v72
	v_cmp_eq_u16_sdwa vcc, v7, v14 src0_sel:BYTE_0 src1_sel:DWORD
	v_and_b32_e32 v7, 1, v7
	s_waitcnt lgkmcnt(0)
	v_and_b32_e32 v14, 1, v15
	v_cndmask_b32_e32 v6, v6, v72, vcc
	v_cmp_eq_u32_e32 vcc, 1, v7
	s_nop 1
	v_cndmask_b32_e64 v7, v14, 1, vcc
	v_and_b32_e32 v14, 0xffff, v7
.LBB1808_184:
	s_or_b64 exec, exec, s[68:69]
	v_cmp_gt_u32_e32 vcc, 48, v3
	;; [unrolled: 26-line block ×3, first 2 shown]
	v_add_u32_e32 v77, 32, v3
	s_waitcnt lgkmcnt(0)
	v_cndmask_b32_e64 v15, 0, 1, vcc
	v_lshlrev_b32_e32 v15, 5, v15
	v_add_lshl_u32 v75, v15, v13, 2
	ds_bpermute_b32 v15, v75, v6
	ds_bpermute_b32 v13, v75, v14
	v_cmp_le_u32_e32 vcc, v77, v9
	s_and_saveexec_b64 s[68:69], vcc
	s_cbranch_execz .LBB1808_188
; %bb.187:
	v_mov_b32_e32 v9, 0
	s_waitcnt lgkmcnt(1)
	v_add_f32_e32 v14, v6, v15
	v_cmp_eq_u16_sdwa vcc, v7, v9 src0_sel:BYTE_0 src1_sel:DWORD
	v_and_b32_e32 v7, 1, v7
	s_waitcnt lgkmcnt(0)
	v_and_b32_e32 v9, 1, v13
	v_cndmask_b32_e32 v6, v6, v14, vcc
	v_cmp_eq_u32_e32 vcc, 1, v7
	s_nop 1
	v_cndmask_b32_e64 v7, v9, 1, vcc
.LBB1808_188:
	s_or_b64 exec, exec, s[68:69]
	s_waitcnt lgkmcnt(0)
	v_mov_b32_e32 v13, 0
	v_mov_b32_e32 v78, 2
	s_branch .LBB1808_190
.LBB1808_189:                           ;   in Loop: Header=BB1808_190 Depth=1
	s_or_b64 exec, exec, s[68:69]
	s_waitcnt lgkmcnt(0)
	ds_bpermute_b32 v15, v75, v6
	ds_bpermute_b32 v14, v75, v14
	v_and_b32_e32 v79, 1, v7
	v_cmp_eq_u16_sdwa vcc, v7, v13 src0_sel:BYTE_0 src1_sel:DWORD
	v_subrev_u32_e32 v12, 64, v12
	s_waitcnt lgkmcnt(1)
	v_add_f32_e32 v15, v6, v15
	v_cndmask_b32_e32 v15, v6, v15, vcc
	v_cmp_eq_u32_e32 vcc, 1, v79
	s_waitcnt lgkmcnt(0)
	s_nop 0
	v_cndmask_b32_e64 v14, v14, 1, vcc
	v_cmp_gt_u32_e32 vcc, v77, v9
	v_and_b32_e32 v9, 1, v74
	s_nop 0
	v_cndmask_b32_e32 v6, v15, v6, vcc
	v_cndmask_b32_e32 v7, v14, v7, vcc
	v_add_f32_e32 v6, v76, v6
	v_cmp_eq_u16_sdwa vcc, v74, v13 src0_sel:BYTE_0 src1_sel:DWORD
	v_and_b32_e32 v7, 1, v7
	s_nop 0
	v_cndmask_b32_e32 v6, v76, v6, vcc
	v_cmp_eq_u32_e32 vcc, 1, v9
	s_nop 1
	v_cndmask_b32_e64 v7, v7, 1, vcc
.LBB1808_190:                           ; =>This Loop Header: Depth=1
                                        ;     Child Loop BB1808_193 Depth 2
                                        ;       Child Loop BB1808_194 Depth 3
	v_cmp_ne_u16_sdwa s[68:69], v8, v78 src0_sel:BYTE_0 src1_sel:DWORD
	v_mov_b32_e32 v74, v7
	v_mov_b32_e32 v76, v6
	v_cndmask_b32_e64 v7, 0, 1, s[68:69]
	;;#ASMSTART
	;;#ASMEND
	s_nop 0
	v_cmp_ne_u32_e32 vcc, 0, v7
	s_cmp_lg_u64 vcc, exec
	s_cbranch_scc1 .LBB1808_207
; %bb.191:                              ;   in Loop: Header=BB1808_190 Depth=1
	v_lshl_add_u64 v[14:15], v[12:13], 4, s[56:57]
	;;#ASMSTART
	global_load_dwordx4 v[6:9], v[14:15] off sc1	
s_waitcnt vmcnt(0)
	;;#ASMEND
	s_nop 0
	v_cmp_eq_u16_sdwa s[70:71], v8, v13 src0_sel:BYTE_0 src1_sel:DWORD
	s_and_saveexec_b64 s[68:69], s[70:71]
	s_cbranch_execz .LBB1808_197
; %bb.192:                              ;   in Loop: Header=BB1808_190 Depth=1
	s_mov_b32 s59, 1
	s_mov_b64 s[70:71], 0
.LBB1808_193:                           ;   Parent Loop BB1808_190 Depth=1
                                        ; =>  This Loop Header: Depth=2
                                        ;       Child Loop BB1808_194 Depth 3
	s_max_u32 s72, s59, 1
.LBB1808_194:                           ;   Parent Loop BB1808_190 Depth=1
                                        ;     Parent Loop BB1808_193 Depth=2
                                        ; =>    This Inner Loop Header: Depth=3
	s_add_i32 s72, s72, -1
	s_cmp_eq_u32 s72, 0
	s_sleep 1
	s_cbranch_scc0 .LBB1808_194
; %bb.195:                              ;   in Loop: Header=BB1808_193 Depth=2
	s_cmp_lt_u32 s59, 32
	s_cselect_b64 s[72:73], -1, 0
	s_cmp_lg_u64 s[72:73], 0
	s_addc_u32 s59, s59, 0
	;;#ASMSTART
	global_load_dwordx4 v[6:9], v[14:15] off sc1	
s_waitcnt vmcnt(0)
	;;#ASMEND
	s_nop 0
	v_cmp_ne_u16_sdwa s[72:73], v8, v13 src0_sel:BYTE_0 src1_sel:DWORD
	s_or_b64 s[70:71], s[72:73], s[70:71]
	s_andn2_b64 exec, exec, s[70:71]
	s_cbranch_execnz .LBB1808_193
; %bb.196:                              ;   in Loop: Header=BB1808_190 Depth=1
	s_or_b64 exec, exec, s[70:71]
.LBB1808_197:                           ;   in Loop: Header=BB1808_190 Depth=1
	s_or_b64 exec, exec, s[68:69]
	v_cmp_eq_u16_sdwa s[68:69], v8, v78 src0_sel:BYTE_0 src1_sel:DWORD
	v_and_b32_e32 v14, 0xff, v7
	ds_bpermute_b32 v79, v22, v6
	v_and_b32_e32 v9, s69, v5
	v_or_b32_e32 v9, 0x80000000, v9
	ds_bpermute_b32 v15, v22, v14
	v_and_b32_e32 v80, s68, v4
	v_ffbl_b32_e32 v9, v9
	v_add_u32_e32 v9, 32, v9
	v_ffbl_b32_e32 v80, v80
	v_min_u32_e32 v9, v80, v9
	v_cmp_lt_u32_e32 vcc, v3, v9
	s_and_saveexec_b64 s[68:69], vcc
	s_cbranch_execz .LBB1808_199
; %bb.198:                              ;   in Loop: Header=BB1808_190 Depth=1
	s_waitcnt lgkmcnt(1)
	v_add_f32_e32 v14, v6, v79
	v_cmp_eq_u16_sdwa vcc, v7, v13 src0_sel:BYTE_0 src1_sel:DWORD
	v_and_b32_e32 v7, 1, v7
	s_nop 0
	v_cndmask_b32_e32 v6, v6, v14, vcc
	s_waitcnt lgkmcnt(0)
	v_and_b32_e32 v14, 1, v15
	v_cmp_eq_u32_e32 vcc, 1, v7
	s_nop 1
	v_cndmask_b32_e64 v7, v14, 1, vcc
	v_and_b32_e32 v14, 0xffff, v7
.LBB1808_199:                           ;   in Loop: Header=BB1808_190 Depth=1
	s_or_b64 exec, exec, s[68:69]
	s_waitcnt lgkmcnt(1)
	ds_bpermute_b32 v79, v23, v6
	s_waitcnt lgkmcnt(1)
	ds_bpermute_b32 v15, v23, v14
	v_cmp_le_u32_e32 vcc, v25, v9
	s_and_saveexec_b64 s[68:69], vcc
	s_cbranch_execz .LBB1808_201
; %bb.200:                              ;   in Loop: Header=BB1808_190 Depth=1
	s_waitcnt lgkmcnt(1)
	v_add_f32_e32 v14, v6, v79
	v_cmp_eq_u16_sdwa vcc, v7, v13 src0_sel:BYTE_0 src1_sel:DWORD
	v_and_b32_e32 v7, 1, v7
	s_nop 0
	v_cndmask_b32_e32 v6, v6, v14, vcc
	s_waitcnt lgkmcnt(0)
	v_and_b32_e32 v14, 1, v15
	v_cmp_eq_u32_e32 vcc, 1, v7
	s_nop 1
	v_cndmask_b32_e64 v7, v14, 1, vcc
	v_and_b32_e32 v14, 0xffff, v7
.LBB1808_201:                           ;   in Loop: Header=BB1808_190 Depth=1
	s_or_b64 exec, exec, s[68:69]
	s_waitcnt lgkmcnt(1)
	ds_bpermute_b32 v79, v27, v6
	s_waitcnt lgkmcnt(1)
	ds_bpermute_b32 v15, v27, v14
	v_cmp_le_u32_e32 vcc, v47, v9
	;; [unrolled: 22-line block ×4, first 2 shown]
	s_and_saveexec_b64 s[68:69], vcc
	s_cbranch_execz .LBB1808_189
; %bb.206:                              ;   in Loop: Header=BB1808_190 Depth=1
	s_waitcnt lgkmcnt(1)
	v_add_f32_e32 v14, v6, v79
	v_cmp_eq_u16_sdwa vcc, v7, v13 src0_sel:BYTE_0 src1_sel:DWORD
	v_and_b32_e32 v7, 1, v7
	s_nop 0
	v_cndmask_b32_e32 v6, v6, v14, vcc
	s_waitcnt lgkmcnt(0)
	v_and_b32_e32 v14, 1, v15
	v_cmp_eq_u32_e32 vcc, 1, v7
	s_nop 1
	v_cndmask_b32_e64 v7, v14, 1, vcc
	v_and_b32_e32 v14, 0xffff, v7
	s_branch .LBB1808_189
.LBB1808_207:                           ;   in Loop: Header=BB1808_190 Depth=1
                                        ; implicit-def: $vgpr7
	s_cbranch_execz .LBB1808_190
; %bb.208:
	s_and_saveexec_b64 s[68:69], s[48:49]
	s_cbranch_execz .LBB1808_210
; %bb.209:
	s_and_b32 s48, s3, 0xff
	s_cmp_eq_u32 s48, 0
	s_cselect_b64 vcc, -1, 0
	s_bitcmp1_b32 s3, 0
	s_mov_b32 s49, 0
	s_cselect_b64 s[70:71], -1, 0
	s_add_i32 s48, s2, 64
	s_lshl_b64 s[2:3], s[48:49], 4
	v_add_f32_e32 v3, v76, v2
	s_add_u32 s2, s56, s2
	v_cndmask_b32_e32 v2, v2, v3, vcc
	v_and_b32_e32 v3, 1, v74
	s_addc_u32 s3, s57, s3
	v_cndmask_b32_e64 v3, v3, 1, s[70:71]
	v_mov_b32_e32 v4, 2
	v_mov_b32_e32 v5, 0
	v_mov_b64_e32 v[6:7], s[2:3]
	;;#ASMSTART
	global_store_dwordx4 v[6:7], v[2:5] off sc1	
s_waitcnt vmcnt(0)
	;;#ASMEND
.LBB1808_210:
	s_or_b64 exec, exec, s[68:69]
	s_and_b64 exec, exec, s[46:47]
	s_cbranch_execz .LBB1808_212
; %bb.211:
	v_mov_b32_e32 v2, 0
	ds_write_b32 v2, v76
	ds_write_b8 v2, v74 offset:4
.LBB1808_212:
	s_or_b64 exec, exec, s[60:61]
	v_mov_b32_e32 v2, 0
	s_waitcnt lgkmcnt(0)
	s_barrier
	ds_read_b32 v3, v2
	v_cmp_eq_u32_e32 vcc, 0, v21
	s_waitcnt lgkmcnt(0)
	v_add_f32_e32 v4, v20, v3
	v_cndmask_b32_e32 v4, v20, v4, vcc
	s_waitcnt vmcnt(0)
	v_cndmask_b32_e64 v47, v4, v3, s[46:47]
	v_add_f32_e32 v3, v48, v47
	v_cmp_eq_u16_sdwa vcc, v1, v2 src0_sel:BYTE_0 src1_sel:DWORD
	s_nop 1
	v_cndmask_b32_e32 v70, v48, v3, vcc
	v_add_f32_e32 v2, v24, v70
	v_cndmask_b32_e64 v71, v24, v2, s[50:51]
	v_add_f32_e32 v2, v46, v71
	v_cndmask_b32_e64 v72, v46, v2, s[4:5]
	;; [unrolled: 2-line block ×21, first 2 shown]
	s_branch .LBB1808_235
.LBB1808_213:
                                        ; implicit-def: $vgpr90
                                        ; implicit-def: $vgpr89
                                        ; implicit-def: $vgpr88
                                        ; implicit-def: $vgpr87
                                        ; implicit-def: $vgpr86
                                        ; implicit-def: $vgpr85
                                        ; implicit-def: $vgpr84
                                        ; implicit-def: $vgpr83
                                        ; implicit-def: $vgpr82
                                        ; implicit-def: $vgpr81
                                        ; implicit-def: $vgpr80
                                        ; implicit-def: $vgpr79
                                        ; implicit-def: $vgpr78
                                        ; implicit-def: $vgpr77
                                        ; implicit-def: $vgpr76
                                        ; implicit-def: $vgpr75
                                        ; implicit-def: $vgpr74
                                        ; implicit-def: $vgpr73
                                        ; implicit-def: $vgpr72
                                        ; implicit-def: $vgpr71
                                        ; implicit-def: $vgpr70
                                        ; implicit-def: $vgpr47
                                        ; implicit-def: $vgpr91
	s_cbranch_execz .LBB1808_235
; %bb.214:
	s_cmp_lg_u64 s[66:67], 0
	s_cselect_b32 s3, s63, 0
	s_cselect_b32 s2, s62, 0
	s_cmp_eq_u64 s[2:3], 0
	v_mov_b32_e32 v4, s76
	s_cbranch_scc1 .LBB1808_216
; %bb.215:
	v_mov_b32_e32 v2, 0
	global_load_dword v4, v2, s[2:3]
.LBB1808_216:
	v_mov_b32_e32 v9, 0
	v_cmp_eq_u16_sdwa vcc, v49, v9 src0_sel:BYTE_0 src1_sel:DWORD
	v_cmp_eq_u16_sdwa s[2:3], v50, v9 src0_sel:BYTE_0 src1_sel:DWORD
	v_cmp_eq_u16_sdwa s[4:5], v51, v9 src0_sel:BYTE_0 src1_sel:DWORD
	v_cndmask_b32_e32 v2, v24, v19, vcc
	v_add_f32_e32 v2, v46, v2
	v_cndmask_b32_e64 v2, v46, v2, s[2:3]
	v_add_f32_e32 v2, v44, v2
	v_cndmask_b32_e64 v2, v44, v2, s[4:5]
	v_add_f32_e32 v2, v45, v2
	v_cmp_eq_u16_sdwa s[6:7], v53, v9 src0_sel:BYTE_0 src1_sel:DWORD
	v_cmp_eq_u16_sdwa s[8:9], v54, v9 src0_sel:BYTE_0 src1_sel:DWORD
	v_cmp_eq_u16_sdwa s[10:11], v55, v9 src0_sel:BYTE_0 src1_sel:DWORD
	v_cndmask_b32_e64 v2, v45, v2, s[6:7]
	v_add_f32_e32 v2, v42, v2
	v_cndmask_b32_e64 v2, v42, v2, s[8:9]
	v_add_f32_e32 v2, v43, v2
	v_cndmask_b32_e64 v2, v43, v2, s[10:11]
	v_add_f32_e32 v2, v40, v2
	v_cmp_eq_u16_sdwa s[14:15], v56, v9 src0_sel:BYTE_0 src1_sel:DWORD
	v_cmp_eq_u16_sdwa s[16:17], v57, v9 src0_sel:BYTE_0 src1_sel:DWORD
	v_cmp_eq_u16_sdwa s[18:19], v58, v9 src0_sel:BYTE_0 src1_sel:DWORD
	v_cndmask_b32_e64 v2, v40, v2, s[14:15]
	;; [unrolled: 9-line block ×6, first 2 shown]
	v_add_f32_e32 v2, v29, v2
	v_cndmask_b32_e64 v2, v29, v2, s[42:43]
	v_add_f32_e32 v2, v26, v2
	v_cndmask_b32_e64 v2, v26, v2, s[12:13]
	v_add_f32_e32 v2, v16, v2
	v_cmp_eq_u16_sdwa s[44:45], v11, v9 src0_sel:BYTE_0 src1_sel:DWORD
	v_and_b32_e32 v3, 0xff, v1
	s_nop 0
	v_cndmask_b32_e64 v6, v16, v2, s[44:45]
	v_or_b32_e32 v2, v18, v68
	v_or_b32_e32 v2, v2, v67
	;; [unrolled: 1-line block ×19, first 2 shown]
	v_and_b32_e32 v2, 1, v2
	v_cmp_eq_u32_e64 s[44:45], 1, v2
	v_add_lshl_u32 v2, v17, v0, 3
	s_nop 0
	v_cndmask_b32_e64 v7, v3, 1, s[44:45]
	v_cmp_gt_u32_e64 s[44:45], 64, v0
	ds_write_b32 v2, v6
	ds_write_b8 v2, v7 offset:4
	s_waitcnt lgkmcnt(0)
	s_barrier
	s_and_saveexec_b64 s[46:47], s[44:45]
	s_cbranch_execz .LBB1808_230
; %bb.217:
	v_lshrrev_b32_e32 v2, 3, v0
	v_add_lshl_u32 v5, v2, v10, 3
	ds_read2_b32 v[12:13], v5 offset0:2 offset1:4
	ds_read_b64 v[2:3], v5
	ds_read_u8 v11, v5 offset:12
	ds_read_u8 v14, v5 offset:20
	ds_read_b32 v16, v5 offset:24
	ds_read_u8 v17, v5 offset:28
	s_waitcnt lgkmcnt(0)
	v_add_f32_e32 v8, v2, v12
	v_cmp_eq_u16_sdwa s[44:45], v11, v9 src0_sel:BYTE_0 src1_sel:DWORD
	v_and_b32_e32 v15, 0xffffff00, v3
	s_nop 0
	v_cndmask_b32_e64 v12, v12, v8, s[44:45]
	v_add_f32_e32 v12, v13, v12
	v_cmp_eq_u16_sdwa s[44:45], v14, v9 src0_sel:BYTE_0 src1_sel:DWORD
	v_and_b32_e32 v8, 1, v3
	s_nop 0
	v_cndmask_b32_e64 v9, v13, v12, s[44:45]
	v_or_b32_e32 v12, v17, v14
	v_or_b32_e32 v11, v12, v11
	v_add_f32_e32 v9, v16, v9
	v_cmp_eq_u16_e64 s[44:45], 0, v17
	v_and_b32_e32 v11, 1, v11
	s_nop 0
	v_cndmask_b32_e64 v9, v16, v9, s[44:45]
	v_cmp_eq_u32_e64 s[44:45], 1, v11
	v_mbcnt_lo_u32_b32 v11, -1, 0
	v_mbcnt_hi_u32_b32 v11, -1, v11
	v_cndmask_b32_e64 v13, v8, 1, s[44:45]
	v_or_b32_e32 v12, v13, v15
	v_and_b32_e32 v14, 15, v11
	v_mov_b32_dpp v17, v9 row_shr:1 row_mask:0xf bank_mask:0xf
	v_mov_b32_dpp v16, v12 row_shr:1 row_mask:0xf bank_mask:0xf
	v_cmp_ne_u32_e64 s[44:45], 0, v14
	s_and_saveexec_b64 s[48:49], s[44:45]
; %bb.218:
	v_add_f32_e32 v12, v9, v17
	v_cmp_eq_u32_e64 s[44:45], 0, v13
	s_nop 1
	v_cndmask_b32_e64 v9, v9, v12, s[44:45]
	v_and_b32_e32 v12, 1, v13
	v_and_b32_e32 v13, 1, v16
	v_cmp_eq_u32_e64 s[44:45], 1, v12
	s_nop 1
	v_cndmask_b32_e64 v13, v13, 1, s[44:45]
	v_or_b32_e32 v12, v13, v15
; %bb.219:
	s_or_b64 exec, exec, s[48:49]
	v_mov_b32_dpp v16, v9 row_shr:2 row_mask:0xf bank_mask:0xf
	v_mov_b32_dpp v15, v12 row_shr:2 row_mask:0xf bank_mask:0xf
	v_cmp_lt_u32_e64 s[44:45], 1, v14
	s_and_saveexec_b64 s[48:49], s[44:45]
; %bb.220:
	v_add_f32_e32 v16, v9, v16
	v_cmp_eq_u32_e64 s[44:45], 0, v13
	v_and_b32_e32 v13, 1, v13
	v_and_b32_e32 v15, 1, v15
	v_cndmask_b32_e64 v9, v9, v16, s[44:45]
	v_cmp_eq_u32_e64 s[44:45], 1, v13
	s_nop 1
	v_cndmask_b32_e64 v13, v15, 1, s[44:45]
	s_movk_i32 s44, 0xff00
	v_and_or_b32 v12, v12, s44, v13
; %bb.221:
	s_or_b64 exec, exec, s[48:49]
	v_mov_b32_dpp v16, v9 row_shr:4 row_mask:0xf bank_mask:0xf
	v_mov_b32_dpp v15, v12 row_shr:4 row_mask:0xf bank_mask:0xf
	v_cmp_lt_u32_e64 s[44:45], 3, v14
	s_and_saveexec_b64 s[48:49], s[44:45]
; %bb.222:
	v_add_f32_e32 v16, v9, v16
	v_cmp_eq_u32_e64 s[44:45], 0, v13
	v_and_b32_e32 v13, 1, v13
	v_and_b32_e32 v15, 1, v15
	v_cndmask_b32_e64 v9, v9, v16, s[44:45]
	v_cmp_eq_u32_e64 s[44:45], 1, v13
	s_nop 1
	v_cndmask_b32_e64 v13, v15, 1, s[44:45]
	s_movk_i32 s44, 0xff00
	v_and_or_b32 v12, v12, s44, v13
; %bb.223:
	s_or_b64 exec, exec, s[48:49]
	v_mov_b32_dpp v16, v9 row_shr:8 row_mask:0xf bank_mask:0xf
	v_mov_b32_dpp v15, v12 row_shr:8 row_mask:0xf bank_mask:0xf
	v_cmp_lt_u32_e64 s[44:45], 7, v14
	s_and_saveexec_b64 s[48:49], s[44:45]
; %bb.224:
	v_add_f32_e32 v14, v9, v16
	v_cmp_eq_u32_e64 s[44:45], 0, v13
	v_and_b32_e32 v13, 1, v13
	s_nop 0
	v_cndmask_b32_e64 v9, v9, v14, s[44:45]
	v_and_b32_e32 v14, 1, v15
	v_cmp_eq_u32_e64 s[44:45], 1, v13
	s_nop 1
	v_cndmask_b32_e64 v13, v14, 1, s[44:45]
	s_movk_i32 s44, 0xff00
	v_and_or_b32 v12, v12, s44, v13
; %bb.225:
	s_or_b64 exec, exec, s[48:49]
	v_and_b32_e32 v16, 16, v11
	v_mov_b32_dpp v15, v9 row_bcast:15 row_mask:0xf bank_mask:0xf
	v_mov_b32_dpp v14, v12 row_bcast:15 row_mask:0xf bank_mask:0xf
	v_cmp_ne_u32_e64 s[44:45], 0, v16
	s_and_saveexec_b64 s[48:49], s[44:45]
; %bb.226:
	v_add_f32_e32 v15, v9, v15
	v_cmp_eq_u32_e64 s[44:45], 0, v13
	v_and_b32_e32 v13, 1, v13
	v_and_b32_e32 v14, 1, v14
	v_cndmask_b32_e64 v9, v9, v15, s[44:45]
	v_cmp_eq_u32_e64 s[44:45], 1, v13
	s_nop 1
	v_cndmask_b32_e64 v13, v14, 1, s[44:45]
	s_movk_i32 s44, 0xff00
	v_and_or_b32 v12, v12, s44, v13
; %bb.227:
	s_or_b64 exec, exec, s[48:49]
	v_mov_b32_dpp v15, v9 row_bcast:31 row_mask:0xf bank_mask:0xf
	v_mov_b32_dpp v14, v12 row_bcast:31 row_mask:0xf bank_mask:0xf
	v_cmp_lt_u32_e64 s[44:45], 31, v11
	s_and_saveexec_b64 s[48:49], s[44:45]
; %bb.228:
	v_add_f32_e32 v15, v9, v15
	v_cmp_eq_u32_e64 s[44:45], 0, v13
	v_and_b32_e32 v13, 1, v13
	v_and_b32_e32 v14, 1, v14
	v_cndmask_b32_e64 v9, v9, v15, s[44:45]
	v_cmp_eq_u32_e64 s[44:45], 1, v13
	s_nop 1
	v_cndmask_b32_e64 v13, v14, 1, s[44:45]
	s_movk_i32 s44, 0xff00
	v_and_or_b32 v12, v12, s44, v13
; %bb.229:
	s_or_b64 exec, exec, s[48:49]
	v_add_u32_e32 v13, -1, v11
	v_and_b32_e32 v14, 64, v11
	v_cmp_lt_i32_e64 s[44:45], v13, v14
	; wave barrier
	s_nop 1
	v_cndmask_b32_e64 v11, v13, v11, s[44:45]
	v_lshlrev_b32_e32 v11, 2, v11
	ds_bpermute_b32 v9, v11, v9
	ds_bpermute_b32 v11, v11, v12
	v_mov_b32_e32 v12, 0
	v_cmp_eq_u32_sdwa s[44:45], v3, v12 src0_sel:BYTE_0 src1_sel:DWORD
	s_waitcnt lgkmcnt(0)
	v_add_f32_e32 v9, v2, v9
	v_cndmask_b32_e64 v2, v2, v9, s[44:45]
	v_and_b32_e32 v3, 1, v11
	v_cmp_eq_u32_e64 s[44:45], 1, v8
	s_nop 1
	v_cndmask_b32_e64 v3, v3, 1, s[44:45]
	v_cmp_eq_u32_e64 s[44:45], 0, v0
	s_nop 1
	v_cndmask_b32_e64 v6, v2, v6, s[44:45]
	v_cndmask_b32_e64 v7, v3, v7, s[44:45]
	ds_write_b32 v5, v6
	ds_write_b8 v5, v7 offset:4
	; wave barrier
	ds_read2_b32 v[2:3], v5 offset0:2 offset1:4
	ds_read_u8 v8, v5 offset:12
	ds_read_u8 v9, v5 offset:20
	ds_read_b32 v11, v5 offset:24
	ds_read_u8 v12, v5 offset:28
	s_waitcnt lgkmcnt(0)
	v_add_f32_e32 v6, v6, v2
	v_cmp_eq_u16_e64 s[44:45], 0, v8
	s_nop 1
	v_cndmask_b32_e64 v2, v2, v6, s[44:45]
	v_and_b32_e32 v6, 1, v8
	v_cmp_eq_u32_e64 s[44:45], 1, v6
	s_nop 1
	v_cndmask_b32_e64 v6, v7, 1, s[44:45]
	v_add_f32_e32 v7, v2, v3
	v_cmp_eq_u16_e64 s[44:45], 0, v9
	ds_write_b8 v5, v6 offset:12
	s_nop 0
	v_cndmask_b32_e64 v3, v3, v7, s[44:45]
	v_and_b32_e32 v7, 1, v9
	v_cmp_eq_u32_e64 s[44:45], 1, v7
	s_nop 1
	v_cndmask_b32_e64 v6, v6, 1, s[44:45]
	ds_write2_b32 v5, v2, v3 offset0:2 offset1:4
	ds_write_b8 v5, v6 offset:20
	v_add_f32_e32 v2, v3, v11
	v_cmp_eq_u16_e64 s[44:45], 0, v12
	v_and_b32_e32 v3, 1, v12
	s_nop 0
	v_cndmask_b32_e64 v2, v11, v2, s[44:45]
	v_cmp_eq_u32_e64 s[44:45], 1, v3
	s_nop 1
	v_cndmask_b32_e64 v3, v6, 1, s[44:45]
	ds_write_b32 v5, v2 offset:24
	ds_write_b8 v5, v3 offset:28
.LBB1808_230:
	s_or_b64 exec, exec, s[46:47]
	v_cmp_eq_u32_e64 s[44:45], 0, v0
	v_cmp_ne_u32_e64 s[46:47], 0, v0
	s_waitcnt vmcnt(0)
	v_mov_b32_e32 v47, v4
	s_waitcnt lgkmcnt(0)
	s_barrier
	s_and_saveexec_b64 s[48:49], s[46:47]
	s_cbranch_execz .LBB1808_232
; %bb.231:
	v_add_u32_e32 v2, -1, v0
	v_lshrrev_b32_e32 v3, 5, v2
	v_add_lshl_u32 v2, v3, v2, 3
	ds_read_b32 v3, v2
	ds_read_u8 v2, v2 offset:4
	s_waitcnt lgkmcnt(1)
	v_add_f32_e32 v5, v4, v3
	s_waitcnt lgkmcnt(0)
	v_cmp_eq_u16_e64 s[46:47], 0, v2
	s_nop 1
	v_cndmask_b32_e64 v47, v3, v5, s[46:47]
.LBB1808_232:
	s_or_b64 exec, exec, s[48:49]
	v_mov_b32_e32 v5, 0
	v_add_f32_e32 v2, v48, v47
	v_cmp_eq_u16_sdwa s[46:47], v1, v5 src0_sel:BYTE_0 src1_sel:DWORD
	s_nop 1
	v_cndmask_b32_e64 v70, v48, v2, s[46:47]
	v_add_f32_e32 v1, v24, v70
	v_cndmask_b32_e32 v71, v24, v1, vcc
	v_add_f32_e32 v1, v46, v71
	v_cndmask_b32_e64 v72, v46, v1, s[2:3]
	v_add_f32_e32 v1, v44, v72
	v_cndmask_b32_e64 v73, v44, v1, s[4:5]
	;; [unrolled: 2-line block ×19, first 2 shown]
	v_add_f32_e32 v1, v26, v90
	s_and_saveexec_b64 s[2:3], s[44:45]
	s_cbranch_execz .LBB1808_234
; %bb.233:
	ds_read_b32 v2, v5 offset:2096
	ds_read_u8 v3, v5 offset:2100
	s_add_u32 s4, s56, 0x400
	s_addc_u32 s5, s57, 0
	v_mov_b64_e32 v[6:7], s[4:5]
	s_waitcnt lgkmcnt(1)
	v_add_f32_e32 v4, v4, v2
	s_waitcnt lgkmcnt(0)
	v_cmp_eq_u16_e32 vcc, 0, v3
	v_and_b32_e32 v3, 0xffff, v3
	s_nop 0
	v_cndmask_b32_e32 v2, v2, v4, vcc
	v_mov_b32_e32 v4, 2
	;;#ASMSTART
	global_store_dwordx4 v[6:7], v[2:5] off sc1	
s_waitcnt vmcnt(0)
	;;#ASMEND
.LBB1808_234:
	s_or_b64 exec, exec, s[2:3]
	v_cndmask_b32_e64 v91, v26, v1, s[12:13]
.LBB1808_235:
	s_add_u32 s2, s54, s64
	s_addc_u32 s3, s55, s65
	s_add_u32 s2, s2, s52
	s_addc_u32 s3, s3, s53
	s_and_b64 vcc, exec, s[0:1]
	s_cbranch_vccz .LBB1808_281
; %bb.236:
	s_movk_i32 s0, 0x5c
	v_mul_i32_i24_e32 v28, 0xffffffa8, v0
	v_mul_u32_u24_e32 v1, 0x5c, v0
	v_mad_u32_u24 v2, v0, s0, v28
	s_barrier
	s_waitcnt vmcnt(0)
	ds_write2_b32 v1, v47, v70 offset1:1
	ds_write2_b32 v1, v71, v72 offset0:2 offset1:3
	ds_write2_b32 v1, v73, v74 offset0:4 offset1:5
	;; [unrolled: 1-line block ×10, first 2 shown]
	ds_write_b32 v1, v91 offset:88
	s_waitcnt lgkmcnt(0)
	s_barrier
	ds_read2st64_b32 v[26:27], v2 offset0:4 offset1:8
	ds_read2st64_b32 v[24:25], v2 offset0:12 offset1:16
	ds_read2st64_b32 v[22:23], v2 offset0:20 offset1:24
	ds_read2st64_b32 v[20:21], v2 offset0:28 offset1:32
	ds_read2st64_b32 v[18:19], v2 offset0:36 offset1:40
	ds_read2st64_b32 v[16:17], v2 offset0:44 offset1:48
	ds_read2st64_b32 v[14:15], v2 offset0:52 offset1:56
	ds_read2st64_b32 v[12:13], v2 offset0:60 offset1:64
	ds_read2st64_b32 v[8:9], v2 offset0:68 offset1:72
	ds_read2st64_b32 v[6:7], v2 offset0:76 offset1:80
	ds_read2st64_b32 v[2:3], v2 offset0:84 offset1:88
	s_add_i32 s33, s33, s58
	v_mov_b32_e32 v11, 0
	v_lshl_add_u64 v[4:5], s[2:3], 0, v[10:11]
	v_cmp_gt_u32_e32 vcc, s33, v0
	s_and_saveexec_b64 s[0:1], vcc
	s_cbranch_execz .LBB1808_238
; %bb.237:
	v_add_u32_e32 v1, v1, v28
	ds_read_b32 v1, v1
	s_waitcnt lgkmcnt(0)
	v_cvt_i32_f32_e32 v1, v1
	flat_store_dword v[4:5], v1
.LBB1808_238:
	s_or_b64 exec, exec, s[0:1]
	v_or_b32_e32 v1, 0x100, v0
	v_cmp_gt_u32_e32 vcc, s33, v1
	s_and_saveexec_b64 s[0:1], vcc
	s_cbranch_execz .LBB1808_240
; %bb.239:
	s_waitcnt lgkmcnt(0)
	v_cvt_i32_f32_e32 v1, v26
	flat_store_dword v[4:5], v1 offset:1024
.LBB1808_240:
	s_or_b64 exec, exec, s[0:1]
	v_or_b32_e32 v1, 0x200, v0
	v_cmp_gt_u32_e32 vcc, s33, v1
	s_and_saveexec_b64 s[0:1], vcc
	s_cbranch_execz .LBB1808_242
; %bb.241:
	s_waitcnt lgkmcnt(0)
	v_cvt_i32_f32_e32 v1, v27
	flat_store_dword v[4:5], v1 offset:2048
.LBB1808_242:
	;; [unrolled: 10-line block ×3, first 2 shown]
	s_or_b64 exec, exec, s[0:1]
	v_or_b32_e32 v1, 0x400, v0
	v_cmp_gt_u32_e32 vcc, s33, v1
	s_and_saveexec_b64 s[0:1], vcc
	s_cbranch_execz .LBB1808_246
; %bb.245:
	s_waitcnt lgkmcnt(0)
	v_cvt_i32_f32_e32 v1, v25
	v_add_co_u32_e32 v24, vcc, 0x1000, v4
	s_nop 1
	v_addc_co_u32_e32 v25, vcc, 0, v5, vcc
	flat_store_dword v[24:25], v1
.LBB1808_246:
	s_or_b64 exec, exec, s[0:1]
	v_or_b32_e32 v1, 0x500, v0
	v_cmp_gt_u32_e32 vcc, s33, v1
	s_and_saveexec_b64 s[0:1], vcc
	s_cbranch_execz .LBB1808_248
; %bb.247:
	s_waitcnt lgkmcnt(0)
	v_cvt_i32_f32_e32 v1, v22
	v_add_co_u32_e32 v24, vcc, 0x1000, v4
	s_nop 1
	v_addc_co_u32_e32 v25, vcc, 0, v5, vcc
	flat_store_dword v[24:25], v1 offset:1024
.LBB1808_248:
	s_or_b64 exec, exec, s[0:1]
	v_or_b32_e32 v1, 0x600, v0
	v_cmp_gt_u32_e32 vcc, s33, v1
	s_and_saveexec_b64 s[0:1], vcc
	s_cbranch_execz .LBB1808_250
; %bb.249:
	s_waitcnt lgkmcnt(0)
	v_cvt_i32_f32_e32 v1, v23
	v_add_co_u32_e32 v22, vcc, 0x1000, v4
	s_nop 1
	v_addc_co_u32_e32 v23, vcc, 0, v5, vcc
	flat_store_dword v[22:23], v1 offset:2048
.LBB1808_250:
	s_or_b64 exec, exec, s[0:1]
	v_or_b32_e32 v1, 0x700, v0
	v_cmp_gt_u32_e32 vcc, s33, v1
	s_and_saveexec_b64 s[0:1], vcc
	s_cbranch_execz .LBB1808_252
; %bb.251:
	s_waitcnt lgkmcnt(0)
	v_cvt_i32_f32_e32 v1, v20
	v_add_co_u32_e32 v22, vcc, 0x1000, v4
	s_nop 1
	v_addc_co_u32_e32 v23, vcc, 0, v5, vcc
	flat_store_dword v[22:23], v1 offset:3072
.LBB1808_252:
	s_or_b64 exec, exec, s[0:1]
	v_or_b32_e32 v1, 0x800, v0
	v_cmp_gt_u32_e32 vcc, s33, v1
	s_and_saveexec_b64 s[0:1], vcc
	s_cbranch_execz .LBB1808_254
; %bb.253:
	s_waitcnt lgkmcnt(0)
	v_cvt_i32_f32_e32 v1, v21
	v_add_co_u32_e32 v20, vcc, 0x2000, v4
	s_nop 1
	v_addc_co_u32_e32 v21, vcc, 0, v5, vcc
	flat_store_dword v[20:21], v1
.LBB1808_254:
	s_or_b64 exec, exec, s[0:1]
	v_or_b32_e32 v1, 0x900, v0
	v_cmp_gt_u32_e32 vcc, s33, v1
	s_and_saveexec_b64 s[0:1], vcc
	s_cbranch_execz .LBB1808_256
; %bb.255:
	s_waitcnt lgkmcnt(0)
	v_cvt_i32_f32_e32 v1, v18
	v_add_co_u32_e32 v20, vcc, 0x2000, v4
	s_nop 1
	v_addc_co_u32_e32 v21, vcc, 0, v5, vcc
	flat_store_dword v[20:21], v1 offset:1024
.LBB1808_256:
	s_or_b64 exec, exec, s[0:1]
	v_or_b32_e32 v1, 0xa00, v0
	v_cmp_gt_u32_e32 vcc, s33, v1
	s_and_saveexec_b64 s[0:1], vcc
	s_cbranch_execz .LBB1808_258
; %bb.257:
	s_waitcnt lgkmcnt(0)
	v_cvt_i32_f32_e32 v1, v19
	v_add_co_u32_e32 v18, vcc, 0x2000, v4
	s_nop 1
	v_addc_co_u32_e32 v19, vcc, 0, v5, vcc
	flat_store_dword v[18:19], v1 offset:2048
.LBB1808_258:
	s_or_b64 exec, exec, s[0:1]
	v_or_b32_e32 v1, 0xb00, v0
	v_cmp_gt_u32_e32 vcc, s33, v1
	s_and_saveexec_b64 s[0:1], vcc
	s_cbranch_execz .LBB1808_260
; %bb.259:
	s_waitcnt lgkmcnt(0)
	v_cvt_i32_f32_e32 v1, v16
	v_add_co_u32_e32 v18, vcc, 0x2000, v4
	s_nop 1
	v_addc_co_u32_e32 v19, vcc, 0, v5, vcc
	flat_store_dword v[18:19], v1 offset:3072
.LBB1808_260:
	;; [unrolled: 52-line block ×4, first 2 shown]
	s_or_b64 exec, exec, s[0:1]
	v_or_b32_e32 v1, 0x1400, v0
	v_cmp_gt_u32_e32 vcc, s33, v1
	s_and_saveexec_b64 s[0:1], vcc
	s_cbranch_execz .LBB1808_278
; %bb.277:
	s_waitcnt lgkmcnt(0)
	v_cvt_i32_f32_e32 v1, v7
	v_add_co_u32_e32 v6, vcc, 0x5000, v4
	s_nop 1
	v_addc_co_u32_e32 v7, vcc, 0, v5, vcc
	flat_store_dword v[6:7], v1
.LBB1808_278:
	s_or_b64 exec, exec, s[0:1]
	v_or_b32_e32 v1, 0x1500, v0
	v_cmp_gt_u32_e32 vcc, s33, v1
	s_and_saveexec_b64 s[0:1], vcc
	s_cbranch_execz .LBB1808_280
; %bb.279:
	s_waitcnt lgkmcnt(0)
	v_cvt_i32_f32_e32 v1, v2
	v_add_co_u32_e32 v4, vcc, 0x5000, v4
	s_nop 1
	v_addc_co_u32_e32 v5, vcc, 0, v5, vcc
	flat_store_dword v[4:5], v1 offset:1024
.LBB1808_280:
	s_or_b64 exec, exec, s[0:1]
	s_waitcnt lgkmcnt(0)
	v_or_b32_e32 v2, 0x1600, v0
	v_mov_b32_e32 v1, v11
	v_cmp_gt_u32_e64 s[0:1], s33, v2
	s_branch .LBB1808_283
.LBB1808_281:
	s_mov_b64 s[0:1], 0
                                        ; implicit-def: $vgpr3
	s_cbranch_execz .LBB1808_283
; %bb.282:
	s_movk_i32 s4, 0x5c
	v_mul_i32_i24_e32 v2, 0xffffffa8, v0
	v_mul_u32_u24_e32 v1, 0x5c, v0
	v_mad_u32_u24 v2, v0, s4, v2
	s_barrier
	s_waitcnt vmcnt(0)
	ds_write2_b32 v1, v47, v70 offset1:1
	ds_write2_b32 v1, v71, v72 offset0:2 offset1:3
	ds_write2_b32 v1, v73, v74 offset0:4 offset1:5
	;; [unrolled: 1-line block ×10, first 2 shown]
	ds_write_b32 v1, v91 offset:88
	s_waitcnt lgkmcnt(0)
	s_barrier
	ds_read2st64_b32 v[4:5], v2 offset1:4
	ds_read2st64_b32 v[6:7], v2 offset0:8 offset1:12
	ds_read2st64_b32 v[8:9], v2 offset0:16 offset1:20
	;; [unrolled: 1-line block ×10, first 2 shown]
	ds_read_b32 v3, v2 offset:22528
	s_waitcnt lgkmcnt(11)
	v_cvt_i32_f32_e32 v2, v4
	v_mov_b32_e32 v1, 0
	v_cvt_i32_f32_e32 v4, v5
	v_mov_b32_e32 v11, v1
	s_waitcnt lgkmcnt(10)
	v_cvt_i32_f32_e32 v5, v6
	v_lshl_add_u64 v[10:11], s[2:3], 0, v[10:11]
	v_cvt_i32_f32_e32 v6, v7
	flat_store_dword v[10:11], v2
	flat_store_dword v[10:11], v4 offset:1024
	flat_store_dword v[10:11], v5 offset:2048
	;; [unrolled: 1-line block ×3, first 2 shown]
	s_waitcnt lgkmcnt(0)
	v_cvt_i32_f32_e32 v2, v8
	s_movk_i32 s4, 0x1000
	v_cvt_i32_f32_e32 v6, v9
	v_add_co_u32_e32 v4, vcc, s4, v10
	v_cvt_i32_f32_e32 v7, v12
	s_nop 0
	v_addc_co_u32_e32 v5, vcc, 0, v11, vcc
	v_cvt_i32_f32_e32 v8, v13
	flat_store_dword v[4:5], v2
	flat_store_dword v[4:5], v6 offset:1024
	flat_store_dword v[4:5], v7 offset:2048
	flat_store_dword v[4:5], v8 offset:3072
	v_cvt_i32_f32_e32 v2, v14
	s_movk_i32 s4, 0x2000
	v_cvt_i32_f32_e32 v6, v15
	v_add_co_u32_e32 v4, vcc, s4, v10
	v_cvt_i32_f32_e32 v7, v16
	s_nop 0
	v_addc_co_u32_e32 v5, vcc, 0, v11, vcc
	v_cvt_i32_f32_e32 v8, v17
	flat_store_dword v[4:5], v2
	flat_store_dword v[4:5], v6 offset:1024
	flat_store_dword v[4:5], v7 offset:2048
	flat_store_dword v[4:5], v8 offset:3072
	;; [unrolled: 12-line block ×4, first 2 shown]
	v_cvt_i32_f32_e32 v2, v26
	v_cvt_i32_f32_e32 v6, v27
	v_add_co_u32_e32 v4, vcc, 0x5000, v10
	s_or_b64 s[0:1], s[0:1], exec
	s_nop 0
	v_addc_co_u32_e32 v5, vcc, 0, v11, vcc
	flat_store_dword v[4:5], v2
	flat_store_dword v[4:5], v6 offset:1024
.LBB1808_283:
	s_and_saveexec_b64 s[4:5], s[0:1]
	s_cbranch_execz .LBB1808_285
; %bb.284:
	v_cvt_i32_f32_e32 v2, v3
	v_lshl_add_u64 v[0:1], v[0:1], 2, s[2:3]
	v_add_co_u32_e32 v0, vcc, 0x5000, v0
	s_nop 1
	v_addc_co_u32_e32 v1, vcc, 0, v1, vcc
	flat_store_dword v[0:1], v2 offset:2048
	s_endpgm
.LBB1808_285:
	s_endpgm
	.section	.rodata,"a",@progbits
	.p2align	6, 0x0
	.amdhsa_kernel _ZN7rocprim17ROCPRIM_400000_NS6detail17trampoline_kernelINS0_14default_configENS1_27scan_by_key_config_selectorIifEEZZNS1_16scan_by_key_implILNS1_25lookback_scan_determinismE0ELb1ES3_N6thrust23THRUST_200600_302600_NS6detail15normal_iteratorINS9_10device_ptrIiEEEENSB_INSC_IjEEEESE_fNS9_4plusIvEENS9_8equal_toIvEEfEE10hipError_tPvRmT2_T3_T4_T5_mT6_T7_P12ihipStream_tbENKUlT_T0_E_clISt17integral_constantIbLb1EES10_IbLb0EEEEDaSW_SX_EUlSW_E_NS1_11comp_targetILNS1_3genE5ELNS1_11target_archE942ELNS1_3gpuE9ELNS1_3repE0EEENS1_30default_config_static_selectorELNS0_4arch9wavefront6targetE1EEEvT1_
		.amdhsa_group_segment_fixed_size 25600
		.amdhsa_private_segment_fixed_size 0
		.amdhsa_kernarg_size 112
		.amdhsa_user_sgpr_count 2
		.amdhsa_user_sgpr_dispatch_ptr 0
		.amdhsa_user_sgpr_queue_ptr 0
		.amdhsa_user_sgpr_kernarg_segment_ptr 1
		.amdhsa_user_sgpr_dispatch_id 0
		.amdhsa_user_sgpr_kernarg_preload_length 0
		.amdhsa_user_sgpr_kernarg_preload_offset 0
		.amdhsa_user_sgpr_private_segment_size 0
		.amdhsa_uses_dynamic_stack 0
		.amdhsa_enable_private_segment 0
		.amdhsa_system_sgpr_workgroup_id_x 1
		.amdhsa_system_sgpr_workgroup_id_y 0
		.amdhsa_system_sgpr_workgroup_id_z 0
		.amdhsa_system_sgpr_workgroup_info 0
		.amdhsa_system_vgpr_workitem_id 0
		.amdhsa_next_free_vgpr 92
		.amdhsa_next_free_sgpr 80
		.amdhsa_accum_offset 92
		.amdhsa_reserve_vcc 1
		.amdhsa_float_round_mode_32 0
		.amdhsa_float_round_mode_16_64 0
		.amdhsa_float_denorm_mode_32 3
		.amdhsa_float_denorm_mode_16_64 3
		.amdhsa_dx10_clamp 1
		.amdhsa_ieee_mode 1
		.amdhsa_fp16_overflow 0
		.amdhsa_tg_split 0
		.amdhsa_exception_fp_ieee_invalid_op 0
		.amdhsa_exception_fp_denorm_src 0
		.amdhsa_exception_fp_ieee_div_zero 0
		.amdhsa_exception_fp_ieee_overflow 0
		.amdhsa_exception_fp_ieee_underflow 0
		.amdhsa_exception_fp_ieee_inexact 0
		.amdhsa_exception_int_div_zero 0
	.end_amdhsa_kernel
	.section	.text._ZN7rocprim17ROCPRIM_400000_NS6detail17trampoline_kernelINS0_14default_configENS1_27scan_by_key_config_selectorIifEEZZNS1_16scan_by_key_implILNS1_25lookback_scan_determinismE0ELb1ES3_N6thrust23THRUST_200600_302600_NS6detail15normal_iteratorINS9_10device_ptrIiEEEENSB_INSC_IjEEEESE_fNS9_4plusIvEENS9_8equal_toIvEEfEE10hipError_tPvRmT2_T3_T4_T5_mT6_T7_P12ihipStream_tbENKUlT_T0_E_clISt17integral_constantIbLb1EES10_IbLb0EEEEDaSW_SX_EUlSW_E_NS1_11comp_targetILNS1_3genE5ELNS1_11target_archE942ELNS1_3gpuE9ELNS1_3repE0EEENS1_30default_config_static_selectorELNS0_4arch9wavefront6targetE1EEEvT1_,"axG",@progbits,_ZN7rocprim17ROCPRIM_400000_NS6detail17trampoline_kernelINS0_14default_configENS1_27scan_by_key_config_selectorIifEEZZNS1_16scan_by_key_implILNS1_25lookback_scan_determinismE0ELb1ES3_N6thrust23THRUST_200600_302600_NS6detail15normal_iteratorINS9_10device_ptrIiEEEENSB_INSC_IjEEEESE_fNS9_4plusIvEENS9_8equal_toIvEEfEE10hipError_tPvRmT2_T3_T4_T5_mT6_T7_P12ihipStream_tbENKUlT_T0_E_clISt17integral_constantIbLb1EES10_IbLb0EEEEDaSW_SX_EUlSW_E_NS1_11comp_targetILNS1_3genE5ELNS1_11target_archE942ELNS1_3gpuE9ELNS1_3repE0EEENS1_30default_config_static_selectorELNS0_4arch9wavefront6targetE1EEEvT1_,comdat
.Lfunc_end1808:
	.size	_ZN7rocprim17ROCPRIM_400000_NS6detail17trampoline_kernelINS0_14default_configENS1_27scan_by_key_config_selectorIifEEZZNS1_16scan_by_key_implILNS1_25lookback_scan_determinismE0ELb1ES3_N6thrust23THRUST_200600_302600_NS6detail15normal_iteratorINS9_10device_ptrIiEEEENSB_INSC_IjEEEESE_fNS9_4plusIvEENS9_8equal_toIvEEfEE10hipError_tPvRmT2_T3_T4_T5_mT6_T7_P12ihipStream_tbENKUlT_T0_E_clISt17integral_constantIbLb1EES10_IbLb0EEEEDaSW_SX_EUlSW_E_NS1_11comp_targetILNS1_3genE5ELNS1_11target_archE942ELNS1_3gpuE9ELNS1_3repE0EEENS1_30default_config_static_selectorELNS0_4arch9wavefront6targetE1EEEvT1_, .Lfunc_end1808-_ZN7rocprim17ROCPRIM_400000_NS6detail17trampoline_kernelINS0_14default_configENS1_27scan_by_key_config_selectorIifEEZZNS1_16scan_by_key_implILNS1_25lookback_scan_determinismE0ELb1ES3_N6thrust23THRUST_200600_302600_NS6detail15normal_iteratorINS9_10device_ptrIiEEEENSB_INSC_IjEEEESE_fNS9_4plusIvEENS9_8equal_toIvEEfEE10hipError_tPvRmT2_T3_T4_T5_mT6_T7_P12ihipStream_tbENKUlT_T0_E_clISt17integral_constantIbLb1EES10_IbLb0EEEEDaSW_SX_EUlSW_E_NS1_11comp_targetILNS1_3genE5ELNS1_11target_archE942ELNS1_3gpuE9ELNS1_3repE0EEENS1_30default_config_static_selectorELNS0_4arch9wavefront6targetE1EEEvT1_
                                        ; -- End function
	.section	.AMDGPU.csdata,"",@progbits
; Kernel info:
; codeLenInByte = 16916
; NumSgprs: 86
; NumVgprs: 92
; NumAgprs: 0
; TotalNumVgprs: 92
; ScratchSize: 0
; MemoryBound: 0
; FloatMode: 240
; IeeeMode: 1
; LDSByteSize: 25600 bytes/workgroup (compile time only)
; SGPRBlocks: 10
; VGPRBlocks: 11
; NumSGPRsForWavesPerEU: 86
; NumVGPRsForWavesPerEU: 92
; AccumOffset: 92
; Occupancy: 2
; WaveLimiterHint : 1
; COMPUTE_PGM_RSRC2:SCRATCH_EN: 0
; COMPUTE_PGM_RSRC2:USER_SGPR: 2
; COMPUTE_PGM_RSRC2:TRAP_HANDLER: 0
; COMPUTE_PGM_RSRC2:TGID_X_EN: 1
; COMPUTE_PGM_RSRC2:TGID_Y_EN: 0
; COMPUTE_PGM_RSRC2:TGID_Z_EN: 0
; COMPUTE_PGM_RSRC2:TIDIG_COMP_CNT: 0
; COMPUTE_PGM_RSRC3_GFX90A:ACCUM_OFFSET: 22
; COMPUTE_PGM_RSRC3_GFX90A:TG_SPLIT: 0
	.section	.text._ZN7rocprim17ROCPRIM_400000_NS6detail17trampoline_kernelINS0_14default_configENS1_27scan_by_key_config_selectorIifEEZZNS1_16scan_by_key_implILNS1_25lookback_scan_determinismE0ELb1ES3_N6thrust23THRUST_200600_302600_NS6detail15normal_iteratorINS9_10device_ptrIiEEEENSB_INSC_IjEEEESE_fNS9_4plusIvEENS9_8equal_toIvEEfEE10hipError_tPvRmT2_T3_T4_T5_mT6_T7_P12ihipStream_tbENKUlT_T0_E_clISt17integral_constantIbLb1EES10_IbLb0EEEEDaSW_SX_EUlSW_E_NS1_11comp_targetILNS1_3genE4ELNS1_11target_archE910ELNS1_3gpuE8ELNS1_3repE0EEENS1_30default_config_static_selectorELNS0_4arch9wavefront6targetE1EEEvT1_,"axG",@progbits,_ZN7rocprim17ROCPRIM_400000_NS6detail17trampoline_kernelINS0_14default_configENS1_27scan_by_key_config_selectorIifEEZZNS1_16scan_by_key_implILNS1_25lookback_scan_determinismE0ELb1ES3_N6thrust23THRUST_200600_302600_NS6detail15normal_iteratorINS9_10device_ptrIiEEEENSB_INSC_IjEEEESE_fNS9_4plusIvEENS9_8equal_toIvEEfEE10hipError_tPvRmT2_T3_T4_T5_mT6_T7_P12ihipStream_tbENKUlT_T0_E_clISt17integral_constantIbLb1EES10_IbLb0EEEEDaSW_SX_EUlSW_E_NS1_11comp_targetILNS1_3genE4ELNS1_11target_archE910ELNS1_3gpuE8ELNS1_3repE0EEENS1_30default_config_static_selectorELNS0_4arch9wavefront6targetE1EEEvT1_,comdat
	.protected	_ZN7rocprim17ROCPRIM_400000_NS6detail17trampoline_kernelINS0_14default_configENS1_27scan_by_key_config_selectorIifEEZZNS1_16scan_by_key_implILNS1_25lookback_scan_determinismE0ELb1ES3_N6thrust23THRUST_200600_302600_NS6detail15normal_iteratorINS9_10device_ptrIiEEEENSB_INSC_IjEEEESE_fNS9_4plusIvEENS9_8equal_toIvEEfEE10hipError_tPvRmT2_T3_T4_T5_mT6_T7_P12ihipStream_tbENKUlT_T0_E_clISt17integral_constantIbLb1EES10_IbLb0EEEEDaSW_SX_EUlSW_E_NS1_11comp_targetILNS1_3genE4ELNS1_11target_archE910ELNS1_3gpuE8ELNS1_3repE0EEENS1_30default_config_static_selectorELNS0_4arch9wavefront6targetE1EEEvT1_ ; -- Begin function _ZN7rocprim17ROCPRIM_400000_NS6detail17trampoline_kernelINS0_14default_configENS1_27scan_by_key_config_selectorIifEEZZNS1_16scan_by_key_implILNS1_25lookback_scan_determinismE0ELb1ES3_N6thrust23THRUST_200600_302600_NS6detail15normal_iteratorINS9_10device_ptrIiEEEENSB_INSC_IjEEEESE_fNS9_4plusIvEENS9_8equal_toIvEEfEE10hipError_tPvRmT2_T3_T4_T5_mT6_T7_P12ihipStream_tbENKUlT_T0_E_clISt17integral_constantIbLb1EES10_IbLb0EEEEDaSW_SX_EUlSW_E_NS1_11comp_targetILNS1_3genE4ELNS1_11target_archE910ELNS1_3gpuE8ELNS1_3repE0EEENS1_30default_config_static_selectorELNS0_4arch9wavefront6targetE1EEEvT1_
	.globl	_ZN7rocprim17ROCPRIM_400000_NS6detail17trampoline_kernelINS0_14default_configENS1_27scan_by_key_config_selectorIifEEZZNS1_16scan_by_key_implILNS1_25lookback_scan_determinismE0ELb1ES3_N6thrust23THRUST_200600_302600_NS6detail15normal_iteratorINS9_10device_ptrIiEEEENSB_INSC_IjEEEESE_fNS9_4plusIvEENS9_8equal_toIvEEfEE10hipError_tPvRmT2_T3_T4_T5_mT6_T7_P12ihipStream_tbENKUlT_T0_E_clISt17integral_constantIbLb1EES10_IbLb0EEEEDaSW_SX_EUlSW_E_NS1_11comp_targetILNS1_3genE4ELNS1_11target_archE910ELNS1_3gpuE8ELNS1_3repE0EEENS1_30default_config_static_selectorELNS0_4arch9wavefront6targetE1EEEvT1_
	.p2align	8
	.type	_ZN7rocprim17ROCPRIM_400000_NS6detail17trampoline_kernelINS0_14default_configENS1_27scan_by_key_config_selectorIifEEZZNS1_16scan_by_key_implILNS1_25lookback_scan_determinismE0ELb1ES3_N6thrust23THRUST_200600_302600_NS6detail15normal_iteratorINS9_10device_ptrIiEEEENSB_INSC_IjEEEESE_fNS9_4plusIvEENS9_8equal_toIvEEfEE10hipError_tPvRmT2_T3_T4_T5_mT6_T7_P12ihipStream_tbENKUlT_T0_E_clISt17integral_constantIbLb1EES10_IbLb0EEEEDaSW_SX_EUlSW_E_NS1_11comp_targetILNS1_3genE4ELNS1_11target_archE910ELNS1_3gpuE8ELNS1_3repE0EEENS1_30default_config_static_selectorELNS0_4arch9wavefront6targetE1EEEvT1_,@function
_ZN7rocprim17ROCPRIM_400000_NS6detail17trampoline_kernelINS0_14default_configENS1_27scan_by_key_config_selectorIifEEZZNS1_16scan_by_key_implILNS1_25lookback_scan_determinismE0ELb1ES3_N6thrust23THRUST_200600_302600_NS6detail15normal_iteratorINS9_10device_ptrIiEEEENSB_INSC_IjEEEESE_fNS9_4plusIvEENS9_8equal_toIvEEfEE10hipError_tPvRmT2_T3_T4_T5_mT6_T7_P12ihipStream_tbENKUlT_T0_E_clISt17integral_constantIbLb1EES10_IbLb0EEEEDaSW_SX_EUlSW_E_NS1_11comp_targetILNS1_3genE4ELNS1_11target_archE910ELNS1_3gpuE8ELNS1_3repE0EEENS1_30default_config_static_selectorELNS0_4arch9wavefront6targetE1EEEvT1_: ; @_ZN7rocprim17ROCPRIM_400000_NS6detail17trampoline_kernelINS0_14default_configENS1_27scan_by_key_config_selectorIifEEZZNS1_16scan_by_key_implILNS1_25lookback_scan_determinismE0ELb1ES3_N6thrust23THRUST_200600_302600_NS6detail15normal_iteratorINS9_10device_ptrIiEEEENSB_INSC_IjEEEESE_fNS9_4plusIvEENS9_8equal_toIvEEfEE10hipError_tPvRmT2_T3_T4_T5_mT6_T7_P12ihipStream_tbENKUlT_T0_E_clISt17integral_constantIbLb1EES10_IbLb0EEEEDaSW_SX_EUlSW_E_NS1_11comp_targetILNS1_3genE4ELNS1_11target_archE910ELNS1_3gpuE8ELNS1_3repE0EEENS1_30default_config_static_selectorELNS0_4arch9wavefront6targetE1EEEvT1_
; %bb.0:
	.section	.rodata,"a",@progbits
	.p2align	6, 0x0
	.amdhsa_kernel _ZN7rocprim17ROCPRIM_400000_NS6detail17trampoline_kernelINS0_14default_configENS1_27scan_by_key_config_selectorIifEEZZNS1_16scan_by_key_implILNS1_25lookback_scan_determinismE0ELb1ES3_N6thrust23THRUST_200600_302600_NS6detail15normal_iteratorINS9_10device_ptrIiEEEENSB_INSC_IjEEEESE_fNS9_4plusIvEENS9_8equal_toIvEEfEE10hipError_tPvRmT2_T3_T4_T5_mT6_T7_P12ihipStream_tbENKUlT_T0_E_clISt17integral_constantIbLb1EES10_IbLb0EEEEDaSW_SX_EUlSW_E_NS1_11comp_targetILNS1_3genE4ELNS1_11target_archE910ELNS1_3gpuE8ELNS1_3repE0EEENS1_30default_config_static_selectorELNS0_4arch9wavefront6targetE1EEEvT1_
		.amdhsa_group_segment_fixed_size 0
		.amdhsa_private_segment_fixed_size 0
		.amdhsa_kernarg_size 112
		.amdhsa_user_sgpr_count 2
		.amdhsa_user_sgpr_dispatch_ptr 0
		.amdhsa_user_sgpr_queue_ptr 0
		.amdhsa_user_sgpr_kernarg_segment_ptr 1
		.amdhsa_user_sgpr_dispatch_id 0
		.amdhsa_user_sgpr_kernarg_preload_length 0
		.amdhsa_user_sgpr_kernarg_preload_offset 0
		.amdhsa_user_sgpr_private_segment_size 0
		.amdhsa_uses_dynamic_stack 0
		.amdhsa_enable_private_segment 0
		.amdhsa_system_sgpr_workgroup_id_x 1
		.amdhsa_system_sgpr_workgroup_id_y 0
		.amdhsa_system_sgpr_workgroup_id_z 0
		.amdhsa_system_sgpr_workgroup_info 0
		.amdhsa_system_vgpr_workitem_id 0
		.amdhsa_next_free_vgpr 1
		.amdhsa_next_free_sgpr 0
		.amdhsa_accum_offset 4
		.amdhsa_reserve_vcc 0
		.amdhsa_float_round_mode_32 0
		.amdhsa_float_round_mode_16_64 0
		.amdhsa_float_denorm_mode_32 3
		.amdhsa_float_denorm_mode_16_64 3
		.amdhsa_dx10_clamp 1
		.amdhsa_ieee_mode 1
		.amdhsa_fp16_overflow 0
		.amdhsa_tg_split 0
		.amdhsa_exception_fp_ieee_invalid_op 0
		.amdhsa_exception_fp_denorm_src 0
		.amdhsa_exception_fp_ieee_div_zero 0
		.amdhsa_exception_fp_ieee_overflow 0
		.amdhsa_exception_fp_ieee_underflow 0
		.amdhsa_exception_fp_ieee_inexact 0
		.amdhsa_exception_int_div_zero 0
	.end_amdhsa_kernel
	.section	.text._ZN7rocprim17ROCPRIM_400000_NS6detail17trampoline_kernelINS0_14default_configENS1_27scan_by_key_config_selectorIifEEZZNS1_16scan_by_key_implILNS1_25lookback_scan_determinismE0ELb1ES3_N6thrust23THRUST_200600_302600_NS6detail15normal_iteratorINS9_10device_ptrIiEEEENSB_INSC_IjEEEESE_fNS9_4plusIvEENS9_8equal_toIvEEfEE10hipError_tPvRmT2_T3_T4_T5_mT6_T7_P12ihipStream_tbENKUlT_T0_E_clISt17integral_constantIbLb1EES10_IbLb0EEEEDaSW_SX_EUlSW_E_NS1_11comp_targetILNS1_3genE4ELNS1_11target_archE910ELNS1_3gpuE8ELNS1_3repE0EEENS1_30default_config_static_selectorELNS0_4arch9wavefront6targetE1EEEvT1_,"axG",@progbits,_ZN7rocprim17ROCPRIM_400000_NS6detail17trampoline_kernelINS0_14default_configENS1_27scan_by_key_config_selectorIifEEZZNS1_16scan_by_key_implILNS1_25lookback_scan_determinismE0ELb1ES3_N6thrust23THRUST_200600_302600_NS6detail15normal_iteratorINS9_10device_ptrIiEEEENSB_INSC_IjEEEESE_fNS9_4plusIvEENS9_8equal_toIvEEfEE10hipError_tPvRmT2_T3_T4_T5_mT6_T7_P12ihipStream_tbENKUlT_T0_E_clISt17integral_constantIbLb1EES10_IbLb0EEEEDaSW_SX_EUlSW_E_NS1_11comp_targetILNS1_3genE4ELNS1_11target_archE910ELNS1_3gpuE8ELNS1_3repE0EEENS1_30default_config_static_selectorELNS0_4arch9wavefront6targetE1EEEvT1_,comdat
.Lfunc_end1809:
	.size	_ZN7rocprim17ROCPRIM_400000_NS6detail17trampoline_kernelINS0_14default_configENS1_27scan_by_key_config_selectorIifEEZZNS1_16scan_by_key_implILNS1_25lookback_scan_determinismE0ELb1ES3_N6thrust23THRUST_200600_302600_NS6detail15normal_iteratorINS9_10device_ptrIiEEEENSB_INSC_IjEEEESE_fNS9_4plusIvEENS9_8equal_toIvEEfEE10hipError_tPvRmT2_T3_T4_T5_mT6_T7_P12ihipStream_tbENKUlT_T0_E_clISt17integral_constantIbLb1EES10_IbLb0EEEEDaSW_SX_EUlSW_E_NS1_11comp_targetILNS1_3genE4ELNS1_11target_archE910ELNS1_3gpuE8ELNS1_3repE0EEENS1_30default_config_static_selectorELNS0_4arch9wavefront6targetE1EEEvT1_, .Lfunc_end1809-_ZN7rocprim17ROCPRIM_400000_NS6detail17trampoline_kernelINS0_14default_configENS1_27scan_by_key_config_selectorIifEEZZNS1_16scan_by_key_implILNS1_25lookback_scan_determinismE0ELb1ES3_N6thrust23THRUST_200600_302600_NS6detail15normal_iteratorINS9_10device_ptrIiEEEENSB_INSC_IjEEEESE_fNS9_4plusIvEENS9_8equal_toIvEEfEE10hipError_tPvRmT2_T3_T4_T5_mT6_T7_P12ihipStream_tbENKUlT_T0_E_clISt17integral_constantIbLb1EES10_IbLb0EEEEDaSW_SX_EUlSW_E_NS1_11comp_targetILNS1_3genE4ELNS1_11target_archE910ELNS1_3gpuE8ELNS1_3repE0EEENS1_30default_config_static_selectorELNS0_4arch9wavefront6targetE1EEEvT1_
                                        ; -- End function
	.section	.AMDGPU.csdata,"",@progbits
; Kernel info:
; codeLenInByte = 0
; NumSgprs: 6
; NumVgprs: 0
; NumAgprs: 0
; TotalNumVgprs: 0
; ScratchSize: 0
; MemoryBound: 0
; FloatMode: 240
; IeeeMode: 1
; LDSByteSize: 0 bytes/workgroup (compile time only)
; SGPRBlocks: 0
; VGPRBlocks: 0
; NumSGPRsForWavesPerEU: 6
; NumVGPRsForWavesPerEU: 1
; AccumOffset: 4
; Occupancy: 8
; WaveLimiterHint : 0
; COMPUTE_PGM_RSRC2:SCRATCH_EN: 0
; COMPUTE_PGM_RSRC2:USER_SGPR: 2
; COMPUTE_PGM_RSRC2:TRAP_HANDLER: 0
; COMPUTE_PGM_RSRC2:TGID_X_EN: 1
; COMPUTE_PGM_RSRC2:TGID_Y_EN: 0
; COMPUTE_PGM_RSRC2:TGID_Z_EN: 0
; COMPUTE_PGM_RSRC2:TIDIG_COMP_CNT: 0
; COMPUTE_PGM_RSRC3_GFX90A:ACCUM_OFFSET: 0
; COMPUTE_PGM_RSRC3_GFX90A:TG_SPLIT: 0
	.section	.text._ZN7rocprim17ROCPRIM_400000_NS6detail17trampoline_kernelINS0_14default_configENS1_27scan_by_key_config_selectorIifEEZZNS1_16scan_by_key_implILNS1_25lookback_scan_determinismE0ELb1ES3_N6thrust23THRUST_200600_302600_NS6detail15normal_iteratorINS9_10device_ptrIiEEEENSB_INSC_IjEEEESE_fNS9_4plusIvEENS9_8equal_toIvEEfEE10hipError_tPvRmT2_T3_T4_T5_mT6_T7_P12ihipStream_tbENKUlT_T0_E_clISt17integral_constantIbLb1EES10_IbLb0EEEEDaSW_SX_EUlSW_E_NS1_11comp_targetILNS1_3genE3ELNS1_11target_archE908ELNS1_3gpuE7ELNS1_3repE0EEENS1_30default_config_static_selectorELNS0_4arch9wavefront6targetE1EEEvT1_,"axG",@progbits,_ZN7rocprim17ROCPRIM_400000_NS6detail17trampoline_kernelINS0_14default_configENS1_27scan_by_key_config_selectorIifEEZZNS1_16scan_by_key_implILNS1_25lookback_scan_determinismE0ELb1ES3_N6thrust23THRUST_200600_302600_NS6detail15normal_iteratorINS9_10device_ptrIiEEEENSB_INSC_IjEEEESE_fNS9_4plusIvEENS9_8equal_toIvEEfEE10hipError_tPvRmT2_T3_T4_T5_mT6_T7_P12ihipStream_tbENKUlT_T0_E_clISt17integral_constantIbLb1EES10_IbLb0EEEEDaSW_SX_EUlSW_E_NS1_11comp_targetILNS1_3genE3ELNS1_11target_archE908ELNS1_3gpuE7ELNS1_3repE0EEENS1_30default_config_static_selectorELNS0_4arch9wavefront6targetE1EEEvT1_,comdat
	.protected	_ZN7rocprim17ROCPRIM_400000_NS6detail17trampoline_kernelINS0_14default_configENS1_27scan_by_key_config_selectorIifEEZZNS1_16scan_by_key_implILNS1_25lookback_scan_determinismE0ELb1ES3_N6thrust23THRUST_200600_302600_NS6detail15normal_iteratorINS9_10device_ptrIiEEEENSB_INSC_IjEEEESE_fNS9_4plusIvEENS9_8equal_toIvEEfEE10hipError_tPvRmT2_T3_T4_T5_mT6_T7_P12ihipStream_tbENKUlT_T0_E_clISt17integral_constantIbLb1EES10_IbLb0EEEEDaSW_SX_EUlSW_E_NS1_11comp_targetILNS1_3genE3ELNS1_11target_archE908ELNS1_3gpuE7ELNS1_3repE0EEENS1_30default_config_static_selectorELNS0_4arch9wavefront6targetE1EEEvT1_ ; -- Begin function _ZN7rocprim17ROCPRIM_400000_NS6detail17trampoline_kernelINS0_14default_configENS1_27scan_by_key_config_selectorIifEEZZNS1_16scan_by_key_implILNS1_25lookback_scan_determinismE0ELb1ES3_N6thrust23THRUST_200600_302600_NS6detail15normal_iteratorINS9_10device_ptrIiEEEENSB_INSC_IjEEEESE_fNS9_4plusIvEENS9_8equal_toIvEEfEE10hipError_tPvRmT2_T3_T4_T5_mT6_T7_P12ihipStream_tbENKUlT_T0_E_clISt17integral_constantIbLb1EES10_IbLb0EEEEDaSW_SX_EUlSW_E_NS1_11comp_targetILNS1_3genE3ELNS1_11target_archE908ELNS1_3gpuE7ELNS1_3repE0EEENS1_30default_config_static_selectorELNS0_4arch9wavefront6targetE1EEEvT1_
	.globl	_ZN7rocprim17ROCPRIM_400000_NS6detail17trampoline_kernelINS0_14default_configENS1_27scan_by_key_config_selectorIifEEZZNS1_16scan_by_key_implILNS1_25lookback_scan_determinismE0ELb1ES3_N6thrust23THRUST_200600_302600_NS6detail15normal_iteratorINS9_10device_ptrIiEEEENSB_INSC_IjEEEESE_fNS9_4plusIvEENS9_8equal_toIvEEfEE10hipError_tPvRmT2_T3_T4_T5_mT6_T7_P12ihipStream_tbENKUlT_T0_E_clISt17integral_constantIbLb1EES10_IbLb0EEEEDaSW_SX_EUlSW_E_NS1_11comp_targetILNS1_3genE3ELNS1_11target_archE908ELNS1_3gpuE7ELNS1_3repE0EEENS1_30default_config_static_selectorELNS0_4arch9wavefront6targetE1EEEvT1_
	.p2align	8
	.type	_ZN7rocprim17ROCPRIM_400000_NS6detail17trampoline_kernelINS0_14default_configENS1_27scan_by_key_config_selectorIifEEZZNS1_16scan_by_key_implILNS1_25lookback_scan_determinismE0ELb1ES3_N6thrust23THRUST_200600_302600_NS6detail15normal_iteratorINS9_10device_ptrIiEEEENSB_INSC_IjEEEESE_fNS9_4plusIvEENS9_8equal_toIvEEfEE10hipError_tPvRmT2_T3_T4_T5_mT6_T7_P12ihipStream_tbENKUlT_T0_E_clISt17integral_constantIbLb1EES10_IbLb0EEEEDaSW_SX_EUlSW_E_NS1_11comp_targetILNS1_3genE3ELNS1_11target_archE908ELNS1_3gpuE7ELNS1_3repE0EEENS1_30default_config_static_selectorELNS0_4arch9wavefront6targetE1EEEvT1_,@function
_ZN7rocprim17ROCPRIM_400000_NS6detail17trampoline_kernelINS0_14default_configENS1_27scan_by_key_config_selectorIifEEZZNS1_16scan_by_key_implILNS1_25lookback_scan_determinismE0ELb1ES3_N6thrust23THRUST_200600_302600_NS6detail15normal_iteratorINS9_10device_ptrIiEEEENSB_INSC_IjEEEESE_fNS9_4plusIvEENS9_8equal_toIvEEfEE10hipError_tPvRmT2_T3_T4_T5_mT6_T7_P12ihipStream_tbENKUlT_T0_E_clISt17integral_constantIbLb1EES10_IbLb0EEEEDaSW_SX_EUlSW_E_NS1_11comp_targetILNS1_3genE3ELNS1_11target_archE908ELNS1_3gpuE7ELNS1_3repE0EEENS1_30default_config_static_selectorELNS0_4arch9wavefront6targetE1EEEvT1_: ; @_ZN7rocprim17ROCPRIM_400000_NS6detail17trampoline_kernelINS0_14default_configENS1_27scan_by_key_config_selectorIifEEZZNS1_16scan_by_key_implILNS1_25lookback_scan_determinismE0ELb1ES3_N6thrust23THRUST_200600_302600_NS6detail15normal_iteratorINS9_10device_ptrIiEEEENSB_INSC_IjEEEESE_fNS9_4plusIvEENS9_8equal_toIvEEfEE10hipError_tPvRmT2_T3_T4_T5_mT6_T7_P12ihipStream_tbENKUlT_T0_E_clISt17integral_constantIbLb1EES10_IbLb0EEEEDaSW_SX_EUlSW_E_NS1_11comp_targetILNS1_3genE3ELNS1_11target_archE908ELNS1_3gpuE7ELNS1_3repE0EEENS1_30default_config_static_selectorELNS0_4arch9wavefront6targetE1EEEvT1_
; %bb.0:
	.section	.rodata,"a",@progbits
	.p2align	6, 0x0
	.amdhsa_kernel _ZN7rocprim17ROCPRIM_400000_NS6detail17trampoline_kernelINS0_14default_configENS1_27scan_by_key_config_selectorIifEEZZNS1_16scan_by_key_implILNS1_25lookback_scan_determinismE0ELb1ES3_N6thrust23THRUST_200600_302600_NS6detail15normal_iteratorINS9_10device_ptrIiEEEENSB_INSC_IjEEEESE_fNS9_4plusIvEENS9_8equal_toIvEEfEE10hipError_tPvRmT2_T3_T4_T5_mT6_T7_P12ihipStream_tbENKUlT_T0_E_clISt17integral_constantIbLb1EES10_IbLb0EEEEDaSW_SX_EUlSW_E_NS1_11comp_targetILNS1_3genE3ELNS1_11target_archE908ELNS1_3gpuE7ELNS1_3repE0EEENS1_30default_config_static_selectorELNS0_4arch9wavefront6targetE1EEEvT1_
		.amdhsa_group_segment_fixed_size 0
		.amdhsa_private_segment_fixed_size 0
		.amdhsa_kernarg_size 112
		.amdhsa_user_sgpr_count 2
		.amdhsa_user_sgpr_dispatch_ptr 0
		.amdhsa_user_sgpr_queue_ptr 0
		.amdhsa_user_sgpr_kernarg_segment_ptr 1
		.amdhsa_user_sgpr_dispatch_id 0
		.amdhsa_user_sgpr_kernarg_preload_length 0
		.amdhsa_user_sgpr_kernarg_preload_offset 0
		.amdhsa_user_sgpr_private_segment_size 0
		.amdhsa_uses_dynamic_stack 0
		.amdhsa_enable_private_segment 0
		.amdhsa_system_sgpr_workgroup_id_x 1
		.amdhsa_system_sgpr_workgroup_id_y 0
		.amdhsa_system_sgpr_workgroup_id_z 0
		.amdhsa_system_sgpr_workgroup_info 0
		.amdhsa_system_vgpr_workitem_id 0
		.amdhsa_next_free_vgpr 1
		.amdhsa_next_free_sgpr 0
		.amdhsa_accum_offset 4
		.amdhsa_reserve_vcc 0
		.amdhsa_float_round_mode_32 0
		.amdhsa_float_round_mode_16_64 0
		.amdhsa_float_denorm_mode_32 3
		.amdhsa_float_denorm_mode_16_64 3
		.amdhsa_dx10_clamp 1
		.amdhsa_ieee_mode 1
		.amdhsa_fp16_overflow 0
		.amdhsa_tg_split 0
		.amdhsa_exception_fp_ieee_invalid_op 0
		.amdhsa_exception_fp_denorm_src 0
		.amdhsa_exception_fp_ieee_div_zero 0
		.amdhsa_exception_fp_ieee_overflow 0
		.amdhsa_exception_fp_ieee_underflow 0
		.amdhsa_exception_fp_ieee_inexact 0
		.amdhsa_exception_int_div_zero 0
	.end_amdhsa_kernel
	.section	.text._ZN7rocprim17ROCPRIM_400000_NS6detail17trampoline_kernelINS0_14default_configENS1_27scan_by_key_config_selectorIifEEZZNS1_16scan_by_key_implILNS1_25lookback_scan_determinismE0ELb1ES3_N6thrust23THRUST_200600_302600_NS6detail15normal_iteratorINS9_10device_ptrIiEEEENSB_INSC_IjEEEESE_fNS9_4plusIvEENS9_8equal_toIvEEfEE10hipError_tPvRmT2_T3_T4_T5_mT6_T7_P12ihipStream_tbENKUlT_T0_E_clISt17integral_constantIbLb1EES10_IbLb0EEEEDaSW_SX_EUlSW_E_NS1_11comp_targetILNS1_3genE3ELNS1_11target_archE908ELNS1_3gpuE7ELNS1_3repE0EEENS1_30default_config_static_selectorELNS0_4arch9wavefront6targetE1EEEvT1_,"axG",@progbits,_ZN7rocprim17ROCPRIM_400000_NS6detail17trampoline_kernelINS0_14default_configENS1_27scan_by_key_config_selectorIifEEZZNS1_16scan_by_key_implILNS1_25lookback_scan_determinismE0ELb1ES3_N6thrust23THRUST_200600_302600_NS6detail15normal_iteratorINS9_10device_ptrIiEEEENSB_INSC_IjEEEESE_fNS9_4plusIvEENS9_8equal_toIvEEfEE10hipError_tPvRmT2_T3_T4_T5_mT6_T7_P12ihipStream_tbENKUlT_T0_E_clISt17integral_constantIbLb1EES10_IbLb0EEEEDaSW_SX_EUlSW_E_NS1_11comp_targetILNS1_3genE3ELNS1_11target_archE908ELNS1_3gpuE7ELNS1_3repE0EEENS1_30default_config_static_selectorELNS0_4arch9wavefront6targetE1EEEvT1_,comdat
.Lfunc_end1810:
	.size	_ZN7rocprim17ROCPRIM_400000_NS6detail17trampoline_kernelINS0_14default_configENS1_27scan_by_key_config_selectorIifEEZZNS1_16scan_by_key_implILNS1_25lookback_scan_determinismE0ELb1ES3_N6thrust23THRUST_200600_302600_NS6detail15normal_iteratorINS9_10device_ptrIiEEEENSB_INSC_IjEEEESE_fNS9_4plusIvEENS9_8equal_toIvEEfEE10hipError_tPvRmT2_T3_T4_T5_mT6_T7_P12ihipStream_tbENKUlT_T0_E_clISt17integral_constantIbLb1EES10_IbLb0EEEEDaSW_SX_EUlSW_E_NS1_11comp_targetILNS1_3genE3ELNS1_11target_archE908ELNS1_3gpuE7ELNS1_3repE0EEENS1_30default_config_static_selectorELNS0_4arch9wavefront6targetE1EEEvT1_, .Lfunc_end1810-_ZN7rocprim17ROCPRIM_400000_NS6detail17trampoline_kernelINS0_14default_configENS1_27scan_by_key_config_selectorIifEEZZNS1_16scan_by_key_implILNS1_25lookback_scan_determinismE0ELb1ES3_N6thrust23THRUST_200600_302600_NS6detail15normal_iteratorINS9_10device_ptrIiEEEENSB_INSC_IjEEEESE_fNS9_4plusIvEENS9_8equal_toIvEEfEE10hipError_tPvRmT2_T3_T4_T5_mT6_T7_P12ihipStream_tbENKUlT_T0_E_clISt17integral_constantIbLb1EES10_IbLb0EEEEDaSW_SX_EUlSW_E_NS1_11comp_targetILNS1_3genE3ELNS1_11target_archE908ELNS1_3gpuE7ELNS1_3repE0EEENS1_30default_config_static_selectorELNS0_4arch9wavefront6targetE1EEEvT1_
                                        ; -- End function
	.section	.AMDGPU.csdata,"",@progbits
; Kernel info:
; codeLenInByte = 0
; NumSgprs: 6
; NumVgprs: 0
; NumAgprs: 0
; TotalNumVgprs: 0
; ScratchSize: 0
; MemoryBound: 0
; FloatMode: 240
; IeeeMode: 1
; LDSByteSize: 0 bytes/workgroup (compile time only)
; SGPRBlocks: 0
; VGPRBlocks: 0
; NumSGPRsForWavesPerEU: 6
; NumVGPRsForWavesPerEU: 1
; AccumOffset: 4
; Occupancy: 8
; WaveLimiterHint : 0
; COMPUTE_PGM_RSRC2:SCRATCH_EN: 0
; COMPUTE_PGM_RSRC2:USER_SGPR: 2
; COMPUTE_PGM_RSRC2:TRAP_HANDLER: 0
; COMPUTE_PGM_RSRC2:TGID_X_EN: 1
; COMPUTE_PGM_RSRC2:TGID_Y_EN: 0
; COMPUTE_PGM_RSRC2:TGID_Z_EN: 0
; COMPUTE_PGM_RSRC2:TIDIG_COMP_CNT: 0
; COMPUTE_PGM_RSRC3_GFX90A:ACCUM_OFFSET: 0
; COMPUTE_PGM_RSRC3_GFX90A:TG_SPLIT: 0
	.section	.text._ZN7rocprim17ROCPRIM_400000_NS6detail17trampoline_kernelINS0_14default_configENS1_27scan_by_key_config_selectorIifEEZZNS1_16scan_by_key_implILNS1_25lookback_scan_determinismE0ELb1ES3_N6thrust23THRUST_200600_302600_NS6detail15normal_iteratorINS9_10device_ptrIiEEEENSB_INSC_IjEEEESE_fNS9_4plusIvEENS9_8equal_toIvEEfEE10hipError_tPvRmT2_T3_T4_T5_mT6_T7_P12ihipStream_tbENKUlT_T0_E_clISt17integral_constantIbLb1EES10_IbLb0EEEEDaSW_SX_EUlSW_E_NS1_11comp_targetILNS1_3genE2ELNS1_11target_archE906ELNS1_3gpuE6ELNS1_3repE0EEENS1_30default_config_static_selectorELNS0_4arch9wavefront6targetE1EEEvT1_,"axG",@progbits,_ZN7rocprim17ROCPRIM_400000_NS6detail17trampoline_kernelINS0_14default_configENS1_27scan_by_key_config_selectorIifEEZZNS1_16scan_by_key_implILNS1_25lookback_scan_determinismE0ELb1ES3_N6thrust23THRUST_200600_302600_NS6detail15normal_iteratorINS9_10device_ptrIiEEEENSB_INSC_IjEEEESE_fNS9_4plusIvEENS9_8equal_toIvEEfEE10hipError_tPvRmT2_T3_T4_T5_mT6_T7_P12ihipStream_tbENKUlT_T0_E_clISt17integral_constantIbLb1EES10_IbLb0EEEEDaSW_SX_EUlSW_E_NS1_11comp_targetILNS1_3genE2ELNS1_11target_archE906ELNS1_3gpuE6ELNS1_3repE0EEENS1_30default_config_static_selectorELNS0_4arch9wavefront6targetE1EEEvT1_,comdat
	.protected	_ZN7rocprim17ROCPRIM_400000_NS6detail17trampoline_kernelINS0_14default_configENS1_27scan_by_key_config_selectorIifEEZZNS1_16scan_by_key_implILNS1_25lookback_scan_determinismE0ELb1ES3_N6thrust23THRUST_200600_302600_NS6detail15normal_iteratorINS9_10device_ptrIiEEEENSB_INSC_IjEEEESE_fNS9_4plusIvEENS9_8equal_toIvEEfEE10hipError_tPvRmT2_T3_T4_T5_mT6_T7_P12ihipStream_tbENKUlT_T0_E_clISt17integral_constantIbLb1EES10_IbLb0EEEEDaSW_SX_EUlSW_E_NS1_11comp_targetILNS1_3genE2ELNS1_11target_archE906ELNS1_3gpuE6ELNS1_3repE0EEENS1_30default_config_static_selectorELNS0_4arch9wavefront6targetE1EEEvT1_ ; -- Begin function _ZN7rocprim17ROCPRIM_400000_NS6detail17trampoline_kernelINS0_14default_configENS1_27scan_by_key_config_selectorIifEEZZNS1_16scan_by_key_implILNS1_25lookback_scan_determinismE0ELb1ES3_N6thrust23THRUST_200600_302600_NS6detail15normal_iteratorINS9_10device_ptrIiEEEENSB_INSC_IjEEEESE_fNS9_4plusIvEENS9_8equal_toIvEEfEE10hipError_tPvRmT2_T3_T4_T5_mT6_T7_P12ihipStream_tbENKUlT_T0_E_clISt17integral_constantIbLb1EES10_IbLb0EEEEDaSW_SX_EUlSW_E_NS1_11comp_targetILNS1_3genE2ELNS1_11target_archE906ELNS1_3gpuE6ELNS1_3repE0EEENS1_30default_config_static_selectorELNS0_4arch9wavefront6targetE1EEEvT1_
	.globl	_ZN7rocprim17ROCPRIM_400000_NS6detail17trampoline_kernelINS0_14default_configENS1_27scan_by_key_config_selectorIifEEZZNS1_16scan_by_key_implILNS1_25lookback_scan_determinismE0ELb1ES3_N6thrust23THRUST_200600_302600_NS6detail15normal_iteratorINS9_10device_ptrIiEEEENSB_INSC_IjEEEESE_fNS9_4plusIvEENS9_8equal_toIvEEfEE10hipError_tPvRmT2_T3_T4_T5_mT6_T7_P12ihipStream_tbENKUlT_T0_E_clISt17integral_constantIbLb1EES10_IbLb0EEEEDaSW_SX_EUlSW_E_NS1_11comp_targetILNS1_3genE2ELNS1_11target_archE906ELNS1_3gpuE6ELNS1_3repE0EEENS1_30default_config_static_selectorELNS0_4arch9wavefront6targetE1EEEvT1_
	.p2align	8
	.type	_ZN7rocprim17ROCPRIM_400000_NS6detail17trampoline_kernelINS0_14default_configENS1_27scan_by_key_config_selectorIifEEZZNS1_16scan_by_key_implILNS1_25lookback_scan_determinismE0ELb1ES3_N6thrust23THRUST_200600_302600_NS6detail15normal_iteratorINS9_10device_ptrIiEEEENSB_INSC_IjEEEESE_fNS9_4plusIvEENS9_8equal_toIvEEfEE10hipError_tPvRmT2_T3_T4_T5_mT6_T7_P12ihipStream_tbENKUlT_T0_E_clISt17integral_constantIbLb1EES10_IbLb0EEEEDaSW_SX_EUlSW_E_NS1_11comp_targetILNS1_3genE2ELNS1_11target_archE906ELNS1_3gpuE6ELNS1_3repE0EEENS1_30default_config_static_selectorELNS0_4arch9wavefront6targetE1EEEvT1_,@function
_ZN7rocprim17ROCPRIM_400000_NS6detail17trampoline_kernelINS0_14default_configENS1_27scan_by_key_config_selectorIifEEZZNS1_16scan_by_key_implILNS1_25lookback_scan_determinismE0ELb1ES3_N6thrust23THRUST_200600_302600_NS6detail15normal_iteratorINS9_10device_ptrIiEEEENSB_INSC_IjEEEESE_fNS9_4plusIvEENS9_8equal_toIvEEfEE10hipError_tPvRmT2_T3_T4_T5_mT6_T7_P12ihipStream_tbENKUlT_T0_E_clISt17integral_constantIbLb1EES10_IbLb0EEEEDaSW_SX_EUlSW_E_NS1_11comp_targetILNS1_3genE2ELNS1_11target_archE906ELNS1_3gpuE6ELNS1_3repE0EEENS1_30default_config_static_selectorELNS0_4arch9wavefront6targetE1EEEvT1_: ; @_ZN7rocprim17ROCPRIM_400000_NS6detail17trampoline_kernelINS0_14default_configENS1_27scan_by_key_config_selectorIifEEZZNS1_16scan_by_key_implILNS1_25lookback_scan_determinismE0ELb1ES3_N6thrust23THRUST_200600_302600_NS6detail15normal_iteratorINS9_10device_ptrIiEEEENSB_INSC_IjEEEESE_fNS9_4plusIvEENS9_8equal_toIvEEfEE10hipError_tPvRmT2_T3_T4_T5_mT6_T7_P12ihipStream_tbENKUlT_T0_E_clISt17integral_constantIbLb1EES10_IbLb0EEEEDaSW_SX_EUlSW_E_NS1_11comp_targetILNS1_3genE2ELNS1_11target_archE906ELNS1_3gpuE6ELNS1_3repE0EEENS1_30default_config_static_selectorELNS0_4arch9wavefront6targetE1EEEvT1_
; %bb.0:
	.section	.rodata,"a",@progbits
	.p2align	6, 0x0
	.amdhsa_kernel _ZN7rocprim17ROCPRIM_400000_NS6detail17trampoline_kernelINS0_14default_configENS1_27scan_by_key_config_selectorIifEEZZNS1_16scan_by_key_implILNS1_25lookback_scan_determinismE0ELb1ES3_N6thrust23THRUST_200600_302600_NS6detail15normal_iteratorINS9_10device_ptrIiEEEENSB_INSC_IjEEEESE_fNS9_4plusIvEENS9_8equal_toIvEEfEE10hipError_tPvRmT2_T3_T4_T5_mT6_T7_P12ihipStream_tbENKUlT_T0_E_clISt17integral_constantIbLb1EES10_IbLb0EEEEDaSW_SX_EUlSW_E_NS1_11comp_targetILNS1_3genE2ELNS1_11target_archE906ELNS1_3gpuE6ELNS1_3repE0EEENS1_30default_config_static_selectorELNS0_4arch9wavefront6targetE1EEEvT1_
		.amdhsa_group_segment_fixed_size 0
		.amdhsa_private_segment_fixed_size 0
		.amdhsa_kernarg_size 112
		.amdhsa_user_sgpr_count 2
		.amdhsa_user_sgpr_dispatch_ptr 0
		.amdhsa_user_sgpr_queue_ptr 0
		.amdhsa_user_sgpr_kernarg_segment_ptr 1
		.amdhsa_user_sgpr_dispatch_id 0
		.amdhsa_user_sgpr_kernarg_preload_length 0
		.amdhsa_user_sgpr_kernarg_preload_offset 0
		.amdhsa_user_sgpr_private_segment_size 0
		.amdhsa_uses_dynamic_stack 0
		.amdhsa_enable_private_segment 0
		.amdhsa_system_sgpr_workgroup_id_x 1
		.amdhsa_system_sgpr_workgroup_id_y 0
		.amdhsa_system_sgpr_workgroup_id_z 0
		.amdhsa_system_sgpr_workgroup_info 0
		.amdhsa_system_vgpr_workitem_id 0
		.amdhsa_next_free_vgpr 1
		.amdhsa_next_free_sgpr 0
		.amdhsa_accum_offset 4
		.amdhsa_reserve_vcc 0
		.amdhsa_float_round_mode_32 0
		.amdhsa_float_round_mode_16_64 0
		.amdhsa_float_denorm_mode_32 3
		.amdhsa_float_denorm_mode_16_64 3
		.amdhsa_dx10_clamp 1
		.amdhsa_ieee_mode 1
		.amdhsa_fp16_overflow 0
		.amdhsa_tg_split 0
		.amdhsa_exception_fp_ieee_invalid_op 0
		.amdhsa_exception_fp_denorm_src 0
		.amdhsa_exception_fp_ieee_div_zero 0
		.amdhsa_exception_fp_ieee_overflow 0
		.amdhsa_exception_fp_ieee_underflow 0
		.amdhsa_exception_fp_ieee_inexact 0
		.amdhsa_exception_int_div_zero 0
	.end_amdhsa_kernel
	.section	.text._ZN7rocprim17ROCPRIM_400000_NS6detail17trampoline_kernelINS0_14default_configENS1_27scan_by_key_config_selectorIifEEZZNS1_16scan_by_key_implILNS1_25lookback_scan_determinismE0ELb1ES3_N6thrust23THRUST_200600_302600_NS6detail15normal_iteratorINS9_10device_ptrIiEEEENSB_INSC_IjEEEESE_fNS9_4plusIvEENS9_8equal_toIvEEfEE10hipError_tPvRmT2_T3_T4_T5_mT6_T7_P12ihipStream_tbENKUlT_T0_E_clISt17integral_constantIbLb1EES10_IbLb0EEEEDaSW_SX_EUlSW_E_NS1_11comp_targetILNS1_3genE2ELNS1_11target_archE906ELNS1_3gpuE6ELNS1_3repE0EEENS1_30default_config_static_selectorELNS0_4arch9wavefront6targetE1EEEvT1_,"axG",@progbits,_ZN7rocprim17ROCPRIM_400000_NS6detail17trampoline_kernelINS0_14default_configENS1_27scan_by_key_config_selectorIifEEZZNS1_16scan_by_key_implILNS1_25lookback_scan_determinismE0ELb1ES3_N6thrust23THRUST_200600_302600_NS6detail15normal_iteratorINS9_10device_ptrIiEEEENSB_INSC_IjEEEESE_fNS9_4plusIvEENS9_8equal_toIvEEfEE10hipError_tPvRmT2_T3_T4_T5_mT6_T7_P12ihipStream_tbENKUlT_T0_E_clISt17integral_constantIbLb1EES10_IbLb0EEEEDaSW_SX_EUlSW_E_NS1_11comp_targetILNS1_3genE2ELNS1_11target_archE906ELNS1_3gpuE6ELNS1_3repE0EEENS1_30default_config_static_selectorELNS0_4arch9wavefront6targetE1EEEvT1_,comdat
.Lfunc_end1811:
	.size	_ZN7rocprim17ROCPRIM_400000_NS6detail17trampoline_kernelINS0_14default_configENS1_27scan_by_key_config_selectorIifEEZZNS1_16scan_by_key_implILNS1_25lookback_scan_determinismE0ELb1ES3_N6thrust23THRUST_200600_302600_NS6detail15normal_iteratorINS9_10device_ptrIiEEEENSB_INSC_IjEEEESE_fNS9_4plusIvEENS9_8equal_toIvEEfEE10hipError_tPvRmT2_T3_T4_T5_mT6_T7_P12ihipStream_tbENKUlT_T0_E_clISt17integral_constantIbLb1EES10_IbLb0EEEEDaSW_SX_EUlSW_E_NS1_11comp_targetILNS1_3genE2ELNS1_11target_archE906ELNS1_3gpuE6ELNS1_3repE0EEENS1_30default_config_static_selectorELNS0_4arch9wavefront6targetE1EEEvT1_, .Lfunc_end1811-_ZN7rocprim17ROCPRIM_400000_NS6detail17trampoline_kernelINS0_14default_configENS1_27scan_by_key_config_selectorIifEEZZNS1_16scan_by_key_implILNS1_25lookback_scan_determinismE0ELb1ES3_N6thrust23THRUST_200600_302600_NS6detail15normal_iteratorINS9_10device_ptrIiEEEENSB_INSC_IjEEEESE_fNS9_4plusIvEENS9_8equal_toIvEEfEE10hipError_tPvRmT2_T3_T4_T5_mT6_T7_P12ihipStream_tbENKUlT_T0_E_clISt17integral_constantIbLb1EES10_IbLb0EEEEDaSW_SX_EUlSW_E_NS1_11comp_targetILNS1_3genE2ELNS1_11target_archE906ELNS1_3gpuE6ELNS1_3repE0EEENS1_30default_config_static_selectorELNS0_4arch9wavefront6targetE1EEEvT1_
                                        ; -- End function
	.section	.AMDGPU.csdata,"",@progbits
; Kernel info:
; codeLenInByte = 0
; NumSgprs: 6
; NumVgprs: 0
; NumAgprs: 0
; TotalNumVgprs: 0
; ScratchSize: 0
; MemoryBound: 0
; FloatMode: 240
; IeeeMode: 1
; LDSByteSize: 0 bytes/workgroup (compile time only)
; SGPRBlocks: 0
; VGPRBlocks: 0
; NumSGPRsForWavesPerEU: 6
; NumVGPRsForWavesPerEU: 1
; AccumOffset: 4
; Occupancy: 8
; WaveLimiterHint : 0
; COMPUTE_PGM_RSRC2:SCRATCH_EN: 0
; COMPUTE_PGM_RSRC2:USER_SGPR: 2
; COMPUTE_PGM_RSRC2:TRAP_HANDLER: 0
; COMPUTE_PGM_RSRC2:TGID_X_EN: 1
; COMPUTE_PGM_RSRC2:TGID_Y_EN: 0
; COMPUTE_PGM_RSRC2:TGID_Z_EN: 0
; COMPUTE_PGM_RSRC2:TIDIG_COMP_CNT: 0
; COMPUTE_PGM_RSRC3_GFX90A:ACCUM_OFFSET: 0
; COMPUTE_PGM_RSRC3_GFX90A:TG_SPLIT: 0
	.section	.text._ZN7rocprim17ROCPRIM_400000_NS6detail17trampoline_kernelINS0_14default_configENS1_27scan_by_key_config_selectorIifEEZZNS1_16scan_by_key_implILNS1_25lookback_scan_determinismE0ELb1ES3_N6thrust23THRUST_200600_302600_NS6detail15normal_iteratorINS9_10device_ptrIiEEEENSB_INSC_IjEEEESE_fNS9_4plusIvEENS9_8equal_toIvEEfEE10hipError_tPvRmT2_T3_T4_T5_mT6_T7_P12ihipStream_tbENKUlT_T0_E_clISt17integral_constantIbLb1EES10_IbLb0EEEEDaSW_SX_EUlSW_E_NS1_11comp_targetILNS1_3genE10ELNS1_11target_archE1200ELNS1_3gpuE4ELNS1_3repE0EEENS1_30default_config_static_selectorELNS0_4arch9wavefront6targetE1EEEvT1_,"axG",@progbits,_ZN7rocprim17ROCPRIM_400000_NS6detail17trampoline_kernelINS0_14default_configENS1_27scan_by_key_config_selectorIifEEZZNS1_16scan_by_key_implILNS1_25lookback_scan_determinismE0ELb1ES3_N6thrust23THRUST_200600_302600_NS6detail15normal_iteratorINS9_10device_ptrIiEEEENSB_INSC_IjEEEESE_fNS9_4plusIvEENS9_8equal_toIvEEfEE10hipError_tPvRmT2_T3_T4_T5_mT6_T7_P12ihipStream_tbENKUlT_T0_E_clISt17integral_constantIbLb1EES10_IbLb0EEEEDaSW_SX_EUlSW_E_NS1_11comp_targetILNS1_3genE10ELNS1_11target_archE1200ELNS1_3gpuE4ELNS1_3repE0EEENS1_30default_config_static_selectorELNS0_4arch9wavefront6targetE1EEEvT1_,comdat
	.protected	_ZN7rocprim17ROCPRIM_400000_NS6detail17trampoline_kernelINS0_14default_configENS1_27scan_by_key_config_selectorIifEEZZNS1_16scan_by_key_implILNS1_25lookback_scan_determinismE0ELb1ES3_N6thrust23THRUST_200600_302600_NS6detail15normal_iteratorINS9_10device_ptrIiEEEENSB_INSC_IjEEEESE_fNS9_4plusIvEENS9_8equal_toIvEEfEE10hipError_tPvRmT2_T3_T4_T5_mT6_T7_P12ihipStream_tbENKUlT_T0_E_clISt17integral_constantIbLb1EES10_IbLb0EEEEDaSW_SX_EUlSW_E_NS1_11comp_targetILNS1_3genE10ELNS1_11target_archE1200ELNS1_3gpuE4ELNS1_3repE0EEENS1_30default_config_static_selectorELNS0_4arch9wavefront6targetE1EEEvT1_ ; -- Begin function _ZN7rocprim17ROCPRIM_400000_NS6detail17trampoline_kernelINS0_14default_configENS1_27scan_by_key_config_selectorIifEEZZNS1_16scan_by_key_implILNS1_25lookback_scan_determinismE0ELb1ES3_N6thrust23THRUST_200600_302600_NS6detail15normal_iteratorINS9_10device_ptrIiEEEENSB_INSC_IjEEEESE_fNS9_4plusIvEENS9_8equal_toIvEEfEE10hipError_tPvRmT2_T3_T4_T5_mT6_T7_P12ihipStream_tbENKUlT_T0_E_clISt17integral_constantIbLb1EES10_IbLb0EEEEDaSW_SX_EUlSW_E_NS1_11comp_targetILNS1_3genE10ELNS1_11target_archE1200ELNS1_3gpuE4ELNS1_3repE0EEENS1_30default_config_static_selectorELNS0_4arch9wavefront6targetE1EEEvT1_
	.globl	_ZN7rocprim17ROCPRIM_400000_NS6detail17trampoline_kernelINS0_14default_configENS1_27scan_by_key_config_selectorIifEEZZNS1_16scan_by_key_implILNS1_25lookback_scan_determinismE0ELb1ES3_N6thrust23THRUST_200600_302600_NS6detail15normal_iteratorINS9_10device_ptrIiEEEENSB_INSC_IjEEEESE_fNS9_4plusIvEENS9_8equal_toIvEEfEE10hipError_tPvRmT2_T3_T4_T5_mT6_T7_P12ihipStream_tbENKUlT_T0_E_clISt17integral_constantIbLb1EES10_IbLb0EEEEDaSW_SX_EUlSW_E_NS1_11comp_targetILNS1_3genE10ELNS1_11target_archE1200ELNS1_3gpuE4ELNS1_3repE0EEENS1_30default_config_static_selectorELNS0_4arch9wavefront6targetE1EEEvT1_
	.p2align	8
	.type	_ZN7rocprim17ROCPRIM_400000_NS6detail17trampoline_kernelINS0_14default_configENS1_27scan_by_key_config_selectorIifEEZZNS1_16scan_by_key_implILNS1_25lookback_scan_determinismE0ELb1ES3_N6thrust23THRUST_200600_302600_NS6detail15normal_iteratorINS9_10device_ptrIiEEEENSB_INSC_IjEEEESE_fNS9_4plusIvEENS9_8equal_toIvEEfEE10hipError_tPvRmT2_T3_T4_T5_mT6_T7_P12ihipStream_tbENKUlT_T0_E_clISt17integral_constantIbLb1EES10_IbLb0EEEEDaSW_SX_EUlSW_E_NS1_11comp_targetILNS1_3genE10ELNS1_11target_archE1200ELNS1_3gpuE4ELNS1_3repE0EEENS1_30default_config_static_selectorELNS0_4arch9wavefront6targetE1EEEvT1_,@function
_ZN7rocprim17ROCPRIM_400000_NS6detail17trampoline_kernelINS0_14default_configENS1_27scan_by_key_config_selectorIifEEZZNS1_16scan_by_key_implILNS1_25lookback_scan_determinismE0ELb1ES3_N6thrust23THRUST_200600_302600_NS6detail15normal_iteratorINS9_10device_ptrIiEEEENSB_INSC_IjEEEESE_fNS9_4plusIvEENS9_8equal_toIvEEfEE10hipError_tPvRmT2_T3_T4_T5_mT6_T7_P12ihipStream_tbENKUlT_T0_E_clISt17integral_constantIbLb1EES10_IbLb0EEEEDaSW_SX_EUlSW_E_NS1_11comp_targetILNS1_3genE10ELNS1_11target_archE1200ELNS1_3gpuE4ELNS1_3repE0EEENS1_30default_config_static_selectorELNS0_4arch9wavefront6targetE1EEEvT1_: ; @_ZN7rocprim17ROCPRIM_400000_NS6detail17trampoline_kernelINS0_14default_configENS1_27scan_by_key_config_selectorIifEEZZNS1_16scan_by_key_implILNS1_25lookback_scan_determinismE0ELb1ES3_N6thrust23THRUST_200600_302600_NS6detail15normal_iteratorINS9_10device_ptrIiEEEENSB_INSC_IjEEEESE_fNS9_4plusIvEENS9_8equal_toIvEEfEE10hipError_tPvRmT2_T3_T4_T5_mT6_T7_P12ihipStream_tbENKUlT_T0_E_clISt17integral_constantIbLb1EES10_IbLb0EEEEDaSW_SX_EUlSW_E_NS1_11comp_targetILNS1_3genE10ELNS1_11target_archE1200ELNS1_3gpuE4ELNS1_3repE0EEENS1_30default_config_static_selectorELNS0_4arch9wavefront6targetE1EEEvT1_
; %bb.0:
	.section	.rodata,"a",@progbits
	.p2align	6, 0x0
	.amdhsa_kernel _ZN7rocprim17ROCPRIM_400000_NS6detail17trampoline_kernelINS0_14default_configENS1_27scan_by_key_config_selectorIifEEZZNS1_16scan_by_key_implILNS1_25lookback_scan_determinismE0ELb1ES3_N6thrust23THRUST_200600_302600_NS6detail15normal_iteratorINS9_10device_ptrIiEEEENSB_INSC_IjEEEESE_fNS9_4plusIvEENS9_8equal_toIvEEfEE10hipError_tPvRmT2_T3_T4_T5_mT6_T7_P12ihipStream_tbENKUlT_T0_E_clISt17integral_constantIbLb1EES10_IbLb0EEEEDaSW_SX_EUlSW_E_NS1_11comp_targetILNS1_3genE10ELNS1_11target_archE1200ELNS1_3gpuE4ELNS1_3repE0EEENS1_30default_config_static_selectorELNS0_4arch9wavefront6targetE1EEEvT1_
		.amdhsa_group_segment_fixed_size 0
		.amdhsa_private_segment_fixed_size 0
		.amdhsa_kernarg_size 112
		.amdhsa_user_sgpr_count 2
		.amdhsa_user_sgpr_dispatch_ptr 0
		.amdhsa_user_sgpr_queue_ptr 0
		.amdhsa_user_sgpr_kernarg_segment_ptr 1
		.amdhsa_user_sgpr_dispatch_id 0
		.amdhsa_user_sgpr_kernarg_preload_length 0
		.amdhsa_user_sgpr_kernarg_preload_offset 0
		.amdhsa_user_sgpr_private_segment_size 0
		.amdhsa_uses_dynamic_stack 0
		.amdhsa_enable_private_segment 0
		.amdhsa_system_sgpr_workgroup_id_x 1
		.amdhsa_system_sgpr_workgroup_id_y 0
		.amdhsa_system_sgpr_workgroup_id_z 0
		.amdhsa_system_sgpr_workgroup_info 0
		.amdhsa_system_vgpr_workitem_id 0
		.amdhsa_next_free_vgpr 1
		.amdhsa_next_free_sgpr 0
		.amdhsa_accum_offset 4
		.amdhsa_reserve_vcc 0
		.amdhsa_float_round_mode_32 0
		.amdhsa_float_round_mode_16_64 0
		.amdhsa_float_denorm_mode_32 3
		.amdhsa_float_denorm_mode_16_64 3
		.amdhsa_dx10_clamp 1
		.amdhsa_ieee_mode 1
		.amdhsa_fp16_overflow 0
		.amdhsa_tg_split 0
		.amdhsa_exception_fp_ieee_invalid_op 0
		.amdhsa_exception_fp_denorm_src 0
		.amdhsa_exception_fp_ieee_div_zero 0
		.amdhsa_exception_fp_ieee_overflow 0
		.amdhsa_exception_fp_ieee_underflow 0
		.amdhsa_exception_fp_ieee_inexact 0
		.amdhsa_exception_int_div_zero 0
	.end_amdhsa_kernel
	.section	.text._ZN7rocprim17ROCPRIM_400000_NS6detail17trampoline_kernelINS0_14default_configENS1_27scan_by_key_config_selectorIifEEZZNS1_16scan_by_key_implILNS1_25lookback_scan_determinismE0ELb1ES3_N6thrust23THRUST_200600_302600_NS6detail15normal_iteratorINS9_10device_ptrIiEEEENSB_INSC_IjEEEESE_fNS9_4plusIvEENS9_8equal_toIvEEfEE10hipError_tPvRmT2_T3_T4_T5_mT6_T7_P12ihipStream_tbENKUlT_T0_E_clISt17integral_constantIbLb1EES10_IbLb0EEEEDaSW_SX_EUlSW_E_NS1_11comp_targetILNS1_3genE10ELNS1_11target_archE1200ELNS1_3gpuE4ELNS1_3repE0EEENS1_30default_config_static_selectorELNS0_4arch9wavefront6targetE1EEEvT1_,"axG",@progbits,_ZN7rocprim17ROCPRIM_400000_NS6detail17trampoline_kernelINS0_14default_configENS1_27scan_by_key_config_selectorIifEEZZNS1_16scan_by_key_implILNS1_25lookback_scan_determinismE0ELb1ES3_N6thrust23THRUST_200600_302600_NS6detail15normal_iteratorINS9_10device_ptrIiEEEENSB_INSC_IjEEEESE_fNS9_4plusIvEENS9_8equal_toIvEEfEE10hipError_tPvRmT2_T3_T4_T5_mT6_T7_P12ihipStream_tbENKUlT_T0_E_clISt17integral_constantIbLb1EES10_IbLb0EEEEDaSW_SX_EUlSW_E_NS1_11comp_targetILNS1_3genE10ELNS1_11target_archE1200ELNS1_3gpuE4ELNS1_3repE0EEENS1_30default_config_static_selectorELNS0_4arch9wavefront6targetE1EEEvT1_,comdat
.Lfunc_end1812:
	.size	_ZN7rocprim17ROCPRIM_400000_NS6detail17trampoline_kernelINS0_14default_configENS1_27scan_by_key_config_selectorIifEEZZNS1_16scan_by_key_implILNS1_25lookback_scan_determinismE0ELb1ES3_N6thrust23THRUST_200600_302600_NS6detail15normal_iteratorINS9_10device_ptrIiEEEENSB_INSC_IjEEEESE_fNS9_4plusIvEENS9_8equal_toIvEEfEE10hipError_tPvRmT2_T3_T4_T5_mT6_T7_P12ihipStream_tbENKUlT_T0_E_clISt17integral_constantIbLb1EES10_IbLb0EEEEDaSW_SX_EUlSW_E_NS1_11comp_targetILNS1_3genE10ELNS1_11target_archE1200ELNS1_3gpuE4ELNS1_3repE0EEENS1_30default_config_static_selectorELNS0_4arch9wavefront6targetE1EEEvT1_, .Lfunc_end1812-_ZN7rocprim17ROCPRIM_400000_NS6detail17trampoline_kernelINS0_14default_configENS1_27scan_by_key_config_selectorIifEEZZNS1_16scan_by_key_implILNS1_25lookback_scan_determinismE0ELb1ES3_N6thrust23THRUST_200600_302600_NS6detail15normal_iteratorINS9_10device_ptrIiEEEENSB_INSC_IjEEEESE_fNS9_4plusIvEENS9_8equal_toIvEEfEE10hipError_tPvRmT2_T3_T4_T5_mT6_T7_P12ihipStream_tbENKUlT_T0_E_clISt17integral_constantIbLb1EES10_IbLb0EEEEDaSW_SX_EUlSW_E_NS1_11comp_targetILNS1_3genE10ELNS1_11target_archE1200ELNS1_3gpuE4ELNS1_3repE0EEENS1_30default_config_static_selectorELNS0_4arch9wavefront6targetE1EEEvT1_
                                        ; -- End function
	.section	.AMDGPU.csdata,"",@progbits
; Kernel info:
; codeLenInByte = 0
; NumSgprs: 6
; NumVgprs: 0
; NumAgprs: 0
; TotalNumVgprs: 0
; ScratchSize: 0
; MemoryBound: 0
; FloatMode: 240
; IeeeMode: 1
; LDSByteSize: 0 bytes/workgroup (compile time only)
; SGPRBlocks: 0
; VGPRBlocks: 0
; NumSGPRsForWavesPerEU: 6
; NumVGPRsForWavesPerEU: 1
; AccumOffset: 4
; Occupancy: 8
; WaveLimiterHint : 0
; COMPUTE_PGM_RSRC2:SCRATCH_EN: 0
; COMPUTE_PGM_RSRC2:USER_SGPR: 2
; COMPUTE_PGM_RSRC2:TRAP_HANDLER: 0
; COMPUTE_PGM_RSRC2:TGID_X_EN: 1
; COMPUTE_PGM_RSRC2:TGID_Y_EN: 0
; COMPUTE_PGM_RSRC2:TGID_Z_EN: 0
; COMPUTE_PGM_RSRC2:TIDIG_COMP_CNT: 0
; COMPUTE_PGM_RSRC3_GFX90A:ACCUM_OFFSET: 0
; COMPUTE_PGM_RSRC3_GFX90A:TG_SPLIT: 0
	.section	.text._ZN7rocprim17ROCPRIM_400000_NS6detail17trampoline_kernelINS0_14default_configENS1_27scan_by_key_config_selectorIifEEZZNS1_16scan_by_key_implILNS1_25lookback_scan_determinismE0ELb1ES3_N6thrust23THRUST_200600_302600_NS6detail15normal_iteratorINS9_10device_ptrIiEEEENSB_INSC_IjEEEESE_fNS9_4plusIvEENS9_8equal_toIvEEfEE10hipError_tPvRmT2_T3_T4_T5_mT6_T7_P12ihipStream_tbENKUlT_T0_E_clISt17integral_constantIbLb1EES10_IbLb0EEEEDaSW_SX_EUlSW_E_NS1_11comp_targetILNS1_3genE9ELNS1_11target_archE1100ELNS1_3gpuE3ELNS1_3repE0EEENS1_30default_config_static_selectorELNS0_4arch9wavefront6targetE1EEEvT1_,"axG",@progbits,_ZN7rocprim17ROCPRIM_400000_NS6detail17trampoline_kernelINS0_14default_configENS1_27scan_by_key_config_selectorIifEEZZNS1_16scan_by_key_implILNS1_25lookback_scan_determinismE0ELb1ES3_N6thrust23THRUST_200600_302600_NS6detail15normal_iteratorINS9_10device_ptrIiEEEENSB_INSC_IjEEEESE_fNS9_4plusIvEENS9_8equal_toIvEEfEE10hipError_tPvRmT2_T3_T4_T5_mT6_T7_P12ihipStream_tbENKUlT_T0_E_clISt17integral_constantIbLb1EES10_IbLb0EEEEDaSW_SX_EUlSW_E_NS1_11comp_targetILNS1_3genE9ELNS1_11target_archE1100ELNS1_3gpuE3ELNS1_3repE0EEENS1_30default_config_static_selectorELNS0_4arch9wavefront6targetE1EEEvT1_,comdat
	.protected	_ZN7rocprim17ROCPRIM_400000_NS6detail17trampoline_kernelINS0_14default_configENS1_27scan_by_key_config_selectorIifEEZZNS1_16scan_by_key_implILNS1_25lookback_scan_determinismE0ELb1ES3_N6thrust23THRUST_200600_302600_NS6detail15normal_iteratorINS9_10device_ptrIiEEEENSB_INSC_IjEEEESE_fNS9_4plusIvEENS9_8equal_toIvEEfEE10hipError_tPvRmT2_T3_T4_T5_mT6_T7_P12ihipStream_tbENKUlT_T0_E_clISt17integral_constantIbLb1EES10_IbLb0EEEEDaSW_SX_EUlSW_E_NS1_11comp_targetILNS1_3genE9ELNS1_11target_archE1100ELNS1_3gpuE3ELNS1_3repE0EEENS1_30default_config_static_selectorELNS0_4arch9wavefront6targetE1EEEvT1_ ; -- Begin function _ZN7rocprim17ROCPRIM_400000_NS6detail17trampoline_kernelINS0_14default_configENS1_27scan_by_key_config_selectorIifEEZZNS1_16scan_by_key_implILNS1_25lookback_scan_determinismE0ELb1ES3_N6thrust23THRUST_200600_302600_NS6detail15normal_iteratorINS9_10device_ptrIiEEEENSB_INSC_IjEEEESE_fNS9_4plusIvEENS9_8equal_toIvEEfEE10hipError_tPvRmT2_T3_T4_T5_mT6_T7_P12ihipStream_tbENKUlT_T0_E_clISt17integral_constantIbLb1EES10_IbLb0EEEEDaSW_SX_EUlSW_E_NS1_11comp_targetILNS1_3genE9ELNS1_11target_archE1100ELNS1_3gpuE3ELNS1_3repE0EEENS1_30default_config_static_selectorELNS0_4arch9wavefront6targetE1EEEvT1_
	.globl	_ZN7rocprim17ROCPRIM_400000_NS6detail17trampoline_kernelINS0_14default_configENS1_27scan_by_key_config_selectorIifEEZZNS1_16scan_by_key_implILNS1_25lookback_scan_determinismE0ELb1ES3_N6thrust23THRUST_200600_302600_NS6detail15normal_iteratorINS9_10device_ptrIiEEEENSB_INSC_IjEEEESE_fNS9_4plusIvEENS9_8equal_toIvEEfEE10hipError_tPvRmT2_T3_T4_T5_mT6_T7_P12ihipStream_tbENKUlT_T0_E_clISt17integral_constantIbLb1EES10_IbLb0EEEEDaSW_SX_EUlSW_E_NS1_11comp_targetILNS1_3genE9ELNS1_11target_archE1100ELNS1_3gpuE3ELNS1_3repE0EEENS1_30default_config_static_selectorELNS0_4arch9wavefront6targetE1EEEvT1_
	.p2align	8
	.type	_ZN7rocprim17ROCPRIM_400000_NS6detail17trampoline_kernelINS0_14default_configENS1_27scan_by_key_config_selectorIifEEZZNS1_16scan_by_key_implILNS1_25lookback_scan_determinismE0ELb1ES3_N6thrust23THRUST_200600_302600_NS6detail15normal_iteratorINS9_10device_ptrIiEEEENSB_INSC_IjEEEESE_fNS9_4plusIvEENS9_8equal_toIvEEfEE10hipError_tPvRmT2_T3_T4_T5_mT6_T7_P12ihipStream_tbENKUlT_T0_E_clISt17integral_constantIbLb1EES10_IbLb0EEEEDaSW_SX_EUlSW_E_NS1_11comp_targetILNS1_3genE9ELNS1_11target_archE1100ELNS1_3gpuE3ELNS1_3repE0EEENS1_30default_config_static_selectorELNS0_4arch9wavefront6targetE1EEEvT1_,@function
_ZN7rocprim17ROCPRIM_400000_NS6detail17trampoline_kernelINS0_14default_configENS1_27scan_by_key_config_selectorIifEEZZNS1_16scan_by_key_implILNS1_25lookback_scan_determinismE0ELb1ES3_N6thrust23THRUST_200600_302600_NS6detail15normal_iteratorINS9_10device_ptrIiEEEENSB_INSC_IjEEEESE_fNS9_4plusIvEENS9_8equal_toIvEEfEE10hipError_tPvRmT2_T3_T4_T5_mT6_T7_P12ihipStream_tbENKUlT_T0_E_clISt17integral_constantIbLb1EES10_IbLb0EEEEDaSW_SX_EUlSW_E_NS1_11comp_targetILNS1_3genE9ELNS1_11target_archE1100ELNS1_3gpuE3ELNS1_3repE0EEENS1_30default_config_static_selectorELNS0_4arch9wavefront6targetE1EEEvT1_: ; @_ZN7rocprim17ROCPRIM_400000_NS6detail17trampoline_kernelINS0_14default_configENS1_27scan_by_key_config_selectorIifEEZZNS1_16scan_by_key_implILNS1_25lookback_scan_determinismE0ELb1ES3_N6thrust23THRUST_200600_302600_NS6detail15normal_iteratorINS9_10device_ptrIiEEEENSB_INSC_IjEEEESE_fNS9_4plusIvEENS9_8equal_toIvEEfEE10hipError_tPvRmT2_T3_T4_T5_mT6_T7_P12ihipStream_tbENKUlT_T0_E_clISt17integral_constantIbLb1EES10_IbLb0EEEEDaSW_SX_EUlSW_E_NS1_11comp_targetILNS1_3genE9ELNS1_11target_archE1100ELNS1_3gpuE3ELNS1_3repE0EEENS1_30default_config_static_selectorELNS0_4arch9wavefront6targetE1EEEvT1_
; %bb.0:
	.section	.rodata,"a",@progbits
	.p2align	6, 0x0
	.amdhsa_kernel _ZN7rocprim17ROCPRIM_400000_NS6detail17trampoline_kernelINS0_14default_configENS1_27scan_by_key_config_selectorIifEEZZNS1_16scan_by_key_implILNS1_25lookback_scan_determinismE0ELb1ES3_N6thrust23THRUST_200600_302600_NS6detail15normal_iteratorINS9_10device_ptrIiEEEENSB_INSC_IjEEEESE_fNS9_4plusIvEENS9_8equal_toIvEEfEE10hipError_tPvRmT2_T3_T4_T5_mT6_T7_P12ihipStream_tbENKUlT_T0_E_clISt17integral_constantIbLb1EES10_IbLb0EEEEDaSW_SX_EUlSW_E_NS1_11comp_targetILNS1_3genE9ELNS1_11target_archE1100ELNS1_3gpuE3ELNS1_3repE0EEENS1_30default_config_static_selectorELNS0_4arch9wavefront6targetE1EEEvT1_
		.amdhsa_group_segment_fixed_size 0
		.amdhsa_private_segment_fixed_size 0
		.amdhsa_kernarg_size 112
		.amdhsa_user_sgpr_count 2
		.amdhsa_user_sgpr_dispatch_ptr 0
		.amdhsa_user_sgpr_queue_ptr 0
		.amdhsa_user_sgpr_kernarg_segment_ptr 1
		.amdhsa_user_sgpr_dispatch_id 0
		.amdhsa_user_sgpr_kernarg_preload_length 0
		.amdhsa_user_sgpr_kernarg_preload_offset 0
		.amdhsa_user_sgpr_private_segment_size 0
		.amdhsa_uses_dynamic_stack 0
		.amdhsa_enable_private_segment 0
		.amdhsa_system_sgpr_workgroup_id_x 1
		.amdhsa_system_sgpr_workgroup_id_y 0
		.amdhsa_system_sgpr_workgroup_id_z 0
		.amdhsa_system_sgpr_workgroup_info 0
		.amdhsa_system_vgpr_workitem_id 0
		.amdhsa_next_free_vgpr 1
		.amdhsa_next_free_sgpr 0
		.amdhsa_accum_offset 4
		.amdhsa_reserve_vcc 0
		.amdhsa_float_round_mode_32 0
		.amdhsa_float_round_mode_16_64 0
		.amdhsa_float_denorm_mode_32 3
		.amdhsa_float_denorm_mode_16_64 3
		.amdhsa_dx10_clamp 1
		.amdhsa_ieee_mode 1
		.amdhsa_fp16_overflow 0
		.amdhsa_tg_split 0
		.amdhsa_exception_fp_ieee_invalid_op 0
		.amdhsa_exception_fp_denorm_src 0
		.amdhsa_exception_fp_ieee_div_zero 0
		.amdhsa_exception_fp_ieee_overflow 0
		.amdhsa_exception_fp_ieee_underflow 0
		.amdhsa_exception_fp_ieee_inexact 0
		.amdhsa_exception_int_div_zero 0
	.end_amdhsa_kernel
	.section	.text._ZN7rocprim17ROCPRIM_400000_NS6detail17trampoline_kernelINS0_14default_configENS1_27scan_by_key_config_selectorIifEEZZNS1_16scan_by_key_implILNS1_25lookback_scan_determinismE0ELb1ES3_N6thrust23THRUST_200600_302600_NS6detail15normal_iteratorINS9_10device_ptrIiEEEENSB_INSC_IjEEEESE_fNS9_4plusIvEENS9_8equal_toIvEEfEE10hipError_tPvRmT2_T3_T4_T5_mT6_T7_P12ihipStream_tbENKUlT_T0_E_clISt17integral_constantIbLb1EES10_IbLb0EEEEDaSW_SX_EUlSW_E_NS1_11comp_targetILNS1_3genE9ELNS1_11target_archE1100ELNS1_3gpuE3ELNS1_3repE0EEENS1_30default_config_static_selectorELNS0_4arch9wavefront6targetE1EEEvT1_,"axG",@progbits,_ZN7rocprim17ROCPRIM_400000_NS6detail17trampoline_kernelINS0_14default_configENS1_27scan_by_key_config_selectorIifEEZZNS1_16scan_by_key_implILNS1_25lookback_scan_determinismE0ELb1ES3_N6thrust23THRUST_200600_302600_NS6detail15normal_iteratorINS9_10device_ptrIiEEEENSB_INSC_IjEEEESE_fNS9_4plusIvEENS9_8equal_toIvEEfEE10hipError_tPvRmT2_T3_T4_T5_mT6_T7_P12ihipStream_tbENKUlT_T0_E_clISt17integral_constantIbLb1EES10_IbLb0EEEEDaSW_SX_EUlSW_E_NS1_11comp_targetILNS1_3genE9ELNS1_11target_archE1100ELNS1_3gpuE3ELNS1_3repE0EEENS1_30default_config_static_selectorELNS0_4arch9wavefront6targetE1EEEvT1_,comdat
.Lfunc_end1813:
	.size	_ZN7rocprim17ROCPRIM_400000_NS6detail17trampoline_kernelINS0_14default_configENS1_27scan_by_key_config_selectorIifEEZZNS1_16scan_by_key_implILNS1_25lookback_scan_determinismE0ELb1ES3_N6thrust23THRUST_200600_302600_NS6detail15normal_iteratorINS9_10device_ptrIiEEEENSB_INSC_IjEEEESE_fNS9_4plusIvEENS9_8equal_toIvEEfEE10hipError_tPvRmT2_T3_T4_T5_mT6_T7_P12ihipStream_tbENKUlT_T0_E_clISt17integral_constantIbLb1EES10_IbLb0EEEEDaSW_SX_EUlSW_E_NS1_11comp_targetILNS1_3genE9ELNS1_11target_archE1100ELNS1_3gpuE3ELNS1_3repE0EEENS1_30default_config_static_selectorELNS0_4arch9wavefront6targetE1EEEvT1_, .Lfunc_end1813-_ZN7rocprim17ROCPRIM_400000_NS6detail17trampoline_kernelINS0_14default_configENS1_27scan_by_key_config_selectorIifEEZZNS1_16scan_by_key_implILNS1_25lookback_scan_determinismE0ELb1ES3_N6thrust23THRUST_200600_302600_NS6detail15normal_iteratorINS9_10device_ptrIiEEEENSB_INSC_IjEEEESE_fNS9_4plusIvEENS9_8equal_toIvEEfEE10hipError_tPvRmT2_T3_T4_T5_mT6_T7_P12ihipStream_tbENKUlT_T0_E_clISt17integral_constantIbLb1EES10_IbLb0EEEEDaSW_SX_EUlSW_E_NS1_11comp_targetILNS1_3genE9ELNS1_11target_archE1100ELNS1_3gpuE3ELNS1_3repE0EEENS1_30default_config_static_selectorELNS0_4arch9wavefront6targetE1EEEvT1_
                                        ; -- End function
	.section	.AMDGPU.csdata,"",@progbits
; Kernel info:
; codeLenInByte = 0
; NumSgprs: 6
; NumVgprs: 0
; NumAgprs: 0
; TotalNumVgprs: 0
; ScratchSize: 0
; MemoryBound: 0
; FloatMode: 240
; IeeeMode: 1
; LDSByteSize: 0 bytes/workgroup (compile time only)
; SGPRBlocks: 0
; VGPRBlocks: 0
; NumSGPRsForWavesPerEU: 6
; NumVGPRsForWavesPerEU: 1
; AccumOffset: 4
; Occupancy: 8
; WaveLimiterHint : 0
; COMPUTE_PGM_RSRC2:SCRATCH_EN: 0
; COMPUTE_PGM_RSRC2:USER_SGPR: 2
; COMPUTE_PGM_RSRC2:TRAP_HANDLER: 0
; COMPUTE_PGM_RSRC2:TGID_X_EN: 1
; COMPUTE_PGM_RSRC2:TGID_Y_EN: 0
; COMPUTE_PGM_RSRC2:TGID_Z_EN: 0
; COMPUTE_PGM_RSRC2:TIDIG_COMP_CNT: 0
; COMPUTE_PGM_RSRC3_GFX90A:ACCUM_OFFSET: 0
; COMPUTE_PGM_RSRC3_GFX90A:TG_SPLIT: 0
	.section	.text._ZN7rocprim17ROCPRIM_400000_NS6detail17trampoline_kernelINS0_14default_configENS1_27scan_by_key_config_selectorIifEEZZNS1_16scan_by_key_implILNS1_25lookback_scan_determinismE0ELb1ES3_N6thrust23THRUST_200600_302600_NS6detail15normal_iteratorINS9_10device_ptrIiEEEENSB_INSC_IjEEEESE_fNS9_4plusIvEENS9_8equal_toIvEEfEE10hipError_tPvRmT2_T3_T4_T5_mT6_T7_P12ihipStream_tbENKUlT_T0_E_clISt17integral_constantIbLb1EES10_IbLb0EEEEDaSW_SX_EUlSW_E_NS1_11comp_targetILNS1_3genE8ELNS1_11target_archE1030ELNS1_3gpuE2ELNS1_3repE0EEENS1_30default_config_static_selectorELNS0_4arch9wavefront6targetE1EEEvT1_,"axG",@progbits,_ZN7rocprim17ROCPRIM_400000_NS6detail17trampoline_kernelINS0_14default_configENS1_27scan_by_key_config_selectorIifEEZZNS1_16scan_by_key_implILNS1_25lookback_scan_determinismE0ELb1ES3_N6thrust23THRUST_200600_302600_NS6detail15normal_iteratorINS9_10device_ptrIiEEEENSB_INSC_IjEEEESE_fNS9_4plusIvEENS9_8equal_toIvEEfEE10hipError_tPvRmT2_T3_T4_T5_mT6_T7_P12ihipStream_tbENKUlT_T0_E_clISt17integral_constantIbLb1EES10_IbLb0EEEEDaSW_SX_EUlSW_E_NS1_11comp_targetILNS1_3genE8ELNS1_11target_archE1030ELNS1_3gpuE2ELNS1_3repE0EEENS1_30default_config_static_selectorELNS0_4arch9wavefront6targetE1EEEvT1_,comdat
	.protected	_ZN7rocprim17ROCPRIM_400000_NS6detail17trampoline_kernelINS0_14default_configENS1_27scan_by_key_config_selectorIifEEZZNS1_16scan_by_key_implILNS1_25lookback_scan_determinismE0ELb1ES3_N6thrust23THRUST_200600_302600_NS6detail15normal_iteratorINS9_10device_ptrIiEEEENSB_INSC_IjEEEESE_fNS9_4plusIvEENS9_8equal_toIvEEfEE10hipError_tPvRmT2_T3_T4_T5_mT6_T7_P12ihipStream_tbENKUlT_T0_E_clISt17integral_constantIbLb1EES10_IbLb0EEEEDaSW_SX_EUlSW_E_NS1_11comp_targetILNS1_3genE8ELNS1_11target_archE1030ELNS1_3gpuE2ELNS1_3repE0EEENS1_30default_config_static_selectorELNS0_4arch9wavefront6targetE1EEEvT1_ ; -- Begin function _ZN7rocprim17ROCPRIM_400000_NS6detail17trampoline_kernelINS0_14default_configENS1_27scan_by_key_config_selectorIifEEZZNS1_16scan_by_key_implILNS1_25lookback_scan_determinismE0ELb1ES3_N6thrust23THRUST_200600_302600_NS6detail15normal_iteratorINS9_10device_ptrIiEEEENSB_INSC_IjEEEESE_fNS9_4plusIvEENS9_8equal_toIvEEfEE10hipError_tPvRmT2_T3_T4_T5_mT6_T7_P12ihipStream_tbENKUlT_T0_E_clISt17integral_constantIbLb1EES10_IbLb0EEEEDaSW_SX_EUlSW_E_NS1_11comp_targetILNS1_3genE8ELNS1_11target_archE1030ELNS1_3gpuE2ELNS1_3repE0EEENS1_30default_config_static_selectorELNS0_4arch9wavefront6targetE1EEEvT1_
	.globl	_ZN7rocprim17ROCPRIM_400000_NS6detail17trampoline_kernelINS0_14default_configENS1_27scan_by_key_config_selectorIifEEZZNS1_16scan_by_key_implILNS1_25lookback_scan_determinismE0ELb1ES3_N6thrust23THRUST_200600_302600_NS6detail15normal_iteratorINS9_10device_ptrIiEEEENSB_INSC_IjEEEESE_fNS9_4plusIvEENS9_8equal_toIvEEfEE10hipError_tPvRmT2_T3_T4_T5_mT6_T7_P12ihipStream_tbENKUlT_T0_E_clISt17integral_constantIbLb1EES10_IbLb0EEEEDaSW_SX_EUlSW_E_NS1_11comp_targetILNS1_3genE8ELNS1_11target_archE1030ELNS1_3gpuE2ELNS1_3repE0EEENS1_30default_config_static_selectorELNS0_4arch9wavefront6targetE1EEEvT1_
	.p2align	8
	.type	_ZN7rocprim17ROCPRIM_400000_NS6detail17trampoline_kernelINS0_14default_configENS1_27scan_by_key_config_selectorIifEEZZNS1_16scan_by_key_implILNS1_25lookback_scan_determinismE0ELb1ES3_N6thrust23THRUST_200600_302600_NS6detail15normal_iteratorINS9_10device_ptrIiEEEENSB_INSC_IjEEEESE_fNS9_4plusIvEENS9_8equal_toIvEEfEE10hipError_tPvRmT2_T3_T4_T5_mT6_T7_P12ihipStream_tbENKUlT_T0_E_clISt17integral_constantIbLb1EES10_IbLb0EEEEDaSW_SX_EUlSW_E_NS1_11comp_targetILNS1_3genE8ELNS1_11target_archE1030ELNS1_3gpuE2ELNS1_3repE0EEENS1_30default_config_static_selectorELNS0_4arch9wavefront6targetE1EEEvT1_,@function
_ZN7rocprim17ROCPRIM_400000_NS6detail17trampoline_kernelINS0_14default_configENS1_27scan_by_key_config_selectorIifEEZZNS1_16scan_by_key_implILNS1_25lookback_scan_determinismE0ELb1ES3_N6thrust23THRUST_200600_302600_NS6detail15normal_iteratorINS9_10device_ptrIiEEEENSB_INSC_IjEEEESE_fNS9_4plusIvEENS9_8equal_toIvEEfEE10hipError_tPvRmT2_T3_T4_T5_mT6_T7_P12ihipStream_tbENKUlT_T0_E_clISt17integral_constantIbLb1EES10_IbLb0EEEEDaSW_SX_EUlSW_E_NS1_11comp_targetILNS1_3genE8ELNS1_11target_archE1030ELNS1_3gpuE2ELNS1_3repE0EEENS1_30default_config_static_selectorELNS0_4arch9wavefront6targetE1EEEvT1_: ; @_ZN7rocprim17ROCPRIM_400000_NS6detail17trampoline_kernelINS0_14default_configENS1_27scan_by_key_config_selectorIifEEZZNS1_16scan_by_key_implILNS1_25lookback_scan_determinismE0ELb1ES3_N6thrust23THRUST_200600_302600_NS6detail15normal_iteratorINS9_10device_ptrIiEEEENSB_INSC_IjEEEESE_fNS9_4plusIvEENS9_8equal_toIvEEfEE10hipError_tPvRmT2_T3_T4_T5_mT6_T7_P12ihipStream_tbENKUlT_T0_E_clISt17integral_constantIbLb1EES10_IbLb0EEEEDaSW_SX_EUlSW_E_NS1_11comp_targetILNS1_3genE8ELNS1_11target_archE1030ELNS1_3gpuE2ELNS1_3repE0EEENS1_30default_config_static_selectorELNS0_4arch9wavefront6targetE1EEEvT1_
; %bb.0:
	.section	.rodata,"a",@progbits
	.p2align	6, 0x0
	.amdhsa_kernel _ZN7rocprim17ROCPRIM_400000_NS6detail17trampoline_kernelINS0_14default_configENS1_27scan_by_key_config_selectorIifEEZZNS1_16scan_by_key_implILNS1_25lookback_scan_determinismE0ELb1ES3_N6thrust23THRUST_200600_302600_NS6detail15normal_iteratorINS9_10device_ptrIiEEEENSB_INSC_IjEEEESE_fNS9_4plusIvEENS9_8equal_toIvEEfEE10hipError_tPvRmT2_T3_T4_T5_mT6_T7_P12ihipStream_tbENKUlT_T0_E_clISt17integral_constantIbLb1EES10_IbLb0EEEEDaSW_SX_EUlSW_E_NS1_11comp_targetILNS1_3genE8ELNS1_11target_archE1030ELNS1_3gpuE2ELNS1_3repE0EEENS1_30default_config_static_selectorELNS0_4arch9wavefront6targetE1EEEvT1_
		.amdhsa_group_segment_fixed_size 0
		.amdhsa_private_segment_fixed_size 0
		.amdhsa_kernarg_size 112
		.amdhsa_user_sgpr_count 2
		.amdhsa_user_sgpr_dispatch_ptr 0
		.amdhsa_user_sgpr_queue_ptr 0
		.amdhsa_user_sgpr_kernarg_segment_ptr 1
		.amdhsa_user_sgpr_dispatch_id 0
		.amdhsa_user_sgpr_kernarg_preload_length 0
		.amdhsa_user_sgpr_kernarg_preload_offset 0
		.amdhsa_user_sgpr_private_segment_size 0
		.amdhsa_uses_dynamic_stack 0
		.amdhsa_enable_private_segment 0
		.amdhsa_system_sgpr_workgroup_id_x 1
		.amdhsa_system_sgpr_workgroup_id_y 0
		.amdhsa_system_sgpr_workgroup_id_z 0
		.amdhsa_system_sgpr_workgroup_info 0
		.amdhsa_system_vgpr_workitem_id 0
		.amdhsa_next_free_vgpr 1
		.amdhsa_next_free_sgpr 0
		.amdhsa_accum_offset 4
		.amdhsa_reserve_vcc 0
		.amdhsa_float_round_mode_32 0
		.amdhsa_float_round_mode_16_64 0
		.amdhsa_float_denorm_mode_32 3
		.amdhsa_float_denorm_mode_16_64 3
		.amdhsa_dx10_clamp 1
		.amdhsa_ieee_mode 1
		.amdhsa_fp16_overflow 0
		.amdhsa_tg_split 0
		.amdhsa_exception_fp_ieee_invalid_op 0
		.amdhsa_exception_fp_denorm_src 0
		.amdhsa_exception_fp_ieee_div_zero 0
		.amdhsa_exception_fp_ieee_overflow 0
		.amdhsa_exception_fp_ieee_underflow 0
		.amdhsa_exception_fp_ieee_inexact 0
		.amdhsa_exception_int_div_zero 0
	.end_amdhsa_kernel
	.section	.text._ZN7rocprim17ROCPRIM_400000_NS6detail17trampoline_kernelINS0_14default_configENS1_27scan_by_key_config_selectorIifEEZZNS1_16scan_by_key_implILNS1_25lookback_scan_determinismE0ELb1ES3_N6thrust23THRUST_200600_302600_NS6detail15normal_iteratorINS9_10device_ptrIiEEEENSB_INSC_IjEEEESE_fNS9_4plusIvEENS9_8equal_toIvEEfEE10hipError_tPvRmT2_T3_T4_T5_mT6_T7_P12ihipStream_tbENKUlT_T0_E_clISt17integral_constantIbLb1EES10_IbLb0EEEEDaSW_SX_EUlSW_E_NS1_11comp_targetILNS1_3genE8ELNS1_11target_archE1030ELNS1_3gpuE2ELNS1_3repE0EEENS1_30default_config_static_selectorELNS0_4arch9wavefront6targetE1EEEvT1_,"axG",@progbits,_ZN7rocprim17ROCPRIM_400000_NS6detail17trampoline_kernelINS0_14default_configENS1_27scan_by_key_config_selectorIifEEZZNS1_16scan_by_key_implILNS1_25lookback_scan_determinismE0ELb1ES3_N6thrust23THRUST_200600_302600_NS6detail15normal_iteratorINS9_10device_ptrIiEEEENSB_INSC_IjEEEESE_fNS9_4plusIvEENS9_8equal_toIvEEfEE10hipError_tPvRmT2_T3_T4_T5_mT6_T7_P12ihipStream_tbENKUlT_T0_E_clISt17integral_constantIbLb1EES10_IbLb0EEEEDaSW_SX_EUlSW_E_NS1_11comp_targetILNS1_3genE8ELNS1_11target_archE1030ELNS1_3gpuE2ELNS1_3repE0EEENS1_30default_config_static_selectorELNS0_4arch9wavefront6targetE1EEEvT1_,comdat
.Lfunc_end1814:
	.size	_ZN7rocprim17ROCPRIM_400000_NS6detail17trampoline_kernelINS0_14default_configENS1_27scan_by_key_config_selectorIifEEZZNS1_16scan_by_key_implILNS1_25lookback_scan_determinismE0ELb1ES3_N6thrust23THRUST_200600_302600_NS6detail15normal_iteratorINS9_10device_ptrIiEEEENSB_INSC_IjEEEESE_fNS9_4plusIvEENS9_8equal_toIvEEfEE10hipError_tPvRmT2_T3_T4_T5_mT6_T7_P12ihipStream_tbENKUlT_T0_E_clISt17integral_constantIbLb1EES10_IbLb0EEEEDaSW_SX_EUlSW_E_NS1_11comp_targetILNS1_3genE8ELNS1_11target_archE1030ELNS1_3gpuE2ELNS1_3repE0EEENS1_30default_config_static_selectorELNS0_4arch9wavefront6targetE1EEEvT1_, .Lfunc_end1814-_ZN7rocprim17ROCPRIM_400000_NS6detail17trampoline_kernelINS0_14default_configENS1_27scan_by_key_config_selectorIifEEZZNS1_16scan_by_key_implILNS1_25lookback_scan_determinismE0ELb1ES3_N6thrust23THRUST_200600_302600_NS6detail15normal_iteratorINS9_10device_ptrIiEEEENSB_INSC_IjEEEESE_fNS9_4plusIvEENS9_8equal_toIvEEfEE10hipError_tPvRmT2_T3_T4_T5_mT6_T7_P12ihipStream_tbENKUlT_T0_E_clISt17integral_constantIbLb1EES10_IbLb0EEEEDaSW_SX_EUlSW_E_NS1_11comp_targetILNS1_3genE8ELNS1_11target_archE1030ELNS1_3gpuE2ELNS1_3repE0EEENS1_30default_config_static_selectorELNS0_4arch9wavefront6targetE1EEEvT1_
                                        ; -- End function
	.section	.AMDGPU.csdata,"",@progbits
; Kernel info:
; codeLenInByte = 0
; NumSgprs: 6
; NumVgprs: 0
; NumAgprs: 0
; TotalNumVgprs: 0
; ScratchSize: 0
; MemoryBound: 0
; FloatMode: 240
; IeeeMode: 1
; LDSByteSize: 0 bytes/workgroup (compile time only)
; SGPRBlocks: 0
; VGPRBlocks: 0
; NumSGPRsForWavesPerEU: 6
; NumVGPRsForWavesPerEU: 1
; AccumOffset: 4
; Occupancy: 8
; WaveLimiterHint : 0
; COMPUTE_PGM_RSRC2:SCRATCH_EN: 0
; COMPUTE_PGM_RSRC2:USER_SGPR: 2
; COMPUTE_PGM_RSRC2:TRAP_HANDLER: 0
; COMPUTE_PGM_RSRC2:TGID_X_EN: 1
; COMPUTE_PGM_RSRC2:TGID_Y_EN: 0
; COMPUTE_PGM_RSRC2:TGID_Z_EN: 0
; COMPUTE_PGM_RSRC2:TIDIG_COMP_CNT: 0
; COMPUTE_PGM_RSRC3_GFX90A:ACCUM_OFFSET: 0
; COMPUTE_PGM_RSRC3_GFX90A:TG_SPLIT: 0
	.section	.text._ZN7rocprim17ROCPRIM_400000_NS6detail17trampoline_kernelINS0_14default_configENS1_27scan_by_key_config_selectorIifEEZZNS1_16scan_by_key_implILNS1_25lookback_scan_determinismE0ELb1ES3_N6thrust23THRUST_200600_302600_NS6detail15normal_iteratorINS9_10device_ptrIiEEEENSB_INSC_IjEEEESE_fNS9_4plusIvEENS9_8equal_toIvEEfEE10hipError_tPvRmT2_T3_T4_T5_mT6_T7_P12ihipStream_tbENKUlT_T0_E_clISt17integral_constantIbLb0EES10_IbLb1EEEEDaSW_SX_EUlSW_E_NS1_11comp_targetILNS1_3genE0ELNS1_11target_archE4294967295ELNS1_3gpuE0ELNS1_3repE0EEENS1_30default_config_static_selectorELNS0_4arch9wavefront6targetE1EEEvT1_,"axG",@progbits,_ZN7rocprim17ROCPRIM_400000_NS6detail17trampoline_kernelINS0_14default_configENS1_27scan_by_key_config_selectorIifEEZZNS1_16scan_by_key_implILNS1_25lookback_scan_determinismE0ELb1ES3_N6thrust23THRUST_200600_302600_NS6detail15normal_iteratorINS9_10device_ptrIiEEEENSB_INSC_IjEEEESE_fNS9_4plusIvEENS9_8equal_toIvEEfEE10hipError_tPvRmT2_T3_T4_T5_mT6_T7_P12ihipStream_tbENKUlT_T0_E_clISt17integral_constantIbLb0EES10_IbLb1EEEEDaSW_SX_EUlSW_E_NS1_11comp_targetILNS1_3genE0ELNS1_11target_archE4294967295ELNS1_3gpuE0ELNS1_3repE0EEENS1_30default_config_static_selectorELNS0_4arch9wavefront6targetE1EEEvT1_,comdat
	.protected	_ZN7rocprim17ROCPRIM_400000_NS6detail17trampoline_kernelINS0_14default_configENS1_27scan_by_key_config_selectorIifEEZZNS1_16scan_by_key_implILNS1_25lookback_scan_determinismE0ELb1ES3_N6thrust23THRUST_200600_302600_NS6detail15normal_iteratorINS9_10device_ptrIiEEEENSB_INSC_IjEEEESE_fNS9_4plusIvEENS9_8equal_toIvEEfEE10hipError_tPvRmT2_T3_T4_T5_mT6_T7_P12ihipStream_tbENKUlT_T0_E_clISt17integral_constantIbLb0EES10_IbLb1EEEEDaSW_SX_EUlSW_E_NS1_11comp_targetILNS1_3genE0ELNS1_11target_archE4294967295ELNS1_3gpuE0ELNS1_3repE0EEENS1_30default_config_static_selectorELNS0_4arch9wavefront6targetE1EEEvT1_ ; -- Begin function _ZN7rocprim17ROCPRIM_400000_NS6detail17trampoline_kernelINS0_14default_configENS1_27scan_by_key_config_selectorIifEEZZNS1_16scan_by_key_implILNS1_25lookback_scan_determinismE0ELb1ES3_N6thrust23THRUST_200600_302600_NS6detail15normal_iteratorINS9_10device_ptrIiEEEENSB_INSC_IjEEEESE_fNS9_4plusIvEENS9_8equal_toIvEEfEE10hipError_tPvRmT2_T3_T4_T5_mT6_T7_P12ihipStream_tbENKUlT_T0_E_clISt17integral_constantIbLb0EES10_IbLb1EEEEDaSW_SX_EUlSW_E_NS1_11comp_targetILNS1_3genE0ELNS1_11target_archE4294967295ELNS1_3gpuE0ELNS1_3repE0EEENS1_30default_config_static_selectorELNS0_4arch9wavefront6targetE1EEEvT1_
	.globl	_ZN7rocprim17ROCPRIM_400000_NS6detail17trampoline_kernelINS0_14default_configENS1_27scan_by_key_config_selectorIifEEZZNS1_16scan_by_key_implILNS1_25lookback_scan_determinismE0ELb1ES3_N6thrust23THRUST_200600_302600_NS6detail15normal_iteratorINS9_10device_ptrIiEEEENSB_INSC_IjEEEESE_fNS9_4plusIvEENS9_8equal_toIvEEfEE10hipError_tPvRmT2_T3_T4_T5_mT6_T7_P12ihipStream_tbENKUlT_T0_E_clISt17integral_constantIbLb0EES10_IbLb1EEEEDaSW_SX_EUlSW_E_NS1_11comp_targetILNS1_3genE0ELNS1_11target_archE4294967295ELNS1_3gpuE0ELNS1_3repE0EEENS1_30default_config_static_selectorELNS0_4arch9wavefront6targetE1EEEvT1_
	.p2align	8
	.type	_ZN7rocprim17ROCPRIM_400000_NS6detail17trampoline_kernelINS0_14default_configENS1_27scan_by_key_config_selectorIifEEZZNS1_16scan_by_key_implILNS1_25lookback_scan_determinismE0ELb1ES3_N6thrust23THRUST_200600_302600_NS6detail15normal_iteratorINS9_10device_ptrIiEEEENSB_INSC_IjEEEESE_fNS9_4plusIvEENS9_8equal_toIvEEfEE10hipError_tPvRmT2_T3_T4_T5_mT6_T7_P12ihipStream_tbENKUlT_T0_E_clISt17integral_constantIbLb0EES10_IbLb1EEEEDaSW_SX_EUlSW_E_NS1_11comp_targetILNS1_3genE0ELNS1_11target_archE4294967295ELNS1_3gpuE0ELNS1_3repE0EEENS1_30default_config_static_selectorELNS0_4arch9wavefront6targetE1EEEvT1_,@function
_ZN7rocprim17ROCPRIM_400000_NS6detail17trampoline_kernelINS0_14default_configENS1_27scan_by_key_config_selectorIifEEZZNS1_16scan_by_key_implILNS1_25lookback_scan_determinismE0ELb1ES3_N6thrust23THRUST_200600_302600_NS6detail15normal_iteratorINS9_10device_ptrIiEEEENSB_INSC_IjEEEESE_fNS9_4plusIvEENS9_8equal_toIvEEfEE10hipError_tPvRmT2_T3_T4_T5_mT6_T7_P12ihipStream_tbENKUlT_T0_E_clISt17integral_constantIbLb0EES10_IbLb1EEEEDaSW_SX_EUlSW_E_NS1_11comp_targetILNS1_3genE0ELNS1_11target_archE4294967295ELNS1_3gpuE0ELNS1_3repE0EEENS1_30default_config_static_selectorELNS0_4arch9wavefront6targetE1EEEvT1_: ; @_ZN7rocprim17ROCPRIM_400000_NS6detail17trampoline_kernelINS0_14default_configENS1_27scan_by_key_config_selectorIifEEZZNS1_16scan_by_key_implILNS1_25lookback_scan_determinismE0ELb1ES3_N6thrust23THRUST_200600_302600_NS6detail15normal_iteratorINS9_10device_ptrIiEEEENSB_INSC_IjEEEESE_fNS9_4plusIvEENS9_8equal_toIvEEfEE10hipError_tPvRmT2_T3_T4_T5_mT6_T7_P12ihipStream_tbENKUlT_T0_E_clISt17integral_constantIbLb0EES10_IbLb1EEEEDaSW_SX_EUlSW_E_NS1_11comp_targetILNS1_3genE0ELNS1_11target_archE4294967295ELNS1_3gpuE0ELNS1_3repE0EEENS1_30default_config_static_selectorELNS0_4arch9wavefront6targetE1EEEvT1_
; %bb.0:
	.section	.rodata,"a",@progbits
	.p2align	6, 0x0
	.amdhsa_kernel _ZN7rocprim17ROCPRIM_400000_NS6detail17trampoline_kernelINS0_14default_configENS1_27scan_by_key_config_selectorIifEEZZNS1_16scan_by_key_implILNS1_25lookback_scan_determinismE0ELb1ES3_N6thrust23THRUST_200600_302600_NS6detail15normal_iteratorINS9_10device_ptrIiEEEENSB_INSC_IjEEEESE_fNS9_4plusIvEENS9_8equal_toIvEEfEE10hipError_tPvRmT2_T3_T4_T5_mT6_T7_P12ihipStream_tbENKUlT_T0_E_clISt17integral_constantIbLb0EES10_IbLb1EEEEDaSW_SX_EUlSW_E_NS1_11comp_targetILNS1_3genE0ELNS1_11target_archE4294967295ELNS1_3gpuE0ELNS1_3repE0EEENS1_30default_config_static_selectorELNS0_4arch9wavefront6targetE1EEEvT1_
		.amdhsa_group_segment_fixed_size 0
		.amdhsa_private_segment_fixed_size 0
		.amdhsa_kernarg_size 112
		.amdhsa_user_sgpr_count 2
		.amdhsa_user_sgpr_dispatch_ptr 0
		.amdhsa_user_sgpr_queue_ptr 0
		.amdhsa_user_sgpr_kernarg_segment_ptr 1
		.amdhsa_user_sgpr_dispatch_id 0
		.amdhsa_user_sgpr_kernarg_preload_length 0
		.amdhsa_user_sgpr_kernarg_preload_offset 0
		.amdhsa_user_sgpr_private_segment_size 0
		.amdhsa_uses_dynamic_stack 0
		.amdhsa_enable_private_segment 0
		.amdhsa_system_sgpr_workgroup_id_x 1
		.amdhsa_system_sgpr_workgroup_id_y 0
		.amdhsa_system_sgpr_workgroup_id_z 0
		.amdhsa_system_sgpr_workgroup_info 0
		.amdhsa_system_vgpr_workitem_id 0
		.amdhsa_next_free_vgpr 1
		.amdhsa_next_free_sgpr 0
		.amdhsa_accum_offset 4
		.amdhsa_reserve_vcc 0
		.amdhsa_float_round_mode_32 0
		.amdhsa_float_round_mode_16_64 0
		.amdhsa_float_denorm_mode_32 3
		.amdhsa_float_denorm_mode_16_64 3
		.amdhsa_dx10_clamp 1
		.amdhsa_ieee_mode 1
		.amdhsa_fp16_overflow 0
		.amdhsa_tg_split 0
		.amdhsa_exception_fp_ieee_invalid_op 0
		.amdhsa_exception_fp_denorm_src 0
		.amdhsa_exception_fp_ieee_div_zero 0
		.amdhsa_exception_fp_ieee_overflow 0
		.amdhsa_exception_fp_ieee_underflow 0
		.amdhsa_exception_fp_ieee_inexact 0
		.amdhsa_exception_int_div_zero 0
	.end_amdhsa_kernel
	.section	.text._ZN7rocprim17ROCPRIM_400000_NS6detail17trampoline_kernelINS0_14default_configENS1_27scan_by_key_config_selectorIifEEZZNS1_16scan_by_key_implILNS1_25lookback_scan_determinismE0ELb1ES3_N6thrust23THRUST_200600_302600_NS6detail15normal_iteratorINS9_10device_ptrIiEEEENSB_INSC_IjEEEESE_fNS9_4plusIvEENS9_8equal_toIvEEfEE10hipError_tPvRmT2_T3_T4_T5_mT6_T7_P12ihipStream_tbENKUlT_T0_E_clISt17integral_constantIbLb0EES10_IbLb1EEEEDaSW_SX_EUlSW_E_NS1_11comp_targetILNS1_3genE0ELNS1_11target_archE4294967295ELNS1_3gpuE0ELNS1_3repE0EEENS1_30default_config_static_selectorELNS0_4arch9wavefront6targetE1EEEvT1_,"axG",@progbits,_ZN7rocprim17ROCPRIM_400000_NS6detail17trampoline_kernelINS0_14default_configENS1_27scan_by_key_config_selectorIifEEZZNS1_16scan_by_key_implILNS1_25lookback_scan_determinismE0ELb1ES3_N6thrust23THRUST_200600_302600_NS6detail15normal_iteratorINS9_10device_ptrIiEEEENSB_INSC_IjEEEESE_fNS9_4plusIvEENS9_8equal_toIvEEfEE10hipError_tPvRmT2_T3_T4_T5_mT6_T7_P12ihipStream_tbENKUlT_T0_E_clISt17integral_constantIbLb0EES10_IbLb1EEEEDaSW_SX_EUlSW_E_NS1_11comp_targetILNS1_3genE0ELNS1_11target_archE4294967295ELNS1_3gpuE0ELNS1_3repE0EEENS1_30default_config_static_selectorELNS0_4arch9wavefront6targetE1EEEvT1_,comdat
.Lfunc_end1815:
	.size	_ZN7rocprim17ROCPRIM_400000_NS6detail17trampoline_kernelINS0_14default_configENS1_27scan_by_key_config_selectorIifEEZZNS1_16scan_by_key_implILNS1_25lookback_scan_determinismE0ELb1ES3_N6thrust23THRUST_200600_302600_NS6detail15normal_iteratorINS9_10device_ptrIiEEEENSB_INSC_IjEEEESE_fNS9_4plusIvEENS9_8equal_toIvEEfEE10hipError_tPvRmT2_T3_T4_T5_mT6_T7_P12ihipStream_tbENKUlT_T0_E_clISt17integral_constantIbLb0EES10_IbLb1EEEEDaSW_SX_EUlSW_E_NS1_11comp_targetILNS1_3genE0ELNS1_11target_archE4294967295ELNS1_3gpuE0ELNS1_3repE0EEENS1_30default_config_static_selectorELNS0_4arch9wavefront6targetE1EEEvT1_, .Lfunc_end1815-_ZN7rocprim17ROCPRIM_400000_NS6detail17trampoline_kernelINS0_14default_configENS1_27scan_by_key_config_selectorIifEEZZNS1_16scan_by_key_implILNS1_25lookback_scan_determinismE0ELb1ES3_N6thrust23THRUST_200600_302600_NS6detail15normal_iteratorINS9_10device_ptrIiEEEENSB_INSC_IjEEEESE_fNS9_4plusIvEENS9_8equal_toIvEEfEE10hipError_tPvRmT2_T3_T4_T5_mT6_T7_P12ihipStream_tbENKUlT_T0_E_clISt17integral_constantIbLb0EES10_IbLb1EEEEDaSW_SX_EUlSW_E_NS1_11comp_targetILNS1_3genE0ELNS1_11target_archE4294967295ELNS1_3gpuE0ELNS1_3repE0EEENS1_30default_config_static_selectorELNS0_4arch9wavefront6targetE1EEEvT1_
                                        ; -- End function
	.section	.AMDGPU.csdata,"",@progbits
; Kernel info:
; codeLenInByte = 0
; NumSgprs: 6
; NumVgprs: 0
; NumAgprs: 0
; TotalNumVgprs: 0
; ScratchSize: 0
; MemoryBound: 0
; FloatMode: 240
; IeeeMode: 1
; LDSByteSize: 0 bytes/workgroup (compile time only)
; SGPRBlocks: 0
; VGPRBlocks: 0
; NumSGPRsForWavesPerEU: 6
; NumVGPRsForWavesPerEU: 1
; AccumOffset: 4
; Occupancy: 8
; WaveLimiterHint : 0
; COMPUTE_PGM_RSRC2:SCRATCH_EN: 0
; COMPUTE_PGM_RSRC2:USER_SGPR: 2
; COMPUTE_PGM_RSRC2:TRAP_HANDLER: 0
; COMPUTE_PGM_RSRC2:TGID_X_EN: 1
; COMPUTE_PGM_RSRC2:TGID_Y_EN: 0
; COMPUTE_PGM_RSRC2:TGID_Z_EN: 0
; COMPUTE_PGM_RSRC2:TIDIG_COMP_CNT: 0
; COMPUTE_PGM_RSRC3_GFX90A:ACCUM_OFFSET: 0
; COMPUTE_PGM_RSRC3_GFX90A:TG_SPLIT: 0
	.section	.text._ZN7rocprim17ROCPRIM_400000_NS6detail17trampoline_kernelINS0_14default_configENS1_27scan_by_key_config_selectorIifEEZZNS1_16scan_by_key_implILNS1_25lookback_scan_determinismE0ELb1ES3_N6thrust23THRUST_200600_302600_NS6detail15normal_iteratorINS9_10device_ptrIiEEEENSB_INSC_IjEEEESE_fNS9_4plusIvEENS9_8equal_toIvEEfEE10hipError_tPvRmT2_T3_T4_T5_mT6_T7_P12ihipStream_tbENKUlT_T0_E_clISt17integral_constantIbLb0EES10_IbLb1EEEEDaSW_SX_EUlSW_E_NS1_11comp_targetILNS1_3genE10ELNS1_11target_archE1201ELNS1_3gpuE5ELNS1_3repE0EEENS1_30default_config_static_selectorELNS0_4arch9wavefront6targetE1EEEvT1_,"axG",@progbits,_ZN7rocprim17ROCPRIM_400000_NS6detail17trampoline_kernelINS0_14default_configENS1_27scan_by_key_config_selectorIifEEZZNS1_16scan_by_key_implILNS1_25lookback_scan_determinismE0ELb1ES3_N6thrust23THRUST_200600_302600_NS6detail15normal_iteratorINS9_10device_ptrIiEEEENSB_INSC_IjEEEESE_fNS9_4plusIvEENS9_8equal_toIvEEfEE10hipError_tPvRmT2_T3_T4_T5_mT6_T7_P12ihipStream_tbENKUlT_T0_E_clISt17integral_constantIbLb0EES10_IbLb1EEEEDaSW_SX_EUlSW_E_NS1_11comp_targetILNS1_3genE10ELNS1_11target_archE1201ELNS1_3gpuE5ELNS1_3repE0EEENS1_30default_config_static_selectorELNS0_4arch9wavefront6targetE1EEEvT1_,comdat
	.protected	_ZN7rocprim17ROCPRIM_400000_NS6detail17trampoline_kernelINS0_14default_configENS1_27scan_by_key_config_selectorIifEEZZNS1_16scan_by_key_implILNS1_25lookback_scan_determinismE0ELb1ES3_N6thrust23THRUST_200600_302600_NS6detail15normal_iteratorINS9_10device_ptrIiEEEENSB_INSC_IjEEEESE_fNS9_4plusIvEENS9_8equal_toIvEEfEE10hipError_tPvRmT2_T3_T4_T5_mT6_T7_P12ihipStream_tbENKUlT_T0_E_clISt17integral_constantIbLb0EES10_IbLb1EEEEDaSW_SX_EUlSW_E_NS1_11comp_targetILNS1_3genE10ELNS1_11target_archE1201ELNS1_3gpuE5ELNS1_3repE0EEENS1_30default_config_static_selectorELNS0_4arch9wavefront6targetE1EEEvT1_ ; -- Begin function _ZN7rocprim17ROCPRIM_400000_NS6detail17trampoline_kernelINS0_14default_configENS1_27scan_by_key_config_selectorIifEEZZNS1_16scan_by_key_implILNS1_25lookback_scan_determinismE0ELb1ES3_N6thrust23THRUST_200600_302600_NS6detail15normal_iteratorINS9_10device_ptrIiEEEENSB_INSC_IjEEEESE_fNS9_4plusIvEENS9_8equal_toIvEEfEE10hipError_tPvRmT2_T3_T4_T5_mT6_T7_P12ihipStream_tbENKUlT_T0_E_clISt17integral_constantIbLb0EES10_IbLb1EEEEDaSW_SX_EUlSW_E_NS1_11comp_targetILNS1_3genE10ELNS1_11target_archE1201ELNS1_3gpuE5ELNS1_3repE0EEENS1_30default_config_static_selectorELNS0_4arch9wavefront6targetE1EEEvT1_
	.globl	_ZN7rocprim17ROCPRIM_400000_NS6detail17trampoline_kernelINS0_14default_configENS1_27scan_by_key_config_selectorIifEEZZNS1_16scan_by_key_implILNS1_25lookback_scan_determinismE0ELb1ES3_N6thrust23THRUST_200600_302600_NS6detail15normal_iteratorINS9_10device_ptrIiEEEENSB_INSC_IjEEEESE_fNS9_4plusIvEENS9_8equal_toIvEEfEE10hipError_tPvRmT2_T3_T4_T5_mT6_T7_P12ihipStream_tbENKUlT_T0_E_clISt17integral_constantIbLb0EES10_IbLb1EEEEDaSW_SX_EUlSW_E_NS1_11comp_targetILNS1_3genE10ELNS1_11target_archE1201ELNS1_3gpuE5ELNS1_3repE0EEENS1_30default_config_static_selectorELNS0_4arch9wavefront6targetE1EEEvT1_
	.p2align	8
	.type	_ZN7rocprim17ROCPRIM_400000_NS6detail17trampoline_kernelINS0_14default_configENS1_27scan_by_key_config_selectorIifEEZZNS1_16scan_by_key_implILNS1_25lookback_scan_determinismE0ELb1ES3_N6thrust23THRUST_200600_302600_NS6detail15normal_iteratorINS9_10device_ptrIiEEEENSB_INSC_IjEEEESE_fNS9_4plusIvEENS9_8equal_toIvEEfEE10hipError_tPvRmT2_T3_T4_T5_mT6_T7_P12ihipStream_tbENKUlT_T0_E_clISt17integral_constantIbLb0EES10_IbLb1EEEEDaSW_SX_EUlSW_E_NS1_11comp_targetILNS1_3genE10ELNS1_11target_archE1201ELNS1_3gpuE5ELNS1_3repE0EEENS1_30default_config_static_selectorELNS0_4arch9wavefront6targetE1EEEvT1_,@function
_ZN7rocprim17ROCPRIM_400000_NS6detail17trampoline_kernelINS0_14default_configENS1_27scan_by_key_config_selectorIifEEZZNS1_16scan_by_key_implILNS1_25lookback_scan_determinismE0ELb1ES3_N6thrust23THRUST_200600_302600_NS6detail15normal_iteratorINS9_10device_ptrIiEEEENSB_INSC_IjEEEESE_fNS9_4plusIvEENS9_8equal_toIvEEfEE10hipError_tPvRmT2_T3_T4_T5_mT6_T7_P12ihipStream_tbENKUlT_T0_E_clISt17integral_constantIbLb0EES10_IbLb1EEEEDaSW_SX_EUlSW_E_NS1_11comp_targetILNS1_3genE10ELNS1_11target_archE1201ELNS1_3gpuE5ELNS1_3repE0EEENS1_30default_config_static_selectorELNS0_4arch9wavefront6targetE1EEEvT1_: ; @_ZN7rocprim17ROCPRIM_400000_NS6detail17trampoline_kernelINS0_14default_configENS1_27scan_by_key_config_selectorIifEEZZNS1_16scan_by_key_implILNS1_25lookback_scan_determinismE0ELb1ES3_N6thrust23THRUST_200600_302600_NS6detail15normal_iteratorINS9_10device_ptrIiEEEENSB_INSC_IjEEEESE_fNS9_4plusIvEENS9_8equal_toIvEEfEE10hipError_tPvRmT2_T3_T4_T5_mT6_T7_P12ihipStream_tbENKUlT_T0_E_clISt17integral_constantIbLb0EES10_IbLb1EEEEDaSW_SX_EUlSW_E_NS1_11comp_targetILNS1_3genE10ELNS1_11target_archE1201ELNS1_3gpuE5ELNS1_3repE0EEENS1_30default_config_static_selectorELNS0_4arch9wavefront6targetE1EEEvT1_
; %bb.0:
	.section	.rodata,"a",@progbits
	.p2align	6, 0x0
	.amdhsa_kernel _ZN7rocprim17ROCPRIM_400000_NS6detail17trampoline_kernelINS0_14default_configENS1_27scan_by_key_config_selectorIifEEZZNS1_16scan_by_key_implILNS1_25lookback_scan_determinismE0ELb1ES3_N6thrust23THRUST_200600_302600_NS6detail15normal_iteratorINS9_10device_ptrIiEEEENSB_INSC_IjEEEESE_fNS9_4plusIvEENS9_8equal_toIvEEfEE10hipError_tPvRmT2_T3_T4_T5_mT6_T7_P12ihipStream_tbENKUlT_T0_E_clISt17integral_constantIbLb0EES10_IbLb1EEEEDaSW_SX_EUlSW_E_NS1_11comp_targetILNS1_3genE10ELNS1_11target_archE1201ELNS1_3gpuE5ELNS1_3repE0EEENS1_30default_config_static_selectorELNS0_4arch9wavefront6targetE1EEEvT1_
		.amdhsa_group_segment_fixed_size 0
		.amdhsa_private_segment_fixed_size 0
		.amdhsa_kernarg_size 112
		.amdhsa_user_sgpr_count 2
		.amdhsa_user_sgpr_dispatch_ptr 0
		.amdhsa_user_sgpr_queue_ptr 0
		.amdhsa_user_sgpr_kernarg_segment_ptr 1
		.amdhsa_user_sgpr_dispatch_id 0
		.amdhsa_user_sgpr_kernarg_preload_length 0
		.amdhsa_user_sgpr_kernarg_preload_offset 0
		.amdhsa_user_sgpr_private_segment_size 0
		.amdhsa_uses_dynamic_stack 0
		.amdhsa_enable_private_segment 0
		.amdhsa_system_sgpr_workgroup_id_x 1
		.amdhsa_system_sgpr_workgroup_id_y 0
		.amdhsa_system_sgpr_workgroup_id_z 0
		.amdhsa_system_sgpr_workgroup_info 0
		.amdhsa_system_vgpr_workitem_id 0
		.amdhsa_next_free_vgpr 1
		.amdhsa_next_free_sgpr 0
		.amdhsa_accum_offset 4
		.amdhsa_reserve_vcc 0
		.amdhsa_float_round_mode_32 0
		.amdhsa_float_round_mode_16_64 0
		.amdhsa_float_denorm_mode_32 3
		.amdhsa_float_denorm_mode_16_64 3
		.amdhsa_dx10_clamp 1
		.amdhsa_ieee_mode 1
		.amdhsa_fp16_overflow 0
		.amdhsa_tg_split 0
		.amdhsa_exception_fp_ieee_invalid_op 0
		.amdhsa_exception_fp_denorm_src 0
		.amdhsa_exception_fp_ieee_div_zero 0
		.amdhsa_exception_fp_ieee_overflow 0
		.amdhsa_exception_fp_ieee_underflow 0
		.amdhsa_exception_fp_ieee_inexact 0
		.amdhsa_exception_int_div_zero 0
	.end_amdhsa_kernel
	.section	.text._ZN7rocprim17ROCPRIM_400000_NS6detail17trampoline_kernelINS0_14default_configENS1_27scan_by_key_config_selectorIifEEZZNS1_16scan_by_key_implILNS1_25lookback_scan_determinismE0ELb1ES3_N6thrust23THRUST_200600_302600_NS6detail15normal_iteratorINS9_10device_ptrIiEEEENSB_INSC_IjEEEESE_fNS9_4plusIvEENS9_8equal_toIvEEfEE10hipError_tPvRmT2_T3_T4_T5_mT6_T7_P12ihipStream_tbENKUlT_T0_E_clISt17integral_constantIbLb0EES10_IbLb1EEEEDaSW_SX_EUlSW_E_NS1_11comp_targetILNS1_3genE10ELNS1_11target_archE1201ELNS1_3gpuE5ELNS1_3repE0EEENS1_30default_config_static_selectorELNS0_4arch9wavefront6targetE1EEEvT1_,"axG",@progbits,_ZN7rocprim17ROCPRIM_400000_NS6detail17trampoline_kernelINS0_14default_configENS1_27scan_by_key_config_selectorIifEEZZNS1_16scan_by_key_implILNS1_25lookback_scan_determinismE0ELb1ES3_N6thrust23THRUST_200600_302600_NS6detail15normal_iteratorINS9_10device_ptrIiEEEENSB_INSC_IjEEEESE_fNS9_4plusIvEENS9_8equal_toIvEEfEE10hipError_tPvRmT2_T3_T4_T5_mT6_T7_P12ihipStream_tbENKUlT_T0_E_clISt17integral_constantIbLb0EES10_IbLb1EEEEDaSW_SX_EUlSW_E_NS1_11comp_targetILNS1_3genE10ELNS1_11target_archE1201ELNS1_3gpuE5ELNS1_3repE0EEENS1_30default_config_static_selectorELNS0_4arch9wavefront6targetE1EEEvT1_,comdat
.Lfunc_end1816:
	.size	_ZN7rocprim17ROCPRIM_400000_NS6detail17trampoline_kernelINS0_14default_configENS1_27scan_by_key_config_selectorIifEEZZNS1_16scan_by_key_implILNS1_25lookback_scan_determinismE0ELb1ES3_N6thrust23THRUST_200600_302600_NS6detail15normal_iteratorINS9_10device_ptrIiEEEENSB_INSC_IjEEEESE_fNS9_4plusIvEENS9_8equal_toIvEEfEE10hipError_tPvRmT2_T3_T4_T5_mT6_T7_P12ihipStream_tbENKUlT_T0_E_clISt17integral_constantIbLb0EES10_IbLb1EEEEDaSW_SX_EUlSW_E_NS1_11comp_targetILNS1_3genE10ELNS1_11target_archE1201ELNS1_3gpuE5ELNS1_3repE0EEENS1_30default_config_static_selectorELNS0_4arch9wavefront6targetE1EEEvT1_, .Lfunc_end1816-_ZN7rocprim17ROCPRIM_400000_NS6detail17trampoline_kernelINS0_14default_configENS1_27scan_by_key_config_selectorIifEEZZNS1_16scan_by_key_implILNS1_25lookback_scan_determinismE0ELb1ES3_N6thrust23THRUST_200600_302600_NS6detail15normal_iteratorINS9_10device_ptrIiEEEENSB_INSC_IjEEEESE_fNS9_4plusIvEENS9_8equal_toIvEEfEE10hipError_tPvRmT2_T3_T4_T5_mT6_T7_P12ihipStream_tbENKUlT_T0_E_clISt17integral_constantIbLb0EES10_IbLb1EEEEDaSW_SX_EUlSW_E_NS1_11comp_targetILNS1_3genE10ELNS1_11target_archE1201ELNS1_3gpuE5ELNS1_3repE0EEENS1_30default_config_static_selectorELNS0_4arch9wavefront6targetE1EEEvT1_
                                        ; -- End function
	.section	.AMDGPU.csdata,"",@progbits
; Kernel info:
; codeLenInByte = 0
; NumSgprs: 6
; NumVgprs: 0
; NumAgprs: 0
; TotalNumVgprs: 0
; ScratchSize: 0
; MemoryBound: 0
; FloatMode: 240
; IeeeMode: 1
; LDSByteSize: 0 bytes/workgroup (compile time only)
; SGPRBlocks: 0
; VGPRBlocks: 0
; NumSGPRsForWavesPerEU: 6
; NumVGPRsForWavesPerEU: 1
; AccumOffset: 4
; Occupancy: 8
; WaveLimiterHint : 0
; COMPUTE_PGM_RSRC2:SCRATCH_EN: 0
; COMPUTE_PGM_RSRC2:USER_SGPR: 2
; COMPUTE_PGM_RSRC2:TRAP_HANDLER: 0
; COMPUTE_PGM_RSRC2:TGID_X_EN: 1
; COMPUTE_PGM_RSRC2:TGID_Y_EN: 0
; COMPUTE_PGM_RSRC2:TGID_Z_EN: 0
; COMPUTE_PGM_RSRC2:TIDIG_COMP_CNT: 0
; COMPUTE_PGM_RSRC3_GFX90A:ACCUM_OFFSET: 0
; COMPUTE_PGM_RSRC3_GFX90A:TG_SPLIT: 0
	.section	.text._ZN7rocprim17ROCPRIM_400000_NS6detail17trampoline_kernelINS0_14default_configENS1_27scan_by_key_config_selectorIifEEZZNS1_16scan_by_key_implILNS1_25lookback_scan_determinismE0ELb1ES3_N6thrust23THRUST_200600_302600_NS6detail15normal_iteratorINS9_10device_ptrIiEEEENSB_INSC_IjEEEESE_fNS9_4plusIvEENS9_8equal_toIvEEfEE10hipError_tPvRmT2_T3_T4_T5_mT6_T7_P12ihipStream_tbENKUlT_T0_E_clISt17integral_constantIbLb0EES10_IbLb1EEEEDaSW_SX_EUlSW_E_NS1_11comp_targetILNS1_3genE5ELNS1_11target_archE942ELNS1_3gpuE9ELNS1_3repE0EEENS1_30default_config_static_selectorELNS0_4arch9wavefront6targetE1EEEvT1_,"axG",@progbits,_ZN7rocprim17ROCPRIM_400000_NS6detail17trampoline_kernelINS0_14default_configENS1_27scan_by_key_config_selectorIifEEZZNS1_16scan_by_key_implILNS1_25lookback_scan_determinismE0ELb1ES3_N6thrust23THRUST_200600_302600_NS6detail15normal_iteratorINS9_10device_ptrIiEEEENSB_INSC_IjEEEESE_fNS9_4plusIvEENS9_8equal_toIvEEfEE10hipError_tPvRmT2_T3_T4_T5_mT6_T7_P12ihipStream_tbENKUlT_T0_E_clISt17integral_constantIbLb0EES10_IbLb1EEEEDaSW_SX_EUlSW_E_NS1_11comp_targetILNS1_3genE5ELNS1_11target_archE942ELNS1_3gpuE9ELNS1_3repE0EEENS1_30default_config_static_selectorELNS0_4arch9wavefront6targetE1EEEvT1_,comdat
	.protected	_ZN7rocprim17ROCPRIM_400000_NS6detail17trampoline_kernelINS0_14default_configENS1_27scan_by_key_config_selectorIifEEZZNS1_16scan_by_key_implILNS1_25lookback_scan_determinismE0ELb1ES3_N6thrust23THRUST_200600_302600_NS6detail15normal_iteratorINS9_10device_ptrIiEEEENSB_INSC_IjEEEESE_fNS9_4plusIvEENS9_8equal_toIvEEfEE10hipError_tPvRmT2_T3_T4_T5_mT6_T7_P12ihipStream_tbENKUlT_T0_E_clISt17integral_constantIbLb0EES10_IbLb1EEEEDaSW_SX_EUlSW_E_NS1_11comp_targetILNS1_3genE5ELNS1_11target_archE942ELNS1_3gpuE9ELNS1_3repE0EEENS1_30default_config_static_selectorELNS0_4arch9wavefront6targetE1EEEvT1_ ; -- Begin function _ZN7rocprim17ROCPRIM_400000_NS6detail17trampoline_kernelINS0_14default_configENS1_27scan_by_key_config_selectorIifEEZZNS1_16scan_by_key_implILNS1_25lookback_scan_determinismE0ELb1ES3_N6thrust23THRUST_200600_302600_NS6detail15normal_iteratorINS9_10device_ptrIiEEEENSB_INSC_IjEEEESE_fNS9_4plusIvEENS9_8equal_toIvEEfEE10hipError_tPvRmT2_T3_T4_T5_mT6_T7_P12ihipStream_tbENKUlT_T0_E_clISt17integral_constantIbLb0EES10_IbLb1EEEEDaSW_SX_EUlSW_E_NS1_11comp_targetILNS1_3genE5ELNS1_11target_archE942ELNS1_3gpuE9ELNS1_3repE0EEENS1_30default_config_static_selectorELNS0_4arch9wavefront6targetE1EEEvT1_
	.globl	_ZN7rocprim17ROCPRIM_400000_NS6detail17trampoline_kernelINS0_14default_configENS1_27scan_by_key_config_selectorIifEEZZNS1_16scan_by_key_implILNS1_25lookback_scan_determinismE0ELb1ES3_N6thrust23THRUST_200600_302600_NS6detail15normal_iteratorINS9_10device_ptrIiEEEENSB_INSC_IjEEEESE_fNS9_4plusIvEENS9_8equal_toIvEEfEE10hipError_tPvRmT2_T3_T4_T5_mT6_T7_P12ihipStream_tbENKUlT_T0_E_clISt17integral_constantIbLb0EES10_IbLb1EEEEDaSW_SX_EUlSW_E_NS1_11comp_targetILNS1_3genE5ELNS1_11target_archE942ELNS1_3gpuE9ELNS1_3repE0EEENS1_30default_config_static_selectorELNS0_4arch9wavefront6targetE1EEEvT1_
	.p2align	8
	.type	_ZN7rocprim17ROCPRIM_400000_NS6detail17trampoline_kernelINS0_14default_configENS1_27scan_by_key_config_selectorIifEEZZNS1_16scan_by_key_implILNS1_25lookback_scan_determinismE0ELb1ES3_N6thrust23THRUST_200600_302600_NS6detail15normal_iteratorINS9_10device_ptrIiEEEENSB_INSC_IjEEEESE_fNS9_4plusIvEENS9_8equal_toIvEEfEE10hipError_tPvRmT2_T3_T4_T5_mT6_T7_P12ihipStream_tbENKUlT_T0_E_clISt17integral_constantIbLb0EES10_IbLb1EEEEDaSW_SX_EUlSW_E_NS1_11comp_targetILNS1_3genE5ELNS1_11target_archE942ELNS1_3gpuE9ELNS1_3repE0EEENS1_30default_config_static_selectorELNS0_4arch9wavefront6targetE1EEEvT1_,@function
_ZN7rocprim17ROCPRIM_400000_NS6detail17trampoline_kernelINS0_14default_configENS1_27scan_by_key_config_selectorIifEEZZNS1_16scan_by_key_implILNS1_25lookback_scan_determinismE0ELb1ES3_N6thrust23THRUST_200600_302600_NS6detail15normal_iteratorINS9_10device_ptrIiEEEENSB_INSC_IjEEEESE_fNS9_4plusIvEENS9_8equal_toIvEEfEE10hipError_tPvRmT2_T3_T4_T5_mT6_T7_P12ihipStream_tbENKUlT_T0_E_clISt17integral_constantIbLb0EES10_IbLb1EEEEDaSW_SX_EUlSW_E_NS1_11comp_targetILNS1_3genE5ELNS1_11target_archE942ELNS1_3gpuE9ELNS1_3repE0EEENS1_30default_config_static_selectorELNS0_4arch9wavefront6targetE1EEEvT1_: ; @_ZN7rocprim17ROCPRIM_400000_NS6detail17trampoline_kernelINS0_14default_configENS1_27scan_by_key_config_selectorIifEEZZNS1_16scan_by_key_implILNS1_25lookback_scan_determinismE0ELb1ES3_N6thrust23THRUST_200600_302600_NS6detail15normal_iteratorINS9_10device_ptrIiEEEENSB_INSC_IjEEEESE_fNS9_4plusIvEENS9_8equal_toIvEEfEE10hipError_tPvRmT2_T3_T4_T5_mT6_T7_P12ihipStream_tbENKUlT_T0_E_clISt17integral_constantIbLb0EES10_IbLb1EEEEDaSW_SX_EUlSW_E_NS1_11comp_targetILNS1_3genE5ELNS1_11target_archE942ELNS1_3gpuE9ELNS1_3repE0EEENS1_30default_config_static_selectorELNS0_4arch9wavefront6targetE1EEEvT1_
; %bb.0:
	s_load_dword s74, s[0:1], 0x20
	s_load_dwordx4 s[64:67], s[0:1], 0x28
	s_load_dwordx2 s[72:73], s[0:1], 0x38
	v_cmp_ne_u32_e64 s[4:5], 0, v0
	v_cmp_eq_u32_e64 s[52:53], 0, v0
	s_and_saveexec_b64 s[2:3], s[52:53]
	s_cbranch_execz .LBB1817_4
; %bb.1:
	s_mov_b64 s[8:9], exec
	v_mbcnt_lo_u32_b32 v1, s8, 0
	v_mbcnt_hi_u32_b32 v1, s9, v1
	v_cmp_eq_u32_e32 vcc, 0, v1
                                        ; implicit-def: $vgpr2
	s_and_saveexec_b64 s[6:7], vcc
	s_cbranch_execz .LBB1817_3
; %bb.2:
	s_load_dwordx2 s[10:11], s[0:1], 0x68
	s_bcnt1_i32_b64 s8, s[8:9]
	v_mov_b32_e32 v2, 0
	v_mov_b32_e32 v3, s8
	s_waitcnt lgkmcnt(0)
	global_atomic_add v2, v2, v3, s[10:11] sc0
.LBB1817_3:
	s_or_b64 exec, exec, s[6:7]
	s_waitcnt vmcnt(0)
	v_readfirstlane_b32 s6, v2
	v_mov_b32_e32 v2, 0
	s_nop 0
	v_add_u32_e32 v1, s6, v1
	ds_write_b32 v2, v1
.LBB1817_4:
	s_or_b64 exec, exec, s[2:3]
	s_load_dwordx8 s[56:63], s[0:1], 0x0
	s_load_dword s2, s[0:1], 0x40
	s_load_dwordx4 s[68:71], s[0:1], 0x48
	v_mov_b32_e32 v7, 0
	s_waitcnt lgkmcnt(0)
	s_lshl_b64 s[54:55], s[58:59], 2
	s_barrier
	ds_read_b32 v6, v7
	s_add_u32 s0, s56, s54
	s_addc_u32 s1, s57, s55
	s_add_u32 s6, s60, s54
	s_mul_i32 s3, s73, s2
	s_mul_hi_u32 s8, s72, s2
	s_addc_u32 s7, s61, s55
	s_add_i32 s3, s8, s3
	s_movk_i32 s8, 0x1700
	s_waitcnt lgkmcnt(0)
	v_mul_lo_u32 v2, v6, s8
	v_mov_b32_e32 v3, v7
	v_lshlrev_b64 v[10:11], 2, v[2:3]
	s_mul_i32 s2, s72, s2
	v_lshl_add_u64 v[2:3], s[6:7], 0, v[10:11]
	s_add_u32 s6, s68, -1
	v_readfirstlane_b32 s67, v6
	v_lshl_add_u64 v[6:7], s[2:3], 0, v[6:7]
	s_addc_u32 s7, s69, -1
	v_cmp_le_u64_e64 s[2:3], s[6:7], v[6:7]
	v_lshl_add_u64 v[4:5], s[0:1], 0, v[10:11]
	s_mov_b64 s[0:1], -1
	s_and_b64 vcc, exec, s[2:3]
	s_mul_i32 s33, s6, 0xffffe900
	s_barrier
	s_barrier
	s_cbranch_vccz .LBB1817_75
; %bb.5:
	flat_load_dword v1, v[4:5]
	s_add_i32 s60, s33, s66
	v_cmp_gt_u32_e32 vcc, s60, v0
	s_waitcnt vmcnt(0) lgkmcnt(0)
	v_mov_b32_e32 v6, v1
	s_and_saveexec_b64 s[0:1], vcc
	s_cbranch_execz .LBB1817_7
; %bb.6:
	v_lshlrev_b32_e32 v6, 2, v0
	v_mov_b32_e32 v7, 0
	v_lshl_add_u64 v[6:7], v[4:5], 0, v[6:7]
	flat_load_dword v6, v[6:7]
.LBB1817_7:
	s_or_b64 exec, exec, s[0:1]
	v_or_b32_e32 v7, 0x100, v0
	v_cmp_gt_u32_e64 s[6:7], s60, v7
	v_mov_b32_e32 v7, v1
	s_and_saveexec_b64 s[0:1], s[6:7]
	s_cbranch_execz .LBB1817_9
; %bb.8:
	v_lshlrev_b32_e32 v8, 2, v0
	v_mov_b32_e32 v9, 0
	v_lshl_add_u64 v[8:9], v[4:5], 0, v[8:9]
	flat_load_dword v7, v[8:9] offset:1024
.LBB1817_9:
	s_or_b64 exec, exec, s[0:1]
	v_or_b32_e32 v8, 0x200, v0
	v_cmp_gt_u32_e64 s[8:9], s60, v8
	v_mov_b32_e32 v8, v1
	s_and_saveexec_b64 s[0:1], s[8:9]
	s_cbranch_execz .LBB1817_11
; %bb.10:
	v_lshlrev_b32_e32 v8, 2, v0
	v_mov_b32_e32 v9, 0
	v_lshl_add_u64 v[8:9], v[4:5], 0, v[8:9]
	flat_load_dword v8, v[8:9] offset:2048
.LBB1817_11:
	;; [unrolled: 12-line block ×3, first 2 shown]
	s_or_b64 exec, exec, s[0:1]
	v_or_b32_e32 v12, 0x400, v0
	v_cmp_gt_u32_e64 s[12:13], s60, v12
	v_lshlrev_b32_e32 v30, 2, v12
	v_mov_b32_e32 v12, v1
	s_and_saveexec_b64 s[0:1], s[12:13]
	s_cbranch_execz .LBB1817_15
; %bb.14:
	v_mov_b32_e32 v31, 0
	v_lshl_add_u64 v[12:13], v[4:5], 0, v[30:31]
	flat_load_dword v12, v[12:13]
.LBB1817_15:
	s_or_b64 exec, exec, s[0:1]
	v_or_b32_e32 v13, 0x500, v0
	v_cmp_gt_u32_e64 s[14:15], s60, v13
	v_lshlrev_b32_e32 v32, 2, v13
	v_mov_b32_e32 v13, v1
	s_and_saveexec_b64 s[0:1], s[14:15]
	s_cbranch_execz .LBB1817_17
; %bb.16:
	v_mov_b32_e32 v33, 0
	v_lshl_add_u64 v[14:15], v[4:5], 0, v[32:33]
	flat_load_dword v13, v[14:15]
.LBB1817_17:
	;; [unrolled: 12-line block ×18, first 2 shown]
	s_or_b64 exec, exec, s[0:1]
	v_or_b32_e32 v31, 0x1600, v0
	v_cmp_gt_u32_e64 s[50:51], s60, v31
	v_lshlrev_b32_e32 v68, 2, v31
	s_and_saveexec_b64 s[0:1], s[50:51]
	s_cbranch_execz .LBB1817_51
; %bb.50:
	v_mov_b32_e32 v69, 0
	v_lshl_add_u64 v[66:67], v[4:5], 0, v[68:69]
	flat_load_dword v1, v[66:67]
.LBB1817_51:
	s_or_b64 exec, exec, s[0:1]
	v_lshlrev_b32_e32 v66, 2, v0
	s_waitcnt vmcnt(0) lgkmcnt(0)
	ds_write2st64_b32 v66, v6, v7 offset1:4
	ds_write2st64_b32 v66, v8, v9 offset0:8 offset1:12
	ds_write2st64_b32 v66, v12, v13 offset0:16 offset1:20
	;; [unrolled: 1-line block ×10, first 2 shown]
	ds_write_b32 v66, v1 offset:22528
	s_waitcnt lgkmcnt(0)
	s_barrier
	flat_load_dword v75, v[4:5]
	s_movk_i32 s0, 0x58
	v_mad_u32_u24 v76, v0, s0, v66
	s_movk_i32 s0, 0xffa8
	v_mad_i32_i24 v1, v0, s0, v76
	s_movk_i32 s0, 0xff
	v_cmp_ne_u32_e64 s[0:1], s0, v0
	ds_read_b32 v78, v76
	ds_read2_b32 v[28:29], v76 offset0:1 offset1:2
	ds_read2_b32 v[26:27], v76 offset0:3 offset1:4
	;; [unrolled: 1-line block ×11, first 2 shown]
	s_waitcnt lgkmcnt(0)
	ds_write_b32 v1, v78 offset:24576
	s_waitcnt lgkmcnt(0)
	s_barrier
	s_and_saveexec_b64 s[56:57], s[0:1]
	s_cbranch_execz .LBB1817_53
; %bb.52:
	s_waitcnt vmcnt(0)
	ds_read_b32 v75, v66 offset:24580
.LBB1817_53:
	s_or_b64 exec, exec, s[56:57]
	v_mov_b32_e32 v67, 0
	s_waitcnt lgkmcnt(0)
	s_barrier
	s_waitcnt lgkmcnt(0)
                                        ; implicit-def: $vgpr1
	s_and_saveexec_b64 s[0:1], vcc
	s_cbranch_execz .LBB1817_76
; %bb.54:
	v_lshl_add_u64 v[70:71], v[2:3], 0, v[66:67]
	flat_load_dword v1, v[70:71]
	s_waitcnt vmcnt(0) lgkmcnt(0)
	v_cvt_f32_u32_e32 v1, v1
	s_or_b64 exec, exec, s[0:1]
                                        ; implicit-def: $vgpr70
	s_and_saveexec_b64 s[0:1], s[6:7]
	s_cbranch_execnz .LBB1817_77
.LBB1817_55:
	s_or_b64 exec, exec, s[0:1]
                                        ; implicit-def: $vgpr71
	s_and_saveexec_b64 s[0:1], s[8:9]
	s_cbranch_execz .LBB1817_78
.LBB1817_56:
	v_mov_b32_e32 v67, 0
	v_lshl_add_u64 v[72:73], v[2:3], 0, v[66:67]
	flat_load_dword v31, v[72:73] offset:2048
	s_waitcnt vmcnt(0) lgkmcnt(0)
	v_cvt_f32_u32_e32 v71, v31
	s_or_b64 exec, exec, s[0:1]
                                        ; implicit-def: $vgpr67
	s_and_saveexec_b64 s[0:1], s[10:11]
	s_cbranch_execnz .LBB1817_79
.LBB1817_57:
	s_or_b64 exec, exec, s[0:1]
                                        ; implicit-def: $vgpr31
	s_and_saveexec_b64 s[0:1], s[12:13]
	s_cbranch_execz .LBB1817_80
.LBB1817_58:
	v_mov_b32_e32 v31, 0
	v_lshl_add_u64 v[30:31], v[2:3], 0, v[30:31]
	flat_load_dword v30, v[30:31]
	s_waitcnt vmcnt(0) lgkmcnt(0)
	v_cvt_f32_u32_e32 v31, v30
	s_or_b64 exec, exec, s[0:1]
                                        ; implicit-def: $vgpr30
	s_and_saveexec_b64 s[0:1], s[14:15]
	s_cbranch_execnz .LBB1817_81
.LBB1817_59:
	s_or_b64 exec, exec, s[0:1]
                                        ; implicit-def: $vgpr32
	s_and_saveexec_b64 s[0:1], s[16:17]
	s_cbranch_execz .LBB1817_82
.LBB1817_60:
	v_mov_b32_e32 v35, 0
	v_lshl_add_u64 v[32:33], v[2:3], 0, v[34:35]
	flat_load_dword v32, v[32:33]
	s_waitcnt vmcnt(0) lgkmcnt(0)
	v_cvt_f32_u32_e32 v32, v32
	s_or_b64 exec, exec, s[0:1]
                                        ; implicit-def: $vgpr33
	s_and_saveexec_b64 s[0:1], s[18:19]
	s_cbranch_execnz .LBB1817_83
.LBB1817_61:
	s_or_b64 exec, exec, s[0:1]
                                        ; implicit-def: $vgpr34
	s_and_saveexec_b64 s[0:1], s[20:21]
	s_cbranch_execz .LBB1817_84
.LBB1817_62:
	v_mov_b32_e32 v39, 0
	v_lshl_add_u64 v[34:35], v[2:3], 0, v[38:39]
	flat_load_dword v34, v[34:35]
	s_waitcnt vmcnt(0) lgkmcnt(0)
	v_cvt_f32_u32_e32 v34, v34
	s_or_b64 exec, exec, s[0:1]
                                        ; implicit-def: $vgpr35
	s_and_saveexec_b64 s[0:1], s[22:23]
	s_cbranch_execnz .LBB1817_85
.LBB1817_63:
	s_or_b64 exec, exec, s[0:1]
                                        ; implicit-def: $vgpr36
	s_and_saveexec_b64 s[0:1], s[24:25]
	s_cbranch_execz .LBB1817_86
.LBB1817_64:
	v_mov_b32_e32 v43, 0
	v_lshl_add_u64 v[36:37], v[2:3], 0, v[42:43]
	flat_load_dword v36, v[36:37]
	s_waitcnt vmcnt(0) lgkmcnt(0)
	v_cvt_f32_u32_e32 v36, v36
	s_or_b64 exec, exec, s[0:1]
                                        ; implicit-def: $vgpr37
	s_and_saveexec_b64 s[0:1], s[26:27]
	s_cbranch_execnz .LBB1817_87
.LBB1817_65:
	s_or_b64 exec, exec, s[0:1]
                                        ; implicit-def: $vgpr38
	s_and_saveexec_b64 s[0:1], s[28:29]
	s_cbranch_execz .LBB1817_88
.LBB1817_66:
	v_mov_b32_e32 v47, 0
	v_lshl_add_u64 v[38:39], v[2:3], 0, v[46:47]
	flat_load_dword v38, v[38:39]
	s_waitcnt vmcnt(0) lgkmcnt(0)
	v_cvt_f32_u32_e32 v38, v38
	s_or_b64 exec, exec, s[0:1]
                                        ; implicit-def: $vgpr39
	s_and_saveexec_b64 s[0:1], s[30:31]
	s_cbranch_execnz .LBB1817_89
.LBB1817_67:
	s_or_b64 exec, exec, s[0:1]
                                        ; implicit-def: $vgpr40
	s_and_saveexec_b64 s[0:1], s[34:35]
	s_cbranch_execz .LBB1817_90
.LBB1817_68:
	v_mov_b32_e32 v51, 0
	v_lshl_add_u64 v[40:41], v[2:3], 0, v[50:51]
	flat_load_dword v40, v[40:41]
	s_waitcnt vmcnt(0) lgkmcnt(0)
	v_cvt_f32_u32_e32 v40, v40
	s_or_b64 exec, exec, s[0:1]
                                        ; implicit-def: $vgpr41
	s_and_saveexec_b64 s[0:1], s[36:37]
	s_cbranch_execnz .LBB1817_91
.LBB1817_69:
	s_or_b64 exec, exec, s[0:1]
                                        ; implicit-def: $vgpr42
	s_and_saveexec_b64 s[0:1], s[38:39]
	s_cbranch_execz .LBB1817_92
.LBB1817_70:
	v_mov_b32_e32 v55, 0
	v_lshl_add_u64 v[42:43], v[2:3], 0, v[54:55]
	flat_load_dword v42, v[42:43]
	s_waitcnt vmcnt(0) lgkmcnt(0)
	v_cvt_f32_u32_e32 v42, v42
	s_or_b64 exec, exec, s[0:1]
                                        ; implicit-def: $vgpr43
	s_and_saveexec_b64 s[0:1], s[40:41]
	s_cbranch_execnz .LBB1817_93
.LBB1817_71:
	s_or_b64 exec, exec, s[0:1]
                                        ; implicit-def: $vgpr44
	s_and_saveexec_b64 s[0:1], s[42:43]
	s_cbranch_execz .LBB1817_94
.LBB1817_72:
	v_mov_b32_e32 v59, 0
	v_lshl_add_u64 v[44:45], v[2:3], 0, v[58:59]
	flat_load_dword v44, v[44:45]
	s_waitcnt vmcnt(0) lgkmcnt(0)
	v_cvt_f32_u32_e32 v44, v44
	s_or_b64 exec, exec, s[0:1]
                                        ; implicit-def: $vgpr45
	s_and_saveexec_b64 s[0:1], s[44:45]
	s_cbranch_execnz .LBB1817_95
.LBB1817_73:
	s_or_b64 exec, exec, s[0:1]
                                        ; implicit-def: $vgpr46
	s_and_saveexec_b64 s[0:1], s[46:47]
	s_cbranch_execz .LBB1817_96
.LBB1817_74:
	v_mov_b32_e32 v63, 0
	v_lshl_add_u64 v[46:47], v[2:3], 0, v[62:63]
	flat_load_dword v46, v[46:47]
	s_waitcnt vmcnt(0) lgkmcnt(0)
	v_cvt_f32_u32_e32 v46, v46
	s_or_b64 exec, exec, s[0:1]
                                        ; implicit-def: $vgpr47
	s_and_saveexec_b64 s[0:1], s[48:49]
	s_cbranch_execz .LBB1817_98
	s_branch .LBB1817_97
.LBB1817_75:
	s_mov_b64 s[10:11], 0
                                        ; implicit-def: $sgpr8_sgpr9
                                        ; implicit-def: $vgpr74
                                        ; implicit-def: $vgpr1
                                        ; implicit-def: $vgpr30
                                        ; implicit-def: $vgpr54
                                        ; implicit-def: $vgpr50
                                        ; implicit-def: $vgpr62
                                        ; implicit-def: $vgpr73
                                        ; implicit-def: $vgpr51
                                        ; implicit-def: $vgpr60
                                        ; implicit-def: $vgpr72
                                        ; implicit-def: $vgpr48
                                        ; implicit-def: $vgpr33
                                        ; implicit-def: $vgpr71
                                        ; implicit-def: $vgpr52
                                        ; implicit-def: $vgpr32
                                        ; implicit-def: $vgpr70
                                        ; implicit-def: $vgpr49
                                        ; implicit-def: $vgpr35
                                        ; implicit-def: $vgpr69
                                        ; implicit-def: $vgpr53
                                        ; implicit-def: $vgpr34
                                        ; implicit-def: $vgpr68
                                        ; implicit-def: $vgpr46
                                        ; implicit-def: $vgpr37
                                        ; implicit-def: $vgpr67
                                        ; implicit-def: $vgpr55
                                        ; implicit-def: $vgpr36
                                        ; implicit-def: $vgpr66
                                        ; implicit-def: $vgpr47
                                        ; implicit-def: $vgpr39
                                        ; implicit-def: $vgpr65
                                        ; implicit-def: $vgpr56
                                        ; implicit-def: $vgpr38
                                        ; implicit-def: $vgpr64
                                        ; implicit-def: $vgpr44
                                        ; implicit-def: $vgpr41
                                        ; implicit-def: $vgpr63
                                        ; implicit-def: $vgpr57
                                        ; implicit-def: $vgpr40
                                        ; implicit-def: $vgpr61
                                        ; implicit-def: $vgpr45
                                        ; implicit-def: $vgpr43
                                        ; implicit-def: $vgpr59
                                        ; implicit-def: $vgpr58
                                        ; implicit-def: $vgpr42
                                        ; implicit-def: $sgpr6
                                        ; implicit-def: $sgpr68
	s_and_b64 vcc, exec, s[0:1]
	v_lshlrev_b32_e32 v12, 2, v0
	s_cbranch_vccz .LBB1817_152
	s_branch .LBB1817_147
.LBB1817_76:
	s_or_b64 exec, exec, s[0:1]
                                        ; implicit-def: $vgpr70
	s_and_saveexec_b64 s[0:1], s[6:7]
	s_cbranch_execz .LBB1817_55
.LBB1817_77:
	v_mov_b32_e32 v67, 0
	v_lshl_add_u64 v[70:71], v[2:3], 0, v[66:67]
	flat_load_dword v31, v[70:71] offset:1024
	s_waitcnt vmcnt(0) lgkmcnt(0)
	v_cvt_f32_u32_e32 v70, v31
	s_or_b64 exec, exec, s[0:1]
                                        ; implicit-def: $vgpr71
	s_and_saveexec_b64 s[0:1], s[8:9]
	s_cbranch_execnz .LBB1817_56
.LBB1817_78:
	s_or_b64 exec, exec, s[0:1]
                                        ; implicit-def: $vgpr67
	s_and_saveexec_b64 s[0:1], s[10:11]
	s_cbranch_execz .LBB1817_57
.LBB1817_79:
	v_mov_b32_e32 v67, 0
	v_lshl_add_u64 v[72:73], v[2:3], 0, v[66:67]
	flat_load_dword v31, v[72:73] offset:3072
	s_waitcnt vmcnt(0) lgkmcnt(0)
	v_cvt_f32_u32_e32 v67, v31
	s_or_b64 exec, exec, s[0:1]
                                        ; implicit-def: $vgpr31
	s_and_saveexec_b64 s[0:1], s[12:13]
	s_cbranch_execnz .LBB1817_58
.LBB1817_80:
	s_or_b64 exec, exec, s[0:1]
                                        ; implicit-def: $vgpr30
	s_and_saveexec_b64 s[0:1], s[14:15]
	s_cbranch_execz .LBB1817_59
.LBB1817_81:
	v_mov_b32_e32 v33, 0
	v_lshl_add_u64 v[32:33], v[2:3], 0, v[32:33]
	flat_load_dword v30, v[32:33]
	s_waitcnt vmcnt(0) lgkmcnt(0)
	v_cvt_f32_u32_e32 v30, v30
	s_or_b64 exec, exec, s[0:1]
                                        ; implicit-def: $vgpr32
	s_and_saveexec_b64 s[0:1], s[16:17]
	s_cbranch_execnz .LBB1817_60
.LBB1817_82:
	s_or_b64 exec, exec, s[0:1]
                                        ; implicit-def: $vgpr33
	s_and_saveexec_b64 s[0:1], s[18:19]
	s_cbranch_execz .LBB1817_61
.LBB1817_83:
	v_mov_b32_e32 v37, 0
	v_lshl_add_u64 v[34:35], v[2:3], 0, v[36:37]
	flat_load_dword v33, v[34:35]
	s_waitcnt vmcnt(0) lgkmcnt(0)
	v_cvt_f32_u32_e32 v33, v33
	s_or_b64 exec, exec, s[0:1]
                                        ; implicit-def: $vgpr34
	s_and_saveexec_b64 s[0:1], s[20:21]
	s_cbranch_execnz .LBB1817_62
.LBB1817_84:
	s_or_b64 exec, exec, s[0:1]
                                        ; implicit-def: $vgpr35
	s_and_saveexec_b64 s[0:1], s[22:23]
	s_cbranch_execz .LBB1817_63
.LBB1817_85:
	v_mov_b32_e32 v41, 0
	v_lshl_add_u64 v[36:37], v[2:3], 0, v[40:41]
	flat_load_dword v35, v[36:37]
	s_waitcnt vmcnt(0) lgkmcnt(0)
	v_cvt_f32_u32_e32 v35, v35
	s_or_b64 exec, exec, s[0:1]
                                        ; implicit-def: $vgpr36
	s_and_saveexec_b64 s[0:1], s[24:25]
	s_cbranch_execnz .LBB1817_64
.LBB1817_86:
	s_or_b64 exec, exec, s[0:1]
                                        ; implicit-def: $vgpr37
	s_and_saveexec_b64 s[0:1], s[26:27]
	s_cbranch_execz .LBB1817_65
.LBB1817_87:
	v_mov_b32_e32 v45, 0
	v_lshl_add_u64 v[38:39], v[2:3], 0, v[44:45]
	flat_load_dword v37, v[38:39]
	s_waitcnt vmcnt(0) lgkmcnt(0)
	v_cvt_f32_u32_e32 v37, v37
	s_or_b64 exec, exec, s[0:1]
                                        ; implicit-def: $vgpr38
	s_and_saveexec_b64 s[0:1], s[28:29]
	s_cbranch_execnz .LBB1817_66
.LBB1817_88:
	s_or_b64 exec, exec, s[0:1]
                                        ; implicit-def: $vgpr39
	s_and_saveexec_b64 s[0:1], s[30:31]
	s_cbranch_execz .LBB1817_67
.LBB1817_89:
	v_mov_b32_e32 v49, 0
	v_lshl_add_u64 v[40:41], v[2:3], 0, v[48:49]
	flat_load_dword v39, v[40:41]
	s_waitcnt vmcnt(0) lgkmcnt(0)
	v_cvt_f32_u32_e32 v39, v39
	s_or_b64 exec, exec, s[0:1]
                                        ; implicit-def: $vgpr40
	s_and_saveexec_b64 s[0:1], s[34:35]
	s_cbranch_execnz .LBB1817_68
.LBB1817_90:
	s_or_b64 exec, exec, s[0:1]
                                        ; implicit-def: $vgpr41
	s_and_saveexec_b64 s[0:1], s[36:37]
	s_cbranch_execz .LBB1817_69
.LBB1817_91:
	v_mov_b32_e32 v53, 0
	v_lshl_add_u64 v[42:43], v[2:3], 0, v[52:53]
	flat_load_dword v41, v[42:43]
	s_waitcnt vmcnt(0) lgkmcnt(0)
	v_cvt_f32_u32_e32 v41, v41
	s_or_b64 exec, exec, s[0:1]
                                        ; implicit-def: $vgpr42
	s_and_saveexec_b64 s[0:1], s[38:39]
	s_cbranch_execnz .LBB1817_70
.LBB1817_92:
	s_or_b64 exec, exec, s[0:1]
                                        ; implicit-def: $vgpr43
	s_and_saveexec_b64 s[0:1], s[40:41]
	s_cbranch_execz .LBB1817_71
.LBB1817_93:
	v_mov_b32_e32 v57, 0
	v_lshl_add_u64 v[44:45], v[2:3], 0, v[56:57]
	flat_load_dword v43, v[44:45]
	s_waitcnt vmcnt(0) lgkmcnt(0)
	v_cvt_f32_u32_e32 v43, v43
	s_or_b64 exec, exec, s[0:1]
                                        ; implicit-def: $vgpr44
	s_and_saveexec_b64 s[0:1], s[42:43]
	s_cbranch_execnz .LBB1817_72
.LBB1817_94:
	s_or_b64 exec, exec, s[0:1]
                                        ; implicit-def: $vgpr45
	s_and_saveexec_b64 s[0:1], s[44:45]
	s_cbranch_execz .LBB1817_73
.LBB1817_95:
	v_mov_b32_e32 v61, 0
	v_lshl_add_u64 v[46:47], v[2:3], 0, v[60:61]
	flat_load_dword v45, v[46:47]
	s_waitcnt vmcnt(0) lgkmcnt(0)
	v_cvt_f32_u32_e32 v45, v45
	s_or_b64 exec, exec, s[0:1]
                                        ; implicit-def: $vgpr46
	s_and_saveexec_b64 s[0:1], s[46:47]
	s_cbranch_execnz .LBB1817_74
.LBB1817_96:
	s_or_b64 exec, exec, s[0:1]
                                        ; implicit-def: $vgpr47
	s_and_saveexec_b64 s[0:1], s[48:49]
	s_cbranch_execz .LBB1817_98
.LBB1817_97:
	v_mov_b32_e32 v65, 0
	v_lshl_add_u64 v[48:49], v[2:3], 0, v[64:65]
	flat_load_dword v47, v[48:49]
	s_waitcnt vmcnt(0) lgkmcnt(0)
	v_cvt_f32_u32_e32 v47, v47
.LBB1817_98:
	s_or_b64 exec, exec, s[0:1]
	v_mul_u32_u24_e32 v77, 23, v0
                                        ; implicit-def: $vgpr48
	s_and_saveexec_b64 s[0:1], s[50:51]
	s_cbranch_execz .LBB1817_100
; %bb.99:
	v_mov_b32_e32 v69, 0
	v_lshl_add_u64 v[48:49], v[2:3], 0, v[68:69]
	flat_load_dword v48, v[48:49]
	s_waitcnt vmcnt(0) lgkmcnt(0)
	v_cvt_f32_u32_e32 v48, v48
.LBB1817_100:
	s_or_b64 exec, exec, s[0:1]
	ds_write2st64_b32 v66, v1, v70 offset1:4
	ds_write2st64_b32 v66, v71, v67 offset0:8 offset1:12
	ds_write2st64_b32 v66, v31, v30 offset0:16 offset1:20
	;; [unrolled: 1-line block ×10, first 2 shown]
	ds_write_b32 v66, v48 offset:22528
	v_cmp_gt_u32_e32 vcc, s60, v77
	s_mov_b64 s[0:1], 0
	s_mov_b32 s68, 0
	v_mov_b32_e32 v1, 0
	v_mov_b32_e32 v30, 0
	s_mov_b64 s[10:11], 0
	v_mov_b32_e32 v54, 0
	v_mov_b32_e32 v50, 0
	;; [unrolled: 1-line block ×42, first 2 shown]
	s_waitcnt lgkmcnt(0)
	s_barrier
	s_waitcnt lgkmcnt(0)
                                        ; implicit-def: $sgpr8_sgpr9
                                        ; implicit-def: $vgpr74
	s_and_saveexec_b64 s[6:7], vcc
	s_cbranch_execz .LBB1817_146
; %bb.101:
	ds_read_b32 v30, v76
	v_add_u32_e32 v31, 1, v77
	v_cmp_ne_u32_e32 vcc, v78, v28
	v_mov_b32_e32 v32, s74
	v_mov_b32_e32 v54, 0
	v_cndmask_b32_e64 v1, 0, 1, vcc
	s_waitcnt lgkmcnt(0)
	v_cndmask_b32_e32 v50, v30, v32, vcc
	v_cmp_gt_u32_e32 vcc, s60, v31
	v_mov_b32_e32 v30, 0
	v_mov_b32_e32 v62, 0
	;; [unrolled: 1-line block ×41, first 2 shown]
                                        ; implicit-def: $sgpr12_sgpr13
                                        ; implicit-def: $vgpr74
	s_and_saveexec_b64 s[8:9], vcc
	s_cbranch_execz .LBB1817_145
; %bb.102:
	ds_read2_b32 v[30:31], v76 offset0:1 offset1:2
	v_add_u32_e32 v32, 2, v77
	v_cmp_ne_u32_e32 vcc, v28, v29
	v_mov_b32_e32 v28, s74
	s_mov_b64 s[14:15], 0
	v_cndmask_b32_e64 v51, 0, 1, vcc
	s_waitcnt lgkmcnt(0)
	v_cndmask_b32_e32 v48, v30, v28, vcc
	v_cmp_gt_u32_e32 vcc, s60, v32
	v_mov_b32_e32 v30, 0
	v_mov_b32_e32 v54, 0
	;; [unrolled: 1-line block ×40, first 2 shown]
                                        ; implicit-def: $sgpr12_sgpr13
                                        ; implicit-def: $vgpr74
	s_and_saveexec_b64 s[10:11], vcc
	s_cbranch_execz .LBB1817_144
; %bb.103:
	v_add_u32_e32 v28, 3, v77
	v_cmp_ne_u32_e32 vcc, v29, v26
	v_mov_b32_e32 v29, s74
	v_mov_b32_e32 v30, 0
	v_cndmask_b32_e64 v52, 0, 1, vcc
	v_cndmask_b32_e32 v49, v31, v29, vcc
	v_cmp_gt_u32_e32 vcc, s60, v28
	v_mov_b32_e32 v54, 0
	v_mov_b32_e32 v62, 0
	;; [unrolled: 1-line block ×37, first 2 shown]
                                        ; implicit-def: $sgpr16_sgpr17
                                        ; implicit-def: $vgpr74
	s_and_saveexec_b64 s[12:13], vcc
	s_cbranch_execz .LBB1817_143
; %bb.104:
	ds_read2_b32 v[28:29], v76 offset0:3 offset1:4
	v_add_u32_e32 v30, 4, v77
	v_cmp_ne_u32_e32 vcc, v26, v27
	v_mov_b32_e32 v26, s74
	s_mov_b64 s[18:19], 0
	v_cndmask_b32_e64 v53, 0, 1, vcc
	s_waitcnt lgkmcnt(0)
	v_cndmask_b32_e32 v46, v28, v26, vcc
	v_cmp_gt_u32_e32 vcc, s60, v30
	v_mov_b32_e32 v30, 0
	v_mov_b32_e32 v54, 0
	;; [unrolled: 1-line block ×36, first 2 shown]
                                        ; implicit-def: $sgpr16_sgpr17
                                        ; implicit-def: $vgpr74
	s_and_saveexec_b64 s[14:15], vcc
	s_cbranch_execz .LBB1817_142
; %bb.105:
	v_add_u32_e32 v26, 5, v77
	v_cmp_ne_u32_e32 vcc, v27, v24
	v_mov_b32_e32 v27, s74
	v_mov_b32_e32 v30, 0
	v_cndmask_b32_e64 v55, 0, 1, vcc
	v_cndmask_b32_e32 v47, v29, v27, vcc
	v_cmp_gt_u32_e32 vcc, s60, v26
	v_mov_b32_e32 v54, 0
	v_mov_b32_e32 v62, 0
	;; [unrolled: 1-line block ×33, first 2 shown]
                                        ; implicit-def: $sgpr20_sgpr21
                                        ; implicit-def: $vgpr74
	s_and_saveexec_b64 s[16:17], vcc
	s_cbranch_execz .LBB1817_141
; %bb.106:
	ds_read2_b32 v[26:27], v76 offset0:5 offset1:6
	v_add_u32_e32 v28, 6, v77
	v_cmp_ne_u32_e32 vcc, v24, v25
	v_mov_b32_e32 v24, s74
	s_mov_b64 s[22:23], 0
	v_cndmask_b32_e64 v56, 0, 1, vcc
	s_waitcnt lgkmcnt(0)
	v_cndmask_b32_e32 v44, v26, v24, vcc
	v_cmp_gt_u32_e32 vcc, s60, v28
	v_mov_b32_e32 v30, 0
	v_mov_b32_e32 v54, 0
	;; [unrolled: 1-line block ×32, first 2 shown]
                                        ; implicit-def: $sgpr20_sgpr21
                                        ; implicit-def: $vgpr74
	s_and_saveexec_b64 s[18:19], vcc
	s_cbranch_execz .LBB1817_140
; %bb.107:
	v_add_u32_e32 v24, 7, v77
	v_cmp_ne_u32_e32 vcc, v25, v22
	v_mov_b32_e32 v25, s74
	v_mov_b32_e32 v30, 0
	v_cndmask_b32_e64 v57, 0, 1, vcc
	v_cndmask_b32_e32 v45, v27, v25, vcc
	v_cmp_gt_u32_e32 vcc, s60, v24
	v_mov_b32_e32 v54, 0
	v_mov_b32_e32 v62, 0
	;; [unrolled: 1-line block ×29, first 2 shown]
                                        ; implicit-def: $sgpr24_sgpr25
                                        ; implicit-def: $vgpr74
	s_and_saveexec_b64 s[20:21], vcc
	s_cbranch_execz .LBB1817_139
; %bb.108:
	ds_read2_b32 v[24:25], v76 offset0:7 offset1:8
	v_add_u32_e32 v26, 8, v77
	v_cmp_ne_u32_e32 vcc, v22, v23
	v_mov_b32_e32 v22, s74
	s_mov_b64 s[26:27], 0
	v_cndmask_b32_e64 v58, 0, 1, vcc
	s_waitcnt lgkmcnt(0)
	v_cndmask_b32_e32 v42, v24, v22, vcc
	v_cmp_gt_u32_e32 vcc, s60, v26
	v_mov_b32_e32 v30, 0
	v_mov_b32_e32 v54, 0
	;; [unrolled: 1-line block ×28, first 2 shown]
                                        ; implicit-def: $sgpr24_sgpr25
                                        ; implicit-def: $vgpr74
	s_and_saveexec_b64 s[22:23], vcc
	s_cbranch_execz .LBB1817_138
; %bb.109:
	v_add_u32_e32 v22, 9, v77
	v_cmp_ne_u32_e32 vcc, v23, v20
	v_mov_b32_e32 v23, s74
	v_mov_b32_e32 v30, 0
	v_cndmask_b32_e64 v59, 0, 1, vcc
	v_cndmask_b32_e32 v43, v25, v23, vcc
	v_cmp_gt_u32_e32 vcc, s60, v22
	v_mov_b32_e32 v54, 0
	v_mov_b32_e32 v62, 0
	;; [unrolled: 1-line block ×25, first 2 shown]
                                        ; implicit-def: $sgpr28_sgpr29
                                        ; implicit-def: $vgpr74
	s_and_saveexec_b64 s[24:25], vcc
	s_cbranch_execz .LBB1817_137
; %bb.110:
	ds_read2_b32 v[22:23], v76 offset0:9 offset1:10
	v_add_u32_e32 v24, 10, v77
	v_cmp_ne_u32_e32 vcc, v20, v21
	v_mov_b32_e32 v20, s74
	s_mov_b64 s[30:31], 0
	v_cndmask_b32_e64 v61, 0, 1, vcc
	s_waitcnt lgkmcnt(0)
	v_cndmask_b32_e32 v40, v22, v20, vcc
	v_cmp_gt_u32_e32 vcc, s60, v24
	v_mov_b32_e32 v30, 0
	v_mov_b32_e32 v54, 0
	;; [unrolled: 1-line block ×24, first 2 shown]
                                        ; implicit-def: $sgpr28_sgpr29
                                        ; implicit-def: $vgpr74
	s_and_saveexec_b64 s[26:27], vcc
	s_cbranch_execz .LBB1817_136
; %bb.111:
	v_add_u32_e32 v20, 11, v77
	v_cmp_ne_u32_e32 vcc, v21, v18
	v_mov_b32_e32 v21, s74
	v_mov_b32_e32 v30, 0
	v_cndmask_b32_e64 v63, 0, 1, vcc
	v_cndmask_b32_e32 v41, v23, v21, vcc
	v_cmp_gt_u32_e32 vcc, s60, v20
	v_mov_b32_e32 v54, 0
	v_mov_b32_e32 v62, 0
	;; [unrolled: 1-line block ×21, first 2 shown]
                                        ; implicit-def: $sgpr34_sgpr35
                                        ; implicit-def: $vgpr74
	s_and_saveexec_b64 s[28:29], vcc
	s_cbranch_execz .LBB1817_135
; %bb.112:
	ds_read2_b32 v[20:21], v76 offset0:11 offset1:12
	v_add_u32_e32 v22, 12, v77
	v_cmp_ne_u32_e32 vcc, v18, v19
	v_mov_b32_e32 v18, s74
	s_mov_b64 s[36:37], 0
	v_cndmask_b32_e64 v64, 0, 1, vcc
	s_waitcnt lgkmcnt(0)
	v_cndmask_b32_e32 v38, v20, v18, vcc
	v_cmp_gt_u32_e32 vcc, s60, v22
	v_mov_b32_e32 v30, 0
	v_mov_b32_e32 v54, 0
	;; [unrolled: 1-line block ×20, first 2 shown]
                                        ; implicit-def: $sgpr34_sgpr35
                                        ; implicit-def: $vgpr74
	s_and_saveexec_b64 s[30:31], vcc
	s_cbranch_execz .LBB1817_134
; %bb.113:
	v_add_u32_e32 v18, 13, v77
	v_cmp_ne_u32_e32 vcc, v19, v16
	v_mov_b32_e32 v19, s74
	v_mov_b32_e32 v30, 0
	v_cndmask_b32_e64 v65, 0, 1, vcc
	v_cndmask_b32_e32 v39, v21, v19, vcc
	v_cmp_gt_u32_e32 vcc, s60, v18
	v_mov_b32_e32 v54, 0
	v_mov_b32_e32 v62, 0
	;; [unrolled: 1-line block ×17, first 2 shown]
                                        ; implicit-def: $sgpr38_sgpr39
                                        ; implicit-def: $vgpr74
	s_and_saveexec_b64 s[34:35], vcc
	s_cbranch_execz .LBB1817_133
; %bb.114:
	ds_read2_b32 v[18:19], v76 offset0:13 offset1:14
	v_add_u32_e32 v20, 14, v77
	v_cmp_ne_u32_e32 vcc, v16, v17
	v_mov_b32_e32 v16, s74
	s_mov_b64 s[40:41], 0
	v_cndmask_b32_e64 v66, 0, 1, vcc
	s_waitcnt lgkmcnt(0)
	v_cndmask_b32_e32 v36, v18, v16, vcc
	v_cmp_gt_u32_e32 vcc, s60, v20
	v_mov_b32_e32 v30, 0
	v_mov_b32_e32 v54, 0
	;; [unrolled: 1-line block ×16, first 2 shown]
                                        ; implicit-def: $sgpr38_sgpr39
                                        ; implicit-def: $vgpr74
	s_and_saveexec_b64 s[36:37], vcc
	s_cbranch_execz .LBB1817_132
; %bb.115:
	v_add_u32_e32 v16, 15, v77
	v_cmp_ne_u32_e32 vcc, v17, v14
	v_mov_b32_e32 v17, s74
	v_mov_b32_e32 v30, 0
	v_cndmask_b32_e64 v67, 0, 1, vcc
	v_cndmask_b32_e32 v37, v19, v17, vcc
	v_cmp_gt_u32_e32 vcc, s60, v16
	v_mov_b32_e32 v54, 0
	v_mov_b32_e32 v62, 0
	;; [unrolled: 1-line block ×13, first 2 shown]
                                        ; implicit-def: $sgpr42_sgpr43
                                        ; implicit-def: $vgpr74
	s_and_saveexec_b64 s[38:39], vcc
	s_cbranch_execz .LBB1817_131
; %bb.116:
	ds_read2_b32 v[16:17], v76 offset0:15 offset1:16
	v_add_u32_e32 v18, 16, v77
	v_cmp_ne_u32_e32 vcc, v14, v15
	v_mov_b32_e32 v14, s74
	s_mov_b64 s[44:45], 0
	v_cndmask_b32_e64 v68, 0, 1, vcc
	s_waitcnt lgkmcnt(0)
	v_cndmask_b32_e32 v34, v16, v14, vcc
	v_cmp_gt_u32_e32 vcc, s60, v18
	v_mov_b32_e32 v30, 0
	v_mov_b32_e32 v54, 0
	;; [unrolled: 1-line block ×12, first 2 shown]
                                        ; implicit-def: $sgpr42_sgpr43
                                        ; implicit-def: $vgpr74
	s_and_saveexec_b64 s[40:41], vcc
	s_cbranch_execz .LBB1817_130
; %bb.117:
	v_add_u32_e32 v14, 17, v77
	v_cmp_ne_u32_e32 vcc, v15, v12
	v_mov_b32_e32 v15, s74
	v_mov_b32_e32 v30, 0
	v_cndmask_b32_e64 v69, 0, 1, vcc
	v_cndmask_b32_e32 v35, v17, v15, vcc
	v_cmp_gt_u32_e32 vcc, s60, v14
	v_mov_b32_e32 v54, 0
	v_mov_b32_e32 v62, 0
	;; [unrolled: 1-line block ×9, first 2 shown]
                                        ; implicit-def: $sgpr46_sgpr47
                                        ; implicit-def: $vgpr74
	s_and_saveexec_b64 s[42:43], vcc
	s_cbranch_execz .LBB1817_129
; %bb.118:
	ds_read2_b32 v[14:15], v76 offset0:17 offset1:18
	v_add_u32_e32 v16, 18, v77
	v_cmp_ne_u32_e32 vcc, v12, v13
	v_mov_b32_e32 v12, s74
	s_mov_b64 s[48:49], 0
	v_cndmask_b32_e64 v70, 0, 1, vcc
	s_waitcnt lgkmcnt(0)
	v_cndmask_b32_e32 v32, v14, v12, vcc
	v_cmp_gt_u32_e32 vcc, s60, v16
	v_mov_b32_e32 v30, 0
	v_mov_b32_e32 v54, 0
	v_mov_b32_e32 v62, 0
	v_mov_b32_e32 v73, 0
	v_mov_b32_e32 v60, 0
	v_mov_b32_e32 v72, 0
	v_mov_b32_e32 v33, 0
	v_mov_b32_e32 v71, 0
                                        ; implicit-def: $sgpr46_sgpr47
                                        ; implicit-def: $vgpr74
	s_and_saveexec_b64 s[44:45], vcc
	s_cbranch_execz .LBB1817_128
; %bb.119:
	v_add_u32_e32 v12, 19, v77
	v_cmp_ne_u32_e32 vcc, v13, v8
	v_mov_b32_e32 v13, s74
	v_mov_b32_e32 v30, 0
	v_cndmask_b32_e64 v71, 0, 1, vcc
	v_cndmask_b32_e32 v33, v15, v13, vcc
	v_cmp_gt_u32_e32 vcc, s60, v12
	v_mov_b32_e32 v54, 0
	v_mov_b32_e32 v62, 0
	;; [unrolled: 1-line block ×5, first 2 shown]
                                        ; implicit-def: $sgpr50_sgpr51
                                        ; implicit-def: $vgpr74
	s_and_saveexec_b64 s[46:47], vcc
	s_cbranch_execz .LBB1817_127
; %bb.120:
	ds_read2_b32 v[12:13], v76 offset0:19 offset1:20
	v_add_u32_e32 v14, 20, v77
	v_cmp_ne_u32_e32 vcc, v8, v9
	v_mov_b32_e32 v8, s74
	s_mov_b64 s[56:57], 0
	v_cndmask_b32_e64 v72, 0, 1, vcc
	s_waitcnt lgkmcnt(0)
	v_cndmask_b32_e32 v60, v12, v8, vcc
	v_cmp_gt_u32_e32 vcc, s60, v14
	v_mov_b32_e32 v30, 0
	v_mov_b32_e32 v54, 0
	;; [unrolled: 1-line block ×4, first 2 shown]
                                        ; implicit-def: $sgpr50_sgpr51
                                        ; implicit-def: $vgpr74
	s_and_saveexec_b64 s[48:49], vcc
	s_cbranch_execz .LBB1817_126
; %bb.121:
	v_add_u32_e32 v8, 21, v77
	v_cmp_ne_u32_e32 vcc, v9, v6
	v_mov_b32_e32 v9, s74
	v_mov_b32_e32 v30, 0
	v_cndmask_b32_e64 v73, 0, 1, vcc
	v_cndmask_b32_e32 v62, v13, v9, vcc
	v_cmp_gt_u32_e32 vcc, s60, v8
	v_mov_b32_e32 v54, 0
                                        ; implicit-def: $sgpr58_sgpr59
                                        ; implicit-def: $vgpr74
	s_and_saveexec_b64 s[50:51], vcc
	s_cbranch_execz .LBB1817_125
; %bb.122:
	ds_read2_b32 v[8:9], v76 offset0:21 offset1:22
	v_add_u32_e32 v12, 22, v77
	v_cmp_ne_u32_e32 vcc, v6, v7
	v_mov_b32_e32 v6, s74
                                        ; implicit-def: $sgpr58_sgpr59
                                        ; implicit-def: $vgpr74
	s_nop 0
	v_cndmask_b32_e64 v54, 0, 1, vcc
	s_waitcnt lgkmcnt(0)
	v_cndmask_b32_e32 v30, v8, v6, vcc
	v_cmp_gt_u32_e32 vcc, s60, v12
	s_and_saveexec_b64 s[60:61], vcc
	s_xor_b64 s[60:61], exec, s[60:61]
	s_cbranch_execz .LBB1817_124
; %bb.123:
	v_mov_b32_e32 v6, s74
	s_waitcnt vmcnt(0)
	v_cmp_ne_u32_e32 vcc, v7, v75
	s_mov_b64 s[56:57], exec
	s_and_b64 s[58:59], vcc, exec
	v_cndmask_b32_e32 v74, v9, v6, vcc
.LBB1817_124:
	s_or_b64 exec, exec, s[60:61]
	s_and_b64 s[58:59], s[58:59], exec
	s_and_b64 s[56:57], s[56:57], exec
.LBB1817_125:
	s_or_b64 exec, exec, s[50:51]
	s_and_b64 s[50:51], s[58:59], exec
	s_and_b64 s[56:57], s[56:57], exec
.LBB1817_126:
	s_or_b64 exec, exec, s[48:49]
	s_and_b64 s[50:51], s[50:51], exec
	s_and_b64 s[48:49], s[56:57], exec
.LBB1817_127:
	s_or_b64 exec, exec, s[46:47]
	s_and_b64 s[46:47], s[50:51], exec
	s_and_b64 s[48:49], s[48:49], exec
.LBB1817_128:
	s_or_b64 exec, exec, s[44:45]
	s_and_b64 s[46:47], s[46:47], exec
	s_and_b64 s[44:45], s[48:49], exec
.LBB1817_129:
	s_or_b64 exec, exec, s[42:43]
	s_and_b64 s[42:43], s[46:47], exec
	s_and_b64 s[44:45], s[44:45], exec
.LBB1817_130:
	s_or_b64 exec, exec, s[40:41]
	s_and_b64 s[42:43], s[42:43], exec
	s_and_b64 s[40:41], s[44:45], exec
.LBB1817_131:
	s_or_b64 exec, exec, s[38:39]
	s_and_b64 s[38:39], s[42:43], exec
	s_and_b64 s[40:41], s[40:41], exec
.LBB1817_132:
	s_or_b64 exec, exec, s[36:37]
	s_and_b64 s[38:39], s[38:39], exec
	s_and_b64 s[36:37], s[40:41], exec
.LBB1817_133:
	s_or_b64 exec, exec, s[34:35]
	s_and_b64 s[34:35], s[38:39], exec
	s_and_b64 s[36:37], s[36:37], exec
.LBB1817_134:
	s_or_b64 exec, exec, s[30:31]
	s_and_b64 s[34:35], s[34:35], exec
	s_and_b64 s[30:31], s[36:37], exec
.LBB1817_135:
	s_or_b64 exec, exec, s[28:29]
	s_and_b64 s[28:29], s[34:35], exec
	s_and_b64 s[30:31], s[30:31], exec
.LBB1817_136:
	s_or_b64 exec, exec, s[26:27]
	s_and_b64 s[28:29], s[28:29], exec
	s_and_b64 s[26:27], s[30:31], exec
.LBB1817_137:
	s_or_b64 exec, exec, s[24:25]
	s_and_b64 s[24:25], s[28:29], exec
	s_and_b64 s[26:27], s[26:27], exec
.LBB1817_138:
	s_or_b64 exec, exec, s[22:23]
	s_and_b64 s[24:25], s[24:25], exec
	s_and_b64 s[22:23], s[26:27], exec
.LBB1817_139:
	s_or_b64 exec, exec, s[20:21]
	s_and_b64 s[20:21], s[24:25], exec
	s_and_b64 s[22:23], s[22:23], exec
.LBB1817_140:
	s_or_b64 exec, exec, s[18:19]
	s_and_b64 s[20:21], s[20:21], exec
	s_and_b64 s[18:19], s[22:23], exec
.LBB1817_141:
	s_or_b64 exec, exec, s[16:17]
	s_and_b64 s[16:17], s[20:21], exec
	s_and_b64 s[18:19], s[18:19], exec
.LBB1817_142:
	s_or_b64 exec, exec, s[14:15]
	s_and_b64 s[16:17], s[16:17], exec
	s_and_b64 s[14:15], s[18:19], exec
.LBB1817_143:
	s_or_b64 exec, exec, s[12:13]
	s_and_b64 s[12:13], s[16:17], exec
	s_and_b64 s[14:15], s[14:15], exec
.LBB1817_144:
	s_or_b64 exec, exec, s[10:11]
	s_and_b64 s[12:13], s[12:13], exec
	s_and_b64 s[10:11], s[14:15], exec
.LBB1817_145:
	s_or_b64 exec, exec, s[8:9]
	s_and_b64 s[8:9], s[12:13], exec
	s_and_b64 s[10:11], s[10:11], exec
.LBB1817_146:
	s_or_b64 exec, exec, s[6:7]
	s_mov_b32 s6, 0
	s_and_b64 vcc, exec, s[0:1]
	v_lshlrev_b32_e32 v12, 2, v0
	s_cbranch_vccz .LBB1817_152
.LBB1817_147:
	v_mov_b32_e32 v13, 0
	v_lshl_add_u64 v[6:7], v[4:5], 0, v[12:13]
	v_add_co_u32_e32 v8, vcc, 0x1000, v6
	s_movk_i32 s0, 0x58
	s_nop 0
	v_addc_co_u32_e32 v9, vcc, 0, v7, vcc
	flat_load_dword v1, v[6:7]
	flat_load_dword v16, v[6:7] offset:1024
	flat_load_dword v17, v[6:7] offset:2048
	;; [unrolled: 1-line block ×3, first 2 shown]
	flat_load_dword v19, v[8:9]
	flat_load_dword v20, v[8:9] offset:1024
	flat_load_dword v21, v[8:9] offset:2048
	flat_load_dword v22, v[8:9] offset:3072
	v_add_co_u32_e32 v8, vcc, 0x2000, v6
	s_movk_i32 s10, 0x1000
	s_nop 0
	v_addc_co_u32_e32 v9, vcc, 0, v7, vcc
	v_add_co_u32_e32 v14, vcc, 0x3000, v6
	s_movk_i32 s9, 0x2000
	s_nop 0
	v_addc_co_u32_e32 v15, vcc, 0, v7, vcc
	flat_load_dword v23, v[8:9]
	flat_load_dword v24, v[8:9] offset:1024
	flat_load_dword v25, v[8:9] offset:2048
	;; [unrolled: 1-line block ×3, first 2 shown]
	flat_load_dword v27, v[14:15]
	flat_load_dword v28, v[14:15] offset:1024
	flat_load_dword v29, v[14:15] offset:2048
	;; [unrolled: 1-line block ×3, first 2 shown]
	v_add_co_u32_e32 v8, vcc, 0x4000, v6
	s_movk_i32 s8, 0x3000
	s_nop 0
	v_addc_co_u32_e32 v9, vcc, 0, v7, vcc
	v_add_co_u32_e32 v6, vcc, 0x5000, v6
	s_movk_i32 s7, 0x4000
	s_nop 0
	v_addc_co_u32_e32 v7, vcc, 0, v7, vcc
	flat_load_dword v14, v[8:9]
	flat_load_dword v15, v[8:9] offset:1024
	flat_load_dword v31, v[8:9] offset:2048
	;; [unrolled: 1-line block ×3, first 2 shown]
	flat_load_dword v33, v[6:7]
	flat_load_dword v34, v[6:7] offset:1024
	flat_load_dword v35, v[6:7] offset:2048
	v_add_co_u32_e32 v4, vcc, 0x5000, v4
	s_movk_i32 s6, 0x5000
	s_nop 0
	v_addc_co_u32_e32 v5, vcc, 0, v5, vcc
	s_waitcnt vmcnt(0) lgkmcnt(0)
	ds_write2st64_b32 v12, v1, v16 offset1:4
	ds_write2st64_b32 v12, v17, v18 offset0:8 offset1:12
	ds_write2st64_b32 v12, v19, v20 offset0:16 offset1:20
	;; [unrolled: 1-line block ×10, first 2 shown]
	ds_write_b32 v12, v35 offset:22528
	s_waitcnt lgkmcnt(0)
	s_barrier
	flat_load_dword v74, v[4:5] offset:3072
	v_mad_u32_u24 v1, v0, s0, v12
	s_movk_i32 s0, 0xffa8
	v_mad_i32_i24 v30, v0, s0, v1
	s_movk_i32 s0, 0xff
	v_cmp_ne_u32_e32 vcc, s0, v0
	ds_read_b32 v50, v1
	ds_read2_b32 v[28:29], v1 offset0:1 offset1:2
	ds_read2_b32 v[26:27], v1 offset0:3 offset1:4
	;; [unrolled: 1-line block ×11, first 2 shown]
	s_waitcnt lgkmcnt(0)
	ds_write_b32 v30, v50 offset:24576
	s_waitcnt lgkmcnt(0)
	s_barrier
	s_and_saveexec_b64 s[0:1], vcc
	s_cbranch_execz .LBB1817_149
; %bb.148:
	s_waitcnt vmcnt(0)
	ds_read_b32 v74, v12 offset:24580
.LBB1817_149:
	s_or_b64 exec, exec, s[0:1]
	v_lshl_add_u64 v[2:3], v[2:3], 0, v[12:13]
	v_add_co_u32_e32 v30, vcc, s10, v2
	s_waitcnt lgkmcnt(0)
	s_nop 0
	v_addc_co_u32_e32 v31, vcc, 0, v3, vcc
	s_barrier
	flat_load_dword v13, v[2:3]
	flat_load_dword v34, v[2:3] offset:1024
	flat_load_dword v35, v[2:3] offset:2048
	;; [unrolled: 1-line block ×3, first 2 shown]
	flat_load_dword v37, v[30:31]
	flat_load_dword v38, v[30:31] offset:1024
	flat_load_dword v39, v[30:31] offset:2048
	;; [unrolled: 1-line block ×3, first 2 shown]
	v_add_co_u32_e32 v30, vcc, s9, v2
	v_cmp_eq_u32_e64 s[0:1], v50, v28
	s_nop 0
	v_addc_co_u32_e32 v31, vcc, 0, v3, vcc
	v_add_co_u32_e32 v32, vcc, s8, v2
	s_nop 1
	v_addc_co_u32_e32 v33, vcc, 0, v3, vcc
	flat_load_dword v41, v[30:31]
	flat_load_dword v42, v[30:31] offset:1024
	flat_load_dword v43, v[30:31] offset:2048
	;; [unrolled: 1-line block ×3, first 2 shown]
	flat_load_dword v45, v[32:33]
	flat_load_dword v46, v[32:33] offset:1024
	flat_load_dword v47, v[32:33] offset:2048
	;; [unrolled: 1-line block ×3, first 2 shown]
	v_add_co_u32_e32 v30, vcc, s7, v2
	s_nop 1
	v_addc_co_u32_e32 v31, vcc, 0, v3, vcc
	v_add_co_u32_e32 v2, vcc, s6, v2
	s_nop 1
	v_addc_co_u32_e32 v3, vcc, 0, v3, vcc
	flat_load_dword v32, v[30:31]
	flat_load_dword v33, v[30:31] offset:1024
	flat_load_dword v49, v[30:31] offset:2048
	;; [unrolled: 1-line block ×3, first 2 shown]
	flat_load_dword v52, v[2:3]
	flat_load_dword v53, v[2:3] offset:1024
	flat_load_dword v54, v[2:3] offset:2048
	v_cmp_ne_u32_e32 vcc, v50, v28
	v_mov_b32_e32 v50, s74
	s_waitcnt vmcnt(0) lgkmcnt(0)
	v_cvt_f32_u32_e32 v2, v13
	v_cvt_f32_u32_e32 v3, v34
	;; [unrolled: 1-line block ×8, first 2 shown]
	ds_write2st64_b32 v12, v2, v3 offset1:4
	ds_write2st64_b32 v12, v13, v30 offset0:8 offset1:12
	v_cvt_f32_u32_e32 v37, v41
	v_cvt_f32_u32_e32 v38, v42
	;; [unrolled: 1-line block ×15, first 2 shown]
	ds_write2st64_b32 v12, v31, v34 offset0:16 offset1:20
	ds_write2st64_b32 v12, v35, v36 offset0:24 offset1:28
	;; [unrolled: 1-line block ×9, first 2 shown]
	ds_write_b32 v12, v45 offset:22528
	s_waitcnt lgkmcnt(0)
	s_barrier
	ds_read2_b32 v[48:49], v1 offset0:1 offset1:2
	ds_read2_b32 v[46:47], v1 offset0:3 offset1:4
	;; [unrolled: 1-line block ×11, first 2 shown]
	s_and_saveexec_b64 s[6:7], s[0:1]
	s_cbranch_execz .LBB1817_151
; %bb.150:
	ds_read_b32 v50, v1
.LBB1817_151:
	s_or_b64 exec, exec, s[6:7]
	v_cmp_ne_u32_e64 s[8:9], v27, v24
	v_cmp_ne_u32_e64 s[42:43], v7, v4
	v_cmp_ne_u32_e64 s[44:45], v4, v5
	v_mov_b32_e32 v4, s74
	v_cndmask_b32_e64 v1, 0, 1, vcc
	v_cmp_ne_u32_e32 vcc, v28, v29
	v_cmp_ne_u32_e64 s[0:1], v29, v26
	v_cmp_ne_u32_e64 s[6:7], v26, v27
	v_cndmask_b32_e64 v55, 0, 1, s[8:9]
	v_cmp_ne_u32_e64 s[10:11], v24, v25
	v_cmp_ne_u32_e64 s[12:13], v25, v22
	;; [unrolled: 1-line block ×15, first 2 shown]
	s_waitcnt lgkmcnt(9)
	v_cndmask_b32_e64 v47, v47, v4, s[8:9]
	v_cmp_ne_u32_e64 s[8:9], v5, v74
	v_cndmask_b32_e64 v51, 0, 1, vcc
	v_cndmask_b32_e64 v52, 0, 1, s[0:1]
	v_cndmask_b32_e64 v53, 0, 1, s[6:7]
	;; [unrolled: 1-line block ×19, first 2 shown]
	v_cndmask_b32_e32 v48, v48, v4, vcc
	v_cndmask_b32_e64 v49, v49, v4, s[0:1]
	v_cndmask_b32_e64 v46, v46, v4, s[6:7]
	s_waitcnt lgkmcnt(8)
	v_cndmask_b32_e64 v44, v44, v4, s[10:11]
	v_cndmask_b32_e64 v45, v45, v4, s[12:13]
	s_waitcnt lgkmcnt(7)
	;; [unrolled: 3-line block ×9, first 2 shown]
	v_cndmask_b32_e64 v30, v2, v4, s[44:45]
	v_cndmask_b32_e64 v74, v3, v4, s[8:9]
	s_mov_b64 s[10:11], -1
                                        ; implicit-def: $sgpr6
                                        ; implicit-def: $sgpr68
.LBB1817_152:
	v_mov_b32_e32 v13, s68
	v_mov_b32_e32 v18, s6
	s_and_saveexec_b64 s[0:1], s[10:11]
; %bb.153:
	v_cndmask_b32_e64 v13, 0, 1, s[8:9]
	v_mov_b32_e32 v18, v74
; %bb.154:
	s_or_b64 exec, exec, s[0:1]
	v_or_b32_e32 v2, v13, v54
	s_cmp_lg_u32 s67, 0
	v_add_f32_e32 v21, v48, v50
	v_or_b32_e32 v20, v2, v73
	v_lshrrev_b32_e32 v19, 5, v0
	v_cmp_gt_u32_e32 vcc, 64, v0
	s_barrier
	s_cbranch_scc0 .LBB1817_213
; %bb.155:
	v_mov_b32_e32 v6, 0
	v_cmp_eq_u16_sdwa s[6:7], v51, v6 src0_sel:BYTE_0 src1_sel:DWORD
	v_cmp_eq_u16_sdwa s[8:9], v52, v6 src0_sel:BYTE_0 src1_sel:DWORD
	v_cmp_eq_u16_sdwa s[10:11], v53, v6 src0_sel:BYTE_0 src1_sel:DWORD
	v_cndmask_b32_e64 v2, v48, v21, s[6:7]
	v_add_f32_e32 v2, v49, v2
	v_cndmask_b32_e64 v2, v49, v2, s[8:9]
	v_add_f32_e32 v2, v46, v2
	v_cndmask_b32_e64 v2, v46, v2, s[10:11]
	v_add_f32_e32 v2, v47, v2
	v_cmp_eq_u16_sdwa s[12:13], v55, v6 src0_sel:BYTE_0 src1_sel:DWORD
	v_cmp_eq_u16_sdwa s[14:15], v56, v6 src0_sel:BYTE_0 src1_sel:DWORD
	v_cmp_eq_u16_sdwa s[16:17], v57, v6 src0_sel:BYTE_0 src1_sel:DWORD
	v_cndmask_b32_e64 v2, v47, v2, s[12:13]
	v_add_f32_e32 v2, v44, v2
	v_cndmask_b32_e64 v2, v44, v2, s[14:15]
	v_add_f32_e32 v2, v45, v2
	v_cndmask_b32_e64 v2, v45, v2, s[16:17]
	v_add_f32_e32 v2, v42, v2
	;; [unrolled: 9-line block ×7, first 2 shown]
	v_cmp_eq_u16_sdwa s[0:1], v13, v6 src0_sel:BYTE_0 src1_sel:DWORD
	v_and_b32_e32 v3, 0xff, v1
	s_nop 0
	v_cndmask_b32_e64 v22, v18, v2, s[0:1]
	v_or_b32_e32 v2, v20, v72
	v_or_b32_e32 v2, v2, v71
	;; [unrolled: 1-line block ×19, first 2 shown]
	v_and_b32_e32 v2, 1, v2
	v_cmp_eq_u32_e64 s[0:1], 1, v2
	v_add_lshl_u32 v2, v19, v0, 3
	s_nop 0
	v_cndmask_b32_e64 v23, v3, 1, s[0:1]
	ds_write_b32 v2, v22
	ds_write_b8 v2, v23 offset:4
	s_waitcnt lgkmcnt(0)
	s_barrier
	s_and_saveexec_b64 s[50:51], vcc
	s_cbranch_execz .LBB1817_169
; %bb.156:
	v_lshrrev_b32_e32 v2, 3, v0
	v_add_lshl_u32 v4, v2, v12, 3
	ds_read2_b32 v[8:9], v4 offset0:2 offset1:4
	ds_read_b64 v[2:3], v4
	ds_read_u8 v7, v4 offset:12
	ds_read_u8 v14, v4 offset:20
	ds_read_b32 v16, v4 offset:24
	ds_read_u8 v17, v4 offset:28
	s_waitcnt lgkmcnt(0)
	v_add_f32_e32 v5, v2, v8
	v_cmp_eq_u16_sdwa s[0:1], v7, v6 src0_sel:BYTE_0 src1_sel:DWORD
	v_and_b32_e32 v15, 0xffffff00, v3
	s_nop 0
	v_cndmask_b32_e64 v8, v8, v5, s[0:1]
	v_add_f32_e32 v8, v9, v8
	v_cmp_eq_u16_sdwa s[0:1], v14, v6 src0_sel:BYTE_0 src1_sel:DWORD
	v_and_b32_e32 v5, 1, v3
	s_nop 0
	v_cndmask_b32_e64 v6, v9, v8, s[0:1]
	v_or_b32_e32 v8, v17, v14
	v_or_b32_e32 v7, v8, v7
	v_add_f32_e32 v6, v16, v6
	v_cmp_eq_u16_e64 s[0:1], 0, v17
	v_and_b32_e32 v7, 1, v7
	s_nop 0
	v_cndmask_b32_e64 v6, v16, v6, s[0:1]
	v_cmp_eq_u32_e64 s[0:1], 1, v7
	v_mbcnt_lo_u32_b32 v7, -1, 0
	v_mbcnt_hi_u32_b32 v7, -1, v7
	v_cndmask_b32_e64 v9, v5, 1, s[0:1]
	v_or_b32_e32 v8, v9, v15
	v_and_b32_e32 v14, 15, v7
	v_mov_b32_dpp v17, v6 row_shr:1 row_mask:0xf bank_mask:0xf
	v_mov_b32_dpp v16, v8 row_shr:1 row_mask:0xf bank_mask:0xf
	v_cmp_ne_u32_e64 s[0:1], 0, v14
	s_and_saveexec_b64 s[56:57], s[0:1]
; %bb.157:
	v_add_f32_e32 v8, v6, v17
	v_cmp_eq_u32_e64 s[0:1], 0, v9
	s_nop 1
	v_cndmask_b32_e64 v6, v6, v8, s[0:1]
	v_and_b32_e32 v8, 1, v9
	v_and_b32_e32 v9, 1, v16
	v_cmp_eq_u32_e64 s[0:1], 1, v8
	s_nop 1
	v_cndmask_b32_e64 v9, v9, 1, s[0:1]
	v_or_b32_e32 v8, v9, v15
; %bb.158:
	s_or_b64 exec, exec, s[56:57]
	v_mov_b32_dpp v16, v6 row_shr:2 row_mask:0xf bank_mask:0xf
	v_mov_b32_dpp v15, v8 row_shr:2 row_mask:0xf bank_mask:0xf
	v_cmp_lt_u32_e64 s[0:1], 1, v14
	s_and_saveexec_b64 s[56:57], s[0:1]
; %bb.159:
	v_add_f32_e32 v16, v6, v16
	v_cmp_eq_u32_e64 s[0:1], 0, v9
	v_and_b32_e32 v9, 1, v9
	v_and_b32_e32 v15, 1, v15
	v_cndmask_b32_e64 v6, v6, v16, s[0:1]
	v_cmp_eq_u32_e64 s[0:1], 1, v9
	s_nop 1
	v_cndmask_b32_e64 v9, v15, 1, s[0:1]
	s_movk_i32 s0, 0xff00
	v_and_or_b32 v8, v8, s0, v9
; %bb.160:
	s_or_b64 exec, exec, s[56:57]
	v_mov_b32_dpp v16, v6 row_shr:4 row_mask:0xf bank_mask:0xf
	v_mov_b32_dpp v15, v8 row_shr:4 row_mask:0xf bank_mask:0xf
	v_cmp_lt_u32_e64 s[0:1], 3, v14
	s_and_saveexec_b64 s[56:57], s[0:1]
; %bb.161:
	v_add_f32_e32 v16, v6, v16
	v_cmp_eq_u32_e64 s[0:1], 0, v9
	v_and_b32_e32 v9, 1, v9
	v_and_b32_e32 v15, 1, v15
	v_cndmask_b32_e64 v6, v6, v16, s[0:1]
	v_cmp_eq_u32_e64 s[0:1], 1, v9
	s_nop 1
	v_cndmask_b32_e64 v9, v15, 1, s[0:1]
	s_movk_i32 s0, 0xff00
	v_and_or_b32 v8, v8, s0, v9
; %bb.162:
	s_or_b64 exec, exec, s[56:57]
	v_mov_b32_dpp v16, v6 row_shr:8 row_mask:0xf bank_mask:0xf
	v_mov_b32_dpp v15, v8 row_shr:8 row_mask:0xf bank_mask:0xf
	v_cmp_lt_u32_e64 s[0:1], 7, v14
	s_and_saveexec_b64 s[56:57], s[0:1]
; %bb.163:
	v_add_f32_e32 v14, v6, v16
	v_cmp_eq_u32_e64 s[0:1], 0, v9
	v_and_b32_e32 v9, 1, v9
	s_nop 0
	v_cndmask_b32_e64 v6, v6, v14, s[0:1]
	v_and_b32_e32 v14, 1, v15
	v_cmp_eq_u32_e64 s[0:1], 1, v9
	s_nop 1
	v_cndmask_b32_e64 v9, v14, 1, s[0:1]
	s_movk_i32 s0, 0xff00
	v_and_or_b32 v8, v8, s0, v9
; %bb.164:
	s_or_b64 exec, exec, s[56:57]
	v_and_b32_e32 v16, 16, v7
	v_mov_b32_dpp v15, v6 row_bcast:15 row_mask:0xf bank_mask:0xf
	v_mov_b32_dpp v14, v8 row_bcast:15 row_mask:0xf bank_mask:0xf
	v_cmp_ne_u32_e64 s[0:1], 0, v16
	s_and_saveexec_b64 s[56:57], s[0:1]
; %bb.165:
	v_add_f32_e32 v15, v6, v15
	v_cmp_eq_u32_e64 s[0:1], 0, v9
	v_and_b32_e32 v9, 1, v9
	v_and_b32_e32 v14, 1, v14
	v_cndmask_b32_e64 v6, v6, v15, s[0:1]
	v_cmp_eq_u32_e64 s[0:1], 1, v9
	s_nop 1
	v_cndmask_b32_e64 v9, v14, 1, s[0:1]
	s_movk_i32 s0, 0xff00
	v_and_or_b32 v8, v8, s0, v9
; %bb.166:
	s_or_b64 exec, exec, s[56:57]
	v_mov_b32_dpp v15, v6 row_bcast:31 row_mask:0xf bank_mask:0xf
	v_mov_b32_dpp v14, v8 row_bcast:31 row_mask:0xf bank_mask:0xf
	v_cmp_lt_u32_e64 s[0:1], 31, v7
	s_and_saveexec_b64 s[56:57], s[0:1]
; %bb.167:
	v_add_f32_e32 v15, v6, v15
	v_cmp_eq_u32_e64 s[0:1], 0, v9
	v_and_b32_e32 v9, 1, v9
	v_and_b32_e32 v14, 1, v14
	v_cndmask_b32_e64 v6, v6, v15, s[0:1]
	v_cmp_eq_u32_e64 s[0:1], 1, v9
	s_nop 1
	v_cndmask_b32_e64 v9, v14, 1, s[0:1]
	s_movk_i32 s0, 0xff00
	v_and_or_b32 v8, v8, s0, v9
; %bb.168:
	s_or_b64 exec, exec, s[56:57]
	v_add_u32_e32 v9, -1, v7
	v_and_b32_e32 v14, 64, v7
	v_cmp_lt_i32_e64 s[0:1], v9, v14
	; wave barrier
	s_nop 1
	v_cndmask_b32_e64 v7, v9, v7, s[0:1]
	v_lshlrev_b32_e32 v7, 2, v7
	ds_bpermute_b32 v6, v7, v6
	ds_bpermute_b32 v7, v7, v8
	v_mov_b32_e32 v8, 0
	v_cmp_eq_u32_sdwa s[0:1], v3, v8 src0_sel:BYTE_0 src1_sel:DWORD
	s_waitcnt lgkmcnt(0)
	v_add_f32_e32 v6, v2, v6
	v_cndmask_b32_e64 v2, v2, v6, s[0:1]
	v_and_b32_e32 v3, 1, v7
	v_cmp_eq_u32_e64 s[0:1], 1, v5
	v_cndmask_b32_e64 v5, v2, v22, s[52:53]
	s_nop 0
	v_cndmask_b32_e64 v3, v3, 1, s[0:1]
	v_cndmask_b32_e64 v6, v3, v23, s[52:53]
	ds_write_b32 v4, v5
	ds_write_b8 v4, v6 offset:4
	; wave barrier
	ds_read2_b32 v[2:3], v4 offset0:2 offset1:4
	ds_read_u8 v7, v4 offset:12
	ds_read_u8 v8, v4 offset:20
	ds_read_b32 v9, v4 offset:24
	ds_read_u8 v14, v4 offset:28
	s_waitcnt lgkmcnt(0)
	v_add_f32_e32 v5, v5, v2
	v_cmp_eq_u16_e64 s[0:1], 0, v7
	s_nop 1
	v_cndmask_b32_e64 v2, v2, v5, s[0:1]
	v_and_b32_e32 v5, 1, v7
	v_cmp_eq_u32_e64 s[0:1], 1, v5
	s_nop 1
	v_cndmask_b32_e64 v5, v6, 1, s[0:1]
	v_add_f32_e32 v6, v2, v3
	v_cmp_eq_u16_e64 s[0:1], 0, v8
	ds_write_b8 v4, v5 offset:12
	s_nop 0
	v_cndmask_b32_e64 v3, v3, v6, s[0:1]
	v_and_b32_e32 v6, 1, v8
	v_cmp_eq_u32_e64 s[0:1], 1, v6
	s_nop 1
	v_cndmask_b32_e64 v5, v5, 1, s[0:1]
	ds_write2_b32 v4, v2, v3 offset0:2 offset1:4
	ds_write_b8 v4, v5 offset:20
	v_add_f32_e32 v2, v3, v9
	v_cmp_eq_u16_e64 s[0:1], 0, v14
	v_and_b32_e32 v3, 1, v14
	s_nop 0
	v_cndmask_b32_e64 v2, v9, v2, s[0:1]
	v_cmp_eq_u32_e64 s[0:1], 1, v3
	s_nop 1
	v_cndmask_b32_e64 v3, v5, 1, s[0:1]
	ds_write_b32 v4, v2 offset:24
	ds_write_b8 v4, v3 offset:28
.LBB1817_169:
	s_or_b64 exec, exec, s[50:51]
	s_waitcnt lgkmcnt(0)
	s_barrier
	s_and_saveexec_b64 s[0:1], s[4:5]
	s_cbranch_execz .LBB1817_171
; %bb.170:
	v_add_u32_e32 v2, -1, v0
	v_lshrrev_b32_e32 v3, 5, v2
	v_add_lshl_u32 v2, v3, v2, 3
	ds_read_b32 v22, v2
	ds_read_u8 v23, v2 offset:4
.LBB1817_171:
	s_or_b64 exec, exec, s[0:1]
	s_and_saveexec_b64 s[0:1], vcc
	s_cbranch_execz .LBB1817_212
; %bb.172:
	v_mov_b32_e32 v5, 0
	ds_read_b64 v[2:3], v5 offset:2096
	v_mbcnt_lo_u32_b32 v4, -1, 0
	v_mbcnt_hi_u32_b32 v15, -1, v4
	s_mov_b32 s59, 0
	v_cmp_eq_u32_e64 s[50:51], 0, v15
	s_waitcnt lgkmcnt(0)
	v_readfirstlane_b32 s60, v3
	s_and_saveexec_b64 s[56:57], s[50:51]
	s_cbranch_execz .LBB1817_174
; %bb.173:
	s_add_i32 s58, s67, 64
	s_lshl_b64 s[68:69], s[58:59], 4
	s_add_u32 s68, s64, s68
	s_addc_u32 s69, s65, s69
	s_and_b32 s77, s60, 0xff000000
	s_mov_b32 s76, s59
	s_and_b32 s79, s60, 0xff0000
	s_mov_b32 s78, s59
	s_or_b64 s[76:77], s[78:79], s[76:77]
	s_and_b32 s79, s60, 0xff00
	s_or_b64 s[76:77], s[76:77], s[78:79]
	s_and_b32 s79, s60, 0xff
	s_or_b64 s[58:59], s[76:77], s[78:79]
	v_mov_b32_e32 v3, s59
	v_mov_b32_e32 v4, 1
	v_mov_b64_e32 v[6:7], s[68:69]
	;;#ASMSTART
	global_store_dwordx4 v[6:7], v[2:5] off sc1	
s_waitcnt vmcnt(0)
	;;#ASMEND
.LBB1817_174:
	s_or_b64 exec, exec, s[56:57]
	v_xad_u32 v14, v15, -1, s67
	v_add_u32_e32 v4, 64, v14
	v_lshl_add_u64 v[16:17], v[4:5], 4, s[64:65]
	;;#ASMSTART
	global_load_dwordx4 v[6:9], v[16:17] off sc1	
s_waitcnt vmcnt(0)
	;;#ASMEND
	s_nop 0
	v_cmp_eq_u16_sdwa s[58:59], v8, v5 src0_sel:BYTE_0 src1_sel:DWORD
	s_and_saveexec_b64 s[56:57], s[58:59]
	s_cbranch_execz .LBB1817_178
; %bb.175:
	s_mov_b64 s[58:59], 0
	v_mov_b32_e32 v3, 0
.LBB1817_176:                           ; =>This Inner Loop Header: Depth=1
	;;#ASMSTART
	global_load_dwordx4 v[6:9], v[16:17] off sc1	
s_waitcnt vmcnt(0)
	;;#ASMEND
	s_nop 0
	v_cmp_ne_u16_sdwa s[68:69], v8, v3 src0_sel:BYTE_0 src1_sel:DWORD
	s_or_b64 s[58:59], s[68:69], s[58:59]
	s_andn2_b64 exec, exec, s[58:59]
	s_cbranch_execnz .LBB1817_176
; %bb.177:
	s_or_b64 exec, exec, s[58:59]
.LBB1817_178:
	s_or_b64 exec, exec, s[56:57]
	v_mov_b32_e32 v3, 2
	v_cmp_eq_u16_sdwa s[56:57], v8, v3 src0_sel:BYTE_0 src1_sel:DWORD
	v_lshlrev_b64 v[4:5], v15, -1
	v_and_b32_e32 v16, 0xff, v7
	v_and_b32_e32 v3, s57, v5
	v_or_b32_e32 v3, 0x80000000, v3
	v_ffbl_b32_e32 v26, v3
	v_and_b32_e32 v3, 63, v15
	v_cmp_ne_u32_e32 vcc, 63, v3
	v_and_b32_e32 v9, s56, v4
	v_add_u32_e32 v26, 32, v26
	v_addc_co_u32_e32 v17, vcc, 0, v15, vcc
	v_lshlrev_b32_e32 v24, 2, v17
	ds_bpermute_b32 v25, v24, v6
	ds_bpermute_b32 v17, v24, v16
	v_ffbl_b32_e32 v9, v9
	v_min_u32_e32 v9, v9, v26
	v_cmp_lt_u32_e32 vcc, v3, v9
	s_and_saveexec_b64 s[56:57], vcc
	s_cbranch_execz .LBB1817_180
; %bb.179:
	v_mov_b32_e32 v16, 0
	s_waitcnt lgkmcnt(0)
	v_add_f32_e32 v25, v6, v25
	v_cmp_eq_u16_sdwa vcc, v7, v16 src0_sel:BYTE_0 src1_sel:DWORD
	v_and_b32_e32 v7, 1, v7
	v_and_b32_e32 v16, 1, v17
	v_cndmask_b32_e32 v6, v6, v25, vcc
	v_cmp_eq_u32_e32 vcc, 1, v7
	s_nop 1
	v_cndmask_b32_e64 v7, v16, 1, vcc
	v_and_b32_e32 v16, 0xffff, v7
.LBB1817_180:
	s_or_b64 exec, exec, s[56:57]
	v_cmp_gt_u32_e32 vcc, 62, v3
	v_add_u32_e32 v26, 2, v3
	s_waitcnt lgkmcnt(0)
	v_cndmask_b32_e64 v17, 0, 1, vcc
	v_lshlrev_b32_e32 v17, 1, v17
	v_add_lshl_u32 v25, v17, v15, 2
	ds_bpermute_b32 v27, v25, v6
	ds_bpermute_b32 v17, v25, v16
	v_cmp_le_u32_e32 vcc, v26, v9
	s_and_saveexec_b64 s[56:57], vcc
	s_cbranch_execz .LBB1817_182
; %bb.181:
	v_mov_b32_e32 v16, 0
	s_waitcnt lgkmcnt(0)
	v_add_f32_e32 v27, v6, v27
	v_cmp_eq_u16_sdwa vcc, v7, v16 src0_sel:BYTE_0 src1_sel:DWORD
	v_and_b32_e32 v7, 1, v7
	v_and_b32_e32 v16, 1, v17
	v_cndmask_b32_e32 v6, v6, v27, vcc
	v_cmp_eq_u32_e32 vcc, 1, v7
	s_nop 1
	v_cndmask_b32_e64 v7, v16, 1, vcc
	v_and_b32_e32 v16, 0xffff, v7
.LBB1817_182:
	s_or_b64 exec, exec, s[56:57]
	v_cmp_gt_u32_e32 vcc, 60, v3
	v_add_u32_e32 v28, 4, v3
	s_waitcnt lgkmcnt(0)
	v_cndmask_b32_e64 v17, 0, 1, vcc
	v_lshlrev_b32_e32 v17, 2, v17
	v_add_lshl_u32 v27, v17, v15, 2
	ds_bpermute_b32 v29, v27, v6
	ds_bpermute_b32 v17, v27, v16
	v_cmp_le_u32_e32 vcc, v28, v9
	;; [unrolled: 25-line block ×3, first 2 shown]
	s_and_saveexec_b64 s[56:57], vcc
	s_cbranch_execz .LBB1817_186
; %bb.185:
	v_mov_b32_e32 v16, 0
	s_waitcnt lgkmcnt(0)
	v_add_f32_e32 v74, v6, v74
	v_cmp_eq_u16_sdwa vcc, v7, v16 src0_sel:BYTE_0 src1_sel:DWORD
	v_and_b32_e32 v7, 1, v7
	v_and_b32_e32 v16, 1, v17
	v_cndmask_b32_e32 v6, v6, v74, vcc
	v_cmp_eq_u32_e32 vcc, 1, v7
	s_nop 1
	v_cndmask_b32_e64 v7, v16, 1, vcc
	v_and_b32_e32 v16, 0xffff, v7
.LBB1817_186:
	s_or_b64 exec, exec, s[56:57]
	v_cmp_gt_u32_e32 vcc, 48, v3
	s_waitcnt vmcnt(0)
	v_add_u32_e32 v75, 16, v3
	s_waitcnt lgkmcnt(0)
	v_cndmask_b32_e64 v17, 0, 1, vcc
	v_lshlrev_b32_e32 v17, 4, v17
	v_add_lshl_u32 v74, v17, v15, 2
	ds_bpermute_b32 v76, v74, v6
	ds_bpermute_b32 v17, v74, v16
	v_cmp_le_u32_e32 vcc, v75, v9
	s_and_saveexec_b64 s[56:57], vcc
	s_cbranch_execz .LBB1817_188
; %bb.187:
	v_mov_b32_e32 v16, 0
	s_waitcnt lgkmcnt(1)
	v_add_f32_e32 v76, v6, v76
	v_cmp_eq_u16_sdwa vcc, v7, v16 src0_sel:BYTE_0 src1_sel:DWORD
	v_and_b32_e32 v7, 1, v7
	s_waitcnt lgkmcnt(0)
	v_and_b32_e32 v16, 1, v17
	v_cndmask_b32_e32 v6, v6, v76, vcc
	v_cmp_eq_u32_e32 vcc, 1, v7
	s_nop 1
	v_cndmask_b32_e64 v7, v16, 1, vcc
	v_and_b32_e32 v16, 0xffff, v7
.LBB1817_188:
	s_or_b64 exec, exec, s[56:57]
	v_cmp_gt_u32_e32 vcc, 32, v3
	v_add_u32_e32 v79, 32, v3
	s_waitcnt lgkmcnt(0)
	v_cndmask_b32_e64 v17, 0, 1, vcc
	v_lshlrev_b32_e32 v17, 5, v17
	v_add_lshl_u32 v77, v17, v15, 2
	ds_bpermute_b32 v17, v77, v6
	ds_bpermute_b32 v15, v77, v16
	v_cmp_le_u32_e32 vcc, v79, v9
	s_and_saveexec_b64 s[56:57], vcc
	s_cbranch_execz .LBB1817_190
; %bb.189:
	v_mov_b32_e32 v9, 0
	s_waitcnt lgkmcnt(1)
	v_add_f32_e32 v16, v6, v17
	v_cmp_eq_u16_sdwa vcc, v7, v9 src0_sel:BYTE_0 src1_sel:DWORD
	v_and_b32_e32 v7, 1, v7
	s_waitcnt lgkmcnt(0)
	v_and_b32_e32 v9, 1, v15
	v_cndmask_b32_e32 v6, v6, v16, vcc
	v_cmp_eq_u32_e32 vcc, 1, v7
	s_nop 1
	v_cndmask_b32_e64 v7, v9, 1, vcc
.LBB1817_190:
	s_or_b64 exec, exec, s[56:57]
	s_waitcnt lgkmcnt(0)
	v_mov_b32_e32 v15, 0
	v_mov_b32_e32 v80, 2
	s_branch .LBB1817_192
.LBB1817_191:                           ;   in Loop: Header=BB1817_192 Depth=1
	s_or_b64 exec, exec, s[56:57]
	s_waitcnt lgkmcnt(0)
	ds_bpermute_b32 v17, v77, v6
	ds_bpermute_b32 v16, v77, v16
	v_and_b32_e32 v81, 1, v7
	v_cmp_eq_u16_sdwa vcc, v7, v15 src0_sel:BYTE_0 src1_sel:DWORD
	v_subrev_u32_e32 v14, 64, v14
	s_waitcnt lgkmcnt(1)
	v_add_f32_e32 v17, v6, v17
	v_cndmask_b32_e32 v17, v6, v17, vcc
	v_cmp_eq_u32_e32 vcc, 1, v81
	s_waitcnt lgkmcnt(0)
	s_nop 0
	v_cndmask_b32_e64 v16, v16, 1, vcc
	v_cmp_gt_u32_e32 vcc, v79, v9
	v_and_b32_e32 v9, 1, v76
	s_nop 0
	v_cndmask_b32_e32 v6, v17, v6, vcc
	v_cndmask_b32_e32 v7, v16, v7, vcc
	v_add_f32_e32 v6, v78, v6
	v_cmp_eq_u16_sdwa vcc, v76, v15 src0_sel:BYTE_0 src1_sel:DWORD
	v_and_b32_e32 v7, 1, v7
	s_nop 0
	v_cndmask_b32_e32 v6, v78, v6, vcc
	v_cmp_eq_u32_e32 vcc, 1, v9
	s_nop 1
	v_cndmask_b32_e64 v7, v7, 1, vcc
.LBB1817_192:                           ; =>This Loop Header: Depth=1
                                        ;     Child Loop BB1817_195 Depth 2
	v_cmp_ne_u16_sdwa s[56:57], v8, v80 src0_sel:BYTE_0 src1_sel:DWORD
	v_mov_b32_e32 v76, v7
	v_mov_b32_e32 v78, v6
	v_cndmask_b32_e64 v7, 0, 1, s[56:57]
	;;#ASMSTART
	;;#ASMEND
	s_nop 0
	v_cmp_ne_u32_e32 vcc, 0, v7
	s_cmp_lg_u64 vcc, exec
	s_cbranch_scc1 .LBB1817_207
; %bb.193:                              ;   in Loop: Header=BB1817_192 Depth=1
	v_lshl_add_u64 v[16:17], v[14:15], 4, s[64:65]
	;;#ASMSTART
	global_load_dwordx4 v[6:9], v[16:17] off sc1	
s_waitcnt vmcnt(0)
	;;#ASMEND
	s_nop 0
	v_cmp_eq_u16_sdwa s[58:59], v8, v15 src0_sel:BYTE_0 src1_sel:DWORD
	s_and_saveexec_b64 s[56:57], s[58:59]
	s_cbranch_execz .LBB1817_197
; %bb.194:                              ;   in Loop: Header=BB1817_192 Depth=1
	s_mov_b64 s[58:59], 0
.LBB1817_195:                           ;   Parent Loop BB1817_192 Depth=1
                                        ; =>  This Inner Loop Header: Depth=2
	;;#ASMSTART
	global_load_dwordx4 v[6:9], v[16:17] off sc1	
s_waitcnt vmcnt(0)
	;;#ASMEND
	s_nop 0
	v_cmp_ne_u16_sdwa s[68:69], v8, v15 src0_sel:BYTE_0 src1_sel:DWORD
	s_or_b64 s[58:59], s[68:69], s[58:59]
	s_andn2_b64 exec, exec, s[58:59]
	s_cbranch_execnz .LBB1817_195
; %bb.196:                              ;   in Loop: Header=BB1817_192 Depth=1
	s_or_b64 exec, exec, s[58:59]
.LBB1817_197:                           ;   in Loop: Header=BB1817_192 Depth=1
	s_or_b64 exec, exec, s[56:57]
	v_cmp_eq_u16_sdwa s[56:57], v8, v80 src0_sel:BYTE_0 src1_sel:DWORD
	v_and_b32_e32 v16, 0xff, v7
	ds_bpermute_b32 v81, v24, v6
	v_and_b32_e32 v9, s57, v5
	v_or_b32_e32 v9, 0x80000000, v9
	ds_bpermute_b32 v17, v24, v16
	v_and_b32_e32 v82, s56, v4
	v_ffbl_b32_e32 v9, v9
	v_add_u32_e32 v9, 32, v9
	v_ffbl_b32_e32 v82, v82
	v_min_u32_e32 v9, v82, v9
	v_cmp_lt_u32_e32 vcc, v3, v9
	s_and_saveexec_b64 s[56:57], vcc
	s_cbranch_execz .LBB1817_199
; %bb.198:                              ;   in Loop: Header=BB1817_192 Depth=1
	s_waitcnt lgkmcnt(1)
	v_add_f32_e32 v16, v6, v81
	v_cmp_eq_u16_sdwa vcc, v7, v15 src0_sel:BYTE_0 src1_sel:DWORD
	v_and_b32_e32 v7, 1, v7
	s_nop 0
	v_cndmask_b32_e32 v6, v6, v16, vcc
	s_waitcnt lgkmcnt(0)
	v_and_b32_e32 v16, 1, v17
	v_cmp_eq_u32_e32 vcc, 1, v7
	s_nop 1
	v_cndmask_b32_e64 v7, v16, 1, vcc
	v_and_b32_e32 v16, 0xffff, v7
.LBB1817_199:                           ;   in Loop: Header=BB1817_192 Depth=1
	s_or_b64 exec, exec, s[56:57]
	s_waitcnt lgkmcnt(1)
	ds_bpermute_b32 v81, v25, v6
	s_waitcnt lgkmcnt(1)
	ds_bpermute_b32 v17, v25, v16
	v_cmp_le_u32_e32 vcc, v26, v9
	s_and_saveexec_b64 s[56:57], vcc
	s_cbranch_execz .LBB1817_201
; %bb.200:                              ;   in Loop: Header=BB1817_192 Depth=1
	s_waitcnt lgkmcnt(1)
	v_add_f32_e32 v16, v6, v81
	v_cmp_eq_u16_sdwa vcc, v7, v15 src0_sel:BYTE_0 src1_sel:DWORD
	v_and_b32_e32 v7, 1, v7
	s_nop 0
	v_cndmask_b32_e32 v6, v6, v16, vcc
	s_waitcnt lgkmcnt(0)
	v_and_b32_e32 v16, 1, v17
	v_cmp_eq_u32_e32 vcc, 1, v7
	s_nop 1
	v_cndmask_b32_e64 v7, v16, 1, vcc
	v_and_b32_e32 v16, 0xffff, v7
.LBB1817_201:                           ;   in Loop: Header=BB1817_192 Depth=1
	s_or_b64 exec, exec, s[56:57]
	s_waitcnt lgkmcnt(1)
	ds_bpermute_b32 v81, v27, v6
	s_waitcnt lgkmcnt(1)
	ds_bpermute_b32 v17, v27, v16
	v_cmp_le_u32_e32 vcc, v28, v9
	;; [unrolled: 22-line block ×4, first 2 shown]
	s_and_saveexec_b64 s[56:57], vcc
	s_cbranch_execz .LBB1817_191
; %bb.206:                              ;   in Loop: Header=BB1817_192 Depth=1
	s_waitcnt lgkmcnt(1)
	v_add_f32_e32 v16, v6, v81
	v_cmp_eq_u16_sdwa vcc, v7, v15 src0_sel:BYTE_0 src1_sel:DWORD
	v_and_b32_e32 v7, 1, v7
	s_nop 0
	v_cndmask_b32_e32 v6, v6, v16, vcc
	s_waitcnt lgkmcnt(0)
	v_and_b32_e32 v16, 1, v17
	v_cmp_eq_u32_e32 vcc, 1, v7
	s_nop 1
	v_cndmask_b32_e64 v7, v16, 1, vcc
	v_and_b32_e32 v16, 0xffff, v7
	s_branch .LBB1817_191
.LBB1817_207:                           ;   in Loop: Header=BB1817_192 Depth=1
                                        ; implicit-def: $vgpr7
	s_cbranch_execz .LBB1817_192
; %bb.208:
	s_and_saveexec_b64 s[56:57], s[50:51]
	s_cbranch_execz .LBB1817_210
; %bb.209:
	s_and_b32 s50, s60, 0xff
	s_cmp_eq_u32 s50, 0
	s_cselect_b64 vcc, -1, 0
	s_bitcmp1_b32 s60, 0
	s_mov_b32 s51, 0
	s_cselect_b64 s[58:59], -1, 0
	s_add_i32 s50, s67, 64
	s_lshl_b64 s[50:51], s[50:51], 4
	v_add_f32_e32 v3, v78, v2
	s_add_u32 s50, s64, s50
	v_cndmask_b32_e32 v2, v2, v3, vcc
	v_and_b32_e32 v3, 1, v76
	s_addc_u32 s51, s65, s51
	v_cndmask_b32_e64 v3, v3, 1, s[58:59]
	v_mov_b32_e32 v4, 2
	v_mov_b32_e32 v5, 0
	v_mov_b64_e32 v[6:7], s[50:51]
	;;#ASMSTART
	global_store_dwordx4 v[6:7], v[2:5] off sc1	
s_waitcnt vmcnt(0)
	;;#ASMEND
.LBB1817_210:
	s_or_b64 exec, exec, s[56:57]
	s_and_b64 exec, exec, s[52:53]
	s_cbranch_execz .LBB1817_212
; %bb.211:
	v_mov_b32_e32 v2, 0
	ds_write_b32 v2, v78
	ds_write_b8 v2, v76 offset:4
.LBB1817_212:
	s_or_b64 exec, exec, s[0:1]
	v_mov_b32_e32 v2, 0
	s_waitcnt lgkmcnt(0)
	s_barrier
	ds_read_b32 v3, v2
	v_cmp_eq_u32_e32 vcc, 0, v23
	s_waitcnt lgkmcnt(0)
	v_add_f32_e32 v4, v22, v3
	v_cndmask_b32_e32 v4, v22, v4, vcc
	v_cndmask_b32_e64 v31, v4, v3, s[52:53]
	v_add_f32_e32 v3, v50, v31
	v_cmp_eq_u16_sdwa vcc, v1, v2 src0_sel:BYTE_0 src1_sel:DWORD
	s_nop 1
	v_cndmask_b32_e32 v74, v50, v3, vcc
	v_add_f32_e32 v2, v48, v74
	s_waitcnt vmcnt(0)
	v_cndmask_b32_e64 v75, v48, v2, s[6:7]
	v_add_f32_e32 v2, v49, v75
	v_cndmask_b32_e64 v76, v49, v2, s[8:9]
	v_add_f32_e32 v2, v46, v76
	;; [unrolled: 2-line block ×20, first 2 shown]
	v_cndmask_b32_e64 v95, v30, v2, s[48:49]
	s_branch .LBB1817_235
.LBB1817_213:
                                        ; implicit-def: $vgpr94
                                        ; implicit-def: $vgpr93
                                        ; implicit-def: $vgpr92
                                        ; implicit-def: $vgpr91
                                        ; implicit-def: $vgpr90
                                        ; implicit-def: $vgpr89
                                        ; implicit-def: $vgpr88
                                        ; implicit-def: $vgpr87
                                        ; implicit-def: $vgpr86
                                        ; implicit-def: $vgpr85
                                        ; implicit-def: $vgpr84
                                        ; implicit-def: $vgpr83
                                        ; implicit-def: $vgpr82
                                        ; implicit-def: $vgpr81
                                        ; implicit-def: $vgpr80
                                        ; implicit-def: $vgpr79
                                        ; implicit-def: $vgpr78
                                        ; implicit-def: $vgpr77
                                        ; implicit-def: $vgpr76
                                        ; implicit-def: $vgpr75
                                        ; implicit-def: $vgpr74
                                        ; implicit-def: $vgpr31
                                        ; implicit-def: $vgpr95
	s_cbranch_execz .LBB1817_235
; %bb.214:
	s_cmp_lg_u64 s[72:73], 0
	s_cselect_b32 s1, s71, 0
	s_cselect_b32 s0, s70, 0
	s_cmp_eq_u64 s[0:1], 0
	v_mov_b32_e32 v4, s74
	s_cbranch_scc1 .LBB1817_216
; %bb.215:
	v_mov_b32_e32 v2, 0
	global_load_dword v4, v2, s[0:1]
.LBB1817_216:
	v_mov_b32_e32 v9, 0
	v_cmp_eq_u16_sdwa vcc, v51, v9 src0_sel:BYTE_0 src1_sel:DWORD
	v_cmp_eq_u16_sdwa s[6:7], v52, v9 src0_sel:BYTE_0 src1_sel:DWORD
	v_cmp_eq_u16_sdwa s[8:9], v53, v9 src0_sel:BYTE_0 src1_sel:DWORD
	v_cndmask_b32_e32 v2, v48, v21, vcc
	v_add_f32_e32 v2, v49, v2
	v_cndmask_b32_e64 v2, v49, v2, s[6:7]
	v_add_f32_e32 v2, v46, v2
	v_cndmask_b32_e64 v2, v46, v2, s[8:9]
	v_add_f32_e32 v2, v47, v2
	v_cmp_eq_u16_sdwa s[10:11], v55, v9 src0_sel:BYTE_0 src1_sel:DWORD
	v_cmp_eq_u16_sdwa s[12:13], v56, v9 src0_sel:BYTE_0 src1_sel:DWORD
	v_cmp_eq_u16_sdwa s[14:15], v57, v9 src0_sel:BYTE_0 src1_sel:DWORD
	v_cndmask_b32_e64 v2, v47, v2, s[10:11]
	v_add_f32_e32 v2, v44, v2
	v_cndmask_b32_e64 v2, v44, v2, s[12:13]
	v_add_f32_e32 v2, v45, v2
	v_cndmask_b32_e64 v2, v45, v2, s[14:15]
	v_add_f32_e32 v2, v42, v2
	v_cmp_eq_u16_sdwa s[18:19], v58, v9 src0_sel:BYTE_0 src1_sel:DWORD
	v_cmp_eq_u16_sdwa s[20:21], v59, v9 src0_sel:BYTE_0 src1_sel:DWORD
	v_cmp_eq_u16_sdwa s[22:23], v61, v9 src0_sel:BYTE_0 src1_sel:DWORD
	v_cndmask_b32_e64 v2, v42, v2, s[18:19]
	;; [unrolled: 9-line block ×6, first 2 shown]
	v_add_f32_e32 v2, v62, v2
	v_cndmask_b32_e64 v2, v62, v2, s[46:47]
	v_add_f32_e32 v2, v30, v2
	v_cndmask_b32_e64 v2, v30, v2, s[16:17]
	v_add_f32_e32 v2, v18, v2
	v_cmp_eq_u16_sdwa s[0:1], v13, v9 src0_sel:BYTE_0 src1_sel:DWORD
	v_and_b32_e32 v3, 0xff, v1
	s_nop 0
	v_cndmask_b32_e64 v6, v18, v2, s[0:1]
	v_or_b32_e32 v2, v20, v72
	v_or_b32_e32 v2, v2, v71
	;; [unrolled: 1-line block ×19, first 2 shown]
	v_and_b32_e32 v2, 1, v2
	v_cmp_eq_u32_e64 s[0:1], 1, v2
	v_add_lshl_u32 v2, v19, v0, 3
	s_nop 0
	v_cndmask_b32_e64 v7, v3, 1, s[0:1]
	v_cmp_gt_u32_e64 s[0:1], 64, v0
	ds_write_b32 v2, v6
	ds_write_b8 v2, v7 offset:4
	s_waitcnt lgkmcnt(0)
	s_barrier
	s_and_saveexec_b64 s[48:49], s[0:1]
	s_cbranch_execz .LBB1817_230
; %bb.217:
	v_lshrrev_b32_e32 v2, 3, v0
	v_add_lshl_u32 v5, v2, v12, 3
	ds_read2_b32 v[14:15], v5 offset0:2 offset1:4
	ds_read_b64 v[2:3], v5
	ds_read_u8 v13, v5 offset:12
	ds_read_u8 v16, v5 offset:20
	ds_read_b32 v18, v5 offset:24
	ds_read_u8 v19, v5 offset:28
	s_waitcnt lgkmcnt(0)
	v_add_f32_e32 v8, v2, v14
	v_cmp_eq_u16_sdwa s[0:1], v13, v9 src0_sel:BYTE_0 src1_sel:DWORD
	v_and_b32_e32 v17, 0xffffff00, v3
	s_nop 0
	v_cndmask_b32_e64 v14, v14, v8, s[0:1]
	v_add_f32_e32 v14, v15, v14
	v_cmp_eq_u16_sdwa s[0:1], v16, v9 src0_sel:BYTE_0 src1_sel:DWORD
	v_and_b32_e32 v8, 1, v3
	s_nop 0
	v_cndmask_b32_e64 v9, v15, v14, s[0:1]
	v_or_b32_e32 v14, v19, v16
	v_or_b32_e32 v13, v14, v13
	v_add_f32_e32 v9, v18, v9
	v_cmp_eq_u16_e64 s[0:1], 0, v19
	v_and_b32_e32 v13, 1, v13
	s_nop 0
	v_cndmask_b32_e64 v9, v18, v9, s[0:1]
	v_cmp_eq_u32_e64 s[0:1], 1, v13
	v_mbcnt_lo_u32_b32 v13, -1, 0
	v_mbcnt_hi_u32_b32 v13, -1, v13
	v_cndmask_b32_e64 v15, v8, 1, s[0:1]
	v_or_b32_e32 v14, v15, v17
	v_and_b32_e32 v16, 15, v13
	v_mov_b32_dpp v19, v9 row_shr:1 row_mask:0xf bank_mask:0xf
	v_mov_b32_dpp v18, v14 row_shr:1 row_mask:0xf bank_mask:0xf
	v_cmp_ne_u32_e64 s[0:1], 0, v16
	s_and_saveexec_b64 s[50:51], s[0:1]
; %bb.218:
	v_add_f32_e32 v14, v9, v19
	v_cmp_eq_u32_e64 s[0:1], 0, v15
	s_nop 1
	v_cndmask_b32_e64 v9, v9, v14, s[0:1]
	v_and_b32_e32 v14, 1, v15
	v_and_b32_e32 v15, 1, v18
	v_cmp_eq_u32_e64 s[0:1], 1, v14
	s_nop 1
	v_cndmask_b32_e64 v15, v15, 1, s[0:1]
	v_or_b32_e32 v14, v15, v17
; %bb.219:
	s_or_b64 exec, exec, s[50:51]
	v_mov_b32_dpp v18, v9 row_shr:2 row_mask:0xf bank_mask:0xf
	v_mov_b32_dpp v17, v14 row_shr:2 row_mask:0xf bank_mask:0xf
	v_cmp_lt_u32_e64 s[0:1], 1, v16
	s_and_saveexec_b64 s[50:51], s[0:1]
; %bb.220:
	v_add_f32_e32 v18, v9, v18
	v_cmp_eq_u32_e64 s[0:1], 0, v15
	v_and_b32_e32 v15, 1, v15
	v_and_b32_e32 v17, 1, v17
	v_cndmask_b32_e64 v9, v9, v18, s[0:1]
	v_cmp_eq_u32_e64 s[0:1], 1, v15
	s_nop 1
	v_cndmask_b32_e64 v15, v17, 1, s[0:1]
	s_movk_i32 s0, 0xff00
	v_and_or_b32 v14, v14, s0, v15
; %bb.221:
	s_or_b64 exec, exec, s[50:51]
	v_mov_b32_dpp v18, v9 row_shr:4 row_mask:0xf bank_mask:0xf
	v_mov_b32_dpp v17, v14 row_shr:4 row_mask:0xf bank_mask:0xf
	v_cmp_lt_u32_e64 s[0:1], 3, v16
	s_and_saveexec_b64 s[50:51], s[0:1]
; %bb.222:
	v_add_f32_e32 v18, v9, v18
	v_cmp_eq_u32_e64 s[0:1], 0, v15
	v_and_b32_e32 v15, 1, v15
	v_and_b32_e32 v17, 1, v17
	v_cndmask_b32_e64 v9, v9, v18, s[0:1]
	v_cmp_eq_u32_e64 s[0:1], 1, v15
	s_nop 1
	v_cndmask_b32_e64 v15, v17, 1, s[0:1]
	s_movk_i32 s0, 0xff00
	v_and_or_b32 v14, v14, s0, v15
; %bb.223:
	s_or_b64 exec, exec, s[50:51]
	v_mov_b32_dpp v18, v9 row_shr:8 row_mask:0xf bank_mask:0xf
	v_mov_b32_dpp v17, v14 row_shr:8 row_mask:0xf bank_mask:0xf
	v_cmp_lt_u32_e64 s[0:1], 7, v16
	s_and_saveexec_b64 s[50:51], s[0:1]
; %bb.224:
	v_add_f32_e32 v16, v9, v18
	v_cmp_eq_u32_e64 s[0:1], 0, v15
	v_and_b32_e32 v15, 1, v15
	s_nop 0
	v_cndmask_b32_e64 v9, v9, v16, s[0:1]
	v_and_b32_e32 v16, 1, v17
	v_cmp_eq_u32_e64 s[0:1], 1, v15
	s_nop 1
	v_cndmask_b32_e64 v15, v16, 1, s[0:1]
	s_movk_i32 s0, 0xff00
	v_and_or_b32 v14, v14, s0, v15
; %bb.225:
	s_or_b64 exec, exec, s[50:51]
	v_and_b32_e32 v18, 16, v13
	v_mov_b32_dpp v17, v9 row_bcast:15 row_mask:0xf bank_mask:0xf
	v_mov_b32_dpp v16, v14 row_bcast:15 row_mask:0xf bank_mask:0xf
	v_cmp_ne_u32_e64 s[0:1], 0, v18
	s_and_saveexec_b64 s[50:51], s[0:1]
; %bb.226:
	v_add_f32_e32 v17, v9, v17
	v_cmp_eq_u32_e64 s[0:1], 0, v15
	v_and_b32_e32 v15, 1, v15
	v_and_b32_e32 v16, 1, v16
	v_cndmask_b32_e64 v9, v9, v17, s[0:1]
	v_cmp_eq_u32_e64 s[0:1], 1, v15
	s_nop 1
	v_cndmask_b32_e64 v15, v16, 1, s[0:1]
	s_movk_i32 s0, 0xff00
	v_and_or_b32 v14, v14, s0, v15
; %bb.227:
	s_or_b64 exec, exec, s[50:51]
	v_mov_b32_dpp v17, v9 row_bcast:31 row_mask:0xf bank_mask:0xf
	v_mov_b32_dpp v16, v14 row_bcast:31 row_mask:0xf bank_mask:0xf
	v_cmp_lt_u32_e64 s[0:1], 31, v13
	s_and_saveexec_b64 s[50:51], s[0:1]
; %bb.228:
	v_add_f32_e32 v17, v9, v17
	v_cmp_eq_u32_e64 s[0:1], 0, v15
	v_and_b32_e32 v15, 1, v15
	v_and_b32_e32 v16, 1, v16
	v_cndmask_b32_e64 v9, v9, v17, s[0:1]
	v_cmp_eq_u32_e64 s[0:1], 1, v15
	s_nop 1
	v_cndmask_b32_e64 v15, v16, 1, s[0:1]
	s_movk_i32 s0, 0xff00
	v_and_or_b32 v14, v14, s0, v15
; %bb.229:
	s_or_b64 exec, exec, s[50:51]
	v_add_u32_e32 v15, -1, v13
	v_and_b32_e32 v16, 64, v13
	v_cmp_lt_i32_e64 s[0:1], v15, v16
	; wave barrier
	s_nop 1
	v_cndmask_b32_e64 v13, v15, v13, s[0:1]
	v_lshlrev_b32_e32 v13, 2, v13
	ds_bpermute_b32 v9, v13, v9
	ds_bpermute_b32 v13, v13, v14
	v_mov_b32_e32 v14, 0
	v_cmp_eq_u32_sdwa s[0:1], v3, v14 src0_sel:BYTE_0 src1_sel:DWORD
	s_waitcnt lgkmcnt(0)
	v_add_f32_e32 v9, v2, v9
	v_cndmask_b32_e64 v2, v2, v9, s[0:1]
	v_and_b32_e32 v3, 1, v13
	v_cmp_eq_u32_e64 s[0:1], 1, v8
	v_cndmask_b32_e64 v6, v2, v6, s[52:53]
	s_nop 0
	v_cndmask_b32_e64 v3, v3, 1, s[0:1]
	v_cndmask_b32_e64 v7, v3, v7, s[52:53]
	ds_write_b32 v5, v6
	ds_write_b8 v5, v7 offset:4
	; wave barrier
	ds_read2_b32 v[2:3], v5 offset0:2 offset1:4
	ds_read_u8 v8, v5 offset:12
	ds_read_u8 v9, v5 offset:20
	ds_read_b32 v13, v5 offset:24
	ds_read_u8 v14, v5 offset:28
	s_waitcnt lgkmcnt(0)
	v_add_f32_e32 v6, v6, v2
	v_cmp_eq_u16_e64 s[0:1], 0, v8
	s_nop 1
	v_cndmask_b32_e64 v2, v2, v6, s[0:1]
	v_and_b32_e32 v6, 1, v8
	v_cmp_eq_u32_e64 s[0:1], 1, v6
	s_nop 1
	v_cndmask_b32_e64 v6, v7, 1, s[0:1]
	v_add_f32_e32 v7, v2, v3
	v_cmp_eq_u16_e64 s[0:1], 0, v9
	ds_write_b8 v5, v6 offset:12
	s_nop 0
	v_cndmask_b32_e64 v3, v3, v7, s[0:1]
	v_and_b32_e32 v7, 1, v9
	v_cmp_eq_u32_e64 s[0:1], 1, v7
	s_nop 1
	v_cndmask_b32_e64 v6, v6, 1, s[0:1]
	ds_write2_b32 v5, v2, v3 offset0:2 offset1:4
	ds_write_b8 v5, v6 offset:20
	v_add_f32_e32 v2, v3, v13
	v_cmp_eq_u16_e64 s[0:1], 0, v14
	v_and_b32_e32 v3, 1, v14
	s_nop 0
	v_cndmask_b32_e64 v2, v13, v2, s[0:1]
	v_cmp_eq_u32_e64 s[0:1], 1, v3
	s_nop 1
	v_cndmask_b32_e64 v3, v6, 1, s[0:1]
	ds_write_b32 v5, v2 offset:24
	ds_write_b8 v5, v3 offset:28
.LBB1817_230:
	s_or_b64 exec, exec, s[48:49]
	s_waitcnt vmcnt(0)
	v_mov_b32_e32 v31, v4
	s_waitcnt lgkmcnt(0)
	s_barrier
	s_and_saveexec_b64 s[48:49], s[4:5]
	s_cbranch_execz .LBB1817_232
; %bb.231:
	v_add_u32_e32 v2, -1, v0
	v_lshrrev_b32_e32 v3, 5, v2
	v_add_lshl_u32 v2, v3, v2, 3
	ds_read_b32 v3, v2
	ds_read_u8 v2, v2 offset:4
	s_waitcnt lgkmcnt(1)
	v_add_f32_e32 v5, v4, v3
	s_waitcnt lgkmcnt(0)
	v_cmp_eq_u16_e64 s[0:1], 0, v2
	s_nop 1
	v_cndmask_b32_e64 v31, v3, v5, s[0:1]
.LBB1817_232:
	s_or_b64 exec, exec, s[48:49]
	v_mov_b32_e32 v5, 0
	v_add_f32_e32 v2, v50, v31
	v_cmp_eq_u16_sdwa s[0:1], v1, v5 src0_sel:BYTE_0 src1_sel:DWORD
	s_nop 1
	v_cndmask_b32_e64 v74, v50, v2, s[0:1]
	v_add_f32_e32 v1, v48, v74
	v_cndmask_b32_e32 v75, v48, v1, vcc
	v_add_f32_e32 v1, v49, v75
	v_cndmask_b32_e64 v76, v49, v1, s[6:7]
	v_add_f32_e32 v1, v46, v76
	v_cndmask_b32_e64 v77, v46, v1, s[8:9]
	;; [unrolled: 2-line block ×19, first 2 shown]
	v_add_f32_e32 v1, v30, v94
	s_and_saveexec_b64 s[0:1], s[52:53]
	s_cbranch_execz .LBB1817_234
; %bb.233:
	ds_read_b32 v2, v5 offset:2096
	ds_read_u8 v3, v5 offset:2100
	s_add_u32 s4, s64, 0x400
	s_addc_u32 s5, s65, 0
	v_mov_b64_e32 v[6:7], s[4:5]
	s_waitcnt lgkmcnt(1)
	v_add_f32_e32 v4, v4, v2
	s_waitcnt lgkmcnt(0)
	v_cmp_eq_u16_e32 vcc, 0, v3
	v_and_b32_e32 v3, 0xffff, v3
	s_nop 0
	v_cndmask_b32_e32 v2, v2, v4, vcc
	v_mov_b32_e32 v4, 2
	;;#ASMSTART
	global_store_dwordx4 v[6:7], v[2:5] off sc1	
s_waitcnt vmcnt(0)
	;;#ASMEND
.LBB1817_234:
	s_or_b64 exec, exec, s[0:1]
	v_cndmask_b32_e64 v95, v30, v1, s[16:17]
.LBB1817_235:
	s_add_u32 s0, s62, s54
	s_addc_u32 s1, s63, s55
	v_lshl_add_u64 v[2:3], s[0:1], 0, v[10:11]
	s_and_b64 vcc, exec, s[2:3]
	s_cbranch_vccz .LBB1817_281
; %bb.236:
	s_movk_i32 s0, 0x5c
	v_mul_i32_i24_e32 v30, 0xffffffa8, v0
	v_mul_u32_u24_e32 v1, 0x5c, v0
	v_mad_u32_u24 v4, v0, s0, v30
	s_barrier
	ds_write2_b32 v1, v31, v74 offset1:1
	s_waitcnt vmcnt(0)
	ds_write2_b32 v1, v75, v76 offset0:2 offset1:3
	ds_write2_b32 v1, v77, v78 offset0:4 offset1:5
	;; [unrolled: 1-line block ×10, first 2 shown]
	ds_write_b32 v1, v95 offset:88
	s_waitcnt lgkmcnt(0)
	s_barrier
	ds_read2st64_b32 v[28:29], v4 offset0:4 offset1:8
	ds_read2st64_b32 v[26:27], v4 offset0:12 offset1:16
	;; [unrolled: 1-line block ×11, first 2 shown]
	s_add_i32 s33, s33, s66
	v_mov_b32_e32 v13, 0
	v_lshl_add_u64 v[6:7], v[2:3], 0, v[12:13]
	v_cmp_gt_u32_e32 vcc, s33, v0
	s_and_saveexec_b64 s[0:1], vcc
	s_cbranch_execz .LBB1817_238
; %bb.237:
	v_add_u32_e32 v1, v1, v30
	ds_read_b32 v1, v1
	s_waitcnt lgkmcnt(0)
	v_cvt_i32_f32_e32 v1, v1
	flat_store_dword v[6:7], v1
.LBB1817_238:
	s_or_b64 exec, exec, s[0:1]
	v_or_b32_e32 v1, 0x100, v0
	v_cmp_gt_u32_e32 vcc, s33, v1
	s_and_saveexec_b64 s[0:1], vcc
	s_cbranch_execz .LBB1817_240
; %bb.239:
	s_waitcnt lgkmcnt(0)
	v_cvt_i32_f32_e32 v1, v28
	flat_store_dword v[6:7], v1 offset:1024
.LBB1817_240:
	s_or_b64 exec, exec, s[0:1]
	v_or_b32_e32 v1, 0x200, v0
	v_cmp_gt_u32_e32 vcc, s33, v1
	s_and_saveexec_b64 s[0:1], vcc
	s_cbranch_execz .LBB1817_242
; %bb.241:
	s_waitcnt lgkmcnt(0)
	v_cvt_i32_f32_e32 v1, v29
	flat_store_dword v[6:7], v1 offset:2048
.LBB1817_242:
	s_or_b64 exec, exec, s[0:1]
	v_or_b32_e32 v1, 0x300, v0
	v_cmp_gt_u32_e32 vcc, s33, v1
	s_and_saveexec_b64 s[0:1], vcc
	s_cbranch_execz .LBB1817_244
; %bb.243:
	s_waitcnt lgkmcnt(0)
	v_cvt_i32_f32_e32 v1, v26
	flat_store_dword v[6:7], v1 offset:3072
.LBB1817_244:
	s_or_b64 exec, exec, s[0:1]
	v_or_b32_e32 v1, 0x400, v0
	v_cmp_gt_u32_e32 vcc, s33, v1
	s_and_saveexec_b64 s[0:1], vcc
	s_cbranch_execz .LBB1817_246
; %bb.245:
	s_waitcnt lgkmcnt(0)
	v_cvt_i32_f32_e32 v1, v27
	v_add_co_u32_e32 v26, vcc, 0x1000, v6
	s_nop 1
	v_addc_co_u32_e32 v27, vcc, 0, v7, vcc
	flat_store_dword v[26:27], v1
.LBB1817_246:
	s_or_b64 exec, exec, s[0:1]
	v_or_b32_e32 v1, 0x500, v0
	v_cmp_gt_u32_e32 vcc, s33, v1
	s_and_saveexec_b64 s[0:1], vcc
	s_cbranch_execz .LBB1817_248
; %bb.247:
	s_waitcnt lgkmcnt(0)
	v_cvt_i32_f32_e32 v1, v24
	v_add_co_u32_e32 v26, vcc, 0x1000, v6
	s_nop 1
	v_addc_co_u32_e32 v27, vcc, 0, v7, vcc
	flat_store_dword v[26:27], v1 offset:1024
.LBB1817_248:
	s_or_b64 exec, exec, s[0:1]
	v_or_b32_e32 v1, 0x600, v0
	v_cmp_gt_u32_e32 vcc, s33, v1
	s_and_saveexec_b64 s[0:1], vcc
	s_cbranch_execz .LBB1817_250
; %bb.249:
	s_waitcnt lgkmcnt(0)
	v_cvt_i32_f32_e32 v1, v25
	v_add_co_u32_e32 v24, vcc, 0x1000, v6
	s_nop 1
	v_addc_co_u32_e32 v25, vcc, 0, v7, vcc
	flat_store_dword v[24:25], v1 offset:2048
.LBB1817_250:
	s_or_b64 exec, exec, s[0:1]
	v_or_b32_e32 v1, 0x700, v0
	v_cmp_gt_u32_e32 vcc, s33, v1
	s_and_saveexec_b64 s[0:1], vcc
	s_cbranch_execz .LBB1817_252
; %bb.251:
	s_waitcnt lgkmcnt(0)
	v_cvt_i32_f32_e32 v1, v22
	v_add_co_u32_e32 v24, vcc, 0x1000, v6
	s_nop 1
	v_addc_co_u32_e32 v25, vcc, 0, v7, vcc
	flat_store_dword v[24:25], v1 offset:3072
.LBB1817_252:
	s_or_b64 exec, exec, s[0:1]
	v_or_b32_e32 v1, 0x800, v0
	v_cmp_gt_u32_e32 vcc, s33, v1
	s_and_saveexec_b64 s[0:1], vcc
	s_cbranch_execz .LBB1817_254
; %bb.253:
	s_waitcnt lgkmcnt(0)
	v_cvt_i32_f32_e32 v1, v23
	v_add_co_u32_e32 v22, vcc, 0x2000, v6
	s_nop 1
	v_addc_co_u32_e32 v23, vcc, 0, v7, vcc
	flat_store_dword v[22:23], v1
.LBB1817_254:
	s_or_b64 exec, exec, s[0:1]
	v_or_b32_e32 v1, 0x900, v0
	v_cmp_gt_u32_e32 vcc, s33, v1
	s_and_saveexec_b64 s[0:1], vcc
	s_cbranch_execz .LBB1817_256
; %bb.255:
	s_waitcnt lgkmcnt(0)
	v_cvt_i32_f32_e32 v1, v20
	v_add_co_u32_e32 v22, vcc, 0x2000, v6
	s_nop 1
	v_addc_co_u32_e32 v23, vcc, 0, v7, vcc
	flat_store_dword v[22:23], v1 offset:1024
.LBB1817_256:
	s_or_b64 exec, exec, s[0:1]
	v_or_b32_e32 v1, 0xa00, v0
	v_cmp_gt_u32_e32 vcc, s33, v1
	s_and_saveexec_b64 s[0:1], vcc
	s_cbranch_execz .LBB1817_258
; %bb.257:
	s_waitcnt lgkmcnt(0)
	v_cvt_i32_f32_e32 v1, v21
	v_add_co_u32_e32 v20, vcc, 0x2000, v6
	s_nop 1
	v_addc_co_u32_e32 v21, vcc, 0, v7, vcc
	flat_store_dword v[20:21], v1 offset:2048
.LBB1817_258:
	s_or_b64 exec, exec, s[0:1]
	v_or_b32_e32 v1, 0xb00, v0
	v_cmp_gt_u32_e32 vcc, s33, v1
	s_and_saveexec_b64 s[0:1], vcc
	s_cbranch_execz .LBB1817_260
; %bb.259:
	s_waitcnt lgkmcnt(0)
	v_cvt_i32_f32_e32 v1, v18
	v_add_co_u32_e32 v20, vcc, 0x2000, v6
	s_nop 1
	v_addc_co_u32_e32 v21, vcc, 0, v7, vcc
	flat_store_dword v[20:21], v1 offset:3072
.LBB1817_260:
	;; [unrolled: 52-line block ×4, first 2 shown]
	s_or_b64 exec, exec, s[0:1]
	v_or_b32_e32 v1, 0x1400, v0
	v_cmp_gt_u32_e32 vcc, s33, v1
	s_and_saveexec_b64 s[0:1], vcc
	s_cbranch_execz .LBB1817_278
; %bb.277:
	s_waitcnt lgkmcnt(0)
	v_cvt_i32_f32_e32 v1, v9
	v_add_co_u32_e32 v8, vcc, 0x5000, v6
	s_nop 1
	v_addc_co_u32_e32 v9, vcc, 0, v7, vcc
	flat_store_dword v[8:9], v1
.LBB1817_278:
	s_or_b64 exec, exec, s[0:1]
	v_or_b32_e32 v1, 0x1500, v0
	v_cmp_gt_u32_e32 vcc, s33, v1
	s_and_saveexec_b64 s[0:1], vcc
	s_cbranch_execz .LBB1817_280
; %bb.279:
	s_waitcnt lgkmcnt(0)
	v_cvt_i32_f32_e32 v1, v4
	v_add_co_u32_e32 v6, vcc, 0x5000, v6
	s_nop 1
	v_addc_co_u32_e32 v7, vcc, 0, v7, vcc
	flat_store_dword v[6:7], v1 offset:1024
.LBB1817_280:
	s_or_b64 exec, exec, s[0:1]
	s_waitcnt lgkmcnt(0)
	v_or_b32_e32 v4, 0x1600, v0
	v_mov_b32_e32 v1, v13
	v_cmp_gt_u32_e64 s[0:1], s33, v4
	s_branch .LBB1817_283
.LBB1817_281:
	s_mov_b64 s[0:1], 0
                                        ; implicit-def: $vgpr5
	s_cbranch_execz .LBB1817_283
; %bb.282:
	s_movk_i32 s2, 0x5c
	v_mul_i32_i24_e32 v4, 0xffffffa8, v0
	v_mul_u32_u24_e32 v1, 0x5c, v0
	v_mad_u32_u24 v4, v0, s2, v4
	s_barrier
	ds_write2_b32 v1, v31, v74 offset1:1
	s_waitcnt vmcnt(0)
	ds_write2_b32 v1, v75, v76 offset0:2 offset1:3
	ds_write2_b32 v1, v77, v78 offset0:4 offset1:5
	;; [unrolled: 1-line block ×10, first 2 shown]
	ds_write_b32 v1, v95 offset:88
	s_waitcnt lgkmcnt(0)
	s_barrier
	ds_read2st64_b32 v[6:7], v4 offset1:4
	ds_read2st64_b32 v[8:9], v4 offset0:8 offset1:12
	ds_read2st64_b32 v[10:11], v4 offset0:16 offset1:20
	ds_read2st64_b32 v[14:15], v4 offset0:24 offset1:28
	ds_read2st64_b32 v[16:17], v4 offset0:32 offset1:36
	ds_read2st64_b32 v[18:19], v4 offset0:40 offset1:44
	ds_read2st64_b32 v[20:21], v4 offset0:48 offset1:52
	ds_read2st64_b32 v[22:23], v4 offset0:56 offset1:60
	ds_read2st64_b32 v[24:25], v4 offset0:64 offset1:68
	ds_read2st64_b32 v[26:27], v4 offset0:72 offset1:76
	ds_read2st64_b32 v[28:29], v4 offset0:80 offset1:84
	ds_read_b32 v5, v4 offset:22528
	s_waitcnt lgkmcnt(11)
	v_cvt_i32_f32_e32 v4, v6
	v_mov_b32_e32 v1, 0
	v_cvt_i32_f32_e32 v6, v7
	v_mov_b32_e32 v13, v1
	s_waitcnt lgkmcnt(10)
	v_cvt_i32_f32_e32 v7, v8
	v_lshl_add_u64 v[12:13], v[2:3], 0, v[12:13]
	v_cvt_i32_f32_e32 v8, v9
	flat_store_dword v[12:13], v4
	flat_store_dword v[12:13], v6 offset:1024
	flat_store_dword v[12:13], v7 offset:2048
	flat_store_dword v[12:13], v8 offset:3072
	s_waitcnt lgkmcnt(0)
	v_cvt_i32_f32_e32 v4, v10
	s_movk_i32 s2, 0x1000
	v_cvt_i32_f32_e32 v8, v11
	v_add_co_u32_e32 v6, vcc, s2, v12
	v_cvt_i32_f32_e32 v9, v14
	s_nop 0
	v_addc_co_u32_e32 v7, vcc, 0, v13, vcc
	v_cvt_i32_f32_e32 v10, v15
	flat_store_dword v[6:7], v4
	flat_store_dword v[6:7], v8 offset:1024
	flat_store_dword v[6:7], v9 offset:2048
	flat_store_dword v[6:7], v10 offset:3072
	v_cvt_i32_f32_e32 v4, v16
	s_movk_i32 s2, 0x2000
	v_cvt_i32_f32_e32 v8, v17
	v_add_co_u32_e32 v6, vcc, s2, v12
	v_cvt_i32_f32_e32 v9, v18
	s_nop 0
	v_addc_co_u32_e32 v7, vcc, 0, v13, vcc
	v_cvt_i32_f32_e32 v10, v19
	flat_store_dword v[6:7], v4
	flat_store_dword v[6:7], v8 offset:1024
	flat_store_dword v[6:7], v9 offset:2048
	flat_store_dword v[6:7], v10 offset:3072
	;; [unrolled: 12-line block ×4, first 2 shown]
	v_cvt_i32_f32_e32 v4, v28
	v_cvt_i32_f32_e32 v8, v29
	v_add_co_u32_e32 v6, vcc, 0x5000, v12
	s_or_b64 s[0:1], s[0:1], exec
	s_nop 0
	v_addc_co_u32_e32 v7, vcc, 0, v13, vcc
	flat_store_dword v[6:7], v4
	flat_store_dword v[6:7], v8 offset:1024
.LBB1817_283:
	s_and_saveexec_b64 s[2:3], s[0:1]
	s_cbranch_execz .LBB1817_285
; %bb.284:
	v_lshl_add_u64 v[0:1], v[0:1], 2, v[2:3]
	v_cvt_i32_f32_e32 v2, v5
	v_add_co_u32_e32 v0, vcc, 0x5000, v0
	s_nop 1
	v_addc_co_u32_e32 v1, vcc, 0, v1, vcc
	flat_store_dword v[0:1], v2 offset:2048
	s_endpgm
.LBB1817_285:
	s_endpgm
	.section	.rodata,"a",@progbits
	.p2align	6, 0x0
	.amdhsa_kernel _ZN7rocprim17ROCPRIM_400000_NS6detail17trampoline_kernelINS0_14default_configENS1_27scan_by_key_config_selectorIifEEZZNS1_16scan_by_key_implILNS1_25lookback_scan_determinismE0ELb1ES3_N6thrust23THRUST_200600_302600_NS6detail15normal_iteratorINS9_10device_ptrIiEEEENSB_INSC_IjEEEESE_fNS9_4plusIvEENS9_8equal_toIvEEfEE10hipError_tPvRmT2_T3_T4_T5_mT6_T7_P12ihipStream_tbENKUlT_T0_E_clISt17integral_constantIbLb0EES10_IbLb1EEEEDaSW_SX_EUlSW_E_NS1_11comp_targetILNS1_3genE5ELNS1_11target_archE942ELNS1_3gpuE9ELNS1_3repE0EEENS1_30default_config_static_selectorELNS0_4arch9wavefront6targetE1EEEvT1_
		.amdhsa_group_segment_fixed_size 25600
		.amdhsa_private_segment_fixed_size 0
		.amdhsa_kernarg_size 112
		.amdhsa_user_sgpr_count 2
		.amdhsa_user_sgpr_dispatch_ptr 0
		.amdhsa_user_sgpr_queue_ptr 0
		.amdhsa_user_sgpr_kernarg_segment_ptr 1
		.amdhsa_user_sgpr_dispatch_id 0
		.amdhsa_user_sgpr_kernarg_preload_length 0
		.amdhsa_user_sgpr_kernarg_preload_offset 0
		.amdhsa_user_sgpr_private_segment_size 0
		.amdhsa_uses_dynamic_stack 0
		.amdhsa_enable_private_segment 0
		.amdhsa_system_sgpr_workgroup_id_x 1
		.amdhsa_system_sgpr_workgroup_id_y 0
		.amdhsa_system_sgpr_workgroup_id_z 0
		.amdhsa_system_sgpr_workgroup_info 0
		.amdhsa_system_vgpr_workitem_id 0
		.amdhsa_next_free_vgpr 96
		.amdhsa_next_free_sgpr 80
		.amdhsa_accum_offset 96
		.amdhsa_reserve_vcc 1
		.amdhsa_float_round_mode_32 0
		.amdhsa_float_round_mode_16_64 0
		.amdhsa_float_denorm_mode_32 3
		.amdhsa_float_denorm_mode_16_64 3
		.amdhsa_dx10_clamp 1
		.amdhsa_ieee_mode 1
		.amdhsa_fp16_overflow 0
		.amdhsa_tg_split 0
		.amdhsa_exception_fp_ieee_invalid_op 0
		.amdhsa_exception_fp_denorm_src 0
		.amdhsa_exception_fp_ieee_div_zero 0
		.amdhsa_exception_fp_ieee_overflow 0
		.amdhsa_exception_fp_ieee_underflow 0
		.amdhsa_exception_fp_ieee_inexact 0
		.amdhsa_exception_int_div_zero 0
	.end_amdhsa_kernel
	.section	.text._ZN7rocprim17ROCPRIM_400000_NS6detail17trampoline_kernelINS0_14default_configENS1_27scan_by_key_config_selectorIifEEZZNS1_16scan_by_key_implILNS1_25lookback_scan_determinismE0ELb1ES3_N6thrust23THRUST_200600_302600_NS6detail15normal_iteratorINS9_10device_ptrIiEEEENSB_INSC_IjEEEESE_fNS9_4plusIvEENS9_8equal_toIvEEfEE10hipError_tPvRmT2_T3_T4_T5_mT6_T7_P12ihipStream_tbENKUlT_T0_E_clISt17integral_constantIbLb0EES10_IbLb1EEEEDaSW_SX_EUlSW_E_NS1_11comp_targetILNS1_3genE5ELNS1_11target_archE942ELNS1_3gpuE9ELNS1_3repE0EEENS1_30default_config_static_selectorELNS0_4arch9wavefront6targetE1EEEvT1_,"axG",@progbits,_ZN7rocprim17ROCPRIM_400000_NS6detail17trampoline_kernelINS0_14default_configENS1_27scan_by_key_config_selectorIifEEZZNS1_16scan_by_key_implILNS1_25lookback_scan_determinismE0ELb1ES3_N6thrust23THRUST_200600_302600_NS6detail15normal_iteratorINS9_10device_ptrIiEEEENSB_INSC_IjEEEESE_fNS9_4plusIvEENS9_8equal_toIvEEfEE10hipError_tPvRmT2_T3_T4_T5_mT6_T7_P12ihipStream_tbENKUlT_T0_E_clISt17integral_constantIbLb0EES10_IbLb1EEEEDaSW_SX_EUlSW_E_NS1_11comp_targetILNS1_3genE5ELNS1_11target_archE942ELNS1_3gpuE9ELNS1_3repE0EEENS1_30default_config_static_selectorELNS0_4arch9wavefront6targetE1EEEvT1_,comdat
.Lfunc_end1817:
	.size	_ZN7rocprim17ROCPRIM_400000_NS6detail17trampoline_kernelINS0_14default_configENS1_27scan_by_key_config_selectorIifEEZZNS1_16scan_by_key_implILNS1_25lookback_scan_determinismE0ELb1ES3_N6thrust23THRUST_200600_302600_NS6detail15normal_iteratorINS9_10device_ptrIiEEEENSB_INSC_IjEEEESE_fNS9_4plusIvEENS9_8equal_toIvEEfEE10hipError_tPvRmT2_T3_T4_T5_mT6_T7_P12ihipStream_tbENKUlT_T0_E_clISt17integral_constantIbLb0EES10_IbLb1EEEEDaSW_SX_EUlSW_E_NS1_11comp_targetILNS1_3genE5ELNS1_11target_archE942ELNS1_3gpuE9ELNS1_3repE0EEENS1_30default_config_static_selectorELNS0_4arch9wavefront6targetE1EEEvT1_, .Lfunc_end1817-_ZN7rocprim17ROCPRIM_400000_NS6detail17trampoline_kernelINS0_14default_configENS1_27scan_by_key_config_selectorIifEEZZNS1_16scan_by_key_implILNS1_25lookback_scan_determinismE0ELb1ES3_N6thrust23THRUST_200600_302600_NS6detail15normal_iteratorINS9_10device_ptrIiEEEENSB_INSC_IjEEEESE_fNS9_4plusIvEENS9_8equal_toIvEEfEE10hipError_tPvRmT2_T3_T4_T5_mT6_T7_P12ihipStream_tbENKUlT_T0_E_clISt17integral_constantIbLb0EES10_IbLb1EEEEDaSW_SX_EUlSW_E_NS1_11comp_targetILNS1_3genE5ELNS1_11target_archE942ELNS1_3gpuE9ELNS1_3repE0EEENS1_30default_config_static_selectorELNS0_4arch9wavefront6targetE1EEEvT1_
                                        ; -- End function
	.section	.AMDGPU.csdata,"",@progbits
; Kernel info:
; codeLenInByte = 16840
; NumSgprs: 86
; NumVgprs: 96
; NumAgprs: 0
; TotalNumVgprs: 96
; ScratchSize: 0
; MemoryBound: 0
; FloatMode: 240
; IeeeMode: 1
; LDSByteSize: 25600 bytes/workgroup (compile time only)
; SGPRBlocks: 10
; VGPRBlocks: 11
; NumSGPRsForWavesPerEU: 86
; NumVGPRsForWavesPerEU: 96
; AccumOffset: 96
; Occupancy: 2
; WaveLimiterHint : 1
; COMPUTE_PGM_RSRC2:SCRATCH_EN: 0
; COMPUTE_PGM_RSRC2:USER_SGPR: 2
; COMPUTE_PGM_RSRC2:TRAP_HANDLER: 0
; COMPUTE_PGM_RSRC2:TGID_X_EN: 1
; COMPUTE_PGM_RSRC2:TGID_Y_EN: 0
; COMPUTE_PGM_RSRC2:TGID_Z_EN: 0
; COMPUTE_PGM_RSRC2:TIDIG_COMP_CNT: 0
; COMPUTE_PGM_RSRC3_GFX90A:ACCUM_OFFSET: 23
; COMPUTE_PGM_RSRC3_GFX90A:TG_SPLIT: 0
	.section	.text._ZN7rocprim17ROCPRIM_400000_NS6detail17trampoline_kernelINS0_14default_configENS1_27scan_by_key_config_selectorIifEEZZNS1_16scan_by_key_implILNS1_25lookback_scan_determinismE0ELb1ES3_N6thrust23THRUST_200600_302600_NS6detail15normal_iteratorINS9_10device_ptrIiEEEENSB_INSC_IjEEEESE_fNS9_4plusIvEENS9_8equal_toIvEEfEE10hipError_tPvRmT2_T3_T4_T5_mT6_T7_P12ihipStream_tbENKUlT_T0_E_clISt17integral_constantIbLb0EES10_IbLb1EEEEDaSW_SX_EUlSW_E_NS1_11comp_targetILNS1_3genE4ELNS1_11target_archE910ELNS1_3gpuE8ELNS1_3repE0EEENS1_30default_config_static_selectorELNS0_4arch9wavefront6targetE1EEEvT1_,"axG",@progbits,_ZN7rocprim17ROCPRIM_400000_NS6detail17trampoline_kernelINS0_14default_configENS1_27scan_by_key_config_selectorIifEEZZNS1_16scan_by_key_implILNS1_25lookback_scan_determinismE0ELb1ES3_N6thrust23THRUST_200600_302600_NS6detail15normal_iteratorINS9_10device_ptrIiEEEENSB_INSC_IjEEEESE_fNS9_4plusIvEENS9_8equal_toIvEEfEE10hipError_tPvRmT2_T3_T4_T5_mT6_T7_P12ihipStream_tbENKUlT_T0_E_clISt17integral_constantIbLb0EES10_IbLb1EEEEDaSW_SX_EUlSW_E_NS1_11comp_targetILNS1_3genE4ELNS1_11target_archE910ELNS1_3gpuE8ELNS1_3repE0EEENS1_30default_config_static_selectorELNS0_4arch9wavefront6targetE1EEEvT1_,comdat
	.protected	_ZN7rocprim17ROCPRIM_400000_NS6detail17trampoline_kernelINS0_14default_configENS1_27scan_by_key_config_selectorIifEEZZNS1_16scan_by_key_implILNS1_25lookback_scan_determinismE0ELb1ES3_N6thrust23THRUST_200600_302600_NS6detail15normal_iteratorINS9_10device_ptrIiEEEENSB_INSC_IjEEEESE_fNS9_4plusIvEENS9_8equal_toIvEEfEE10hipError_tPvRmT2_T3_T4_T5_mT6_T7_P12ihipStream_tbENKUlT_T0_E_clISt17integral_constantIbLb0EES10_IbLb1EEEEDaSW_SX_EUlSW_E_NS1_11comp_targetILNS1_3genE4ELNS1_11target_archE910ELNS1_3gpuE8ELNS1_3repE0EEENS1_30default_config_static_selectorELNS0_4arch9wavefront6targetE1EEEvT1_ ; -- Begin function _ZN7rocprim17ROCPRIM_400000_NS6detail17trampoline_kernelINS0_14default_configENS1_27scan_by_key_config_selectorIifEEZZNS1_16scan_by_key_implILNS1_25lookback_scan_determinismE0ELb1ES3_N6thrust23THRUST_200600_302600_NS6detail15normal_iteratorINS9_10device_ptrIiEEEENSB_INSC_IjEEEESE_fNS9_4plusIvEENS9_8equal_toIvEEfEE10hipError_tPvRmT2_T3_T4_T5_mT6_T7_P12ihipStream_tbENKUlT_T0_E_clISt17integral_constantIbLb0EES10_IbLb1EEEEDaSW_SX_EUlSW_E_NS1_11comp_targetILNS1_3genE4ELNS1_11target_archE910ELNS1_3gpuE8ELNS1_3repE0EEENS1_30default_config_static_selectorELNS0_4arch9wavefront6targetE1EEEvT1_
	.globl	_ZN7rocprim17ROCPRIM_400000_NS6detail17trampoline_kernelINS0_14default_configENS1_27scan_by_key_config_selectorIifEEZZNS1_16scan_by_key_implILNS1_25lookback_scan_determinismE0ELb1ES3_N6thrust23THRUST_200600_302600_NS6detail15normal_iteratorINS9_10device_ptrIiEEEENSB_INSC_IjEEEESE_fNS9_4plusIvEENS9_8equal_toIvEEfEE10hipError_tPvRmT2_T3_T4_T5_mT6_T7_P12ihipStream_tbENKUlT_T0_E_clISt17integral_constantIbLb0EES10_IbLb1EEEEDaSW_SX_EUlSW_E_NS1_11comp_targetILNS1_3genE4ELNS1_11target_archE910ELNS1_3gpuE8ELNS1_3repE0EEENS1_30default_config_static_selectorELNS0_4arch9wavefront6targetE1EEEvT1_
	.p2align	8
	.type	_ZN7rocprim17ROCPRIM_400000_NS6detail17trampoline_kernelINS0_14default_configENS1_27scan_by_key_config_selectorIifEEZZNS1_16scan_by_key_implILNS1_25lookback_scan_determinismE0ELb1ES3_N6thrust23THRUST_200600_302600_NS6detail15normal_iteratorINS9_10device_ptrIiEEEENSB_INSC_IjEEEESE_fNS9_4plusIvEENS9_8equal_toIvEEfEE10hipError_tPvRmT2_T3_T4_T5_mT6_T7_P12ihipStream_tbENKUlT_T0_E_clISt17integral_constantIbLb0EES10_IbLb1EEEEDaSW_SX_EUlSW_E_NS1_11comp_targetILNS1_3genE4ELNS1_11target_archE910ELNS1_3gpuE8ELNS1_3repE0EEENS1_30default_config_static_selectorELNS0_4arch9wavefront6targetE1EEEvT1_,@function
_ZN7rocprim17ROCPRIM_400000_NS6detail17trampoline_kernelINS0_14default_configENS1_27scan_by_key_config_selectorIifEEZZNS1_16scan_by_key_implILNS1_25lookback_scan_determinismE0ELb1ES3_N6thrust23THRUST_200600_302600_NS6detail15normal_iteratorINS9_10device_ptrIiEEEENSB_INSC_IjEEEESE_fNS9_4plusIvEENS9_8equal_toIvEEfEE10hipError_tPvRmT2_T3_T4_T5_mT6_T7_P12ihipStream_tbENKUlT_T0_E_clISt17integral_constantIbLb0EES10_IbLb1EEEEDaSW_SX_EUlSW_E_NS1_11comp_targetILNS1_3genE4ELNS1_11target_archE910ELNS1_3gpuE8ELNS1_3repE0EEENS1_30default_config_static_selectorELNS0_4arch9wavefront6targetE1EEEvT1_: ; @_ZN7rocprim17ROCPRIM_400000_NS6detail17trampoline_kernelINS0_14default_configENS1_27scan_by_key_config_selectorIifEEZZNS1_16scan_by_key_implILNS1_25lookback_scan_determinismE0ELb1ES3_N6thrust23THRUST_200600_302600_NS6detail15normal_iteratorINS9_10device_ptrIiEEEENSB_INSC_IjEEEESE_fNS9_4plusIvEENS9_8equal_toIvEEfEE10hipError_tPvRmT2_T3_T4_T5_mT6_T7_P12ihipStream_tbENKUlT_T0_E_clISt17integral_constantIbLb0EES10_IbLb1EEEEDaSW_SX_EUlSW_E_NS1_11comp_targetILNS1_3genE4ELNS1_11target_archE910ELNS1_3gpuE8ELNS1_3repE0EEENS1_30default_config_static_selectorELNS0_4arch9wavefront6targetE1EEEvT1_
; %bb.0:
	.section	.rodata,"a",@progbits
	.p2align	6, 0x0
	.amdhsa_kernel _ZN7rocprim17ROCPRIM_400000_NS6detail17trampoline_kernelINS0_14default_configENS1_27scan_by_key_config_selectorIifEEZZNS1_16scan_by_key_implILNS1_25lookback_scan_determinismE0ELb1ES3_N6thrust23THRUST_200600_302600_NS6detail15normal_iteratorINS9_10device_ptrIiEEEENSB_INSC_IjEEEESE_fNS9_4plusIvEENS9_8equal_toIvEEfEE10hipError_tPvRmT2_T3_T4_T5_mT6_T7_P12ihipStream_tbENKUlT_T0_E_clISt17integral_constantIbLb0EES10_IbLb1EEEEDaSW_SX_EUlSW_E_NS1_11comp_targetILNS1_3genE4ELNS1_11target_archE910ELNS1_3gpuE8ELNS1_3repE0EEENS1_30default_config_static_selectorELNS0_4arch9wavefront6targetE1EEEvT1_
		.amdhsa_group_segment_fixed_size 0
		.amdhsa_private_segment_fixed_size 0
		.amdhsa_kernarg_size 112
		.amdhsa_user_sgpr_count 2
		.amdhsa_user_sgpr_dispatch_ptr 0
		.amdhsa_user_sgpr_queue_ptr 0
		.amdhsa_user_sgpr_kernarg_segment_ptr 1
		.amdhsa_user_sgpr_dispatch_id 0
		.amdhsa_user_sgpr_kernarg_preload_length 0
		.amdhsa_user_sgpr_kernarg_preload_offset 0
		.amdhsa_user_sgpr_private_segment_size 0
		.amdhsa_uses_dynamic_stack 0
		.amdhsa_enable_private_segment 0
		.amdhsa_system_sgpr_workgroup_id_x 1
		.amdhsa_system_sgpr_workgroup_id_y 0
		.amdhsa_system_sgpr_workgroup_id_z 0
		.amdhsa_system_sgpr_workgroup_info 0
		.amdhsa_system_vgpr_workitem_id 0
		.amdhsa_next_free_vgpr 1
		.amdhsa_next_free_sgpr 0
		.amdhsa_accum_offset 4
		.amdhsa_reserve_vcc 0
		.amdhsa_float_round_mode_32 0
		.amdhsa_float_round_mode_16_64 0
		.amdhsa_float_denorm_mode_32 3
		.amdhsa_float_denorm_mode_16_64 3
		.amdhsa_dx10_clamp 1
		.amdhsa_ieee_mode 1
		.amdhsa_fp16_overflow 0
		.amdhsa_tg_split 0
		.amdhsa_exception_fp_ieee_invalid_op 0
		.amdhsa_exception_fp_denorm_src 0
		.amdhsa_exception_fp_ieee_div_zero 0
		.amdhsa_exception_fp_ieee_overflow 0
		.amdhsa_exception_fp_ieee_underflow 0
		.amdhsa_exception_fp_ieee_inexact 0
		.amdhsa_exception_int_div_zero 0
	.end_amdhsa_kernel
	.section	.text._ZN7rocprim17ROCPRIM_400000_NS6detail17trampoline_kernelINS0_14default_configENS1_27scan_by_key_config_selectorIifEEZZNS1_16scan_by_key_implILNS1_25lookback_scan_determinismE0ELb1ES3_N6thrust23THRUST_200600_302600_NS6detail15normal_iteratorINS9_10device_ptrIiEEEENSB_INSC_IjEEEESE_fNS9_4plusIvEENS9_8equal_toIvEEfEE10hipError_tPvRmT2_T3_T4_T5_mT6_T7_P12ihipStream_tbENKUlT_T0_E_clISt17integral_constantIbLb0EES10_IbLb1EEEEDaSW_SX_EUlSW_E_NS1_11comp_targetILNS1_3genE4ELNS1_11target_archE910ELNS1_3gpuE8ELNS1_3repE0EEENS1_30default_config_static_selectorELNS0_4arch9wavefront6targetE1EEEvT1_,"axG",@progbits,_ZN7rocprim17ROCPRIM_400000_NS6detail17trampoline_kernelINS0_14default_configENS1_27scan_by_key_config_selectorIifEEZZNS1_16scan_by_key_implILNS1_25lookback_scan_determinismE0ELb1ES3_N6thrust23THRUST_200600_302600_NS6detail15normal_iteratorINS9_10device_ptrIiEEEENSB_INSC_IjEEEESE_fNS9_4plusIvEENS9_8equal_toIvEEfEE10hipError_tPvRmT2_T3_T4_T5_mT6_T7_P12ihipStream_tbENKUlT_T0_E_clISt17integral_constantIbLb0EES10_IbLb1EEEEDaSW_SX_EUlSW_E_NS1_11comp_targetILNS1_3genE4ELNS1_11target_archE910ELNS1_3gpuE8ELNS1_3repE0EEENS1_30default_config_static_selectorELNS0_4arch9wavefront6targetE1EEEvT1_,comdat
.Lfunc_end1818:
	.size	_ZN7rocprim17ROCPRIM_400000_NS6detail17trampoline_kernelINS0_14default_configENS1_27scan_by_key_config_selectorIifEEZZNS1_16scan_by_key_implILNS1_25lookback_scan_determinismE0ELb1ES3_N6thrust23THRUST_200600_302600_NS6detail15normal_iteratorINS9_10device_ptrIiEEEENSB_INSC_IjEEEESE_fNS9_4plusIvEENS9_8equal_toIvEEfEE10hipError_tPvRmT2_T3_T4_T5_mT6_T7_P12ihipStream_tbENKUlT_T0_E_clISt17integral_constantIbLb0EES10_IbLb1EEEEDaSW_SX_EUlSW_E_NS1_11comp_targetILNS1_3genE4ELNS1_11target_archE910ELNS1_3gpuE8ELNS1_3repE0EEENS1_30default_config_static_selectorELNS0_4arch9wavefront6targetE1EEEvT1_, .Lfunc_end1818-_ZN7rocprim17ROCPRIM_400000_NS6detail17trampoline_kernelINS0_14default_configENS1_27scan_by_key_config_selectorIifEEZZNS1_16scan_by_key_implILNS1_25lookback_scan_determinismE0ELb1ES3_N6thrust23THRUST_200600_302600_NS6detail15normal_iteratorINS9_10device_ptrIiEEEENSB_INSC_IjEEEESE_fNS9_4plusIvEENS9_8equal_toIvEEfEE10hipError_tPvRmT2_T3_T4_T5_mT6_T7_P12ihipStream_tbENKUlT_T0_E_clISt17integral_constantIbLb0EES10_IbLb1EEEEDaSW_SX_EUlSW_E_NS1_11comp_targetILNS1_3genE4ELNS1_11target_archE910ELNS1_3gpuE8ELNS1_3repE0EEENS1_30default_config_static_selectorELNS0_4arch9wavefront6targetE1EEEvT1_
                                        ; -- End function
	.section	.AMDGPU.csdata,"",@progbits
; Kernel info:
; codeLenInByte = 0
; NumSgprs: 6
; NumVgprs: 0
; NumAgprs: 0
; TotalNumVgprs: 0
; ScratchSize: 0
; MemoryBound: 0
; FloatMode: 240
; IeeeMode: 1
; LDSByteSize: 0 bytes/workgroup (compile time only)
; SGPRBlocks: 0
; VGPRBlocks: 0
; NumSGPRsForWavesPerEU: 6
; NumVGPRsForWavesPerEU: 1
; AccumOffset: 4
; Occupancy: 8
; WaveLimiterHint : 0
; COMPUTE_PGM_RSRC2:SCRATCH_EN: 0
; COMPUTE_PGM_RSRC2:USER_SGPR: 2
; COMPUTE_PGM_RSRC2:TRAP_HANDLER: 0
; COMPUTE_PGM_RSRC2:TGID_X_EN: 1
; COMPUTE_PGM_RSRC2:TGID_Y_EN: 0
; COMPUTE_PGM_RSRC2:TGID_Z_EN: 0
; COMPUTE_PGM_RSRC2:TIDIG_COMP_CNT: 0
; COMPUTE_PGM_RSRC3_GFX90A:ACCUM_OFFSET: 0
; COMPUTE_PGM_RSRC3_GFX90A:TG_SPLIT: 0
	.section	.text._ZN7rocprim17ROCPRIM_400000_NS6detail17trampoline_kernelINS0_14default_configENS1_27scan_by_key_config_selectorIifEEZZNS1_16scan_by_key_implILNS1_25lookback_scan_determinismE0ELb1ES3_N6thrust23THRUST_200600_302600_NS6detail15normal_iteratorINS9_10device_ptrIiEEEENSB_INSC_IjEEEESE_fNS9_4plusIvEENS9_8equal_toIvEEfEE10hipError_tPvRmT2_T3_T4_T5_mT6_T7_P12ihipStream_tbENKUlT_T0_E_clISt17integral_constantIbLb0EES10_IbLb1EEEEDaSW_SX_EUlSW_E_NS1_11comp_targetILNS1_3genE3ELNS1_11target_archE908ELNS1_3gpuE7ELNS1_3repE0EEENS1_30default_config_static_selectorELNS0_4arch9wavefront6targetE1EEEvT1_,"axG",@progbits,_ZN7rocprim17ROCPRIM_400000_NS6detail17trampoline_kernelINS0_14default_configENS1_27scan_by_key_config_selectorIifEEZZNS1_16scan_by_key_implILNS1_25lookback_scan_determinismE0ELb1ES3_N6thrust23THRUST_200600_302600_NS6detail15normal_iteratorINS9_10device_ptrIiEEEENSB_INSC_IjEEEESE_fNS9_4plusIvEENS9_8equal_toIvEEfEE10hipError_tPvRmT2_T3_T4_T5_mT6_T7_P12ihipStream_tbENKUlT_T0_E_clISt17integral_constantIbLb0EES10_IbLb1EEEEDaSW_SX_EUlSW_E_NS1_11comp_targetILNS1_3genE3ELNS1_11target_archE908ELNS1_3gpuE7ELNS1_3repE0EEENS1_30default_config_static_selectorELNS0_4arch9wavefront6targetE1EEEvT1_,comdat
	.protected	_ZN7rocprim17ROCPRIM_400000_NS6detail17trampoline_kernelINS0_14default_configENS1_27scan_by_key_config_selectorIifEEZZNS1_16scan_by_key_implILNS1_25lookback_scan_determinismE0ELb1ES3_N6thrust23THRUST_200600_302600_NS6detail15normal_iteratorINS9_10device_ptrIiEEEENSB_INSC_IjEEEESE_fNS9_4plusIvEENS9_8equal_toIvEEfEE10hipError_tPvRmT2_T3_T4_T5_mT6_T7_P12ihipStream_tbENKUlT_T0_E_clISt17integral_constantIbLb0EES10_IbLb1EEEEDaSW_SX_EUlSW_E_NS1_11comp_targetILNS1_3genE3ELNS1_11target_archE908ELNS1_3gpuE7ELNS1_3repE0EEENS1_30default_config_static_selectorELNS0_4arch9wavefront6targetE1EEEvT1_ ; -- Begin function _ZN7rocprim17ROCPRIM_400000_NS6detail17trampoline_kernelINS0_14default_configENS1_27scan_by_key_config_selectorIifEEZZNS1_16scan_by_key_implILNS1_25lookback_scan_determinismE0ELb1ES3_N6thrust23THRUST_200600_302600_NS6detail15normal_iteratorINS9_10device_ptrIiEEEENSB_INSC_IjEEEESE_fNS9_4plusIvEENS9_8equal_toIvEEfEE10hipError_tPvRmT2_T3_T4_T5_mT6_T7_P12ihipStream_tbENKUlT_T0_E_clISt17integral_constantIbLb0EES10_IbLb1EEEEDaSW_SX_EUlSW_E_NS1_11comp_targetILNS1_3genE3ELNS1_11target_archE908ELNS1_3gpuE7ELNS1_3repE0EEENS1_30default_config_static_selectorELNS0_4arch9wavefront6targetE1EEEvT1_
	.globl	_ZN7rocprim17ROCPRIM_400000_NS6detail17trampoline_kernelINS0_14default_configENS1_27scan_by_key_config_selectorIifEEZZNS1_16scan_by_key_implILNS1_25lookback_scan_determinismE0ELb1ES3_N6thrust23THRUST_200600_302600_NS6detail15normal_iteratorINS9_10device_ptrIiEEEENSB_INSC_IjEEEESE_fNS9_4plusIvEENS9_8equal_toIvEEfEE10hipError_tPvRmT2_T3_T4_T5_mT6_T7_P12ihipStream_tbENKUlT_T0_E_clISt17integral_constantIbLb0EES10_IbLb1EEEEDaSW_SX_EUlSW_E_NS1_11comp_targetILNS1_3genE3ELNS1_11target_archE908ELNS1_3gpuE7ELNS1_3repE0EEENS1_30default_config_static_selectorELNS0_4arch9wavefront6targetE1EEEvT1_
	.p2align	8
	.type	_ZN7rocprim17ROCPRIM_400000_NS6detail17trampoline_kernelINS0_14default_configENS1_27scan_by_key_config_selectorIifEEZZNS1_16scan_by_key_implILNS1_25lookback_scan_determinismE0ELb1ES3_N6thrust23THRUST_200600_302600_NS6detail15normal_iteratorINS9_10device_ptrIiEEEENSB_INSC_IjEEEESE_fNS9_4plusIvEENS9_8equal_toIvEEfEE10hipError_tPvRmT2_T3_T4_T5_mT6_T7_P12ihipStream_tbENKUlT_T0_E_clISt17integral_constantIbLb0EES10_IbLb1EEEEDaSW_SX_EUlSW_E_NS1_11comp_targetILNS1_3genE3ELNS1_11target_archE908ELNS1_3gpuE7ELNS1_3repE0EEENS1_30default_config_static_selectorELNS0_4arch9wavefront6targetE1EEEvT1_,@function
_ZN7rocprim17ROCPRIM_400000_NS6detail17trampoline_kernelINS0_14default_configENS1_27scan_by_key_config_selectorIifEEZZNS1_16scan_by_key_implILNS1_25lookback_scan_determinismE0ELb1ES3_N6thrust23THRUST_200600_302600_NS6detail15normal_iteratorINS9_10device_ptrIiEEEENSB_INSC_IjEEEESE_fNS9_4plusIvEENS9_8equal_toIvEEfEE10hipError_tPvRmT2_T3_T4_T5_mT6_T7_P12ihipStream_tbENKUlT_T0_E_clISt17integral_constantIbLb0EES10_IbLb1EEEEDaSW_SX_EUlSW_E_NS1_11comp_targetILNS1_3genE3ELNS1_11target_archE908ELNS1_3gpuE7ELNS1_3repE0EEENS1_30default_config_static_selectorELNS0_4arch9wavefront6targetE1EEEvT1_: ; @_ZN7rocprim17ROCPRIM_400000_NS6detail17trampoline_kernelINS0_14default_configENS1_27scan_by_key_config_selectorIifEEZZNS1_16scan_by_key_implILNS1_25lookback_scan_determinismE0ELb1ES3_N6thrust23THRUST_200600_302600_NS6detail15normal_iteratorINS9_10device_ptrIiEEEENSB_INSC_IjEEEESE_fNS9_4plusIvEENS9_8equal_toIvEEfEE10hipError_tPvRmT2_T3_T4_T5_mT6_T7_P12ihipStream_tbENKUlT_T0_E_clISt17integral_constantIbLb0EES10_IbLb1EEEEDaSW_SX_EUlSW_E_NS1_11comp_targetILNS1_3genE3ELNS1_11target_archE908ELNS1_3gpuE7ELNS1_3repE0EEENS1_30default_config_static_selectorELNS0_4arch9wavefront6targetE1EEEvT1_
; %bb.0:
	.section	.rodata,"a",@progbits
	.p2align	6, 0x0
	.amdhsa_kernel _ZN7rocprim17ROCPRIM_400000_NS6detail17trampoline_kernelINS0_14default_configENS1_27scan_by_key_config_selectorIifEEZZNS1_16scan_by_key_implILNS1_25lookback_scan_determinismE0ELb1ES3_N6thrust23THRUST_200600_302600_NS6detail15normal_iteratorINS9_10device_ptrIiEEEENSB_INSC_IjEEEESE_fNS9_4plusIvEENS9_8equal_toIvEEfEE10hipError_tPvRmT2_T3_T4_T5_mT6_T7_P12ihipStream_tbENKUlT_T0_E_clISt17integral_constantIbLb0EES10_IbLb1EEEEDaSW_SX_EUlSW_E_NS1_11comp_targetILNS1_3genE3ELNS1_11target_archE908ELNS1_3gpuE7ELNS1_3repE0EEENS1_30default_config_static_selectorELNS0_4arch9wavefront6targetE1EEEvT1_
		.amdhsa_group_segment_fixed_size 0
		.amdhsa_private_segment_fixed_size 0
		.amdhsa_kernarg_size 112
		.amdhsa_user_sgpr_count 2
		.amdhsa_user_sgpr_dispatch_ptr 0
		.amdhsa_user_sgpr_queue_ptr 0
		.amdhsa_user_sgpr_kernarg_segment_ptr 1
		.amdhsa_user_sgpr_dispatch_id 0
		.amdhsa_user_sgpr_kernarg_preload_length 0
		.amdhsa_user_sgpr_kernarg_preload_offset 0
		.amdhsa_user_sgpr_private_segment_size 0
		.amdhsa_uses_dynamic_stack 0
		.amdhsa_enable_private_segment 0
		.amdhsa_system_sgpr_workgroup_id_x 1
		.amdhsa_system_sgpr_workgroup_id_y 0
		.amdhsa_system_sgpr_workgroup_id_z 0
		.amdhsa_system_sgpr_workgroup_info 0
		.amdhsa_system_vgpr_workitem_id 0
		.amdhsa_next_free_vgpr 1
		.amdhsa_next_free_sgpr 0
		.amdhsa_accum_offset 4
		.amdhsa_reserve_vcc 0
		.amdhsa_float_round_mode_32 0
		.amdhsa_float_round_mode_16_64 0
		.amdhsa_float_denorm_mode_32 3
		.amdhsa_float_denorm_mode_16_64 3
		.amdhsa_dx10_clamp 1
		.amdhsa_ieee_mode 1
		.amdhsa_fp16_overflow 0
		.amdhsa_tg_split 0
		.amdhsa_exception_fp_ieee_invalid_op 0
		.amdhsa_exception_fp_denorm_src 0
		.amdhsa_exception_fp_ieee_div_zero 0
		.amdhsa_exception_fp_ieee_overflow 0
		.amdhsa_exception_fp_ieee_underflow 0
		.amdhsa_exception_fp_ieee_inexact 0
		.amdhsa_exception_int_div_zero 0
	.end_amdhsa_kernel
	.section	.text._ZN7rocprim17ROCPRIM_400000_NS6detail17trampoline_kernelINS0_14default_configENS1_27scan_by_key_config_selectorIifEEZZNS1_16scan_by_key_implILNS1_25lookback_scan_determinismE0ELb1ES3_N6thrust23THRUST_200600_302600_NS6detail15normal_iteratorINS9_10device_ptrIiEEEENSB_INSC_IjEEEESE_fNS9_4plusIvEENS9_8equal_toIvEEfEE10hipError_tPvRmT2_T3_T4_T5_mT6_T7_P12ihipStream_tbENKUlT_T0_E_clISt17integral_constantIbLb0EES10_IbLb1EEEEDaSW_SX_EUlSW_E_NS1_11comp_targetILNS1_3genE3ELNS1_11target_archE908ELNS1_3gpuE7ELNS1_3repE0EEENS1_30default_config_static_selectorELNS0_4arch9wavefront6targetE1EEEvT1_,"axG",@progbits,_ZN7rocprim17ROCPRIM_400000_NS6detail17trampoline_kernelINS0_14default_configENS1_27scan_by_key_config_selectorIifEEZZNS1_16scan_by_key_implILNS1_25lookback_scan_determinismE0ELb1ES3_N6thrust23THRUST_200600_302600_NS6detail15normal_iteratorINS9_10device_ptrIiEEEENSB_INSC_IjEEEESE_fNS9_4plusIvEENS9_8equal_toIvEEfEE10hipError_tPvRmT2_T3_T4_T5_mT6_T7_P12ihipStream_tbENKUlT_T0_E_clISt17integral_constantIbLb0EES10_IbLb1EEEEDaSW_SX_EUlSW_E_NS1_11comp_targetILNS1_3genE3ELNS1_11target_archE908ELNS1_3gpuE7ELNS1_3repE0EEENS1_30default_config_static_selectorELNS0_4arch9wavefront6targetE1EEEvT1_,comdat
.Lfunc_end1819:
	.size	_ZN7rocprim17ROCPRIM_400000_NS6detail17trampoline_kernelINS0_14default_configENS1_27scan_by_key_config_selectorIifEEZZNS1_16scan_by_key_implILNS1_25lookback_scan_determinismE0ELb1ES3_N6thrust23THRUST_200600_302600_NS6detail15normal_iteratorINS9_10device_ptrIiEEEENSB_INSC_IjEEEESE_fNS9_4plusIvEENS9_8equal_toIvEEfEE10hipError_tPvRmT2_T3_T4_T5_mT6_T7_P12ihipStream_tbENKUlT_T0_E_clISt17integral_constantIbLb0EES10_IbLb1EEEEDaSW_SX_EUlSW_E_NS1_11comp_targetILNS1_3genE3ELNS1_11target_archE908ELNS1_3gpuE7ELNS1_3repE0EEENS1_30default_config_static_selectorELNS0_4arch9wavefront6targetE1EEEvT1_, .Lfunc_end1819-_ZN7rocprim17ROCPRIM_400000_NS6detail17trampoline_kernelINS0_14default_configENS1_27scan_by_key_config_selectorIifEEZZNS1_16scan_by_key_implILNS1_25lookback_scan_determinismE0ELb1ES3_N6thrust23THRUST_200600_302600_NS6detail15normal_iteratorINS9_10device_ptrIiEEEENSB_INSC_IjEEEESE_fNS9_4plusIvEENS9_8equal_toIvEEfEE10hipError_tPvRmT2_T3_T4_T5_mT6_T7_P12ihipStream_tbENKUlT_T0_E_clISt17integral_constantIbLb0EES10_IbLb1EEEEDaSW_SX_EUlSW_E_NS1_11comp_targetILNS1_3genE3ELNS1_11target_archE908ELNS1_3gpuE7ELNS1_3repE0EEENS1_30default_config_static_selectorELNS0_4arch9wavefront6targetE1EEEvT1_
                                        ; -- End function
	.section	.AMDGPU.csdata,"",@progbits
; Kernel info:
; codeLenInByte = 0
; NumSgprs: 6
; NumVgprs: 0
; NumAgprs: 0
; TotalNumVgprs: 0
; ScratchSize: 0
; MemoryBound: 0
; FloatMode: 240
; IeeeMode: 1
; LDSByteSize: 0 bytes/workgroup (compile time only)
; SGPRBlocks: 0
; VGPRBlocks: 0
; NumSGPRsForWavesPerEU: 6
; NumVGPRsForWavesPerEU: 1
; AccumOffset: 4
; Occupancy: 8
; WaveLimiterHint : 0
; COMPUTE_PGM_RSRC2:SCRATCH_EN: 0
; COMPUTE_PGM_RSRC2:USER_SGPR: 2
; COMPUTE_PGM_RSRC2:TRAP_HANDLER: 0
; COMPUTE_PGM_RSRC2:TGID_X_EN: 1
; COMPUTE_PGM_RSRC2:TGID_Y_EN: 0
; COMPUTE_PGM_RSRC2:TGID_Z_EN: 0
; COMPUTE_PGM_RSRC2:TIDIG_COMP_CNT: 0
; COMPUTE_PGM_RSRC3_GFX90A:ACCUM_OFFSET: 0
; COMPUTE_PGM_RSRC3_GFX90A:TG_SPLIT: 0
	.section	.text._ZN7rocprim17ROCPRIM_400000_NS6detail17trampoline_kernelINS0_14default_configENS1_27scan_by_key_config_selectorIifEEZZNS1_16scan_by_key_implILNS1_25lookback_scan_determinismE0ELb1ES3_N6thrust23THRUST_200600_302600_NS6detail15normal_iteratorINS9_10device_ptrIiEEEENSB_INSC_IjEEEESE_fNS9_4plusIvEENS9_8equal_toIvEEfEE10hipError_tPvRmT2_T3_T4_T5_mT6_T7_P12ihipStream_tbENKUlT_T0_E_clISt17integral_constantIbLb0EES10_IbLb1EEEEDaSW_SX_EUlSW_E_NS1_11comp_targetILNS1_3genE2ELNS1_11target_archE906ELNS1_3gpuE6ELNS1_3repE0EEENS1_30default_config_static_selectorELNS0_4arch9wavefront6targetE1EEEvT1_,"axG",@progbits,_ZN7rocprim17ROCPRIM_400000_NS6detail17trampoline_kernelINS0_14default_configENS1_27scan_by_key_config_selectorIifEEZZNS1_16scan_by_key_implILNS1_25lookback_scan_determinismE0ELb1ES3_N6thrust23THRUST_200600_302600_NS6detail15normal_iteratorINS9_10device_ptrIiEEEENSB_INSC_IjEEEESE_fNS9_4plusIvEENS9_8equal_toIvEEfEE10hipError_tPvRmT2_T3_T4_T5_mT6_T7_P12ihipStream_tbENKUlT_T0_E_clISt17integral_constantIbLb0EES10_IbLb1EEEEDaSW_SX_EUlSW_E_NS1_11comp_targetILNS1_3genE2ELNS1_11target_archE906ELNS1_3gpuE6ELNS1_3repE0EEENS1_30default_config_static_selectorELNS0_4arch9wavefront6targetE1EEEvT1_,comdat
	.protected	_ZN7rocprim17ROCPRIM_400000_NS6detail17trampoline_kernelINS0_14default_configENS1_27scan_by_key_config_selectorIifEEZZNS1_16scan_by_key_implILNS1_25lookback_scan_determinismE0ELb1ES3_N6thrust23THRUST_200600_302600_NS6detail15normal_iteratorINS9_10device_ptrIiEEEENSB_INSC_IjEEEESE_fNS9_4plusIvEENS9_8equal_toIvEEfEE10hipError_tPvRmT2_T3_T4_T5_mT6_T7_P12ihipStream_tbENKUlT_T0_E_clISt17integral_constantIbLb0EES10_IbLb1EEEEDaSW_SX_EUlSW_E_NS1_11comp_targetILNS1_3genE2ELNS1_11target_archE906ELNS1_3gpuE6ELNS1_3repE0EEENS1_30default_config_static_selectorELNS0_4arch9wavefront6targetE1EEEvT1_ ; -- Begin function _ZN7rocprim17ROCPRIM_400000_NS6detail17trampoline_kernelINS0_14default_configENS1_27scan_by_key_config_selectorIifEEZZNS1_16scan_by_key_implILNS1_25lookback_scan_determinismE0ELb1ES3_N6thrust23THRUST_200600_302600_NS6detail15normal_iteratorINS9_10device_ptrIiEEEENSB_INSC_IjEEEESE_fNS9_4plusIvEENS9_8equal_toIvEEfEE10hipError_tPvRmT2_T3_T4_T5_mT6_T7_P12ihipStream_tbENKUlT_T0_E_clISt17integral_constantIbLb0EES10_IbLb1EEEEDaSW_SX_EUlSW_E_NS1_11comp_targetILNS1_3genE2ELNS1_11target_archE906ELNS1_3gpuE6ELNS1_3repE0EEENS1_30default_config_static_selectorELNS0_4arch9wavefront6targetE1EEEvT1_
	.globl	_ZN7rocprim17ROCPRIM_400000_NS6detail17trampoline_kernelINS0_14default_configENS1_27scan_by_key_config_selectorIifEEZZNS1_16scan_by_key_implILNS1_25lookback_scan_determinismE0ELb1ES3_N6thrust23THRUST_200600_302600_NS6detail15normal_iteratorINS9_10device_ptrIiEEEENSB_INSC_IjEEEESE_fNS9_4plusIvEENS9_8equal_toIvEEfEE10hipError_tPvRmT2_T3_T4_T5_mT6_T7_P12ihipStream_tbENKUlT_T0_E_clISt17integral_constantIbLb0EES10_IbLb1EEEEDaSW_SX_EUlSW_E_NS1_11comp_targetILNS1_3genE2ELNS1_11target_archE906ELNS1_3gpuE6ELNS1_3repE0EEENS1_30default_config_static_selectorELNS0_4arch9wavefront6targetE1EEEvT1_
	.p2align	8
	.type	_ZN7rocprim17ROCPRIM_400000_NS6detail17trampoline_kernelINS0_14default_configENS1_27scan_by_key_config_selectorIifEEZZNS1_16scan_by_key_implILNS1_25lookback_scan_determinismE0ELb1ES3_N6thrust23THRUST_200600_302600_NS6detail15normal_iteratorINS9_10device_ptrIiEEEENSB_INSC_IjEEEESE_fNS9_4plusIvEENS9_8equal_toIvEEfEE10hipError_tPvRmT2_T3_T4_T5_mT6_T7_P12ihipStream_tbENKUlT_T0_E_clISt17integral_constantIbLb0EES10_IbLb1EEEEDaSW_SX_EUlSW_E_NS1_11comp_targetILNS1_3genE2ELNS1_11target_archE906ELNS1_3gpuE6ELNS1_3repE0EEENS1_30default_config_static_selectorELNS0_4arch9wavefront6targetE1EEEvT1_,@function
_ZN7rocprim17ROCPRIM_400000_NS6detail17trampoline_kernelINS0_14default_configENS1_27scan_by_key_config_selectorIifEEZZNS1_16scan_by_key_implILNS1_25lookback_scan_determinismE0ELb1ES3_N6thrust23THRUST_200600_302600_NS6detail15normal_iteratorINS9_10device_ptrIiEEEENSB_INSC_IjEEEESE_fNS9_4plusIvEENS9_8equal_toIvEEfEE10hipError_tPvRmT2_T3_T4_T5_mT6_T7_P12ihipStream_tbENKUlT_T0_E_clISt17integral_constantIbLb0EES10_IbLb1EEEEDaSW_SX_EUlSW_E_NS1_11comp_targetILNS1_3genE2ELNS1_11target_archE906ELNS1_3gpuE6ELNS1_3repE0EEENS1_30default_config_static_selectorELNS0_4arch9wavefront6targetE1EEEvT1_: ; @_ZN7rocprim17ROCPRIM_400000_NS6detail17trampoline_kernelINS0_14default_configENS1_27scan_by_key_config_selectorIifEEZZNS1_16scan_by_key_implILNS1_25lookback_scan_determinismE0ELb1ES3_N6thrust23THRUST_200600_302600_NS6detail15normal_iteratorINS9_10device_ptrIiEEEENSB_INSC_IjEEEESE_fNS9_4plusIvEENS9_8equal_toIvEEfEE10hipError_tPvRmT2_T3_T4_T5_mT6_T7_P12ihipStream_tbENKUlT_T0_E_clISt17integral_constantIbLb0EES10_IbLb1EEEEDaSW_SX_EUlSW_E_NS1_11comp_targetILNS1_3genE2ELNS1_11target_archE906ELNS1_3gpuE6ELNS1_3repE0EEENS1_30default_config_static_selectorELNS0_4arch9wavefront6targetE1EEEvT1_
; %bb.0:
	.section	.rodata,"a",@progbits
	.p2align	6, 0x0
	.amdhsa_kernel _ZN7rocprim17ROCPRIM_400000_NS6detail17trampoline_kernelINS0_14default_configENS1_27scan_by_key_config_selectorIifEEZZNS1_16scan_by_key_implILNS1_25lookback_scan_determinismE0ELb1ES3_N6thrust23THRUST_200600_302600_NS6detail15normal_iteratorINS9_10device_ptrIiEEEENSB_INSC_IjEEEESE_fNS9_4plusIvEENS9_8equal_toIvEEfEE10hipError_tPvRmT2_T3_T4_T5_mT6_T7_P12ihipStream_tbENKUlT_T0_E_clISt17integral_constantIbLb0EES10_IbLb1EEEEDaSW_SX_EUlSW_E_NS1_11comp_targetILNS1_3genE2ELNS1_11target_archE906ELNS1_3gpuE6ELNS1_3repE0EEENS1_30default_config_static_selectorELNS0_4arch9wavefront6targetE1EEEvT1_
		.amdhsa_group_segment_fixed_size 0
		.amdhsa_private_segment_fixed_size 0
		.amdhsa_kernarg_size 112
		.amdhsa_user_sgpr_count 2
		.amdhsa_user_sgpr_dispatch_ptr 0
		.amdhsa_user_sgpr_queue_ptr 0
		.amdhsa_user_sgpr_kernarg_segment_ptr 1
		.amdhsa_user_sgpr_dispatch_id 0
		.amdhsa_user_sgpr_kernarg_preload_length 0
		.amdhsa_user_sgpr_kernarg_preload_offset 0
		.amdhsa_user_sgpr_private_segment_size 0
		.amdhsa_uses_dynamic_stack 0
		.amdhsa_enable_private_segment 0
		.amdhsa_system_sgpr_workgroup_id_x 1
		.amdhsa_system_sgpr_workgroup_id_y 0
		.amdhsa_system_sgpr_workgroup_id_z 0
		.amdhsa_system_sgpr_workgroup_info 0
		.amdhsa_system_vgpr_workitem_id 0
		.amdhsa_next_free_vgpr 1
		.amdhsa_next_free_sgpr 0
		.amdhsa_accum_offset 4
		.amdhsa_reserve_vcc 0
		.amdhsa_float_round_mode_32 0
		.amdhsa_float_round_mode_16_64 0
		.amdhsa_float_denorm_mode_32 3
		.amdhsa_float_denorm_mode_16_64 3
		.amdhsa_dx10_clamp 1
		.amdhsa_ieee_mode 1
		.amdhsa_fp16_overflow 0
		.amdhsa_tg_split 0
		.amdhsa_exception_fp_ieee_invalid_op 0
		.amdhsa_exception_fp_denorm_src 0
		.amdhsa_exception_fp_ieee_div_zero 0
		.amdhsa_exception_fp_ieee_overflow 0
		.amdhsa_exception_fp_ieee_underflow 0
		.amdhsa_exception_fp_ieee_inexact 0
		.amdhsa_exception_int_div_zero 0
	.end_amdhsa_kernel
	.section	.text._ZN7rocprim17ROCPRIM_400000_NS6detail17trampoline_kernelINS0_14default_configENS1_27scan_by_key_config_selectorIifEEZZNS1_16scan_by_key_implILNS1_25lookback_scan_determinismE0ELb1ES3_N6thrust23THRUST_200600_302600_NS6detail15normal_iteratorINS9_10device_ptrIiEEEENSB_INSC_IjEEEESE_fNS9_4plusIvEENS9_8equal_toIvEEfEE10hipError_tPvRmT2_T3_T4_T5_mT6_T7_P12ihipStream_tbENKUlT_T0_E_clISt17integral_constantIbLb0EES10_IbLb1EEEEDaSW_SX_EUlSW_E_NS1_11comp_targetILNS1_3genE2ELNS1_11target_archE906ELNS1_3gpuE6ELNS1_3repE0EEENS1_30default_config_static_selectorELNS0_4arch9wavefront6targetE1EEEvT1_,"axG",@progbits,_ZN7rocprim17ROCPRIM_400000_NS6detail17trampoline_kernelINS0_14default_configENS1_27scan_by_key_config_selectorIifEEZZNS1_16scan_by_key_implILNS1_25lookback_scan_determinismE0ELb1ES3_N6thrust23THRUST_200600_302600_NS6detail15normal_iteratorINS9_10device_ptrIiEEEENSB_INSC_IjEEEESE_fNS9_4plusIvEENS9_8equal_toIvEEfEE10hipError_tPvRmT2_T3_T4_T5_mT6_T7_P12ihipStream_tbENKUlT_T0_E_clISt17integral_constantIbLb0EES10_IbLb1EEEEDaSW_SX_EUlSW_E_NS1_11comp_targetILNS1_3genE2ELNS1_11target_archE906ELNS1_3gpuE6ELNS1_3repE0EEENS1_30default_config_static_selectorELNS0_4arch9wavefront6targetE1EEEvT1_,comdat
.Lfunc_end1820:
	.size	_ZN7rocprim17ROCPRIM_400000_NS6detail17trampoline_kernelINS0_14default_configENS1_27scan_by_key_config_selectorIifEEZZNS1_16scan_by_key_implILNS1_25lookback_scan_determinismE0ELb1ES3_N6thrust23THRUST_200600_302600_NS6detail15normal_iteratorINS9_10device_ptrIiEEEENSB_INSC_IjEEEESE_fNS9_4plusIvEENS9_8equal_toIvEEfEE10hipError_tPvRmT2_T3_T4_T5_mT6_T7_P12ihipStream_tbENKUlT_T0_E_clISt17integral_constantIbLb0EES10_IbLb1EEEEDaSW_SX_EUlSW_E_NS1_11comp_targetILNS1_3genE2ELNS1_11target_archE906ELNS1_3gpuE6ELNS1_3repE0EEENS1_30default_config_static_selectorELNS0_4arch9wavefront6targetE1EEEvT1_, .Lfunc_end1820-_ZN7rocprim17ROCPRIM_400000_NS6detail17trampoline_kernelINS0_14default_configENS1_27scan_by_key_config_selectorIifEEZZNS1_16scan_by_key_implILNS1_25lookback_scan_determinismE0ELb1ES3_N6thrust23THRUST_200600_302600_NS6detail15normal_iteratorINS9_10device_ptrIiEEEENSB_INSC_IjEEEESE_fNS9_4plusIvEENS9_8equal_toIvEEfEE10hipError_tPvRmT2_T3_T4_T5_mT6_T7_P12ihipStream_tbENKUlT_T0_E_clISt17integral_constantIbLb0EES10_IbLb1EEEEDaSW_SX_EUlSW_E_NS1_11comp_targetILNS1_3genE2ELNS1_11target_archE906ELNS1_3gpuE6ELNS1_3repE0EEENS1_30default_config_static_selectorELNS0_4arch9wavefront6targetE1EEEvT1_
                                        ; -- End function
	.section	.AMDGPU.csdata,"",@progbits
; Kernel info:
; codeLenInByte = 0
; NumSgprs: 6
; NumVgprs: 0
; NumAgprs: 0
; TotalNumVgprs: 0
; ScratchSize: 0
; MemoryBound: 0
; FloatMode: 240
; IeeeMode: 1
; LDSByteSize: 0 bytes/workgroup (compile time only)
; SGPRBlocks: 0
; VGPRBlocks: 0
; NumSGPRsForWavesPerEU: 6
; NumVGPRsForWavesPerEU: 1
; AccumOffset: 4
; Occupancy: 8
; WaveLimiterHint : 0
; COMPUTE_PGM_RSRC2:SCRATCH_EN: 0
; COMPUTE_PGM_RSRC2:USER_SGPR: 2
; COMPUTE_PGM_RSRC2:TRAP_HANDLER: 0
; COMPUTE_PGM_RSRC2:TGID_X_EN: 1
; COMPUTE_PGM_RSRC2:TGID_Y_EN: 0
; COMPUTE_PGM_RSRC2:TGID_Z_EN: 0
; COMPUTE_PGM_RSRC2:TIDIG_COMP_CNT: 0
; COMPUTE_PGM_RSRC3_GFX90A:ACCUM_OFFSET: 0
; COMPUTE_PGM_RSRC3_GFX90A:TG_SPLIT: 0
	.section	.text._ZN7rocprim17ROCPRIM_400000_NS6detail17trampoline_kernelINS0_14default_configENS1_27scan_by_key_config_selectorIifEEZZNS1_16scan_by_key_implILNS1_25lookback_scan_determinismE0ELb1ES3_N6thrust23THRUST_200600_302600_NS6detail15normal_iteratorINS9_10device_ptrIiEEEENSB_INSC_IjEEEESE_fNS9_4plusIvEENS9_8equal_toIvEEfEE10hipError_tPvRmT2_T3_T4_T5_mT6_T7_P12ihipStream_tbENKUlT_T0_E_clISt17integral_constantIbLb0EES10_IbLb1EEEEDaSW_SX_EUlSW_E_NS1_11comp_targetILNS1_3genE10ELNS1_11target_archE1200ELNS1_3gpuE4ELNS1_3repE0EEENS1_30default_config_static_selectorELNS0_4arch9wavefront6targetE1EEEvT1_,"axG",@progbits,_ZN7rocprim17ROCPRIM_400000_NS6detail17trampoline_kernelINS0_14default_configENS1_27scan_by_key_config_selectorIifEEZZNS1_16scan_by_key_implILNS1_25lookback_scan_determinismE0ELb1ES3_N6thrust23THRUST_200600_302600_NS6detail15normal_iteratorINS9_10device_ptrIiEEEENSB_INSC_IjEEEESE_fNS9_4plusIvEENS9_8equal_toIvEEfEE10hipError_tPvRmT2_T3_T4_T5_mT6_T7_P12ihipStream_tbENKUlT_T0_E_clISt17integral_constantIbLb0EES10_IbLb1EEEEDaSW_SX_EUlSW_E_NS1_11comp_targetILNS1_3genE10ELNS1_11target_archE1200ELNS1_3gpuE4ELNS1_3repE0EEENS1_30default_config_static_selectorELNS0_4arch9wavefront6targetE1EEEvT1_,comdat
	.protected	_ZN7rocprim17ROCPRIM_400000_NS6detail17trampoline_kernelINS0_14default_configENS1_27scan_by_key_config_selectorIifEEZZNS1_16scan_by_key_implILNS1_25lookback_scan_determinismE0ELb1ES3_N6thrust23THRUST_200600_302600_NS6detail15normal_iteratorINS9_10device_ptrIiEEEENSB_INSC_IjEEEESE_fNS9_4plusIvEENS9_8equal_toIvEEfEE10hipError_tPvRmT2_T3_T4_T5_mT6_T7_P12ihipStream_tbENKUlT_T0_E_clISt17integral_constantIbLb0EES10_IbLb1EEEEDaSW_SX_EUlSW_E_NS1_11comp_targetILNS1_3genE10ELNS1_11target_archE1200ELNS1_3gpuE4ELNS1_3repE0EEENS1_30default_config_static_selectorELNS0_4arch9wavefront6targetE1EEEvT1_ ; -- Begin function _ZN7rocprim17ROCPRIM_400000_NS6detail17trampoline_kernelINS0_14default_configENS1_27scan_by_key_config_selectorIifEEZZNS1_16scan_by_key_implILNS1_25lookback_scan_determinismE0ELb1ES3_N6thrust23THRUST_200600_302600_NS6detail15normal_iteratorINS9_10device_ptrIiEEEENSB_INSC_IjEEEESE_fNS9_4plusIvEENS9_8equal_toIvEEfEE10hipError_tPvRmT2_T3_T4_T5_mT6_T7_P12ihipStream_tbENKUlT_T0_E_clISt17integral_constantIbLb0EES10_IbLb1EEEEDaSW_SX_EUlSW_E_NS1_11comp_targetILNS1_3genE10ELNS1_11target_archE1200ELNS1_3gpuE4ELNS1_3repE0EEENS1_30default_config_static_selectorELNS0_4arch9wavefront6targetE1EEEvT1_
	.globl	_ZN7rocprim17ROCPRIM_400000_NS6detail17trampoline_kernelINS0_14default_configENS1_27scan_by_key_config_selectorIifEEZZNS1_16scan_by_key_implILNS1_25lookback_scan_determinismE0ELb1ES3_N6thrust23THRUST_200600_302600_NS6detail15normal_iteratorINS9_10device_ptrIiEEEENSB_INSC_IjEEEESE_fNS9_4plusIvEENS9_8equal_toIvEEfEE10hipError_tPvRmT2_T3_T4_T5_mT6_T7_P12ihipStream_tbENKUlT_T0_E_clISt17integral_constantIbLb0EES10_IbLb1EEEEDaSW_SX_EUlSW_E_NS1_11comp_targetILNS1_3genE10ELNS1_11target_archE1200ELNS1_3gpuE4ELNS1_3repE0EEENS1_30default_config_static_selectorELNS0_4arch9wavefront6targetE1EEEvT1_
	.p2align	8
	.type	_ZN7rocprim17ROCPRIM_400000_NS6detail17trampoline_kernelINS0_14default_configENS1_27scan_by_key_config_selectorIifEEZZNS1_16scan_by_key_implILNS1_25lookback_scan_determinismE0ELb1ES3_N6thrust23THRUST_200600_302600_NS6detail15normal_iteratorINS9_10device_ptrIiEEEENSB_INSC_IjEEEESE_fNS9_4plusIvEENS9_8equal_toIvEEfEE10hipError_tPvRmT2_T3_T4_T5_mT6_T7_P12ihipStream_tbENKUlT_T0_E_clISt17integral_constantIbLb0EES10_IbLb1EEEEDaSW_SX_EUlSW_E_NS1_11comp_targetILNS1_3genE10ELNS1_11target_archE1200ELNS1_3gpuE4ELNS1_3repE0EEENS1_30default_config_static_selectorELNS0_4arch9wavefront6targetE1EEEvT1_,@function
_ZN7rocprim17ROCPRIM_400000_NS6detail17trampoline_kernelINS0_14default_configENS1_27scan_by_key_config_selectorIifEEZZNS1_16scan_by_key_implILNS1_25lookback_scan_determinismE0ELb1ES3_N6thrust23THRUST_200600_302600_NS6detail15normal_iteratorINS9_10device_ptrIiEEEENSB_INSC_IjEEEESE_fNS9_4plusIvEENS9_8equal_toIvEEfEE10hipError_tPvRmT2_T3_T4_T5_mT6_T7_P12ihipStream_tbENKUlT_T0_E_clISt17integral_constantIbLb0EES10_IbLb1EEEEDaSW_SX_EUlSW_E_NS1_11comp_targetILNS1_3genE10ELNS1_11target_archE1200ELNS1_3gpuE4ELNS1_3repE0EEENS1_30default_config_static_selectorELNS0_4arch9wavefront6targetE1EEEvT1_: ; @_ZN7rocprim17ROCPRIM_400000_NS6detail17trampoline_kernelINS0_14default_configENS1_27scan_by_key_config_selectorIifEEZZNS1_16scan_by_key_implILNS1_25lookback_scan_determinismE0ELb1ES3_N6thrust23THRUST_200600_302600_NS6detail15normal_iteratorINS9_10device_ptrIiEEEENSB_INSC_IjEEEESE_fNS9_4plusIvEENS9_8equal_toIvEEfEE10hipError_tPvRmT2_T3_T4_T5_mT6_T7_P12ihipStream_tbENKUlT_T0_E_clISt17integral_constantIbLb0EES10_IbLb1EEEEDaSW_SX_EUlSW_E_NS1_11comp_targetILNS1_3genE10ELNS1_11target_archE1200ELNS1_3gpuE4ELNS1_3repE0EEENS1_30default_config_static_selectorELNS0_4arch9wavefront6targetE1EEEvT1_
; %bb.0:
	.section	.rodata,"a",@progbits
	.p2align	6, 0x0
	.amdhsa_kernel _ZN7rocprim17ROCPRIM_400000_NS6detail17trampoline_kernelINS0_14default_configENS1_27scan_by_key_config_selectorIifEEZZNS1_16scan_by_key_implILNS1_25lookback_scan_determinismE0ELb1ES3_N6thrust23THRUST_200600_302600_NS6detail15normal_iteratorINS9_10device_ptrIiEEEENSB_INSC_IjEEEESE_fNS9_4plusIvEENS9_8equal_toIvEEfEE10hipError_tPvRmT2_T3_T4_T5_mT6_T7_P12ihipStream_tbENKUlT_T0_E_clISt17integral_constantIbLb0EES10_IbLb1EEEEDaSW_SX_EUlSW_E_NS1_11comp_targetILNS1_3genE10ELNS1_11target_archE1200ELNS1_3gpuE4ELNS1_3repE0EEENS1_30default_config_static_selectorELNS0_4arch9wavefront6targetE1EEEvT1_
		.amdhsa_group_segment_fixed_size 0
		.amdhsa_private_segment_fixed_size 0
		.amdhsa_kernarg_size 112
		.amdhsa_user_sgpr_count 2
		.amdhsa_user_sgpr_dispatch_ptr 0
		.amdhsa_user_sgpr_queue_ptr 0
		.amdhsa_user_sgpr_kernarg_segment_ptr 1
		.amdhsa_user_sgpr_dispatch_id 0
		.amdhsa_user_sgpr_kernarg_preload_length 0
		.amdhsa_user_sgpr_kernarg_preload_offset 0
		.amdhsa_user_sgpr_private_segment_size 0
		.amdhsa_uses_dynamic_stack 0
		.amdhsa_enable_private_segment 0
		.amdhsa_system_sgpr_workgroup_id_x 1
		.amdhsa_system_sgpr_workgroup_id_y 0
		.amdhsa_system_sgpr_workgroup_id_z 0
		.amdhsa_system_sgpr_workgroup_info 0
		.amdhsa_system_vgpr_workitem_id 0
		.amdhsa_next_free_vgpr 1
		.amdhsa_next_free_sgpr 0
		.amdhsa_accum_offset 4
		.amdhsa_reserve_vcc 0
		.amdhsa_float_round_mode_32 0
		.amdhsa_float_round_mode_16_64 0
		.amdhsa_float_denorm_mode_32 3
		.amdhsa_float_denorm_mode_16_64 3
		.amdhsa_dx10_clamp 1
		.amdhsa_ieee_mode 1
		.amdhsa_fp16_overflow 0
		.amdhsa_tg_split 0
		.amdhsa_exception_fp_ieee_invalid_op 0
		.amdhsa_exception_fp_denorm_src 0
		.amdhsa_exception_fp_ieee_div_zero 0
		.amdhsa_exception_fp_ieee_overflow 0
		.amdhsa_exception_fp_ieee_underflow 0
		.amdhsa_exception_fp_ieee_inexact 0
		.amdhsa_exception_int_div_zero 0
	.end_amdhsa_kernel
	.section	.text._ZN7rocprim17ROCPRIM_400000_NS6detail17trampoline_kernelINS0_14default_configENS1_27scan_by_key_config_selectorIifEEZZNS1_16scan_by_key_implILNS1_25lookback_scan_determinismE0ELb1ES3_N6thrust23THRUST_200600_302600_NS6detail15normal_iteratorINS9_10device_ptrIiEEEENSB_INSC_IjEEEESE_fNS9_4plusIvEENS9_8equal_toIvEEfEE10hipError_tPvRmT2_T3_T4_T5_mT6_T7_P12ihipStream_tbENKUlT_T0_E_clISt17integral_constantIbLb0EES10_IbLb1EEEEDaSW_SX_EUlSW_E_NS1_11comp_targetILNS1_3genE10ELNS1_11target_archE1200ELNS1_3gpuE4ELNS1_3repE0EEENS1_30default_config_static_selectorELNS0_4arch9wavefront6targetE1EEEvT1_,"axG",@progbits,_ZN7rocprim17ROCPRIM_400000_NS6detail17trampoline_kernelINS0_14default_configENS1_27scan_by_key_config_selectorIifEEZZNS1_16scan_by_key_implILNS1_25lookback_scan_determinismE0ELb1ES3_N6thrust23THRUST_200600_302600_NS6detail15normal_iteratorINS9_10device_ptrIiEEEENSB_INSC_IjEEEESE_fNS9_4plusIvEENS9_8equal_toIvEEfEE10hipError_tPvRmT2_T3_T4_T5_mT6_T7_P12ihipStream_tbENKUlT_T0_E_clISt17integral_constantIbLb0EES10_IbLb1EEEEDaSW_SX_EUlSW_E_NS1_11comp_targetILNS1_3genE10ELNS1_11target_archE1200ELNS1_3gpuE4ELNS1_3repE0EEENS1_30default_config_static_selectorELNS0_4arch9wavefront6targetE1EEEvT1_,comdat
.Lfunc_end1821:
	.size	_ZN7rocprim17ROCPRIM_400000_NS6detail17trampoline_kernelINS0_14default_configENS1_27scan_by_key_config_selectorIifEEZZNS1_16scan_by_key_implILNS1_25lookback_scan_determinismE0ELb1ES3_N6thrust23THRUST_200600_302600_NS6detail15normal_iteratorINS9_10device_ptrIiEEEENSB_INSC_IjEEEESE_fNS9_4plusIvEENS9_8equal_toIvEEfEE10hipError_tPvRmT2_T3_T4_T5_mT6_T7_P12ihipStream_tbENKUlT_T0_E_clISt17integral_constantIbLb0EES10_IbLb1EEEEDaSW_SX_EUlSW_E_NS1_11comp_targetILNS1_3genE10ELNS1_11target_archE1200ELNS1_3gpuE4ELNS1_3repE0EEENS1_30default_config_static_selectorELNS0_4arch9wavefront6targetE1EEEvT1_, .Lfunc_end1821-_ZN7rocprim17ROCPRIM_400000_NS6detail17trampoline_kernelINS0_14default_configENS1_27scan_by_key_config_selectorIifEEZZNS1_16scan_by_key_implILNS1_25lookback_scan_determinismE0ELb1ES3_N6thrust23THRUST_200600_302600_NS6detail15normal_iteratorINS9_10device_ptrIiEEEENSB_INSC_IjEEEESE_fNS9_4plusIvEENS9_8equal_toIvEEfEE10hipError_tPvRmT2_T3_T4_T5_mT6_T7_P12ihipStream_tbENKUlT_T0_E_clISt17integral_constantIbLb0EES10_IbLb1EEEEDaSW_SX_EUlSW_E_NS1_11comp_targetILNS1_3genE10ELNS1_11target_archE1200ELNS1_3gpuE4ELNS1_3repE0EEENS1_30default_config_static_selectorELNS0_4arch9wavefront6targetE1EEEvT1_
                                        ; -- End function
	.section	.AMDGPU.csdata,"",@progbits
; Kernel info:
; codeLenInByte = 0
; NumSgprs: 6
; NumVgprs: 0
; NumAgprs: 0
; TotalNumVgprs: 0
; ScratchSize: 0
; MemoryBound: 0
; FloatMode: 240
; IeeeMode: 1
; LDSByteSize: 0 bytes/workgroup (compile time only)
; SGPRBlocks: 0
; VGPRBlocks: 0
; NumSGPRsForWavesPerEU: 6
; NumVGPRsForWavesPerEU: 1
; AccumOffset: 4
; Occupancy: 8
; WaveLimiterHint : 0
; COMPUTE_PGM_RSRC2:SCRATCH_EN: 0
; COMPUTE_PGM_RSRC2:USER_SGPR: 2
; COMPUTE_PGM_RSRC2:TRAP_HANDLER: 0
; COMPUTE_PGM_RSRC2:TGID_X_EN: 1
; COMPUTE_PGM_RSRC2:TGID_Y_EN: 0
; COMPUTE_PGM_RSRC2:TGID_Z_EN: 0
; COMPUTE_PGM_RSRC2:TIDIG_COMP_CNT: 0
; COMPUTE_PGM_RSRC3_GFX90A:ACCUM_OFFSET: 0
; COMPUTE_PGM_RSRC3_GFX90A:TG_SPLIT: 0
	.section	.text._ZN7rocprim17ROCPRIM_400000_NS6detail17trampoline_kernelINS0_14default_configENS1_27scan_by_key_config_selectorIifEEZZNS1_16scan_by_key_implILNS1_25lookback_scan_determinismE0ELb1ES3_N6thrust23THRUST_200600_302600_NS6detail15normal_iteratorINS9_10device_ptrIiEEEENSB_INSC_IjEEEESE_fNS9_4plusIvEENS9_8equal_toIvEEfEE10hipError_tPvRmT2_T3_T4_T5_mT6_T7_P12ihipStream_tbENKUlT_T0_E_clISt17integral_constantIbLb0EES10_IbLb1EEEEDaSW_SX_EUlSW_E_NS1_11comp_targetILNS1_3genE9ELNS1_11target_archE1100ELNS1_3gpuE3ELNS1_3repE0EEENS1_30default_config_static_selectorELNS0_4arch9wavefront6targetE1EEEvT1_,"axG",@progbits,_ZN7rocprim17ROCPRIM_400000_NS6detail17trampoline_kernelINS0_14default_configENS1_27scan_by_key_config_selectorIifEEZZNS1_16scan_by_key_implILNS1_25lookback_scan_determinismE0ELb1ES3_N6thrust23THRUST_200600_302600_NS6detail15normal_iteratorINS9_10device_ptrIiEEEENSB_INSC_IjEEEESE_fNS9_4plusIvEENS9_8equal_toIvEEfEE10hipError_tPvRmT2_T3_T4_T5_mT6_T7_P12ihipStream_tbENKUlT_T0_E_clISt17integral_constantIbLb0EES10_IbLb1EEEEDaSW_SX_EUlSW_E_NS1_11comp_targetILNS1_3genE9ELNS1_11target_archE1100ELNS1_3gpuE3ELNS1_3repE0EEENS1_30default_config_static_selectorELNS0_4arch9wavefront6targetE1EEEvT1_,comdat
	.protected	_ZN7rocprim17ROCPRIM_400000_NS6detail17trampoline_kernelINS0_14default_configENS1_27scan_by_key_config_selectorIifEEZZNS1_16scan_by_key_implILNS1_25lookback_scan_determinismE0ELb1ES3_N6thrust23THRUST_200600_302600_NS6detail15normal_iteratorINS9_10device_ptrIiEEEENSB_INSC_IjEEEESE_fNS9_4plusIvEENS9_8equal_toIvEEfEE10hipError_tPvRmT2_T3_T4_T5_mT6_T7_P12ihipStream_tbENKUlT_T0_E_clISt17integral_constantIbLb0EES10_IbLb1EEEEDaSW_SX_EUlSW_E_NS1_11comp_targetILNS1_3genE9ELNS1_11target_archE1100ELNS1_3gpuE3ELNS1_3repE0EEENS1_30default_config_static_selectorELNS0_4arch9wavefront6targetE1EEEvT1_ ; -- Begin function _ZN7rocprim17ROCPRIM_400000_NS6detail17trampoline_kernelINS0_14default_configENS1_27scan_by_key_config_selectorIifEEZZNS1_16scan_by_key_implILNS1_25lookback_scan_determinismE0ELb1ES3_N6thrust23THRUST_200600_302600_NS6detail15normal_iteratorINS9_10device_ptrIiEEEENSB_INSC_IjEEEESE_fNS9_4plusIvEENS9_8equal_toIvEEfEE10hipError_tPvRmT2_T3_T4_T5_mT6_T7_P12ihipStream_tbENKUlT_T0_E_clISt17integral_constantIbLb0EES10_IbLb1EEEEDaSW_SX_EUlSW_E_NS1_11comp_targetILNS1_3genE9ELNS1_11target_archE1100ELNS1_3gpuE3ELNS1_3repE0EEENS1_30default_config_static_selectorELNS0_4arch9wavefront6targetE1EEEvT1_
	.globl	_ZN7rocprim17ROCPRIM_400000_NS6detail17trampoline_kernelINS0_14default_configENS1_27scan_by_key_config_selectorIifEEZZNS1_16scan_by_key_implILNS1_25lookback_scan_determinismE0ELb1ES3_N6thrust23THRUST_200600_302600_NS6detail15normal_iteratorINS9_10device_ptrIiEEEENSB_INSC_IjEEEESE_fNS9_4plusIvEENS9_8equal_toIvEEfEE10hipError_tPvRmT2_T3_T4_T5_mT6_T7_P12ihipStream_tbENKUlT_T0_E_clISt17integral_constantIbLb0EES10_IbLb1EEEEDaSW_SX_EUlSW_E_NS1_11comp_targetILNS1_3genE9ELNS1_11target_archE1100ELNS1_3gpuE3ELNS1_3repE0EEENS1_30default_config_static_selectorELNS0_4arch9wavefront6targetE1EEEvT1_
	.p2align	8
	.type	_ZN7rocprim17ROCPRIM_400000_NS6detail17trampoline_kernelINS0_14default_configENS1_27scan_by_key_config_selectorIifEEZZNS1_16scan_by_key_implILNS1_25lookback_scan_determinismE0ELb1ES3_N6thrust23THRUST_200600_302600_NS6detail15normal_iteratorINS9_10device_ptrIiEEEENSB_INSC_IjEEEESE_fNS9_4plusIvEENS9_8equal_toIvEEfEE10hipError_tPvRmT2_T3_T4_T5_mT6_T7_P12ihipStream_tbENKUlT_T0_E_clISt17integral_constantIbLb0EES10_IbLb1EEEEDaSW_SX_EUlSW_E_NS1_11comp_targetILNS1_3genE9ELNS1_11target_archE1100ELNS1_3gpuE3ELNS1_3repE0EEENS1_30default_config_static_selectorELNS0_4arch9wavefront6targetE1EEEvT1_,@function
_ZN7rocprim17ROCPRIM_400000_NS6detail17trampoline_kernelINS0_14default_configENS1_27scan_by_key_config_selectorIifEEZZNS1_16scan_by_key_implILNS1_25lookback_scan_determinismE0ELb1ES3_N6thrust23THRUST_200600_302600_NS6detail15normal_iteratorINS9_10device_ptrIiEEEENSB_INSC_IjEEEESE_fNS9_4plusIvEENS9_8equal_toIvEEfEE10hipError_tPvRmT2_T3_T4_T5_mT6_T7_P12ihipStream_tbENKUlT_T0_E_clISt17integral_constantIbLb0EES10_IbLb1EEEEDaSW_SX_EUlSW_E_NS1_11comp_targetILNS1_3genE9ELNS1_11target_archE1100ELNS1_3gpuE3ELNS1_3repE0EEENS1_30default_config_static_selectorELNS0_4arch9wavefront6targetE1EEEvT1_: ; @_ZN7rocprim17ROCPRIM_400000_NS6detail17trampoline_kernelINS0_14default_configENS1_27scan_by_key_config_selectorIifEEZZNS1_16scan_by_key_implILNS1_25lookback_scan_determinismE0ELb1ES3_N6thrust23THRUST_200600_302600_NS6detail15normal_iteratorINS9_10device_ptrIiEEEENSB_INSC_IjEEEESE_fNS9_4plusIvEENS9_8equal_toIvEEfEE10hipError_tPvRmT2_T3_T4_T5_mT6_T7_P12ihipStream_tbENKUlT_T0_E_clISt17integral_constantIbLb0EES10_IbLb1EEEEDaSW_SX_EUlSW_E_NS1_11comp_targetILNS1_3genE9ELNS1_11target_archE1100ELNS1_3gpuE3ELNS1_3repE0EEENS1_30default_config_static_selectorELNS0_4arch9wavefront6targetE1EEEvT1_
; %bb.0:
	.section	.rodata,"a",@progbits
	.p2align	6, 0x0
	.amdhsa_kernel _ZN7rocprim17ROCPRIM_400000_NS6detail17trampoline_kernelINS0_14default_configENS1_27scan_by_key_config_selectorIifEEZZNS1_16scan_by_key_implILNS1_25lookback_scan_determinismE0ELb1ES3_N6thrust23THRUST_200600_302600_NS6detail15normal_iteratorINS9_10device_ptrIiEEEENSB_INSC_IjEEEESE_fNS9_4plusIvEENS9_8equal_toIvEEfEE10hipError_tPvRmT2_T3_T4_T5_mT6_T7_P12ihipStream_tbENKUlT_T0_E_clISt17integral_constantIbLb0EES10_IbLb1EEEEDaSW_SX_EUlSW_E_NS1_11comp_targetILNS1_3genE9ELNS1_11target_archE1100ELNS1_3gpuE3ELNS1_3repE0EEENS1_30default_config_static_selectorELNS0_4arch9wavefront6targetE1EEEvT1_
		.amdhsa_group_segment_fixed_size 0
		.amdhsa_private_segment_fixed_size 0
		.amdhsa_kernarg_size 112
		.amdhsa_user_sgpr_count 2
		.amdhsa_user_sgpr_dispatch_ptr 0
		.amdhsa_user_sgpr_queue_ptr 0
		.amdhsa_user_sgpr_kernarg_segment_ptr 1
		.amdhsa_user_sgpr_dispatch_id 0
		.amdhsa_user_sgpr_kernarg_preload_length 0
		.amdhsa_user_sgpr_kernarg_preload_offset 0
		.amdhsa_user_sgpr_private_segment_size 0
		.amdhsa_uses_dynamic_stack 0
		.amdhsa_enable_private_segment 0
		.amdhsa_system_sgpr_workgroup_id_x 1
		.amdhsa_system_sgpr_workgroup_id_y 0
		.amdhsa_system_sgpr_workgroup_id_z 0
		.amdhsa_system_sgpr_workgroup_info 0
		.amdhsa_system_vgpr_workitem_id 0
		.amdhsa_next_free_vgpr 1
		.amdhsa_next_free_sgpr 0
		.amdhsa_accum_offset 4
		.amdhsa_reserve_vcc 0
		.amdhsa_float_round_mode_32 0
		.amdhsa_float_round_mode_16_64 0
		.amdhsa_float_denorm_mode_32 3
		.amdhsa_float_denorm_mode_16_64 3
		.amdhsa_dx10_clamp 1
		.amdhsa_ieee_mode 1
		.amdhsa_fp16_overflow 0
		.amdhsa_tg_split 0
		.amdhsa_exception_fp_ieee_invalid_op 0
		.amdhsa_exception_fp_denorm_src 0
		.amdhsa_exception_fp_ieee_div_zero 0
		.amdhsa_exception_fp_ieee_overflow 0
		.amdhsa_exception_fp_ieee_underflow 0
		.amdhsa_exception_fp_ieee_inexact 0
		.amdhsa_exception_int_div_zero 0
	.end_amdhsa_kernel
	.section	.text._ZN7rocprim17ROCPRIM_400000_NS6detail17trampoline_kernelINS0_14default_configENS1_27scan_by_key_config_selectorIifEEZZNS1_16scan_by_key_implILNS1_25lookback_scan_determinismE0ELb1ES3_N6thrust23THRUST_200600_302600_NS6detail15normal_iteratorINS9_10device_ptrIiEEEENSB_INSC_IjEEEESE_fNS9_4plusIvEENS9_8equal_toIvEEfEE10hipError_tPvRmT2_T3_T4_T5_mT6_T7_P12ihipStream_tbENKUlT_T0_E_clISt17integral_constantIbLb0EES10_IbLb1EEEEDaSW_SX_EUlSW_E_NS1_11comp_targetILNS1_3genE9ELNS1_11target_archE1100ELNS1_3gpuE3ELNS1_3repE0EEENS1_30default_config_static_selectorELNS0_4arch9wavefront6targetE1EEEvT1_,"axG",@progbits,_ZN7rocprim17ROCPRIM_400000_NS6detail17trampoline_kernelINS0_14default_configENS1_27scan_by_key_config_selectorIifEEZZNS1_16scan_by_key_implILNS1_25lookback_scan_determinismE0ELb1ES3_N6thrust23THRUST_200600_302600_NS6detail15normal_iteratorINS9_10device_ptrIiEEEENSB_INSC_IjEEEESE_fNS9_4plusIvEENS9_8equal_toIvEEfEE10hipError_tPvRmT2_T3_T4_T5_mT6_T7_P12ihipStream_tbENKUlT_T0_E_clISt17integral_constantIbLb0EES10_IbLb1EEEEDaSW_SX_EUlSW_E_NS1_11comp_targetILNS1_3genE9ELNS1_11target_archE1100ELNS1_3gpuE3ELNS1_3repE0EEENS1_30default_config_static_selectorELNS0_4arch9wavefront6targetE1EEEvT1_,comdat
.Lfunc_end1822:
	.size	_ZN7rocprim17ROCPRIM_400000_NS6detail17trampoline_kernelINS0_14default_configENS1_27scan_by_key_config_selectorIifEEZZNS1_16scan_by_key_implILNS1_25lookback_scan_determinismE0ELb1ES3_N6thrust23THRUST_200600_302600_NS6detail15normal_iteratorINS9_10device_ptrIiEEEENSB_INSC_IjEEEESE_fNS9_4plusIvEENS9_8equal_toIvEEfEE10hipError_tPvRmT2_T3_T4_T5_mT6_T7_P12ihipStream_tbENKUlT_T0_E_clISt17integral_constantIbLb0EES10_IbLb1EEEEDaSW_SX_EUlSW_E_NS1_11comp_targetILNS1_3genE9ELNS1_11target_archE1100ELNS1_3gpuE3ELNS1_3repE0EEENS1_30default_config_static_selectorELNS0_4arch9wavefront6targetE1EEEvT1_, .Lfunc_end1822-_ZN7rocprim17ROCPRIM_400000_NS6detail17trampoline_kernelINS0_14default_configENS1_27scan_by_key_config_selectorIifEEZZNS1_16scan_by_key_implILNS1_25lookback_scan_determinismE0ELb1ES3_N6thrust23THRUST_200600_302600_NS6detail15normal_iteratorINS9_10device_ptrIiEEEENSB_INSC_IjEEEESE_fNS9_4plusIvEENS9_8equal_toIvEEfEE10hipError_tPvRmT2_T3_T4_T5_mT6_T7_P12ihipStream_tbENKUlT_T0_E_clISt17integral_constantIbLb0EES10_IbLb1EEEEDaSW_SX_EUlSW_E_NS1_11comp_targetILNS1_3genE9ELNS1_11target_archE1100ELNS1_3gpuE3ELNS1_3repE0EEENS1_30default_config_static_selectorELNS0_4arch9wavefront6targetE1EEEvT1_
                                        ; -- End function
	.section	.AMDGPU.csdata,"",@progbits
; Kernel info:
; codeLenInByte = 0
; NumSgprs: 6
; NumVgprs: 0
; NumAgprs: 0
; TotalNumVgprs: 0
; ScratchSize: 0
; MemoryBound: 0
; FloatMode: 240
; IeeeMode: 1
; LDSByteSize: 0 bytes/workgroup (compile time only)
; SGPRBlocks: 0
; VGPRBlocks: 0
; NumSGPRsForWavesPerEU: 6
; NumVGPRsForWavesPerEU: 1
; AccumOffset: 4
; Occupancy: 8
; WaveLimiterHint : 0
; COMPUTE_PGM_RSRC2:SCRATCH_EN: 0
; COMPUTE_PGM_RSRC2:USER_SGPR: 2
; COMPUTE_PGM_RSRC2:TRAP_HANDLER: 0
; COMPUTE_PGM_RSRC2:TGID_X_EN: 1
; COMPUTE_PGM_RSRC2:TGID_Y_EN: 0
; COMPUTE_PGM_RSRC2:TGID_Z_EN: 0
; COMPUTE_PGM_RSRC2:TIDIG_COMP_CNT: 0
; COMPUTE_PGM_RSRC3_GFX90A:ACCUM_OFFSET: 0
; COMPUTE_PGM_RSRC3_GFX90A:TG_SPLIT: 0
	.section	.text._ZN7rocprim17ROCPRIM_400000_NS6detail17trampoline_kernelINS0_14default_configENS1_27scan_by_key_config_selectorIifEEZZNS1_16scan_by_key_implILNS1_25lookback_scan_determinismE0ELb1ES3_N6thrust23THRUST_200600_302600_NS6detail15normal_iteratorINS9_10device_ptrIiEEEENSB_INSC_IjEEEESE_fNS9_4plusIvEENS9_8equal_toIvEEfEE10hipError_tPvRmT2_T3_T4_T5_mT6_T7_P12ihipStream_tbENKUlT_T0_E_clISt17integral_constantIbLb0EES10_IbLb1EEEEDaSW_SX_EUlSW_E_NS1_11comp_targetILNS1_3genE8ELNS1_11target_archE1030ELNS1_3gpuE2ELNS1_3repE0EEENS1_30default_config_static_selectorELNS0_4arch9wavefront6targetE1EEEvT1_,"axG",@progbits,_ZN7rocprim17ROCPRIM_400000_NS6detail17trampoline_kernelINS0_14default_configENS1_27scan_by_key_config_selectorIifEEZZNS1_16scan_by_key_implILNS1_25lookback_scan_determinismE0ELb1ES3_N6thrust23THRUST_200600_302600_NS6detail15normal_iteratorINS9_10device_ptrIiEEEENSB_INSC_IjEEEESE_fNS9_4plusIvEENS9_8equal_toIvEEfEE10hipError_tPvRmT2_T3_T4_T5_mT6_T7_P12ihipStream_tbENKUlT_T0_E_clISt17integral_constantIbLb0EES10_IbLb1EEEEDaSW_SX_EUlSW_E_NS1_11comp_targetILNS1_3genE8ELNS1_11target_archE1030ELNS1_3gpuE2ELNS1_3repE0EEENS1_30default_config_static_selectorELNS0_4arch9wavefront6targetE1EEEvT1_,comdat
	.protected	_ZN7rocprim17ROCPRIM_400000_NS6detail17trampoline_kernelINS0_14default_configENS1_27scan_by_key_config_selectorIifEEZZNS1_16scan_by_key_implILNS1_25lookback_scan_determinismE0ELb1ES3_N6thrust23THRUST_200600_302600_NS6detail15normal_iteratorINS9_10device_ptrIiEEEENSB_INSC_IjEEEESE_fNS9_4plusIvEENS9_8equal_toIvEEfEE10hipError_tPvRmT2_T3_T4_T5_mT6_T7_P12ihipStream_tbENKUlT_T0_E_clISt17integral_constantIbLb0EES10_IbLb1EEEEDaSW_SX_EUlSW_E_NS1_11comp_targetILNS1_3genE8ELNS1_11target_archE1030ELNS1_3gpuE2ELNS1_3repE0EEENS1_30default_config_static_selectorELNS0_4arch9wavefront6targetE1EEEvT1_ ; -- Begin function _ZN7rocprim17ROCPRIM_400000_NS6detail17trampoline_kernelINS0_14default_configENS1_27scan_by_key_config_selectorIifEEZZNS1_16scan_by_key_implILNS1_25lookback_scan_determinismE0ELb1ES3_N6thrust23THRUST_200600_302600_NS6detail15normal_iteratorINS9_10device_ptrIiEEEENSB_INSC_IjEEEESE_fNS9_4plusIvEENS9_8equal_toIvEEfEE10hipError_tPvRmT2_T3_T4_T5_mT6_T7_P12ihipStream_tbENKUlT_T0_E_clISt17integral_constantIbLb0EES10_IbLb1EEEEDaSW_SX_EUlSW_E_NS1_11comp_targetILNS1_3genE8ELNS1_11target_archE1030ELNS1_3gpuE2ELNS1_3repE0EEENS1_30default_config_static_selectorELNS0_4arch9wavefront6targetE1EEEvT1_
	.globl	_ZN7rocprim17ROCPRIM_400000_NS6detail17trampoline_kernelINS0_14default_configENS1_27scan_by_key_config_selectorIifEEZZNS1_16scan_by_key_implILNS1_25lookback_scan_determinismE0ELb1ES3_N6thrust23THRUST_200600_302600_NS6detail15normal_iteratorINS9_10device_ptrIiEEEENSB_INSC_IjEEEESE_fNS9_4plusIvEENS9_8equal_toIvEEfEE10hipError_tPvRmT2_T3_T4_T5_mT6_T7_P12ihipStream_tbENKUlT_T0_E_clISt17integral_constantIbLb0EES10_IbLb1EEEEDaSW_SX_EUlSW_E_NS1_11comp_targetILNS1_3genE8ELNS1_11target_archE1030ELNS1_3gpuE2ELNS1_3repE0EEENS1_30default_config_static_selectorELNS0_4arch9wavefront6targetE1EEEvT1_
	.p2align	8
	.type	_ZN7rocprim17ROCPRIM_400000_NS6detail17trampoline_kernelINS0_14default_configENS1_27scan_by_key_config_selectorIifEEZZNS1_16scan_by_key_implILNS1_25lookback_scan_determinismE0ELb1ES3_N6thrust23THRUST_200600_302600_NS6detail15normal_iteratorINS9_10device_ptrIiEEEENSB_INSC_IjEEEESE_fNS9_4plusIvEENS9_8equal_toIvEEfEE10hipError_tPvRmT2_T3_T4_T5_mT6_T7_P12ihipStream_tbENKUlT_T0_E_clISt17integral_constantIbLb0EES10_IbLb1EEEEDaSW_SX_EUlSW_E_NS1_11comp_targetILNS1_3genE8ELNS1_11target_archE1030ELNS1_3gpuE2ELNS1_3repE0EEENS1_30default_config_static_selectorELNS0_4arch9wavefront6targetE1EEEvT1_,@function
_ZN7rocprim17ROCPRIM_400000_NS6detail17trampoline_kernelINS0_14default_configENS1_27scan_by_key_config_selectorIifEEZZNS1_16scan_by_key_implILNS1_25lookback_scan_determinismE0ELb1ES3_N6thrust23THRUST_200600_302600_NS6detail15normal_iteratorINS9_10device_ptrIiEEEENSB_INSC_IjEEEESE_fNS9_4plusIvEENS9_8equal_toIvEEfEE10hipError_tPvRmT2_T3_T4_T5_mT6_T7_P12ihipStream_tbENKUlT_T0_E_clISt17integral_constantIbLb0EES10_IbLb1EEEEDaSW_SX_EUlSW_E_NS1_11comp_targetILNS1_3genE8ELNS1_11target_archE1030ELNS1_3gpuE2ELNS1_3repE0EEENS1_30default_config_static_selectorELNS0_4arch9wavefront6targetE1EEEvT1_: ; @_ZN7rocprim17ROCPRIM_400000_NS6detail17trampoline_kernelINS0_14default_configENS1_27scan_by_key_config_selectorIifEEZZNS1_16scan_by_key_implILNS1_25lookback_scan_determinismE0ELb1ES3_N6thrust23THRUST_200600_302600_NS6detail15normal_iteratorINS9_10device_ptrIiEEEENSB_INSC_IjEEEESE_fNS9_4plusIvEENS9_8equal_toIvEEfEE10hipError_tPvRmT2_T3_T4_T5_mT6_T7_P12ihipStream_tbENKUlT_T0_E_clISt17integral_constantIbLb0EES10_IbLb1EEEEDaSW_SX_EUlSW_E_NS1_11comp_targetILNS1_3genE8ELNS1_11target_archE1030ELNS1_3gpuE2ELNS1_3repE0EEENS1_30default_config_static_selectorELNS0_4arch9wavefront6targetE1EEEvT1_
; %bb.0:
	.section	.rodata,"a",@progbits
	.p2align	6, 0x0
	.amdhsa_kernel _ZN7rocprim17ROCPRIM_400000_NS6detail17trampoline_kernelINS0_14default_configENS1_27scan_by_key_config_selectorIifEEZZNS1_16scan_by_key_implILNS1_25lookback_scan_determinismE0ELb1ES3_N6thrust23THRUST_200600_302600_NS6detail15normal_iteratorINS9_10device_ptrIiEEEENSB_INSC_IjEEEESE_fNS9_4plusIvEENS9_8equal_toIvEEfEE10hipError_tPvRmT2_T3_T4_T5_mT6_T7_P12ihipStream_tbENKUlT_T0_E_clISt17integral_constantIbLb0EES10_IbLb1EEEEDaSW_SX_EUlSW_E_NS1_11comp_targetILNS1_3genE8ELNS1_11target_archE1030ELNS1_3gpuE2ELNS1_3repE0EEENS1_30default_config_static_selectorELNS0_4arch9wavefront6targetE1EEEvT1_
		.amdhsa_group_segment_fixed_size 0
		.amdhsa_private_segment_fixed_size 0
		.amdhsa_kernarg_size 112
		.amdhsa_user_sgpr_count 2
		.amdhsa_user_sgpr_dispatch_ptr 0
		.amdhsa_user_sgpr_queue_ptr 0
		.amdhsa_user_sgpr_kernarg_segment_ptr 1
		.amdhsa_user_sgpr_dispatch_id 0
		.amdhsa_user_sgpr_kernarg_preload_length 0
		.amdhsa_user_sgpr_kernarg_preload_offset 0
		.amdhsa_user_sgpr_private_segment_size 0
		.amdhsa_uses_dynamic_stack 0
		.amdhsa_enable_private_segment 0
		.amdhsa_system_sgpr_workgroup_id_x 1
		.amdhsa_system_sgpr_workgroup_id_y 0
		.amdhsa_system_sgpr_workgroup_id_z 0
		.amdhsa_system_sgpr_workgroup_info 0
		.amdhsa_system_vgpr_workitem_id 0
		.amdhsa_next_free_vgpr 1
		.amdhsa_next_free_sgpr 0
		.amdhsa_accum_offset 4
		.amdhsa_reserve_vcc 0
		.amdhsa_float_round_mode_32 0
		.amdhsa_float_round_mode_16_64 0
		.amdhsa_float_denorm_mode_32 3
		.amdhsa_float_denorm_mode_16_64 3
		.amdhsa_dx10_clamp 1
		.amdhsa_ieee_mode 1
		.amdhsa_fp16_overflow 0
		.amdhsa_tg_split 0
		.amdhsa_exception_fp_ieee_invalid_op 0
		.amdhsa_exception_fp_denorm_src 0
		.amdhsa_exception_fp_ieee_div_zero 0
		.amdhsa_exception_fp_ieee_overflow 0
		.amdhsa_exception_fp_ieee_underflow 0
		.amdhsa_exception_fp_ieee_inexact 0
		.amdhsa_exception_int_div_zero 0
	.end_amdhsa_kernel
	.section	.text._ZN7rocprim17ROCPRIM_400000_NS6detail17trampoline_kernelINS0_14default_configENS1_27scan_by_key_config_selectorIifEEZZNS1_16scan_by_key_implILNS1_25lookback_scan_determinismE0ELb1ES3_N6thrust23THRUST_200600_302600_NS6detail15normal_iteratorINS9_10device_ptrIiEEEENSB_INSC_IjEEEESE_fNS9_4plusIvEENS9_8equal_toIvEEfEE10hipError_tPvRmT2_T3_T4_T5_mT6_T7_P12ihipStream_tbENKUlT_T0_E_clISt17integral_constantIbLb0EES10_IbLb1EEEEDaSW_SX_EUlSW_E_NS1_11comp_targetILNS1_3genE8ELNS1_11target_archE1030ELNS1_3gpuE2ELNS1_3repE0EEENS1_30default_config_static_selectorELNS0_4arch9wavefront6targetE1EEEvT1_,"axG",@progbits,_ZN7rocprim17ROCPRIM_400000_NS6detail17trampoline_kernelINS0_14default_configENS1_27scan_by_key_config_selectorIifEEZZNS1_16scan_by_key_implILNS1_25lookback_scan_determinismE0ELb1ES3_N6thrust23THRUST_200600_302600_NS6detail15normal_iteratorINS9_10device_ptrIiEEEENSB_INSC_IjEEEESE_fNS9_4plusIvEENS9_8equal_toIvEEfEE10hipError_tPvRmT2_T3_T4_T5_mT6_T7_P12ihipStream_tbENKUlT_T0_E_clISt17integral_constantIbLb0EES10_IbLb1EEEEDaSW_SX_EUlSW_E_NS1_11comp_targetILNS1_3genE8ELNS1_11target_archE1030ELNS1_3gpuE2ELNS1_3repE0EEENS1_30default_config_static_selectorELNS0_4arch9wavefront6targetE1EEEvT1_,comdat
.Lfunc_end1823:
	.size	_ZN7rocprim17ROCPRIM_400000_NS6detail17trampoline_kernelINS0_14default_configENS1_27scan_by_key_config_selectorIifEEZZNS1_16scan_by_key_implILNS1_25lookback_scan_determinismE0ELb1ES3_N6thrust23THRUST_200600_302600_NS6detail15normal_iteratorINS9_10device_ptrIiEEEENSB_INSC_IjEEEESE_fNS9_4plusIvEENS9_8equal_toIvEEfEE10hipError_tPvRmT2_T3_T4_T5_mT6_T7_P12ihipStream_tbENKUlT_T0_E_clISt17integral_constantIbLb0EES10_IbLb1EEEEDaSW_SX_EUlSW_E_NS1_11comp_targetILNS1_3genE8ELNS1_11target_archE1030ELNS1_3gpuE2ELNS1_3repE0EEENS1_30default_config_static_selectorELNS0_4arch9wavefront6targetE1EEEvT1_, .Lfunc_end1823-_ZN7rocprim17ROCPRIM_400000_NS6detail17trampoline_kernelINS0_14default_configENS1_27scan_by_key_config_selectorIifEEZZNS1_16scan_by_key_implILNS1_25lookback_scan_determinismE0ELb1ES3_N6thrust23THRUST_200600_302600_NS6detail15normal_iteratorINS9_10device_ptrIiEEEENSB_INSC_IjEEEESE_fNS9_4plusIvEENS9_8equal_toIvEEfEE10hipError_tPvRmT2_T3_T4_T5_mT6_T7_P12ihipStream_tbENKUlT_T0_E_clISt17integral_constantIbLb0EES10_IbLb1EEEEDaSW_SX_EUlSW_E_NS1_11comp_targetILNS1_3genE8ELNS1_11target_archE1030ELNS1_3gpuE2ELNS1_3repE0EEENS1_30default_config_static_selectorELNS0_4arch9wavefront6targetE1EEEvT1_
                                        ; -- End function
	.section	.AMDGPU.csdata,"",@progbits
; Kernel info:
; codeLenInByte = 0
; NumSgprs: 6
; NumVgprs: 0
; NumAgprs: 0
; TotalNumVgprs: 0
; ScratchSize: 0
; MemoryBound: 0
; FloatMode: 240
; IeeeMode: 1
; LDSByteSize: 0 bytes/workgroup (compile time only)
; SGPRBlocks: 0
; VGPRBlocks: 0
; NumSGPRsForWavesPerEU: 6
; NumVGPRsForWavesPerEU: 1
; AccumOffset: 4
; Occupancy: 8
; WaveLimiterHint : 0
; COMPUTE_PGM_RSRC2:SCRATCH_EN: 0
; COMPUTE_PGM_RSRC2:USER_SGPR: 2
; COMPUTE_PGM_RSRC2:TRAP_HANDLER: 0
; COMPUTE_PGM_RSRC2:TGID_X_EN: 1
; COMPUTE_PGM_RSRC2:TGID_Y_EN: 0
; COMPUTE_PGM_RSRC2:TGID_Z_EN: 0
; COMPUTE_PGM_RSRC2:TIDIG_COMP_CNT: 0
; COMPUTE_PGM_RSRC3_GFX90A:ACCUM_OFFSET: 0
; COMPUTE_PGM_RSRC3_GFX90A:TG_SPLIT: 0
	.section	.text._ZN6thrust23THRUST_200600_302600_NS11hip_rocprim14__parallel_for6kernelILj256ENS1_11__transform17unary_transform_fINS0_7pointerIiNS1_3tagENS0_11use_defaultES8_EENS0_10device_ptrIjEENS4_14no_stencil_tagENS0_8identityIiEENS4_21always_true_predicateEEElLj1EEEvT0_T1_SI_,"axG",@progbits,_ZN6thrust23THRUST_200600_302600_NS11hip_rocprim14__parallel_for6kernelILj256ENS1_11__transform17unary_transform_fINS0_7pointerIiNS1_3tagENS0_11use_defaultES8_EENS0_10device_ptrIjEENS4_14no_stencil_tagENS0_8identityIiEENS4_21always_true_predicateEEElLj1EEEvT0_T1_SI_,comdat
	.protected	_ZN6thrust23THRUST_200600_302600_NS11hip_rocprim14__parallel_for6kernelILj256ENS1_11__transform17unary_transform_fINS0_7pointerIiNS1_3tagENS0_11use_defaultES8_EENS0_10device_ptrIjEENS4_14no_stencil_tagENS0_8identityIiEENS4_21always_true_predicateEEElLj1EEEvT0_T1_SI_ ; -- Begin function _ZN6thrust23THRUST_200600_302600_NS11hip_rocprim14__parallel_for6kernelILj256ENS1_11__transform17unary_transform_fINS0_7pointerIiNS1_3tagENS0_11use_defaultES8_EENS0_10device_ptrIjEENS4_14no_stencil_tagENS0_8identityIiEENS4_21always_true_predicateEEElLj1EEEvT0_T1_SI_
	.globl	_ZN6thrust23THRUST_200600_302600_NS11hip_rocprim14__parallel_for6kernelILj256ENS1_11__transform17unary_transform_fINS0_7pointerIiNS1_3tagENS0_11use_defaultES8_EENS0_10device_ptrIjEENS4_14no_stencil_tagENS0_8identityIiEENS4_21always_true_predicateEEElLj1EEEvT0_T1_SI_
	.p2align	8
	.type	_ZN6thrust23THRUST_200600_302600_NS11hip_rocprim14__parallel_for6kernelILj256ENS1_11__transform17unary_transform_fINS0_7pointerIiNS1_3tagENS0_11use_defaultES8_EENS0_10device_ptrIjEENS4_14no_stencil_tagENS0_8identityIiEENS4_21always_true_predicateEEElLj1EEEvT0_T1_SI_,@function
_ZN6thrust23THRUST_200600_302600_NS11hip_rocprim14__parallel_for6kernelILj256ENS1_11__transform17unary_transform_fINS0_7pointerIiNS1_3tagENS0_11use_defaultES8_EENS0_10device_ptrIjEENS4_14no_stencil_tagENS0_8identityIiEENS4_21always_true_predicateEEElLj1EEEvT0_T1_SI_: ; @_ZN6thrust23THRUST_200600_302600_NS11hip_rocprim14__parallel_for6kernelILj256ENS1_11__transform17unary_transform_fINS0_7pointerIiNS1_3tagENS0_11use_defaultES8_EENS0_10device_ptrIjEENS4_14no_stencil_tagENS0_8identityIiEENS4_21always_true_predicateEEElLj1EEEvT0_T1_SI_
; %bb.0:
	s_load_dwordx4 s[8:11], s[0:1], 0x18
	s_load_dwordx4 s[4:7], s[0:1], 0x0
	s_lshl_b32 s0, s2, 8
	v_mov_b64_e32 v[2:3], 0x100
	s_waitcnt lgkmcnt(0)
	s_add_u32 s0, s0, s10
	s_addc_u32 s1, 0, s11
	s_sub_u32 s2, s8, s0
	s_subb_u32 s3, s9, s1
	v_cmp_lt_i64_e32 vcc, s[2:3], v[2:3]
	s_and_b64 s[8:9], vcc, exec
	s_cselect_b32 s8, s2, 0x100
	s_cmpk_lg_i32 s8, 0x100
	s_mov_b64 s[2:3], -1
	s_cbranch_scc1 .LBB1824_3
; %bb.1:
	s_andn2_b64 vcc, exec, s[2:3]
	s_cbranch_vccz .LBB1824_6
.LBB1824_2:
	s_endpgm
.LBB1824_3:
	v_cmp_gt_u32_e32 vcc, s8, v0
	s_and_saveexec_b64 s[2:3], vcc
	s_cbranch_execz .LBB1824_5
; %bb.4:
	v_mov_b32_e32 v1, 0
	v_lshl_add_u64 v[2:3], s[0:1], 0, v[0:1]
	v_lshlrev_b64 v[2:3], 2, v[2:3]
	v_lshl_add_u64 v[4:5], s[4:5], 0, v[2:3]
	flat_load_dword v1, v[4:5]
	v_lshl_add_u64 v[2:3], s[6:7], 0, v[2:3]
	s_waitcnt vmcnt(0) lgkmcnt(0)
	flat_store_dword v[2:3], v1
.LBB1824_5:
	s_or_b64 exec, exec, s[2:3]
	s_cbranch_execnz .LBB1824_2
.LBB1824_6:
	v_mov_b32_e32 v1, 0
	v_lshl_add_u64 v[0:1], s[0:1], 0, v[0:1]
	v_lshlrev_b64 v[0:1], 2, v[0:1]
	v_lshl_add_u64 v[2:3], s[4:5], 0, v[0:1]
	flat_load_dword v2, v[2:3]
	v_lshl_add_u64 v[0:1], s[6:7], 0, v[0:1]
	s_waitcnt vmcnt(0) lgkmcnt(0)
	flat_store_dword v[0:1], v2
	s_endpgm
	.section	.rodata,"a",@progbits
	.p2align	6, 0x0
	.amdhsa_kernel _ZN6thrust23THRUST_200600_302600_NS11hip_rocprim14__parallel_for6kernelILj256ENS1_11__transform17unary_transform_fINS0_7pointerIiNS1_3tagENS0_11use_defaultES8_EENS0_10device_ptrIjEENS4_14no_stencil_tagENS0_8identityIiEENS4_21always_true_predicateEEElLj1EEEvT0_T1_SI_
		.amdhsa_group_segment_fixed_size 0
		.amdhsa_private_segment_fixed_size 0
		.amdhsa_kernarg_size 40
		.amdhsa_user_sgpr_count 2
		.amdhsa_user_sgpr_dispatch_ptr 0
		.amdhsa_user_sgpr_queue_ptr 0
		.amdhsa_user_sgpr_kernarg_segment_ptr 1
		.amdhsa_user_sgpr_dispatch_id 0
		.amdhsa_user_sgpr_kernarg_preload_length 0
		.amdhsa_user_sgpr_kernarg_preload_offset 0
		.amdhsa_user_sgpr_private_segment_size 0
		.amdhsa_uses_dynamic_stack 0
		.amdhsa_enable_private_segment 0
		.amdhsa_system_sgpr_workgroup_id_x 1
		.amdhsa_system_sgpr_workgroup_id_y 0
		.amdhsa_system_sgpr_workgroup_id_z 0
		.amdhsa_system_sgpr_workgroup_info 0
		.amdhsa_system_vgpr_workitem_id 0
		.amdhsa_next_free_vgpr 6
		.amdhsa_next_free_sgpr 12
		.amdhsa_accum_offset 8
		.amdhsa_reserve_vcc 1
		.amdhsa_float_round_mode_32 0
		.amdhsa_float_round_mode_16_64 0
		.amdhsa_float_denorm_mode_32 3
		.amdhsa_float_denorm_mode_16_64 3
		.amdhsa_dx10_clamp 1
		.amdhsa_ieee_mode 1
		.amdhsa_fp16_overflow 0
		.amdhsa_tg_split 0
		.amdhsa_exception_fp_ieee_invalid_op 0
		.amdhsa_exception_fp_denorm_src 0
		.amdhsa_exception_fp_ieee_div_zero 0
		.amdhsa_exception_fp_ieee_overflow 0
		.amdhsa_exception_fp_ieee_underflow 0
		.amdhsa_exception_fp_ieee_inexact 0
		.amdhsa_exception_int_div_zero 0
	.end_amdhsa_kernel
	.section	.text._ZN6thrust23THRUST_200600_302600_NS11hip_rocprim14__parallel_for6kernelILj256ENS1_11__transform17unary_transform_fINS0_7pointerIiNS1_3tagENS0_11use_defaultES8_EENS0_10device_ptrIjEENS4_14no_stencil_tagENS0_8identityIiEENS4_21always_true_predicateEEElLj1EEEvT0_T1_SI_,"axG",@progbits,_ZN6thrust23THRUST_200600_302600_NS11hip_rocprim14__parallel_for6kernelILj256ENS1_11__transform17unary_transform_fINS0_7pointerIiNS1_3tagENS0_11use_defaultES8_EENS0_10device_ptrIjEENS4_14no_stencil_tagENS0_8identityIiEENS4_21always_true_predicateEEElLj1EEEvT0_T1_SI_,comdat
.Lfunc_end1824:
	.size	_ZN6thrust23THRUST_200600_302600_NS11hip_rocprim14__parallel_for6kernelILj256ENS1_11__transform17unary_transform_fINS0_7pointerIiNS1_3tagENS0_11use_defaultES8_EENS0_10device_ptrIjEENS4_14no_stencil_tagENS0_8identityIiEENS4_21always_true_predicateEEElLj1EEEvT0_T1_SI_, .Lfunc_end1824-_ZN6thrust23THRUST_200600_302600_NS11hip_rocprim14__parallel_for6kernelILj256ENS1_11__transform17unary_transform_fINS0_7pointerIiNS1_3tagENS0_11use_defaultES8_EENS0_10device_ptrIjEENS4_14no_stencil_tagENS0_8identityIiEENS4_21always_true_predicateEEElLj1EEEvT0_T1_SI_
                                        ; -- End function
	.section	.AMDGPU.csdata,"",@progbits
; Kernel info:
; codeLenInByte = 224
; NumSgprs: 18
; NumVgprs: 6
; NumAgprs: 0
; TotalNumVgprs: 6
; ScratchSize: 0
; MemoryBound: 0
; FloatMode: 240
; IeeeMode: 1
; LDSByteSize: 0 bytes/workgroup (compile time only)
; SGPRBlocks: 2
; VGPRBlocks: 0
; NumSGPRsForWavesPerEU: 18
; NumVGPRsForWavesPerEU: 6
; AccumOffset: 8
; Occupancy: 8
; WaveLimiterHint : 0
; COMPUTE_PGM_RSRC2:SCRATCH_EN: 0
; COMPUTE_PGM_RSRC2:USER_SGPR: 2
; COMPUTE_PGM_RSRC2:TRAP_HANDLER: 0
; COMPUTE_PGM_RSRC2:TGID_X_EN: 1
; COMPUTE_PGM_RSRC2:TGID_Y_EN: 0
; COMPUTE_PGM_RSRC2:TGID_Z_EN: 0
; COMPUTE_PGM_RSRC2:TIDIG_COMP_CNT: 0
; COMPUTE_PGM_RSRC3_GFX90A:ACCUM_OFFSET: 1
; COMPUTE_PGM_RSRC3_GFX90A:TG_SPLIT: 0
	.section	.text._ZN7rocprim17ROCPRIM_400000_NS6detail30init_device_scan_by_key_kernelINS1_19lookback_scan_stateINS0_5tupleIJjbEEELb0ELb1EEEN6thrust23THRUST_200600_302600_NS6detail15normal_iteratorINS8_10device_ptrIjEEEEjNS1_16block_id_wrapperIjLb0EEEEEvT_jjPNSG_10value_typeET0_PNSt15iterator_traitsISJ_E10value_typeEmT1_T2_,"axG",@progbits,_ZN7rocprim17ROCPRIM_400000_NS6detail30init_device_scan_by_key_kernelINS1_19lookback_scan_stateINS0_5tupleIJjbEEELb0ELb1EEEN6thrust23THRUST_200600_302600_NS6detail15normal_iteratorINS8_10device_ptrIjEEEEjNS1_16block_id_wrapperIjLb0EEEEEvT_jjPNSG_10value_typeET0_PNSt15iterator_traitsISJ_E10value_typeEmT1_T2_,comdat
	.protected	_ZN7rocprim17ROCPRIM_400000_NS6detail30init_device_scan_by_key_kernelINS1_19lookback_scan_stateINS0_5tupleIJjbEEELb0ELb1EEEN6thrust23THRUST_200600_302600_NS6detail15normal_iteratorINS8_10device_ptrIjEEEEjNS1_16block_id_wrapperIjLb0EEEEEvT_jjPNSG_10value_typeET0_PNSt15iterator_traitsISJ_E10value_typeEmT1_T2_ ; -- Begin function _ZN7rocprim17ROCPRIM_400000_NS6detail30init_device_scan_by_key_kernelINS1_19lookback_scan_stateINS0_5tupleIJjbEEELb0ELb1EEEN6thrust23THRUST_200600_302600_NS6detail15normal_iteratorINS8_10device_ptrIjEEEEjNS1_16block_id_wrapperIjLb0EEEEEvT_jjPNSG_10value_typeET0_PNSt15iterator_traitsISJ_E10value_typeEmT1_T2_
	.globl	_ZN7rocprim17ROCPRIM_400000_NS6detail30init_device_scan_by_key_kernelINS1_19lookback_scan_stateINS0_5tupleIJjbEEELb0ELb1EEEN6thrust23THRUST_200600_302600_NS6detail15normal_iteratorINS8_10device_ptrIjEEEEjNS1_16block_id_wrapperIjLb0EEEEEvT_jjPNSG_10value_typeET0_PNSt15iterator_traitsISJ_E10value_typeEmT1_T2_
	.p2align	8
	.type	_ZN7rocprim17ROCPRIM_400000_NS6detail30init_device_scan_by_key_kernelINS1_19lookback_scan_stateINS0_5tupleIJjbEEELb0ELb1EEEN6thrust23THRUST_200600_302600_NS6detail15normal_iteratorINS8_10device_ptrIjEEEEjNS1_16block_id_wrapperIjLb0EEEEEvT_jjPNSG_10value_typeET0_PNSt15iterator_traitsISJ_E10value_typeEmT1_T2_,@function
_ZN7rocprim17ROCPRIM_400000_NS6detail30init_device_scan_by_key_kernelINS1_19lookback_scan_stateINS0_5tupleIJjbEEELb0ELb1EEEN6thrust23THRUST_200600_302600_NS6detail15normal_iteratorINS8_10device_ptrIjEEEEjNS1_16block_id_wrapperIjLb0EEEEEvT_jjPNSG_10value_typeET0_PNSt15iterator_traitsISJ_E10value_typeEmT1_T2_: ; @_ZN7rocprim17ROCPRIM_400000_NS6detail30init_device_scan_by_key_kernelINS1_19lookback_scan_stateINS0_5tupleIJjbEEELb0ELb1EEEN6thrust23THRUST_200600_302600_NS6detail15normal_iteratorINS8_10device_ptrIjEEEEjNS1_16block_id_wrapperIjLb0EEEEEvT_jjPNSG_10value_typeET0_PNSt15iterator_traitsISJ_E10value_typeEmT1_T2_
; %bb.0:
	s_load_dword s3, s[0:1], 0x44
	s_load_dwordx8 s[4:11], s[0:1], 0x0
	s_load_dword s18, s[0:1], 0x38
	s_waitcnt lgkmcnt(0)
	s_and_b32 s19, s3, 0xffff
	s_mul_i32 s2, s2, s19
	s_cmp_eq_u64 s[8:9], 0
	v_add_u32_e32 v4, s2, v0
	s_cbranch_scc1 .LBB1825_8
; %bb.1:
	s_cmp_lt_u32 s7, s6
	s_cselect_b32 s2, s7, 0
	s_mov_b32 s13, 0
	v_cmp_eq_u32_e32 vcc, s2, v4
	s_and_saveexec_b64 s[2:3], vcc
	s_cbranch_execz .LBB1825_7
; %bb.2:
	s_add_i32 s12, s7, 64
	s_lshl_b64 s[12:13], s[12:13], 4
	s_add_u32 s16, s4, s12
	s_addc_u32 s17, s5, s13
	v_mov_b64_e32 v[0:1], s[16:17]
	;;#ASMSTART
	global_load_dwordx4 v[0:3], v[0:1] off sc1	
s_waitcnt vmcnt(0)
	;;#ASMEND
	v_mov_b32_e32 v7, 0
	v_and_b32_e32 v6, 0xff, v2
	s_mov_b64 s[14:15], 0
	v_cmp_eq_u64_e32 vcc, 0, v[6:7]
	s_and_saveexec_b64 s[12:13], vcc
	s_cbranch_execz .LBB1825_6
; %bb.3:
	v_mov_b64_e32 v[8:9], s[16:17]
.LBB1825_4:                             ; =>This Inner Loop Header: Depth=1
	;;#ASMSTART
	global_load_dwordx4 v[0:3], v[8:9] off sc1	
s_waitcnt vmcnt(0)
	;;#ASMEND
	s_nop 0
	v_and_b32_e32 v6, 0xff, v2
	v_cmp_ne_u64_e32 vcc, 0, v[6:7]
	s_or_b64 s[14:15], vcc, s[14:15]
	s_andn2_b64 exec, exec, s[14:15]
	s_cbranch_execnz .LBB1825_4
; %bb.5:
	s_or_b64 exec, exec, s[14:15]
.LBB1825_6:
	s_or_b64 exec, exec, s[12:13]
	v_mov_b32_e32 v2, 0
	global_store_dword v2, v0, s[8:9]
	global_store_byte v2, v1, s[8:9] offset:4
.LBB1825_7:
	s_or_b64 exec, exec, s[2:3]
.LBB1825_8:
	v_cmp_gt_u32_e32 vcc, s6, v4
	s_and_saveexec_b64 s[2:3], vcc
	s_cbranch_execz .LBB1825_10
; %bb.9:
	v_add_u32_e32 v0, 64, v4
	v_mov_b32_e32 v1, 0
	v_lshl_add_u64 v[6:7], v[0:1], 4, s[4:5]
	v_mov_b32_e32 v0, v1
	v_mov_b32_e32 v2, v1
	;; [unrolled: 1-line block ×3, first 2 shown]
	global_store_dwordx4 v[6:7], v[0:3], off
.LBB1825_10:
	s_or_b64 exec, exec, s[2:3]
	v_cmp_gt_u32_e32 vcc, 64, v4
	v_mov_b32_e32 v5, 0
	s_and_saveexec_b64 s[2:3], vcc
	s_cbranch_execz .LBB1825_12
; %bb.11:
	v_lshl_add_u64 v[6:7], v[4:5], 4, s[4:5]
	v_mov_b32_e32 v2, 0xff
	v_mov_b32_e32 v0, v5
	;; [unrolled: 1-line block ×4, first 2 shown]
	global_store_dwordx4 v[6:7], v[0:3], off
.LBB1825_12:
	s_or_b64 exec, exec, s[2:3]
	s_load_dwordx2 s[2:3], s[0:1], 0x28
	s_waitcnt lgkmcnt(0)
	v_cmp_gt_u64_e32 vcc, s[2:3], v[4:5]
	s_and_saveexec_b64 s[4:5], vcc
	s_cbranch_execz .LBB1825_15
; %bb.13:
	s_load_dword s12, s[0:1], 0x30
	s_load_dwordx2 s[6:7], s[0:1], 0x20
	s_mov_b32 s5, 0
	s_mov_b32 s1, s5
	s_mul_i32 s0, s18, s19
	s_waitcnt lgkmcnt(0)
	s_add_i32 s4, s12, -1
	s_lshl_b64 s[4:5], s[4:5], 2
	s_add_u32 s4, s10, s4
	v_mad_u64_u32 v[0:1], s[8:9], s12, v4, 0
	s_addc_u32 s5, s11, s5
	v_lshl_add_u64 v[0:1], v[0:1], 2, s[4:5]
	s_mul_hi_u32 s5, s12, s0
	s_mul_i32 s4, s12, s0
	s_lshl_b64 s[4:5], s[4:5], 2
	v_lshl_add_u64 v[2:3], v[4:5], 2, s[6:7]
	s_lshl_b64 s[6:7], s[0:1], 2
	s_mov_b64 s[8:9], 0
.LBB1825_14:                            ; =>This Inner Loop Header: Depth=1
	global_load_dword v6, v[0:1], off
	v_lshl_add_u64 v[4:5], v[4:5], 0, s[0:1]
	v_cmp_le_u64_e32 vcc, s[2:3], v[4:5]
	v_lshl_add_u64 v[0:1], v[0:1], 0, s[4:5]
	s_or_b64 s[8:9], vcc, s[8:9]
	s_waitcnt vmcnt(0)
	global_store_dword v[2:3], v6, off
	v_lshl_add_u64 v[2:3], v[2:3], 0, s[6:7]
	s_andn2_b64 exec, exec, s[8:9]
	s_cbranch_execnz .LBB1825_14
.LBB1825_15:
	s_endpgm
	.section	.rodata,"a",@progbits
	.p2align	6, 0x0
	.amdhsa_kernel _ZN7rocprim17ROCPRIM_400000_NS6detail30init_device_scan_by_key_kernelINS1_19lookback_scan_stateINS0_5tupleIJjbEEELb0ELb1EEEN6thrust23THRUST_200600_302600_NS6detail15normal_iteratorINS8_10device_ptrIjEEEEjNS1_16block_id_wrapperIjLb0EEEEEvT_jjPNSG_10value_typeET0_PNSt15iterator_traitsISJ_E10value_typeEmT1_T2_
		.amdhsa_group_segment_fixed_size 0
		.amdhsa_private_segment_fixed_size 0
		.amdhsa_kernarg_size 312
		.amdhsa_user_sgpr_count 2
		.amdhsa_user_sgpr_dispatch_ptr 0
		.amdhsa_user_sgpr_queue_ptr 0
		.amdhsa_user_sgpr_kernarg_segment_ptr 1
		.amdhsa_user_sgpr_dispatch_id 0
		.amdhsa_user_sgpr_kernarg_preload_length 0
		.amdhsa_user_sgpr_kernarg_preload_offset 0
		.amdhsa_user_sgpr_private_segment_size 0
		.amdhsa_uses_dynamic_stack 0
		.amdhsa_enable_private_segment 0
		.amdhsa_system_sgpr_workgroup_id_x 1
		.amdhsa_system_sgpr_workgroup_id_y 0
		.amdhsa_system_sgpr_workgroup_id_z 0
		.amdhsa_system_sgpr_workgroup_info 0
		.amdhsa_system_vgpr_workitem_id 0
		.amdhsa_next_free_vgpr 10
		.amdhsa_next_free_sgpr 20
		.amdhsa_accum_offset 12
		.amdhsa_reserve_vcc 1
		.amdhsa_float_round_mode_32 0
		.amdhsa_float_round_mode_16_64 0
		.amdhsa_float_denorm_mode_32 3
		.amdhsa_float_denorm_mode_16_64 3
		.amdhsa_dx10_clamp 1
		.amdhsa_ieee_mode 1
		.amdhsa_fp16_overflow 0
		.amdhsa_tg_split 0
		.amdhsa_exception_fp_ieee_invalid_op 0
		.amdhsa_exception_fp_denorm_src 0
		.amdhsa_exception_fp_ieee_div_zero 0
		.amdhsa_exception_fp_ieee_overflow 0
		.amdhsa_exception_fp_ieee_underflow 0
		.amdhsa_exception_fp_ieee_inexact 0
		.amdhsa_exception_int_div_zero 0
	.end_amdhsa_kernel
	.section	.text._ZN7rocprim17ROCPRIM_400000_NS6detail30init_device_scan_by_key_kernelINS1_19lookback_scan_stateINS0_5tupleIJjbEEELb0ELb1EEEN6thrust23THRUST_200600_302600_NS6detail15normal_iteratorINS8_10device_ptrIjEEEEjNS1_16block_id_wrapperIjLb0EEEEEvT_jjPNSG_10value_typeET0_PNSt15iterator_traitsISJ_E10value_typeEmT1_T2_,"axG",@progbits,_ZN7rocprim17ROCPRIM_400000_NS6detail30init_device_scan_by_key_kernelINS1_19lookback_scan_stateINS0_5tupleIJjbEEELb0ELb1EEEN6thrust23THRUST_200600_302600_NS6detail15normal_iteratorINS8_10device_ptrIjEEEEjNS1_16block_id_wrapperIjLb0EEEEEvT_jjPNSG_10value_typeET0_PNSt15iterator_traitsISJ_E10value_typeEmT1_T2_,comdat
.Lfunc_end1825:
	.size	_ZN7rocprim17ROCPRIM_400000_NS6detail30init_device_scan_by_key_kernelINS1_19lookback_scan_stateINS0_5tupleIJjbEEELb0ELb1EEEN6thrust23THRUST_200600_302600_NS6detail15normal_iteratorINS8_10device_ptrIjEEEEjNS1_16block_id_wrapperIjLb0EEEEEvT_jjPNSG_10value_typeET0_PNSt15iterator_traitsISJ_E10value_typeEmT1_T2_, .Lfunc_end1825-_ZN7rocprim17ROCPRIM_400000_NS6detail30init_device_scan_by_key_kernelINS1_19lookback_scan_stateINS0_5tupleIJjbEEELb0ELb1EEEN6thrust23THRUST_200600_302600_NS6detail15normal_iteratorINS8_10device_ptrIjEEEEjNS1_16block_id_wrapperIjLb0EEEEEvT_jjPNSG_10value_typeET0_PNSt15iterator_traitsISJ_E10value_typeEmT1_T2_
                                        ; -- End function
	.section	.AMDGPU.csdata,"",@progbits
; Kernel info:
; codeLenInByte = 508
; NumSgprs: 26
; NumVgprs: 10
; NumAgprs: 0
; TotalNumVgprs: 10
; ScratchSize: 0
; MemoryBound: 0
; FloatMode: 240
; IeeeMode: 1
; LDSByteSize: 0 bytes/workgroup (compile time only)
; SGPRBlocks: 3
; VGPRBlocks: 1
; NumSGPRsForWavesPerEU: 26
; NumVGPRsForWavesPerEU: 10
; AccumOffset: 12
; Occupancy: 8
; WaveLimiterHint : 0
; COMPUTE_PGM_RSRC2:SCRATCH_EN: 0
; COMPUTE_PGM_RSRC2:USER_SGPR: 2
; COMPUTE_PGM_RSRC2:TRAP_HANDLER: 0
; COMPUTE_PGM_RSRC2:TGID_X_EN: 1
; COMPUTE_PGM_RSRC2:TGID_Y_EN: 0
; COMPUTE_PGM_RSRC2:TGID_Z_EN: 0
; COMPUTE_PGM_RSRC2:TIDIG_COMP_CNT: 0
; COMPUTE_PGM_RSRC3_GFX90A:ACCUM_OFFSET: 2
; COMPUTE_PGM_RSRC3_GFX90A:TG_SPLIT: 0
	.section	.text._ZN7rocprim17ROCPRIM_400000_NS6detail17trampoline_kernelINS0_14default_configENS1_27scan_by_key_config_selectorIjjEEZZNS1_16scan_by_key_implILNS1_25lookback_scan_determinismE0ELb0ES3_N6thrust23THRUST_200600_302600_NS6detail15normal_iteratorINS9_10device_ptrIjEEEESE_SE_jNS9_4plusIvEENS9_8equal_toIvEEjEE10hipError_tPvRmT2_T3_T4_T5_mT6_T7_P12ihipStream_tbENKUlT_T0_E_clISt17integral_constantIbLb0EESZ_EEDaSU_SV_EUlSU_E_NS1_11comp_targetILNS1_3genE0ELNS1_11target_archE4294967295ELNS1_3gpuE0ELNS1_3repE0EEENS1_30default_config_static_selectorELNS0_4arch9wavefront6targetE1EEEvT1_,"axG",@progbits,_ZN7rocprim17ROCPRIM_400000_NS6detail17trampoline_kernelINS0_14default_configENS1_27scan_by_key_config_selectorIjjEEZZNS1_16scan_by_key_implILNS1_25lookback_scan_determinismE0ELb0ES3_N6thrust23THRUST_200600_302600_NS6detail15normal_iteratorINS9_10device_ptrIjEEEESE_SE_jNS9_4plusIvEENS9_8equal_toIvEEjEE10hipError_tPvRmT2_T3_T4_T5_mT6_T7_P12ihipStream_tbENKUlT_T0_E_clISt17integral_constantIbLb0EESZ_EEDaSU_SV_EUlSU_E_NS1_11comp_targetILNS1_3genE0ELNS1_11target_archE4294967295ELNS1_3gpuE0ELNS1_3repE0EEENS1_30default_config_static_selectorELNS0_4arch9wavefront6targetE1EEEvT1_,comdat
	.protected	_ZN7rocprim17ROCPRIM_400000_NS6detail17trampoline_kernelINS0_14default_configENS1_27scan_by_key_config_selectorIjjEEZZNS1_16scan_by_key_implILNS1_25lookback_scan_determinismE0ELb0ES3_N6thrust23THRUST_200600_302600_NS6detail15normal_iteratorINS9_10device_ptrIjEEEESE_SE_jNS9_4plusIvEENS9_8equal_toIvEEjEE10hipError_tPvRmT2_T3_T4_T5_mT6_T7_P12ihipStream_tbENKUlT_T0_E_clISt17integral_constantIbLb0EESZ_EEDaSU_SV_EUlSU_E_NS1_11comp_targetILNS1_3genE0ELNS1_11target_archE4294967295ELNS1_3gpuE0ELNS1_3repE0EEENS1_30default_config_static_selectorELNS0_4arch9wavefront6targetE1EEEvT1_ ; -- Begin function _ZN7rocprim17ROCPRIM_400000_NS6detail17trampoline_kernelINS0_14default_configENS1_27scan_by_key_config_selectorIjjEEZZNS1_16scan_by_key_implILNS1_25lookback_scan_determinismE0ELb0ES3_N6thrust23THRUST_200600_302600_NS6detail15normal_iteratorINS9_10device_ptrIjEEEESE_SE_jNS9_4plusIvEENS9_8equal_toIvEEjEE10hipError_tPvRmT2_T3_T4_T5_mT6_T7_P12ihipStream_tbENKUlT_T0_E_clISt17integral_constantIbLb0EESZ_EEDaSU_SV_EUlSU_E_NS1_11comp_targetILNS1_3genE0ELNS1_11target_archE4294967295ELNS1_3gpuE0ELNS1_3repE0EEENS1_30default_config_static_selectorELNS0_4arch9wavefront6targetE1EEEvT1_
	.globl	_ZN7rocprim17ROCPRIM_400000_NS6detail17trampoline_kernelINS0_14default_configENS1_27scan_by_key_config_selectorIjjEEZZNS1_16scan_by_key_implILNS1_25lookback_scan_determinismE0ELb0ES3_N6thrust23THRUST_200600_302600_NS6detail15normal_iteratorINS9_10device_ptrIjEEEESE_SE_jNS9_4plusIvEENS9_8equal_toIvEEjEE10hipError_tPvRmT2_T3_T4_T5_mT6_T7_P12ihipStream_tbENKUlT_T0_E_clISt17integral_constantIbLb0EESZ_EEDaSU_SV_EUlSU_E_NS1_11comp_targetILNS1_3genE0ELNS1_11target_archE4294967295ELNS1_3gpuE0ELNS1_3repE0EEENS1_30default_config_static_selectorELNS0_4arch9wavefront6targetE1EEEvT1_
	.p2align	8
	.type	_ZN7rocprim17ROCPRIM_400000_NS6detail17trampoline_kernelINS0_14default_configENS1_27scan_by_key_config_selectorIjjEEZZNS1_16scan_by_key_implILNS1_25lookback_scan_determinismE0ELb0ES3_N6thrust23THRUST_200600_302600_NS6detail15normal_iteratorINS9_10device_ptrIjEEEESE_SE_jNS9_4plusIvEENS9_8equal_toIvEEjEE10hipError_tPvRmT2_T3_T4_T5_mT6_T7_P12ihipStream_tbENKUlT_T0_E_clISt17integral_constantIbLb0EESZ_EEDaSU_SV_EUlSU_E_NS1_11comp_targetILNS1_3genE0ELNS1_11target_archE4294967295ELNS1_3gpuE0ELNS1_3repE0EEENS1_30default_config_static_selectorELNS0_4arch9wavefront6targetE1EEEvT1_,@function
_ZN7rocprim17ROCPRIM_400000_NS6detail17trampoline_kernelINS0_14default_configENS1_27scan_by_key_config_selectorIjjEEZZNS1_16scan_by_key_implILNS1_25lookback_scan_determinismE0ELb0ES3_N6thrust23THRUST_200600_302600_NS6detail15normal_iteratorINS9_10device_ptrIjEEEESE_SE_jNS9_4plusIvEENS9_8equal_toIvEEjEE10hipError_tPvRmT2_T3_T4_T5_mT6_T7_P12ihipStream_tbENKUlT_T0_E_clISt17integral_constantIbLb0EESZ_EEDaSU_SV_EUlSU_E_NS1_11comp_targetILNS1_3genE0ELNS1_11target_archE4294967295ELNS1_3gpuE0ELNS1_3repE0EEENS1_30default_config_static_selectorELNS0_4arch9wavefront6targetE1EEEvT1_: ; @_ZN7rocprim17ROCPRIM_400000_NS6detail17trampoline_kernelINS0_14default_configENS1_27scan_by_key_config_selectorIjjEEZZNS1_16scan_by_key_implILNS1_25lookback_scan_determinismE0ELb0ES3_N6thrust23THRUST_200600_302600_NS6detail15normal_iteratorINS9_10device_ptrIjEEEESE_SE_jNS9_4plusIvEENS9_8equal_toIvEEjEE10hipError_tPvRmT2_T3_T4_T5_mT6_T7_P12ihipStream_tbENKUlT_T0_E_clISt17integral_constantIbLb0EESZ_EEDaSU_SV_EUlSU_E_NS1_11comp_targetILNS1_3genE0ELNS1_11target_archE4294967295ELNS1_3gpuE0ELNS1_3repE0EEENS1_30default_config_static_selectorELNS0_4arch9wavefront6targetE1EEEvT1_
; %bb.0:
	.section	.rodata,"a",@progbits
	.p2align	6, 0x0
	.amdhsa_kernel _ZN7rocprim17ROCPRIM_400000_NS6detail17trampoline_kernelINS0_14default_configENS1_27scan_by_key_config_selectorIjjEEZZNS1_16scan_by_key_implILNS1_25lookback_scan_determinismE0ELb0ES3_N6thrust23THRUST_200600_302600_NS6detail15normal_iteratorINS9_10device_ptrIjEEEESE_SE_jNS9_4plusIvEENS9_8equal_toIvEEjEE10hipError_tPvRmT2_T3_T4_T5_mT6_T7_P12ihipStream_tbENKUlT_T0_E_clISt17integral_constantIbLb0EESZ_EEDaSU_SV_EUlSU_E_NS1_11comp_targetILNS1_3genE0ELNS1_11target_archE4294967295ELNS1_3gpuE0ELNS1_3repE0EEENS1_30default_config_static_selectorELNS0_4arch9wavefront6targetE1EEEvT1_
		.amdhsa_group_segment_fixed_size 0
		.amdhsa_private_segment_fixed_size 0
		.amdhsa_kernarg_size 112
		.amdhsa_user_sgpr_count 2
		.amdhsa_user_sgpr_dispatch_ptr 0
		.amdhsa_user_sgpr_queue_ptr 0
		.amdhsa_user_sgpr_kernarg_segment_ptr 1
		.amdhsa_user_sgpr_dispatch_id 0
		.amdhsa_user_sgpr_kernarg_preload_length 0
		.amdhsa_user_sgpr_kernarg_preload_offset 0
		.amdhsa_user_sgpr_private_segment_size 0
		.amdhsa_uses_dynamic_stack 0
		.amdhsa_enable_private_segment 0
		.amdhsa_system_sgpr_workgroup_id_x 1
		.amdhsa_system_sgpr_workgroup_id_y 0
		.amdhsa_system_sgpr_workgroup_id_z 0
		.amdhsa_system_sgpr_workgroup_info 0
		.amdhsa_system_vgpr_workitem_id 0
		.amdhsa_next_free_vgpr 1
		.amdhsa_next_free_sgpr 0
		.amdhsa_accum_offset 4
		.amdhsa_reserve_vcc 0
		.amdhsa_float_round_mode_32 0
		.amdhsa_float_round_mode_16_64 0
		.amdhsa_float_denorm_mode_32 3
		.amdhsa_float_denorm_mode_16_64 3
		.amdhsa_dx10_clamp 1
		.amdhsa_ieee_mode 1
		.amdhsa_fp16_overflow 0
		.amdhsa_tg_split 0
		.amdhsa_exception_fp_ieee_invalid_op 0
		.amdhsa_exception_fp_denorm_src 0
		.amdhsa_exception_fp_ieee_div_zero 0
		.amdhsa_exception_fp_ieee_overflow 0
		.amdhsa_exception_fp_ieee_underflow 0
		.amdhsa_exception_fp_ieee_inexact 0
		.amdhsa_exception_int_div_zero 0
	.end_amdhsa_kernel
	.section	.text._ZN7rocprim17ROCPRIM_400000_NS6detail17trampoline_kernelINS0_14default_configENS1_27scan_by_key_config_selectorIjjEEZZNS1_16scan_by_key_implILNS1_25lookback_scan_determinismE0ELb0ES3_N6thrust23THRUST_200600_302600_NS6detail15normal_iteratorINS9_10device_ptrIjEEEESE_SE_jNS9_4plusIvEENS9_8equal_toIvEEjEE10hipError_tPvRmT2_T3_T4_T5_mT6_T7_P12ihipStream_tbENKUlT_T0_E_clISt17integral_constantIbLb0EESZ_EEDaSU_SV_EUlSU_E_NS1_11comp_targetILNS1_3genE0ELNS1_11target_archE4294967295ELNS1_3gpuE0ELNS1_3repE0EEENS1_30default_config_static_selectorELNS0_4arch9wavefront6targetE1EEEvT1_,"axG",@progbits,_ZN7rocprim17ROCPRIM_400000_NS6detail17trampoline_kernelINS0_14default_configENS1_27scan_by_key_config_selectorIjjEEZZNS1_16scan_by_key_implILNS1_25lookback_scan_determinismE0ELb0ES3_N6thrust23THRUST_200600_302600_NS6detail15normal_iteratorINS9_10device_ptrIjEEEESE_SE_jNS9_4plusIvEENS9_8equal_toIvEEjEE10hipError_tPvRmT2_T3_T4_T5_mT6_T7_P12ihipStream_tbENKUlT_T0_E_clISt17integral_constantIbLb0EESZ_EEDaSU_SV_EUlSU_E_NS1_11comp_targetILNS1_3genE0ELNS1_11target_archE4294967295ELNS1_3gpuE0ELNS1_3repE0EEENS1_30default_config_static_selectorELNS0_4arch9wavefront6targetE1EEEvT1_,comdat
.Lfunc_end1826:
	.size	_ZN7rocprim17ROCPRIM_400000_NS6detail17trampoline_kernelINS0_14default_configENS1_27scan_by_key_config_selectorIjjEEZZNS1_16scan_by_key_implILNS1_25lookback_scan_determinismE0ELb0ES3_N6thrust23THRUST_200600_302600_NS6detail15normal_iteratorINS9_10device_ptrIjEEEESE_SE_jNS9_4plusIvEENS9_8equal_toIvEEjEE10hipError_tPvRmT2_T3_T4_T5_mT6_T7_P12ihipStream_tbENKUlT_T0_E_clISt17integral_constantIbLb0EESZ_EEDaSU_SV_EUlSU_E_NS1_11comp_targetILNS1_3genE0ELNS1_11target_archE4294967295ELNS1_3gpuE0ELNS1_3repE0EEENS1_30default_config_static_selectorELNS0_4arch9wavefront6targetE1EEEvT1_, .Lfunc_end1826-_ZN7rocprim17ROCPRIM_400000_NS6detail17trampoline_kernelINS0_14default_configENS1_27scan_by_key_config_selectorIjjEEZZNS1_16scan_by_key_implILNS1_25lookback_scan_determinismE0ELb0ES3_N6thrust23THRUST_200600_302600_NS6detail15normal_iteratorINS9_10device_ptrIjEEEESE_SE_jNS9_4plusIvEENS9_8equal_toIvEEjEE10hipError_tPvRmT2_T3_T4_T5_mT6_T7_P12ihipStream_tbENKUlT_T0_E_clISt17integral_constantIbLb0EESZ_EEDaSU_SV_EUlSU_E_NS1_11comp_targetILNS1_3genE0ELNS1_11target_archE4294967295ELNS1_3gpuE0ELNS1_3repE0EEENS1_30default_config_static_selectorELNS0_4arch9wavefront6targetE1EEEvT1_
                                        ; -- End function
	.section	.AMDGPU.csdata,"",@progbits
; Kernel info:
; codeLenInByte = 0
; NumSgprs: 6
; NumVgprs: 0
; NumAgprs: 0
; TotalNumVgprs: 0
; ScratchSize: 0
; MemoryBound: 0
; FloatMode: 240
; IeeeMode: 1
; LDSByteSize: 0 bytes/workgroup (compile time only)
; SGPRBlocks: 0
; VGPRBlocks: 0
; NumSGPRsForWavesPerEU: 6
; NumVGPRsForWavesPerEU: 1
; AccumOffset: 4
; Occupancy: 8
; WaveLimiterHint : 0
; COMPUTE_PGM_RSRC2:SCRATCH_EN: 0
; COMPUTE_PGM_RSRC2:USER_SGPR: 2
; COMPUTE_PGM_RSRC2:TRAP_HANDLER: 0
; COMPUTE_PGM_RSRC2:TGID_X_EN: 1
; COMPUTE_PGM_RSRC2:TGID_Y_EN: 0
; COMPUTE_PGM_RSRC2:TGID_Z_EN: 0
; COMPUTE_PGM_RSRC2:TIDIG_COMP_CNT: 0
; COMPUTE_PGM_RSRC3_GFX90A:ACCUM_OFFSET: 0
; COMPUTE_PGM_RSRC3_GFX90A:TG_SPLIT: 0
	.section	.text._ZN7rocprim17ROCPRIM_400000_NS6detail17trampoline_kernelINS0_14default_configENS1_27scan_by_key_config_selectorIjjEEZZNS1_16scan_by_key_implILNS1_25lookback_scan_determinismE0ELb0ES3_N6thrust23THRUST_200600_302600_NS6detail15normal_iteratorINS9_10device_ptrIjEEEESE_SE_jNS9_4plusIvEENS9_8equal_toIvEEjEE10hipError_tPvRmT2_T3_T4_T5_mT6_T7_P12ihipStream_tbENKUlT_T0_E_clISt17integral_constantIbLb0EESZ_EEDaSU_SV_EUlSU_E_NS1_11comp_targetILNS1_3genE10ELNS1_11target_archE1201ELNS1_3gpuE5ELNS1_3repE0EEENS1_30default_config_static_selectorELNS0_4arch9wavefront6targetE1EEEvT1_,"axG",@progbits,_ZN7rocprim17ROCPRIM_400000_NS6detail17trampoline_kernelINS0_14default_configENS1_27scan_by_key_config_selectorIjjEEZZNS1_16scan_by_key_implILNS1_25lookback_scan_determinismE0ELb0ES3_N6thrust23THRUST_200600_302600_NS6detail15normal_iteratorINS9_10device_ptrIjEEEESE_SE_jNS9_4plusIvEENS9_8equal_toIvEEjEE10hipError_tPvRmT2_T3_T4_T5_mT6_T7_P12ihipStream_tbENKUlT_T0_E_clISt17integral_constantIbLb0EESZ_EEDaSU_SV_EUlSU_E_NS1_11comp_targetILNS1_3genE10ELNS1_11target_archE1201ELNS1_3gpuE5ELNS1_3repE0EEENS1_30default_config_static_selectorELNS0_4arch9wavefront6targetE1EEEvT1_,comdat
	.protected	_ZN7rocprim17ROCPRIM_400000_NS6detail17trampoline_kernelINS0_14default_configENS1_27scan_by_key_config_selectorIjjEEZZNS1_16scan_by_key_implILNS1_25lookback_scan_determinismE0ELb0ES3_N6thrust23THRUST_200600_302600_NS6detail15normal_iteratorINS9_10device_ptrIjEEEESE_SE_jNS9_4plusIvEENS9_8equal_toIvEEjEE10hipError_tPvRmT2_T3_T4_T5_mT6_T7_P12ihipStream_tbENKUlT_T0_E_clISt17integral_constantIbLb0EESZ_EEDaSU_SV_EUlSU_E_NS1_11comp_targetILNS1_3genE10ELNS1_11target_archE1201ELNS1_3gpuE5ELNS1_3repE0EEENS1_30default_config_static_selectorELNS0_4arch9wavefront6targetE1EEEvT1_ ; -- Begin function _ZN7rocprim17ROCPRIM_400000_NS6detail17trampoline_kernelINS0_14default_configENS1_27scan_by_key_config_selectorIjjEEZZNS1_16scan_by_key_implILNS1_25lookback_scan_determinismE0ELb0ES3_N6thrust23THRUST_200600_302600_NS6detail15normal_iteratorINS9_10device_ptrIjEEEESE_SE_jNS9_4plusIvEENS9_8equal_toIvEEjEE10hipError_tPvRmT2_T3_T4_T5_mT6_T7_P12ihipStream_tbENKUlT_T0_E_clISt17integral_constantIbLb0EESZ_EEDaSU_SV_EUlSU_E_NS1_11comp_targetILNS1_3genE10ELNS1_11target_archE1201ELNS1_3gpuE5ELNS1_3repE0EEENS1_30default_config_static_selectorELNS0_4arch9wavefront6targetE1EEEvT1_
	.globl	_ZN7rocprim17ROCPRIM_400000_NS6detail17trampoline_kernelINS0_14default_configENS1_27scan_by_key_config_selectorIjjEEZZNS1_16scan_by_key_implILNS1_25lookback_scan_determinismE0ELb0ES3_N6thrust23THRUST_200600_302600_NS6detail15normal_iteratorINS9_10device_ptrIjEEEESE_SE_jNS9_4plusIvEENS9_8equal_toIvEEjEE10hipError_tPvRmT2_T3_T4_T5_mT6_T7_P12ihipStream_tbENKUlT_T0_E_clISt17integral_constantIbLb0EESZ_EEDaSU_SV_EUlSU_E_NS1_11comp_targetILNS1_3genE10ELNS1_11target_archE1201ELNS1_3gpuE5ELNS1_3repE0EEENS1_30default_config_static_selectorELNS0_4arch9wavefront6targetE1EEEvT1_
	.p2align	8
	.type	_ZN7rocprim17ROCPRIM_400000_NS6detail17trampoline_kernelINS0_14default_configENS1_27scan_by_key_config_selectorIjjEEZZNS1_16scan_by_key_implILNS1_25lookback_scan_determinismE0ELb0ES3_N6thrust23THRUST_200600_302600_NS6detail15normal_iteratorINS9_10device_ptrIjEEEESE_SE_jNS9_4plusIvEENS9_8equal_toIvEEjEE10hipError_tPvRmT2_T3_T4_T5_mT6_T7_P12ihipStream_tbENKUlT_T0_E_clISt17integral_constantIbLb0EESZ_EEDaSU_SV_EUlSU_E_NS1_11comp_targetILNS1_3genE10ELNS1_11target_archE1201ELNS1_3gpuE5ELNS1_3repE0EEENS1_30default_config_static_selectorELNS0_4arch9wavefront6targetE1EEEvT1_,@function
_ZN7rocprim17ROCPRIM_400000_NS6detail17trampoline_kernelINS0_14default_configENS1_27scan_by_key_config_selectorIjjEEZZNS1_16scan_by_key_implILNS1_25lookback_scan_determinismE0ELb0ES3_N6thrust23THRUST_200600_302600_NS6detail15normal_iteratorINS9_10device_ptrIjEEEESE_SE_jNS9_4plusIvEENS9_8equal_toIvEEjEE10hipError_tPvRmT2_T3_T4_T5_mT6_T7_P12ihipStream_tbENKUlT_T0_E_clISt17integral_constantIbLb0EESZ_EEDaSU_SV_EUlSU_E_NS1_11comp_targetILNS1_3genE10ELNS1_11target_archE1201ELNS1_3gpuE5ELNS1_3repE0EEENS1_30default_config_static_selectorELNS0_4arch9wavefront6targetE1EEEvT1_: ; @_ZN7rocprim17ROCPRIM_400000_NS6detail17trampoline_kernelINS0_14default_configENS1_27scan_by_key_config_selectorIjjEEZZNS1_16scan_by_key_implILNS1_25lookback_scan_determinismE0ELb0ES3_N6thrust23THRUST_200600_302600_NS6detail15normal_iteratorINS9_10device_ptrIjEEEESE_SE_jNS9_4plusIvEENS9_8equal_toIvEEjEE10hipError_tPvRmT2_T3_T4_T5_mT6_T7_P12ihipStream_tbENKUlT_T0_E_clISt17integral_constantIbLb0EESZ_EEDaSU_SV_EUlSU_E_NS1_11comp_targetILNS1_3genE10ELNS1_11target_archE1201ELNS1_3gpuE5ELNS1_3repE0EEENS1_30default_config_static_selectorELNS0_4arch9wavefront6targetE1EEEvT1_
; %bb.0:
	.section	.rodata,"a",@progbits
	.p2align	6, 0x0
	.amdhsa_kernel _ZN7rocprim17ROCPRIM_400000_NS6detail17trampoline_kernelINS0_14default_configENS1_27scan_by_key_config_selectorIjjEEZZNS1_16scan_by_key_implILNS1_25lookback_scan_determinismE0ELb0ES3_N6thrust23THRUST_200600_302600_NS6detail15normal_iteratorINS9_10device_ptrIjEEEESE_SE_jNS9_4plusIvEENS9_8equal_toIvEEjEE10hipError_tPvRmT2_T3_T4_T5_mT6_T7_P12ihipStream_tbENKUlT_T0_E_clISt17integral_constantIbLb0EESZ_EEDaSU_SV_EUlSU_E_NS1_11comp_targetILNS1_3genE10ELNS1_11target_archE1201ELNS1_3gpuE5ELNS1_3repE0EEENS1_30default_config_static_selectorELNS0_4arch9wavefront6targetE1EEEvT1_
		.amdhsa_group_segment_fixed_size 0
		.amdhsa_private_segment_fixed_size 0
		.amdhsa_kernarg_size 112
		.amdhsa_user_sgpr_count 2
		.amdhsa_user_sgpr_dispatch_ptr 0
		.amdhsa_user_sgpr_queue_ptr 0
		.amdhsa_user_sgpr_kernarg_segment_ptr 1
		.amdhsa_user_sgpr_dispatch_id 0
		.amdhsa_user_sgpr_kernarg_preload_length 0
		.amdhsa_user_sgpr_kernarg_preload_offset 0
		.amdhsa_user_sgpr_private_segment_size 0
		.amdhsa_uses_dynamic_stack 0
		.amdhsa_enable_private_segment 0
		.amdhsa_system_sgpr_workgroup_id_x 1
		.amdhsa_system_sgpr_workgroup_id_y 0
		.amdhsa_system_sgpr_workgroup_id_z 0
		.amdhsa_system_sgpr_workgroup_info 0
		.amdhsa_system_vgpr_workitem_id 0
		.amdhsa_next_free_vgpr 1
		.amdhsa_next_free_sgpr 0
		.amdhsa_accum_offset 4
		.amdhsa_reserve_vcc 0
		.amdhsa_float_round_mode_32 0
		.amdhsa_float_round_mode_16_64 0
		.amdhsa_float_denorm_mode_32 3
		.amdhsa_float_denorm_mode_16_64 3
		.amdhsa_dx10_clamp 1
		.amdhsa_ieee_mode 1
		.amdhsa_fp16_overflow 0
		.amdhsa_tg_split 0
		.amdhsa_exception_fp_ieee_invalid_op 0
		.amdhsa_exception_fp_denorm_src 0
		.amdhsa_exception_fp_ieee_div_zero 0
		.amdhsa_exception_fp_ieee_overflow 0
		.amdhsa_exception_fp_ieee_underflow 0
		.amdhsa_exception_fp_ieee_inexact 0
		.amdhsa_exception_int_div_zero 0
	.end_amdhsa_kernel
	.section	.text._ZN7rocprim17ROCPRIM_400000_NS6detail17trampoline_kernelINS0_14default_configENS1_27scan_by_key_config_selectorIjjEEZZNS1_16scan_by_key_implILNS1_25lookback_scan_determinismE0ELb0ES3_N6thrust23THRUST_200600_302600_NS6detail15normal_iteratorINS9_10device_ptrIjEEEESE_SE_jNS9_4plusIvEENS9_8equal_toIvEEjEE10hipError_tPvRmT2_T3_T4_T5_mT6_T7_P12ihipStream_tbENKUlT_T0_E_clISt17integral_constantIbLb0EESZ_EEDaSU_SV_EUlSU_E_NS1_11comp_targetILNS1_3genE10ELNS1_11target_archE1201ELNS1_3gpuE5ELNS1_3repE0EEENS1_30default_config_static_selectorELNS0_4arch9wavefront6targetE1EEEvT1_,"axG",@progbits,_ZN7rocprim17ROCPRIM_400000_NS6detail17trampoline_kernelINS0_14default_configENS1_27scan_by_key_config_selectorIjjEEZZNS1_16scan_by_key_implILNS1_25lookback_scan_determinismE0ELb0ES3_N6thrust23THRUST_200600_302600_NS6detail15normal_iteratorINS9_10device_ptrIjEEEESE_SE_jNS9_4plusIvEENS9_8equal_toIvEEjEE10hipError_tPvRmT2_T3_T4_T5_mT6_T7_P12ihipStream_tbENKUlT_T0_E_clISt17integral_constantIbLb0EESZ_EEDaSU_SV_EUlSU_E_NS1_11comp_targetILNS1_3genE10ELNS1_11target_archE1201ELNS1_3gpuE5ELNS1_3repE0EEENS1_30default_config_static_selectorELNS0_4arch9wavefront6targetE1EEEvT1_,comdat
.Lfunc_end1827:
	.size	_ZN7rocprim17ROCPRIM_400000_NS6detail17trampoline_kernelINS0_14default_configENS1_27scan_by_key_config_selectorIjjEEZZNS1_16scan_by_key_implILNS1_25lookback_scan_determinismE0ELb0ES3_N6thrust23THRUST_200600_302600_NS6detail15normal_iteratorINS9_10device_ptrIjEEEESE_SE_jNS9_4plusIvEENS9_8equal_toIvEEjEE10hipError_tPvRmT2_T3_T4_T5_mT6_T7_P12ihipStream_tbENKUlT_T0_E_clISt17integral_constantIbLb0EESZ_EEDaSU_SV_EUlSU_E_NS1_11comp_targetILNS1_3genE10ELNS1_11target_archE1201ELNS1_3gpuE5ELNS1_3repE0EEENS1_30default_config_static_selectorELNS0_4arch9wavefront6targetE1EEEvT1_, .Lfunc_end1827-_ZN7rocprim17ROCPRIM_400000_NS6detail17trampoline_kernelINS0_14default_configENS1_27scan_by_key_config_selectorIjjEEZZNS1_16scan_by_key_implILNS1_25lookback_scan_determinismE0ELb0ES3_N6thrust23THRUST_200600_302600_NS6detail15normal_iteratorINS9_10device_ptrIjEEEESE_SE_jNS9_4plusIvEENS9_8equal_toIvEEjEE10hipError_tPvRmT2_T3_T4_T5_mT6_T7_P12ihipStream_tbENKUlT_T0_E_clISt17integral_constantIbLb0EESZ_EEDaSU_SV_EUlSU_E_NS1_11comp_targetILNS1_3genE10ELNS1_11target_archE1201ELNS1_3gpuE5ELNS1_3repE0EEENS1_30default_config_static_selectorELNS0_4arch9wavefront6targetE1EEEvT1_
                                        ; -- End function
	.section	.AMDGPU.csdata,"",@progbits
; Kernel info:
; codeLenInByte = 0
; NumSgprs: 6
; NumVgprs: 0
; NumAgprs: 0
; TotalNumVgprs: 0
; ScratchSize: 0
; MemoryBound: 0
; FloatMode: 240
; IeeeMode: 1
; LDSByteSize: 0 bytes/workgroup (compile time only)
; SGPRBlocks: 0
; VGPRBlocks: 0
; NumSGPRsForWavesPerEU: 6
; NumVGPRsForWavesPerEU: 1
; AccumOffset: 4
; Occupancy: 8
; WaveLimiterHint : 0
; COMPUTE_PGM_RSRC2:SCRATCH_EN: 0
; COMPUTE_PGM_RSRC2:USER_SGPR: 2
; COMPUTE_PGM_RSRC2:TRAP_HANDLER: 0
; COMPUTE_PGM_RSRC2:TGID_X_EN: 1
; COMPUTE_PGM_RSRC2:TGID_Y_EN: 0
; COMPUTE_PGM_RSRC2:TGID_Z_EN: 0
; COMPUTE_PGM_RSRC2:TIDIG_COMP_CNT: 0
; COMPUTE_PGM_RSRC3_GFX90A:ACCUM_OFFSET: 0
; COMPUTE_PGM_RSRC3_GFX90A:TG_SPLIT: 0
	.section	.text._ZN7rocprim17ROCPRIM_400000_NS6detail17trampoline_kernelINS0_14default_configENS1_27scan_by_key_config_selectorIjjEEZZNS1_16scan_by_key_implILNS1_25lookback_scan_determinismE0ELb0ES3_N6thrust23THRUST_200600_302600_NS6detail15normal_iteratorINS9_10device_ptrIjEEEESE_SE_jNS9_4plusIvEENS9_8equal_toIvEEjEE10hipError_tPvRmT2_T3_T4_T5_mT6_T7_P12ihipStream_tbENKUlT_T0_E_clISt17integral_constantIbLb0EESZ_EEDaSU_SV_EUlSU_E_NS1_11comp_targetILNS1_3genE5ELNS1_11target_archE942ELNS1_3gpuE9ELNS1_3repE0EEENS1_30default_config_static_selectorELNS0_4arch9wavefront6targetE1EEEvT1_,"axG",@progbits,_ZN7rocprim17ROCPRIM_400000_NS6detail17trampoline_kernelINS0_14default_configENS1_27scan_by_key_config_selectorIjjEEZZNS1_16scan_by_key_implILNS1_25lookback_scan_determinismE0ELb0ES3_N6thrust23THRUST_200600_302600_NS6detail15normal_iteratorINS9_10device_ptrIjEEEESE_SE_jNS9_4plusIvEENS9_8equal_toIvEEjEE10hipError_tPvRmT2_T3_T4_T5_mT6_T7_P12ihipStream_tbENKUlT_T0_E_clISt17integral_constantIbLb0EESZ_EEDaSU_SV_EUlSU_E_NS1_11comp_targetILNS1_3genE5ELNS1_11target_archE942ELNS1_3gpuE9ELNS1_3repE0EEENS1_30default_config_static_selectorELNS0_4arch9wavefront6targetE1EEEvT1_,comdat
	.protected	_ZN7rocprim17ROCPRIM_400000_NS6detail17trampoline_kernelINS0_14default_configENS1_27scan_by_key_config_selectorIjjEEZZNS1_16scan_by_key_implILNS1_25lookback_scan_determinismE0ELb0ES3_N6thrust23THRUST_200600_302600_NS6detail15normal_iteratorINS9_10device_ptrIjEEEESE_SE_jNS9_4plusIvEENS9_8equal_toIvEEjEE10hipError_tPvRmT2_T3_T4_T5_mT6_T7_P12ihipStream_tbENKUlT_T0_E_clISt17integral_constantIbLb0EESZ_EEDaSU_SV_EUlSU_E_NS1_11comp_targetILNS1_3genE5ELNS1_11target_archE942ELNS1_3gpuE9ELNS1_3repE0EEENS1_30default_config_static_selectorELNS0_4arch9wavefront6targetE1EEEvT1_ ; -- Begin function _ZN7rocprim17ROCPRIM_400000_NS6detail17trampoline_kernelINS0_14default_configENS1_27scan_by_key_config_selectorIjjEEZZNS1_16scan_by_key_implILNS1_25lookback_scan_determinismE0ELb0ES3_N6thrust23THRUST_200600_302600_NS6detail15normal_iteratorINS9_10device_ptrIjEEEESE_SE_jNS9_4plusIvEENS9_8equal_toIvEEjEE10hipError_tPvRmT2_T3_T4_T5_mT6_T7_P12ihipStream_tbENKUlT_T0_E_clISt17integral_constantIbLb0EESZ_EEDaSU_SV_EUlSU_E_NS1_11comp_targetILNS1_3genE5ELNS1_11target_archE942ELNS1_3gpuE9ELNS1_3repE0EEENS1_30default_config_static_selectorELNS0_4arch9wavefront6targetE1EEEvT1_
	.globl	_ZN7rocprim17ROCPRIM_400000_NS6detail17trampoline_kernelINS0_14default_configENS1_27scan_by_key_config_selectorIjjEEZZNS1_16scan_by_key_implILNS1_25lookback_scan_determinismE0ELb0ES3_N6thrust23THRUST_200600_302600_NS6detail15normal_iteratorINS9_10device_ptrIjEEEESE_SE_jNS9_4plusIvEENS9_8equal_toIvEEjEE10hipError_tPvRmT2_T3_T4_T5_mT6_T7_P12ihipStream_tbENKUlT_T0_E_clISt17integral_constantIbLb0EESZ_EEDaSU_SV_EUlSU_E_NS1_11comp_targetILNS1_3genE5ELNS1_11target_archE942ELNS1_3gpuE9ELNS1_3repE0EEENS1_30default_config_static_selectorELNS0_4arch9wavefront6targetE1EEEvT1_
	.p2align	8
	.type	_ZN7rocprim17ROCPRIM_400000_NS6detail17trampoline_kernelINS0_14default_configENS1_27scan_by_key_config_selectorIjjEEZZNS1_16scan_by_key_implILNS1_25lookback_scan_determinismE0ELb0ES3_N6thrust23THRUST_200600_302600_NS6detail15normal_iteratorINS9_10device_ptrIjEEEESE_SE_jNS9_4plusIvEENS9_8equal_toIvEEjEE10hipError_tPvRmT2_T3_T4_T5_mT6_T7_P12ihipStream_tbENKUlT_T0_E_clISt17integral_constantIbLb0EESZ_EEDaSU_SV_EUlSU_E_NS1_11comp_targetILNS1_3genE5ELNS1_11target_archE942ELNS1_3gpuE9ELNS1_3repE0EEENS1_30default_config_static_selectorELNS0_4arch9wavefront6targetE1EEEvT1_,@function
_ZN7rocprim17ROCPRIM_400000_NS6detail17trampoline_kernelINS0_14default_configENS1_27scan_by_key_config_selectorIjjEEZZNS1_16scan_by_key_implILNS1_25lookback_scan_determinismE0ELb0ES3_N6thrust23THRUST_200600_302600_NS6detail15normal_iteratorINS9_10device_ptrIjEEEESE_SE_jNS9_4plusIvEENS9_8equal_toIvEEjEE10hipError_tPvRmT2_T3_T4_T5_mT6_T7_P12ihipStream_tbENKUlT_T0_E_clISt17integral_constantIbLb0EESZ_EEDaSU_SV_EUlSU_E_NS1_11comp_targetILNS1_3genE5ELNS1_11target_archE942ELNS1_3gpuE9ELNS1_3repE0EEENS1_30default_config_static_selectorELNS0_4arch9wavefront6targetE1EEEvT1_: ; @_ZN7rocprim17ROCPRIM_400000_NS6detail17trampoline_kernelINS0_14default_configENS1_27scan_by_key_config_selectorIjjEEZZNS1_16scan_by_key_implILNS1_25lookback_scan_determinismE0ELb0ES3_N6thrust23THRUST_200600_302600_NS6detail15normal_iteratorINS9_10device_ptrIjEEEESE_SE_jNS9_4plusIvEENS9_8equal_toIvEEjEE10hipError_tPvRmT2_T3_T4_T5_mT6_T7_P12ihipStream_tbENKUlT_T0_E_clISt17integral_constantIbLb0EESZ_EEDaSU_SV_EUlSU_E_NS1_11comp_targetILNS1_3genE5ELNS1_11target_archE942ELNS1_3gpuE9ELNS1_3repE0EEENS1_30default_config_static_selectorELNS0_4arch9wavefront6targetE1EEEvT1_
; %bb.0:
	s_load_dwordx8 s[52:59], s[0:1], 0x0
	s_load_dwordx4 s[68:71], s[0:1], 0x28
	s_load_dwordx2 s[74:75], s[0:1], 0x38
	s_load_dword s3, s[0:1], 0x40
	s_load_dwordx8 s[60:67], s[0:1], 0x48
	s_waitcnt lgkmcnt(0)
	s_lshl_b64 s[72:73], s[54:55], 2
	s_add_u32 s4, s52, s72
	s_addc_u32 s5, s53, s73
	s_add_u32 s6, s56, s72
	s_mul_i32 s0, s75, s3
	s_mul_hi_u32 s1, s74, s3
	s_addc_u32 s7, s57, s73
	s_add_i32 s8, s1, s0
	s_cmp_lg_u64 s[64:65], 0
	s_mul_i32 s0, s2, 0x1700
	s_mov_b32 s1, 0
	s_cselect_b64 s[64:65], -1, 0
	s_lshl_b64 s[56:57], s[0:1], 2
	s_add_u32 s54, s4, s56
	s_addc_u32 s55, s5, s57
	s_add_u32 s52, s6, s56
	s_mul_i32 s3, s74, s3
	s_addc_u32 s53, s7, s57
	s_add_u32 s76, s3, s2
	s_addc_u32 s77, s8, 0
	s_add_u32 s4, s60, -1
	s_addc_u32 s5, s61, -1
	v_mov_b64_e32 v[2:3], s[4:5]
	v_cmp_ge_u64_e64 s[0:1], s[76:77], v[2:3]
	s_mov_b64 s[10:11], 0
	s_mov_b64 s[6:7], -1
	s_and_b64 vcc, exec, s[0:1]
	s_mul_i32 s33, s4, 0xffffe900
	s_barrier
	s_cbranch_vccz .LBB1828_122
; %bb.1:
	v_mov_b64_e32 v[2:3], s[54:55]
	flat_load_dword v1, v[2:3]
	s_add_i32 s3, s33, s70
	v_cmp_gt_u32_e64 s[50:51], s3, v0
	s_waitcnt vmcnt(0) lgkmcnt(0)
	v_mov_b32_e32 v4, v1
	s_and_saveexec_b64 s[4:5], s[50:51]
	s_cbranch_execz .LBB1828_3
; %bb.2:
	v_lshlrev_b32_e32 v2, 2, v0
	v_mov_b32_e32 v3, 0
	v_lshl_add_u64 v[2:3], s[54:55], 0, v[2:3]
	flat_load_dword v4, v[2:3]
.LBB1828_3:
	s_or_b64 exec, exec, s[4:5]
	v_or_b32_e32 v2, 0x100, v0
	v_cmp_gt_u32_e64 s[4:5], s3, v2
	v_mov_b32_e32 v5, v1
	s_and_saveexec_b64 s[6:7], s[4:5]
	s_cbranch_execz .LBB1828_5
; %bb.4:
	v_lshlrev_b32_e32 v2, 2, v0
	v_mov_b32_e32 v3, 0
	v_lshl_add_u64 v[2:3], s[54:55], 0, v[2:3]
	flat_load_dword v5, v[2:3] offset:1024
.LBB1828_5:
	s_or_b64 exec, exec, s[6:7]
	v_or_b32_e32 v2, 0x200, v0
	v_cmp_gt_u32_e64 s[6:7], s3, v2
	v_mov_b32_e32 v6, v1
	s_and_saveexec_b64 s[8:9], s[6:7]
	s_cbranch_execz .LBB1828_7
; %bb.6:
	v_lshlrev_b32_e32 v2, 2, v0
	v_mov_b32_e32 v3, 0
	v_lshl_add_u64 v[2:3], s[54:55], 0, v[2:3]
	flat_load_dword v6, v[2:3] offset:2048
.LBB1828_7:
	;; [unrolled: 12-line block ×3, first 2 shown]
	s_or_b64 exec, exec, s[10:11]
	v_or_b32_e32 v2, 0x400, v0
	v_cmp_gt_u32_e64 s[10:11], s3, v2
	v_lshlrev_b32_e32 v2, 2, v2
	v_mov_b32_e32 v3, v1
	s_and_saveexec_b64 s[12:13], s[10:11]
	s_cbranch_execz .LBB1828_11
; %bb.10:
	v_mov_b32_e32 v3, 0
	v_lshl_add_u64 v[8:9], s[54:55], 0, v[2:3]
	flat_load_dword v3, v[8:9]
.LBB1828_11:
	s_or_b64 exec, exec, s[12:13]
	v_or_b32_e32 v8, 0x500, v0
	v_cmp_gt_u32_e64 s[12:13], s3, v8
	v_lshlrev_b32_e32 v10, 2, v8
	v_mov_b32_e32 v8, v1
	s_and_saveexec_b64 s[14:15], s[12:13]
	s_cbranch_execz .LBB1828_13
; %bb.12:
	v_mov_b32_e32 v11, 0
	v_lshl_add_u64 v[8:9], s[54:55], 0, v[10:11]
	flat_load_dword v8, v[8:9]
.LBB1828_13:
	;; [unrolled: 12-line block ×18, first 2 shown]
	s_or_b64 exec, exec, s[48:49]
	v_or_b32_e32 v41, 0x1600, v0
	v_cmp_gt_u32_e64 s[48:49], s3, v41
	v_lshlrev_b32_e32 v46, 2, v41
	s_and_saveexec_b64 s[60:61], s[48:49]
	s_cbranch_execz .LBB1828_47
; %bb.46:
	v_mov_b32_e32 v47, 0
	v_lshl_add_u64 v[44:45], s[54:55], 0, v[46:47]
	flat_load_dword v1, v[44:45]
.LBB1828_47:
	s_or_b64 exec, exec, s[60:61]
	v_lshlrev_b32_e32 v44, 2, v0
	s_movk_i32 s60, 0x58
	s_waitcnt vmcnt(0) lgkmcnt(0)
	ds_write2st64_b32 v44, v4, v5 offset1:4
	ds_write2st64_b32 v44, v6, v7 offset0:8 offset1:12
	ds_write2st64_b32 v44, v3, v8 offset0:16 offset1:20
	ds_write2st64_b32 v44, v9, v11 offset0:24 offset1:28
	ds_write2st64_b32 v44, v13, v15 offset0:32 offset1:36
	ds_write2st64_b32 v44, v17, v19 offset0:40 offset1:44
	ds_write2st64_b32 v44, v21, v23 offset0:48 offset1:52
	ds_write2st64_b32 v44, v25, v27 offset0:56 offset1:60
	ds_write2st64_b32 v44, v29, v31 offset0:64 offset1:68
	ds_write2st64_b32 v44, v33, v35 offset0:72 offset1:76
	ds_write2st64_b32 v44, v37, v39 offset0:80 offset1:84
	ds_write_b32 v44, v1 offset:22528
	v_mad_u32_u24 v1, v0, s60, v44
	s_waitcnt lgkmcnt(0)
	s_barrier
	ds_read2_b32 v[68:69], v1 offset1:1
	ds_read2_b32 v[66:67], v1 offset0:2 offset1:3
	ds_read2_b32 v[64:65], v1 offset0:4 offset1:5
	;; [unrolled: 1-line block ×10, first 2 shown]
	ds_read_b32 v72, v1 offset:88
	s_cmp_eq_u64 s[76:77], 0
	s_mov_b64 s[60:61], s[54:55]
	s_cbranch_scc1 .LBB1828_51
; %bb.48:
	s_andn2_b64 vcc, exec, s[64:65]
	s_cbranch_vccnz .LBB1828_263
; %bb.49:
	s_lshl_b64 s[60:61], s[76:77], 2
	s_add_u32 s60, s66, s60
	s_addc_u32 s61, s67, s61
	s_add_u32 s60, s60, -4
	s_addc_u32 s61, s61, -1
	s_cbranch_execnz .LBB1828_51
.LBB1828_50:
	s_add_u32 s60, s54, -4
	s_addc_u32 s61, s55, -1
.LBB1828_51:
	v_mov_b64_e32 v[48:49], s[60:61]
	flat_load_dword v70, v[48:49]
	s_movk_i32 s60, 0xffa8
	v_mad_i32_i24 v3, v0, s60, v1
	v_cmp_ne_u32_e32 vcc, 0, v0
	s_waitcnt lgkmcnt(0)
	ds_write_b32 v3, v72 offset:23552
	s_waitcnt lgkmcnt(0)
	s_barrier
	s_and_saveexec_b64 s[60:61], vcc
	s_cbranch_execz .LBB1828_53
; %bb.52:
	v_mul_i32_i24_e32 v3, 0xffffffa8, v0
	v_add_u32_e32 v3, v1, v3
	s_waitcnt vmcnt(0)
	ds_read_b32 v70, v3 offset:23548
.LBB1828_53:
	s_or_b64 exec, exec, s[60:61]
	v_mov_b32_e32 v45, 0
	s_waitcnt lgkmcnt(0)
	s_barrier
	s_waitcnt lgkmcnt(0)
                                        ; implicit-def: $vgpr48
	s_and_saveexec_b64 s[60:61], s[50:51]
	s_cbranch_execnz .LBB1828_239
; %bb.54:
	s_or_b64 exec, exec, s[60:61]
                                        ; implicit-def: $vgpr49
	s_and_saveexec_b64 s[50:51], s[4:5]
	s_cbranch_execnz .LBB1828_240
.LBB1828_55:
	s_or_b64 exec, exec, s[50:51]
                                        ; implicit-def: $vgpr50
	s_and_saveexec_b64 s[4:5], s[6:7]
	s_cbranch_execnz .LBB1828_241
.LBB1828_56:
	s_or_b64 exec, exec, s[4:5]
                                        ; implicit-def: $vgpr45
	s_and_saveexec_b64 s[4:5], s[8:9]
	s_cbranch_execnz .LBB1828_242
.LBB1828_57:
	s_or_b64 exec, exec, s[4:5]
                                        ; implicit-def: $vgpr3
	s_and_saveexec_b64 s[4:5], s[10:11]
	s_cbranch_execnz .LBB1828_243
.LBB1828_58:
	s_or_b64 exec, exec, s[4:5]
                                        ; implicit-def: $vgpr2
	s_and_saveexec_b64 s[4:5], s[12:13]
	s_cbranch_execnz .LBB1828_244
.LBB1828_59:
	s_or_b64 exec, exec, s[4:5]
                                        ; implicit-def: $vgpr10
	s_and_saveexec_b64 s[4:5], s[14:15]
	s_cbranch_execnz .LBB1828_245
.LBB1828_60:
	s_or_b64 exec, exec, s[4:5]
                                        ; implicit-def: $vgpr11
	s_and_saveexec_b64 s[4:5], s[16:17]
	s_cbranch_execnz .LBB1828_246
.LBB1828_61:
	s_or_b64 exec, exec, s[4:5]
                                        ; implicit-def: $vgpr12
	s_and_saveexec_b64 s[4:5], s[18:19]
	s_cbranch_execnz .LBB1828_247
.LBB1828_62:
	s_or_b64 exec, exec, s[4:5]
                                        ; implicit-def: $vgpr13
	s_and_saveexec_b64 s[4:5], s[20:21]
	s_cbranch_execnz .LBB1828_248
.LBB1828_63:
	s_or_b64 exec, exec, s[4:5]
                                        ; implicit-def: $vgpr14
	s_and_saveexec_b64 s[4:5], s[22:23]
	s_cbranch_execnz .LBB1828_249
.LBB1828_64:
	s_or_b64 exec, exec, s[4:5]
                                        ; implicit-def: $vgpr15
	s_and_saveexec_b64 s[4:5], s[24:25]
	s_cbranch_execnz .LBB1828_250
.LBB1828_65:
	s_or_b64 exec, exec, s[4:5]
                                        ; implicit-def: $vgpr16
	s_and_saveexec_b64 s[4:5], s[26:27]
	s_cbranch_execnz .LBB1828_251
.LBB1828_66:
	s_or_b64 exec, exec, s[4:5]
                                        ; implicit-def: $vgpr17
	s_and_saveexec_b64 s[4:5], s[28:29]
	s_cbranch_execnz .LBB1828_252
.LBB1828_67:
	s_or_b64 exec, exec, s[4:5]
                                        ; implicit-def: $vgpr18
	s_and_saveexec_b64 s[4:5], s[30:31]
	s_cbranch_execnz .LBB1828_253
.LBB1828_68:
	s_or_b64 exec, exec, s[4:5]
                                        ; implicit-def: $vgpr19
	s_and_saveexec_b64 s[4:5], s[34:35]
	s_cbranch_execnz .LBB1828_254
.LBB1828_69:
	s_or_b64 exec, exec, s[4:5]
                                        ; implicit-def: $vgpr20
	s_and_saveexec_b64 s[4:5], s[36:37]
	s_cbranch_execnz .LBB1828_255
.LBB1828_70:
	s_or_b64 exec, exec, s[4:5]
                                        ; implicit-def: $vgpr21
	s_and_saveexec_b64 s[4:5], s[38:39]
	s_cbranch_execnz .LBB1828_256
.LBB1828_71:
	s_or_b64 exec, exec, s[4:5]
                                        ; implicit-def: $vgpr22
	s_and_saveexec_b64 s[4:5], s[40:41]
	s_cbranch_execnz .LBB1828_257
.LBB1828_72:
	s_or_b64 exec, exec, s[4:5]
                                        ; implicit-def: $vgpr23
	s_and_saveexec_b64 s[4:5], s[42:43]
	s_cbranch_execnz .LBB1828_258
.LBB1828_73:
	s_or_b64 exec, exec, s[4:5]
                                        ; implicit-def: $vgpr24
	s_and_saveexec_b64 s[4:5], s[44:45]
	s_cbranch_execnz .LBB1828_259
.LBB1828_74:
	s_or_b64 exec, exec, s[4:5]
                                        ; implicit-def: $vgpr25
	s_and_saveexec_b64 s[4:5], s[46:47]
	s_cbranch_execnz .LBB1828_260
.LBB1828_75:
	s_or_b64 exec, exec, s[4:5]
                                        ; implicit-def: $vgpr26
	s_and_saveexec_b64 s[4:5], s[48:49]
	s_cbranch_execz .LBB1828_77
.LBB1828_76:
	v_mov_b32_e32 v47, 0
	v_lshl_add_u64 v[26:27], s[52:53], 0, v[46:47]
	flat_load_dword v26, v[26:27]
.LBB1828_77:
	s_or_b64 exec, exec, s[4:5]
	v_mul_u32_u24_e32 v73, 23, v0
	s_waitcnt vmcnt(0) lgkmcnt(0)
	ds_write2st64_b32 v44, v48, v49 offset1:4
	ds_write2st64_b32 v44, v50, v45 offset0:8 offset1:12
	ds_write2st64_b32 v44, v3, v2 offset0:16 offset1:20
	;; [unrolled: 1-line block ×10, first 2 shown]
	ds_write_b32 v44, v26 offset:22528
	v_mov_b64_e32 v[10:11], 0
	v_cmp_gt_u32_e32 vcc, s3, v73
	s_mov_b64 s[10:11], 0
	s_mov_b64 s[6:7], 0
	v_mov_b64_e32 v[12:13], v[10:11]
	v_mov_b64_e32 v[14:15], v[10:11]
	;; [unrolled: 1-line block ×21, first 2 shown]
	s_waitcnt lgkmcnt(0)
	s_barrier
	s_waitcnt lgkmcnt(0)
                                        ; implicit-def: $sgpr4_sgpr5
                                        ; implicit-def: $vgpr3
	s_and_saveexec_b64 s[8:9], vcc
	s_cbranch_execz .LBB1828_121
; %bb.78:
	ds_read_b32 v10, v1
	v_add_u32_e32 v2, 1, v73
	v_cmp_ne_u32_e32 vcc, v70, v68
	v_mov_b64_e32 v[12:13], 0
	s_mov_b64 s[12:13], 0
	v_cndmask_b32_e64 v11, 0, 1, vcc
	v_cmp_gt_u32_e32 vcc, s3, v2
	s_mov_b64 s[4:5], 0
	v_mov_b64_e32 v[14:15], v[12:13]
	v_mov_b64_e32 v[16:17], v[12:13]
	;; [unrolled: 1-line block ×20, first 2 shown]
                                        ; implicit-def: $sgpr14_sgpr15
                                        ; implicit-def: $vgpr3
	s_and_saveexec_b64 s[10:11], vcc
	s_cbranch_execz .LBB1828_120
; %bb.79:
	ds_read2_b32 v[70:71], v1 offset0:1 offset1:2
	v_add_u32_e32 v2, 2, v73
	v_cmp_ne_u32_e32 vcc, v68, v69
	v_mov_b64_e32 v[14:15], 0
	s_mov_b64 s[16:17], 0
	v_cndmask_b32_e64 v13, 0, 1, vcc
	v_cmp_gt_u32_e32 vcc, s3, v2
	s_waitcnt lgkmcnt(0)
	v_mov_b32_e32 v12, v70
	v_mov_b64_e32 v[16:17], v[14:15]
	v_mov_b64_e32 v[18:19], v[14:15]
	v_mov_b64_e32 v[20:21], v[14:15]
	v_mov_b64_e32 v[22:23], v[14:15]
	v_mov_b64_e32 v[24:25], v[14:15]
	v_mov_b64_e32 v[26:27], v[14:15]
	v_mov_b64_e32 v[28:29], v[14:15]
	v_mov_b64_e32 v[30:31], v[14:15]
	v_mov_b64_e32 v[32:33], v[14:15]
	v_mov_b64_e32 v[34:35], v[14:15]
	v_mov_b64_e32 v[36:37], v[14:15]
	v_mov_b64_e32 v[38:39], v[14:15]
	v_mov_b64_e32 v[40:41], v[14:15]
	v_mov_b64_e32 v[42:43], v[14:15]
	v_mov_b64_e32 v[44:45], v[14:15]
	v_mov_b64_e32 v[46:47], v[14:15]
	v_mov_b64_e32 v[48:49], v[14:15]
	v_mov_b64_e32 v[50:51], v[14:15]
	v_mov_b64_e32 v[52:53], v[14:15]
                                        ; implicit-def: $sgpr14_sgpr15
                                        ; implicit-def: $vgpr3
	s_and_saveexec_b64 s[12:13], vcc
	s_cbranch_execz .LBB1828_119
; %bb.80:
	v_add_u32_e32 v2, 3, v73
	v_cmp_ne_u32_e32 vcc, v69, v66
	v_mov_b64_e32 v[16:17], 0
	v_mov_b32_e32 v14, v71
	v_cndmask_b32_e64 v15, 0, 1, vcc
	v_cmp_gt_u32_e32 vcc, s3, v2
	v_mov_b64_e32 v[18:19], v[16:17]
	v_mov_b64_e32 v[20:21], v[16:17]
	;; [unrolled: 1-line block ×18, first 2 shown]
                                        ; implicit-def: $sgpr18_sgpr19
                                        ; implicit-def: $vgpr3
	s_and_saveexec_b64 s[14:15], vcc
	s_cbranch_execz .LBB1828_118
; %bb.81:
	ds_read2_b32 v[68:69], v1 offset0:3 offset1:4
	v_add_u32_e32 v2, 4, v73
	v_cmp_ne_u32_e32 vcc, v66, v67
	v_mov_b64_e32 v[18:19], 0
	s_mov_b64 s[20:21], 0
	v_cndmask_b32_e64 v17, 0, 1, vcc
	v_cmp_gt_u32_e32 vcc, s3, v2
	s_waitcnt lgkmcnt(0)
	v_mov_b32_e32 v16, v68
	v_mov_b64_e32 v[20:21], v[18:19]
	v_mov_b64_e32 v[22:23], v[18:19]
	;; [unrolled: 1-line block ×17, first 2 shown]
                                        ; implicit-def: $sgpr18_sgpr19
                                        ; implicit-def: $vgpr3
	s_and_saveexec_b64 s[16:17], vcc
	s_cbranch_execz .LBB1828_117
; %bb.82:
	v_add_u32_e32 v2, 5, v73
	v_cmp_ne_u32_e32 vcc, v67, v64
	v_mov_b64_e32 v[20:21], 0
	v_mov_b32_e32 v18, v69
	v_cndmask_b32_e64 v19, 0, 1, vcc
	v_cmp_gt_u32_e32 vcc, s3, v2
	v_mov_b64_e32 v[22:23], v[20:21]
	v_mov_b64_e32 v[24:25], v[20:21]
	;; [unrolled: 1-line block ×16, first 2 shown]
                                        ; implicit-def: $sgpr22_sgpr23
                                        ; implicit-def: $vgpr3
	s_and_saveexec_b64 s[18:19], vcc
	s_cbranch_execz .LBB1828_116
; %bb.83:
	ds_read2_b32 v[66:67], v1 offset0:5 offset1:6
	v_add_u32_e32 v2, 6, v73
	v_cmp_ne_u32_e32 vcc, v64, v65
	v_mov_b64_e32 v[22:23], 0
	s_mov_b64 s[24:25], 0
	v_cndmask_b32_e64 v21, 0, 1, vcc
	v_cmp_gt_u32_e32 vcc, s3, v2
	s_waitcnt lgkmcnt(0)
	v_mov_b32_e32 v20, v66
	v_mov_b64_e32 v[24:25], v[22:23]
	v_mov_b64_e32 v[26:27], v[22:23]
	;; [unrolled: 1-line block ×15, first 2 shown]
                                        ; implicit-def: $sgpr22_sgpr23
                                        ; implicit-def: $vgpr3
	s_and_saveexec_b64 s[20:21], vcc
	s_cbranch_execz .LBB1828_115
; %bb.84:
	v_add_u32_e32 v2, 7, v73
	v_cmp_ne_u32_e32 vcc, v65, v62
	v_mov_b64_e32 v[24:25], 0
	v_mov_b32_e32 v22, v67
	v_cndmask_b32_e64 v23, 0, 1, vcc
	v_cmp_gt_u32_e32 vcc, s3, v2
	v_mov_b64_e32 v[26:27], v[24:25]
	v_mov_b64_e32 v[28:29], v[24:25]
	;; [unrolled: 1-line block ×14, first 2 shown]
                                        ; implicit-def: $sgpr26_sgpr27
                                        ; implicit-def: $vgpr3
	s_and_saveexec_b64 s[22:23], vcc
	s_cbranch_execz .LBB1828_114
; %bb.85:
	ds_read2_b32 v[64:65], v1 offset0:7 offset1:8
	v_add_u32_e32 v2, 8, v73
	v_cmp_ne_u32_e32 vcc, v62, v63
	v_mov_b64_e32 v[26:27], 0
	s_mov_b64 s[28:29], 0
	v_cndmask_b32_e64 v25, 0, 1, vcc
	v_cmp_gt_u32_e32 vcc, s3, v2
	s_waitcnt lgkmcnt(0)
	v_mov_b32_e32 v24, v64
	v_mov_b64_e32 v[28:29], v[26:27]
	v_mov_b64_e32 v[30:31], v[26:27]
	;; [unrolled: 1-line block ×13, first 2 shown]
                                        ; implicit-def: $sgpr26_sgpr27
                                        ; implicit-def: $vgpr3
	s_and_saveexec_b64 s[24:25], vcc
	s_cbranch_execz .LBB1828_113
; %bb.86:
	v_add_u32_e32 v2, 9, v73
	v_cmp_ne_u32_e32 vcc, v63, v60
	v_mov_b64_e32 v[28:29], 0
	v_mov_b32_e32 v26, v65
	v_cndmask_b32_e64 v27, 0, 1, vcc
	v_cmp_gt_u32_e32 vcc, s3, v2
	v_mov_b64_e32 v[30:31], v[28:29]
	v_mov_b64_e32 v[32:33], v[28:29]
	;; [unrolled: 1-line block ×12, first 2 shown]
                                        ; implicit-def: $sgpr30_sgpr31
                                        ; implicit-def: $vgpr3
	s_and_saveexec_b64 s[26:27], vcc
	s_cbranch_execz .LBB1828_112
; %bb.87:
	ds_read2_b32 v[62:63], v1 offset0:9 offset1:10
	v_add_u32_e32 v2, 10, v73
	v_cmp_ne_u32_e32 vcc, v60, v61
	v_mov_b64_e32 v[30:31], 0
	s_mov_b64 s[34:35], 0
	v_cndmask_b32_e64 v29, 0, 1, vcc
	v_cmp_gt_u32_e32 vcc, s3, v2
	s_waitcnt lgkmcnt(0)
	v_mov_b32_e32 v28, v62
	v_mov_b64_e32 v[32:33], v[30:31]
	v_mov_b64_e32 v[34:35], v[30:31]
	;; [unrolled: 1-line block ×11, first 2 shown]
                                        ; implicit-def: $sgpr30_sgpr31
                                        ; implicit-def: $vgpr3
	s_and_saveexec_b64 s[28:29], vcc
	s_cbranch_execz .LBB1828_111
; %bb.88:
	v_add_u32_e32 v2, 11, v73
	v_cmp_ne_u32_e32 vcc, v61, v58
	v_mov_b64_e32 v[32:33], 0
	v_mov_b32_e32 v30, v63
	v_cndmask_b32_e64 v31, 0, 1, vcc
	v_cmp_gt_u32_e32 vcc, s3, v2
	v_mov_b64_e32 v[34:35], v[32:33]
	v_mov_b64_e32 v[36:37], v[32:33]
	;; [unrolled: 1-line block ×10, first 2 shown]
                                        ; implicit-def: $sgpr36_sgpr37
                                        ; implicit-def: $vgpr3
	s_and_saveexec_b64 s[30:31], vcc
	s_cbranch_execz .LBB1828_110
; %bb.89:
	ds_read2_b32 v[60:61], v1 offset0:11 offset1:12
	v_add_u32_e32 v2, 12, v73
	v_cmp_ne_u32_e32 vcc, v58, v59
	v_mov_b64_e32 v[34:35], 0
	s_mov_b64 s[38:39], 0
	v_cndmask_b32_e64 v33, 0, 1, vcc
	v_cmp_gt_u32_e32 vcc, s3, v2
	s_waitcnt lgkmcnt(0)
	v_mov_b32_e32 v32, v60
	v_mov_b64_e32 v[36:37], v[34:35]
	v_mov_b64_e32 v[38:39], v[34:35]
	;; [unrolled: 1-line block ×9, first 2 shown]
                                        ; implicit-def: $sgpr36_sgpr37
                                        ; implicit-def: $vgpr3
	s_and_saveexec_b64 s[34:35], vcc
	s_cbranch_execz .LBB1828_109
; %bb.90:
	v_add_u32_e32 v2, 13, v73
	v_cmp_ne_u32_e32 vcc, v59, v56
	v_mov_b64_e32 v[36:37], 0
	v_mov_b32_e32 v34, v61
	v_cndmask_b32_e64 v35, 0, 1, vcc
	v_cmp_gt_u32_e32 vcc, s3, v2
	v_mov_b64_e32 v[38:39], v[36:37]
	v_mov_b64_e32 v[40:41], v[36:37]
	v_mov_b64_e32 v[42:43], v[36:37]
	v_mov_b64_e32 v[44:45], v[36:37]
	v_mov_b64_e32 v[46:47], v[36:37]
	v_mov_b64_e32 v[48:49], v[36:37]
	v_mov_b64_e32 v[50:51], v[36:37]
	v_mov_b64_e32 v[52:53], v[36:37]
                                        ; implicit-def: $sgpr40_sgpr41
                                        ; implicit-def: $vgpr3
	s_and_saveexec_b64 s[36:37], vcc
	s_cbranch_execz .LBB1828_108
; %bb.91:
	ds_read2_b32 v[58:59], v1 offset0:13 offset1:14
	v_add_u32_e32 v2, 14, v73
	v_cmp_ne_u32_e32 vcc, v56, v57
	v_mov_b64_e32 v[38:39], 0
	s_mov_b64 s[42:43], 0
	v_cndmask_b32_e64 v37, 0, 1, vcc
	v_cmp_gt_u32_e32 vcc, s3, v2
	s_waitcnt lgkmcnt(0)
	v_mov_b32_e32 v36, v58
	v_mov_b64_e32 v[40:41], v[38:39]
	v_mov_b64_e32 v[42:43], v[38:39]
	;; [unrolled: 1-line block ×7, first 2 shown]
                                        ; implicit-def: $sgpr40_sgpr41
                                        ; implicit-def: $vgpr3
	s_and_saveexec_b64 s[38:39], vcc
	s_cbranch_execz .LBB1828_107
; %bb.92:
	v_add_u32_e32 v2, 15, v73
	v_cmp_ne_u32_e32 vcc, v57, v54
	v_mov_b64_e32 v[40:41], 0
	v_mov_b32_e32 v38, v59
	v_cndmask_b32_e64 v39, 0, 1, vcc
	v_cmp_gt_u32_e32 vcc, s3, v2
	v_mov_b64_e32 v[42:43], v[40:41]
	v_mov_b64_e32 v[44:45], v[40:41]
	;; [unrolled: 1-line block ×6, first 2 shown]
                                        ; implicit-def: $sgpr44_sgpr45
                                        ; implicit-def: $vgpr3
	s_and_saveexec_b64 s[40:41], vcc
	s_cbranch_execz .LBB1828_106
; %bb.93:
	ds_read2_b32 v[56:57], v1 offset0:15 offset1:16
	v_add_u32_e32 v2, 16, v73
	v_cmp_ne_u32_e32 vcc, v54, v55
	v_mov_b64_e32 v[42:43], 0
	s_mov_b64 s[46:47], 0
	v_cndmask_b32_e64 v41, 0, 1, vcc
	v_cmp_gt_u32_e32 vcc, s3, v2
	s_waitcnt lgkmcnt(0)
	v_mov_b32_e32 v40, v56
	v_mov_b64_e32 v[44:45], v[42:43]
	v_mov_b64_e32 v[46:47], v[42:43]
	;; [unrolled: 1-line block ×5, first 2 shown]
                                        ; implicit-def: $sgpr44_sgpr45
                                        ; implicit-def: $vgpr3
	s_and_saveexec_b64 s[42:43], vcc
	s_cbranch_execz .LBB1828_105
; %bb.94:
	v_add_u32_e32 v2, 17, v73
	v_cmp_ne_u32_e32 vcc, v55, v8
	v_mov_b64_e32 v[44:45], 0
	v_mov_b32_e32 v42, v57
	v_cndmask_b32_e64 v43, 0, 1, vcc
	v_cmp_gt_u32_e32 vcc, s3, v2
	v_mov_b64_e32 v[46:47], v[44:45]
	v_mov_b64_e32 v[48:49], v[44:45]
	;; [unrolled: 1-line block ×4, first 2 shown]
                                        ; implicit-def: $sgpr48_sgpr49
                                        ; implicit-def: $vgpr3
	s_and_saveexec_b64 s[44:45], vcc
	s_cbranch_execz .LBB1828_104
; %bb.95:
	ds_read2_b32 v[54:55], v1 offset0:17 offset1:18
	v_add_u32_e32 v2, 18, v73
	v_cmp_ne_u32_e32 vcc, v8, v9
	v_mov_b64_e32 v[46:47], 0
	s_mov_b64 s[50:51], 0
	v_cndmask_b32_e64 v45, 0, 1, vcc
	v_cmp_gt_u32_e32 vcc, s3, v2
	s_waitcnt lgkmcnt(0)
	v_mov_b32_e32 v44, v54
	v_mov_b64_e32 v[48:49], v[46:47]
	v_mov_b64_e32 v[50:51], v[46:47]
	;; [unrolled: 1-line block ×3, first 2 shown]
                                        ; implicit-def: $sgpr48_sgpr49
                                        ; implicit-def: $vgpr3
	s_and_saveexec_b64 s[46:47], vcc
	s_cbranch_execz .LBB1828_103
; %bb.96:
	v_add_u32_e32 v2, 19, v73
	v_cmp_ne_u32_e32 vcc, v9, v6
	v_mov_b64_e32 v[48:49], 0
	v_mov_b32_e32 v46, v55
	v_cndmask_b32_e64 v47, 0, 1, vcc
	v_cmp_gt_u32_e32 vcc, s3, v2
	v_mov_b64_e32 v[50:51], v[48:49]
	v_mov_b64_e32 v[52:53], v[48:49]
                                        ; implicit-def: $sgpr60_sgpr61
                                        ; implicit-def: $vgpr3
	s_and_saveexec_b64 s[48:49], vcc
	s_cbranch_execz .LBB1828_102
; %bb.97:
	ds_read2_b32 v[8:9], v1 offset0:19 offset1:20
	v_add_u32_e32 v2, 20, v73
	v_cmp_ne_u32_e32 vcc, v6, v7
	v_mov_b64_e32 v[50:51], 0
	s_mov_b64 s[60:61], 0
	v_cndmask_b32_e64 v49, 0, 1, vcc
	v_cmp_gt_u32_e32 vcc, s3, v2
	s_waitcnt lgkmcnt(0)
	v_mov_b32_e32 v48, v8
	v_mov_b64_e32 v[52:53], v[50:51]
                                        ; implicit-def: $sgpr78_sgpr79
                                        ; implicit-def: $vgpr3
	s_and_saveexec_b64 s[50:51], vcc
	s_cbranch_execz .LBB1828_101
; %bb.98:
	v_add_u32_e32 v2, 21, v73
	v_cmp_ne_u32_e32 vcc, v7, v4
	v_mov_b32_e32 v50, v9
	v_mov_b64_e32 v[52:53], 0
	v_cndmask_b32_e64 v51, 0, 1, vcc
	v_cmp_gt_u32_e32 vcc, s3, v2
                                        ; implicit-def: $sgpr78_sgpr79
                                        ; implicit-def: $vgpr3
	s_and_saveexec_b64 s[4:5], vcc
	s_xor_b64 s[80:81], exec, s[4:5]
	s_cbranch_execz .LBB1828_100
; %bb.99:
	ds_read2_b32 v[2:3], v1 offset0:21 offset1:22
	v_add_u32_e32 v1, 22, v73
	v_cmp_ne_u32_e64 s[4:5], v4, v5
	v_cmp_ne_u32_e32 vcc, v5, v72
	s_and_b64 s[78:79], vcc, exec
	v_cndmask_b32_e64 v53, 0, 1, s[4:5]
	v_cmp_gt_u32_e64 s[4:5], s3, v1
	s_waitcnt lgkmcnt(0)
	v_mov_b32_e32 v52, v2
	s_and_b64 s[60:61], s[4:5], exec
.LBB1828_100:
	s_or_b64 exec, exec, s[80:81]
	s_and_b64 s[78:79], s[78:79], exec
	s_and_b64 s[4:5], s[60:61], exec
.LBB1828_101:
	s_or_b64 exec, exec, s[50:51]
	s_and_b64 s[60:61], s[78:79], exec
	s_and_b64 s[50:51], s[4:5], exec
.LBB1828_102:
	s_or_b64 exec, exec, s[48:49]
	s_and_b64 s[48:49], s[60:61], exec
	s_and_b64 s[4:5], s[50:51], exec
.LBB1828_103:
	s_or_b64 exec, exec, s[46:47]
	s_and_b64 s[48:49], s[48:49], exec
	s_and_b64 s[46:47], s[4:5], exec
.LBB1828_104:
	s_or_b64 exec, exec, s[44:45]
	s_and_b64 s[44:45], s[48:49], exec
	s_and_b64 s[4:5], s[46:47], exec
.LBB1828_105:
	s_or_b64 exec, exec, s[42:43]
	s_and_b64 s[44:45], s[44:45], exec
	s_and_b64 s[42:43], s[4:5], exec
.LBB1828_106:
	s_or_b64 exec, exec, s[40:41]
	s_and_b64 s[40:41], s[44:45], exec
	s_and_b64 s[4:5], s[42:43], exec
.LBB1828_107:
	s_or_b64 exec, exec, s[38:39]
	s_and_b64 s[40:41], s[40:41], exec
	s_and_b64 s[38:39], s[4:5], exec
.LBB1828_108:
	s_or_b64 exec, exec, s[36:37]
	s_and_b64 s[36:37], s[40:41], exec
	s_and_b64 s[4:5], s[38:39], exec
.LBB1828_109:
	s_or_b64 exec, exec, s[34:35]
	s_and_b64 s[36:37], s[36:37], exec
	s_and_b64 s[34:35], s[4:5], exec
.LBB1828_110:
	s_or_b64 exec, exec, s[30:31]
	s_and_b64 s[30:31], s[36:37], exec
	s_and_b64 s[4:5], s[34:35], exec
.LBB1828_111:
	s_or_b64 exec, exec, s[28:29]
	s_and_b64 s[30:31], s[30:31], exec
	s_and_b64 s[28:29], s[4:5], exec
.LBB1828_112:
	s_or_b64 exec, exec, s[26:27]
	s_and_b64 s[26:27], s[30:31], exec
	s_and_b64 s[4:5], s[28:29], exec
.LBB1828_113:
	s_or_b64 exec, exec, s[24:25]
	s_and_b64 s[26:27], s[26:27], exec
	s_and_b64 s[24:25], s[4:5], exec
.LBB1828_114:
	s_or_b64 exec, exec, s[22:23]
	s_and_b64 s[22:23], s[26:27], exec
	s_and_b64 s[4:5], s[24:25], exec
.LBB1828_115:
	s_or_b64 exec, exec, s[20:21]
	s_and_b64 s[22:23], s[22:23], exec
	s_and_b64 s[20:21], s[4:5], exec
.LBB1828_116:
	s_or_b64 exec, exec, s[18:19]
	s_and_b64 s[18:19], s[22:23], exec
	s_and_b64 s[4:5], s[20:21], exec
.LBB1828_117:
	s_or_b64 exec, exec, s[16:17]
	s_and_b64 s[18:19], s[18:19], exec
	s_and_b64 s[16:17], s[4:5], exec
.LBB1828_118:
	s_or_b64 exec, exec, s[14:15]
	s_and_b64 s[14:15], s[18:19], exec
	s_and_b64 s[4:5], s[16:17], exec
.LBB1828_119:
	s_or_b64 exec, exec, s[12:13]
	s_and_b64 s[14:15], s[14:15], exec
	s_and_b64 s[12:13], s[4:5], exec
.LBB1828_120:
	s_or_b64 exec, exec, s[10:11]
	s_and_b64 s[4:5], s[14:15], exec
	s_and_b64 s[10:11], s[12:13], exec
.LBB1828_121:
	s_or_b64 exec, exec, s[8:9]
	s_mov_b64 s[8:9], 0
	s_and_b64 vcc, exec, s[6:7]
	v_lshlrev_b32_e32 v54, 2, v0
	s_cbranch_vccnz .LBB1828_123
	s_branch .LBB1828_131
.LBB1828_122:
                                        ; implicit-def: $sgpr4_sgpr5
                                        ; implicit-def: $vgpr3
                                        ; implicit-def: $vgpr10_vgpr11
                                        ; implicit-def: $vgpr12_vgpr13
                                        ; implicit-def: $vgpr14_vgpr15
                                        ; implicit-def: $vgpr16_vgpr17
                                        ; implicit-def: $vgpr18_vgpr19
                                        ; implicit-def: $vgpr20_vgpr21
                                        ; implicit-def: $vgpr22_vgpr23
                                        ; implicit-def: $vgpr24_vgpr25
                                        ; implicit-def: $vgpr26_vgpr27
                                        ; implicit-def: $vgpr28_vgpr29
                                        ; implicit-def: $vgpr30_vgpr31
                                        ; implicit-def: $vgpr32_vgpr33
                                        ; implicit-def: $vgpr34_vgpr35
                                        ; implicit-def: $vgpr36_vgpr37
                                        ; implicit-def: $vgpr38_vgpr39
                                        ; implicit-def: $vgpr40_vgpr41
                                        ; implicit-def: $vgpr42_vgpr43
                                        ; implicit-def: $vgpr44_vgpr45
                                        ; implicit-def: $vgpr46_vgpr47
                                        ; implicit-def: $vgpr48_vgpr49
                                        ; implicit-def: $vgpr50_vgpr51
                                        ; implicit-def: $vgpr52_vgpr53
                                        ; implicit-def: $sgpr8_sgpr9
	s_and_b64 vcc, exec, s[6:7]
	v_lshlrev_b32_e32 v54, 2, v0
	s_cbranch_vccz .LBB1828_131
.LBB1828_123:
	v_mov_b32_e32 v55, 0
	v_lshl_add_u64 v[2:3], s[54:55], 0, v[54:55]
	v_add_co_u32_e32 v4, vcc, 0x1000, v2
	s_movk_i32 s3, 0x58
	s_nop 0
	v_addc_co_u32_e32 v5, vcc, 0, v3, vcc
	flat_load_dword v8, v[2:3]
	flat_load_dword v9, v[2:3] offset:1024
	s_waitcnt lgkmcnt(0)
	flat_load_dword v10, v[2:3] offset:2048
	flat_load_dword v11, v[2:3] offset:3072
	flat_load_dword v12, v[4:5]
	flat_load_dword v13, v[4:5] offset:1024
	flat_load_dword v14, v[4:5] offset:2048
	;; [unrolled: 1-line block ×3, first 2 shown]
	v_add_co_u32_e32 v4, vcc, 0x2000, v2
	v_mad_u32_u24 v1, v0, s3, v54
	s_nop 0
	v_addc_co_u32_e32 v5, vcc, 0, v3, vcc
	v_add_co_u32_e32 v6, vcc, 0x3000, v2
	s_cmp_eq_u64 s[76:77], 0
	s_nop 0
	v_addc_co_u32_e32 v7, vcc, 0, v3, vcc
	flat_load_dword v16, v[4:5]
	flat_load_dword v17, v[4:5] offset:1024
	flat_load_dword v18, v[4:5] offset:2048
	;; [unrolled: 1-line block ×3, first 2 shown]
	flat_load_dword v20, v[6:7]
	flat_load_dword v21, v[6:7] offset:1024
	flat_load_dword v22, v[6:7] offset:2048
	flat_load_dword v23, v[6:7] offset:3072
	v_add_co_u32_e32 v4, vcc, 0x4000, v2
	s_nop 1
	v_addc_co_u32_e32 v5, vcc, 0, v3, vcc
	v_add_co_u32_e32 v2, vcc, 0x5000, v2
	s_nop 1
	v_addc_co_u32_e32 v3, vcc, 0, v3, vcc
	flat_load_dword v6, v[4:5]
	flat_load_dword v7, v[4:5] offset:1024
	flat_load_dword v24, v[4:5] offset:2048
	;; [unrolled: 1-line block ×3, first 2 shown]
	flat_load_dword v26, v[2:3]
	flat_load_dword v27, v[2:3] offset:1024
	flat_load_dword v28, v[2:3] offset:2048
	s_waitcnt vmcnt(0)
	ds_write2st64_b32 v54, v8, v9 offset1:4
	s_waitcnt lgkmcnt(0)
	ds_write2st64_b32 v54, v10, v11 offset0:8 offset1:12
	ds_write2st64_b32 v54, v12, v13 offset0:16 offset1:20
	;; [unrolled: 1-line block ×10, first 2 shown]
	ds_write_b32 v54, v28 offset:22528
	s_waitcnt lgkmcnt(0)
	s_barrier
	ds_read2_b32 v[2:3], v1 offset1:1
	ds_read2_b32 v[18:19], v1 offset0:2 offset1:3
	ds_read2_b32 v[22:23], v1 offset0:4 offset1:5
	;; [unrolled: 1-line block ×10, first 2 shown]
	ds_read_b32 v10, v1 offset:88
	s_cbranch_scc1 .LBB1828_128
; %bb.124:
	s_andn2_b64 vcc, exec, s[64:65]
	s_cbranch_vccnz .LBB1828_264
; %bb.125:
	s_lshl_b64 s[4:5], s[76:77], 2
	s_add_u32 s3, s66, s4
	s_addc_u32 s5, s67, s5
	s_add_u32 s4, s3, -4
	s_addc_u32 s5, s5, -1
	s_cbranch_execnz .LBB1828_127
.LBB1828_126:
	s_add_u32 s4, s54, -4
	s_addc_u32 s5, s55, -1
.LBB1828_127:
	s_mov_b64 s[54:55], s[4:5]
.LBB1828_128:
	v_mov_b64_e32 v[12:13], s[54:55]
	flat_load_dword v11, v[12:13]
	s_movk_i32 s3, 0xffa8
	v_mad_i32_i24 v12, v0, s3, v1
	v_cmp_ne_u32_e32 vcc, 0, v0
	s_waitcnt lgkmcnt(0)
	ds_write_b32 v12, v10 offset:23552
	s_waitcnt lgkmcnt(0)
	s_barrier
	s_and_saveexec_b64 s[4:5], vcc
	s_cbranch_execz .LBB1828_130
; %bb.129:
	s_waitcnt vmcnt(0)
	v_mul_i32_i24_e32 v11, 0xffffffa8, v0
	v_add_u32_e32 v11, v1, v11
	ds_read_b32 v11, v11 offset:23548
.LBB1828_130:
	s_or_b64 exec, exec, s[4:5]
	v_mov_b32_e32 v55, 0
	v_lshl_add_u64 v[12:13], s[52:53], 0, v[54:55]
	s_movk_i32 s3, 0x1000
	v_add_co_u32_e32 v14, vcc, s3, v12
	s_movk_i32 s3, 0x2000
	s_nop 0
	v_addc_co_u32_e32 v15, vcc, 0, v13, vcc
	s_waitcnt lgkmcnt(0)
	s_barrier
	flat_load_dword v20, v[12:13]
	flat_load_dword v21, v[12:13] offset:1024
	flat_load_dword v24, v[12:13] offset:2048
	;; [unrolled: 1-line block ×3, first 2 shown]
	flat_load_dword v28, v[14:15]
	flat_load_dword v29, v[14:15] offset:1024
	flat_load_dword v32, v[14:15] offset:2048
	;; [unrolled: 1-line block ×3, first 2 shown]
	v_add_co_u32_e32 v14, vcc, s3, v12
	s_movk_i32 s3, 0x3000
	s_nop 0
	v_addc_co_u32_e32 v15, vcc, 0, v13, vcc
	v_add_co_u32_e32 v16, vcc, s3, v12
	s_movk_i32 s3, 0x4000
	s_nop 0
	v_addc_co_u32_e32 v17, vcc, 0, v13, vcc
	flat_load_dword v36, v[14:15]
	flat_load_dword v37, v[14:15] offset:1024
	flat_load_dword v40, v[14:15] offset:2048
	;; [unrolled: 1-line block ×3, first 2 shown]
	flat_load_dword v44, v[16:17]
	flat_load_dword v45, v[16:17] offset:1024
	flat_load_dword v46, v[16:17] offset:2048
	;; [unrolled: 1-line block ×3, first 2 shown]
	v_add_co_u32_e32 v14, vcc, s3, v12
	s_movk_i32 s3, 0x5000
	s_nop 0
	v_addc_co_u32_e32 v15, vcc, 0, v13, vcc
	v_add_co_u32_e32 v12, vcc, s3, v12
	v_cmp_ne_u32_e64 s[4:5], v5, v10
	s_nop 0
	v_addc_co_u32_e32 v13, vcc, 0, v13, vcc
	flat_load_dword v16, v[14:15]
	flat_load_dword v17, v[14:15] offset:1024
	flat_load_dword v48, v[14:15] offset:2048
	flat_load_dword v49, v[14:15] offset:3072
	flat_load_dword v50, v[12:13]
	flat_load_dword v51, v[12:13] offset:1024
	flat_load_dword v52, v[12:13] offset:2048
	s_waitcnt vmcnt(0)
	v_cmp_ne_u32_e32 vcc, v11, v2
	s_mov_b64 s[10:11], -1
                                        ; implicit-def: $sgpr8_sgpr9
	s_waitcnt lgkmcnt(0)
	ds_write2st64_b32 v54, v20, v21 offset1:4
	ds_write2st64_b32 v54, v24, v25 offset0:8 offset1:12
	ds_write2st64_b32 v54, v28, v29 offset0:16 offset1:20
	;; [unrolled: 1-line block ×10, first 2 shown]
	ds_write_b32 v54, v52 offset:22528
	v_cndmask_b32_e64 v11, 0, 1, vcc
	v_cmp_ne_u32_e32 vcc, v2, v3
	s_waitcnt lgkmcnt(0)
	s_barrier
	v_cndmask_b32_e64 v13, 0, 1, vcc
	v_cmp_ne_u32_e32 vcc, v3, v18
	ds_read2_b32 v[16:17], v1 offset1:1
	ds_read2_b32 v[20:21], v1 offset0:2 offset1:3
	ds_read2_b32 v[24:25], v1 offset0:4 offset1:5
	;; [unrolled: 1-line block ×10, first 2 shown]
	ds_read_b32 v3, v1 offset:88
	v_cndmask_b32_e64 v15, 0, 1, vcc
	v_cmp_ne_u32_e32 vcc, v18, v19
	s_waitcnt lgkmcnt(11)
	v_mov_b32_e32 v12, v17
	v_mov_b32_e32 v10, v16
	v_cndmask_b32_e64 v17, 0, 1, vcc
	v_cmp_ne_u32_e32 vcc, v19, v22
	s_waitcnt lgkmcnt(10)
	v_mov_b32_e32 v16, v21
	v_mov_b32_e32 v14, v20
	;; [unrolled: 5-line block ×5, first 2 shown]
	v_cndmask_b32_e64 v25, 0, 1, vcc
	v_cmp_ne_u32_e32 vcc, v27, v30
	s_waitcnt lgkmcnt(6)
	v_mov_b32_e32 v32, v37
	s_waitcnt lgkmcnt(2)
	v_mov_b32_e32 v48, v51
	v_cndmask_b32_e64 v27, 0, 1, vcc
	v_cmp_ne_u32_e32 vcc, v30, v31
	v_mov_b32_e32 v30, v36
	v_mov_b32_e32 v36, v41
	v_cndmask_b32_e64 v29, 0, 1, vcc
	v_cmp_ne_u32_e32 vcc, v31, v34
	s_waitcnt lgkmcnt(1)
	v_mov_b32_e32 v52, v57
	v_cndmask_b32_e64 v31, 0, 1, vcc
	v_cmp_ne_u32_e32 vcc, v34, v35
	v_mov_b32_e32 v34, v40
	v_mov_b32_e32 v40, v45
	v_cndmask_b32_e64 v33, 0, 1, vcc
	v_cmp_ne_u32_e32 vcc, v35, v38
	s_nop 1
	v_cndmask_b32_e64 v35, 0, 1, vcc
	v_cmp_ne_u32_e32 vcc, v38, v39
	v_mov_b32_e32 v38, v44
	v_mov_b32_e32 v44, v47
	v_cndmask_b32_e64 v37, 0, 1, vcc
	v_cmp_ne_u32_e32 vcc, v39, v42
	s_nop 1
	v_cndmask_b32_e64 v39, 0, 1, vcc
	v_cmp_ne_u32_e32 vcc, v42, v43
	v_mov_b32_e32 v42, v46
	v_mov_b32_e32 v46, v50
	v_cndmask_b32_e64 v41, 0, 1, vcc
	v_cmp_ne_u32_e32 vcc, v43, v8
	v_mov_b32_e32 v50, v56
	s_nop 0
	v_cndmask_b32_e64 v43, 0, 1, vcc
	v_cmp_ne_u32_e32 vcc, v8, v9
	s_nop 1
	v_cndmask_b32_e64 v45, 0, 1, vcc
	v_cmp_ne_u32_e32 vcc, v9, v6
	s_nop 1
	v_cndmask_b32_e64 v47, 0, 1, vcc
	v_cmp_ne_u32_e32 vcc, v6, v7
	s_nop 1
	v_cndmask_b32_e64 v49, 0, 1, vcc
	v_cmp_ne_u32_e32 vcc, v7, v4
	s_nop 1
	v_cndmask_b32_e64 v51, 0, 1, vcc
	v_cmp_ne_u32_e32 vcc, v4, v5
	s_nop 1
	v_cndmask_b32_e64 v53, 0, 1, vcc
.LBB1828_131:
	v_mov_b64_e32 v[56:57], s[8:9]
	s_and_saveexec_b64 s[6:7], s[10:11]
	s_cbranch_execz .LBB1828_133
; %bb.132:
	v_cndmask_b32_e64 v57, 0, 1, s[4:5]
	s_waitcnt lgkmcnt(0)
	v_mov_b32_e32 v56, v3
.LBB1828_133:
	s_or_b64 exec, exec, s[6:7]
	s_mov_b32 s46, 0
	s_cmp_lg_u32 s2, 0
	v_or_b32_e32 v55, v57, v53
	v_lshrrev_b32_e32 v1, 5, v0
	v_cmp_gt_u32_e32 vcc, 64, v0
	s_waitcnt lgkmcnt(0)
	s_barrier
	s_cbranch_scc0 .LBB1828_168
; %bb.134:
	s_mov_b32 s47, 1
	v_cmp_gt_u64_e64 s[52:53], s[46:47], v[12:13]
	v_cmp_gt_u64_e64 s[4:5], s[46:47], v[14:15]
	v_cmp_gt_u64_e64 s[6:7], s[46:47], v[16:17]
	v_cndmask_b32_e64 v2, 0, v10, s[52:53]
	v_add_u32_e32 v2, v2, v12
	v_cndmask_b32_e64 v2, 0, v2, s[4:5]
	v_add_u32_e32 v2, v2, v14
	v_cndmask_b32_e64 v2, 0, v2, s[6:7]
	v_add_u32_e32 v2, v2, v16
	v_cmp_gt_u64_e64 s[8:9], s[46:47], v[18:19]
	v_cmp_gt_u64_e64 s[10:11], s[46:47], v[20:21]
	v_cmp_gt_u64_e64 s[12:13], s[46:47], v[22:23]
	v_cndmask_b32_e64 v2, 0, v2, s[8:9]
	v_add_u32_e32 v2, v2, v18
	v_cndmask_b32_e64 v2, 0, v2, s[10:11]
	v_add_u32_e32 v2, v2, v20
	v_cndmask_b32_e64 v2, 0, v2, s[12:13]
	v_add_u32_e32 v2, v2, v22
	;; [unrolled: 9-line block ×7, first 2 shown]
	v_cmp_gt_u64_e64 s[46:47], s[46:47], v[56:57]
	s_nop 1
	v_cndmask_b32_e64 v2, 0, v2, s[46:47]
	v_add_u32_e32 v62, v2, v56
	v_or3_b32 v2, v55, v51, v49
	v_or3_b32 v2, v2, v47, v45
	;; [unrolled: 1-line block ×10, first 2 shown]
	v_and_b32_e32 v2, 1, v2
	v_cmp_eq_u32_e64 s[48:49], 1, v2
	v_add_lshl_u32 v2, v1, v0, 3
	s_nop 0
	v_cndmask_b32_e64 v63, v11, 1, s[48:49]
	ds_write_b32 v2, v62
	ds_write_b8 v2, v63 offset:4
	s_waitcnt lgkmcnt(0)
	s_barrier
	s_and_saveexec_b64 s[50:51], vcc
	s_cbranch_execz .LBB1828_146
; %bb.135:
	v_lshrrev_b32_e32 v2, 3, v0
	v_add_lshl_u32 v4, v2, v54, 3
	ds_read2_b32 v[6:7], v4 offset0:2 offset1:4
	ds_read_b64 v[2:3], v4
	ds_read_u8 v8, v4 offset:12
	ds_read_u8 v9, v4 offset:20
	ds_read_b32 v58, v4 offset:24
	ds_read_u8 v59, v4 offset:28
	v_mov_b32_e32 v60, 0
	s_waitcnt lgkmcnt(3)
	v_cmp_eq_u16_sdwa s[48:49], v8, v60 src0_sel:BYTE_0 src1_sel:DWORD
	v_and_b32_e32 v5, 1, v3
	s_nop 0
	v_cndmask_b32_e64 v61, 0, v2, s[48:49]
	v_add_u32_e32 v6, v61, v6
	s_waitcnt lgkmcnt(2)
	v_cmp_eq_u16_sdwa s[48:49], v9, v60 src0_sel:BYTE_0 src1_sel:DWORD
	s_nop 1
	v_cndmask_b32_e64 v6, 0, v6, s[48:49]
	v_add_u32_e32 v6, v6, v7
	s_waitcnt lgkmcnt(0)
	v_cmp_eq_u16_e64 s[48:49], 0, v59
	s_nop 1
	v_cndmask_b32_e64 v6, 0, v6, s[48:49]
	v_add_u32_e32 v7, v6, v58
	v_or_b32_e32 v6, v59, v9
	v_or_b32_e32 v6, v6, v8
	v_and_b32_e32 v6, 1, v6
	v_cmp_eq_u32_e64 s[48:49], 1, v6
	v_mbcnt_lo_u32_b32 v8, -1, 0
	v_and_b32_e32 v6, 0xffffff00, v3
	v_cndmask_b32_e64 v9, v5, 1, s[48:49]
	v_mbcnt_hi_u32_b32 v8, -1, v8
	v_and_b32_e32 v59, 15, v8
	v_or_b32_sdwa v58, v6, v9 dst_sel:DWORD dst_unused:UNUSED_PAD src0_sel:DWORD src1_sel:WORD_0
	v_mov_b32_dpp v60, v7 row_shr:1 row_mask:0xf bank_mask:0xf
	v_cmp_ne_u32_e64 s[48:49], 0, v59
	v_mov_b32_dpp v61, v58 row_shr:1 row_mask:0xf bank_mask:0xf
	s_and_saveexec_b64 s[54:55], s[48:49]
; %bb.136:
	v_and_b32_e32 v58, 1, v9
	v_and_b32_e32 v61, 1, v61
	v_cmp_eq_u32_e64 s[48:49], 1, v58
	s_nop 1
	v_cndmask_b32_e64 v61, v61, 1, s[48:49]
	v_cmp_eq_u16_e64 s[48:49], 0, v9
	v_or_b32_sdwa v58, v6, v61 dst_sel:DWORD dst_unused:UNUSED_PAD src0_sel:DWORD src1_sel:WORD_0
	s_nop 0
	v_cndmask_b32_e64 v9, 0, v60, s[48:49]
	v_add_u32_e32 v7, v9, v7
	v_mov_b32_e32 v9, v61
; %bb.137:
	s_or_b64 exec, exec, s[54:55]
	v_mov_b32_dpp v60, v7 row_shr:2 row_mask:0xf bank_mask:0xf
	v_mov_b32_dpp v61, v58 row_shr:2 row_mask:0xf bank_mask:0xf
	v_cmp_lt_u32_e64 s[48:49], 1, v59
	s_and_saveexec_b64 s[54:55], s[48:49]
; %bb.138:
	v_and_b32_e32 v58, 1, v9
	v_and_b32_e32 v61, 1, v61
	v_cmp_eq_u32_e64 s[48:49], 1, v58
	s_nop 1
	v_cndmask_b32_e64 v61, v61, 1, s[48:49]
	v_cmp_eq_u16_e64 s[48:49], 0, v9
	v_or_b32_sdwa v58, v6, v61 dst_sel:DWORD dst_unused:UNUSED_PAD src0_sel:DWORD src1_sel:WORD_0
	s_nop 0
	v_cndmask_b32_e64 v9, 0, v60, s[48:49]
	v_add_u32_e32 v7, v9, v7
	v_mov_b32_e32 v9, v61
; %bb.139:
	s_or_b64 exec, exec, s[54:55]
	v_mov_b32_dpp v60, v7 row_shr:4 row_mask:0xf bank_mask:0xf
	v_mov_b32_dpp v61, v58 row_shr:4 row_mask:0xf bank_mask:0xf
	v_cmp_lt_u32_e64 s[48:49], 3, v59
	;; [unrolled: 18-line block ×3, first 2 shown]
	s_and_saveexec_b64 s[54:55], s[48:49]
; %bb.142:
	v_and_b32_e32 v58, 1, v9
	v_and_b32_e32 v59, 1, v61
	v_cmp_eq_u32_e64 s[48:49], 1, v58
	s_nop 1
	v_cndmask_b32_e64 v59, v59, 1, s[48:49]
	v_cmp_eq_u16_e64 s[48:49], 0, v9
	v_or_b32_sdwa v58, v6, v59 dst_sel:DWORD dst_unused:UNUSED_PAD src0_sel:DWORD src1_sel:WORD_0
	s_nop 0
	v_cndmask_b32_e64 v9, 0, v60, s[48:49]
	v_add_u32_e32 v7, v9, v7
	v_mov_b32_e32 v9, v59
; %bb.143:
	s_or_b64 exec, exec, s[54:55]
	v_and_b32_e32 v61, 16, v8
	v_mov_b32_dpp v59, v7 row_bcast:15 row_mask:0xf bank_mask:0xf
	v_mov_b32_dpp v60, v58 row_bcast:15 row_mask:0xf bank_mask:0xf
	v_cmp_ne_u32_e64 s[48:49], 0, v61
	s_and_saveexec_b64 s[54:55], s[48:49]
; %bb.144:
	v_and_b32_e32 v58, 1, v9
	v_and_b32_e32 v60, 1, v60
	v_cmp_eq_u32_e64 s[48:49], 1, v58
	s_nop 1
	v_cndmask_b32_e64 v60, v60, 1, s[48:49]
	v_cmp_eq_u16_e64 s[48:49], 0, v9
	v_or_b32_sdwa v58, v6, v60 dst_sel:DWORD dst_unused:UNUSED_PAD src0_sel:DWORD src1_sel:WORD_0
	s_nop 0
	v_cndmask_b32_e64 v9, 0, v59, s[48:49]
	v_add_u32_e32 v7, v9, v7
	v_mov_b32_e32 v9, v60
; %bb.145:
	s_or_b64 exec, exec, s[54:55]
	v_mov_b32_dpp v58, v58 row_bcast:31 row_mask:0xf bank_mask:0xf
	v_and_b32_e32 v60, 1, v9
	v_and_b32_e32 v58, 1, v58
	v_cmp_eq_u32_e64 s[48:49], 1, v60
	v_mov_b32_e32 v60, 0
	v_cmp_eq_u16_sdwa s[54:55], v9, v60 src0_sel:BYTE_0 src1_sel:DWORD
	v_cndmask_b32_e64 v58, v58, 1, s[48:49]
	v_cmp_lt_u32_e64 s[48:49], 31, v8
	v_mov_b32_dpp v59, v7 row_bcast:31 row_mask:0xf bank_mask:0xf
	s_movk_i32 s3, 0xff
	v_cndmask_b32_e64 v9, v9, v58, s[48:49]
	s_and_b64 s[48:49], s[48:49], s[54:55]
	v_cndmask_b32_e64 v58, 0, v59, s[48:49]
	v_add_u32_e32 v7, v58, v7
	v_add_u32_e32 v58, -1, v8
	v_and_b32_e32 v59, 64, v8
	v_cmp_lt_i32_e64 s[48:49], v58, v59
	v_and_or_b32 v6, v9, s3, v6
	s_nop 0
	v_cndmask_b32_e64 v8, v58, v8, s[48:49]
	v_lshlrev_b32_e32 v8, 2, v8
	ds_bpermute_b32 v7, v8, v7
	ds_bpermute_b32 v6, v8, v6
	v_cmp_eq_u16_sdwa s[48:49], v3, v60 src0_sel:BYTE_0 src1_sel:DWORD
	; wave barrier
	s_waitcnt lgkmcnt(1)
	s_nop 0
	v_cndmask_b32_e64 v3, 0, v7, s[48:49]
	v_add_u32_e32 v2, v3, v2
	s_waitcnt lgkmcnt(0)
	v_and_b32_e32 v3, 1, v6
	v_cmp_eq_u32_e64 s[48:49], 1, v5
	s_nop 1
	v_cndmask_b32_e64 v3, v3, 1, s[48:49]
	v_cmp_eq_u32_e64 s[48:49], 0, v0
	s_nop 1
	v_cndmask_b32_e64 v5, v2, v62, s[48:49]
	v_cndmask_b32_e64 v6, v3, v63, s[48:49]
	ds_write_b32 v4, v5
	ds_write_b8 v4, v6 offset:4
	; wave barrier
	ds_read_u8 v7, v4 offset:12
	ds_read2_b32 v[2:3], v4 offset0:2 offset1:4
	ds_read_u8 v8, v4 offset:20
	ds_read_b32 v9, v4 offset:24
	ds_read_u8 v58, v4 offset:28
	s_waitcnt lgkmcnt(4)
	v_cmp_eq_u16_e64 s[48:49], 0, v7
	s_nop 1
	v_cndmask_b32_e64 v5, 0, v5, s[48:49]
	s_waitcnt lgkmcnt(3)
	v_add_u32_e32 v2, v5, v2
	v_and_b32_e32 v5, 1, v7
	v_cmp_eq_u32_e64 s[48:49], 1, v5
	s_nop 1
	v_cndmask_b32_e64 v5, v6, 1, s[48:49]
	s_waitcnt lgkmcnt(2)
	v_cmp_eq_u16_e64 s[48:49], 0, v8
	ds_write_b8 v4, v5 offset:12
	s_nop 0
	v_cndmask_b32_e64 v6, 0, v2, s[48:49]
	v_add_u32_e32 v3, v6, v3
	v_and_b32_e32 v6, 1, v8
	v_cmp_eq_u32_e64 s[48:49], 1, v6
	s_nop 1
	v_cndmask_b32_e64 v5, v5, 1, s[48:49]
	s_waitcnt lgkmcnt(1)
	v_cmp_eq_u16_e64 s[48:49], 0, v58
	ds_write2_b32 v4, v2, v3 offset0:2 offset1:4
	ds_write_b8 v4, v5 offset:20
	v_cndmask_b32_e64 v2, 0, v3, s[48:49]
	v_and_b32_e32 v3, 1, v58
	v_add_u32_e32 v2, v2, v9
	v_cmp_eq_u32_e64 s[48:49], 1, v3
	s_nop 1
	v_cndmask_b32_e64 v3, v5, 1, s[48:49]
	ds_write_b32 v4, v2 offset:24
	ds_write_b8 v4, v3 offset:28
.LBB1828_146:
	s_or_b64 exec, exec, s[50:51]
	v_cmp_eq_u32_e64 s[48:49], 0, v0
	v_cmp_ne_u32_e64 s[50:51], 0, v0
	s_waitcnt lgkmcnt(0)
	s_barrier
	s_and_saveexec_b64 s[54:55], s[50:51]
	s_cbranch_execz .LBB1828_148
; %bb.147:
	v_add_u32_e32 v2, -1, v0
	v_lshrrev_b32_e32 v3, 5, v2
	v_add_lshl_u32 v2, v3, v2, 3
	ds_read_b32 v62, v2
	ds_read_u8 v63, v2 offset:4
.LBB1828_148:
	s_or_b64 exec, exec, s[54:55]
	s_and_saveexec_b64 s[60:61], vcc
	s_cbranch_execz .LBB1828_167
; %bb.149:
	v_mov_b32_e32 v5, 0
	ds_read_b64 v[2:3], v5 offset:2096
	v_mbcnt_lo_u32_b32 v4, -1, 0
	v_mbcnt_hi_u32_b32 v73, -1, v4
	s_mov_b32 s65, 0
	v_cmp_eq_u32_e64 s[50:51], 0, v73
	s_waitcnt lgkmcnt(0)
	v_readfirstlane_b32 s3, v3
	s_and_saveexec_b64 s[54:55], s[50:51]
	s_cbranch_execz .LBB1828_151
; %bb.150:
	s_add_i32 s64, s2, 64
	s_lshl_b64 s[66:67], s[64:65], 4
	s_add_u32 s66, s68, s66
	s_addc_u32 s67, s69, s67
	s_and_b32 s77, s3, 0xff000000
	s_mov_b32 s76, s65
	s_and_b32 s79, s3, 0xff0000
	s_mov_b32 s78, s65
	s_or_b64 s[76:77], s[78:79], s[76:77]
	s_and_b32 s79, s3, 0xff00
	s_or_b64 s[76:77], s[76:77], s[78:79]
	s_and_b32 s79, s3, 0xff
	s_or_b64 s[64:65], s[76:77], s[78:79]
	v_mov_b32_e32 v3, s65
	v_mov_b32_e32 v4, 1
	v_mov_b64_e32 v[6:7], s[66:67]
	;;#ASMSTART
	global_store_dwordx4 v[6:7], v[2:5] off sc1	
s_waitcnt vmcnt(0)
	;;#ASMEND
.LBB1828_151:
	s_or_b64 exec, exec, s[54:55]
	v_xad_u32 v58, v73, -1, s2
	v_add_u32_e32 v4, 64, v58
	v_lshl_add_u64 v[60:61], v[4:5], 4, s[68:69]
	;;#ASMSTART
	global_load_dwordx4 v[6:9], v[60:61] off sc1	
s_waitcnt vmcnt(0)
	;;#ASMEND
	s_nop 0
	v_and_b32_e32 v3, 0xff0000, v6
	v_and_b32_e32 v4, 0xff000000, v6
	;; [unrolled: 1-line block ×3, first 2 shown]
	v_or_b32_sdwa v3, v6, v3 dst_sel:DWORD dst_unused:UNUSED_PAD src0_sel:WORD_0 src1_sel:DWORD
	v_or3_b32 v7, 0, 0, v7
	v_or3_b32 v6, v3, v4, 0
	v_cmp_eq_u16_sdwa s[64:65], v8, v5 src0_sel:BYTE_0 src1_sel:DWORD
	s_and_saveexec_b64 s[54:55], s[64:65]
	s_cbranch_execz .LBB1828_155
; %bb.152:
	s_mov_b64 s[64:65], 0
	v_mov_b32_e32 v3, 0
.LBB1828_153:                           ; =>This Inner Loop Header: Depth=1
	;;#ASMSTART
	global_load_dwordx4 v[6:9], v[60:61] off sc1	
s_waitcnt vmcnt(0)
	;;#ASMEND
	s_nop 0
	v_cmp_ne_u16_sdwa s[66:67], v8, v3 src0_sel:BYTE_0 src1_sel:DWORD
	s_or_b64 s[64:65], s[66:67], s[64:65]
	s_andn2_b64 exec, exec, s[64:65]
	s_cbranch_execnz .LBB1828_153
; %bb.154:
	s_or_b64 exec, exec, s[64:65]
	v_and_b32_e32 v7, 0xff, v7
.LBB1828_155:
	s_or_b64 exec, exec, s[54:55]
	v_mov_b32_e32 v3, 2
	v_cmp_eq_u16_sdwa s[54:55], v8, v3 src0_sel:BYTE_0 src1_sel:DWORD
	v_lshlrev_b64 v[4:5], v73, -1
	v_and_b32_e32 v64, 63, v73
	v_and_b32_e32 v9, s55, v5
	v_or_b32_e32 v9, 0x80000000, v9
	v_and_b32_e32 v59, s54, v4
	v_ffbl_b32_e32 v9, v9
	v_add_u32_e32 v9, 32, v9
	v_ffbl_b32_e32 v59, v59
	v_cmp_ne_u32_e32 vcc, 63, v64
	v_min_u32_e32 v9, v59, v9
	s_mov_b32 s64, 0
	v_addc_co_u32_e32 v59, vcc, 0, v73, vcc
	v_lshlrev_b32_e32 v65, 2, v59
	ds_bpermute_b32 v59, v65, v7
	ds_bpermute_b32 v60, v65, v6
	v_and_b32_e32 v61, 1, v7
	s_mov_b32 s65, 1
	v_cmp_eq_u32_e32 vcc, 1, v61
	s_waitcnt lgkmcnt(1)
	v_and_b32_e32 v59, 1, v59
	v_cmp_lt_u32_e64 s[54:55], v64, v9
	v_cndmask_b32_e64 v59, v59, 1, vcc
	v_cmp_gt_u64_e32 vcc, s[64:65], v[6:7]
	s_and_b64 vcc, s[54:55], vcc
	v_and_b32_e32 v61, 0xffff, v59
	v_cndmask_b32_e64 v68, v7, v59, s[54:55]
	s_waitcnt lgkmcnt(0)
	v_cndmask_b32_e32 v59, 0, v60, vcc
	v_cmp_gt_u32_e32 vcc, 62, v64
	v_cndmask_b32_e64 v7, v7, v61, s[54:55]
	v_add_u32_e32 v6, v59, v6
	v_cndmask_b32_e64 v60, 0, 1, vcc
	v_lshlrev_b32_e32 v60, 1, v60
	v_add_lshl_u32 v66, v60, v73, 2
	ds_bpermute_b32 v60, v66, v7
	ds_bpermute_b32 v61, v66, v6
	v_and_b32_e32 v59, 1, v68
	v_cmp_eq_u32_e32 vcc, 1, v59
	v_mov_b32_e32 v59, 0
	s_waitcnt lgkmcnt(1)
	v_and_b32_e32 v60, 1, v60
	v_add_u32_e32 v67, 2, v64
	v_cndmask_b32_e64 v60, v60, 1, vcc
	v_cmp_eq_u16_sdwa vcc, v68, v59 src0_sel:BYTE_0 src1_sel:DWORD
	v_and_b32_e32 v69, 0xffff, v60
	v_add_u32_e32 v77, 32, v64
	s_waitcnt lgkmcnt(0)
	v_cndmask_b32_e32 v61, 0, v61, vcc
	v_cmp_gt_u32_e32 vcc, v67, v9
	s_nop 1
	v_cndmask_b32_e32 v60, v60, v68, vcc
	v_cndmask_b32_e64 v61, v61, 0, vcc
	v_cndmask_b32_e32 v7, v69, v7, vcc
	v_cmp_gt_u32_e32 vcc, 60, v64
	v_add_u32_e32 v6, v61, v6
	v_and_b32_e32 v71, 1, v60
	v_cndmask_b32_e64 v68, 0, 1, vcc
	v_lshlrev_b32_e32 v68, 2, v68
	v_add_lshl_u32 v68, v68, v73, 2
	ds_bpermute_b32 v70, v68, v7
	ds_bpermute_b32 v61, v68, v6
	v_cmp_eq_u32_e32 vcc, 1, v71
	v_add_u32_e32 v69, 4, v64
	s_waitcnt lgkmcnt(1)
	v_and_b32_e32 v70, 1, v70
	v_cndmask_b32_e64 v70, v70, 1, vcc
	v_cmp_eq_u16_sdwa vcc, v60, v59 src0_sel:BYTE_0 src1_sel:DWORD
	v_and_b32_e32 v71, 0xffff, v70
	s_waitcnt lgkmcnt(0)
	v_cndmask_b32_e32 v61, 0, v61, vcc
	v_cmp_gt_u32_e32 vcc, v69, v9
	s_nop 1
	v_cndmask_b32_e32 v60, v70, v60, vcc
	v_cndmask_b32_e64 v61, v61, 0, vcc
	v_cndmask_b32_e32 v7, v71, v7, vcc
	v_cmp_gt_u32_e32 vcc, 56, v64
	v_add_u32_e32 v6, v61, v6
	v_and_b32_e32 v74, 1, v60
	v_cndmask_b32_e64 v70, 0, 1, vcc
	v_lshlrev_b32_e32 v70, 3, v70
	v_add_lshl_u32 v70, v70, v73, 2
	ds_bpermute_b32 v72, v70, v7
	ds_bpermute_b32 v61, v70, v6
	v_cmp_eq_u32_e32 vcc, 1, v74
	v_add_u32_e32 v71, 8, v64
	s_waitcnt lgkmcnt(1)
	v_and_b32_e32 v72, 1, v72
	v_cndmask_b32_e64 v72, v72, 1, vcc
	v_cmp_eq_u16_sdwa vcc, v60, v59 src0_sel:BYTE_0 src1_sel:DWORD
	v_and_b32_e32 v74, 0xffff, v72
	;; [unrolled: 22-line block ×3, first 2 shown]
	s_waitcnt lgkmcnt(0)
	v_cndmask_b32_e32 v61, 0, v61, vcc
	v_cmp_gt_u32_e32 vcc, v74, v9
	s_nop 1
	v_cndmask_b32_e32 v60, v75, v60, vcc
	v_cndmask_b32_e64 v61, v61, 0, vcc
	v_cndmask_b32_e32 v7, v76, v7, vcc
	v_cmp_gt_u32_e32 vcc, 32, v64
	v_add_u32_e32 v6, v61, v6
	s_nop 0
	v_cndmask_b32_e64 v75, 0, 1, vcc
	v_lshlrev_b32_e32 v75, 5, v75
	v_add_lshl_u32 v76, v75, v73, 2
	ds_bpermute_b32 v7, v76, v7
	ds_bpermute_b32 v61, v76, v6
	v_and_b32_e32 v73, 1, v60
	v_cmp_eq_u32_e32 vcc, 1, v73
	s_waitcnt lgkmcnt(1)
	v_and_b32_e32 v7, 1, v7
	v_cndmask_b32_e64 v7, v7, 1, vcc
	v_cmp_eq_u16_sdwa vcc, v60, v59 src0_sel:BYTE_0 src1_sel:DWORD
	s_waitcnt lgkmcnt(0)
	s_nop 0
	v_cndmask_b32_e32 v61, 0, v61, vcc
	v_cmp_gt_u32_e32 vcc, v77, v9
	s_nop 1
	v_cndmask_b32_e64 v9, v61, 0, vcc
	v_cndmask_b32_e32 v7, v7, v60, vcc
	v_add_u32_e32 v6, v9, v6
	s_branch .LBB1828_157
.LBB1828_156:                           ;   in Loop: Header=BB1828_157 Depth=1
	s_or_b64 exec, exec, s[54:55]
	v_cmp_eq_u16_sdwa s[54:55], v8, v3 src0_sel:BYTE_0 src1_sel:DWORD
	ds_bpermute_b32 v61, v65, v7
	v_and_b32_e32 v78, 1, v7
	v_and_b32_e32 v9, s55, v5
	v_or_b32_e32 v9, 0x80000000, v9
	v_and_b32_e32 v60, s54, v4
	v_ffbl_b32_e32 v9, v9
	v_add_u32_e32 v9, 32, v9
	v_ffbl_b32_e32 v60, v60
	v_min_u32_e32 v9, v60, v9
	ds_bpermute_b32 v60, v65, v6
	s_waitcnt lgkmcnt(1)
	v_and_b32_e32 v61, 1, v61
	v_cmp_eq_u32_e32 vcc, 1, v78
	v_cmp_lt_u32_e64 s[54:55], v64, v9
	v_subrev_u32_e32 v58, 64, v58
	v_cndmask_b32_e64 v61, v61, 1, vcc
	v_cmp_gt_u64_e32 vcc, s[64:65], v[6:7]
	v_and_b32_e32 v78, 0xffff, v61
	v_cndmask_b32_e64 v61, v7, v61, s[54:55]
	v_cndmask_b32_e64 v7, v7, v78, s[54:55]
	s_and_b64 vcc, s[54:55], vcc
	ds_bpermute_b32 v78, v66, v7
	s_waitcnt lgkmcnt(1)
	v_cndmask_b32_e32 v60, 0, v60, vcc
	v_add_u32_e32 v6, v60, v6
	ds_bpermute_b32 v60, v66, v6
	v_and_b32_e32 v79, 1, v61
	s_waitcnt lgkmcnt(1)
	v_and_b32_e32 v78, 1, v78
	v_cmp_eq_u32_e32 vcc, 1, v79
	s_nop 1
	v_cndmask_b32_e64 v78, v78, 1, vcc
	v_cmp_eq_u16_sdwa vcc, v61, v59 src0_sel:BYTE_0 src1_sel:DWORD
	v_and_b32_e32 v79, 0xffff, v78
	s_waitcnt lgkmcnt(0)
	v_cndmask_b32_e32 v60, 0, v60, vcc
	v_cmp_gt_u32_e32 vcc, v67, v9
	s_nop 1
	v_cndmask_b32_e32 v7, v79, v7, vcc
	v_cndmask_b32_e32 v61, v78, v61, vcc
	ds_bpermute_b32 v78, v68, v7
	v_cndmask_b32_e64 v60, v60, 0, vcc
	v_add_u32_e32 v6, v60, v6
	ds_bpermute_b32 v60, v68, v6
	v_and_b32_e32 v79, 1, v61
	s_waitcnt lgkmcnt(1)
	v_and_b32_e32 v78, 1, v78
	v_cmp_eq_u32_e32 vcc, 1, v79
	s_nop 1
	v_cndmask_b32_e64 v78, v78, 1, vcc
	v_cmp_eq_u16_sdwa vcc, v61, v59 src0_sel:BYTE_0 src1_sel:DWORD
	v_and_b32_e32 v79, 0xffff, v78
	s_waitcnt lgkmcnt(0)
	v_cndmask_b32_e32 v60, 0, v60, vcc
	v_cmp_gt_u32_e32 vcc, v69, v9
	s_nop 1
	v_cndmask_b32_e32 v7, v79, v7, vcc
	v_cndmask_b32_e32 v61, v78, v61, vcc
	ds_bpermute_b32 v78, v70, v7
	v_cndmask_b32_e64 v60, v60, 0, vcc
	;; [unrolled: 18-line block ×3, first 2 shown]
	v_add_u32_e32 v6, v60, v6
	ds_bpermute_b32 v60, v72, v6
	v_and_b32_e32 v79, 1, v61
	s_waitcnt lgkmcnt(1)
	v_and_b32_e32 v78, 1, v78
	v_cmp_eq_u32_e32 vcc, 1, v79
	s_nop 1
	v_cndmask_b32_e64 v78, v78, 1, vcc
	v_cmp_eq_u16_sdwa vcc, v61, v59 src0_sel:BYTE_0 src1_sel:DWORD
	v_and_b32_e32 v79, 0xffff, v78
	s_waitcnt lgkmcnt(0)
	v_cndmask_b32_e32 v60, 0, v60, vcc
	v_cmp_gt_u32_e32 vcc, v74, v9
	s_nop 1
	v_cndmask_b32_e64 v60, v60, 0, vcc
	v_cndmask_b32_e32 v7, v79, v7, vcc
	ds_bpermute_b32 v7, v76, v7
	v_add_u32_e32 v6, v60, v6
	ds_bpermute_b32 v60, v76, v6
	v_cndmask_b32_e32 v61, v78, v61, vcc
	v_and_b32_e32 v78, 1, v61
	v_cmp_eq_u32_e32 vcc, 1, v78
	s_waitcnt lgkmcnt(1)
	s_nop 0
	v_cndmask_b32_e64 v7, v7, 1, vcc
	v_cmp_eq_u16_sdwa vcc, v61, v59 src0_sel:BYTE_0 src1_sel:DWORD
	s_waitcnt lgkmcnt(0)
	s_nop 0
	v_cndmask_b32_e32 v60, 0, v60, vcc
	v_cmp_gt_u32_e32 vcc, v77, v9
	s_nop 1
	v_cndmask_b32_e64 v9, v60, 0, vcc
	v_cndmask_b32_e32 v7, v7, v61, vcc
	v_add_u32_e32 v6, v9, v6
	v_cmp_eq_u16_sdwa vcc, v73, v59 src0_sel:BYTE_0 src1_sel:DWORD
	v_and_b32_e32 v9, 1, v73
	v_and_b32_e32 v7, 1, v7
	v_cndmask_b32_e32 v6, 0, v6, vcc
	v_cmp_eq_u32_e32 vcc, 1, v9
	v_add_u32_e32 v6, v6, v75
	s_nop 0
	v_cndmask_b32_e64 v7, v7, 1, vcc
.LBB1828_157:                           ; =>This Loop Header: Depth=1
                                        ;     Child Loop BB1828_160 Depth 2
	v_cmp_ne_u16_sdwa s[54:55], v8, v3 src0_sel:BYTE_0 src1_sel:DWORD
	v_mov_b32_e32 v73, v7
	v_mov_b32_e32 v75, v6
	v_cndmask_b32_e64 v7, 0, 1, s[54:55]
	;;#ASMSTART
	;;#ASMEND
	s_nop 0
	v_cmp_ne_u32_e32 vcc, 0, v7
	s_cmp_lg_u64 vcc, exec
	s_cbranch_scc1 .LBB1828_162
; %bb.158:                              ;   in Loop: Header=BB1828_157 Depth=1
	v_lshl_add_u64 v[60:61], v[58:59], 4, s[68:69]
	;;#ASMSTART
	global_load_dwordx4 v[6:9], v[60:61] off sc1	
s_waitcnt vmcnt(0)
	;;#ASMEND
	s_nop 0
	v_and_b32_e32 v9, 0xff0000, v6
	v_and_b32_e32 v78, 0xff000000, v6
	;; [unrolled: 1-line block ×3, first 2 shown]
	v_or_b32_sdwa v6, v6, v9 dst_sel:DWORD dst_unused:UNUSED_PAD src0_sel:WORD_0 src1_sel:DWORD
	v_or3_b32 v7, 0, 0, v7
	v_or3_b32 v6, v6, v78, 0
	v_cmp_eq_u16_sdwa s[66:67], v8, v59 src0_sel:BYTE_0 src1_sel:DWORD
	s_and_saveexec_b64 s[54:55], s[66:67]
	s_cbranch_execz .LBB1828_156
; %bb.159:                              ;   in Loop: Header=BB1828_157 Depth=1
	s_mov_b64 s[66:67], 0
.LBB1828_160:                           ;   Parent Loop BB1828_157 Depth=1
                                        ; =>  This Inner Loop Header: Depth=2
	;;#ASMSTART
	global_load_dwordx4 v[6:9], v[60:61] off sc1	
s_waitcnt vmcnt(0)
	;;#ASMEND
	s_nop 0
	v_cmp_ne_u16_sdwa s[76:77], v8, v59 src0_sel:BYTE_0 src1_sel:DWORD
	s_or_b64 s[66:67], s[76:77], s[66:67]
	s_andn2_b64 exec, exec, s[66:67]
	s_cbranch_execnz .LBB1828_160
; %bb.161:                              ;   in Loop: Header=BB1828_157 Depth=1
	s_or_b64 exec, exec, s[66:67]
	v_and_b32_e32 v7, 0xff, v7
	s_branch .LBB1828_156
.LBB1828_162:                           ;   in Loop: Header=BB1828_157 Depth=1
                                        ; implicit-def: $vgpr7
                                        ; implicit-def: $vgpr6
                                        ; implicit-def: $vgpr8
	s_cbranch_execz .LBB1828_157
; %bb.163:
	s_and_saveexec_b64 s[54:55], s[50:51]
	s_cbranch_execz .LBB1828_165
; %bb.164:
	s_and_b32 s50, s3, 0xff
	s_cmp_eq_u32 s50, 0
	s_cselect_b64 vcc, -1, 0
	s_bitcmp1_b32 s3, 0
	s_mov_b32 s51, 0
	s_cselect_b64 s[64:65], -1, 0
	s_add_i32 s50, s2, 64
	s_lshl_b64 s[2:3], s[50:51], 4
	v_cndmask_b32_e32 v3, 0, v75, vcc
	s_add_u32 s2, s68, s2
	v_add_u32_e32 v2, v3, v2
	v_and_b32_e32 v3, 1, v73
	s_addc_u32 s3, s69, s3
	v_mov_b32_e32 v5, 0
	v_cndmask_b32_e64 v3, v3, 1, s[64:65]
	v_mov_b32_e32 v4, 2
	v_mov_b64_e32 v[6:7], s[2:3]
	;;#ASMSTART
	global_store_dwordx4 v[6:7], v[2:5] off sc1	
s_waitcnt vmcnt(0)
	;;#ASMEND
.LBB1828_165:
	s_or_b64 exec, exec, s[54:55]
	s_and_b64 exec, exec, s[48:49]
	s_cbranch_execz .LBB1828_167
; %bb.166:
	v_mov_b32_e32 v2, 0
	ds_write_b32 v2, v75
	ds_write_b8 v2, v73 offset:4
.LBB1828_167:
	s_or_b64 exec, exec, s[60:61]
	s_mov_b32 s2, 0
	v_mov_b32_e32 v2, 0
	s_mov_b32 s3, 1
	s_waitcnt lgkmcnt(0)
	s_barrier
	ds_read_b32 v3, v2
	v_cmp_gt_u64_e32 vcc, s[2:3], v[10:11]
	v_and_b32_e32 v5, 1, v11
	v_and_b32_e32 v6, 1, v63
	v_cndmask_b32_e32 v4, 0, v62, vcc
	v_cmp_eq_u32_e32 vcc, 1, v5
	v_cndmask_b32_e64 v4, v4, 0, s[48:49]
	s_nop 0
	v_cndmask_b32_e64 v5, v6, 1, vcc
	v_cndmask_b32_e64 v5, v5, v11, s[48:49]
	v_cmp_eq_u16_sdwa vcc, v5, v2 src0_sel:BYTE_0 src1_sel:DWORD
	s_waitcnt lgkmcnt(0)
	s_nop 0
	v_cndmask_b32_e32 v2, 0, v3, vcc
	v_add3_u32 v80, v4, v10, v2
	v_cndmask_b32_e64 v2, 0, v80, s[52:53]
	v_add_u32_e32 v58, v2, v12
	v_cndmask_b32_e64 v2, 0, v58, s[4:5]
	v_add_u32_e32 v59, v2, v14
	;; [unrolled: 2-line block ×22, first 2 shown]
	s_branch .LBB1828_188
.LBB1828_168:
                                        ; implicit-def: $vgpr78
                                        ; implicit-def: $vgpr77
                                        ; implicit-def: $vgpr76
                                        ; implicit-def: $vgpr75
                                        ; implicit-def: $vgpr74
                                        ; implicit-def: $vgpr73
                                        ; implicit-def: $vgpr72
                                        ; implicit-def: $vgpr71
                                        ; implicit-def: $vgpr70
                                        ; implicit-def: $vgpr69
                                        ; implicit-def: $vgpr68
                                        ; implicit-def: $vgpr67
                                        ; implicit-def: $vgpr66
                                        ; implicit-def: $vgpr65
                                        ; implicit-def: $vgpr64
                                        ; implicit-def: $vgpr63
                                        ; implicit-def: $vgpr62
                                        ; implicit-def: $vgpr61
                                        ; implicit-def: $vgpr60
                                        ; implicit-def: $vgpr59
                                        ; implicit-def: $vgpr58
                                        ; implicit-def: $vgpr80
                                        ; implicit-def: $vgpr79
	s_cbranch_execz .LBB1828_188
; %bb.169:
	s_cmp_lg_u64 s[74:75], 0
	s_cselect_b32 s5, s63, 0
	s_cselect_b32 s4, s62, 0
	s_cmp_lg_u64 s[4:5], 0
	s_cselect_b64 s[6:7], -1, 0
	v_cmp_eq_u32_e32 vcc, 0, v0
	s_mov_b32 s48, 0
	v_cmp_ne_u32_e64 s[2:3], 0, v0
	s_and_b64 s[8:9], vcc, s[6:7]
	s_and_saveexec_b64 s[6:7], s[8:9]
	s_cbranch_execz .LBB1828_171
; %bb.170:
	v_mov_b32_e32 v2, 0
	global_load_dword v4, v2, s[4:5]
	global_load_ubyte v5, v2, s[4:5] offset:4
	s_mov_b32 s49, 1
	v_and_b32_e32 v3, 1, v11
	v_cmp_gt_u64_e64 s[4:5], s[48:49], v[10:11]
	s_waitcnt vmcnt(0)
	v_and_b32_e32 v5, 1, v5
	v_cndmask_b32_e64 v4, 0, v4, s[4:5]
	v_cmp_eq_u64_e64 s[4:5], 0, v[2:3]
	v_add_u32_e32 v10, v4, v10
	s_nop 0
	v_cndmask_b32_e64 v11, 1, v5, s[4:5]
.LBB1828_171:
	s_or_b64 exec, exec, s[6:7]
	s_mov_b32 s49, 1
	v_cmp_gt_u64_e64 s[4:5], s[48:49], v[12:13]
	v_cmp_gt_u64_e64 s[6:7], s[48:49], v[14:15]
	v_cmp_gt_u64_e64 s[8:9], s[48:49], v[16:17]
	v_cndmask_b32_e64 v2, 0, v10, s[4:5]
	v_add_u32_e32 v58, v2, v12
	v_cndmask_b32_e64 v2, 0, v58, s[6:7]
	v_add_u32_e32 v59, v2, v14
	v_cndmask_b32_e64 v2, 0, v59, s[8:9]
	v_add_u32_e32 v60, v2, v16
	v_cmp_gt_u64_e64 s[10:11], s[48:49], v[18:19]
	v_cmp_gt_u64_e64 s[12:13], s[48:49], v[20:21]
	v_cmp_gt_u64_e64 s[14:15], s[48:49], v[22:23]
	v_cndmask_b32_e64 v2, 0, v60, s[10:11]
	v_add_u32_e32 v61, v2, v18
	v_cndmask_b32_e64 v2, 0, v61, s[12:13]
	v_add_u32_e32 v62, v2, v20
	v_cndmask_b32_e64 v2, 0, v62, s[14:15]
	v_add_u32_e32 v63, v2, v22
	;; [unrolled: 9-line block ×7, first 2 shown]
	v_cmp_gt_u64_e64 s[48:49], s[48:49], v[56:57]
	v_add_lshl_u32 v1, v1, v0, 3
	s_nop 0
	v_cndmask_b32_e64 v2, 0, v78, s[48:49]
	v_add_u32_e32 v79, v2, v56
	v_or3_b32 v2, v55, v51, v49
	v_or3_b32 v2, v2, v47, v45
	;; [unrolled: 1-line block ×10, first 2 shown]
	v_and_b32_e32 v2, 1, v2
	v_cmp_eq_u32_e64 s[50:51], 1, v2
	s_nop 1
	v_cndmask_b32_e64 v4, v11, 1, s[50:51]
	v_cmp_gt_u32_e64 s[50:51], 64, v0
	ds_write_b32 v1, v79
	ds_write_b8 v1, v4 offset:4
	s_waitcnt lgkmcnt(0)
	s_barrier
	s_and_saveexec_b64 s[52:53], s[50:51]
	s_cbranch_execz .LBB1828_183
; %bb.172:
	v_lshrrev_b32_e32 v1, 3, v0
	v_add_lshl_u32 v1, v1, v54, 3
	ds_read2_b32 v[6:7], v1 offset0:2 offset1:4
	ds_read_b64 v[2:3], v1
	ds_read_u8 v8, v1 offset:12
	ds_read_u8 v9, v1 offset:20
	ds_read_b32 v13, v1 offset:24
	ds_read_u8 v15, v1 offset:28
	v_mov_b32_e32 v17, 0
	s_waitcnt lgkmcnt(3)
	v_cmp_eq_u16_sdwa s[50:51], v8, v17 src0_sel:BYTE_0 src1_sel:DWORD
	v_and_b32_e32 v5, 1, v3
	s_nop 0
	v_cndmask_b32_e64 v19, 0, v2, s[50:51]
	v_add_u32_e32 v6, v19, v6
	s_waitcnt lgkmcnt(2)
	v_cmp_eq_u16_sdwa s[50:51], v9, v17 src0_sel:BYTE_0 src1_sel:DWORD
	s_nop 1
	v_cndmask_b32_e64 v6, 0, v6, s[50:51]
	v_add_u32_e32 v6, v6, v7
	s_waitcnt lgkmcnt(0)
	v_cmp_eq_u16_e64 s[50:51], 0, v15
	s_nop 1
	v_cndmask_b32_e64 v6, 0, v6, s[50:51]
	v_add_u32_e32 v7, v6, v13
	v_or_b32_e32 v6, v15, v9
	v_or_b32_e32 v6, v6, v8
	v_and_b32_e32 v6, 1, v6
	v_cmp_eq_u32_e64 s[50:51], 1, v6
	v_mbcnt_lo_u32_b32 v8, -1, 0
	v_and_b32_e32 v6, 0xffffff00, v3
	v_cndmask_b32_e64 v9, v5, 1, s[50:51]
	v_mbcnt_hi_u32_b32 v8, -1, v8
	v_and_b32_e32 v15, 15, v8
	v_or_b32_sdwa v13, v6, v9 dst_sel:DWORD dst_unused:UNUSED_PAD src0_sel:DWORD src1_sel:WORD_0
	v_mov_b32_dpp v17, v7 row_shr:1 row_mask:0xf bank_mask:0xf
	v_cmp_ne_u32_e64 s[50:51], 0, v15
	v_mov_b32_dpp v19, v13 row_shr:1 row_mask:0xf bank_mask:0xf
	s_and_saveexec_b64 s[54:55], s[50:51]
; %bb.173:
	v_and_b32_e32 v13, 1, v9
	v_and_b32_e32 v19, 1, v19
	v_cmp_eq_u32_e64 s[50:51], 1, v13
	s_nop 1
	v_cndmask_b32_e64 v19, v19, 1, s[50:51]
	v_cmp_eq_u16_e64 s[50:51], 0, v9
	v_or_b32_sdwa v13, v6, v19 dst_sel:DWORD dst_unused:UNUSED_PAD src0_sel:DWORD src1_sel:WORD_0
	s_nop 0
	v_cndmask_b32_e64 v9, 0, v17, s[50:51]
	v_add_u32_e32 v7, v9, v7
	v_mov_b32_e32 v9, v19
; %bb.174:
	s_or_b64 exec, exec, s[54:55]
	v_mov_b32_dpp v17, v7 row_shr:2 row_mask:0xf bank_mask:0xf
	v_mov_b32_dpp v19, v13 row_shr:2 row_mask:0xf bank_mask:0xf
	v_cmp_lt_u32_e64 s[50:51], 1, v15
	s_and_saveexec_b64 s[54:55], s[50:51]
; %bb.175:
	v_and_b32_e32 v13, 1, v9
	v_and_b32_e32 v19, 1, v19
	v_cmp_eq_u32_e64 s[50:51], 1, v13
	s_nop 1
	v_cndmask_b32_e64 v19, v19, 1, s[50:51]
	v_cmp_eq_u16_e64 s[50:51], 0, v9
	v_or_b32_sdwa v13, v6, v19 dst_sel:DWORD dst_unused:UNUSED_PAD src0_sel:DWORD src1_sel:WORD_0
	s_nop 0
	v_cndmask_b32_e64 v9, 0, v17, s[50:51]
	v_add_u32_e32 v7, v9, v7
	v_mov_b32_e32 v9, v19
; %bb.176:
	s_or_b64 exec, exec, s[54:55]
	v_mov_b32_dpp v17, v7 row_shr:4 row_mask:0xf bank_mask:0xf
	v_mov_b32_dpp v19, v13 row_shr:4 row_mask:0xf bank_mask:0xf
	v_cmp_lt_u32_e64 s[50:51], 3, v15
	;; [unrolled: 18-line block ×3, first 2 shown]
	s_and_saveexec_b64 s[54:55], s[50:51]
; %bb.179:
	v_and_b32_e32 v13, 1, v9
	v_and_b32_e32 v15, 1, v19
	v_cmp_eq_u32_e64 s[50:51], 1, v13
	s_nop 1
	v_cndmask_b32_e64 v15, v15, 1, s[50:51]
	v_cmp_eq_u16_e64 s[50:51], 0, v9
	v_or_b32_sdwa v13, v6, v15 dst_sel:DWORD dst_unused:UNUSED_PAD src0_sel:DWORD src1_sel:WORD_0
	s_nop 0
	v_cndmask_b32_e64 v9, 0, v17, s[50:51]
	v_add_u32_e32 v7, v9, v7
	v_mov_b32_e32 v9, v15
; %bb.180:
	s_or_b64 exec, exec, s[54:55]
	v_and_b32_e32 v19, 16, v8
	v_mov_b32_dpp v15, v7 row_bcast:15 row_mask:0xf bank_mask:0xf
	v_mov_b32_dpp v17, v13 row_bcast:15 row_mask:0xf bank_mask:0xf
	v_cmp_ne_u32_e64 s[50:51], 0, v19
	s_and_saveexec_b64 s[54:55], s[50:51]
; %bb.181:
	v_and_b32_e32 v13, 1, v9
	v_and_b32_e32 v17, 1, v17
	v_cmp_eq_u32_e64 s[50:51], 1, v13
	s_nop 1
	v_cndmask_b32_e64 v17, v17, 1, s[50:51]
	v_cmp_eq_u16_e64 s[50:51], 0, v9
	v_or_b32_sdwa v13, v6, v17 dst_sel:DWORD dst_unused:UNUSED_PAD src0_sel:DWORD src1_sel:WORD_0
	s_nop 0
	v_cndmask_b32_e64 v9, 0, v15, s[50:51]
	v_add_u32_e32 v7, v9, v7
	v_mov_b32_e32 v9, v17
; %bb.182:
	s_or_b64 exec, exec, s[54:55]
	v_mov_b32_dpp v13, v13 row_bcast:31 row_mask:0xf bank_mask:0xf
	v_and_b32_e32 v17, 1, v9
	v_and_b32_e32 v13, 1, v13
	v_cmp_eq_u32_e64 s[50:51], 1, v17
	v_mov_b32_e32 v17, 0
	v_cmp_eq_u16_sdwa s[54:55], v9, v17 src0_sel:BYTE_0 src1_sel:DWORD
	v_cndmask_b32_e64 v13, v13, 1, s[50:51]
	v_cmp_lt_u32_e64 s[50:51], 31, v8
	v_mov_b32_dpp v15, v7 row_bcast:31 row_mask:0xf bank_mask:0xf
	s_movk_i32 s60, 0xff
	v_cndmask_b32_e64 v9, v9, v13, s[50:51]
	s_and_b64 s[50:51], s[50:51], s[54:55]
	v_cndmask_b32_e64 v13, 0, v15, s[50:51]
	v_add_u32_e32 v7, v13, v7
	v_add_u32_e32 v13, -1, v8
	v_and_b32_e32 v15, 64, v8
	v_cmp_lt_i32_e64 s[50:51], v13, v15
	v_and_or_b32 v6, v9, s60, v6
	s_nop 0
	v_cndmask_b32_e64 v8, v13, v8, s[50:51]
	v_lshlrev_b32_e32 v8, 2, v8
	ds_bpermute_b32 v7, v8, v7
	ds_bpermute_b32 v6, v8, v6
	v_cmp_eq_u16_sdwa s[50:51], v3, v17 src0_sel:BYTE_0 src1_sel:DWORD
	; wave barrier
	s_waitcnt lgkmcnt(1)
	s_nop 0
	v_cndmask_b32_e64 v3, 0, v7, s[50:51]
	v_add_u32_e32 v2, v3, v2
	s_waitcnt lgkmcnt(0)
	v_and_b32_e32 v3, 1, v6
	v_cmp_eq_u32_e64 s[50:51], 1, v5
	v_cndmask_b32_e32 v5, v2, v79, vcc
	s_nop 0
	v_cndmask_b32_e64 v3, v3, 1, s[50:51]
	v_cndmask_b32_e32 v4, v3, v4, vcc
	ds_write_b32 v1, v5
	ds_write_b8 v1, v4 offset:4
	; wave barrier
	ds_read_u8 v6, v1 offset:12
	ds_read2_b32 v[2:3], v1 offset0:2 offset1:4
	ds_read_u8 v7, v1 offset:20
	ds_read_b32 v8, v1 offset:24
	ds_read_u8 v9, v1 offset:28
	s_waitcnt lgkmcnt(4)
	v_cmp_eq_u16_e64 s[50:51], 0, v6
	s_nop 1
	v_cndmask_b32_e64 v5, 0, v5, s[50:51]
	s_waitcnt lgkmcnt(3)
	v_add_u32_e32 v2, v5, v2
	v_and_b32_e32 v5, 1, v6
	v_cmp_eq_u32_e64 s[50:51], 1, v5
	s_nop 1
	v_cndmask_b32_e64 v4, v4, 1, s[50:51]
	s_waitcnt lgkmcnt(2)
	v_cmp_eq_u16_e64 s[50:51], 0, v7
	ds_write_b8 v1, v4 offset:12
	s_nop 0
	v_cndmask_b32_e64 v5, 0, v2, s[50:51]
	v_add_u32_e32 v3, v5, v3
	v_and_b32_e32 v5, 1, v7
	v_cmp_eq_u32_e64 s[50:51], 1, v5
	s_nop 1
	v_cndmask_b32_e64 v4, v4, 1, s[50:51]
	s_waitcnt lgkmcnt(1)
	v_cmp_eq_u16_e64 s[50:51], 0, v9
	ds_write2_b32 v1, v2, v3 offset0:2 offset1:4
	ds_write_b8 v1, v4 offset:20
	v_cndmask_b32_e64 v2, 0, v3, s[50:51]
	v_and_b32_e32 v3, 1, v9
	v_add_u32_e32 v2, v2, v8
	v_cmp_eq_u32_e64 s[50:51], 1, v3
	s_nop 1
	v_cndmask_b32_e64 v3, v4, 1, s[50:51]
	ds_write_b32 v1, v2 offset:24
	ds_write_b8 v1, v3 offset:28
.LBB1828_183:
	s_or_b64 exec, exec, s[52:53]
	v_mov_b32_e32 v1, v79
	s_waitcnt lgkmcnt(0)
	s_barrier
	s_and_saveexec_b64 s[50:51], s[2:3]
	s_cbranch_execnz .LBB1828_261
; %bb.184:
	s_or_b64 exec, exec, s[50:51]
	s_and_saveexec_b64 s[50:51], s[2:3]
	s_cbranch_execnz .LBB1828_262
.LBB1828_185:
	s_or_b64 exec, exec, s[50:51]
	s_and_saveexec_b64 s[2:3], vcc
	s_cbranch_execz .LBB1828_187
.LBB1828_186:
	v_mov_b32_e32 v5, 0
	ds_read_b32 v2, v5 offset:2096
	ds_read_u8 v3, v5 offset:2100
	s_add_u32 s4, s68, 0x400
	s_addc_u32 s5, s69, 0
	v_mov_b32_e32 v4, 2
	v_mov_b64_e32 v[6:7], s[4:5]
	s_waitcnt lgkmcnt(0)
	;;#ASMSTART
	global_store_dwordx4 v[6:7], v[2:5] off sc1	
s_waitcnt vmcnt(0)
	;;#ASMEND
.LBB1828_187:
	s_or_b64 exec, exec, s[2:3]
	v_mov_b32_e32 v80, v10
.LBB1828_188:
	s_add_u32 s2, s58, s72
	s_addc_u32 s3, s59, s73
	s_add_u32 s2, s2, s56
	s_addc_u32 s3, s3, s57
	s_and_b64 vcc, exec, s[0:1]
	s_cbranch_vccz .LBB1828_234
; %bb.189:
	s_movk_i32 s0, 0x5c
	v_mul_i32_i24_e32 v26, 0xffffffa8, v0
	s_waitcnt lgkmcnt(0)
	v_mul_u32_u24_e32 v1, 0x5c, v0
	v_mad_u32_u24 v2, v0, s0, v26
	s_barrier
	ds_write2_b32 v1, v80, v58 offset1:1
	ds_write2_b32 v1, v59, v60 offset0:2 offset1:3
	ds_write2_b32 v1, v61, v62 offset0:4 offset1:5
	;; [unrolled: 1-line block ×10, first 2 shown]
	ds_write_b32 v1, v79 offset:88
	s_waitcnt lgkmcnt(0)
	s_barrier
	ds_read2st64_b32 v[24:25], v2 offset0:4 offset1:8
	ds_read2st64_b32 v[22:23], v2 offset0:12 offset1:16
	;; [unrolled: 1-line block ×11, first 2 shown]
	s_add_i32 s33, s33, s70
	v_mov_b32_e32 v55, 0
	v_lshl_add_u64 v[4:5], s[2:3], 0, v[54:55]
	v_cmp_gt_u32_e32 vcc, s33, v0
	s_and_saveexec_b64 s[0:1], vcc
	s_cbranch_execz .LBB1828_191
; %bb.190:
	v_add_u32_e32 v1, v1, v26
	ds_read_b32 v1, v1
	s_waitcnt lgkmcnt(0)
	flat_store_dword v[4:5], v1
.LBB1828_191:
	s_or_b64 exec, exec, s[0:1]
	v_or_b32_e32 v1, 0x100, v0
	v_cmp_gt_u32_e32 vcc, s33, v1
	s_and_saveexec_b64 s[0:1], vcc
	s_cbranch_execz .LBB1828_193
; %bb.192:
	s_waitcnt lgkmcnt(0)
	flat_store_dword v[4:5], v24 offset:1024
.LBB1828_193:
	s_or_b64 exec, exec, s[0:1]
	v_or_b32_e32 v1, 0x200, v0
	v_cmp_gt_u32_e32 vcc, s33, v1
	s_and_saveexec_b64 s[0:1], vcc
	s_cbranch_execz .LBB1828_195
; %bb.194:
	s_waitcnt lgkmcnt(0)
	flat_store_dword v[4:5], v25 offset:2048
.LBB1828_195:
	;; [unrolled: 9-line block ×3, first 2 shown]
	s_or_b64 exec, exec, s[0:1]
	v_or_b32_e32 v1, 0x400, v0
	v_cmp_gt_u32_e32 vcc, s33, v1
	s_and_saveexec_b64 s[0:1], vcc
	s_cbranch_execz .LBB1828_199
; %bb.198:
	s_waitcnt lgkmcnt(0)
	v_add_co_u32_e32 v24, vcc, 0x1000, v4
	s_nop 1
	v_addc_co_u32_e32 v25, vcc, 0, v5, vcc
	flat_store_dword v[24:25], v23
.LBB1828_199:
	s_or_b64 exec, exec, s[0:1]
	v_or_b32_e32 v1, 0x500, v0
	v_cmp_gt_u32_e32 vcc, s33, v1
	s_and_saveexec_b64 s[0:1], vcc
	s_cbranch_execz .LBB1828_201
; %bb.200:
	s_waitcnt lgkmcnt(0)
	v_add_co_u32_e32 v22, vcc, 0x1000, v4
	s_nop 1
	v_addc_co_u32_e32 v23, vcc, 0, v5, vcc
	flat_store_dword v[22:23], v20 offset:1024
.LBB1828_201:
	s_or_b64 exec, exec, s[0:1]
	v_or_b32_e32 v1, 0x600, v0
	v_cmp_gt_u32_e32 vcc, s33, v1
	s_and_saveexec_b64 s[0:1], vcc
	s_cbranch_execz .LBB1828_203
; %bb.202:
	s_waitcnt lgkmcnt(0)
	v_add_co_u32_e32 v22, vcc, 0x1000, v4
	s_nop 1
	v_addc_co_u32_e32 v23, vcc, 0, v5, vcc
	flat_store_dword v[22:23], v21 offset:2048
.LBB1828_203:
	s_or_b64 exec, exec, s[0:1]
	v_or_b32_e32 v1, 0x700, v0
	v_cmp_gt_u32_e32 vcc, s33, v1
	s_and_saveexec_b64 s[0:1], vcc
	s_cbranch_execz .LBB1828_205
; %bb.204:
	s_waitcnt lgkmcnt(0)
	v_add_co_u32_e32 v20, vcc, 0x1000, v4
	s_nop 1
	v_addc_co_u32_e32 v21, vcc, 0, v5, vcc
	flat_store_dword v[20:21], v18 offset:3072
.LBB1828_205:
	s_or_b64 exec, exec, s[0:1]
	v_or_b32_e32 v1, 0x800, v0
	v_cmp_gt_u32_e32 vcc, s33, v1
	s_and_saveexec_b64 s[0:1], vcc
	s_cbranch_execz .LBB1828_207
; %bb.206:
	s_waitcnt lgkmcnt(0)
	v_add_co_u32_e32 v20, vcc, 0x2000, v4
	s_nop 1
	v_addc_co_u32_e32 v21, vcc, 0, v5, vcc
	flat_store_dword v[20:21], v19
.LBB1828_207:
	s_or_b64 exec, exec, s[0:1]
	v_or_b32_e32 v1, 0x900, v0
	v_cmp_gt_u32_e32 vcc, s33, v1
	s_and_saveexec_b64 s[0:1], vcc
	s_cbranch_execz .LBB1828_209
; %bb.208:
	s_waitcnt lgkmcnt(0)
	v_add_co_u32_e32 v18, vcc, 0x2000, v4
	s_nop 1
	v_addc_co_u32_e32 v19, vcc, 0, v5, vcc
	flat_store_dword v[18:19], v16 offset:1024
.LBB1828_209:
	s_or_b64 exec, exec, s[0:1]
	v_or_b32_e32 v1, 0xa00, v0
	v_cmp_gt_u32_e32 vcc, s33, v1
	s_and_saveexec_b64 s[0:1], vcc
	s_cbranch_execz .LBB1828_211
; %bb.210:
	s_waitcnt lgkmcnt(0)
	v_add_co_u32_e32 v18, vcc, 0x2000, v4
	s_nop 1
	v_addc_co_u32_e32 v19, vcc, 0, v5, vcc
	flat_store_dword v[18:19], v17 offset:2048
.LBB1828_211:
	s_or_b64 exec, exec, s[0:1]
	v_or_b32_e32 v1, 0xb00, v0
	v_cmp_gt_u32_e32 vcc, s33, v1
	s_and_saveexec_b64 s[0:1], vcc
	s_cbranch_execz .LBB1828_213
; %bb.212:
	s_waitcnt lgkmcnt(0)
	v_add_co_u32_e32 v16, vcc, 0x2000, v4
	s_nop 1
	v_addc_co_u32_e32 v17, vcc, 0, v5, vcc
	flat_store_dword v[16:17], v14 offset:3072
.LBB1828_213:
	;; [unrolled: 48-line block ×4, first 2 shown]
	s_or_b64 exec, exec, s[0:1]
	v_or_b32_e32 v1, 0x1400, v0
	v_cmp_gt_u32_e32 vcc, s33, v1
	s_and_saveexec_b64 s[0:1], vcc
	s_cbranch_execz .LBB1828_231
; %bb.230:
	s_waitcnt lgkmcnt(0)
	v_add_co_u32_e32 v8, vcc, 0x5000, v4
	s_nop 1
	v_addc_co_u32_e32 v9, vcc, 0, v5, vcc
	flat_store_dword v[8:9], v7
.LBB1828_231:
	s_or_b64 exec, exec, s[0:1]
	v_or_b32_e32 v1, 0x1500, v0
	v_cmp_gt_u32_e32 vcc, s33, v1
	s_and_saveexec_b64 s[0:1], vcc
	s_cbranch_execz .LBB1828_233
; %bb.232:
	v_add_co_u32_e32 v4, vcc, 0x5000, v4
	s_nop 1
	v_addc_co_u32_e32 v5, vcc, 0, v5, vcc
	s_waitcnt lgkmcnt(0)
	flat_store_dword v[4:5], v2 offset:1024
.LBB1828_233:
	s_or_b64 exec, exec, s[0:1]
	s_waitcnt lgkmcnt(0)
	v_or_b32_e32 v2, 0x1600, v0
	v_mov_b32_e32 v1, v55
	v_cmp_gt_u32_e64 s[0:1], s33, v2
	s_branch .LBB1828_236
.LBB1828_234:
	s_mov_b64 s[0:1], 0
                                        ; implicit-def: $vgpr3
	s_cbranch_execz .LBB1828_236
; %bb.235:
	s_waitcnt lgkmcnt(0)
	v_mul_u32_u24_e32 v1, 0x5c, v0
	s_barrier
	s_movk_i32 s4, 0x5c
	ds_write2_b32 v1, v80, v58 offset1:1
	ds_write2_b32 v1, v59, v60 offset0:2 offset1:3
	ds_write2_b32 v1, v61, v62 offset0:4 offset1:5
	;; [unrolled: 1-line block ×10, first 2 shown]
	ds_write_b32 v1, v79 offset:88
	v_mov_b32_e32 v1, 0
	v_mul_i32_i24_e32 v2, 0xffffffa8, v0
	v_mad_u32_u24 v2, v0, s4, v2
	v_mov_b32_e32 v55, v1
	s_waitcnt lgkmcnt(0)
	s_barrier
	ds_read2st64_b32 v[4:5], v2 offset1:4
	ds_read2st64_b32 v[6:7], v2 offset0:8 offset1:12
	ds_read2st64_b32 v[8:9], v2 offset0:16 offset1:20
	;; [unrolled: 1-line block ×10, first 2 shown]
	ds_read_b32 v3, v2 offset:22528
	v_lshl_add_u64 v[26:27], s[2:3], 0, v[54:55]
	s_movk_i32 s4, 0x1000
	s_waitcnt lgkmcnt(0)
	flat_store_dword v[26:27], v4
	flat_store_dword v[26:27], v5 offset:1024
	flat_store_dword v[26:27], v6 offset:2048
	;; [unrolled: 1-line block ×3, first 2 shown]
	v_add_co_u32_e32 v4, vcc, s4, v26
	s_movk_i32 s4, 0x2000
	s_nop 0
	v_addc_co_u32_e32 v5, vcc, 0, v27, vcc
	flat_store_dword v[4:5], v8
	flat_store_dword v[4:5], v9 offset:1024
	flat_store_dword v[4:5], v10 offset:2048
	flat_store_dword v[4:5], v11 offset:3072
	v_add_co_u32_e32 v4, vcc, s4, v26
	s_movk_i32 s4, 0x3000
	s_nop 0
	v_addc_co_u32_e32 v5, vcc, 0, v27, vcc
	flat_store_dword v[4:5], v12
	flat_store_dword v[4:5], v13 offset:1024
	flat_store_dword v[4:5], v14 offset:2048
	;; [unrolled: 1-line block ×3, first 2 shown]
	v_add_co_u32_e32 v4, vcc, s4, v26
	s_or_b64 s[0:1], s[0:1], exec
	s_nop 0
	v_addc_co_u32_e32 v5, vcc, 0, v27, vcc
	flat_store_dword v[4:5], v16
	flat_store_dword v[4:5], v17 offset:1024
	flat_store_dword v[4:5], v18 offset:2048
	flat_store_dword v[4:5], v19 offset:3072
	v_add_co_u32_e32 v4, vcc, 0x4000, v26
	s_nop 1
	v_addc_co_u32_e32 v5, vcc, 0, v27, vcc
	flat_store_dword v[4:5], v20
	flat_store_dword v[4:5], v21 offset:1024
	flat_store_dword v[4:5], v22 offset:2048
	;; [unrolled: 1-line block ×3, first 2 shown]
	v_add_co_u32_e32 v4, vcc, 0x5000, v26
	s_nop 1
	v_addc_co_u32_e32 v5, vcc, 0, v27, vcc
	flat_store_dword v[4:5], v24
	flat_store_dword v[4:5], v25 offset:1024
.LBB1828_236:
	s_and_saveexec_b64 s[4:5], s[0:1]
	s_cbranch_execnz .LBB1828_238
; %bb.237:
	s_endpgm
.LBB1828_238:
	s_waitcnt lgkmcnt(0)
	v_lshl_add_u64 v[0:1], v[0:1], 2, s[2:3]
	v_add_co_u32_e32 v0, vcc, 0x5000, v0
	s_nop 1
	v_addc_co_u32_e32 v1, vcc, 0, v1, vcc
	flat_store_dword v[0:1], v3 offset:2048
	s_endpgm
.LBB1828_239:
	v_lshl_add_u64 v[48:49], s[52:53], 0, v[44:45]
	flat_load_dword v48, v[48:49]
	s_or_b64 exec, exec, s[60:61]
                                        ; implicit-def: $vgpr49
	s_and_saveexec_b64 s[50:51], s[4:5]
	s_cbranch_execz .LBB1828_55
.LBB1828_240:
	v_mov_b32_e32 v45, 0
	v_lshl_add_u64 v[50:51], s[52:53], 0, v[44:45]
	flat_load_dword v49, v[50:51] offset:1024
	s_or_b64 exec, exec, s[50:51]
                                        ; implicit-def: $vgpr50
	s_and_saveexec_b64 s[4:5], s[6:7]
	s_cbranch_execz .LBB1828_56
.LBB1828_241:
	v_mov_b32_e32 v45, 0
	v_lshl_add_u64 v[50:51], s[52:53], 0, v[44:45]
	flat_load_dword v50, v[50:51] offset:2048
	s_or_b64 exec, exec, s[4:5]
                                        ; implicit-def: $vgpr45
	s_and_saveexec_b64 s[4:5], s[8:9]
	s_cbranch_execz .LBB1828_57
.LBB1828_242:
	v_mov_b32_e32 v45, 0
	v_lshl_add_u64 v[52:53], s[52:53], 0, v[44:45]
	flat_load_dword v45, v[52:53] offset:3072
	s_or_b64 exec, exec, s[4:5]
                                        ; implicit-def: $vgpr3
	s_and_saveexec_b64 s[4:5], s[10:11]
	s_cbranch_execz .LBB1828_58
.LBB1828_243:
	v_mov_b32_e32 v3, 0
	v_lshl_add_u64 v[2:3], s[52:53], 0, v[2:3]
	flat_load_dword v3, v[2:3]
	s_or_b64 exec, exec, s[4:5]
                                        ; implicit-def: $vgpr2
	s_and_saveexec_b64 s[4:5], s[12:13]
	s_cbranch_execz .LBB1828_59
.LBB1828_244:
	v_mov_b32_e32 v11, 0
	v_lshl_add_u64 v[10:11], s[52:53], 0, v[10:11]
	flat_load_dword v2, v[10:11]
	s_or_b64 exec, exec, s[4:5]
                                        ; implicit-def: $vgpr10
	s_and_saveexec_b64 s[4:5], s[14:15]
	s_cbranch_execz .LBB1828_60
.LBB1828_245:
	v_mov_b32_e32 v13, 0
	v_lshl_add_u64 v[10:11], s[52:53], 0, v[12:13]
	flat_load_dword v10, v[10:11]
	s_or_b64 exec, exec, s[4:5]
                                        ; implicit-def: $vgpr11
	s_and_saveexec_b64 s[4:5], s[16:17]
	s_cbranch_execz .LBB1828_61
.LBB1828_246:
	v_mov_b32_e32 v15, 0
	v_lshl_add_u64 v[12:13], s[52:53], 0, v[14:15]
	flat_load_dword v11, v[12:13]
	s_or_b64 exec, exec, s[4:5]
                                        ; implicit-def: $vgpr12
	s_and_saveexec_b64 s[4:5], s[18:19]
	s_cbranch_execz .LBB1828_62
.LBB1828_247:
	v_mov_b32_e32 v17, 0
	v_lshl_add_u64 v[12:13], s[52:53], 0, v[16:17]
	flat_load_dword v12, v[12:13]
	s_or_b64 exec, exec, s[4:5]
                                        ; implicit-def: $vgpr13
	s_and_saveexec_b64 s[4:5], s[20:21]
	s_cbranch_execz .LBB1828_63
.LBB1828_248:
	v_mov_b32_e32 v19, 0
	v_lshl_add_u64 v[14:15], s[52:53], 0, v[18:19]
	flat_load_dword v13, v[14:15]
	s_or_b64 exec, exec, s[4:5]
                                        ; implicit-def: $vgpr14
	s_and_saveexec_b64 s[4:5], s[22:23]
	s_cbranch_execz .LBB1828_64
.LBB1828_249:
	v_mov_b32_e32 v21, 0
	v_lshl_add_u64 v[14:15], s[52:53], 0, v[20:21]
	flat_load_dword v14, v[14:15]
	s_or_b64 exec, exec, s[4:5]
                                        ; implicit-def: $vgpr15
	s_and_saveexec_b64 s[4:5], s[24:25]
	s_cbranch_execz .LBB1828_65
.LBB1828_250:
	v_mov_b32_e32 v23, 0
	v_lshl_add_u64 v[16:17], s[52:53], 0, v[22:23]
	flat_load_dword v15, v[16:17]
	s_or_b64 exec, exec, s[4:5]
                                        ; implicit-def: $vgpr16
	s_and_saveexec_b64 s[4:5], s[26:27]
	s_cbranch_execz .LBB1828_66
.LBB1828_251:
	v_mov_b32_e32 v25, 0
	v_lshl_add_u64 v[16:17], s[52:53], 0, v[24:25]
	flat_load_dword v16, v[16:17]
	s_or_b64 exec, exec, s[4:5]
                                        ; implicit-def: $vgpr17
	s_and_saveexec_b64 s[4:5], s[28:29]
	s_cbranch_execz .LBB1828_67
.LBB1828_252:
	v_mov_b32_e32 v27, 0
	v_lshl_add_u64 v[18:19], s[52:53], 0, v[26:27]
	flat_load_dword v17, v[18:19]
	s_or_b64 exec, exec, s[4:5]
                                        ; implicit-def: $vgpr18
	s_and_saveexec_b64 s[4:5], s[30:31]
	s_cbranch_execz .LBB1828_68
.LBB1828_253:
	v_mov_b32_e32 v29, 0
	v_lshl_add_u64 v[18:19], s[52:53], 0, v[28:29]
	flat_load_dword v18, v[18:19]
	s_or_b64 exec, exec, s[4:5]
                                        ; implicit-def: $vgpr19
	s_and_saveexec_b64 s[4:5], s[34:35]
	s_cbranch_execz .LBB1828_69
.LBB1828_254:
	v_mov_b32_e32 v31, 0
	v_lshl_add_u64 v[20:21], s[52:53], 0, v[30:31]
	flat_load_dword v19, v[20:21]
	s_or_b64 exec, exec, s[4:5]
                                        ; implicit-def: $vgpr20
	s_and_saveexec_b64 s[4:5], s[36:37]
	s_cbranch_execz .LBB1828_70
.LBB1828_255:
	v_mov_b32_e32 v33, 0
	v_lshl_add_u64 v[20:21], s[52:53], 0, v[32:33]
	flat_load_dword v20, v[20:21]
	s_or_b64 exec, exec, s[4:5]
                                        ; implicit-def: $vgpr21
	s_and_saveexec_b64 s[4:5], s[38:39]
	s_cbranch_execz .LBB1828_71
.LBB1828_256:
	v_mov_b32_e32 v35, 0
	v_lshl_add_u64 v[22:23], s[52:53], 0, v[34:35]
	flat_load_dword v21, v[22:23]
	s_or_b64 exec, exec, s[4:5]
                                        ; implicit-def: $vgpr22
	s_and_saveexec_b64 s[4:5], s[40:41]
	s_cbranch_execz .LBB1828_72
.LBB1828_257:
	v_mov_b32_e32 v37, 0
	v_lshl_add_u64 v[22:23], s[52:53], 0, v[36:37]
	flat_load_dword v22, v[22:23]
	s_or_b64 exec, exec, s[4:5]
                                        ; implicit-def: $vgpr23
	s_and_saveexec_b64 s[4:5], s[42:43]
	s_cbranch_execz .LBB1828_73
.LBB1828_258:
	v_mov_b32_e32 v39, 0
	v_lshl_add_u64 v[24:25], s[52:53], 0, v[38:39]
	flat_load_dword v23, v[24:25]
	s_or_b64 exec, exec, s[4:5]
                                        ; implicit-def: $vgpr24
	s_and_saveexec_b64 s[4:5], s[44:45]
	s_cbranch_execz .LBB1828_74
.LBB1828_259:
	v_mov_b32_e32 v41, 0
	v_lshl_add_u64 v[24:25], s[52:53], 0, v[40:41]
	flat_load_dword v24, v[24:25]
	s_or_b64 exec, exec, s[4:5]
                                        ; implicit-def: $vgpr25
	s_and_saveexec_b64 s[4:5], s[46:47]
	s_cbranch_execz .LBB1828_75
.LBB1828_260:
	v_mov_b32_e32 v43, 0
	v_lshl_add_u64 v[26:27], s[52:53], 0, v[42:43]
	flat_load_dword v25, v[26:27]
	s_or_b64 exec, exec, s[4:5]
                                        ; implicit-def: $vgpr26
	s_and_saveexec_b64 s[4:5], s[48:49]
	s_cbranch_execnz .LBB1828_76
	s_branch .LBB1828_77
.LBB1828_261:
	v_add_u32_e32 v1, -1, v0
	v_lshrrev_b32_e32 v2, 5, v1
	v_add_lshl_u32 v1, v2, v1, 3
	ds_read_b32 v1, v1
	s_or_b64 exec, exec, s[50:51]
	s_and_saveexec_b64 s[50:51], s[2:3]
	s_cbranch_execz .LBB1828_185
.LBB1828_262:
	v_and_b32_e32 v3, 0xff, v11
	v_mov_b32_e32 v2, 0
	v_cmp_eq_u64_e64 s[2:3], 0, v[2:3]
	;;#ASMSTART
	;;#ASMEND
	s_waitcnt lgkmcnt(0)
	s_nop 0
	v_cndmask_b32_e64 v1, 0, v1, s[2:3]
	v_add_u32_e32 v10, v1, v10
	v_cndmask_b32_e64 v1, 0, v10, s[4:5]
	v_add_u32_e32 v58, v1, v12
	;; [unrolled: 2-line block ×23, first 2 shown]
	s_or_b64 exec, exec, s[50:51]
	s_and_saveexec_b64 s[2:3], vcc
	s_cbranch_execnz .LBB1828_186
	s_branch .LBB1828_187
.LBB1828_263:
                                        ; implicit-def: $sgpr60_sgpr61
	s_branch .LBB1828_50
.LBB1828_264:
                                        ; implicit-def: $sgpr4_sgpr5
	s_branch .LBB1828_126
	.section	.rodata,"a",@progbits
	.p2align	6, 0x0
	.amdhsa_kernel _ZN7rocprim17ROCPRIM_400000_NS6detail17trampoline_kernelINS0_14default_configENS1_27scan_by_key_config_selectorIjjEEZZNS1_16scan_by_key_implILNS1_25lookback_scan_determinismE0ELb0ES3_N6thrust23THRUST_200600_302600_NS6detail15normal_iteratorINS9_10device_ptrIjEEEESE_SE_jNS9_4plusIvEENS9_8equal_toIvEEjEE10hipError_tPvRmT2_T3_T4_T5_mT6_T7_P12ihipStream_tbENKUlT_T0_E_clISt17integral_constantIbLb0EESZ_EEDaSU_SV_EUlSU_E_NS1_11comp_targetILNS1_3genE5ELNS1_11target_archE942ELNS1_3gpuE9ELNS1_3repE0EEENS1_30default_config_static_selectorELNS0_4arch9wavefront6targetE1EEEvT1_
		.amdhsa_group_segment_fixed_size 25600
		.amdhsa_private_segment_fixed_size 0
		.amdhsa_kernarg_size 112
		.amdhsa_user_sgpr_count 2
		.amdhsa_user_sgpr_dispatch_ptr 0
		.amdhsa_user_sgpr_queue_ptr 0
		.amdhsa_user_sgpr_kernarg_segment_ptr 1
		.amdhsa_user_sgpr_dispatch_id 0
		.amdhsa_user_sgpr_kernarg_preload_length 0
		.amdhsa_user_sgpr_kernarg_preload_offset 0
		.amdhsa_user_sgpr_private_segment_size 0
		.amdhsa_uses_dynamic_stack 0
		.amdhsa_enable_private_segment 0
		.amdhsa_system_sgpr_workgroup_id_x 1
		.amdhsa_system_sgpr_workgroup_id_y 0
		.amdhsa_system_sgpr_workgroup_id_z 0
		.amdhsa_system_sgpr_workgroup_info 0
		.amdhsa_system_vgpr_workitem_id 0
		.amdhsa_next_free_vgpr 81
		.amdhsa_next_free_sgpr 82
		.amdhsa_accum_offset 84
		.amdhsa_reserve_vcc 1
		.amdhsa_float_round_mode_32 0
		.amdhsa_float_round_mode_16_64 0
		.amdhsa_float_denorm_mode_32 3
		.amdhsa_float_denorm_mode_16_64 3
		.amdhsa_dx10_clamp 1
		.amdhsa_ieee_mode 1
		.amdhsa_fp16_overflow 0
		.amdhsa_tg_split 0
		.amdhsa_exception_fp_ieee_invalid_op 0
		.amdhsa_exception_fp_denorm_src 0
		.amdhsa_exception_fp_ieee_div_zero 0
		.amdhsa_exception_fp_ieee_overflow 0
		.amdhsa_exception_fp_ieee_underflow 0
		.amdhsa_exception_fp_ieee_inexact 0
		.amdhsa_exception_int_div_zero 0
	.end_amdhsa_kernel
	.section	.text._ZN7rocprim17ROCPRIM_400000_NS6detail17trampoline_kernelINS0_14default_configENS1_27scan_by_key_config_selectorIjjEEZZNS1_16scan_by_key_implILNS1_25lookback_scan_determinismE0ELb0ES3_N6thrust23THRUST_200600_302600_NS6detail15normal_iteratorINS9_10device_ptrIjEEEESE_SE_jNS9_4plusIvEENS9_8equal_toIvEEjEE10hipError_tPvRmT2_T3_T4_T5_mT6_T7_P12ihipStream_tbENKUlT_T0_E_clISt17integral_constantIbLb0EESZ_EEDaSU_SV_EUlSU_E_NS1_11comp_targetILNS1_3genE5ELNS1_11target_archE942ELNS1_3gpuE9ELNS1_3repE0EEENS1_30default_config_static_selectorELNS0_4arch9wavefront6targetE1EEEvT1_,"axG",@progbits,_ZN7rocprim17ROCPRIM_400000_NS6detail17trampoline_kernelINS0_14default_configENS1_27scan_by_key_config_selectorIjjEEZZNS1_16scan_by_key_implILNS1_25lookback_scan_determinismE0ELb0ES3_N6thrust23THRUST_200600_302600_NS6detail15normal_iteratorINS9_10device_ptrIjEEEESE_SE_jNS9_4plusIvEENS9_8equal_toIvEEjEE10hipError_tPvRmT2_T3_T4_T5_mT6_T7_P12ihipStream_tbENKUlT_T0_E_clISt17integral_constantIbLb0EESZ_EEDaSU_SV_EUlSU_E_NS1_11comp_targetILNS1_3genE5ELNS1_11target_archE942ELNS1_3gpuE9ELNS1_3repE0EEENS1_30default_config_static_selectorELNS0_4arch9wavefront6targetE1EEEvT1_,comdat
.Lfunc_end1828:
	.size	_ZN7rocprim17ROCPRIM_400000_NS6detail17trampoline_kernelINS0_14default_configENS1_27scan_by_key_config_selectorIjjEEZZNS1_16scan_by_key_implILNS1_25lookback_scan_determinismE0ELb0ES3_N6thrust23THRUST_200600_302600_NS6detail15normal_iteratorINS9_10device_ptrIjEEEESE_SE_jNS9_4plusIvEENS9_8equal_toIvEEjEE10hipError_tPvRmT2_T3_T4_T5_mT6_T7_P12ihipStream_tbENKUlT_T0_E_clISt17integral_constantIbLb0EESZ_EEDaSU_SV_EUlSU_E_NS1_11comp_targetILNS1_3genE5ELNS1_11target_archE942ELNS1_3gpuE9ELNS1_3repE0EEENS1_30default_config_static_selectorELNS0_4arch9wavefront6targetE1EEEvT1_, .Lfunc_end1828-_ZN7rocprim17ROCPRIM_400000_NS6detail17trampoline_kernelINS0_14default_configENS1_27scan_by_key_config_selectorIjjEEZZNS1_16scan_by_key_implILNS1_25lookback_scan_determinismE0ELb0ES3_N6thrust23THRUST_200600_302600_NS6detail15normal_iteratorINS9_10device_ptrIjEEEESE_SE_jNS9_4plusIvEENS9_8equal_toIvEEjEE10hipError_tPvRmT2_T3_T4_T5_mT6_T7_P12ihipStream_tbENKUlT_T0_E_clISt17integral_constantIbLb0EESZ_EEDaSU_SV_EUlSU_E_NS1_11comp_targetILNS1_3genE5ELNS1_11target_archE942ELNS1_3gpuE9ELNS1_3repE0EEENS1_30default_config_static_selectorELNS0_4arch9wavefront6targetE1EEEvT1_
                                        ; -- End function
	.section	.AMDGPU.csdata,"",@progbits
; Kernel info:
; codeLenInByte = 15432
; NumSgprs: 88
; NumVgprs: 81
; NumAgprs: 0
; TotalNumVgprs: 81
; ScratchSize: 0
; MemoryBound: 0
; FloatMode: 240
; IeeeMode: 1
; LDSByteSize: 25600 bytes/workgroup (compile time only)
; SGPRBlocks: 10
; VGPRBlocks: 10
; NumSGPRsForWavesPerEU: 88
; NumVGPRsForWavesPerEU: 81
; AccumOffset: 84
; Occupancy: 2
; WaveLimiterHint : 1
; COMPUTE_PGM_RSRC2:SCRATCH_EN: 0
; COMPUTE_PGM_RSRC2:USER_SGPR: 2
; COMPUTE_PGM_RSRC2:TRAP_HANDLER: 0
; COMPUTE_PGM_RSRC2:TGID_X_EN: 1
; COMPUTE_PGM_RSRC2:TGID_Y_EN: 0
; COMPUTE_PGM_RSRC2:TGID_Z_EN: 0
; COMPUTE_PGM_RSRC2:TIDIG_COMP_CNT: 0
; COMPUTE_PGM_RSRC3_GFX90A:ACCUM_OFFSET: 20
; COMPUTE_PGM_RSRC3_GFX90A:TG_SPLIT: 0
	.section	.text._ZN7rocprim17ROCPRIM_400000_NS6detail17trampoline_kernelINS0_14default_configENS1_27scan_by_key_config_selectorIjjEEZZNS1_16scan_by_key_implILNS1_25lookback_scan_determinismE0ELb0ES3_N6thrust23THRUST_200600_302600_NS6detail15normal_iteratorINS9_10device_ptrIjEEEESE_SE_jNS9_4plusIvEENS9_8equal_toIvEEjEE10hipError_tPvRmT2_T3_T4_T5_mT6_T7_P12ihipStream_tbENKUlT_T0_E_clISt17integral_constantIbLb0EESZ_EEDaSU_SV_EUlSU_E_NS1_11comp_targetILNS1_3genE4ELNS1_11target_archE910ELNS1_3gpuE8ELNS1_3repE0EEENS1_30default_config_static_selectorELNS0_4arch9wavefront6targetE1EEEvT1_,"axG",@progbits,_ZN7rocprim17ROCPRIM_400000_NS6detail17trampoline_kernelINS0_14default_configENS1_27scan_by_key_config_selectorIjjEEZZNS1_16scan_by_key_implILNS1_25lookback_scan_determinismE0ELb0ES3_N6thrust23THRUST_200600_302600_NS6detail15normal_iteratorINS9_10device_ptrIjEEEESE_SE_jNS9_4plusIvEENS9_8equal_toIvEEjEE10hipError_tPvRmT2_T3_T4_T5_mT6_T7_P12ihipStream_tbENKUlT_T0_E_clISt17integral_constantIbLb0EESZ_EEDaSU_SV_EUlSU_E_NS1_11comp_targetILNS1_3genE4ELNS1_11target_archE910ELNS1_3gpuE8ELNS1_3repE0EEENS1_30default_config_static_selectorELNS0_4arch9wavefront6targetE1EEEvT1_,comdat
	.protected	_ZN7rocprim17ROCPRIM_400000_NS6detail17trampoline_kernelINS0_14default_configENS1_27scan_by_key_config_selectorIjjEEZZNS1_16scan_by_key_implILNS1_25lookback_scan_determinismE0ELb0ES3_N6thrust23THRUST_200600_302600_NS6detail15normal_iteratorINS9_10device_ptrIjEEEESE_SE_jNS9_4plusIvEENS9_8equal_toIvEEjEE10hipError_tPvRmT2_T3_T4_T5_mT6_T7_P12ihipStream_tbENKUlT_T0_E_clISt17integral_constantIbLb0EESZ_EEDaSU_SV_EUlSU_E_NS1_11comp_targetILNS1_3genE4ELNS1_11target_archE910ELNS1_3gpuE8ELNS1_3repE0EEENS1_30default_config_static_selectorELNS0_4arch9wavefront6targetE1EEEvT1_ ; -- Begin function _ZN7rocprim17ROCPRIM_400000_NS6detail17trampoline_kernelINS0_14default_configENS1_27scan_by_key_config_selectorIjjEEZZNS1_16scan_by_key_implILNS1_25lookback_scan_determinismE0ELb0ES3_N6thrust23THRUST_200600_302600_NS6detail15normal_iteratorINS9_10device_ptrIjEEEESE_SE_jNS9_4plusIvEENS9_8equal_toIvEEjEE10hipError_tPvRmT2_T3_T4_T5_mT6_T7_P12ihipStream_tbENKUlT_T0_E_clISt17integral_constantIbLb0EESZ_EEDaSU_SV_EUlSU_E_NS1_11comp_targetILNS1_3genE4ELNS1_11target_archE910ELNS1_3gpuE8ELNS1_3repE0EEENS1_30default_config_static_selectorELNS0_4arch9wavefront6targetE1EEEvT1_
	.globl	_ZN7rocprim17ROCPRIM_400000_NS6detail17trampoline_kernelINS0_14default_configENS1_27scan_by_key_config_selectorIjjEEZZNS1_16scan_by_key_implILNS1_25lookback_scan_determinismE0ELb0ES3_N6thrust23THRUST_200600_302600_NS6detail15normal_iteratorINS9_10device_ptrIjEEEESE_SE_jNS9_4plusIvEENS9_8equal_toIvEEjEE10hipError_tPvRmT2_T3_T4_T5_mT6_T7_P12ihipStream_tbENKUlT_T0_E_clISt17integral_constantIbLb0EESZ_EEDaSU_SV_EUlSU_E_NS1_11comp_targetILNS1_3genE4ELNS1_11target_archE910ELNS1_3gpuE8ELNS1_3repE0EEENS1_30default_config_static_selectorELNS0_4arch9wavefront6targetE1EEEvT1_
	.p2align	8
	.type	_ZN7rocprim17ROCPRIM_400000_NS6detail17trampoline_kernelINS0_14default_configENS1_27scan_by_key_config_selectorIjjEEZZNS1_16scan_by_key_implILNS1_25lookback_scan_determinismE0ELb0ES3_N6thrust23THRUST_200600_302600_NS6detail15normal_iteratorINS9_10device_ptrIjEEEESE_SE_jNS9_4plusIvEENS9_8equal_toIvEEjEE10hipError_tPvRmT2_T3_T4_T5_mT6_T7_P12ihipStream_tbENKUlT_T0_E_clISt17integral_constantIbLb0EESZ_EEDaSU_SV_EUlSU_E_NS1_11comp_targetILNS1_3genE4ELNS1_11target_archE910ELNS1_3gpuE8ELNS1_3repE0EEENS1_30default_config_static_selectorELNS0_4arch9wavefront6targetE1EEEvT1_,@function
_ZN7rocprim17ROCPRIM_400000_NS6detail17trampoline_kernelINS0_14default_configENS1_27scan_by_key_config_selectorIjjEEZZNS1_16scan_by_key_implILNS1_25lookback_scan_determinismE0ELb0ES3_N6thrust23THRUST_200600_302600_NS6detail15normal_iteratorINS9_10device_ptrIjEEEESE_SE_jNS9_4plusIvEENS9_8equal_toIvEEjEE10hipError_tPvRmT2_T3_T4_T5_mT6_T7_P12ihipStream_tbENKUlT_T0_E_clISt17integral_constantIbLb0EESZ_EEDaSU_SV_EUlSU_E_NS1_11comp_targetILNS1_3genE4ELNS1_11target_archE910ELNS1_3gpuE8ELNS1_3repE0EEENS1_30default_config_static_selectorELNS0_4arch9wavefront6targetE1EEEvT1_: ; @_ZN7rocprim17ROCPRIM_400000_NS6detail17trampoline_kernelINS0_14default_configENS1_27scan_by_key_config_selectorIjjEEZZNS1_16scan_by_key_implILNS1_25lookback_scan_determinismE0ELb0ES3_N6thrust23THRUST_200600_302600_NS6detail15normal_iteratorINS9_10device_ptrIjEEEESE_SE_jNS9_4plusIvEENS9_8equal_toIvEEjEE10hipError_tPvRmT2_T3_T4_T5_mT6_T7_P12ihipStream_tbENKUlT_T0_E_clISt17integral_constantIbLb0EESZ_EEDaSU_SV_EUlSU_E_NS1_11comp_targetILNS1_3genE4ELNS1_11target_archE910ELNS1_3gpuE8ELNS1_3repE0EEENS1_30default_config_static_selectorELNS0_4arch9wavefront6targetE1EEEvT1_
; %bb.0:
	.section	.rodata,"a",@progbits
	.p2align	6, 0x0
	.amdhsa_kernel _ZN7rocprim17ROCPRIM_400000_NS6detail17trampoline_kernelINS0_14default_configENS1_27scan_by_key_config_selectorIjjEEZZNS1_16scan_by_key_implILNS1_25lookback_scan_determinismE0ELb0ES3_N6thrust23THRUST_200600_302600_NS6detail15normal_iteratorINS9_10device_ptrIjEEEESE_SE_jNS9_4plusIvEENS9_8equal_toIvEEjEE10hipError_tPvRmT2_T3_T4_T5_mT6_T7_P12ihipStream_tbENKUlT_T0_E_clISt17integral_constantIbLb0EESZ_EEDaSU_SV_EUlSU_E_NS1_11comp_targetILNS1_3genE4ELNS1_11target_archE910ELNS1_3gpuE8ELNS1_3repE0EEENS1_30default_config_static_selectorELNS0_4arch9wavefront6targetE1EEEvT1_
		.amdhsa_group_segment_fixed_size 0
		.amdhsa_private_segment_fixed_size 0
		.amdhsa_kernarg_size 112
		.amdhsa_user_sgpr_count 2
		.amdhsa_user_sgpr_dispatch_ptr 0
		.amdhsa_user_sgpr_queue_ptr 0
		.amdhsa_user_sgpr_kernarg_segment_ptr 1
		.amdhsa_user_sgpr_dispatch_id 0
		.amdhsa_user_sgpr_kernarg_preload_length 0
		.amdhsa_user_sgpr_kernarg_preload_offset 0
		.amdhsa_user_sgpr_private_segment_size 0
		.amdhsa_uses_dynamic_stack 0
		.amdhsa_enable_private_segment 0
		.amdhsa_system_sgpr_workgroup_id_x 1
		.amdhsa_system_sgpr_workgroup_id_y 0
		.amdhsa_system_sgpr_workgroup_id_z 0
		.amdhsa_system_sgpr_workgroup_info 0
		.amdhsa_system_vgpr_workitem_id 0
		.amdhsa_next_free_vgpr 1
		.amdhsa_next_free_sgpr 0
		.amdhsa_accum_offset 4
		.amdhsa_reserve_vcc 0
		.amdhsa_float_round_mode_32 0
		.amdhsa_float_round_mode_16_64 0
		.amdhsa_float_denorm_mode_32 3
		.amdhsa_float_denorm_mode_16_64 3
		.amdhsa_dx10_clamp 1
		.amdhsa_ieee_mode 1
		.amdhsa_fp16_overflow 0
		.amdhsa_tg_split 0
		.amdhsa_exception_fp_ieee_invalid_op 0
		.amdhsa_exception_fp_denorm_src 0
		.amdhsa_exception_fp_ieee_div_zero 0
		.amdhsa_exception_fp_ieee_overflow 0
		.amdhsa_exception_fp_ieee_underflow 0
		.amdhsa_exception_fp_ieee_inexact 0
		.amdhsa_exception_int_div_zero 0
	.end_amdhsa_kernel
	.section	.text._ZN7rocprim17ROCPRIM_400000_NS6detail17trampoline_kernelINS0_14default_configENS1_27scan_by_key_config_selectorIjjEEZZNS1_16scan_by_key_implILNS1_25lookback_scan_determinismE0ELb0ES3_N6thrust23THRUST_200600_302600_NS6detail15normal_iteratorINS9_10device_ptrIjEEEESE_SE_jNS9_4plusIvEENS9_8equal_toIvEEjEE10hipError_tPvRmT2_T3_T4_T5_mT6_T7_P12ihipStream_tbENKUlT_T0_E_clISt17integral_constantIbLb0EESZ_EEDaSU_SV_EUlSU_E_NS1_11comp_targetILNS1_3genE4ELNS1_11target_archE910ELNS1_3gpuE8ELNS1_3repE0EEENS1_30default_config_static_selectorELNS0_4arch9wavefront6targetE1EEEvT1_,"axG",@progbits,_ZN7rocprim17ROCPRIM_400000_NS6detail17trampoline_kernelINS0_14default_configENS1_27scan_by_key_config_selectorIjjEEZZNS1_16scan_by_key_implILNS1_25lookback_scan_determinismE0ELb0ES3_N6thrust23THRUST_200600_302600_NS6detail15normal_iteratorINS9_10device_ptrIjEEEESE_SE_jNS9_4plusIvEENS9_8equal_toIvEEjEE10hipError_tPvRmT2_T3_T4_T5_mT6_T7_P12ihipStream_tbENKUlT_T0_E_clISt17integral_constantIbLb0EESZ_EEDaSU_SV_EUlSU_E_NS1_11comp_targetILNS1_3genE4ELNS1_11target_archE910ELNS1_3gpuE8ELNS1_3repE0EEENS1_30default_config_static_selectorELNS0_4arch9wavefront6targetE1EEEvT1_,comdat
.Lfunc_end1829:
	.size	_ZN7rocprim17ROCPRIM_400000_NS6detail17trampoline_kernelINS0_14default_configENS1_27scan_by_key_config_selectorIjjEEZZNS1_16scan_by_key_implILNS1_25lookback_scan_determinismE0ELb0ES3_N6thrust23THRUST_200600_302600_NS6detail15normal_iteratorINS9_10device_ptrIjEEEESE_SE_jNS9_4plusIvEENS9_8equal_toIvEEjEE10hipError_tPvRmT2_T3_T4_T5_mT6_T7_P12ihipStream_tbENKUlT_T0_E_clISt17integral_constantIbLb0EESZ_EEDaSU_SV_EUlSU_E_NS1_11comp_targetILNS1_3genE4ELNS1_11target_archE910ELNS1_3gpuE8ELNS1_3repE0EEENS1_30default_config_static_selectorELNS0_4arch9wavefront6targetE1EEEvT1_, .Lfunc_end1829-_ZN7rocprim17ROCPRIM_400000_NS6detail17trampoline_kernelINS0_14default_configENS1_27scan_by_key_config_selectorIjjEEZZNS1_16scan_by_key_implILNS1_25lookback_scan_determinismE0ELb0ES3_N6thrust23THRUST_200600_302600_NS6detail15normal_iteratorINS9_10device_ptrIjEEEESE_SE_jNS9_4plusIvEENS9_8equal_toIvEEjEE10hipError_tPvRmT2_T3_T4_T5_mT6_T7_P12ihipStream_tbENKUlT_T0_E_clISt17integral_constantIbLb0EESZ_EEDaSU_SV_EUlSU_E_NS1_11comp_targetILNS1_3genE4ELNS1_11target_archE910ELNS1_3gpuE8ELNS1_3repE0EEENS1_30default_config_static_selectorELNS0_4arch9wavefront6targetE1EEEvT1_
                                        ; -- End function
	.section	.AMDGPU.csdata,"",@progbits
; Kernel info:
; codeLenInByte = 0
; NumSgprs: 6
; NumVgprs: 0
; NumAgprs: 0
; TotalNumVgprs: 0
; ScratchSize: 0
; MemoryBound: 0
; FloatMode: 240
; IeeeMode: 1
; LDSByteSize: 0 bytes/workgroup (compile time only)
; SGPRBlocks: 0
; VGPRBlocks: 0
; NumSGPRsForWavesPerEU: 6
; NumVGPRsForWavesPerEU: 1
; AccumOffset: 4
; Occupancy: 8
; WaveLimiterHint : 0
; COMPUTE_PGM_RSRC2:SCRATCH_EN: 0
; COMPUTE_PGM_RSRC2:USER_SGPR: 2
; COMPUTE_PGM_RSRC2:TRAP_HANDLER: 0
; COMPUTE_PGM_RSRC2:TGID_X_EN: 1
; COMPUTE_PGM_RSRC2:TGID_Y_EN: 0
; COMPUTE_PGM_RSRC2:TGID_Z_EN: 0
; COMPUTE_PGM_RSRC2:TIDIG_COMP_CNT: 0
; COMPUTE_PGM_RSRC3_GFX90A:ACCUM_OFFSET: 0
; COMPUTE_PGM_RSRC3_GFX90A:TG_SPLIT: 0
	.section	.text._ZN7rocprim17ROCPRIM_400000_NS6detail17trampoline_kernelINS0_14default_configENS1_27scan_by_key_config_selectorIjjEEZZNS1_16scan_by_key_implILNS1_25lookback_scan_determinismE0ELb0ES3_N6thrust23THRUST_200600_302600_NS6detail15normal_iteratorINS9_10device_ptrIjEEEESE_SE_jNS9_4plusIvEENS9_8equal_toIvEEjEE10hipError_tPvRmT2_T3_T4_T5_mT6_T7_P12ihipStream_tbENKUlT_T0_E_clISt17integral_constantIbLb0EESZ_EEDaSU_SV_EUlSU_E_NS1_11comp_targetILNS1_3genE3ELNS1_11target_archE908ELNS1_3gpuE7ELNS1_3repE0EEENS1_30default_config_static_selectorELNS0_4arch9wavefront6targetE1EEEvT1_,"axG",@progbits,_ZN7rocprim17ROCPRIM_400000_NS6detail17trampoline_kernelINS0_14default_configENS1_27scan_by_key_config_selectorIjjEEZZNS1_16scan_by_key_implILNS1_25lookback_scan_determinismE0ELb0ES3_N6thrust23THRUST_200600_302600_NS6detail15normal_iteratorINS9_10device_ptrIjEEEESE_SE_jNS9_4plusIvEENS9_8equal_toIvEEjEE10hipError_tPvRmT2_T3_T4_T5_mT6_T7_P12ihipStream_tbENKUlT_T0_E_clISt17integral_constantIbLb0EESZ_EEDaSU_SV_EUlSU_E_NS1_11comp_targetILNS1_3genE3ELNS1_11target_archE908ELNS1_3gpuE7ELNS1_3repE0EEENS1_30default_config_static_selectorELNS0_4arch9wavefront6targetE1EEEvT1_,comdat
	.protected	_ZN7rocprim17ROCPRIM_400000_NS6detail17trampoline_kernelINS0_14default_configENS1_27scan_by_key_config_selectorIjjEEZZNS1_16scan_by_key_implILNS1_25lookback_scan_determinismE0ELb0ES3_N6thrust23THRUST_200600_302600_NS6detail15normal_iteratorINS9_10device_ptrIjEEEESE_SE_jNS9_4plusIvEENS9_8equal_toIvEEjEE10hipError_tPvRmT2_T3_T4_T5_mT6_T7_P12ihipStream_tbENKUlT_T0_E_clISt17integral_constantIbLb0EESZ_EEDaSU_SV_EUlSU_E_NS1_11comp_targetILNS1_3genE3ELNS1_11target_archE908ELNS1_3gpuE7ELNS1_3repE0EEENS1_30default_config_static_selectorELNS0_4arch9wavefront6targetE1EEEvT1_ ; -- Begin function _ZN7rocprim17ROCPRIM_400000_NS6detail17trampoline_kernelINS0_14default_configENS1_27scan_by_key_config_selectorIjjEEZZNS1_16scan_by_key_implILNS1_25lookback_scan_determinismE0ELb0ES3_N6thrust23THRUST_200600_302600_NS6detail15normal_iteratorINS9_10device_ptrIjEEEESE_SE_jNS9_4plusIvEENS9_8equal_toIvEEjEE10hipError_tPvRmT2_T3_T4_T5_mT6_T7_P12ihipStream_tbENKUlT_T0_E_clISt17integral_constantIbLb0EESZ_EEDaSU_SV_EUlSU_E_NS1_11comp_targetILNS1_3genE3ELNS1_11target_archE908ELNS1_3gpuE7ELNS1_3repE0EEENS1_30default_config_static_selectorELNS0_4arch9wavefront6targetE1EEEvT1_
	.globl	_ZN7rocprim17ROCPRIM_400000_NS6detail17trampoline_kernelINS0_14default_configENS1_27scan_by_key_config_selectorIjjEEZZNS1_16scan_by_key_implILNS1_25lookback_scan_determinismE0ELb0ES3_N6thrust23THRUST_200600_302600_NS6detail15normal_iteratorINS9_10device_ptrIjEEEESE_SE_jNS9_4plusIvEENS9_8equal_toIvEEjEE10hipError_tPvRmT2_T3_T4_T5_mT6_T7_P12ihipStream_tbENKUlT_T0_E_clISt17integral_constantIbLb0EESZ_EEDaSU_SV_EUlSU_E_NS1_11comp_targetILNS1_3genE3ELNS1_11target_archE908ELNS1_3gpuE7ELNS1_3repE0EEENS1_30default_config_static_selectorELNS0_4arch9wavefront6targetE1EEEvT1_
	.p2align	8
	.type	_ZN7rocprim17ROCPRIM_400000_NS6detail17trampoline_kernelINS0_14default_configENS1_27scan_by_key_config_selectorIjjEEZZNS1_16scan_by_key_implILNS1_25lookback_scan_determinismE0ELb0ES3_N6thrust23THRUST_200600_302600_NS6detail15normal_iteratorINS9_10device_ptrIjEEEESE_SE_jNS9_4plusIvEENS9_8equal_toIvEEjEE10hipError_tPvRmT2_T3_T4_T5_mT6_T7_P12ihipStream_tbENKUlT_T0_E_clISt17integral_constantIbLb0EESZ_EEDaSU_SV_EUlSU_E_NS1_11comp_targetILNS1_3genE3ELNS1_11target_archE908ELNS1_3gpuE7ELNS1_3repE0EEENS1_30default_config_static_selectorELNS0_4arch9wavefront6targetE1EEEvT1_,@function
_ZN7rocprim17ROCPRIM_400000_NS6detail17trampoline_kernelINS0_14default_configENS1_27scan_by_key_config_selectorIjjEEZZNS1_16scan_by_key_implILNS1_25lookback_scan_determinismE0ELb0ES3_N6thrust23THRUST_200600_302600_NS6detail15normal_iteratorINS9_10device_ptrIjEEEESE_SE_jNS9_4plusIvEENS9_8equal_toIvEEjEE10hipError_tPvRmT2_T3_T4_T5_mT6_T7_P12ihipStream_tbENKUlT_T0_E_clISt17integral_constantIbLb0EESZ_EEDaSU_SV_EUlSU_E_NS1_11comp_targetILNS1_3genE3ELNS1_11target_archE908ELNS1_3gpuE7ELNS1_3repE0EEENS1_30default_config_static_selectorELNS0_4arch9wavefront6targetE1EEEvT1_: ; @_ZN7rocprim17ROCPRIM_400000_NS6detail17trampoline_kernelINS0_14default_configENS1_27scan_by_key_config_selectorIjjEEZZNS1_16scan_by_key_implILNS1_25lookback_scan_determinismE0ELb0ES3_N6thrust23THRUST_200600_302600_NS6detail15normal_iteratorINS9_10device_ptrIjEEEESE_SE_jNS9_4plusIvEENS9_8equal_toIvEEjEE10hipError_tPvRmT2_T3_T4_T5_mT6_T7_P12ihipStream_tbENKUlT_T0_E_clISt17integral_constantIbLb0EESZ_EEDaSU_SV_EUlSU_E_NS1_11comp_targetILNS1_3genE3ELNS1_11target_archE908ELNS1_3gpuE7ELNS1_3repE0EEENS1_30default_config_static_selectorELNS0_4arch9wavefront6targetE1EEEvT1_
; %bb.0:
	.section	.rodata,"a",@progbits
	.p2align	6, 0x0
	.amdhsa_kernel _ZN7rocprim17ROCPRIM_400000_NS6detail17trampoline_kernelINS0_14default_configENS1_27scan_by_key_config_selectorIjjEEZZNS1_16scan_by_key_implILNS1_25lookback_scan_determinismE0ELb0ES3_N6thrust23THRUST_200600_302600_NS6detail15normal_iteratorINS9_10device_ptrIjEEEESE_SE_jNS9_4plusIvEENS9_8equal_toIvEEjEE10hipError_tPvRmT2_T3_T4_T5_mT6_T7_P12ihipStream_tbENKUlT_T0_E_clISt17integral_constantIbLb0EESZ_EEDaSU_SV_EUlSU_E_NS1_11comp_targetILNS1_3genE3ELNS1_11target_archE908ELNS1_3gpuE7ELNS1_3repE0EEENS1_30default_config_static_selectorELNS0_4arch9wavefront6targetE1EEEvT1_
		.amdhsa_group_segment_fixed_size 0
		.amdhsa_private_segment_fixed_size 0
		.amdhsa_kernarg_size 112
		.amdhsa_user_sgpr_count 2
		.amdhsa_user_sgpr_dispatch_ptr 0
		.amdhsa_user_sgpr_queue_ptr 0
		.amdhsa_user_sgpr_kernarg_segment_ptr 1
		.amdhsa_user_sgpr_dispatch_id 0
		.amdhsa_user_sgpr_kernarg_preload_length 0
		.amdhsa_user_sgpr_kernarg_preload_offset 0
		.amdhsa_user_sgpr_private_segment_size 0
		.amdhsa_uses_dynamic_stack 0
		.amdhsa_enable_private_segment 0
		.amdhsa_system_sgpr_workgroup_id_x 1
		.amdhsa_system_sgpr_workgroup_id_y 0
		.amdhsa_system_sgpr_workgroup_id_z 0
		.amdhsa_system_sgpr_workgroup_info 0
		.amdhsa_system_vgpr_workitem_id 0
		.amdhsa_next_free_vgpr 1
		.amdhsa_next_free_sgpr 0
		.amdhsa_accum_offset 4
		.amdhsa_reserve_vcc 0
		.amdhsa_float_round_mode_32 0
		.amdhsa_float_round_mode_16_64 0
		.amdhsa_float_denorm_mode_32 3
		.amdhsa_float_denorm_mode_16_64 3
		.amdhsa_dx10_clamp 1
		.amdhsa_ieee_mode 1
		.amdhsa_fp16_overflow 0
		.amdhsa_tg_split 0
		.amdhsa_exception_fp_ieee_invalid_op 0
		.amdhsa_exception_fp_denorm_src 0
		.amdhsa_exception_fp_ieee_div_zero 0
		.amdhsa_exception_fp_ieee_overflow 0
		.amdhsa_exception_fp_ieee_underflow 0
		.amdhsa_exception_fp_ieee_inexact 0
		.amdhsa_exception_int_div_zero 0
	.end_amdhsa_kernel
	.section	.text._ZN7rocprim17ROCPRIM_400000_NS6detail17trampoline_kernelINS0_14default_configENS1_27scan_by_key_config_selectorIjjEEZZNS1_16scan_by_key_implILNS1_25lookback_scan_determinismE0ELb0ES3_N6thrust23THRUST_200600_302600_NS6detail15normal_iteratorINS9_10device_ptrIjEEEESE_SE_jNS9_4plusIvEENS9_8equal_toIvEEjEE10hipError_tPvRmT2_T3_T4_T5_mT6_T7_P12ihipStream_tbENKUlT_T0_E_clISt17integral_constantIbLb0EESZ_EEDaSU_SV_EUlSU_E_NS1_11comp_targetILNS1_3genE3ELNS1_11target_archE908ELNS1_3gpuE7ELNS1_3repE0EEENS1_30default_config_static_selectorELNS0_4arch9wavefront6targetE1EEEvT1_,"axG",@progbits,_ZN7rocprim17ROCPRIM_400000_NS6detail17trampoline_kernelINS0_14default_configENS1_27scan_by_key_config_selectorIjjEEZZNS1_16scan_by_key_implILNS1_25lookback_scan_determinismE0ELb0ES3_N6thrust23THRUST_200600_302600_NS6detail15normal_iteratorINS9_10device_ptrIjEEEESE_SE_jNS9_4plusIvEENS9_8equal_toIvEEjEE10hipError_tPvRmT2_T3_T4_T5_mT6_T7_P12ihipStream_tbENKUlT_T0_E_clISt17integral_constantIbLb0EESZ_EEDaSU_SV_EUlSU_E_NS1_11comp_targetILNS1_3genE3ELNS1_11target_archE908ELNS1_3gpuE7ELNS1_3repE0EEENS1_30default_config_static_selectorELNS0_4arch9wavefront6targetE1EEEvT1_,comdat
.Lfunc_end1830:
	.size	_ZN7rocprim17ROCPRIM_400000_NS6detail17trampoline_kernelINS0_14default_configENS1_27scan_by_key_config_selectorIjjEEZZNS1_16scan_by_key_implILNS1_25lookback_scan_determinismE0ELb0ES3_N6thrust23THRUST_200600_302600_NS6detail15normal_iteratorINS9_10device_ptrIjEEEESE_SE_jNS9_4plusIvEENS9_8equal_toIvEEjEE10hipError_tPvRmT2_T3_T4_T5_mT6_T7_P12ihipStream_tbENKUlT_T0_E_clISt17integral_constantIbLb0EESZ_EEDaSU_SV_EUlSU_E_NS1_11comp_targetILNS1_3genE3ELNS1_11target_archE908ELNS1_3gpuE7ELNS1_3repE0EEENS1_30default_config_static_selectorELNS0_4arch9wavefront6targetE1EEEvT1_, .Lfunc_end1830-_ZN7rocprim17ROCPRIM_400000_NS6detail17trampoline_kernelINS0_14default_configENS1_27scan_by_key_config_selectorIjjEEZZNS1_16scan_by_key_implILNS1_25lookback_scan_determinismE0ELb0ES3_N6thrust23THRUST_200600_302600_NS6detail15normal_iteratorINS9_10device_ptrIjEEEESE_SE_jNS9_4plusIvEENS9_8equal_toIvEEjEE10hipError_tPvRmT2_T3_T4_T5_mT6_T7_P12ihipStream_tbENKUlT_T0_E_clISt17integral_constantIbLb0EESZ_EEDaSU_SV_EUlSU_E_NS1_11comp_targetILNS1_3genE3ELNS1_11target_archE908ELNS1_3gpuE7ELNS1_3repE0EEENS1_30default_config_static_selectorELNS0_4arch9wavefront6targetE1EEEvT1_
                                        ; -- End function
	.section	.AMDGPU.csdata,"",@progbits
; Kernel info:
; codeLenInByte = 0
; NumSgprs: 6
; NumVgprs: 0
; NumAgprs: 0
; TotalNumVgprs: 0
; ScratchSize: 0
; MemoryBound: 0
; FloatMode: 240
; IeeeMode: 1
; LDSByteSize: 0 bytes/workgroup (compile time only)
; SGPRBlocks: 0
; VGPRBlocks: 0
; NumSGPRsForWavesPerEU: 6
; NumVGPRsForWavesPerEU: 1
; AccumOffset: 4
; Occupancy: 8
; WaveLimiterHint : 0
; COMPUTE_PGM_RSRC2:SCRATCH_EN: 0
; COMPUTE_PGM_RSRC2:USER_SGPR: 2
; COMPUTE_PGM_RSRC2:TRAP_HANDLER: 0
; COMPUTE_PGM_RSRC2:TGID_X_EN: 1
; COMPUTE_PGM_RSRC2:TGID_Y_EN: 0
; COMPUTE_PGM_RSRC2:TGID_Z_EN: 0
; COMPUTE_PGM_RSRC2:TIDIG_COMP_CNT: 0
; COMPUTE_PGM_RSRC3_GFX90A:ACCUM_OFFSET: 0
; COMPUTE_PGM_RSRC3_GFX90A:TG_SPLIT: 0
	.section	.text._ZN7rocprim17ROCPRIM_400000_NS6detail17trampoline_kernelINS0_14default_configENS1_27scan_by_key_config_selectorIjjEEZZNS1_16scan_by_key_implILNS1_25lookback_scan_determinismE0ELb0ES3_N6thrust23THRUST_200600_302600_NS6detail15normal_iteratorINS9_10device_ptrIjEEEESE_SE_jNS9_4plusIvEENS9_8equal_toIvEEjEE10hipError_tPvRmT2_T3_T4_T5_mT6_T7_P12ihipStream_tbENKUlT_T0_E_clISt17integral_constantIbLb0EESZ_EEDaSU_SV_EUlSU_E_NS1_11comp_targetILNS1_3genE2ELNS1_11target_archE906ELNS1_3gpuE6ELNS1_3repE0EEENS1_30default_config_static_selectorELNS0_4arch9wavefront6targetE1EEEvT1_,"axG",@progbits,_ZN7rocprim17ROCPRIM_400000_NS6detail17trampoline_kernelINS0_14default_configENS1_27scan_by_key_config_selectorIjjEEZZNS1_16scan_by_key_implILNS1_25lookback_scan_determinismE0ELb0ES3_N6thrust23THRUST_200600_302600_NS6detail15normal_iteratorINS9_10device_ptrIjEEEESE_SE_jNS9_4plusIvEENS9_8equal_toIvEEjEE10hipError_tPvRmT2_T3_T4_T5_mT6_T7_P12ihipStream_tbENKUlT_T0_E_clISt17integral_constantIbLb0EESZ_EEDaSU_SV_EUlSU_E_NS1_11comp_targetILNS1_3genE2ELNS1_11target_archE906ELNS1_3gpuE6ELNS1_3repE0EEENS1_30default_config_static_selectorELNS0_4arch9wavefront6targetE1EEEvT1_,comdat
	.protected	_ZN7rocprim17ROCPRIM_400000_NS6detail17trampoline_kernelINS0_14default_configENS1_27scan_by_key_config_selectorIjjEEZZNS1_16scan_by_key_implILNS1_25lookback_scan_determinismE0ELb0ES3_N6thrust23THRUST_200600_302600_NS6detail15normal_iteratorINS9_10device_ptrIjEEEESE_SE_jNS9_4plusIvEENS9_8equal_toIvEEjEE10hipError_tPvRmT2_T3_T4_T5_mT6_T7_P12ihipStream_tbENKUlT_T0_E_clISt17integral_constantIbLb0EESZ_EEDaSU_SV_EUlSU_E_NS1_11comp_targetILNS1_3genE2ELNS1_11target_archE906ELNS1_3gpuE6ELNS1_3repE0EEENS1_30default_config_static_selectorELNS0_4arch9wavefront6targetE1EEEvT1_ ; -- Begin function _ZN7rocprim17ROCPRIM_400000_NS6detail17trampoline_kernelINS0_14default_configENS1_27scan_by_key_config_selectorIjjEEZZNS1_16scan_by_key_implILNS1_25lookback_scan_determinismE0ELb0ES3_N6thrust23THRUST_200600_302600_NS6detail15normal_iteratorINS9_10device_ptrIjEEEESE_SE_jNS9_4plusIvEENS9_8equal_toIvEEjEE10hipError_tPvRmT2_T3_T4_T5_mT6_T7_P12ihipStream_tbENKUlT_T0_E_clISt17integral_constantIbLb0EESZ_EEDaSU_SV_EUlSU_E_NS1_11comp_targetILNS1_3genE2ELNS1_11target_archE906ELNS1_3gpuE6ELNS1_3repE0EEENS1_30default_config_static_selectorELNS0_4arch9wavefront6targetE1EEEvT1_
	.globl	_ZN7rocprim17ROCPRIM_400000_NS6detail17trampoline_kernelINS0_14default_configENS1_27scan_by_key_config_selectorIjjEEZZNS1_16scan_by_key_implILNS1_25lookback_scan_determinismE0ELb0ES3_N6thrust23THRUST_200600_302600_NS6detail15normal_iteratorINS9_10device_ptrIjEEEESE_SE_jNS9_4plusIvEENS9_8equal_toIvEEjEE10hipError_tPvRmT2_T3_T4_T5_mT6_T7_P12ihipStream_tbENKUlT_T0_E_clISt17integral_constantIbLb0EESZ_EEDaSU_SV_EUlSU_E_NS1_11comp_targetILNS1_3genE2ELNS1_11target_archE906ELNS1_3gpuE6ELNS1_3repE0EEENS1_30default_config_static_selectorELNS0_4arch9wavefront6targetE1EEEvT1_
	.p2align	8
	.type	_ZN7rocprim17ROCPRIM_400000_NS6detail17trampoline_kernelINS0_14default_configENS1_27scan_by_key_config_selectorIjjEEZZNS1_16scan_by_key_implILNS1_25lookback_scan_determinismE0ELb0ES3_N6thrust23THRUST_200600_302600_NS6detail15normal_iteratorINS9_10device_ptrIjEEEESE_SE_jNS9_4plusIvEENS9_8equal_toIvEEjEE10hipError_tPvRmT2_T3_T4_T5_mT6_T7_P12ihipStream_tbENKUlT_T0_E_clISt17integral_constantIbLb0EESZ_EEDaSU_SV_EUlSU_E_NS1_11comp_targetILNS1_3genE2ELNS1_11target_archE906ELNS1_3gpuE6ELNS1_3repE0EEENS1_30default_config_static_selectorELNS0_4arch9wavefront6targetE1EEEvT1_,@function
_ZN7rocprim17ROCPRIM_400000_NS6detail17trampoline_kernelINS0_14default_configENS1_27scan_by_key_config_selectorIjjEEZZNS1_16scan_by_key_implILNS1_25lookback_scan_determinismE0ELb0ES3_N6thrust23THRUST_200600_302600_NS6detail15normal_iteratorINS9_10device_ptrIjEEEESE_SE_jNS9_4plusIvEENS9_8equal_toIvEEjEE10hipError_tPvRmT2_T3_T4_T5_mT6_T7_P12ihipStream_tbENKUlT_T0_E_clISt17integral_constantIbLb0EESZ_EEDaSU_SV_EUlSU_E_NS1_11comp_targetILNS1_3genE2ELNS1_11target_archE906ELNS1_3gpuE6ELNS1_3repE0EEENS1_30default_config_static_selectorELNS0_4arch9wavefront6targetE1EEEvT1_: ; @_ZN7rocprim17ROCPRIM_400000_NS6detail17trampoline_kernelINS0_14default_configENS1_27scan_by_key_config_selectorIjjEEZZNS1_16scan_by_key_implILNS1_25lookback_scan_determinismE0ELb0ES3_N6thrust23THRUST_200600_302600_NS6detail15normal_iteratorINS9_10device_ptrIjEEEESE_SE_jNS9_4plusIvEENS9_8equal_toIvEEjEE10hipError_tPvRmT2_T3_T4_T5_mT6_T7_P12ihipStream_tbENKUlT_T0_E_clISt17integral_constantIbLb0EESZ_EEDaSU_SV_EUlSU_E_NS1_11comp_targetILNS1_3genE2ELNS1_11target_archE906ELNS1_3gpuE6ELNS1_3repE0EEENS1_30default_config_static_selectorELNS0_4arch9wavefront6targetE1EEEvT1_
; %bb.0:
	.section	.rodata,"a",@progbits
	.p2align	6, 0x0
	.amdhsa_kernel _ZN7rocprim17ROCPRIM_400000_NS6detail17trampoline_kernelINS0_14default_configENS1_27scan_by_key_config_selectorIjjEEZZNS1_16scan_by_key_implILNS1_25lookback_scan_determinismE0ELb0ES3_N6thrust23THRUST_200600_302600_NS6detail15normal_iteratorINS9_10device_ptrIjEEEESE_SE_jNS9_4plusIvEENS9_8equal_toIvEEjEE10hipError_tPvRmT2_T3_T4_T5_mT6_T7_P12ihipStream_tbENKUlT_T0_E_clISt17integral_constantIbLb0EESZ_EEDaSU_SV_EUlSU_E_NS1_11comp_targetILNS1_3genE2ELNS1_11target_archE906ELNS1_3gpuE6ELNS1_3repE0EEENS1_30default_config_static_selectorELNS0_4arch9wavefront6targetE1EEEvT1_
		.amdhsa_group_segment_fixed_size 0
		.amdhsa_private_segment_fixed_size 0
		.amdhsa_kernarg_size 112
		.amdhsa_user_sgpr_count 2
		.amdhsa_user_sgpr_dispatch_ptr 0
		.amdhsa_user_sgpr_queue_ptr 0
		.amdhsa_user_sgpr_kernarg_segment_ptr 1
		.amdhsa_user_sgpr_dispatch_id 0
		.amdhsa_user_sgpr_kernarg_preload_length 0
		.amdhsa_user_sgpr_kernarg_preload_offset 0
		.amdhsa_user_sgpr_private_segment_size 0
		.amdhsa_uses_dynamic_stack 0
		.amdhsa_enable_private_segment 0
		.amdhsa_system_sgpr_workgroup_id_x 1
		.amdhsa_system_sgpr_workgroup_id_y 0
		.amdhsa_system_sgpr_workgroup_id_z 0
		.amdhsa_system_sgpr_workgroup_info 0
		.amdhsa_system_vgpr_workitem_id 0
		.amdhsa_next_free_vgpr 1
		.amdhsa_next_free_sgpr 0
		.amdhsa_accum_offset 4
		.amdhsa_reserve_vcc 0
		.amdhsa_float_round_mode_32 0
		.amdhsa_float_round_mode_16_64 0
		.amdhsa_float_denorm_mode_32 3
		.amdhsa_float_denorm_mode_16_64 3
		.amdhsa_dx10_clamp 1
		.amdhsa_ieee_mode 1
		.amdhsa_fp16_overflow 0
		.amdhsa_tg_split 0
		.amdhsa_exception_fp_ieee_invalid_op 0
		.amdhsa_exception_fp_denorm_src 0
		.amdhsa_exception_fp_ieee_div_zero 0
		.amdhsa_exception_fp_ieee_overflow 0
		.amdhsa_exception_fp_ieee_underflow 0
		.amdhsa_exception_fp_ieee_inexact 0
		.amdhsa_exception_int_div_zero 0
	.end_amdhsa_kernel
	.section	.text._ZN7rocprim17ROCPRIM_400000_NS6detail17trampoline_kernelINS0_14default_configENS1_27scan_by_key_config_selectorIjjEEZZNS1_16scan_by_key_implILNS1_25lookback_scan_determinismE0ELb0ES3_N6thrust23THRUST_200600_302600_NS6detail15normal_iteratorINS9_10device_ptrIjEEEESE_SE_jNS9_4plusIvEENS9_8equal_toIvEEjEE10hipError_tPvRmT2_T3_T4_T5_mT6_T7_P12ihipStream_tbENKUlT_T0_E_clISt17integral_constantIbLb0EESZ_EEDaSU_SV_EUlSU_E_NS1_11comp_targetILNS1_3genE2ELNS1_11target_archE906ELNS1_3gpuE6ELNS1_3repE0EEENS1_30default_config_static_selectorELNS0_4arch9wavefront6targetE1EEEvT1_,"axG",@progbits,_ZN7rocprim17ROCPRIM_400000_NS6detail17trampoline_kernelINS0_14default_configENS1_27scan_by_key_config_selectorIjjEEZZNS1_16scan_by_key_implILNS1_25lookback_scan_determinismE0ELb0ES3_N6thrust23THRUST_200600_302600_NS6detail15normal_iteratorINS9_10device_ptrIjEEEESE_SE_jNS9_4plusIvEENS9_8equal_toIvEEjEE10hipError_tPvRmT2_T3_T4_T5_mT6_T7_P12ihipStream_tbENKUlT_T0_E_clISt17integral_constantIbLb0EESZ_EEDaSU_SV_EUlSU_E_NS1_11comp_targetILNS1_3genE2ELNS1_11target_archE906ELNS1_3gpuE6ELNS1_3repE0EEENS1_30default_config_static_selectorELNS0_4arch9wavefront6targetE1EEEvT1_,comdat
.Lfunc_end1831:
	.size	_ZN7rocprim17ROCPRIM_400000_NS6detail17trampoline_kernelINS0_14default_configENS1_27scan_by_key_config_selectorIjjEEZZNS1_16scan_by_key_implILNS1_25lookback_scan_determinismE0ELb0ES3_N6thrust23THRUST_200600_302600_NS6detail15normal_iteratorINS9_10device_ptrIjEEEESE_SE_jNS9_4plusIvEENS9_8equal_toIvEEjEE10hipError_tPvRmT2_T3_T4_T5_mT6_T7_P12ihipStream_tbENKUlT_T0_E_clISt17integral_constantIbLb0EESZ_EEDaSU_SV_EUlSU_E_NS1_11comp_targetILNS1_3genE2ELNS1_11target_archE906ELNS1_3gpuE6ELNS1_3repE0EEENS1_30default_config_static_selectorELNS0_4arch9wavefront6targetE1EEEvT1_, .Lfunc_end1831-_ZN7rocprim17ROCPRIM_400000_NS6detail17trampoline_kernelINS0_14default_configENS1_27scan_by_key_config_selectorIjjEEZZNS1_16scan_by_key_implILNS1_25lookback_scan_determinismE0ELb0ES3_N6thrust23THRUST_200600_302600_NS6detail15normal_iteratorINS9_10device_ptrIjEEEESE_SE_jNS9_4plusIvEENS9_8equal_toIvEEjEE10hipError_tPvRmT2_T3_T4_T5_mT6_T7_P12ihipStream_tbENKUlT_T0_E_clISt17integral_constantIbLb0EESZ_EEDaSU_SV_EUlSU_E_NS1_11comp_targetILNS1_3genE2ELNS1_11target_archE906ELNS1_3gpuE6ELNS1_3repE0EEENS1_30default_config_static_selectorELNS0_4arch9wavefront6targetE1EEEvT1_
                                        ; -- End function
	.section	.AMDGPU.csdata,"",@progbits
; Kernel info:
; codeLenInByte = 0
; NumSgprs: 6
; NumVgprs: 0
; NumAgprs: 0
; TotalNumVgprs: 0
; ScratchSize: 0
; MemoryBound: 0
; FloatMode: 240
; IeeeMode: 1
; LDSByteSize: 0 bytes/workgroup (compile time only)
; SGPRBlocks: 0
; VGPRBlocks: 0
; NumSGPRsForWavesPerEU: 6
; NumVGPRsForWavesPerEU: 1
; AccumOffset: 4
; Occupancy: 8
; WaveLimiterHint : 0
; COMPUTE_PGM_RSRC2:SCRATCH_EN: 0
; COMPUTE_PGM_RSRC2:USER_SGPR: 2
; COMPUTE_PGM_RSRC2:TRAP_HANDLER: 0
; COMPUTE_PGM_RSRC2:TGID_X_EN: 1
; COMPUTE_PGM_RSRC2:TGID_Y_EN: 0
; COMPUTE_PGM_RSRC2:TGID_Z_EN: 0
; COMPUTE_PGM_RSRC2:TIDIG_COMP_CNT: 0
; COMPUTE_PGM_RSRC3_GFX90A:ACCUM_OFFSET: 0
; COMPUTE_PGM_RSRC3_GFX90A:TG_SPLIT: 0
	.section	.text._ZN7rocprim17ROCPRIM_400000_NS6detail17trampoline_kernelINS0_14default_configENS1_27scan_by_key_config_selectorIjjEEZZNS1_16scan_by_key_implILNS1_25lookback_scan_determinismE0ELb0ES3_N6thrust23THRUST_200600_302600_NS6detail15normal_iteratorINS9_10device_ptrIjEEEESE_SE_jNS9_4plusIvEENS9_8equal_toIvEEjEE10hipError_tPvRmT2_T3_T4_T5_mT6_T7_P12ihipStream_tbENKUlT_T0_E_clISt17integral_constantIbLb0EESZ_EEDaSU_SV_EUlSU_E_NS1_11comp_targetILNS1_3genE10ELNS1_11target_archE1200ELNS1_3gpuE4ELNS1_3repE0EEENS1_30default_config_static_selectorELNS0_4arch9wavefront6targetE1EEEvT1_,"axG",@progbits,_ZN7rocprim17ROCPRIM_400000_NS6detail17trampoline_kernelINS0_14default_configENS1_27scan_by_key_config_selectorIjjEEZZNS1_16scan_by_key_implILNS1_25lookback_scan_determinismE0ELb0ES3_N6thrust23THRUST_200600_302600_NS6detail15normal_iteratorINS9_10device_ptrIjEEEESE_SE_jNS9_4plusIvEENS9_8equal_toIvEEjEE10hipError_tPvRmT2_T3_T4_T5_mT6_T7_P12ihipStream_tbENKUlT_T0_E_clISt17integral_constantIbLb0EESZ_EEDaSU_SV_EUlSU_E_NS1_11comp_targetILNS1_3genE10ELNS1_11target_archE1200ELNS1_3gpuE4ELNS1_3repE0EEENS1_30default_config_static_selectorELNS0_4arch9wavefront6targetE1EEEvT1_,comdat
	.protected	_ZN7rocprim17ROCPRIM_400000_NS6detail17trampoline_kernelINS0_14default_configENS1_27scan_by_key_config_selectorIjjEEZZNS1_16scan_by_key_implILNS1_25lookback_scan_determinismE0ELb0ES3_N6thrust23THRUST_200600_302600_NS6detail15normal_iteratorINS9_10device_ptrIjEEEESE_SE_jNS9_4plusIvEENS9_8equal_toIvEEjEE10hipError_tPvRmT2_T3_T4_T5_mT6_T7_P12ihipStream_tbENKUlT_T0_E_clISt17integral_constantIbLb0EESZ_EEDaSU_SV_EUlSU_E_NS1_11comp_targetILNS1_3genE10ELNS1_11target_archE1200ELNS1_3gpuE4ELNS1_3repE0EEENS1_30default_config_static_selectorELNS0_4arch9wavefront6targetE1EEEvT1_ ; -- Begin function _ZN7rocprim17ROCPRIM_400000_NS6detail17trampoline_kernelINS0_14default_configENS1_27scan_by_key_config_selectorIjjEEZZNS1_16scan_by_key_implILNS1_25lookback_scan_determinismE0ELb0ES3_N6thrust23THRUST_200600_302600_NS6detail15normal_iteratorINS9_10device_ptrIjEEEESE_SE_jNS9_4plusIvEENS9_8equal_toIvEEjEE10hipError_tPvRmT2_T3_T4_T5_mT6_T7_P12ihipStream_tbENKUlT_T0_E_clISt17integral_constantIbLb0EESZ_EEDaSU_SV_EUlSU_E_NS1_11comp_targetILNS1_3genE10ELNS1_11target_archE1200ELNS1_3gpuE4ELNS1_3repE0EEENS1_30default_config_static_selectorELNS0_4arch9wavefront6targetE1EEEvT1_
	.globl	_ZN7rocprim17ROCPRIM_400000_NS6detail17trampoline_kernelINS0_14default_configENS1_27scan_by_key_config_selectorIjjEEZZNS1_16scan_by_key_implILNS1_25lookback_scan_determinismE0ELb0ES3_N6thrust23THRUST_200600_302600_NS6detail15normal_iteratorINS9_10device_ptrIjEEEESE_SE_jNS9_4plusIvEENS9_8equal_toIvEEjEE10hipError_tPvRmT2_T3_T4_T5_mT6_T7_P12ihipStream_tbENKUlT_T0_E_clISt17integral_constantIbLb0EESZ_EEDaSU_SV_EUlSU_E_NS1_11comp_targetILNS1_3genE10ELNS1_11target_archE1200ELNS1_3gpuE4ELNS1_3repE0EEENS1_30default_config_static_selectorELNS0_4arch9wavefront6targetE1EEEvT1_
	.p2align	8
	.type	_ZN7rocprim17ROCPRIM_400000_NS6detail17trampoline_kernelINS0_14default_configENS1_27scan_by_key_config_selectorIjjEEZZNS1_16scan_by_key_implILNS1_25lookback_scan_determinismE0ELb0ES3_N6thrust23THRUST_200600_302600_NS6detail15normal_iteratorINS9_10device_ptrIjEEEESE_SE_jNS9_4plusIvEENS9_8equal_toIvEEjEE10hipError_tPvRmT2_T3_T4_T5_mT6_T7_P12ihipStream_tbENKUlT_T0_E_clISt17integral_constantIbLb0EESZ_EEDaSU_SV_EUlSU_E_NS1_11comp_targetILNS1_3genE10ELNS1_11target_archE1200ELNS1_3gpuE4ELNS1_3repE0EEENS1_30default_config_static_selectorELNS0_4arch9wavefront6targetE1EEEvT1_,@function
_ZN7rocprim17ROCPRIM_400000_NS6detail17trampoline_kernelINS0_14default_configENS1_27scan_by_key_config_selectorIjjEEZZNS1_16scan_by_key_implILNS1_25lookback_scan_determinismE0ELb0ES3_N6thrust23THRUST_200600_302600_NS6detail15normal_iteratorINS9_10device_ptrIjEEEESE_SE_jNS9_4plusIvEENS9_8equal_toIvEEjEE10hipError_tPvRmT2_T3_T4_T5_mT6_T7_P12ihipStream_tbENKUlT_T0_E_clISt17integral_constantIbLb0EESZ_EEDaSU_SV_EUlSU_E_NS1_11comp_targetILNS1_3genE10ELNS1_11target_archE1200ELNS1_3gpuE4ELNS1_3repE0EEENS1_30default_config_static_selectorELNS0_4arch9wavefront6targetE1EEEvT1_: ; @_ZN7rocprim17ROCPRIM_400000_NS6detail17trampoline_kernelINS0_14default_configENS1_27scan_by_key_config_selectorIjjEEZZNS1_16scan_by_key_implILNS1_25lookback_scan_determinismE0ELb0ES3_N6thrust23THRUST_200600_302600_NS6detail15normal_iteratorINS9_10device_ptrIjEEEESE_SE_jNS9_4plusIvEENS9_8equal_toIvEEjEE10hipError_tPvRmT2_T3_T4_T5_mT6_T7_P12ihipStream_tbENKUlT_T0_E_clISt17integral_constantIbLb0EESZ_EEDaSU_SV_EUlSU_E_NS1_11comp_targetILNS1_3genE10ELNS1_11target_archE1200ELNS1_3gpuE4ELNS1_3repE0EEENS1_30default_config_static_selectorELNS0_4arch9wavefront6targetE1EEEvT1_
; %bb.0:
	.section	.rodata,"a",@progbits
	.p2align	6, 0x0
	.amdhsa_kernel _ZN7rocprim17ROCPRIM_400000_NS6detail17trampoline_kernelINS0_14default_configENS1_27scan_by_key_config_selectorIjjEEZZNS1_16scan_by_key_implILNS1_25lookback_scan_determinismE0ELb0ES3_N6thrust23THRUST_200600_302600_NS6detail15normal_iteratorINS9_10device_ptrIjEEEESE_SE_jNS9_4plusIvEENS9_8equal_toIvEEjEE10hipError_tPvRmT2_T3_T4_T5_mT6_T7_P12ihipStream_tbENKUlT_T0_E_clISt17integral_constantIbLb0EESZ_EEDaSU_SV_EUlSU_E_NS1_11comp_targetILNS1_3genE10ELNS1_11target_archE1200ELNS1_3gpuE4ELNS1_3repE0EEENS1_30default_config_static_selectorELNS0_4arch9wavefront6targetE1EEEvT1_
		.amdhsa_group_segment_fixed_size 0
		.amdhsa_private_segment_fixed_size 0
		.amdhsa_kernarg_size 112
		.amdhsa_user_sgpr_count 2
		.amdhsa_user_sgpr_dispatch_ptr 0
		.amdhsa_user_sgpr_queue_ptr 0
		.amdhsa_user_sgpr_kernarg_segment_ptr 1
		.amdhsa_user_sgpr_dispatch_id 0
		.amdhsa_user_sgpr_kernarg_preload_length 0
		.amdhsa_user_sgpr_kernarg_preload_offset 0
		.amdhsa_user_sgpr_private_segment_size 0
		.amdhsa_uses_dynamic_stack 0
		.amdhsa_enable_private_segment 0
		.amdhsa_system_sgpr_workgroup_id_x 1
		.amdhsa_system_sgpr_workgroup_id_y 0
		.amdhsa_system_sgpr_workgroup_id_z 0
		.amdhsa_system_sgpr_workgroup_info 0
		.amdhsa_system_vgpr_workitem_id 0
		.amdhsa_next_free_vgpr 1
		.amdhsa_next_free_sgpr 0
		.amdhsa_accum_offset 4
		.amdhsa_reserve_vcc 0
		.amdhsa_float_round_mode_32 0
		.amdhsa_float_round_mode_16_64 0
		.amdhsa_float_denorm_mode_32 3
		.amdhsa_float_denorm_mode_16_64 3
		.amdhsa_dx10_clamp 1
		.amdhsa_ieee_mode 1
		.amdhsa_fp16_overflow 0
		.amdhsa_tg_split 0
		.amdhsa_exception_fp_ieee_invalid_op 0
		.amdhsa_exception_fp_denorm_src 0
		.amdhsa_exception_fp_ieee_div_zero 0
		.amdhsa_exception_fp_ieee_overflow 0
		.amdhsa_exception_fp_ieee_underflow 0
		.amdhsa_exception_fp_ieee_inexact 0
		.amdhsa_exception_int_div_zero 0
	.end_amdhsa_kernel
	.section	.text._ZN7rocprim17ROCPRIM_400000_NS6detail17trampoline_kernelINS0_14default_configENS1_27scan_by_key_config_selectorIjjEEZZNS1_16scan_by_key_implILNS1_25lookback_scan_determinismE0ELb0ES3_N6thrust23THRUST_200600_302600_NS6detail15normal_iteratorINS9_10device_ptrIjEEEESE_SE_jNS9_4plusIvEENS9_8equal_toIvEEjEE10hipError_tPvRmT2_T3_T4_T5_mT6_T7_P12ihipStream_tbENKUlT_T0_E_clISt17integral_constantIbLb0EESZ_EEDaSU_SV_EUlSU_E_NS1_11comp_targetILNS1_3genE10ELNS1_11target_archE1200ELNS1_3gpuE4ELNS1_3repE0EEENS1_30default_config_static_selectorELNS0_4arch9wavefront6targetE1EEEvT1_,"axG",@progbits,_ZN7rocprim17ROCPRIM_400000_NS6detail17trampoline_kernelINS0_14default_configENS1_27scan_by_key_config_selectorIjjEEZZNS1_16scan_by_key_implILNS1_25lookback_scan_determinismE0ELb0ES3_N6thrust23THRUST_200600_302600_NS6detail15normal_iteratorINS9_10device_ptrIjEEEESE_SE_jNS9_4plusIvEENS9_8equal_toIvEEjEE10hipError_tPvRmT2_T3_T4_T5_mT6_T7_P12ihipStream_tbENKUlT_T0_E_clISt17integral_constantIbLb0EESZ_EEDaSU_SV_EUlSU_E_NS1_11comp_targetILNS1_3genE10ELNS1_11target_archE1200ELNS1_3gpuE4ELNS1_3repE0EEENS1_30default_config_static_selectorELNS0_4arch9wavefront6targetE1EEEvT1_,comdat
.Lfunc_end1832:
	.size	_ZN7rocprim17ROCPRIM_400000_NS6detail17trampoline_kernelINS0_14default_configENS1_27scan_by_key_config_selectorIjjEEZZNS1_16scan_by_key_implILNS1_25lookback_scan_determinismE0ELb0ES3_N6thrust23THRUST_200600_302600_NS6detail15normal_iteratorINS9_10device_ptrIjEEEESE_SE_jNS9_4plusIvEENS9_8equal_toIvEEjEE10hipError_tPvRmT2_T3_T4_T5_mT6_T7_P12ihipStream_tbENKUlT_T0_E_clISt17integral_constantIbLb0EESZ_EEDaSU_SV_EUlSU_E_NS1_11comp_targetILNS1_3genE10ELNS1_11target_archE1200ELNS1_3gpuE4ELNS1_3repE0EEENS1_30default_config_static_selectorELNS0_4arch9wavefront6targetE1EEEvT1_, .Lfunc_end1832-_ZN7rocprim17ROCPRIM_400000_NS6detail17trampoline_kernelINS0_14default_configENS1_27scan_by_key_config_selectorIjjEEZZNS1_16scan_by_key_implILNS1_25lookback_scan_determinismE0ELb0ES3_N6thrust23THRUST_200600_302600_NS6detail15normal_iteratorINS9_10device_ptrIjEEEESE_SE_jNS9_4plusIvEENS9_8equal_toIvEEjEE10hipError_tPvRmT2_T3_T4_T5_mT6_T7_P12ihipStream_tbENKUlT_T0_E_clISt17integral_constantIbLb0EESZ_EEDaSU_SV_EUlSU_E_NS1_11comp_targetILNS1_3genE10ELNS1_11target_archE1200ELNS1_3gpuE4ELNS1_3repE0EEENS1_30default_config_static_selectorELNS0_4arch9wavefront6targetE1EEEvT1_
                                        ; -- End function
	.section	.AMDGPU.csdata,"",@progbits
; Kernel info:
; codeLenInByte = 0
; NumSgprs: 6
; NumVgprs: 0
; NumAgprs: 0
; TotalNumVgprs: 0
; ScratchSize: 0
; MemoryBound: 0
; FloatMode: 240
; IeeeMode: 1
; LDSByteSize: 0 bytes/workgroup (compile time only)
; SGPRBlocks: 0
; VGPRBlocks: 0
; NumSGPRsForWavesPerEU: 6
; NumVGPRsForWavesPerEU: 1
; AccumOffset: 4
; Occupancy: 8
; WaveLimiterHint : 0
; COMPUTE_PGM_RSRC2:SCRATCH_EN: 0
; COMPUTE_PGM_RSRC2:USER_SGPR: 2
; COMPUTE_PGM_RSRC2:TRAP_HANDLER: 0
; COMPUTE_PGM_RSRC2:TGID_X_EN: 1
; COMPUTE_PGM_RSRC2:TGID_Y_EN: 0
; COMPUTE_PGM_RSRC2:TGID_Z_EN: 0
; COMPUTE_PGM_RSRC2:TIDIG_COMP_CNT: 0
; COMPUTE_PGM_RSRC3_GFX90A:ACCUM_OFFSET: 0
; COMPUTE_PGM_RSRC3_GFX90A:TG_SPLIT: 0
	.section	.text._ZN7rocprim17ROCPRIM_400000_NS6detail17trampoline_kernelINS0_14default_configENS1_27scan_by_key_config_selectorIjjEEZZNS1_16scan_by_key_implILNS1_25lookback_scan_determinismE0ELb0ES3_N6thrust23THRUST_200600_302600_NS6detail15normal_iteratorINS9_10device_ptrIjEEEESE_SE_jNS9_4plusIvEENS9_8equal_toIvEEjEE10hipError_tPvRmT2_T3_T4_T5_mT6_T7_P12ihipStream_tbENKUlT_T0_E_clISt17integral_constantIbLb0EESZ_EEDaSU_SV_EUlSU_E_NS1_11comp_targetILNS1_3genE9ELNS1_11target_archE1100ELNS1_3gpuE3ELNS1_3repE0EEENS1_30default_config_static_selectorELNS0_4arch9wavefront6targetE1EEEvT1_,"axG",@progbits,_ZN7rocprim17ROCPRIM_400000_NS6detail17trampoline_kernelINS0_14default_configENS1_27scan_by_key_config_selectorIjjEEZZNS1_16scan_by_key_implILNS1_25lookback_scan_determinismE0ELb0ES3_N6thrust23THRUST_200600_302600_NS6detail15normal_iteratorINS9_10device_ptrIjEEEESE_SE_jNS9_4plusIvEENS9_8equal_toIvEEjEE10hipError_tPvRmT2_T3_T4_T5_mT6_T7_P12ihipStream_tbENKUlT_T0_E_clISt17integral_constantIbLb0EESZ_EEDaSU_SV_EUlSU_E_NS1_11comp_targetILNS1_3genE9ELNS1_11target_archE1100ELNS1_3gpuE3ELNS1_3repE0EEENS1_30default_config_static_selectorELNS0_4arch9wavefront6targetE1EEEvT1_,comdat
	.protected	_ZN7rocprim17ROCPRIM_400000_NS6detail17trampoline_kernelINS0_14default_configENS1_27scan_by_key_config_selectorIjjEEZZNS1_16scan_by_key_implILNS1_25lookback_scan_determinismE0ELb0ES3_N6thrust23THRUST_200600_302600_NS6detail15normal_iteratorINS9_10device_ptrIjEEEESE_SE_jNS9_4plusIvEENS9_8equal_toIvEEjEE10hipError_tPvRmT2_T3_T4_T5_mT6_T7_P12ihipStream_tbENKUlT_T0_E_clISt17integral_constantIbLb0EESZ_EEDaSU_SV_EUlSU_E_NS1_11comp_targetILNS1_3genE9ELNS1_11target_archE1100ELNS1_3gpuE3ELNS1_3repE0EEENS1_30default_config_static_selectorELNS0_4arch9wavefront6targetE1EEEvT1_ ; -- Begin function _ZN7rocprim17ROCPRIM_400000_NS6detail17trampoline_kernelINS0_14default_configENS1_27scan_by_key_config_selectorIjjEEZZNS1_16scan_by_key_implILNS1_25lookback_scan_determinismE0ELb0ES3_N6thrust23THRUST_200600_302600_NS6detail15normal_iteratorINS9_10device_ptrIjEEEESE_SE_jNS9_4plusIvEENS9_8equal_toIvEEjEE10hipError_tPvRmT2_T3_T4_T5_mT6_T7_P12ihipStream_tbENKUlT_T0_E_clISt17integral_constantIbLb0EESZ_EEDaSU_SV_EUlSU_E_NS1_11comp_targetILNS1_3genE9ELNS1_11target_archE1100ELNS1_3gpuE3ELNS1_3repE0EEENS1_30default_config_static_selectorELNS0_4arch9wavefront6targetE1EEEvT1_
	.globl	_ZN7rocprim17ROCPRIM_400000_NS6detail17trampoline_kernelINS0_14default_configENS1_27scan_by_key_config_selectorIjjEEZZNS1_16scan_by_key_implILNS1_25lookback_scan_determinismE0ELb0ES3_N6thrust23THRUST_200600_302600_NS6detail15normal_iteratorINS9_10device_ptrIjEEEESE_SE_jNS9_4plusIvEENS9_8equal_toIvEEjEE10hipError_tPvRmT2_T3_T4_T5_mT6_T7_P12ihipStream_tbENKUlT_T0_E_clISt17integral_constantIbLb0EESZ_EEDaSU_SV_EUlSU_E_NS1_11comp_targetILNS1_3genE9ELNS1_11target_archE1100ELNS1_3gpuE3ELNS1_3repE0EEENS1_30default_config_static_selectorELNS0_4arch9wavefront6targetE1EEEvT1_
	.p2align	8
	.type	_ZN7rocprim17ROCPRIM_400000_NS6detail17trampoline_kernelINS0_14default_configENS1_27scan_by_key_config_selectorIjjEEZZNS1_16scan_by_key_implILNS1_25lookback_scan_determinismE0ELb0ES3_N6thrust23THRUST_200600_302600_NS6detail15normal_iteratorINS9_10device_ptrIjEEEESE_SE_jNS9_4plusIvEENS9_8equal_toIvEEjEE10hipError_tPvRmT2_T3_T4_T5_mT6_T7_P12ihipStream_tbENKUlT_T0_E_clISt17integral_constantIbLb0EESZ_EEDaSU_SV_EUlSU_E_NS1_11comp_targetILNS1_3genE9ELNS1_11target_archE1100ELNS1_3gpuE3ELNS1_3repE0EEENS1_30default_config_static_selectorELNS0_4arch9wavefront6targetE1EEEvT1_,@function
_ZN7rocprim17ROCPRIM_400000_NS6detail17trampoline_kernelINS0_14default_configENS1_27scan_by_key_config_selectorIjjEEZZNS1_16scan_by_key_implILNS1_25lookback_scan_determinismE0ELb0ES3_N6thrust23THRUST_200600_302600_NS6detail15normal_iteratorINS9_10device_ptrIjEEEESE_SE_jNS9_4plusIvEENS9_8equal_toIvEEjEE10hipError_tPvRmT2_T3_T4_T5_mT6_T7_P12ihipStream_tbENKUlT_T0_E_clISt17integral_constantIbLb0EESZ_EEDaSU_SV_EUlSU_E_NS1_11comp_targetILNS1_3genE9ELNS1_11target_archE1100ELNS1_3gpuE3ELNS1_3repE0EEENS1_30default_config_static_selectorELNS0_4arch9wavefront6targetE1EEEvT1_: ; @_ZN7rocprim17ROCPRIM_400000_NS6detail17trampoline_kernelINS0_14default_configENS1_27scan_by_key_config_selectorIjjEEZZNS1_16scan_by_key_implILNS1_25lookback_scan_determinismE0ELb0ES3_N6thrust23THRUST_200600_302600_NS6detail15normal_iteratorINS9_10device_ptrIjEEEESE_SE_jNS9_4plusIvEENS9_8equal_toIvEEjEE10hipError_tPvRmT2_T3_T4_T5_mT6_T7_P12ihipStream_tbENKUlT_T0_E_clISt17integral_constantIbLb0EESZ_EEDaSU_SV_EUlSU_E_NS1_11comp_targetILNS1_3genE9ELNS1_11target_archE1100ELNS1_3gpuE3ELNS1_3repE0EEENS1_30default_config_static_selectorELNS0_4arch9wavefront6targetE1EEEvT1_
; %bb.0:
	.section	.rodata,"a",@progbits
	.p2align	6, 0x0
	.amdhsa_kernel _ZN7rocprim17ROCPRIM_400000_NS6detail17trampoline_kernelINS0_14default_configENS1_27scan_by_key_config_selectorIjjEEZZNS1_16scan_by_key_implILNS1_25lookback_scan_determinismE0ELb0ES3_N6thrust23THRUST_200600_302600_NS6detail15normal_iteratorINS9_10device_ptrIjEEEESE_SE_jNS9_4plusIvEENS9_8equal_toIvEEjEE10hipError_tPvRmT2_T3_T4_T5_mT6_T7_P12ihipStream_tbENKUlT_T0_E_clISt17integral_constantIbLb0EESZ_EEDaSU_SV_EUlSU_E_NS1_11comp_targetILNS1_3genE9ELNS1_11target_archE1100ELNS1_3gpuE3ELNS1_3repE0EEENS1_30default_config_static_selectorELNS0_4arch9wavefront6targetE1EEEvT1_
		.amdhsa_group_segment_fixed_size 0
		.amdhsa_private_segment_fixed_size 0
		.amdhsa_kernarg_size 112
		.amdhsa_user_sgpr_count 2
		.amdhsa_user_sgpr_dispatch_ptr 0
		.amdhsa_user_sgpr_queue_ptr 0
		.amdhsa_user_sgpr_kernarg_segment_ptr 1
		.amdhsa_user_sgpr_dispatch_id 0
		.amdhsa_user_sgpr_kernarg_preload_length 0
		.amdhsa_user_sgpr_kernarg_preload_offset 0
		.amdhsa_user_sgpr_private_segment_size 0
		.amdhsa_uses_dynamic_stack 0
		.amdhsa_enable_private_segment 0
		.amdhsa_system_sgpr_workgroup_id_x 1
		.amdhsa_system_sgpr_workgroup_id_y 0
		.amdhsa_system_sgpr_workgroup_id_z 0
		.amdhsa_system_sgpr_workgroup_info 0
		.amdhsa_system_vgpr_workitem_id 0
		.amdhsa_next_free_vgpr 1
		.amdhsa_next_free_sgpr 0
		.amdhsa_accum_offset 4
		.amdhsa_reserve_vcc 0
		.amdhsa_float_round_mode_32 0
		.amdhsa_float_round_mode_16_64 0
		.amdhsa_float_denorm_mode_32 3
		.amdhsa_float_denorm_mode_16_64 3
		.amdhsa_dx10_clamp 1
		.amdhsa_ieee_mode 1
		.amdhsa_fp16_overflow 0
		.amdhsa_tg_split 0
		.amdhsa_exception_fp_ieee_invalid_op 0
		.amdhsa_exception_fp_denorm_src 0
		.amdhsa_exception_fp_ieee_div_zero 0
		.amdhsa_exception_fp_ieee_overflow 0
		.amdhsa_exception_fp_ieee_underflow 0
		.amdhsa_exception_fp_ieee_inexact 0
		.amdhsa_exception_int_div_zero 0
	.end_amdhsa_kernel
	.section	.text._ZN7rocprim17ROCPRIM_400000_NS6detail17trampoline_kernelINS0_14default_configENS1_27scan_by_key_config_selectorIjjEEZZNS1_16scan_by_key_implILNS1_25lookback_scan_determinismE0ELb0ES3_N6thrust23THRUST_200600_302600_NS6detail15normal_iteratorINS9_10device_ptrIjEEEESE_SE_jNS9_4plusIvEENS9_8equal_toIvEEjEE10hipError_tPvRmT2_T3_T4_T5_mT6_T7_P12ihipStream_tbENKUlT_T0_E_clISt17integral_constantIbLb0EESZ_EEDaSU_SV_EUlSU_E_NS1_11comp_targetILNS1_3genE9ELNS1_11target_archE1100ELNS1_3gpuE3ELNS1_3repE0EEENS1_30default_config_static_selectorELNS0_4arch9wavefront6targetE1EEEvT1_,"axG",@progbits,_ZN7rocprim17ROCPRIM_400000_NS6detail17trampoline_kernelINS0_14default_configENS1_27scan_by_key_config_selectorIjjEEZZNS1_16scan_by_key_implILNS1_25lookback_scan_determinismE0ELb0ES3_N6thrust23THRUST_200600_302600_NS6detail15normal_iteratorINS9_10device_ptrIjEEEESE_SE_jNS9_4plusIvEENS9_8equal_toIvEEjEE10hipError_tPvRmT2_T3_T4_T5_mT6_T7_P12ihipStream_tbENKUlT_T0_E_clISt17integral_constantIbLb0EESZ_EEDaSU_SV_EUlSU_E_NS1_11comp_targetILNS1_3genE9ELNS1_11target_archE1100ELNS1_3gpuE3ELNS1_3repE0EEENS1_30default_config_static_selectorELNS0_4arch9wavefront6targetE1EEEvT1_,comdat
.Lfunc_end1833:
	.size	_ZN7rocprim17ROCPRIM_400000_NS6detail17trampoline_kernelINS0_14default_configENS1_27scan_by_key_config_selectorIjjEEZZNS1_16scan_by_key_implILNS1_25lookback_scan_determinismE0ELb0ES3_N6thrust23THRUST_200600_302600_NS6detail15normal_iteratorINS9_10device_ptrIjEEEESE_SE_jNS9_4plusIvEENS9_8equal_toIvEEjEE10hipError_tPvRmT2_T3_T4_T5_mT6_T7_P12ihipStream_tbENKUlT_T0_E_clISt17integral_constantIbLb0EESZ_EEDaSU_SV_EUlSU_E_NS1_11comp_targetILNS1_3genE9ELNS1_11target_archE1100ELNS1_3gpuE3ELNS1_3repE0EEENS1_30default_config_static_selectorELNS0_4arch9wavefront6targetE1EEEvT1_, .Lfunc_end1833-_ZN7rocprim17ROCPRIM_400000_NS6detail17trampoline_kernelINS0_14default_configENS1_27scan_by_key_config_selectorIjjEEZZNS1_16scan_by_key_implILNS1_25lookback_scan_determinismE0ELb0ES3_N6thrust23THRUST_200600_302600_NS6detail15normal_iteratorINS9_10device_ptrIjEEEESE_SE_jNS9_4plusIvEENS9_8equal_toIvEEjEE10hipError_tPvRmT2_T3_T4_T5_mT6_T7_P12ihipStream_tbENKUlT_T0_E_clISt17integral_constantIbLb0EESZ_EEDaSU_SV_EUlSU_E_NS1_11comp_targetILNS1_3genE9ELNS1_11target_archE1100ELNS1_3gpuE3ELNS1_3repE0EEENS1_30default_config_static_selectorELNS0_4arch9wavefront6targetE1EEEvT1_
                                        ; -- End function
	.section	.AMDGPU.csdata,"",@progbits
; Kernel info:
; codeLenInByte = 0
; NumSgprs: 6
; NumVgprs: 0
; NumAgprs: 0
; TotalNumVgprs: 0
; ScratchSize: 0
; MemoryBound: 0
; FloatMode: 240
; IeeeMode: 1
; LDSByteSize: 0 bytes/workgroup (compile time only)
; SGPRBlocks: 0
; VGPRBlocks: 0
; NumSGPRsForWavesPerEU: 6
; NumVGPRsForWavesPerEU: 1
; AccumOffset: 4
; Occupancy: 8
; WaveLimiterHint : 0
; COMPUTE_PGM_RSRC2:SCRATCH_EN: 0
; COMPUTE_PGM_RSRC2:USER_SGPR: 2
; COMPUTE_PGM_RSRC2:TRAP_HANDLER: 0
; COMPUTE_PGM_RSRC2:TGID_X_EN: 1
; COMPUTE_PGM_RSRC2:TGID_Y_EN: 0
; COMPUTE_PGM_RSRC2:TGID_Z_EN: 0
; COMPUTE_PGM_RSRC2:TIDIG_COMP_CNT: 0
; COMPUTE_PGM_RSRC3_GFX90A:ACCUM_OFFSET: 0
; COMPUTE_PGM_RSRC3_GFX90A:TG_SPLIT: 0
	.section	.text._ZN7rocprim17ROCPRIM_400000_NS6detail17trampoline_kernelINS0_14default_configENS1_27scan_by_key_config_selectorIjjEEZZNS1_16scan_by_key_implILNS1_25lookback_scan_determinismE0ELb0ES3_N6thrust23THRUST_200600_302600_NS6detail15normal_iteratorINS9_10device_ptrIjEEEESE_SE_jNS9_4plusIvEENS9_8equal_toIvEEjEE10hipError_tPvRmT2_T3_T4_T5_mT6_T7_P12ihipStream_tbENKUlT_T0_E_clISt17integral_constantIbLb0EESZ_EEDaSU_SV_EUlSU_E_NS1_11comp_targetILNS1_3genE8ELNS1_11target_archE1030ELNS1_3gpuE2ELNS1_3repE0EEENS1_30default_config_static_selectorELNS0_4arch9wavefront6targetE1EEEvT1_,"axG",@progbits,_ZN7rocprim17ROCPRIM_400000_NS6detail17trampoline_kernelINS0_14default_configENS1_27scan_by_key_config_selectorIjjEEZZNS1_16scan_by_key_implILNS1_25lookback_scan_determinismE0ELb0ES3_N6thrust23THRUST_200600_302600_NS6detail15normal_iteratorINS9_10device_ptrIjEEEESE_SE_jNS9_4plusIvEENS9_8equal_toIvEEjEE10hipError_tPvRmT2_T3_T4_T5_mT6_T7_P12ihipStream_tbENKUlT_T0_E_clISt17integral_constantIbLb0EESZ_EEDaSU_SV_EUlSU_E_NS1_11comp_targetILNS1_3genE8ELNS1_11target_archE1030ELNS1_3gpuE2ELNS1_3repE0EEENS1_30default_config_static_selectorELNS0_4arch9wavefront6targetE1EEEvT1_,comdat
	.protected	_ZN7rocprim17ROCPRIM_400000_NS6detail17trampoline_kernelINS0_14default_configENS1_27scan_by_key_config_selectorIjjEEZZNS1_16scan_by_key_implILNS1_25lookback_scan_determinismE0ELb0ES3_N6thrust23THRUST_200600_302600_NS6detail15normal_iteratorINS9_10device_ptrIjEEEESE_SE_jNS9_4plusIvEENS9_8equal_toIvEEjEE10hipError_tPvRmT2_T3_T4_T5_mT6_T7_P12ihipStream_tbENKUlT_T0_E_clISt17integral_constantIbLb0EESZ_EEDaSU_SV_EUlSU_E_NS1_11comp_targetILNS1_3genE8ELNS1_11target_archE1030ELNS1_3gpuE2ELNS1_3repE0EEENS1_30default_config_static_selectorELNS0_4arch9wavefront6targetE1EEEvT1_ ; -- Begin function _ZN7rocprim17ROCPRIM_400000_NS6detail17trampoline_kernelINS0_14default_configENS1_27scan_by_key_config_selectorIjjEEZZNS1_16scan_by_key_implILNS1_25lookback_scan_determinismE0ELb0ES3_N6thrust23THRUST_200600_302600_NS6detail15normal_iteratorINS9_10device_ptrIjEEEESE_SE_jNS9_4plusIvEENS9_8equal_toIvEEjEE10hipError_tPvRmT2_T3_T4_T5_mT6_T7_P12ihipStream_tbENKUlT_T0_E_clISt17integral_constantIbLb0EESZ_EEDaSU_SV_EUlSU_E_NS1_11comp_targetILNS1_3genE8ELNS1_11target_archE1030ELNS1_3gpuE2ELNS1_3repE0EEENS1_30default_config_static_selectorELNS0_4arch9wavefront6targetE1EEEvT1_
	.globl	_ZN7rocprim17ROCPRIM_400000_NS6detail17trampoline_kernelINS0_14default_configENS1_27scan_by_key_config_selectorIjjEEZZNS1_16scan_by_key_implILNS1_25lookback_scan_determinismE0ELb0ES3_N6thrust23THRUST_200600_302600_NS6detail15normal_iteratorINS9_10device_ptrIjEEEESE_SE_jNS9_4plusIvEENS9_8equal_toIvEEjEE10hipError_tPvRmT2_T3_T4_T5_mT6_T7_P12ihipStream_tbENKUlT_T0_E_clISt17integral_constantIbLb0EESZ_EEDaSU_SV_EUlSU_E_NS1_11comp_targetILNS1_3genE8ELNS1_11target_archE1030ELNS1_3gpuE2ELNS1_3repE0EEENS1_30default_config_static_selectorELNS0_4arch9wavefront6targetE1EEEvT1_
	.p2align	8
	.type	_ZN7rocprim17ROCPRIM_400000_NS6detail17trampoline_kernelINS0_14default_configENS1_27scan_by_key_config_selectorIjjEEZZNS1_16scan_by_key_implILNS1_25lookback_scan_determinismE0ELb0ES3_N6thrust23THRUST_200600_302600_NS6detail15normal_iteratorINS9_10device_ptrIjEEEESE_SE_jNS9_4plusIvEENS9_8equal_toIvEEjEE10hipError_tPvRmT2_T3_T4_T5_mT6_T7_P12ihipStream_tbENKUlT_T0_E_clISt17integral_constantIbLb0EESZ_EEDaSU_SV_EUlSU_E_NS1_11comp_targetILNS1_3genE8ELNS1_11target_archE1030ELNS1_3gpuE2ELNS1_3repE0EEENS1_30default_config_static_selectorELNS0_4arch9wavefront6targetE1EEEvT1_,@function
_ZN7rocprim17ROCPRIM_400000_NS6detail17trampoline_kernelINS0_14default_configENS1_27scan_by_key_config_selectorIjjEEZZNS1_16scan_by_key_implILNS1_25lookback_scan_determinismE0ELb0ES3_N6thrust23THRUST_200600_302600_NS6detail15normal_iteratorINS9_10device_ptrIjEEEESE_SE_jNS9_4plusIvEENS9_8equal_toIvEEjEE10hipError_tPvRmT2_T3_T4_T5_mT6_T7_P12ihipStream_tbENKUlT_T0_E_clISt17integral_constantIbLb0EESZ_EEDaSU_SV_EUlSU_E_NS1_11comp_targetILNS1_3genE8ELNS1_11target_archE1030ELNS1_3gpuE2ELNS1_3repE0EEENS1_30default_config_static_selectorELNS0_4arch9wavefront6targetE1EEEvT1_: ; @_ZN7rocprim17ROCPRIM_400000_NS6detail17trampoline_kernelINS0_14default_configENS1_27scan_by_key_config_selectorIjjEEZZNS1_16scan_by_key_implILNS1_25lookback_scan_determinismE0ELb0ES3_N6thrust23THRUST_200600_302600_NS6detail15normal_iteratorINS9_10device_ptrIjEEEESE_SE_jNS9_4plusIvEENS9_8equal_toIvEEjEE10hipError_tPvRmT2_T3_T4_T5_mT6_T7_P12ihipStream_tbENKUlT_T0_E_clISt17integral_constantIbLb0EESZ_EEDaSU_SV_EUlSU_E_NS1_11comp_targetILNS1_3genE8ELNS1_11target_archE1030ELNS1_3gpuE2ELNS1_3repE0EEENS1_30default_config_static_selectorELNS0_4arch9wavefront6targetE1EEEvT1_
; %bb.0:
	.section	.rodata,"a",@progbits
	.p2align	6, 0x0
	.amdhsa_kernel _ZN7rocprim17ROCPRIM_400000_NS6detail17trampoline_kernelINS0_14default_configENS1_27scan_by_key_config_selectorIjjEEZZNS1_16scan_by_key_implILNS1_25lookback_scan_determinismE0ELb0ES3_N6thrust23THRUST_200600_302600_NS6detail15normal_iteratorINS9_10device_ptrIjEEEESE_SE_jNS9_4plusIvEENS9_8equal_toIvEEjEE10hipError_tPvRmT2_T3_T4_T5_mT6_T7_P12ihipStream_tbENKUlT_T0_E_clISt17integral_constantIbLb0EESZ_EEDaSU_SV_EUlSU_E_NS1_11comp_targetILNS1_3genE8ELNS1_11target_archE1030ELNS1_3gpuE2ELNS1_3repE0EEENS1_30default_config_static_selectorELNS0_4arch9wavefront6targetE1EEEvT1_
		.amdhsa_group_segment_fixed_size 0
		.amdhsa_private_segment_fixed_size 0
		.amdhsa_kernarg_size 112
		.amdhsa_user_sgpr_count 2
		.amdhsa_user_sgpr_dispatch_ptr 0
		.amdhsa_user_sgpr_queue_ptr 0
		.amdhsa_user_sgpr_kernarg_segment_ptr 1
		.amdhsa_user_sgpr_dispatch_id 0
		.amdhsa_user_sgpr_kernarg_preload_length 0
		.amdhsa_user_sgpr_kernarg_preload_offset 0
		.amdhsa_user_sgpr_private_segment_size 0
		.amdhsa_uses_dynamic_stack 0
		.amdhsa_enable_private_segment 0
		.amdhsa_system_sgpr_workgroup_id_x 1
		.amdhsa_system_sgpr_workgroup_id_y 0
		.amdhsa_system_sgpr_workgroup_id_z 0
		.amdhsa_system_sgpr_workgroup_info 0
		.amdhsa_system_vgpr_workitem_id 0
		.amdhsa_next_free_vgpr 1
		.amdhsa_next_free_sgpr 0
		.amdhsa_accum_offset 4
		.amdhsa_reserve_vcc 0
		.amdhsa_float_round_mode_32 0
		.amdhsa_float_round_mode_16_64 0
		.amdhsa_float_denorm_mode_32 3
		.amdhsa_float_denorm_mode_16_64 3
		.amdhsa_dx10_clamp 1
		.amdhsa_ieee_mode 1
		.amdhsa_fp16_overflow 0
		.amdhsa_tg_split 0
		.amdhsa_exception_fp_ieee_invalid_op 0
		.amdhsa_exception_fp_denorm_src 0
		.amdhsa_exception_fp_ieee_div_zero 0
		.amdhsa_exception_fp_ieee_overflow 0
		.amdhsa_exception_fp_ieee_underflow 0
		.amdhsa_exception_fp_ieee_inexact 0
		.amdhsa_exception_int_div_zero 0
	.end_amdhsa_kernel
	.section	.text._ZN7rocprim17ROCPRIM_400000_NS6detail17trampoline_kernelINS0_14default_configENS1_27scan_by_key_config_selectorIjjEEZZNS1_16scan_by_key_implILNS1_25lookback_scan_determinismE0ELb0ES3_N6thrust23THRUST_200600_302600_NS6detail15normal_iteratorINS9_10device_ptrIjEEEESE_SE_jNS9_4plusIvEENS9_8equal_toIvEEjEE10hipError_tPvRmT2_T3_T4_T5_mT6_T7_P12ihipStream_tbENKUlT_T0_E_clISt17integral_constantIbLb0EESZ_EEDaSU_SV_EUlSU_E_NS1_11comp_targetILNS1_3genE8ELNS1_11target_archE1030ELNS1_3gpuE2ELNS1_3repE0EEENS1_30default_config_static_selectorELNS0_4arch9wavefront6targetE1EEEvT1_,"axG",@progbits,_ZN7rocprim17ROCPRIM_400000_NS6detail17trampoline_kernelINS0_14default_configENS1_27scan_by_key_config_selectorIjjEEZZNS1_16scan_by_key_implILNS1_25lookback_scan_determinismE0ELb0ES3_N6thrust23THRUST_200600_302600_NS6detail15normal_iteratorINS9_10device_ptrIjEEEESE_SE_jNS9_4plusIvEENS9_8equal_toIvEEjEE10hipError_tPvRmT2_T3_T4_T5_mT6_T7_P12ihipStream_tbENKUlT_T0_E_clISt17integral_constantIbLb0EESZ_EEDaSU_SV_EUlSU_E_NS1_11comp_targetILNS1_3genE8ELNS1_11target_archE1030ELNS1_3gpuE2ELNS1_3repE0EEENS1_30default_config_static_selectorELNS0_4arch9wavefront6targetE1EEEvT1_,comdat
.Lfunc_end1834:
	.size	_ZN7rocprim17ROCPRIM_400000_NS6detail17trampoline_kernelINS0_14default_configENS1_27scan_by_key_config_selectorIjjEEZZNS1_16scan_by_key_implILNS1_25lookback_scan_determinismE0ELb0ES3_N6thrust23THRUST_200600_302600_NS6detail15normal_iteratorINS9_10device_ptrIjEEEESE_SE_jNS9_4plusIvEENS9_8equal_toIvEEjEE10hipError_tPvRmT2_T3_T4_T5_mT6_T7_P12ihipStream_tbENKUlT_T0_E_clISt17integral_constantIbLb0EESZ_EEDaSU_SV_EUlSU_E_NS1_11comp_targetILNS1_3genE8ELNS1_11target_archE1030ELNS1_3gpuE2ELNS1_3repE0EEENS1_30default_config_static_selectorELNS0_4arch9wavefront6targetE1EEEvT1_, .Lfunc_end1834-_ZN7rocprim17ROCPRIM_400000_NS6detail17trampoline_kernelINS0_14default_configENS1_27scan_by_key_config_selectorIjjEEZZNS1_16scan_by_key_implILNS1_25lookback_scan_determinismE0ELb0ES3_N6thrust23THRUST_200600_302600_NS6detail15normal_iteratorINS9_10device_ptrIjEEEESE_SE_jNS9_4plusIvEENS9_8equal_toIvEEjEE10hipError_tPvRmT2_T3_T4_T5_mT6_T7_P12ihipStream_tbENKUlT_T0_E_clISt17integral_constantIbLb0EESZ_EEDaSU_SV_EUlSU_E_NS1_11comp_targetILNS1_3genE8ELNS1_11target_archE1030ELNS1_3gpuE2ELNS1_3repE0EEENS1_30default_config_static_selectorELNS0_4arch9wavefront6targetE1EEEvT1_
                                        ; -- End function
	.section	.AMDGPU.csdata,"",@progbits
; Kernel info:
; codeLenInByte = 0
; NumSgprs: 6
; NumVgprs: 0
; NumAgprs: 0
; TotalNumVgprs: 0
; ScratchSize: 0
; MemoryBound: 0
; FloatMode: 240
; IeeeMode: 1
; LDSByteSize: 0 bytes/workgroup (compile time only)
; SGPRBlocks: 0
; VGPRBlocks: 0
; NumSGPRsForWavesPerEU: 6
; NumVGPRsForWavesPerEU: 1
; AccumOffset: 4
; Occupancy: 8
; WaveLimiterHint : 0
; COMPUTE_PGM_RSRC2:SCRATCH_EN: 0
; COMPUTE_PGM_RSRC2:USER_SGPR: 2
; COMPUTE_PGM_RSRC2:TRAP_HANDLER: 0
; COMPUTE_PGM_RSRC2:TGID_X_EN: 1
; COMPUTE_PGM_RSRC2:TGID_Y_EN: 0
; COMPUTE_PGM_RSRC2:TGID_Z_EN: 0
; COMPUTE_PGM_RSRC2:TIDIG_COMP_CNT: 0
; COMPUTE_PGM_RSRC3_GFX90A:ACCUM_OFFSET: 0
; COMPUTE_PGM_RSRC3_GFX90A:TG_SPLIT: 0
	.section	.text._ZN7rocprim17ROCPRIM_400000_NS6detail30init_device_scan_by_key_kernelINS1_19lookback_scan_stateINS0_5tupleIJjbEEELb1ELb1EEEN6thrust23THRUST_200600_302600_NS6detail15normal_iteratorINS8_10device_ptrIjEEEEjNS1_16block_id_wrapperIjLb1EEEEEvT_jjPNSG_10value_typeET0_PNSt15iterator_traitsISJ_E10value_typeEmT1_T2_,"axG",@progbits,_ZN7rocprim17ROCPRIM_400000_NS6detail30init_device_scan_by_key_kernelINS1_19lookback_scan_stateINS0_5tupleIJjbEEELb1ELb1EEEN6thrust23THRUST_200600_302600_NS6detail15normal_iteratorINS8_10device_ptrIjEEEEjNS1_16block_id_wrapperIjLb1EEEEEvT_jjPNSG_10value_typeET0_PNSt15iterator_traitsISJ_E10value_typeEmT1_T2_,comdat
	.protected	_ZN7rocprim17ROCPRIM_400000_NS6detail30init_device_scan_by_key_kernelINS1_19lookback_scan_stateINS0_5tupleIJjbEEELb1ELb1EEEN6thrust23THRUST_200600_302600_NS6detail15normal_iteratorINS8_10device_ptrIjEEEEjNS1_16block_id_wrapperIjLb1EEEEEvT_jjPNSG_10value_typeET0_PNSt15iterator_traitsISJ_E10value_typeEmT1_T2_ ; -- Begin function _ZN7rocprim17ROCPRIM_400000_NS6detail30init_device_scan_by_key_kernelINS1_19lookback_scan_stateINS0_5tupleIJjbEEELb1ELb1EEEN6thrust23THRUST_200600_302600_NS6detail15normal_iteratorINS8_10device_ptrIjEEEEjNS1_16block_id_wrapperIjLb1EEEEEvT_jjPNSG_10value_typeET0_PNSt15iterator_traitsISJ_E10value_typeEmT1_T2_
	.globl	_ZN7rocprim17ROCPRIM_400000_NS6detail30init_device_scan_by_key_kernelINS1_19lookback_scan_stateINS0_5tupleIJjbEEELb1ELb1EEEN6thrust23THRUST_200600_302600_NS6detail15normal_iteratorINS8_10device_ptrIjEEEEjNS1_16block_id_wrapperIjLb1EEEEEvT_jjPNSG_10value_typeET0_PNSt15iterator_traitsISJ_E10value_typeEmT1_T2_
	.p2align	8
	.type	_ZN7rocprim17ROCPRIM_400000_NS6detail30init_device_scan_by_key_kernelINS1_19lookback_scan_stateINS0_5tupleIJjbEEELb1ELb1EEEN6thrust23THRUST_200600_302600_NS6detail15normal_iteratorINS8_10device_ptrIjEEEEjNS1_16block_id_wrapperIjLb1EEEEEvT_jjPNSG_10value_typeET0_PNSt15iterator_traitsISJ_E10value_typeEmT1_T2_,@function
_ZN7rocprim17ROCPRIM_400000_NS6detail30init_device_scan_by_key_kernelINS1_19lookback_scan_stateINS0_5tupleIJjbEEELb1ELb1EEEN6thrust23THRUST_200600_302600_NS6detail15normal_iteratorINS8_10device_ptrIjEEEEjNS1_16block_id_wrapperIjLb1EEEEEvT_jjPNSG_10value_typeET0_PNSt15iterator_traitsISJ_E10value_typeEmT1_T2_: ; @_ZN7rocprim17ROCPRIM_400000_NS6detail30init_device_scan_by_key_kernelINS1_19lookback_scan_stateINS0_5tupleIJjbEEELb1ELb1EEEN6thrust23THRUST_200600_302600_NS6detail15normal_iteratorINS8_10device_ptrIjEEEEjNS1_16block_id_wrapperIjLb1EEEEEvT_jjPNSG_10value_typeET0_PNSt15iterator_traitsISJ_E10value_typeEmT1_T2_
; %bb.0:
	s_load_dword s3, s[0:1], 0x4c
	s_load_dwordx8 s[4:11], s[0:1], 0x0
	s_load_dword s18, s[0:1], 0x40
	s_waitcnt lgkmcnt(0)
	s_and_b32 s19, s3, 0xffff
	s_mul_i32 s2, s2, s19
	s_cmp_eq_u64 s[8:9], 0
	v_add_u32_e32 v4, s2, v0
	s_cbranch_scc1 .LBB1835_10
; %bb.1:
	s_cmp_lt_u32 s7, s6
	s_cselect_b32 s2, s7, 0
	s_mov_b32 s13, 0
	v_cmp_eq_u32_e32 vcc, s2, v4
	s_and_saveexec_b64 s[2:3], vcc
	s_cbranch_execz .LBB1835_9
; %bb.2:
	s_add_i32 s12, s7, 64
	s_lshl_b64 s[12:13], s[12:13], 4
	s_add_u32 s16, s4, s12
	s_addc_u32 s17, s5, s13
	v_mov_b64_e32 v[0:1], s[16:17]
	;;#ASMSTART
	global_load_dwordx4 v[0:3], v[0:1] off sc1	
s_waitcnt vmcnt(0)
	;;#ASMEND
	v_mov_b32_e32 v7, 0
	v_and_b32_e32 v6, 0xff, v2
	s_mov_b64 s[14:15], 0
	v_cmp_eq_u64_e32 vcc, 0, v[6:7]
	s_and_saveexec_b64 s[12:13], vcc
	s_cbranch_execz .LBB1835_8
; %bb.3:
	s_mov_b32 s7, 1
	v_mov_b64_e32 v[8:9], s[16:17]
.LBB1835_4:                             ; =>This Loop Header: Depth=1
                                        ;     Child Loop BB1835_5 Depth 2
	s_max_u32 s16, s7, 1
.LBB1835_5:                             ;   Parent Loop BB1835_4 Depth=1
                                        ; =>  This Inner Loop Header: Depth=2
	s_add_i32 s16, s16, -1
	s_cmp_eq_u32 s16, 0
	s_sleep 1
	s_cbranch_scc0 .LBB1835_5
; %bb.6:                                ;   in Loop: Header=BB1835_4 Depth=1
	s_cmp_lt_u32 s7, 32
	s_cselect_b64 s[16:17], -1, 0
	s_cmp_lg_u64 s[16:17], 0
	;;#ASMSTART
	global_load_dwordx4 v[0:3], v[8:9] off sc1	
s_waitcnt vmcnt(0)
	;;#ASMEND
	s_addc_u32 s7, s7, 0
	v_and_b32_e32 v6, 0xff, v2
	v_cmp_ne_u64_e32 vcc, 0, v[6:7]
	s_or_b64 s[14:15], vcc, s[14:15]
	s_andn2_b64 exec, exec, s[14:15]
	s_cbranch_execnz .LBB1835_4
; %bb.7:
	s_or_b64 exec, exec, s[14:15]
.LBB1835_8:
	s_or_b64 exec, exec, s[12:13]
	v_mov_b32_e32 v2, 0
	global_store_dword v2, v0, s[8:9]
	global_store_byte v2, v1, s[8:9] offset:4
.LBB1835_9:
	s_or_b64 exec, exec, s[2:3]
.LBB1835_10:
	v_cmp_eq_u32_e32 vcc, 0, v4
	s_and_saveexec_b64 s[2:3], vcc
	s_cbranch_execz .LBB1835_12
; %bb.11:
	s_load_dwordx2 s[8:9], s[0:1], 0x38
	v_mov_b32_e32 v0, 0
	s_waitcnt lgkmcnt(0)
	global_store_dword v0, v0, s[8:9]
.LBB1835_12:
	s_or_b64 exec, exec, s[2:3]
	v_cmp_gt_u32_e32 vcc, s6, v4
	s_and_saveexec_b64 s[2:3], vcc
	s_cbranch_execz .LBB1835_14
; %bb.13:
	v_add_u32_e32 v0, 64, v4
	v_mov_b32_e32 v1, 0
	v_lshl_add_u64 v[6:7], v[0:1], 4, s[4:5]
	v_mov_b32_e32 v0, v1
	v_mov_b32_e32 v2, v1
	;; [unrolled: 1-line block ×3, first 2 shown]
	global_store_dwordx4 v[6:7], v[0:3], off
.LBB1835_14:
	s_or_b64 exec, exec, s[2:3]
	v_cmp_gt_u32_e32 vcc, 64, v4
	v_mov_b32_e32 v5, 0
	s_and_saveexec_b64 s[2:3], vcc
	s_cbranch_execz .LBB1835_16
; %bb.15:
	v_lshl_add_u64 v[6:7], v[4:5], 4, s[4:5]
	v_mov_b32_e32 v2, 0xff
	v_mov_b32_e32 v0, v5
	;; [unrolled: 1-line block ×4, first 2 shown]
	global_store_dwordx4 v[6:7], v[0:3], off
.LBB1835_16:
	s_or_b64 exec, exec, s[2:3]
	s_load_dwordx2 s[2:3], s[0:1], 0x28
	s_waitcnt lgkmcnt(0)
	v_cmp_gt_u64_e32 vcc, s[2:3], v[4:5]
	s_and_saveexec_b64 s[4:5], vcc
	s_cbranch_execz .LBB1835_19
; %bb.17:
	s_load_dword s12, s[0:1], 0x30
	s_load_dwordx2 s[6:7], s[0:1], 0x20
	s_mov_b32 s5, 0
	s_mov_b32 s1, s5
	s_mul_i32 s0, s18, s19
	s_waitcnt lgkmcnt(0)
	s_add_i32 s4, s12, -1
	s_lshl_b64 s[4:5], s[4:5], 2
	s_add_u32 s4, s10, s4
	v_mad_u64_u32 v[0:1], s[8:9], s12, v4, 0
	s_addc_u32 s5, s11, s5
	v_lshl_add_u64 v[0:1], v[0:1], 2, s[4:5]
	s_mul_hi_u32 s5, s12, s0
	s_mul_i32 s4, s12, s0
	s_lshl_b64 s[4:5], s[4:5], 2
	v_lshl_add_u64 v[2:3], v[4:5], 2, s[6:7]
	s_lshl_b64 s[6:7], s[0:1], 2
	s_mov_b64 s[8:9], 0
.LBB1835_18:                            ; =>This Inner Loop Header: Depth=1
	global_load_dword v6, v[0:1], off
	v_lshl_add_u64 v[4:5], v[4:5], 0, s[0:1]
	v_cmp_le_u64_e32 vcc, s[2:3], v[4:5]
	v_lshl_add_u64 v[0:1], v[0:1], 0, s[4:5]
	s_or_b64 s[8:9], vcc, s[8:9]
	s_waitcnt vmcnt(0)
	global_store_dword v[2:3], v6, off
	v_lshl_add_u64 v[2:3], v[2:3], 0, s[6:7]
	s_andn2_b64 exec, exec, s[8:9]
	s_cbranch_execnz .LBB1835_18
.LBB1835_19:
	s_endpgm
	.section	.rodata,"a",@progbits
	.p2align	6, 0x0
	.amdhsa_kernel _ZN7rocprim17ROCPRIM_400000_NS6detail30init_device_scan_by_key_kernelINS1_19lookback_scan_stateINS0_5tupleIJjbEEELb1ELb1EEEN6thrust23THRUST_200600_302600_NS6detail15normal_iteratorINS8_10device_ptrIjEEEEjNS1_16block_id_wrapperIjLb1EEEEEvT_jjPNSG_10value_typeET0_PNSt15iterator_traitsISJ_E10value_typeEmT1_T2_
		.amdhsa_group_segment_fixed_size 0
		.amdhsa_private_segment_fixed_size 0
		.amdhsa_kernarg_size 320
		.amdhsa_user_sgpr_count 2
		.amdhsa_user_sgpr_dispatch_ptr 0
		.amdhsa_user_sgpr_queue_ptr 0
		.amdhsa_user_sgpr_kernarg_segment_ptr 1
		.amdhsa_user_sgpr_dispatch_id 0
		.amdhsa_user_sgpr_kernarg_preload_length 0
		.amdhsa_user_sgpr_kernarg_preload_offset 0
		.amdhsa_user_sgpr_private_segment_size 0
		.amdhsa_uses_dynamic_stack 0
		.amdhsa_enable_private_segment 0
		.amdhsa_system_sgpr_workgroup_id_x 1
		.amdhsa_system_sgpr_workgroup_id_y 0
		.amdhsa_system_sgpr_workgroup_id_z 0
		.amdhsa_system_sgpr_workgroup_info 0
		.amdhsa_system_vgpr_workitem_id 0
		.amdhsa_next_free_vgpr 10
		.amdhsa_next_free_sgpr 20
		.amdhsa_accum_offset 12
		.amdhsa_reserve_vcc 1
		.amdhsa_float_round_mode_32 0
		.amdhsa_float_round_mode_16_64 0
		.amdhsa_float_denorm_mode_32 3
		.amdhsa_float_denorm_mode_16_64 3
		.amdhsa_dx10_clamp 1
		.amdhsa_ieee_mode 1
		.amdhsa_fp16_overflow 0
		.amdhsa_tg_split 0
		.amdhsa_exception_fp_ieee_invalid_op 0
		.amdhsa_exception_fp_denorm_src 0
		.amdhsa_exception_fp_ieee_div_zero 0
		.amdhsa_exception_fp_ieee_overflow 0
		.amdhsa_exception_fp_ieee_underflow 0
		.amdhsa_exception_fp_ieee_inexact 0
		.amdhsa_exception_int_div_zero 0
	.end_amdhsa_kernel
	.section	.text._ZN7rocprim17ROCPRIM_400000_NS6detail30init_device_scan_by_key_kernelINS1_19lookback_scan_stateINS0_5tupleIJjbEEELb1ELb1EEEN6thrust23THRUST_200600_302600_NS6detail15normal_iteratorINS8_10device_ptrIjEEEEjNS1_16block_id_wrapperIjLb1EEEEEvT_jjPNSG_10value_typeET0_PNSt15iterator_traitsISJ_E10value_typeEmT1_T2_,"axG",@progbits,_ZN7rocprim17ROCPRIM_400000_NS6detail30init_device_scan_by_key_kernelINS1_19lookback_scan_stateINS0_5tupleIJjbEEELb1ELb1EEEN6thrust23THRUST_200600_302600_NS6detail15normal_iteratorINS8_10device_ptrIjEEEEjNS1_16block_id_wrapperIjLb1EEEEEvT_jjPNSG_10value_typeET0_PNSt15iterator_traitsISJ_E10value_typeEmT1_T2_,comdat
.Lfunc_end1835:
	.size	_ZN7rocprim17ROCPRIM_400000_NS6detail30init_device_scan_by_key_kernelINS1_19lookback_scan_stateINS0_5tupleIJjbEEELb1ELb1EEEN6thrust23THRUST_200600_302600_NS6detail15normal_iteratorINS8_10device_ptrIjEEEEjNS1_16block_id_wrapperIjLb1EEEEEvT_jjPNSG_10value_typeET0_PNSt15iterator_traitsISJ_E10value_typeEmT1_T2_, .Lfunc_end1835-_ZN7rocprim17ROCPRIM_400000_NS6detail30init_device_scan_by_key_kernelINS1_19lookback_scan_stateINS0_5tupleIJjbEEELb1ELb1EEEN6thrust23THRUST_200600_302600_NS6detail15normal_iteratorINS8_10device_ptrIjEEEEjNS1_16block_id_wrapperIjLb1EEEEEvT_jjPNSG_10value_typeET0_PNSt15iterator_traitsISJ_E10value_typeEmT1_T2_
                                        ; -- End function
	.section	.AMDGPU.csdata,"",@progbits
; Kernel info:
; codeLenInByte = 584
; NumSgprs: 26
; NumVgprs: 10
; NumAgprs: 0
; TotalNumVgprs: 10
; ScratchSize: 0
; MemoryBound: 0
; FloatMode: 240
; IeeeMode: 1
; LDSByteSize: 0 bytes/workgroup (compile time only)
; SGPRBlocks: 3
; VGPRBlocks: 1
; NumSGPRsForWavesPerEU: 26
; NumVGPRsForWavesPerEU: 10
; AccumOffset: 12
; Occupancy: 8
; WaveLimiterHint : 0
; COMPUTE_PGM_RSRC2:SCRATCH_EN: 0
; COMPUTE_PGM_RSRC2:USER_SGPR: 2
; COMPUTE_PGM_RSRC2:TRAP_HANDLER: 0
; COMPUTE_PGM_RSRC2:TGID_X_EN: 1
; COMPUTE_PGM_RSRC2:TGID_Y_EN: 0
; COMPUTE_PGM_RSRC2:TGID_Z_EN: 0
; COMPUTE_PGM_RSRC2:TIDIG_COMP_CNT: 0
; COMPUTE_PGM_RSRC3_GFX90A:ACCUM_OFFSET: 2
; COMPUTE_PGM_RSRC3_GFX90A:TG_SPLIT: 0
	.section	.text._ZN7rocprim17ROCPRIM_400000_NS6detail17trampoline_kernelINS0_14default_configENS1_27scan_by_key_config_selectorIjjEEZZNS1_16scan_by_key_implILNS1_25lookback_scan_determinismE0ELb0ES3_N6thrust23THRUST_200600_302600_NS6detail15normal_iteratorINS9_10device_ptrIjEEEESE_SE_jNS9_4plusIvEENS9_8equal_toIvEEjEE10hipError_tPvRmT2_T3_T4_T5_mT6_T7_P12ihipStream_tbENKUlT_T0_E_clISt17integral_constantIbLb1EESZ_EEDaSU_SV_EUlSU_E_NS1_11comp_targetILNS1_3genE0ELNS1_11target_archE4294967295ELNS1_3gpuE0ELNS1_3repE0EEENS1_30default_config_static_selectorELNS0_4arch9wavefront6targetE1EEEvT1_,"axG",@progbits,_ZN7rocprim17ROCPRIM_400000_NS6detail17trampoline_kernelINS0_14default_configENS1_27scan_by_key_config_selectorIjjEEZZNS1_16scan_by_key_implILNS1_25lookback_scan_determinismE0ELb0ES3_N6thrust23THRUST_200600_302600_NS6detail15normal_iteratorINS9_10device_ptrIjEEEESE_SE_jNS9_4plusIvEENS9_8equal_toIvEEjEE10hipError_tPvRmT2_T3_T4_T5_mT6_T7_P12ihipStream_tbENKUlT_T0_E_clISt17integral_constantIbLb1EESZ_EEDaSU_SV_EUlSU_E_NS1_11comp_targetILNS1_3genE0ELNS1_11target_archE4294967295ELNS1_3gpuE0ELNS1_3repE0EEENS1_30default_config_static_selectorELNS0_4arch9wavefront6targetE1EEEvT1_,comdat
	.protected	_ZN7rocprim17ROCPRIM_400000_NS6detail17trampoline_kernelINS0_14default_configENS1_27scan_by_key_config_selectorIjjEEZZNS1_16scan_by_key_implILNS1_25lookback_scan_determinismE0ELb0ES3_N6thrust23THRUST_200600_302600_NS6detail15normal_iteratorINS9_10device_ptrIjEEEESE_SE_jNS9_4plusIvEENS9_8equal_toIvEEjEE10hipError_tPvRmT2_T3_T4_T5_mT6_T7_P12ihipStream_tbENKUlT_T0_E_clISt17integral_constantIbLb1EESZ_EEDaSU_SV_EUlSU_E_NS1_11comp_targetILNS1_3genE0ELNS1_11target_archE4294967295ELNS1_3gpuE0ELNS1_3repE0EEENS1_30default_config_static_selectorELNS0_4arch9wavefront6targetE1EEEvT1_ ; -- Begin function _ZN7rocprim17ROCPRIM_400000_NS6detail17trampoline_kernelINS0_14default_configENS1_27scan_by_key_config_selectorIjjEEZZNS1_16scan_by_key_implILNS1_25lookback_scan_determinismE0ELb0ES3_N6thrust23THRUST_200600_302600_NS6detail15normal_iteratorINS9_10device_ptrIjEEEESE_SE_jNS9_4plusIvEENS9_8equal_toIvEEjEE10hipError_tPvRmT2_T3_T4_T5_mT6_T7_P12ihipStream_tbENKUlT_T0_E_clISt17integral_constantIbLb1EESZ_EEDaSU_SV_EUlSU_E_NS1_11comp_targetILNS1_3genE0ELNS1_11target_archE4294967295ELNS1_3gpuE0ELNS1_3repE0EEENS1_30default_config_static_selectorELNS0_4arch9wavefront6targetE1EEEvT1_
	.globl	_ZN7rocprim17ROCPRIM_400000_NS6detail17trampoline_kernelINS0_14default_configENS1_27scan_by_key_config_selectorIjjEEZZNS1_16scan_by_key_implILNS1_25lookback_scan_determinismE0ELb0ES3_N6thrust23THRUST_200600_302600_NS6detail15normal_iteratorINS9_10device_ptrIjEEEESE_SE_jNS9_4plusIvEENS9_8equal_toIvEEjEE10hipError_tPvRmT2_T3_T4_T5_mT6_T7_P12ihipStream_tbENKUlT_T0_E_clISt17integral_constantIbLb1EESZ_EEDaSU_SV_EUlSU_E_NS1_11comp_targetILNS1_3genE0ELNS1_11target_archE4294967295ELNS1_3gpuE0ELNS1_3repE0EEENS1_30default_config_static_selectorELNS0_4arch9wavefront6targetE1EEEvT1_
	.p2align	8
	.type	_ZN7rocprim17ROCPRIM_400000_NS6detail17trampoline_kernelINS0_14default_configENS1_27scan_by_key_config_selectorIjjEEZZNS1_16scan_by_key_implILNS1_25lookback_scan_determinismE0ELb0ES3_N6thrust23THRUST_200600_302600_NS6detail15normal_iteratorINS9_10device_ptrIjEEEESE_SE_jNS9_4plusIvEENS9_8equal_toIvEEjEE10hipError_tPvRmT2_T3_T4_T5_mT6_T7_P12ihipStream_tbENKUlT_T0_E_clISt17integral_constantIbLb1EESZ_EEDaSU_SV_EUlSU_E_NS1_11comp_targetILNS1_3genE0ELNS1_11target_archE4294967295ELNS1_3gpuE0ELNS1_3repE0EEENS1_30default_config_static_selectorELNS0_4arch9wavefront6targetE1EEEvT1_,@function
_ZN7rocprim17ROCPRIM_400000_NS6detail17trampoline_kernelINS0_14default_configENS1_27scan_by_key_config_selectorIjjEEZZNS1_16scan_by_key_implILNS1_25lookback_scan_determinismE0ELb0ES3_N6thrust23THRUST_200600_302600_NS6detail15normal_iteratorINS9_10device_ptrIjEEEESE_SE_jNS9_4plusIvEENS9_8equal_toIvEEjEE10hipError_tPvRmT2_T3_T4_T5_mT6_T7_P12ihipStream_tbENKUlT_T0_E_clISt17integral_constantIbLb1EESZ_EEDaSU_SV_EUlSU_E_NS1_11comp_targetILNS1_3genE0ELNS1_11target_archE4294967295ELNS1_3gpuE0ELNS1_3repE0EEENS1_30default_config_static_selectorELNS0_4arch9wavefront6targetE1EEEvT1_: ; @_ZN7rocprim17ROCPRIM_400000_NS6detail17trampoline_kernelINS0_14default_configENS1_27scan_by_key_config_selectorIjjEEZZNS1_16scan_by_key_implILNS1_25lookback_scan_determinismE0ELb0ES3_N6thrust23THRUST_200600_302600_NS6detail15normal_iteratorINS9_10device_ptrIjEEEESE_SE_jNS9_4plusIvEENS9_8equal_toIvEEjEE10hipError_tPvRmT2_T3_T4_T5_mT6_T7_P12ihipStream_tbENKUlT_T0_E_clISt17integral_constantIbLb1EESZ_EEDaSU_SV_EUlSU_E_NS1_11comp_targetILNS1_3genE0ELNS1_11target_archE4294967295ELNS1_3gpuE0ELNS1_3repE0EEENS1_30default_config_static_selectorELNS0_4arch9wavefront6targetE1EEEvT1_
; %bb.0:
	.section	.rodata,"a",@progbits
	.p2align	6, 0x0
	.amdhsa_kernel _ZN7rocprim17ROCPRIM_400000_NS6detail17trampoline_kernelINS0_14default_configENS1_27scan_by_key_config_selectorIjjEEZZNS1_16scan_by_key_implILNS1_25lookback_scan_determinismE0ELb0ES3_N6thrust23THRUST_200600_302600_NS6detail15normal_iteratorINS9_10device_ptrIjEEEESE_SE_jNS9_4plusIvEENS9_8equal_toIvEEjEE10hipError_tPvRmT2_T3_T4_T5_mT6_T7_P12ihipStream_tbENKUlT_T0_E_clISt17integral_constantIbLb1EESZ_EEDaSU_SV_EUlSU_E_NS1_11comp_targetILNS1_3genE0ELNS1_11target_archE4294967295ELNS1_3gpuE0ELNS1_3repE0EEENS1_30default_config_static_selectorELNS0_4arch9wavefront6targetE1EEEvT1_
		.amdhsa_group_segment_fixed_size 0
		.amdhsa_private_segment_fixed_size 0
		.amdhsa_kernarg_size 112
		.amdhsa_user_sgpr_count 2
		.amdhsa_user_sgpr_dispatch_ptr 0
		.amdhsa_user_sgpr_queue_ptr 0
		.amdhsa_user_sgpr_kernarg_segment_ptr 1
		.amdhsa_user_sgpr_dispatch_id 0
		.amdhsa_user_sgpr_kernarg_preload_length 0
		.amdhsa_user_sgpr_kernarg_preload_offset 0
		.amdhsa_user_sgpr_private_segment_size 0
		.amdhsa_uses_dynamic_stack 0
		.amdhsa_enable_private_segment 0
		.amdhsa_system_sgpr_workgroup_id_x 1
		.amdhsa_system_sgpr_workgroup_id_y 0
		.amdhsa_system_sgpr_workgroup_id_z 0
		.amdhsa_system_sgpr_workgroup_info 0
		.amdhsa_system_vgpr_workitem_id 0
		.amdhsa_next_free_vgpr 1
		.amdhsa_next_free_sgpr 0
		.amdhsa_accum_offset 4
		.amdhsa_reserve_vcc 0
		.amdhsa_float_round_mode_32 0
		.amdhsa_float_round_mode_16_64 0
		.amdhsa_float_denorm_mode_32 3
		.amdhsa_float_denorm_mode_16_64 3
		.amdhsa_dx10_clamp 1
		.amdhsa_ieee_mode 1
		.amdhsa_fp16_overflow 0
		.amdhsa_tg_split 0
		.amdhsa_exception_fp_ieee_invalid_op 0
		.amdhsa_exception_fp_denorm_src 0
		.amdhsa_exception_fp_ieee_div_zero 0
		.amdhsa_exception_fp_ieee_overflow 0
		.amdhsa_exception_fp_ieee_underflow 0
		.amdhsa_exception_fp_ieee_inexact 0
		.amdhsa_exception_int_div_zero 0
	.end_amdhsa_kernel
	.section	.text._ZN7rocprim17ROCPRIM_400000_NS6detail17trampoline_kernelINS0_14default_configENS1_27scan_by_key_config_selectorIjjEEZZNS1_16scan_by_key_implILNS1_25lookback_scan_determinismE0ELb0ES3_N6thrust23THRUST_200600_302600_NS6detail15normal_iteratorINS9_10device_ptrIjEEEESE_SE_jNS9_4plusIvEENS9_8equal_toIvEEjEE10hipError_tPvRmT2_T3_T4_T5_mT6_T7_P12ihipStream_tbENKUlT_T0_E_clISt17integral_constantIbLb1EESZ_EEDaSU_SV_EUlSU_E_NS1_11comp_targetILNS1_3genE0ELNS1_11target_archE4294967295ELNS1_3gpuE0ELNS1_3repE0EEENS1_30default_config_static_selectorELNS0_4arch9wavefront6targetE1EEEvT1_,"axG",@progbits,_ZN7rocprim17ROCPRIM_400000_NS6detail17trampoline_kernelINS0_14default_configENS1_27scan_by_key_config_selectorIjjEEZZNS1_16scan_by_key_implILNS1_25lookback_scan_determinismE0ELb0ES3_N6thrust23THRUST_200600_302600_NS6detail15normal_iteratorINS9_10device_ptrIjEEEESE_SE_jNS9_4plusIvEENS9_8equal_toIvEEjEE10hipError_tPvRmT2_T3_T4_T5_mT6_T7_P12ihipStream_tbENKUlT_T0_E_clISt17integral_constantIbLb1EESZ_EEDaSU_SV_EUlSU_E_NS1_11comp_targetILNS1_3genE0ELNS1_11target_archE4294967295ELNS1_3gpuE0ELNS1_3repE0EEENS1_30default_config_static_selectorELNS0_4arch9wavefront6targetE1EEEvT1_,comdat
.Lfunc_end1836:
	.size	_ZN7rocprim17ROCPRIM_400000_NS6detail17trampoline_kernelINS0_14default_configENS1_27scan_by_key_config_selectorIjjEEZZNS1_16scan_by_key_implILNS1_25lookback_scan_determinismE0ELb0ES3_N6thrust23THRUST_200600_302600_NS6detail15normal_iteratorINS9_10device_ptrIjEEEESE_SE_jNS9_4plusIvEENS9_8equal_toIvEEjEE10hipError_tPvRmT2_T3_T4_T5_mT6_T7_P12ihipStream_tbENKUlT_T0_E_clISt17integral_constantIbLb1EESZ_EEDaSU_SV_EUlSU_E_NS1_11comp_targetILNS1_3genE0ELNS1_11target_archE4294967295ELNS1_3gpuE0ELNS1_3repE0EEENS1_30default_config_static_selectorELNS0_4arch9wavefront6targetE1EEEvT1_, .Lfunc_end1836-_ZN7rocprim17ROCPRIM_400000_NS6detail17trampoline_kernelINS0_14default_configENS1_27scan_by_key_config_selectorIjjEEZZNS1_16scan_by_key_implILNS1_25lookback_scan_determinismE0ELb0ES3_N6thrust23THRUST_200600_302600_NS6detail15normal_iteratorINS9_10device_ptrIjEEEESE_SE_jNS9_4plusIvEENS9_8equal_toIvEEjEE10hipError_tPvRmT2_T3_T4_T5_mT6_T7_P12ihipStream_tbENKUlT_T0_E_clISt17integral_constantIbLb1EESZ_EEDaSU_SV_EUlSU_E_NS1_11comp_targetILNS1_3genE0ELNS1_11target_archE4294967295ELNS1_3gpuE0ELNS1_3repE0EEENS1_30default_config_static_selectorELNS0_4arch9wavefront6targetE1EEEvT1_
                                        ; -- End function
	.section	.AMDGPU.csdata,"",@progbits
; Kernel info:
; codeLenInByte = 0
; NumSgprs: 6
; NumVgprs: 0
; NumAgprs: 0
; TotalNumVgprs: 0
; ScratchSize: 0
; MemoryBound: 0
; FloatMode: 240
; IeeeMode: 1
; LDSByteSize: 0 bytes/workgroup (compile time only)
; SGPRBlocks: 0
; VGPRBlocks: 0
; NumSGPRsForWavesPerEU: 6
; NumVGPRsForWavesPerEU: 1
; AccumOffset: 4
; Occupancy: 8
; WaveLimiterHint : 0
; COMPUTE_PGM_RSRC2:SCRATCH_EN: 0
; COMPUTE_PGM_RSRC2:USER_SGPR: 2
; COMPUTE_PGM_RSRC2:TRAP_HANDLER: 0
; COMPUTE_PGM_RSRC2:TGID_X_EN: 1
; COMPUTE_PGM_RSRC2:TGID_Y_EN: 0
; COMPUTE_PGM_RSRC2:TGID_Z_EN: 0
; COMPUTE_PGM_RSRC2:TIDIG_COMP_CNT: 0
; COMPUTE_PGM_RSRC3_GFX90A:ACCUM_OFFSET: 0
; COMPUTE_PGM_RSRC3_GFX90A:TG_SPLIT: 0
	.section	.text._ZN7rocprim17ROCPRIM_400000_NS6detail17trampoline_kernelINS0_14default_configENS1_27scan_by_key_config_selectorIjjEEZZNS1_16scan_by_key_implILNS1_25lookback_scan_determinismE0ELb0ES3_N6thrust23THRUST_200600_302600_NS6detail15normal_iteratorINS9_10device_ptrIjEEEESE_SE_jNS9_4plusIvEENS9_8equal_toIvEEjEE10hipError_tPvRmT2_T3_T4_T5_mT6_T7_P12ihipStream_tbENKUlT_T0_E_clISt17integral_constantIbLb1EESZ_EEDaSU_SV_EUlSU_E_NS1_11comp_targetILNS1_3genE10ELNS1_11target_archE1201ELNS1_3gpuE5ELNS1_3repE0EEENS1_30default_config_static_selectorELNS0_4arch9wavefront6targetE1EEEvT1_,"axG",@progbits,_ZN7rocprim17ROCPRIM_400000_NS6detail17trampoline_kernelINS0_14default_configENS1_27scan_by_key_config_selectorIjjEEZZNS1_16scan_by_key_implILNS1_25lookback_scan_determinismE0ELb0ES3_N6thrust23THRUST_200600_302600_NS6detail15normal_iteratorINS9_10device_ptrIjEEEESE_SE_jNS9_4plusIvEENS9_8equal_toIvEEjEE10hipError_tPvRmT2_T3_T4_T5_mT6_T7_P12ihipStream_tbENKUlT_T0_E_clISt17integral_constantIbLb1EESZ_EEDaSU_SV_EUlSU_E_NS1_11comp_targetILNS1_3genE10ELNS1_11target_archE1201ELNS1_3gpuE5ELNS1_3repE0EEENS1_30default_config_static_selectorELNS0_4arch9wavefront6targetE1EEEvT1_,comdat
	.protected	_ZN7rocprim17ROCPRIM_400000_NS6detail17trampoline_kernelINS0_14default_configENS1_27scan_by_key_config_selectorIjjEEZZNS1_16scan_by_key_implILNS1_25lookback_scan_determinismE0ELb0ES3_N6thrust23THRUST_200600_302600_NS6detail15normal_iteratorINS9_10device_ptrIjEEEESE_SE_jNS9_4plusIvEENS9_8equal_toIvEEjEE10hipError_tPvRmT2_T3_T4_T5_mT6_T7_P12ihipStream_tbENKUlT_T0_E_clISt17integral_constantIbLb1EESZ_EEDaSU_SV_EUlSU_E_NS1_11comp_targetILNS1_3genE10ELNS1_11target_archE1201ELNS1_3gpuE5ELNS1_3repE0EEENS1_30default_config_static_selectorELNS0_4arch9wavefront6targetE1EEEvT1_ ; -- Begin function _ZN7rocprim17ROCPRIM_400000_NS6detail17trampoline_kernelINS0_14default_configENS1_27scan_by_key_config_selectorIjjEEZZNS1_16scan_by_key_implILNS1_25lookback_scan_determinismE0ELb0ES3_N6thrust23THRUST_200600_302600_NS6detail15normal_iteratorINS9_10device_ptrIjEEEESE_SE_jNS9_4plusIvEENS9_8equal_toIvEEjEE10hipError_tPvRmT2_T3_T4_T5_mT6_T7_P12ihipStream_tbENKUlT_T0_E_clISt17integral_constantIbLb1EESZ_EEDaSU_SV_EUlSU_E_NS1_11comp_targetILNS1_3genE10ELNS1_11target_archE1201ELNS1_3gpuE5ELNS1_3repE0EEENS1_30default_config_static_selectorELNS0_4arch9wavefront6targetE1EEEvT1_
	.globl	_ZN7rocprim17ROCPRIM_400000_NS6detail17trampoline_kernelINS0_14default_configENS1_27scan_by_key_config_selectorIjjEEZZNS1_16scan_by_key_implILNS1_25lookback_scan_determinismE0ELb0ES3_N6thrust23THRUST_200600_302600_NS6detail15normal_iteratorINS9_10device_ptrIjEEEESE_SE_jNS9_4plusIvEENS9_8equal_toIvEEjEE10hipError_tPvRmT2_T3_T4_T5_mT6_T7_P12ihipStream_tbENKUlT_T0_E_clISt17integral_constantIbLb1EESZ_EEDaSU_SV_EUlSU_E_NS1_11comp_targetILNS1_3genE10ELNS1_11target_archE1201ELNS1_3gpuE5ELNS1_3repE0EEENS1_30default_config_static_selectorELNS0_4arch9wavefront6targetE1EEEvT1_
	.p2align	8
	.type	_ZN7rocprim17ROCPRIM_400000_NS6detail17trampoline_kernelINS0_14default_configENS1_27scan_by_key_config_selectorIjjEEZZNS1_16scan_by_key_implILNS1_25lookback_scan_determinismE0ELb0ES3_N6thrust23THRUST_200600_302600_NS6detail15normal_iteratorINS9_10device_ptrIjEEEESE_SE_jNS9_4plusIvEENS9_8equal_toIvEEjEE10hipError_tPvRmT2_T3_T4_T5_mT6_T7_P12ihipStream_tbENKUlT_T0_E_clISt17integral_constantIbLb1EESZ_EEDaSU_SV_EUlSU_E_NS1_11comp_targetILNS1_3genE10ELNS1_11target_archE1201ELNS1_3gpuE5ELNS1_3repE0EEENS1_30default_config_static_selectorELNS0_4arch9wavefront6targetE1EEEvT1_,@function
_ZN7rocprim17ROCPRIM_400000_NS6detail17trampoline_kernelINS0_14default_configENS1_27scan_by_key_config_selectorIjjEEZZNS1_16scan_by_key_implILNS1_25lookback_scan_determinismE0ELb0ES3_N6thrust23THRUST_200600_302600_NS6detail15normal_iteratorINS9_10device_ptrIjEEEESE_SE_jNS9_4plusIvEENS9_8equal_toIvEEjEE10hipError_tPvRmT2_T3_T4_T5_mT6_T7_P12ihipStream_tbENKUlT_T0_E_clISt17integral_constantIbLb1EESZ_EEDaSU_SV_EUlSU_E_NS1_11comp_targetILNS1_3genE10ELNS1_11target_archE1201ELNS1_3gpuE5ELNS1_3repE0EEENS1_30default_config_static_selectorELNS0_4arch9wavefront6targetE1EEEvT1_: ; @_ZN7rocprim17ROCPRIM_400000_NS6detail17trampoline_kernelINS0_14default_configENS1_27scan_by_key_config_selectorIjjEEZZNS1_16scan_by_key_implILNS1_25lookback_scan_determinismE0ELb0ES3_N6thrust23THRUST_200600_302600_NS6detail15normal_iteratorINS9_10device_ptrIjEEEESE_SE_jNS9_4plusIvEENS9_8equal_toIvEEjEE10hipError_tPvRmT2_T3_T4_T5_mT6_T7_P12ihipStream_tbENKUlT_T0_E_clISt17integral_constantIbLb1EESZ_EEDaSU_SV_EUlSU_E_NS1_11comp_targetILNS1_3genE10ELNS1_11target_archE1201ELNS1_3gpuE5ELNS1_3repE0EEENS1_30default_config_static_selectorELNS0_4arch9wavefront6targetE1EEEvT1_
; %bb.0:
	.section	.rodata,"a",@progbits
	.p2align	6, 0x0
	.amdhsa_kernel _ZN7rocprim17ROCPRIM_400000_NS6detail17trampoline_kernelINS0_14default_configENS1_27scan_by_key_config_selectorIjjEEZZNS1_16scan_by_key_implILNS1_25lookback_scan_determinismE0ELb0ES3_N6thrust23THRUST_200600_302600_NS6detail15normal_iteratorINS9_10device_ptrIjEEEESE_SE_jNS9_4plusIvEENS9_8equal_toIvEEjEE10hipError_tPvRmT2_T3_T4_T5_mT6_T7_P12ihipStream_tbENKUlT_T0_E_clISt17integral_constantIbLb1EESZ_EEDaSU_SV_EUlSU_E_NS1_11comp_targetILNS1_3genE10ELNS1_11target_archE1201ELNS1_3gpuE5ELNS1_3repE0EEENS1_30default_config_static_selectorELNS0_4arch9wavefront6targetE1EEEvT1_
		.amdhsa_group_segment_fixed_size 0
		.amdhsa_private_segment_fixed_size 0
		.amdhsa_kernarg_size 112
		.amdhsa_user_sgpr_count 2
		.amdhsa_user_sgpr_dispatch_ptr 0
		.amdhsa_user_sgpr_queue_ptr 0
		.amdhsa_user_sgpr_kernarg_segment_ptr 1
		.amdhsa_user_sgpr_dispatch_id 0
		.amdhsa_user_sgpr_kernarg_preload_length 0
		.amdhsa_user_sgpr_kernarg_preload_offset 0
		.amdhsa_user_sgpr_private_segment_size 0
		.amdhsa_uses_dynamic_stack 0
		.amdhsa_enable_private_segment 0
		.amdhsa_system_sgpr_workgroup_id_x 1
		.amdhsa_system_sgpr_workgroup_id_y 0
		.amdhsa_system_sgpr_workgroup_id_z 0
		.amdhsa_system_sgpr_workgroup_info 0
		.amdhsa_system_vgpr_workitem_id 0
		.amdhsa_next_free_vgpr 1
		.amdhsa_next_free_sgpr 0
		.amdhsa_accum_offset 4
		.amdhsa_reserve_vcc 0
		.amdhsa_float_round_mode_32 0
		.amdhsa_float_round_mode_16_64 0
		.amdhsa_float_denorm_mode_32 3
		.amdhsa_float_denorm_mode_16_64 3
		.amdhsa_dx10_clamp 1
		.amdhsa_ieee_mode 1
		.amdhsa_fp16_overflow 0
		.amdhsa_tg_split 0
		.amdhsa_exception_fp_ieee_invalid_op 0
		.amdhsa_exception_fp_denorm_src 0
		.amdhsa_exception_fp_ieee_div_zero 0
		.amdhsa_exception_fp_ieee_overflow 0
		.amdhsa_exception_fp_ieee_underflow 0
		.amdhsa_exception_fp_ieee_inexact 0
		.amdhsa_exception_int_div_zero 0
	.end_amdhsa_kernel
	.section	.text._ZN7rocprim17ROCPRIM_400000_NS6detail17trampoline_kernelINS0_14default_configENS1_27scan_by_key_config_selectorIjjEEZZNS1_16scan_by_key_implILNS1_25lookback_scan_determinismE0ELb0ES3_N6thrust23THRUST_200600_302600_NS6detail15normal_iteratorINS9_10device_ptrIjEEEESE_SE_jNS9_4plusIvEENS9_8equal_toIvEEjEE10hipError_tPvRmT2_T3_T4_T5_mT6_T7_P12ihipStream_tbENKUlT_T0_E_clISt17integral_constantIbLb1EESZ_EEDaSU_SV_EUlSU_E_NS1_11comp_targetILNS1_3genE10ELNS1_11target_archE1201ELNS1_3gpuE5ELNS1_3repE0EEENS1_30default_config_static_selectorELNS0_4arch9wavefront6targetE1EEEvT1_,"axG",@progbits,_ZN7rocprim17ROCPRIM_400000_NS6detail17trampoline_kernelINS0_14default_configENS1_27scan_by_key_config_selectorIjjEEZZNS1_16scan_by_key_implILNS1_25lookback_scan_determinismE0ELb0ES3_N6thrust23THRUST_200600_302600_NS6detail15normal_iteratorINS9_10device_ptrIjEEEESE_SE_jNS9_4plusIvEENS9_8equal_toIvEEjEE10hipError_tPvRmT2_T3_T4_T5_mT6_T7_P12ihipStream_tbENKUlT_T0_E_clISt17integral_constantIbLb1EESZ_EEDaSU_SV_EUlSU_E_NS1_11comp_targetILNS1_3genE10ELNS1_11target_archE1201ELNS1_3gpuE5ELNS1_3repE0EEENS1_30default_config_static_selectorELNS0_4arch9wavefront6targetE1EEEvT1_,comdat
.Lfunc_end1837:
	.size	_ZN7rocprim17ROCPRIM_400000_NS6detail17trampoline_kernelINS0_14default_configENS1_27scan_by_key_config_selectorIjjEEZZNS1_16scan_by_key_implILNS1_25lookback_scan_determinismE0ELb0ES3_N6thrust23THRUST_200600_302600_NS6detail15normal_iteratorINS9_10device_ptrIjEEEESE_SE_jNS9_4plusIvEENS9_8equal_toIvEEjEE10hipError_tPvRmT2_T3_T4_T5_mT6_T7_P12ihipStream_tbENKUlT_T0_E_clISt17integral_constantIbLb1EESZ_EEDaSU_SV_EUlSU_E_NS1_11comp_targetILNS1_3genE10ELNS1_11target_archE1201ELNS1_3gpuE5ELNS1_3repE0EEENS1_30default_config_static_selectorELNS0_4arch9wavefront6targetE1EEEvT1_, .Lfunc_end1837-_ZN7rocprim17ROCPRIM_400000_NS6detail17trampoline_kernelINS0_14default_configENS1_27scan_by_key_config_selectorIjjEEZZNS1_16scan_by_key_implILNS1_25lookback_scan_determinismE0ELb0ES3_N6thrust23THRUST_200600_302600_NS6detail15normal_iteratorINS9_10device_ptrIjEEEESE_SE_jNS9_4plusIvEENS9_8equal_toIvEEjEE10hipError_tPvRmT2_T3_T4_T5_mT6_T7_P12ihipStream_tbENKUlT_T0_E_clISt17integral_constantIbLb1EESZ_EEDaSU_SV_EUlSU_E_NS1_11comp_targetILNS1_3genE10ELNS1_11target_archE1201ELNS1_3gpuE5ELNS1_3repE0EEENS1_30default_config_static_selectorELNS0_4arch9wavefront6targetE1EEEvT1_
                                        ; -- End function
	.section	.AMDGPU.csdata,"",@progbits
; Kernel info:
; codeLenInByte = 0
; NumSgprs: 6
; NumVgprs: 0
; NumAgprs: 0
; TotalNumVgprs: 0
; ScratchSize: 0
; MemoryBound: 0
; FloatMode: 240
; IeeeMode: 1
; LDSByteSize: 0 bytes/workgroup (compile time only)
; SGPRBlocks: 0
; VGPRBlocks: 0
; NumSGPRsForWavesPerEU: 6
; NumVGPRsForWavesPerEU: 1
; AccumOffset: 4
; Occupancy: 8
; WaveLimiterHint : 0
; COMPUTE_PGM_RSRC2:SCRATCH_EN: 0
; COMPUTE_PGM_RSRC2:USER_SGPR: 2
; COMPUTE_PGM_RSRC2:TRAP_HANDLER: 0
; COMPUTE_PGM_RSRC2:TGID_X_EN: 1
; COMPUTE_PGM_RSRC2:TGID_Y_EN: 0
; COMPUTE_PGM_RSRC2:TGID_Z_EN: 0
; COMPUTE_PGM_RSRC2:TIDIG_COMP_CNT: 0
; COMPUTE_PGM_RSRC3_GFX90A:ACCUM_OFFSET: 0
; COMPUTE_PGM_RSRC3_GFX90A:TG_SPLIT: 0
	.section	.text._ZN7rocprim17ROCPRIM_400000_NS6detail17trampoline_kernelINS0_14default_configENS1_27scan_by_key_config_selectorIjjEEZZNS1_16scan_by_key_implILNS1_25lookback_scan_determinismE0ELb0ES3_N6thrust23THRUST_200600_302600_NS6detail15normal_iteratorINS9_10device_ptrIjEEEESE_SE_jNS9_4plusIvEENS9_8equal_toIvEEjEE10hipError_tPvRmT2_T3_T4_T5_mT6_T7_P12ihipStream_tbENKUlT_T0_E_clISt17integral_constantIbLb1EESZ_EEDaSU_SV_EUlSU_E_NS1_11comp_targetILNS1_3genE5ELNS1_11target_archE942ELNS1_3gpuE9ELNS1_3repE0EEENS1_30default_config_static_selectorELNS0_4arch9wavefront6targetE1EEEvT1_,"axG",@progbits,_ZN7rocprim17ROCPRIM_400000_NS6detail17trampoline_kernelINS0_14default_configENS1_27scan_by_key_config_selectorIjjEEZZNS1_16scan_by_key_implILNS1_25lookback_scan_determinismE0ELb0ES3_N6thrust23THRUST_200600_302600_NS6detail15normal_iteratorINS9_10device_ptrIjEEEESE_SE_jNS9_4plusIvEENS9_8equal_toIvEEjEE10hipError_tPvRmT2_T3_T4_T5_mT6_T7_P12ihipStream_tbENKUlT_T0_E_clISt17integral_constantIbLb1EESZ_EEDaSU_SV_EUlSU_E_NS1_11comp_targetILNS1_3genE5ELNS1_11target_archE942ELNS1_3gpuE9ELNS1_3repE0EEENS1_30default_config_static_selectorELNS0_4arch9wavefront6targetE1EEEvT1_,comdat
	.protected	_ZN7rocprim17ROCPRIM_400000_NS6detail17trampoline_kernelINS0_14default_configENS1_27scan_by_key_config_selectorIjjEEZZNS1_16scan_by_key_implILNS1_25lookback_scan_determinismE0ELb0ES3_N6thrust23THRUST_200600_302600_NS6detail15normal_iteratorINS9_10device_ptrIjEEEESE_SE_jNS9_4plusIvEENS9_8equal_toIvEEjEE10hipError_tPvRmT2_T3_T4_T5_mT6_T7_P12ihipStream_tbENKUlT_T0_E_clISt17integral_constantIbLb1EESZ_EEDaSU_SV_EUlSU_E_NS1_11comp_targetILNS1_3genE5ELNS1_11target_archE942ELNS1_3gpuE9ELNS1_3repE0EEENS1_30default_config_static_selectorELNS0_4arch9wavefront6targetE1EEEvT1_ ; -- Begin function _ZN7rocprim17ROCPRIM_400000_NS6detail17trampoline_kernelINS0_14default_configENS1_27scan_by_key_config_selectorIjjEEZZNS1_16scan_by_key_implILNS1_25lookback_scan_determinismE0ELb0ES3_N6thrust23THRUST_200600_302600_NS6detail15normal_iteratorINS9_10device_ptrIjEEEESE_SE_jNS9_4plusIvEENS9_8equal_toIvEEjEE10hipError_tPvRmT2_T3_T4_T5_mT6_T7_P12ihipStream_tbENKUlT_T0_E_clISt17integral_constantIbLb1EESZ_EEDaSU_SV_EUlSU_E_NS1_11comp_targetILNS1_3genE5ELNS1_11target_archE942ELNS1_3gpuE9ELNS1_3repE0EEENS1_30default_config_static_selectorELNS0_4arch9wavefront6targetE1EEEvT1_
	.globl	_ZN7rocprim17ROCPRIM_400000_NS6detail17trampoline_kernelINS0_14default_configENS1_27scan_by_key_config_selectorIjjEEZZNS1_16scan_by_key_implILNS1_25lookback_scan_determinismE0ELb0ES3_N6thrust23THRUST_200600_302600_NS6detail15normal_iteratorINS9_10device_ptrIjEEEESE_SE_jNS9_4plusIvEENS9_8equal_toIvEEjEE10hipError_tPvRmT2_T3_T4_T5_mT6_T7_P12ihipStream_tbENKUlT_T0_E_clISt17integral_constantIbLb1EESZ_EEDaSU_SV_EUlSU_E_NS1_11comp_targetILNS1_3genE5ELNS1_11target_archE942ELNS1_3gpuE9ELNS1_3repE0EEENS1_30default_config_static_selectorELNS0_4arch9wavefront6targetE1EEEvT1_
	.p2align	8
	.type	_ZN7rocprim17ROCPRIM_400000_NS6detail17trampoline_kernelINS0_14default_configENS1_27scan_by_key_config_selectorIjjEEZZNS1_16scan_by_key_implILNS1_25lookback_scan_determinismE0ELb0ES3_N6thrust23THRUST_200600_302600_NS6detail15normal_iteratorINS9_10device_ptrIjEEEESE_SE_jNS9_4plusIvEENS9_8equal_toIvEEjEE10hipError_tPvRmT2_T3_T4_T5_mT6_T7_P12ihipStream_tbENKUlT_T0_E_clISt17integral_constantIbLb1EESZ_EEDaSU_SV_EUlSU_E_NS1_11comp_targetILNS1_3genE5ELNS1_11target_archE942ELNS1_3gpuE9ELNS1_3repE0EEENS1_30default_config_static_selectorELNS0_4arch9wavefront6targetE1EEEvT1_,@function
_ZN7rocprim17ROCPRIM_400000_NS6detail17trampoline_kernelINS0_14default_configENS1_27scan_by_key_config_selectorIjjEEZZNS1_16scan_by_key_implILNS1_25lookback_scan_determinismE0ELb0ES3_N6thrust23THRUST_200600_302600_NS6detail15normal_iteratorINS9_10device_ptrIjEEEESE_SE_jNS9_4plusIvEENS9_8equal_toIvEEjEE10hipError_tPvRmT2_T3_T4_T5_mT6_T7_P12ihipStream_tbENKUlT_T0_E_clISt17integral_constantIbLb1EESZ_EEDaSU_SV_EUlSU_E_NS1_11comp_targetILNS1_3genE5ELNS1_11target_archE942ELNS1_3gpuE9ELNS1_3repE0EEENS1_30default_config_static_selectorELNS0_4arch9wavefront6targetE1EEEvT1_: ; @_ZN7rocprim17ROCPRIM_400000_NS6detail17trampoline_kernelINS0_14default_configENS1_27scan_by_key_config_selectorIjjEEZZNS1_16scan_by_key_implILNS1_25lookback_scan_determinismE0ELb0ES3_N6thrust23THRUST_200600_302600_NS6detail15normal_iteratorINS9_10device_ptrIjEEEESE_SE_jNS9_4plusIvEENS9_8equal_toIvEEjEE10hipError_tPvRmT2_T3_T4_T5_mT6_T7_P12ihipStream_tbENKUlT_T0_E_clISt17integral_constantIbLb1EESZ_EEDaSU_SV_EUlSU_E_NS1_11comp_targetILNS1_3genE5ELNS1_11target_archE942ELNS1_3gpuE9ELNS1_3repE0EEENS1_30default_config_static_selectorELNS0_4arch9wavefront6targetE1EEEvT1_
; %bb.0:
	s_load_dwordx4 s[72:75], s[0:1], 0x28
	s_load_dwordx2 s[76:77], s[0:1], 0x38
	v_cmp_ne_u32_e64 s[4:5], 0, v0
	v_cmp_eq_u32_e64 s[54:55], 0, v0
	s_and_saveexec_b64 s[2:3], s[54:55]
	s_cbranch_execz .LBB1838_4
; %bb.1:
	s_mov_b64 s[8:9], exec
	v_mbcnt_lo_u32_b32 v1, s8, 0
	v_mbcnt_hi_u32_b32 v1, s9, v1
	v_cmp_eq_u32_e32 vcc, 0, v1
                                        ; implicit-def: $vgpr2
	s_and_saveexec_b64 s[6:7], vcc
	s_cbranch_execz .LBB1838_3
; %bb.2:
	s_load_dwordx2 s[10:11], s[0:1], 0x68
	s_bcnt1_i32_b64 s8, s[8:9]
	v_mov_b32_e32 v2, 0
	v_mov_b32_e32 v3, s8
	s_waitcnt lgkmcnt(0)
	global_atomic_add v2, v2, v3, s[10:11] sc0
.LBB1838_3:
	s_or_b64 exec, exec, s[6:7]
	s_waitcnt vmcnt(0)
	v_readfirstlane_b32 s6, v2
	v_mov_b32_e32 v2, 0
	s_nop 0
	v_add_u32_e32 v1, s6, v1
	ds_write_b32 v2, v1
.LBB1838_4:
	s_or_b64 exec, exec, s[2:3]
	s_load_dwordx8 s[56:63], s[0:1], 0x0
	s_load_dword s2, s[0:1], 0x40
	s_load_dwordx8 s[64:71], s[0:1], 0x48
	v_mov_b32_e32 v1, 0
	s_waitcnt lgkmcnt(0)
	s_barrier
	ds_read_b32 v1, v1
	s_lshl_b64 s[58:59], s[58:59], 2
	s_add_u32 s3, s56, s58
	s_addc_u32 s6, s57, s59
	s_add_u32 s7, s60, s58
	s_mul_i32 s0, s77, s2
	s_mul_hi_u32 s1, s76, s2
	s_addc_u32 s8, s61, s59
	s_add_i32 s9, s1, s0
	s_waitcnt lgkmcnt(0)
	v_readfirstlane_b32 s75, v1
	s_cmp_lg_u64 s[68:69], 0
	s_mov_b32 s1, 0
	s_mul_i32 s0, s75, 0x1700
	s_cselect_b64 s[78:79], -1, 0
	s_lshl_b64 s[56:57], s[0:1], 2
	s_add_u32 s68, s3, s56
	s_addc_u32 s69, s6, s57
	s_add_u32 s60, s7, s56
	s_mul_i32 s2, s76, s2
	s_addc_u32 s61, s8, s57
	s_add_u32 s80, s2, s75
	s_addc_u32 s81, s9, 0
	s_add_u32 s0, s64, -1
	s_addc_u32 s1, s65, -1
	v_mov_b64_e32 v[2:3], s[0:1]
	v_cmp_ge_u64_e64 s[2:3], s[80:81], v[2:3]
	s_mov_b64 s[10:11], 0
	s_mov_b64 s[6:7], -1
	s_and_b64 vcc, exec, s[2:3]
	s_mul_i32 s33, s0, 0xffffe900
	s_barrier
	s_barrier
	s_cbranch_vccz .LBB1838_126
; %bb.5:
	v_mov_b64_e32 v[2:3], s[68:69]
	flat_load_dword v1, v[2:3]
	s_add_i32 s84, s33, s74
	v_cmp_gt_u32_e64 s[6:7], s84, v0
	s_waitcnt vmcnt(0) lgkmcnt(0)
	v_mov_b32_e32 v3, v1
	s_and_saveexec_b64 s[0:1], s[6:7]
	s_cbranch_execz .LBB1838_7
; %bb.6:
	v_lshlrev_b32_e32 v2, 2, v0
	v_mov_b32_e32 v3, 0
	v_lshl_add_u64 v[2:3], s[68:69], 0, v[2:3]
	flat_load_dword v3, v[2:3]
.LBB1838_7:
	s_or_b64 exec, exec, s[0:1]
	v_or_b32_e32 v2, 0x100, v0
	v_cmp_gt_u32_e64 s[8:9], s84, v2
	v_mov_b32_e32 v4, v1
	s_and_saveexec_b64 s[0:1], s[8:9]
	s_cbranch_execz .LBB1838_9
; %bb.8:
	v_lshlrev_b32_e32 v4, 2, v0
	v_mov_b32_e32 v5, 0
	v_lshl_add_u64 v[4:5], s[68:69], 0, v[4:5]
	flat_load_dword v4, v[4:5] offset:1024
.LBB1838_9:
	s_or_b64 exec, exec, s[0:1]
	v_or_b32_e32 v2, 0x200, v0
	v_cmp_gt_u32_e64 s[10:11], s84, v2
	v_mov_b32_e32 v5, v1
	s_and_saveexec_b64 s[0:1], s[10:11]
	s_cbranch_execz .LBB1838_11
; %bb.10:
	v_lshlrev_b32_e32 v6, 2, v0
	v_mov_b32_e32 v7, 0
	v_lshl_add_u64 v[6:7], s[68:69], 0, v[6:7]
	flat_load_dword v5, v[6:7] offset:2048
.LBB1838_11:
	;; [unrolled: 12-line block ×3, first 2 shown]
	s_or_b64 exec, exec, s[0:1]
	v_or_b32_e32 v10, 0x400, v0
	v_cmp_gt_u32_e64 s[14:15], s84, v10
	v_mov_b32_e32 v7, v1
	s_and_saveexec_b64 s[0:1], s[14:15]
	s_cbranch_execz .LBB1838_15
; %bb.14:
	v_lshlrev_b32_e32 v8, 2, v10
	v_mov_b32_e32 v9, 0
	v_lshl_add_u64 v[8:9], s[68:69], 0, v[8:9]
	flat_load_dword v7, v[8:9]
.LBB1838_15:
	s_or_b64 exec, exec, s[0:1]
	v_or_b32_e32 v11, 0x500, v0
	v_cmp_gt_u32_e64 s[16:17], s84, v11
	v_mov_b32_e32 v8, v1
	s_and_saveexec_b64 s[0:1], s[16:17]
	s_cbranch_execz .LBB1838_17
; %bb.16:
	v_lshlrev_b32_e32 v8, 2, v11
	v_mov_b32_e32 v9, 0
	v_lshl_add_u64 v[8:9], s[68:69], 0, v[8:9]
	flat_load_dword v8, v[8:9]
.LBB1838_17:
	;; [unrolled: 12-line block ×18, first 2 shown]
	s_or_b64 exec, exec, s[0:1]
	v_or_b32_e32 v28, 0x1600, v0
	v_cmp_gt_u32_e64 s[52:53], s84, v28
	s_and_saveexec_b64 s[0:1], s[52:53]
	s_cbranch_execz .LBB1838_51
; %bb.50:
	v_lshlrev_b32_e32 v44, 2, v28
	v_mov_b32_e32 v45, 0
	v_lshl_add_u64 v[44:45], s[68:69], 0, v[44:45]
	flat_load_dword v1, v[44:45]
.LBB1838_51:
	s_or_b64 exec, exec, s[0:1]
	v_lshlrev_b32_e32 v2, 2, v0
	s_movk_i32 s0, 0x58
	s_waitcnt vmcnt(0) lgkmcnt(0)
	ds_write2st64_b32 v2, v3, v4 offset1:4
	ds_write2st64_b32 v2, v5, v6 offset0:8 offset1:12
	ds_write2st64_b32 v2, v7, v8 offset0:16 offset1:20
	;; [unrolled: 1-line block ×10, first 2 shown]
	ds_write_b32 v2, v1 offset:22528
	v_mad_u32_u24 v1, v0, s0, v2
	s_waitcnt lgkmcnt(0)
	s_barrier
	ds_read2_b32 v[68:69], v1 offset1:1
	ds_read2_b32 v[66:67], v1 offset0:2 offset1:3
	ds_read2_b32 v[64:65], v1 offset0:4 offset1:5
	;; [unrolled: 1-line block ×10, first 2 shown]
	ds_read_b32 v72, v1 offset:88
	s_cmp_eq_u64 s[80:81], 0
	s_mov_b64 s[0:1], s[68:69]
	s_cbranch_scc1 .LBB1838_55
; %bb.52:
	s_andn2_b64 vcc, exec, s[78:79]
	s_cbranch_vccnz .LBB1838_271
; %bb.53:
	s_lshl_b64 s[0:1], s[80:81], 2
	s_add_u32 s0, s70, s0
	s_addc_u32 s1, s71, s1
	s_add_u32 s0, s0, -4
	s_addc_u32 s1, s1, -1
	s_cbranch_execnz .LBB1838_55
.LBB1838_54:
	s_add_u32 s0, s68, -4
	s_addc_u32 s1, s69, -1
.LBB1838_55:
	v_mov_b64_e32 v[30:31], s[0:1]
	flat_load_dword v70, v[30:31]
	s_movk_i32 s0, 0xffa8
	v_mad_i32_i24 v3, v0, s0, v1
	s_waitcnt lgkmcnt(0)
	ds_write_b32 v3, v72 offset:23552
	s_waitcnt lgkmcnt(0)
	s_barrier
	s_and_saveexec_b64 s[0:1], s[4:5]
	s_cbranch_execz .LBB1838_57
; %bb.56:
	v_mul_i32_i24_e32 v3, 0xffffffa8, v0
	v_add_u32_e32 v3, v1, v3
	s_waitcnt vmcnt(0)
	ds_read_b32 v70, v3 offset:23548
.LBB1838_57:
	s_or_b64 exec, exec, s[0:1]
	v_mov_b32_e32 v3, 0
	s_waitcnt lgkmcnt(0)
	s_barrier
	s_waitcnt lgkmcnt(0)
                                        ; implicit-def: $vgpr29
	s_and_saveexec_b64 s[0:1], s[6:7]
	s_cbranch_execnz .LBB1838_247
; %bb.58:
	s_or_b64 exec, exec, s[0:1]
                                        ; implicit-def: $vgpr30
	s_and_saveexec_b64 s[0:1], s[8:9]
	s_cbranch_execnz .LBB1838_248
.LBB1838_59:
	s_or_b64 exec, exec, s[0:1]
                                        ; implicit-def: $vgpr31
	s_and_saveexec_b64 s[0:1], s[10:11]
	s_cbranch_execnz .LBB1838_249
.LBB1838_60:
	s_or_b64 exec, exec, s[0:1]
                                        ; implicit-def: $vgpr3
	s_and_saveexec_b64 s[0:1], s[12:13]
	s_cbranch_execnz .LBB1838_250
.LBB1838_61:
	s_or_b64 exec, exec, s[0:1]
                                        ; implicit-def: $vgpr32
	s_and_saveexec_b64 s[0:1], s[14:15]
	s_cbranch_execnz .LBB1838_251
.LBB1838_62:
	s_or_b64 exec, exec, s[0:1]
                                        ; implicit-def: $vgpr10
	s_and_saveexec_b64 s[0:1], s[16:17]
	s_cbranch_execnz .LBB1838_252
.LBB1838_63:
	s_or_b64 exec, exec, s[0:1]
                                        ; implicit-def: $vgpr11
	s_and_saveexec_b64 s[0:1], s[18:19]
	s_cbranch_execnz .LBB1838_253
.LBB1838_64:
	s_or_b64 exec, exec, s[0:1]
                                        ; implicit-def: $vgpr12
	s_and_saveexec_b64 s[0:1], s[20:21]
	s_cbranch_execnz .LBB1838_254
.LBB1838_65:
	s_or_b64 exec, exec, s[0:1]
                                        ; implicit-def: $vgpr13
	s_and_saveexec_b64 s[0:1], s[22:23]
	s_cbranch_execnz .LBB1838_255
.LBB1838_66:
	s_or_b64 exec, exec, s[0:1]
                                        ; implicit-def: $vgpr14
	s_and_saveexec_b64 s[0:1], s[24:25]
	s_cbranch_execnz .LBB1838_256
.LBB1838_67:
	s_or_b64 exec, exec, s[0:1]
                                        ; implicit-def: $vgpr15
	s_and_saveexec_b64 s[0:1], s[26:27]
	s_cbranch_execnz .LBB1838_257
.LBB1838_68:
	s_or_b64 exec, exec, s[0:1]
                                        ; implicit-def: $vgpr16
	s_and_saveexec_b64 s[0:1], s[28:29]
	s_cbranch_execnz .LBB1838_258
.LBB1838_69:
	s_or_b64 exec, exec, s[0:1]
                                        ; implicit-def: $vgpr17
	s_and_saveexec_b64 s[0:1], s[30:31]
	s_cbranch_execnz .LBB1838_259
.LBB1838_70:
	s_or_b64 exec, exec, s[0:1]
                                        ; implicit-def: $vgpr18
	s_and_saveexec_b64 s[0:1], s[34:35]
	s_cbranch_execnz .LBB1838_260
.LBB1838_71:
	s_or_b64 exec, exec, s[0:1]
                                        ; implicit-def: $vgpr19
	s_and_saveexec_b64 s[0:1], s[36:37]
	s_cbranch_execnz .LBB1838_261
.LBB1838_72:
	s_or_b64 exec, exec, s[0:1]
                                        ; implicit-def: $vgpr20
	s_and_saveexec_b64 s[0:1], s[38:39]
	s_cbranch_execnz .LBB1838_262
.LBB1838_73:
	s_or_b64 exec, exec, s[0:1]
                                        ; implicit-def: $vgpr21
	s_and_saveexec_b64 s[0:1], s[40:41]
	s_cbranch_execnz .LBB1838_263
.LBB1838_74:
	s_or_b64 exec, exec, s[0:1]
                                        ; implicit-def: $vgpr22
	s_and_saveexec_b64 s[0:1], s[42:43]
	s_cbranch_execnz .LBB1838_264
.LBB1838_75:
	s_or_b64 exec, exec, s[0:1]
                                        ; implicit-def: $vgpr23
	s_and_saveexec_b64 s[0:1], s[44:45]
	s_cbranch_execnz .LBB1838_265
.LBB1838_76:
	s_or_b64 exec, exec, s[0:1]
                                        ; implicit-def: $vgpr24
	s_and_saveexec_b64 s[0:1], s[46:47]
	s_cbranch_execnz .LBB1838_266
.LBB1838_77:
	s_or_b64 exec, exec, s[0:1]
                                        ; implicit-def: $vgpr25
	s_and_saveexec_b64 s[0:1], s[48:49]
	s_cbranch_execnz .LBB1838_267
.LBB1838_78:
	s_or_b64 exec, exec, s[0:1]
                                        ; implicit-def: $vgpr26
	s_and_saveexec_b64 s[0:1], s[50:51]
	s_cbranch_execnz .LBB1838_268
.LBB1838_79:
	s_or_b64 exec, exec, s[0:1]
                                        ; implicit-def: $vgpr27
	s_and_saveexec_b64 s[0:1], s[52:53]
	s_cbranch_execz .LBB1838_81
.LBB1838_80:
	v_lshlrev_b32_e32 v34, 2, v28
	v_mov_b32_e32 v35, 0
	v_lshl_add_u64 v[34:35], s[60:61], 0, v[34:35]
	flat_load_dword v27, v[34:35]
.LBB1838_81:
	s_or_b64 exec, exec, s[0:1]
	v_mul_u32_u24_e32 v73, 23, v0
	s_waitcnt vmcnt(0) lgkmcnt(0)
	ds_write2st64_b32 v2, v29, v30 offset1:4
	ds_write2st64_b32 v2, v31, v3 offset0:8 offset1:12
	ds_write2st64_b32 v2, v32, v10 offset0:16 offset1:20
	;; [unrolled: 1-line block ×10, first 2 shown]
	ds_write_b32 v2, v27 offset:22528
	v_mov_b64_e32 v[10:11], 0
	v_cmp_gt_u32_e32 vcc, s84, v73
	s_mov_b64 s[10:11], 0
	s_mov_b64 s[6:7], 0
	v_mov_b64_e32 v[12:13], v[10:11]
	v_mov_b64_e32 v[14:15], v[10:11]
	;; [unrolled: 1-line block ×21, first 2 shown]
	s_waitcnt lgkmcnt(0)
	s_barrier
	s_waitcnt lgkmcnt(0)
                                        ; implicit-def: $sgpr0_sgpr1
                                        ; implicit-def: $vgpr3
	s_and_saveexec_b64 s[8:9], vcc
	s_cbranch_execz .LBB1838_125
; %bb.82:
	ds_read_b32 v10, v1
	v_add_u32_e32 v2, 1, v73
	v_cmp_ne_u32_e32 vcc, v70, v68
	v_mov_b64_e32 v[12:13], 0
	s_mov_b64 s[12:13], 0
	v_cndmask_b32_e64 v11, 0, 1, vcc
	v_cmp_gt_u32_e32 vcc, s84, v2
	s_mov_b64 s[0:1], 0
	v_mov_b64_e32 v[14:15], v[12:13]
	v_mov_b64_e32 v[16:17], v[12:13]
	;; [unrolled: 1-line block ×20, first 2 shown]
                                        ; implicit-def: $sgpr14_sgpr15
                                        ; implicit-def: $vgpr3
	s_and_saveexec_b64 s[10:11], vcc
	s_cbranch_execz .LBB1838_124
; %bb.83:
	ds_read2_b32 v[70:71], v1 offset0:1 offset1:2
	v_add_u32_e32 v2, 2, v73
	v_cmp_ne_u32_e32 vcc, v68, v69
	v_mov_b64_e32 v[14:15], 0
	s_mov_b64 s[16:17], 0
	v_cndmask_b32_e64 v13, 0, 1, vcc
	v_cmp_gt_u32_e32 vcc, s84, v2
	s_waitcnt lgkmcnt(0)
	v_mov_b32_e32 v12, v70
	v_mov_b64_e32 v[16:17], v[14:15]
	v_mov_b64_e32 v[18:19], v[14:15]
	;; [unrolled: 1-line block ×19, first 2 shown]
                                        ; implicit-def: $sgpr14_sgpr15
                                        ; implicit-def: $vgpr3
	s_and_saveexec_b64 s[12:13], vcc
	s_cbranch_execz .LBB1838_123
; %bb.84:
	v_add_u32_e32 v2, 3, v73
	v_cmp_ne_u32_e32 vcc, v69, v66
	v_mov_b64_e32 v[16:17], 0
	v_mov_b32_e32 v14, v71
	v_cndmask_b32_e64 v15, 0, 1, vcc
	v_cmp_gt_u32_e32 vcc, s84, v2
	v_mov_b64_e32 v[18:19], v[16:17]
	v_mov_b64_e32 v[20:21], v[16:17]
	;; [unrolled: 1-line block ×18, first 2 shown]
                                        ; implicit-def: $sgpr18_sgpr19
                                        ; implicit-def: $vgpr3
	s_and_saveexec_b64 s[14:15], vcc
	s_cbranch_execz .LBB1838_122
; %bb.85:
	ds_read2_b32 v[68:69], v1 offset0:3 offset1:4
	v_add_u32_e32 v2, 4, v73
	v_cmp_ne_u32_e32 vcc, v66, v67
	v_mov_b64_e32 v[18:19], 0
	s_mov_b64 s[20:21], 0
	v_cndmask_b32_e64 v17, 0, 1, vcc
	v_cmp_gt_u32_e32 vcc, s84, v2
	s_waitcnt lgkmcnt(0)
	v_mov_b32_e32 v16, v68
	v_mov_b64_e32 v[20:21], v[18:19]
	v_mov_b64_e32 v[22:23], v[18:19]
	;; [unrolled: 1-line block ×17, first 2 shown]
                                        ; implicit-def: $sgpr18_sgpr19
                                        ; implicit-def: $vgpr3
	s_and_saveexec_b64 s[16:17], vcc
	s_cbranch_execz .LBB1838_121
; %bb.86:
	v_add_u32_e32 v2, 5, v73
	v_cmp_ne_u32_e32 vcc, v67, v64
	v_mov_b64_e32 v[20:21], 0
	v_mov_b32_e32 v18, v69
	v_cndmask_b32_e64 v19, 0, 1, vcc
	v_cmp_gt_u32_e32 vcc, s84, v2
	v_mov_b64_e32 v[22:23], v[20:21]
	v_mov_b64_e32 v[24:25], v[20:21]
	;; [unrolled: 1-line block ×16, first 2 shown]
                                        ; implicit-def: $sgpr22_sgpr23
                                        ; implicit-def: $vgpr3
	s_and_saveexec_b64 s[18:19], vcc
	s_cbranch_execz .LBB1838_120
; %bb.87:
	ds_read2_b32 v[66:67], v1 offset0:5 offset1:6
	v_add_u32_e32 v2, 6, v73
	v_cmp_ne_u32_e32 vcc, v64, v65
	v_mov_b64_e32 v[22:23], 0
	s_mov_b64 s[24:25], 0
	v_cndmask_b32_e64 v21, 0, 1, vcc
	v_cmp_gt_u32_e32 vcc, s84, v2
	s_waitcnt lgkmcnt(0)
	v_mov_b32_e32 v20, v66
	v_mov_b64_e32 v[24:25], v[22:23]
	v_mov_b64_e32 v[26:27], v[22:23]
	;; [unrolled: 1-line block ×15, first 2 shown]
                                        ; implicit-def: $sgpr22_sgpr23
                                        ; implicit-def: $vgpr3
	s_and_saveexec_b64 s[20:21], vcc
	s_cbranch_execz .LBB1838_119
; %bb.88:
	v_add_u32_e32 v2, 7, v73
	v_cmp_ne_u32_e32 vcc, v65, v62
	v_mov_b64_e32 v[24:25], 0
	v_mov_b32_e32 v22, v67
	v_cndmask_b32_e64 v23, 0, 1, vcc
	v_cmp_gt_u32_e32 vcc, s84, v2
	v_mov_b64_e32 v[26:27], v[24:25]
	v_mov_b64_e32 v[28:29], v[24:25]
	;; [unrolled: 1-line block ×14, first 2 shown]
                                        ; implicit-def: $sgpr26_sgpr27
                                        ; implicit-def: $vgpr3
	s_and_saveexec_b64 s[22:23], vcc
	s_cbranch_execz .LBB1838_118
; %bb.89:
	ds_read2_b32 v[64:65], v1 offset0:7 offset1:8
	v_add_u32_e32 v2, 8, v73
	v_cmp_ne_u32_e32 vcc, v62, v63
	v_mov_b64_e32 v[26:27], 0
	s_mov_b64 s[28:29], 0
	v_cndmask_b32_e64 v25, 0, 1, vcc
	v_cmp_gt_u32_e32 vcc, s84, v2
	s_waitcnt lgkmcnt(0)
	v_mov_b32_e32 v24, v64
	v_mov_b64_e32 v[28:29], v[26:27]
	v_mov_b64_e32 v[30:31], v[26:27]
	;; [unrolled: 1-line block ×13, first 2 shown]
                                        ; implicit-def: $sgpr26_sgpr27
                                        ; implicit-def: $vgpr3
	s_and_saveexec_b64 s[24:25], vcc
	s_cbranch_execz .LBB1838_117
; %bb.90:
	v_add_u32_e32 v2, 9, v73
	v_cmp_ne_u32_e32 vcc, v63, v60
	v_mov_b64_e32 v[28:29], 0
	v_mov_b32_e32 v26, v65
	v_cndmask_b32_e64 v27, 0, 1, vcc
	v_cmp_gt_u32_e32 vcc, s84, v2
	v_mov_b64_e32 v[30:31], v[28:29]
	v_mov_b64_e32 v[32:33], v[28:29]
	v_mov_b64_e32 v[34:35], v[28:29]
	v_mov_b64_e32 v[36:37], v[28:29]
	v_mov_b64_e32 v[38:39], v[28:29]
	v_mov_b64_e32 v[40:41], v[28:29]
	v_mov_b64_e32 v[42:43], v[28:29]
	v_mov_b64_e32 v[44:45], v[28:29]
	v_mov_b64_e32 v[46:47], v[28:29]
	v_mov_b64_e32 v[48:49], v[28:29]
	v_mov_b64_e32 v[50:51], v[28:29]
	v_mov_b64_e32 v[52:53], v[28:29]
                                        ; implicit-def: $sgpr30_sgpr31
                                        ; implicit-def: $vgpr3
	s_and_saveexec_b64 s[26:27], vcc
	s_cbranch_execz .LBB1838_116
; %bb.91:
	ds_read2_b32 v[62:63], v1 offset0:9 offset1:10
	v_add_u32_e32 v2, 10, v73
	v_cmp_ne_u32_e32 vcc, v60, v61
	v_mov_b64_e32 v[30:31], 0
	s_mov_b64 s[34:35], 0
	v_cndmask_b32_e64 v29, 0, 1, vcc
	v_cmp_gt_u32_e32 vcc, s84, v2
	s_waitcnt lgkmcnt(0)
	v_mov_b32_e32 v28, v62
	v_mov_b64_e32 v[32:33], v[30:31]
	v_mov_b64_e32 v[34:35], v[30:31]
	;; [unrolled: 1-line block ×11, first 2 shown]
                                        ; implicit-def: $sgpr30_sgpr31
                                        ; implicit-def: $vgpr3
	s_and_saveexec_b64 s[28:29], vcc
	s_cbranch_execz .LBB1838_115
; %bb.92:
	v_add_u32_e32 v2, 11, v73
	v_cmp_ne_u32_e32 vcc, v61, v58
	v_mov_b64_e32 v[32:33], 0
	v_mov_b32_e32 v30, v63
	v_cndmask_b32_e64 v31, 0, 1, vcc
	v_cmp_gt_u32_e32 vcc, s84, v2
	v_mov_b64_e32 v[34:35], v[32:33]
	v_mov_b64_e32 v[36:37], v[32:33]
	;; [unrolled: 1-line block ×10, first 2 shown]
                                        ; implicit-def: $sgpr36_sgpr37
                                        ; implicit-def: $vgpr3
	s_and_saveexec_b64 s[30:31], vcc
	s_cbranch_execz .LBB1838_114
; %bb.93:
	ds_read2_b32 v[60:61], v1 offset0:11 offset1:12
	v_add_u32_e32 v2, 12, v73
	v_cmp_ne_u32_e32 vcc, v58, v59
	v_mov_b64_e32 v[34:35], 0
	s_mov_b64 s[38:39], 0
	v_cndmask_b32_e64 v33, 0, 1, vcc
	v_cmp_gt_u32_e32 vcc, s84, v2
	s_waitcnt lgkmcnt(0)
	v_mov_b32_e32 v32, v60
	v_mov_b64_e32 v[36:37], v[34:35]
	v_mov_b64_e32 v[38:39], v[34:35]
	;; [unrolled: 1-line block ×9, first 2 shown]
                                        ; implicit-def: $sgpr36_sgpr37
                                        ; implicit-def: $vgpr3
	s_and_saveexec_b64 s[34:35], vcc
	s_cbranch_execz .LBB1838_113
; %bb.94:
	v_add_u32_e32 v2, 13, v73
	v_cmp_ne_u32_e32 vcc, v59, v56
	v_mov_b64_e32 v[36:37], 0
	v_mov_b32_e32 v34, v61
	v_cndmask_b32_e64 v35, 0, 1, vcc
	v_cmp_gt_u32_e32 vcc, s84, v2
	v_mov_b64_e32 v[38:39], v[36:37]
	v_mov_b64_e32 v[40:41], v[36:37]
	v_mov_b64_e32 v[42:43], v[36:37]
	v_mov_b64_e32 v[44:45], v[36:37]
	v_mov_b64_e32 v[46:47], v[36:37]
	v_mov_b64_e32 v[48:49], v[36:37]
	v_mov_b64_e32 v[50:51], v[36:37]
	v_mov_b64_e32 v[52:53], v[36:37]
                                        ; implicit-def: $sgpr40_sgpr41
                                        ; implicit-def: $vgpr3
	s_and_saveexec_b64 s[36:37], vcc
	s_cbranch_execz .LBB1838_112
; %bb.95:
	ds_read2_b32 v[58:59], v1 offset0:13 offset1:14
	v_add_u32_e32 v2, 14, v73
	v_cmp_ne_u32_e32 vcc, v56, v57
	v_mov_b64_e32 v[38:39], 0
	s_mov_b64 s[42:43], 0
	v_cndmask_b32_e64 v37, 0, 1, vcc
	v_cmp_gt_u32_e32 vcc, s84, v2
	s_waitcnt lgkmcnt(0)
	v_mov_b32_e32 v36, v58
	v_mov_b64_e32 v[40:41], v[38:39]
	v_mov_b64_e32 v[42:43], v[38:39]
	;; [unrolled: 1-line block ×7, first 2 shown]
                                        ; implicit-def: $sgpr40_sgpr41
                                        ; implicit-def: $vgpr3
	s_and_saveexec_b64 s[38:39], vcc
	s_cbranch_execz .LBB1838_111
; %bb.96:
	v_add_u32_e32 v2, 15, v73
	v_cmp_ne_u32_e32 vcc, v57, v54
	v_mov_b64_e32 v[40:41], 0
	v_mov_b32_e32 v38, v59
	v_cndmask_b32_e64 v39, 0, 1, vcc
	v_cmp_gt_u32_e32 vcc, s84, v2
	v_mov_b64_e32 v[42:43], v[40:41]
	v_mov_b64_e32 v[44:45], v[40:41]
	v_mov_b64_e32 v[46:47], v[40:41]
	v_mov_b64_e32 v[48:49], v[40:41]
	v_mov_b64_e32 v[50:51], v[40:41]
	v_mov_b64_e32 v[52:53], v[40:41]
                                        ; implicit-def: $sgpr44_sgpr45
                                        ; implicit-def: $vgpr3
	s_and_saveexec_b64 s[40:41], vcc
	s_cbranch_execz .LBB1838_110
; %bb.97:
	ds_read2_b32 v[56:57], v1 offset0:15 offset1:16
	v_add_u32_e32 v2, 16, v73
	v_cmp_ne_u32_e32 vcc, v54, v55
	v_mov_b64_e32 v[42:43], 0
	s_mov_b64 s[46:47], 0
	v_cndmask_b32_e64 v41, 0, 1, vcc
	v_cmp_gt_u32_e32 vcc, s84, v2
	s_waitcnt lgkmcnt(0)
	v_mov_b32_e32 v40, v56
	v_mov_b64_e32 v[44:45], v[42:43]
	v_mov_b64_e32 v[46:47], v[42:43]
	;; [unrolled: 1-line block ×5, first 2 shown]
                                        ; implicit-def: $sgpr44_sgpr45
                                        ; implicit-def: $vgpr3
	s_and_saveexec_b64 s[42:43], vcc
	s_cbranch_execz .LBB1838_109
; %bb.98:
	v_add_u32_e32 v2, 17, v73
	v_cmp_ne_u32_e32 vcc, v55, v8
	v_mov_b64_e32 v[44:45], 0
	v_mov_b32_e32 v42, v57
	v_cndmask_b32_e64 v43, 0, 1, vcc
	v_cmp_gt_u32_e32 vcc, s84, v2
	v_mov_b64_e32 v[46:47], v[44:45]
	v_mov_b64_e32 v[48:49], v[44:45]
	;; [unrolled: 1-line block ×4, first 2 shown]
                                        ; implicit-def: $sgpr48_sgpr49
                                        ; implicit-def: $vgpr3
	s_and_saveexec_b64 s[44:45], vcc
	s_cbranch_execz .LBB1838_108
; %bb.99:
	ds_read2_b32 v[54:55], v1 offset0:17 offset1:18
	v_add_u32_e32 v2, 18, v73
	v_cmp_ne_u32_e32 vcc, v8, v9
	v_mov_b64_e32 v[46:47], 0
	s_mov_b64 s[50:51], 0
	v_cndmask_b32_e64 v45, 0, 1, vcc
	v_cmp_gt_u32_e32 vcc, s84, v2
	s_waitcnt lgkmcnt(0)
	v_mov_b32_e32 v44, v54
	v_mov_b64_e32 v[48:49], v[46:47]
	v_mov_b64_e32 v[50:51], v[46:47]
	;; [unrolled: 1-line block ×3, first 2 shown]
                                        ; implicit-def: $sgpr48_sgpr49
                                        ; implicit-def: $vgpr3
	s_and_saveexec_b64 s[46:47], vcc
	s_cbranch_execz .LBB1838_107
; %bb.100:
	v_add_u32_e32 v2, 19, v73
	v_cmp_ne_u32_e32 vcc, v9, v6
	v_mov_b64_e32 v[48:49], 0
	v_mov_b32_e32 v46, v55
	v_cndmask_b32_e64 v47, 0, 1, vcc
	v_cmp_gt_u32_e32 vcc, s84, v2
	v_mov_b64_e32 v[50:51], v[48:49]
	v_mov_b64_e32 v[52:53], v[48:49]
                                        ; implicit-def: $sgpr52_sgpr53
                                        ; implicit-def: $vgpr3
	s_and_saveexec_b64 s[48:49], vcc
	s_cbranch_execz .LBB1838_106
; %bb.101:
	ds_read2_b32 v[8:9], v1 offset0:19 offset1:20
	v_add_u32_e32 v2, 20, v73
	v_cmp_ne_u32_e32 vcc, v6, v7
	v_mov_b64_e32 v[50:51], 0
	s_mov_b64 s[52:53], 0
	v_cndmask_b32_e64 v49, 0, 1, vcc
	v_cmp_gt_u32_e32 vcc, s84, v2
	s_waitcnt lgkmcnt(0)
	v_mov_b32_e32 v48, v8
	v_mov_b64_e32 v[52:53], v[50:51]
                                        ; implicit-def: $sgpr64_sgpr65
                                        ; implicit-def: $vgpr3
	s_and_saveexec_b64 s[50:51], vcc
	s_cbranch_execz .LBB1838_105
; %bb.102:
	v_add_u32_e32 v2, 21, v73
	v_cmp_ne_u32_e32 vcc, v7, v4
	v_mov_b32_e32 v50, v9
	v_mov_b64_e32 v[52:53], 0
	v_cndmask_b32_e64 v51, 0, 1, vcc
	v_cmp_gt_u32_e32 vcc, s84, v2
                                        ; implicit-def: $sgpr64_sgpr65
                                        ; implicit-def: $vgpr3
	s_and_saveexec_b64 s[0:1], vcc
	s_xor_b64 s[82:83], exec, s[0:1]
	s_cbranch_execz .LBB1838_104
; %bb.103:
	ds_read2_b32 v[2:3], v1 offset0:21 offset1:22
	v_add_u32_e32 v1, 22, v73
	v_cmp_ne_u32_e64 s[0:1], v4, v5
	v_cmp_ne_u32_e32 vcc, v5, v72
	s_and_b64 s[64:65], vcc, exec
	v_cndmask_b32_e64 v53, 0, 1, s[0:1]
	v_cmp_gt_u32_e64 s[0:1], s84, v1
	s_waitcnt lgkmcnt(0)
	v_mov_b32_e32 v52, v2
	s_and_b64 s[52:53], s[0:1], exec
.LBB1838_104:
	s_or_b64 exec, exec, s[82:83]
	s_and_b64 s[64:65], s[64:65], exec
	s_and_b64 s[0:1], s[52:53], exec
.LBB1838_105:
	s_or_b64 exec, exec, s[50:51]
	s_and_b64 s[52:53], s[64:65], exec
	s_and_b64 s[50:51], s[0:1], exec
.LBB1838_106:
	s_or_b64 exec, exec, s[48:49]
	s_and_b64 s[48:49], s[52:53], exec
	s_and_b64 s[0:1], s[50:51], exec
.LBB1838_107:
	s_or_b64 exec, exec, s[46:47]
	s_and_b64 s[48:49], s[48:49], exec
	s_and_b64 s[46:47], s[0:1], exec
.LBB1838_108:
	s_or_b64 exec, exec, s[44:45]
	s_and_b64 s[44:45], s[48:49], exec
	s_and_b64 s[0:1], s[46:47], exec
.LBB1838_109:
	s_or_b64 exec, exec, s[42:43]
	s_and_b64 s[44:45], s[44:45], exec
	s_and_b64 s[42:43], s[0:1], exec
.LBB1838_110:
	s_or_b64 exec, exec, s[40:41]
	s_and_b64 s[40:41], s[44:45], exec
	s_and_b64 s[0:1], s[42:43], exec
.LBB1838_111:
	s_or_b64 exec, exec, s[38:39]
	s_and_b64 s[40:41], s[40:41], exec
	s_and_b64 s[38:39], s[0:1], exec
.LBB1838_112:
	s_or_b64 exec, exec, s[36:37]
	s_and_b64 s[36:37], s[40:41], exec
	s_and_b64 s[0:1], s[38:39], exec
.LBB1838_113:
	s_or_b64 exec, exec, s[34:35]
	s_and_b64 s[36:37], s[36:37], exec
	s_and_b64 s[34:35], s[0:1], exec
.LBB1838_114:
	s_or_b64 exec, exec, s[30:31]
	s_and_b64 s[30:31], s[36:37], exec
	s_and_b64 s[0:1], s[34:35], exec
.LBB1838_115:
	s_or_b64 exec, exec, s[28:29]
	s_and_b64 s[30:31], s[30:31], exec
	s_and_b64 s[28:29], s[0:1], exec
.LBB1838_116:
	s_or_b64 exec, exec, s[26:27]
	s_and_b64 s[26:27], s[30:31], exec
	s_and_b64 s[0:1], s[28:29], exec
.LBB1838_117:
	s_or_b64 exec, exec, s[24:25]
	s_and_b64 s[26:27], s[26:27], exec
	s_and_b64 s[24:25], s[0:1], exec
.LBB1838_118:
	s_or_b64 exec, exec, s[22:23]
	s_and_b64 s[22:23], s[26:27], exec
	s_and_b64 s[0:1], s[24:25], exec
.LBB1838_119:
	s_or_b64 exec, exec, s[20:21]
	s_and_b64 s[22:23], s[22:23], exec
	s_and_b64 s[20:21], s[0:1], exec
.LBB1838_120:
	s_or_b64 exec, exec, s[18:19]
	s_and_b64 s[18:19], s[22:23], exec
	s_and_b64 s[0:1], s[20:21], exec
.LBB1838_121:
	s_or_b64 exec, exec, s[16:17]
	s_and_b64 s[18:19], s[18:19], exec
	s_and_b64 s[16:17], s[0:1], exec
.LBB1838_122:
	s_or_b64 exec, exec, s[14:15]
	s_and_b64 s[14:15], s[18:19], exec
	s_and_b64 s[0:1], s[16:17], exec
.LBB1838_123:
	s_or_b64 exec, exec, s[12:13]
	s_and_b64 s[14:15], s[14:15], exec
	s_and_b64 s[12:13], s[0:1], exec
.LBB1838_124:
	s_or_b64 exec, exec, s[10:11]
	s_and_b64 s[0:1], s[14:15], exec
	s_and_b64 s[10:11], s[12:13], exec
.LBB1838_125:
	s_or_b64 exec, exec, s[8:9]
	s_mov_b64 s[8:9], 0
	s_and_b64 vcc, exec, s[6:7]
	v_lshlrev_b32_e32 v54, 2, v0
	s_cbranch_vccnz .LBB1838_127
	s_branch .LBB1838_135
.LBB1838_126:
                                        ; implicit-def: $sgpr0_sgpr1
                                        ; implicit-def: $vgpr3
                                        ; implicit-def: $vgpr10_vgpr11
                                        ; implicit-def: $vgpr12_vgpr13
                                        ; implicit-def: $vgpr14_vgpr15
                                        ; implicit-def: $vgpr16_vgpr17
                                        ; implicit-def: $vgpr18_vgpr19
                                        ; implicit-def: $vgpr20_vgpr21
                                        ; implicit-def: $vgpr22_vgpr23
                                        ; implicit-def: $vgpr24_vgpr25
                                        ; implicit-def: $vgpr26_vgpr27
                                        ; implicit-def: $vgpr28_vgpr29
                                        ; implicit-def: $vgpr30_vgpr31
                                        ; implicit-def: $vgpr32_vgpr33
                                        ; implicit-def: $vgpr34_vgpr35
                                        ; implicit-def: $vgpr36_vgpr37
                                        ; implicit-def: $vgpr38_vgpr39
                                        ; implicit-def: $vgpr40_vgpr41
                                        ; implicit-def: $vgpr42_vgpr43
                                        ; implicit-def: $vgpr44_vgpr45
                                        ; implicit-def: $vgpr46_vgpr47
                                        ; implicit-def: $vgpr48_vgpr49
                                        ; implicit-def: $vgpr50_vgpr51
                                        ; implicit-def: $vgpr52_vgpr53
                                        ; implicit-def: $sgpr8_sgpr9
	s_and_b64 vcc, exec, s[6:7]
	v_lshlrev_b32_e32 v54, 2, v0
	s_cbranch_vccz .LBB1838_135
.LBB1838_127:
	v_mov_b32_e32 v55, 0
	v_lshl_add_u64 v[2:3], s[68:69], 0, v[54:55]
	v_add_co_u32_e32 v4, vcc, 0x1000, v2
	s_movk_i32 s0, 0x58
	s_nop 0
	v_addc_co_u32_e32 v5, vcc, 0, v3, vcc
	flat_load_dword v8, v[2:3]
	flat_load_dword v9, v[2:3] offset:1024
	s_waitcnt lgkmcnt(0)
	flat_load_dword v10, v[2:3] offset:2048
	flat_load_dword v11, v[2:3] offset:3072
	flat_load_dword v12, v[4:5]
	flat_load_dword v13, v[4:5] offset:1024
	flat_load_dword v14, v[4:5] offset:2048
	;; [unrolled: 1-line block ×3, first 2 shown]
	v_add_co_u32_e32 v4, vcc, 0x2000, v2
	v_mad_u32_u24 v1, v0, s0, v54
	s_nop 0
	v_addc_co_u32_e32 v5, vcc, 0, v3, vcc
	v_add_co_u32_e32 v6, vcc, 0x3000, v2
	s_cmp_eq_u64 s[80:81], 0
	s_nop 0
	v_addc_co_u32_e32 v7, vcc, 0, v3, vcc
	flat_load_dword v16, v[4:5]
	flat_load_dword v17, v[4:5] offset:1024
	flat_load_dword v18, v[4:5] offset:2048
	;; [unrolled: 1-line block ×3, first 2 shown]
	flat_load_dword v20, v[6:7]
	flat_load_dword v21, v[6:7] offset:1024
	flat_load_dword v22, v[6:7] offset:2048
	;; [unrolled: 1-line block ×3, first 2 shown]
	v_add_co_u32_e32 v4, vcc, 0x4000, v2
	s_nop 1
	v_addc_co_u32_e32 v5, vcc, 0, v3, vcc
	v_add_co_u32_e32 v2, vcc, 0x5000, v2
	s_nop 1
	v_addc_co_u32_e32 v3, vcc, 0, v3, vcc
	flat_load_dword v6, v[4:5]
	flat_load_dword v7, v[4:5] offset:1024
	flat_load_dword v24, v[4:5] offset:2048
	;; [unrolled: 1-line block ×3, first 2 shown]
	flat_load_dword v26, v[2:3]
	flat_load_dword v27, v[2:3] offset:1024
	flat_load_dword v28, v[2:3] offset:2048
	s_waitcnt vmcnt(0)
	ds_write2st64_b32 v54, v8, v9 offset1:4
	s_waitcnt lgkmcnt(0)
	ds_write2st64_b32 v54, v10, v11 offset0:8 offset1:12
	ds_write2st64_b32 v54, v12, v13 offset0:16 offset1:20
	;; [unrolled: 1-line block ×10, first 2 shown]
	ds_write_b32 v54, v28 offset:22528
	s_waitcnt lgkmcnt(0)
	s_barrier
	ds_read2_b32 v[2:3], v1 offset1:1
	ds_read2_b32 v[18:19], v1 offset0:2 offset1:3
	ds_read2_b32 v[22:23], v1 offset0:4 offset1:5
	;; [unrolled: 1-line block ×10, first 2 shown]
	ds_read_b32 v10, v1 offset:88
	s_cbranch_scc1 .LBB1838_132
; %bb.128:
	s_andn2_b64 vcc, exec, s[78:79]
	s_cbranch_vccnz .LBB1838_272
; %bb.129:
	s_lshl_b64 s[0:1], s[80:81], 2
	s_add_u32 s0, s70, s0
	s_addc_u32 s1, s71, s1
	s_add_u32 s0, s0, -4
	s_addc_u32 s1, s1, -1
	s_cbranch_execnz .LBB1838_131
.LBB1838_130:
	s_add_u32 s0, s68, -4
	s_addc_u32 s1, s69, -1
.LBB1838_131:
	s_mov_b64 s[68:69], s[0:1]
.LBB1838_132:
	v_mov_b64_e32 v[12:13], s[68:69]
	flat_load_dword v11, v[12:13]
	s_movk_i32 s0, 0xffa8
	v_mad_i32_i24 v12, v0, s0, v1
	s_waitcnt lgkmcnt(0)
	ds_write_b32 v12, v10 offset:23552
	s_waitcnt lgkmcnt(0)
	s_barrier
	s_and_saveexec_b64 s[0:1], s[4:5]
	s_cbranch_execz .LBB1838_134
; %bb.133:
	s_waitcnt vmcnt(0)
	v_mul_i32_i24_e32 v11, 0xffffffa8, v0
	v_add_u32_e32 v11, v1, v11
	ds_read_b32 v11, v11 offset:23548
.LBB1838_134:
	s_or_b64 exec, exec, s[0:1]
	v_mov_b32_e32 v55, 0
	v_lshl_add_u64 v[12:13], s[60:61], 0, v[54:55]
	s_movk_i32 s0, 0x1000
	v_add_co_u32_e32 v14, vcc, s0, v12
	s_movk_i32 s0, 0x2000
	s_nop 0
	v_addc_co_u32_e32 v15, vcc, 0, v13, vcc
	s_waitcnt lgkmcnt(0)
	s_barrier
	flat_load_dword v20, v[12:13]
	flat_load_dword v21, v[12:13] offset:1024
	flat_load_dword v24, v[12:13] offset:2048
	;; [unrolled: 1-line block ×3, first 2 shown]
	flat_load_dword v28, v[14:15]
	flat_load_dword v29, v[14:15] offset:1024
	flat_load_dword v32, v[14:15] offset:2048
	;; [unrolled: 1-line block ×3, first 2 shown]
	v_add_co_u32_e32 v14, vcc, s0, v12
	s_movk_i32 s0, 0x3000
	s_nop 0
	v_addc_co_u32_e32 v15, vcc, 0, v13, vcc
	v_add_co_u32_e32 v16, vcc, s0, v12
	s_movk_i32 s0, 0x4000
	s_nop 0
	v_addc_co_u32_e32 v17, vcc, 0, v13, vcc
	flat_load_dword v36, v[14:15]
	flat_load_dword v37, v[14:15] offset:1024
	flat_load_dword v40, v[14:15] offset:2048
	;; [unrolled: 1-line block ×3, first 2 shown]
	flat_load_dword v44, v[16:17]
	flat_load_dword v45, v[16:17] offset:1024
	flat_load_dword v46, v[16:17] offset:2048
	;; [unrolled: 1-line block ×3, first 2 shown]
	v_add_co_u32_e32 v14, vcc, s0, v12
	s_movk_i32 s0, 0x5000
	s_nop 0
	v_addc_co_u32_e32 v15, vcc, 0, v13, vcc
	v_add_co_u32_e32 v12, vcc, s0, v12
	v_cmp_ne_u32_e64 s[0:1], v5, v10
	s_nop 0
	v_addc_co_u32_e32 v13, vcc, 0, v13, vcc
	flat_load_dword v16, v[14:15]
	flat_load_dword v17, v[14:15] offset:1024
	flat_load_dword v48, v[14:15] offset:2048
	flat_load_dword v49, v[14:15] offset:3072
	flat_load_dword v50, v[12:13]
	flat_load_dword v51, v[12:13] offset:1024
	flat_load_dword v52, v[12:13] offset:2048
	s_waitcnt vmcnt(0)
	v_cmp_ne_u32_e32 vcc, v11, v2
	s_mov_b64 s[10:11], -1
                                        ; implicit-def: $sgpr8_sgpr9
	s_waitcnt lgkmcnt(0)
	ds_write2st64_b32 v54, v20, v21 offset1:4
	ds_write2st64_b32 v54, v24, v25 offset0:8 offset1:12
	ds_write2st64_b32 v54, v28, v29 offset0:16 offset1:20
	;; [unrolled: 1-line block ×10, first 2 shown]
	ds_write_b32 v54, v52 offset:22528
	v_cndmask_b32_e64 v11, 0, 1, vcc
	v_cmp_ne_u32_e32 vcc, v2, v3
	s_waitcnt lgkmcnt(0)
	s_barrier
	v_cndmask_b32_e64 v13, 0, 1, vcc
	v_cmp_ne_u32_e32 vcc, v3, v18
	ds_read2_b32 v[16:17], v1 offset1:1
	ds_read2_b32 v[20:21], v1 offset0:2 offset1:3
	ds_read2_b32 v[24:25], v1 offset0:4 offset1:5
	;; [unrolled: 1-line block ×10, first 2 shown]
	ds_read_b32 v3, v1 offset:88
	v_cndmask_b32_e64 v15, 0, 1, vcc
	v_cmp_ne_u32_e32 vcc, v18, v19
	s_waitcnt lgkmcnt(11)
	v_mov_b32_e32 v12, v17
	v_mov_b32_e32 v10, v16
	v_cndmask_b32_e64 v17, 0, 1, vcc
	v_cmp_ne_u32_e32 vcc, v19, v22
	s_waitcnt lgkmcnt(10)
	v_mov_b32_e32 v16, v21
	v_mov_b32_e32 v14, v20
	;; [unrolled: 5-line block ×5, first 2 shown]
	v_cndmask_b32_e64 v25, 0, 1, vcc
	v_cmp_ne_u32_e32 vcc, v27, v30
	s_waitcnt lgkmcnt(6)
	v_mov_b32_e32 v32, v37
	s_waitcnt lgkmcnt(2)
	v_mov_b32_e32 v48, v51
	v_cndmask_b32_e64 v27, 0, 1, vcc
	v_cmp_ne_u32_e32 vcc, v30, v31
	v_mov_b32_e32 v30, v36
	v_mov_b32_e32 v36, v41
	v_cndmask_b32_e64 v29, 0, 1, vcc
	v_cmp_ne_u32_e32 vcc, v31, v34
	s_waitcnt lgkmcnt(1)
	v_mov_b32_e32 v52, v57
	v_cndmask_b32_e64 v31, 0, 1, vcc
	v_cmp_ne_u32_e32 vcc, v34, v35
	v_mov_b32_e32 v34, v40
	v_mov_b32_e32 v40, v45
	v_cndmask_b32_e64 v33, 0, 1, vcc
	v_cmp_ne_u32_e32 vcc, v35, v38
	s_nop 1
	v_cndmask_b32_e64 v35, 0, 1, vcc
	v_cmp_ne_u32_e32 vcc, v38, v39
	v_mov_b32_e32 v38, v44
	v_mov_b32_e32 v44, v47
	v_cndmask_b32_e64 v37, 0, 1, vcc
	v_cmp_ne_u32_e32 vcc, v39, v42
	s_nop 1
	v_cndmask_b32_e64 v39, 0, 1, vcc
	v_cmp_ne_u32_e32 vcc, v42, v43
	v_mov_b32_e32 v42, v46
	v_mov_b32_e32 v46, v50
	v_cndmask_b32_e64 v41, 0, 1, vcc
	v_cmp_ne_u32_e32 vcc, v43, v8
	v_mov_b32_e32 v50, v56
	s_nop 0
	v_cndmask_b32_e64 v43, 0, 1, vcc
	v_cmp_ne_u32_e32 vcc, v8, v9
	s_nop 1
	v_cndmask_b32_e64 v45, 0, 1, vcc
	v_cmp_ne_u32_e32 vcc, v9, v6
	s_nop 1
	v_cndmask_b32_e64 v47, 0, 1, vcc
	v_cmp_ne_u32_e32 vcc, v6, v7
	s_nop 1
	v_cndmask_b32_e64 v49, 0, 1, vcc
	v_cmp_ne_u32_e32 vcc, v7, v4
	s_nop 1
	v_cndmask_b32_e64 v51, 0, 1, vcc
	v_cmp_ne_u32_e32 vcc, v4, v5
	s_nop 1
	v_cndmask_b32_e64 v53, 0, 1, vcc
.LBB1838_135:
	v_mov_b64_e32 v[56:57], s[8:9]
	s_and_saveexec_b64 s[6:7], s[10:11]
	s_cbranch_execz .LBB1838_137
; %bb.136:
	v_cndmask_b32_e64 v57, 0, 1, s[0:1]
	s_waitcnt lgkmcnt(0)
	v_mov_b32_e32 v56, v3
.LBB1838_137:
	s_or_b64 exec, exec, s[6:7]
	s_mov_b32 s0, 0
	s_cmp_lg_u32 s75, 0
	v_or_b32_e32 v55, v57, v53
	v_lshrrev_b32_e32 v1, 5, v0
	v_cmp_gt_u32_e32 vcc, 64, v0
	s_waitcnt lgkmcnt(0)
	s_barrier
	s_cbranch_scc0 .LBB1838_176
; %bb.138:
	s_mov_b32 s1, 1
	v_cmp_gt_u64_e64 s[6:7], s[0:1], v[12:13]
	v_cmp_gt_u64_e64 s[8:9], s[0:1], v[14:15]
	v_cmp_gt_u64_e64 s[10:11], s[0:1], v[16:17]
	v_cndmask_b32_e64 v2, 0, v10, s[6:7]
	v_add_u32_e32 v2, v2, v12
	v_cndmask_b32_e64 v2, 0, v2, s[8:9]
	v_add_u32_e32 v2, v2, v14
	v_cndmask_b32_e64 v2, 0, v2, s[10:11]
	v_add_u32_e32 v2, v2, v16
	v_cmp_gt_u64_e64 s[12:13], s[0:1], v[18:19]
	v_cmp_gt_u64_e64 s[14:15], s[0:1], v[20:21]
	v_cmp_gt_u64_e64 s[16:17], s[0:1], v[22:23]
	v_cndmask_b32_e64 v2, 0, v2, s[12:13]
	v_add_u32_e32 v2, v2, v18
	v_cndmask_b32_e64 v2, 0, v2, s[14:15]
	v_add_u32_e32 v2, v2, v20
	v_cndmask_b32_e64 v2, 0, v2, s[16:17]
	v_add_u32_e32 v2, v2, v22
	;; [unrolled: 9-line block ×7, first 2 shown]
	v_cmp_gt_u64_e64 s[50:51], s[0:1], v[56:57]
	s_nop 1
	v_cndmask_b32_e64 v2, 0, v2, s[50:51]
	v_add_u32_e32 v62, v2, v56
	v_or3_b32 v2, v55, v51, v49
	v_or3_b32 v2, v2, v47, v45
	;; [unrolled: 1-line block ×10, first 2 shown]
	v_and_b32_e32 v2, 1, v2
	v_cmp_eq_u32_e64 s[0:1], 1, v2
	v_add_lshl_u32 v2, v1, v0, 3
	s_nop 0
	v_cndmask_b32_e64 v63, v11, 1, s[0:1]
	ds_write_b32 v2, v62
	ds_write_b8 v2, v63 offset:4
	s_waitcnt lgkmcnt(0)
	s_barrier
	s_and_saveexec_b64 s[52:53], vcc
	s_cbranch_execz .LBB1838_150
; %bb.139:
	v_lshrrev_b32_e32 v2, 3, v0
	v_add_lshl_u32 v4, v2, v54, 3
	ds_read2_b32 v[6:7], v4 offset0:2 offset1:4
	ds_read_b64 v[2:3], v4
	ds_read_u8 v8, v4 offset:12
	ds_read_u8 v9, v4 offset:20
	ds_read_b32 v58, v4 offset:24
	ds_read_u8 v59, v4 offset:28
	v_mov_b32_e32 v60, 0
	s_waitcnt lgkmcnt(3)
	v_cmp_eq_u16_sdwa s[0:1], v8, v60 src0_sel:BYTE_0 src1_sel:DWORD
	v_and_b32_e32 v5, 1, v3
	s_nop 0
	v_cndmask_b32_e64 v61, 0, v2, s[0:1]
	v_add_u32_e32 v6, v61, v6
	s_waitcnt lgkmcnt(2)
	v_cmp_eq_u16_sdwa s[0:1], v9, v60 src0_sel:BYTE_0 src1_sel:DWORD
	s_nop 1
	v_cndmask_b32_e64 v6, 0, v6, s[0:1]
	v_add_u32_e32 v6, v6, v7
	s_waitcnt lgkmcnt(0)
	v_cmp_eq_u16_e64 s[0:1], 0, v59
	s_nop 1
	v_cndmask_b32_e64 v6, 0, v6, s[0:1]
	v_add_u32_e32 v7, v6, v58
	v_or_b32_e32 v6, v59, v9
	v_or_b32_e32 v6, v6, v8
	v_and_b32_e32 v6, 1, v6
	v_cmp_eq_u32_e64 s[0:1], 1, v6
	v_mbcnt_lo_u32_b32 v8, -1, 0
	v_and_b32_e32 v6, 0xffffff00, v3
	v_cndmask_b32_e64 v9, v5, 1, s[0:1]
	v_mbcnt_hi_u32_b32 v8, -1, v8
	v_and_b32_e32 v59, 15, v8
	v_or_b32_sdwa v58, v6, v9 dst_sel:DWORD dst_unused:UNUSED_PAD src0_sel:DWORD src1_sel:WORD_0
	v_mov_b32_dpp v60, v7 row_shr:1 row_mask:0xf bank_mask:0xf
	v_cmp_ne_u32_e64 s[0:1], 0, v59
	v_mov_b32_dpp v61, v58 row_shr:1 row_mask:0xf bank_mask:0xf
	s_and_saveexec_b64 s[60:61], s[0:1]
; %bb.140:
	v_and_b32_e32 v58, 1, v9
	v_and_b32_e32 v61, 1, v61
	v_cmp_eq_u32_e64 s[0:1], 1, v58
	s_nop 1
	v_cndmask_b32_e64 v61, v61, 1, s[0:1]
	v_cmp_eq_u16_e64 s[0:1], 0, v9
	v_or_b32_sdwa v58, v6, v61 dst_sel:DWORD dst_unused:UNUSED_PAD src0_sel:DWORD src1_sel:WORD_0
	s_nop 0
	v_cndmask_b32_e64 v9, 0, v60, s[0:1]
	v_add_u32_e32 v7, v9, v7
	v_mov_b32_e32 v9, v61
; %bb.141:
	s_or_b64 exec, exec, s[60:61]
	v_mov_b32_dpp v60, v7 row_shr:2 row_mask:0xf bank_mask:0xf
	v_mov_b32_dpp v61, v58 row_shr:2 row_mask:0xf bank_mask:0xf
	v_cmp_lt_u32_e64 s[0:1], 1, v59
	s_and_saveexec_b64 s[60:61], s[0:1]
; %bb.142:
	v_and_b32_e32 v58, 1, v9
	v_and_b32_e32 v61, 1, v61
	v_cmp_eq_u32_e64 s[0:1], 1, v58
	s_nop 1
	v_cndmask_b32_e64 v61, v61, 1, s[0:1]
	v_cmp_eq_u16_e64 s[0:1], 0, v9
	v_or_b32_sdwa v58, v6, v61 dst_sel:DWORD dst_unused:UNUSED_PAD src0_sel:DWORD src1_sel:WORD_0
	s_nop 0
	v_cndmask_b32_e64 v9, 0, v60, s[0:1]
	v_add_u32_e32 v7, v9, v7
	v_mov_b32_e32 v9, v61
; %bb.143:
	s_or_b64 exec, exec, s[60:61]
	v_mov_b32_dpp v60, v7 row_shr:4 row_mask:0xf bank_mask:0xf
	v_mov_b32_dpp v61, v58 row_shr:4 row_mask:0xf bank_mask:0xf
	v_cmp_lt_u32_e64 s[0:1], 3, v59
	;; [unrolled: 18-line block ×3, first 2 shown]
	s_and_saveexec_b64 s[60:61], s[0:1]
; %bb.146:
	v_and_b32_e32 v58, 1, v9
	v_and_b32_e32 v59, 1, v61
	v_cmp_eq_u32_e64 s[0:1], 1, v58
	s_nop 1
	v_cndmask_b32_e64 v59, v59, 1, s[0:1]
	v_cmp_eq_u16_e64 s[0:1], 0, v9
	v_or_b32_sdwa v58, v6, v59 dst_sel:DWORD dst_unused:UNUSED_PAD src0_sel:DWORD src1_sel:WORD_0
	s_nop 0
	v_cndmask_b32_e64 v9, 0, v60, s[0:1]
	v_add_u32_e32 v7, v9, v7
	v_mov_b32_e32 v9, v59
; %bb.147:
	s_or_b64 exec, exec, s[60:61]
	v_and_b32_e32 v61, 16, v8
	v_mov_b32_dpp v59, v7 row_bcast:15 row_mask:0xf bank_mask:0xf
	v_mov_b32_dpp v60, v58 row_bcast:15 row_mask:0xf bank_mask:0xf
	v_cmp_ne_u32_e64 s[0:1], 0, v61
	s_and_saveexec_b64 s[60:61], s[0:1]
; %bb.148:
	v_and_b32_e32 v58, 1, v9
	v_and_b32_e32 v60, 1, v60
	v_cmp_eq_u32_e64 s[0:1], 1, v58
	s_nop 1
	v_cndmask_b32_e64 v60, v60, 1, s[0:1]
	v_cmp_eq_u16_e64 s[0:1], 0, v9
	v_or_b32_sdwa v58, v6, v60 dst_sel:DWORD dst_unused:UNUSED_PAD src0_sel:DWORD src1_sel:WORD_0
	s_nop 0
	v_cndmask_b32_e64 v9, 0, v59, s[0:1]
	v_add_u32_e32 v7, v9, v7
	v_mov_b32_e32 v9, v60
; %bb.149:
	s_or_b64 exec, exec, s[60:61]
	v_mov_b32_dpp v58, v58 row_bcast:31 row_mask:0xf bank_mask:0xf
	v_and_b32_e32 v60, 1, v9
	v_and_b32_e32 v58, 1, v58
	v_cmp_eq_u32_e64 s[0:1], 1, v60
	v_mov_b32_e32 v60, 0
	v_cmp_eq_u16_sdwa s[60:61], v9, v60 src0_sel:BYTE_0 src1_sel:DWORD
	v_cndmask_b32_e64 v58, v58, 1, s[0:1]
	v_cmp_lt_u32_e64 s[0:1], 31, v8
	v_mov_b32_dpp v59, v7 row_bcast:31 row_mask:0xf bank_mask:0xf
	s_movk_i32 s64, 0xff
	v_cndmask_b32_e64 v9, v9, v58, s[0:1]
	s_and_b64 s[0:1], s[0:1], s[60:61]
	v_cndmask_b32_e64 v58, 0, v59, s[0:1]
	v_add_u32_e32 v7, v58, v7
	v_add_u32_e32 v58, -1, v8
	v_and_b32_e32 v59, 64, v8
	v_cmp_lt_i32_e64 s[0:1], v58, v59
	v_and_or_b32 v6, v9, s64, v6
	s_nop 0
	v_cndmask_b32_e64 v8, v58, v8, s[0:1]
	v_lshlrev_b32_e32 v8, 2, v8
	ds_bpermute_b32 v7, v8, v7
	ds_bpermute_b32 v6, v8, v6
	v_cmp_eq_u16_sdwa s[0:1], v3, v60 src0_sel:BYTE_0 src1_sel:DWORD
	; wave barrier
	s_waitcnt lgkmcnt(1)
	s_nop 0
	v_cndmask_b32_e64 v3, 0, v7, s[0:1]
	v_add_u32_e32 v2, v3, v2
	s_waitcnt lgkmcnt(0)
	v_and_b32_e32 v3, 1, v6
	v_cmp_eq_u32_e64 s[0:1], 1, v5
	v_cndmask_b32_e64 v5, v2, v62, s[54:55]
	s_nop 0
	v_cndmask_b32_e64 v3, v3, 1, s[0:1]
	v_cndmask_b32_e64 v6, v3, v63, s[54:55]
	ds_write_b32 v4, v5
	ds_write_b8 v4, v6 offset:4
	; wave barrier
	ds_read_u8 v7, v4 offset:12
	ds_read2_b32 v[2:3], v4 offset0:2 offset1:4
	ds_read_u8 v8, v4 offset:20
	ds_read_b32 v9, v4 offset:24
	ds_read_u8 v58, v4 offset:28
	s_waitcnt lgkmcnt(4)
	v_cmp_eq_u16_e64 s[0:1], 0, v7
	s_nop 1
	v_cndmask_b32_e64 v5, 0, v5, s[0:1]
	s_waitcnt lgkmcnt(3)
	v_add_u32_e32 v2, v5, v2
	v_and_b32_e32 v5, 1, v7
	v_cmp_eq_u32_e64 s[0:1], 1, v5
	s_nop 1
	v_cndmask_b32_e64 v5, v6, 1, s[0:1]
	s_waitcnt lgkmcnt(2)
	v_cmp_eq_u16_e64 s[0:1], 0, v8
	ds_write_b8 v4, v5 offset:12
	s_nop 0
	v_cndmask_b32_e64 v6, 0, v2, s[0:1]
	v_add_u32_e32 v3, v6, v3
	v_and_b32_e32 v6, 1, v8
	v_cmp_eq_u32_e64 s[0:1], 1, v6
	s_nop 1
	v_cndmask_b32_e64 v5, v5, 1, s[0:1]
	s_waitcnt lgkmcnt(1)
	v_cmp_eq_u16_e64 s[0:1], 0, v58
	ds_write2_b32 v4, v2, v3 offset0:2 offset1:4
	ds_write_b8 v4, v5 offset:20
	v_cndmask_b32_e64 v2, 0, v3, s[0:1]
	v_and_b32_e32 v3, 1, v58
	v_add_u32_e32 v2, v2, v9
	v_cmp_eq_u32_e64 s[0:1], 1, v3
	s_nop 1
	v_cndmask_b32_e64 v3, v5, 1, s[0:1]
	ds_write_b32 v4, v2 offset:24
	ds_write_b8 v4, v3 offset:28
.LBB1838_150:
	s_or_b64 exec, exec, s[52:53]
	s_waitcnt lgkmcnt(0)
	s_barrier
	s_and_saveexec_b64 s[0:1], s[4:5]
	s_cbranch_execz .LBB1838_152
; %bb.151:
	v_add_u32_e32 v2, -1, v0
	v_lshrrev_b32_e32 v3, 5, v2
	v_add_lshl_u32 v2, v3, v2, 3
	ds_read_b32 v62, v2
	ds_read_u8 v63, v2 offset:4
.LBB1838_152:
	s_or_b64 exec, exec, s[0:1]
	s_and_saveexec_b64 s[60:61], vcc
	s_cbranch_execz .LBB1838_175
; %bb.153:
	v_mov_b32_e32 v5, 0
	ds_read_b64 v[2:3], v5 offset:2096
	v_mbcnt_lo_u32_b32 v4, -1, 0
	v_mbcnt_hi_u32_b32 v73, -1, v4
	s_mov_b32 s65, 0
	v_cmp_eq_u32_e64 s[52:53], 0, v73
	s_waitcnt lgkmcnt(0)
	v_readfirstlane_b32 s70, v3
	s_and_saveexec_b64 s[0:1], s[52:53]
	s_cbranch_execz .LBB1838_155
; %bb.154:
	s_add_i32 s64, s75, 64
	s_lshl_b64 s[68:69], s[64:65], 4
	s_add_u32 s68, s72, s68
	s_addc_u32 s69, s73, s69
	s_and_b32 s79, s70, 0xff000000
	s_mov_b32 s78, s65
	s_and_b32 s81, s70, 0xff0000
	s_mov_b32 s80, s65
	s_or_b64 s[78:79], s[80:81], s[78:79]
	s_and_b32 s81, s70, 0xff00
	s_or_b64 s[78:79], s[78:79], s[80:81]
	s_and_b32 s81, s70, 0xff
	s_or_b64 s[64:65], s[78:79], s[80:81]
	v_mov_b32_e32 v3, s65
	v_mov_b32_e32 v4, 1
	v_mov_b64_e32 v[6:7], s[68:69]
	;;#ASMSTART
	global_store_dwordx4 v[6:7], v[2:5] off sc1	
s_waitcnt vmcnt(0)
	;;#ASMEND
.LBB1838_155:
	s_or_b64 exec, exec, s[0:1]
	v_xad_u32 v58, v73, -1, s75
	v_add_u32_e32 v4, 64, v58
	v_lshl_add_u64 v[60:61], v[4:5], 4, s[72:73]
	;;#ASMSTART
	global_load_dwordx4 v[6:9], v[60:61] off sc1	
s_waitcnt vmcnt(0)
	;;#ASMEND
	s_nop 0
	v_and_b32_e32 v3, 0xff0000, v6
	v_and_b32_e32 v4, 0xff000000, v6
	;; [unrolled: 1-line block ×3, first 2 shown]
	v_or_b32_sdwa v3, v6, v3 dst_sel:DWORD dst_unused:UNUSED_PAD src0_sel:WORD_0 src1_sel:DWORD
	v_or3_b32 v7, 0, 0, v7
	v_or3_b32 v6, v3, v4, 0
	v_cmp_eq_u16_sdwa s[64:65], v8, v5 src0_sel:BYTE_0 src1_sel:DWORD
	s_and_saveexec_b64 s[0:1], s[64:65]
	s_cbranch_execz .LBB1838_161
; %bb.156:
	s_mov_b32 s68, 1
	s_mov_b64 s[64:65], 0
	v_mov_b32_e32 v3, 0
.LBB1838_157:                           ; =>This Loop Header: Depth=1
                                        ;     Child Loop BB1838_158 Depth 2
	s_max_u32 s69, s68, 1
.LBB1838_158:                           ;   Parent Loop BB1838_157 Depth=1
                                        ; =>  This Inner Loop Header: Depth=2
	s_add_i32 s69, s69, -1
	s_cmp_eq_u32 s69, 0
	s_sleep 1
	s_cbranch_scc0 .LBB1838_158
; %bb.159:                              ;   in Loop: Header=BB1838_157 Depth=1
	s_cmp_lt_u32 s68, 32
	s_cselect_b64 s[78:79], -1, 0
	s_cmp_lg_u64 s[78:79], 0
	s_addc_u32 s68, s68, 0
	;;#ASMSTART
	global_load_dwordx4 v[6:9], v[60:61] off sc1	
s_waitcnt vmcnt(0)
	;;#ASMEND
	s_nop 0
	v_cmp_ne_u16_sdwa s[78:79], v8, v3 src0_sel:BYTE_0 src1_sel:DWORD
	s_or_b64 s[64:65], s[78:79], s[64:65]
	s_andn2_b64 exec, exec, s[64:65]
	s_cbranch_execnz .LBB1838_157
; %bb.160:
	s_or_b64 exec, exec, s[64:65]
	v_and_b32_e32 v7, 0xff, v7
.LBB1838_161:
	s_or_b64 exec, exec, s[0:1]
	v_mov_b32_e32 v3, 2
	v_cmp_eq_u16_sdwa s[0:1], v8, v3 src0_sel:BYTE_0 src1_sel:DWORD
	v_lshlrev_b64 v[4:5], v73, -1
	v_and_b32_e32 v64, 63, v73
	v_and_b32_e32 v9, s1, v5
	v_or_b32_e32 v9, 0x80000000, v9
	v_and_b32_e32 v59, s0, v4
	v_ffbl_b32_e32 v9, v9
	v_add_u32_e32 v9, 32, v9
	v_ffbl_b32_e32 v59, v59
	v_cmp_ne_u32_e32 vcc, 63, v64
	v_min_u32_e32 v9, v59, v9
	s_mov_b32 s64, 0
	v_addc_co_u32_e32 v59, vcc, 0, v73, vcc
	v_lshlrev_b32_e32 v65, 2, v59
	ds_bpermute_b32 v59, v65, v7
	ds_bpermute_b32 v60, v65, v6
	v_and_b32_e32 v61, 1, v7
	s_mov_b32 s65, 1
	v_cmp_eq_u32_e32 vcc, 1, v61
	s_waitcnt lgkmcnt(1)
	v_and_b32_e32 v59, 1, v59
	v_cmp_lt_u32_e64 s[0:1], v64, v9
	v_cndmask_b32_e64 v59, v59, 1, vcc
	v_cmp_gt_u64_e32 vcc, s[64:65], v[6:7]
	s_and_b64 vcc, s[0:1], vcc
	v_and_b32_e32 v61, 0xffff, v59
	v_cndmask_b32_e64 v68, v7, v59, s[0:1]
	s_waitcnt lgkmcnt(0)
	v_cndmask_b32_e32 v59, 0, v60, vcc
	v_cmp_gt_u32_e32 vcc, 62, v64
	v_cndmask_b32_e64 v7, v7, v61, s[0:1]
	v_add_u32_e32 v6, v59, v6
	v_cndmask_b32_e64 v60, 0, 1, vcc
	v_lshlrev_b32_e32 v60, 1, v60
	v_add_lshl_u32 v66, v60, v73, 2
	ds_bpermute_b32 v60, v66, v7
	ds_bpermute_b32 v61, v66, v6
	v_and_b32_e32 v59, 1, v68
	v_cmp_eq_u32_e32 vcc, 1, v59
	v_mov_b32_e32 v59, 0
	s_waitcnt lgkmcnt(1)
	v_and_b32_e32 v60, 1, v60
	v_add_u32_e32 v67, 2, v64
	v_cndmask_b32_e64 v60, v60, 1, vcc
	v_cmp_eq_u16_sdwa vcc, v68, v59 src0_sel:BYTE_0 src1_sel:DWORD
	v_and_b32_e32 v69, 0xffff, v60
	v_add_u32_e32 v77, 32, v64
	s_waitcnt lgkmcnt(0)
	v_cndmask_b32_e32 v61, 0, v61, vcc
	v_cmp_gt_u32_e32 vcc, v67, v9
	s_nop 1
	v_cndmask_b32_e32 v60, v60, v68, vcc
	v_cndmask_b32_e64 v61, v61, 0, vcc
	v_cndmask_b32_e32 v7, v69, v7, vcc
	v_cmp_gt_u32_e32 vcc, 60, v64
	v_add_u32_e32 v6, v61, v6
	v_and_b32_e32 v71, 1, v60
	v_cndmask_b32_e64 v68, 0, 1, vcc
	v_lshlrev_b32_e32 v68, 2, v68
	v_add_lshl_u32 v68, v68, v73, 2
	ds_bpermute_b32 v70, v68, v7
	ds_bpermute_b32 v61, v68, v6
	v_cmp_eq_u32_e32 vcc, 1, v71
	v_add_u32_e32 v69, 4, v64
	s_waitcnt lgkmcnt(1)
	v_and_b32_e32 v70, 1, v70
	v_cndmask_b32_e64 v70, v70, 1, vcc
	v_cmp_eq_u16_sdwa vcc, v60, v59 src0_sel:BYTE_0 src1_sel:DWORD
	v_and_b32_e32 v71, 0xffff, v70
	s_waitcnt lgkmcnt(0)
	v_cndmask_b32_e32 v61, 0, v61, vcc
	v_cmp_gt_u32_e32 vcc, v69, v9
	s_nop 1
	v_cndmask_b32_e32 v60, v70, v60, vcc
	v_cndmask_b32_e64 v61, v61, 0, vcc
	v_cndmask_b32_e32 v7, v71, v7, vcc
	v_cmp_gt_u32_e32 vcc, 56, v64
	v_add_u32_e32 v6, v61, v6
	v_and_b32_e32 v74, 1, v60
	v_cndmask_b32_e64 v70, 0, 1, vcc
	v_lshlrev_b32_e32 v70, 3, v70
	v_add_lshl_u32 v70, v70, v73, 2
	ds_bpermute_b32 v72, v70, v7
	ds_bpermute_b32 v61, v70, v6
	v_cmp_eq_u32_e32 vcc, 1, v74
	v_add_u32_e32 v71, 8, v64
	s_waitcnt lgkmcnt(1)
	v_and_b32_e32 v72, 1, v72
	v_cndmask_b32_e64 v72, v72, 1, vcc
	v_cmp_eq_u16_sdwa vcc, v60, v59 src0_sel:BYTE_0 src1_sel:DWORD
	v_and_b32_e32 v74, 0xffff, v72
	;; [unrolled: 22-line block ×3, first 2 shown]
	s_waitcnt lgkmcnt(0)
	v_cndmask_b32_e32 v61, 0, v61, vcc
	v_cmp_gt_u32_e32 vcc, v74, v9
	s_nop 1
	v_cndmask_b32_e32 v60, v75, v60, vcc
	v_cndmask_b32_e64 v61, v61, 0, vcc
	v_cndmask_b32_e32 v7, v76, v7, vcc
	v_cmp_gt_u32_e32 vcc, 32, v64
	v_add_u32_e32 v6, v61, v6
	s_nop 0
	v_cndmask_b32_e64 v75, 0, 1, vcc
	v_lshlrev_b32_e32 v75, 5, v75
	v_add_lshl_u32 v76, v75, v73, 2
	ds_bpermute_b32 v7, v76, v7
	ds_bpermute_b32 v61, v76, v6
	v_and_b32_e32 v73, 1, v60
	v_cmp_eq_u32_e32 vcc, 1, v73
	s_waitcnt lgkmcnt(1)
	v_and_b32_e32 v7, 1, v7
	v_cndmask_b32_e64 v7, v7, 1, vcc
	v_cmp_eq_u16_sdwa vcc, v60, v59 src0_sel:BYTE_0 src1_sel:DWORD
	s_waitcnt lgkmcnt(0)
	s_nop 0
	v_cndmask_b32_e32 v61, 0, v61, vcc
	v_cmp_gt_u32_e32 vcc, v77, v9
	s_nop 1
	v_cndmask_b32_e64 v9, v61, 0, vcc
	v_cndmask_b32_e32 v7, v7, v60, vcc
	v_add_u32_e32 v6, v9, v6
	s_branch .LBB1838_163
.LBB1838_162:                           ;   in Loop: Header=BB1838_163 Depth=1
	s_or_b64 exec, exec, s[0:1]
	v_cmp_eq_u16_sdwa s[0:1], v8, v3 src0_sel:BYTE_0 src1_sel:DWORD
	ds_bpermute_b32 v61, v65, v7
	v_and_b32_e32 v78, 1, v7
	v_and_b32_e32 v9, s1, v5
	v_or_b32_e32 v9, 0x80000000, v9
	v_and_b32_e32 v60, s0, v4
	v_ffbl_b32_e32 v9, v9
	v_add_u32_e32 v9, 32, v9
	v_ffbl_b32_e32 v60, v60
	v_min_u32_e32 v9, v60, v9
	ds_bpermute_b32 v60, v65, v6
	s_waitcnt lgkmcnt(1)
	v_and_b32_e32 v61, 1, v61
	v_cmp_eq_u32_e32 vcc, 1, v78
	v_cmp_lt_u32_e64 s[0:1], v64, v9
	v_subrev_u32_e32 v58, 64, v58
	v_cndmask_b32_e64 v61, v61, 1, vcc
	v_cmp_gt_u64_e32 vcc, s[64:65], v[6:7]
	v_and_b32_e32 v78, 0xffff, v61
	v_cndmask_b32_e64 v61, v7, v61, s[0:1]
	v_cndmask_b32_e64 v7, v7, v78, s[0:1]
	s_and_b64 vcc, s[0:1], vcc
	ds_bpermute_b32 v78, v66, v7
	s_waitcnt lgkmcnt(1)
	v_cndmask_b32_e32 v60, 0, v60, vcc
	v_add_u32_e32 v6, v60, v6
	ds_bpermute_b32 v60, v66, v6
	v_and_b32_e32 v79, 1, v61
	s_waitcnt lgkmcnt(1)
	v_and_b32_e32 v78, 1, v78
	v_cmp_eq_u32_e32 vcc, 1, v79
	s_nop 1
	v_cndmask_b32_e64 v78, v78, 1, vcc
	v_cmp_eq_u16_sdwa vcc, v61, v59 src0_sel:BYTE_0 src1_sel:DWORD
	v_and_b32_e32 v79, 0xffff, v78
	s_waitcnt lgkmcnt(0)
	v_cndmask_b32_e32 v60, 0, v60, vcc
	v_cmp_gt_u32_e32 vcc, v67, v9
	s_nop 1
	v_cndmask_b32_e32 v7, v79, v7, vcc
	v_cndmask_b32_e32 v61, v78, v61, vcc
	ds_bpermute_b32 v78, v68, v7
	v_cndmask_b32_e64 v60, v60, 0, vcc
	v_add_u32_e32 v6, v60, v6
	ds_bpermute_b32 v60, v68, v6
	v_and_b32_e32 v79, 1, v61
	s_waitcnt lgkmcnt(1)
	v_and_b32_e32 v78, 1, v78
	v_cmp_eq_u32_e32 vcc, 1, v79
	s_nop 1
	v_cndmask_b32_e64 v78, v78, 1, vcc
	v_cmp_eq_u16_sdwa vcc, v61, v59 src0_sel:BYTE_0 src1_sel:DWORD
	v_and_b32_e32 v79, 0xffff, v78
	s_waitcnt lgkmcnt(0)
	v_cndmask_b32_e32 v60, 0, v60, vcc
	v_cmp_gt_u32_e32 vcc, v69, v9
	s_nop 1
	v_cndmask_b32_e32 v7, v79, v7, vcc
	v_cndmask_b32_e32 v61, v78, v61, vcc
	ds_bpermute_b32 v78, v70, v7
	v_cndmask_b32_e64 v60, v60, 0, vcc
	;; [unrolled: 18-line block ×3, first 2 shown]
	v_add_u32_e32 v6, v60, v6
	ds_bpermute_b32 v60, v72, v6
	v_and_b32_e32 v79, 1, v61
	s_waitcnt lgkmcnt(1)
	v_and_b32_e32 v78, 1, v78
	v_cmp_eq_u32_e32 vcc, 1, v79
	s_nop 1
	v_cndmask_b32_e64 v78, v78, 1, vcc
	v_cmp_eq_u16_sdwa vcc, v61, v59 src0_sel:BYTE_0 src1_sel:DWORD
	v_and_b32_e32 v79, 0xffff, v78
	s_waitcnt lgkmcnt(0)
	v_cndmask_b32_e32 v60, 0, v60, vcc
	v_cmp_gt_u32_e32 vcc, v74, v9
	s_nop 1
	v_cndmask_b32_e64 v60, v60, 0, vcc
	v_cndmask_b32_e32 v7, v79, v7, vcc
	ds_bpermute_b32 v7, v76, v7
	v_add_u32_e32 v6, v60, v6
	ds_bpermute_b32 v60, v76, v6
	v_cndmask_b32_e32 v61, v78, v61, vcc
	v_and_b32_e32 v78, 1, v61
	v_cmp_eq_u32_e32 vcc, 1, v78
	s_waitcnt lgkmcnt(1)
	s_nop 0
	v_cndmask_b32_e64 v7, v7, 1, vcc
	v_cmp_eq_u16_sdwa vcc, v61, v59 src0_sel:BYTE_0 src1_sel:DWORD
	s_waitcnt lgkmcnt(0)
	s_nop 0
	v_cndmask_b32_e32 v60, 0, v60, vcc
	v_cmp_gt_u32_e32 vcc, v77, v9
	s_nop 1
	v_cndmask_b32_e64 v9, v60, 0, vcc
	v_cndmask_b32_e32 v7, v7, v61, vcc
	v_add_u32_e32 v6, v9, v6
	v_cmp_eq_u16_sdwa vcc, v73, v59 src0_sel:BYTE_0 src1_sel:DWORD
	v_and_b32_e32 v9, 1, v73
	v_and_b32_e32 v7, 1, v7
	v_cndmask_b32_e32 v6, 0, v6, vcc
	v_cmp_eq_u32_e32 vcc, 1, v9
	v_add_u32_e32 v6, v6, v75
	s_nop 0
	v_cndmask_b32_e64 v7, v7, 1, vcc
.LBB1838_163:                           ; =>This Loop Header: Depth=1
                                        ;     Child Loop BB1838_166 Depth 2
                                        ;       Child Loop BB1838_167 Depth 3
	v_cmp_ne_u16_sdwa s[0:1], v8, v3 src0_sel:BYTE_0 src1_sel:DWORD
	v_mov_b32_e32 v73, v7
	v_mov_b32_e32 v75, v6
	v_cndmask_b32_e64 v7, 0, 1, s[0:1]
	;;#ASMSTART
	;;#ASMEND
	s_nop 0
	v_cmp_ne_u32_e32 vcc, 0, v7
	s_cmp_lg_u64 vcc, exec
	s_cbranch_scc1 .LBB1838_170
; %bb.164:                              ;   in Loop: Header=BB1838_163 Depth=1
	v_lshl_add_u64 v[60:61], v[58:59], 4, s[72:73]
	;;#ASMSTART
	global_load_dwordx4 v[6:9], v[60:61] off sc1	
s_waitcnt vmcnt(0)
	;;#ASMEND
	s_nop 0
	v_and_b32_e32 v9, 0xff0000, v6
	v_and_b32_e32 v78, 0xff000000, v6
	v_and_b32_e32 v7, 0xff, v7
	v_or_b32_sdwa v6, v6, v9 dst_sel:DWORD dst_unused:UNUSED_PAD src0_sel:WORD_0 src1_sel:DWORD
	v_or3_b32 v7, 0, 0, v7
	v_or3_b32 v6, v6, v78, 0
	v_cmp_eq_u16_sdwa s[68:69], v8, v59 src0_sel:BYTE_0 src1_sel:DWORD
	s_and_saveexec_b64 s[0:1], s[68:69]
	s_cbranch_execz .LBB1838_162
; %bb.165:                              ;   in Loop: Header=BB1838_163 Depth=1
	s_mov_b32 s71, 1
	s_mov_b64 s[68:69], 0
.LBB1838_166:                           ;   Parent Loop BB1838_163 Depth=1
                                        ; =>  This Loop Header: Depth=2
                                        ;       Child Loop BB1838_167 Depth 3
	s_max_u32 s78, s71, 1
.LBB1838_167:                           ;   Parent Loop BB1838_163 Depth=1
                                        ;     Parent Loop BB1838_166 Depth=2
                                        ; =>    This Inner Loop Header: Depth=3
	s_add_i32 s78, s78, -1
	s_cmp_eq_u32 s78, 0
	s_sleep 1
	s_cbranch_scc0 .LBB1838_167
; %bb.168:                              ;   in Loop: Header=BB1838_166 Depth=2
	s_cmp_lt_u32 s71, 32
	s_cselect_b64 s[78:79], -1, 0
	s_cmp_lg_u64 s[78:79], 0
	s_addc_u32 s71, s71, 0
	;;#ASMSTART
	global_load_dwordx4 v[6:9], v[60:61] off sc1	
s_waitcnt vmcnt(0)
	;;#ASMEND
	s_nop 0
	v_cmp_ne_u16_sdwa s[78:79], v8, v59 src0_sel:BYTE_0 src1_sel:DWORD
	s_or_b64 s[68:69], s[78:79], s[68:69]
	s_andn2_b64 exec, exec, s[68:69]
	s_cbranch_execnz .LBB1838_166
; %bb.169:                              ;   in Loop: Header=BB1838_163 Depth=1
	s_or_b64 exec, exec, s[68:69]
	v_and_b32_e32 v7, 0xff, v7
	s_branch .LBB1838_162
.LBB1838_170:                           ;   in Loop: Header=BB1838_163 Depth=1
                                        ; implicit-def: $vgpr7
                                        ; implicit-def: $vgpr6
                                        ; implicit-def: $vgpr8
	s_cbranch_execz .LBB1838_163
; %bb.171:
	s_and_saveexec_b64 s[0:1], s[52:53]
	s_cbranch_execz .LBB1838_173
; %bb.172:
	s_and_b32 s52, s70, 0xff
	s_cmp_eq_u32 s52, 0
	s_cselect_b64 vcc, -1, 0
	s_bitcmp1_b32 s70, 0
	s_mov_b32 s53, 0
	s_cselect_b64 s[64:65], -1, 0
	s_add_i32 s52, s75, 64
	s_lshl_b64 s[52:53], s[52:53], 4
	v_cndmask_b32_e32 v3, 0, v75, vcc
	s_add_u32 s52, s72, s52
	v_add_u32_e32 v2, v3, v2
	v_and_b32_e32 v3, 1, v73
	s_addc_u32 s53, s73, s53
	v_mov_b32_e32 v5, 0
	v_cndmask_b32_e64 v3, v3, 1, s[64:65]
	v_mov_b32_e32 v4, 2
	v_mov_b64_e32 v[6:7], s[52:53]
	;;#ASMSTART
	global_store_dwordx4 v[6:7], v[2:5] off sc1	
s_waitcnt vmcnt(0)
	;;#ASMEND
.LBB1838_173:
	s_or_b64 exec, exec, s[0:1]
	s_and_b64 exec, exec, s[54:55]
	s_cbranch_execz .LBB1838_175
; %bb.174:
	v_mov_b32_e32 v2, 0
	ds_write_b32 v2, v75
	ds_write_b8 v2, v73 offset:4
.LBB1838_175:
	s_or_b64 exec, exec, s[60:61]
	s_mov_b32 s0, 0
	v_mov_b32_e32 v2, 0
	s_mov_b32 s1, 1
	s_waitcnt lgkmcnt(0)
	s_barrier
	ds_read_b32 v3, v2
	v_cmp_gt_u64_e32 vcc, s[0:1], v[10:11]
	v_and_b32_e32 v5, 1, v11
	v_and_b32_e32 v6, 1, v63
	v_cndmask_b32_e32 v4, 0, v62, vcc
	v_cmp_eq_u32_e32 vcc, 1, v5
	v_cndmask_b32_e64 v4, v4, 0, s[54:55]
	s_nop 0
	v_cndmask_b32_e64 v5, v6, 1, vcc
	v_cndmask_b32_e64 v5, v5, v11, s[54:55]
	v_cmp_eq_u16_sdwa vcc, v5, v2 src0_sel:BYTE_0 src1_sel:DWORD
	s_waitcnt lgkmcnt(0)
	s_nop 0
	v_cndmask_b32_e32 v2, 0, v3, vcc
	v_add3_u32 v80, v4, v10, v2
	v_cndmask_b32_e64 v2, 0, v80, s[6:7]
	v_add_u32_e32 v58, v2, v12
	v_cndmask_b32_e64 v2, 0, v58, s[8:9]
	v_add_u32_e32 v59, v2, v14
	;; [unrolled: 2-line block ×22, first 2 shown]
	s_branch .LBB1838_196
.LBB1838_176:
                                        ; implicit-def: $vgpr78
                                        ; implicit-def: $vgpr77
                                        ; implicit-def: $vgpr76
                                        ; implicit-def: $vgpr75
                                        ; implicit-def: $vgpr74
                                        ; implicit-def: $vgpr73
                                        ; implicit-def: $vgpr72
                                        ; implicit-def: $vgpr71
                                        ; implicit-def: $vgpr70
                                        ; implicit-def: $vgpr69
                                        ; implicit-def: $vgpr68
                                        ; implicit-def: $vgpr67
                                        ; implicit-def: $vgpr66
                                        ; implicit-def: $vgpr65
                                        ; implicit-def: $vgpr64
                                        ; implicit-def: $vgpr63
                                        ; implicit-def: $vgpr62
                                        ; implicit-def: $vgpr61
                                        ; implicit-def: $vgpr60
                                        ; implicit-def: $vgpr59
                                        ; implicit-def: $vgpr58
                                        ; implicit-def: $vgpr80
                                        ; implicit-def: $vgpr79
	s_cbranch_execz .LBB1838_196
; %bb.177:
	s_cmp_lg_u64 s[76:77], 0
	s_cselect_b32 s9, s67, 0
	s_cselect_b32 s8, s66, 0
	s_cmp_lg_u64 s[8:9], 0
	s_cselect_b64 s[6:7], -1, 0
	s_mov_b32 s0, 0
	s_and_b64 s[10:11], s[54:55], s[6:7]
	s_and_saveexec_b64 s[6:7], s[10:11]
	s_cbranch_execz .LBB1838_179
; %bb.178:
	v_mov_b32_e32 v2, 0
	global_load_dword v4, v2, s[8:9]
	global_load_ubyte v5, v2, s[8:9] offset:4
	s_mov_b32 s1, 1
	v_and_b32_e32 v3, 1, v11
	v_cmp_gt_u64_e32 vcc, s[0:1], v[10:11]
	s_waitcnt vmcnt(0)
	v_and_b32_e32 v5, 1, v5
	v_cndmask_b32_e32 v4, 0, v4, vcc
	v_cmp_eq_u64_e32 vcc, 0, v[2:3]
	v_add_u32_e32 v10, v4, v10
	s_nop 0
	v_cndmask_b32_e32 v11, 1, v5, vcc
.LBB1838_179:
	s_or_b64 exec, exec, s[6:7]
	s_mov_b32 s1, 1
	v_cmp_gt_u64_e32 vcc, s[0:1], v[12:13]
	v_cmp_gt_u64_e64 s[6:7], s[0:1], v[14:15]
	v_cmp_gt_u64_e64 s[8:9], s[0:1], v[16:17]
	v_cndmask_b32_e32 v2, 0, v10, vcc
	v_add_u32_e32 v58, v2, v12
	v_cndmask_b32_e64 v2, 0, v58, s[6:7]
	v_add_u32_e32 v59, v2, v14
	v_cndmask_b32_e64 v2, 0, v59, s[8:9]
	v_add_u32_e32 v60, v2, v16
	v_cmp_gt_u64_e64 s[10:11], s[0:1], v[18:19]
	v_cmp_gt_u64_e64 s[12:13], s[0:1], v[20:21]
	v_cmp_gt_u64_e64 s[14:15], s[0:1], v[22:23]
	v_cndmask_b32_e64 v2, 0, v60, s[10:11]
	v_add_u32_e32 v61, v2, v18
	v_cndmask_b32_e64 v2, 0, v61, s[12:13]
	v_add_u32_e32 v62, v2, v20
	v_cndmask_b32_e64 v2, 0, v62, s[14:15]
	v_add_u32_e32 v63, v2, v22
	v_cmp_gt_u64_e64 s[16:17], s[0:1], v[24:25]
	v_cmp_gt_u64_e64 s[18:19], s[0:1], v[26:27]
	v_cmp_gt_u64_e64 s[20:21], s[0:1], v[28:29]
	v_cndmask_b32_e64 v2, 0, v63, s[16:17]
	v_add_u32_e32 v64, v2, v24
	v_cndmask_b32_e64 v2, 0, v64, s[18:19]
	v_add_u32_e32 v65, v2, v26
	v_cndmask_b32_e64 v2, 0, v65, s[20:21]
	v_add_u32_e32 v66, v2, v28
	v_cmp_gt_u64_e64 s[22:23], s[0:1], v[30:31]
	v_cmp_gt_u64_e64 s[24:25], s[0:1], v[32:33]
	v_cmp_gt_u64_e64 s[26:27], s[0:1], v[34:35]
	v_cndmask_b32_e64 v2, 0, v66, s[22:23]
	v_add_u32_e32 v67, v2, v30
	v_cndmask_b32_e64 v2, 0, v67, s[24:25]
	v_add_u32_e32 v68, v2, v32
	v_cndmask_b32_e64 v2, 0, v68, s[26:27]
	v_add_u32_e32 v69, v2, v34
	v_cmp_gt_u64_e64 s[28:29], s[0:1], v[36:37]
	v_cmp_gt_u64_e64 s[30:31], s[0:1], v[38:39]
	v_cmp_gt_u64_e64 s[34:35], s[0:1], v[40:41]
	v_cndmask_b32_e64 v2, 0, v69, s[28:29]
	v_add_u32_e32 v70, v2, v36
	v_cndmask_b32_e64 v2, 0, v70, s[30:31]
	v_add_u32_e32 v71, v2, v38
	v_cndmask_b32_e64 v2, 0, v71, s[34:35]
	v_add_u32_e32 v72, v2, v40
	v_cmp_gt_u64_e64 s[36:37], s[0:1], v[42:43]
	v_cmp_gt_u64_e64 s[38:39], s[0:1], v[44:45]
	v_cmp_gt_u64_e64 s[40:41], s[0:1], v[46:47]
	v_cndmask_b32_e64 v2, 0, v72, s[36:37]
	v_add_u32_e32 v73, v2, v42
	v_cndmask_b32_e64 v2, 0, v73, s[38:39]
	v_add_u32_e32 v74, v2, v44
	v_cndmask_b32_e64 v2, 0, v74, s[40:41]
	v_add_u32_e32 v75, v2, v46
	v_cmp_gt_u64_e64 s[42:43], s[0:1], v[48:49]
	v_cmp_gt_u64_e64 s[44:45], s[0:1], v[50:51]
	v_cmp_gt_u64_e64 s[46:47], s[0:1], v[52:53]
	v_cndmask_b32_e64 v2, 0, v75, s[42:43]
	v_add_u32_e32 v76, v2, v48
	v_cndmask_b32_e64 v2, 0, v76, s[44:45]
	v_add_u32_e32 v77, v2, v50
	v_cndmask_b32_e64 v2, 0, v77, s[46:47]
	v_add_u32_e32 v78, v2, v52
	v_cmp_gt_u64_e64 s[48:49], s[0:1], v[56:57]
	v_add_lshl_u32 v1, v1, v0, 3
	s_nop 0
	v_cndmask_b32_e64 v2, 0, v78, s[48:49]
	v_add_u32_e32 v79, v2, v56
	v_or3_b32 v2, v55, v51, v49
	v_or3_b32 v2, v2, v47, v45
	;; [unrolled: 1-line block ×10, first 2 shown]
	v_and_b32_e32 v2, 1, v2
	v_cmp_eq_u32_e64 s[0:1], 1, v2
	s_nop 1
	v_cndmask_b32_e64 v4, v11, 1, s[0:1]
	v_cmp_gt_u32_e64 s[0:1], 64, v0
	ds_write_b32 v1, v79
	ds_write_b8 v1, v4 offset:4
	s_waitcnt lgkmcnt(0)
	s_barrier
	s_and_saveexec_b64 s[50:51], s[0:1]
	s_cbranch_execz .LBB1838_191
; %bb.180:
	v_lshrrev_b32_e32 v1, 3, v0
	v_add_lshl_u32 v1, v1, v54, 3
	ds_read2_b32 v[6:7], v1 offset0:2 offset1:4
	ds_read_b64 v[2:3], v1
	ds_read_u8 v8, v1 offset:12
	ds_read_u8 v9, v1 offset:20
	ds_read_b32 v13, v1 offset:24
	ds_read_u8 v15, v1 offset:28
	v_mov_b32_e32 v17, 0
	s_waitcnt lgkmcnt(3)
	v_cmp_eq_u16_sdwa s[0:1], v8, v17 src0_sel:BYTE_0 src1_sel:DWORD
	v_and_b32_e32 v5, 1, v3
	s_nop 0
	v_cndmask_b32_e64 v19, 0, v2, s[0:1]
	v_add_u32_e32 v6, v19, v6
	s_waitcnt lgkmcnt(2)
	v_cmp_eq_u16_sdwa s[0:1], v9, v17 src0_sel:BYTE_0 src1_sel:DWORD
	s_nop 1
	v_cndmask_b32_e64 v6, 0, v6, s[0:1]
	v_add_u32_e32 v6, v6, v7
	s_waitcnt lgkmcnt(0)
	v_cmp_eq_u16_e64 s[0:1], 0, v15
	s_nop 1
	v_cndmask_b32_e64 v6, 0, v6, s[0:1]
	v_add_u32_e32 v7, v6, v13
	v_or_b32_e32 v6, v15, v9
	v_or_b32_e32 v6, v6, v8
	v_and_b32_e32 v6, 1, v6
	v_cmp_eq_u32_e64 s[0:1], 1, v6
	v_mbcnt_lo_u32_b32 v8, -1, 0
	v_and_b32_e32 v6, 0xffffff00, v3
	v_cndmask_b32_e64 v9, v5, 1, s[0:1]
	v_mbcnt_hi_u32_b32 v8, -1, v8
	v_and_b32_e32 v15, 15, v8
	v_or_b32_sdwa v13, v6, v9 dst_sel:DWORD dst_unused:UNUSED_PAD src0_sel:DWORD src1_sel:WORD_0
	v_mov_b32_dpp v17, v7 row_shr:1 row_mask:0xf bank_mask:0xf
	v_cmp_ne_u32_e64 s[0:1], 0, v15
	v_mov_b32_dpp v19, v13 row_shr:1 row_mask:0xf bank_mask:0xf
	s_and_saveexec_b64 s[52:53], s[0:1]
; %bb.181:
	v_and_b32_e32 v13, 1, v9
	v_and_b32_e32 v19, 1, v19
	v_cmp_eq_u32_e64 s[0:1], 1, v13
	s_nop 1
	v_cndmask_b32_e64 v19, v19, 1, s[0:1]
	v_cmp_eq_u16_e64 s[0:1], 0, v9
	v_or_b32_sdwa v13, v6, v19 dst_sel:DWORD dst_unused:UNUSED_PAD src0_sel:DWORD src1_sel:WORD_0
	s_nop 0
	v_cndmask_b32_e64 v9, 0, v17, s[0:1]
	v_add_u32_e32 v7, v9, v7
	v_mov_b32_e32 v9, v19
; %bb.182:
	s_or_b64 exec, exec, s[52:53]
	v_mov_b32_dpp v17, v7 row_shr:2 row_mask:0xf bank_mask:0xf
	v_mov_b32_dpp v19, v13 row_shr:2 row_mask:0xf bank_mask:0xf
	v_cmp_lt_u32_e64 s[0:1], 1, v15
	s_and_saveexec_b64 s[52:53], s[0:1]
; %bb.183:
	v_and_b32_e32 v13, 1, v9
	v_and_b32_e32 v19, 1, v19
	v_cmp_eq_u32_e64 s[0:1], 1, v13
	s_nop 1
	v_cndmask_b32_e64 v19, v19, 1, s[0:1]
	v_cmp_eq_u16_e64 s[0:1], 0, v9
	v_or_b32_sdwa v13, v6, v19 dst_sel:DWORD dst_unused:UNUSED_PAD src0_sel:DWORD src1_sel:WORD_0
	s_nop 0
	v_cndmask_b32_e64 v9, 0, v17, s[0:1]
	v_add_u32_e32 v7, v9, v7
	v_mov_b32_e32 v9, v19
; %bb.184:
	s_or_b64 exec, exec, s[52:53]
	v_mov_b32_dpp v17, v7 row_shr:4 row_mask:0xf bank_mask:0xf
	v_mov_b32_dpp v19, v13 row_shr:4 row_mask:0xf bank_mask:0xf
	v_cmp_lt_u32_e64 s[0:1], 3, v15
	;; [unrolled: 18-line block ×3, first 2 shown]
	s_and_saveexec_b64 s[52:53], s[0:1]
; %bb.187:
	v_and_b32_e32 v13, 1, v9
	v_and_b32_e32 v15, 1, v19
	v_cmp_eq_u32_e64 s[0:1], 1, v13
	s_nop 1
	v_cndmask_b32_e64 v15, v15, 1, s[0:1]
	v_cmp_eq_u16_e64 s[0:1], 0, v9
	v_or_b32_sdwa v13, v6, v15 dst_sel:DWORD dst_unused:UNUSED_PAD src0_sel:DWORD src1_sel:WORD_0
	s_nop 0
	v_cndmask_b32_e64 v9, 0, v17, s[0:1]
	v_add_u32_e32 v7, v9, v7
	v_mov_b32_e32 v9, v15
; %bb.188:
	s_or_b64 exec, exec, s[52:53]
	v_and_b32_e32 v19, 16, v8
	v_mov_b32_dpp v15, v7 row_bcast:15 row_mask:0xf bank_mask:0xf
	v_mov_b32_dpp v17, v13 row_bcast:15 row_mask:0xf bank_mask:0xf
	v_cmp_ne_u32_e64 s[0:1], 0, v19
	s_and_saveexec_b64 s[52:53], s[0:1]
; %bb.189:
	v_and_b32_e32 v13, 1, v9
	v_and_b32_e32 v17, 1, v17
	v_cmp_eq_u32_e64 s[0:1], 1, v13
	s_nop 1
	v_cndmask_b32_e64 v17, v17, 1, s[0:1]
	v_cmp_eq_u16_e64 s[0:1], 0, v9
	v_or_b32_sdwa v13, v6, v17 dst_sel:DWORD dst_unused:UNUSED_PAD src0_sel:DWORD src1_sel:WORD_0
	s_nop 0
	v_cndmask_b32_e64 v9, 0, v15, s[0:1]
	v_add_u32_e32 v7, v9, v7
	v_mov_b32_e32 v9, v17
; %bb.190:
	s_or_b64 exec, exec, s[52:53]
	v_mov_b32_dpp v13, v13 row_bcast:31 row_mask:0xf bank_mask:0xf
	v_and_b32_e32 v17, 1, v9
	v_and_b32_e32 v13, 1, v13
	v_cmp_eq_u32_e64 s[0:1], 1, v17
	v_mov_b32_e32 v17, 0
	v_cmp_eq_u16_sdwa s[52:53], v9, v17 src0_sel:BYTE_0 src1_sel:DWORD
	v_cndmask_b32_e64 v13, v13, 1, s[0:1]
	v_cmp_lt_u32_e64 s[0:1], 31, v8
	v_mov_b32_dpp v15, v7 row_bcast:31 row_mask:0xf bank_mask:0xf
	s_movk_i32 s60, 0xff
	v_cndmask_b32_e64 v9, v9, v13, s[0:1]
	s_and_b64 s[0:1], s[0:1], s[52:53]
	v_cndmask_b32_e64 v13, 0, v15, s[0:1]
	v_add_u32_e32 v7, v13, v7
	v_add_u32_e32 v13, -1, v8
	v_and_b32_e32 v15, 64, v8
	v_cmp_lt_i32_e64 s[0:1], v13, v15
	v_and_or_b32 v6, v9, s60, v6
	s_nop 0
	v_cndmask_b32_e64 v8, v13, v8, s[0:1]
	v_lshlrev_b32_e32 v8, 2, v8
	ds_bpermute_b32 v7, v8, v7
	ds_bpermute_b32 v6, v8, v6
	v_cmp_eq_u16_sdwa s[0:1], v3, v17 src0_sel:BYTE_0 src1_sel:DWORD
	; wave barrier
	s_waitcnt lgkmcnt(1)
	s_nop 0
	v_cndmask_b32_e64 v3, 0, v7, s[0:1]
	v_add_u32_e32 v2, v3, v2
	s_waitcnt lgkmcnt(0)
	v_and_b32_e32 v3, 1, v6
	v_cmp_eq_u32_e64 s[0:1], 1, v5
	v_cndmask_b32_e64 v5, v2, v79, s[54:55]
	s_nop 0
	v_cndmask_b32_e64 v3, v3, 1, s[0:1]
	v_cndmask_b32_e64 v4, v3, v4, s[54:55]
	ds_write_b32 v1, v5
	ds_write_b8 v1, v4 offset:4
	; wave barrier
	ds_read_u8 v6, v1 offset:12
	ds_read2_b32 v[2:3], v1 offset0:2 offset1:4
	ds_read_u8 v7, v1 offset:20
	ds_read_b32 v8, v1 offset:24
	ds_read_u8 v9, v1 offset:28
	s_waitcnt lgkmcnt(4)
	v_cmp_eq_u16_e64 s[0:1], 0, v6
	s_nop 1
	v_cndmask_b32_e64 v5, 0, v5, s[0:1]
	s_waitcnt lgkmcnt(3)
	v_add_u32_e32 v2, v5, v2
	v_and_b32_e32 v5, 1, v6
	v_cmp_eq_u32_e64 s[0:1], 1, v5
	s_nop 1
	v_cndmask_b32_e64 v4, v4, 1, s[0:1]
	s_waitcnt lgkmcnt(2)
	v_cmp_eq_u16_e64 s[0:1], 0, v7
	ds_write_b8 v1, v4 offset:12
	s_nop 0
	v_cndmask_b32_e64 v5, 0, v2, s[0:1]
	v_add_u32_e32 v3, v5, v3
	v_and_b32_e32 v5, 1, v7
	v_cmp_eq_u32_e64 s[0:1], 1, v5
	s_nop 1
	v_cndmask_b32_e64 v4, v4, 1, s[0:1]
	s_waitcnt lgkmcnt(1)
	v_cmp_eq_u16_e64 s[0:1], 0, v9
	ds_write2_b32 v1, v2, v3 offset0:2 offset1:4
	ds_write_b8 v1, v4 offset:20
	v_cndmask_b32_e64 v2, 0, v3, s[0:1]
	v_and_b32_e32 v3, 1, v9
	v_add_u32_e32 v2, v2, v8
	v_cmp_eq_u32_e64 s[0:1], 1, v3
	s_nop 1
	v_cndmask_b32_e64 v3, v4, 1, s[0:1]
	ds_write_b32 v1, v2 offset:24
	ds_write_b8 v1, v3 offset:28
.LBB1838_191:
	s_or_b64 exec, exec, s[50:51]
	v_mov_b32_e32 v1, v79
	s_waitcnt lgkmcnt(0)
	s_barrier
	s_and_saveexec_b64 s[0:1], s[4:5]
	s_cbranch_execnz .LBB1838_269
; %bb.192:
	s_or_b64 exec, exec, s[0:1]
	s_and_saveexec_b64 s[50:51], s[4:5]
	s_cbranch_execnz .LBB1838_270
.LBB1838_193:
	s_or_b64 exec, exec, s[50:51]
	s_and_saveexec_b64 s[0:1], s[54:55]
	s_cbranch_execz .LBB1838_195
.LBB1838_194:
	v_mov_b32_e32 v5, 0
	ds_read_b32 v2, v5 offset:2096
	ds_read_u8 v3, v5 offset:2100
	s_add_u32 s4, s72, 0x400
	s_addc_u32 s5, s73, 0
	v_mov_b32_e32 v4, 2
	v_mov_b64_e32 v[6:7], s[4:5]
	s_waitcnt lgkmcnt(0)
	;;#ASMSTART
	global_store_dwordx4 v[6:7], v[2:5] off sc1	
s_waitcnt vmcnt(0)
	;;#ASMEND
.LBB1838_195:
	s_or_b64 exec, exec, s[0:1]
	v_mov_b32_e32 v80, v10
.LBB1838_196:
	s_add_u32 s0, s62, s58
	s_addc_u32 s1, s63, s59
	s_add_u32 s0, s0, s56
	s_addc_u32 s1, s1, s57
	s_and_b64 vcc, exec, s[2:3]
	s_cbranch_vccz .LBB1838_242
; %bb.197:
	s_movk_i32 s2, 0x5c
	v_mul_i32_i24_e32 v26, 0xffffffa8, v0
	s_waitcnt lgkmcnt(0)
	v_mul_u32_u24_e32 v1, 0x5c, v0
	v_mad_u32_u24 v2, v0, s2, v26
	s_barrier
	ds_write2_b32 v1, v80, v58 offset1:1
	ds_write2_b32 v1, v59, v60 offset0:2 offset1:3
	ds_write2_b32 v1, v61, v62 offset0:4 offset1:5
	;; [unrolled: 1-line block ×10, first 2 shown]
	ds_write_b32 v1, v79 offset:88
	s_waitcnt lgkmcnt(0)
	s_barrier
	ds_read2st64_b32 v[24:25], v2 offset0:4 offset1:8
	ds_read2st64_b32 v[22:23], v2 offset0:12 offset1:16
	;; [unrolled: 1-line block ×11, first 2 shown]
	s_add_i32 s33, s33, s74
	v_mov_b32_e32 v55, 0
	v_lshl_add_u64 v[4:5], s[0:1], 0, v[54:55]
	v_cmp_gt_u32_e32 vcc, s33, v0
	s_and_saveexec_b64 s[2:3], vcc
	s_cbranch_execz .LBB1838_199
; %bb.198:
	v_add_u32_e32 v1, v1, v26
	ds_read_b32 v1, v1
	s_waitcnt lgkmcnt(0)
	flat_store_dword v[4:5], v1
.LBB1838_199:
	s_or_b64 exec, exec, s[2:3]
	v_or_b32_e32 v1, 0x100, v0
	v_cmp_gt_u32_e32 vcc, s33, v1
	s_and_saveexec_b64 s[2:3], vcc
	s_cbranch_execz .LBB1838_201
; %bb.200:
	s_waitcnt lgkmcnt(0)
	flat_store_dword v[4:5], v24 offset:1024
.LBB1838_201:
	s_or_b64 exec, exec, s[2:3]
	v_or_b32_e32 v1, 0x200, v0
	v_cmp_gt_u32_e32 vcc, s33, v1
	s_and_saveexec_b64 s[2:3], vcc
	s_cbranch_execz .LBB1838_203
; %bb.202:
	s_waitcnt lgkmcnt(0)
	flat_store_dword v[4:5], v25 offset:2048
.LBB1838_203:
	;; [unrolled: 9-line block ×3, first 2 shown]
	s_or_b64 exec, exec, s[2:3]
	v_or_b32_e32 v1, 0x400, v0
	v_cmp_gt_u32_e32 vcc, s33, v1
	s_and_saveexec_b64 s[2:3], vcc
	s_cbranch_execz .LBB1838_207
; %bb.206:
	s_waitcnt lgkmcnt(0)
	v_add_co_u32_e32 v24, vcc, 0x1000, v4
	s_nop 1
	v_addc_co_u32_e32 v25, vcc, 0, v5, vcc
	flat_store_dword v[24:25], v23
.LBB1838_207:
	s_or_b64 exec, exec, s[2:3]
	v_or_b32_e32 v1, 0x500, v0
	v_cmp_gt_u32_e32 vcc, s33, v1
	s_and_saveexec_b64 s[2:3], vcc
	s_cbranch_execz .LBB1838_209
; %bb.208:
	s_waitcnt lgkmcnt(0)
	v_add_co_u32_e32 v22, vcc, 0x1000, v4
	s_nop 1
	v_addc_co_u32_e32 v23, vcc, 0, v5, vcc
	flat_store_dword v[22:23], v20 offset:1024
.LBB1838_209:
	s_or_b64 exec, exec, s[2:3]
	v_or_b32_e32 v1, 0x600, v0
	v_cmp_gt_u32_e32 vcc, s33, v1
	s_and_saveexec_b64 s[2:3], vcc
	s_cbranch_execz .LBB1838_211
; %bb.210:
	s_waitcnt lgkmcnt(0)
	v_add_co_u32_e32 v22, vcc, 0x1000, v4
	s_nop 1
	v_addc_co_u32_e32 v23, vcc, 0, v5, vcc
	flat_store_dword v[22:23], v21 offset:2048
.LBB1838_211:
	s_or_b64 exec, exec, s[2:3]
	v_or_b32_e32 v1, 0x700, v0
	v_cmp_gt_u32_e32 vcc, s33, v1
	s_and_saveexec_b64 s[2:3], vcc
	s_cbranch_execz .LBB1838_213
; %bb.212:
	s_waitcnt lgkmcnt(0)
	v_add_co_u32_e32 v20, vcc, 0x1000, v4
	s_nop 1
	v_addc_co_u32_e32 v21, vcc, 0, v5, vcc
	flat_store_dword v[20:21], v18 offset:3072
.LBB1838_213:
	s_or_b64 exec, exec, s[2:3]
	v_or_b32_e32 v1, 0x800, v0
	v_cmp_gt_u32_e32 vcc, s33, v1
	s_and_saveexec_b64 s[2:3], vcc
	s_cbranch_execz .LBB1838_215
; %bb.214:
	s_waitcnt lgkmcnt(0)
	v_add_co_u32_e32 v20, vcc, 0x2000, v4
	s_nop 1
	v_addc_co_u32_e32 v21, vcc, 0, v5, vcc
	flat_store_dword v[20:21], v19
.LBB1838_215:
	s_or_b64 exec, exec, s[2:3]
	v_or_b32_e32 v1, 0x900, v0
	v_cmp_gt_u32_e32 vcc, s33, v1
	s_and_saveexec_b64 s[2:3], vcc
	s_cbranch_execz .LBB1838_217
; %bb.216:
	s_waitcnt lgkmcnt(0)
	v_add_co_u32_e32 v18, vcc, 0x2000, v4
	s_nop 1
	v_addc_co_u32_e32 v19, vcc, 0, v5, vcc
	flat_store_dword v[18:19], v16 offset:1024
.LBB1838_217:
	s_or_b64 exec, exec, s[2:3]
	v_or_b32_e32 v1, 0xa00, v0
	v_cmp_gt_u32_e32 vcc, s33, v1
	s_and_saveexec_b64 s[2:3], vcc
	s_cbranch_execz .LBB1838_219
; %bb.218:
	s_waitcnt lgkmcnt(0)
	v_add_co_u32_e32 v18, vcc, 0x2000, v4
	s_nop 1
	v_addc_co_u32_e32 v19, vcc, 0, v5, vcc
	flat_store_dword v[18:19], v17 offset:2048
.LBB1838_219:
	s_or_b64 exec, exec, s[2:3]
	v_or_b32_e32 v1, 0xb00, v0
	v_cmp_gt_u32_e32 vcc, s33, v1
	s_and_saveexec_b64 s[2:3], vcc
	s_cbranch_execz .LBB1838_221
; %bb.220:
	s_waitcnt lgkmcnt(0)
	v_add_co_u32_e32 v16, vcc, 0x2000, v4
	s_nop 1
	v_addc_co_u32_e32 v17, vcc, 0, v5, vcc
	flat_store_dword v[16:17], v14 offset:3072
.LBB1838_221:
	s_or_b64 exec, exec, s[2:3]
	v_or_b32_e32 v1, 0xc00, v0
	v_cmp_gt_u32_e32 vcc, s33, v1
	s_and_saveexec_b64 s[2:3], vcc
	s_cbranch_execz .LBB1838_223
; %bb.222:
	s_waitcnt lgkmcnt(0)
	v_add_co_u32_e32 v16, vcc, 0x3000, v4
	s_nop 1
	v_addc_co_u32_e32 v17, vcc, 0, v5, vcc
	flat_store_dword v[16:17], v15
.LBB1838_223:
	s_or_b64 exec, exec, s[2:3]
	v_or_b32_e32 v1, 0xd00, v0
	v_cmp_gt_u32_e32 vcc, s33, v1
	s_and_saveexec_b64 s[2:3], vcc
	s_cbranch_execz .LBB1838_225
; %bb.224:
	s_waitcnt lgkmcnt(0)
	v_add_co_u32_e32 v14, vcc, 0x3000, v4
	s_nop 1
	v_addc_co_u32_e32 v15, vcc, 0, v5, vcc
	flat_store_dword v[14:15], v12 offset:1024
.LBB1838_225:
	s_or_b64 exec, exec, s[2:3]
	v_or_b32_e32 v1, 0xe00, v0
	v_cmp_gt_u32_e32 vcc, s33, v1
	s_and_saveexec_b64 s[2:3], vcc
	s_cbranch_execz .LBB1838_227
; %bb.226:
	s_waitcnt lgkmcnt(0)
	v_add_co_u32_e32 v14, vcc, 0x3000, v4
	s_nop 1
	v_addc_co_u32_e32 v15, vcc, 0, v5, vcc
	flat_store_dword v[14:15], v13 offset:2048
.LBB1838_227:
	s_or_b64 exec, exec, s[2:3]
	v_or_b32_e32 v1, 0xf00, v0
	v_cmp_gt_u32_e32 vcc, s33, v1
	s_and_saveexec_b64 s[2:3], vcc
	s_cbranch_execz .LBB1838_229
; %bb.228:
	s_waitcnt lgkmcnt(0)
	v_add_co_u32_e32 v12, vcc, 0x3000, v4
	s_nop 1
	v_addc_co_u32_e32 v13, vcc, 0, v5, vcc
	flat_store_dword v[12:13], v10 offset:3072
.LBB1838_229:
	s_or_b64 exec, exec, s[2:3]
	v_or_b32_e32 v1, 0x1000, v0
	v_cmp_gt_u32_e32 vcc, s33, v1
	s_and_saveexec_b64 s[2:3], vcc
	s_cbranch_execz .LBB1838_231
; %bb.230:
	s_waitcnt lgkmcnt(0)
	v_add_co_u32_e32 v12, vcc, 0x4000, v4
	s_nop 1
	v_addc_co_u32_e32 v13, vcc, 0, v5, vcc
	flat_store_dword v[12:13], v11
.LBB1838_231:
	s_or_b64 exec, exec, s[2:3]
	v_or_b32_e32 v1, 0x1100, v0
	v_cmp_gt_u32_e32 vcc, s33, v1
	s_and_saveexec_b64 s[2:3], vcc
	s_cbranch_execz .LBB1838_233
; %bb.232:
	s_waitcnt lgkmcnt(0)
	v_add_co_u32_e32 v10, vcc, 0x4000, v4
	s_nop 1
	v_addc_co_u32_e32 v11, vcc, 0, v5, vcc
	flat_store_dword v[10:11], v8 offset:1024
.LBB1838_233:
	s_or_b64 exec, exec, s[2:3]
	v_or_b32_e32 v1, 0x1200, v0
	v_cmp_gt_u32_e32 vcc, s33, v1
	s_and_saveexec_b64 s[2:3], vcc
	s_cbranch_execz .LBB1838_235
; %bb.234:
	s_waitcnt lgkmcnt(0)
	v_add_co_u32_e32 v10, vcc, 0x4000, v4
	s_nop 1
	v_addc_co_u32_e32 v11, vcc, 0, v5, vcc
	flat_store_dword v[10:11], v9 offset:2048
.LBB1838_235:
	s_or_b64 exec, exec, s[2:3]
	v_or_b32_e32 v1, 0x1300, v0
	v_cmp_gt_u32_e32 vcc, s33, v1
	s_and_saveexec_b64 s[2:3], vcc
	s_cbranch_execz .LBB1838_237
; %bb.236:
	s_waitcnt lgkmcnt(0)
	v_add_co_u32_e32 v8, vcc, 0x4000, v4
	s_nop 1
	v_addc_co_u32_e32 v9, vcc, 0, v5, vcc
	flat_store_dword v[8:9], v6 offset:3072
.LBB1838_237:
	s_or_b64 exec, exec, s[2:3]
	v_or_b32_e32 v1, 0x1400, v0
	v_cmp_gt_u32_e32 vcc, s33, v1
	s_and_saveexec_b64 s[2:3], vcc
	s_cbranch_execz .LBB1838_239
; %bb.238:
	s_waitcnt lgkmcnt(0)
	v_add_co_u32_e32 v8, vcc, 0x5000, v4
	s_nop 1
	v_addc_co_u32_e32 v9, vcc, 0, v5, vcc
	flat_store_dword v[8:9], v7
.LBB1838_239:
	s_or_b64 exec, exec, s[2:3]
	v_or_b32_e32 v1, 0x1500, v0
	v_cmp_gt_u32_e32 vcc, s33, v1
	s_and_saveexec_b64 s[2:3], vcc
	s_cbranch_execz .LBB1838_241
; %bb.240:
	v_add_co_u32_e32 v4, vcc, 0x5000, v4
	s_nop 1
	v_addc_co_u32_e32 v5, vcc, 0, v5, vcc
	s_waitcnt lgkmcnt(0)
	flat_store_dword v[4:5], v2 offset:1024
.LBB1838_241:
	s_or_b64 exec, exec, s[2:3]
	s_waitcnt lgkmcnt(0)
	v_or_b32_e32 v2, 0x1600, v0
	v_mov_b32_e32 v1, v55
	v_cmp_gt_u32_e64 s[2:3], s33, v2
	s_branch .LBB1838_244
.LBB1838_242:
	s_mov_b64 s[2:3], 0
                                        ; implicit-def: $vgpr3
	s_cbranch_execz .LBB1838_244
; %bb.243:
	s_waitcnt lgkmcnt(0)
	v_mul_u32_u24_e32 v1, 0x5c, v0
	s_barrier
	s_movk_i32 s4, 0x5c
	ds_write2_b32 v1, v80, v58 offset1:1
	ds_write2_b32 v1, v59, v60 offset0:2 offset1:3
	ds_write2_b32 v1, v61, v62 offset0:4 offset1:5
	;; [unrolled: 1-line block ×10, first 2 shown]
	ds_write_b32 v1, v79 offset:88
	v_mov_b32_e32 v1, 0
	v_mul_i32_i24_e32 v2, 0xffffffa8, v0
	v_mad_u32_u24 v2, v0, s4, v2
	v_mov_b32_e32 v55, v1
	s_waitcnt lgkmcnt(0)
	s_barrier
	ds_read2st64_b32 v[4:5], v2 offset1:4
	ds_read2st64_b32 v[6:7], v2 offset0:8 offset1:12
	ds_read2st64_b32 v[8:9], v2 offset0:16 offset1:20
	ds_read2st64_b32 v[10:11], v2 offset0:24 offset1:28
	ds_read2st64_b32 v[12:13], v2 offset0:32 offset1:36
	ds_read2st64_b32 v[14:15], v2 offset0:40 offset1:44
	ds_read2st64_b32 v[16:17], v2 offset0:48 offset1:52
	ds_read2st64_b32 v[18:19], v2 offset0:56 offset1:60
	ds_read2st64_b32 v[20:21], v2 offset0:64 offset1:68
	ds_read2st64_b32 v[22:23], v2 offset0:72 offset1:76
	ds_read2st64_b32 v[24:25], v2 offset0:80 offset1:84
	ds_read_b32 v3, v2 offset:22528
	v_lshl_add_u64 v[26:27], s[0:1], 0, v[54:55]
	s_movk_i32 s4, 0x1000
	s_waitcnt lgkmcnt(0)
	flat_store_dword v[26:27], v4
	flat_store_dword v[26:27], v5 offset:1024
	flat_store_dword v[26:27], v6 offset:2048
	flat_store_dword v[26:27], v7 offset:3072
	v_add_co_u32_e32 v4, vcc, s4, v26
	s_movk_i32 s4, 0x2000
	s_nop 0
	v_addc_co_u32_e32 v5, vcc, 0, v27, vcc
	flat_store_dword v[4:5], v8
	flat_store_dword v[4:5], v9 offset:1024
	flat_store_dword v[4:5], v10 offset:2048
	;; [unrolled: 1-line block ×3, first 2 shown]
	v_add_co_u32_e32 v4, vcc, s4, v26
	s_movk_i32 s4, 0x3000
	s_nop 0
	v_addc_co_u32_e32 v5, vcc, 0, v27, vcc
	flat_store_dword v[4:5], v12
	flat_store_dword v[4:5], v13 offset:1024
	flat_store_dword v[4:5], v14 offset:2048
	;; [unrolled: 1-line block ×3, first 2 shown]
	v_add_co_u32_e32 v4, vcc, s4, v26
	s_or_b64 s[2:3], s[2:3], exec
	s_nop 0
	v_addc_co_u32_e32 v5, vcc, 0, v27, vcc
	flat_store_dword v[4:5], v16
	flat_store_dword v[4:5], v17 offset:1024
	flat_store_dword v[4:5], v18 offset:2048
	;; [unrolled: 1-line block ×3, first 2 shown]
	v_add_co_u32_e32 v4, vcc, 0x4000, v26
	s_nop 1
	v_addc_co_u32_e32 v5, vcc, 0, v27, vcc
	flat_store_dword v[4:5], v20
	flat_store_dword v[4:5], v21 offset:1024
	flat_store_dword v[4:5], v22 offset:2048
	;; [unrolled: 1-line block ×3, first 2 shown]
	v_add_co_u32_e32 v4, vcc, 0x5000, v26
	s_nop 1
	v_addc_co_u32_e32 v5, vcc, 0, v27, vcc
	flat_store_dword v[4:5], v24
	flat_store_dword v[4:5], v25 offset:1024
.LBB1838_244:
	s_and_saveexec_b64 s[4:5], s[2:3]
	s_cbranch_execnz .LBB1838_246
; %bb.245:
	s_endpgm
.LBB1838_246:
	s_waitcnt lgkmcnt(0)
	v_lshl_add_u64 v[0:1], v[0:1], 2, s[0:1]
	v_add_co_u32_e32 v0, vcc, 0x5000, v0
	s_nop 1
	v_addc_co_u32_e32 v1, vcc, 0, v1, vcc
	flat_store_dword v[0:1], v3 offset:2048
	s_endpgm
.LBB1838_247:
	v_lshl_add_u64 v[30:31], s[60:61], 0, v[2:3]
	flat_load_dword v29, v[30:31]
	s_or_b64 exec, exec, s[0:1]
                                        ; implicit-def: $vgpr30
	s_and_saveexec_b64 s[0:1], s[8:9]
	s_cbranch_execz .LBB1838_59
.LBB1838_248:
	v_mov_b32_e32 v3, 0
	v_lshl_add_u64 v[30:31], s[60:61], 0, v[2:3]
	flat_load_dword v30, v[30:31] offset:1024
	s_or_b64 exec, exec, s[0:1]
                                        ; implicit-def: $vgpr31
	s_and_saveexec_b64 s[0:1], s[10:11]
	s_cbranch_execz .LBB1838_60
.LBB1838_249:
	v_mov_b32_e32 v3, 0
	v_lshl_add_u64 v[32:33], s[60:61], 0, v[2:3]
	flat_load_dword v31, v[32:33] offset:2048
	s_or_b64 exec, exec, s[0:1]
                                        ; implicit-def: $vgpr3
	s_and_saveexec_b64 s[0:1], s[12:13]
	s_cbranch_execz .LBB1838_61
.LBB1838_250:
	v_mov_b32_e32 v3, 0
	v_lshl_add_u64 v[32:33], s[60:61], 0, v[2:3]
	flat_load_dword v3, v[32:33] offset:3072
	s_or_b64 exec, exec, s[0:1]
                                        ; implicit-def: $vgpr32
	s_and_saveexec_b64 s[0:1], s[14:15]
	s_cbranch_execz .LBB1838_62
.LBB1838_251:
	v_lshlrev_b32_e32 v32, 2, v10
	v_mov_b32_e32 v33, 0
	v_lshl_add_u64 v[32:33], s[60:61], 0, v[32:33]
	flat_load_dword v32, v[32:33]
	s_or_b64 exec, exec, s[0:1]
                                        ; implicit-def: $vgpr10
	s_and_saveexec_b64 s[0:1], s[16:17]
	s_cbranch_execz .LBB1838_63
.LBB1838_252:
	v_lshlrev_b32_e32 v10, 2, v11
	v_mov_b32_e32 v11, 0
	v_lshl_add_u64 v[10:11], s[60:61], 0, v[10:11]
	flat_load_dword v10, v[10:11]
	s_or_b64 exec, exec, s[0:1]
                                        ; implicit-def: $vgpr11
	s_and_saveexec_b64 s[0:1], s[18:19]
	s_cbranch_execz .LBB1838_64
.LBB1838_253:
	v_lshlrev_b32_e32 v34, 2, v12
	v_mov_b32_e32 v35, 0
	v_lshl_add_u64 v[34:35], s[60:61], 0, v[34:35]
	flat_load_dword v11, v[34:35]
	s_or_b64 exec, exec, s[0:1]
                                        ; implicit-def: $vgpr12
	s_and_saveexec_b64 s[0:1], s[20:21]
	s_cbranch_execz .LBB1838_65
.LBB1838_254:
	v_lshlrev_b32_e32 v12, 2, v13
	v_mov_b32_e32 v13, 0
	v_lshl_add_u64 v[12:13], s[60:61], 0, v[12:13]
	flat_load_dword v12, v[12:13]
	s_or_b64 exec, exec, s[0:1]
                                        ; implicit-def: $vgpr13
	s_and_saveexec_b64 s[0:1], s[22:23]
	s_cbranch_execz .LBB1838_66
.LBB1838_255:
	v_lshlrev_b32_e32 v34, 2, v14
	v_mov_b32_e32 v35, 0
	v_lshl_add_u64 v[34:35], s[60:61], 0, v[34:35]
	flat_load_dword v13, v[34:35]
	s_or_b64 exec, exec, s[0:1]
                                        ; implicit-def: $vgpr14
	s_and_saveexec_b64 s[0:1], s[24:25]
	s_cbranch_execz .LBB1838_67
.LBB1838_256:
	v_lshlrev_b32_e32 v14, 2, v15
	v_mov_b32_e32 v15, 0
	v_lshl_add_u64 v[14:15], s[60:61], 0, v[14:15]
	flat_load_dword v14, v[14:15]
	s_or_b64 exec, exec, s[0:1]
                                        ; implicit-def: $vgpr15
	s_and_saveexec_b64 s[0:1], s[26:27]
	s_cbranch_execz .LBB1838_68
.LBB1838_257:
	v_lshlrev_b32_e32 v34, 2, v16
	v_mov_b32_e32 v35, 0
	v_lshl_add_u64 v[34:35], s[60:61], 0, v[34:35]
	flat_load_dword v15, v[34:35]
	s_or_b64 exec, exec, s[0:1]
                                        ; implicit-def: $vgpr16
	s_and_saveexec_b64 s[0:1], s[28:29]
	s_cbranch_execz .LBB1838_69
.LBB1838_258:
	v_lshlrev_b32_e32 v16, 2, v17
	v_mov_b32_e32 v17, 0
	v_lshl_add_u64 v[16:17], s[60:61], 0, v[16:17]
	flat_load_dword v16, v[16:17]
	s_or_b64 exec, exec, s[0:1]
                                        ; implicit-def: $vgpr17
	s_and_saveexec_b64 s[0:1], s[30:31]
	s_cbranch_execz .LBB1838_70
.LBB1838_259:
	v_lshlrev_b32_e32 v34, 2, v18
	v_mov_b32_e32 v35, 0
	v_lshl_add_u64 v[34:35], s[60:61], 0, v[34:35]
	flat_load_dword v17, v[34:35]
	s_or_b64 exec, exec, s[0:1]
                                        ; implicit-def: $vgpr18
	s_and_saveexec_b64 s[0:1], s[34:35]
	s_cbranch_execz .LBB1838_71
.LBB1838_260:
	v_lshlrev_b32_e32 v18, 2, v19
	v_mov_b32_e32 v19, 0
	v_lshl_add_u64 v[18:19], s[60:61], 0, v[18:19]
	flat_load_dword v18, v[18:19]
	s_or_b64 exec, exec, s[0:1]
                                        ; implicit-def: $vgpr19
	s_and_saveexec_b64 s[0:1], s[36:37]
	s_cbranch_execz .LBB1838_72
.LBB1838_261:
	v_lshlrev_b32_e32 v34, 2, v20
	v_mov_b32_e32 v35, 0
	v_lshl_add_u64 v[34:35], s[60:61], 0, v[34:35]
	flat_load_dword v19, v[34:35]
	s_or_b64 exec, exec, s[0:1]
                                        ; implicit-def: $vgpr20
	s_and_saveexec_b64 s[0:1], s[38:39]
	s_cbranch_execz .LBB1838_73
.LBB1838_262:
	v_lshlrev_b32_e32 v20, 2, v21
	v_mov_b32_e32 v21, 0
	v_lshl_add_u64 v[20:21], s[60:61], 0, v[20:21]
	flat_load_dword v20, v[20:21]
	s_or_b64 exec, exec, s[0:1]
                                        ; implicit-def: $vgpr21
	s_and_saveexec_b64 s[0:1], s[40:41]
	s_cbranch_execz .LBB1838_74
.LBB1838_263:
	v_lshlrev_b32_e32 v34, 2, v22
	v_mov_b32_e32 v35, 0
	v_lshl_add_u64 v[34:35], s[60:61], 0, v[34:35]
	flat_load_dword v21, v[34:35]
	s_or_b64 exec, exec, s[0:1]
                                        ; implicit-def: $vgpr22
	s_and_saveexec_b64 s[0:1], s[42:43]
	s_cbranch_execz .LBB1838_75
.LBB1838_264:
	v_lshlrev_b32_e32 v22, 2, v23
	v_mov_b32_e32 v23, 0
	v_lshl_add_u64 v[22:23], s[60:61], 0, v[22:23]
	flat_load_dword v22, v[22:23]
	s_or_b64 exec, exec, s[0:1]
                                        ; implicit-def: $vgpr23
	s_and_saveexec_b64 s[0:1], s[44:45]
	s_cbranch_execz .LBB1838_76
.LBB1838_265:
	v_lshlrev_b32_e32 v34, 2, v24
	v_mov_b32_e32 v35, 0
	v_lshl_add_u64 v[34:35], s[60:61], 0, v[34:35]
	flat_load_dword v23, v[34:35]
	s_or_b64 exec, exec, s[0:1]
                                        ; implicit-def: $vgpr24
	s_and_saveexec_b64 s[0:1], s[46:47]
	s_cbranch_execz .LBB1838_77
.LBB1838_266:
	v_lshlrev_b32_e32 v24, 2, v25
	v_mov_b32_e32 v25, 0
	v_lshl_add_u64 v[24:25], s[60:61], 0, v[24:25]
	flat_load_dword v24, v[24:25]
	s_or_b64 exec, exec, s[0:1]
                                        ; implicit-def: $vgpr25
	s_and_saveexec_b64 s[0:1], s[48:49]
	s_cbranch_execz .LBB1838_78
.LBB1838_267:
	v_lshlrev_b32_e32 v34, 2, v26
	v_mov_b32_e32 v35, 0
	v_lshl_add_u64 v[34:35], s[60:61], 0, v[34:35]
	flat_load_dword v25, v[34:35]
	s_or_b64 exec, exec, s[0:1]
                                        ; implicit-def: $vgpr26
	s_and_saveexec_b64 s[0:1], s[50:51]
	s_cbranch_execz .LBB1838_79
.LBB1838_268:
	v_lshlrev_b32_e32 v26, 2, v27
	v_mov_b32_e32 v27, 0
	v_lshl_add_u64 v[26:27], s[60:61], 0, v[26:27]
	flat_load_dword v26, v[26:27]
	s_or_b64 exec, exec, s[0:1]
                                        ; implicit-def: $vgpr27
	s_and_saveexec_b64 s[0:1], s[52:53]
	s_cbranch_execnz .LBB1838_80
	s_branch .LBB1838_81
.LBB1838_269:
	v_add_u32_e32 v1, -1, v0
	v_lshrrev_b32_e32 v2, 5, v1
	v_add_lshl_u32 v1, v2, v1, 3
	ds_read_b32 v1, v1
	s_or_b64 exec, exec, s[0:1]
	s_and_saveexec_b64 s[50:51], s[4:5]
	s_cbranch_execz .LBB1838_193
.LBB1838_270:
	v_and_b32_e32 v3, 0xff, v11
	v_mov_b32_e32 v2, 0
	v_cmp_eq_u64_e64 s[0:1], 0, v[2:3]
	;;#ASMSTART
	;;#ASMEND
	s_waitcnt lgkmcnt(0)
	s_nop 0
	v_cndmask_b32_e64 v1, 0, v1, s[0:1]
	v_add_u32_e32 v10, v1, v10
	v_cndmask_b32_e32 v1, 0, v10, vcc
	v_add_u32_e32 v58, v1, v12
	v_cndmask_b32_e64 v1, 0, v58, s[6:7]
	v_add_u32_e32 v59, v1, v14
	v_cndmask_b32_e64 v1, 0, v59, s[8:9]
	;; [unrolled: 2-line block ×21, first 2 shown]
	v_add_u32_e32 v79, v1, v56
	s_or_b64 exec, exec, s[50:51]
	s_and_saveexec_b64 s[0:1], s[54:55]
	s_cbranch_execnz .LBB1838_194
	s_branch .LBB1838_195
.LBB1838_271:
                                        ; implicit-def: $sgpr0_sgpr1
	s_branch .LBB1838_54
.LBB1838_272:
                                        ; implicit-def: $sgpr0_sgpr1
	s_branch .LBB1838_130
	.section	.rodata,"a",@progbits
	.p2align	6, 0x0
	.amdhsa_kernel _ZN7rocprim17ROCPRIM_400000_NS6detail17trampoline_kernelINS0_14default_configENS1_27scan_by_key_config_selectorIjjEEZZNS1_16scan_by_key_implILNS1_25lookback_scan_determinismE0ELb0ES3_N6thrust23THRUST_200600_302600_NS6detail15normal_iteratorINS9_10device_ptrIjEEEESE_SE_jNS9_4plusIvEENS9_8equal_toIvEEjEE10hipError_tPvRmT2_T3_T4_T5_mT6_T7_P12ihipStream_tbENKUlT_T0_E_clISt17integral_constantIbLb1EESZ_EEDaSU_SV_EUlSU_E_NS1_11comp_targetILNS1_3genE5ELNS1_11target_archE942ELNS1_3gpuE9ELNS1_3repE0EEENS1_30default_config_static_selectorELNS0_4arch9wavefront6targetE1EEEvT1_
		.amdhsa_group_segment_fixed_size 25600
		.amdhsa_private_segment_fixed_size 0
		.amdhsa_kernarg_size 112
		.amdhsa_user_sgpr_count 2
		.amdhsa_user_sgpr_dispatch_ptr 0
		.amdhsa_user_sgpr_queue_ptr 0
		.amdhsa_user_sgpr_kernarg_segment_ptr 1
		.amdhsa_user_sgpr_dispatch_id 0
		.amdhsa_user_sgpr_kernarg_preload_length 0
		.amdhsa_user_sgpr_kernarg_preload_offset 0
		.amdhsa_user_sgpr_private_segment_size 0
		.amdhsa_uses_dynamic_stack 0
		.amdhsa_enable_private_segment 0
		.amdhsa_system_sgpr_workgroup_id_x 1
		.amdhsa_system_sgpr_workgroup_id_y 0
		.amdhsa_system_sgpr_workgroup_id_z 0
		.amdhsa_system_sgpr_workgroup_info 0
		.amdhsa_system_vgpr_workitem_id 0
		.amdhsa_next_free_vgpr 81
		.amdhsa_next_free_sgpr 85
		.amdhsa_accum_offset 84
		.amdhsa_reserve_vcc 1
		.amdhsa_float_round_mode_32 0
		.amdhsa_float_round_mode_16_64 0
		.amdhsa_float_denorm_mode_32 3
		.amdhsa_float_denorm_mode_16_64 3
		.amdhsa_dx10_clamp 1
		.amdhsa_ieee_mode 1
		.amdhsa_fp16_overflow 0
		.amdhsa_tg_split 0
		.amdhsa_exception_fp_ieee_invalid_op 0
		.amdhsa_exception_fp_denorm_src 0
		.amdhsa_exception_fp_ieee_div_zero 0
		.amdhsa_exception_fp_ieee_overflow 0
		.amdhsa_exception_fp_ieee_underflow 0
		.amdhsa_exception_fp_ieee_inexact 0
		.amdhsa_exception_int_div_zero 0
	.end_amdhsa_kernel
	.section	.text._ZN7rocprim17ROCPRIM_400000_NS6detail17trampoline_kernelINS0_14default_configENS1_27scan_by_key_config_selectorIjjEEZZNS1_16scan_by_key_implILNS1_25lookback_scan_determinismE0ELb0ES3_N6thrust23THRUST_200600_302600_NS6detail15normal_iteratorINS9_10device_ptrIjEEEESE_SE_jNS9_4plusIvEENS9_8equal_toIvEEjEE10hipError_tPvRmT2_T3_T4_T5_mT6_T7_P12ihipStream_tbENKUlT_T0_E_clISt17integral_constantIbLb1EESZ_EEDaSU_SV_EUlSU_E_NS1_11comp_targetILNS1_3genE5ELNS1_11target_archE942ELNS1_3gpuE9ELNS1_3repE0EEENS1_30default_config_static_selectorELNS0_4arch9wavefront6targetE1EEEvT1_,"axG",@progbits,_ZN7rocprim17ROCPRIM_400000_NS6detail17trampoline_kernelINS0_14default_configENS1_27scan_by_key_config_selectorIjjEEZZNS1_16scan_by_key_implILNS1_25lookback_scan_determinismE0ELb0ES3_N6thrust23THRUST_200600_302600_NS6detail15normal_iteratorINS9_10device_ptrIjEEEESE_SE_jNS9_4plusIvEENS9_8equal_toIvEEjEE10hipError_tPvRmT2_T3_T4_T5_mT6_T7_P12ihipStream_tbENKUlT_T0_E_clISt17integral_constantIbLb1EESZ_EEDaSU_SV_EUlSU_E_NS1_11comp_targetILNS1_3genE5ELNS1_11target_archE942ELNS1_3gpuE9ELNS1_3repE0EEENS1_30default_config_static_selectorELNS0_4arch9wavefront6targetE1EEEvT1_,comdat
.Lfunc_end1838:
	.size	_ZN7rocprim17ROCPRIM_400000_NS6detail17trampoline_kernelINS0_14default_configENS1_27scan_by_key_config_selectorIjjEEZZNS1_16scan_by_key_implILNS1_25lookback_scan_determinismE0ELb0ES3_N6thrust23THRUST_200600_302600_NS6detail15normal_iteratorINS9_10device_ptrIjEEEESE_SE_jNS9_4plusIvEENS9_8equal_toIvEEjEE10hipError_tPvRmT2_T3_T4_T5_mT6_T7_P12ihipStream_tbENKUlT_T0_E_clISt17integral_constantIbLb1EESZ_EEDaSU_SV_EUlSU_E_NS1_11comp_targetILNS1_3genE5ELNS1_11target_archE942ELNS1_3gpuE9ELNS1_3repE0EEENS1_30default_config_static_selectorELNS0_4arch9wavefront6targetE1EEEvT1_, .Lfunc_end1838-_ZN7rocprim17ROCPRIM_400000_NS6detail17trampoline_kernelINS0_14default_configENS1_27scan_by_key_config_selectorIjjEEZZNS1_16scan_by_key_implILNS1_25lookback_scan_determinismE0ELb0ES3_N6thrust23THRUST_200600_302600_NS6detail15normal_iteratorINS9_10device_ptrIjEEEESE_SE_jNS9_4plusIvEENS9_8equal_toIvEEjEE10hipError_tPvRmT2_T3_T4_T5_mT6_T7_P12ihipStream_tbENKUlT_T0_E_clISt17integral_constantIbLb1EESZ_EEDaSU_SV_EUlSU_E_NS1_11comp_targetILNS1_3genE5ELNS1_11target_archE942ELNS1_3gpuE9ELNS1_3repE0EEENS1_30default_config_static_selectorELNS0_4arch9wavefront6targetE1EEEvT1_
                                        ; -- End function
	.section	.AMDGPU.csdata,"",@progbits
; Kernel info:
; codeLenInByte = 15672
; NumSgprs: 91
; NumVgprs: 81
; NumAgprs: 0
; TotalNumVgprs: 81
; ScratchSize: 0
; MemoryBound: 0
; FloatMode: 240
; IeeeMode: 1
; LDSByteSize: 25600 bytes/workgroup (compile time only)
; SGPRBlocks: 11
; VGPRBlocks: 10
; NumSGPRsForWavesPerEU: 91
; NumVGPRsForWavesPerEU: 81
; AccumOffset: 84
; Occupancy: 2
; WaveLimiterHint : 1
; COMPUTE_PGM_RSRC2:SCRATCH_EN: 0
; COMPUTE_PGM_RSRC2:USER_SGPR: 2
; COMPUTE_PGM_RSRC2:TRAP_HANDLER: 0
; COMPUTE_PGM_RSRC2:TGID_X_EN: 1
; COMPUTE_PGM_RSRC2:TGID_Y_EN: 0
; COMPUTE_PGM_RSRC2:TGID_Z_EN: 0
; COMPUTE_PGM_RSRC2:TIDIG_COMP_CNT: 0
; COMPUTE_PGM_RSRC3_GFX90A:ACCUM_OFFSET: 20
; COMPUTE_PGM_RSRC3_GFX90A:TG_SPLIT: 0
	.section	.text._ZN7rocprim17ROCPRIM_400000_NS6detail17trampoline_kernelINS0_14default_configENS1_27scan_by_key_config_selectorIjjEEZZNS1_16scan_by_key_implILNS1_25lookback_scan_determinismE0ELb0ES3_N6thrust23THRUST_200600_302600_NS6detail15normal_iteratorINS9_10device_ptrIjEEEESE_SE_jNS9_4plusIvEENS9_8equal_toIvEEjEE10hipError_tPvRmT2_T3_T4_T5_mT6_T7_P12ihipStream_tbENKUlT_T0_E_clISt17integral_constantIbLb1EESZ_EEDaSU_SV_EUlSU_E_NS1_11comp_targetILNS1_3genE4ELNS1_11target_archE910ELNS1_3gpuE8ELNS1_3repE0EEENS1_30default_config_static_selectorELNS0_4arch9wavefront6targetE1EEEvT1_,"axG",@progbits,_ZN7rocprim17ROCPRIM_400000_NS6detail17trampoline_kernelINS0_14default_configENS1_27scan_by_key_config_selectorIjjEEZZNS1_16scan_by_key_implILNS1_25lookback_scan_determinismE0ELb0ES3_N6thrust23THRUST_200600_302600_NS6detail15normal_iteratorINS9_10device_ptrIjEEEESE_SE_jNS9_4plusIvEENS9_8equal_toIvEEjEE10hipError_tPvRmT2_T3_T4_T5_mT6_T7_P12ihipStream_tbENKUlT_T0_E_clISt17integral_constantIbLb1EESZ_EEDaSU_SV_EUlSU_E_NS1_11comp_targetILNS1_3genE4ELNS1_11target_archE910ELNS1_3gpuE8ELNS1_3repE0EEENS1_30default_config_static_selectorELNS0_4arch9wavefront6targetE1EEEvT1_,comdat
	.protected	_ZN7rocprim17ROCPRIM_400000_NS6detail17trampoline_kernelINS0_14default_configENS1_27scan_by_key_config_selectorIjjEEZZNS1_16scan_by_key_implILNS1_25lookback_scan_determinismE0ELb0ES3_N6thrust23THRUST_200600_302600_NS6detail15normal_iteratorINS9_10device_ptrIjEEEESE_SE_jNS9_4plusIvEENS9_8equal_toIvEEjEE10hipError_tPvRmT2_T3_T4_T5_mT6_T7_P12ihipStream_tbENKUlT_T0_E_clISt17integral_constantIbLb1EESZ_EEDaSU_SV_EUlSU_E_NS1_11comp_targetILNS1_3genE4ELNS1_11target_archE910ELNS1_3gpuE8ELNS1_3repE0EEENS1_30default_config_static_selectorELNS0_4arch9wavefront6targetE1EEEvT1_ ; -- Begin function _ZN7rocprim17ROCPRIM_400000_NS6detail17trampoline_kernelINS0_14default_configENS1_27scan_by_key_config_selectorIjjEEZZNS1_16scan_by_key_implILNS1_25lookback_scan_determinismE0ELb0ES3_N6thrust23THRUST_200600_302600_NS6detail15normal_iteratorINS9_10device_ptrIjEEEESE_SE_jNS9_4plusIvEENS9_8equal_toIvEEjEE10hipError_tPvRmT2_T3_T4_T5_mT6_T7_P12ihipStream_tbENKUlT_T0_E_clISt17integral_constantIbLb1EESZ_EEDaSU_SV_EUlSU_E_NS1_11comp_targetILNS1_3genE4ELNS1_11target_archE910ELNS1_3gpuE8ELNS1_3repE0EEENS1_30default_config_static_selectorELNS0_4arch9wavefront6targetE1EEEvT1_
	.globl	_ZN7rocprim17ROCPRIM_400000_NS6detail17trampoline_kernelINS0_14default_configENS1_27scan_by_key_config_selectorIjjEEZZNS1_16scan_by_key_implILNS1_25lookback_scan_determinismE0ELb0ES3_N6thrust23THRUST_200600_302600_NS6detail15normal_iteratorINS9_10device_ptrIjEEEESE_SE_jNS9_4plusIvEENS9_8equal_toIvEEjEE10hipError_tPvRmT2_T3_T4_T5_mT6_T7_P12ihipStream_tbENKUlT_T0_E_clISt17integral_constantIbLb1EESZ_EEDaSU_SV_EUlSU_E_NS1_11comp_targetILNS1_3genE4ELNS1_11target_archE910ELNS1_3gpuE8ELNS1_3repE0EEENS1_30default_config_static_selectorELNS0_4arch9wavefront6targetE1EEEvT1_
	.p2align	8
	.type	_ZN7rocprim17ROCPRIM_400000_NS6detail17trampoline_kernelINS0_14default_configENS1_27scan_by_key_config_selectorIjjEEZZNS1_16scan_by_key_implILNS1_25lookback_scan_determinismE0ELb0ES3_N6thrust23THRUST_200600_302600_NS6detail15normal_iteratorINS9_10device_ptrIjEEEESE_SE_jNS9_4plusIvEENS9_8equal_toIvEEjEE10hipError_tPvRmT2_T3_T4_T5_mT6_T7_P12ihipStream_tbENKUlT_T0_E_clISt17integral_constantIbLb1EESZ_EEDaSU_SV_EUlSU_E_NS1_11comp_targetILNS1_3genE4ELNS1_11target_archE910ELNS1_3gpuE8ELNS1_3repE0EEENS1_30default_config_static_selectorELNS0_4arch9wavefront6targetE1EEEvT1_,@function
_ZN7rocprim17ROCPRIM_400000_NS6detail17trampoline_kernelINS0_14default_configENS1_27scan_by_key_config_selectorIjjEEZZNS1_16scan_by_key_implILNS1_25lookback_scan_determinismE0ELb0ES3_N6thrust23THRUST_200600_302600_NS6detail15normal_iteratorINS9_10device_ptrIjEEEESE_SE_jNS9_4plusIvEENS9_8equal_toIvEEjEE10hipError_tPvRmT2_T3_T4_T5_mT6_T7_P12ihipStream_tbENKUlT_T0_E_clISt17integral_constantIbLb1EESZ_EEDaSU_SV_EUlSU_E_NS1_11comp_targetILNS1_3genE4ELNS1_11target_archE910ELNS1_3gpuE8ELNS1_3repE0EEENS1_30default_config_static_selectorELNS0_4arch9wavefront6targetE1EEEvT1_: ; @_ZN7rocprim17ROCPRIM_400000_NS6detail17trampoline_kernelINS0_14default_configENS1_27scan_by_key_config_selectorIjjEEZZNS1_16scan_by_key_implILNS1_25lookback_scan_determinismE0ELb0ES3_N6thrust23THRUST_200600_302600_NS6detail15normal_iteratorINS9_10device_ptrIjEEEESE_SE_jNS9_4plusIvEENS9_8equal_toIvEEjEE10hipError_tPvRmT2_T3_T4_T5_mT6_T7_P12ihipStream_tbENKUlT_T0_E_clISt17integral_constantIbLb1EESZ_EEDaSU_SV_EUlSU_E_NS1_11comp_targetILNS1_3genE4ELNS1_11target_archE910ELNS1_3gpuE8ELNS1_3repE0EEENS1_30default_config_static_selectorELNS0_4arch9wavefront6targetE1EEEvT1_
; %bb.0:
	.section	.rodata,"a",@progbits
	.p2align	6, 0x0
	.amdhsa_kernel _ZN7rocprim17ROCPRIM_400000_NS6detail17trampoline_kernelINS0_14default_configENS1_27scan_by_key_config_selectorIjjEEZZNS1_16scan_by_key_implILNS1_25lookback_scan_determinismE0ELb0ES3_N6thrust23THRUST_200600_302600_NS6detail15normal_iteratorINS9_10device_ptrIjEEEESE_SE_jNS9_4plusIvEENS9_8equal_toIvEEjEE10hipError_tPvRmT2_T3_T4_T5_mT6_T7_P12ihipStream_tbENKUlT_T0_E_clISt17integral_constantIbLb1EESZ_EEDaSU_SV_EUlSU_E_NS1_11comp_targetILNS1_3genE4ELNS1_11target_archE910ELNS1_3gpuE8ELNS1_3repE0EEENS1_30default_config_static_selectorELNS0_4arch9wavefront6targetE1EEEvT1_
		.amdhsa_group_segment_fixed_size 0
		.amdhsa_private_segment_fixed_size 0
		.amdhsa_kernarg_size 112
		.amdhsa_user_sgpr_count 2
		.amdhsa_user_sgpr_dispatch_ptr 0
		.amdhsa_user_sgpr_queue_ptr 0
		.amdhsa_user_sgpr_kernarg_segment_ptr 1
		.amdhsa_user_sgpr_dispatch_id 0
		.amdhsa_user_sgpr_kernarg_preload_length 0
		.amdhsa_user_sgpr_kernarg_preload_offset 0
		.amdhsa_user_sgpr_private_segment_size 0
		.amdhsa_uses_dynamic_stack 0
		.amdhsa_enable_private_segment 0
		.amdhsa_system_sgpr_workgroup_id_x 1
		.amdhsa_system_sgpr_workgroup_id_y 0
		.amdhsa_system_sgpr_workgroup_id_z 0
		.amdhsa_system_sgpr_workgroup_info 0
		.amdhsa_system_vgpr_workitem_id 0
		.amdhsa_next_free_vgpr 1
		.amdhsa_next_free_sgpr 0
		.amdhsa_accum_offset 4
		.amdhsa_reserve_vcc 0
		.amdhsa_float_round_mode_32 0
		.amdhsa_float_round_mode_16_64 0
		.amdhsa_float_denorm_mode_32 3
		.amdhsa_float_denorm_mode_16_64 3
		.amdhsa_dx10_clamp 1
		.amdhsa_ieee_mode 1
		.amdhsa_fp16_overflow 0
		.amdhsa_tg_split 0
		.amdhsa_exception_fp_ieee_invalid_op 0
		.amdhsa_exception_fp_denorm_src 0
		.amdhsa_exception_fp_ieee_div_zero 0
		.amdhsa_exception_fp_ieee_overflow 0
		.amdhsa_exception_fp_ieee_underflow 0
		.amdhsa_exception_fp_ieee_inexact 0
		.amdhsa_exception_int_div_zero 0
	.end_amdhsa_kernel
	.section	.text._ZN7rocprim17ROCPRIM_400000_NS6detail17trampoline_kernelINS0_14default_configENS1_27scan_by_key_config_selectorIjjEEZZNS1_16scan_by_key_implILNS1_25lookback_scan_determinismE0ELb0ES3_N6thrust23THRUST_200600_302600_NS6detail15normal_iteratorINS9_10device_ptrIjEEEESE_SE_jNS9_4plusIvEENS9_8equal_toIvEEjEE10hipError_tPvRmT2_T3_T4_T5_mT6_T7_P12ihipStream_tbENKUlT_T0_E_clISt17integral_constantIbLb1EESZ_EEDaSU_SV_EUlSU_E_NS1_11comp_targetILNS1_3genE4ELNS1_11target_archE910ELNS1_3gpuE8ELNS1_3repE0EEENS1_30default_config_static_selectorELNS0_4arch9wavefront6targetE1EEEvT1_,"axG",@progbits,_ZN7rocprim17ROCPRIM_400000_NS6detail17trampoline_kernelINS0_14default_configENS1_27scan_by_key_config_selectorIjjEEZZNS1_16scan_by_key_implILNS1_25lookback_scan_determinismE0ELb0ES3_N6thrust23THRUST_200600_302600_NS6detail15normal_iteratorINS9_10device_ptrIjEEEESE_SE_jNS9_4plusIvEENS9_8equal_toIvEEjEE10hipError_tPvRmT2_T3_T4_T5_mT6_T7_P12ihipStream_tbENKUlT_T0_E_clISt17integral_constantIbLb1EESZ_EEDaSU_SV_EUlSU_E_NS1_11comp_targetILNS1_3genE4ELNS1_11target_archE910ELNS1_3gpuE8ELNS1_3repE0EEENS1_30default_config_static_selectorELNS0_4arch9wavefront6targetE1EEEvT1_,comdat
.Lfunc_end1839:
	.size	_ZN7rocprim17ROCPRIM_400000_NS6detail17trampoline_kernelINS0_14default_configENS1_27scan_by_key_config_selectorIjjEEZZNS1_16scan_by_key_implILNS1_25lookback_scan_determinismE0ELb0ES3_N6thrust23THRUST_200600_302600_NS6detail15normal_iteratorINS9_10device_ptrIjEEEESE_SE_jNS9_4plusIvEENS9_8equal_toIvEEjEE10hipError_tPvRmT2_T3_T4_T5_mT6_T7_P12ihipStream_tbENKUlT_T0_E_clISt17integral_constantIbLb1EESZ_EEDaSU_SV_EUlSU_E_NS1_11comp_targetILNS1_3genE4ELNS1_11target_archE910ELNS1_3gpuE8ELNS1_3repE0EEENS1_30default_config_static_selectorELNS0_4arch9wavefront6targetE1EEEvT1_, .Lfunc_end1839-_ZN7rocprim17ROCPRIM_400000_NS6detail17trampoline_kernelINS0_14default_configENS1_27scan_by_key_config_selectorIjjEEZZNS1_16scan_by_key_implILNS1_25lookback_scan_determinismE0ELb0ES3_N6thrust23THRUST_200600_302600_NS6detail15normal_iteratorINS9_10device_ptrIjEEEESE_SE_jNS9_4plusIvEENS9_8equal_toIvEEjEE10hipError_tPvRmT2_T3_T4_T5_mT6_T7_P12ihipStream_tbENKUlT_T0_E_clISt17integral_constantIbLb1EESZ_EEDaSU_SV_EUlSU_E_NS1_11comp_targetILNS1_3genE4ELNS1_11target_archE910ELNS1_3gpuE8ELNS1_3repE0EEENS1_30default_config_static_selectorELNS0_4arch9wavefront6targetE1EEEvT1_
                                        ; -- End function
	.section	.AMDGPU.csdata,"",@progbits
; Kernel info:
; codeLenInByte = 0
; NumSgprs: 6
; NumVgprs: 0
; NumAgprs: 0
; TotalNumVgprs: 0
; ScratchSize: 0
; MemoryBound: 0
; FloatMode: 240
; IeeeMode: 1
; LDSByteSize: 0 bytes/workgroup (compile time only)
; SGPRBlocks: 0
; VGPRBlocks: 0
; NumSGPRsForWavesPerEU: 6
; NumVGPRsForWavesPerEU: 1
; AccumOffset: 4
; Occupancy: 8
; WaveLimiterHint : 0
; COMPUTE_PGM_RSRC2:SCRATCH_EN: 0
; COMPUTE_PGM_RSRC2:USER_SGPR: 2
; COMPUTE_PGM_RSRC2:TRAP_HANDLER: 0
; COMPUTE_PGM_RSRC2:TGID_X_EN: 1
; COMPUTE_PGM_RSRC2:TGID_Y_EN: 0
; COMPUTE_PGM_RSRC2:TGID_Z_EN: 0
; COMPUTE_PGM_RSRC2:TIDIG_COMP_CNT: 0
; COMPUTE_PGM_RSRC3_GFX90A:ACCUM_OFFSET: 0
; COMPUTE_PGM_RSRC3_GFX90A:TG_SPLIT: 0
	.section	.text._ZN7rocprim17ROCPRIM_400000_NS6detail17trampoline_kernelINS0_14default_configENS1_27scan_by_key_config_selectorIjjEEZZNS1_16scan_by_key_implILNS1_25lookback_scan_determinismE0ELb0ES3_N6thrust23THRUST_200600_302600_NS6detail15normal_iteratorINS9_10device_ptrIjEEEESE_SE_jNS9_4plusIvEENS9_8equal_toIvEEjEE10hipError_tPvRmT2_T3_T4_T5_mT6_T7_P12ihipStream_tbENKUlT_T0_E_clISt17integral_constantIbLb1EESZ_EEDaSU_SV_EUlSU_E_NS1_11comp_targetILNS1_3genE3ELNS1_11target_archE908ELNS1_3gpuE7ELNS1_3repE0EEENS1_30default_config_static_selectorELNS0_4arch9wavefront6targetE1EEEvT1_,"axG",@progbits,_ZN7rocprim17ROCPRIM_400000_NS6detail17trampoline_kernelINS0_14default_configENS1_27scan_by_key_config_selectorIjjEEZZNS1_16scan_by_key_implILNS1_25lookback_scan_determinismE0ELb0ES3_N6thrust23THRUST_200600_302600_NS6detail15normal_iteratorINS9_10device_ptrIjEEEESE_SE_jNS9_4plusIvEENS9_8equal_toIvEEjEE10hipError_tPvRmT2_T3_T4_T5_mT6_T7_P12ihipStream_tbENKUlT_T0_E_clISt17integral_constantIbLb1EESZ_EEDaSU_SV_EUlSU_E_NS1_11comp_targetILNS1_3genE3ELNS1_11target_archE908ELNS1_3gpuE7ELNS1_3repE0EEENS1_30default_config_static_selectorELNS0_4arch9wavefront6targetE1EEEvT1_,comdat
	.protected	_ZN7rocprim17ROCPRIM_400000_NS6detail17trampoline_kernelINS0_14default_configENS1_27scan_by_key_config_selectorIjjEEZZNS1_16scan_by_key_implILNS1_25lookback_scan_determinismE0ELb0ES3_N6thrust23THRUST_200600_302600_NS6detail15normal_iteratorINS9_10device_ptrIjEEEESE_SE_jNS9_4plusIvEENS9_8equal_toIvEEjEE10hipError_tPvRmT2_T3_T4_T5_mT6_T7_P12ihipStream_tbENKUlT_T0_E_clISt17integral_constantIbLb1EESZ_EEDaSU_SV_EUlSU_E_NS1_11comp_targetILNS1_3genE3ELNS1_11target_archE908ELNS1_3gpuE7ELNS1_3repE0EEENS1_30default_config_static_selectorELNS0_4arch9wavefront6targetE1EEEvT1_ ; -- Begin function _ZN7rocprim17ROCPRIM_400000_NS6detail17trampoline_kernelINS0_14default_configENS1_27scan_by_key_config_selectorIjjEEZZNS1_16scan_by_key_implILNS1_25lookback_scan_determinismE0ELb0ES3_N6thrust23THRUST_200600_302600_NS6detail15normal_iteratorINS9_10device_ptrIjEEEESE_SE_jNS9_4plusIvEENS9_8equal_toIvEEjEE10hipError_tPvRmT2_T3_T4_T5_mT6_T7_P12ihipStream_tbENKUlT_T0_E_clISt17integral_constantIbLb1EESZ_EEDaSU_SV_EUlSU_E_NS1_11comp_targetILNS1_3genE3ELNS1_11target_archE908ELNS1_3gpuE7ELNS1_3repE0EEENS1_30default_config_static_selectorELNS0_4arch9wavefront6targetE1EEEvT1_
	.globl	_ZN7rocprim17ROCPRIM_400000_NS6detail17trampoline_kernelINS0_14default_configENS1_27scan_by_key_config_selectorIjjEEZZNS1_16scan_by_key_implILNS1_25lookback_scan_determinismE0ELb0ES3_N6thrust23THRUST_200600_302600_NS6detail15normal_iteratorINS9_10device_ptrIjEEEESE_SE_jNS9_4plusIvEENS9_8equal_toIvEEjEE10hipError_tPvRmT2_T3_T4_T5_mT6_T7_P12ihipStream_tbENKUlT_T0_E_clISt17integral_constantIbLb1EESZ_EEDaSU_SV_EUlSU_E_NS1_11comp_targetILNS1_3genE3ELNS1_11target_archE908ELNS1_3gpuE7ELNS1_3repE0EEENS1_30default_config_static_selectorELNS0_4arch9wavefront6targetE1EEEvT1_
	.p2align	8
	.type	_ZN7rocprim17ROCPRIM_400000_NS6detail17trampoline_kernelINS0_14default_configENS1_27scan_by_key_config_selectorIjjEEZZNS1_16scan_by_key_implILNS1_25lookback_scan_determinismE0ELb0ES3_N6thrust23THRUST_200600_302600_NS6detail15normal_iteratorINS9_10device_ptrIjEEEESE_SE_jNS9_4plusIvEENS9_8equal_toIvEEjEE10hipError_tPvRmT2_T3_T4_T5_mT6_T7_P12ihipStream_tbENKUlT_T0_E_clISt17integral_constantIbLb1EESZ_EEDaSU_SV_EUlSU_E_NS1_11comp_targetILNS1_3genE3ELNS1_11target_archE908ELNS1_3gpuE7ELNS1_3repE0EEENS1_30default_config_static_selectorELNS0_4arch9wavefront6targetE1EEEvT1_,@function
_ZN7rocprim17ROCPRIM_400000_NS6detail17trampoline_kernelINS0_14default_configENS1_27scan_by_key_config_selectorIjjEEZZNS1_16scan_by_key_implILNS1_25lookback_scan_determinismE0ELb0ES3_N6thrust23THRUST_200600_302600_NS6detail15normal_iteratorINS9_10device_ptrIjEEEESE_SE_jNS9_4plusIvEENS9_8equal_toIvEEjEE10hipError_tPvRmT2_T3_T4_T5_mT6_T7_P12ihipStream_tbENKUlT_T0_E_clISt17integral_constantIbLb1EESZ_EEDaSU_SV_EUlSU_E_NS1_11comp_targetILNS1_3genE3ELNS1_11target_archE908ELNS1_3gpuE7ELNS1_3repE0EEENS1_30default_config_static_selectorELNS0_4arch9wavefront6targetE1EEEvT1_: ; @_ZN7rocprim17ROCPRIM_400000_NS6detail17trampoline_kernelINS0_14default_configENS1_27scan_by_key_config_selectorIjjEEZZNS1_16scan_by_key_implILNS1_25lookback_scan_determinismE0ELb0ES3_N6thrust23THRUST_200600_302600_NS6detail15normal_iteratorINS9_10device_ptrIjEEEESE_SE_jNS9_4plusIvEENS9_8equal_toIvEEjEE10hipError_tPvRmT2_T3_T4_T5_mT6_T7_P12ihipStream_tbENKUlT_T0_E_clISt17integral_constantIbLb1EESZ_EEDaSU_SV_EUlSU_E_NS1_11comp_targetILNS1_3genE3ELNS1_11target_archE908ELNS1_3gpuE7ELNS1_3repE0EEENS1_30default_config_static_selectorELNS0_4arch9wavefront6targetE1EEEvT1_
; %bb.0:
	.section	.rodata,"a",@progbits
	.p2align	6, 0x0
	.amdhsa_kernel _ZN7rocprim17ROCPRIM_400000_NS6detail17trampoline_kernelINS0_14default_configENS1_27scan_by_key_config_selectorIjjEEZZNS1_16scan_by_key_implILNS1_25lookback_scan_determinismE0ELb0ES3_N6thrust23THRUST_200600_302600_NS6detail15normal_iteratorINS9_10device_ptrIjEEEESE_SE_jNS9_4plusIvEENS9_8equal_toIvEEjEE10hipError_tPvRmT2_T3_T4_T5_mT6_T7_P12ihipStream_tbENKUlT_T0_E_clISt17integral_constantIbLb1EESZ_EEDaSU_SV_EUlSU_E_NS1_11comp_targetILNS1_3genE3ELNS1_11target_archE908ELNS1_3gpuE7ELNS1_3repE0EEENS1_30default_config_static_selectorELNS0_4arch9wavefront6targetE1EEEvT1_
		.amdhsa_group_segment_fixed_size 0
		.amdhsa_private_segment_fixed_size 0
		.amdhsa_kernarg_size 112
		.amdhsa_user_sgpr_count 2
		.amdhsa_user_sgpr_dispatch_ptr 0
		.amdhsa_user_sgpr_queue_ptr 0
		.amdhsa_user_sgpr_kernarg_segment_ptr 1
		.amdhsa_user_sgpr_dispatch_id 0
		.amdhsa_user_sgpr_kernarg_preload_length 0
		.amdhsa_user_sgpr_kernarg_preload_offset 0
		.amdhsa_user_sgpr_private_segment_size 0
		.amdhsa_uses_dynamic_stack 0
		.amdhsa_enable_private_segment 0
		.amdhsa_system_sgpr_workgroup_id_x 1
		.amdhsa_system_sgpr_workgroup_id_y 0
		.amdhsa_system_sgpr_workgroup_id_z 0
		.amdhsa_system_sgpr_workgroup_info 0
		.amdhsa_system_vgpr_workitem_id 0
		.amdhsa_next_free_vgpr 1
		.amdhsa_next_free_sgpr 0
		.amdhsa_accum_offset 4
		.amdhsa_reserve_vcc 0
		.amdhsa_float_round_mode_32 0
		.amdhsa_float_round_mode_16_64 0
		.amdhsa_float_denorm_mode_32 3
		.amdhsa_float_denorm_mode_16_64 3
		.amdhsa_dx10_clamp 1
		.amdhsa_ieee_mode 1
		.amdhsa_fp16_overflow 0
		.amdhsa_tg_split 0
		.amdhsa_exception_fp_ieee_invalid_op 0
		.amdhsa_exception_fp_denorm_src 0
		.amdhsa_exception_fp_ieee_div_zero 0
		.amdhsa_exception_fp_ieee_overflow 0
		.amdhsa_exception_fp_ieee_underflow 0
		.amdhsa_exception_fp_ieee_inexact 0
		.amdhsa_exception_int_div_zero 0
	.end_amdhsa_kernel
	.section	.text._ZN7rocprim17ROCPRIM_400000_NS6detail17trampoline_kernelINS0_14default_configENS1_27scan_by_key_config_selectorIjjEEZZNS1_16scan_by_key_implILNS1_25lookback_scan_determinismE0ELb0ES3_N6thrust23THRUST_200600_302600_NS6detail15normal_iteratorINS9_10device_ptrIjEEEESE_SE_jNS9_4plusIvEENS9_8equal_toIvEEjEE10hipError_tPvRmT2_T3_T4_T5_mT6_T7_P12ihipStream_tbENKUlT_T0_E_clISt17integral_constantIbLb1EESZ_EEDaSU_SV_EUlSU_E_NS1_11comp_targetILNS1_3genE3ELNS1_11target_archE908ELNS1_3gpuE7ELNS1_3repE0EEENS1_30default_config_static_selectorELNS0_4arch9wavefront6targetE1EEEvT1_,"axG",@progbits,_ZN7rocprim17ROCPRIM_400000_NS6detail17trampoline_kernelINS0_14default_configENS1_27scan_by_key_config_selectorIjjEEZZNS1_16scan_by_key_implILNS1_25lookback_scan_determinismE0ELb0ES3_N6thrust23THRUST_200600_302600_NS6detail15normal_iteratorINS9_10device_ptrIjEEEESE_SE_jNS9_4plusIvEENS9_8equal_toIvEEjEE10hipError_tPvRmT2_T3_T4_T5_mT6_T7_P12ihipStream_tbENKUlT_T0_E_clISt17integral_constantIbLb1EESZ_EEDaSU_SV_EUlSU_E_NS1_11comp_targetILNS1_3genE3ELNS1_11target_archE908ELNS1_3gpuE7ELNS1_3repE0EEENS1_30default_config_static_selectorELNS0_4arch9wavefront6targetE1EEEvT1_,comdat
.Lfunc_end1840:
	.size	_ZN7rocprim17ROCPRIM_400000_NS6detail17trampoline_kernelINS0_14default_configENS1_27scan_by_key_config_selectorIjjEEZZNS1_16scan_by_key_implILNS1_25lookback_scan_determinismE0ELb0ES3_N6thrust23THRUST_200600_302600_NS6detail15normal_iteratorINS9_10device_ptrIjEEEESE_SE_jNS9_4plusIvEENS9_8equal_toIvEEjEE10hipError_tPvRmT2_T3_T4_T5_mT6_T7_P12ihipStream_tbENKUlT_T0_E_clISt17integral_constantIbLb1EESZ_EEDaSU_SV_EUlSU_E_NS1_11comp_targetILNS1_3genE3ELNS1_11target_archE908ELNS1_3gpuE7ELNS1_3repE0EEENS1_30default_config_static_selectorELNS0_4arch9wavefront6targetE1EEEvT1_, .Lfunc_end1840-_ZN7rocprim17ROCPRIM_400000_NS6detail17trampoline_kernelINS0_14default_configENS1_27scan_by_key_config_selectorIjjEEZZNS1_16scan_by_key_implILNS1_25lookback_scan_determinismE0ELb0ES3_N6thrust23THRUST_200600_302600_NS6detail15normal_iteratorINS9_10device_ptrIjEEEESE_SE_jNS9_4plusIvEENS9_8equal_toIvEEjEE10hipError_tPvRmT2_T3_T4_T5_mT6_T7_P12ihipStream_tbENKUlT_T0_E_clISt17integral_constantIbLb1EESZ_EEDaSU_SV_EUlSU_E_NS1_11comp_targetILNS1_3genE3ELNS1_11target_archE908ELNS1_3gpuE7ELNS1_3repE0EEENS1_30default_config_static_selectorELNS0_4arch9wavefront6targetE1EEEvT1_
                                        ; -- End function
	.section	.AMDGPU.csdata,"",@progbits
; Kernel info:
; codeLenInByte = 0
; NumSgprs: 6
; NumVgprs: 0
; NumAgprs: 0
; TotalNumVgprs: 0
; ScratchSize: 0
; MemoryBound: 0
; FloatMode: 240
; IeeeMode: 1
; LDSByteSize: 0 bytes/workgroup (compile time only)
; SGPRBlocks: 0
; VGPRBlocks: 0
; NumSGPRsForWavesPerEU: 6
; NumVGPRsForWavesPerEU: 1
; AccumOffset: 4
; Occupancy: 8
; WaveLimiterHint : 0
; COMPUTE_PGM_RSRC2:SCRATCH_EN: 0
; COMPUTE_PGM_RSRC2:USER_SGPR: 2
; COMPUTE_PGM_RSRC2:TRAP_HANDLER: 0
; COMPUTE_PGM_RSRC2:TGID_X_EN: 1
; COMPUTE_PGM_RSRC2:TGID_Y_EN: 0
; COMPUTE_PGM_RSRC2:TGID_Z_EN: 0
; COMPUTE_PGM_RSRC2:TIDIG_COMP_CNT: 0
; COMPUTE_PGM_RSRC3_GFX90A:ACCUM_OFFSET: 0
; COMPUTE_PGM_RSRC3_GFX90A:TG_SPLIT: 0
	.section	.text._ZN7rocprim17ROCPRIM_400000_NS6detail17trampoline_kernelINS0_14default_configENS1_27scan_by_key_config_selectorIjjEEZZNS1_16scan_by_key_implILNS1_25lookback_scan_determinismE0ELb0ES3_N6thrust23THRUST_200600_302600_NS6detail15normal_iteratorINS9_10device_ptrIjEEEESE_SE_jNS9_4plusIvEENS9_8equal_toIvEEjEE10hipError_tPvRmT2_T3_T4_T5_mT6_T7_P12ihipStream_tbENKUlT_T0_E_clISt17integral_constantIbLb1EESZ_EEDaSU_SV_EUlSU_E_NS1_11comp_targetILNS1_3genE2ELNS1_11target_archE906ELNS1_3gpuE6ELNS1_3repE0EEENS1_30default_config_static_selectorELNS0_4arch9wavefront6targetE1EEEvT1_,"axG",@progbits,_ZN7rocprim17ROCPRIM_400000_NS6detail17trampoline_kernelINS0_14default_configENS1_27scan_by_key_config_selectorIjjEEZZNS1_16scan_by_key_implILNS1_25lookback_scan_determinismE0ELb0ES3_N6thrust23THRUST_200600_302600_NS6detail15normal_iteratorINS9_10device_ptrIjEEEESE_SE_jNS9_4plusIvEENS9_8equal_toIvEEjEE10hipError_tPvRmT2_T3_T4_T5_mT6_T7_P12ihipStream_tbENKUlT_T0_E_clISt17integral_constantIbLb1EESZ_EEDaSU_SV_EUlSU_E_NS1_11comp_targetILNS1_3genE2ELNS1_11target_archE906ELNS1_3gpuE6ELNS1_3repE0EEENS1_30default_config_static_selectorELNS0_4arch9wavefront6targetE1EEEvT1_,comdat
	.protected	_ZN7rocprim17ROCPRIM_400000_NS6detail17trampoline_kernelINS0_14default_configENS1_27scan_by_key_config_selectorIjjEEZZNS1_16scan_by_key_implILNS1_25lookback_scan_determinismE0ELb0ES3_N6thrust23THRUST_200600_302600_NS6detail15normal_iteratorINS9_10device_ptrIjEEEESE_SE_jNS9_4plusIvEENS9_8equal_toIvEEjEE10hipError_tPvRmT2_T3_T4_T5_mT6_T7_P12ihipStream_tbENKUlT_T0_E_clISt17integral_constantIbLb1EESZ_EEDaSU_SV_EUlSU_E_NS1_11comp_targetILNS1_3genE2ELNS1_11target_archE906ELNS1_3gpuE6ELNS1_3repE0EEENS1_30default_config_static_selectorELNS0_4arch9wavefront6targetE1EEEvT1_ ; -- Begin function _ZN7rocprim17ROCPRIM_400000_NS6detail17trampoline_kernelINS0_14default_configENS1_27scan_by_key_config_selectorIjjEEZZNS1_16scan_by_key_implILNS1_25lookback_scan_determinismE0ELb0ES3_N6thrust23THRUST_200600_302600_NS6detail15normal_iteratorINS9_10device_ptrIjEEEESE_SE_jNS9_4plusIvEENS9_8equal_toIvEEjEE10hipError_tPvRmT2_T3_T4_T5_mT6_T7_P12ihipStream_tbENKUlT_T0_E_clISt17integral_constantIbLb1EESZ_EEDaSU_SV_EUlSU_E_NS1_11comp_targetILNS1_3genE2ELNS1_11target_archE906ELNS1_3gpuE6ELNS1_3repE0EEENS1_30default_config_static_selectorELNS0_4arch9wavefront6targetE1EEEvT1_
	.globl	_ZN7rocprim17ROCPRIM_400000_NS6detail17trampoline_kernelINS0_14default_configENS1_27scan_by_key_config_selectorIjjEEZZNS1_16scan_by_key_implILNS1_25lookback_scan_determinismE0ELb0ES3_N6thrust23THRUST_200600_302600_NS6detail15normal_iteratorINS9_10device_ptrIjEEEESE_SE_jNS9_4plusIvEENS9_8equal_toIvEEjEE10hipError_tPvRmT2_T3_T4_T5_mT6_T7_P12ihipStream_tbENKUlT_T0_E_clISt17integral_constantIbLb1EESZ_EEDaSU_SV_EUlSU_E_NS1_11comp_targetILNS1_3genE2ELNS1_11target_archE906ELNS1_3gpuE6ELNS1_3repE0EEENS1_30default_config_static_selectorELNS0_4arch9wavefront6targetE1EEEvT1_
	.p2align	8
	.type	_ZN7rocprim17ROCPRIM_400000_NS6detail17trampoline_kernelINS0_14default_configENS1_27scan_by_key_config_selectorIjjEEZZNS1_16scan_by_key_implILNS1_25lookback_scan_determinismE0ELb0ES3_N6thrust23THRUST_200600_302600_NS6detail15normal_iteratorINS9_10device_ptrIjEEEESE_SE_jNS9_4plusIvEENS9_8equal_toIvEEjEE10hipError_tPvRmT2_T3_T4_T5_mT6_T7_P12ihipStream_tbENKUlT_T0_E_clISt17integral_constantIbLb1EESZ_EEDaSU_SV_EUlSU_E_NS1_11comp_targetILNS1_3genE2ELNS1_11target_archE906ELNS1_3gpuE6ELNS1_3repE0EEENS1_30default_config_static_selectorELNS0_4arch9wavefront6targetE1EEEvT1_,@function
_ZN7rocprim17ROCPRIM_400000_NS6detail17trampoline_kernelINS0_14default_configENS1_27scan_by_key_config_selectorIjjEEZZNS1_16scan_by_key_implILNS1_25lookback_scan_determinismE0ELb0ES3_N6thrust23THRUST_200600_302600_NS6detail15normal_iteratorINS9_10device_ptrIjEEEESE_SE_jNS9_4plusIvEENS9_8equal_toIvEEjEE10hipError_tPvRmT2_T3_T4_T5_mT6_T7_P12ihipStream_tbENKUlT_T0_E_clISt17integral_constantIbLb1EESZ_EEDaSU_SV_EUlSU_E_NS1_11comp_targetILNS1_3genE2ELNS1_11target_archE906ELNS1_3gpuE6ELNS1_3repE0EEENS1_30default_config_static_selectorELNS0_4arch9wavefront6targetE1EEEvT1_: ; @_ZN7rocprim17ROCPRIM_400000_NS6detail17trampoline_kernelINS0_14default_configENS1_27scan_by_key_config_selectorIjjEEZZNS1_16scan_by_key_implILNS1_25lookback_scan_determinismE0ELb0ES3_N6thrust23THRUST_200600_302600_NS6detail15normal_iteratorINS9_10device_ptrIjEEEESE_SE_jNS9_4plusIvEENS9_8equal_toIvEEjEE10hipError_tPvRmT2_T3_T4_T5_mT6_T7_P12ihipStream_tbENKUlT_T0_E_clISt17integral_constantIbLb1EESZ_EEDaSU_SV_EUlSU_E_NS1_11comp_targetILNS1_3genE2ELNS1_11target_archE906ELNS1_3gpuE6ELNS1_3repE0EEENS1_30default_config_static_selectorELNS0_4arch9wavefront6targetE1EEEvT1_
; %bb.0:
	.section	.rodata,"a",@progbits
	.p2align	6, 0x0
	.amdhsa_kernel _ZN7rocprim17ROCPRIM_400000_NS6detail17trampoline_kernelINS0_14default_configENS1_27scan_by_key_config_selectorIjjEEZZNS1_16scan_by_key_implILNS1_25lookback_scan_determinismE0ELb0ES3_N6thrust23THRUST_200600_302600_NS6detail15normal_iteratorINS9_10device_ptrIjEEEESE_SE_jNS9_4plusIvEENS9_8equal_toIvEEjEE10hipError_tPvRmT2_T3_T4_T5_mT6_T7_P12ihipStream_tbENKUlT_T0_E_clISt17integral_constantIbLb1EESZ_EEDaSU_SV_EUlSU_E_NS1_11comp_targetILNS1_3genE2ELNS1_11target_archE906ELNS1_3gpuE6ELNS1_3repE0EEENS1_30default_config_static_selectorELNS0_4arch9wavefront6targetE1EEEvT1_
		.amdhsa_group_segment_fixed_size 0
		.amdhsa_private_segment_fixed_size 0
		.amdhsa_kernarg_size 112
		.amdhsa_user_sgpr_count 2
		.amdhsa_user_sgpr_dispatch_ptr 0
		.amdhsa_user_sgpr_queue_ptr 0
		.amdhsa_user_sgpr_kernarg_segment_ptr 1
		.amdhsa_user_sgpr_dispatch_id 0
		.amdhsa_user_sgpr_kernarg_preload_length 0
		.amdhsa_user_sgpr_kernarg_preload_offset 0
		.amdhsa_user_sgpr_private_segment_size 0
		.amdhsa_uses_dynamic_stack 0
		.amdhsa_enable_private_segment 0
		.amdhsa_system_sgpr_workgroup_id_x 1
		.amdhsa_system_sgpr_workgroup_id_y 0
		.amdhsa_system_sgpr_workgroup_id_z 0
		.amdhsa_system_sgpr_workgroup_info 0
		.amdhsa_system_vgpr_workitem_id 0
		.amdhsa_next_free_vgpr 1
		.amdhsa_next_free_sgpr 0
		.amdhsa_accum_offset 4
		.amdhsa_reserve_vcc 0
		.amdhsa_float_round_mode_32 0
		.amdhsa_float_round_mode_16_64 0
		.amdhsa_float_denorm_mode_32 3
		.amdhsa_float_denorm_mode_16_64 3
		.amdhsa_dx10_clamp 1
		.amdhsa_ieee_mode 1
		.amdhsa_fp16_overflow 0
		.amdhsa_tg_split 0
		.amdhsa_exception_fp_ieee_invalid_op 0
		.amdhsa_exception_fp_denorm_src 0
		.amdhsa_exception_fp_ieee_div_zero 0
		.amdhsa_exception_fp_ieee_overflow 0
		.amdhsa_exception_fp_ieee_underflow 0
		.amdhsa_exception_fp_ieee_inexact 0
		.amdhsa_exception_int_div_zero 0
	.end_amdhsa_kernel
	.section	.text._ZN7rocprim17ROCPRIM_400000_NS6detail17trampoline_kernelINS0_14default_configENS1_27scan_by_key_config_selectorIjjEEZZNS1_16scan_by_key_implILNS1_25lookback_scan_determinismE0ELb0ES3_N6thrust23THRUST_200600_302600_NS6detail15normal_iteratorINS9_10device_ptrIjEEEESE_SE_jNS9_4plusIvEENS9_8equal_toIvEEjEE10hipError_tPvRmT2_T3_T4_T5_mT6_T7_P12ihipStream_tbENKUlT_T0_E_clISt17integral_constantIbLb1EESZ_EEDaSU_SV_EUlSU_E_NS1_11comp_targetILNS1_3genE2ELNS1_11target_archE906ELNS1_3gpuE6ELNS1_3repE0EEENS1_30default_config_static_selectorELNS0_4arch9wavefront6targetE1EEEvT1_,"axG",@progbits,_ZN7rocprim17ROCPRIM_400000_NS6detail17trampoline_kernelINS0_14default_configENS1_27scan_by_key_config_selectorIjjEEZZNS1_16scan_by_key_implILNS1_25lookback_scan_determinismE0ELb0ES3_N6thrust23THRUST_200600_302600_NS6detail15normal_iteratorINS9_10device_ptrIjEEEESE_SE_jNS9_4plusIvEENS9_8equal_toIvEEjEE10hipError_tPvRmT2_T3_T4_T5_mT6_T7_P12ihipStream_tbENKUlT_T0_E_clISt17integral_constantIbLb1EESZ_EEDaSU_SV_EUlSU_E_NS1_11comp_targetILNS1_3genE2ELNS1_11target_archE906ELNS1_3gpuE6ELNS1_3repE0EEENS1_30default_config_static_selectorELNS0_4arch9wavefront6targetE1EEEvT1_,comdat
.Lfunc_end1841:
	.size	_ZN7rocprim17ROCPRIM_400000_NS6detail17trampoline_kernelINS0_14default_configENS1_27scan_by_key_config_selectorIjjEEZZNS1_16scan_by_key_implILNS1_25lookback_scan_determinismE0ELb0ES3_N6thrust23THRUST_200600_302600_NS6detail15normal_iteratorINS9_10device_ptrIjEEEESE_SE_jNS9_4plusIvEENS9_8equal_toIvEEjEE10hipError_tPvRmT2_T3_T4_T5_mT6_T7_P12ihipStream_tbENKUlT_T0_E_clISt17integral_constantIbLb1EESZ_EEDaSU_SV_EUlSU_E_NS1_11comp_targetILNS1_3genE2ELNS1_11target_archE906ELNS1_3gpuE6ELNS1_3repE0EEENS1_30default_config_static_selectorELNS0_4arch9wavefront6targetE1EEEvT1_, .Lfunc_end1841-_ZN7rocprim17ROCPRIM_400000_NS6detail17trampoline_kernelINS0_14default_configENS1_27scan_by_key_config_selectorIjjEEZZNS1_16scan_by_key_implILNS1_25lookback_scan_determinismE0ELb0ES3_N6thrust23THRUST_200600_302600_NS6detail15normal_iteratorINS9_10device_ptrIjEEEESE_SE_jNS9_4plusIvEENS9_8equal_toIvEEjEE10hipError_tPvRmT2_T3_T4_T5_mT6_T7_P12ihipStream_tbENKUlT_T0_E_clISt17integral_constantIbLb1EESZ_EEDaSU_SV_EUlSU_E_NS1_11comp_targetILNS1_3genE2ELNS1_11target_archE906ELNS1_3gpuE6ELNS1_3repE0EEENS1_30default_config_static_selectorELNS0_4arch9wavefront6targetE1EEEvT1_
                                        ; -- End function
	.section	.AMDGPU.csdata,"",@progbits
; Kernel info:
; codeLenInByte = 0
; NumSgprs: 6
; NumVgprs: 0
; NumAgprs: 0
; TotalNumVgprs: 0
; ScratchSize: 0
; MemoryBound: 0
; FloatMode: 240
; IeeeMode: 1
; LDSByteSize: 0 bytes/workgroup (compile time only)
; SGPRBlocks: 0
; VGPRBlocks: 0
; NumSGPRsForWavesPerEU: 6
; NumVGPRsForWavesPerEU: 1
; AccumOffset: 4
; Occupancy: 8
; WaveLimiterHint : 0
; COMPUTE_PGM_RSRC2:SCRATCH_EN: 0
; COMPUTE_PGM_RSRC2:USER_SGPR: 2
; COMPUTE_PGM_RSRC2:TRAP_HANDLER: 0
; COMPUTE_PGM_RSRC2:TGID_X_EN: 1
; COMPUTE_PGM_RSRC2:TGID_Y_EN: 0
; COMPUTE_PGM_RSRC2:TGID_Z_EN: 0
; COMPUTE_PGM_RSRC2:TIDIG_COMP_CNT: 0
; COMPUTE_PGM_RSRC3_GFX90A:ACCUM_OFFSET: 0
; COMPUTE_PGM_RSRC3_GFX90A:TG_SPLIT: 0
	.section	.text._ZN7rocprim17ROCPRIM_400000_NS6detail17trampoline_kernelINS0_14default_configENS1_27scan_by_key_config_selectorIjjEEZZNS1_16scan_by_key_implILNS1_25lookback_scan_determinismE0ELb0ES3_N6thrust23THRUST_200600_302600_NS6detail15normal_iteratorINS9_10device_ptrIjEEEESE_SE_jNS9_4plusIvEENS9_8equal_toIvEEjEE10hipError_tPvRmT2_T3_T4_T5_mT6_T7_P12ihipStream_tbENKUlT_T0_E_clISt17integral_constantIbLb1EESZ_EEDaSU_SV_EUlSU_E_NS1_11comp_targetILNS1_3genE10ELNS1_11target_archE1200ELNS1_3gpuE4ELNS1_3repE0EEENS1_30default_config_static_selectorELNS0_4arch9wavefront6targetE1EEEvT1_,"axG",@progbits,_ZN7rocprim17ROCPRIM_400000_NS6detail17trampoline_kernelINS0_14default_configENS1_27scan_by_key_config_selectorIjjEEZZNS1_16scan_by_key_implILNS1_25lookback_scan_determinismE0ELb0ES3_N6thrust23THRUST_200600_302600_NS6detail15normal_iteratorINS9_10device_ptrIjEEEESE_SE_jNS9_4plusIvEENS9_8equal_toIvEEjEE10hipError_tPvRmT2_T3_T4_T5_mT6_T7_P12ihipStream_tbENKUlT_T0_E_clISt17integral_constantIbLb1EESZ_EEDaSU_SV_EUlSU_E_NS1_11comp_targetILNS1_3genE10ELNS1_11target_archE1200ELNS1_3gpuE4ELNS1_3repE0EEENS1_30default_config_static_selectorELNS0_4arch9wavefront6targetE1EEEvT1_,comdat
	.protected	_ZN7rocprim17ROCPRIM_400000_NS6detail17trampoline_kernelINS0_14default_configENS1_27scan_by_key_config_selectorIjjEEZZNS1_16scan_by_key_implILNS1_25lookback_scan_determinismE0ELb0ES3_N6thrust23THRUST_200600_302600_NS6detail15normal_iteratorINS9_10device_ptrIjEEEESE_SE_jNS9_4plusIvEENS9_8equal_toIvEEjEE10hipError_tPvRmT2_T3_T4_T5_mT6_T7_P12ihipStream_tbENKUlT_T0_E_clISt17integral_constantIbLb1EESZ_EEDaSU_SV_EUlSU_E_NS1_11comp_targetILNS1_3genE10ELNS1_11target_archE1200ELNS1_3gpuE4ELNS1_3repE0EEENS1_30default_config_static_selectorELNS0_4arch9wavefront6targetE1EEEvT1_ ; -- Begin function _ZN7rocprim17ROCPRIM_400000_NS6detail17trampoline_kernelINS0_14default_configENS1_27scan_by_key_config_selectorIjjEEZZNS1_16scan_by_key_implILNS1_25lookback_scan_determinismE0ELb0ES3_N6thrust23THRUST_200600_302600_NS6detail15normal_iteratorINS9_10device_ptrIjEEEESE_SE_jNS9_4plusIvEENS9_8equal_toIvEEjEE10hipError_tPvRmT2_T3_T4_T5_mT6_T7_P12ihipStream_tbENKUlT_T0_E_clISt17integral_constantIbLb1EESZ_EEDaSU_SV_EUlSU_E_NS1_11comp_targetILNS1_3genE10ELNS1_11target_archE1200ELNS1_3gpuE4ELNS1_3repE0EEENS1_30default_config_static_selectorELNS0_4arch9wavefront6targetE1EEEvT1_
	.globl	_ZN7rocprim17ROCPRIM_400000_NS6detail17trampoline_kernelINS0_14default_configENS1_27scan_by_key_config_selectorIjjEEZZNS1_16scan_by_key_implILNS1_25lookback_scan_determinismE0ELb0ES3_N6thrust23THRUST_200600_302600_NS6detail15normal_iteratorINS9_10device_ptrIjEEEESE_SE_jNS9_4plusIvEENS9_8equal_toIvEEjEE10hipError_tPvRmT2_T3_T4_T5_mT6_T7_P12ihipStream_tbENKUlT_T0_E_clISt17integral_constantIbLb1EESZ_EEDaSU_SV_EUlSU_E_NS1_11comp_targetILNS1_3genE10ELNS1_11target_archE1200ELNS1_3gpuE4ELNS1_3repE0EEENS1_30default_config_static_selectorELNS0_4arch9wavefront6targetE1EEEvT1_
	.p2align	8
	.type	_ZN7rocprim17ROCPRIM_400000_NS6detail17trampoline_kernelINS0_14default_configENS1_27scan_by_key_config_selectorIjjEEZZNS1_16scan_by_key_implILNS1_25lookback_scan_determinismE0ELb0ES3_N6thrust23THRUST_200600_302600_NS6detail15normal_iteratorINS9_10device_ptrIjEEEESE_SE_jNS9_4plusIvEENS9_8equal_toIvEEjEE10hipError_tPvRmT2_T3_T4_T5_mT6_T7_P12ihipStream_tbENKUlT_T0_E_clISt17integral_constantIbLb1EESZ_EEDaSU_SV_EUlSU_E_NS1_11comp_targetILNS1_3genE10ELNS1_11target_archE1200ELNS1_3gpuE4ELNS1_3repE0EEENS1_30default_config_static_selectorELNS0_4arch9wavefront6targetE1EEEvT1_,@function
_ZN7rocprim17ROCPRIM_400000_NS6detail17trampoline_kernelINS0_14default_configENS1_27scan_by_key_config_selectorIjjEEZZNS1_16scan_by_key_implILNS1_25lookback_scan_determinismE0ELb0ES3_N6thrust23THRUST_200600_302600_NS6detail15normal_iteratorINS9_10device_ptrIjEEEESE_SE_jNS9_4plusIvEENS9_8equal_toIvEEjEE10hipError_tPvRmT2_T3_T4_T5_mT6_T7_P12ihipStream_tbENKUlT_T0_E_clISt17integral_constantIbLb1EESZ_EEDaSU_SV_EUlSU_E_NS1_11comp_targetILNS1_3genE10ELNS1_11target_archE1200ELNS1_3gpuE4ELNS1_3repE0EEENS1_30default_config_static_selectorELNS0_4arch9wavefront6targetE1EEEvT1_: ; @_ZN7rocprim17ROCPRIM_400000_NS6detail17trampoline_kernelINS0_14default_configENS1_27scan_by_key_config_selectorIjjEEZZNS1_16scan_by_key_implILNS1_25lookback_scan_determinismE0ELb0ES3_N6thrust23THRUST_200600_302600_NS6detail15normal_iteratorINS9_10device_ptrIjEEEESE_SE_jNS9_4plusIvEENS9_8equal_toIvEEjEE10hipError_tPvRmT2_T3_T4_T5_mT6_T7_P12ihipStream_tbENKUlT_T0_E_clISt17integral_constantIbLb1EESZ_EEDaSU_SV_EUlSU_E_NS1_11comp_targetILNS1_3genE10ELNS1_11target_archE1200ELNS1_3gpuE4ELNS1_3repE0EEENS1_30default_config_static_selectorELNS0_4arch9wavefront6targetE1EEEvT1_
; %bb.0:
	.section	.rodata,"a",@progbits
	.p2align	6, 0x0
	.amdhsa_kernel _ZN7rocprim17ROCPRIM_400000_NS6detail17trampoline_kernelINS0_14default_configENS1_27scan_by_key_config_selectorIjjEEZZNS1_16scan_by_key_implILNS1_25lookback_scan_determinismE0ELb0ES3_N6thrust23THRUST_200600_302600_NS6detail15normal_iteratorINS9_10device_ptrIjEEEESE_SE_jNS9_4plusIvEENS9_8equal_toIvEEjEE10hipError_tPvRmT2_T3_T4_T5_mT6_T7_P12ihipStream_tbENKUlT_T0_E_clISt17integral_constantIbLb1EESZ_EEDaSU_SV_EUlSU_E_NS1_11comp_targetILNS1_3genE10ELNS1_11target_archE1200ELNS1_3gpuE4ELNS1_3repE0EEENS1_30default_config_static_selectorELNS0_4arch9wavefront6targetE1EEEvT1_
		.amdhsa_group_segment_fixed_size 0
		.amdhsa_private_segment_fixed_size 0
		.amdhsa_kernarg_size 112
		.amdhsa_user_sgpr_count 2
		.amdhsa_user_sgpr_dispatch_ptr 0
		.amdhsa_user_sgpr_queue_ptr 0
		.amdhsa_user_sgpr_kernarg_segment_ptr 1
		.amdhsa_user_sgpr_dispatch_id 0
		.amdhsa_user_sgpr_kernarg_preload_length 0
		.amdhsa_user_sgpr_kernarg_preload_offset 0
		.amdhsa_user_sgpr_private_segment_size 0
		.amdhsa_uses_dynamic_stack 0
		.amdhsa_enable_private_segment 0
		.amdhsa_system_sgpr_workgroup_id_x 1
		.amdhsa_system_sgpr_workgroup_id_y 0
		.amdhsa_system_sgpr_workgroup_id_z 0
		.amdhsa_system_sgpr_workgroup_info 0
		.amdhsa_system_vgpr_workitem_id 0
		.amdhsa_next_free_vgpr 1
		.amdhsa_next_free_sgpr 0
		.amdhsa_accum_offset 4
		.amdhsa_reserve_vcc 0
		.amdhsa_float_round_mode_32 0
		.amdhsa_float_round_mode_16_64 0
		.amdhsa_float_denorm_mode_32 3
		.amdhsa_float_denorm_mode_16_64 3
		.amdhsa_dx10_clamp 1
		.amdhsa_ieee_mode 1
		.amdhsa_fp16_overflow 0
		.amdhsa_tg_split 0
		.amdhsa_exception_fp_ieee_invalid_op 0
		.amdhsa_exception_fp_denorm_src 0
		.amdhsa_exception_fp_ieee_div_zero 0
		.amdhsa_exception_fp_ieee_overflow 0
		.amdhsa_exception_fp_ieee_underflow 0
		.amdhsa_exception_fp_ieee_inexact 0
		.amdhsa_exception_int_div_zero 0
	.end_amdhsa_kernel
	.section	.text._ZN7rocprim17ROCPRIM_400000_NS6detail17trampoline_kernelINS0_14default_configENS1_27scan_by_key_config_selectorIjjEEZZNS1_16scan_by_key_implILNS1_25lookback_scan_determinismE0ELb0ES3_N6thrust23THRUST_200600_302600_NS6detail15normal_iteratorINS9_10device_ptrIjEEEESE_SE_jNS9_4plusIvEENS9_8equal_toIvEEjEE10hipError_tPvRmT2_T3_T4_T5_mT6_T7_P12ihipStream_tbENKUlT_T0_E_clISt17integral_constantIbLb1EESZ_EEDaSU_SV_EUlSU_E_NS1_11comp_targetILNS1_3genE10ELNS1_11target_archE1200ELNS1_3gpuE4ELNS1_3repE0EEENS1_30default_config_static_selectorELNS0_4arch9wavefront6targetE1EEEvT1_,"axG",@progbits,_ZN7rocprim17ROCPRIM_400000_NS6detail17trampoline_kernelINS0_14default_configENS1_27scan_by_key_config_selectorIjjEEZZNS1_16scan_by_key_implILNS1_25lookback_scan_determinismE0ELb0ES3_N6thrust23THRUST_200600_302600_NS6detail15normal_iteratorINS9_10device_ptrIjEEEESE_SE_jNS9_4plusIvEENS9_8equal_toIvEEjEE10hipError_tPvRmT2_T3_T4_T5_mT6_T7_P12ihipStream_tbENKUlT_T0_E_clISt17integral_constantIbLb1EESZ_EEDaSU_SV_EUlSU_E_NS1_11comp_targetILNS1_3genE10ELNS1_11target_archE1200ELNS1_3gpuE4ELNS1_3repE0EEENS1_30default_config_static_selectorELNS0_4arch9wavefront6targetE1EEEvT1_,comdat
.Lfunc_end1842:
	.size	_ZN7rocprim17ROCPRIM_400000_NS6detail17trampoline_kernelINS0_14default_configENS1_27scan_by_key_config_selectorIjjEEZZNS1_16scan_by_key_implILNS1_25lookback_scan_determinismE0ELb0ES3_N6thrust23THRUST_200600_302600_NS6detail15normal_iteratorINS9_10device_ptrIjEEEESE_SE_jNS9_4plusIvEENS9_8equal_toIvEEjEE10hipError_tPvRmT2_T3_T4_T5_mT6_T7_P12ihipStream_tbENKUlT_T0_E_clISt17integral_constantIbLb1EESZ_EEDaSU_SV_EUlSU_E_NS1_11comp_targetILNS1_3genE10ELNS1_11target_archE1200ELNS1_3gpuE4ELNS1_3repE0EEENS1_30default_config_static_selectorELNS0_4arch9wavefront6targetE1EEEvT1_, .Lfunc_end1842-_ZN7rocprim17ROCPRIM_400000_NS6detail17trampoline_kernelINS0_14default_configENS1_27scan_by_key_config_selectorIjjEEZZNS1_16scan_by_key_implILNS1_25lookback_scan_determinismE0ELb0ES3_N6thrust23THRUST_200600_302600_NS6detail15normal_iteratorINS9_10device_ptrIjEEEESE_SE_jNS9_4plusIvEENS9_8equal_toIvEEjEE10hipError_tPvRmT2_T3_T4_T5_mT6_T7_P12ihipStream_tbENKUlT_T0_E_clISt17integral_constantIbLb1EESZ_EEDaSU_SV_EUlSU_E_NS1_11comp_targetILNS1_3genE10ELNS1_11target_archE1200ELNS1_3gpuE4ELNS1_3repE0EEENS1_30default_config_static_selectorELNS0_4arch9wavefront6targetE1EEEvT1_
                                        ; -- End function
	.section	.AMDGPU.csdata,"",@progbits
; Kernel info:
; codeLenInByte = 0
; NumSgprs: 6
; NumVgprs: 0
; NumAgprs: 0
; TotalNumVgprs: 0
; ScratchSize: 0
; MemoryBound: 0
; FloatMode: 240
; IeeeMode: 1
; LDSByteSize: 0 bytes/workgroup (compile time only)
; SGPRBlocks: 0
; VGPRBlocks: 0
; NumSGPRsForWavesPerEU: 6
; NumVGPRsForWavesPerEU: 1
; AccumOffset: 4
; Occupancy: 8
; WaveLimiterHint : 0
; COMPUTE_PGM_RSRC2:SCRATCH_EN: 0
; COMPUTE_PGM_RSRC2:USER_SGPR: 2
; COMPUTE_PGM_RSRC2:TRAP_HANDLER: 0
; COMPUTE_PGM_RSRC2:TGID_X_EN: 1
; COMPUTE_PGM_RSRC2:TGID_Y_EN: 0
; COMPUTE_PGM_RSRC2:TGID_Z_EN: 0
; COMPUTE_PGM_RSRC2:TIDIG_COMP_CNT: 0
; COMPUTE_PGM_RSRC3_GFX90A:ACCUM_OFFSET: 0
; COMPUTE_PGM_RSRC3_GFX90A:TG_SPLIT: 0
	.section	.text._ZN7rocprim17ROCPRIM_400000_NS6detail17trampoline_kernelINS0_14default_configENS1_27scan_by_key_config_selectorIjjEEZZNS1_16scan_by_key_implILNS1_25lookback_scan_determinismE0ELb0ES3_N6thrust23THRUST_200600_302600_NS6detail15normal_iteratorINS9_10device_ptrIjEEEESE_SE_jNS9_4plusIvEENS9_8equal_toIvEEjEE10hipError_tPvRmT2_T3_T4_T5_mT6_T7_P12ihipStream_tbENKUlT_T0_E_clISt17integral_constantIbLb1EESZ_EEDaSU_SV_EUlSU_E_NS1_11comp_targetILNS1_3genE9ELNS1_11target_archE1100ELNS1_3gpuE3ELNS1_3repE0EEENS1_30default_config_static_selectorELNS0_4arch9wavefront6targetE1EEEvT1_,"axG",@progbits,_ZN7rocprim17ROCPRIM_400000_NS6detail17trampoline_kernelINS0_14default_configENS1_27scan_by_key_config_selectorIjjEEZZNS1_16scan_by_key_implILNS1_25lookback_scan_determinismE0ELb0ES3_N6thrust23THRUST_200600_302600_NS6detail15normal_iteratorINS9_10device_ptrIjEEEESE_SE_jNS9_4plusIvEENS9_8equal_toIvEEjEE10hipError_tPvRmT2_T3_T4_T5_mT6_T7_P12ihipStream_tbENKUlT_T0_E_clISt17integral_constantIbLb1EESZ_EEDaSU_SV_EUlSU_E_NS1_11comp_targetILNS1_3genE9ELNS1_11target_archE1100ELNS1_3gpuE3ELNS1_3repE0EEENS1_30default_config_static_selectorELNS0_4arch9wavefront6targetE1EEEvT1_,comdat
	.protected	_ZN7rocprim17ROCPRIM_400000_NS6detail17trampoline_kernelINS0_14default_configENS1_27scan_by_key_config_selectorIjjEEZZNS1_16scan_by_key_implILNS1_25lookback_scan_determinismE0ELb0ES3_N6thrust23THRUST_200600_302600_NS6detail15normal_iteratorINS9_10device_ptrIjEEEESE_SE_jNS9_4plusIvEENS9_8equal_toIvEEjEE10hipError_tPvRmT2_T3_T4_T5_mT6_T7_P12ihipStream_tbENKUlT_T0_E_clISt17integral_constantIbLb1EESZ_EEDaSU_SV_EUlSU_E_NS1_11comp_targetILNS1_3genE9ELNS1_11target_archE1100ELNS1_3gpuE3ELNS1_3repE0EEENS1_30default_config_static_selectorELNS0_4arch9wavefront6targetE1EEEvT1_ ; -- Begin function _ZN7rocprim17ROCPRIM_400000_NS6detail17trampoline_kernelINS0_14default_configENS1_27scan_by_key_config_selectorIjjEEZZNS1_16scan_by_key_implILNS1_25lookback_scan_determinismE0ELb0ES3_N6thrust23THRUST_200600_302600_NS6detail15normal_iteratorINS9_10device_ptrIjEEEESE_SE_jNS9_4plusIvEENS9_8equal_toIvEEjEE10hipError_tPvRmT2_T3_T4_T5_mT6_T7_P12ihipStream_tbENKUlT_T0_E_clISt17integral_constantIbLb1EESZ_EEDaSU_SV_EUlSU_E_NS1_11comp_targetILNS1_3genE9ELNS1_11target_archE1100ELNS1_3gpuE3ELNS1_3repE0EEENS1_30default_config_static_selectorELNS0_4arch9wavefront6targetE1EEEvT1_
	.globl	_ZN7rocprim17ROCPRIM_400000_NS6detail17trampoline_kernelINS0_14default_configENS1_27scan_by_key_config_selectorIjjEEZZNS1_16scan_by_key_implILNS1_25lookback_scan_determinismE0ELb0ES3_N6thrust23THRUST_200600_302600_NS6detail15normal_iteratorINS9_10device_ptrIjEEEESE_SE_jNS9_4plusIvEENS9_8equal_toIvEEjEE10hipError_tPvRmT2_T3_T4_T5_mT6_T7_P12ihipStream_tbENKUlT_T0_E_clISt17integral_constantIbLb1EESZ_EEDaSU_SV_EUlSU_E_NS1_11comp_targetILNS1_3genE9ELNS1_11target_archE1100ELNS1_3gpuE3ELNS1_3repE0EEENS1_30default_config_static_selectorELNS0_4arch9wavefront6targetE1EEEvT1_
	.p2align	8
	.type	_ZN7rocprim17ROCPRIM_400000_NS6detail17trampoline_kernelINS0_14default_configENS1_27scan_by_key_config_selectorIjjEEZZNS1_16scan_by_key_implILNS1_25lookback_scan_determinismE0ELb0ES3_N6thrust23THRUST_200600_302600_NS6detail15normal_iteratorINS9_10device_ptrIjEEEESE_SE_jNS9_4plusIvEENS9_8equal_toIvEEjEE10hipError_tPvRmT2_T3_T4_T5_mT6_T7_P12ihipStream_tbENKUlT_T0_E_clISt17integral_constantIbLb1EESZ_EEDaSU_SV_EUlSU_E_NS1_11comp_targetILNS1_3genE9ELNS1_11target_archE1100ELNS1_3gpuE3ELNS1_3repE0EEENS1_30default_config_static_selectorELNS0_4arch9wavefront6targetE1EEEvT1_,@function
_ZN7rocprim17ROCPRIM_400000_NS6detail17trampoline_kernelINS0_14default_configENS1_27scan_by_key_config_selectorIjjEEZZNS1_16scan_by_key_implILNS1_25lookback_scan_determinismE0ELb0ES3_N6thrust23THRUST_200600_302600_NS6detail15normal_iteratorINS9_10device_ptrIjEEEESE_SE_jNS9_4plusIvEENS9_8equal_toIvEEjEE10hipError_tPvRmT2_T3_T4_T5_mT6_T7_P12ihipStream_tbENKUlT_T0_E_clISt17integral_constantIbLb1EESZ_EEDaSU_SV_EUlSU_E_NS1_11comp_targetILNS1_3genE9ELNS1_11target_archE1100ELNS1_3gpuE3ELNS1_3repE0EEENS1_30default_config_static_selectorELNS0_4arch9wavefront6targetE1EEEvT1_: ; @_ZN7rocprim17ROCPRIM_400000_NS6detail17trampoline_kernelINS0_14default_configENS1_27scan_by_key_config_selectorIjjEEZZNS1_16scan_by_key_implILNS1_25lookback_scan_determinismE0ELb0ES3_N6thrust23THRUST_200600_302600_NS6detail15normal_iteratorINS9_10device_ptrIjEEEESE_SE_jNS9_4plusIvEENS9_8equal_toIvEEjEE10hipError_tPvRmT2_T3_T4_T5_mT6_T7_P12ihipStream_tbENKUlT_T0_E_clISt17integral_constantIbLb1EESZ_EEDaSU_SV_EUlSU_E_NS1_11comp_targetILNS1_3genE9ELNS1_11target_archE1100ELNS1_3gpuE3ELNS1_3repE0EEENS1_30default_config_static_selectorELNS0_4arch9wavefront6targetE1EEEvT1_
; %bb.0:
	.section	.rodata,"a",@progbits
	.p2align	6, 0x0
	.amdhsa_kernel _ZN7rocprim17ROCPRIM_400000_NS6detail17trampoline_kernelINS0_14default_configENS1_27scan_by_key_config_selectorIjjEEZZNS1_16scan_by_key_implILNS1_25lookback_scan_determinismE0ELb0ES3_N6thrust23THRUST_200600_302600_NS6detail15normal_iteratorINS9_10device_ptrIjEEEESE_SE_jNS9_4plusIvEENS9_8equal_toIvEEjEE10hipError_tPvRmT2_T3_T4_T5_mT6_T7_P12ihipStream_tbENKUlT_T0_E_clISt17integral_constantIbLb1EESZ_EEDaSU_SV_EUlSU_E_NS1_11comp_targetILNS1_3genE9ELNS1_11target_archE1100ELNS1_3gpuE3ELNS1_3repE0EEENS1_30default_config_static_selectorELNS0_4arch9wavefront6targetE1EEEvT1_
		.amdhsa_group_segment_fixed_size 0
		.amdhsa_private_segment_fixed_size 0
		.amdhsa_kernarg_size 112
		.amdhsa_user_sgpr_count 2
		.amdhsa_user_sgpr_dispatch_ptr 0
		.amdhsa_user_sgpr_queue_ptr 0
		.amdhsa_user_sgpr_kernarg_segment_ptr 1
		.amdhsa_user_sgpr_dispatch_id 0
		.amdhsa_user_sgpr_kernarg_preload_length 0
		.amdhsa_user_sgpr_kernarg_preload_offset 0
		.amdhsa_user_sgpr_private_segment_size 0
		.amdhsa_uses_dynamic_stack 0
		.amdhsa_enable_private_segment 0
		.amdhsa_system_sgpr_workgroup_id_x 1
		.amdhsa_system_sgpr_workgroup_id_y 0
		.amdhsa_system_sgpr_workgroup_id_z 0
		.amdhsa_system_sgpr_workgroup_info 0
		.amdhsa_system_vgpr_workitem_id 0
		.amdhsa_next_free_vgpr 1
		.amdhsa_next_free_sgpr 0
		.amdhsa_accum_offset 4
		.amdhsa_reserve_vcc 0
		.amdhsa_float_round_mode_32 0
		.amdhsa_float_round_mode_16_64 0
		.amdhsa_float_denorm_mode_32 3
		.amdhsa_float_denorm_mode_16_64 3
		.amdhsa_dx10_clamp 1
		.amdhsa_ieee_mode 1
		.amdhsa_fp16_overflow 0
		.amdhsa_tg_split 0
		.amdhsa_exception_fp_ieee_invalid_op 0
		.amdhsa_exception_fp_denorm_src 0
		.amdhsa_exception_fp_ieee_div_zero 0
		.amdhsa_exception_fp_ieee_overflow 0
		.amdhsa_exception_fp_ieee_underflow 0
		.amdhsa_exception_fp_ieee_inexact 0
		.amdhsa_exception_int_div_zero 0
	.end_amdhsa_kernel
	.section	.text._ZN7rocprim17ROCPRIM_400000_NS6detail17trampoline_kernelINS0_14default_configENS1_27scan_by_key_config_selectorIjjEEZZNS1_16scan_by_key_implILNS1_25lookback_scan_determinismE0ELb0ES3_N6thrust23THRUST_200600_302600_NS6detail15normal_iteratorINS9_10device_ptrIjEEEESE_SE_jNS9_4plusIvEENS9_8equal_toIvEEjEE10hipError_tPvRmT2_T3_T4_T5_mT6_T7_P12ihipStream_tbENKUlT_T0_E_clISt17integral_constantIbLb1EESZ_EEDaSU_SV_EUlSU_E_NS1_11comp_targetILNS1_3genE9ELNS1_11target_archE1100ELNS1_3gpuE3ELNS1_3repE0EEENS1_30default_config_static_selectorELNS0_4arch9wavefront6targetE1EEEvT1_,"axG",@progbits,_ZN7rocprim17ROCPRIM_400000_NS6detail17trampoline_kernelINS0_14default_configENS1_27scan_by_key_config_selectorIjjEEZZNS1_16scan_by_key_implILNS1_25lookback_scan_determinismE0ELb0ES3_N6thrust23THRUST_200600_302600_NS6detail15normal_iteratorINS9_10device_ptrIjEEEESE_SE_jNS9_4plusIvEENS9_8equal_toIvEEjEE10hipError_tPvRmT2_T3_T4_T5_mT6_T7_P12ihipStream_tbENKUlT_T0_E_clISt17integral_constantIbLb1EESZ_EEDaSU_SV_EUlSU_E_NS1_11comp_targetILNS1_3genE9ELNS1_11target_archE1100ELNS1_3gpuE3ELNS1_3repE0EEENS1_30default_config_static_selectorELNS0_4arch9wavefront6targetE1EEEvT1_,comdat
.Lfunc_end1843:
	.size	_ZN7rocprim17ROCPRIM_400000_NS6detail17trampoline_kernelINS0_14default_configENS1_27scan_by_key_config_selectorIjjEEZZNS1_16scan_by_key_implILNS1_25lookback_scan_determinismE0ELb0ES3_N6thrust23THRUST_200600_302600_NS6detail15normal_iteratorINS9_10device_ptrIjEEEESE_SE_jNS9_4plusIvEENS9_8equal_toIvEEjEE10hipError_tPvRmT2_T3_T4_T5_mT6_T7_P12ihipStream_tbENKUlT_T0_E_clISt17integral_constantIbLb1EESZ_EEDaSU_SV_EUlSU_E_NS1_11comp_targetILNS1_3genE9ELNS1_11target_archE1100ELNS1_3gpuE3ELNS1_3repE0EEENS1_30default_config_static_selectorELNS0_4arch9wavefront6targetE1EEEvT1_, .Lfunc_end1843-_ZN7rocprim17ROCPRIM_400000_NS6detail17trampoline_kernelINS0_14default_configENS1_27scan_by_key_config_selectorIjjEEZZNS1_16scan_by_key_implILNS1_25lookback_scan_determinismE0ELb0ES3_N6thrust23THRUST_200600_302600_NS6detail15normal_iteratorINS9_10device_ptrIjEEEESE_SE_jNS9_4plusIvEENS9_8equal_toIvEEjEE10hipError_tPvRmT2_T3_T4_T5_mT6_T7_P12ihipStream_tbENKUlT_T0_E_clISt17integral_constantIbLb1EESZ_EEDaSU_SV_EUlSU_E_NS1_11comp_targetILNS1_3genE9ELNS1_11target_archE1100ELNS1_3gpuE3ELNS1_3repE0EEENS1_30default_config_static_selectorELNS0_4arch9wavefront6targetE1EEEvT1_
                                        ; -- End function
	.section	.AMDGPU.csdata,"",@progbits
; Kernel info:
; codeLenInByte = 0
; NumSgprs: 6
; NumVgprs: 0
; NumAgprs: 0
; TotalNumVgprs: 0
; ScratchSize: 0
; MemoryBound: 0
; FloatMode: 240
; IeeeMode: 1
; LDSByteSize: 0 bytes/workgroup (compile time only)
; SGPRBlocks: 0
; VGPRBlocks: 0
; NumSGPRsForWavesPerEU: 6
; NumVGPRsForWavesPerEU: 1
; AccumOffset: 4
; Occupancy: 8
; WaveLimiterHint : 0
; COMPUTE_PGM_RSRC2:SCRATCH_EN: 0
; COMPUTE_PGM_RSRC2:USER_SGPR: 2
; COMPUTE_PGM_RSRC2:TRAP_HANDLER: 0
; COMPUTE_PGM_RSRC2:TGID_X_EN: 1
; COMPUTE_PGM_RSRC2:TGID_Y_EN: 0
; COMPUTE_PGM_RSRC2:TGID_Z_EN: 0
; COMPUTE_PGM_RSRC2:TIDIG_COMP_CNT: 0
; COMPUTE_PGM_RSRC3_GFX90A:ACCUM_OFFSET: 0
; COMPUTE_PGM_RSRC3_GFX90A:TG_SPLIT: 0
	.section	.text._ZN7rocprim17ROCPRIM_400000_NS6detail17trampoline_kernelINS0_14default_configENS1_27scan_by_key_config_selectorIjjEEZZNS1_16scan_by_key_implILNS1_25lookback_scan_determinismE0ELb0ES3_N6thrust23THRUST_200600_302600_NS6detail15normal_iteratorINS9_10device_ptrIjEEEESE_SE_jNS9_4plusIvEENS9_8equal_toIvEEjEE10hipError_tPvRmT2_T3_T4_T5_mT6_T7_P12ihipStream_tbENKUlT_T0_E_clISt17integral_constantIbLb1EESZ_EEDaSU_SV_EUlSU_E_NS1_11comp_targetILNS1_3genE8ELNS1_11target_archE1030ELNS1_3gpuE2ELNS1_3repE0EEENS1_30default_config_static_selectorELNS0_4arch9wavefront6targetE1EEEvT1_,"axG",@progbits,_ZN7rocprim17ROCPRIM_400000_NS6detail17trampoline_kernelINS0_14default_configENS1_27scan_by_key_config_selectorIjjEEZZNS1_16scan_by_key_implILNS1_25lookback_scan_determinismE0ELb0ES3_N6thrust23THRUST_200600_302600_NS6detail15normal_iteratorINS9_10device_ptrIjEEEESE_SE_jNS9_4plusIvEENS9_8equal_toIvEEjEE10hipError_tPvRmT2_T3_T4_T5_mT6_T7_P12ihipStream_tbENKUlT_T0_E_clISt17integral_constantIbLb1EESZ_EEDaSU_SV_EUlSU_E_NS1_11comp_targetILNS1_3genE8ELNS1_11target_archE1030ELNS1_3gpuE2ELNS1_3repE0EEENS1_30default_config_static_selectorELNS0_4arch9wavefront6targetE1EEEvT1_,comdat
	.protected	_ZN7rocprim17ROCPRIM_400000_NS6detail17trampoline_kernelINS0_14default_configENS1_27scan_by_key_config_selectorIjjEEZZNS1_16scan_by_key_implILNS1_25lookback_scan_determinismE0ELb0ES3_N6thrust23THRUST_200600_302600_NS6detail15normal_iteratorINS9_10device_ptrIjEEEESE_SE_jNS9_4plusIvEENS9_8equal_toIvEEjEE10hipError_tPvRmT2_T3_T4_T5_mT6_T7_P12ihipStream_tbENKUlT_T0_E_clISt17integral_constantIbLb1EESZ_EEDaSU_SV_EUlSU_E_NS1_11comp_targetILNS1_3genE8ELNS1_11target_archE1030ELNS1_3gpuE2ELNS1_3repE0EEENS1_30default_config_static_selectorELNS0_4arch9wavefront6targetE1EEEvT1_ ; -- Begin function _ZN7rocprim17ROCPRIM_400000_NS6detail17trampoline_kernelINS0_14default_configENS1_27scan_by_key_config_selectorIjjEEZZNS1_16scan_by_key_implILNS1_25lookback_scan_determinismE0ELb0ES3_N6thrust23THRUST_200600_302600_NS6detail15normal_iteratorINS9_10device_ptrIjEEEESE_SE_jNS9_4plusIvEENS9_8equal_toIvEEjEE10hipError_tPvRmT2_T3_T4_T5_mT6_T7_P12ihipStream_tbENKUlT_T0_E_clISt17integral_constantIbLb1EESZ_EEDaSU_SV_EUlSU_E_NS1_11comp_targetILNS1_3genE8ELNS1_11target_archE1030ELNS1_3gpuE2ELNS1_3repE0EEENS1_30default_config_static_selectorELNS0_4arch9wavefront6targetE1EEEvT1_
	.globl	_ZN7rocprim17ROCPRIM_400000_NS6detail17trampoline_kernelINS0_14default_configENS1_27scan_by_key_config_selectorIjjEEZZNS1_16scan_by_key_implILNS1_25lookback_scan_determinismE0ELb0ES3_N6thrust23THRUST_200600_302600_NS6detail15normal_iteratorINS9_10device_ptrIjEEEESE_SE_jNS9_4plusIvEENS9_8equal_toIvEEjEE10hipError_tPvRmT2_T3_T4_T5_mT6_T7_P12ihipStream_tbENKUlT_T0_E_clISt17integral_constantIbLb1EESZ_EEDaSU_SV_EUlSU_E_NS1_11comp_targetILNS1_3genE8ELNS1_11target_archE1030ELNS1_3gpuE2ELNS1_3repE0EEENS1_30default_config_static_selectorELNS0_4arch9wavefront6targetE1EEEvT1_
	.p2align	8
	.type	_ZN7rocprim17ROCPRIM_400000_NS6detail17trampoline_kernelINS0_14default_configENS1_27scan_by_key_config_selectorIjjEEZZNS1_16scan_by_key_implILNS1_25lookback_scan_determinismE0ELb0ES3_N6thrust23THRUST_200600_302600_NS6detail15normal_iteratorINS9_10device_ptrIjEEEESE_SE_jNS9_4plusIvEENS9_8equal_toIvEEjEE10hipError_tPvRmT2_T3_T4_T5_mT6_T7_P12ihipStream_tbENKUlT_T0_E_clISt17integral_constantIbLb1EESZ_EEDaSU_SV_EUlSU_E_NS1_11comp_targetILNS1_3genE8ELNS1_11target_archE1030ELNS1_3gpuE2ELNS1_3repE0EEENS1_30default_config_static_selectorELNS0_4arch9wavefront6targetE1EEEvT1_,@function
_ZN7rocprim17ROCPRIM_400000_NS6detail17trampoline_kernelINS0_14default_configENS1_27scan_by_key_config_selectorIjjEEZZNS1_16scan_by_key_implILNS1_25lookback_scan_determinismE0ELb0ES3_N6thrust23THRUST_200600_302600_NS6detail15normal_iteratorINS9_10device_ptrIjEEEESE_SE_jNS9_4plusIvEENS9_8equal_toIvEEjEE10hipError_tPvRmT2_T3_T4_T5_mT6_T7_P12ihipStream_tbENKUlT_T0_E_clISt17integral_constantIbLb1EESZ_EEDaSU_SV_EUlSU_E_NS1_11comp_targetILNS1_3genE8ELNS1_11target_archE1030ELNS1_3gpuE2ELNS1_3repE0EEENS1_30default_config_static_selectorELNS0_4arch9wavefront6targetE1EEEvT1_: ; @_ZN7rocprim17ROCPRIM_400000_NS6detail17trampoline_kernelINS0_14default_configENS1_27scan_by_key_config_selectorIjjEEZZNS1_16scan_by_key_implILNS1_25lookback_scan_determinismE0ELb0ES3_N6thrust23THRUST_200600_302600_NS6detail15normal_iteratorINS9_10device_ptrIjEEEESE_SE_jNS9_4plusIvEENS9_8equal_toIvEEjEE10hipError_tPvRmT2_T3_T4_T5_mT6_T7_P12ihipStream_tbENKUlT_T0_E_clISt17integral_constantIbLb1EESZ_EEDaSU_SV_EUlSU_E_NS1_11comp_targetILNS1_3genE8ELNS1_11target_archE1030ELNS1_3gpuE2ELNS1_3repE0EEENS1_30default_config_static_selectorELNS0_4arch9wavefront6targetE1EEEvT1_
; %bb.0:
	.section	.rodata,"a",@progbits
	.p2align	6, 0x0
	.amdhsa_kernel _ZN7rocprim17ROCPRIM_400000_NS6detail17trampoline_kernelINS0_14default_configENS1_27scan_by_key_config_selectorIjjEEZZNS1_16scan_by_key_implILNS1_25lookback_scan_determinismE0ELb0ES3_N6thrust23THRUST_200600_302600_NS6detail15normal_iteratorINS9_10device_ptrIjEEEESE_SE_jNS9_4plusIvEENS9_8equal_toIvEEjEE10hipError_tPvRmT2_T3_T4_T5_mT6_T7_P12ihipStream_tbENKUlT_T0_E_clISt17integral_constantIbLb1EESZ_EEDaSU_SV_EUlSU_E_NS1_11comp_targetILNS1_3genE8ELNS1_11target_archE1030ELNS1_3gpuE2ELNS1_3repE0EEENS1_30default_config_static_selectorELNS0_4arch9wavefront6targetE1EEEvT1_
		.amdhsa_group_segment_fixed_size 0
		.amdhsa_private_segment_fixed_size 0
		.amdhsa_kernarg_size 112
		.amdhsa_user_sgpr_count 2
		.amdhsa_user_sgpr_dispatch_ptr 0
		.amdhsa_user_sgpr_queue_ptr 0
		.amdhsa_user_sgpr_kernarg_segment_ptr 1
		.amdhsa_user_sgpr_dispatch_id 0
		.amdhsa_user_sgpr_kernarg_preload_length 0
		.amdhsa_user_sgpr_kernarg_preload_offset 0
		.amdhsa_user_sgpr_private_segment_size 0
		.amdhsa_uses_dynamic_stack 0
		.amdhsa_enable_private_segment 0
		.amdhsa_system_sgpr_workgroup_id_x 1
		.amdhsa_system_sgpr_workgroup_id_y 0
		.amdhsa_system_sgpr_workgroup_id_z 0
		.amdhsa_system_sgpr_workgroup_info 0
		.amdhsa_system_vgpr_workitem_id 0
		.amdhsa_next_free_vgpr 1
		.amdhsa_next_free_sgpr 0
		.amdhsa_accum_offset 4
		.amdhsa_reserve_vcc 0
		.amdhsa_float_round_mode_32 0
		.amdhsa_float_round_mode_16_64 0
		.amdhsa_float_denorm_mode_32 3
		.amdhsa_float_denorm_mode_16_64 3
		.amdhsa_dx10_clamp 1
		.amdhsa_ieee_mode 1
		.amdhsa_fp16_overflow 0
		.amdhsa_tg_split 0
		.amdhsa_exception_fp_ieee_invalid_op 0
		.amdhsa_exception_fp_denorm_src 0
		.amdhsa_exception_fp_ieee_div_zero 0
		.amdhsa_exception_fp_ieee_overflow 0
		.amdhsa_exception_fp_ieee_underflow 0
		.amdhsa_exception_fp_ieee_inexact 0
		.amdhsa_exception_int_div_zero 0
	.end_amdhsa_kernel
	.section	.text._ZN7rocprim17ROCPRIM_400000_NS6detail17trampoline_kernelINS0_14default_configENS1_27scan_by_key_config_selectorIjjEEZZNS1_16scan_by_key_implILNS1_25lookback_scan_determinismE0ELb0ES3_N6thrust23THRUST_200600_302600_NS6detail15normal_iteratorINS9_10device_ptrIjEEEESE_SE_jNS9_4plusIvEENS9_8equal_toIvEEjEE10hipError_tPvRmT2_T3_T4_T5_mT6_T7_P12ihipStream_tbENKUlT_T0_E_clISt17integral_constantIbLb1EESZ_EEDaSU_SV_EUlSU_E_NS1_11comp_targetILNS1_3genE8ELNS1_11target_archE1030ELNS1_3gpuE2ELNS1_3repE0EEENS1_30default_config_static_selectorELNS0_4arch9wavefront6targetE1EEEvT1_,"axG",@progbits,_ZN7rocprim17ROCPRIM_400000_NS6detail17trampoline_kernelINS0_14default_configENS1_27scan_by_key_config_selectorIjjEEZZNS1_16scan_by_key_implILNS1_25lookback_scan_determinismE0ELb0ES3_N6thrust23THRUST_200600_302600_NS6detail15normal_iteratorINS9_10device_ptrIjEEEESE_SE_jNS9_4plusIvEENS9_8equal_toIvEEjEE10hipError_tPvRmT2_T3_T4_T5_mT6_T7_P12ihipStream_tbENKUlT_T0_E_clISt17integral_constantIbLb1EESZ_EEDaSU_SV_EUlSU_E_NS1_11comp_targetILNS1_3genE8ELNS1_11target_archE1030ELNS1_3gpuE2ELNS1_3repE0EEENS1_30default_config_static_selectorELNS0_4arch9wavefront6targetE1EEEvT1_,comdat
.Lfunc_end1844:
	.size	_ZN7rocprim17ROCPRIM_400000_NS6detail17trampoline_kernelINS0_14default_configENS1_27scan_by_key_config_selectorIjjEEZZNS1_16scan_by_key_implILNS1_25lookback_scan_determinismE0ELb0ES3_N6thrust23THRUST_200600_302600_NS6detail15normal_iteratorINS9_10device_ptrIjEEEESE_SE_jNS9_4plusIvEENS9_8equal_toIvEEjEE10hipError_tPvRmT2_T3_T4_T5_mT6_T7_P12ihipStream_tbENKUlT_T0_E_clISt17integral_constantIbLb1EESZ_EEDaSU_SV_EUlSU_E_NS1_11comp_targetILNS1_3genE8ELNS1_11target_archE1030ELNS1_3gpuE2ELNS1_3repE0EEENS1_30default_config_static_selectorELNS0_4arch9wavefront6targetE1EEEvT1_, .Lfunc_end1844-_ZN7rocprim17ROCPRIM_400000_NS6detail17trampoline_kernelINS0_14default_configENS1_27scan_by_key_config_selectorIjjEEZZNS1_16scan_by_key_implILNS1_25lookback_scan_determinismE0ELb0ES3_N6thrust23THRUST_200600_302600_NS6detail15normal_iteratorINS9_10device_ptrIjEEEESE_SE_jNS9_4plusIvEENS9_8equal_toIvEEjEE10hipError_tPvRmT2_T3_T4_T5_mT6_T7_P12ihipStream_tbENKUlT_T0_E_clISt17integral_constantIbLb1EESZ_EEDaSU_SV_EUlSU_E_NS1_11comp_targetILNS1_3genE8ELNS1_11target_archE1030ELNS1_3gpuE2ELNS1_3repE0EEENS1_30default_config_static_selectorELNS0_4arch9wavefront6targetE1EEEvT1_
                                        ; -- End function
	.section	.AMDGPU.csdata,"",@progbits
; Kernel info:
; codeLenInByte = 0
; NumSgprs: 6
; NumVgprs: 0
; NumAgprs: 0
; TotalNumVgprs: 0
; ScratchSize: 0
; MemoryBound: 0
; FloatMode: 240
; IeeeMode: 1
; LDSByteSize: 0 bytes/workgroup (compile time only)
; SGPRBlocks: 0
; VGPRBlocks: 0
; NumSGPRsForWavesPerEU: 6
; NumVGPRsForWavesPerEU: 1
; AccumOffset: 4
; Occupancy: 8
; WaveLimiterHint : 0
; COMPUTE_PGM_RSRC2:SCRATCH_EN: 0
; COMPUTE_PGM_RSRC2:USER_SGPR: 2
; COMPUTE_PGM_RSRC2:TRAP_HANDLER: 0
; COMPUTE_PGM_RSRC2:TGID_X_EN: 1
; COMPUTE_PGM_RSRC2:TGID_Y_EN: 0
; COMPUTE_PGM_RSRC2:TGID_Z_EN: 0
; COMPUTE_PGM_RSRC2:TIDIG_COMP_CNT: 0
; COMPUTE_PGM_RSRC3_GFX90A:ACCUM_OFFSET: 0
; COMPUTE_PGM_RSRC3_GFX90A:TG_SPLIT: 0
	.section	.text._ZN7rocprim17ROCPRIM_400000_NS6detail30init_device_scan_by_key_kernelINS1_19lookback_scan_stateINS0_5tupleIJjbEEELb1ELb1EEEN6thrust23THRUST_200600_302600_NS6detail15normal_iteratorINS8_10device_ptrIjEEEEjNS1_16block_id_wrapperIjLb0EEEEEvT_jjPNSG_10value_typeET0_PNSt15iterator_traitsISJ_E10value_typeEmT1_T2_,"axG",@progbits,_ZN7rocprim17ROCPRIM_400000_NS6detail30init_device_scan_by_key_kernelINS1_19lookback_scan_stateINS0_5tupleIJjbEEELb1ELb1EEEN6thrust23THRUST_200600_302600_NS6detail15normal_iteratorINS8_10device_ptrIjEEEEjNS1_16block_id_wrapperIjLb0EEEEEvT_jjPNSG_10value_typeET0_PNSt15iterator_traitsISJ_E10value_typeEmT1_T2_,comdat
	.protected	_ZN7rocprim17ROCPRIM_400000_NS6detail30init_device_scan_by_key_kernelINS1_19lookback_scan_stateINS0_5tupleIJjbEEELb1ELb1EEEN6thrust23THRUST_200600_302600_NS6detail15normal_iteratorINS8_10device_ptrIjEEEEjNS1_16block_id_wrapperIjLb0EEEEEvT_jjPNSG_10value_typeET0_PNSt15iterator_traitsISJ_E10value_typeEmT1_T2_ ; -- Begin function _ZN7rocprim17ROCPRIM_400000_NS6detail30init_device_scan_by_key_kernelINS1_19lookback_scan_stateINS0_5tupleIJjbEEELb1ELb1EEEN6thrust23THRUST_200600_302600_NS6detail15normal_iteratorINS8_10device_ptrIjEEEEjNS1_16block_id_wrapperIjLb0EEEEEvT_jjPNSG_10value_typeET0_PNSt15iterator_traitsISJ_E10value_typeEmT1_T2_
	.globl	_ZN7rocprim17ROCPRIM_400000_NS6detail30init_device_scan_by_key_kernelINS1_19lookback_scan_stateINS0_5tupleIJjbEEELb1ELb1EEEN6thrust23THRUST_200600_302600_NS6detail15normal_iteratorINS8_10device_ptrIjEEEEjNS1_16block_id_wrapperIjLb0EEEEEvT_jjPNSG_10value_typeET0_PNSt15iterator_traitsISJ_E10value_typeEmT1_T2_
	.p2align	8
	.type	_ZN7rocprim17ROCPRIM_400000_NS6detail30init_device_scan_by_key_kernelINS1_19lookback_scan_stateINS0_5tupleIJjbEEELb1ELb1EEEN6thrust23THRUST_200600_302600_NS6detail15normal_iteratorINS8_10device_ptrIjEEEEjNS1_16block_id_wrapperIjLb0EEEEEvT_jjPNSG_10value_typeET0_PNSt15iterator_traitsISJ_E10value_typeEmT1_T2_,@function
_ZN7rocprim17ROCPRIM_400000_NS6detail30init_device_scan_by_key_kernelINS1_19lookback_scan_stateINS0_5tupleIJjbEEELb1ELb1EEEN6thrust23THRUST_200600_302600_NS6detail15normal_iteratorINS8_10device_ptrIjEEEEjNS1_16block_id_wrapperIjLb0EEEEEvT_jjPNSG_10value_typeET0_PNSt15iterator_traitsISJ_E10value_typeEmT1_T2_: ; @_ZN7rocprim17ROCPRIM_400000_NS6detail30init_device_scan_by_key_kernelINS1_19lookback_scan_stateINS0_5tupleIJjbEEELb1ELb1EEEN6thrust23THRUST_200600_302600_NS6detail15normal_iteratorINS8_10device_ptrIjEEEEjNS1_16block_id_wrapperIjLb0EEEEEvT_jjPNSG_10value_typeET0_PNSt15iterator_traitsISJ_E10value_typeEmT1_T2_
; %bb.0:
	s_load_dword s3, s[0:1], 0x44
	s_load_dwordx8 s[4:11], s[0:1], 0x0
	s_load_dword s18, s[0:1], 0x38
	s_waitcnt lgkmcnt(0)
	s_and_b32 s19, s3, 0xffff
	s_mul_i32 s2, s2, s19
	s_cmp_eq_u64 s[8:9], 0
	v_add_u32_e32 v4, s2, v0
	s_cbranch_scc1 .LBB1845_10
; %bb.1:
	s_cmp_lt_u32 s7, s6
	s_cselect_b32 s2, s7, 0
	s_mov_b32 s13, 0
	v_cmp_eq_u32_e32 vcc, s2, v4
	s_and_saveexec_b64 s[2:3], vcc
	s_cbranch_execz .LBB1845_9
; %bb.2:
	s_add_i32 s12, s7, 64
	s_lshl_b64 s[12:13], s[12:13], 4
	s_add_u32 s16, s4, s12
	s_addc_u32 s17, s5, s13
	v_mov_b64_e32 v[0:1], s[16:17]
	;;#ASMSTART
	global_load_dwordx4 v[0:3], v[0:1] off sc1	
s_waitcnt vmcnt(0)
	;;#ASMEND
	v_mov_b32_e32 v7, 0
	v_and_b32_e32 v6, 0xff, v2
	s_mov_b64 s[14:15], 0
	v_cmp_eq_u64_e32 vcc, 0, v[6:7]
	s_and_saveexec_b64 s[12:13], vcc
	s_cbranch_execz .LBB1845_8
; %bb.3:
	s_mov_b32 s7, 1
	v_mov_b64_e32 v[8:9], s[16:17]
.LBB1845_4:                             ; =>This Loop Header: Depth=1
                                        ;     Child Loop BB1845_5 Depth 2
	s_max_u32 s16, s7, 1
.LBB1845_5:                             ;   Parent Loop BB1845_4 Depth=1
                                        ; =>  This Inner Loop Header: Depth=2
	s_add_i32 s16, s16, -1
	s_cmp_eq_u32 s16, 0
	s_sleep 1
	s_cbranch_scc0 .LBB1845_5
; %bb.6:                                ;   in Loop: Header=BB1845_4 Depth=1
	s_cmp_lt_u32 s7, 32
	s_cselect_b64 s[16:17], -1, 0
	s_cmp_lg_u64 s[16:17], 0
	;;#ASMSTART
	global_load_dwordx4 v[0:3], v[8:9] off sc1	
s_waitcnt vmcnt(0)
	;;#ASMEND
	s_addc_u32 s7, s7, 0
	v_and_b32_e32 v6, 0xff, v2
	v_cmp_ne_u64_e32 vcc, 0, v[6:7]
	s_or_b64 s[14:15], vcc, s[14:15]
	s_andn2_b64 exec, exec, s[14:15]
	s_cbranch_execnz .LBB1845_4
; %bb.7:
	s_or_b64 exec, exec, s[14:15]
.LBB1845_8:
	s_or_b64 exec, exec, s[12:13]
	v_mov_b32_e32 v2, 0
	global_store_dword v2, v0, s[8:9]
	global_store_byte v2, v1, s[8:9] offset:4
.LBB1845_9:
	s_or_b64 exec, exec, s[2:3]
.LBB1845_10:
	v_cmp_gt_u32_e32 vcc, s6, v4
	s_and_saveexec_b64 s[2:3], vcc
	s_cbranch_execz .LBB1845_12
; %bb.11:
	v_add_u32_e32 v0, 64, v4
	v_mov_b32_e32 v1, 0
	v_lshl_add_u64 v[6:7], v[0:1], 4, s[4:5]
	v_mov_b32_e32 v0, v1
	v_mov_b32_e32 v2, v1
	v_mov_b32_e32 v3, v1
	global_store_dwordx4 v[6:7], v[0:3], off
.LBB1845_12:
	s_or_b64 exec, exec, s[2:3]
	v_cmp_gt_u32_e32 vcc, 64, v4
	v_mov_b32_e32 v5, 0
	s_and_saveexec_b64 s[2:3], vcc
	s_cbranch_execz .LBB1845_14
; %bb.13:
	v_lshl_add_u64 v[6:7], v[4:5], 4, s[4:5]
	v_mov_b32_e32 v2, 0xff
	v_mov_b32_e32 v0, v5
	;; [unrolled: 1-line block ×4, first 2 shown]
	global_store_dwordx4 v[6:7], v[0:3], off
.LBB1845_14:
	s_or_b64 exec, exec, s[2:3]
	s_load_dwordx2 s[2:3], s[0:1], 0x28
	s_waitcnt lgkmcnt(0)
	v_cmp_gt_u64_e32 vcc, s[2:3], v[4:5]
	s_and_saveexec_b64 s[4:5], vcc
	s_cbranch_execz .LBB1845_17
; %bb.15:
	s_load_dword s12, s[0:1], 0x30
	s_load_dwordx2 s[6:7], s[0:1], 0x20
	s_mov_b32 s5, 0
	s_mov_b32 s1, s5
	s_mul_i32 s0, s18, s19
	s_waitcnt lgkmcnt(0)
	s_add_i32 s4, s12, -1
	s_lshl_b64 s[4:5], s[4:5], 2
	s_add_u32 s4, s10, s4
	v_mad_u64_u32 v[0:1], s[8:9], s12, v4, 0
	s_addc_u32 s5, s11, s5
	v_lshl_add_u64 v[0:1], v[0:1], 2, s[4:5]
	s_mul_hi_u32 s5, s12, s0
	s_mul_i32 s4, s12, s0
	s_lshl_b64 s[4:5], s[4:5], 2
	v_lshl_add_u64 v[2:3], v[4:5], 2, s[6:7]
	s_lshl_b64 s[6:7], s[0:1], 2
	s_mov_b64 s[8:9], 0
.LBB1845_16:                            ; =>This Inner Loop Header: Depth=1
	global_load_dword v6, v[0:1], off
	v_lshl_add_u64 v[4:5], v[4:5], 0, s[0:1]
	v_cmp_le_u64_e32 vcc, s[2:3], v[4:5]
	v_lshl_add_u64 v[0:1], v[0:1], 0, s[4:5]
	s_or_b64 s[8:9], vcc, s[8:9]
	s_waitcnt vmcnt(0)
	global_store_dword v[2:3], v6, off
	v_lshl_add_u64 v[2:3], v[2:3], 0, s[6:7]
	s_andn2_b64 exec, exec, s[8:9]
	s_cbranch_execnz .LBB1845_16
.LBB1845_17:
	s_endpgm
	.section	.rodata,"a",@progbits
	.p2align	6, 0x0
	.amdhsa_kernel _ZN7rocprim17ROCPRIM_400000_NS6detail30init_device_scan_by_key_kernelINS1_19lookback_scan_stateINS0_5tupleIJjbEEELb1ELb1EEEN6thrust23THRUST_200600_302600_NS6detail15normal_iteratorINS8_10device_ptrIjEEEEjNS1_16block_id_wrapperIjLb0EEEEEvT_jjPNSG_10value_typeET0_PNSt15iterator_traitsISJ_E10value_typeEmT1_T2_
		.amdhsa_group_segment_fixed_size 0
		.amdhsa_private_segment_fixed_size 0
		.amdhsa_kernarg_size 312
		.amdhsa_user_sgpr_count 2
		.amdhsa_user_sgpr_dispatch_ptr 0
		.amdhsa_user_sgpr_queue_ptr 0
		.amdhsa_user_sgpr_kernarg_segment_ptr 1
		.amdhsa_user_sgpr_dispatch_id 0
		.amdhsa_user_sgpr_kernarg_preload_length 0
		.amdhsa_user_sgpr_kernarg_preload_offset 0
		.amdhsa_user_sgpr_private_segment_size 0
		.amdhsa_uses_dynamic_stack 0
		.amdhsa_enable_private_segment 0
		.amdhsa_system_sgpr_workgroup_id_x 1
		.amdhsa_system_sgpr_workgroup_id_y 0
		.amdhsa_system_sgpr_workgroup_id_z 0
		.amdhsa_system_sgpr_workgroup_info 0
		.amdhsa_system_vgpr_workitem_id 0
		.amdhsa_next_free_vgpr 10
		.amdhsa_next_free_sgpr 20
		.amdhsa_accum_offset 12
		.amdhsa_reserve_vcc 1
		.amdhsa_float_round_mode_32 0
		.amdhsa_float_round_mode_16_64 0
		.amdhsa_float_denorm_mode_32 3
		.amdhsa_float_denorm_mode_16_64 3
		.amdhsa_dx10_clamp 1
		.amdhsa_ieee_mode 1
		.amdhsa_fp16_overflow 0
		.amdhsa_tg_split 0
		.amdhsa_exception_fp_ieee_invalid_op 0
		.amdhsa_exception_fp_denorm_src 0
		.amdhsa_exception_fp_ieee_div_zero 0
		.amdhsa_exception_fp_ieee_overflow 0
		.amdhsa_exception_fp_ieee_underflow 0
		.amdhsa_exception_fp_ieee_inexact 0
		.amdhsa_exception_int_div_zero 0
	.end_amdhsa_kernel
	.section	.text._ZN7rocprim17ROCPRIM_400000_NS6detail30init_device_scan_by_key_kernelINS1_19lookback_scan_stateINS0_5tupleIJjbEEELb1ELb1EEEN6thrust23THRUST_200600_302600_NS6detail15normal_iteratorINS8_10device_ptrIjEEEEjNS1_16block_id_wrapperIjLb0EEEEEvT_jjPNSG_10value_typeET0_PNSt15iterator_traitsISJ_E10value_typeEmT1_T2_,"axG",@progbits,_ZN7rocprim17ROCPRIM_400000_NS6detail30init_device_scan_by_key_kernelINS1_19lookback_scan_stateINS0_5tupleIJjbEEELb1ELb1EEEN6thrust23THRUST_200600_302600_NS6detail15normal_iteratorINS8_10device_ptrIjEEEEjNS1_16block_id_wrapperIjLb0EEEEEvT_jjPNSG_10value_typeET0_PNSt15iterator_traitsISJ_E10value_typeEmT1_T2_,comdat
.Lfunc_end1845:
	.size	_ZN7rocprim17ROCPRIM_400000_NS6detail30init_device_scan_by_key_kernelINS1_19lookback_scan_stateINS0_5tupleIJjbEEELb1ELb1EEEN6thrust23THRUST_200600_302600_NS6detail15normal_iteratorINS8_10device_ptrIjEEEEjNS1_16block_id_wrapperIjLb0EEEEEvT_jjPNSG_10value_typeET0_PNSt15iterator_traitsISJ_E10value_typeEmT1_T2_, .Lfunc_end1845-_ZN7rocprim17ROCPRIM_400000_NS6detail30init_device_scan_by_key_kernelINS1_19lookback_scan_stateINS0_5tupleIJjbEEELb1ELb1EEEN6thrust23THRUST_200600_302600_NS6detail15normal_iteratorINS8_10device_ptrIjEEEEjNS1_16block_id_wrapperIjLb0EEEEEvT_jjPNSG_10value_typeET0_PNSt15iterator_traitsISJ_E10value_typeEmT1_T2_
                                        ; -- End function
	.section	.AMDGPU.csdata,"",@progbits
; Kernel info:
; codeLenInByte = 544
; NumSgprs: 26
; NumVgprs: 10
; NumAgprs: 0
; TotalNumVgprs: 10
; ScratchSize: 0
; MemoryBound: 0
; FloatMode: 240
; IeeeMode: 1
; LDSByteSize: 0 bytes/workgroup (compile time only)
; SGPRBlocks: 3
; VGPRBlocks: 1
; NumSGPRsForWavesPerEU: 26
; NumVGPRsForWavesPerEU: 10
; AccumOffset: 12
; Occupancy: 8
; WaveLimiterHint : 0
; COMPUTE_PGM_RSRC2:SCRATCH_EN: 0
; COMPUTE_PGM_RSRC2:USER_SGPR: 2
; COMPUTE_PGM_RSRC2:TRAP_HANDLER: 0
; COMPUTE_PGM_RSRC2:TGID_X_EN: 1
; COMPUTE_PGM_RSRC2:TGID_Y_EN: 0
; COMPUTE_PGM_RSRC2:TGID_Z_EN: 0
; COMPUTE_PGM_RSRC2:TIDIG_COMP_CNT: 0
; COMPUTE_PGM_RSRC3_GFX90A:ACCUM_OFFSET: 2
; COMPUTE_PGM_RSRC3_GFX90A:TG_SPLIT: 0
	.section	.text._ZN7rocprim17ROCPRIM_400000_NS6detail17trampoline_kernelINS0_14default_configENS1_27scan_by_key_config_selectorIjjEEZZNS1_16scan_by_key_implILNS1_25lookback_scan_determinismE0ELb0ES3_N6thrust23THRUST_200600_302600_NS6detail15normal_iteratorINS9_10device_ptrIjEEEESE_SE_jNS9_4plusIvEENS9_8equal_toIvEEjEE10hipError_tPvRmT2_T3_T4_T5_mT6_T7_P12ihipStream_tbENKUlT_T0_E_clISt17integral_constantIbLb1EESY_IbLb0EEEEDaSU_SV_EUlSU_E_NS1_11comp_targetILNS1_3genE0ELNS1_11target_archE4294967295ELNS1_3gpuE0ELNS1_3repE0EEENS1_30default_config_static_selectorELNS0_4arch9wavefront6targetE1EEEvT1_,"axG",@progbits,_ZN7rocprim17ROCPRIM_400000_NS6detail17trampoline_kernelINS0_14default_configENS1_27scan_by_key_config_selectorIjjEEZZNS1_16scan_by_key_implILNS1_25lookback_scan_determinismE0ELb0ES3_N6thrust23THRUST_200600_302600_NS6detail15normal_iteratorINS9_10device_ptrIjEEEESE_SE_jNS9_4plusIvEENS9_8equal_toIvEEjEE10hipError_tPvRmT2_T3_T4_T5_mT6_T7_P12ihipStream_tbENKUlT_T0_E_clISt17integral_constantIbLb1EESY_IbLb0EEEEDaSU_SV_EUlSU_E_NS1_11comp_targetILNS1_3genE0ELNS1_11target_archE4294967295ELNS1_3gpuE0ELNS1_3repE0EEENS1_30default_config_static_selectorELNS0_4arch9wavefront6targetE1EEEvT1_,comdat
	.protected	_ZN7rocprim17ROCPRIM_400000_NS6detail17trampoline_kernelINS0_14default_configENS1_27scan_by_key_config_selectorIjjEEZZNS1_16scan_by_key_implILNS1_25lookback_scan_determinismE0ELb0ES3_N6thrust23THRUST_200600_302600_NS6detail15normal_iteratorINS9_10device_ptrIjEEEESE_SE_jNS9_4plusIvEENS9_8equal_toIvEEjEE10hipError_tPvRmT2_T3_T4_T5_mT6_T7_P12ihipStream_tbENKUlT_T0_E_clISt17integral_constantIbLb1EESY_IbLb0EEEEDaSU_SV_EUlSU_E_NS1_11comp_targetILNS1_3genE0ELNS1_11target_archE4294967295ELNS1_3gpuE0ELNS1_3repE0EEENS1_30default_config_static_selectorELNS0_4arch9wavefront6targetE1EEEvT1_ ; -- Begin function _ZN7rocprim17ROCPRIM_400000_NS6detail17trampoline_kernelINS0_14default_configENS1_27scan_by_key_config_selectorIjjEEZZNS1_16scan_by_key_implILNS1_25lookback_scan_determinismE0ELb0ES3_N6thrust23THRUST_200600_302600_NS6detail15normal_iteratorINS9_10device_ptrIjEEEESE_SE_jNS9_4plusIvEENS9_8equal_toIvEEjEE10hipError_tPvRmT2_T3_T4_T5_mT6_T7_P12ihipStream_tbENKUlT_T0_E_clISt17integral_constantIbLb1EESY_IbLb0EEEEDaSU_SV_EUlSU_E_NS1_11comp_targetILNS1_3genE0ELNS1_11target_archE4294967295ELNS1_3gpuE0ELNS1_3repE0EEENS1_30default_config_static_selectorELNS0_4arch9wavefront6targetE1EEEvT1_
	.globl	_ZN7rocprim17ROCPRIM_400000_NS6detail17trampoline_kernelINS0_14default_configENS1_27scan_by_key_config_selectorIjjEEZZNS1_16scan_by_key_implILNS1_25lookback_scan_determinismE0ELb0ES3_N6thrust23THRUST_200600_302600_NS6detail15normal_iteratorINS9_10device_ptrIjEEEESE_SE_jNS9_4plusIvEENS9_8equal_toIvEEjEE10hipError_tPvRmT2_T3_T4_T5_mT6_T7_P12ihipStream_tbENKUlT_T0_E_clISt17integral_constantIbLb1EESY_IbLb0EEEEDaSU_SV_EUlSU_E_NS1_11comp_targetILNS1_3genE0ELNS1_11target_archE4294967295ELNS1_3gpuE0ELNS1_3repE0EEENS1_30default_config_static_selectorELNS0_4arch9wavefront6targetE1EEEvT1_
	.p2align	8
	.type	_ZN7rocprim17ROCPRIM_400000_NS6detail17trampoline_kernelINS0_14default_configENS1_27scan_by_key_config_selectorIjjEEZZNS1_16scan_by_key_implILNS1_25lookback_scan_determinismE0ELb0ES3_N6thrust23THRUST_200600_302600_NS6detail15normal_iteratorINS9_10device_ptrIjEEEESE_SE_jNS9_4plusIvEENS9_8equal_toIvEEjEE10hipError_tPvRmT2_T3_T4_T5_mT6_T7_P12ihipStream_tbENKUlT_T0_E_clISt17integral_constantIbLb1EESY_IbLb0EEEEDaSU_SV_EUlSU_E_NS1_11comp_targetILNS1_3genE0ELNS1_11target_archE4294967295ELNS1_3gpuE0ELNS1_3repE0EEENS1_30default_config_static_selectorELNS0_4arch9wavefront6targetE1EEEvT1_,@function
_ZN7rocprim17ROCPRIM_400000_NS6detail17trampoline_kernelINS0_14default_configENS1_27scan_by_key_config_selectorIjjEEZZNS1_16scan_by_key_implILNS1_25lookback_scan_determinismE0ELb0ES3_N6thrust23THRUST_200600_302600_NS6detail15normal_iteratorINS9_10device_ptrIjEEEESE_SE_jNS9_4plusIvEENS9_8equal_toIvEEjEE10hipError_tPvRmT2_T3_T4_T5_mT6_T7_P12ihipStream_tbENKUlT_T0_E_clISt17integral_constantIbLb1EESY_IbLb0EEEEDaSU_SV_EUlSU_E_NS1_11comp_targetILNS1_3genE0ELNS1_11target_archE4294967295ELNS1_3gpuE0ELNS1_3repE0EEENS1_30default_config_static_selectorELNS0_4arch9wavefront6targetE1EEEvT1_: ; @_ZN7rocprim17ROCPRIM_400000_NS6detail17trampoline_kernelINS0_14default_configENS1_27scan_by_key_config_selectorIjjEEZZNS1_16scan_by_key_implILNS1_25lookback_scan_determinismE0ELb0ES3_N6thrust23THRUST_200600_302600_NS6detail15normal_iteratorINS9_10device_ptrIjEEEESE_SE_jNS9_4plusIvEENS9_8equal_toIvEEjEE10hipError_tPvRmT2_T3_T4_T5_mT6_T7_P12ihipStream_tbENKUlT_T0_E_clISt17integral_constantIbLb1EESY_IbLb0EEEEDaSU_SV_EUlSU_E_NS1_11comp_targetILNS1_3genE0ELNS1_11target_archE4294967295ELNS1_3gpuE0ELNS1_3repE0EEENS1_30default_config_static_selectorELNS0_4arch9wavefront6targetE1EEEvT1_
; %bb.0:
	.section	.rodata,"a",@progbits
	.p2align	6, 0x0
	.amdhsa_kernel _ZN7rocprim17ROCPRIM_400000_NS6detail17trampoline_kernelINS0_14default_configENS1_27scan_by_key_config_selectorIjjEEZZNS1_16scan_by_key_implILNS1_25lookback_scan_determinismE0ELb0ES3_N6thrust23THRUST_200600_302600_NS6detail15normal_iteratorINS9_10device_ptrIjEEEESE_SE_jNS9_4plusIvEENS9_8equal_toIvEEjEE10hipError_tPvRmT2_T3_T4_T5_mT6_T7_P12ihipStream_tbENKUlT_T0_E_clISt17integral_constantIbLb1EESY_IbLb0EEEEDaSU_SV_EUlSU_E_NS1_11comp_targetILNS1_3genE0ELNS1_11target_archE4294967295ELNS1_3gpuE0ELNS1_3repE0EEENS1_30default_config_static_selectorELNS0_4arch9wavefront6targetE1EEEvT1_
		.amdhsa_group_segment_fixed_size 0
		.amdhsa_private_segment_fixed_size 0
		.amdhsa_kernarg_size 112
		.amdhsa_user_sgpr_count 2
		.amdhsa_user_sgpr_dispatch_ptr 0
		.amdhsa_user_sgpr_queue_ptr 0
		.amdhsa_user_sgpr_kernarg_segment_ptr 1
		.amdhsa_user_sgpr_dispatch_id 0
		.amdhsa_user_sgpr_kernarg_preload_length 0
		.amdhsa_user_sgpr_kernarg_preload_offset 0
		.amdhsa_user_sgpr_private_segment_size 0
		.amdhsa_uses_dynamic_stack 0
		.amdhsa_enable_private_segment 0
		.amdhsa_system_sgpr_workgroup_id_x 1
		.amdhsa_system_sgpr_workgroup_id_y 0
		.amdhsa_system_sgpr_workgroup_id_z 0
		.amdhsa_system_sgpr_workgroup_info 0
		.amdhsa_system_vgpr_workitem_id 0
		.amdhsa_next_free_vgpr 1
		.amdhsa_next_free_sgpr 0
		.amdhsa_accum_offset 4
		.amdhsa_reserve_vcc 0
		.amdhsa_float_round_mode_32 0
		.amdhsa_float_round_mode_16_64 0
		.amdhsa_float_denorm_mode_32 3
		.amdhsa_float_denorm_mode_16_64 3
		.amdhsa_dx10_clamp 1
		.amdhsa_ieee_mode 1
		.amdhsa_fp16_overflow 0
		.amdhsa_tg_split 0
		.amdhsa_exception_fp_ieee_invalid_op 0
		.amdhsa_exception_fp_denorm_src 0
		.amdhsa_exception_fp_ieee_div_zero 0
		.amdhsa_exception_fp_ieee_overflow 0
		.amdhsa_exception_fp_ieee_underflow 0
		.amdhsa_exception_fp_ieee_inexact 0
		.amdhsa_exception_int_div_zero 0
	.end_amdhsa_kernel
	.section	.text._ZN7rocprim17ROCPRIM_400000_NS6detail17trampoline_kernelINS0_14default_configENS1_27scan_by_key_config_selectorIjjEEZZNS1_16scan_by_key_implILNS1_25lookback_scan_determinismE0ELb0ES3_N6thrust23THRUST_200600_302600_NS6detail15normal_iteratorINS9_10device_ptrIjEEEESE_SE_jNS9_4plusIvEENS9_8equal_toIvEEjEE10hipError_tPvRmT2_T3_T4_T5_mT6_T7_P12ihipStream_tbENKUlT_T0_E_clISt17integral_constantIbLb1EESY_IbLb0EEEEDaSU_SV_EUlSU_E_NS1_11comp_targetILNS1_3genE0ELNS1_11target_archE4294967295ELNS1_3gpuE0ELNS1_3repE0EEENS1_30default_config_static_selectorELNS0_4arch9wavefront6targetE1EEEvT1_,"axG",@progbits,_ZN7rocprim17ROCPRIM_400000_NS6detail17trampoline_kernelINS0_14default_configENS1_27scan_by_key_config_selectorIjjEEZZNS1_16scan_by_key_implILNS1_25lookback_scan_determinismE0ELb0ES3_N6thrust23THRUST_200600_302600_NS6detail15normal_iteratorINS9_10device_ptrIjEEEESE_SE_jNS9_4plusIvEENS9_8equal_toIvEEjEE10hipError_tPvRmT2_T3_T4_T5_mT6_T7_P12ihipStream_tbENKUlT_T0_E_clISt17integral_constantIbLb1EESY_IbLb0EEEEDaSU_SV_EUlSU_E_NS1_11comp_targetILNS1_3genE0ELNS1_11target_archE4294967295ELNS1_3gpuE0ELNS1_3repE0EEENS1_30default_config_static_selectorELNS0_4arch9wavefront6targetE1EEEvT1_,comdat
.Lfunc_end1846:
	.size	_ZN7rocprim17ROCPRIM_400000_NS6detail17trampoline_kernelINS0_14default_configENS1_27scan_by_key_config_selectorIjjEEZZNS1_16scan_by_key_implILNS1_25lookback_scan_determinismE0ELb0ES3_N6thrust23THRUST_200600_302600_NS6detail15normal_iteratorINS9_10device_ptrIjEEEESE_SE_jNS9_4plusIvEENS9_8equal_toIvEEjEE10hipError_tPvRmT2_T3_T4_T5_mT6_T7_P12ihipStream_tbENKUlT_T0_E_clISt17integral_constantIbLb1EESY_IbLb0EEEEDaSU_SV_EUlSU_E_NS1_11comp_targetILNS1_3genE0ELNS1_11target_archE4294967295ELNS1_3gpuE0ELNS1_3repE0EEENS1_30default_config_static_selectorELNS0_4arch9wavefront6targetE1EEEvT1_, .Lfunc_end1846-_ZN7rocprim17ROCPRIM_400000_NS6detail17trampoline_kernelINS0_14default_configENS1_27scan_by_key_config_selectorIjjEEZZNS1_16scan_by_key_implILNS1_25lookback_scan_determinismE0ELb0ES3_N6thrust23THRUST_200600_302600_NS6detail15normal_iteratorINS9_10device_ptrIjEEEESE_SE_jNS9_4plusIvEENS9_8equal_toIvEEjEE10hipError_tPvRmT2_T3_T4_T5_mT6_T7_P12ihipStream_tbENKUlT_T0_E_clISt17integral_constantIbLb1EESY_IbLb0EEEEDaSU_SV_EUlSU_E_NS1_11comp_targetILNS1_3genE0ELNS1_11target_archE4294967295ELNS1_3gpuE0ELNS1_3repE0EEENS1_30default_config_static_selectorELNS0_4arch9wavefront6targetE1EEEvT1_
                                        ; -- End function
	.section	.AMDGPU.csdata,"",@progbits
; Kernel info:
; codeLenInByte = 0
; NumSgprs: 6
; NumVgprs: 0
; NumAgprs: 0
; TotalNumVgprs: 0
; ScratchSize: 0
; MemoryBound: 0
; FloatMode: 240
; IeeeMode: 1
; LDSByteSize: 0 bytes/workgroup (compile time only)
; SGPRBlocks: 0
; VGPRBlocks: 0
; NumSGPRsForWavesPerEU: 6
; NumVGPRsForWavesPerEU: 1
; AccumOffset: 4
; Occupancy: 8
; WaveLimiterHint : 0
; COMPUTE_PGM_RSRC2:SCRATCH_EN: 0
; COMPUTE_PGM_RSRC2:USER_SGPR: 2
; COMPUTE_PGM_RSRC2:TRAP_HANDLER: 0
; COMPUTE_PGM_RSRC2:TGID_X_EN: 1
; COMPUTE_PGM_RSRC2:TGID_Y_EN: 0
; COMPUTE_PGM_RSRC2:TGID_Z_EN: 0
; COMPUTE_PGM_RSRC2:TIDIG_COMP_CNT: 0
; COMPUTE_PGM_RSRC3_GFX90A:ACCUM_OFFSET: 0
; COMPUTE_PGM_RSRC3_GFX90A:TG_SPLIT: 0
	.section	.text._ZN7rocprim17ROCPRIM_400000_NS6detail17trampoline_kernelINS0_14default_configENS1_27scan_by_key_config_selectorIjjEEZZNS1_16scan_by_key_implILNS1_25lookback_scan_determinismE0ELb0ES3_N6thrust23THRUST_200600_302600_NS6detail15normal_iteratorINS9_10device_ptrIjEEEESE_SE_jNS9_4plusIvEENS9_8equal_toIvEEjEE10hipError_tPvRmT2_T3_T4_T5_mT6_T7_P12ihipStream_tbENKUlT_T0_E_clISt17integral_constantIbLb1EESY_IbLb0EEEEDaSU_SV_EUlSU_E_NS1_11comp_targetILNS1_3genE10ELNS1_11target_archE1201ELNS1_3gpuE5ELNS1_3repE0EEENS1_30default_config_static_selectorELNS0_4arch9wavefront6targetE1EEEvT1_,"axG",@progbits,_ZN7rocprim17ROCPRIM_400000_NS6detail17trampoline_kernelINS0_14default_configENS1_27scan_by_key_config_selectorIjjEEZZNS1_16scan_by_key_implILNS1_25lookback_scan_determinismE0ELb0ES3_N6thrust23THRUST_200600_302600_NS6detail15normal_iteratorINS9_10device_ptrIjEEEESE_SE_jNS9_4plusIvEENS9_8equal_toIvEEjEE10hipError_tPvRmT2_T3_T4_T5_mT6_T7_P12ihipStream_tbENKUlT_T0_E_clISt17integral_constantIbLb1EESY_IbLb0EEEEDaSU_SV_EUlSU_E_NS1_11comp_targetILNS1_3genE10ELNS1_11target_archE1201ELNS1_3gpuE5ELNS1_3repE0EEENS1_30default_config_static_selectorELNS0_4arch9wavefront6targetE1EEEvT1_,comdat
	.protected	_ZN7rocprim17ROCPRIM_400000_NS6detail17trampoline_kernelINS0_14default_configENS1_27scan_by_key_config_selectorIjjEEZZNS1_16scan_by_key_implILNS1_25lookback_scan_determinismE0ELb0ES3_N6thrust23THRUST_200600_302600_NS6detail15normal_iteratorINS9_10device_ptrIjEEEESE_SE_jNS9_4plusIvEENS9_8equal_toIvEEjEE10hipError_tPvRmT2_T3_T4_T5_mT6_T7_P12ihipStream_tbENKUlT_T0_E_clISt17integral_constantIbLb1EESY_IbLb0EEEEDaSU_SV_EUlSU_E_NS1_11comp_targetILNS1_3genE10ELNS1_11target_archE1201ELNS1_3gpuE5ELNS1_3repE0EEENS1_30default_config_static_selectorELNS0_4arch9wavefront6targetE1EEEvT1_ ; -- Begin function _ZN7rocprim17ROCPRIM_400000_NS6detail17trampoline_kernelINS0_14default_configENS1_27scan_by_key_config_selectorIjjEEZZNS1_16scan_by_key_implILNS1_25lookback_scan_determinismE0ELb0ES3_N6thrust23THRUST_200600_302600_NS6detail15normal_iteratorINS9_10device_ptrIjEEEESE_SE_jNS9_4plusIvEENS9_8equal_toIvEEjEE10hipError_tPvRmT2_T3_T4_T5_mT6_T7_P12ihipStream_tbENKUlT_T0_E_clISt17integral_constantIbLb1EESY_IbLb0EEEEDaSU_SV_EUlSU_E_NS1_11comp_targetILNS1_3genE10ELNS1_11target_archE1201ELNS1_3gpuE5ELNS1_3repE0EEENS1_30default_config_static_selectorELNS0_4arch9wavefront6targetE1EEEvT1_
	.globl	_ZN7rocprim17ROCPRIM_400000_NS6detail17trampoline_kernelINS0_14default_configENS1_27scan_by_key_config_selectorIjjEEZZNS1_16scan_by_key_implILNS1_25lookback_scan_determinismE0ELb0ES3_N6thrust23THRUST_200600_302600_NS6detail15normal_iteratorINS9_10device_ptrIjEEEESE_SE_jNS9_4plusIvEENS9_8equal_toIvEEjEE10hipError_tPvRmT2_T3_T4_T5_mT6_T7_P12ihipStream_tbENKUlT_T0_E_clISt17integral_constantIbLb1EESY_IbLb0EEEEDaSU_SV_EUlSU_E_NS1_11comp_targetILNS1_3genE10ELNS1_11target_archE1201ELNS1_3gpuE5ELNS1_3repE0EEENS1_30default_config_static_selectorELNS0_4arch9wavefront6targetE1EEEvT1_
	.p2align	8
	.type	_ZN7rocprim17ROCPRIM_400000_NS6detail17trampoline_kernelINS0_14default_configENS1_27scan_by_key_config_selectorIjjEEZZNS1_16scan_by_key_implILNS1_25lookback_scan_determinismE0ELb0ES3_N6thrust23THRUST_200600_302600_NS6detail15normal_iteratorINS9_10device_ptrIjEEEESE_SE_jNS9_4plusIvEENS9_8equal_toIvEEjEE10hipError_tPvRmT2_T3_T4_T5_mT6_T7_P12ihipStream_tbENKUlT_T0_E_clISt17integral_constantIbLb1EESY_IbLb0EEEEDaSU_SV_EUlSU_E_NS1_11comp_targetILNS1_3genE10ELNS1_11target_archE1201ELNS1_3gpuE5ELNS1_3repE0EEENS1_30default_config_static_selectorELNS0_4arch9wavefront6targetE1EEEvT1_,@function
_ZN7rocprim17ROCPRIM_400000_NS6detail17trampoline_kernelINS0_14default_configENS1_27scan_by_key_config_selectorIjjEEZZNS1_16scan_by_key_implILNS1_25lookback_scan_determinismE0ELb0ES3_N6thrust23THRUST_200600_302600_NS6detail15normal_iteratorINS9_10device_ptrIjEEEESE_SE_jNS9_4plusIvEENS9_8equal_toIvEEjEE10hipError_tPvRmT2_T3_T4_T5_mT6_T7_P12ihipStream_tbENKUlT_T0_E_clISt17integral_constantIbLb1EESY_IbLb0EEEEDaSU_SV_EUlSU_E_NS1_11comp_targetILNS1_3genE10ELNS1_11target_archE1201ELNS1_3gpuE5ELNS1_3repE0EEENS1_30default_config_static_selectorELNS0_4arch9wavefront6targetE1EEEvT1_: ; @_ZN7rocprim17ROCPRIM_400000_NS6detail17trampoline_kernelINS0_14default_configENS1_27scan_by_key_config_selectorIjjEEZZNS1_16scan_by_key_implILNS1_25lookback_scan_determinismE0ELb0ES3_N6thrust23THRUST_200600_302600_NS6detail15normal_iteratorINS9_10device_ptrIjEEEESE_SE_jNS9_4plusIvEENS9_8equal_toIvEEjEE10hipError_tPvRmT2_T3_T4_T5_mT6_T7_P12ihipStream_tbENKUlT_T0_E_clISt17integral_constantIbLb1EESY_IbLb0EEEEDaSU_SV_EUlSU_E_NS1_11comp_targetILNS1_3genE10ELNS1_11target_archE1201ELNS1_3gpuE5ELNS1_3repE0EEENS1_30default_config_static_selectorELNS0_4arch9wavefront6targetE1EEEvT1_
; %bb.0:
	.section	.rodata,"a",@progbits
	.p2align	6, 0x0
	.amdhsa_kernel _ZN7rocprim17ROCPRIM_400000_NS6detail17trampoline_kernelINS0_14default_configENS1_27scan_by_key_config_selectorIjjEEZZNS1_16scan_by_key_implILNS1_25lookback_scan_determinismE0ELb0ES3_N6thrust23THRUST_200600_302600_NS6detail15normal_iteratorINS9_10device_ptrIjEEEESE_SE_jNS9_4plusIvEENS9_8equal_toIvEEjEE10hipError_tPvRmT2_T3_T4_T5_mT6_T7_P12ihipStream_tbENKUlT_T0_E_clISt17integral_constantIbLb1EESY_IbLb0EEEEDaSU_SV_EUlSU_E_NS1_11comp_targetILNS1_3genE10ELNS1_11target_archE1201ELNS1_3gpuE5ELNS1_3repE0EEENS1_30default_config_static_selectorELNS0_4arch9wavefront6targetE1EEEvT1_
		.amdhsa_group_segment_fixed_size 0
		.amdhsa_private_segment_fixed_size 0
		.amdhsa_kernarg_size 112
		.amdhsa_user_sgpr_count 2
		.amdhsa_user_sgpr_dispatch_ptr 0
		.amdhsa_user_sgpr_queue_ptr 0
		.amdhsa_user_sgpr_kernarg_segment_ptr 1
		.amdhsa_user_sgpr_dispatch_id 0
		.amdhsa_user_sgpr_kernarg_preload_length 0
		.amdhsa_user_sgpr_kernarg_preload_offset 0
		.amdhsa_user_sgpr_private_segment_size 0
		.amdhsa_uses_dynamic_stack 0
		.amdhsa_enable_private_segment 0
		.amdhsa_system_sgpr_workgroup_id_x 1
		.amdhsa_system_sgpr_workgroup_id_y 0
		.amdhsa_system_sgpr_workgroup_id_z 0
		.amdhsa_system_sgpr_workgroup_info 0
		.amdhsa_system_vgpr_workitem_id 0
		.amdhsa_next_free_vgpr 1
		.amdhsa_next_free_sgpr 0
		.amdhsa_accum_offset 4
		.amdhsa_reserve_vcc 0
		.amdhsa_float_round_mode_32 0
		.amdhsa_float_round_mode_16_64 0
		.amdhsa_float_denorm_mode_32 3
		.amdhsa_float_denorm_mode_16_64 3
		.amdhsa_dx10_clamp 1
		.amdhsa_ieee_mode 1
		.amdhsa_fp16_overflow 0
		.amdhsa_tg_split 0
		.amdhsa_exception_fp_ieee_invalid_op 0
		.amdhsa_exception_fp_denorm_src 0
		.amdhsa_exception_fp_ieee_div_zero 0
		.amdhsa_exception_fp_ieee_overflow 0
		.amdhsa_exception_fp_ieee_underflow 0
		.amdhsa_exception_fp_ieee_inexact 0
		.amdhsa_exception_int_div_zero 0
	.end_amdhsa_kernel
	.section	.text._ZN7rocprim17ROCPRIM_400000_NS6detail17trampoline_kernelINS0_14default_configENS1_27scan_by_key_config_selectorIjjEEZZNS1_16scan_by_key_implILNS1_25lookback_scan_determinismE0ELb0ES3_N6thrust23THRUST_200600_302600_NS6detail15normal_iteratorINS9_10device_ptrIjEEEESE_SE_jNS9_4plusIvEENS9_8equal_toIvEEjEE10hipError_tPvRmT2_T3_T4_T5_mT6_T7_P12ihipStream_tbENKUlT_T0_E_clISt17integral_constantIbLb1EESY_IbLb0EEEEDaSU_SV_EUlSU_E_NS1_11comp_targetILNS1_3genE10ELNS1_11target_archE1201ELNS1_3gpuE5ELNS1_3repE0EEENS1_30default_config_static_selectorELNS0_4arch9wavefront6targetE1EEEvT1_,"axG",@progbits,_ZN7rocprim17ROCPRIM_400000_NS6detail17trampoline_kernelINS0_14default_configENS1_27scan_by_key_config_selectorIjjEEZZNS1_16scan_by_key_implILNS1_25lookback_scan_determinismE0ELb0ES3_N6thrust23THRUST_200600_302600_NS6detail15normal_iteratorINS9_10device_ptrIjEEEESE_SE_jNS9_4plusIvEENS9_8equal_toIvEEjEE10hipError_tPvRmT2_T3_T4_T5_mT6_T7_P12ihipStream_tbENKUlT_T0_E_clISt17integral_constantIbLb1EESY_IbLb0EEEEDaSU_SV_EUlSU_E_NS1_11comp_targetILNS1_3genE10ELNS1_11target_archE1201ELNS1_3gpuE5ELNS1_3repE0EEENS1_30default_config_static_selectorELNS0_4arch9wavefront6targetE1EEEvT1_,comdat
.Lfunc_end1847:
	.size	_ZN7rocprim17ROCPRIM_400000_NS6detail17trampoline_kernelINS0_14default_configENS1_27scan_by_key_config_selectorIjjEEZZNS1_16scan_by_key_implILNS1_25lookback_scan_determinismE0ELb0ES3_N6thrust23THRUST_200600_302600_NS6detail15normal_iteratorINS9_10device_ptrIjEEEESE_SE_jNS9_4plusIvEENS9_8equal_toIvEEjEE10hipError_tPvRmT2_T3_T4_T5_mT6_T7_P12ihipStream_tbENKUlT_T0_E_clISt17integral_constantIbLb1EESY_IbLb0EEEEDaSU_SV_EUlSU_E_NS1_11comp_targetILNS1_3genE10ELNS1_11target_archE1201ELNS1_3gpuE5ELNS1_3repE0EEENS1_30default_config_static_selectorELNS0_4arch9wavefront6targetE1EEEvT1_, .Lfunc_end1847-_ZN7rocprim17ROCPRIM_400000_NS6detail17trampoline_kernelINS0_14default_configENS1_27scan_by_key_config_selectorIjjEEZZNS1_16scan_by_key_implILNS1_25lookback_scan_determinismE0ELb0ES3_N6thrust23THRUST_200600_302600_NS6detail15normal_iteratorINS9_10device_ptrIjEEEESE_SE_jNS9_4plusIvEENS9_8equal_toIvEEjEE10hipError_tPvRmT2_T3_T4_T5_mT6_T7_P12ihipStream_tbENKUlT_T0_E_clISt17integral_constantIbLb1EESY_IbLb0EEEEDaSU_SV_EUlSU_E_NS1_11comp_targetILNS1_3genE10ELNS1_11target_archE1201ELNS1_3gpuE5ELNS1_3repE0EEENS1_30default_config_static_selectorELNS0_4arch9wavefront6targetE1EEEvT1_
                                        ; -- End function
	.section	.AMDGPU.csdata,"",@progbits
; Kernel info:
; codeLenInByte = 0
; NumSgprs: 6
; NumVgprs: 0
; NumAgprs: 0
; TotalNumVgprs: 0
; ScratchSize: 0
; MemoryBound: 0
; FloatMode: 240
; IeeeMode: 1
; LDSByteSize: 0 bytes/workgroup (compile time only)
; SGPRBlocks: 0
; VGPRBlocks: 0
; NumSGPRsForWavesPerEU: 6
; NumVGPRsForWavesPerEU: 1
; AccumOffset: 4
; Occupancy: 8
; WaveLimiterHint : 0
; COMPUTE_PGM_RSRC2:SCRATCH_EN: 0
; COMPUTE_PGM_RSRC2:USER_SGPR: 2
; COMPUTE_PGM_RSRC2:TRAP_HANDLER: 0
; COMPUTE_PGM_RSRC2:TGID_X_EN: 1
; COMPUTE_PGM_RSRC2:TGID_Y_EN: 0
; COMPUTE_PGM_RSRC2:TGID_Z_EN: 0
; COMPUTE_PGM_RSRC2:TIDIG_COMP_CNT: 0
; COMPUTE_PGM_RSRC3_GFX90A:ACCUM_OFFSET: 0
; COMPUTE_PGM_RSRC3_GFX90A:TG_SPLIT: 0
	.section	.text._ZN7rocprim17ROCPRIM_400000_NS6detail17trampoline_kernelINS0_14default_configENS1_27scan_by_key_config_selectorIjjEEZZNS1_16scan_by_key_implILNS1_25lookback_scan_determinismE0ELb0ES3_N6thrust23THRUST_200600_302600_NS6detail15normal_iteratorINS9_10device_ptrIjEEEESE_SE_jNS9_4plusIvEENS9_8equal_toIvEEjEE10hipError_tPvRmT2_T3_T4_T5_mT6_T7_P12ihipStream_tbENKUlT_T0_E_clISt17integral_constantIbLb1EESY_IbLb0EEEEDaSU_SV_EUlSU_E_NS1_11comp_targetILNS1_3genE5ELNS1_11target_archE942ELNS1_3gpuE9ELNS1_3repE0EEENS1_30default_config_static_selectorELNS0_4arch9wavefront6targetE1EEEvT1_,"axG",@progbits,_ZN7rocprim17ROCPRIM_400000_NS6detail17trampoline_kernelINS0_14default_configENS1_27scan_by_key_config_selectorIjjEEZZNS1_16scan_by_key_implILNS1_25lookback_scan_determinismE0ELb0ES3_N6thrust23THRUST_200600_302600_NS6detail15normal_iteratorINS9_10device_ptrIjEEEESE_SE_jNS9_4plusIvEENS9_8equal_toIvEEjEE10hipError_tPvRmT2_T3_T4_T5_mT6_T7_P12ihipStream_tbENKUlT_T0_E_clISt17integral_constantIbLb1EESY_IbLb0EEEEDaSU_SV_EUlSU_E_NS1_11comp_targetILNS1_3genE5ELNS1_11target_archE942ELNS1_3gpuE9ELNS1_3repE0EEENS1_30default_config_static_selectorELNS0_4arch9wavefront6targetE1EEEvT1_,comdat
	.protected	_ZN7rocprim17ROCPRIM_400000_NS6detail17trampoline_kernelINS0_14default_configENS1_27scan_by_key_config_selectorIjjEEZZNS1_16scan_by_key_implILNS1_25lookback_scan_determinismE0ELb0ES3_N6thrust23THRUST_200600_302600_NS6detail15normal_iteratorINS9_10device_ptrIjEEEESE_SE_jNS9_4plusIvEENS9_8equal_toIvEEjEE10hipError_tPvRmT2_T3_T4_T5_mT6_T7_P12ihipStream_tbENKUlT_T0_E_clISt17integral_constantIbLb1EESY_IbLb0EEEEDaSU_SV_EUlSU_E_NS1_11comp_targetILNS1_3genE5ELNS1_11target_archE942ELNS1_3gpuE9ELNS1_3repE0EEENS1_30default_config_static_selectorELNS0_4arch9wavefront6targetE1EEEvT1_ ; -- Begin function _ZN7rocprim17ROCPRIM_400000_NS6detail17trampoline_kernelINS0_14default_configENS1_27scan_by_key_config_selectorIjjEEZZNS1_16scan_by_key_implILNS1_25lookback_scan_determinismE0ELb0ES3_N6thrust23THRUST_200600_302600_NS6detail15normal_iteratorINS9_10device_ptrIjEEEESE_SE_jNS9_4plusIvEENS9_8equal_toIvEEjEE10hipError_tPvRmT2_T3_T4_T5_mT6_T7_P12ihipStream_tbENKUlT_T0_E_clISt17integral_constantIbLb1EESY_IbLb0EEEEDaSU_SV_EUlSU_E_NS1_11comp_targetILNS1_3genE5ELNS1_11target_archE942ELNS1_3gpuE9ELNS1_3repE0EEENS1_30default_config_static_selectorELNS0_4arch9wavefront6targetE1EEEvT1_
	.globl	_ZN7rocprim17ROCPRIM_400000_NS6detail17trampoline_kernelINS0_14default_configENS1_27scan_by_key_config_selectorIjjEEZZNS1_16scan_by_key_implILNS1_25lookback_scan_determinismE0ELb0ES3_N6thrust23THRUST_200600_302600_NS6detail15normal_iteratorINS9_10device_ptrIjEEEESE_SE_jNS9_4plusIvEENS9_8equal_toIvEEjEE10hipError_tPvRmT2_T3_T4_T5_mT6_T7_P12ihipStream_tbENKUlT_T0_E_clISt17integral_constantIbLb1EESY_IbLb0EEEEDaSU_SV_EUlSU_E_NS1_11comp_targetILNS1_3genE5ELNS1_11target_archE942ELNS1_3gpuE9ELNS1_3repE0EEENS1_30default_config_static_selectorELNS0_4arch9wavefront6targetE1EEEvT1_
	.p2align	8
	.type	_ZN7rocprim17ROCPRIM_400000_NS6detail17trampoline_kernelINS0_14default_configENS1_27scan_by_key_config_selectorIjjEEZZNS1_16scan_by_key_implILNS1_25lookback_scan_determinismE0ELb0ES3_N6thrust23THRUST_200600_302600_NS6detail15normal_iteratorINS9_10device_ptrIjEEEESE_SE_jNS9_4plusIvEENS9_8equal_toIvEEjEE10hipError_tPvRmT2_T3_T4_T5_mT6_T7_P12ihipStream_tbENKUlT_T0_E_clISt17integral_constantIbLb1EESY_IbLb0EEEEDaSU_SV_EUlSU_E_NS1_11comp_targetILNS1_3genE5ELNS1_11target_archE942ELNS1_3gpuE9ELNS1_3repE0EEENS1_30default_config_static_selectorELNS0_4arch9wavefront6targetE1EEEvT1_,@function
_ZN7rocprim17ROCPRIM_400000_NS6detail17trampoline_kernelINS0_14default_configENS1_27scan_by_key_config_selectorIjjEEZZNS1_16scan_by_key_implILNS1_25lookback_scan_determinismE0ELb0ES3_N6thrust23THRUST_200600_302600_NS6detail15normal_iteratorINS9_10device_ptrIjEEEESE_SE_jNS9_4plusIvEENS9_8equal_toIvEEjEE10hipError_tPvRmT2_T3_T4_T5_mT6_T7_P12ihipStream_tbENKUlT_T0_E_clISt17integral_constantIbLb1EESY_IbLb0EEEEDaSU_SV_EUlSU_E_NS1_11comp_targetILNS1_3genE5ELNS1_11target_archE942ELNS1_3gpuE9ELNS1_3repE0EEENS1_30default_config_static_selectorELNS0_4arch9wavefront6targetE1EEEvT1_: ; @_ZN7rocprim17ROCPRIM_400000_NS6detail17trampoline_kernelINS0_14default_configENS1_27scan_by_key_config_selectorIjjEEZZNS1_16scan_by_key_implILNS1_25lookback_scan_determinismE0ELb0ES3_N6thrust23THRUST_200600_302600_NS6detail15normal_iteratorINS9_10device_ptrIjEEEESE_SE_jNS9_4plusIvEENS9_8equal_toIvEEjEE10hipError_tPvRmT2_T3_T4_T5_mT6_T7_P12ihipStream_tbENKUlT_T0_E_clISt17integral_constantIbLb1EESY_IbLb0EEEEDaSU_SV_EUlSU_E_NS1_11comp_targetILNS1_3genE5ELNS1_11target_archE942ELNS1_3gpuE9ELNS1_3repE0EEENS1_30default_config_static_selectorELNS0_4arch9wavefront6targetE1EEEvT1_
; %bb.0:
	s_load_dwordx8 s[52:59], s[0:1], 0x0
	s_load_dwordx4 s[68:71], s[0:1], 0x28
	s_load_dwordx2 s[74:75], s[0:1], 0x38
	s_load_dword s3, s[0:1], 0x40
	s_load_dwordx8 s[60:67], s[0:1], 0x48
	s_waitcnt lgkmcnt(0)
	s_lshl_b64 s[72:73], s[54:55], 2
	s_add_u32 s4, s52, s72
	s_addc_u32 s5, s53, s73
	s_add_u32 s6, s56, s72
	s_mul_i32 s0, s75, s3
	s_mul_hi_u32 s1, s74, s3
	s_addc_u32 s7, s57, s73
	s_add_i32 s8, s1, s0
	s_cmp_lg_u64 s[64:65], 0
	s_mul_i32 s0, s2, 0x1700
	s_mov_b32 s1, 0
	s_cselect_b64 s[64:65], -1, 0
	s_lshl_b64 s[56:57], s[0:1], 2
	s_add_u32 s54, s4, s56
	s_addc_u32 s55, s5, s57
	s_add_u32 s52, s6, s56
	s_mul_i32 s3, s74, s3
	s_addc_u32 s53, s7, s57
	s_add_u32 s76, s3, s2
	s_addc_u32 s77, s8, 0
	s_add_u32 s4, s60, -1
	s_addc_u32 s5, s61, -1
	v_mov_b64_e32 v[2:3], s[4:5]
	v_cmp_ge_u64_e64 s[0:1], s[76:77], v[2:3]
	s_mov_b64 s[10:11], 0
	s_mov_b64 s[6:7], -1
	s_and_b64 vcc, exec, s[0:1]
	s_mul_i32 s33, s4, 0xffffe900
	s_barrier
	s_cbranch_vccz .LBB1848_122
; %bb.1:
	v_mov_b64_e32 v[2:3], s[54:55]
	flat_load_dword v1, v[2:3]
	s_add_i32 s3, s33, s70
	v_cmp_gt_u32_e64 s[50:51], s3, v0
	s_waitcnt vmcnt(0) lgkmcnt(0)
	v_mov_b32_e32 v3, v1
	s_and_saveexec_b64 s[4:5], s[50:51]
	s_cbranch_execz .LBB1848_3
; %bb.2:
	v_lshlrev_b32_e32 v2, 2, v0
	v_mov_b32_e32 v3, 0
	v_lshl_add_u64 v[2:3], s[54:55], 0, v[2:3]
	flat_load_dword v3, v[2:3]
.LBB1848_3:
	s_or_b64 exec, exec, s[4:5]
	v_or_b32_e32 v2, 0x100, v0
	v_cmp_gt_u32_e64 s[4:5], s3, v2
	v_mov_b32_e32 v4, v1
	s_and_saveexec_b64 s[6:7], s[4:5]
	s_cbranch_execz .LBB1848_5
; %bb.4:
	v_lshlrev_b32_e32 v4, 2, v0
	v_mov_b32_e32 v5, 0
	v_lshl_add_u64 v[4:5], s[54:55], 0, v[4:5]
	flat_load_dword v4, v[4:5] offset:1024
.LBB1848_5:
	s_or_b64 exec, exec, s[6:7]
	v_or_b32_e32 v2, 0x200, v0
	v_cmp_gt_u32_e64 s[6:7], s3, v2
	v_mov_b32_e32 v5, v1
	s_and_saveexec_b64 s[8:9], s[6:7]
	s_cbranch_execz .LBB1848_7
; %bb.6:
	v_lshlrev_b32_e32 v6, 2, v0
	v_mov_b32_e32 v7, 0
	v_lshl_add_u64 v[6:7], s[54:55], 0, v[6:7]
	flat_load_dword v5, v[6:7] offset:2048
.LBB1848_7:
	;; [unrolled: 12-line block ×3, first 2 shown]
	s_or_b64 exec, exec, s[10:11]
	v_or_b32_e32 v10, 0x400, v0
	v_cmp_gt_u32_e64 s[10:11], s3, v10
	v_mov_b32_e32 v7, v1
	s_and_saveexec_b64 s[12:13], s[10:11]
	s_cbranch_execz .LBB1848_11
; %bb.10:
	v_lshlrev_b32_e32 v8, 2, v10
	v_mov_b32_e32 v9, 0
	v_lshl_add_u64 v[8:9], s[54:55], 0, v[8:9]
	flat_load_dword v7, v[8:9]
.LBB1848_11:
	s_or_b64 exec, exec, s[12:13]
	v_or_b32_e32 v11, 0x500, v0
	v_cmp_gt_u32_e64 s[12:13], s3, v11
	v_mov_b32_e32 v8, v1
	s_and_saveexec_b64 s[14:15], s[12:13]
	s_cbranch_execz .LBB1848_13
; %bb.12:
	v_lshlrev_b32_e32 v8, 2, v11
	v_mov_b32_e32 v9, 0
	v_lshl_add_u64 v[8:9], s[54:55], 0, v[8:9]
	flat_load_dword v8, v[8:9]
.LBB1848_13:
	;; [unrolled: 12-line block ×18, first 2 shown]
	s_or_b64 exec, exec, s[48:49]
	v_or_b32_e32 v28, 0x1600, v0
	v_cmp_gt_u32_e64 s[48:49], s3, v28
	s_and_saveexec_b64 s[60:61], s[48:49]
	s_cbranch_execz .LBB1848_47
; %bb.46:
	v_lshlrev_b32_e32 v44, 2, v28
	v_mov_b32_e32 v45, 0
	v_lshl_add_u64 v[44:45], s[54:55], 0, v[44:45]
	flat_load_dword v1, v[44:45]
.LBB1848_47:
	s_or_b64 exec, exec, s[60:61]
	v_lshlrev_b32_e32 v2, 2, v0
	s_movk_i32 s60, 0x58
	s_waitcnt vmcnt(0) lgkmcnt(0)
	ds_write2st64_b32 v2, v3, v4 offset1:4
	ds_write2st64_b32 v2, v5, v6 offset0:8 offset1:12
	ds_write2st64_b32 v2, v7, v8 offset0:16 offset1:20
	;; [unrolled: 1-line block ×10, first 2 shown]
	ds_write_b32 v2, v1 offset:22528
	v_mad_u32_u24 v1, v0, s60, v2
	s_waitcnt lgkmcnt(0)
	s_barrier
	ds_read2_b32 v[68:69], v1 offset1:1
	ds_read2_b32 v[66:67], v1 offset0:2 offset1:3
	ds_read2_b32 v[64:65], v1 offset0:4 offset1:5
	;; [unrolled: 1-line block ×10, first 2 shown]
	ds_read_b32 v72, v1 offset:88
	s_cmp_eq_u64 s[76:77], 0
	s_mov_b64 s[60:61], s[54:55]
	s_cbranch_scc1 .LBB1848_51
; %bb.48:
	s_andn2_b64 vcc, exec, s[64:65]
	s_cbranch_vccnz .LBB1848_267
; %bb.49:
	s_lshl_b64 s[60:61], s[76:77], 2
	s_add_u32 s60, s66, s60
	s_addc_u32 s61, s67, s61
	s_add_u32 s60, s60, -4
	s_addc_u32 s61, s61, -1
	s_cbranch_execnz .LBB1848_51
.LBB1848_50:
	s_add_u32 s60, s54, -4
	s_addc_u32 s61, s55, -1
.LBB1848_51:
	v_mov_b64_e32 v[30:31], s[60:61]
	flat_load_dword v70, v[30:31]
	s_movk_i32 s60, 0xffa8
	v_mad_i32_i24 v3, v0, s60, v1
	v_cmp_ne_u32_e32 vcc, 0, v0
	s_waitcnt lgkmcnt(0)
	ds_write_b32 v3, v72 offset:23552
	s_waitcnt lgkmcnt(0)
	s_barrier
	s_and_saveexec_b64 s[60:61], vcc
	s_cbranch_execz .LBB1848_53
; %bb.52:
	v_mul_i32_i24_e32 v3, 0xffffffa8, v0
	v_add_u32_e32 v3, v1, v3
	s_waitcnt vmcnt(0)
	ds_read_b32 v70, v3 offset:23548
.LBB1848_53:
	s_or_b64 exec, exec, s[60:61]
	v_mov_b32_e32 v3, 0
	s_waitcnt lgkmcnt(0)
	s_barrier
	s_waitcnt lgkmcnt(0)
                                        ; implicit-def: $vgpr29
	s_and_saveexec_b64 s[60:61], s[50:51]
	s_cbranch_execnz .LBB1848_243
; %bb.54:
	s_or_b64 exec, exec, s[60:61]
                                        ; implicit-def: $vgpr30
	s_and_saveexec_b64 s[50:51], s[4:5]
	s_cbranch_execnz .LBB1848_244
.LBB1848_55:
	s_or_b64 exec, exec, s[50:51]
                                        ; implicit-def: $vgpr31
	s_and_saveexec_b64 s[4:5], s[6:7]
	s_cbranch_execnz .LBB1848_245
.LBB1848_56:
	s_or_b64 exec, exec, s[4:5]
                                        ; implicit-def: $vgpr3
	s_and_saveexec_b64 s[4:5], s[8:9]
	s_cbranch_execnz .LBB1848_246
.LBB1848_57:
	s_or_b64 exec, exec, s[4:5]
                                        ; implicit-def: $vgpr32
	s_and_saveexec_b64 s[4:5], s[10:11]
	s_cbranch_execnz .LBB1848_247
.LBB1848_58:
	s_or_b64 exec, exec, s[4:5]
                                        ; implicit-def: $vgpr10
	s_and_saveexec_b64 s[4:5], s[12:13]
	s_cbranch_execnz .LBB1848_248
.LBB1848_59:
	s_or_b64 exec, exec, s[4:5]
                                        ; implicit-def: $vgpr11
	s_and_saveexec_b64 s[4:5], s[14:15]
	s_cbranch_execnz .LBB1848_249
.LBB1848_60:
	s_or_b64 exec, exec, s[4:5]
                                        ; implicit-def: $vgpr12
	s_and_saveexec_b64 s[4:5], s[16:17]
	s_cbranch_execnz .LBB1848_250
.LBB1848_61:
	s_or_b64 exec, exec, s[4:5]
                                        ; implicit-def: $vgpr13
	s_and_saveexec_b64 s[4:5], s[18:19]
	s_cbranch_execnz .LBB1848_251
.LBB1848_62:
	s_or_b64 exec, exec, s[4:5]
                                        ; implicit-def: $vgpr14
	s_and_saveexec_b64 s[4:5], s[20:21]
	s_cbranch_execnz .LBB1848_252
.LBB1848_63:
	s_or_b64 exec, exec, s[4:5]
                                        ; implicit-def: $vgpr15
	s_and_saveexec_b64 s[4:5], s[22:23]
	s_cbranch_execnz .LBB1848_253
.LBB1848_64:
	s_or_b64 exec, exec, s[4:5]
                                        ; implicit-def: $vgpr16
	s_and_saveexec_b64 s[4:5], s[24:25]
	s_cbranch_execnz .LBB1848_254
.LBB1848_65:
	s_or_b64 exec, exec, s[4:5]
                                        ; implicit-def: $vgpr17
	s_and_saveexec_b64 s[4:5], s[26:27]
	s_cbranch_execnz .LBB1848_255
.LBB1848_66:
	s_or_b64 exec, exec, s[4:5]
                                        ; implicit-def: $vgpr18
	s_and_saveexec_b64 s[4:5], s[28:29]
	s_cbranch_execnz .LBB1848_256
.LBB1848_67:
	s_or_b64 exec, exec, s[4:5]
                                        ; implicit-def: $vgpr19
	s_and_saveexec_b64 s[4:5], s[30:31]
	s_cbranch_execnz .LBB1848_257
.LBB1848_68:
	s_or_b64 exec, exec, s[4:5]
                                        ; implicit-def: $vgpr20
	s_and_saveexec_b64 s[4:5], s[34:35]
	s_cbranch_execnz .LBB1848_258
.LBB1848_69:
	s_or_b64 exec, exec, s[4:5]
                                        ; implicit-def: $vgpr21
	s_and_saveexec_b64 s[4:5], s[36:37]
	s_cbranch_execnz .LBB1848_259
.LBB1848_70:
	s_or_b64 exec, exec, s[4:5]
                                        ; implicit-def: $vgpr22
	s_and_saveexec_b64 s[4:5], s[38:39]
	s_cbranch_execnz .LBB1848_260
.LBB1848_71:
	s_or_b64 exec, exec, s[4:5]
                                        ; implicit-def: $vgpr23
	s_and_saveexec_b64 s[4:5], s[40:41]
	s_cbranch_execnz .LBB1848_261
.LBB1848_72:
	s_or_b64 exec, exec, s[4:5]
                                        ; implicit-def: $vgpr24
	s_and_saveexec_b64 s[4:5], s[42:43]
	s_cbranch_execnz .LBB1848_262
.LBB1848_73:
	s_or_b64 exec, exec, s[4:5]
                                        ; implicit-def: $vgpr25
	s_and_saveexec_b64 s[4:5], s[44:45]
	s_cbranch_execnz .LBB1848_263
.LBB1848_74:
	s_or_b64 exec, exec, s[4:5]
                                        ; implicit-def: $vgpr26
	s_and_saveexec_b64 s[4:5], s[46:47]
	s_cbranch_execnz .LBB1848_264
.LBB1848_75:
	s_or_b64 exec, exec, s[4:5]
                                        ; implicit-def: $vgpr27
	s_and_saveexec_b64 s[4:5], s[48:49]
	s_cbranch_execz .LBB1848_77
.LBB1848_76:
	v_lshlrev_b32_e32 v34, 2, v28
	v_mov_b32_e32 v35, 0
	v_lshl_add_u64 v[34:35], s[52:53], 0, v[34:35]
	flat_load_dword v27, v[34:35]
.LBB1848_77:
	s_or_b64 exec, exec, s[4:5]
	v_mul_u32_u24_e32 v73, 23, v0
	s_waitcnt vmcnt(0) lgkmcnt(0)
	ds_write2st64_b32 v2, v29, v30 offset1:4
	ds_write2st64_b32 v2, v31, v3 offset0:8 offset1:12
	ds_write2st64_b32 v2, v32, v10 offset0:16 offset1:20
	;; [unrolled: 1-line block ×10, first 2 shown]
	ds_write_b32 v2, v27 offset:22528
	v_mov_b64_e32 v[10:11], 0
	v_cmp_gt_u32_e32 vcc, s3, v73
	s_mov_b64 s[10:11], 0
	s_mov_b64 s[6:7], 0
	v_mov_b64_e32 v[12:13], v[10:11]
	v_mov_b64_e32 v[14:15], v[10:11]
	;; [unrolled: 1-line block ×21, first 2 shown]
	s_waitcnt lgkmcnt(0)
	s_barrier
	s_waitcnt lgkmcnt(0)
                                        ; implicit-def: $sgpr4_sgpr5
                                        ; implicit-def: $vgpr3
	s_and_saveexec_b64 s[8:9], vcc
	s_cbranch_execz .LBB1848_121
; %bb.78:
	ds_read_b32 v10, v1
	v_add_u32_e32 v2, 1, v73
	v_cmp_ne_u32_e32 vcc, v70, v68
	v_mov_b64_e32 v[12:13], 0
	s_mov_b64 s[12:13], 0
	v_cndmask_b32_e64 v11, 0, 1, vcc
	v_cmp_gt_u32_e32 vcc, s3, v2
	s_mov_b64 s[4:5], 0
	v_mov_b64_e32 v[14:15], v[12:13]
	v_mov_b64_e32 v[16:17], v[12:13]
	v_mov_b64_e32 v[18:19], v[12:13]
	v_mov_b64_e32 v[20:21], v[12:13]
	v_mov_b64_e32 v[22:23], v[12:13]
	v_mov_b64_e32 v[24:25], v[12:13]
	v_mov_b64_e32 v[26:27], v[12:13]
	v_mov_b64_e32 v[28:29], v[12:13]
	v_mov_b64_e32 v[30:31], v[12:13]
	v_mov_b64_e32 v[32:33], v[12:13]
	v_mov_b64_e32 v[34:35], v[12:13]
	v_mov_b64_e32 v[36:37], v[12:13]
	v_mov_b64_e32 v[38:39], v[12:13]
	v_mov_b64_e32 v[40:41], v[12:13]
	v_mov_b64_e32 v[42:43], v[12:13]
	v_mov_b64_e32 v[44:45], v[12:13]
	v_mov_b64_e32 v[46:47], v[12:13]
	v_mov_b64_e32 v[48:49], v[12:13]
	v_mov_b64_e32 v[50:51], v[12:13]
	v_mov_b64_e32 v[52:53], v[12:13]
                                        ; implicit-def: $sgpr14_sgpr15
                                        ; implicit-def: $vgpr3
	s_and_saveexec_b64 s[10:11], vcc
	s_cbranch_execz .LBB1848_120
; %bb.79:
	ds_read2_b32 v[70:71], v1 offset0:1 offset1:2
	v_add_u32_e32 v2, 2, v73
	v_cmp_ne_u32_e32 vcc, v68, v69
	v_mov_b64_e32 v[14:15], 0
	s_mov_b64 s[16:17], 0
	v_cndmask_b32_e64 v13, 0, 1, vcc
	v_cmp_gt_u32_e32 vcc, s3, v2
	s_waitcnt lgkmcnt(0)
	v_mov_b32_e32 v12, v70
	v_mov_b64_e32 v[16:17], v[14:15]
	v_mov_b64_e32 v[18:19], v[14:15]
	;; [unrolled: 1-line block ×19, first 2 shown]
                                        ; implicit-def: $sgpr14_sgpr15
                                        ; implicit-def: $vgpr3
	s_and_saveexec_b64 s[12:13], vcc
	s_cbranch_execz .LBB1848_119
; %bb.80:
	v_add_u32_e32 v2, 3, v73
	v_cmp_ne_u32_e32 vcc, v69, v66
	v_mov_b64_e32 v[16:17], 0
	v_mov_b32_e32 v14, v71
	v_cndmask_b32_e64 v15, 0, 1, vcc
	v_cmp_gt_u32_e32 vcc, s3, v2
	v_mov_b64_e32 v[18:19], v[16:17]
	v_mov_b64_e32 v[20:21], v[16:17]
	;; [unrolled: 1-line block ×18, first 2 shown]
                                        ; implicit-def: $sgpr18_sgpr19
                                        ; implicit-def: $vgpr3
	s_and_saveexec_b64 s[14:15], vcc
	s_cbranch_execz .LBB1848_118
; %bb.81:
	ds_read2_b32 v[68:69], v1 offset0:3 offset1:4
	v_add_u32_e32 v2, 4, v73
	v_cmp_ne_u32_e32 vcc, v66, v67
	v_mov_b64_e32 v[18:19], 0
	s_mov_b64 s[20:21], 0
	v_cndmask_b32_e64 v17, 0, 1, vcc
	v_cmp_gt_u32_e32 vcc, s3, v2
	s_waitcnt lgkmcnt(0)
	v_mov_b32_e32 v16, v68
	v_mov_b64_e32 v[20:21], v[18:19]
	v_mov_b64_e32 v[22:23], v[18:19]
	;; [unrolled: 1-line block ×17, first 2 shown]
                                        ; implicit-def: $sgpr18_sgpr19
                                        ; implicit-def: $vgpr3
	s_and_saveexec_b64 s[16:17], vcc
	s_cbranch_execz .LBB1848_117
; %bb.82:
	v_add_u32_e32 v2, 5, v73
	v_cmp_ne_u32_e32 vcc, v67, v64
	v_mov_b64_e32 v[20:21], 0
	v_mov_b32_e32 v18, v69
	v_cndmask_b32_e64 v19, 0, 1, vcc
	v_cmp_gt_u32_e32 vcc, s3, v2
	v_mov_b64_e32 v[22:23], v[20:21]
	v_mov_b64_e32 v[24:25], v[20:21]
	;; [unrolled: 1-line block ×16, first 2 shown]
                                        ; implicit-def: $sgpr22_sgpr23
                                        ; implicit-def: $vgpr3
	s_and_saveexec_b64 s[18:19], vcc
	s_cbranch_execz .LBB1848_116
; %bb.83:
	ds_read2_b32 v[66:67], v1 offset0:5 offset1:6
	v_add_u32_e32 v2, 6, v73
	v_cmp_ne_u32_e32 vcc, v64, v65
	v_mov_b64_e32 v[22:23], 0
	s_mov_b64 s[24:25], 0
	v_cndmask_b32_e64 v21, 0, 1, vcc
	v_cmp_gt_u32_e32 vcc, s3, v2
	s_waitcnt lgkmcnt(0)
	v_mov_b32_e32 v20, v66
	v_mov_b64_e32 v[24:25], v[22:23]
	v_mov_b64_e32 v[26:27], v[22:23]
	;; [unrolled: 1-line block ×15, first 2 shown]
                                        ; implicit-def: $sgpr22_sgpr23
                                        ; implicit-def: $vgpr3
	s_and_saveexec_b64 s[20:21], vcc
	s_cbranch_execz .LBB1848_115
; %bb.84:
	v_add_u32_e32 v2, 7, v73
	v_cmp_ne_u32_e32 vcc, v65, v62
	v_mov_b64_e32 v[24:25], 0
	v_mov_b32_e32 v22, v67
	v_cndmask_b32_e64 v23, 0, 1, vcc
	v_cmp_gt_u32_e32 vcc, s3, v2
	v_mov_b64_e32 v[26:27], v[24:25]
	v_mov_b64_e32 v[28:29], v[24:25]
	;; [unrolled: 1-line block ×14, first 2 shown]
                                        ; implicit-def: $sgpr26_sgpr27
                                        ; implicit-def: $vgpr3
	s_and_saveexec_b64 s[22:23], vcc
	s_cbranch_execz .LBB1848_114
; %bb.85:
	ds_read2_b32 v[64:65], v1 offset0:7 offset1:8
	v_add_u32_e32 v2, 8, v73
	v_cmp_ne_u32_e32 vcc, v62, v63
	v_mov_b64_e32 v[26:27], 0
	s_mov_b64 s[28:29], 0
	v_cndmask_b32_e64 v25, 0, 1, vcc
	v_cmp_gt_u32_e32 vcc, s3, v2
	s_waitcnt lgkmcnt(0)
	v_mov_b32_e32 v24, v64
	v_mov_b64_e32 v[28:29], v[26:27]
	v_mov_b64_e32 v[30:31], v[26:27]
	;; [unrolled: 1-line block ×13, first 2 shown]
                                        ; implicit-def: $sgpr26_sgpr27
                                        ; implicit-def: $vgpr3
	s_and_saveexec_b64 s[24:25], vcc
	s_cbranch_execz .LBB1848_113
; %bb.86:
	v_add_u32_e32 v2, 9, v73
	v_cmp_ne_u32_e32 vcc, v63, v60
	v_mov_b64_e32 v[28:29], 0
	v_mov_b32_e32 v26, v65
	v_cndmask_b32_e64 v27, 0, 1, vcc
	v_cmp_gt_u32_e32 vcc, s3, v2
	v_mov_b64_e32 v[30:31], v[28:29]
	v_mov_b64_e32 v[32:33], v[28:29]
	;; [unrolled: 1-line block ×12, first 2 shown]
                                        ; implicit-def: $sgpr30_sgpr31
                                        ; implicit-def: $vgpr3
	s_and_saveexec_b64 s[26:27], vcc
	s_cbranch_execz .LBB1848_112
; %bb.87:
	ds_read2_b32 v[62:63], v1 offset0:9 offset1:10
	v_add_u32_e32 v2, 10, v73
	v_cmp_ne_u32_e32 vcc, v60, v61
	v_mov_b64_e32 v[30:31], 0
	s_mov_b64 s[34:35], 0
	v_cndmask_b32_e64 v29, 0, 1, vcc
	v_cmp_gt_u32_e32 vcc, s3, v2
	s_waitcnt lgkmcnt(0)
	v_mov_b32_e32 v28, v62
	v_mov_b64_e32 v[32:33], v[30:31]
	v_mov_b64_e32 v[34:35], v[30:31]
	;; [unrolled: 1-line block ×11, first 2 shown]
                                        ; implicit-def: $sgpr30_sgpr31
                                        ; implicit-def: $vgpr3
	s_and_saveexec_b64 s[28:29], vcc
	s_cbranch_execz .LBB1848_111
; %bb.88:
	v_add_u32_e32 v2, 11, v73
	v_cmp_ne_u32_e32 vcc, v61, v58
	v_mov_b64_e32 v[32:33], 0
	v_mov_b32_e32 v30, v63
	v_cndmask_b32_e64 v31, 0, 1, vcc
	v_cmp_gt_u32_e32 vcc, s3, v2
	v_mov_b64_e32 v[34:35], v[32:33]
	v_mov_b64_e32 v[36:37], v[32:33]
	;; [unrolled: 1-line block ×10, first 2 shown]
                                        ; implicit-def: $sgpr36_sgpr37
                                        ; implicit-def: $vgpr3
	s_and_saveexec_b64 s[30:31], vcc
	s_cbranch_execz .LBB1848_110
; %bb.89:
	ds_read2_b32 v[60:61], v1 offset0:11 offset1:12
	v_add_u32_e32 v2, 12, v73
	v_cmp_ne_u32_e32 vcc, v58, v59
	v_mov_b64_e32 v[34:35], 0
	s_mov_b64 s[38:39], 0
	v_cndmask_b32_e64 v33, 0, 1, vcc
	v_cmp_gt_u32_e32 vcc, s3, v2
	s_waitcnt lgkmcnt(0)
	v_mov_b32_e32 v32, v60
	v_mov_b64_e32 v[36:37], v[34:35]
	v_mov_b64_e32 v[38:39], v[34:35]
	;; [unrolled: 1-line block ×9, first 2 shown]
                                        ; implicit-def: $sgpr36_sgpr37
                                        ; implicit-def: $vgpr3
	s_and_saveexec_b64 s[34:35], vcc
	s_cbranch_execz .LBB1848_109
; %bb.90:
	v_add_u32_e32 v2, 13, v73
	v_cmp_ne_u32_e32 vcc, v59, v56
	v_mov_b64_e32 v[36:37], 0
	v_mov_b32_e32 v34, v61
	v_cndmask_b32_e64 v35, 0, 1, vcc
	v_cmp_gt_u32_e32 vcc, s3, v2
	v_mov_b64_e32 v[38:39], v[36:37]
	v_mov_b64_e32 v[40:41], v[36:37]
	;; [unrolled: 1-line block ×8, first 2 shown]
                                        ; implicit-def: $sgpr40_sgpr41
                                        ; implicit-def: $vgpr3
	s_and_saveexec_b64 s[36:37], vcc
	s_cbranch_execz .LBB1848_108
; %bb.91:
	ds_read2_b32 v[58:59], v1 offset0:13 offset1:14
	v_add_u32_e32 v2, 14, v73
	v_cmp_ne_u32_e32 vcc, v56, v57
	v_mov_b64_e32 v[38:39], 0
	s_mov_b64 s[42:43], 0
	v_cndmask_b32_e64 v37, 0, 1, vcc
	v_cmp_gt_u32_e32 vcc, s3, v2
	s_waitcnt lgkmcnt(0)
	v_mov_b32_e32 v36, v58
	v_mov_b64_e32 v[40:41], v[38:39]
	v_mov_b64_e32 v[42:43], v[38:39]
	;; [unrolled: 1-line block ×7, first 2 shown]
                                        ; implicit-def: $sgpr40_sgpr41
                                        ; implicit-def: $vgpr3
	s_and_saveexec_b64 s[38:39], vcc
	s_cbranch_execz .LBB1848_107
; %bb.92:
	v_add_u32_e32 v2, 15, v73
	v_cmp_ne_u32_e32 vcc, v57, v54
	v_mov_b64_e32 v[40:41], 0
	v_mov_b32_e32 v38, v59
	v_cndmask_b32_e64 v39, 0, 1, vcc
	v_cmp_gt_u32_e32 vcc, s3, v2
	v_mov_b64_e32 v[42:43], v[40:41]
	v_mov_b64_e32 v[44:45], v[40:41]
	;; [unrolled: 1-line block ×6, first 2 shown]
                                        ; implicit-def: $sgpr44_sgpr45
                                        ; implicit-def: $vgpr3
	s_and_saveexec_b64 s[40:41], vcc
	s_cbranch_execz .LBB1848_106
; %bb.93:
	ds_read2_b32 v[56:57], v1 offset0:15 offset1:16
	v_add_u32_e32 v2, 16, v73
	v_cmp_ne_u32_e32 vcc, v54, v55
	v_mov_b64_e32 v[42:43], 0
	s_mov_b64 s[46:47], 0
	v_cndmask_b32_e64 v41, 0, 1, vcc
	v_cmp_gt_u32_e32 vcc, s3, v2
	s_waitcnt lgkmcnt(0)
	v_mov_b32_e32 v40, v56
	v_mov_b64_e32 v[44:45], v[42:43]
	v_mov_b64_e32 v[46:47], v[42:43]
	;; [unrolled: 1-line block ×5, first 2 shown]
                                        ; implicit-def: $sgpr44_sgpr45
                                        ; implicit-def: $vgpr3
	s_and_saveexec_b64 s[42:43], vcc
	s_cbranch_execz .LBB1848_105
; %bb.94:
	v_add_u32_e32 v2, 17, v73
	v_cmp_ne_u32_e32 vcc, v55, v8
	v_mov_b64_e32 v[44:45], 0
	v_mov_b32_e32 v42, v57
	v_cndmask_b32_e64 v43, 0, 1, vcc
	v_cmp_gt_u32_e32 vcc, s3, v2
	v_mov_b64_e32 v[46:47], v[44:45]
	v_mov_b64_e32 v[48:49], v[44:45]
	;; [unrolled: 1-line block ×4, first 2 shown]
                                        ; implicit-def: $sgpr48_sgpr49
                                        ; implicit-def: $vgpr3
	s_and_saveexec_b64 s[44:45], vcc
	s_cbranch_execz .LBB1848_104
; %bb.95:
	ds_read2_b32 v[54:55], v1 offset0:17 offset1:18
	v_add_u32_e32 v2, 18, v73
	v_cmp_ne_u32_e32 vcc, v8, v9
	v_mov_b64_e32 v[46:47], 0
	s_mov_b64 s[50:51], 0
	v_cndmask_b32_e64 v45, 0, 1, vcc
	v_cmp_gt_u32_e32 vcc, s3, v2
	s_waitcnt lgkmcnt(0)
	v_mov_b32_e32 v44, v54
	v_mov_b64_e32 v[48:49], v[46:47]
	v_mov_b64_e32 v[50:51], v[46:47]
	;; [unrolled: 1-line block ×3, first 2 shown]
                                        ; implicit-def: $sgpr48_sgpr49
                                        ; implicit-def: $vgpr3
	s_and_saveexec_b64 s[46:47], vcc
	s_cbranch_execz .LBB1848_103
; %bb.96:
	v_add_u32_e32 v2, 19, v73
	v_cmp_ne_u32_e32 vcc, v9, v6
	v_mov_b64_e32 v[48:49], 0
	v_mov_b32_e32 v46, v55
	v_cndmask_b32_e64 v47, 0, 1, vcc
	v_cmp_gt_u32_e32 vcc, s3, v2
	v_mov_b64_e32 v[50:51], v[48:49]
	v_mov_b64_e32 v[52:53], v[48:49]
                                        ; implicit-def: $sgpr60_sgpr61
                                        ; implicit-def: $vgpr3
	s_and_saveexec_b64 s[48:49], vcc
	s_cbranch_execz .LBB1848_102
; %bb.97:
	ds_read2_b32 v[8:9], v1 offset0:19 offset1:20
	v_add_u32_e32 v2, 20, v73
	v_cmp_ne_u32_e32 vcc, v6, v7
	v_mov_b64_e32 v[50:51], 0
	s_mov_b64 s[60:61], 0
	v_cndmask_b32_e64 v49, 0, 1, vcc
	v_cmp_gt_u32_e32 vcc, s3, v2
	s_waitcnt lgkmcnt(0)
	v_mov_b32_e32 v48, v8
	v_mov_b64_e32 v[52:53], v[50:51]
                                        ; implicit-def: $sgpr78_sgpr79
                                        ; implicit-def: $vgpr3
	s_and_saveexec_b64 s[50:51], vcc
	s_cbranch_execz .LBB1848_101
; %bb.98:
	v_add_u32_e32 v2, 21, v73
	v_cmp_ne_u32_e32 vcc, v7, v4
	v_mov_b32_e32 v50, v9
	v_mov_b64_e32 v[52:53], 0
	v_cndmask_b32_e64 v51, 0, 1, vcc
	v_cmp_gt_u32_e32 vcc, s3, v2
                                        ; implicit-def: $sgpr78_sgpr79
                                        ; implicit-def: $vgpr3
	s_and_saveexec_b64 s[4:5], vcc
	s_xor_b64 s[80:81], exec, s[4:5]
	s_cbranch_execz .LBB1848_100
; %bb.99:
	ds_read2_b32 v[2:3], v1 offset0:21 offset1:22
	v_add_u32_e32 v1, 22, v73
	v_cmp_ne_u32_e64 s[4:5], v4, v5
	v_cmp_ne_u32_e32 vcc, v5, v72
	s_and_b64 s[78:79], vcc, exec
	v_cndmask_b32_e64 v53, 0, 1, s[4:5]
	v_cmp_gt_u32_e64 s[4:5], s3, v1
	s_waitcnt lgkmcnt(0)
	v_mov_b32_e32 v52, v2
	s_and_b64 s[60:61], s[4:5], exec
.LBB1848_100:
	s_or_b64 exec, exec, s[80:81]
	s_and_b64 s[78:79], s[78:79], exec
	s_and_b64 s[4:5], s[60:61], exec
.LBB1848_101:
	s_or_b64 exec, exec, s[50:51]
	s_and_b64 s[60:61], s[78:79], exec
	s_and_b64 s[50:51], s[4:5], exec
.LBB1848_102:
	s_or_b64 exec, exec, s[48:49]
	s_and_b64 s[48:49], s[60:61], exec
	s_and_b64 s[4:5], s[50:51], exec
.LBB1848_103:
	s_or_b64 exec, exec, s[46:47]
	s_and_b64 s[48:49], s[48:49], exec
	s_and_b64 s[46:47], s[4:5], exec
.LBB1848_104:
	s_or_b64 exec, exec, s[44:45]
	s_and_b64 s[44:45], s[48:49], exec
	s_and_b64 s[4:5], s[46:47], exec
.LBB1848_105:
	s_or_b64 exec, exec, s[42:43]
	s_and_b64 s[44:45], s[44:45], exec
	s_and_b64 s[42:43], s[4:5], exec
.LBB1848_106:
	s_or_b64 exec, exec, s[40:41]
	s_and_b64 s[40:41], s[44:45], exec
	s_and_b64 s[4:5], s[42:43], exec
.LBB1848_107:
	s_or_b64 exec, exec, s[38:39]
	s_and_b64 s[40:41], s[40:41], exec
	s_and_b64 s[38:39], s[4:5], exec
.LBB1848_108:
	s_or_b64 exec, exec, s[36:37]
	s_and_b64 s[36:37], s[40:41], exec
	s_and_b64 s[4:5], s[38:39], exec
.LBB1848_109:
	s_or_b64 exec, exec, s[34:35]
	s_and_b64 s[36:37], s[36:37], exec
	s_and_b64 s[34:35], s[4:5], exec
.LBB1848_110:
	s_or_b64 exec, exec, s[30:31]
	s_and_b64 s[30:31], s[36:37], exec
	s_and_b64 s[4:5], s[34:35], exec
.LBB1848_111:
	s_or_b64 exec, exec, s[28:29]
	s_and_b64 s[30:31], s[30:31], exec
	s_and_b64 s[28:29], s[4:5], exec
.LBB1848_112:
	s_or_b64 exec, exec, s[26:27]
	s_and_b64 s[26:27], s[30:31], exec
	s_and_b64 s[4:5], s[28:29], exec
.LBB1848_113:
	s_or_b64 exec, exec, s[24:25]
	s_and_b64 s[26:27], s[26:27], exec
	s_and_b64 s[24:25], s[4:5], exec
.LBB1848_114:
	s_or_b64 exec, exec, s[22:23]
	s_and_b64 s[22:23], s[26:27], exec
	s_and_b64 s[4:5], s[24:25], exec
.LBB1848_115:
	s_or_b64 exec, exec, s[20:21]
	s_and_b64 s[22:23], s[22:23], exec
	s_and_b64 s[20:21], s[4:5], exec
.LBB1848_116:
	s_or_b64 exec, exec, s[18:19]
	s_and_b64 s[18:19], s[22:23], exec
	s_and_b64 s[4:5], s[20:21], exec
.LBB1848_117:
	s_or_b64 exec, exec, s[16:17]
	s_and_b64 s[18:19], s[18:19], exec
	s_and_b64 s[16:17], s[4:5], exec
.LBB1848_118:
	s_or_b64 exec, exec, s[14:15]
	s_and_b64 s[14:15], s[18:19], exec
	s_and_b64 s[4:5], s[16:17], exec
.LBB1848_119:
	s_or_b64 exec, exec, s[12:13]
	s_and_b64 s[14:15], s[14:15], exec
	s_and_b64 s[12:13], s[4:5], exec
.LBB1848_120:
	s_or_b64 exec, exec, s[10:11]
	s_and_b64 s[4:5], s[14:15], exec
	s_and_b64 s[10:11], s[12:13], exec
.LBB1848_121:
	s_or_b64 exec, exec, s[8:9]
	s_mov_b64 s[8:9], 0
	s_and_b64 vcc, exec, s[6:7]
	v_lshlrev_b32_e32 v54, 2, v0
	s_cbranch_vccnz .LBB1848_123
	s_branch .LBB1848_131
.LBB1848_122:
                                        ; implicit-def: $sgpr4_sgpr5
                                        ; implicit-def: $vgpr3
                                        ; implicit-def: $vgpr10_vgpr11
                                        ; implicit-def: $vgpr12_vgpr13
                                        ; implicit-def: $vgpr14_vgpr15
                                        ; implicit-def: $vgpr16_vgpr17
                                        ; implicit-def: $vgpr18_vgpr19
                                        ; implicit-def: $vgpr20_vgpr21
                                        ; implicit-def: $vgpr22_vgpr23
                                        ; implicit-def: $vgpr24_vgpr25
                                        ; implicit-def: $vgpr26_vgpr27
                                        ; implicit-def: $vgpr28_vgpr29
                                        ; implicit-def: $vgpr30_vgpr31
                                        ; implicit-def: $vgpr32_vgpr33
                                        ; implicit-def: $vgpr34_vgpr35
                                        ; implicit-def: $vgpr36_vgpr37
                                        ; implicit-def: $vgpr38_vgpr39
                                        ; implicit-def: $vgpr40_vgpr41
                                        ; implicit-def: $vgpr42_vgpr43
                                        ; implicit-def: $vgpr44_vgpr45
                                        ; implicit-def: $vgpr46_vgpr47
                                        ; implicit-def: $vgpr48_vgpr49
                                        ; implicit-def: $vgpr50_vgpr51
                                        ; implicit-def: $vgpr52_vgpr53
                                        ; implicit-def: $sgpr8_sgpr9
	s_and_b64 vcc, exec, s[6:7]
	v_lshlrev_b32_e32 v54, 2, v0
	s_cbranch_vccz .LBB1848_131
.LBB1848_123:
	v_mov_b32_e32 v55, 0
	v_lshl_add_u64 v[2:3], s[54:55], 0, v[54:55]
	v_add_co_u32_e32 v4, vcc, 0x1000, v2
	s_movk_i32 s3, 0x58
	s_nop 0
	v_addc_co_u32_e32 v5, vcc, 0, v3, vcc
	flat_load_dword v8, v[2:3]
	flat_load_dword v9, v[2:3] offset:1024
	s_waitcnt lgkmcnt(0)
	flat_load_dword v10, v[2:3] offset:2048
	flat_load_dword v11, v[2:3] offset:3072
	flat_load_dword v12, v[4:5]
	flat_load_dword v13, v[4:5] offset:1024
	flat_load_dword v14, v[4:5] offset:2048
	;; [unrolled: 1-line block ×3, first 2 shown]
	v_add_co_u32_e32 v4, vcc, 0x2000, v2
	v_mad_u32_u24 v1, v0, s3, v54
	s_nop 0
	v_addc_co_u32_e32 v5, vcc, 0, v3, vcc
	v_add_co_u32_e32 v6, vcc, 0x3000, v2
	s_cmp_eq_u64 s[76:77], 0
	s_nop 0
	v_addc_co_u32_e32 v7, vcc, 0, v3, vcc
	flat_load_dword v16, v[4:5]
	flat_load_dword v17, v[4:5] offset:1024
	flat_load_dword v18, v[4:5] offset:2048
	;; [unrolled: 1-line block ×3, first 2 shown]
	flat_load_dword v20, v[6:7]
	flat_load_dword v21, v[6:7] offset:1024
	flat_load_dword v22, v[6:7] offset:2048
	;; [unrolled: 1-line block ×3, first 2 shown]
	v_add_co_u32_e32 v4, vcc, 0x4000, v2
	s_nop 1
	v_addc_co_u32_e32 v5, vcc, 0, v3, vcc
	v_add_co_u32_e32 v2, vcc, 0x5000, v2
	s_nop 1
	v_addc_co_u32_e32 v3, vcc, 0, v3, vcc
	flat_load_dword v6, v[4:5]
	flat_load_dword v7, v[4:5] offset:1024
	flat_load_dword v24, v[4:5] offset:2048
	;; [unrolled: 1-line block ×3, first 2 shown]
	flat_load_dword v26, v[2:3]
	flat_load_dword v27, v[2:3] offset:1024
	flat_load_dword v28, v[2:3] offset:2048
	s_waitcnt vmcnt(0)
	ds_write2st64_b32 v54, v8, v9 offset1:4
	s_waitcnt lgkmcnt(0)
	ds_write2st64_b32 v54, v10, v11 offset0:8 offset1:12
	ds_write2st64_b32 v54, v12, v13 offset0:16 offset1:20
	;; [unrolled: 1-line block ×10, first 2 shown]
	ds_write_b32 v54, v28 offset:22528
	s_waitcnt lgkmcnt(0)
	s_barrier
	ds_read2_b32 v[2:3], v1 offset1:1
	ds_read2_b32 v[18:19], v1 offset0:2 offset1:3
	ds_read2_b32 v[22:23], v1 offset0:4 offset1:5
	;; [unrolled: 1-line block ×10, first 2 shown]
	ds_read_b32 v10, v1 offset:88
	s_cbranch_scc1 .LBB1848_128
; %bb.124:
	s_andn2_b64 vcc, exec, s[64:65]
	s_cbranch_vccnz .LBB1848_268
; %bb.125:
	s_lshl_b64 s[4:5], s[76:77], 2
	s_add_u32 s3, s66, s4
	s_addc_u32 s5, s67, s5
	s_add_u32 s4, s3, -4
	s_addc_u32 s5, s5, -1
	s_cbranch_execnz .LBB1848_127
.LBB1848_126:
	s_add_u32 s4, s54, -4
	s_addc_u32 s5, s55, -1
.LBB1848_127:
	s_mov_b64 s[54:55], s[4:5]
.LBB1848_128:
	v_mov_b64_e32 v[12:13], s[54:55]
	flat_load_dword v11, v[12:13]
	s_movk_i32 s3, 0xffa8
	v_mad_i32_i24 v12, v0, s3, v1
	v_cmp_ne_u32_e32 vcc, 0, v0
	s_waitcnt lgkmcnt(0)
	ds_write_b32 v12, v10 offset:23552
	s_waitcnt lgkmcnt(0)
	s_barrier
	s_and_saveexec_b64 s[4:5], vcc
	s_cbranch_execz .LBB1848_130
; %bb.129:
	s_waitcnt vmcnt(0)
	v_mul_i32_i24_e32 v11, 0xffffffa8, v0
	v_add_u32_e32 v11, v1, v11
	ds_read_b32 v11, v11 offset:23548
.LBB1848_130:
	s_or_b64 exec, exec, s[4:5]
	v_mov_b32_e32 v55, 0
	v_lshl_add_u64 v[12:13], s[52:53], 0, v[54:55]
	s_movk_i32 s3, 0x1000
	v_add_co_u32_e32 v14, vcc, s3, v12
	s_movk_i32 s3, 0x2000
	s_nop 0
	v_addc_co_u32_e32 v15, vcc, 0, v13, vcc
	s_waitcnt lgkmcnt(0)
	s_barrier
	flat_load_dword v20, v[12:13]
	flat_load_dword v21, v[12:13] offset:1024
	flat_load_dword v24, v[12:13] offset:2048
	;; [unrolled: 1-line block ×3, first 2 shown]
	flat_load_dword v28, v[14:15]
	flat_load_dword v29, v[14:15] offset:1024
	flat_load_dword v32, v[14:15] offset:2048
	;; [unrolled: 1-line block ×3, first 2 shown]
	v_add_co_u32_e32 v14, vcc, s3, v12
	s_movk_i32 s3, 0x3000
	s_nop 0
	v_addc_co_u32_e32 v15, vcc, 0, v13, vcc
	v_add_co_u32_e32 v16, vcc, s3, v12
	s_movk_i32 s3, 0x4000
	s_nop 0
	v_addc_co_u32_e32 v17, vcc, 0, v13, vcc
	flat_load_dword v36, v[14:15]
	flat_load_dword v37, v[14:15] offset:1024
	flat_load_dword v40, v[14:15] offset:2048
	;; [unrolled: 1-line block ×3, first 2 shown]
	flat_load_dword v44, v[16:17]
	flat_load_dword v45, v[16:17] offset:1024
	flat_load_dword v46, v[16:17] offset:2048
	;; [unrolled: 1-line block ×3, first 2 shown]
	v_add_co_u32_e32 v14, vcc, s3, v12
	s_movk_i32 s3, 0x5000
	s_nop 0
	v_addc_co_u32_e32 v15, vcc, 0, v13, vcc
	v_add_co_u32_e32 v12, vcc, s3, v12
	v_cmp_ne_u32_e64 s[4:5], v5, v10
	s_nop 0
	v_addc_co_u32_e32 v13, vcc, 0, v13, vcc
	flat_load_dword v16, v[14:15]
	flat_load_dword v17, v[14:15] offset:1024
	flat_load_dword v48, v[14:15] offset:2048
	;; [unrolled: 1-line block ×3, first 2 shown]
	flat_load_dword v50, v[12:13]
	flat_load_dword v51, v[12:13] offset:1024
	flat_load_dword v52, v[12:13] offset:2048
	s_waitcnt vmcnt(0)
	v_cmp_ne_u32_e32 vcc, v11, v2
	s_mov_b64 s[10:11], -1
                                        ; implicit-def: $sgpr8_sgpr9
	s_waitcnt lgkmcnt(0)
	ds_write2st64_b32 v54, v20, v21 offset1:4
	ds_write2st64_b32 v54, v24, v25 offset0:8 offset1:12
	ds_write2st64_b32 v54, v28, v29 offset0:16 offset1:20
	;; [unrolled: 1-line block ×10, first 2 shown]
	ds_write_b32 v54, v52 offset:22528
	v_cndmask_b32_e64 v11, 0, 1, vcc
	v_cmp_ne_u32_e32 vcc, v2, v3
	s_waitcnt lgkmcnt(0)
	s_barrier
	v_cndmask_b32_e64 v13, 0, 1, vcc
	v_cmp_ne_u32_e32 vcc, v3, v18
	ds_read2_b32 v[16:17], v1 offset1:1
	ds_read2_b32 v[20:21], v1 offset0:2 offset1:3
	ds_read2_b32 v[24:25], v1 offset0:4 offset1:5
	;; [unrolled: 1-line block ×10, first 2 shown]
	ds_read_b32 v3, v1 offset:88
	v_cndmask_b32_e64 v15, 0, 1, vcc
	v_cmp_ne_u32_e32 vcc, v18, v19
	s_waitcnt lgkmcnt(11)
	v_mov_b32_e32 v12, v17
	v_mov_b32_e32 v10, v16
	v_cndmask_b32_e64 v17, 0, 1, vcc
	v_cmp_ne_u32_e32 vcc, v19, v22
	s_waitcnt lgkmcnt(10)
	v_mov_b32_e32 v16, v21
	v_mov_b32_e32 v14, v20
	;; [unrolled: 5-line block ×5, first 2 shown]
	v_cndmask_b32_e64 v25, 0, 1, vcc
	v_cmp_ne_u32_e32 vcc, v27, v30
	s_waitcnt lgkmcnt(6)
	v_mov_b32_e32 v32, v37
	s_waitcnt lgkmcnt(2)
	v_mov_b32_e32 v48, v51
	v_cndmask_b32_e64 v27, 0, 1, vcc
	v_cmp_ne_u32_e32 vcc, v30, v31
	v_mov_b32_e32 v30, v36
	v_mov_b32_e32 v36, v41
	v_cndmask_b32_e64 v29, 0, 1, vcc
	v_cmp_ne_u32_e32 vcc, v31, v34
	s_waitcnt lgkmcnt(1)
	v_mov_b32_e32 v52, v57
	v_cndmask_b32_e64 v31, 0, 1, vcc
	v_cmp_ne_u32_e32 vcc, v34, v35
	v_mov_b32_e32 v34, v40
	v_mov_b32_e32 v40, v45
	v_cndmask_b32_e64 v33, 0, 1, vcc
	v_cmp_ne_u32_e32 vcc, v35, v38
	s_nop 1
	v_cndmask_b32_e64 v35, 0, 1, vcc
	v_cmp_ne_u32_e32 vcc, v38, v39
	v_mov_b32_e32 v38, v44
	v_mov_b32_e32 v44, v47
	v_cndmask_b32_e64 v37, 0, 1, vcc
	v_cmp_ne_u32_e32 vcc, v39, v42
	s_nop 1
	v_cndmask_b32_e64 v39, 0, 1, vcc
	v_cmp_ne_u32_e32 vcc, v42, v43
	v_mov_b32_e32 v42, v46
	v_mov_b32_e32 v46, v50
	v_cndmask_b32_e64 v41, 0, 1, vcc
	v_cmp_ne_u32_e32 vcc, v43, v8
	v_mov_b32_e32 v50, v56
	s_nop 0
	v_cndmask_b32_e64 v43, 0, 1, vcc
	v_cmp_ne_u32_e32 vcc, v8, v9
	s_nop 1
	v_cndmask_b32_e64 v45, 0, 1, vcc
	v_cmp_ne_u32_e32 vcc, v9, v6
	;; [unrolled: 3-line block ×5, first 2 shown]
	s_nop 1
	v_cndmask_b32_e64 v53, 0, 1, vcc
.LBB1848_131:
	v_mov_b64_e32 v[56:57], s[8:9]
	s_and_saveexec_b64 s[6:7], s[10:11]
	s_cbranch_execz .LBB1848_133
; %bb.132:
	v_cndmask_b32_e64 v57, 0, 1, s[4:5]
	s_waitcnt lgkmcnt(0)
	v_mov_b32_e32 v56, v3
.LBB1848_133:
	s_or_b64 exec, exec, s[6:7]
	s_mov_b32 s46, 0
	s_cmp_lg_u32 s2, 0
	v_or_b32_e32 v55, v57, v53
	v_lshrrev_b32_e32 v1, 5, v0
	v_cmp_gt_u32_e32 vcc, 64, v0
	s_waitcnt lgkmcnt(0)
	s_barrier
	s_cbranch_scc0 .LBB1848_172
; %bb.134:
	s_mov_b32 s47, 1
	v_cmp_gt_u64_e64 s[52:53], s[46:47], v[12:13]
	v_cmp_gt_u64_e64 s[4:5], s[46:47], v[14:15]
	v_cmp_gt_u64_e64 s[6:7], s[46:47], v[16:17]
	v_cndmask_b32_e64 v2, 0, v10, s[52:53]
	v_add_u32_e32 v2, v2, v12
	v_cndmask_b32_e64 v2, 0, v2, s[4:5]
	v_add_u32_e32 v2, v2, v14
	v_cndmask_b32_e64 v2, 0, v2, s[6:7]
	v_add_u32_e32 v2, v2, v16
	v_cmp_gt_u64_e64 s[8:9], s[46:47], v[18:19]
	v_cmp_gt_u64_e64 s[10:11], s[46:47], v[20:21]
	v_cmp_gt_u64_e64 s[12:13], s[46:47], v[22:23]
	v_cndmask_b32_e64 v2, 0, v2, s[8:9]
	v_add_u32_e32 v2, v2, v18
	v_cndmask_b32_e64 v2, 0, v2, s[10:11]
	v_add_u32_e32 v2, v2, v20
	v_cndmask_b32_e64 v2, 0, v2, s[12:13]
	v_add_u32_e32 v2, v2, v22
	;; [unrolled: 9-line block ×7, first 2 shown]
	v_cmp_gt_u64_e64 s[46:47], s[46:47], v[56:57]
	s_nop 1
	v_cndmask_b32_e64 v2, 0, v2, s[46:47]
	v_add_u32_e32 v62, v2, v56
	v_or3_b32 v2, v55, v51, v49
	v_or3_b32 v2, v2, v47, v45
	;; [unrolled: 1-line block ×10, first 2 shown]
	v_and_b32_e32 v2, 1, v2
	v_cmp_eq_u32_e64 s[48:49], 1, v2
	v_add_lshl_u32 v2, v1, v0, 3
	s_nop 0
	v_cndmask_b32_e64 v63, v11, 1, s[48:49]
	ds_write_b32 v2, v62
	ds_write_b8 v2, v63 offset:4
	s_waitcnt lgkmcnt(0)
	s_barrier
	s_and_saveexec_b64 s[50:51], vcc
	s_cbranch_execz .LBB1848_146
; %bb.135:
	v_lshrrev_b32_e32 v2, 3, v0
	v_add_lshl_u32 v4, v2, v54, 3
	ds_read2_b32 v[6:7], v4 offset0:2 offset1:4
	ds_read_b64 v[2:3], v4
	ds_read_u8 v8, v4 offset:12
	ds_read_u8 v9, v4 offset:20
	ds_read_b32 v58, v4 offset:24
	ds_read_u8 v59, v4 offset:28
	v_mov_b32_e32 v60, 0
	s_waitcnt lgkmcnt(3)
	v_cmp_eq_u16_sdwa s[48:49], v8, v60 src0_sel:BYTE_0 src1_sel:DWORD
	v_and_b32_e32 v5, 1, v3
	s_nop 0
	v_cndmask_b32_e64 v61, 0, v2, s[48:49]
	v_add_u32_e32 v6, v61, v6
	s_waitcnt lgkmcnt(2)
	v_cmp_eq_u16_sdwa s[48:49], v9, v60 src0_sel:BYTE_0 src1_sel:DWORD
	s_nop 1
	v_cndmask_b32_e64 v6, 0, v6, s[48:49]
	v_add_u32_e32 v6, v6, v7
	s_waitcnt lgkmcnt(0)
	v_cmp_eq_u16_e64 s[48:49], 0, v59
	s_nop 1
	v_cndmask_b32_e64 v6, 0, v6, s[48:49]
	v_add_u32_e32 v7, v6, v58
	v_or_b32_e32 v6, v59, v9
	v_or_b32_e32 v6, v6, v8
	v_and_b32_e32 v6, 1, v6
	v_cmp_eq_u32_e64 s[48:49], 1, v6
	v_mbcnt_lo_u32_b32 v8, -1, 0
	v_and_b32_e32 v6, 0xffffff00, v3
	v_cndmask_b32_e64 v9, v5, 1, s[48:49]
	v_mbcnt_hi_u32_b32 v8, -1, v8
	v_and_b32_e32 v59, 15, v8
	v_or_b32_sdwa v58, v6, v9 dst_sel:DWORD dst_unused:UNUSED_PAD src0_sel:DWORD src1_sel:WORD_0
	v_mov_b32_dpp v60, v7 row_shr:1 row_mask:0xf bank_mask:0xf
	v_cmp_ne_u32_e64 s[48:49], 0, v59
	v_mov_b32_dpp v61, v58 row_shr:1 row_mask:0xf bank_mask:0xf
	s_and_saveexec_b64 s[54:55], s[48:49]
; %bb.136:
	v_and_b32_e32 v58, 1, v9
	v_and_b32_e32 v61, 1, v61
	v_cmp_eq_u32_e64 s[48:49], 1, v58
	s_nop 1
	v_cndmask_b32_e64 v61, v61, 1, s[48:49]
	v_cmp_eq_u16_e64 s[48:49], 0, v9
	v_or_b32_sdwa v58, v6, v61 dst_sel:DWORD dst_unused:UNUSED_PAD src0_sel:DWORD src1_sel:WORD_0
	s_nop 0
	v_cndmask_b32_e64 v9, 0, v60, s[48:49]
	v_add_u32_e32 v7, v9, v7
	v_mov_b32_e32 v9, v61
; %bb.137:
	s_or_b64 exec, exec, s[54:55]
	v_mov_b32_dpp v60, v7 row_shr:2 row_mask:0xf bank_mask:0xf
	v_mov_b32_dpp v61, v58 row_shr:2 row_mask:0xf bank_mask:0xf
	v_cmp_lt_u32_e64 s[48:49], 1, v59
	s_and_saveexec_b64 s[54:55], s[48:49]
; %bb.138:
	v_and_b32_e32 v58, 1, v9
	v_and_b32_e32 v61, 1, v61
	v_cmp_eq_u32_e64 s[48:49], 1, v58
	s_nop 1
	v_cndmask_b32_e64 v61, v61, 1, s[48:49]
	v_cmp_eq_u16_e64 s[48:49], 0, v9
	v_or_b32_sdwa v58, v6, v61 dst_sel:DWORD dst_unused:UNUSED_PAD src0_sel:DWORD src1_sel:WORD_0
	s_nop 0
	v_cndmask_b32_e64 v9, 0, v60, s[48:49]
	v_add_u32_e32 v7, v9, v7
	v_mov_b32_e32 v9, v61
; %bb.139:
	s_or_b64 exec, exec, s[54:55]
	v_mov_b32_dpp v60, v7 row_shr:4 row_mask:0xf bank_mask:0xf
	v_mov_b32_dpp v61, v58 row_shr:4 row_mask:0xf bank_mask:0xf
	v_cmp_lt_u32_e64 s[48:49], 3, v59
	;; [unrolled: 18-line block ×3, first 2 shown]
	s_and_saveexec_b64 s[54:55], s[48:49]
; %bb.142:
	v_and_b32_e32 v58, 1, v9
	v_and_b32_e32 v59, 1, v61
	v_cmp_eq_u32_e64 s[48:49], 1, v58
	s_nop 1
	v_cndmask_b32_e64 v59, v59, 1, s[48:49]
	v_cmp_eq_u16_e64 s[48:49], 0, v9
	v_or_b32_sdwa v58, v6, v59 dst_sel:DWORD dst_unused:UNUSED_PAD src0_sel:DWORD src1_sel:WORD_0
	s_nop 0
	v_cndmask_b32_e64 v9, 0, v60, s[48:49]
	v_add_u32_e32 v7, v9, v7
	v_mov_b32_e32 v9, v59
; %bb.143:
	s_or_b64 exec, exec, s[54:55]
	v_and_b32_e32 v61, 16, v8
	v_mov_b32_dpp v59, v7 row_bcast:15 row_mask:0xf bank_mask:0xf
	v_mov_b32_dpp v60, v58 row_bcast:15 row_mask:0xf bank_mask:0xf
	v_cmp_ne_u32_e64 s[48:49], 0, v61
	s_and_saveexec_b64 s[54:55], s[48:49]
; %bb.144:
	v_and_b32_e32 v58, 1, v9
	v_and_b32_e32 v60, 1, v60
	v_cmp_eq_u32_e64 s[48:49], 1, v58
	s_nop 1
	v_cndmask_b32_e64 v60, v60, 1, s[48:49]
	v_cmp_eq_u16_e64 s[48:49], 0, v9
	v_or_b32_sdwa v58, v6, v60 dst_sel:DWORD dst_unused:UNUSED_PAD src0_sel:DWORD src1_sel:WORD_0
	s_nop 0
	v_cndmask_b32_e64 v9, 0, v59, s[48:49]
	v_add_u32_e32 v7, v9, v7
	v_mov_b32_e32 v9, v60
; %bb.145:
	s_or_b64 exec, exec, s[54:55]
	v_mov_b32_dpp v58, v58 row_bcast:31 row_mask:0xf bank_mask:0xf
	v_and_b32_e32 v60, 1, v9
	v_and_b32_e32 v58, 1, v58
	v_cmp_eq_u32_e64 s[48:49], 1, v60
	v_mov_b32_e32 v60, 0
	v_cmp_eq_u16_sdwa s[54:55], v9, v60 src0_sel:BYTE_0 src1_sel:DWORD
	v_cndmask_b32_e64 v58, v58, 1, s[48:49]
	v_cmp_lt_u32_e64 s[48:49], 31, v8
	v_mov_b32_dpp v59, v7 row_bcast:31 row_mask:0xf bank_mask:0xf
	s_movk_i32 s3, 0xff
	v_cndmask_b32_e64 v9, v9, v58, s[48:49]
	s_and_b64 s[48:49], s[48:49], s[54:55]
	v_cndmask_b32_e64 v58, 0, v59, s[48:49]
	v_add_u32_e32 v7, v58, v7
	v_add_u32_e32 v58, -1, v8
	v_and_b32_e32 v59, 64, v8
	v_cmp_lt_i32_e64 s[48:49], v58, v59
	v_and_or_b32 v6, v9, s3, v6
	s_nop 0
	v_cndmask_b32_e64 v8, v58, v8, s[48:49]
	v_lshlrev_b32_e32 v8, 2, v8
	ds_bpermute_b32 v7, v8, v7
	ds_bpermute_b32 v6, v8, v6
	v_cmp_eq_u16_sdwa s[48:49], v3, v60 src0_sel:BYTE_0 src1_sel:DWORD
	; wave barrier
	s_waitcnt lgkmcnt(1)
	s_nop 0
	v_cndmask_b32_e64 v3, 0, v7, s[48:49]
	v_add_u32_e32 v2, v3, v2
	s_waitcnt lgkmcnt(0)
	v_and_b32_e32 v3, 1, v6
	v_cmp_eq_u32_e64 s[48:49], 1, v5
	s_nop 1
	v_cndmask_b32_e64 v3, v3, 1, s[48:49]
	v_cmp_eq_u32_e64 s[48:49], 0, v0
	s_nop 1
	v_cndmask_b32_e64 v5, v2, v62, s[48:49]
	v_cndmask_b32_e64 v6, v3, v63, s[48:49]
	ds_write_b32 v4, v5
	ds_write_b8 v4, v6 offset:4
	; wave barrier
	ds_read_u8 v7, v4 offset:12
	ds_read2_b32 v[2:3], v4 offset0:2 offset1:4
	ds_read_u8 v8, v4 offset:20
	ds_read_b32 v9, v4 offset:24
	ds_read_u8 v58, v4 offset:28
	s_waitcnt lgkmcnt(4)
	v_cmp_eq_u16_e64 s[48:49], 0, v7
	s_nop 1
	v_cndmask_b32_e64 v5, 0, v5, s[48:49]
	s_waitcnt lgkmcnt(3)
	v_add_u32_e32 v2, v5, v2
	v_and_b32_e32 v5, 1, v7
	v_cmp_eq_u32_e64 s[48:49], 1, v5
	s_nop 1
	v_cndmask_b32_e64 v5, v6, 1, s[48:49]
	s_waitcnt lgkmcnt(2)
	v_cmp_eq_u16_e64 s[48:49], 0, v8
	ds_write_b8 v4, v5 offset:12
	s_nop 0
	v_cndmask_b32_e64 v6, 0, v2, s[48:49]
	v_add_u32_e32 v3, v6, v3
	v_and_b32_e32 v6, 1, v8
	v_cmp_eq_u32_e64 s[48:49], 1, v6
	s_nop 1
	v_cndmask_b32_e64 v5, v5, 1, s[48:49]
	s_waitcnt lgkmcnt(1)
	v_cmp_eq_u16_e64 s[48:49], 0, v58
	ds_write2_b32 v4, v2, v3 offset0:2 offset1:4
	ds_write_b8 v4, v5 offset:20
	v_cndmask_b32_e64 v2, 0, v3, s[48:49]
	v_and_b32_e32 v3, 1, v58
	v_add_u32_e32 v2, v2, v9
	v_cmp_eq_u32_e64 s[48:49], 1, v3
	s_nop 1
	v_cndmask_b32_e64 v3, v5, 1, s[48:49]
	ds_write_b32 v4, v2 offset:24
	ds_write_b8 v4, v3 offset:28
.LBB1848_146:
	s_or_b64 exec, exec, s[50:51]
	v_cmp_eq_u32_e64 s[48:49], 0, v0
	v_cmp_ne_u32_e64 s[50:51], 0, v0
	s_waitcnt lgkmcnt(0)
	s_barrier
	s_and_saveexec_b64 s[54:55], s[50:51]
	s_cbranch_execz .LBB1848_148
; %bb.147:
	v_add_u32_e32 v2, -1, v0
	v_lshrrev_b32_e32 v3, 5, v2
	v_add_lshl_u32 v2, v3, v2, 3
	ds_read_b32 v62, v2
	ds_read_u8 v63, v2 offset:4
.LBB1848_148:
	s_or_b64 exec, exec, s[54:55]
	s_and_saveexec_b64 s[60:61], vcc
	s_cbranch_execz .LBB1848_171
; %bb.149:
	v_mov_b32_e32 v5, 0
	ds_read_b64 v[2:3], v5 offset:2096
	v_mbcnt_lo_u32_b32 v4, -1, 0
	v_mbcnt_hi_u32_b32 v73, -1, v4
	s_mov_b32 s65, 0
	v_cmp_eq_u32_e64 s[50:51], 0, v73
	s_waitcnt lgkmcnt(0)
	v_readfirstlane_b32 s3, v3
	s_and_saveexec_b64 s[54:55], s[50:51]
	s_cbranch_execz .LBB1848_151
; %bb.150:
	s_add_i32 s64, s2, 64
	s_lshl_b64 s[66:67], s[64:65], 4
	s_add_u32 s66, s68, s66
	s_addc_u32 s67, s69, s67
	s_and_b32 s77, s3, 0xff000000
	s_mov_b32 s76, s65
	s_and_b32 s79, s3, 0xff0000
	s_mov_b32 s78, s65
	s_or_b64 s[76:77], s[78:79], s[76:77]
	s_and_b32 s79, s3, 0xff00
	s_or_b64 s[76:77], s[76:77], s[78:79]
	s_and_b32 s79, s3, 0xff
	s_or_b64 s[64:65], s[76:77], s[78:79]
	v_mov_b32_e32 v3, s65
	v_mov_b32_e32 v4, 1
	v_mov_b64_e32 v[6:7], s[66:67]
	;;#ASMSTART
	global_store_dwordx4 v[6:7], v[2:5] off sc1	
s_waitcnt vmcnt(0)
	;;#ASMEND
.LBB1848_151:
	s_or_b64 exec, exec, s[54:55]
	v_xad_u32 v58, v73, -1, s2
	v_add_u32_e32 v4, 64, v58
	v_lshl_add_u64 v[60:61], v[4:5], 4, s[68:69]
	;;#ASMSTART
	global_load_dwordx4 v[6:9], v[60:61] off sc1	
s_waitcnt vmcnt(0)
	;;#ASMEND
	s_nop 0
	v_and_b32_e32 v3, 0xff0000, v6
	v_and_b32_e32 v4, 0xff000000, v6
	;; [unrolled: 1-line block ×3, first 2 shown]
	v_or_b32_sdwa v3, v6, v3 dst_sel:DWORD dst_unused:UNUSED_PAD src0_sel:WORD_0 src1_sel:DWORD
	v_or3_b32 v7, 0, 0, v7
	v_or3_b32 v6, v3, v4, 0
	v_cmp_eq_u16_sdwa s[64:65], v8, v5 src0_sel:BYTE_0 src1_sel:DWORD
	s_and_saveexec_b64 s[54:55], s[64:65]
	s_cbranch_execz .LBB1848_157
; %bb.152:
	s_mov_b32 s66, 1
	s_mov_b64 s[64:65], 0
	v_mov_b32_e32 v3, 0
.LBB1848_153:                           ; =>This Loop Header: Depth=1
                                        ;     Child Loop BB1848_154 Depth 2
	s_max_u32 s67, s66, 1
.LBB1848_154:                           ;   Parent Loop BB1848_153 Depth=1
                                        ; =>  This Inner Loop Header: Depth=2
	s_add_i32 s67, s67, -1
	s_cmp_eq_u32 s67, 0
	s_sleep 1
	s_cbranch_scc0 .LBB1848_154
; %bb.155:                              ;   in Loop: Header=BB1848_153 Depth=1
	s_cmp_lt_u32 s66, 32
	s_cselect_b64 s[76:77], -1, 0
	s_cmp_lg_u64 s[76:77], 0
	s_addc_u32 s66, s66, 0
	;;#ASMSTART
	global_load_dwordx4 v[6:9], v[60:61] off sc1	
s_waitcnt vmcnt(0)
	;;#ASMEND
	s_nop 0
	v_cmp_ne_u16_sdwa s[76:77], v8, v3 src0_sel:BYTE_0 src1_sel:DWORD
	s_or_b64 s[64:65], s[76:77], s[64:65]
	s_andn2_b64 exec, exec, s[64:65]
	s_cbranch_execnz .LBB1848_153
; %bb.156:
	s_or_b64 exec, exec, s[64:65]
	v_and_b32_e32 v7, 0xff, v7
.LBB1848_157:
	s_or_b64 exec, exec, s[54:55]
	v_mov_b32_e32 v3, 2
	v_cmp_eq_u16_sdwa s[54:55], v8, v3 src0_sel:BYTE_0 src1_sel:DWORD
	v_lshlrev_b64 v[4:5], v73, -1
	v_and_b32_e32 v64, 63, v73
	v_and_b32_e32 v9, s55, v5
	v_or_b32_e32 v9, 0x80000000, v9
	v_and_b32_e32 v59, s54, v4
	v_ffbl_b32_e32 v9, v9
	v_add_u32_e32 v9, 32, v9
	v_ffbl_b32_e32 v59, v59
	v_cmp_ne_u32_e32 vcc, 63, v64
	v_min_u32_e32 v9, v59, v9
	s_mov_b32 s64, 0
	v_addc_co_u32_e32 v59, vcc, 0, v73, vcc
	v_lshlrev_b32_e32 v65, 2, v59
	ds_bpermute_b32 v59, v65, v7
	ds_bpermute_b32 v60, v65, v6
	v_and_b32_e32 v61, 1, v7
	s_mov_b32 s65, 1
	v_cmp_eq_u32_e32 vcc, 1, v61
	s_waitcnt lgkmcnt(1)
	v_and_b32_e32 v59, 1, v59
	v_cmp_lt_u32_e64 s[54:55], v64, v9
	v_cndmask_b32_e64 v59, v59, 1, vcc
	v_cmp_gt_u64_e32 vcc, s[64:65], v[6:7]
	s_and_b64 vcc, s[54:55], vcc
	v_and_b32_e32 v61, 0xffff, v59
	v_cndmask_b32_e64 v68, v7, v59, s[54:55]
	s_waitcnt lgkmcnt(0)
	v_cndmask_b32_e32 v59, 0, v60, vcc
	v_cmp_gt_u32_e32 vcc, 62, v64
	v_cndmask_b32_e64 v7, v7, v61, s[54:55]
	v_add_u32_e32 v6, v59, v6
	v_cndmask_b32_e64 v60, 0, 1, vcc
	v_lshlrev_b32_e32 v60, 1, v60
	v_add_lshl_u32 v66, v60, v73, 2
	ds_bpermute_b32 v60, v66, v7
	ds_bpermute_b32 v61, v66, v6
	v_and_b32_e32 v59, 1, v68
	v_cmp_eq_u32_e32 vcc, 1, v59
	v_mov_b32_e32 v59, 0
	s_waitcnt lgkmcnt(1)
	v_and_b32_e32 v60, 1, v60
	v_add_u32_e32 v67, 2, v64
	v_cndmask_b32_e64 v60, v60, 1, vcc
	v_cmp_eq_u16_sdwa vcc, v68, v59 src0_sel:BYTE_0 src1_sel:DWORD
	v_and_b32_e32 v69, 0xffff, v60
	v_add_u32_e32 v77, 32, v64
	s_waitcnt lgkmcnt(0)
	v_cndmask_b32_e32 v61, 0, v61, vcc
	v_cmp_gt_u32_e32 vcc, v67, v9
	s_nop 1
	v_cndmask_b32_e32 v60, v60, v68, vcc
	v_cndmask_b32_e64 v61, v61, 0, vcc
	v_cndmask_b32_e32 v7, v69, v7, vcc
	v_cmp_gt_u32_e32 vcc, 60, v64
	v_add_u32_e32 v6, v61, v6
	v_and_b32_e32 v71, 1, v60
	v_cndmask_b32_e64 v68, 0, 1, vcc
	v_lshlrev_b32_e32 v68, 2, v68
	v_add_lshl_u32 v68, v68, v73, 2
	ds_bpermute_b32 v70, v68, v7
	ds_bpermute_b32 v61, v68, v6
	v_cmp_eq_u32_e32 vcc, 1, v71
	v_add_u32_e32 v69, 4, v64
	s_waitcnt lgkmcnt(1)
	v_and_b32_e32 v70, 1, v70
	v_cndmask_b32_e64 v70, v70, 1, vcc
	v_cmp_eq_u16_sdwa vcc, v60, v59 src0_sel:BYTE_0 src1_sel:DWORD
	v_and_b32_e32 v71, 0xffff, v70
	s_waitcnt lgkmcnt(0)
	v_cndmask_b32_e32 v61, 0, v61, vcc
	v_cmp_gt_u32_e32 vcc, v69, v9
	s_nop 1
	v_cndmask_b32_e32 v60, v70, v60, vcc
	v_cndmask_b32_e64 v61, v61, 0, vcc
	v_cndmask_b32_e32 v7, v71, v7, vcc
	v_cmp_gt_u32_e32 vcc, 56, v64
	v_add_u32_e32 v6, v61, v6
	v_and_b32_e32 v74, 1, v60
	v_cndmask_b32_e64 v70, 0, 1, vcc
	v_lshlrev_b32_e32 v70, 3, v70
	v_add_lshl_u32 v70, v70, v73, 2
	ds_bpermute_b32 v72, v70, v7
	ds_bpermute_b32 v61, v70, v6
	v_cmp_eq_u32_e32 vcc, 1, v74
	v_add_u32_e32 v71, 8, v64
	s_waitcnt lgkmcnt(1)
	v_and_b32_e32 v72, 1, v72
	v_cndmask_b32_e64 v72, v72, 1, vcc
	v_cmp_eq_u16_sdwa vcc, v60, v59 src0_sel:BYTE_0 src1_sel:DWORD
	v_and_b32_e32 v74, 0xffff, v72
	;; [unrolled: 22-line block ×3, first 2 shown]
	s_waitcnt lgkmcnt(0)
	v_cndmask_b32_e32 v61, 0, v61, vcc
	v_cmp_gt_u32_e32 vcc, v74, v9
	s_nop 1
	v_cndmask_b32_e32 v60, v75, v60, vcc
	v_cndmask_b32_e64 v61, v61, 0, vcc
	v_cndmask_b32_e32 v7, v76, v7, vcc
	v_cmp_gt_u32_e32 vcc, 32, v64
	v_add_u32_e32 v6, v61, v6
	s_nop 0
	v_cndmask_b32_e64 v75, 0, 1, vcc
	v_lshlrev_b32_e32 v75, 5, v75
	v_add_lshl_u32 v76, v75, v73, 2
	ds_bpermute_b32 v7, v76, v7
	ds_bpermute_b32 v61, v76, v6
	v_and_b32_e32 v73, 1, v60
	v_cmp_eq_u32_e32 vcc, 1, v73
	s_waitcnt lgkmcnt(1)
	v_and_b32_e32 v7, 1, v7
	v_cndmask_b32_e64 v7, v7, 1, vcc
	v_cmp_eq_u16_sdwa vcc, v60, v59 src0_sel:BYTE_0 src1_sel:DWORD
	s_waitcnt lgkmcnt(0)
	s_nop 0
	v_cndmask_b32_e32 v61, 0, v61, vcc
	v_cmp_gt_u32_e32 vcc, v77, v9
	s_nop 1
	v_cndmask_b32_e64 v9, v61, 0, vcc
	v_cndmask_b32_e32 v7, v7, v60, vcc
	v_add_u32_e32 v6, v9, v6
	s_branch .LBB1848_159
.LBB1848_158:                           ;   in Loop: Header=BB1848_159 Depth=1
	s_or_b64 exec, exec, s[54:55]
	v_cmp_eq_u16_sdwa s[54:55], v8, v3 src0_sel:BYTE_0 src1_sel:DWORD
	ds_bpermute_b32 v61, v65, v7
	v_and_b32_e32 v78, 1, v7
	v_and_b32_e32 v9, s55, v5
	v_or_b32_e32 v9, 0x80000000, v9
	v_and_b32_e32 v60, s54, v4
	v_ffbl_b32_e32 v9, v9
	v_add_u32_e32 v9, 32, v9
	v_ffbl_b32_e32 v60, v60
	v_min_u32_e32 v9, v60, v9
	ds_bpermute_b32 v60, v65, v6
	s_waitcnt lgkmcnt(1)
	v_and_b32_e32 v61, 1, v61
	v_cmp_eq_u32_e32 vcc, 1, v78
	v_cmp_lt_u32_e64 s[54:55], v64, v9
	v_subrev_u32_e32 v58, 64, v58
	v_cndmask_b32_e64 v61, v61, 1, vcc
	v_cmp_gt_u64_e32 vcc, s[64:65], v[6:7]
	v_and_b32_e32 v78, 0xffff, v61
	v_cndmask_b32_e64 v61, v7, v61, s[54:55]
	v_cndmask_b32_e64 v7, v7, v78, s[54:55]
	s_and_b64 vcc, s[54:55], vcc
	ds_bpermute_b32 v78, v66, v7
	s_waitcnt lgkmcnt(1)
	v_cndmask_b32_e32 v60, 0, v60, vcc
	v_add_u32_e32 v6, v60, v6
	ds_bpermute_b32 v60, v66, v6
	v_and_b32_e32 v79, 1, v61
	s_waitcnt lgkmcnt(1)
	v_and_b32_e32 v78, 1, v78
	v_cmp_eq_u32_e32 vcc, 1, v79
	s_nop 1
	v_cndmask_b32_e64 v78, v78, 1, vcc
	v_cmp_eq_u16_sdwa vcc, v61, v59 src0_sel:BYTE_0 src1_sel:DWORD
	v_and_b32_e32 v79, 0xffff, v78
	s_waitcnt lgkmcnt(0)
	v_cndmask_b32_e32 v60, 0, v60, vcc
	v_cmp_gt_u32_e32 vcc, v67, v9
	s_nop 1
	v_cndmask_b32_e32 v7, v79, v7, vcc
	v_cndmask_b32_e32 v61, v78, v61, vcc
	ds_bpermute_b32 v78, v68, v7
	v_cndmask_b32_e64 v60, v60, 0, vcc
	v_add_u32_e32 v6, v60, v6
	ds_bpermute_b32 v60, v68, v6
	v_and_b32_e32 v79, 1, v61
	s_waitcnt lgkmcnt(1)
	v_and_b32_e32 v78, 1, v78
	v_cmp_eq_u32_e32 vcc, 1, v79
	s_nop 1
	v_cndmask_b32_e64 v78, v78, 1, vcc
	v_cmp_eq_u16_sdwa vcc, v61, v59 src0_sel:BYTE_0 src1_sel:DWORD
	v_and_b32_e32 v79, 0xffff, v78
	s_waitcnt lgkmcnt(0)
	v_cndmask_b32_e32 v60, 0, v60, vcc
	v_cmp_gt_u32_e32 vcc, v69, v9
	s_nop 1
	v_cndmask_b32_e32 v7, v79, v7, vcc
	v_cndmask_b32_e32 v61, v78, v61, vcc
	ds_bpermute_b32 v78, v70, v7
	v_cndmask_b32_e64 v60, v60, 0, vcc
	;; [unrolled: 18-line block ×3, first 2 shown]
	v_add_u32_e32 v6, v60, v6
	ds_bpermute_b32 v60, v72, v6
	v_and_b32_e32 v79, 1, v61
	s_waitcnt lgkmcnt(1)
	v_and_b32_e32 v78, 1, v78
	v_cmp_eq_u32_e32 vcc, 1, v79
	s_nop 1
	v_cndmask_b32_e64 v78, v78, 1, vcc
	v_cmp_eq_u16_sdwa vcc, v61, v59 src0_sel:BYTE_0 src1_sel:DWORD
	v_and_b32_e32 v79, 0xffff, v78
	s_waitcnt lgkmcnt(0)
	v_cndmask_b32_e32 v60, 0, v60, vcc
	v_cmp_gt_u32_e32 vcc, v74, v9
	s_nop 1
	v_cndmask_b32_e64 v60, v60, 0, vcc
	v_cndmask_b32_e32 v7, v79, v7, vcc
	ds_bpermute_b32 v7, v76, v7
	v_add_u32_e32 v6, v60, v6
	ds_bpermute_b32 v60, v76, v6
	v_cndmask_b32_e32 v61, v78, v61, vcc
	v_and_b32_e32 v78, 1, v61
	v_cmp_eq_u32_e32 vcc, 1, v78
	s_waitcnt lgkmcnt(1)
	s_nop 0
	v_cndmask_b32_e64 v7, v7, 1, vcc
	v_cmp_eq_u16_sdwa vcc, v61, v59 src0_sel:BYTE_0 src1_sel:DWORD
	s_waitcnt lgkmcnt(0)
	s_nop 0
	v_cndmask_b32_e32 v60, 0, v60, vcc
	v_cmp_gt_u32_e32 vcc, v77, v9
	s_nop 1
	v_cndmask_b32_e64 v9, v60, 0, vcc
	v_cndmask_b32_e32 v7, v7, v61, vcc
	v_add_u32_e32 v6, v9, v6
	v_cmp_eq_u16_sdwa vcc, v73, v59 src0_sel:BYTE_0 src1_sel:DWORD
	v_and_b32_e32 v9, 1, v73
	v_and_b32_e32 v7, 1, v7
	v_cndmask_b32_e32 v6, 0, v6, vcc
	v_cmp_eq_u32_e32 vcc, 1, v9
	v_add_u32_e32 v6, v6, v75
	s_nop 0
	v_cndmask_b32_e64 v7, v7, 1, vcc
.LBB1848_159:                           ; =>This Loop Header: Depth=1
                                        ;     Child Loop BB1848_162 Depth 2
                                        ;       Child Loop BB1848_163 Depth 3
	v_cmp_ne_u16_sdwa s[54:55], v8, v3 src0_sel:BYTE_0 src1_sel:DWORD
	v_mov_b32_e32 v73, v7
	v_mov_b32_e32 v75, v6
	v_cndmask_b32_e64 v7, 0, 1, s[54:55]
	;;#ASMSTART
	;;#ASMEND
	s_nop 0
	v_cmp_ne_u32_e32 vcc, 0, v7
	s_cmp_lg_u64 vcc, exec
	s_cbranch_scc1 .LBB1848_166
; %bb.160:                              ;   in Loop: Header=BB1848_159 Depth=1
	v_lshl_add_u64 v[60:61], v[58:59], 4, s[68:69]
	;;#ASMSTART
	global_load_dwordx4 v[6:9], v[60:61] off sc1	
s_waitcnt vmcnt(0)
	;;#ASMEND
	s_nop 0
	v_and_b32_e32 v9, 0xff0000, v6
	v_and_b32_e32 v78, 0xff000000, v6
	;; [unrolled: 1-line block ×3, first 2 shown]
	v_or_b32_sdwa v6, v6, v9 dst_sel:DWORD dst_unused:UNUSED_PAD src0_sel:WORD_0 src1_sel:DWORD
	v_or3_b32 v7, 0, 0, v7
	v_or3_b32 v6, v6, v78, 0
	v_cmp_eq_u16_sdwa s[66:67], v8, v59 src0_sel:BYTE_0 src1_sel:DWORD
	s_and_saveexec_b64 s[54:55], s[66:67]
	s_cbranch_execz .LBB1848_158
; %bb.161:                              ;   in Loop: Header=BB1848_159 Depth=1
	s_mov_b32 s71, 1
	s_mov_b64 s[66:67], 0
.LBB1848_162:                           ;   Parent Loop BB1848_159 Depth=1
                                        ; =>  This Loop Header: Depth=2
                                        ;       Child Loop BB1848_163 Depth 3
	s_max_u32 s76, s71, 1
.LBB1848_163:                           ;   Parent Loop BB1848_159 Depth=1
                                        ;     Parent Loop BB1848_162 Depth=2
                                        ; =>    This Inner Loop Header: Depth=3
	s_add_i32 s76, s76, -1
	s_cmp_eq_u32 s76, 0
	s_sleep 1
	s_cbranch_scc0 .LBB1848_163
; %bb.164:                              ;   in Loop: Header=BB1848_162 Depth=2
	s_cmp_lt_u32 s71, 32
	s_cselect_b64 s[76:77], -1, 0
	s_cmp_lg_u64 s[76:77], 0
	s_addc_u32 s71, s71, 0
	;;#ASMSTART
	global_load_dwordx4 v[6:9], v[60:61] off sc1	
s_waitcnt vmcnt(0)
	;;#ASMEND
	s_nop 0
	v_cmp_ne_u16_sdwa s[76:77], v8, v59 src0_sel:BYTE_0 src1_sel:DWORD
	s_or_b64 s[66:67], s[76:77], s[66:67]
	s_andn2_b64 exec, exec, s[66:67]
	s_cbranch_execnz .LBB1848_162
; %bb.165:                              ;   in Loop: Header=BB1848_159 Depth=1
	s_or_b64 exec, exec, s[66:67]
	v_and_b32_e32 v7, 0xff, v7
	s_branch .LBB1848_158
.LBB1848_166:                           ;   in Loop: Header=BB1848_159 Depth=1
                                        ; implicit-def: $vgpr7
                                        ; implicit-def: $vgpr6
                                        ; implicit-def: $vgpr8
	s_cbranch_execz .LBB1848_159
; %bb.167:
	s_and_saveexec_b64 s[54:55], s[50:51]
	s_cbranch_execz .LBB1848_169
; %bb.168:
	s_and_b32 s50, s3, 0xff
	s_cmp_eq_u32 s50, 0
	s_cselect_b64 vcc, -1, 0
	s_bitcmp1_b32 s3, 0
	s_mov_b32 s51, 0
	s_cselect_b64 s[64:65], -1, 0
	s_add_i32 s50, s2, 64
	s_lshl_b64 s[2:3], s[50:51], 4
	v_cndmask_b32_e32 v3, 0, v75, vcc
	s_add_u32 s2, s68, s2
	v_add_u32_e32 v2, v3, v2
	v_and_b32_e32 v3, 1, v73
	s_addc_u32 s3, s69, s3
	v_mov_b32_e32 v5, 0
	v_cndmask_b32_e64 v3, v3, 1, s[64:65]
	v_mov_b32_e32 v4, 2
	v_mov_b64_e32 v[6:7], s[2:3]
	;;#ASMSTART
	global_store_dwordx4 v[6:7], v[2:5] off sc1	
s_waitcnt vmcnt(0)
	;;#ASMEND
.LBB1848_169:
	s_or_b64 exec, exec, s[54:55]
	s_and_b64 exec, exec, s[48:49]
	s_cbranch_execz .LBB1848_171
; %bb.170:
	v_mov_b32_e32 v2, 0
	ds_write_b32 v2, v75
	ds_write_b8 v2, v73 offset:4
.LBB1848_171:
	s_or_b64 exec, exec, s[60:61]
	s_mov_b32 s2, 0
	v_mov_b32_e32 v2, 0
	s_mov_b32 s3, 1
	s_waitcnt lgkmcnt(0)
	s_barrier
	ds_read_b32 v3, v2
	v_cmp_gt_u64_e32 vcc, s[2:3], v[10:11]
	v_and_b32_e32 v5, 1, v11
	v_and_b32_e32 v6, 1, v63
	v_cndmask_b32_e32 v4, 0, v62, vcc
	v_cmp_eq_u32_e32 vcc, 1, v5
	v_cndmask_b32_e64 v4, v4, 0, s[48:49]
	s_nop 0
	v_cndmask_b32_e64 v5, v6, 1, vcc
	v_cndmask_b32_e64 v5, v5, v11, s[48:49]
	v_cmp_eq_u16_sdwa vcc, v5, v2 src0_sel:BYTE_0 src1_sel:DWORD
	s_waitcnt lgkmcnt(0)
	s_nop 0
	v_cndmask_b32_e32 v2, 0, v3, vcc
	v_add3_u32 v80, v4, v10, v2
	v_cndmask_b32_e64 v2, 0, v80, s[52:53]
	v_add_u32_e32 v58, v2, v12
	v_cndmask_b32_e64 v2, 0, v58, s[4:5]
	v_add_u32_e32 v59, v2, v14
	;; [unrolled: 2-line block ×22, first 2 shown]
	s_branch .LBB1848_192
.LBB1848_172:
                                        ; implicit-def: $vgpr78
                                        ; implicit-def: $vgpr77
                                        ; implicit-def: $vgpr76
                                        ; implicit-def: $vgpr75
                                        ; implicit-def: $vgpr74
                                        ; implicit-def: $vgpr73
                                        ; implicit-def: $vgpr72
                                        ; implicit-def: $vgpr71
                                        ; implicit-def: $vgpr70
                                        ; implicit-def: $vgpr69
                                        ; implicit-def: $vgpr68
                                        ; implicit-def: $vgpr67
                                        ; implicit-def: $vgpr66
                                        ; implicit-def: $vgpr65
                                        ; implicit-def: $vgpr64
                                        ; implicit-def: $vgpr63
                                        ; implicit-def: $vgpr62
                                        ; implicit-def: $vgpr61
                                        ; implicit-def: $vgpr60
                                        ; implicit-def: $vgpr59
                                        ; implicit-def: $vgpr58
                                        ; implicit-def: $vgpr80
                                        ; implicit-def: $vgpr79
	s_cbranch_execz .LBB1848_192
; %bb.173:
	s_cmp_lg_u64 s[74:75], 0
	s_cselect_b32 s5, s63, 0
	s_cselect_b32 s4, s62, 0
	s_cmp_lg_u64 s[4:5], 0
	s_cselect_b64 s[6:7], -1, 0
	v_cmp_eq_u32_e32 vcc, 0, v0
	s_mov_b32 s48, 0
	v_cmp_ne_u32_e64 s[2:3], 0, v0
	s_and_b64 s[8:9], vcc, s[6:7]
	s_and_saveexec_b64 s[6:7], s[8:9]
	s_cbranch_execz .LBB1848_175
; %bb.174:
	v_mov_b32_e32 v2, 0
	global_load_dword v4, v2, s[4:5]
	global_load_ubyte v5, v2, s[4:5] offset:4
	s_mov_b32 s49, 1
	v_and_b32_e32 v3, 1, v11
	v_cmp_gt_u64_e64 s[4:5], s[48:49], v[10:11]
	s_waitcnt vmcnt(0)
	v_and_b32_e32 v5, 1, v5
	v_cndmask_b32_e64 v4, 0, v4, s[4:5]
	v_cmp_eq_u64_e64 s[4:5], 0, v[2:3]
	v_add_u32_e32 v10, v4, v10
	s_nop 0
	v_cndmask_b32_e64 v11, 1, v5, s[4:5]
.LBB1848_175:
	s_or_b64 exec, exec, s[6:7]
	s_mov_b32 s49, 1
	v_cmp_gt_u64_e64 s[4:5], s[48:49], v[12:13]
	v_cmp_gt_u64_e64 s[6:7], s[48:49], v[14:15]
	v_cmp_gt_u64_e64 s[8:9], s[48:49], v[16:17]
	v_cndmask_b32_e64 v2, 0, v10, s[4:5]
	v_add_u32_e32 v58, v2, v12
	v_cndmask_b32_e64 v2, 0, v58, s[6:7]
	v_add_u32_e32 v59, v2, v14
	v_cndmask_b32_e64 v2, 0, v59, s[8:9]
	v_add_u32_e32 v60, v2, v16
	v_cmp_gt_u64_e64 s[10:11], s[48:49], v[18:19]
	v_cmp_gt_u64_e64 s[12:13], s[48:49], v[20:21]
	v_cmp_gt_u64_e64 s[14:15], s[48:49], v[22:23]
	v_cndmask_b32_e64 v2, 0, v60, s[10:11]
	v_add_u32_e32 v61, v2, v18
	v_cndmask_b32_e64 v2, 0, v61, s[12:13]
	v_add_u32_e32 v62, v2, v20
	v_cndmask_b32_e64 v2, 0, v62, s[14:15]
	v_add_u32_e32 v63, v2, v22
	;; [unrolled: 9-line block ×7, first 2 shown]
	v_cmp_gt_u64_e64 s[48:49], s[48:49], v[56:57]
	v_add_lshl_u32 v1, v1, v0, 3
	s_nop 0
	v_cndmask_b32_e64 v2, 0, v78, s[48:49]
	v_add_u32_e32 v79, v2, v56
	v_or3_b32 v2, v55, v51, v49
	v_or3_b32 v2, v2, v47, v45
	v_or3_b32 v2, v2, v43, v41
	v_or3_b32 v2, v2, v39, v37
	v_or3_b32 v2, v2, v35, v33
	v_or3_b32 v2, v2, v31, v29
	v_or3_b32 v2, v2, v27, v25
	v_or3_b32 v2, v2, v23, v21
	v_or3_b32 v2, v2, v19, v17
	v_or3_b32 v2, v2, v15, v13
	v_and_b32_e32 v2, 1, v2
	v_cmp_eq_u32_e64 s[50:51], 1, v2
	s_nop 1
	v_cndmask_b32_e64 v4, v11, 1, s[50:51]
	v_cmp_gt_u32_e64 s[50:51], 64, v0
	ds_write_b32 v1, v79
	ds_write_b8 v1, v4 offset:4
	s_waitcnt lgkmcnt(0)
	s_barrier
	s_and_saveexec_b64 s[52:53], s[50:51]
	s_cbranch_execz .LBB1848_187
; %bb.176:
	v_lshrrev_b32_e32 v1, 3, v0
	v_add_lshl_u32 v1, v1, v54, 3
	ds_read2_b32 v[6:7], v1 offset0:2 offset1:4
	ds_read_b64 v[2:3], v1
	ds_read_u8 v8, v1 offset:12
	ds_read_u8 v9, v1 offset:20
	ds_read_b32 v13, v1 offset:24
	ds_read_u8 v15, v1 offset:28
	v_mov_b32_e32 v17, 0
	s_waitcnt lgkmcnt(3)
	v_cmp_eq_u16_sdwa s[50:51], v8, v17 src0_sel:BYTE_0 src1_sel:DWORD
	v_and_b32_e32 v5, 1, v3
	s_nop 0
	v_cndmask_b32_e64 v19, 0, v2, s[50:51]
	v_add_u32_e32 v6, v19, v6
	s_waitcnt lgkmcnt(2)
	v_cmp_eq_u16_sdwa s[50:51], v9, v17 src0_sel:BYTE_0 src1_sel:DWORD
	s_nop 1
	v_cndmask_b32_e64 v6, 0, v6, s[50:51]
	v_add_u32_e32 v6, v6, v7
	s_waitcnt lgkmcnt(0)
	v_cmp_eq_u16_e64 s[50:51], 0, v15
	s_nop 1
	v_cndmask_b32_e64 v6, 0, v6, s[50:51]
	v_add_u32_e32 v7, v6, v13
	v_or_b32_e32 v6, v15, v9
	v_or_b32_e32 v6, v6, v8
	v_and_b32_e32 v6, 1, v6
	v_cmp_eq_u32_e64 s[50:51], 1, v6
	v_mbcnt_lo_u32_b32 v8, -1, 0
	v_and_b32_e32 v6, 0xffffff00, v3
	v_cndmask_b32_e64 v9, v5, 1, s[50:51]
	v_mbcnt_hi_u32_b32 v8, -1, v8
	v_and_b32_e32 v15, 15, v8
	v_or_b32_sdwa v13, v6, v9 dst_sel:DWORD dst_unused:UNUSED_PAD src0_sel:DWORD src1_sel:WORD_0
	v_mov_b32_dpp v17, v7 row_shr:1 row_mask:0xf bank_mask:0xf
	v_cmp_ne_u32_e64 s[50:51], 0, v15
	v_mov_b32_dpp v19, v13 row_shr:1 row_mask:0xf bank_mask:0xf
	s_and_saveexec_b64 s[54:55], s[50:51]
; %bb.177:
	v_and_b32_e32 v13, 1, v9
	v_and_b32_e32 v19, 1, v19
	v_cmp_eq_u32_e64 s[50:51], 1, v13
	s_nop 1
	v_cndmask_b32_e64 v19, v19, 1, s[50:51]
	v_cmp_eq_u16_e64 s[50:51], 0, v9
	v_or_b32_sdwa v13, v6, v19 dst_sel:DWORD dst_unused:UNUSED_PAD src0_sel:DWORD src1_sel:WORD_0
	s_nop 0
	v_cndmask_b32_e64 v9, 0, v17, s[50:51]
	v_add_u32_e32 v7, v9, v7
	v_mov_b32_e32 v9, v19
; %bb.178:
	s_or_b64 exec, exec, s[54:55]
	v_mov_b32_dpp v17, v7 row_shr:2 row_mask:0xf bank_mask:0xf
	v_mov_b32_dpp v19, v13 row_shr:2 row_mask:0xf bank_mask:0xf
	v_cmp_lt_u32_e64 s[50:51], 1, v15
	s_and_saveexec_b64 s[54:55], s[50:51]
; %bb.179:
	v_and_b32_e32 v13, 1, v9
	v_and_b32_e32 v19, 1, v19
	v_cmp_eq_u32_e64 s[50:51], 1, v13
	s_nop 1
	v_cndmask_b32_e64 v19, v19, 1, s[50:51]
	v_cmp_eq_u16_e64 s[50:51], 0, v9
	v_or_b32_sdwa v13, v6, v19 dst_sel:DWORD dst_unused:UNUSED_PAD src0_sel:DWORD src1_sel:WORD_0
	s_nop 0
	v_cndmask_b32_e64 v9, 0, v17, s[50:51]
	v_add_u32_e32 v7, v9, v7
	v_mov_b32_e32 v9, v19
; %bb.180:
	s_or_b64 exec, exec, s[54:55]
	v_mov_b32_dpp v17, v7 row_shr:4 row_mask:0xf bank_mask:0xf
	v_mov_b32_dpp v19, v13 row_shr:4 row_mask:0xf bank_mask:0xf
	v_cmp_lt_u32_e64 s[50:51], 3, v15
	;; [unrolled: 18-line block ×3, first 2 shown]
	s_and_saveexec_b64 s[54:55], s[50:51]
; %bb.183:
	v_and_b32_e32 v13, 1, v9
	v_and_b32_e32 v15, 1, v19
	v_cmp_eq_u32_e64 s[50:51], 1, v13
	s_nop 1
	v_cndmask_b32_e64 v15, v15, 1, s[50:51]
	v_cmp_eq_u16_e64 s[50:51], 0, v9
	v_or_b32_sdwa v13, v6, v15 dst_sel:DWORD dst_unused:UNUSED_PAD src0_sel:DWORD src1_sel:WORD_0
	s_nop 0
	v_cndmask_b32_e64 v9, 0, v17, s[50:51]
	v_add_u32_e32 v7, v9, v7
	v_mov_b32_e32 v9, v15
; %bb.184:
	s_or_b64 exec, exec, s[54:55]
	v_and_b32_e32 v19, 16, v8
	v_mov_b32_dpp v15, v7 row_bcast:15 row_mask:0xf bank_mask:0xf
	v_mov_b32_dpp v17, v13 row_bcast:15 row_mask:0xf bank_mask:0xf
	v_cmp_ne_u32_e64 s[50:51], 0, v19
	s_and_saveexec_b64 s[54:55], s[50:51]
; %bb.185:
	v_and_b32_e32 v13, 1, v9
	v_and_b32_e32 v17, 1, v17
	v_cmp_eq_u32_e64 s[50:51], 1, v13
	s_nop 1
	v_cndmask_b32_e64 v17, v17, 1, s[50:51]
	v_cmp_eq_u16_e64 s[50:51], 0, v9
	v_or_b32_sdwa v13, v6, v17 dst_sel:DWORD dst_unused:UNUSED_PAD src0_sel:DWORD src1_sel:WORD_0
	s_nop 0
	v_cndmask_b32_e64 v9, 0, v15, s[50:51]
	v_add_u32_e32 v7, v9, v7
	v_mov_b32_e32 v9, v17
; %bb.186:
	s_or_b64 exec, exec, s[54:55]
	v_mov_b32_dpp v13, v13 row_bcast:31 row_mask:0xf bank_mask:0xf
	v_and_b32_e32 v17, 1, v9
	v_and_b32_e32 v13, 1, v13
	v_cmp_eq_u32_e64 s[50:51], 1, v17
	v_mov_b32_e32 v17, 0
	v_cmp_eq_u16_sdwa s[54:55], v9, v17 src0_sel:BYTE_0 src1_sel:DWORD
	v_cndmask_b32_e64 v13, v13, 1, s[50:51]
	v_cmp_lt_u32_e64 s[50:51], 31, v8
	v_mov_b32_dpp v15, v7 row_bcast:31 row_mask:0xf bank_mask:0xf
	s_movk_i32 s60, 0xff
	v_cndmask_b32_e64 v9, v9, v13, s[50:51]
	s_and_b64 s[50:51], s[50:51], s[54:55]
	v_cndmask_b32_e64 v13, 0, v15, s[50:51]
	v_add_u32_e32 v7, v13, v7
	v_add_u32_e32 v13, -1, v8
	v_and_b32_e32 v15, 64, v8
	v_cmp_lt_i32_e64 s[50:51], v13, v15
	v_and_or_b32 v6, v9, s60, v6
	s_nop 0
	v_cndmask_b32_e64 v8, v13, v8, s[50:51]
	v_lshlrev_b32_e32 v8, 2, v8
	ds_bpermute_b32 v7, v8, v7
	ds_bpermute_b32 v6, v8, v6
	v_cmp_eq_u16_sdwa s[50:51], v3, v17 src0_sel:BYTE_0 src1_sel:DWORD
	; wave barrier
	s_waitcnt lgkmcnt(1)
	s_nop 0
	v_cndmask_b32_e64 v3, 0, v7, s[50:51]
	v_add_u32_e32 v2, v3, v2
	s_waitcnt lgkmcnt(0)
	v_and_b32_e32 v3, 1, v6
	v_cmp_eq_u32_e64 s[50:51], 1, v5
	v_cndmask_b32_e32 v5, v2, v79, vcc
	s_nop 0
	v_cndmask_b32_e64 v3, v3, 1, s[50:51]
	v_cndmask_b32_e32 v4, v3, v4, vcc
	ds_write_b32 v1, v5
	ds_write_b8 v1, v4 offset:4
	; wave barrier
	ds_read_u8 v6, v1 offset:12
	ds_read2_b32 v[2:3], v1 offset0:2 offset1:4
	ds_read_u8 v7, v1 offset:20
	ds_read_b32 v8, v1 offset:24
	ds_read_u8 v9, v1 offset:28
	s_waitcnt lgkmcnt(4)
	v_cmp_eq_u16_e64 s[50:51], 0, v6
	s_nop 1
	v_cndmask_b32_e64 v5, 0, v5, s[50:51]
	s_waitcnt lgkmcnt(3)
	v_add_u32_e32 v2, v5, v2
	v_and_b32_e32 v5, 1, v6
	v_cmp_eq_u32_e64 s[50:51], 1, v5
	s_nop 1
	v_cndmask_b32_e64 v4, v4, 1, s[50:51]
	s_waitcnt lgkmcnt(2)
	v_cmp_eq_u16_e64 s[50:51], 0, v7
	ds_write_b8 v1, v4 offset:12
	s_nop 0
	v_cndmask_b32_e64 v5, 0, v2, s[50:51]
	v_add_u32_e32 v3, v5, v3
	v_and_b32_e32 v5, 1, v7
	v_cmp_eq_u32_e64 s[50:51], 1, v5
	s_nop 1
	v_cndmask_b32_e64 v4, v4, 1, s[50:51]
	s_waitcnt lgkmcnt(1)
	v_cmp_eq_u16_e64 s[50:51], 0, v9
	ds_write2_b32 v1, v2, v3 offset0:2 offset1:4
	ds_write_b8 v1, v4 offset:20
	v_cndmask_b32_e64 v2, 0, v3, s[50:51]
	v_and_b32_e32 v3, 1, v9
	v_add_u32_e32 v2, v2, v8
	v_cmp_eq_u32_e64 s[50:51], 1, v3
	s_nop 1
	v_cndmask_b32_e64 v3, v4, 1, s[50:51]
	ds_write_b32 v1, v2 offset:24
	ds_write_b8 v1, v3 offset:28
.LBB1848_187:
	s_or_b64 exec, exec, s[52:53]
	v_mov_b32_e32 v1, v79
	s_waitcnt lgkmcnt(0)
	s_barrier
	s_and_saveexec_b64 s[50:51], s[2:3]
	s_cbranch_execnz .LBB1848_265
; %bb.188:
	s_or_b64 exec, exec, s[50:51]
	s_and_saveexec_b64 s[50:51], s[2:3]
	s_cbranch_execnz .LBB1848_266
.LBB1848_189:
	s_or_b64 exec, exec, s[50:51]
	s_and_saveexec_b64 s[2:3], vcc
	s_cbranch_execz .LBB1848_191
.LBB1848_190:
	v_mov_b32_e32 v5, 0
	ds_read_b32 v2, v5 offset:2096
	ds_read_u8 v3, v5 offset:2100
	s_add_u32 s4, s68, 0x400
	s_addc_u32 s5, s69, 0
	v_mov_b32_e32 v4, 2
	v_mov_b64_e32 v[6:7], s[4:5]
	s_waitcnt lgkmcnt(0)
	;;#ASMSTART
	global_store_dwordx4 v[6:7], v[2:5] off sc1	
s_waitcnt vmcnt(0)
	;;#ASMEND
.LBB1848_191:
	s_or_b64 exec, exec, s[2:3]
	v_mov_b32_e32 v80, v10
.LBB1848_192:
	s_add_u32 s2, s58, s72
	s_addc_u32 s3, s59, s73
	s_add_u32 s2, s2, s56
	s_addc_u32 s3, s3, s57
	s_and_b64 vcc, exec, s[0:1]
	s_cbranch_vccz .LBB1848_238
; %bb.193:
	s_movk_i32 s0, 0x5c
	v_mul_i32_i24_e32 v26, 0xffffffa8, v0
	s_waitcnt lgkmcnt(0)
	v_mul_u32_u24_e32 v1, 0x5c, v0
	v_mad_u32_u24 v2, v0, s0, v26
	s_barrier
	ds_write2_b32 v1, v80, v58 offset1:1
	ds_write2_b32 v1, v59, v60 offset0:2 offset1:3
	ds_write2_b32 v1, v61, v62 offset0:4 offset1:5
	;; [unrolled: 1-line block ×10, first 2 shown]
	ds_write_b32 v1, v79 offset:88
	s_waitcnt lgkmcnt(0)
	s_barrier
	ds_read2st64_b32 v[24:25], v2 offset0:4 offset1:8
	ds_read2st64_b32 v[22:23], v2 offset0:12 offset1:16
	ds_read2st64_b32 v[20:21], v2 offset0:20 offset1:24
	ds_read2st64_b32 v[18:19], v2 offset0:28 offset1:32
	ds_read2st64_b32 v[16:17], v2 offset0:36 offset1:40
	ds_read2st64_b32 v[14:15], v2 offset0:44 offset1:48
	ds_read2st64_b32 v[12:13], v2 offset0:52 offset1:56
	ds_read2st64_b32 v[10:11], v2 offset0:60 offset1:64
	ds_read2st64_b32 v[8:9], v2 offset0:68 offset1:72
	ds_read2st64_b32 v[6:7], v2 offset0:76 offset1:80
	ds_read2st64_b32 v[2:3], v2 offset0:84 offset1:88
	s_add_i32 s33, s33, s70
	v_mov_b32_e32 v55, 0
	v_lshl_add_u64 v[4:5], s[2:3], 0, v[54:55]
	v_cmp_gt_u32_e32 vcc, s33, v0
	s_and_saveexec_b64 s[0:1], vcc
	s_cbranch_execz .LBB1848_195
; %bb.194:
	v_add_u32_e32 v1, v1, v26
	ds_read_b32 v1, v1
	s_waitcnt lgkmcnt(0)
	flat_store_dword v[4:5], v1
.LBB1848_195:
	s_or_b64 exec, exec, s[0:1]
	v_or_b32_e32 v1, 0x100, v0
	v_cmp_gt_u32_e32 vcc, s33, v1
	s_and_saveexec_b64 s[0:1], vcc
	s_cbranch_execz .LBB1848_197
; %bb.196:
	s_waitcnt lgkmcnt(0)
	flat_store_dword v[4:5], v24 offset:1024
.LBB1848_197:
	s_or_b64 exec, exec, s[0:1]
	v_or_b32_e32 v1, 0x200, v0
	v_cmp_gt_u32_e32 vcc, s33, v1
	s_and_saveexec_b64 s[0:1], vcc
	s_cbranch_execz .LBB1848_199
; %bb.198:
	s_waitcnt lgkmcnt(0)
	flat_store_dword v[4:5], v25 offset:2048
.LBB1848_199:
	;; [unrolled: 9-line block ×3, first 2 shown]
	s_or_b64 exec, exec, s[0:1]
	v_or_b32_e32 v1, 0x400, v0
	v_cmp_gt_u32_e32 vcc, s33, v1
	s_and_saveexec_b64 s[0:1], vcc
	s_cbranch_execz .LBB1848_203
; %bb.202:
	s_waitcnt lgkmcnt(0)
	v_add_co_u32_e32 v24, vcc, 0x1000, v4
	s_nop 1
	v_addc_co_u32_e32 v25, vcc, 0, v5, vcc
	flat_store_dword v[24:25], v23
.LBB1848_203:
	s_or_b64 exec, exec, s[0:1]
	v_or_b32_e32 v1, 0x500, v0
	v_cmp_gt_u32_e32 vcc, s33, v1
	s_and_saveexec_b64 s[0:1], vcc
	s_cbranch_execz .LBB1848_205
; %bb.204:
	s_waitcnt lgkmcnt(0)
	v_add_co_u32_e32 v22, vcc, 0x1000, v4
	s_nop 1
	v_addc_co_u32_e32 v23, vcc, 0, v5, vcc
	flat_store_dword v[22:23], v20 offset:1024
.LBB1848_205:
	s_or_b64 exec, exec, s[0:1]
	v_or_b32_e32 v1, 0x600, v0
	v_cmp_gt_u32_e32 vcc, s33, v1
	s_and_saveexec_b64 s[0:1], vcc
	s_cbranch_execz .LBB1848_207
; %bb.206:
	s_waitcnt lgkmcnt(0)
	v_add_co_u32_e32 v22, vcc, 0x1000, v4
	s_nop 1
	v_addc_co_u32_e32 v23, vcc, 0, v5, vcc
	flat_store_dword v[22:23], v21 offset:2048
.LBB1848_207:
	s_or_b64 exec, exec, s[0:1]
	v_or_b32_e32 v1, 0x700, v0
	v_cmp_gt_u32_e32 vcc, s33, v1
	s_and_saveexec_b64 s[0:1], vcc
	s_cbranch_execz .LBB1848_209
; %bb.208:
	s_waitcnt lgkmcnt(0)
	v_add_co_u32_e32 v20, vcc, 0x1000, v4
	s_nop 1
	v_addc_co_u32_e32 v21, vcc, 0, v5, vcc
	flat_store_dword v[20:21], v18 offset:3072
.LBB1848_209:
	s_or_b64 exec, exec, s[0:1]
	v_or_b32_e32 v1, 0x800, v0
	v_cmp_gt_u32_e32 vcc, s33, v1
	s_and_saveexec_b64 s[0:1], vcc
	s_cbranch_execz .LBB1848_211
; %bb.210:
	s_waitcnt lgkmcnt(0)
	v_add_co_u32_e32 v20, vcc, 0x2000, v4
	s_nop 1
	v_addc_co_u32_e32 v21, vcc, 0, v5, vcc
	flat_store_dword v[20:21], v19
.LBB1848_211:
	s_or_b64 exec, exec, s[0:1]
	v_or_b32_e32 v1, 0x900, v0
	v_cmp_gt_u32_e32 vcc, s33, v1
	s_and_saveexec_b64 s[0:1], vcc
	s_cbranch_execz .LBB1848_213
; %bb.212:
	s_waitcnt lgkmcnt(0)
	v_add_co_u32_e32 v18, vcc, 0x2000, v4
	s_nop 1
	v_addc_co_u32_e32 v19, vcc, 0, v5, vcc
	flat_store_dword v[18:19], v16 offset:1024
.LBB1848_213:
	s_or_b64 exec, exec, s[0:1]
	v_or_b32_e32 v1, 0xa00, v0
	v_cmp_gt_u32_e32 vcc, s33, v1
	s_and_saveexec_b64 s[0:1], vcc
	s_cbranch_execz .LBB1848_215
; %bb.214:
	s_waitcnt lgkmcnt(0)
	v_add_co_u32_e32 v18, vcc, 0x2000, v4
	s_nop 1
	v_addc_co_u32_e32 v19, vcc, 0, v5, vcc
	flat_store_dword v[18:19], v17 offset:2048
.LBB1848_215:
	s_or_b64 exec, exec, s[0:1]
	v_or_b32_e32 v1, 0xb00, v0
	v_cmp_gt_u32_e32 vcc, s33, v1
	s_and_saveexec_b64 s[0:1], vcc
	s_cbranch_execz .LBB1848_217
; %bb.216:
	s_waitcnt lgkmcnt(0)
	v_add_co_u32_e32 v16, vcc, 0x2000, v4
	s_nop 1
	v_addc_co_u32_e32 v17, vcc, 0, v5, vcc
	flat_store_dword v[16:17], v14 offset:3072
.LBB1848_217:
	s_or_b64 exec, exec, s[0:1]
	v_or_b32_e32 v1, 0xc00, v0
	v_cmp_gt_u32_e32 vcc, s33, v1
	s_and_saveexec_b64 s[0:1], vcc
	s_cbranch_execz .LBB1848_219
; %bb.218:
	s_waitcnt lgkmcnt(0)
	v_add_co_u32_e32 v16, vcc, 0x3000, v4
	s_nop 1
	v_addc_co_u32_e32 v17, vcc, 0, v5, vcc
	flat_store_dword v[16:17], v15
.LBB1848_219:
	s_or_b64 exec, exec, s[0:1]
	v_or_b32_e32 v1, 0xd00, v0
	v_cmp_gt_u32_e32 vcc, s33, v1
	s_and_saveexec_b64 s[0:1], vcc
	s_cbranch_execz .LBB1848_221
; %bb.220:
	s_waitcnt lgkmcnt(0)
	v_add_co_u32_e32 v14, vcc, 0x3000, v4
	s_nop 1
	v_addc_co_u32_e32 v15, vcc, 0, v5, vcc
	flat_store_dword v[14:15], v12 offset:1024
.LBB1848_221:
	s_or_b64 exec, exec, s[0:1]
	v_or_b32_e32 v1, 0xe00, v0
	v_cmp_gt_u32_e32 vcc, s33, v1
	s_and_saveexec_b64 s[0:1], vcc
	s_cbranch_execz .LBB1848_223
; %bb.222:
	s_waitcnt lgkmcnt(0)
	v_add_co_u32_e32 v14, vcc, 0x3000, v4
	s_nop 1
	v_addc_co_u32_e32 v15, vcc, 0, v5, vcc
	flat_store_dword v[14:15], v13 offset:2048
.LBB1848_223:
	s_or_b64 exec, exec, s[0:1]
	v_or_b32_e32 v1, 0xf00, v0
	v_cmp_gt_u32_e32 vcc, s33, v1
	s_and_saveexec_b64 s[0:1], vcc
	s_cbranch_execz .LBB1848_225
; %bb.224:
	s_waitcnt lgkmcnt(0)
	v_add_co_u32_e32 v12, vcc, 0x3000, v4
	s_nop 1
	v_addc_co_u32_e32 v13, vcc, 0, v5, vcc
	flat_store_dword v[12:13], v10 offset:3072
.LBB1848_225:
	s_or_b64 exec, exec, s[0:1]
	v_or_b32_e32 v1, 0x1000, v0
	v_cmp_gt_u32_e32 vcc, s33, v1
	s_and_saveexec_b64 s[0:1], vcc
	s_cbranch_execz .LBB1848_227
; %bb.226:
	s_waitcnt lgkmcnt(0)
	v_add_co_u32_e32 v12, vcc, 0x4000, v4
	s_nop 1
	v_addc_co_u32_e32 v13, vcc, 0, v5, vcc
	flat_store_dword v[12:13], v11
.LBB1848_227:
	s_or_b64 exec, exec, s[0:1]
	v_or_b32_e32 v1, 0x1100, v0
	v_cmp_gt_u32_e32 vcc, s33, v1
	s_and_saveexec_b64 s[0:1], vcc
	s_cbranch_execz .LBB1848_229
; %bb.228:
	s_waitcnt lgkmcnt(0)
	v_add_co_u32_e32 v10, vcc, 0x4000, v4
	s_nop 1
	v_addc_co_u32_e32 v11, vcc, 0, v5, vcc
	flat_store_dword v[10:11], v8 offset:1024
.LBB1848_229:
	s_or_b64 exec, exec, s[0:1]
	v_or_b32_e32 v1, 0x1200, v0
	v_cmp_gt_u32_e32 vcc, s33, v1
	s_and_saveexec_b64 s[0:1], vcc
	s_cbranch_execz .LBB1848_231
; %bb.230:
	s_waitcnt lgkmcnt(0)
	v_add_co_u32_e32 v10, vcc, 0x4000, v4
	s_nop 1
	v_addc_co_u32_e32 v11, vcc, 0, v5, vcc
	flat_store_dword v[10:11], v9 offset:2048
.LBB1848_231:
	s_or_b64 exec, exec, s[0:1]
	v_or_b32_e32 v1, 0x1300, v0
	v_cmp_gt_u32_e32 vcc, s33, v1
	s_and_saveexec_b64 s[0:1], vcc
	s_cbranch_execz .LBB1848_233
; %bb.232:
	s_waitcnt lgkmcnt(0)
	v_add_co_u32_e32 v8, vcc, 0x4000, v4
	s_nop 1
	v_addc_co_u32_e32 v9, vcc, 0, v5, vcc
	flat_store_dword v[8:9], v6 offset:3072
.LBB1848_233:
	s_or_b64 exec, exec, s[0:1]
	v_or_b32_e32 v1, 0x1400, v0
	v_cmp_gt_u32_e32 vcc, s33, v1
	s_and_saveexec_b64 s[0:1], vcc
	s_cbranch_execz .LBB1848_235
; %bb.234:
	s_waitcnt lgkmcnt(0)
	v_add_co_u32_e32 v8, vcc, 0x5000, v4
	s_nop 1
	v_addc_co_u32_e32 v9, vcc, 0, v5, vcc
	flat_store_dword v[8:9], v7
.LBB1848_235:
	s_or_b64 exec, exec, s[0:1]
	v_or_b32_e32 v1, 0x1500, v0
	v_cmp_gt_u32_e32 vcc, s33, v1
	s_and_saveexec_b64 s[0:1], vcc
	s_cbranch_execz .LBB1848_237
; %bb.236:
	v_add_co_u32_e32 v4, vcc, 0x5000, v4
	s_nop 1
	v_addc_co_u32_e32 v5, vcc, 0, v5, vcc
	s_waitcnt lgkmcnt(0)
	flat_store_dword v[4:5], v2 offset:1024
.LBB1848_237:
	s_or_b64 exec, exec, s[0:1]
	s_waitcnt lgkmcnt(0)
	v_or_b32_e32 v2, 0x1600, v0
	v_mov_b32_e32 v1, v55
	v_cmp_gt_u32_e64 s[0:1], s33, v2
	s_branch .LBB1848_240
.LBB1848_238:
	s_mov_b64 s[0:1], 0
                                        ; implicit-def: $vgpr3
	s_cbranch_execz .LBB1848_240
; %bb.239:
	s_waitcnt lgkmcnt(0)
	v_mul_u32_u24_e32 v1, 0x5c, v0
	s_barrier
	s_movk_i32 s4, 0x5c
	ds_write2_b32 v1, v80, v58 offset1:1
	ds_write2_b32 v1, v59, v60 offset0:2 offset1:3
	ds_write2_b32 v1, v61, v62 offset0:4 offset1:5
	;; [unrolled: 1-line block ×10, first 2 shown]
	ds_write_b32 v1, v79 offset:88
	v_mov_b32_e32 v1, 0
	v_mul_i32_i24_e32 v2, 0xffffffa8, v0
	v_mad_u32_u24 v2, v0, s4, v2
	v_mov_b32_e32 v55, v1
	s_waitcnt lgkmcnt(0)
	s_barrier
	ds_read2st64_b32 v[4:5], v2 offset1:4
	ds_read2st64_b32 v[6:7], v2 offset0:8 offset1:12
	ds_read2st64_b32 v[8:9], v2 offset0:16 offset1:20
	;; [unrolled: 1-line block ×10, first 2 shown]
	ds_read_b32 v3, v2 offset:22528
	v_lshl_add_u64 v[26:27], s[2:3], 0, v[54:55]
	s_movk_i32 s4, 0x1000
	s_waitcnt lgkmcnt(0)
	flat_store_dword v[26:27], v4
	flat_store_dword v[26:27], v5 offset:1024
	flat_store_dword v[26:27], v6 offset:2048
	;; [unrolled: 1-line block ×3, first 2 shown]
	v_add_co_u32_e32 v4, vcc, s4, v26
	s_movk_i32 s4, 0x2000
	s_nop 0
	v_addc_co_u32_e32 v5, vcc, 0, v27, vcc
	flat_store_dword v[4:5], v8
	flat_store_dword v[4:5], v9 offset:1024
	flat_store_dword v[4:5], v10 offset:2048
	;; [unrolled: 1-line block ×3, first 2 shown]
	v_add_co_u32_e32 v4, vcc, s4, v26
	s_movk_i32 s4, 0x3000
	s_nop 0
	v_addc_co_u32_e32 v5, vcc, 0, v27, vcc
	flat_store_dword v[4:5], v12
	flat_store_dword v[4:5], v13 offset:1024
	flat_store_dword v[4:5], v14 offset:2048
	;; [unrolled: 1-line block ×3, first 2 shown]
	v_add_co_u32_e32 v4, vcc, s4, v26
	s_or_b64 s[0:1], s[0:1], exec
	s_nop 0
	v_addc_co_u32_e32 v5, vcc, 0, v27, vcc
	flat_store_dword v[4:5], v16
	flat_store_dword v[4:5], v17 offset:1024
	flat_store_dword v[4:5], v18 offset:2048
	;; [unrolled: 1-line block ×3, first 2 shown]
	v_add_co_u32_e32 v4, vcc, 0x4000, v26
	s_nop 1
	v_addc_co_u32_e32 v5, vcc, 0, v27, vcc
	flat_store_dword v[4:5], v20
	flat_store_dword v[4:5], v21 offset:1024
	flat_store_dword v[4:5], v22 offset:2048
	;; [unrolled: 1-line block ×3, first 2 shown]
	v_add_co_u32_e32 v4, vcc, 0x5000, v26
	s_nop 1
	v_addc_co_u32_e32 v5, vcc, 0, v27, vcc
	flat_store_dword v[4:5], v24
	flat_store_dword v[4:5], v25 offset:1024
.LBB1848_240:
	s_and_saveexec_b64 s[4:5], s[0:1]
	s_cbranch_execnz .LBB1848_242
; %bb.241:
	s_endpgm
.LBB1848_242:
	s_waitcnt lgkmcnt(0)
	v_lshl_add_u64 v[0:1], v[0:1], 2, s[2:3]
	v_add_co_u32_e32 v0, vcc, 0x5000, v0
	s_nop 1
	v_addc_co_u32_e32 v1, vcc, 0, v1, vcc
	flat_store_dword v[0:1], v3 offset:2048
	s_endpgm
.LBB1848_243:
	v_lshl_add_u64 v[30:31], s[52:53], 0, v[2:3]
	flat_load_dword v29, v[30:31]
	s_or_b64 exec, exec, s[60:61]
                                        ; implicit-def: $vgpr30
	s_and_saveexec_b64 s[50:51], s[4:5]
	s_cbranch_execz .LBB1848_55
.LBB1848_244:
	v_mov_b32_e32 v3, 0
	v_lshl_add_u64 v[30:31], s[52:53], 0, v[2:3]
	flat_load_dword v30, v[30:31] offset:1024
	s_or_b64 exec, exec, s[50:51]
                                        ; implicit-def: $vgpr31
	s_and_saveexec_b64 s[4:5], s[6:7]
	s_cbranch_execz .LBB1848_56
.LBB1848_245:
	v_mov_b32_e32 v3, 0
	v_lshl_add_u64 v[32:33], s[52:53], 0, v[2:3]
	flat_load_dword v31, v[32:33] offset:2048
	s_or_b64 exec, exec, s[4:5]
                                        ; implicit-def: $vgpr3
	s_and_saveexec_b64 s[4:5], s[8:9]
	s_cbranch_execz .LBB1848_57
.LBB1848_246:
	v_mov_b32_e32 v3, 0
	v_lshl_add_u64 v[32:33], s[52:53], 0, v[2:3]
	flat_load_dword v3, v[32:33] offset:3072
	s_or_b64 exec, exec, s[4:5]
                                        ; implicit-def: $vgpr32
	s_and_saveexec_b64 s[4:5], s[10:11]
	s_cbranch_execz .LBB1848_58
.LBB1848_247:
	v_lshlrev_b32_e32 v32, 2, v10
	v_mov_b32_e32 v33, 0
	v_lshl_add_u64 v[32:33], s[52:53], 0, v[32:33]
	flat_load_dword v32, v[32:33]
	s_or_b64 exec, exec, s[4:5]
                                        ; implicit-def: $vgpr10
	s_and_saveexec_b64 s[4:5], s[12:13]
	s_cbranch_execz .LBB1848_59
.LBB1848_248:
	v_lshlrev_b32_e32 v10, 2, v11
	v_mov_b32_e32 v11, 0
	v_lshl_add_u64 v[10:11], s[52:53], 0, v[10:11]
	flat_load_dword v10, v[10:11]
	s_or_b64 exec, exec, s[4:5]
                                        ; implicit-def: $vgpr11
	s_and_saveexec_b64 s[4:5], s[14:15]
	s_cbranch_execz .LBB1848_60
.LBB1848_249:
	v_lshlrev_b32_e32 v34, 2, v12
	v_mov_b32_e32 v35, 0
	v_lshl_add_u64 v[34:35], s[52:53], 0, v[34:35]
	flat_load_dword v11, v[34:35]
	s_or_b64 exec, exec, s[4:5]
                                        ; implicit-def: $vgpr12
	s_and_saveexec_b64 s[4:5], s[16:17]
	s_cbranch_execz .LBB1848_61
.LBB1848_250:
	v_lshlrev_b32_e32 v12, 2, v13
	v_mov_b32_e32 v13, 0
	v_lshl_add_u64 v[12:13], s[52:53], 0, v[12:13]
	flat_load_dword v12, v[12:13]
	s_or_b64 exec, exec, s[4:5]
                                        ; implicit-def: $vgpr13
	s_and_saveexec_b64 s[4:5], s[18:19]
	s_cbranch_execz .LBB1848_62
.LBB1848_251:
	v_lshlrev_b32_e32 v34, 2, v14
	v_mov_b32_e32 v35, 0
	v_lshl_add_u64 v[34:35], s[52:53], 0, v[34:35]
	flat_load_dword v13, v[34:35]
	s_or_b64 exec, exec, s[4:5]
                                        ; implicit-def: $vgpr14
	s_and_saveexec_b64 s[4:5], s[20:21]
	s_cbranch_execz .LBB1848_63
.LBB1848_252:
	v_lshlrev_b32_e32 v14, 2, v15
	v_mov_b32_e32 v15, 0
	v_lshl_add_u64 v[14:15], s[52:53], 0, v[14:15]
	flat_load_dword v14, v[14:15]
	s_or_b64 exec, exec, s[4:5]
                                        ; implicit-def: $vgpr15
	s_and_saveexec_b64 s[4:5], s[22:23]
	s_cbranch_execz .LBB1848_64
.LBB1848_253:
	v_lshlrev_b32_e32 v34, 2, v16
	v_mov_b32_e32 v35, 0
	v_lshl_add_u64 v[34:35], s[52:53], 0, v[34:35]
	flat_load_dword v15, v[34:35]
	s_or_b64 exec, exec, s[4:5]
                                        ; implicit-def: $vgpr16
	s_and_saveexec_b64 s[4:5], s[24:25]
	s_cbranch_execz .LBB1848_65
.LBB1848_254:
	v_lshlrev_b32_e32 v16, 2, v17
	v_mov_b32_e32 v17, 0
	v_lshl_add_u64 v[16:17], s[52:53], 0, v[16:17]
	flat_load_dword v16, v[16:17]
	s_or_b64 exec, exec, s[4:5]
                                        ; implicit-def: $vgpr17
	s_and_saveexec_b64 s[4:5], s[26:27]
	s_cbranch_execz .LBB1848_66
.LBB1848_255:
	v_lshlrev_b32_e32 v34, 2, v18
	v_mov_b32_e32 v35, 0
	v_lshl_add_u64 v[34:35], s[52:53], 0, v[34:35]
	flat_load_dword v17, v[34:35]
	s_or_b64 exec, exec, s[4:5]
                                        ; implicit-def: $vgpr18
	s_and_saveexec_b64 s[4:5], s[28:29]
	s_cbranch_execz .LBB1848_67
.LBB1848_256:
	v_lshlrev_b32_e32 v18, 2, v19
	v_mov_b32_e32 v19, 0
	v_lshl_add_u64 v[18:19], s[52:53], 0, v[18:19]
	flat_load_dword v18, v[18:19]
	s_or_b64 exec, exec, s[4:5]
                                        ; implicit-def: $vgpr19
	s_and_saveexec_b64 s[4:5], s[30:31]
	s_cbranch_execz .LBB1848_68
.LBB1848_257:
	v_lshlrev_b32_e32 v34, 2, v20
	v_mov_b32_e32 v35, 0
	v_lshl_add_u64 v[34:35], s[52:53], 0, v[34:35]
	flat_load_dword v19, v[34:35]
	s_or_b64 exec, exec, s[4:5]
                                        ; implicit-def: $vgpr20
	s_and_saveexec_b64 s[4:5], s[34:35]
	s_cbranch_execz .LBB1848_69
.LBB1848_258:
	v_lshlrev_b32_e32 v20, 2, v21
	v_mov_b32_e32 v21, 0
	v_lshl_add_u64 v[20:21], s[52:53], 0, v[20:21]
	flat_load_dword v20, v[20:21]
	s_or_b64 exec, exec, s[4:5]
                                        ; implicit-def: $vgpr21
	s_and_saveexec_b64 s[4:5], s[36:37]
	s_cbranch_execz .LBB1848_70
.LBB1848_259:
	v_lshlrev_b32_e32 v34, 2, v22
	v_mov_b32_e32 v35, 0
	v_lshl_add_u64 v[34:35], s[52:53], 0, v[34:35]
	flat_load_dword v21, v[34:35]
	s_or_b64 exec, exec, s[4:5]
                                        ; implicit-def: $vgpr22
	s_and_saveexec_b64 s[4:5], s[38:39]
	s_cbranch_execz .LBB1848_71
.LBB1848_260:
	v_lshlrev_b32_e32 v22, 2, v23
	v_mov_b32_e32 v23, 0
	v_lshl_add_u64 v[22:23], s[52:53], 0, v[22:23]
	flat_load_dword v22, v[22:23]
	s_or_b64 exec, exec, s[4:5]
                                        ; implicit-def: $vgpr23
	s_and_saveexec_b64 s[4:5], s[40:41]
	s_cbranch_execz .LBB1848_72
.LBB1848_261:
	v_lshlrev_b32_e32 v34, 2, v24
	v_mov_b32_e32 v35, 0
	v_lshl_add_u64 v[34:35], s[52:53], 0, v[34:35]
	flat_load_dword v23, v[34:35]
	s_or_b64 exec, exec, s[4:5]
                                        ; implicit-def: $vgpr24
	s_and_saveexec_b64 s[4:5], s[42:43]
	s_cbranch_execz .LBB1848_73
.LBB1848_262:
	v_lshlrev_b32_e32 v24, 2, v25
	v_mov_b32_e32 v25, 0
	v_lshl_add_u64 v[24:25], s[52:53], 0, v[24:25]
	flat_load_dword v24, v[24:25]
	s_or_b64 exec, exec, s[4:5]
                                        ; implicit-def: $vgpr25
	s_and_saveexec_b64 s[4:5], s[44:45]
	s_cbranch_execz .LBB1848_74
.LBB1848_263:
	v_lshlrev_b32_e32 v34, 2, v26
	v_mov_b32_e32 v35, 0
	v_lshl_add_u64 v[34:35], s[52:53], 0, v[34:35]
	flat_load_dword v25, v[34:35]
	s_or_b64 exec, exec, s[4:5]
                                        ; implicit-def: $vgpr26
	s_and_saveexec_b64 s[4:5], s[46:47]
	s_cbranch_execz .LBB1848_75
.LBB1848_264:
	v_lshlrev_b32_e32 v26, 2, v27
	v_mov_b32_e32 v27, 0
	v_lshl_add_u64 v[26:27], s[52:53], 0, v[26:27]
	flat_load_dword v26, v[26:27]
	s_or_b64 exec, exec, s[4:5]
                                        ; implicit-def: $vgpr27
	s_and_saveexec_b64 s[4:5], s[48:49]
	s_cbranch_execnz .LBB1848_76
	s_branch .LBB1848_77
.LBB1848_265:
	v_add_u32_e32 v1, -1, v0
	v_lshrrev_b32_e32 v2, 5, v1
	v_add_lshl_u32 v1, v2, v1, 3
	ds_read_b32 v1, v1
	s_or_b64 exec, exec, s[50:51]
	s_and_saveexec_b64 s[50:51], s[2:3]
	s_cbranch_execz .LBB1848_189
.LBB1848_266:
	v_and_b32_e32 v3, 0xff, v11
	v_mov_b32_e32 v2, 0
	v_cmp_eq_u64_e64 s[2:3], 0, v[2:3]
	;;#ASMSTART
	;;#ASMEND
	s_waitcnt lgkmcnt(0)
	s_nop 0
	v_cndmask_b32_e64 v1, 0, v1, s[2:3]
	v_add_u32_e32 v10, v1, v10
	v_cndmask_b32_e64 v1, 0, v10, s[4:5]
	v_add_u32_e32 v58, v1, v12
	;; [unrolled: 2-line block ×23, first 2 shown]
	s_or_b64 exec, exec, s[50:51]
	s_and_saveexec_b64 s[2:3], vcc
	s_cbranch_execnz .LBB1848_190
	s_branch .LBB1848_191
.LBB1848_267:
                                        ; implicit-def: $sgpr60_sgpr61
	s_branch .LBB1848_50
.LBB1848_268:
                                        ; implicit-def: $sgpr4_sgpr5
	s_branch .LBB1848_126
	.section	.rodata,"a",@progbits
	.p2align	6, 0x0
	.amdhsa_kernel _ZN7rocprim17ROCPRIM_400000_NS6detail17trampoline_kernelINS0_14default_configENS1_27scan_by_key_config_selectorIjjEEZZNS1_16scan_by_key_implILNS1_25lookback_scan_determinismE0ELb0ES3_N6thrust23THRUST_200600_302600_NS6detail15normal_iteratorINS9_10device_ptrIjEEEESE_SE_jNS9_4plusIvEENS9_8equal_toIvEEjEE10hipError_tPvRmT2_T3_T4_T5_mT6_T7_P12ihipStream_tbENKUlT_T0_E_clISt17integral_constantIbLb1EESY_IbLb0EEEEDaSU_SV_EUlSU_E_NS1_11comp_targetILNS1_3genE5ELNS1_11target_archE942ELNS1_3gpuE9ELNS1_3repE0EEENS1_30default_config_static_selectorELNS0_4arch9wavefront6targetE1EEEvT1_
		.amdhsa_group_segment_fixed_size 25600
		.amdhsa_private_segment_fixed_size 0
		.amdhsa_kernarg_size 112
		.amdhsa_user_sgpr_count 2
		.amdhsa_user_sgpr_dispatch_ptr 0
		.amdhsa_user_sgpr_queue_ptr 0
		.amdhsa_user_sgpr_kernarg_segment_ptr 1
		.amdhsa_user_sgpr_dispatch_id 0
		.amdhsa_user_sgpr_kernarg_preload_length 0
		.amdhsa_user_sgpr_kernarg_preload_offset 0
		.amdhsa_user_sgpr_private_segment_size 0
		.amdhsa_uses_dynamic_stack 0
		.amdhsa_enable_private_segment 0
		.amdhsa_system_sgpr_workgroup_id_x 1
		.amdhsa_system_sgpr_workgroup_id_y 0
		.amdhsa_system_sgpr_workgroup_id_z 0
		.amdhsa_system_sgpr_workgroup_info 0
		.amdhsa_system_vgpr_workitem_id 0
		.amdhsa_next_free_vgpr 81
		.amdhsa_next_free_sgpr 82
		.amdhsa_accum_offset 84
		.amdhsa_reserve_vcc 1
		.amdhsa_float_round_mode_32 0
		.amdhsa_float_round_mode_16_64 0
		.amdhsa_float_denorm_mode_32 3
		.amdhsa_float_denorm_mode_16_64 3
		.amdhsa_dx10_clamp 1
		.amdhsa_ieee_mode 1
		.amdhsa_fp16_overflow 0
		.amdhsa_tg_split 0
		.amdhsa_exception_fp_ieee_invalid_op 0
		.amdhsa_exception_fp_denorm_src 0
		.amdhsa_exception_fp_ieee_div_zero 0
		.amdhsa_exception_fp_ieee_overflow 0
		.amdhsa_exception_fp_ieee_underflow 0
		.amdhsa_exception_fp_ieee_inexact 0
		.amdhsa_exception_int_div_zero 0
	.end_amdhsa_kernel
	.section	.text._ZN7rocprim17ROCPRIM_400000_NS6detail17trampoline_kernelINS0_14default_configENS1_27scan_by_key_config_selectorIjjEEZZNS1_16scan_by_key_implILNS1_25lookback_scan_determinismE0ELb0ES3_N6thrust23THRUST_200600_302600_NS6detail15normal_iteratorINS9_10device_ptrIjEEEESE_SE_jNS9_4plusIvEENS9_8equal_toIvEEjEE10hipError_tPvRmT2_T3_T4_T5_mT6_T7_P12ihipStream_tbENKUlT_T0_E_clISt17integral_constantIbLb1EESY_IbLb0EEEEDaSU_SV_EUlSU_E_NS1_11comp_targetILNS1_3genE5ELNS1_11target_archE942ELNS1_3gpuE9ELNS1_3repE0EEENS1_30default_config_static_selectorELNS0_4arch9wavefront6targetE1EEEvT1_,"axG",@progbits,_ZN7rocprim17ROCPRIM_400000_NS6detail17trampoline_kernelINS0_14default_configENS1_27scan_by_key_config_selectorIjjEEZZNS1_16scan_by_key_implILNS1_25lookback_scan_determinismE0ELb0ES3_N6thrust23THRUST_200600_302600_NS6detail15normal_iteratorINS9_10device_ptrIjEEEESE_SE_jNS9_4plusIvEENS9_8equal_toIvEEjEE10hipError_tPvRmT2_T3_T4_T5_mT6_T7_P12ihipStream_tbENKUlT_T0_E_clISt17integral_constantIbLb1EESY_IbLb0EEEEDaSU_SV_EUlSU_E_NS1_11comp_targetILNS1_3genE5ELNS1_11target_archE942ELNS1_3gpuE9ELNS1_3repE0EEENS1_30default_config_static_selectorELNS0_4arch9wavefront6targetE1EEEvT1_,comdat
.Lfunc_end1848:
	.size	_ZN7rocprim17ROCPRIM_400000_NS6detail17trampoline_kernelINS0_14default_configENS1_27scan_by_key_config_selectorIjjEEZZNS1_16scan_by_key_implILNS1_25lookback_scan_determinismE0ELb0ES3_N6thrust23THRUST_200600_302600_NS6detail15normal_iteratorINS9_10device_ptrIjEEEESE_SE_jNS9_4plusIvEENS9_8equal_toIvEEjEE10hipError_tPvRmT2_T3_T4_T5_mT6_T7_P12ihipStream_tbENKUlT_T0_E_clISt17integral_constantIbLb1EESY_IbLb0EEEEDaSU_SV_EUlSU_E_NS1_11comp_targetILNS1_3genE5ELNS1_11target_archE942ELNS1_3gpuE9ELNS1_3repE0EEENS1_30default_config_static_selectorELNS0_4arch9wavefront6targetE1EEEvT1_, .Lfunc_end1848-_ZN7rocprim17ROCPRIM_400000_NS6detail17trampoline_kernelINS0_14default_configENS1_27scan_by_key_config_selectorIjjEEZZNS1_16scan_by_key_implILNS1_25lookback_scan_determinismE0ELb0ES3_N6thrust23THRUST_200600_302600_NS6detail15normal_iteratorINS9_10device_ptrIjEEEESE_SE_jNS9_4plusIvEENS9_8equal_toIvEEjEE10hipError_tPvRmT2_T3_T4_T5_mT6_T7_P12ihipStream_tbENKUlT_T0_E_clISt17integral_constantIbLb1EESY_IbLb0EEEEDaSU_SV_EUlSU_E_NS1_11comp_targetILNS1_3genE5ELNS1_11target_archE942ELNS1_3gpuE9ELNS1_3repE0EEENS1_30default_config_static_selectorELNS0_4arch9wavefront6targetE1EEEvT1_
                                        ; -- End function
	.section	.AMDGPU.csdata,"",@progbits
; Kernel info:
; codeLenInByte = 15588
; NumSgprs: 88
; NumVgprs: 81
; NumAgprs: 0
; TotalNumVgprs: 81
; ScratchSize: 0
; MemoryBound: 0
; FloatMode: 240
; IeeeMode: 1
; LDSByteSize: 25600 bytes/workgroup (compile time only)
; SGPRBlocks: 10
; VGPRBlocks: 10
; NumSGPRsForWavesPerEU: 88
; NumVGPRsForWavesPerEU: 81
; AccumOffset: 84
; Occupancy: 2
; WaveLimiterHint : 1
; COMPUTE_PGM_RSRC2:SCRATCH_EN: 0
; COMPUTE_PGM_RSRC2:USER_SGPR: 2
; COMPUTE_PGM_RSRC2:TRAP_HANDLER: 0
; COMPUTE_PGM_RSRC2:TGID_X_EN: 1
; COMPUTE_PGM_RSRC2:TGID_Y_EN: 0
; COMPUTE_PGM_RSRC2:TGID_Z_EN: 0
; COMPUTE_PGM_RSRC2:TIDIG_COMP_CNT: 0
; COMPUTE_PGM_RSRC3_GFX90A:ACCUM_OFFSET: 20
; COMPUTE_PGM_RSRC3_GFX90A:TG_SPLIT: 0
	.section	.text._ZN7rocprim17ROCPRIM_400000_NS6detail17trampoline_kernelINS0_14default_configENS1_27scan_by_key_config_selectorIjjEEZZNS1_16scan_by_key_implILNS1_25lookback_scan_determinismE0ELb0ES3_N6thrust23THRUST_200600_302600_NS6detail15normal_iteratorINS9_10device_ptrIjEEEESE_SE_jNS9_4plusIvEENS9_8equal_toIvEEjEE10hipError_tPvRmT2_T3_T4_T5_mT6_T7_P12ihipStream_tbENKUlT_T0_E_clISt17integral_constantIbLb1EESY_IbLb0EEEEDaSU_SV_EUlSU_E_NS1_11comp_targetILNS1_3genE4ELNS1_11target_archE910ELNS1_3gpuE8ELNS1_3repE0EEENS1_30default_config_static_selectorELNS0_4arch9wavefront6targetE1EEEvT1_,"axG",@progbits,_ZN7rocprim17ROCPRIM_400000_NS6detail17trampoline_kernelINS0_14default_configENS1_27scan_by_key_config_selectorIjjEEZZNS1_16scan_by_key_implILNS1_25lookback_scan_determinismE0ELb0ES3_N6thrust23THRUST_200600_302600_NS6detail15normal_iteratorINS9_10device_ptrIjEEEESE_SE_jNS9_4plusIvEENS9_8equal_toIvEEjEE10hipError_tPvRmT2_T3_T4_T5_mT6_T7_P12ihipStream_tbENKUlT_T0_E_clISt17integral_constantIbLb1EESY_IbLb0EEEEDaSU_SV_EUlSU_E_NS1_11comp_targetILNS1_3genE4ELNS1_11target_archE910ELNS1_3gpuE8ELNS1_3repE0EEENS1_30default_config_static_selectorELNS0_4arch9wavefront6targetE1EEEvT1_,comdat
	.protected	_ZN7rocprim17ROCPRIM_400000_NS6detail17trampoline_kernelINS0_14default_configENS1_27scan_by_key_config_selectorIjjEEZZNS1_16scan_by_key_implILNS1_25lookback_scan_determinismE0ELb0ES3_N6thrust23THRUST_200600_302600_NS6detail15normal_iteratorINS9_10device_ptrIjEEEESE_SE_jNS9_4plusIvEENS9_8equal_toIvEEjEE10hipError_tPvRmT2_T3_T4_T5_mT6_T7_P12ihipStream_tbENKUlT_T0_E_clISt17integral_constantIbLb1EESY_IbLb0EEEEDaSU_SV_EUlSU_E_NS1_11comp_targetILNS1_3genE4ELNS1_11target_archE910ELNS1_3gpuE8ELNS1_3repE0EEENS1_30default_config_static_selectorELNS0_4arch9wavefront6targetE1EEEvT1_ ; -- Begin function _ZN7rocprim17ROCPRIM_400000_NS6detail17trampoline_kernelINS0_14default_configENS1_27scan_by_key_config_selectorIjjEEZZNS1_16scan_by_key_implILNS1_25lookback_scan_determinismE0ELb0ES3_N6thrust23THRUST_200600_302600_NS6detail15normal_iteratorINS9_10device_ptrIjEEEESE_SE_jNS9_4plusIvEENS9_8equal_toIvEEjEE10hipError_tPvRmT2_T3_T4_T5_mT6_T7_P12ihipStream_tbENKUlT_T0_E_clISt17integral_constantIbLb1EESY_IbLb0EEEEDaSU_SV_EUlSU_E_NS1_11comp_targetILNS1_3genE4ELNS1_11target_archE910ELNS1_3gpuE8ELNS1_3repE0EEENS1_30default_config_static_selectorELNS0_4arch9wavefront6targetE1EEEvT1_
	.globl	_ZN7rocprim17ROCPRIM_400000_NS6detail17trampoline_kernelINS0_14default_configENS1_27scan_by_key_config_selectorIjjEEZZNS1_16scan_by_key_implILNS1_25lookback_scan_determinismE0ELb0ES3_N6thrust23THRUST_200600_302600_NS6detail15normal_iteratorINS9_10device_ptrIjEEEESE_SE_jNS9_4plusIvEENS9_8equal_toIvEEjEE10hipError_tPvRmT2_T3_T4_T5_mT6_T7_P12ihipStream_tbENKUlT_T0_E_clISt17integral_constantIbLb1EESY_IbLb0EEEEDaSU_SV_EUlSU_E_NS1_11comp_targetILNS1_3genE4ELNS1_11target_archE910ELNS1_3gpuE8ELNS1_3repE0EEENS1_30default_config_static_selectorELNS0_4arch9wavefront6targetE1EEEvT1_
	.p2align	8
	.type	_ZN7rocprim17ROCPRIM_400000_NS6detail17trampoline_kernelINS0_14default_configENS1_27scan_by_key_config_selectorIjjEEZZNS1_16scan_by_key_implILNS1_25lookback_scan_determinismE0ELb0ES3_N6thrust23THRUST_200600_302600_NS6detail15normal_iteratorINS9_10device_ptrIjEEEESE_SE_jNS9_4plusIvEENS9_8equal_toIvEEjEE10hipError_tPvRmT2_T3_T4_T5_mT6_T7_P12ihipStream_tbENKUlT_T0_E_clISt17integral_constantIbLb1EESY_IbLb0EEEEDaSU_SV_EUlSU_E_NS1_11comp_targetILNS1_3genE4ELNS1_11target_archE910ELNS1_3gpuE8ELNS1_3repE0EEENS1_30default_config_static_selectorELNS0_4arch9wavefront6targetE1EEEvT1_,@function
_ZN7rocprim17ROCPRIM_400000_NS6detail17trampoline_kernelINS0_14default_configENS1_27scan_by_key_config_selectorIjjEEZZNS1_16scan_by_key_implILNS1_25lookback_scan_determinismE0ELb0ES3_N6thrust23THRUST_200600_302600_NS6detail15normal_iteratorINS9_10device_ptrIjEEEESE_SE_jNS9_4plusIvEENS9_8equal_toIvEEjEE10hipError_tPvRmT2_T3_T4_T5_mT6_T7_P12ihipStream_tbENKUlT_T0_E_clISt17integral_constantIbLb1EESY_IbLb0EEEEDaSU_SV_EUlSU_E_NS1_11comp_targetILNS1_3genE4ELNS1_11target_archE910ELNS1_3gpuE8ELNS1_3repE0EEENS1_30default_config_static_selectorELNS0_4arch9wavefront6targetE1EEEvT1_: ; @_ZN7rocprim17ROCPRIM_400000_NS6detail17trampoline_kernelINS0_14default_configENS1_27scan_by_key_config_selectorIjjEEZZNS1_16scan_by_key_implILNS1_25lookback_scan_determinismE0ELb0ES3_N6thrust23THRUST_200600_302600_NS6detail15normal_iteratorINS9_10device_ptrIjEEEESE_SE_jNS9_4plusIvEENS9_8equal_toIvEEjEE10hipError_tPvRmT2_T3_T4_T5_mT6_T7_P12ihipStream_tbENKUlT_T0_E_clISt17integral_constantIbLb1EESY_IbLb0EEEEDaSU_SV_EUlSU_E_NS1_11comp_targetILNS1_3genE4ELNS1_11target_archE910ELNS1_3gpuE8ELNS1_3repE0EEENS1_30default_config_static_selectorELNS0_4arch9wavefront6targetE1EEEvT1_
; %bb.0:
	.section	.rodata,"a",@progbits
	.p2align	6, 0x0
	.amdhsa_kernel _ZN7rocprim17ROCPRIM_400000_NS6detail17trampoline_kernelINS0_14default_configENS1_27scan_by_key_config_selectorIjjEEZZNS1_16scan_by_key_implILNS1_25lookback_scan_determinismE0ELb0ES3_N6thrust23THRUST_200600_302600_NS6detail15normal_iteratorINS9_10device_ptrIjEEEESE_SE_jNS9_4plusIvEENS9_8equal_toIvEEjEE10hipError_tPvRmT2_T3_T4_T5_mT6_T7_P12ihipStream_tbENKUlT_T0_E_clISt17integral_constantIbLb1EESY_IbLb0EEEEDaSU_SV_EUlSU_E_NS1_11comp_targetILNS1_3genE4ELNS1_11target_archE910ELNS1_3gpuE8ELNS1_3repE0EEENS1_30default_config_static_selectorELNS0_4arch9wavefront6targetE1EEEvT1_
		.amdhsa_group_segment_fixed_size 0
		.amdhsa_private_segment_fixed_size 0
		.amdhsa_kernarg_size 112
		.amdhsa_user_sgpr_count 2
		.amdhsa_user_sgpr_dispatch_ptr 0
		.amdhsa_user_sgpr_queue_ptr 0
		.amdhsa_user_sgpr_kernarg_segment_ptr 1
		.amdhsa_user_sgpr_dispatch_id 0
		.amdhsa_user_sgpr_kernarg_preload_length 0
		.amdhsa_user_sgpr_kernarg_preload_offset 0
		.amdhsa_user_sgpr_private_segment_size 0
		.amdhsa_uses_dynamic_stack 0
		.amdhsa_enable_private_segment 0
		.amdhsa_system_sgpr_workgroup_id_x 1
		.amdhsa_system_sgpr_workgroup_id_y 0
		.amdhsa_system_sgpr_workgroup_id_z 0
		.amdhsa_system_sgpr_workgroup_info 0
		.amdhsa_system_vgpr_workitem_id 0
		.amdhsa_next_free_vgpr 1
		.amdhsa_next_free_sgpr 0
		.amdhsa_accum_offset 4
		.amdhsa_reserve_vcc 0
		.amdhsa_float_round_mode_32 0
		.amdhsa_float_round_mode_16_64 0
		.amdhsa_float_denorm_mode_32 3
		.amdhsa_float_denorm_mode_16_64 3
		.amdhsa_dx10_clamp 1
		.amdhsa_ieee_mode 1
		.amdhsa_fp16_overflow 0
		.amdhsa_tg_split 0
		.amdhsa_exception_fp_ieee_invalid_op 0
		.amdhsa_exception_fp_denorm_src 0
		.amdhsa_exception_fp_ieee_div_zero 0
		.amdhsa_exception_fp_ieee_overflow 0
		.amdhsa_exception_fp_ieee_underflow 0
		.amdhsa_exception_fp_ieee_inexact 0
		.amdhsa_exception_int_div_zero 0
	.end_amdhsa_kernel
	.section	.text._ZN7rocprim17ROCPRIM_400000_NS6detail17trampoline_kernelINS0_14default_configENS1_27scan_by_key_config_selectorIjjEEZZNS1_16scan_by_key_implILNS1_25lookback_scan_determinismE0ELb0ES3_N6thrust23THRUST_200600_302600_NS6detail15normal_iteratorINS9_10device_ptrIjEEEESE_SE_jNS9_4plusIvEENS9_8equal_toIvEEjEE10hipError_tPvRmT2_T3_T4_T5_mT6_T7_P12ihipStream_tbENKUlT_T0_E_clISt17integral_constantIbLb1EESY_IbLb0EEEEDaSU_SV_EUlSU_E_NS1_11comp_targetILNS1_3genE4ELNS1_11target_archE910ELNS1_3gpuE8ELNS1_3repE0EEENS1_30default_config_static_selectorELNS0_4arch9wavefront6targetE1EEEvT1_,"axG",@progbits,_ZN7rocprim17ROCPRIM_400000_NS6detail17trampoline_kernelINS0_14default_configENS1_27scan_by_key_config_selectorIjjEEZZNS1_16scan_by_key_implILNS1_25lookback_scan_determinismE0ELb0ES3_N6thrust23THRUST_200600_302600_NS6detail15normal_iteratorINS9_10device_ptrIjEEEESE_SE_jNS9_4plusIvEENS9_8equal_toIvEEjEE10hipError_tPvRmT2_T3_T4_T5_mT6_T7_P12ihipStream_tbENKUlT_T0_E_clISt17integral_constantIbLb1EESY_IbLb0EEEEDaSU_SV_EUlSU_E_NS1_11comp_targetILNS1_3genE4ELNS1_11target_archE910ELNS1_3gpuE8ELNS1_3repE0EEENS1_30default_config_static_selectorELNS0_4arch9wavefront6targetE1EEEvT1_,comdat
.Lfunc_end1849:
	.size	_ZN7rocprim17ROCPRIM_400000_NS6detail17trampoline_kernelINS0_14default_configENS1_27scan_by_key_config_selectorIjjEEZZNS1_16scan_by_key_implILNS1_25lookback_scan_determinismE0ELb0ES3_N6thrust23THRUST_200600_302600_NS6detail15normal_iteratorINS9_10device_ptrIjEEEESE_SE_jNS9_4plusIvEENS9_8equal_toIvEEjEE10hipError_tPvRmT2_T3_T4_T5_mT6_T7_P12ihipStream_tbENKUlT_T0_E_clISt17integral_constantIbLb1EESY_IbLb0EEEEDaSU_SV_EUlSU_E_NS1_11comp_targetILNS1_3genE4ELNS1_11target_archE910ELNS1_3gpuE8ELNS1_3repE0EEENS1_30default_config_static_selectorELNS0_4arch9wavefront6targetE1EEEvT1_, .Lfunc_end1849-_ZN7rocprim17ROCPRIM_400000_NS6detail17trampoline_kernelINS0_14default_configENS1_27scan_by_key_config_selectorIjjEEZZNS1_16scan_by_key_implILNS1_25lookback_scan_determinismE0ELb0ES3_N6thrust23THRUST_200600_302600_NS6detail15normal_iteratorINS9_10device_ptrIjEEEESE_SE_jNS9_4plusIvEENS9_8equal_toIvEEjEE10hipError_tPvRmT2_T3_T4_T5_mT6_T7_P12ihipStream_tbENKUlT_T0_E_clISt17integral_constantIbLb1EESY_IbLb0EEEEDaSU_SV_EUlSU_E_NS1_11comp_targetILNS1_3genE4ELNS1_11target_archE910ELNS1_3gpuE8ELNS1_3repE0EEENS1_30default_config_static_selectorELNS0_4arch9wavefront6targetE1EEEvT1_
                                        ; -- End function
	.section	.AMDGPU.csdata,"",@progbits
; Kernel info:
; codeLenInByte = 0
; NumSgprs: 6
; NumVgprs: 0
; NumAgprs: 0
; TotalNumVgprs: 0
; ScratchSize: 0
; MemoryBound: 0
; FloatMode: 240
; IeeeMode: 1
; LDSByteSize: 0 bytes/workgroup (compile time only)
; SGPRBlocks: 0
; VGPRBlocks: 0
; NumSGPRsForWavesPerEU: 6
; NumVGPRsForWavesPerEU: 1
; AccumOffset: 4
; Occupancy: 8
; WaveLimiterHint : 0
; COMPUTE_PGM_RSRC2:SCRATCH_EN: 0
; COMPUTE_PGM_RSRC2:USER_SGPR: 2
; COMPUTE_PGM_RSRC2:TRAP_HANDLER: 0
; COMPUTE_PGM_RSRC2:TGID_X_EN: 1
; COMPUTE_PGM_RSRC2:TGID_Y_EN: 0
; COMPUTE_PGM_RSRC2:TGID_Z_EN: 0
; COMPUTE_PGM_RSRC2:TIDIG_COMP_CNT: 0
; COMPUTE_PGM_RSRC3_GFX90A:ACCUM_OFFSET: 0
; COMPUTE_PGM_RSRC3_GFX90A:TG_SPLIT: 0
	.section	.text._ZN7rocprim17ROCPRIM_400000_NS6detail17trampoline_kernelINS0_14default_configENS1_27scan_by_key_config_selectorIjjEEZZNS1_16scan_by_key_implILNS1_25lookback_scan_determinismE0ELb0ES3_N6thrust23THRUST_200600_302600_NS6detail15normal_iteratorINS9_10device_ptrIjEEEESE_SE_jNS9_4plusIvEENS9_8equal_toIvEEjEE10hipError_tPvRmT2_T3_T4_T5_mT6_T7_P12ihipStream_tbENKUlT_T0_E_clISt17integral_constantIbLb1EESY_IbLb0EEEEDaSU_SV_EUlSU_E_NS1_11comp_targetILNS1_3genE3ELNS1_11target_archE908ELNS1_3gpuE7ELNS1_3repE0EEENS1_30default_config_static_selectorELNS0_4arch9wavefront6targetE1EEEvT1_,"axG",@progbits,_ZN7rocprim17ROCPRIM_400000_NS6detail17trampoline_kernelINS0_14default_configENS1_27scan_by_key_config_selectorIjjEEZZNS1_16scan_by_key_implILNS1_25lookback_scan_determinismE0ELb0ES3_N6thrust23THRUST_200600_302600_NS6detail15normal_iteratorINS9_10device_ptrIjEEEESE_SE_jNS9_4plusIvEENS9_8equal_toIvEEjEE10hipError_tPvRmT2_T3_T4_T5_mT6_T7_P12ihipStream_tbENKUlT_T0_E_clISt17integral_constantIbLb1EESY_IbLb0EEEEDaSU_SV_EUlSU_E_NS1_11comp_targetILNS1_3genE3ELNS1_11target_archE908ELNS1_3gpuE7ELNS1_3repE0EEENS1_30default_config_static_selectorELNS0_4arch9wavefront6targetE1EEEvT1_,comdat
	.protected	_ZN7rocprim17ROCPRIM_400000_NS6detail17trampoline_kernelINS0_14default_configENS1_27scan_by_key_config_selectorIjjEEZZNS1_16scan_by_key_implILNS1_25lookback_scan_determinismE0ELb0ES3_N6thrust23THRUST_200600_302600_NS6detail15normal_iteratorINS9_10device_ptrIjEEEESE_SE_jNS9_4plusIvEENS9_8equal_toIvEEjEE10hipError_tPvRmT2_T3_T4_T5_mT6_T7_P12ihipStream_tbENKUlT_T0_E_clISt17integral_constantIbLb1EESY_IbLb0EEEEDaSU_SV_EUlSU_E_NS1_11comp_targetILNS1_3genE3ELNS1_11target_archE908ELNS1_3gpuE7ELNS1_3repE0EEENS1_30default_config_static_selectorELNS0_4arch9wavefront6targetE1EEEvT1_ ; -- Begin function _ZN7rocprim17ROCPRIM_400000_NS6detail17trampoline_kernelINS0_14default_configENS1_27scan_by_key_config_selectorIjjEEZZNS1_16scan_by_key_implILNS1_25lookback_scan_determinismE0ELb0ES3_N6thrust23THRUST_200600_302600_NS6detail15normal_iteratorINS9_10device_ptrIjEEEESE_SE_jNS9_4plusIvEENS9_8equal_toIvEEjEE10hipError_tPvRmT2_T3_T4_T5_mT6_T7_P12ihipStream_tbENKUlT_T0_E_clISt17integral_constantIbLb1EESY_IbLb0EEEEDaSU_SV_EUlSU_E_NS1_11comp_targetILNS1_3genE3ELNS1_11target_archE908ELNS1_3gpuE7ELNS1_3repE0EEENS1_30default_config_static_selectorELNS0_4arch9wavefront6targetE1EEEvT1_
	.globl	_ZN7rocprim17ROCPRIM_400000_NS6detail17trampoline_kernelINS0_14default_configENS1_27scan_by_key_config_selectorIjjEEZZNS1_16scan_by_key_implILNS1_25lookback_scan_determinismE0ELb0ES3_N6thrust23THRUST_200600_302600_NS6detail15normal_iteratorINS9_10device_ptrIjEEEESE_SE_jNS9_4plusIvEENS9_8equal_toIvEEjEE10hipError_tPvRmT2_T3_T4_T5_mT6_T7_P12ihipStream_tbENKUlT_T0_E_clISt17integral_constantIbLb1EESY_IbLb0EEEEDaSU_SV_EUlSU_E_NS1_11comp_targetILNS1_3genE3ELNS1_11target_archE908ELNS1_3gpuE7ELNS1_3repE0EEENS1_30default_config_static_selectorELNS0_4arch9wavefront6targetE1EEEvT1_
	.p2align	8
	.type	_ZN7rocprim17ROCPRIM_400000_NS6detail17trampoline_kernelINS0_14default_configENS1_27scan_by_key_config_selectorIjjEEZZNS1_16scan_by_key_implILNS1_25lookback_scan_determinismE0ELb0ES3_N6thrust23THRUST_200600_302600_NS6detail15normal_iteratorINS9_10device_ptrIjEEEESE_SE_jNS9_4plusIvEENS9_8equal_toIvEEjEE10hipError_tPvRmT2_T3_T4_T5_mT6_T7_P12ihipStream_tbENKUlT_T0_E_clISt17integral_constantIbLb1EESY_IbLb0EEEEDaSU_SV_EUlSU_E_NS1_11comp_targetILNS1_3genE3ELNS1_11target_archE908ELNS1_3gpuE7ELNS1_3repE0EEENS1_30default_config_static_selectorELNS0_4arch9wavefront6targetE1EEEvT1_,@function
_ZN7rocprim17ROCPRIM_400000_NS6detail17trampoline_kernelINS0_14default_configENS1_27scan_by_key_config_selectorIjjEEZZNS1_16scan_by_key_implILNS1_25lookback_scan_determinismE0ELb0ES3_N6thrust23THRUST_200600_302600_NS6detail15normal_iteratorINS9_10device_ptrIjEEEESE_SE_jNS9_4plusIvEENS9_8equal_toIvEEjEE10hipError_tPvRmT2_T3_T4_T5_mT6_T7_P12ihipStream_tbENKUlT_T0_E_clISt17integral_constantIbLb1EESY_IbLb0EEEEDaSU_SV_EUlSU_E_NS1_11comp_targetILNS1_3genE3ELNS1_11target_archE908ELNS1_3gpuE7ELNS1_3repE0EEENS1_30default_config_static_selectorELNS0_4arch9wavefront6targetE1EEEvT1_: ; @_ZN7rocprim17ROCPRIM_400000_NS6detail17trampoline_kernelINS0_14default_configENS1_27scan_by_key_config_selectorIjjEEZZNS1_16scan_by_key_implILNS1_25lookback_scan_determinismE0ELb0ES3_N6thrust23THRUST_200600_302600_NS6detail15normal_iteratorINS9_10device_ptrIjEEEESE_SE_jNS9_4plusIvEENS9_8equal_toIvEEjEE10hipError_tPvRmT2_T3_T4_T5_mT6_T7_P12ihipStream_tbENKUlT_T0_E_clISt17integral_constantIbLb1EESY_IbLb0EEEEDaSU_SV_EUlSU_E_NS1_11comp_targetILNS1_3genE3ELNS1_11target_archE908ELNS1_3gpuE7ELNS1_3repE0EEENS1_30default_config_static_selectorELNS0_4arch9wavefront6targetE1EEEvT1_
; %bb.0:
	.section	.rodata,"a",@progbits
	.p2align	6, 0x0
	.amdhsa_kernel _ZN7rocprim17ROCPRIM_400000_NS6detail17trampoline_kernelINS0_14default_configENS1_27scan_by_key_config_selectorIjjEEZZNS1_16scan_by_key_implILNS1_25lookback_scan_determinismE0ELb0ES3_N6thrust23THRUST_200600_302600_NS6detail15normal_iteratorINS9_10device_ptrIjEEEESE_SE_jNS9_4plusIvEENS9_8equal_toIvEEjEE10hipError_tPvRmT2_T3_T4_T5_mT6_T7_P12ihipStream_tbENKUlT_T0_E_clISt17integral_constantIbLb1EESY_IbLb0EEEEDaSU_SV_EUlSU_E_NS1_11comp_targetILNS1_3genE3ELNS1_11target_archE908ELNS1_3gpuE7ELNS1_3repE0EEENS1_30default_config_static_selectorELNS0_4arch9wavefront6targetE1EEEvT1_
		.amdhsa_group_segment_fixed_size 0
		.amdhsa_private_segment_fixed_size 0
		.amdhsa_kernarg_size 112
		.amdhsa_user_sgpr_count 2
		.amdhsa_user_sgpr_dispatch_ptr 0
		.amdhsa_user_sgpr_queue_ptr 0
		.amdhsa_user_sgpr_kernarg_segment_ptr 1
		.amdhsa_user_sgpr_dispatch_id 0
		.amdhsa_user_sgpr_kernarg_preload_length 0
		.amdhsa_user_sgpr_kernarg_preload_offset 0
		.amdhsa_user_sgpr_private_segment_size 0
		.amdhsa_uses_dynamic_stack 0
		.amdhsa_enable_private_segment 0
		.amdhsa_system_sgpr_workgroup_id_x 1
		.amdhsa_system_sgpr_workgroup_id_y 0
		.amdhsa_system_sgpr_workgroup_id_z 0
		.amdhsa_system_sgpr_workgroup_info 0
		.amdhsa_system_vgpr_workitem_id 0
		.amdhsa_next_free_vgpr 1
		.amdhsa_next_free_sgpr 0
		.amdhsa_accum_offset 4
		.amdhsa_reserve_vcc 0
		.amdhsa_float_round_mode_32 0
		.amdhsa_float_round_mode_16_64 0
		.amdhsa_float_denorm_mode_32 3
		.amdhsa_float_denorm_mode_16_64 3
		.amdhsa_dx10_clamp 1
		.amdhsa_ieee_mode 1
		.amdhsa_fp16_overflow 0
		.amdhsa_tg_split 0
		.amdhsa_exception_fp_ieee_invalid_op 0
		.amdhsa_exception_fp_denorm_src 0
		.amdhsa_exception_fp_ieee_div_zero 0
		.amdhsa_exception_fp_ieee_overflow 0
		.amdhsa_exception_fp_ieee_underflow 0
		.amdhsa_exception_fp_ieee_inexact 0
		.amdhsa_exception_int_div_zero 0
	.end_amdhsa_kernel
	.section	.text._ZN7rocprim17ROCPRIM_400000_NS6detail17trampoline_kernelINS0_14default_configENS1_27scan_by_key_config_selectorIjjEEZZNS1_16scan_by_key_implILNS1_25lookback_scan_determinismE0ELb0ES3_N6thrust23THRUST_200600_302600_NS6detail15normal_iteratorINS9_10device_ptrIjEEEESE_SE_jNS9_4plusIvEENS9_8equal_toIvEEjEE10hipError_tPvRmT2_T3_T4_T5_mT6_T7_P12ihipStream_tbENKUlT_T0_E_clISt17integral_constantIbLb1EESY_IbLb0EEEEDaSU_SV_EUlSU_E_NS1_11comp_targetILNS1_3genE3ELNS1_11target_archE908ELNS1_3gpuE7ELNS1_3repE0EEENS1_30default_config_static_selectorELNS0_4arch9wavefront6targetE1EEEvT1_,"axG",@progbits,_ZN7rocprim17ROCPRIM_400000_NS6detail17trampoline_kernelINS0_14default_configENS1_27scan_by_key_config_selectorIjjEEZZNS1_16scan_by_key_implILNS1_25lookback_scan_determinismE0ELb0ES3_N6thrust23THRUST_200600_302600_NS6detail15normal_iteratorINS9_10device_ptrIjEEEESE_SE_jNS9_4plusIvEENS9_8equal_toIvEEjEE10hipError_tPvRmT2_T3_T4_T5_mT6_T7_P12ihipStream_tbENKUlT_T0_E_clISt17integral_constantIbLb1EESY_IbLb0EEEEDaSU_SV_EUlSU_E_NS1_11comp_targetILNS1_3genE3ELNS1_11target_archE908ELNS1_3gpuE7ELNS1_3repE0EEENS1_30default_config_static_selectorELNS0_4arch9wavefront6targetE1EEEvT1_,comdat
.Lfunc_end1850:
	.size	_ZN7rocprim17ROCPRIM_400000_NS6detail17trampoline_kernelINS0_14default_configENS1_27scan_by_key_config_selectorIjjEEZZNS1_16scan_by_key_implILNS1_25lookback_scan_determinismE0ELb0ES3_N6thrust23THRUST_200600_302600_NS6detail15normal_iteratorINS9_10device_ptrIjEEEESE_SE_jNS9_4plusIvEENS9_8equal_toIvEEjEE10hipError_tPvRmT2_T3_T4_T5_mT6_T7_P12ihipStream_tbENKUlT_T0_E_clISt17integral_constantIbLb1EESY_IbLb0EEEEDaSU_SV_EUlSU_E_NS1_11comp_targetILNS1_3genE3ELNS1_11target_archE908ELNS1_3gpuE7ELNS1_3repE0EEENS1_30default_config_static_selectorELNS0_4arch9wavefront6targetE1EEEvT1_, .Lfunc_end1850-_ZN7rocprim17ROCPRIM_400000_NS6detail17trampoline_kernelINS0_14default_configENS1_27scan_by_key_config_selectorIjjEEZZNS1_16scan_by_key_implILNS1_25lookback_scan_determinismE0ELb0ES3_N6thrust23THRUST_200600_302600_NS6detail15normal_iteratorINS9_10device_ptrIjEEEESE_SE_jNS9_4plusIvEENS9_8equal_toIvEEjEE10hipError_tPvRmT2_T3_T4_T5_mT6_T7_P12ihipStream_tbENKUlT_T0_E_clISt17integral_constantIbLb1EESY_IbLb0EEEEDaSU_SV_EUlSU_E_NS1_11comp_targetILNS1_3genE3ELNS1_11target_archE908ELNS1_3gpuE7ELNS1_3repE0EEENS1_30default_config_static_selectorELNS0_4arch9wavefront6targetE1EEEvT1_
                                        ; -- End function
	.section	.AMDGPU.csdata,"",@progbits
; Kernel info:
; codeLenInByte = 0
; NumSgprs: 6
; NumVgprs: 0
; NumAgprs: 0
; TotalNumVgprs: 0
; ScratchSize: 0
; MemoryBound: 0
; FloatMode: 240
; IeeeMode: 1
; LDSByteSize: 0 bytes/workgroup (compile time only)
; SGPRBlocks: 0
; VGPRBlocks: 0
; NumSGPRsForWavesPerEU: 6
; NumVGPRsForWavesPerEU: 1
; AccumOffset: 4
; Occupancy: 8
; WaveLimiterHint : 0
; COMPUTE_PGM_RSRC2:SCRATCH_EN: 0
; COMPUTE_PGM_RSRC2:USER_SGPR: 2
; COMPUTE_PGM_RSRC2:TRAP_HANDLER: 0
; COMPUTE_PGM_RSRC2:TGID_X_EN: 1
; COMPUTE_PGM_RSRC2:TGID_Y_EN: 0
; COMPUTE_PGM_RSRC2:TGID_Z_EN: 0
; COMPUTE_PGM_RSRC2:TIDIG_COMP_CNT: 0
; COMPUTE_PGM_RSRC3_GFX90A:ACCUM_OFFSET: 0
; COMPUTE_PGM_RSRC3_GFX90A:TG_SPLIT: 0
	.section	.text._ZN7rocprim17ROCPRIM_400000_NS6detail17trampoline_kernelINS0_14default_configENS1_27scan_by_key_config_selectorIjjEEZZNS1_16scan_by_key_implILNS1_25lookback_scan_determinismE0ELb0ES3_N6thrust23THRUST_200600_302600_NS6detail15normal_iteratorINS9_10device_ptrIjEEEESE_SE_jNS9_4plusIvEENS9_8equal_toIvEEjEE10hipError_tPvRmT2_T3_T4_T5_mT6_T7_P12ihipStream_tbENKUlT_T0_E_clISt17integral_constantIbLb1EESY_IbLb0EEEEDaSU_SV_EUlSU_E_NS1_11comp_targetILNS1_3genE2ELNS1_11target_archE906ELNS1_3gpuE6ELNS1_3repE0EEENS1_30default_config_static_selectorELNS0_4arch9wavefront6targetE1EEEvT1_,"axG",@progbits,_ZN7rocprim17ROCPRIM_400000_NS6detail17trampoline_kernelINS0_14default_configENS1_27scan_by_key_config_selectorIjjEEZZNS1_16scan_by_key_implILNS1_25lookback_scan_determinismE0ELb0ES3_N6thrust23THRUST_200600_302600_NS6detail15normal_iteratorINS9_10device_ptrIjEEEESE_SE_jNS9_4plusIvEENS9_8equal_toIvEEjEE10hipError_tPvRmT2_T3_T4_T5_mT6_T7_P12ihipStream_tbENKUlT_T0_E_clISt17integral_constantIbLb1EESY_IbLb0EEEEDaSU_SV_EUlSU_E_NS1_11comp_targetILNS1_3genE2ELNS1_11target_archE906ELNS1_3gpuE6ELNS1_3repE0EEENS1_30default_config_static_selectorELNS0_4arch9wavefront6targetE1EEEvT1_,comdat
	.protected	_ZN7rocprim17ROCPRIM_400000_NS6detail17trampoline_kernelINS0_14default_configENS1_27scan_by_key_config_selectorIjjEEZZNS1_16scan_by_key_implILNS1_25lookback_scan_determinismE0ELb0ES3_N6thrust23THRUST_200600_302600_NS6detail15normal_iteratorINS9_10device_ptrIjEEEESE_SE_jNS9_4plusIvEENS9_8equal_toIvEEjEE10hipError_tPvRmT2_T3_T4_T5_mT6_T7_P12ihipStream_tbENKUlT_T0_E_clISt17integral_constantIbLb1EESY_IbLb0EEEEDaSU_SV_EUlSU_E_NS1_11comp_targetILNS1_3genE2ELNS1_11target_archE906ELNS1_3gpuE6ELNS1_3repE0EEENS1_30default_config_static_selectorELNS0_4arch9wavefront6targetE1EEEvT1_ ; -- Begin function _ZN7rocprim17ROCPRIM_400000_NS6detail17trampoline_kernelINS0_14default_configENS1_27scan_by_key_config_selectorIjjEEZZNS1_16scan_by_key_implILNS1_25lookback_scan_determinismE0ELb0ES3_N6thrust23THRUST_200600_302600_NS6detail15normal_iteratorINS9_10device_ptrIjEEEESE_SE_jNS9_4plusIvEENS9_8equal_toIvEEjEE10hipError_tPvRmT2_T3_T4_T5_mT6_T7_P12ihipStream_tbENKUlT_T0_E_clISt17integral_constantIbLb1EESY_IbLb0EEEEDaSU_SV_EUlSU_E_NS1_11comp_targetILNS1_3genE2ELNS1_11target_archE906ELNS1_3gpuE6ELNS1_3repE0EEENS1_30default_config_static_selectorELNS0_4arch9wavefront6targetE1EEEvT1_
	.globl	_ZN7rocprim17ROCPRIM_400000_NS6detail17trampoline_kernelINS0_14default_configENS1_27scan_by_key_config_selectorIjjEEZZNS1_16scan_by_key_implILNS1_25lookback_scan_determinismE0ELb0ES3_N6thrust23THRUST_200600_302600_NS6detail15normal_iteratorINS9_10device_ptrIjEEEESE_SE_jNS9_4plusIvEENS9_8equal_toIvEEjEE10hipError_tPvRmT2_T3_T4_T5_mT6_T7_P12ihipStream_tbENKUlT_T0_E_clISt17integral_constantIbLb1EESY_IbLb0EEEEDaSU_SV_EUlSU_E_NS1_11comp_targetILNS1_3genE2ELNS1_11target_archE906ELNS1_3gpuE6ELNS1_3repE0EEENS1_30default_config_static_selectorELNS0_4arch9wavefront6targetE1EEEvT1_
	.p2align	8
	.type	_ZN7rocprim17ROCPRIM_400000_NS6detail17trampoline_kernelINS0_14default_configENS1_27scan_by_key_config_selectorIjjEEZZNS1_16scan_by_key_implILNS1_25lookback_scan_determinismE0ELb0ES3_N6thrust23THRUST_200600_302600_NS6detail15normal_iteratorINS9_10device_ptrIjEEEESE_SE_jNS9_4plusIvEENS9_8equal_toIvEEjEE10hipError_tPvRmT2_T3_T4_T5_mT6_T7_P12ihipStream_tbENKUlT_T0_E_clISt17integral_constantIbLb1EESY_IbLb0EEEEDaSU_SV_EUlSU_E_NS1_11comp_targetILNS1_3genE2ELNS1_11target_archE906ELNS1_3gpuE6ELNS1_3repE0EEENS1_30default_config_static_selectorELNS0_4arch9wavefront6targetE1EEEvT1_,@function
_ZN7rocprim17ROCPRIM_400000_NS6detail17trampoline_kernelINS0_14default_configENS1_27scan_by_key_config_selectorIjjEEZZNS1_16scan_by_key_implILNS1_25lookback_scan_determinismE0ELb0ES3_N6thrust23THRUST_200600_302600_NS6detail15normal_iteratorINS9_10device_ptrIjEEEESE_SE_jNS9_4plusIvEENS9_8equal_toIvEEjEE10hipError_tPvRmT2_T3_T4_T5_mT6_T7_P12ihipStream_tbENKUlT_T0_E_clISt17integral_constantIbLb1EESY_IbLb0EEEEDaSU_SV_EUlSU_E_NS1_11comp_targetILNS1_3genE2ELNS1_11target_archE906ELNS1_3gpuE6ELNS1_3repE0EEENS1_30default_config_static_selectorELNS0_4arch9wavefront6targetE1EEEvT1_: ; @_ZN7rocprim17ROCPRIM_400000_NS6detail17trampoline_kernelINS0_14default_configENS1_27scan_by_key_config_selectorIjjEEZZNS1_16scan_by_key_implILNS1_25lookback_scan_determinismE0ELb0ES3_N6thrust23THRUST_200600_302600_NS6detail15normal_iteratorINS9_10device_ptrIjEEEESE_SE_jNS9_4plusIvEENS9_8equal_toIvEEjEE10hipError_tPvRmT2_T3_T4_T5_mT6_T7_P12ihipStream_tbENKUlT_T0_E_clISt17integral_constantIbLb1EESY_IbLb0EEEEDaSU_SV_EUlSU_E_NS1_11comp_targetILNS1_3genE2ELNS1_11target_archE906ELNS1_3gpuE6ELNS1_3repE0EEENS1_30default_config_static_selectorELNS0_4arch9wavefront6targetE1EEEvT1_
; %bb.0:
	.section	.rodata,"a",@progbits
	.p2align	6, 0x0
	.amdhsa_kernel _ZN7rocprim17ROCPRIM_400000_NS6detail17trampoline_kernelINS0_14default_configENS1_27scan_by_key_config_selectorIjjEEZZNS1_16scan_by_key_implILNS1_25lookback_scan_determinismE0ELb0ES3_N6thrust23THRUST_200600_302600_NS6detail15normal_iteratorINS9_10device_ptrIjEEEESE_SE_jNS9_4plusIvEENS9_8equal_toIvEEjEE10hipError_tPvRmT2_T3_T4_T5_mT6_T7_P12ihipStream_tbENKUlT_T0_E_clISt17integral_constantIbLb1EESY_IbLb0EEEEDaSU_SV_EUlSU_E_NS1_11comp_targetILNS1_3genE2ELNS1_11target_archE906ELNS1_3gpuE6ELNS1_3repE0EEENS1_30default_config_static_selectorELNS0_4arch9wavefront6targetE1EEEvT1_
		.amdhsa_group_segment_fixed_size 0
		.amdhsa_private_segment_fixed_size 0
		.amdhsa_kernarg_size 112
		.amdhsa_user_sgpr_count 2
		.amdhsa_user_sgpr_dispatch_ptr 0
		.amdhsa_user_sgpr_queue_ptr 0
		.amdhsa_user_sgpr_kernarg_segment_ptr 1
		.amdhsa_user_sgpr_dispatch_id 0
		.amdhsa_user_sgpr_kernarg_preload_length 0
		.amdhsa_user_sgpr_kernarg_preload_offset 0
		.amdhsa_user_sgpr_private_segment_size 0
		.amdhsa_uses_dynamic_stack 0
		.amdhsa_enable_private_segment 0
		.amdhsa_system_sgpr_workgroup_id_x 1
		.amdhsa_system_sgpr_workgroup_id_y 0
		.amdhsa_system_sgpr_workgroup_id_z 0
		.amdhsa_system_sgpr_workgroup_info 0
		.amdhsa_system_vgpr_workitem_id 0
		.amdhsa_next_free_vgpr 1
		.amdhsa_next_free_sgpr 0
		.amdhsa_accum_offset 4
		.amdhsa_reserve_vcc 0
		.amdhsa_float_round_mode_32 0
		.amdhsa_float_round_mode_16_64 0
		.amdhsa_float_denorm_mode_32 3
		.amdhsa_float_denorm_mode_16_64 3
		.amdhsa_dx10_clamp 1
		.amdhsa_ieee_mode 1
		.amdhsa_fp16_overflow 0
		.amdhsa_tg_split 0
		.amdhsa_exception_fp_ieee_invalid_op 0
		.amdhsa_exception_fp_denorm_src 0
		.amdhsa_exception_fp_ieee_div_zero 0
		.amdhsa_exception_fp_ieee_overflow 0
		.amdhsa_exception_fp_ieee_underflow 0
		.amdhsa_exception_fp_ieee_inexact 0
		.amdhsa_exception_int_div_zero 0
	.end_amdhsa_kernel
	.section	.text._ZN7rocprim17ROCPRIM_400000_NS6detail17trampoline_kernelINS0_14default_configENS1_27scan_by_key_config_selectorIjjEEZZNS1_16scan_by_key_implILNS1_25lookback_scan_determinismE0ELb0ES3_N6thrust23THRUST_200600_302600_NS6detail15normal_iteratorINS9_10device_ptrIjEEEESE_SE_jNS9_4plusIvEENS9_8equal_toIvEEjEE10hipError_tPvRmT2_T3_T4_T5_mT6_T7_P12ihipStream_tbENKUlT_T0_E_clISt17integral_constantIbLb1EESY_IbLb0EEEEDaSU_SV_EUlSU_E_NS1_11comp_targetILNS1_3genE2ELNS1_11target_archE906ELNS1_3gpuE6ELNS1_3repE0EEENS1_30default_config_static_selectorELNS0_4arch9wavefront6targetE1EEEvT1_,"axG",@progbits,_ZN7rocprim17ROCPRIM_400000_NS6detail17trampoline_kernelINS0_14default_configENS1_27scan_by_key_config_selectorIjjEEZZNS1_16scan_by_key_implILNS1_25lookback_scan_determinismE0ELb0ES3_N6thrust23THRUST_200600_302600_NS6detail15normal_iteratorINS9_10device_ptrIjEEEESE_SE_jNS9_4plusIvEENS9_8equal_toIvEEjEE10hipError_tPvRmT2_T3_T4_T5_mT6_T7_P12ihipStream_tbENKUlT_T0_E_clISt17integral_constantIbLb1EESY_IbLb0EEEEDaSU_SV_EUlSU_E_NS1_11comp_targetILNS1_3genE2ELNS1_11target_archE906ELNS1_3gpuE6ELNS1_3repE0EEENS1_30default_config_static_selectorELNS0_4arch9wavefront6targetE1EEEvT1_,comdat
.Lfunc_end1851:
	.size	_ZN7rocprim17ROCPRIM_400000_NS6detail17trampoline_kernelINS0_14default_configENS1_27scan_by_key_config_selectorIjjEEZZNS1_16scan_by_key_implILNS1_25lookback_scan_determinismE0ELb0ES3_N6thrust23THRUST_200600_302600_NS6detail15normal_iteratorINS9_10device_ptrIjEEEESE_SE_jNS9_4plusIvEENS9_8equal_toIvEEjEE10hipError_tPvRmT2_T3_T4_T5_mT6_T7_P12ihipStream_tbENKUlT_T0_E_clISt17integral_constantIbLb1EESY_IbLb0EEEEDaSU_SV_EUlSU_E_NS1_11comp_targetILNS1_3genE2ELNS1_11target_archE906ELNS1_3gpuE6ELNS1_3repE0EEENS1_30default_config_static_selectorELNS0_4arch9wavefront6targetE1EEEvT1_, .Lfunc_end1851-_ZN7rocprim17ROCPRIM_400000_NS6detail17trampoline_kernelINS0_14default_configENS1_27scan_by_key_config_selectorIjjEEZZNS1_16scan_by_key_implILNS1_25lookback_scan_determinismE0ELb0ES3_N6thrust23THRUST_200600_302600_NS6detail15normal_iteratorINS9_10device_ptrIjEEEESE_SE_jNS9_4plusIvEENS9_8equal_toIvEEjEE10hipError_tPvRmT2_T3_T4_T5_mT6_T7_P12ihipStream_tbENKUlT_T0_E_clISt17integral_constantIbLb1EESY_IbLb0EEEEDaSU_SV_EUlSU_E_NS1_11comp_targetILNS1_3genE2ELNS1_11target_archE906ELNS1_3gpuE6ELNS1_3repE0EEENS1_30default_config_static_selectorELNS0_4arch9wavefront6targetE1EEEvT1_
                                        ; -- End function
	.section	.AMDGPU.csdata,"",@progbits
; Kernel info:
; codeLenInByte = 0
; NumSgprs: 6
; NumVgprs: 0
; NumAgprs: 0
; TotalNumVgprs: 0
; ScratchSize: 0
; MemoryBound: 0
; FloatMode: 240
; IeeeMode: 1
; LDSByteSize: 0 bytes/workgroup (compile time only)
; SGPRBlocks: 0
; VGPRBlocks: 0
; NumSGPRsForWavesPerEU: 6
; NumVGPRsForWavesPerEU: 1
; AccumOffset: 4
; Occupancy: 8
; WaveLimiterHint : 0
; COMPUTE_PGM_RSRC2:SCRATCH_EN: 0
; COMPUTE_PGM_RSRC2:USER_SGPR: 2
; COMPUTE_PGM_RSRC2:TRAP_HANDLER: 0
; COMPUTE_PGM_RSRC2:TGID_X_EN: 1
; COMPUTE_PGM_RSRC2:TGID_Y_EN: 0
; COMPUTE_PGM_RSRC2:TGID_Z_EN: 0
; COMPUTE_PGM_RSRC2:TIDIG_COMP_CNT: 0
; COMPUTE_PGM_RSRC3_GFX90A:ACCUM_OFFSET: 0
; COMPUTE_PGM_RSRC3_GFX90A:TG_SPLIT: 0
	.section	.text._ZN7rocprim17ROCPRIM_400000_NS6detail17trampoline_kernelINS0_14default_configENS1_27scan_by_key_config_selectorIjjEEZZNS1_16scan_by_key_implILNS1_25lookback_scan_determinismE0ELb0ES3_N6thrust23THRUST_200600_302600_NS6detail15normal_iteratorINS9_10device_ptrIjEEEESE_SE_jNS9_4plusIvEENS9_8equal_toIvEEjEE10hipError_tPvRmT2_T3_T4_T5_mT6_T7_P12ihipStream_tbENKUlT_T0_E_clISt17integral_constantIbLb1EESY_IbLb0EEEEDaSU_SV_EUlSU_E_NS1_11comp_targetILNS1_3genE10ELNS1_11target_archE1200ELNS1_3gpuE4ELNS1_3repE0EEENS1_30default_config_static_selectorELNS0_4arch9wavefront6targetE1EEEvT1_,"axG",@progbits,_ZN7rocprim17ROCPRIM_400000_NS6detail17trampoline_kernelINS0_14default_configENS1_27scan_by_key_config_selectorIjjEEZZNS1_16scan_by_key_implILNS1_25lookback_scan_determinismE0ELb0ES3_N6thrust23THRUST_200600_302600_NS6detail15normal_iteratorINS9_10device_ptrIjEEEESE_SE_jNS9_4plusIvEENS9_8equal_toIvEEjEE10hipError_tPvRmT2_T3_T4_T5_mT6_T7_P12ihipStream_tbENKUlT_T0_E_clISt17integral_constantIbLb1EESY_IbLb0EEEEDaSU_SV_EUlSU_E_NS1_11comp_targetILNS1_3genE10ELNS1_11target_archE1200ELNS1_3gpuE4ELNS1_3repE0EEENS1_30default_config_static_selectorELNS0_4arch9wavefront6targetE1EEEvT1_,comdat
	.protected	_ZN7rocprim17ROCPRIM_400000_NS6detail17trampoline_kernelINS0_14default_configENS1_27scan_by_key_config_selectorIjjEEZZNS1_16scan_by_key_implILNS1_25lookback_scan_determinismE0ELb0ES3_N6thrust23THRUST_200600_302600_NS6detail15normal_iteratorINS9_10device_ptrIjEEEESE_SE_jNS9_4plusIvEENS9_8equal_toIvEEjEE10hipError_tPvRmT2_T3_T4_T5_mT6_T7_P12ihipStream_tbENKUlT_T0_E_clISt17integral_constantIbLb1EESY_IbLb0EEEEDaSU_SV_EUlSU_E_NS1_11comp_targetILNS1_3genE10ELNS1_11target_archE1200ELNS1_3gpuE4ELNS1_3repE0EEENS1_30default_config_static_selectorELNS0_4arch9wavefront6targetE1EEEvT1_ ; -- Begin function _ZN7rocprim17ROCPRIM_400000_NS6detail17trampoline_kernelINS0_14default_configENS1_27scan_by_key_config_selectorIjjEEZZNS1_16scan_by_key_implILNS1_25lookback_scan_determinismE0ELb0ES3_N6thrust23THRUST_200600_302600_NS6detail15normal_iteratorINS9_10device_ptrIjEEEESE_SE_jNS9_4plusIvEENS9_8equal_toIvEEjEE10hipError_tPvRmT2_T3_T4_T5_mT6_T7_P12ihipStream_tbENKUlT_T0_E_clISt17integral_constantIbLb1EESY_IbLb0EEEEDaSU_SV_EUlSU_E_NS1_11comp_targetILNS1_3genE10ELNS1_11target_archE1200ELNS1_3gpuE4ELNS1_3repE0EEENS1_30default_config_static_selectorELNS0_4arch9wavefront6targetE1EEEvT1_
	.globl	_ZN7rocprim17ROCPRIM_400000_NS6detail17trampoline_kernelINS0_14default_configENS1_27scan_by_key_config_selectorIjjEEZZNS1_16scan_by_key_implILNS1_25lookback_scan_determinismE0ELb0ES3_N6thrust23THRUST_200600_302600_NS6detail15normal_iteratorINS9_10device_ptrIjEEEESE_SE_jNS9_4plusIvEENS9_8equal_toIvEEjEE10hipError_tPvRmT2_T3_T4_T5_mT6_T7_P12ihipStream_tbENKUlT_T0_E_clISt17integral_constantIbLb1EESY_IbLb0EEEEDaSU_SV_EUlSU_E_NS1_11comp_targetILNS1_3genE10ELNS1_11target_archE1200ELNS1_3gpuE4ELNS1_3repE0EEENS1_30default_config_static_selectorELNS0_4arch9wavefront6targetE1EEEvT1_
	.p2align	8
	.type	_ZN7rocprim17ROCPRIM_400000_NS6detail17trampoline_kernelINS0_14default_configENS1_27scan_by_key_config_selectorIjjEEZZNS1_16scan_by_key_implILNS1_25lookback_scan_determinismE0ELb0ES3_N6thrust23THRUST_200600_302600_NS6detail15normal_iteratorINS9_10device_ptrIjEEEESE_SE_jNS9_4plusIvEENS9_8equal_toIvEEjEE10hipError_tPvRmT2_T3_T4_T5_mT6_T7_P12ihipStream_tbENKUlT_T0_E_clISt17integral_constantIbLb1EESY_IbLb0EEEEDaSU_SV_EUlSU_E_NS1_11comp_targetILNS1_3genE10ELNS1_11target_archE1200ELNS1_3gpuE4ELNS1_3repE0EEENS1_30default_config_static_selectorELNS0_4arch9wavefront6targetE1EEEvT1_,@function
_ZN7rocprim17ROCPRIM_400000_NS6detail17trampoline_kernelINS0_14default_configENS1_27scan_by_key_config_selectorIjjEEZZNS1_16scan_by_key_implILNS1_25lookback_scan_determinismE0ELb0ES3_N6thrust23THRUST_200600_302600_NS6detail15normal_iteratorINS9_10device_ptrIjEEEESE_SE_jNS9_4plusIvEENS9_8equal_toIvEEjEE10hipError_tPvRmT2_T3_T4_T5_mT6_T7_P12ihipStream_tbENKUlT_T0_E_clISt17integral_constantIbLb1EESY_IbLb0EEEEDaSU_SV_EUlSU_E_NS1_11comp_targetILNS1_3genE10ELNS1_11target_archE1200ELNS1_3gpuE4ELNS1_3repE0EEENS1_30default_config_static_selectorELNS0_4arch9wavefront6targetE1EEEvT1_: ; @_ZN7rocprim17ROCPRIM_400000_NS6detail17trampoline_kernelINS0_14default_configENS1_27scan_by_key_config_selectorIjjEEZZNS1_16scan_by_key_implILNS1_25lookback_scan_determinismE0ELb0ES3_N6thrust23THRUST_200600_302600_NS6detail15normal_iteratorINS9_10device_ptrIjEEEESE_SE_jNS9_4plusIvEENS9_8equal_toIvEEjEE10hipError_tPvRmT2_T3_T4_T5_mT6_T7_P12ihipStream_tbENKUlT_T0_E_clISt17integral_constantIbLb1EESY_IbLb0EEEEDaSU_SV_EUlSU_E_NS1_11comp_targetILNS1_3genE10ELNS1_11target_archE1200ELNS1_3gpuE4ELNS1_3repE0EEENS1_30default_config_static_selectorELNS0_4arch9wavefront6targetE1EEEvT1_
; %bb.0:
	.section	.rodata,"a",@progbits
	.p2align	6, 0x0
	.amdhsa_kernel _ZN7rocprim17ROCPRIM_400000_NS6detail17trampoline_kernelINS0_14default_configENS1_27scan_by_key_config_selectorIjjEEZZNS1_16scan_by_key_implILNS1_25lookback_scan_determinismE0ELb0ES3_N6thrust23THRUST_200600_302600_NS6detail15normal_iteratorINS9_10device_ptrIjEEEESE_SE_jNS9_4plusIvEENS9_8equal_toIvEEjEE10hipError_tPvRmT2_T3_T4_T5_mT6_T7_P12ihipStream_tbENKUlT_T0_E_clISt17integral_constantIbLb1EESY_IbLb0EEEEDaSU_SV_EUlSU_E_NS1_11comp_targetILNS1_3genE10ELNS1_11target_archE1200ELNS1_3gpuE4ELNS1_3repE0EEENS1_30default_config_static_selectorELNS0_4arch9wavefront6targetE1EEEvT1_
		.amdhsa_group_segment_fixed_size 0
		.amdhsa_private_segment_fixed_size 0
		.amdhsa_kernarg_size 112
		.amdhsa_user_sgpr_count 2
		.amdhsa_user_sgpr_dispatch_ptr 0
		.amdhsa_user_sgpr_queue_ptr 0
		.amdhsa_user_sgpr_kernarg_segment_ptr 1
		.amdhsa_user_sgpr_dispatch_id 0
		.amdhsa_user_sgpr_kernarg_preload_length 0
		.amdhsa_user_sgpr_kernarg_preload_offset 0
		.amdhsa_user_sgpr_private_segment_size 0
		.amdhsa_uses_dynamic_stack 0
		.amdhsa_enable_private_segment 0
		.amdhsa_system_sgpr_workgroup_id_x 1
		.amdhsa_system_sgpr_workgroup_id_y 0
		.amdhsa_system_sgpr_workgroup_id_z 0
		.amdhsa_system_sgpr_workgroup_info 0
		.amdhsa_system_vgpr_workitem_id 0
		.amdhsa_next_free_vgpr 1
		.amdhsa_next_free_sgpr 0
		.amdhsa_accum_offset 4
		.amdhsa_reserve_vcc 0
		.amdhsa_float_round_mode_32 0
		.amdhsa_float_round_mode_16_64 0
		.amdhsa_float_denorm_mode_32 3
		.amdhsa_float_denorm_mode_16_64 3
		.amdhsa_dx10_clamp 1
		.amdhsa_ieee_mode 1
		.amdhsa_fp16_overflow 0
		.amdhsa_tg_split 0
		.amdhsa_exception_fp_ieee_invalid_op 0
		.amdhsa_exception_fp_denorm_src 0
		.amdhsa_exception_fp_ieee_div_zero 0
		.amdhsa_exception_fp_ieee_overflow 0
		.amdhsa_exception_fp_ieee_underflow 0
		.amdhsa_exception_fp_ieee_inexact 0
		.amdhsa_exception_int_div_zero 0
	.end_amdhsa_kernel
	.section	.text._ZN7rocprim17ROCPRIM_400000_NS6detail17trampoline_kernelINS0_14default_configENS1_27scan_by_key_config_selectorIjjEEZZNS1_16scan_by_key_implILNS1_25lookback_scan_determinismE0ELb0ES3_N6thrust23THRUST_200600_302600_NS6detail15normal_iteratorINS9_10device_ptrIjEEEESE_SE_jNS9_4plusIvEENS9_8equal_toIvEEjEE10hipError_tPvRmT2_T3_T4_T5_mT6_T7_P12ihipStream_tbENKUlT_T0_E_clISt17integral_constantIbLb1EESY_IbLb0EEEEDaSU_SV_EUlSU_E_NS1_11comp_targetILNS1_3genE10ELNS1_11target_archE1200ELNS1_3gpuE4ELNS1_3repE0EEENS1_30default_config_static_selectorELNS0_4arch9wavefront6targetE1EEEvT1_,"axG",@progbits,_ZN7rocprim17ROCPRIM_400000_NS6detail17trampoline_kernelINS0_14default_configENS1_27scan_by_key_config_selectorIjjEEZZNS1_16scan_by_key_implILNS1_25lookback_scan_determinismE0ELb0ES3_N6thrust23THRUST_200600_302600_NS6detail15normal_iteratorINS9_10device_ptrIjEEEESE_SE_jNS9_4plusIvEENS9_8equal_toIvEEjEE10hipError_tPvRmT2_T3_T4_T5_mT6_T7_P12ihipStream_tbENKUlT_T0_E_clISt17integral_constantIbLb1EESY_IbLb0EEEEDaSU_SV_EUlSU_E_NS1_11comp_targetILNS1_3genE10ELNS1_11target_archE1200ELNS1_3gpuE4ELNS1_3repE0EEENS1_30default_config_static_selectorELNS0_4arch9wavefront6targetE1EEEvT1_,comdat
.Lfunc_end1852:
	.size	_ZN7rocprim17ROCPRIM_400000_NS6detail17trampoline_kernelINS0_14default_configENS1_27scan_by_key_config_selectorIjjEEZZNS1_16scan_by_key_implILNS1_25lookback_scan_determinismE0ELb0ES3_N6thrust23THRUST_200600_302600_NS6detail15normal_iteratorINS9_10device_ptrIjEEEESE_SE_jNS9_4plusIvEENS9_8equal_toIvEEjEE10hipError_tPvRmT2_T3_T4_T5_mT6_T7_P12ihipStream_tbENKUlT_T0_E_clISt17integral_constantIbLb1EESY_IbLb0EEEEDaSU_SV_EUlSU_E_NS1_11comp_targetILNS1_3genE10ELNS1_11target_archE1200ELNS1_3gpuE4ELNS1_3repE0EEENS1_30default_config_static_selectorELNS0_4arch9wavefront6targetE1EEEvT1_, .Lfunc_end1852-_ZN7rocprim17ROCPRIM_400000_NS6detail17trampoline_kernelINS0_14default_configENS1_27scan_by_key_config_selectorIjjEEZZNS1_16scan_by_key_implILNS1_25lookback_scan_determinismE0ELb0ES3_N6thrust23THRUST_200600_302600_NS6detail15normal_iteratorINS9_10device_ptrIjEEEESE_SE_jNS9_4plusIvEENS9_8equal_toIvEEjEE10hipError_tPvRmT2_T3_T4_T5_mT6_T7_P12ihipStream_tbENKUlT_T0_E_clISt17integral_constantIbLb1EESY_IbLb0EEEEDaSU_SV_EUlSU_E_NS1_11comp_targetILNS1_3genE10ELNS1_11target_archE1200ELNS1_3gpuE4ELNS1_3repE0EEENS1_30default_config_static_selectorELNS0_4arch9wavefront6targetE1EEEvT1_
                                        ; -- End function
	.section	.AMDGPU.csdata,"",@progbits
; Kernel info:
; codeLenInByte = 0
; NumSgprs: 6
; NumVgprs: 0
; NumAgprs: 0
; TotalNumVgprs: 0
; ScratchSize: 0
; MemoryBound: 0
; FloatMode: 240
; IeeeMode: 1
; LDSByteSize: 0 bytes/workgroup (compile time only)
; SGPRBlocks: 0
; VGPRBlocks: 0
; NumSGPRsForWavesPerEU: 6
; NumVGPRsForWavesPerEU: 1
; AccumOffset: 4
; Occupancy: 8
; WaveLimiterHint : 0
; COMPUTE_PGM_RSRC2:SCRATCH_EN: 0
; COMPUTE_PGM_RSRC2:USER_SGPR: 2
; COMPUTE_PGM_RSRC2:TRAP_HANDLER: 0
; COMPUTE_PGM_RSRC2:TGID_X_EN: 1
; COMPUTE_PGM_RSRC2:TGID_Y_EN: 0
; COMPUTE_PGM_RSRC2:TGID_Z_EN: 0
; COMPUTE_PGM_RSRC2:TIDIG_COMP_CNT: 0
; COMPUTE_PGM_RSRC3_GFX90A:ACCUM_OFFSET: 0
; COMPUTE_PGM_RSRC3_GFX90A:TG_SPLIT: 0
	.section	.text._ZN7rocprim17ROCPRIM_400000_NS6detail17trampoline_kernelINS0_14default_configENS1_27scan_by_key_config_selectorIjjEEZZNS1_16scan_by_key_implILNS1_25lookback_scan_determinismE0ELb0ES3_N6thrust23THRUST_200600_302600_NS6detail15normal_iteratorINS9_10device_ptrIjEEEESE_SE_jNS9_4plusIvEENS9_8equal_toIvEEjEE10hipError_tPvRmT2_T3_T4_T5_mT6_T7_P12ihipStream_tbENKUlT_T0_E_clISt17integral_constantIbLb1EESY_IbLb0EEEEDaSU_SV_EUlSU_E_NS1_11comp_targetILNS1_3genE9ELNS1_11target_archE1100ELNS1_3gpuE3ELNS1_3repE0EEENS1_30default_config_static_selectorELNS0_4arch9wavefront6targetE1EEEvT1_,"axG",@progbits,_ZN7rocprim17ROCPRIM_400000_NS6detail17trampoline_kernelINS0_14default_configENS1_27scan_by_key_config_selectorIjjEEZZNS1_16scan_by_key_implILNS1_25lookback_scan_determinismE0ELb0ES3_N6thrust23THRUST_200600_302600_NS6detail15normal_iteratorINS9_10device_ptrIjEEEESE_SE_jNS9_4plusIvEENS9_8equal_toIvEEjEE10hipError_tPvRmT2_T3_T4_T5_mT6_T7_P12ihipStream_tbENKUlT_T0_E_clISt17integral_constantIbLb1EESY_IbLb0EEEEDaSU_SV_EUlSU_E_NS1_11comp_targetILNS1_3genE9ELNS1_11target_archE1100ELNS1_3gpuE3ELNS1_3repE0EEENS1_30default_config_static_selectorELNS0_4arch9wavefront6targetE1EEEvT1_,comdat
	.protected	_ZN7rocprim17ROCPRIM_400000_NS6detail17trampoline_kernelINS0_14default_configENS1_27scan_by_key_config_selectorIjjEEZZNS1_16scan_by_key_implILNS1_25lookback_scan_determinismE0ELb0ES3_N6thrust23THRUST_200600_302600_NS6detail15normal_iteratorINS9_10device_ptrIjEEEESE_SE_jNS9_4plusIvEENS9_8equal_toIvEEjEE10hipError_tPvRmT2_T3_T4_T5_mT6_T7_P12ihipStream_tbENKUlT_T0_E_clISt17integral_constantIbLb1EESY_IbLb0EEEEDaSU_SV_EUlSU_E_NS1_11comp_targetILNS1_3genE9ELNS1_11target_archE1100ELNS1_3gpuE3ELNS1_3repE0EEENS1_30default_config_static_selectorELNS0_4arch9wavefront6targetE1EEEvT1_ ; -- Begin function _ZN7rocprim17ROCPRIM_400000_NS6detail17trampoline_kernelINS0_14default_configENS1_27scan_by_key_config_selectorIjjEEZZNS1_16scan_by_key_implILNS1_25lookback_scan_determinismE0ELb0ES3_N6thrust23THRUST_200600_302600_NS6detail15normal_iteratorINS9_10device_ptrIjEEEESE_SE_jNS9_4plusIvEENS9_8equal_toIvEEjEE10hipError_tPvRmT2_T3_T4_T5_mT6_T7_P12ihipStream_tbENKUlT_T0_E_clISt17integral_constantIbLb1EESY_IbLb0EEEEDaSU_SV_EUlSU_E_NS1_11comp_targetILNS1_3genE9ELNS1_11target_archE1100ELNS1_3gpuE3ELNS1_3repE0EEENS1_30default_config_static_selectorELNS0_4arch9wavefront6targetE1EEEvT1_
	.globl	_ZN7rocprim17ROCPRIM_400000_NS6detail17trampoline_kernelINS0_14default_configENS1_27scan_by_key_config_selectorIjjEEZZNS1_16scan_by_key_implILNS1_25lookback_scan_determinismE0ELb0ES3_N6thrust23THRUST_200600_302600_NS6detail15normal_iteratorINS9_10device_ptrIjEEEESE_SE_jNS9_4plusIvEENS9_8equal_toIvEEjEE10hipError_tPvRmT2_T3_T4_T5_mT6_T7_P12ihipStream_tbENKUlT_T0_E_clISt17integral_constantIbLb1EESY_IbLb0EEEEDaSU_SV_EUlSU_E_NS1_11comp_targetILNS1_3genE9ELNS1_11target_archE1100ELNS1_3gpuE3ELNS1_3repE0EEENS1_30default_config_static_selectorELNS0_4arch9wavefront6targetE1EEEvT1_
	.p2align	8
	.type	_ZN7rocprim17ROCPRIM_400000_NS6detail17trampoline_kernelINS0_14default_configENS1_27scan_by_key_config_selectorIjjEEZZNS1_16scan_by_key_implILNS1_25lookback_scan_determinismE0ELb0ES3_N6thrust23THRUST_200600_302600_NS6detail15normal_iteratorINS9_10device_ptrIjEEEESE_SE_jNS9_4plusIvEENS9_8equal_toIvEEjEE10hipError_tPvRmT2_T3_T4_T5_mT6_T7_P12ihipStream_tbENKUlT_T0_E_clISt17integral_constantIbLb1EESY_IbLb0EEEEDaSU_SV_EUlSU_E_NS1_11comp_targetILNS1_3genE9ELNS1_11target_archE1100ELNS1_3gpuE3ELNS1_3repE0EEENS1_30default_config_static_selectorELNS0_4arch9wavefront6targetE1EEEvT1_,@function
_ZN7rocprim17ROCPRIM_400000_NS6detail17trampoline_kernelINS0_14default_configENS1_27scan_by_key_config_selectorIjjEEZZNS1_16scan_by_key_implILNS1_25lookback_scan_determinismE0ELb0ES3_N6thrust23THRUST_200600_302600_NS6detail15normal_iteratorINS9_10device_ptrIjEEEESE_SE_jNS9_4plusIvEENS9_8equal_toIvEEjEE10hipError_tPvRmT2_T3_T4_T5_mT6_T7_P12ihipStream_tbENKUlT_T0_E_clISt17integral_constantIbLb1EESY_IbLb0EEEEDaSU_SV_EUlSU_E_NS1_11comp_targetILNS1_3genE9ELNS1_11target_archE1100ELNS1_3gpuE3ELNS1_3repE0EEENS1_30default_config_static_selectorELNS0_4arch9wavefront6targetE1EEEvT1_: ; @_ZN7rocprim17ROCPRIM_400000_NS6detail17trampoline_kernelINS0_14default_configENS1_27scan_by_key_config_selectorIjjEEZZNS1_16scan_by_key_implILNS1_25lookback_scan_determinismE0ELb0ES3_N6thrust23THRUST_200600_302600_NS6detail15normal_iteratorINS9_10device_ptrIjEEEESE_SE_jNS9_4plusIvEENS9_8equal_toIvEEjEE10hipError_tPvRmT2_T3_T4_T5_mT6_T7_P12ihipStream_tbENKUlT_T0_E_clISt17integral_constantIbLb1EESY_IbLb0EEEEDaSU_SV_EUlSU_E_NS1_11comp_targetILNS1_3genE9ELNS1_11target_archE1100ELNS1_3gpuE3ELNS1_3repE0EEENS1_30default_config_static_selectorELNS0_4arch9wavefront6targetE1EEEvT1_
; %bb.0:
	.section	.rodata,"a",@progbits
	.p2align	6, 0x0
	.amdhsa_kernel _ZN7rocprim17ROCPRIM_400000_NS6detail17trampoline_kernelINS0_14default_configENS1_27scan_by_key_config_selectorIjjEEZZNS1_16scan_by_key_implILNS1_25lookback_scan_determinismE0ELb0ES3_N6thrust23THRUST_200600_302600_NS6detail15normal_iteratorINS9_10device_ptrIjEEEESE_SE_jNS9_4plusIvEENS9_8equal_toIvEEjEE10hipError_tPvRmT2_T3_T4_T5_mT6_T7_P12ihipStream_tbENKUlT_T0_E_clISt17integral_constantIbLb1EESY_IbLb0EEEEDaSU_SV_EUlSU_E_NS1_11comp_targetILNS1_3genE9ELNS1_11target_archE1100ELNS1_3gpuE3ELNS1_3repE0EEENS1_30default_config_static_selectorELNS0_4arch9wavefront6targetE1EEEvT1_
		.amdhsa_group_segment_fixed_size 0
		.amdhsa_private_segment_fixed_size 0
		.amdhsa_kernarg_size 112
		.amdhsa_user_sgpr_count 2
		.amdhsa_user_sgpr_dispatch_ptr 0
		.amdhsa_user_sgpr_queue_ptr 0
		.amdhsa_user_sgpr_kernarg_segment_ptr 1
		.amdhsa_user_sgpr_dispatch_id 0
		.amdhsa_user_sgpr_kernarg_preload_length 0
		.amdhsa_user_sgpr_kernarg_preload_offset 0
		.amdhsa_user_sgpr_private_segment_size 0
		.amdhsa_uses_dynamic_stack 0
		.amdhsa_enable_private_segment 0
		.amdhsa_system_sgpr_workgroup_id_x 1
		.amdhsa_system_sgpr_workgroup_id_y 0
		.amdhsa_system_sgpr_workgroup_id_z 0
		.amdhsa_system_sgpr_workgroup_info 0
		.amdhsa_system_vgpr_workitem_id 0
		.amdhsa_next_free_vgpr 1
		.amdhsa_next_free_sgpr 0
		.amdhsa_accum_offset 4
		.amdhsa_reserve_vcc 0
		.amdhsa_float_round_mode_32 0
		.amdhsa_float_round_mode_16_64 0
		.amdhsa_float_denorm_mode_32 3
		.amdhsa_float_denorm_mode_16_64 3
		.amdhsa_dx10_clamp 1
		.amdhsa_ieee_mode 1
		.amdhsa_fp16_overflow 0
		.amdhsa_tg_split 0
		.amdhsa_exception_fp_ieee_invalid_op 0
		.amdhsa_exception_fp_denorm_src 0
		.amdhsa_exception_fp_ieee_div_zero 0
		.amdhsa_exception_fp_ieee_overflow 0
		.amdhsa_exception_fp_ieee_underflow 0
		.amdhsa_exception_fp_ieee_inexact 0
		.amdhsa_exception_int_div_zero 0
	.end_amdhsa_kernel
	.section	.text._ZN7rocprim17ROCPRIM_400000_NS6detail17trampoline_kernelINS0_14default_configENS1_27scan_by_key_config_selectorIjjEEZZNS1_16scan_by_key_implILNS1_25lookback_scan_determinismE0ELb0ES3_N6thrust23THRUST_200600_302600_NS6detail15normal_iteratorINS9_10device_ptrIjEEEESE_SE_jNS9_4plusIvEENS9_8equal_toIvEEjEE10hipError_tPvRmT2_T3_T4_T5_mT6_T7_P12ihipStream_tbENKUlT_T0_E_clISt17integral_constantIbLb1EESY_IbLb0EEEEDaSU_SV_EUlSU_E_NS1_11comp_targetILNS1_3genE9ELNS1_11target_archE1100ELNS1_3gpuE3ELNS1_3repE0EEENS1_30default_config_static_selectorELNS0_4arch9wavefront6targetE1EEEvT1_,"axG",@progbits,_ZN7rocprim17ROCPRIM_400000_NS6detail17trampoline_kernelINS0_14default_configENS1_27scan_by_key_config_selectorIjjEEZZNS1_16scan_by_key_implILNS1_25lookback_scan_determinismE0ELb0ES3_N6thrust23THRUST_200600_302600_NS6detail15normal_iteratorINS9_10device_ptrIjEEEESE_SE_jNS9_4plusIvEENS9_8equal_toIvEEjEE10hipError_tPvRmT2_T3_T4_T5_mT6_T7_P12ihipStream_tbENKUlT_T0_E_clISt17integral_constantIbLb1EESY_IbLb0EEEEDaSU_SV_EUlSU_E_NS1_11comp_targetILNS1_3genE9ELNS1_11target_archE1100ELNS1_3gpuE3ELNS1_3repE0EEENS1_30default_config_static_selectorELNS0_4arch9wavefront6targetE1EEEvT1_,comdat
.Lfunc_end1853:
	.size	_ZN7rocprim17ROCPRIM_400000_NS6detail17trampoline_kernelINS0_14default_configENS1_27scan_by_key_config_selectorIjjEEZZNS1_16scan_by_key_implILNS1_25lookback_scan_determinismE0ELb0ES3_N6thrust23THRUST_200600_302600_NS6detail15normal_iteratorINS9_10device_ptrIjEEEESE_SE_jNS9_4plusIvEENS9_8equal_toIvEEjEE10hipError_tPvRmT2_T3_T4_T5_mT6_T7_P12ihipStream_tbENKUlT_T0_E_clISt17integral_constantIbLb1EESY_IbLb0EEEEDaSU_SV_EUlSU_E_NS1_11comp_targetILNS1_3genE9ELNS1_11target_archE1100ELNS1_3gpuE3ELNS1_3repE0EEENS1_30default_config_static_selectorELNS0_4arch9wavefront6targetE1EEEvT1_, .Lfunc_end1853-_ZN7rocprim17ROCPRIM_400000_NS6detail17trampoline_kernelINS0_14default_configENS1_27scan_by_key_config_selectorIjjEEZZNS1_16scan_by_key_implILNS1_25lookback_scan_determinismE0ELb0ES3_N6thrust23THRUST_200600_302600_NS6detail15normal_iteratorINS9_10device_ptrIjEEEESE_SE_jNS9_4plusIvEENS9_8equal_toIvEEjEE10hipError_tPvRmT2_T3_T4_T5_mT6_T7_P12ihipStream_tbENKUlT_T0_E_clISt17integral_constantIbLb1EESY_IbLb0EEEEDaSU_SV_EUlSU_E_NS1_11comp_targetILNS1_3genE9ELNS1_11target_archE1100ELNS1_3gpuE3ELNS1_3repE0EEENS1_30default_config_static_selectorELNS0_4arch9wavefront6targetE1EEEvT1_
                                        ; -- End function
	.section	.AMDGPU.csdata,"",@progbits
; Kernel info:
; codeLenInByte = 0
; NumSgprs: 6
; NumVgprs: 0
; NumAgprs: 0
; TotalNumVgprs: 0
; ScratchSize: 0
; MemoryBound: 0
; FloatMode: 240
; IeeeMode: 1
; LDSByteSize: 0 bytes/workgroup (compile time only)
; SGPRBlocks: 0
; VGPRBlocks: 0
; NumSGPRsForWavesPerEU: 6
; NumVGPRsForWavesPerEU: 1
; AccumOffset: 4
; Occupancy: 8
; WaveLimiterHint : 0
; COMPUTE_PGM_RSRC2:SCRATCH_EN: 0
; COMPUTE_PGM_RSRC2:USER_SGPR: 2
; COMPUTE_PGM_RSRC2:TRAP_HANDLER: 0
; COMPUTE_PGM_RSRC2:TGID_X_EN: 1
; COMPUTE_PGM_RSRC2:TGID_Y_EN: 0
; COMPUTE_PGM_RSRC2:TGID_Z_EN: 0
; COMPUTE_PGM_RSRC2:TIDIG_COMP_CNT: 0
; COMPUTE_PGM_RSRC3_GFX90A:ACCUM_OFFSET: 0
; COMPUTE_PGM_RSRC3_GFX90A:TG_SPLIT: 0
	.section	.text._ZN7rocprim17ROCPRIM_400000_NS6detail17trampoline_kernelINS0_14default_configENS1_27scan_by_key_config_selectorIjjEEZZNS1_16scan_by_key_implILNS1_25lookback_scan_determinismE0ELb0ES3_N6thrust23THRUST_200600_302600_NS6detail15normal_iteratorINS9_10device_ptrIjEEEESE_SE_jNS9_4plusIvEENS9_8equal_toIvEEjEE10hipError_tPvRmT2_T3_T4_T5_mT6_T7_P12ihipStream_tbENKUlT_T0_E_clISt17integral_constantIbLb1EESY_IbLb0EEEEDaSU_SV_EUlSU_E_NS1_11comp_targetILNS1_3genE8ELNS1_11target_archE1030ELNS1_3gpuE2ELNS1_3repE0EEENS1_30default_config_static_selectorELNS0_4arch9wavefront6targetE1EEEvT1_,"axG",@progbits,_ZN7rocprim17ROCPRIM_400000_NS6detail17trampoline_kernelINS0_14default_configENS1_27scan_by_key_config_selectorIjjEEZZNS1_16scan_by_key_implILNS1_25lookback_scan_determinismE0ELb0ES3_N6thrust23THRUST_200600_302600_NS6detail15normal_iteratorINS9_10device_ptrIjEEEESE_SE_jNS9_4plusIvEENS9_8equal_toIvEEjEE10hipError_tPvRmT2_T3_T4_T5_mT6_T7_P12ihipStream_tbENKUlT_T0_E_clISt17integral_constantIbLb1EESY_IbLb0EEEEDaSU_SV_EUlSU_E_NS1_11comp_targetILNS1_3genE8ELNS1_11target_archE1030ELNS1_3gpuE2ELNS1_3repE0EEENS1_30default_config_static_selectorELNS0_4arch9wavefront6targetE1EEEvT1_,comdat
	.protected	_ZN7rocprim17ROCPRIM_400000_NS6detail17trampoline_kernelINS0_14default_configENS1_27scan_by_key_config_selectorIjjEEZZNS1_16scan_by_key_implILNS1_25lookback_scan_determinismE0ELb0ES3_N6thrust23THRUST_200600_302600_NS6detail15normal_iteratorINS9_10device_ptrIjEEEESE_SE_jNS9_4plusIvEENS9_8equal_toIvEEjEE10hipError_tPvRmT2_T3_T4_T5_mT6_T7_P12ihipStream_tbENKUlT_T0_E_clISt17integral_constantIbLb1EESY_IbLb0EEEEDaSU_SV_EUlSU_E_NS1_11comp_targetILNS1_3genE8ELNS1_11target_archE1030ELNS1_3gpuE2ELNS1_3repE0EEENS1_30default_config_static_selectorELNS0_4arch9wavefront6targetE1EEEvT1_ ; -- Begin function _ZN7rocprim17ROCPRIM_400000_NS6detail17trampoline_kernelINS0_14default_configENS1_27scan_by_key_config_selectorIjjEEZZNS1_16scan_by_key_implILNS1_25lookback_scan_determinismE0ELb0ES3_N6thrust23THRUST_200600_302600_NS6detail15normal_iteratorINS9_10device_ptrIjEEEESE_SE_jNS9_4plusIvEENS9_8equal_toIvEEjEE10hipError_tPvRmT2_T3_T4_T5_mT6_T7_P12ihipStream_tbENKUlT_T0_E_clISt17integral_constantIbLb1EESY_IbLb0EEEEDaSU_SV_EUlSU_E_NS1_11comp_targetILNS1_3genE8ELNS1_11target_archE1030ELNS1_3gpuE2ELNS1_3repE0EEENS1_30default_config_static_selectorELNS0_4arch9wavefront6targetE1EEEvT1_
	.globl	_ZN7rocprim17ROCPRIM_400000_NS6detail17trampoline_kernelINS0_14default_configENS1_27scan_by_key_config_selectorIjjEEZZNS1_16scan_by_key_implILNS1_25lookback_scan_determinismE0ELb0ES3_N6thrust23THRUST_200600_302600_NS6detail15normal_iteratorINS9_10device_ptrIjEEEESE_SE_jNS9_4plusIvEENS9_8equal_toIvEEjEE10hipError_tPvRmT2_T3_T4_T5_mT6_T7_P12ihipStream_tbENKUlT_T0_E_clISt17integral_constantIbLb1EESY_IbLb0EEEEDaSU_SV_EUlSU_E_NS1_11comp_targetILNS1_3genE8ELNS1_11target_archE1030ELNS1_3gpuE2ELNS1_3repE0EEENS1_30default_config_static_selectorELNS0_4arch9wavefront6targetE1EEEvT1_
	.p2align	8
	.type	_ZN7rocprim17ROCPRIM_400000_NS6detail17trampoline_kernelINS0_14default_configENS1_27scan_by_key_config_selectorIjjEEZZNS1_16scan_by_key_implILNS1_25lookback_scan_determinismE0ELb0ES3_N6thrust23THRUST_200600_302600_NS6detail15normal_iteratorINS9_10device_ptrIjEEEESE_SE_jNS9_4plusIvEENS9_8equal_toIvEEjEE10hipError_tPvRmT2_T3_T4_T5_mT6_T7_P12ihipStream_tbENKUlT_T0_E_clISt17integral_constantIbLb1EESY_IbLb0EEEEDaSU_SV_EUlSU_E_NS1_11comp_targetILNS1_3genE8ELNS1_11target_archE1030ELNS1_3gpuE2ELNS1_3repE0EEENS1_30default_config_static_selectorELNS0_4arch9wavefront6targetE1EEEvT1_,@function
_ZN7rocprim17ROCPRIM_400000_NS6detail17trampoline_kernelINS0_14default_configENS1_27scan_by_key_config_selectorIjjEEZZNS1_16scan_by_key_implILNS1_25lookback_scan_determinismE0ELb0ES3_N6thrust23THRUST_200600_302600_NS6detail15normal_iteratorINS9_10device_ptrIjEEEESE_SE_jNS9_4plusIvEENS9_8equal_toIvEEjEE10hipError_tPvRmT2_T3_T4_T5_mT6_T7_P12ihipStream_tbENKUlT_T0_E_clISt17integral_constantIbLb1EESY_IbLb0EEEEDaSU_SV_EUlSU_E_NS1_11comp_targetILNS1_3genE8ELNS1_11target_archE1030ELNS1_3gpuE2ELNS1_3repE0EEENS1_30default_config_static_selectorELNS0_4arch9wavefront6targetE1EEEvT1_: ; @_ZN7rocprim17ROCPRIM_400000_NS6detail17trampoline_kernelINS0_14default_configENS1_27scan_by_key_config_selectorIjjEEZZNS1_16scan_by_key_implILNS1_25lookback_scan_determinismE0ELb0ES3_N6thrust23THRUST_200600_302600_NS6detail15normal_iteratorINS9_10device_ptrIjEEEESE_SE_jNS9_4plusIvEENS9_8equal_toIvEEjEE10hipError_tPvRmT2_T3_T4_T5_mT6_T7_P12ihipStream_tbENKUlT_T0_E_clISt17integral_constantIbLb1EESY_IbLb0EEEEDaSU_SV_EUlSU_E_NS1_11comp_targetILNS1_3genE8ELNS1_11target_archE1030ELNS1_3gpuE2ELNS1_3repE0EEENS1_30default_config_static_selectorELNS0_4arch9wavefront6targetE1EEEvT1_
; %bb.0:
	.section	.rodata,"a",@progbits
	.p2align	6, 0x0
	.amdhsa_kernel _ZN7rocprim17ROCPRIM_400000_NS6detail17trampoline_kernelINS0_14default_configENS1_27scan_by_key_config_selectorIjjEEZZNS1_16scan_by_key_implILNS1_25lookback_scan_determinismE0ELb0ES3_N6thrust23THRUST_200600_302600_NS6detail15normal_iteratorINS9_10device_ptrIjEEEESE_SE_jNS9_4plusIvEENS9_8equal_toIvEEjEE10hipError_tPvRmT2_T3_T4_T5_mT6_T7_P12ihipStream_tbENKUlT_T0_E_clISt17integral_constantIbLb1EESY_IbLb0EEEEDaSU_SV_EUlSU_E_NS1_11comp_targetILNS1_3genE8ELNS1_11target_archE1030ELNS1_3gpuE2ELNS1_3repE0EEENS1_30default_config_static_selectorELNS0_4arch9wavefront6targetE1EEEvT1_
		.amdhsa_group_segment_fixed_size 0
		.amdhsa_private_segment_fixed_size 0
		.amdhsa_kernarg_size 112
		.amdhsa_user_sgpr_count 2
		.amdhsa_user_sgpr_dispatch_ptr 0
		.amdhsa_user_sgpr_queue_ptr 0
		.amdhsa_user_sgpr_kernarg_segment_ptr 1
		.amdhsa_user_sgpr_dispatch_id 0
		.amdhsa_user_sgpr_kernarg_preload_length 0
		.amdhsa_user_sgpr_kernarg_preload_offset 0
		.amdhsa_user_sgpr_private_segment_size 0
		.amdhsa_uses_dynamic_stack 0
		.amdhsa_enable_private_segment 0
		.amdhsa_system_sgpr_workgroup_id_x 1
		.amdhsa_system_sgpr_workgroup_id_y 0
		.amdhsa_system_sgpr_workgroup_id_z 0
		.amdhsa_system_sgpr_workgroup_info 0
		.amdhsa_system_vgpr_workitem_id 0
		.amdhsa_next_free_vgpr 1
		.amdhsa_next_free_sgpr 0
		.amdhsa_accum_offset 4
		.amdhsa_reserve_vcc 0
		.amdhsa_float_round_mode_32 0
		.amdhsa_float_round_mode_16_64 0
		.amdhsa_float_denorm_mode_32 3
		.amdhsa_float_denorm_mode_16_64 3
		.amdhsa_dx10_clamp 1
		.amdhsa_ieee_mode 1
		.amdhsa_fp16_overflow 0
		.amdhsa_tg_split 0
		.amdhsa_exception_fp_ieee_invalid_op 0
		.amdhsa_exception_fp_denorm_src 0
		.amdhsa_exception_fp_ieee_div_zero 0
		.amdhsa_exception_fp_ieee_overflow 0
		.amdhsa_exception_fp_ieee_underflow 0
		.amdhsa_exception_fp_ieee_inexact 0
		.amdhsa_exception_int_div_zero 0
	.end_amdhsa_kernel
	.section	.text._ZN7rocprim17ROCPRIM_400000_NS6detail17trampoline_kernelINS0_14default_configENS1_27scan_by_key_config_selectorIjjEEZZNS1_16scan_by_key_implILNS1_25lookback_scan_determinismE0ELb0ES3_N6thrust23THRUST_200600_302600_NS6detail15normal_iteratorINS9_10device_ptrIjEEEESE_SE_jNS9_4plusIvEENS9_8equal_toIvEEjEE10hipError_tPvRmT2_T3_T4_T5_mT6_T7_P12ihipStream_tbENKUlT_T0_E_clISt17integral_constantIbLb1EESY_IbLb0EEEEDaSU_SV_EUlSU_E_NS1_11comp_targetILNS1_3genE8ELNS1_11target_archE1030ELNS1_3gpuE2ELNS1_3repE0EEENS1_30default_config_static_selectorELNS0_4arch9wavefront6targetE1EEEvT1_,"axG",@progbits,_ZN7rocprim17ROCPRIM_400000_NS6detail17trampoline_kernelINS0_14default_configENS1_27scan_by_key_config_selectorIjjEEZZNS1_16scan_by_key_implILNS1_25lookback_scan_determinismE0ELb0ES3_N6thrust23THRUST_200600_302600_NS6detail15normal_iteratorINS9_10device_ptrIjEEEESE_SE_jNS9_4plusIvEENS9_8equal_toIvEEjEE10hipError_tPvRmT2_T3_T4_T5_mT6_T7_P12ihipStream_tbENKUlT_T0_E_clISt17integral_constantIbLb1EESY_IbLb0EEEEDaSU_SV_EUlSU_E_NS1_11comp_targetILNS1_3genE8ELNS1_11target_archE1030ELNS1_3gpuE2ELNS1_3repE0EEENS1_30default_config_static_selectorELNS0_4arch9wavefront6targetE1EEEvT1_,comdat
.Lfunc_end1854:
	.size	_ZN7rocprim17ROCPRIM_400000_NS6detail17trampoline_kernelINS0_14default_configENS1_27scan_by_key_config_selectorIjjEEZZNS1_16scan_by_key_implILNS1_25lookback_scan_determinismE0ELb0ES3_N6thrust23THRUST_200600_302600_NS6detail15normal_iteratorINS9_10device_ptrIjEEEESE_SE_jNS9_4plusIvEENS9_8equal_toIvEEjEE10hipError_tPvRmT2_T3_T4_T5_mT6_T7_P12ihipStream_tbENKUlT_T0_E_clISt17integral_constantIbLb1EESY_IbLb0EEEEDaSU_SV_EUlSU_E_NS1_11comp_targetILNS1_3genE8ELNS1_11target_archE1030ELNS1_3gpuE2ELNS1_3repE0EEENS1_30default_config_static_selectorELNS0_4arch9wavefront6targetE1EEEvT1_, .Lfunc_end1854-_ZN7rocprim17ROCPRIM_400000_NS6detail17trampoline_kernelINS0_14default_configENS1_27scan_by_key_config_selectorIjjEEZZNS1_16scan_by_key_implILNS1_25lookback_scan_determinismE0ELb0ES3_N6thrust23THRUST_200600_302600_NS6detail15normal_iteratorINS9_10device_ptrIjEEEESE_SE_jNS9_4plusIvEENS9_8equal_toIvEEjEE10hipError_tPvRmT2_T3_T4_T5_mT6_T7_P12ihipStream_tbENKUlT_T0_E_clISt17integral_constantIbLb1EESY_IbLb0EEEEDaSU_SV_EUlSU_E_NS1_11comp_targetILNS1_3genE8ELNS1_11target_archE1030ELNS1_3gpuE2ELNS1_3repE0EEENS1_30default_config_static_selectorELNS0_4arch9wavefront6targetE1EEEvT1_
                                        ; -- End function
	.section	.AMDGPU.csdata,"",@progbits
; Kernel info:
; codeLenInByte = 0
; NumSgprs: 6
; NumVgprs: 0
; NumAgprs: 0
; TotalNumVgprs: 0
; ScratchSize: 0
; MemoryBound: 0
; FloatMode: 240
; IeeeMode: 1
; LDSByteSize: 0 bytes/workgroup (compile time only)
; SGPRBlocks: 0
; VGPRBlocks: 0
; NumSGPRsForWavesPerEU: 6
; NumVGPRsForWavesPerEU: 1
; AccumOffset: 4
; Occupancy: 8
; WaveLimiterHint : 0
; COMPUTE_PGM_RSRC2:SCRATCH_EN: 0
; COMPUTE_PGM_RSRC2:USER_SGPR: 2
; COMPUTE_PGM_RSRC2:TRAP_HANDLER: 0
; COMPUTE_PGM_RSRC2:TGID_X_EN: 1
; COMPUTE_PGM_RSRC2:TGID_Y_EN: 0
; COMPUTE_PGM_RSRC2:TGID_Z_EN: 0
; COMPUTE_PGM_RSRC2:TIDIG_COMP_CNT: 0
; COMPUTE_PGM_RSRC3_GFX90A:ACCUM_OFFSET: 0
; COMPUTE_PGM_RSRC3_GFX90A:TG_SPLIT: 0
	.section	.text._ZN7rocprim17ROCPRIM_400000_NS6detail30init_device_scan_by_key_kernelINS1_19lookback_scan_stateINS0_5tupleIJjbEEELb0ELb1EEEN6thrust23THRUST_200600_302600_NS6detail15normal_iteratorINS8_10device_ptrIjEEEEjNS1_16block_id_wrapperIjLb1EEEEEvT_jjPNSG_10value_typeET0_PNSt15iterator_traitsISJ_E10value_typeEmT1_T2_,"axG",@progbits,_ZN7rocprim17ROCPRIM_400000_NS6detail30init_device_scan_by_key_kernelINS1_19lookback_scan_stateINS0_5tupleIJjbEEELb0ELb1EEEN6thrust23THRUST_200600_302600_NS6detail15normal_iteratorINS8_10device_ptrIjEEEEjNS1_16block_id_wrapperIjLb1EEEEEvT_jjPNSG_10value_typeET0_PNSt15iterator_traitsISJ_E10value_typeEmT1_T2_,comdat
	.protected	_ZN7rocprim17ROCPRIM_400000_NS6detail30init_device_scan_by_key_kernelINS1_19lookback_scan_stateINS0_5tupleIJjbEEELb0ELb1EEEN6thrust23THRUST_200600_302600_NS6detail15normal_iteratorINS8_10device_ptrIjEEEEjNS1_16block_id_wrapperIjLb1EEEEEvT_jjPNSG_10value_typeET0_PNSt15iterator_traitsISJ_E10value_typeEmT1_T2_ ; -- Begin function _ZN7rocprim17ROCPRIM_400000_NS6detail30init_device_scan_by_key_kernelINS1_19lookback_scan_stateINS0_5tupleIJjbEEELb0ELb1EEEN6thrust23THRUST_200600_302600_NS6detail15normal_iteratorINS8_10device_ptrIjEEEEjNS1_16block_id_wrapperIjLb1EEEEEvT_jjPNSG_10value_typeET0_PNSt15iterator_traitsISJ_E10value_typeEmT1_T2_
	.globl	_ZN7rocprim17ROCPRIM_400000_NS6detail30init_device_scan_by_key_kernelINS1_19lookback_scan_stateINS0_5tupleIJjbEEELb0ELb1EEEN6thrust23THRUST_200600_302600_NS6detail15normal_iteratorINS8_10device_ptrIjEEEEjNS1_16block_id_wrapperIjLb1EEEEEvT_jjPNSG_10value_typeET0_PNSt15iterator_traitsISJ_E10value_typeEmT1_T2_
	.p2align	8
	.type	_ZN7rocprim17ROCPRIM_400000_NS6detail30init_device_scan_by_key_kernelINS1_19lookback_scan_stateINS0_5tupleIJjbEEELb0ELb1EEEN6thrust23THRUST_200600_302600_NS6detail15normal_iteratorINS8_10device_ptrIjEEEEjNS1_16block_id_wrapperIjLb1EEEEEvT_jjPNSG_10value_typeET0_PNSt15iterator_traitsISJ_E10value_typeEmT1_T2_,@function
_ZN7rocprim17ROCPRIM_400000_NS6detail30init_device_scan_by_key_kernelINS1_19lookback_scan_stateINS0_5tupleIJjbEEELb0ELb1EEEN6thrust23THRUST_200600_302600_NS6detail15normal_iteratorINS8_10device_ptrIjEEEEjNS1_16block_id_wrapperIjLb1EEEEEvT_jjPNSG_10value_typeET0_PNSt15iterator_traitsISJ_E10value_typeEmT1_T2_: ; @_ZN7rocprim17ROCPRIM_400000_NS6detail30init_device_scan_by_key_kernelINS1_19lookback_scan_stateINS0_5tupleIJjbEEELb0ELb1EEEN6thrust23THRUST_200600_302600_NS6detail15normal_iteratorINS8_10device_ptrIjEEEEjNS1_16block_id_wrapperIjLb1EEEEEvT_jjPNSG_10value_typeET0_PNSt15iterator_traitsISJ_E10value_typeEmT1_T2_
; %bb.0:
	s_load_dword s3, s[0:1], 0x4c
	s_load_dwordx8 s[4:11], s[0:1], 0x0
	s_load_dword s18, s[0:1], 0x40
	s_waitcnt lgkmcnt(0)
	s_and_b32 s19, s3, 0xffff
	s_mul_i32 s2, s2, s19
	s_cmp_eq_u64 s[8:9], 0
	v_add_u32_e32 v4, s2, v0
	s_cbranch_scc1 .LBB1855_8
; %bb.1:
	s_cmp_lt_u32 s7, s6
	s_cselect_b32 s2, s7, 0
	s_mov_b32 s13, 0
	v_cmp_eq_u32_e32 vcc, s2, v4
	s_and_saveexec_b64 s[2:3], vcc
	s_cbranch_execz .LBB1855_7
; %bb.2:
	s_add_i32 s12, s7, 64
	s_lshl_b64 s[12:13], s[12:13], 4
	s_add_u32 s16, s4, s12
	s_addc_u32 s17, s5, s13
	v_mov_b64_e32 v[0:1], s[16:17]
	;;#ASMSTART
	global_load_dwordx4 v[0:3], v[0:1] off sc1	
s_waitcnt vmcnt(0)
	;;#ASMEND
	v_mov_b32_e32 v7, 0
	v_and_b32_e32 v6, 0xff, v2
	s_mov_b64 s[14:15], 0
	v_cmp_eq_u64_e32 vcc, 0, v[6:7]
	s_and_saveexec_b64 s[12:13], vcc
	s_cbranch_execz .LBB1855_6
; %bb.3:
	v_mov_b64_e32 v[8:9], s[16:17]
.LBB1855_4:                             ; =>This Inner Loop Header: Depth=1
	;;#ASMSTART
	global_load_dwordx4 v[0:3], v[8:9] off sc1	
s_waitcnt vmcnt(0)
	;;#ASMEND
	s_nop 0
	v_and_b32_e32 v6, 0xff, v2
	v_cmp_ne_u64_e32 vcc, 0, v[6:7]
	s_or_b64 s[14:15], vcc, s[14:15]
	s_andn2_b64 exec, exec, s[14:15]
	s_cbranch_execnz .LBB1855_4
; %bb.5:
	s_or_b64 exec, exec, s[14:15]
.LBB1855_6:
	s_or_b64 exec, exec, s[12:13]
	v_mov_b32_e32 v2, 0
	global_store_dword v2, v0, s[8:9]
	global_store_byte v2, v1, s[8:9] offset:4
.LBB1855_7:
	s_or_b64 exec, exec, s[2:3]
.LBB1855_8:
	v_cmp_eq_u32_e32 vcc, 0, v4
	s_and_saveexec_b64 s[2:3], vcc
	s_cbranch_execz .LBB1855_10
; %bb.9:
	s_load_dwordx2 s[8:9], s[0:1], 0x38
	v_mov_b32_e32 v0, 0
	s_waitcnt lgkmcnt(0)
	global_store_dword v0, v0, s[8:9]
.LBB1855_10:
	s_or_b64 exec, exec, s[2:3]
	v_cmp_gt_u32_e32 vcc, s6, v4
	s_and_saveexec_b64 s[2:3], vcc
	s_cbranch_execz .LBB1855_12
; %bb.11:
	v_add_u32_e32 v0, 64, v4
	v_mov_b32_e32 v1, 0
	v_lshl_add_u64 v[6:7], v[0:1], 4, s[4:5]
	v_mov_b32_e32 v0, v1
	v_mov_b32_e32 v2, v1
	;; [unrolled: 1-line block ×3, first 2 shown]
	global_store_dwordx4 v[6:7], v[0:3], off
.LBB1855_12:
	s_or_b64 exec, exec, s[2:3]
	v_cmp_gt_u32_e32 vcc, 64, v4
	v_mov_b32_e32 v5, 0
	s_and_saveexec_b64 s[2:3], vcc
	s_cbranch_execz .LBB1855_14
; %bb.13:
	v_lshl_add_u64 v[6:7], v[4:5], 4, s[4:5]
	v_mov_b32_e32 v2, 0xff
	v_mov_b32_e32 v0, v5
	;; [unrolled: 1-line block ×4, first 2 shown]
	global_store_dwordx4 v[6:7], v[0:3], off
.LBB1855_14:
	s_or_b64 exec, exec, s[2:3]
	s_load_dwordx2 s[2:3], s[0:1], 0x28
	s_waitcnt lgkmcnt(0)
	v_cmp_gt_u64_e32 vcc, s[2:3], v[4:5]
	s_and_saveexec_b64 s[4:5], vcc
	s_cbranch_execz .LBB1855_17
; %bb.15:
	s_load_dword s12, s[0:1], 0x30
	s_load_dwordx2 s[6:7], s[0:1], 0x20
	s_mov_b32 s5, 0
	s_mov_b32 s1, s5
	s_mul_i32 s0, s18, s19
	s_waitcnt lgkmcnt(0)
	s_add_i32 s4, s12, -1
	s_lshl_b64 s[4:5], s[4:5], 2
	s_add_u32 s4, s10, s4
	v_mad_u64_u32 v[0:1], s[8:9], s12, v4, 0
	s_addc_u32 s5, s11, s5
	v_lshl_add_u64 v[0:1], v[0:1], 2, s[4:5]
	s_mul_hi_u32 s5, s12, s0
	s_mul_i32 s4, s12, s0
	s_lshl_b64 s[4:5], s[4:5], 2
	v_lshl_add_u64 v[2:3], v[4:5], 2, s[6:7]
	s_lshl_b64 s[6:7], s[0:1], 2
	s_mov_b64 s[8:9], 0
.LBB1855_16:                            ; =>This Inner Loop Header: Depth=1
	global_load_dword v6, v[0:1], off
	v_lshl_add_u64 v[4:5], v[4:5], 0, s[0:1]
	v_cmp_le_u64_e32 vcc, s[2:3], v[4:5]
	v_lshl_add_u64 v[0:1], v[0:1], 0, s[4:5]
	s_or_b64 s[8:9], vcc, s[8:9]
	s_waitcnt vmcnt(0)
	global_store_dword v[2:3], v6, off
	v_lshl_add_u64 v[2:3], v[2:3], 0, s[6:7]
	s_andn2_b64 exec, exec, s[8:9]
	s_cbranch_execnz .LBB1855_16
.LBB1855_17:
	s_endpgm
	.section	.rodata,"a",@progbits
	.p2align	6, 0x0
	.amdhsa_kernel _ZN7rocprim17ROCPRIM_400000_NS6detail30init_device_scan_by_key_kernelINS1_19lookback_scan_stateINS0_5tupleIJjbEEELb0ELb1EEEN6thrust23THRUST_200600_302600_NS6detail15normal_iteratorINS8_10device_ptrIjEEEEjNS1_16block_id_wrapperIjLb1EEEEEvT_jjPNSG_10value_typeET0_PNSt15iterator_traitsISJ_E10value_typeEmT1_T2_
		.amdhsa_group_segment_fixed_size 0
		.amdhsa_private_segment_fixed_size 0
		.amdhsa_kernarg_size 320
		.amdhsa_user_sgpr_count 2
		.amdhsa_user_sgpr_dispatch_ptr 0
		.amdhsa_user_sgpr_queue_ptr 0
		.amdhsa_user_sgpr_kernarg_segment_ptr 1
		.amdhsa_user_sgpr_dispatch_id 0
		.amdhsa_user_sgpr_kernarg_preload_length 0
		.amdhsa_user_sgpr_kernarg_preload_offset 0
		.amdhsa_user_sgpr_private_segment_size 0
		.amdhsa_uses_dynamic_stack 0
		.amdhsa_enable_private_segment 0
		.amdhsa_system_sgpr_workgroup_id_x 1
		.amdhsa_system_sgpr_workgroup_id_y 0
		.amdhsa_system_sgpr_workgroup_id_z 0
		.amdhsa_system_sgpr_workgroup_info 0
		.amdhsa_system_vgpr_workitem_id 0
		.amdhsa_next_free_vgpr 10
		.amdhsa_next_free_sgpr 20
		.amdhsa_accum_offset 12
		.amdhsa_reserve_vcc 1
		.amdhsa_float_round_mode_32 0
		.amdhsa_float_round_mode_16_64 0
		.amdhsa_float_denorm_mode_32 3
		.amdhsa_float_denorm_mode_16_64 3
		.amdhsa_dx10_clamp 1
		.amdhsa_ieee_mode 1
		.amdhsa_fp16_overflow 0
		.amdhsa_tg_split 0
		.amdhsa_exception_fp_ieee_invalid_op 0
		.amdhsa_exception_fp_denorm_src 0
		.amdhsa_exception_fp_ieee_div_zero 0
		.amdhsa_exception_fp_ieee_overflow 0
		.amdhsa_exception_fp_ieee_underflow 0
		.amdhsa_exception_fp_ieee_inexact 0
		.amdhsa_exception_int_div_zero 0
	.end_amdhsa_kernel
	.section	.text._ZN7rocprim17ROCPRIM_400000_NS6detail30init_device_scan_by_key_kernelINS1_19lookback_scan_stateINS0_5tupleIJjbEEELb0ELb1EEEN6thrust23THRUST_200600_302600_NS6detail15normal_iteratorINS8_10device_ptrIjEEEEjNS1_16block_id_wrapperIjLb1EEEEEvT_jjPNSG_10value_typeET0_PNSt15iterator_traitsISJ_E10value_typeEmT1_T2_,"axG",@progbits,_ZN7rocprim17ROCPRIM_400000_NS6detail30init_device_scan_by_key_kernelINS1_19lookback_scan_stateINS0_5tupleIJjbEEELb0ELb1EEEN6thrust23THRUST_200600_302600_NS6detail15normal_iteratorINS8_10device_ptrIjEEEEjNS1_16block_id_wrapperIjLb1EEEEEvT_jjPNSG_10value_typeET0_PNSt15iterator_traitsISJ_E10value_typeEmT1_T2_,comdat
.Lfunc_end1855:
	.size	_ZN7rocprim17ROCPRIM_400000_NS6detail30init_device_scan_by_key_kernelINS1_19lookback_scan_stateINS0_5tupleIJjbEEELb0ELb1EEEN6thrust23THRUST_200600_302600_NS6detail15normal_iteratorINS8_10device_ptrIjEEEEjNS1_16block_id_wrapperIjLb1EEEEEvT_jjPNSG_10value_typeET0_PNSt15iterator_traitsISJ_E10value_typeEmT1_T2_, .Lfunc_end1855-_ZN7rocprim17ROCPRIM_400000_NS6detail30init_device_scan_by_key_kernelINS1_19lookback_scan_stateINS0_5tupleIJjbEEELb0ELb1EEEN6thrust23THRUST_200600_302600_NS6detail15normal_iteratorINS8_10device_ptrIjEEEEjNS1_16block_id_wrapperIjLb1EEEEEvT_jjPNSG_10value_typeET0_PNSt15iterator_traitsISJ_E10value_typeEmT1_T2_
                                        ; -- End function
	.section	.AMDGPU.csdata,"",@progbits
; Kernel info:
; codeLenInByte = 548
; NumSgprs: 26
; NumVgprs: 10
; NumAgprs: 0
; TotalNumVgprs: 10
; ScratchSize: 0
; MemoryBound: 0
; FloatMode: 240
; IeeeMode: 1
; LDSByteSize: 0 bytes/workgroup (compile time only)
; SGPRBlocks: 3
; VGPRBlocks: 1
; NumSGPRsForWavesPerEU: 26
; NumVGPRsForWavesPerEU: 10
; AccumOffset: 12
; Occupancy: 8
; WaveLimiterHint : 0
; COMPUTE_PGM_RSRC2:SCRATCH_EN: 0
; COMPUTE_PGM_RSRC2:USER_SGPR: 2
; COMPUTE_PGM_RSRC2:TRAP_HANDLER: 0
; COMPUTE_PGM_RSRC2:TGID_X_EN: 1
; COMPUTE_PGM_RSRC2:TGID_Y_EN: 0
; COMPUTE_PGM_RSRC2:TGID_Z_EN: 0
; COMPUTE_PGM_RSRC2:TIDIG_COMP_CNT: 0
; COMPUTE_PGM_RSRC3_GFX90A:ACCUM_OFFSET: 2
; COMPUTE_PGM_RSRC3_GFX90A:TG_SPLIT: 0
	.section	.text._ZN7rocprim17ROCPRIM_400000_NS6detail17trampoline_kernelINS0_14default_configENS1_27scan_by_key_config_selectorIjjEEZZNS1_16scan_by_key_implILNS1_25lookback_scan_determinismE0ELb0ES3_N6thrust23THRUST_200600_302600_NS6detail15normal_iteratorINS9_10device_ptrIjEEEESE_SE_jNS9_4plusIvEENS9_8equal_toIvEEjEE10hipError_tPvRmT2_T3_T4_T5_mT6_T7_P12ihipStream_tbENKUlT_T0_E_clISt17integral_constantIbLb0EESY_IbLb1EEEEDaSU_SV_EUlSU_E_NS1_11comp_targetILNS1_3genE0ELNS1_11target_archE4294967295ELNS1_3gpuE0ELNS1_3repE0EEENS1_30default_config_static_selectorELNS0_4arch9wavefront6targetE1EEEvT1_,"axG",@progbits,_ZN7rocprim17ROCPRIM_400000_NS6detail17trampoline_kernelINS0_14default_configENS1_27scan_by_key_config_selectorIjjEEZZNS1_16scan_by_key_implILNS1_25lookback_scan_determinismE0ELb0ES3_N6thrust23THRUST_200600_302600_NS6detail15normal_iteratorINS9_10device_ptrIjEEEESE_SE_jNS9_4plusIvEENS9_8equal_toIvEEjEE10hipError_tPvRmT2_T3_T4_T5_mT6_T7_P12ihipStream_tbENKUlT_T0_E_clISt17integral_constantIbLb0EESY_IbLb1EEEEDaSU_SV_EUlSU_E_NS1_11comp_targetILNS1_3genE0ELNS1_11target_archE4294967295ELNS1_3gpuE0ELNS1_3repE0EEENS1_30default_config_static_selectorELNS0_4arch9wavefront6targetE1EEEvT1_,comdat
	.protected	_ZN7rocprim17ROCPRIM_400000_NS6detail17trampoline_kernelINS0_14default_configENS1_27scan_by_key_config_selectorIjjEEZZNS1_16scan_by_key_implILNS1_25lookback_scan_determinismE0ELb0ES3_N6thrust23THRUST_200600_302600_NS6detail15normal_iteratorINS9_10device_ptrIjEEEESE_SE_jNS9_4plusIvEENS9_8equal_toIvEEjEE10hipError_tPvRmT2_T3_T4_T5_mT6_T7_P12ihipStream_tbENKUlT_T0_E_clISt17integral_constantIbLb0EESY_IbLb1EEEEDaSU_SV_EUlSU_E_NS1_11comp_targetILNS1_3genE0ELNS1_11target_archE4294967295ELNS1_3gpuE0ELNS1_3repE0EEENS1_30default_config_static_selectorELNS0_4arch9wavefront6targetE1EEEvT1_ ; -- Begin function _ZN7rocprim17ROCPRIM_400000_NS6detail17trampoline_kernelINS0_14default_configENS1_27scan_by_key_config_selectorIjjEEZZNS1_16scan_by_key_implILNS1_25lookback_scan_determinismE0ELb0ES3_N6thrust23THRUST_200600_302600_NS6detail15normal_iteratorINS9_10device_ptrIjEEEESE_SE_jNS9_4plusIvEENS9_8equal_toIvEEjEE10hipError_tPvRmT2_T3_T4_T5_mT6_T7_P12ihipStream_tbENKUlT_T0_E_clISt17integral_constantIbLb0EESY_IbLb1EEEEDaSU_SV_EUlSU_E_NS1_11comp_targetILNS1_3genE0ELNS1_11target_archE4294967295ELNS1_3gpuE0ELNS1_3repE0EEENS1_30default_config_static_selectorELNS0_4arch9wavefront6targetE1EEEvT1_
	.globl	_ZN7rocprim17ROCPRIM_400000_NS6detail17trampoline_kernelINS0_14default_configENS1_27scan_by_key_config_selectorIjjEEZZNS1_16scan_by_key_implILNS1_25lookback_scan_determinismE0ELb0ES3_N6thrust23THRUST_200600_302600_NS6detail15normal_iteratorINS9_10device_ptrIjEEEESE_SE_jNS9_4plusIvEENS9_8equal_toIvEEjEE10hipError_tPvRmT2_T3_T4_T5_mT6_T7_P12ihipStream_tbENKUlT_T0_E_clISt17integral_constantIbLb0EESY_IbLb1EEEEDaSU_SV_EUlSU_E_NS1_11comp_targetILNS1_3genE0ELNS1_11target_archE4294967295ELNS1_3gpuE0ELNS1_3repE0EEENS1_30default_config_static_selectorELNS0_4arch9wavefront6targetE1EEEvT1_
	.p2align	8
	.type	_ZN7rocprim17ROCPRIM_400000_NS6detail17trampoline_kernelINS0_14default_configENS1_27scan_by_key_config_selectorIjjEEZZNS1_16scan_by_key_implILNS1_25lookback_scan_determinismE0ELb0ES3_N6thrust23THRUST_200600_302600_NS6detail15normal_iteratorINS9_10device_ptrIjEEEESE_SE_jNS9_4plusIvEENS9_8equal_toIvEEjEE10hipError_tPvRmT2_T3_T4_T5_mT6_T7_P12ihipStream_tbENKUlT_T0_E_clISt17integral_constantIbLb0EESY_IbLb1EEEEDaSU_SV_EUlSU_E_NS1_11comp_targetILNS1_3genE0ELNS1_11target_archE4294967295ELNS1_3gpuE0ELNS1_3repE0EEENS1_30default_config_static_selectorELNS0_4arch9wavefront6targetE1EEEvT1_,@function
_ZN7rocprim17ROCPRIM_400000_NS6detail17trampoline_kernelINS0_14default_configENS1_27scan_by_key_config_selectorIjjEEZZNS1_16scan_by_key_implILNS1_25lookback_scan_determinismE0ELb0ES3_N6thrust23THRUST_200600_302600_NS6detail15normal_iteratorINS9_10device_ptrIjEEEESE_SE_jNS9_4plusIvEENS9_8equal_toIvEEjEE10hipError_tPvRmT2_T3_T4_T5_mT6_T7_P12ihipStream_tbENKUlT_T0_E_clISt17integral_constantIbLb0EESY_IbLb1EEEEDaSU_SV_EUlSU_E_NS1_11comp_targetILNS1_3genE0ELNS1_11target_archE4294967295ELNS1_3gpuE0ELNS1_3repE0EEENS1_30default_config_static_selectorELNS0_4arch9wavefront6targetE1EEEvT1_: ; @_ZN7rocprim17ROCPRIM_400000_NS6detail17trampoline_kernelINS0_14default_configENS1_27scan_by_key_config_selectorIjjEEZZNS1_16scan_by_key_implILNS1_25lookback_scan_determinismE0ELb0ES3_N6thrust23THRUST_200600_302600_NS6detail15normal_iteratorINS9_10device_ptrIjEEEESE_SE_jNS9_4plusIvEENS9_8equal_toIvEEjEE10hipError_tPvRmT2_T3_T4_T5_mT6_T7_P12ihipStream_tbENKUlT_T0_E_clISt17integral_constantIbLb0EESY_IbLb1EEEEDaSU_SV_EUlSU_E_NS1_11comp_targetILNS1_3genE0ELNS1_11target_archE4294967295ELNS1_3gpuE0ELNS1_3repE0EEENS1_30default_config_static_selectorELNS0_4arch9wavefront6targetE1EEEvT1_
; %bb.0:
	.section	.rodata,"a",@progbits
	.p2align	6, 0x0
	.amdhsa_kernel _ZN7rocprim17ROCPRIM_400000_NS6detail17trampoline_kernelINS0_14default_configENS1_27scan_by_key_config_selectorIjjEEZZNS1_16scan_by_key_implILNS1_25lookback_scan_determinismE0ELb0ES3_N6thrust23THRUST_200600_302600_NS6detail15normal_iteratorINS9_10device_ptrIjEEEESE_SE_jNS9_4plusIvEENS9_8equal_toIvEEjEE10hipError_tPvRmT2_T3_T4_T5_mT6_T7_P12ihipStream_tbENKUlT_T0_E_clISt17integral_constantIbLb0EESY_IbLb1EEEEDaSU_SV_EUlSU_E_NS1_11comp_targetILNS1_3genE0ELNS1_11target_archE4294967295ELNS1_3gpuE0ELNS1_3repE0EEENS1_30default_config_static_selectorELNS0_4arch9wavefront6targetE1EEEvT1_
		.amdhsa_group_segment_fixed_size 0
		.amdhsa_private_segment_fixed_size 0
		.amdhsa_kernarg_size 112
		.amdhsa_user_sgpr_count 2
		.amdhsa_user_sgpr_dispatch_ptr 0
		.amdhsa_user_sgpr_queue_ptr 0
		.amdhsa_user_sgpr_kernarg_segment_ptr 1
		.amdhsa_user_sgpr_dispatch_id 0
		.amdhsa_user_sgpr_kernarg_preload_length 0
		.amdhsa_user_sgpr_kernarg_preload_offset 0
		.amdhsa_user_sgpr_private_segment_size 0
		.amdhsa_uses_dynamic_stack 0
		.amdhsa_enable_private_segment 0
		.amdhsa_system_sgpr_workgroup_id_x 1
		.amdhsa_system_sgpr_workgroup_id_y 0
		.amdhsa_system_sgpr_workgroup_id_z 0
		.amdhsa_system_sgpr_workgroup_info 0
		.amdhsa_system_vgpr_workitem_id 0
		.amdhsa_next_free_vgpr 1
		.amdhsa_next_free_sgpr 0
		.amdhsa_accum_offset 4
		.amdhsa_reserve_vcc 0
		.amdhsa_float_round_mode_32 0
		.amdhsa_float_round_mode_16_64 0
		.amdhsa_float_denorm_mode_32 3
		.amdhsa_float_denorm_mode_16_64 3
		.amdhsa_dx10_clamp 1
		.amdhsa_ieee_mode 1
		.amdhsa_fp16_overflow 0
		.amdhsa_tg_split 0
		.amdhsa_exception_fp_ieee_invalid_op 0
		.amdhsa_exception_fp_denorm_src 0
		.amdhsa_exception_fp_ieee_div_zero 0
		.amdhsa_exception_fp_ieee_overflow 0
		.amdhsa_exception_fp_ieee_underflow 0
		.amdhsa_exception_fp_ieee_inexact 0
		.amdhsa_exception_int_div_zero 0
	.end_amdhsa_kernel
	.section	.text._ZN7rocprim17ROCPRIM_400000_NS6detail17trampoline_kernelINS0_14default_configENS1_27scan_by_key_config_selectorIjjEEZZNS1_16scan_by_key_implILNS1_25lookback_scan_determinismE0ELb0ES3_N6thrust23THRUST_200600_302600_NS6detail15normal_iteratorINS9_10device_ptrIjEEEESE_SE_jNS9_4plusIvEENS9_8equal_toIvEEjEE10hipError_tPvRmT2_T3_T4_T5_mT6_T7_P12ihipStream_tbENKUlT_T0_E_clISt17integral_constantIbLb0EESY_IbLb1EEEEDaSU_SV_EUlSU_E_NS1_11comp_targetILNS1_3genE0ELNS1_11target_archE4294967295ELNS1_3gpuE0ELNS1_3repE0EEENS1_30default_config_static_selectorELNS0_4arch9wavefront6targetE1EEEvT1_,"axG",@progbits,_ZN7rocprim17ROCPRIM_400000_NS6detail17trampoline_kernelINS0_14default_configENS1_27scan_by_key_config_selectorIjjEEZZNS1_16scan_by_key_implILNS1_25lookback_scan_determinismE0ELb0ES3_N6thrust23THRUST_200600_302600_NS6detail15normal_iteratorINS9_10device_ptrIjEEEESE_SE_jNS9_4plusIvEENS9_8equal_toIvEEjEE10hipError_tPvRmT2_T3_T4_T5_mT6_T7_P12ihipStream_tbENKUlT_T0_E_clISt17integral_constantIbLb0EESY_IbLb1EEEEDaSU_SV_EUlSU_E_NS1_11comp_targetILNS1_3genE0ELNS1_11target_archE4294967295ELNS1_3gpuE0ELNS1_3repE0EEENS1_30default_config_static_selectorELNS0_4arch9wavefront6targetE1EEEvT1_,comdat
.Lfunc_end1856:
	.size	_ZN7rocprim17ROCPRIM_400000_NS6detail17trampoline_kernelINS0_14default_configENS1_27scan_by_key_config_selectorIjjEEZZNS1_16scan_by_key_implILNS1_25lookback_scan_determinismE0ELb0ES3_N6thrust23THRUST_200600_302600_NS6detail15normal_iteratorINS9_10device_ptrIjEEEESE_SE_jNS9_4plusIvEENS9_8equal_toIvEEjEE10hipError_tPvRmT2_T3_T4_T5_mT6_T7_P12ihipStream_tbENKUlT_T0_E_clISt17integral_constantIbLb0EESY_IbLb1EEEEDaSU_SV_EUlSU_E_NS1_11comp_targetILNS1_3genE0ELNS1_11target_archE4294967295ELNS1_3gpuE0ELNS1_3repE0EEENS1_30default_config_static_selectorELNS0_4arch9wavefront6targetE1EEEvT1_, .Lfunc_end1856-_ZN7rocprim17ROCPRIM_400000_NS6detail17trampoline_kernelINS0_14default_configENS1_27scan_by_key_config_selectorIjjEEZZNS1_16scan_by_key_implILNS1_25lookback_scan_determinismE0ELb0ES3_N6thrust23THRUST_200600_302600_NS6detail15normal_iteratorINS9_10device_ptrIjEEEESE_SE_jNS9_4plusIvEENS9_8equal_toIvEEjEE10hipError_tPvRmT2_T3_T4_T5_mT6_T7_P12ihipStream_tbENKUlT_T0_E_clISt17integral_constantIbLb0EESY_IbLb1EEEEDaSU_SV_EUlSU_E_NS1_11comp_targetILNS1_3genE0ELNS1_11target_archE4294967295ELNS1_3gpuE0ELNS1_3repE0EEENS1_30default_config_static_selectorELNS0_4arch9wavefront6targetE1EEEvT1_
                                        ; -- End function
	.section	.AMDGPU.csdata,"",@progbits
; Kernel info:
; codeLenInByte = 0
; NumSgprs: 6
; NumVgprs: 0
; NumAgprs: 0
; TotalNumVgprs: 0
; ScratchSize: 0
; MemoryBound: 0
; FloatMode: 240
; IeeeMode: 1
; LDSByteSize: 0 bytes/workgroup (compile time only)
; SGPRBlocks: 0
; VGPRBlocks: 0
; NumSGPRsForWavesPerEU: 6
; NumVGPRsForWavesPerEU: 1
; AccumOffset: 4
; Occupancy: 8
; WaveLimiterHint : 0
; COMPUTE_PGM_RSRC2:SCRATCH_EN: 0
; COMPUTE_PGM_RSRC2:USER_SGPR: 2
; COMPUTE_PGM_RSRC2:TRAP_HANDLER: 0
; COMPUTE_PGM_RSRC2:TGID_X_EN: 1
; COMPUTE_PGM_RSRC2:TGID_Y_EN: 0
; COMPUTE_PGM_RSRC2:TGID_Z_EN: 0
; COMPUTE_PGM_RSRC2:TIDIG_COMP_CNT: 0
; COMPUTE_PGM_RSRC3_GFX90A:ACCUM_OFFSET: 0
; COMPUTE_PGM_RSRC3_GFX90A:TG_SPLIT: 0
	.section	.text._ZN7rocprim17ROCPRIM_400000_NS6detail17trampoline_kernelINS0_14default_configENS1_27scan_by_key_config_selectorIjjEEZZNS1_16scan_by_key_implILNS1_25lookback_scan_determinismE0ELb0ES3_N6thrust23THRUST_200600_302600_NS6detail15normal_iteratorINS9_10device_ptrIjEEEESE_SE_jNS9_4plusIvEENS9_8equal_toIvEEjEE10hipError_tPvRmT2_T3_T4_T5_mT6_T7_P12ihipStream_tbENKUlT_T0_E_clISt17integral_constantIbLb0EESY_IbLb1EEEEDaSU_SV_EUlSU_E_NS1_11comp_targetILNS1_3genE10ELNS1_11target_archE1201ELNS1_3gpuE5ELNS1_3repE0EEENS1_30default_config_static_selectorELNS0_4arch9wavefront6targetE1EEEvT1_,"axG",@progbits,_ZN7rocprim17ROCPRIM_400000_NS6detail17trampoline_kernelINS0_14default_configENS1_27scan_by_key_config_selectorIjjEEZZNS1_16scan_by_key_implILNS1_25lookback_scan_determinismE0ELb0ES3_N6thrust23THRUST_200600_302600_NS6detail15normal_iteratorINS9_10device_ptrIjEEEESE_SE_jNS9_4plusIvEENS9_8equal_toIvEEjEE10hipError_tPvRmT2_T3_T4_T5_mT6_T7_P12ihipStream_tbENKUlT_T0_E_clISt17integral_constantIbLb0EESY_IbLb1EEEEDaSU_SV_EUlSU_E_NS1_11comp_targetILNS1_3genE10ELNS1_11target_archE1201ELNS1_3gpuE5ELNS1_3repE0EEENS1_30default_config_static_selectorELNS0_4arch9wavefront6targetE1EEEvT1_,comdat
	.protected	_ZN7rocprim17ROCPRIM_400000_NS6detail17trampoline_kernelINS0_14default_configENS1_27scan_by_key_config_selectorIjjEEZZNS1_16scan_by_key_implILNS1_25lookback_scan_determinismE0ELb0ES3_N6thrust23THRUST_200600_302600_NS6detail15normal_iteratorINS9_10device_ptrIjEEEESE_SE_jNS9_4plusIvEENS9_8equal_toIvEEjEE10hipError_tPvRmT2_T3_T4_T5_mT6_T7_P12ihipStream_tbENKUlT_T0_E_clISt17integral_constantIbLb0EESY_IbLb1EEEEDaSU_SV_EUlSU_E_NS1_11comp_targetILNS1_3genE10ELNS1_11target_archE1201ELNS1_3gpuE5ELNS1_3repE0EEENS1_30default_config_static_selectorELNS0_4arch9wavefront6targetE1EEEvT1_ ; -- Begin function _ZN7rocprim17ROCPRIM_400000_NS6detail17trampoline_kernelINS0_14default_configENS1_27scan_by_key_config_selectorIjjEEZZNS1_16scan_by_key_implILNS1_25lookback_scan_determinismE0ELb0ES3_N6thrust23THRUST_200600_302600_NS6detail15normal_iteratorINS9_10device_ptrIjEEEESE_SE_jNS9_4plusIvEENS9_8equal_toIvEEjEE10hipError_tPvRmT2_T3_T4_T5_mT6_T7_P12ihipStream_tbENKUlT_T0_E_clISt17integral_constantIbLb0EESY_IbLb1EEEEDaSU_SV_EUlSU_E_NS1_11comp_targetILNS1_3genE10ELNS1_11target_archE1201ELNS1_3gpuE5ELNS1_3repE0EEENS1_30default_config_static_selectorELNS0_4arch9wavefront6targetE1EEEvT1_
	.globl	_ZN7rocprim17ROCPRIM_400000_NS6detail17trampoline_kernelINS0_14default_configENS1_27scan_by_key_config_selectorIjjEEZZNS1_16scan_by_key_implILNS1_25lookback_scan_determinismE0ELb0ES3_N6thrust23THRUST_200600_302600_NS6detail15normal_iteratorINS9_10device_ptrIjEEEESE_SE_jNS9_4plusIvEENS9_8equal_toIvEEjEE10hipError_tPvRmT2_T3_T4_T5_mT6_T7_P12ihipStream_tbENKUlT_T0_E_clISt17integral_constantIbLb0EESY_IbLb1EEEEDaSU_SV_EUlSU_E_NS1_11comp_targetILNS1_3genE10ELNS1_11target_archE1201ELNS1_3gpuE5ELNS1_3repE0EEENS1_30default_config_static_selectorELNS0_4arch9wavefront6targetE1EEEvT1_
	.p2align	8
	.type	_ZN7rocprim17ROCPRIM_400000_NS6detail17trampoline_kernelINS0_14default_configENS1_27scan_by_key_config_selectorIjjEEZZNS1_16scan_by_key_implILNS1_25lookback_scan_determinismE0ELb0ES3_N6thrust23THRUST_200600_302600_NS6detail15normal_iteratorINS9_10device_ptrIjEEEESE_SE_jNS9_4plusIvEENS9_8equal_toIvEEjEE10hipError_tPvRmT2_T3_T4_T5_mT6_T7_P12ihipStream_tbENKUlT_T0_E_clISt17integral_constantIbLb0EESY_IbLb1EEEEDaSU_SV_EUlSU_E_NS1_11comp_targetILNS1_3genE10ELNS1_11target_archE1201ELNS1_3gpuE5ELNS1_3repE0EEENS1_30default_config_static_selectorELNS0_4arch9wavefront6targetE1EEEvT1_,@function
_ZN7rocprim17ROCPRIM_400000_NS6detail17trampoline_kernelINS0_14default_configENS1_27scan_by_key_config_selectorIjjEEZZNS1_16scan_by_key_implILNS1_25lookback_scan_determinismE0ELb0ES3_N6thrust23THRUST_200600_302600_NS6detail15normal_iteratorINS9_10device_ptrIjEEEESE_SE_jNS9_4plusIvEENS9_8equal_toIvEEjEE10hipError_tPvRmT2_T3_T4_T5_mT6_T7_P12ihipStream_tbENKUlT_T0_E_clISt17integral_constantIbLb0EESY_IbLb1EEEEDaSU_SV_EUlSU_E_NS1_11comp_targetILNS1_3genE10ELNS1_11target_archE1201ELNS1_3gpuE5ELNS1_3repE0EEENS1_30default_config_static_selectorELNS0_4arch9wavefront6targetE1EEEvT1_: ; @_ZN7rocprim17ROCPRIM_400000_NS6detail17trampoline_kernelINS0_14default_configENS1_27scan_by_key_config_selectorIjjEEZZNS1_16scan_by_key_implILNS1_25lookback_scan_determinismE0ELb0ES3_N6thrust23THRUST_200600_302600_NS6detail15normal_iteratorINS9_10device_ptrIjEEEESE_SE_jNS9_4plusIvEENS9_8equal_toIvEEjEE10hipError_tPvRmT2_T3_T4_T5_mT6_T7_P12ihipStream_tbENKUlT_T0_E_clISt17integral_constantIbLb0EESY_IbLb1EEEEDaSU_SV_EUlSU_E_NS1_11comp_targetILNS1_3genE10ELNS1_11target_archE1201ELNS1_3gpuE5ELNS1_3repE0EEENS1_30default_config_static_selectorELNS0_4arch9wavefront6targetE1EEEvT1_
; %bb.0:
	.section	.rodata,"a",@progbits
	.p2align	6, 0x0
	.amdhsa_kernel _ZN7rocprim17ROCPRIM_400000_NS6detail17trampoline_kernelINS0_14default_configENS1_27scan_by_key_config_selectorIjjEEZZNS1_16scan_by_key_implILNS1_25lookback_scan_determinismE0ELb0ES3_N6thrust23THRUST_200600_302600_NS6detail15normal_iteratorINS9_10device_ptrIjEEEESE_SE_jNS9_4plusIvEENS9_8equal_toIvEEjEE10hipError_tPvRmT2_T3_T4_T5_mT6_T7_P12ihipStream_tbENKUlT_T0_E_clISt17integral_constantIbLb0EESY_IbLb1EEEEDaSU_SV_EUlSU_E_NS1_11comp_targetILNS1_3genE10ELNS1_11target_archE1201ELNS1_3gpuE5ELNS1_3repE0EEENS1_30default_config_static_selectorELNS0_4arch9wavefront6targetE1EEEvT1_
		.amdhsa_group_segment_fixed_size 0
		.amdhsa_private_segment_fixed_size 0
		.amdhsa_kernarg_size 112
		.amdhsa_user_sgpr_count 2
		.amdhsa_user_sgpr_dispatch_ptr 0
		.amdhsa_user_sgpr_queue_ptr 0
		.amdhsa_user_sgpr_kernarg_segment_ptr 1
		.amdhsa_user_sgpr_dispatch_id 0
		.amdhsa_user_sgpr_kernarg_preload_length 0
		.amdhsa_user_sgpr_kernarg_preload_offset 0
		.amdhsa_user_sgpr_private_segment_size 0
		.amdhsa_uses_dynamic_stack 0
		.amdhsa_enable_private_segment 0
		.amdhsa_system_sgpr_workgroup_id_x 1
		.amdhsa_system_sgpr_workgroup_id_y 0
		.amdhsa_system_sgpr_workgroup_id_z 0
		.amdhsa_system_sgpr_workgroup_info 0
		.amdhsa_system_vgpr_workitem_id 0
		.amdhsa_next_free_vgpr 1
		.amdhsa_next_free_sgpr 0
		.amdhsa_accum_offset 4
		.amdhsa_reserve_vcc 0
		.amdhsa_float_round_mode_32 0
		.amdhsa_float_round_mode_16_64 0
		.amdhsa_float_denorm_mode_32 3
		.amdhsa_float_denorm_mode_16_64 3
		.amdhsa_dx10_clamp 1
		.amdhsa_ieee_mode 1
		.amdhsa_fp16_overflow 0
		.amdhsa_tg_split 0
		.amdhsa_exception_fp_ieee_invalid_op 0
		.amdhsa_exception_fp_denorm_src 0
		.amdhsa_exception_fp_ieee_div_zero 0
		.amdhsa_exception_fp_ieee_overflow 0
		.amdhsa_exception_fp_ieee_underflow 0
		.amdhsa_exception_fp_ieee_inexact 0
		.amdhsa_exception_int_div_zero 0
	.end_amdhsa_kernel
	.section	.text._ZN7rocprim17ROCPRIM_400000_NS6detail17trampoline_kernelINS0_14default_configENS1_27scan_by_key_config_selectorIjjEEZZNS1_16scan_by_key_implILNS1_25lookback_scan_determinismE0ELb0ES3_N6thrust23THRUST_200600_302600_NS6detail15normal_iteratorINS9_10device_ptrIjEEEESE_SE_jNS9_4plusIvEENS9_8equal_toIvEEjEE10hipError_tPvRmT2_T3_T4_T5_mT6_T7_P12ihipStream_tbENKUlT_T0_E_clISt17integral_constantIbLb0EESY_IbLb1EEEEDaSU_SV_EUlSU_E_NS1_11comp_targetILNS1_3genE10ELNS1_11target_archE1201ELNS1_3gpuE5ELNS1_3repE0EEENS1_30default_config_static_selectorELNS0_4arch9wavefront6targetE1EEEvT1_,"axG",@progbits,_ZN7rocprim17ROCPRIM_400000_NS6detail17trampoline_kernelINS0_14default_configENS1_27scan_by_key_config_selectorIjjEEZZNS1_16scan_by_key_implILNS1_25lookback_scan_determinismE0ELb0ES3_N6thrust23THRUST_200600_302600_NS6detail15normal_iteratorINS9_10device_ptrIjEEEESE_SE_jNS9_4plusIvEENS9_8equal_toIvEEjEE10hipError_tPvRmT2_T3_T4_T5_mT6_T7_P12ihipStream_tbENKUlT_T0_E_clISt17integral_constantIbLb0EESY_IbLb1EEEEDaSU_SV_EUlSU_E_NS1_11comp_targetILNS1_3genE10ELNS1_11target_archE1201ELNS1_3gpuE5ELNS1_3repE0EEENS1_30default_config_static_selectorELNS0_4arch9wavefront6targetE1EEEvT1_,comdat
.Lfunc_end1857:
	.size	_ZN7rocprim17ROCPRIM_400000_NS6detail17trampoline_kernelINS0_14default_configENS1_27scan_by_key_config_selectorIjjEEZZNS1_16scan_by_key_implILNS1_25lookback_scan_determinismE0ELb0ES3_N6thrust23THRUST_200600_302600_NS6detail15normal_iteratorINS9_10device_ptrIjEEEESE_SE_jNS9_4plusIvEENS9_8equal_toIvEEjEE10hipError_tPvRmT2_T3_T4_T5_mT6_T7_P12ihipStream_tbENKUlT_T0_E_clISt17integral_constantIbLb0EESY_IbLb1EEEEDaSU_SV_EUlSU_E_NS1_11comp_targetILNS1_3genE10ELNS1_11target_archE1201ELNS1_3gpuE5ELNS1_3repE0EEENS1_30default_config_static_selectorELNS0_4arch9wavefront6targetE1EEEvT1_, .Lfunc_end1857-_ZN7rocprim17ROCPRIM_400000_NS6detail17trampoline_kernelINS0_14default_configENS1_27scan_by_key_config_selectorIjjEEZZNS1_16scan_by_key_implILNS1_25lookback_scan_determinismE0ELb0ES3_N6thrust23THRUST_200600_302600_NS6detail15normal_iteratorINS9_10device_ptrIjEEEESE_SE_jNS9_4plusIvEENS9_8equal_toIvEEjEE10hipError_tPvRmT2_T3_T4_T5_mT6_T7_P12ihipStream_tbENKUlT_T0_E_clISt17integral_constantIbLb0EESY_IbLb1EEEEDaSU_SV_EUlSU_E_NS1_11comp_targetILNS1_3genE10ELNS1_11target_archE1201ELNS1_3gpuE5ELNS1_3repE0EEENS1_30default_config_static_selectorELNS0_4arch9wavefront6targetE1EEEvT1_
                                        ; -- End function
	.section	.AMDGPU.csdata,"",@progbits
; Kernel info:
; codeLenInByte = 0
; NumSgprs: 6
; NumVgprs: 0
; NumAgprs: 0
; TotalNumVgprs: 0
; ScratchSize: 0
; MemoryBound: 0
; FloatMode: 240
; IeeeMode: 1
; LDSByteSize: 0 bytes/workgroup (compile time only)
; SGPRBlocks: 0
; VGPRBlocks: 0
; NumSGPRsForWavesPerEU: 6
; NumVGPRsForWavesPerEU: 1
; AccumOffset: 4
; Occupancy: 8
; WaveLimiterHint : 0
; COMPUTE_PGM_RSRC2:SCRATCH_EN: 0
; COMPUTE_PGM_RSRC2:USER_SGPR: 2
; COMPUTE_PGM_RSRC2:TRAP_HANDLER: 0
; COMPUTE_PGM_RSRC2:TGID_X_EN: 1
; COMPUTE_PGM_RSRC2:TGID_Y_EN: 0
; COMPUTE_PGM_RSRC2:TGID_Z_EN: 0
; COMPUTE_PGM_RSRC2:TIDIG_COMP_CNT: 0
; COMPUTE_PGM_RSRC3_GFX90A:ACCUM_OFFSET: 0
; COMPUTE_PGM_RSRC3_GFX90A:TG_SPLIT: 0
	.section	.text._ZN7rocprim17ROCPRIM_400000_NS6detail17trampoline_kernelINS0_14default_configENS1_27scan_by_key_config_selectorIjjEEZZNS1_16scan_by_key_implILNS1_25lookback_scan_determinismE0ELb0ES3_N6thrust23THRUST_200600_302600_NS6detail15normal_iteratorINS9_10device_ptrIjEEEESE_SE_jNS9_4plusIvEENS9_8equal_toIvEEjEE10hipError_tPvRmT2_T3_T4_T5_mT6_T7_P12ihipStream_tbENKUlT_T0_E_clISt17integral_constantIbLb0EESY_IbLb1EEEEDaSU_SV_EUlSU_E_NS1_11comp_targetILNS1_3genE5ELNS1_11target_archE942ELNS1_3gpuE9ELNS1_3repE0EEENS1_30default_config_static_selectorELNS0_4arch9wavefront6targetE1EEEvT1_,"axG",@progbits,_ZN7rocprim17ROCPRIM_400000_NS6detail17trampoline_kernelINS0_14default_configENS1_27scan_by_key_config_selectorIjjEEZZNS1_16scan_by_key_implILNS1_25lookback_scan_determinismE0ELb0ES3_N6thrust23THRUST_200600_302600_NS6detail15normal_iteratorINS9_10device_ptrIjEEEESE_SE_jNS9_4plusIvEENS9_8equal_toIvEEjEE10hipError_tPvRmT2_T3_T4_T5_mT6_T7_P12ihipStream_tbENKUlT_T0_E_clISt17integral_constantIbLb0EESY_IbLb1EEEEDaSU_SV_EUlSU_E_NS1_11comp_targetILNS1_3genE5ELNS1_11target_archE942ELNS1_3gpuE9ELNS1_3repE0EEENS1_30default_config_static_selectorELNS0_4arch9wavefront6targetE1EEEvT1_,comdat
	.protected	_ZN7rocprim17ROCPRIM_400000_NS6detail17trampoline_kernelINS0_14default_configENS1_27scan_by_key_config_selectorIjjEEZZNS1_16scan_by_key_implILNS1_25lookback_scan_determinismE0ELb0ES3_N6thrust23THRUST_200600_302600_NS6detail15normal_iteratorINS9_10device_ptrIjEEEESE_SE_jNS9_4plusIvEENS9_8equal_toIvEEjEE10hipError_tPvRmT2_T3_T4_T5_mT6_T7_P12ihipStream_tbENKUlT_T0_E_clISt17integral_constantIbLb0EESY_IbLb1EEEEDaSU_SV_EUlSU_E_NS1_11comp_targetILNS1_3genE5ELNS1_11target_archE942ELNS1_3gpuE9ELNS1_3repE0EEENS1_30default_config_static_selectorELNS0_4arch9wavefront6targetE1EEEvT1_ ; -- Begin function _ZN7rocprim17ROCPRIM_400000_NS6detail17trampoline_kernelINS0_14default_configENS1_27scan_by_key_config_selectorIjjEEZZNS1_16scan_by_key_implILNS1_25lookback_scan_determinismE0ELb0ES3_N6thrust23THRUST_200600_302600_NS6detail15normal_iteratorINS9_10device_ptrIjEEEESE_SE_jNS9_4plusIvEENS9_8equal_toIvEEjEE10hipError_tPvRmT2_T3_T4_T5_mT6_T7_P12ihipStream_tbENKUlT_T0_E_clISt17integral_constantIbLb0EESY_IbLb1EEEEDaSU_SV_EUlSU_E_NS1_11comp_targetILNS1_3genE5ELNS1_11target_archE942ELNS1_3gpuE9ELNS1_3repE0EEENS1_30default_config_static_selectorELNS0_4arch9wavefront6targetE1EEEvT1_
	.globl	_ZN7rocprim17ROCPRIM_400000_NS6detail17trampoline_kernelINS0_14default_configENS1_27scan_by_key_config_selectorIjjEEZZNS1_16scan_by_key_implILNS1_25lookback_scan_determinismE0ELb0ES3_N6thrust23THRUST_200600_302600_NS6detail15normal_iteratorINS9_10device_ptrIjEEEESE_SE_jNS9_4plusIvEENS9_8equal_toIvEEjEE10hipError_tPvRmT2_T3_T4_T5_mT6_T7_P12ihipStream_tbENKUlT_T0_E_clISt17integral_constantIbLb0EESY_IbLb1EEEEDaSU_SV_EUlSU_E_NS1_11comp_targetILNS1_3genE5ELNS1_11target_archE942ELNS1_3gpuE9ELNS1_3repE0EEENS1_30default_config_static_selectorELNS0_4arch9wavefront6targetE1EEEvT1_
	.p2align	8
	.type	_ZN7rocprim17ROCPRIM_400000_NS6detail17trampoline_kernelINS0_14default_configENS1_27scan_by_key_config_selectorIjjEEZZNS1_16scan_by_key_implILNS1_25lookback_scan_determinismE0ELb0ES3_N6thrust23THRUST_200600_302600_NS6detail15normal_iteratorINS9_10device_ptrIjEEEESE_SE_jNS9_4plusIvEENS9_8equal_toIvEEjEE10hipError_tPvRmT2_T3_T4_T5_mT6_T7_P12ihipStream_tbENKUlT_T0_E_clISt17integral_constantIbLb0EESY_IbLb1EEEEDaSU_SV_EUlSU_E_NS1_11comp_targetILNS1_3genE5ELNS1_11target_archE942ELNS1_3gpuE9ELNS1_3repE0EEENS1_30default_config_static_selectorELNS0_4arch9wavefront6targetE1EEEvT1_,@function
_ZN7rocprim17ROCPRIM_400000_NS6detail17trampoline_kernelINS0_14default_configENS1_27scan_by_key_config_selectorIjjEEZZNS1_16scan_by_key_implILNS1_25lookback_scan_determinismE0ELb0ES3_N6thrust23THRUST_200600_302600_NS6detail15normal_iteratorINS9_10device_ptrIjEEEESE_SE_jNS9_4plusIvEENS9_8equal_toIvEEjEE10hipError_tPvRmT2_T3_T4_T5_mT6_T7_P12ihipStream_tbENKUlT_T0_E_clISt17integral_constantIbLb0EESY_IbLb1EEEEDaSU_SV_EUlSU_E_NS1_11comp_targetILNS1_3genE5ELNS1_11target_archE942ELNS1_3gpuE9ELNS1_3repE0EEENS1_30default_config_static_selectorELNS0_4arch9wavefront6targetE1EEEvT1_: ; @_ZN7rocprim17ROCPRIM_400000_NS6detail17trampoline_kernelINS0_14default_configENS1_27scan_by_key_config_selectorIjjEEZZNS1_16scan_by_key_implILNS1_25lookback_scan_determinismE0ELb0ES3_N6thrust23THRUST_200600_302600_NS6detail15normal_iteratorINS9_10device_ptrIjEEEESE_SE_jNS9_4plusIvEENS9_8equal_toIvEEjEE10hipError_tPvRmT2_T3_T4_T5_mT6_T7_P12ihipStream_tbENKUlT_T0_E_clISt17integral_constantIbLb0EESY_IbLb1EEEEDaSU_SV_EUlSU_E_NS1_11comp_targetILNS1_3genE5ELNS1_11target_archE942ELNS1_3gpuE9ELNS1_3repE0EEENS1_30default_config_static_selectorELNS0_4arch9wavefront6targetE1EEEvT1_
; %bb.0:
	s_load_dwordx4 s[72:75], s[0:1], 0x28
	s_load_dwordx2 s[76:77], s[0:1], 0x38
	v_cmp_ne_u32_e64 s[4:5], 0, v0
	v_cmp_eq_u32_e64 s[54:55], 0, v0
	s_and_saveexec_b64 s[2:3], s[54:55]
	s_cbranch_execz .LBB1858_4
; %bb.1:
	s_mov_b64 s[8:9], exec
	v_mbcnt_lo_u32_b32 v1, s8, 0
	v_mbcnt_hi_u32_b32 v1, s9, v1
	v_cmp_eq_u32_e32 vcc, 0, v1
                                        ; implicit-def: $vgpr2
	s_and_saveexec_b64 s[6:7], vcc
	s_cbranch_execz .LBB1858_3
; %bb.2:
	s_load_dwordx2 s[10:11], s[0:1], 0x68
	s_bcnt1_i32_b64 s8, s[8:9]
	v_mov_b32_e32 v2, 0
	v_mov_b32_e32 v3, s8
	s_waitcnt lgkmcnt(0)
	global_atomic_add v2, v2, v3, s[10:11] sc0
.LBB1858_3:
	s_or_b64 exec, exec, s[6:7]
	s_waitcnt vmcnt(0)
	v_readfirstlane_b32 s6, v2
	v_mov_b32_e32 v2, 0
	s_nop 0
	v_add_u32_e32 v1, s6, v1
	ds_write_b32 v2, v1
.LBB1858_4:
	s_or_b64 exec, exec, s[2:3]
	s_load_dwordx8 s[56:63], s[0:1], 0x0
	s_load_dword s2, s[0:1], 0x40
	s_load_dwordx8 s[64:71], s[0:1], 0x48
	v_mov_b32_e32 v1, 0
	s_waitcnt lgkmcnt(0)
	s_barrier
	ds_read_b32 v1, v1
	s_lshl_b64 s[58:59], s[58:59], 2
	s_add_u32 s3, s56, s58
	s_addc_u32 s6, s57, s59
	s_add_u32 s7, s60, s58
	s_mul_i32 s0, s77, s2
	s_mul_hi_u32 s1, s76, s2
	s_addc_u32 s8, s61, s59
	s_add_i32 s9, s1, s0
	s_waitcnt lgkmcnt(0)
	v_readfirstlane_b32 s75, v1
	s_cmp_lg_u64 s[68:69], 0
	s_mov_b32 s1, 0
	s_mul_i32 s0, s75, 0x1700
	s_cselect_b64 s[78:79], -1, 0
	s_lshl_b64 s[56:57], s[0:1], 2
	s_add_u32 s68, s3, s56
	s_addc_u32 s69, s6, s57
	s_add_u32 s60, s7, s56
	s_mul_i32 s2, s76, s2
	s_addc_u32 s61, s8, s57
	s_add_u32 s80, s2, s75
	s_addc_u32 s81, s9, 0
	s_add_u32 s0, s64, -1
	s_addc_u32 s1, s65, -1
	v_mov_b64_e32 v[2:3], s[0:1]
	v_cmp_ge_u64_e64 s[2:3], s[80:81], v[2:3]
	s_mov_b64 s[10:11], 0
	s_mov_b64 s[6:7], -1
	s_and_b64 vcc, exec, s[2:3]
	s_mul_i32 s33, s0, 0xffffe900
	s_barrier
	s_barrier
	s_cbranch_vccz .LBB1858_126
; %bb.5:
	v_mov_b64_e32 v[2:3], s[68:69]
	flat_load_dword v1, v[2:3]
	s_add_i32 s84, s33, s74
	v_cmp_gt_u32_e64 s[6:7], s84, v0
	s_waitcnt vmcnt(0) lgkmcnt(0)
	v_mov_b32_e32 v4, v1
	s_and_saveexec_b64 s[0:1], s[6:7]
	s_cbranch_execz .LBB1858_7
; %bb.6:
	v_lshlrev_b32_e32 v2, 2, v0
	v_mov_b32_e32 v3, 0
	v_lshl_add_u64 v[2:3], s[68:69], 0, v[2:3]
	flat_load_dword v4, v[2:3]
.LBB1858_7:
	s_or_b64 exec, exec, s[0:1]
	v_or_b32_e32 v2, 0x100, v0
	v_cmp_gt_u32_e64 s[8:9], s84, v2
	v_mov_b32_e32 v5, v1
	s_and_saveexec_b64 s[0:1], s[8:9]
	s_cbranch_execz .LBB1858_9
; %bb.8:
	v_lshlrev_b32_e32 v2, 2, v0
	v_mov_b32_e32 v3, 0
	v_lshl_add_u64 v[2:3], s[68:69], 0, v[2:3]
	flat_load_dword v5, v[2:3] offset:1024
.LBB1858_9:
	s_or_b64 exec, exec, s[0:1]
	v_or_b32_e32 v2, 0x200, v0
	v_cmp_gt_u32_e64 s[10:11], s84, v2
	v_mov_b32_e32 v6, v1
	s_and_saveexec_b64 s[0:1], s[10:11]
	s_cbranch_execz .LBB1858_11
; %bb.10:
	v_lshlrev_b32_e32 v2, 2, v0
	v_mov_b32_e32 v3, 0
	v_lshl_add_u64 v[2:3], s[68:69], 0, v[2:3]
	flat_load_dword v6, v[2:3] offset:2048
.LBB1858_11:
	;; [unrolled: 12-line block ×3, first 2 shown]
	s_or_b64 exec, exec, s[0:1]
	v_or_b32_e32 v2, 0x400, v0
	v_cmp_gt_u32_e64 s[14:15], s84, v2
	v_lshlrev_b32_e32 v2, 2, v2
	v_mov_b32_e32 v3, v1
	s_and_saveexec_b64 s[0:1], s[14:15]
	s_cbranch_execz .LBB1858_15
; %bb.14:
	v_mov_b32_e32 v3, 0
	v_lshl_add_u64 v[8:9], s[68:69], 0, v[2:3]
	flat_load_dword v3, v[8:9]
.LBB1858_15:
	s_or_b64 exec, exec, s[0:1]
	v_or_b32_e32 v8, 0x500, v0
	v_cmp_gt_u32_e64 s[16:17], s84, v8
	v_lshlrev_b32_e32 v10, 2, v8
	v_mov_b32_e32 v8, v1
	s_and_saveexec_b64 s[0:1], s[16:17]
	s_cbranch_execz .LBB1858_17
; %bb.16:
	v_mov_b32_e32 v11, 0
	v_lshl_add_u64 v[8:9], s[68:69], 0, v[10:11]
	flat_load_dword v8, v[8:9]
.LBB1858_17:
	s_or_b64 exec, exec, s[0:1]
	v_or_b32_e32 v9, 0x600, v0
	v_cmp_gt_u32_e64 s[18:19], s84, v9
	v_lshlrev_b32_e32 v12, 2, v9
	v_mov_b32_e32 v9, v1
	s_and_saveexec_b64 s[0:1], s[18:19]
	s_cbranch_execz .LBB1858_19
; %bb.18:
	v_mov_b32_e32 v13, 0
	v_lshl_add_u64 v[14:15], s[68:69], 0, v[12:13]
	flat_load_dword v9, v[14:15]
.LBB1858_19:
	s_or_b64 exec, exec, s[0:1]
	v_or_b32_e32 v11, 0x700, v0
	v_cmp_gt_u32_e64 s[20:21], s84, v11
	v_lshlrev_b32_e32 v14, 2, v11
	v_mov_b32_e32 v11, v1
	s_and_saveexec_b64 s[0:1], s[20:21]
	s_cbranch_execz .LBB1858_21
; %bb.20:
	v_mov_b32_e32 v15, 0
	v_lshl_add_u64 v[16:17], s[68:69], 0, v[14:15]
	flat_load_dword v11, v[16:17]
.LBB1858_21:
	s_or_b64 exec, exec, s[0:1]
	v_or_b32_e32 v13, 0x800, v0
	v_cmp_gt_u32_e64 s[22:23], s84, v13
	v_lshlrev_b32_e32 v16, 2, v13
	v_mov_b32_e32 v13, v1
	s_and_saveexec_b64 s[0:1], s[22:23]
	s_cbranch_execz .LBB1858_23
; %bb.22:
	v_mov_b32_e32 v17, 0
	v_lshl_add_u64 v[18:19], s[68:69], 0, v[16:17]
	flat_load_dword v13, v[18:19]
.LBB1858_23:
	s_or_b64 exec, exec, s[0:1]
	v_or_b32_e32 v15, 0x900, v0
	v_cmp_gt_u32_e64 s[24:25], s84, v15
	v_lshlrev_b32_e32 v18, 2, v15
	v_mov_b32_e32 v15, v1
	s_and_saveexec_b64 s[0:1], s[24:25]
	s_cbranch_execz .LBB1858_25
; %bb.24:
	v_mov_b32_e32 v19, 0
	v_lshl_add_u64 v[20:21], s[68:69], 0, v[18:19]
	flat_load_dword v15, v[20:21]
.LBB1858_25:
	s_or_b64 exec, exec, s[0:1]
	v_or_b32_e32 v17, 0xa00, v0
	v_cmp_gt_u32_e64 s[26:27], s84, v17
	v_lshlrev_b32_e32 v20, 2, v17
	v_mov_b32_e32 v17, v1
	s_and_saveexec_b64 s[0:1], s[26:27]
	s_cbranch_execz .LBB1858_27
; %bb.26:
	v_mov_b32_e32 v21, 0
	v_lshl_add_u64 v[22:23], s[68:69], 0, v[20:21]
	flat_load_dword v17, v[22:23]
.LBB1858_27:
	s_or_b64 exec, exec, s[0:1]
	v_or_b32_e32 v19, 0xb00, v0
	v_cmp_gt_u32_e64 s[28:29], s84, v19
	v_lshlrev_b32_e32 v22, 2, v19
	v_mov_b32_e32 v19, v1
	s_and_saveexec_b64 s[0:1], s[28:29]
	s_cbranch_execz .LBB1858_29
; %bb.28:
	v_mov_b32_e32 v23, 0
	v_lshl_add_u64 v[24:25], s[68:69], 0, v[22:23]
	flat_load_dword v19, v[24:25]
.LBB1858_29:
	s_or_b64 exec, exec, s[0:1]
	v_or_b32_e32 v21, 0xc00, v0
	v_cmp_gt_u32_e64 s[30:31], s84, v21
	v_lshlrev_b32_e32 v24, 2, v21
	v_mov_b32_e32 v21, v1
	s_and_saveexec_b64 s[0:1], s[30:31]
	s_cbranch_execz .LBB1858_31
; %bb.30:
	v_mov_b32_e32 v25, 0
	v_lshl_add_u64 v[26:27], s[68:69], 0, v[24:25]
	flat_load_dword v21, v[26:27]
.LBB1858_31:
	s_or_b64 exec, exec, s[0:1]
	v_or_b32_e32 v23, 0xd00, v0
	v_cmp_gt_u32_e64 s[34:35], s84, v23
	v_lshlrev_b32_e32 v26, 2, v23
	v_mov_b32_e32 v23, v1
	s_and_saveexec_b64 s[0:1], s[34:35]
	s_cbranch_execz .LBB1858_33
; %bb.32:
	v_mov_b32_e32 v27, 0
	v_lshl_add_u64 v[28:29], s[68:69], 0, v[26:27]
	flat_load_dword v23, v[28:29]
.LBB1858_33:
	s_or_b64 exec, exec, s[0:1]
	v_or_b32_e32 v25, 0xe00, v0
	v_cmp_gt_u32_e64 s[36:37], s84, v25
	v_lshlrev_b32_e32 v28, 2, v25
	v_mov_b32_e32 v25, v1
	s_and_saveexec_b64 s[0:1], s[36:37]
	s_cbranch_execz .LBB1858_35
; %bb.34:
	v_mov_b32_e32 v29, 0
	v_lshl_add_u64 v[30:31], s[68:69], 0, v[28:29]
	flat_load_dword v25, v[30:31]
.LBB1858_35:
	s_or_b64 exec, exec, s[0:1]
	v_or_b32_e32 v27, 0xf00, v0
	v_cmp_gt_u32_e64 s[38:39], s84, v27
	v_lshlrev_b32_e32 v30, 2, v27
	v_mov_b32_e32 v27, v1
	s_and_saveexec_b64 s[0:1], s[38:39]
	s_cbranch_execz .LBB1858_37
; %bb.36:
	v_mov_b32_e32 v31, 0
	v_lshl_add_u64 v[32:33], s[68:69], 0, v[30:31]
	flat_load_dword v27, v[32:33]
.LBB1858_37:
	s_or_b64 exec, exec, s[0:1]
	v_or_b32_e32 v29, 0x1000, v0
	v_cmp_gt_u32_e64 s[40:41], s84, v29
	v_lshlrev_b32_e32 v32, 2, v29
	v_mov_b32_e32 v29, v1
	s_and_saveexec_b64 s[0:1], s[40:41]
	s_cbranch_execz .LBB1858_39
; %bb.38:
	v_mov_b32_e32 v33, 0
	v_lshl_add_u64 v[34:35], s[68:69], 0, v[32:33]
	flat_load_dword v29, v[34:35]
.LBB1858_39:
	s_or_b64 exec, exec, s[0:1]
	v_or_b32_e32 v31, 0x1100, v0
	v_cmp_gt_u32_e64 s[42:43], s84, v31
	v_lshlrev_b32_e32 v34, 2, v31
	v_mov_b32_e32 v31, v1
	s_and_saveexec_b64 s[0:1], s[42:43]
	s_cbranch_execz .LBB1858_41
; %bb.40:
	v_mov_b32_e32 v35, 0
	v_lshl_add_u64 v[36:37], s[68:69], 0, v[34:35]
	flat_load_dword v31, v[36:37]
.LBB1858_41:
	s_or_b64 exec, exec, s[0:1]
	v_or_b32_e32 v33, 0x1200, v0
	v_cmp_gt_u32_e64 s[44:45], s84, v33
	v_lshlrev_b32_e32 v36, 2, v33
	v_mov_b32_e32 v33, v1
	s_and_saveexec_b64 s[0:1], s[44:45]
	s_cbranch_execz .LBB1858_43
; %bb.42:
	v_mov_b32_e32 v37, 0
	v_lshl_add_u64 v[38:39], s[68:69], 0, v[36:37]
	flat_load_dword v33, v[38:39]
.LBB1858_43:
	s_or_b64 exec, exec, s[0:1]
	v_or_b32_e32 v35, 0x1300, v0
	v_cmp_gt_u32_e64 s[46:47], s84, v35
	v_lshlrev_b32_e32 v38, 2, v35
	v_mov_b32_e32 v35, v1
	s_and_saveexec_b64 s[0:1], s[46:47]
	s_cbranch_execz .LBB1858_45
; %bb.44:
	v_mov_b32_e32 v39, 0
	v_lshl_add_u64 v[40:41], s[68:69], 0, v[38:39]
	flat_load_dword v35, v[40:41]
.LBB1858_45:
	s_or_b64 exec, exec, s[0:1]
	v_or_b32_e32 v37, 0x1400, v0
	v_cmp_gt_u32_e64 s[48:49], s84, v37
	v_lshlrev_b32_e32 v40, 2, v37
	v_mov_b32_e32 v37, v1
	s_and_saveexec_b64 s[0:1], s[48:49]
	s_cbranch_execz .LBB1858_47
; %bb.46:
	v_mov_b32_e32 v41, 0
	v_lshl_add_u64 v[42:43], s[68:69], 0, v[40:41]
	flat_load_dword v37, v[42:43]
.LBB1858_47:
	s_or_b64 exec, exec, s[0:1]
	v_or_b32_e32 v39, 0x1500, v0
	v_cmp_gt_u32_e64 s[50:51], s84, v39
	v_lshlrev_b32_e32 v42, 2, v39
	v_mov_b32_e32 v39, v1
	s_and_saveexec_b64 s[0:1], s[50:51]
	s_cbranch_execz .LBB1858_49
; %bb.48:
	v_mov_b32_e32 v43, 0
	v_lshl_add_u64 v[44:45], s[68:69], 0, v[42:43]
	flat_load_dword v39, v[44:45]
.LBB1858_49:
	s_or_b64 exec, exec, s[0:1]
	v_or_b32_e32 v41, 0x1600, v0
	v_cmp_gt_u32_e64 s[52:53], s84, v41
	v_lshlrev_b32_e32 v46, 2, v41
	s_and_saveexec_b64 s[0:1], s[52:53]
	s_cbranch_execz .LBB1858_51
; %bb.50:
	v_mov_b32_e32 v47, 0
	v_lshl_add_u64 v[44:45], s[68:69], 0, v[46:47]
	flat_load_dword v1, v[44:45]
.LBB1858_51:
	s_or_b64 exec, exec, s[0:1]
	v_lshlrev_b32_e32 v44, 2, v0
	s_movk_i32 s0, 0x58
	s_waitcnt vmcnt(0) lgkmcnt(0)
	ds_write2st64_b32 v44, v4, v5 offset1:4
	ds_write2st64_b32 v44, v6, v7 offset0:8 offset1:12
	ds_write2st64_b32 v44, v3, v8 offset0:16 offset1:20
	;; [unrolled: 1-line block ×10, first 2 shown]
	ds_write_b32 v44, v1 offset:22528
	v_mad_u32_u24 v1, v0, s0, v44
	s_waitcnt lgkmcnt(0)
	s_barrier
	ds_read2_b32 v[68:69], v1 offset1:1
	ds_read2_b32 v[66:67], v1 offset0:2 offset1:3
	ds_read2_b32 v[64:65], v1 offset0:4 offset1:5
	;; [unrolled: 1-line block ×10, first 2 shown]
	ds_read_b32 v72, v1 offset:88
	s_cmp_eq_u64 s[80:81], 0
	s_mov_b64 s[0:1], s[68:69]
	s_cbranch_scc1 .LBB1858_55
; %bb.52:
	s_andn2_b64 vcc, exec, s[78:79]
	s_cbranch_vccnz .LBB1858_267
; %bb.53:
	s_lshl_b64 s[0:1], s[80:81], 2
	s_add_u32 s0, s70, s0
	s_addc_u32 s1, s71, s1
	s_add_u32 s0, s0, -4
	s_addc_u32 s1, s1, -1
	s_cbranch_execnz .LBB1858_55
.LBB1858_54:
	s_add_u32 s0, s68, -4
	s_addc_u32 s1, s69, -1
.LBB1858_55:
	v_mov_b64_e32 v[48:49], s[0:1]
	flat_load_dword v70, v[48:49]
	s_movk_i32 s0, 0xffa8
	v_mad_i32_i24 v3, v0, s0, v1
	s_waitcnt lgkmcnt(0)
	ds_write_b32 v3, v72 offset:23552
	s_waitcnt lgkmcnt(0)
	s_barrier
	s_and_saveexec_b64 s[0:1], s[4:5]
	s_cbranch_execz .LBB1858_57
; %bb.56:
	v_mul_i32_i24_e32 v3, 0xffffffa8, v0
	v_add_u32_e32 v3, v1, v3
	s_waitcnt vmcnt(0)
	ds_read_b32 v70, v3 offset:23548
.LBB1858_57:
	s_or_b64 exec, exec, s[0:1]
	v_mov_b32_e32 v45, 0
	s_waitcnt lgkmcnt(0)
	s_barrier
	s_waitcnt lgkmcnt(0)
                                        ; implicit-def: $vgpr48
	s_and_saveexec_b64 s[0:1], s[6:7]
	s_cbranch_execnz .LBB1858_243
; %bb.58:
	s_or_b64 exec, exec, s[0:1]
                                        ; implicit-def: $vgpr49
	s_and_saveexec_b64 s[0:1], s[8:9]
	s_cbranch_execnz .LBB1858_244
.LBB1858_59:
	s_or_b64 exec, exec, s[0:1]
                                        ; implicit-def: $vgpr50
	s_and_saveexec_b64 s[0:1], s[10:11]
	s_cbranch_execnz .LBB1858_245
.LBB1858_60:
	s_or_b64 exec, exec, s[0:1]
                                        ; implicit-def: $vgpr45
	s_and_saveexec_b64 s[0:1], s[12:13]
	s_cbranch_execnz .LBB1858_246
.LBB1858_61:
	s_or_b64 exec, exec, s[0:1]
                                        ; implicit-def: $vgpr3
	s_and_saveexec_b64 s[0:1], s[14:15]
	s_cbranch_execnz .LBB1858_247
.LBB1858_62:
	s_or_b64 exec, exec, s[0:1]
                                        ; implicit-def: $vgpr2
	s_and_saveexec_b64 s[0:1], s[16:17]
	s_cbranch_execnz .LBB1858_248
.LBB1858_63:
	s_or_b64 exec, exec, s[0:1]
                                        ; implicit-def: $vgpr10
	s_and_saveexec_b64 s[0:1], s[18:19]
	s_cbranch_execnz .LBB1858_249
.LBB1858_64:
	s_or_b64 exec, exec, s[0:1]
                                        ; implicit-def: $vgpr11
	s_and_saveexec_b64 s[0:1], s[20:21]
	s_cbranch_execnz .LBB1858_250
.LBB1858_65:
	s_or_b64 exec, exec, s[0:1]
                                        ; implicit-def: $vgpr12
	s_and_saveexec_b64 s[0:1], s[22:23]
	s_cbranch_execnz .LBB1858_251
.LBB1858_66:
	s_or_b64 exec, exec, s[0:1]
                                        ; implicit-def: $vgpr13
	s_and_saveexec_b64 s[0:1], s[24:25]
	s_cbranch_execnz .LBB1858_252
.LBB1858_67:
	s_or_b64 exec, exec, s[0:1]
                                        ; implicit-def: $vgpr14
	s_and_saveexec_b64 s[0:1], s[26:27]
	s_cbranch_execnz .LBB1858_253
.LBB1858_68:
	s_or_b64 exec, exec, s[0:1]
                                        ; implicit-def: $vgpr15
	s_and_saveexec_b64 s[0:1], s[28:29]
	s_cbranch_execnz .LBB1858_254
.LBB1858_69:
	s_or_b64 exec, exec, s[0:1]
                                        ; implicit-def: $vgpr16
	s_and_saveexec_b64 s[0:1], s[30:31]
	s_cbranch_execnz .LBB1858_255
.LBB1858_70:
	s_or_b64 exec, exec, s[0:1]
                                        ; implicit-def: $vgpr17
	s_and_saveexec_b64 s[0:1], s[34:35]
	s_cbranch_execnz .LBB1858_256
.LBB1858_71:
	s_or_b64 exec, exec, s[0:1]
                                        ; implicit-def: $vgpr18
	s_and_saveexec_b64 s[0:1], s[36:37]
	s_cbranch_execnz .LBB1858_257
.LBB1858_72:
	s_or_b64 exec, exec, s[0:1]
                                        ; implicit-def: $vgpr19
	s_and_saveexec_b64 s[0:1], s[38:39]
	s_cbranch_execnz .LBB1858_258
.LBB1858_73:
	s_or_b64 exec, exec, s[0:1]
                                        ; implicit-def: $vgpr20
	s_and_saveexec_b64 s[0:1], s[40:41]
	s_cbranch_execnz .LBB1858_259
.LBB1858_74:
	s_or_b64 exec, exec, s[0:1]
                                        ; implicit-def: $vgpr21
	s_and_saveexec_b64 s[0:1], s[42:43]
	s_cbranch_execnz .LBB1858_260
.LBB1858_75:
	s_or_b64 exec, exec, s[0:1]
                                        ; implicit-def: $vgpr22
	s_and_saveexec_b64 s[0:1], s[44:45]
	s_cbranch_execnz .LBB1858_261
.LBB1858_76:
	s_or_b64 exec, exec, s[0:1]
                                        ; implicit-def: $vgpr23
	s_and_saveexec_b64 s[0:1], s[46:47]
	s_cbranch_execnz .LBB1858_262
.LBB1858_77:
	s_or_b64 exec, exec, s[0:1]
                                        ; implicit-def: $vgpr24
	s_and_saveexec_b64 s[0:1], s[48:49]
	s_cbranch_execnz .LBB1858_263
.LBB1858_78:
	s_or_b64 exec, exec, s[0:1]
                                        ; implicit-def: $vgpr25
	s_and_saveexec_b64 s[0:1], s[50:51]
	s_cbranch_execnz .LBB1858_264
.LBB1858_79:
	s_or_b64 exec, exec, s[0:1]
                                        ; implicit-def: $vgpr26
	s_and_saveexec_b64 s[0:1], s[52:53]
	s_cbranch_execz .LBB1858_81
.LBB1858_80:
	v_mov_b32_e32 v47, 0
	v_lshl_add_u64 v[26:27], s[60:61], 0, v[46:47]
	flat_load_dword v26, v[26:27]
.LBB1858_81:
	s_or_b64 exec, exec, s[0:1]
	v_mul_u32_u24_e32 v73, 23, v0
	s_waitcnt vmcnt(0) lgkmcnt(0)
	ds_write2st64_b32 v44, v48, v49 offset1:4
	ds_write2st64_b32 v44, v50, v45 offset0:8 offset1:12
	ds_write2st64_b32 v44, v3, v2 offset0:16 offset1:20
	;; [unrolled: 1-line block ×10, first 2 shown]
	ds_write_b32 v44, v26 offset:22528
	v_mov_b64_e32 v[10:11], 0
	v_cmp_gt_u32_e32 vcc, s84, v73
	s_mov_b64 s[10:11], 0
	s_mov_b64 s[6:7], 0
	v_mov_b64_e32 v[12:13], v[10:11]
	v_mov_b64_e32 v[14:15], v[10:11]
	;; [unrolled: 1-line block ×21, first 2 shown]
	s_waitcnt lgkmcnt(0)
	s_barrier
	s_waitcnt lgkmcnt(0)
                                        ; implicit-def: $sgpr0_sgpr1
                                        ; implicit-def: $vgpr3
	s_and_saveexec_b64 s[8:9], vcc
	s_cbranch_execz .LBB1858_125
; %bb.82:
	ds_read_b32 v10, v1
	v_add_u32_e32 v2, 1, v73
	v_cmp_ne_u32_e32 vcc, v70, v68
	v_mov_b64_e32 v[12:13], 0
	s_mov_b64 s[12:13], 0
	v_cndmask_b32_e64 v11, 0, 1, vcc
	v_cmp_gt_u32_e32 vcc, s84, v2
	s_mov_b64 s[0:1], 0
	v_mov_b64_e32 v[14:15], v[12:13]
	v_mov_b64_e32 v[16:17], v[12:13]
	v_mov_b64_e32 v[18:19], v[12:13]
	v_mov_b64_e32 v[20:21], v[12:13]
	v_mov_b64_e32 v[22:23], v[12:13]
	v_mov_b64_e32 v[24:25], v[12:13]
	v_mov_b64_e32 v[26:27], v[12:13]
	v_mov_b64_e32 v[28:29], v[12:13]
	v_mov_b64_e32 v[30:31], v[12:13]
	v_mov_b64_e32 v[32:33], v[12:13]
	v_mov_b64_e32 v[34:35], v[12:13]
	v_mov_b64_e32 v[36:37], v[12:13]
	v_mov_b64_e32 v[38:39], v[12:13]
	v_mov_b64_e32 v[40:41], v[12:13]
	v_mov_b64_e32 v[42:43], v[12:13]
	v_mov_b64_e32 v[44:45], v[12:13]
	v_mov_b64_e32 v[46:47], v[12:13]
	v_mov_b64_e32 v[48:49], v[12:13]
	v_mov_b64_e32 v[50:51], v[12:13]
	v_mov_b64_e32 v[52:53], v[12:13]
                                        ; implicit-def: $sgpr14_sgpr15
                                        ; implicit-def: $vgpr3
	s_and_saveexec_b64 s[10:11], vcc
	s_cbranch_execz .LBB1858_124
; %bb.83:
	ds_read2_b32 v[70:71], v1 offset0:1 offset1:2
	v_add_u32_e32 v2, 2, v73
	v_cmp_ne_u32_e32 vcc, v68, v69
	v_mov_b64_e32 v[14:15], 0
	s_mov_b64 s[16:17], 0
	v_cndmask_b32_e64 v13, 0, 1, vcc
	v_cmp_gt_u32_e32 vcc, s84, v2
	s_waitcnt lgkmcnt(0)
	v_mov_b32_e32 v12, v70
	v_mov_b64_e32 v[16:17], v[14:15]
	v_mov_b64_e32 v[18:19], v[14:15]
	;; [unrolled: 1-line block ×19, first 2 shown]
                                        ; implicit-def: $sgpr14_sgpr15
                                        ; implicit-def: $vgpr3
	s_and_saveexec_b64 s[12:13], vcc
	s_cbranch_execz .LBB1858_123
; %bb.84:
	v_add_u32_e32 v2, 3, v73
	v_cmp_ne_u32_e32 vcc, v69, v66
	v_mov_b64_e32 v[16:17], 0
	v_mov_b32_e32 v14, v71
	v_cndmask_b32_e64 v15, 0, 1, vcc
	v_cmp_gt_u32_e32 vcc, s84, v2
	v_mov_b64_e32 v[18:19], v[16:17]
	v_mov_b64_e32 v[20:21], v[16:17]
	;; [unrolled: 1-line block ×18, first 2 shown]
                                        ; implicit-def: $sgpr18_sgpr19
                                        ; implicit-def: $vgpr3
	s_and_saveexec_b64 s[14:15], vcc
	s_cbranch_execz .LBB1858_122
; %bb.85:
	ds_read2_b32 v[68:69], v1 offset0:3 offset1:4
	v_add_u32_e32 v2, 4, v73
	v_cmp_ne_u32_e32 vcc, v66, v67
	v_mov_b64_e32 v[18:19], 0
	s_mov_b64 s[20:21], 0
	v_cndmask_b32_e64 v17, 0, 1, vcc
	v_cmp_gt_u32_e32 vcc, s84, v2
	s_waitcnt lgkmcnt(0)
	v_mov_b32_e32 v16, v68
	v_mov_b64_e32 v[20:21], v[18:19]
	v_mov_b64_e32 v[22:23], v[18:19]
	;; [unrolled: 1-line block ×17, first 2 shown]
                                        ; implicit-def: $sgpr18_sgpr19
                                        ; implicit-def: $vgpr3
	s_and_saveexec_b64 s[16:17], vcc
	s_cbranch_execz .LBB1858_121
; %bb.86:
	v_add_u32_e32 v2, 5, v73
	v_cmp_ne_u32_e32 vcc, v67, v64
	v_mov_b64_e32 v[20:21], 0
	v_mov_b32_e32 v18, v69
	v_cndmask_b32_e64 v19, 0, 1, vcc
	v_cmp_gt_u32_e32 vcc, s84, v2
	v_mov_b64_e32 v[22:23], v[20:21]
	v_mov_b64_e32 v[24:25], v[20:21]
	;; [unrolled: 1-line block ×16, first 2 shown]
                                        ; implicit-def: $sgpr22_sgpr23
                                        ; implicit-def: $vgpr3
	s_and_saveexec_b64 s[18:19], vcc
	s_cbranch_execz .LBB1858_120
; %bb.87:
	ds_read2_b32 v[66:67], v1 offset0:5 offset1:6
	v_add_u32_e32 v2, 6, v73
	v_cmp_ne_u32_e32 vcc, v64, v65
	v_mov_b64_e32 v[22:23], 0
	s_mov_b64 s[24:25], 0
	v_cndmask_b32_e64 v21, 0, 1, vcc
	v_cmp_gt_u32_e32 vcc, s84, v2
	s_waitcnt lgkmcnt(0)
	v_mov_b32_e32 v20, v66
	v_mov_b64_e32 v[24:25], v[22:23]
	v_mov_b64_e32 v[26:27], v[22:23]
	;; [unrolled: 1-line block ×15, first 2 shown]
                                        ; implicit-def: $sgpr22_sgpr23
                                        ; implicit-def: $vgpr3
	s_and_saveexec_b64 s[20:21], vcc
	s_cbranch_execz .LBB1858_119
; %bb.88:
	v_add_u32_e32 v2, 7, v73
	v_cmp_ne_u32_e32 vcc, v65, v62
	v_mov_b64_e32 v[24:25], 0
	v_mov_b32_e32 v22, v67
	v_cndmask_b32_e64 v23, 0, 1, vcc
	v_cmp_gt_u32_e32 vcc, s84, v2
	v_mov_b64_e32 v[26:27], v[24:25]
	v_mov_b64_e32 v[28:29], v[24:25]
	;; [unrolled: 1-line block ×14, first 2 shown]
                                        ; implicit-def: $sgpr26_sgpr27
                                        ; implicit-def: $vgpr3
	s_and_saveexec_b64 s[22:23], vcc
	s_cbranch_execz .LBB1858_118
; %bb.89:
	ds_read2_b32 v[64:65], v1 offset0:7 offset1:8
	v_add_u32_e32 v2, 8, v73
	v_cmp_ne_u32_e32 vcc, v62, v63
	v_mov_b64_e32 v[26:27], 0
	s_mov_b64 s[28:29], 0
	v_cndmask_b32_e64 v25, 0, 1, vcc
	v_cmp_gt_u32_e32 vcc, s84, v2
	s_waitcnt lgkmcnt(0)
	v_mov_b32_e32 v24, v64
	v_mov_b64_e32 v[28:29], v[26:27]
	v_mov_b64_e32 v[30:31], v[26:27]
	v_mov_b64_e32 v[32:33], v[26:27]
	v_mov_b64_e32 v[34:35], v[26:27]
	v_mov_b64_e32 v[36:37], v[26:27]
	v_mov_b64_e32 v[38:39], v[26:27]
	v_mov_b64_e32 v[40:41], v[26:27]
	v_mov_b64_e32 v[42:43], v[26:27]
	v_mov_b64_e32 v[44:45], v[26:27]
	v_mov_b64_e32 v[46:47], v[26:27]
	v_mov_b64_e32 v[48:49], v[26:27]
	v_mov_b64_e32 v[50:51], v[26:27]
	v_mov_b64_e32 v[52:53], v[26:27]
                                        ; implicit-def: $sgpr26_sgpr27
                                        ; implicit-def: $vgpr3
	s_and_saveexec_b64 s[24:25], vcc
	s_cbranch_execz .LBB1858_117
; %bb.90:
	v_add_u32_e32 v2, 9, v73
	v_cmp_ne_u32_e32 vcc, v63, v60
	v_mov_b64_e32 v[28:29], 0
	v_mov_b32_e32 v26, v65
	v_cndmask_b32_e64 v27, 0, 1, vcc
	v_cmp_gt_u32_e32 vcc, s84, v2
	v_mov_b64_e32 v[30:31], v[28:29]
	v_mov_b64_e32 v[32:33], v[28:29]
	;; [unrolled: 1-line block ×12, first 2 shown]
                                        ; implicit-def: $sgpr30_sgpr31
                                        ; implicit-def: $vgpr3
	s_and_saveexec_b64 s[26:27], vcc
	s_cbranch_execz .LBB1858_116
; %bb.91:
	ds_read2_b32 v[62:63], v1 offset0:9 offset1:10
	v_add_u32_e32 v2, 10, v73
	v_cmp_ne_u32_e32 vcc, v60, v61
	v_mov_b64_e32 v[30:31], 0
	s_mov_b64 s[34:35], 0
	v_cndmask_b32_e64 v29, 0, 1, vcc
	v_cmp_gt_u32_e32 vcc, s84, v2
	s_waitcnt lgkmcnt(0)
	v_mov_b32_e32 v28, v62
	v_mov_b64_e32 v[32:33], v[30:31]
	v_mov_b64_e32 v[34:35], v[30:31]
	;; [unrolled: 1-line block ×11, first 2 shown]
                                        ; implicit-def: $sgpr30_sgpr31
                                        ; implicit-def: $vgpr3
	s_and_saveexec_b64 s[28:29], vcc
	s_cbranch_execz .LBB1858_115
; %bb.92:
	v_add_u32_e32 v2, 11, v73
	v_cmp_ne_u32_e32 vcc, v61, v58
	v_mov_b64_e32 v[32:33], 0
	v_mov_b32_e32 v30, v63
	v_cndmask_b32_e64 v31, 0, 1, vcc
	v_cmp_gt_u32_e32 vcc, s84, v2
	v_mov_b64_e32 v[34:35], v[32:33]
	v_mov_b64_e32 v[36:37], v[32:33]
	;; [unrolled: 1-line block ×10, first 2 shown]
                                        ; implicit-def: $sgpr36_sgpr37
                                        ; implicit-def: $vgpr3
	s_and_saveexec_b64 s[30:31], vcc
	s_cbranch_execz .LBB1858_114
; %bb.93:
	ds_read2_b32 v[60:61], v1 offset0:11 offset1:12
	v_add_u32_e32 v2, 12, v73
	v_cmp_ne_u32_e32 vcc, v58, v59
	v_mov_b64_e32 v[34:35], 0
	s_mov_b64 s[38:39], 0
	v_cndmask_b32_e64 v33, 0, 1, vcc
	v_cmp_gt_u32_e32 vcc, s84, v2
	s_waitcnt lgkmcnt(0)
	v_mov_b32_e32 v32, v60
	v_mov_b64_e32 v[36:37], v[34:35]
	v_mov_b64_e32 v[38:39], v[34:35]
	;; [unrolled: 1-line block ×9, first 2 shown]
                                        ; implicit-def: $sgpr36_sgpr37
                                        ; implicit-def: $vgpr3
	s_and_saveexec_b64 s[34:35], vcc
	s_cbranch_execz .LBB1858_113
; %bb.94:
	v_add_u32_e32 v2, 13, v73
	v_cmp_ne_u32_e32 vcc, v59, v56
	v_mov_b64_e32 v[36:37], 0
	v_mov_b32_e32 v34, v61
	v_cndmask_b32_e64 v35, 0, 1, vcc
	v_cmp_gt_u32_e32 vcc, s84, v2
	v_mov_b64_e32 v[38:39], v[36:37]
	v_mov_b64_e32 v[40:41], v[36:37]
	;; [unrolled: 1-line block ×8, first 2 shown]
                                        ; implicit-def: $sgpr40_sgpr41
                                        ; implicit-def: $vgpr3
	s_and_saveexec_b64 s[36:37], vcc
	s_cbranch_execz .LBB1858_112
; %bb.95:
	ds_read2_b32 v[58:59], v1 offset0:13 offset1:14
	v_add_u32_e32 v2, 14, v73
	v_cmp_ne_u32_e32 vcc, v56, v57
	v_mov_b64_e32 v[38:39], 0
	s_mov_b64 s[42:43], 0
	v_cndmask_b32_e64 v37, 0, 1, vcc
	v_cmp_gt_u32_e32 vcc, s84, v2
	s_waitcnt lgkmcnt(0)
	v_mov_b32_e32 v36, v58
	v_mov_b64_e32 v[40:41], v[38:39]
	v_mov_b64_e32 v[42:43], v[38:39]
	;; [unrolled: 1-line block ×7, first 2 shown]
                                        ; implicit-def: $sgpr40_sgpr41
                                        ; implicit-def: $vgpr3
	s_and_saveexec_b64 s[38:39], vcc
	s_cbranch_execz .LBB1858_111
; %bb.96:
	v_add_u32_e32 v2, 15, v73
	v_cmp_ne_u32_e32 vcc, v57, v54
	v_mov_b64_e32 v[40:41], 0
	v_mov_b32_e32 v38, v59
	v_cndmask_b32_e64 v39, 0, 1, vcc
	v_cmp_gt_u32_e32 vcc, s84, v2
	v_mov_b64_e32 v[42:43], v[40:41]
	v_mov_b64_e32 v[44:45], v[40:41]
	;; [unrolled: 1-line block ×6, first 2 shown]
                                        ; implicit-def: $sgpr44_sgpr45
                                        ; implicit-def: $vgpr3
	s_and_saveexec_b64 s[40:41], vcc
	s_cbranch_execz .LBB1858_110
; %bb.97:
	ds_read2_b32 v[56:57], v1 offset0:15 offset1:16
	v_add_u32_e32 v2, 16, v73
	v_cmp_ne_u32_e32 vcc, v54, v55
	v_mov_b64_e32 v[42:43], 0
	s_mov_b64 s[46:47], 0
	v_cndmask_b32_e64 v41, 0, 1, vcc
	v_cmp_gt_u32_e32 vcc, s84, v2
	s_waitcnt lgkmcnt(0)
	v_mov_b32_e32 v40, v56
	v_mov_b64_e32 v[44:45], v[42:43]
	v_mov_b64_e32 v[46:47], v[42:43]
	;; [unrolled: 1-line block ×5, first 2 shown]
                                        ; implicit-def: $sgpr44_sgpr45
                                        ; implicit-def: $vgpr3
	s_and_saveexec_b64 s[42:43], vcc
	s_cbranch_execz .LBB1858_109
; %bb.98:
	v_add_u32_e32 v2, 17, v73
	v_cmp_ne_u32_e32 vcc, v55, v8
	v_mov_b64_e32 v[44:45], 0
	v_mov_b32_e32 v42, v57
	v_cndmask_b32_e64 v43, 0, 1, vcc
	v_cmp_gt_u32_e32 vcc, s84, v2
	v_mov_b64_e32 v[46:47], v[44:45]
	v_mov_b64_e32 v[48:49], v[44:45]
	;; [unrolled: 1-line block ×4, first 2 shown]
                                        ; implicit-def: $sgpr48_sgpr49
                                        ; implicit-def: $vgpr3
	s_and_saveexec_b64 s[44:45], vcc
	s_cbranch_execz .LBB1858_108
; %bb.99:
	ds_read2_b32 v[54:55], v1 offset0:17 offset1:18
	v_add_u32_e32 v2, 18, v73
	v_cmp_ne_u32_e32 vcc, v8, v9
	v_mov_b64_e32 v[46:47], 0
	s_mov_b64 s[50:51], 0
	v_cndmask_b32_e64 v45, 0, 1, vcc
	v_cmp_gt_u32_e32 vcc, s84, v2
	s_waitcnt lgkmcnt(0)
	v_mov_b32_e32 v44, v54
	v_mov_b64_e32 v[48:49], v[46:47]
	v_mov_b64_e32 v[50:51], v[46:47]
	;; [unrolled: 1-line block ×3, first 2 shown]
                                        ; implicit-def: $sgpr48_sgpr49
                                        ; implicit-def: $vgpr3
	s_and_saveexec_b64 s[46:47], vcc
	s_cbranch_execz .LBB1858_107
; %bb.100:
	v_add_u32_e32 v2, 19, v73
	v_cmp_ne_u32_e32 vcc, v9, v6
	v_mov_b64_e32 v[48:49], 0
	v_mov_b32_e32 v46, v55
	v_cndmask_b32_e64 v47, 0, 1, vcc
	v_cmp_gt_u32_e32 vcc, s84, v2
	v_mov_b64_e32 v[50:51], v[48:49]
	v_mov_b64_e32 v[52:53], v[48:49]
                                        ; implicit-def: $sgpr52_sgpr53
                                        ; implicit-def: $vgpr3
	s_and_saveexec_b64 s[48:49], vcc
	s_cbranch_execz .LBB1858_106
; %bb.101:
	ds_read2_b32 v[8:9], v1 offset0:19 offset1:20
	v_add_u32_e32 v2, 20, v73
	v_cmp_ne_u32_e32 vcc, v6, v7
	v_mov_b64_e32 v[50:51], 0
	s_mov_b64 s[52:53], 0
	v_cndmask_b32_e64 v49, 0, 1, vcc
	v_cmp_gt_u32_e32 vcc, s84, v2
	s_waitcnt lgkmcnt(0)
	v_mov_b32_e32 v48, v8
	v_mov_b64_e32 v[52:53], v[50:51]
                                        ; implicit-def: $sgpr64_sgpr65
                                        ; implicit-def: $vgpr3
	s_and_saveexec_b64 s[50:51], vcc
	s_cbranch_execz .LBB1858_105
; %bb.102:
	v_add_u32_e32 v2, 21, v73
	v_cmp_ne_u32_e32 vcc, v7, v4
	v_mov_b32_e32 v50, v9
	v_mov_b64_e32 v[52:53], 0
	v_cndmask_b32_e64 v51, 0, 1, vcc
	v_cmp_gt_u32_e32 vcc, s84, v2
                                        ; implicit-def: $sgpr64_sgpr65
                                        ; implicit-def: $vgpr3
	s_and_saveexec_b64 s[0:1], vcc
	s_xor_b64 s[82:83], exec, s[0:1]
	s_cbranch_execz .LBB1858_104
; %bb.103:
	ds_read2_b32 v[2:3], v1 offset0:21 offset1:22
	v_add_u32_e32 v1, 22, v73
	v_cmp_ne_u32_e64 s[0:1], v4, v5
	v_cmp_ne_u32_e32 vcc, v5, v72
	s_and_b64 s[64:65], vcc, exec
	v_cndmask_b32_e64 v53, 0, 1, s[0:1]
	v_cmp_gt_u32_e64 s[0:1], s84, v1
	s_waitcnt lgkmcnt(0)
	v_mov_b32_e32 v52, v2
	s_and_b64 s[52:53], s[0:1], exec
.LBB1858_104:
	s_or_b64 exec, exec, s[82:83]
	s_and_b64 s[64:65], s[64:65], exec
	s_and_b64 s[0:1], s[52:53], exec
.LBB1858_105:
	s_or_b64 exec, exec, s[50:51]
	s_and_b64 s[52:53], s[64:65], exec
	s_and_b64 s[50:51], s[0:1], exec
.LBB1858_106:
	s_or_b64 exec, exec, s[48:49]
	s_and_b64 s[48:49], s[52:53], exec
	s_and_b64 s[0:1], s[50:51], exec
.LBB1858_107:
	s_or_b64 exec, exec, s[46:47]
	s_and_b64 s[48:49], s[48:49], exec
	s_and_b64 s[46:47], s[0:1], exec
.LBB1858_108:
	s_or_b64 exec, exec, s[44:45]
	s_and_b64 s[44:45], s[48:49], exec
	s_and_b64 s[0:1], s[46:47], exec
.LBB1858_109:
	s_or_b64 exec, exec, s[42:43]
	s_and_b64 s[44:45], s[44:45], exec
	s_and_b64 s[42:43], s[0:1], exec
.LBB1858_110:
	s_or_b64 exec, exec, s[40:41]
	s_and_b64 s[40:41], s[44:45], exec
	s_and_b64 s[0:1], s[42:43], exec
.LBB1858_111:
	s_or_b64 exec, exec, s[38:39]
	s_and_b64 s[40:41], s[40:41], exec
	s_and_b64 s[38:39], s[0:1], exec
.LBB1858_112:
	s_or_b64 exec, exec, s[36:37]
	s_and_b64 s[36:37], s[40:41], exec
	s_and_b64 s[0:1], s[38:39], exec
.LBB1858_113:
	s_or_b64 exec, exec, s[34:35]
	s_and_b64 s[36:37], s[36:37], exec
	s_and_b64 s[34:35], s[0:1], exec
.LBB1858_114:
	s_or_b64 exec, exec, s[30:31]
	s_and_b64 s[30:31], s[36:37], exec
	s_and_b64 s[0:1], s[34:35], exec
.LBB1858_115:
	s_or_b64 exec, exec, s[28:29]
	s_and_b64 s[30:31], s[30:31], exec
	s_and_b64 s[28:29], s[0:1], exec
.LBB1858_116:
	s_or_b64 exec, exec, s[26:27]
	s_and_b64 s[26:27], s[30:31], exec
	s_and_b64 s[0:1], s[28:29], exec
.LBB1858_117:
	s_or_b64 exec, exec, s[24:25]
	s_and_b64 s[26:27], s[26:27], exec
	s_and_b64 s[24:25], s[0:1], exec
.LBB1858_118:
	s_or_b64 exec, exec, s[22:23]
	s_and_b64 s[22:23], s[26:27], exec
	s_and_b64 s[0:1], s[24:25], exec
.LBB1858_119:
	s_or_b64 exec, exec, s[20:21]
	s_and_b64 s[22:23], s[22:23], exec
	s_and_b64 s[20:21], s[0:1], exec
.LBB1858_120:
	s_or_b64 exec, exec, s[18:19]
	s_and_b64 s[18:19], s[22:23], exec
	s_and_b64 s[0:1], s[20:21], exec
.LBB1858_121:
	s_or_b64 exec, exec, s[16:17]
	s_and_b64 s[18:19], s[18:19], exec
	s_and_b64 s[16:17], s[0:1], exec
.LBB1858_122:
	s_or_b64 exec, exec, s[14:15]
	s_and_b64 s[14:15], s[18:19], exec
	s_and_b64 s[0:1], s[16:17], exec
.LBB1858_123:
	s_or_b64 exec, exec, s[12:13]
	s_and_b64 s[14:15], s[14:15], exec
	s_and_b64 s[12:13], s[0:1], exec
.LBB1858_124:
	s_or_b64 exec, exec, s[10:11]
	s_and_b64 s[0:1], s[14:15], exec
	s_and_b64 s[10:11], s[12:13], exec
.LBB1858_125:
	s_or_b64 exec, exec, s[8:9]
	s_mov_b64 s[8:9], 0
	s_and_b64 vcc, exec, s[6:7]
	v_lshlrev_b32_e32 v54, 2, v0
	s_cbranch_vccnz .LBB1858_127
	s_branch .LBB1858_135
.LBB1858_126:
                                        ; implicit-def: $sgpr0_sgpr1
                                        ; implicit-def: $vgpr3
                                        ; implicit-def: $vgpr10_vgpr11
                                        ; implicit-def: $vgpr12_vgpr13
                                        ; implicit-def: $vgpr14_vgpr15
                                        ; implicit-def: $vgpr16_vgpr17
                                        ; implicit-def: $vgpr18_vgpr19
                                        ; implicit-def: $vgpr20_vgpr21
                                        ; implicit-def: $vgpr22_vgpr23
                                        ; implicit-def: $vgpr24_vgpr25
                                        ; implicit-def: $vgpr26_vgpr27
                                        ; implicit-def: $vgpr28_vgpr29
                                        ; implicit-def: $vgpr30_vgpr31
                                        ; implicit-def: $vgpr32_vgpr33
                                        ; implicit-def: $vgpr34_vgpr35
                                        ; implicit-def: $vgpr36_vgpr37
                                        ; implicit-def: $vgpr38_vgpr39
                                        ; implicit-def: $vgpr40_vgpr41
                                        ; implicit-def: $vgpr42_vgpr43
                                        ; implicit-def: $vgpr44_vgpr45
                                        ; implicit-def: $vgpr46_vgpr47
                                        ; implicit-def: $vgpr48_vgpr49
                                        ; implicit-def: $vgpr50_vgpr51
                                        ; implicit-def: $vgpr52_vgpr53
                                        ; implicit-def: $sgpr8_sgpr9
	s_and_b64 vcc, exec, s[6:7]
	v_lshlrev_b32_e32 v54, 2, v0
	s_cbranch_vccz .LBB1858_135
.LBB1858_127:
	v_mov_b32_e32 v55, 0
	v_lshl_add_u64 v[2:3], s[68:69], 0, v[54:55]
	v_add_co_u32_e32 v4, vcc, 0x1000, v2
	s_movk_i32 s0, 0x58
	s_nop 0
	v_addc_co_u32_e32 v5, vcc, 0, v3, vcc
	flat_load_dword v8, v[2:3]
	flat_load_dword v9, v[2:3] offset:1024
	s_waitcnt lgkmcnt(0)
	flat_load_dword v10, v[2:3] offset:2048
	flat_load_dword v11, v[2:3] offset:3072
	flat_load_dword v12, v[4:5]
	flat_load_dword v13, v[4:5] offset:1024
	flat_load_dword v14, v[4:5] offset:2048
	;; [unrolled: 1-line block ×3, first 2 shown]
	v_add_co_u32_e32 v4, vcc, 0x2000, v2
	v_mad_u32_u24 v1, v0, s0, v54
	s_nop 0
	v_addc_co_u32_e32 v5, vcc, 0, v3, vcc
	v_add_co_u32_e32 v6, vcc, 0x3000, v2
	s_cmp_eq_u64 s[80:81], 0
	s_nop 0
	v_addc_co_u32_e32 v7, vcc, 0, v3, vcc
	flat_load_dword v16, v[4:5]
	flat_load_dword v17, v[4:5] offset:1024
	flat_load_dword v18, v[4:5] offset:2048
	;; [unrolled: 1-line block ×3, first 2 shown]
	flat_load_dword v20, v[6:7]
	flat_load_dword v21, v[6:7] offset:1024
	flat_load_dword v22, v[6:7] offset:2048
	;; [unrolled: 1-line block ×3, first 2 shown]
	v_add_co_u32_e32 v4, vcc, 0x4000, v2
	s_nop 1
	v_addc_co_u32_e32 v5, vcc, 0, v3, vcc
	v_add_co_u32_e32 v2, vcc, 0x5000, v2
	s_nop 1
	v_addc_co_u32_e32 v3, vcc, 0, v3, vcc
	flat_load_dword v6, v[4:5]
	flat_load_dword v7, v[4:5] offset:1024
	flat_load_dword v24, v[4:5] offset:2048
	flat_load_dword v25, v[4:5] offset:3072
	flat_load_dword v26, v[2:3]
	flat_load_dword v27, v[2:3] offset:1024
	flat_load_dword v28, v[2:3] offset:2048
	s_waitcnt vmcnt(0)
	ds_write2st64_b32 v54, v8, v9 offset1:4
	s_waitcnt lgkmcnt(0)
	ds_write2st64_b32 v54, v10, v11 offset0:8 offset1:12
	ds_write2st64_b32 v54, v12, v13 offset0:16 offset1:20
	;; [unrolled: 1-line block ×10, first 2 shown]
	ds_write_b32 v54, v28 offset:22528
	s_waitcnt lgkmcnt(0)
	s_barrier
	ds_read2_b32 v[2:3], v1 offset1:1
	ds_read2_b32 v[18:19], v1 offset0:2 offset1:3
	ds_read2_b32 v[22:23], v1 offset0:4 offset1:5
	;; [unrolled: 1-line block ×10, first 2 shown]
	ds_read_b32 v10, v1 offset:88
	s_cbranch_scc1 .LBB1858_132
; %bb.128:
	s_andn2_b64 vcc, exec, s[78:79]
	s_cbranch_vccnz .LBB1858_268
; %bb.129:
	s_lshl_b64 s[0:1], s[80:81], 2
	s_add_u32 s0, s70, s0
	s_addc_u32 s1, s71, s1
	s_add_u32 s0, s0, -4
	s_addc_u32 s1, s1, -1
	s_cbranch_execnz .LBB1858_131
.LBB1858_130:
	s_add_u32 s0, s68, -4
	s_addc_u32 s1, s69, -1
.LBB1858_131:
	s_mov_b64 s[68:69], s[0:1]
.LBB1858_132:
	v_mov_b64_e32 v[12:13], s[68:69]
	flat_load_dword v11, v[12:13]
	s_movk_i32 s0, 0xffa8
	v_mad_i32_i24 v12, v0, s0, v1
	s_waitcnt lgkmcnt(0)
	ds_write_b32 v12, v10 offset:23552
	s_waitcnt lgkmcnt(0)
	s_barrier
	s_and_saveexec_b64 s[0:1], s[4:5]
	s_cbranch_execz .LBB1858_134
; %bb.133:
	s_waitcnt vmcnt(0)
	v_mul_i32_i24_e32 v11, 0xffffffa8, v0
	v_add_u32_e32 v11, v1, v11
	ds_read_b32 v11, v11 offset:23548
.LBB1858_134:
	s_or_b64 exec, exec, s[0:1]
	v_mov_b32_e32 v55, 0
	v_lshl_add_u64 v[12:13], s[60:61], 0, v[54:55]
	s_movk_i32 s0, 0x1000
	v_add_co_u32_e32 v14, vcc, s0, v12
	s_movk_i32 s0, 0x2000
	s_nop 0
	v_addc_co_u32_e32 v15, vcc, 0, v13, vcc
	s_waitcnt lgkmcnt(0)
	s_barrier
	flat_load_dword v20, v[12:13]
	flat_load_dword v21, v[12:13] offset:1024
	flat_load_dword v24, v[12:13] offset:2048
	;; [unrolled: 1-line block ×3, first 2 shown]
	flat_load_dword v28, v[14:15]
	flat_load_dword v29, v[14:15] offset:1024
	flat_load_dword v32, v[14:15] offset:2048
	;; [unrolled: 1-line block ×3, first 2 shown]
	v_add_co_u32_e32 v14, vcc, s0, v12
	s_movk_i32 s0, 0x3000
	s_nop 0
	v_addc_co_u32_e32 v15, vcc, 0, v13, vcc
	v_add_co_u32_e32 v16, vcc, s0, v12
	s_movk_i32 s0, 0x4000
	s_nop 0
	v_addc_co_u32_e32 v17, vcc, 0, v13, vcc
	flat_load_dword v36, v[14:15]
	flat_load_dword v37, v[14:15] offset:1024
	flat_load_dword v40, v[14:15] offset:2048
	;; [unrolled: 1-line block ×3, first 2 shown]
	flat_load_dword v44, v[16:17]
	flat_load_dword v45, v[16:17] offset:1024
	flat_load_dword v46, v[16:17] offset:2048
	;; [unrolled: 1-line block ×3, first 2 shown]
	v_add_co_u32_e32 v14, vcc, s0, v12
	s_movk_i32 s0, 0x5000
	s_nop 0
	v_addc_co_u32_e32 v15, vcc, 0, v13, vcc
	v_add_co_u32_e32 v12, vcc, s0, v12
	v_cmp_ne_u32_e64 s[0:1], v5, v10
	s_nop 0
	v_addc_co_u32_e32 v13, vcc, 0, v13, vcc
	flat_load_dword v16, v[14:15]
	flat_load_dword v17, v[14:15] offset:1024
	flat_load_dword v48, v[14:15] offset:2048
	;; [unrolled: 1-line block ×3, first 2 shown]
	flat_load_dword v50, v[12:13]
	flat_load_dword v51, v[12:13] offset:1024
	flat_load_dword v52, v[12:13] offset:2048
	s_waitcnt vmcnt(0)
	v_cmp_ne_u32_e32 vcc, v11, v2
	s_mov_b64 s[10:11], -1
                                        ; implicit-def: $sgpr8_sgpr9
	s_waitcnt lgkmcnt(0)
	ds_write2st64_b32 v54, v20, v21 offset1:4
	ds_write2st64_b32 v54, v24, v25 offset0:8 offset1:12
	ds_write2st64_b32 v54, v28, v29 offset0:16 offset1:20
	;; [unrolled: 1-line block ×10, first 2 shown]
	ds_write_b32 v54, v52 offset:22528
	v_cndmask_b32_e64 v11, 0, 1, vcc
	v_cmp_ne_u32_e32 vcc, v2, v3
	s_waitcnt lgkmcnt(0)
	s_barrier
	v_cndmask_b32_e64 v13, 0, 1, vcc
	v_cmp_ne_u32_e32 vcc, v3, v18
	ds_read2_b32 v[16:17], v1 offset1:1
	ds_read2_b32 v[20:21], v1 offset0:2 offset1:3
	ds_read2_b32 v[24:25], v1 offset0:4 offset1:5
	;; [unrolled: 1-line block ×10, first 2 shown]
	ds_read_b32 v3, v1 offset:88
	v_cndmask_b32_e64 v15, 0, 1, vcc
	v_cmp_ne_u32_e32 vcc, v18, v19
	s_waitcnt lgkmcnt(11)
	v_mov_b32_e32 v12, v17
	v_mov_b32_e32 v10, v16
	v_cndmask_b32_e64 v17, 0, 1, vcc
	v_cmp_ne_u32_e32 vcc, v19, v22
	s_waitcnt lgkmcnt(10)
	v_mov_b32_e32 v16, v21
	v_mov_b32_e32 v14, v20
	;; [unrolled: 5-line block ×5, first 2 shown]
	v_cndmask_b32_e64 v25, 0, 1, vcc
	v_cmp_ne_u32_e32 vcc, v27, v30
	s_waitcnt lgkmcnt(6)
	v_mov_b32_e32 v32, v37
	s_waitcnt lgkmcnt(2)
	v_mov_b32_e32 v48, v51
	v_cndmask_b32_e64 v27, 0, 1, vcc
	v_cmp_ne_u32_e32 vcc, v30, v31
	v_mov_b32_e32 v30, v36
	v_mov_b32_e32 v36, v41
	v_cndmask_b32_e64 v29, 0, 1, vcc
	v_cmp_ne_u32_e32 vcc, v31, v34
	s_waitcnt lgkmcnt(1)
	v_mov_b32_e32 v52, v57
	v_cndmask_b32_e64 v31, 0, 1, vcc
	v_cmp_ne_u32_e32 vcc, v34, v35
	v_mov_b32_e32 v34, v40
	v_mov_b32_e32 v40, v45
	v_cndmask_b32_e64 v33, 0, 1, vcc
	v_cmp_ne_u32_e32 vcc, v35, v38
	s_nop 1
	v_cndmask_b32_e64 v35, 0, 1, vcc
	v_cmp_ne_u32_e32 vcc, v38, v39
	v_mov_b32_e32 v38, v44
	v_mov_b32_e32 v44, v47
	v_cndmask_b32_e64 v37, 0, 1, vcc
	v_cmp_ne_u32_e32 vcc, v39, v42
	s_nop 1
	v_cndmask_b32_e64 v39, 0, 1, vcc
	v_cmp_ne_u32_e32 vcc, v42, v43
	v_mov_b32_e32 v42, v46
	v_mov_b32_e32 v46, v50
	v_cndmask_b32_e64 v41, 0, 1, vcc
	v_cmp_ne_u32_e32 vcc, v43, v8
	v_mov_b32_e32 v50, v56
	s_nop 0
	v_cndmask_b32_e64 v43, 0, 1, vcc
	v_cmp_ne_u32_e32 vcc, v8, v9
	s_nop 1
	v_cndmask_b32_e64 v45, 0, 1, vcc
	v_cmp_ne_u32_e32 vcc, v9, v6
	;; [unrolled: 3-line block ×5, first 2 shown]
	s_nop 1
	v_cndmask_b32_e64 v53, 0, 1, vcc
.LBB1858_135:
	v_mov_b64_e32 v[56:57], s[8:9]
	s_and_saveexec_b64 s[6:7], s[10:11]
	s_cbranch_execz .LBB1858_137
; %bb.136:
	v_cndmask_b32_e64 v57, 0, 1, s[0:1]
	s_waitcnt lgkmcnt(0)
	v_mov_b32_e32 v56, v3
.LBB1858_137:
	s_or_b64 exec, exec, s[6:7]
	s_mov_b32 s0, 0
	s_cmp_lg_u32 s75, 0
	v_or_b32_e32 v55, v57, v53
	v_lshrrev_b32_e32 v1, 5, v0
	v_cmp_gt_u32_e32 vcc, 64, v0
	s_waitcnt lgkmcnt(0)
	s_barrier
	s_cbranch_scc0 .LBB1858_172
; %bb.138:
	s_mov_b32 s1, 1
	v_cmp_gt_u64_e64 s[6:7], s[0:1], v[12:13]
	v_cmp_gt_u64_e64 s[8:9], s[0:1], v[14:15]
	v_cmp_gt_u64_e64 s[10:11], s[0:1], v[16:17]
	v_cndmask_b32_e64 v2, 0, v10, s[6:7]
	v_add_u32_e32 v2, v2, v12
	v_cndmask_b32_e64 v2, 0, v2, s[8:9]
	v_add_u32_e32 v2, v2, v14
	v_cndmask_b32_e64 v2, 0, v2, s[10:11]
	v_add_u32_e32 v2, v2, v16
	v_cmp_gt_u64_e64 s[12:13], s[0:1], v[18:19]
	v_cmp_gt_u64_e64 s[14:15], s[0:1], v[20:21]
	v_cmp_gt_u64_e64 s[16:17], s[0:1], v[22:23]
	v_cndmask_b32_e64 v2, 0, v2, s[12:13]
	v_add_u32_e32 v2, v2, v18
	v_cndmask_b32_e64 v2, 0, v2, s[14:15]
	v_add_u32_e32 v2, v2, v20
	v_cndmask_b32_e64 v2, 0, v2, s[16:17]
	v_add_u32_e32 v2, v2, v22
	v_cmp_gt_u64_e64 s[18:19], s[0:1], v[24:25]
	v_cmp_gt_u64_e64 s[20:21], s[0:1], v[26:27]
	v_cmp_gt_u64_e64 s[22:23], s[0:1], v[28:29]
	v_cndmask_b32_e64 v2, 0, v2, s[18:19]
	v_add_u32_e32 v2, v2, v24
	v_cndmask_b32_e64 v2, 0, v2, s[20:21]
	v_add_u32_e32 v2, v2, v26
	v_cndmask_b32_e64 v2, 0, v2, s[22:23]
	v_add_u32_e32 v2, v2, v28
	v_cmp_gt_u64_e64 s[24:25], s[0:1], v[30:31]
	v_cmp_gt_u64_e64 s[26:27], s[0:1], v[32:33]
	v_cmp_gt_u64_e64 s[28:29], s[0:1], v[34:35]
	v_cndmask_b32_e64 v2, 0, v2, s[24:25]
	v_add_u32_e32 v2, v2, v30
	v_cndmask_b32_e64 v2, 0, v2, s[26:27]
	v_add_u32_e32 v2, v2, v32
	v_cndmask_b32_e64 v2, 0, v2, s[28:29]
	v_add_u32_e32 v2, v2, v34
	v_cmp_gt_u64_e64 s[30:31], s[0:1], v[36:37]
	v_cmp_gt_u64_e64 s[34:35], s[0:1], v[38:39]
	v_cmp_gt_u64_e64 s[36:37], s[0:1], v[40:41]
	v_cndmask_b32_e64 v2, 0, v2, s[30:31]
	v_add_u32_e32 v2, v2, v36
	v_cndmask_b32_e64 v2, 0, v2, s[34:35]
	v_add_u32_e32 v2, v2, v38
	v_cndmask_b32_e64 v2, 0, v2, s[36:37]
	v_add_u32_e32 v2, v2, v40
	v_cmp_gt_u64_e64 s[38:39], s[0:1], v[42:43]
	v_cmp_gt_u64_e64 s[40:41], s[0:1], v[44:45]
	v_cmp_gt_u64_e64 s[42:43], s[0:1], v[46:47]
	v_cndmask_b32_e64 v2, 0, v2, s[38:39]
	v_add_u32_e32 v2, v2, v42
	v_cndmask_b32_e64 v2, 0, v2, s[40:41]
	v_add_u32_e32 v2, v2, v44
	v_cndmask_b32_e64 v2, 0, v2, s[42:43]
	v_add_u32_e32 v2, v2, v46
	v_cmp_gt_u64_e64 s[44:45], s[0:1], v[48:49]
	v_cmp_gt_u64_e64 s[46:47], s[0:1], v[50:51]
	v_cmp_gt_u64_e64 s[48:49], s[0:1], v[52:53]
	v_cndmask_b32_e64 v2, 0, v2, s[44:45]
	v_add_u32_e32 v2, v2, v48
	v_cndmask_b32_e64 v2, 0, v2, s[46:47]
	v_add_u32_e32 v2, v2, v50
	v_cndmask_b32_e64 v2, 0, v2, s[48:49]
	v_add_u32_e32 v2, v2, v52
	v_cmp_gt_u64_e64 s[50:51], s[0:1], v[56:57]
	s_nop 1
	v_cndmask_b32_e64 v2, 0, v2, s[50:51]
	v_add_u32_e32 v62, v2, v56
	v_or3_b32 v2, v55, v51, v49
	v_or3_b32 v2, v2, v47, v45
	;; [unrolled: 1-line block ×10, first 2 shown]
	v_and_b32_e32 v2, 1, v2
	v_cmp_eq_u32_e64 s[0:1], 1, v2
	v_add_lshl_u32 v2, v1, v0, 3
	s_nop 0
	v_cndmask_b32_e64 v63, v11, 1, s[0:1]
	ds_write_b32 v2, v62
	ds_write_b8 v2, v63 offset:4
	s_waitcnt lgkmcnt(0)
	s_barrier
	s_and_saveexec_b64 s[52:53], vcc
	s_cbranch_execz .LBB1858_150
; %bb.139:
	v_lshrrev_b32_e32 v2, 3, v0
	v_add_lshl_u32 v4, v2, v54, 3
	ds_read2_b32 v[6:7], v4 offset0:2 offset1:4
	ds_read_b64 v[2:3], v4
	ds_read_u8 v8, v4 offset:12
	ds_read_u8 v9, v4 offset:20
	ds_read_b32 v58, v4 offset:24
	ds_read_u8 v59, v4 offset:28
	v_mov_b32_e32 v60, 0
	s_waitcnt lgkmcnt(3)
	v_cmp_eq_u16_sdwa s[0:1], v8, v60 src0_sel:BYTE_0 src1_sel:DWORD
	v_and_b32_e32 v5, 1, v3
	s_nop 0
	v_cndmask_b32_e64 v61, 0, v2, s[0:1]
	v_add_u32_e32 v6, v61, v6
	s_waitcnt lgkmcnt(2)
	v_cmp_eq_u16_sdwa s[0:1], v9, v60 src0_sel:BYTE_0 src1_sel:DWORD
	s_nop 1
	v_cndmask_b32_e64 v6, 0, v6, s[0:1]
	v_add_u32_e32 v6, v6, v7
	s_waitcnt lgkmcnt(0)
	v_cmp_eq_u16_e64 s[0:1], 0, v59
	s_nop 1
	v_cndmask_b32_e64 v6, 0, v6, s[0:1]
	v_add_u32_e32 v7, v6, v58
	v_or_b32_e32 v6, v59, v9
	v_or_b32_e32 v6, v6, v8
	v_and_b32_e32 v6, 1, v6
	v_cmp_eq_u32_e64 s[0:1], 1, v6
	v_mbcnt_lo_u32_b32 v8, -1, 0
	v_and_b32_e32 v6, 0xffffff00, v3
	v_cndmask_b32_e64 v9, v5, 1, s[0:1]
	v_mbcnt_hi_u32_b32 v8, -1, v8
	v_and_b32_e32 v59, 15, v8
	v_or_b32_sdwa v58, v6, v9 dst_sel:DWORD dst_unused:UNUSED_PAD src0_sel:DWORD src1_sel:WORD_0
	v_mov_b32_dpp v60, v7 row_shr:1 row_mask:0xf bank_mask:0xf
	v_cmp_ne_u32_e64 s[0:1], 0, v59
	v_mov_b32_dpp v61, v58 row_shr:1 row_mask:0xf bank_mask:0xf
	s_and_saveexec_b64 s[60:61], s[0:1]
; %bb.140:
	v_and_b32_e32 v58, 1, v9
	v_and_b32_e32 v61, 1, v61
	v_cmp_eq_u32_e64 s[0:1], 1, v58
	s_nop 1
	v_cndmask_b32_e64 v61, v61, 1, s[0:1]
	v_cmp_eq_u16_e64 s[0:1], 0, v9
	v_or_b32_sdwa v58, v6, v61 dst_sel:DWORD dst_unused:UNUSED_PAD src0_sel:DWORD src1_sel:WORD_0
	s_nop 0
	v_cndmask_b32_e64 v9, 0, v60, s[0:1]
	v_add_u32_e32 v7, v9, v7
	v_mov_b32_e32 v9, v61
; %bb.141:
	s_or_b64 exec, exec, s[60:61]
	v_mov_b32_dpp v60, v7 row_shr:2 row_mask:0xf bank_mask:0xf
	v_mov_b32_dpp v61, v58 row_shr:2 row_mask:0xf bank_mask:0xf
	v_cmp_lt_u32_e64 s[0:1], 1, v59
	s_and_saveexec_b64 s[60:61], s[0:1]
; %bb.142:
	v_and_b32_e32 v58, 1, v9
	v_and_b32_e32 v61, 1, v61
	v_cmp_eq_u32_e64 s[0:1], 1, v58
	s_nop 1
	v_cndmask_b32_e64 v61, v61, 1, s[0:1]
	v_cmp_eq_u16_e64 s[0:1], 0, v9
	v_or_b32_sdwa v58, v6, v61 dst_sel:DWORD dst_unused:UNUSED_PAD src0_sel:DWORD src1_sel:WORD_0
	s_nop 0
	v_cndmask_b32_e64 v9, 0, v60, s[0:1]
	v_add_u32_e32 v7, v9, v7
	v_mov_b32_e32 v9, v61
; %bb.143:
	s_or_b64 exec, exec, s[60:61]
	v_mov_b32_dpp v60, v7 row_shr:4 row_mask:0xf bank_mask:0xf
	v_mov_b32_dpp v61, v58 row_shr:4 row_mask:0xf bank_mask:0xf
	v_cmp_lt_u32_e64 s[0:1], 3, v59
	;; [unrolled: 18-line block ×3, first 2 shown]
	s_and_saveexec_b64 s[60:61], s[0:1]
; %bb.146:
	v_and_b32_e32 v58, 1, v9
	v_and_b32_e32 v59, 1, v61
	v_cmp_eq_u32_e64 s[0:1], 1, v58
	s_nop 1
	v_cndmask_b32_e64 v59, v59, 1, s[0:1]
	v_cmp_eq_u16_e64 s[0:1], 0, v9
	v_or_b32_sdwa v58, v6, v59 dst_sel:DWORD dst_unused:UNUSED_PAD src0_sel:DWORD src1_sel:WORD_0
	s_nop 0
	v_cndmask_b32_e64 v9, 0, v60, s[0:1]
	v_add_u32_e32 v7, v9, v7
	v_mov_b32_e32 v9, v59
; %bb.147:
	s_or_b64 exec, exec, s[60:61]
	v_and_b32_e32 v61, 16, v8
	v_mov_b32_dpp v59, v7 row_bcast:15 row_mask:0xf bank_mask:0xf
	v_mov_b32_dpp v60, v58 row_bcast:15 row_mask:0xf bank_mask:0xf
	v_cmp_ne_u32_e64 s[0:1], 0, v61
	s_and_saveexec_b64 s[60:61], s[0:1]
; %bb.148:
	v_and_b32_e32 v58, 1, v9
	v_and_b32_e32 v60, 1, v60
	v_cmp_eq_u32_e64 s[0:1], 1, v58
	s_nop 1
	v_cndmask_b32_e64 v60, v60, 1, s[0:1]
	v_cmp_eq_u16_e64 s[0:1], 0, v9
	v_or_b32_sdwa v58, v6, v60 dst_sel:DWORD dst_unused:UNUSED_PAD src0_sel:DWORD src1_sel:WORD_0
	s_nop 0
	v_cndmask_b32_e64 v9, 0, v59, s[0:1]
	v_add_u32_e32 v7, v9, v7
	v_mov_b32_e32 v9, v60
; %bb.149:
	s_or_b64 exec, exec, s[60:61]
	v_mov_b32_dpp v58, v58 row_bcast:31 row_mask:0xf bank_mask:0xf
	v_and_b32_e32 v60, 1, v9
	v_and_b32_e32 v58, 1, v58
	v_cmp_eq_u32_e64 s[0:1], 1, v60
	v_mov_b32_e32 v60, 0
	v_cmp_eq_u16_sdwa s[60:61], v9, v60 src0_sel:BYTE_0 src1_sel:DWORD
	v_cndmask_b32_e64 v58, v58, 1, s[0:1]
	v_cmp_lt_u32_e64 s[0:1], 31, v8
	v_mov_b32_dpp v59, v7 row_bcast:31 row_mask:0xf bank_mask:0xf
	s_movk_i32 s64, 0xff
	v_cndmask_b32_e64 v9, v9, v58, s[0:1]
	s_and_b64 s[0:1], s[0:1], s[60:61]
	v_cndmask_b32_e64 v58, 0, v59, s[0:1]
	v_add_u32_e32 v7, v58, v7
	v_add_u32_e32 v58, -1, v8
	v_and_b32_e32 v59, 64, v8
	v_cmp_lt_i32_e64 s[0:1], v58, v59
	v_and_or_b32 v6, v9, s64, v6
	s_nop 0
	v_cndmask_b32_e64 v8, v58, v8, s[0:1]
	v_lshlrev_b32_e32 v8, 2, v8
	ds_bpermute_b32 v7, v8, v7
	ds_bpermute_b32 v6, v8, v6
	v_cmp_eq_u16_sdwa s[0:1], v3, v60 src0_sel:BYTE_0 src1_sel:DWORD
	; wave barrier
	s_waitcnt lgkmcnt(1)
	s_nop 0
	v_cndmask_b32_e64 v3, 0, v7, s[0:1]
	v_add_u32_e32 v2, v3, v2
	s_waitcnt lgkmcnt(0)
	v_and_b32_e32 v3, 1, v6
	v_cmp_eq_u32_e64 s[0:1], 1, v5
	v_cndmask_b32_e64 v5, v2, v62, s[54:55]
	s_nop 0
	v_cndmask_b32_e64 v3, v3, 1, s[0:1]
	v_cndmask_b32_e64 v6, v3, v63, s[54:55]
	ds_write_b32 v4, v5
	ds_write_b8 v4, v6 offset:4
	; wave barrier
	ds_read_u8 v7, v4 offset:12
	ds_read2_b32 v[2:3], v4 offset0:2 offset1:4
	ds_read_u8 v8, v4 offset:20
	ds_read_b32 v9, v4 offset:24
	ds_read_u8 v58, v4 offset:28
	s_waitcnt lgkmcnt(4)
	v_cmp_eq_u16_e64 s[0:1], 0, v7
	s_nop 1
	v_cndmask_b32_e64 v5, 0, v5, s[0:1]
	s_waitcnt lgkmcnt(3)
	v_add_u32_e32 v2, v5, v2
	v_and_b32_e32 v5, 1, v7
	v_cmp_eq_u32_e64 s[0:1], 1, v5
	s_nop 1
	v_cndmask_b32_e64 v5, v6, 1, s[0:1]
	s_waitcnt lgkmcnt(2)
	v_cmp_eq_u16_e64 s[0:1], 0, v8
	ds_write_b8 v4, v5 offset:12
	s_nop 0
	v_cndmask_b32_e64 v6, 0, v2, s[0:1]
	v_add_u32_e32 v3, v6, v3
	v_and_b32_e32 v6, 1, v8
	v_cmp_eq_u32_e64 s[0:1], 1, v6
	s_nop 1
	v_cndmask_b32_e64 v5, v5, 1, s[0:1]
	s_waitcnt lgkmcnt(1)
	v_cmp_eq_u16_e64 s[0:1], 0, v58
	ds_write2_b32 v4, v2, v3 offset0:2 offset1:4
	ds_write_b8 v4, v5 offset:20
	v_cndmask_b32_e64 v2, 0, v3, s[0:1]
	v_and_b32_e32 v3, 1, v58
	v_add_u32_e32 v2, v2, v9
	v_cmp_eq_u32_e64 s[0:1], 1, v3
	s_nop 1
	v_cndmask_b32_e64 v3, v5, 1, s[0:1]
	ds_write_b32 v4, v2 offset:24
	ds_write_b8 v4, v3 offset:28
.LBB1858_150:
	s_or_b64 exec, exec, s[52:53]
	s_waitcnt lgkmcnt(0)
	s_barrier
	s_and_saveexec_b64 s[0:1], s[4:5]
	s_cbranch_execz .LBB1858_152
; %bb.151:
	v_add_u32_e32 v2, -1, v0
	v_lshrrev_b32_e32 v3, 5, v2
	v_add_lshl_u32 v2, v3, v2, 3
	ds_read_b32 v62, v2
	ds_read_u8 v63, v2 offset:4
.LBB1858_152:
	s_or_b64 exec, exec, s[0:1]
	s_and_saveexec_b64 s[60:61], vcc
	s_cbranch_execz .LBB1858_171
; %bb.153:
	v_mov_b32_e32 v5, 0
	ds_read_b64 v[2:3], v5 offset:2096
	v_mbcnt_lo_u32_b32 v4, -1, 0
	v_mbcnt_hi_u32_b32 v73, -1, v4
	s_mov_b32 s65, 0
	v_cmp_eq_u32_e64 s[52:53], 0, v73
	s_waitcnt lgkmcnt(0)
	v_readfirstlane_b32 s70, v3
	s_and_saveexec_b64 s[0:1], s[52:53]
	s_cbranch_execz .LBB1858_155
; %bb.154:
	s_add_i32 s64, s75, 64
	s_lshl_b64 s[68:69], s[64:65], 4
	s_add_u32 s68, s72, s68
	s_addc_u32 s69, s73, s69
	s_and_b32 s79, s70, 0xff000000
	s_mov_b32 s78, s65
	s_and_b32 s81, s70, 0xff0000
	s_mov_b32 s80, s65
	s_or_b64 s[78:79], s[80:81], s[78:79]
	s_and_b32 s81, s70, 0xff00
	s_or_b64 s[78:79], s[78:79], s[80:81]
	s_and_b32 s81, s70, 0xff
	s_or_b64 s[64:65], s[78:79], s[80:81]
	v_mov_b32_e32 v3, s65
	v_mov_b32_e32 v4, 1
	v_mov_b64_e32 v[6:7], s[68:69]
	;;#ASMSTART
	global_store_dwordx4 v[6:7], v[2:5] off sc1	
s_waitcnt vmcnt(0)
	;;#ASMEND
.LBB1858_155:
	s_or_b64 exec, exec, s[0:1]
	v_xad_u32 v58, v73, -1, s75
	v_add_u32_e32 v4, 64, v58
	v_lshl_add_u64 v[60:61], v[4:5], 4, s[72:73]
	;;#ASMSTART
	global_load_dwordx4 v[6:9], v[60:61] off sc1	
s_waitcnt vmcnt(0)
	;;#ASMEND
	s_nop 0
	v_and_b32_e32 v3, 0xff0000, v6
	v_and_b32_e32 v4, 0xff000000, v6
	;; [unrolled: 1-line block ×3, first 2 shown]
	v_or_b32_sdwa v3, v6, v3 dst_sel:DWORD dst_unused:UNUSED_PAD src0_sel:WORD_0 src1_sel:DWORD
	v_or3_b32 v7, 0, 0, v7
	v_or3_b32 v6, v3, v4, 0
	v_cmp_eq_u16_sdwa s[64:65], v8, v5 src0_sel:BYTE_0 src1_sel:DWORD
	s_and_saveexec_b64 s[0:1], s[64:65]
	s_cbranch_execz .LBB1858_159
; %bb.156:
	s_mov_b64 s[64:65], 0
	v_mov_b32_e32 v3, 0
.LBB1858_157:                           ; =>This Inner Loop Header: Depth=1
	;;#ASMSTART
	global_load_dwordx4 v[6:9], v[60:61] off sc1	
s_waitcnt vmcnt(0)
	;;#ASMEND
	s_nop 0
	v_cmp_ne_u16_sdwa s[68:69], v8, v3 src0_sel:BYTE_0 src1_sel:DWORD
	s_or_b64 s[64:65], s[68:69], s[64:65]
	s_andn2_b64 exec, exec, s[64:65]
	s_cbranch_execnz .LBB1858_157
; %bb.158:
	s_or_b64 exec, exec, s[64:65]
	v_and_b32_e32 v7, 0xff, v7
.LBB1858_159:
	s_or_b64 exec, exec, s[0:1]
	v_mov_b32_e32 v3, 2
	v_cmp_eq_u16_sdwa s[0:1], v8, v3 src0_sel:BYTE_0 src1_sel:DWORD
	v_lshlrev_b64 v[4:5], v73, -1
	v_and_b32_e32 v64, 63, v73
	v_and_b32_e32 v9, s1, v5
	v_or_b32_e32 v9, 0x80000000, v9
	v_and_b32_e32 v59, s0, v4
	v_ffbl_b32_e32 v9, v9
	v_add_u32_e32 v9, 32, v9
	v_ffbl_b32_e32 v59, v59
	v_cmp_ne_u32_e32 vcc, 63, v64
	v_min_u32_e32 v9, v59, v9
	s_mov_b32 s64, 0
	v_addc_co_u32_e32 v59, vcc, 0, v73, vcc
	v_lshlrev_b32_e32 v65, 2, v59
	ds_bpermute_b32 v59, v65, v7
	ds_bpermute_b32 v60, v65, v6
	v_and_b32_e32 v61, 1, v7
	s_mov_b32 s65, 1
	v_cmp_eq_u32_e32 vcc, 1, v61
	s_waitcnt lgkmcnt(1)
	v_and_b32_e32 v59, 1, v59
	v_cmp_lt_u32_e64 s[0:1], v64, v9
	v_cndmask_b32_e64 v59, v59, 1, vcc
	v_cmp_gt_u64_e32 vcc, s[64:65], v[6:7]
	s_and_b64 vcc, s[0:1], vcc
	v_and_b32_e32 v61, 0xffff, v59
	v_cndmask_b32_e64 v68, v7, v59, s[0:1]
	s_waitcnt lgkmcnt(0)
	v_cndmask_b32_e32 v59, 0, v60, vcc
	v_cmp_gt_u32_e32 vcc, 62, v64
	v_cndmask_b32_e64 v7, v7, v61, s[0:1]
	v_add_u32_e32 v6, v59, v6
	v_cndmask_b32_e64 v60, 0, 1, vcc
	v_lshlrev_b32_e32 v60, 1, v60
	v_add_lshl_u32 v66, v60, v73, 2
	ds_bpermute_b32 v60, v66, v7
	ds_bpermute_b32 v61, v66, v6
	v_and_b32_e32 v59, 1, v68
	v_cmp_eq_u32_e32 vcc, 1, v59
	v_mov_b32_e32 v59, 0
	s_waitcnt lgkmcnt(1)
	v_and_b32_e32 v60, 1, v60
	v_add_u32_e32 v67, 2, v64
	v_cndmask_b32_e64 v60, v60, 1, vcc
	v_cmp_eq_u16_sdwa vcc, v68, v59 src0_sel:BYTE_0 src1_sel:DWORD
	v_and_b32_e32 v69, 0xffff, v60
	v_add_u32_e32 v77, 32, v64
	s_waitcnt lgkmcnt(0)
	v_cndmask_b32_e32 v61, 0, v61, vcc
	v_cmp_gt_u32_e32 vcc, v67, v9
	s_nop 1
	v_cndmask_b32_e32 v60, v60, v68, vcc
	v_cndmask_b32_e64 v61, v61, 0, vcc
	v_cndmask_b32_e32 v7, v69, v7, vcc
	v_cmp_gt_u32_e32 vcc, 60, v64
	v_add_u32_e32 v6, v61, v6
	v_and_b32_e32 v71, 1, v60
	v_cndmask_b32_e64 v68, 0, 1, vcc
	v_lshlrev_b32_e32 v68, 2, v68
	v_add_lshl_u32 v68, v68, v73, 2
	ds_bpermute_b32 v70, v68, v7
	ds_bpermute_b32 v61, v68, v6
	v_cmp_eq_u32_e32 vcc, 1, v71
	v_add_u32_e32 v69, 4, v64
	s_waitcnt lgkmcnt(1)
	v_and_b32_e32 v70, 1, v70
	v_cndmask_b32_e64 v70, v70, 1, vcc
	v_cmp_eq_u16_sdwa vcc, v60, v59 src0_sel:BYTE_0 src1_sel:DWORD
	v_and_b32_e32 v71, 0xffff, v70
	s_waitcnt lgkmcnt(0)
	v_cndmask_b32_e32 v61, 0, v61, vcc
	v_cmp_gt_u32_e32 vcc, v69, v9
	s_nop 1
	v_cndmask_b32_e32 v60, v70, v60, vcc
	v_cndmask_b32_e64 v61, v61, 0, vcc
	v_cndmask_b32_e32 v7, v71, v7, vcc
	v_cmp_gt_u32_e32 vcc, 56, v64
	v_add_u32_e32 v6, v61, v6
	v_and_b32_e32 v74, 1, v60
	v_cndmask_b32_e64 v70, 0, 1, vcc
	v_lshlrev_b32_e32 v70, 3, v70
	v_add_lshl_u32 v70, v70, v73, 2
	ds_bpermute_b32 v72, v70, v7
	ds_bpermute_b32 v61, v70, v6
	v_cmp_eq_u32_e32 vcc, 1, v74
	v_add_u32_e32 v71, 8, v64
	s_waitcnt lgkmcnt(1)
	v_and_b32_e32 v72, 1, v72
	v_cndmask_b32_e64 v72, v72, 1, vcc
	v_cmp_eq_u16_sdwa vcc, v60, v59 src0_sel:BYTE_0 src1_sel:DWORD
	v_and_b32_e32 v74, 0xffff, v72
	;; [unrolled: 22-line block ×3, first 2 shown]
	s_waitcnt lgkmcnt(0)
	v_cndmask_b32_e32 v61, 0, v61, vcc
	v_cmp_gt_u32_e32 vcc, v74, v9
	s_nop 1
	v_cndmask_b32_e32 v60, v75, v60, vcc
	v_cndmask_b32_e64 v61, v61, 0, vcc
	v_cndmask_b32_e32 v7, v76, v7, vcc
	v_cmp_gt_u32_e32 vcc, 32, v64
	v_add_u32_e32 v6, v61, v6
	s_nop 0
	v_cndmask_b32_e64 v75, 0, 1, vcc
	v_lshlrev_b32_e32 v75, 5, v75
	v_add_lshl_u32 v76, v75, v73, 2
	ds_bpermute_b32 v7, v76, v7
	ds_bpermute_b32 v61, v76, v6
	v_and_b32_e32 v73, 1, v60
	v_cmp_eq_u32_e32 vcc, 1, v73
	s_waitcnt lgkmcnt(1)
	v_and_b32_e32 v7, 1, v7
	v_cndmask_b32_e64 v7, v7, 1, vcc
	v_cmp_eq_u16_sdwa vcc, v60, v59 src0_sel:BYTE_0 src1_sel:DWORD
	s_waitcnt lgkmcnt(0)
	s_nop 0
	v_cndmask_b32_e32 v61, 0, v61, vcc
	v_cmp_gt_u32_e32 vcc, v77, v9
	s_nop 1
	v_cndmask_b32_e64 v9, v61, 0, vcc
	v_cndmask_b32_e32 v7, v7, v60, vcc
	v_add_u32_e32 v6, v9, v6
	s_branch .LBB1858_161
.LBB1858_160:                           ;   in Loop: Header=BB1858_161 Depth=1
	s_or_b64 exec, exec, s[0:1]
	v_cmp_eq_u16_sdwa s[0:1], v8, v3 src0_sel:BYTE_0 src1_sel:DWORD
	ds_bpermute_b32 v61, v65, v7
	v_and_b32_e32 v78, 1, v7
	v_and_b32_e32 v9, s1, v5
	v_or_b32_e32 v9, 0x80000000, v9
	v_and_b32_e32 v60, s0, v4
	v_ffbl_b32_e32 v9, v9
	v_add_u32_e32 v9, 32, v9
	v_ffbl_b32_e32 v60, v60
	v_min_u32_e32 v9, v60, v9
	ds_bpermute_b32 v60, v65, v6
	s_waitcnt lgkmcnt(1)
	v_and_b32_e32 v61, 1, v61
	v_cmp_eq_u32_e32 vcc, 1, v78
	v_cmp_lt_u32_e64 s[0:1], v64, v9
	v_subrev_u32_e32 v58, 64, v58
	v_cndmask_b32_e64 v61, v61, 1, vcc
	v_cmp_gt_u64_e32 vcc, s[64:65], v[6:7]
	v_and_b32_e32 v78, 0xffff, v61
	v_cndmask_b32_e64 v61, v7, v61, s[0:1]
	v_cndmask_b32_e64 v7, v7, v78, s[0:1]
	s_and_b64 vcc, s[0:1], vcc
	ds_bpermute_b32 v78, v66, v7
	s_waitcnt lgkmcnt(1)
	v_cndmask_b32_e32 v60, 0, v60, vcc
	v_add_u32_e32 v6, v60, v6
	ds_bpermute_b32 v60, v66, v6
	v_and_b32_e32 v79, 1, v61
	s_waitcnt lgkmcnt(1)
	v_and_b32_e32 v78, 1, v78
	v_cmp_eq_u32_e32 vcc, 1, v79
	s_nop 1
	v_cndmask_b32_e64 v78, v78, 1, vcc
	v_cmp_eq_u16_sdwa vcc, v61, v59 src0_sel:BYTE_0 src1_sel:DWORD
	v_and_b32_e32 v79, 0xffff, v78
	s_waitcnt lgkmcnt(0)
	v_cndmask_b32_e32 v60, 0, v60, vcc
	v_cmp_gt_u32_e32 vcc, v67, v9
	s_nop 1
	v_cndmask_b32_e32 v7, v79, v7, vcc
	v_cndmask_b32_e32 v61, v78, v61, vcc
	ds_bpermute_b32 v78, v68, v7
	v_cndmask_b32_e64 v60, v60, 0, vcc
	v_add_u32_e32 v6, v60, v6
	ds_bpermute_b32 v60, v68, v6
	v_and_b32_e32 v79, 1, v61
	s_waitcnt lgkmcnt(1)
	v_and_b32_e32 v78, 1, v78
	v_cmp_eq_u32_e32 vcc, 1, v79
	s_nop 1
	v_cndmask_b32_e64 v78, v78, 1, vcc
	v_cmp_eq_u16_sdwa vcc, v61, v59 src0_sel:BYTE_0 src1_sel:DWORD
	v_and_b32_e32 v79, 0xffff, v78
	s_waitcnt lgkmcnt(0)
	v_cndmask_b32_e32 v60, 0, v60, vcc
	v_cmp_gt_u32_e32 vcc, v69, v9
	s_nop 1
	v_cndmask_b32_e32 v7, v79, v7, vcc
	v_cndmask_b32_e32 v61, v78, v61, vcc
	ds_bpermute_b32 v78, v70, v7
	v_cndmask_b32_e64 v60, v60, 0, vcc
	v_add_u32_e32 v6, v60, v6
	ds_bpermute_b32 v60, v70, v6
	v_and_b32_e32 v79, 1, v61
	s_waitcnt lgkmcnt(1)
	v_and_b32_e32 v78, 1, v78
	v_cmp_eq_u32_e32 vcc, 1, v79
	s_nop 1
	v_cndmask_b32_e64 v78, v78, 1, vcc
	v_cmp_eq_u16_sdwa vcc, v61, v59 src0_sel:BYTE_0 src1_sel:DWORD
	v_and_b32_e32 v79, 0xffff, v78
	s_waitcnt lgkmcnt(0)
	v_cndmask_b32_e32 v60, 0, v60, vcc
	v_cmp_gt_u32_e32 vcc, v71, v9
	s_nop 1
	v_cndmask_b32_e32 v7, v79, v7, vcc
	v_cndmask_b32_e32 v61, v78, v61, vcc
	ds_bpermute_b32 v78, v72, v7
	v_cndmask_b32_e64 v60, v60, 0, vcc
	v_add_u32_e32 v6, v60, v6
	ds_bpermute_b32 v60, v72, v6
	v_and_b32_e32 v79, 1, v61
	s_waitcnt lgkmcnt(1)
	v_and_b32_e32 v78, 1, v78
	v_cmp_eq_u32_e32 vcc, 1, v79
	s_nop 1
	v_cndmask_b32_e64 v78, v78, 1, vcc
	v_cmp_eq_u16_sdwa vcc, v61, v59 src0_sel:BYTE_0 src1_sel:DWORD
	v_and_b32_e32 v79, 0xffff, v78
	s_waitcnt lgkmcnt(0)
	v_cndmask_b32_e32 v60, 0, v60, vcc
	v_cmp_gt_u32_e32 vcc, v74, v9
	s_nop 1
	v_cndmask_b32_e64 v60, v60, 0, vcc
	v_cndmask_b32_e32 v7, v79, v7, vcc
	ds_bpermute_b32 v7, v76, v7
	v_add_u32_e32 v6, v60, v6
	ds_bpermute_b32 v60, v76, v6
	v_cndmask_b32_e32 v61, v78, v61, vcc
	v_and_b32_e32 v78, 1, v61
	v_cmp_eq_u32_e32 vcc, 1, v78
	s_waitcnt lgkmcnt(1)
	s_nop 0
	v_cndmask_b32_e64 v7, v7, 1, vcc
	v_cmp_eq_u16_sdwa vcc, v61, v59 src0_sel:BYTE_0 src1_sel:DWORD
	s_waitcnt lgkmcnt(0)
	s_nop 0
	v_cndmask_b32_e32 v60, 0, v60, vcc
	v_cmp_gt_u32_e32 vcc, v77, v9
	s_nop 1
	v_cndmask_b32_e64 v9, v60, 0, vcc
	v_cndmask_b32_e32 v7, v7, v61, vcc
	v_add_u32_e32 v6, v9, v6
	v_cmp_eq_u16_sdwa vcc, v73, v59 src0_sel:BYTE_0 src1_sel:DWORD
	v_and_b32_e32 v9, 1, v73
	v_and_b32_e32 v7, 1, v7
	v_cndmask_b32_e32 v6, 0, v6, vcc
	v_cmp_eq_u32_e32 vcc, 1, v9
	v_add_u32_e32 v6, v6, v75
	s_nop 0
	v_cndmask_b32_e64 v7, v7, 1, vcc
.LBB1858_161:                           ; =>This Loop Header: Depth=1
                                        ;     Child Loop BB1858_164 Depth 2
	v_cmp_ne_u16_sdwa s[0:1], v8, v3 src0_sel:BYTE_0 src1_sel:DWORD
	v_mov_b32_e32 v73, v7
	v_mov_b32_e32 v75, v6
	v_cndmask_b32_e64 v7, 0, 1, s[0:1]
	;;#ASMSTART
	;;#ASMEND
	s_nop 0
	v_cmp_ne_u32_e32 vcc, 0, v7
	s_cmp_lg_u64 vcc, exec
	s_cbranch_scc1 .LBB1858_166
; %bb.162:                              ;   in Loop: Header=BB1858_161 Depth=1
	v_lshl_add_u64 v[60:61], v[58:59], 4, s[72:73]
	;;#ASMSTART
	global_load_dwordx4 v[6:9], v[60:61] off sc1	
s_waitcnt vmcnt(0)
	;;#ASMEND
	s_nop 0
	v_and_b32_e32 v9, 0xff0000, v6
	v_and_b32_e32 v78, 0xff000000, v6
	;; [unrolled: 1-line block ×3, first 2 shown]
	v_or_b32_sdwa v6, v6, v9 dst_sel:DWORD dst_unused:UNUSED_PAD src0_sel:WORD_0 src1_sel:DWORD
	v_or3_b32 v7, 0, 0, v7
	v_or3_b32 v6, v6, v78, 0
	v_cmp_eq_u16_sdwa s[68:69], v8, v59 src0_sel:BYTE_0 src1_sel:DWORD
	s_and_saveexec_b64 s[0:1], s[68:69]
	s_cbranch_execz .LBB1858_160
; %bb.163:                              ;   in Loop: Header=BB1858_161 Depth=1
	s_mov_b64 s[68:69], 0
.LBB1858_164:                           ;   Parent Loop BB1858_161 Depth=1
                                        ; =>  This Inner Loop Header: Depth=2
	;;#ASMSTART
	global_load_dwordx4 v[6:9], v[60:61] off sc1	
s_waitcnt vmcnt(0)
	;;#ASMEND
	s_nop 0
	v_cmp_ne_u16_sdwa s[78:79], v8, v59 src0_sel:BYTE_0 src1_sel:DWORD
	s_or_b64 s[68:69], s[78:79], s[68:69]
	s_andn2_b64 exec, exec, s[68:69]
	s_cbranch_execnz .LBB1858_164
; %bb.165:                              ;   in Loop: Header=BB1858_161 Depth=1
	s_or_b64 exec, exec, s[68:69]
	v_and_b32_e32 v7, 0xff, v7
	s_branch .LBB1858_160
.LBB1858_166:                           ;   in Loop: Header=BB1858_161 Depth=1
                                        ; implicit-def: $vgpr7
                                        ; implicit-def: $vgpr6
                                        ; implicit-def: $vgpr8
	s_cbranch_execz .LBB1858_161
; %bb.167:
	s_and_saveexec_b64 s[0:1], s[52:53]
	s_cbranch_execz .LBB1858_169
; %bb.168:
	s_and_b32 s52, s70, 0xff
	s_cmp_eq_u32 s52, 0
	s_cselect_b64 vcc, -1, 0
	s_bitcmp1_b32 s70, 0
	s_mov_b32 s53, 0
	s_cselect_b64 s[64:65], -1, 0
	s_add_i32 s52, s75, 64
	s_lshl_b64 s[52:53], s[52:53], 4
	v_cndmask_b32_e32 v3, 0, v75, vcc
	s_add_u32 s52, s72, s52
	v_add_u32_e32 v2, v3, v2
	v_and_b32_e32 v3, 1, v73
	s_addc_u32 s53, s73, s53
	v_mov_b32_e32 v5, 0
	v_cndmask_b32_e64 v3, v3, 1, s[64:65]
	v_mov_b32_e32 v4, 2
	v_mov_b64_e32 v[6:7], s[52:53]
	;;#ASMSTART
	global_store_dwordx4 v[6:7], v[2:5] off sc1	
s_waitcnt vmcnt(0)
	;;#ASMEND
.LBB1858_169:
	s_or_b64 exec, exec, s[0:1]
	s_and_b64 exec, exec, s[54:55]
	s_cbranch_execz .LBB1858_171
; %bb.170:
	v_mov_b32_e32 v2, 0
	ds_write_b32 v2, v75
	ds_write_b8 v2, v73 offset:4
.LBB1858_171:
	s_or_b64 exec, exec, s[60:61]
	s_mov_b32 s0, 0
	v_mov_b32_e32 v2, 0
	s_mov_b32 s1, 1
	s_waitcnt lgkmcnt(0)
	s_barrier
	ds_read_b32 v3, v2
	v_cmp_gt_u64_e32 vcc, s[0:1], v[10:11]
	v_and_b32_e32 v5, 1, v11
	v_and_b32_e32 v6, 1, v63
	v_cndmask_b32_e32 v4, 0, v62, vcc
	v_cmp_eq_u32_e32 vcc, 1, v5
	v_cndmask_b32_e64 v4, v4, 0, s[54:55]
	s_nop 0
	v_cndmask_b32_e64 v5, v6, 1, vcc
	v_cndmask_b32_e64 v5, v5, v11, s[54:55]
	v_cmp_eq_u16_sdwa vcc, v5, v2 src0_sel:BYTE_0 src1_sel:DWORD
	s_waitcnt lgkmcnt(0)
	s_nop 0
	v_cndmask_b32_e32 v2, 0, v3, vcc
	v_add3_u32 v80, v4, v10, v2
	v_cndmask_b32_e64 v2, 0, v80, s[6:7]
	v_add_u32_e32 v58, v2, v12
	v_cndmask_b32_e64 v2, 0, v58, s[8:9]
	v_add_u32_e32 v59, v2, v14
	;; [unrolled: 2-line block ×22, first 2 shown]
	s_branch .LBB1858_192
.LBB1858_172:
                                        ; implicit-def: $vgpr78
                                        ; implicit-def: $vgpr77
                                        ; implicit-def: $vgpr76
                                        ; implicit-def: $vgpr75
                                        ; implicit-def: $vgpr74
                                        ; implicit-def: $vgpr73
                                        ; implicit-def: $vgpr72
                                        ; implicit-def: $vgpr71
                                        ; implicit-def: $vgpr70
                                        ; implicit-def: $vgpr69
                                        ; implicit-def: $vgpr68
                                        ; implicit-def: $vgpr67
                                        ; implicit-def: $vgpr66
                                        ; implicit-def: $vgpr65
                                        ; implicit-def: $vgpr64
                                        ; implicit-def: $vgpr63
                                        ; implicit-def: $vgpr62
                                        ; implicit-def: $vgpr61
                                        ; implicit-def: $vgpr60
                                        ; implicit-def: $vgpr59
                                        ; implicit-def: $vgpr58
                                        ; implicit-def: $vgpr80
                                        ; implicit-def: $vgpr79
	s_cbranch_execz .LBB1858_192
; %bb.173:
	s_cmp_lg_u64 s[76:77], 0
	s_cselect_b32 s9, s67, 0
	s_cselect_b32 s8, s66, 0
	s_cmp_lg_u64 s[8:9], 0
	s_cselect_b64 s[6:7], -1, 0
	s_mov_b32 s0, 0
	s_and_b64 s[10:11], s[54:55], s[6:7]
	s_and_saveexec_b64 s[6:7], s[10:11]
	s_cbranch_execz .LBB1858_175
; %bb.174:
	v_mov_b32_e32 v2, 0
	global_load_dword v4, v2, s[8:9]
	global_load_ubyte v5, v2, s[8:9] offset:4
	s_mov_b32 s1, 1
	v_and_b32_e32 v3, 1, v11
	v_cmp_gt_u64_e32 vcc, s[0:1], v[10:11]
	s_waitcnt vmcnt(0)
	v_and_b32_e32 v5, 1, v5
	v_cndmask_b32_e32 v4, 0, v4, vcc
	v_cmp_eq_u64_e32 vcc, 0, v[2:3]
	v_add_u32_e32 v10, v4, v10
	s_nop 0
	v_cndmask_b32_e32 v11, 1, v5, vcc
.LBB1858_175:
	s_or_b64 exec, exec, s[6:7]
	s_mov_b32 s1, 1
	v_cmp_gt_u64_e32 vcc, s[0:1], v[12:13]
	v_cmp_gt_u64_e64 s[6:7], s[0:1], v[14:15]
	v_cmp_gt_u64_e64 s[8:9], s[0:1], v[16:17]
	v_cndmask_b32_e32 v2, 0, v10, vcc
	v_add_u32_e32 v58, v2, v12
	v_cndmask_b32_e64 v2, 0, v58, s[6:7]
	v_add_u32_e32 v59, v2, v14
	v_cndmask_b32_e64 v2, 0, v59, s[8:9]
	v_add_u32_e32 v60, v2, v16
	v_cmp_gt_u64_e64 s[10:11], s[0:1], v[18:19]
	v_cmp_gt_u64_e64 s[12:13], s[0:1], v[20:21]
	v_cmp_gt_u64_e64 s[14:15], s[0:1], v[22:23]
	v_cndmask_b32_e64 v2, 0, v60, s[10:11]
	v_add_u32_e32 v61, v2, v18
	v_cndmask_b32_e64 v2, 0, v61, s[12:13]
	v_add_u32_e32 v62, v2, v20
	v_cndmask_b32_e64 v2, 0, v62, s[14:15]
	v_add_u32_e32 v63, v2, v22
	v_cmp_gt_u64_e64 s[16:17], s[0:1], v[24:25]
	v_cmp_gt_u64_e64 s[18:19], s[0:1], v[26:27]
	v_cmp_gt_u64_e64 s[20:21], s[0:1], v[28:29]
	v_cndmask_b32_e64 v2, 0, v63, s[16:17]
	;; [unrolled: 9-line block ×6, first 2 shown]
	v_add_u32_e32 v76, v2, v48
	v_cndmask_b32_e64 v2, 0, v76, s[44:45]
	v_add_u32_e32 v77, v2, v50
	v_cndmask_b32_e64 v2, 0, v77, s[46:47]
	v_add_u32_e32 v78, v2, v52
	v_cmp_gt_u64_e64 s[48:49], s[0:1], v[56:57]
	v_add_lshl_u32 v1, v1, v0, 3
	s_nop 0
	v_cndmask_b32_e64 v2, 0, v78, s[48:49]
	v_add_u32_e32 v79, v2, v56
	v_or3_b32 v2, v55, v51, v49
	v_or3_b32 v2, v2, v47, v45
	v_or3_b32 v2, v2, v43, v41
	v_or3_b32 v2, v2, v39, v37
	v_or3_b32 v2, v2, v35, v33
	v_or3_b32 v2, v2, v31, v29
	v_or3_b32 v2, v2, v27, v25
	v_or3_b32 v2, v2, v23, v21
	v_or3_b32 v2, v2, v19, v17
	v_or3_b32 v2, v2, v15, v13
	v_and_b32_e32 v2, 1, v2
	v_cmp_eq_u32_e64 s[0:1], 1, v2
	s_nop 1
	v_cndmask_b32_e64 v4, v11, 1, s[0:1]
	v_cmp_gt_u32_e64 s[0:1], 64, v0
	ds_write_b32 v1, v79
	ds_write_b8 v1, v4 offset:4
	s_waitcnt lgkmcnt(0)
	s_barrier
	s_and_saveexec_b64 s[50:51], s[0:1]
	s_cbranch_execz .LBB1858_187
; %bb.176:
	v_lshrrev_b32_e32 v1, 3, v0
	v_add_lshl_u32 v1, v1, v54, 3
	ds_read2_b32 v[6:7], v1 offset0:2 offset1:4
	ds_read_b64 v[2:3], v1
	ds_read_u8 v8, v1 offset:12
	ds_read_u8 v9, v1 offset:20
	ds_read_b32 v13, v1 offset:24
	ds_read_u8 v15, v1 offset:28
	v_mov_b32_e32 v17, 0
	s_waitcnt lgkmcnt(3)
	v_cmp_eq_u16_sdwa s[0:1], v8, v17 src0_sel:BYTE_0 src1_sel:DWORD
	v_and_b32_e32 v5, 1, v3
	s_nop 0
	v_cndmask_b32_e64 v19, 0, v2, s[0:1]
	v_add_u32_e32 v6, v19, v6
	s_waitcnt lgkmcnt(2)
	v_cmp_eq_u16_sdwa s[0:1], v9, v17 src0_sel:BYTE_0 src1_sel:DWORD
	s_nop 1
	v_cndmask_b32_e64 v6, 0, v6, s[0:1]
	v_add_u32_e32 v6, v6, v7
	s_waitcnt lgkmcnt(0)
	v_cmp_eq_u16_e64 s[0:1], 0, v15
	s_nop 1
	v_cndmask_b32_e64 v6, 0, v6, s[0:1]
	v_add_u32_e32 v7, v6, v13
	v_or_b32_e32 v6, v15, v9
	v_or_b32_e32 v6, v6, v8
	v_and_b32_e32 v6, 1, v6
	v_cmp_eq_u32_e64 s[0:1], 1, v6
	v_mbcnt_lo_u32_b32 v8, -1, 0
	v_and_b32_e32 v6, 0xffffff00, v3
	v_cndmask_b32_e64 v9, v5, 1, s[0:1]
	v_mbcnt_hi_u32_b32 v8, -1, v8
	v_and_b32_e32 v15, 15, v8
	v_or_b32_sdwa v13, v6, v9 dst_sel:DWORD dst_unused:UNUSED_PAD src0_sel:DWORD src1_sel:WORD_0
	v_mov_b32_dpp v17, v7 row_shr:1 row_mask:0xf bank_mask:0xf
	v_cmp_ne_u32_e64 s[0:1], 0, v15
	v_mov_b32_dpp v19, v13 row_shr:1 row_mask:0xf bank_mask:0xf
	s_and_saveexec_b64 s[52:53], s[0:1]
; %bb.177:
	v_and_b32_e32 v13, 1, v9
	v_and_b32_e32 v19, 1, v19
	v_cmp_eq_u32_e64 s[0:1], 1, v13
	s_nop 1
	v_cndmask_b32_e64 v19, v19, 1, s[0:1]
	v_cmp_eq_u16_e64 s[0:1], 0, v9
	v_or_b32_sdwa v13, v6, v19 dst_sel:DWORD dst_unused:UNUSED_PAD src0_sel:DWORD src1_sel:WORD_0
	s_nop 0
	v_cndmask_b32_e64 v9, 0, v17, s[0:1]
	v_add_u32_e32 v7, v9, v7
	v_mov_b32_e32 v9, v19
; %bb.178:
	s_or_b64 exec, exec, s[52:53]
	v_mov_b32_dpp v17, v7 row_shr:2 row_mask:0xf bank_mask:0xf
	v_mov_b32_dpp v19, v13 row_shr:2 row_mask:0xf bank_mask:0xf
	v_cmp_lt_u32_e64 s[0:1], 1, v15
	s_and_saveexec_b64 s[52:53], s[0:1]
; %bb.179:
	v_and_b32_e32 v13, 1, v9
	v_and_b32_e32 v19, 1, v19
	v_cmp_eq_u32_e64 s[0:1], 1, v13
	s_nop 1
	v_cndmask_b32_e64 v19, v19, 1, s[0:1]
	v_cmp_eq_u16_e64 s[0:1], 0, v9
	v_or_b32_sdwa v13, v6, v19 dst_sel:DWORD dst_unused:UNUSED_PAD src0_sel:DWORD src1_sel:WORD_0
	s_nop 0
	v_cndmask_b32_e64 v9, 0, v17, s[0:1]
	v_add_u32_e32 v7, v9, v7
	v_mov_b32_e32 v9, v19
; %bb.180:
	s_or_b64 exec, exec, s[52:53]
	v_mov_b32_dpp v17, v7 row_shr:4 row_mask:0xf bank_mask:0xf
	v_mov_b32_dpp v19, v13 row_shr:4 row_mask:0xf bank_mask:0xf
	v_cmp_lt_u32_e64 s[0:1], 3, v15
	;; [unrolled: 18-line block ×3, first 2 shown]
	s_and_saveexec_b64 s[52:53], s[0:1]
; %bb.183:
	v_and_b32_e32 v13, 1, v9
	v_and_b32_e32 v15, 1, v19
	v_cmp_eq_u32_e64 s[0:1], 1, v13
	s_nop 1
	v_cndmask_b32_e64 v15, v15, 1, s[0:1]
	v_cmp_eq_u16_e64 s[0:1], 0, v9
	v_or_b32_sdwa v13, v6, v15 dst_sel:DWORD dst_unused:UNUSED_PAD src0_sel:DWORD src1_sel:WORD_0
	s_nop 0
	v_cndmask_b32_e64 v9, 0, v17, s[0:1]
	v_add_u32_e32 v7, v9, v7
	v_mov_b32_e32 v9, v15
; %bb.184:
	s_or_b64 exec, exec, s[52:53]
	v_and_b32_e32 v19, 16, v8
	v_mov_b32_dpp v15, v7 row_bcast:15 row_mask:0xf bank_mask:0xf
	v_mov_b32_dpp v17, v13 row_bcast:15 row_mask:0xf bank_mask:0xf
	v_cmp_ne_u32_e64 s[0:1], 0, v19
	s_and_saveexec_b64 s[52:53], s[0:1]
; %bb.185:
	v_and_b32_e32 v13, 1, v9
	v_and_b32_e32 v17, 1, v17
	v_cmp_eq_u32_e64 s[0:1], 1, v13
	s_nop 1
	v_cndmask_b32_e64 v17, v17, 1, s[0:1]
	v_cmp_eq_u16_e64 s[0:1], 0, v9
	v_or_b32_sdwa v13, v6, v17 dst_sel:DWORD dst_unused:UNUSED_PAD src0_sel:DWORD src1_sel:WORD_0
	s_nop 0
	v_cndmask_b32_e64 v9, 0, v15, s[0:1]
	v_add_u32_e32 v7, v9, v7
	v_mov_b32_e32 v9, v17
; %bb.186:
	s_or_b64 exec, exec, s[52:53]
	v_mov_b32_dpp v13, v13 row_bcast:31 row_mask:0xf bank_mask:0xf
	v_and_b32_e32 v17, 1, v9
	v_and_b32_e32 v13, 1, v13
	v_cmp_eq_u32_e64 s[0:1], 1, v17
	v_mov_b32_e32 v17, 0
	v_cmp_eq_u16_sdwa s[52:53], v9, v17 src0_sel:BYTE_0 src1_sel:DWORD
	v_cndmask_b32_e64 v13, v13, 1, s[0:1]
	v_cmp_lt_u32_e64 s[0:1], 31, v8
	v_mov_b32_dpp v15, v7 row_bcast:31 row_mask:0xf bank_mask:0xf
	s_movk_i32 s60, 0xff
	v_cndmask_b32_e64 v9, v9, v13, s[0:1]
	s_and_b64 s[0:1], s[0:1], s[52:53]
	v_cndmask_b32_e64 v13, 0, v15, s[0:1]
	v_add_u32_e32 v7, v13, v7
	v_add_u32_e32 v13, -1, v8
	v_and_b32_e32 v15, 64, v8
	v_cmp_lt_i32_e64 s[0:1], v13, v15
	v_and_or_b32 v6, v9, s60, v6
	s_nop 0
	v_cndmask_b32_e64 v8, v13, v8, s[0:1]
	v_lshlrev_b32_e32 v8, 2, v8
	ds_bpermute_b32 v7, v8, v7
	ds_bpermute_b32 v6, v8, v6
	v_cmp_eq_u16_sdwa s[0:1], v3, v17 src0_sel:BYTE_0 src1_sel:DWORD
	; wave barrier
	s_waitcnt lgkmcnt(1)
	s_nop 0
	v_cndmask_b32_e64 v3, 0, v7, s[0:1]
	v_add_u32_e32 v2, v3, v2
	s_waitcnt lgkmcnt(0)
	v_and_b32_e32 v3, 1, v6
	v_cmp_eq_u32_e64 s[0:1], 1, v5
	v_cndmask_b32_e64 v5, v2, v79, s[54:55]
	s_nop 0
	v_cndmask_b32_e64 v3, v3, 1, s[0:1]
	v_cndmask_b32_e64 v4, v3, v4, s[54:55]
	ds_write_b32 v1, v5
	ds_write_b8 v1, v4 offset:4
	; wave barrier
	ds_read_u8 v6, v1 offset:12
	ds_read2_b32 v[2:3], v1 offset0:2 offset1:4
	ds_read_u8 v7, v1 offset:20
	ds_read_b32 v8, v1 offset:24
	ds_read_u8 v9, v1 offset:28
	s_waitcnt lgkmcnt(4)
	v_cmp_eq_u16_e64 s[0:1], 0, v6
	s_nop 1
	v_cndmask_b32_e64 v5, 0, v5, s[0:1]
	s_waitcnt lgkmcnt(3)
	v_add_u32_e32 v2, v5, v2
	v_and_b32_e32 v5, 1, v6
	v_cmp_eq_u32_e64 s[0:1], 1, v5
	s_nop 1
	v_cndmask_b32_e64 v4, v4, 1, s[0:1]
	s_waitcnt lgkmcnt(2)
	v_cmp_eq_u16_e64 s[0:1], 0, v7
	ds_write_b8 v1, v4 offset:12
	s_nop 0
	v_cndmask_b32_e64 v5, 0, v2, s[0:1]
	v_add_u32_e32 v3, v5, v3
	v_and_b32_e32 v5, 1, v7
	v_cmp_eq_u32_e64 s[0:1], 1, v5
	s_nop 1
	v_cndmask_b32_e64 v4, v4, 1, s[0:1]
	s_waitcnt lgkmcnt(1)
	v_cmp_eq_u16_e64 s[0:1], 0, v9
	ds_write2_b32 v1, v2, v3 offset0:2 offset1:4
	ds_write_b8 v1, v4 offset:20
	v_cndmask_b32_e64 v2, 0, v3, s[0:1]
	v_and_b32_e32 v3, 1, v9
	v_add_u32_e32 v2, v2, v8
	v_cmp_eq_u32_e64 s[0:1], 1, v3
	s_nop 1
	v_cndmask_b32_e64 v3, v4, 1, s[0:1]
	ds_write_b32 v1, v2 offset:24
	ds_write_b8 v1, v3 offset:28
.LBB1858_187:
	s_or_b64 exec, exec, s[50:51]
	v_mov_b32_e32 v1, v79
	s_waitcnt lgkmcnt(0)
	s_barrier
	s_and_saveexec_b64 s[0:1], s[4:5]
	s_cbranch_execnz .LBB1858_265
; %bb.188:
	s_or_b64 exec, exec, s[0:1]
	s_and_saveexec_b64 s[50:51], s[4:5]
	s_cbranch_execnz .LBB1858_266
.LBB1858_189:
	s_or_b64 exec, exec, s[50:51]
	s_and_saveexec_b64 s[0:1], s[54:55]
	s_cbranch_execz .LBB1858_191
.LBB1858_190:
	v_mov_b32_e32 v5, 0
	ds_read_b32 v2, v5 offset:2096
	ds_read_u8 v3, v5 offset:2100
	s_add_u32 s4, s72, 0x400
	s_addc_u32 s5, s73, 0
	v_mov_b32_e32 v4, 2
	v_mov_b64_e32 v[6:7], s[4:5]
	s_waitcnt lgkmcnt(0)
	;;#ASMSTART
	global_store_dwordx4 v[6:7], v[2:5] off sc1	
s_waitcnt vmcnt(0)
	;;#ASMEND
.LBB1858_191:
	s_or_b64 exec, exec, s[0:1]
	v_mov_b32_e32 v80, v10
.LBB1858_192:
	s_add_u32 s0, s62, s58
	s_addc_u32 s1, s63, s59
	s_add_u32 s0, s0, s56
	s_addc_u32 s1, s1, s57
	s_and_b64 vcc, exec, s[2:3]
	s_cbranch_vccz .LBB1858_238
; %bb.193:
	s_movk_i32 s2, 0x5c
	v_mul_i32_i24_e32 v26, 0xffffffa8, v0
	s_waitcnt lgkmcnt(0)
	v_mul_u32_u24_e32 v1, 0x5c, v0
	v_mad_u32_u24 v2, v0, s2, v26
	s_barrier
	ds_write2_b32 v1, v80, v58 offset1:1
	ds_write2_b32 v1, v59, v60 offset0:2 offset1:3
	ds_write2_b32 v1, v61, v62 offset0:4 offset1:5
	;; [unrolled: 1-line block ×10, first 2 shown]
	ds_write_b32 v1, v79 offset:88
	s_waitcnt lgkmcnt(0)
	s_barrier
	ds_read2st64_b32 v[24:25], v2 offset0:4 offset1:8
	ds_read2st64_b32 v[22:23], v2 offset0:12 offset1:16
	;; [unrolled: 1-line block ×11, first 2 shown]
	s_add_i32 s33, s33, s74
	v_mov_b32_e32 v55, 0
	v_lshl_add_u64 v[4:5], s[0:1], 0, v[54:55]
	v_cmp_gt_u32_e32 vcc, s33, v0
	s_and_saveexec_b64 s[2:3], vcc
	s_cbranch_execz .LBB1858_195
; %bb.194:
	v_add_u32_e32 v1, v1, v26
	ds_read_b32 v1, v1
	s_waitcnt lgkmcnt(0)
	flat_store_dword v[4:5], v1
.LBB1858_195:
	s_or_b64 exec, exec, s[2:3]
	v_or_b32_e32 v1, 0x100, v0
	v_cmp_gt_u32_e32 vcc, s33, v1
	s_and_saveexec_b64 s[2:3], vcc
	s_cbranch_execz .LBB1858_197
; %bb.196:
	s_waitcnt lgkmcnt(0)
	flat_store_dword v[4:5], v24 offset:1024
.LBB1858_197:
	s_or_b64 exec, exec, s[2:3]
	v_or_b32_e32 v1, 0x200, v0
	v_cmp_gt_u32_e32 vcc, s33, v1
	s_and_saveexec_b64 s[2:3], vcc
	s_cbranch_execz .LBB1858_199
; %bb.198:
	s_waitcnt lgkmcnt(0)
	flat_store_dword v[4:5], v25 offset:2048
.LBB1858_199:
	;; [unrolled: 9-line block ×3, first 2 shown]
	s_or_b64 exec, exec, s[2:3]
	v_or_b32_e32 v1, 0x400, v0
	v_cmp_gt_u32_e32 vcc, s33, v1
	s_and_saveexec_b64 s[2:3], vcc
	s_cbranch_execz .LBB1858_203
; %bb.202:
	s_waitcnt lgkmcnt(0)
	v_add_co_u32_e32 v24, vcc, 0x1000, v4
	s_nop 1
	v_addc_co_u32_e32 v25, vcc, 0, v5, vcc
	flat_store_dword v[24:25], v23
.LBB1858_203:
	s_or_b64 exec, exec, s[2:3]
	v_or_b32_e32 v1, 0x500, v0
	v_cmp_gt_u32_e32 vcc, s33, v1
	s_and_saveexec_b64 s[2:3], vcc
	s_cbranch_execz .LBB1858_205
; %bb.204:
	s_waitcnt lgkmcnt(0)
	v_add_co_u32_e32 v22, vcc, 0x1000, v4
	s_nop 1
	v_addc_co_u32_e32 v23, vcc, 0, v5, vcc
	flat_store_dword v[22:23], v20 offset:1024
.LBB1858_205:
	s_or_b64 exec, exec, s[2:3]
	v_or_b32_e32 v1, 0x600, v0
	v_cmp_gt_u32_e32 vcc, s33, v1
	s_and_saveexec_b64 s[2:3], vcc
	s_cbranch_execz .LBB1858_207
; %bb.206:
	s_waitcnt lgkmcnt(0)
	v_add_co_u32_e32 v22, vcc, 0x1000, v4
	s_nop 1
	v_addc_co_u32_e32 v23, vcc, 0, v5, vcc
	flat_store_dword v[22:23], v21 offset:2048
.LBB1858_207:
	s_or_b64 exec, exec, s[2:3]
	v_or_b32_e32 v1, 0x700, v0
	v_cmp_gt_u32_e32 vcc, s33, v1
	s_and_saveexec_b64 s[2:3], vcc
	s_cbranch_execz .LBB1858_209
; %bb.208:
	s_waitcnt lgkmcnt(0)
	v_add_co_u32_e32 v20, vcc, 0x1000, v4
	s_nop 1
	v_addc_co_u32_e32 v21, vcc, 0, v5, vcc
	flat_store_dword v[20:21], v18 offset:3072
.LBB1858_209:
	s_or_b64 exec, exec, s[2:3]
	v_or_b32_e32 v1, 0x800, v0
	v_cmp_gt_u32_e32 vcc, s33, v1
	s_and_saveexec_b64 s[2:3], vcc
	s_cbranch_execz .LBB1858_211
; %bb.210:
	s_waitcnt lgkmcnt(0)
	v_add_co_u32_e32 v20, vcc, 0x2000, v4
	s_nop 1
	v_addc_co_u32_e32 v21, vcc, 0, v5, vcc
	flat_store_dword v[20:21], v19
.LBB1858_211:
	s_or_b64 exec, exec, s[2:3]
	v_or_b32_e32 v1, 0x900, v0
	v_cmp_gt_u32_e32 vcc, s33, v1
	s_and_saveexec_b64 s[2:3], vcc
	s_cbranch_execz .LBB1858_213
; %bb.212:
	s_waitcnt lgkmcnt(0)
	v_add_co_u32_e32 v18, vcc, 0x2000, v4
	s_nop 1
	v_addc_co_u32_e32 v19, vcc, 0, v5, vcc
	flat_store_dword v[18:19], v16 offset:1024
.LBB1858_213:
	s_or_b64 exec, exec, s[2:3]
	v_or_b32_e32 v1, 0xa00, v0
	v_cmp_gt_u32_e32 vcc, s33, v1
	s_and_saveexec_b64 s[2:3], vcc
	s_cbranch_execz .LBB1858_215
; %bb.214:
	s_waitcnt lgkmcnt(0)
	v_add_co_u32_e32 v18, vcc, 0x2000, v4
	s_nop 1
	v_addc_co_u32_e32 v19, vcc, 0, v5, vcc
	flat_store_dword v[18:19], v17 offset:2048
.LBB1858_215:
	s_or_b64 exec, exec, s[2:3]
	v_or_b32_e32 v1, 0xb00, v0
	v_cmp_gt_u32_e32 vcc, s33, v1
	s_and_saveexec_b64 s[2:3], vcc
	s_cbranch_execz .LBB1858_217
; %bb.216:
	s_waitcnt lgkmcnt(0)
	v_add_co_u32_e32 v16, vcc, 0x2000, v4
	s_nop 1
	v_addc_co_u32_e32 v17, vcc, 0, v5, vcc
	flat_store_dword v[16:17], v14 offset:3072
.LBB1858_217:
	;; [unrolled: 48-line block ×4, first 2 shown]
	s_or_b64 exec, exec, s[2:3]
	v_or_b32_e32 v1, 0x1400, v0
	v_cmp_gt_u32_e32 vcc, s33, v1
	s_and_saveexec_b64 s[2:3], vcc
	s_cbranch_execz .LBB1858_235
; %bb.234:
	s_waitcnt lgkmcnt(0)
	v_add_co_u32_e32 v8, vcc, 0x5000, v4
	s_nop 1
	v_addc_co_u32_e32 v9, vcc, 0, v5, vcc
	flat_store_dword v[8:9], v7
.LBB1858_235:
	s_or_b64 exec, exec, s[2:3]
	v_or_b32_e32 v1, 0x1500, v0
	v_cmp_gt_u32_e32 vcc, s33, v1
	s_and_saveexec_b64 s[2:3], vcc
	s_cbranch_execz .LBB1858_237
; %bb.236:
	v_add_co_u32_e32 v4, vcc, 0x5000, v4
	s_nop 1
	v_addc_co_u32_e32 v5, vcc, 0, v5, vcc
	s_waitcnt lgkmcnt(0)
	flat_store_dword v[4:5], v2 offset:1024
.LBB1858_237:
	s_or_b64 exec, exec, s[2:3]
	s_waitcnt lgkmcnt(0)
	v_or_b32_e32 v2, 0x1600, v0
	v_mov_b32_e32 v1, v55
	v_cmp_gt_u32_e64 s[2:3], s33, v2
	s_branch .LBB1858_240
.LBB1858_238:
	s_mov_b64 s[2:3], 0
                                        ; implicit-def: $vgpr3
	s_cbranch_execz .LBB1858_240
; %bb.239:
	s_waitcnt lgkmcnt(0)
	v_mul_u32_u24_e32 v1, 0x5c, v0
	s_barrier
	s_movk_i32 s4, 0x5c
	ds_write2_b32 v1, v80, v58 offset1:1
	ds_write2_b32 v1, v59, v60 offset0:2 offset1:3
	ds_write2_b32 v1, v61, v62 offset0:4 offset1:5
	;; [unrolled: 1-line block ×10, first 2 shown]
	ds_write_b32 v1, v79 offset:88
	v_mov_b32_e32 v1, 0
	v_mul_i32_i24_e32 v2, 0xffffffa8, v0
	v_mad_u32_u24 v2, v0, s4, v2
	v_mov_b32_e32 v55, v1
	s_waitcnt lgkmcnt(0)
	s_barrier
	ds_read2st64_b32 v[4:5], v2 offset1:4
	ds_read2st64_b32 v[6:7], v2 offset0:8 offset1:12
	ds_read2st64_b32 v[8:9], v2 offset0:16 offset1:20
	;; [unrolled: 1-line block ×10, first 2 shown]
	ds_read_b32 v3, v2 offset:22528
	v_lshl_add_u64 v[26:27], s[0:1], 0, v[54:55]
	s_movk_i32 s4, 0x1000
	s_waitcnt lgkmcnt(0)
	flat_store_dword v[26:27], v4
	flat_store_dword v[26:27], v5 offset:1024
	flat_store_dword v[26:27], v6 offset:2048
	;; [unrolled: 1-line block ×3, first 2 shown]
	v_add_co_u32_e32 v4, vcc, s4, v26
	s_movk_i32 s4, 0x2000
	s_nop 0
	v_addc_co_u32_e32 v5, vcc, 0, v27, vcc
	flat_store_dword v[4:5], v8
	flat_store_dword v[4:5], v9 offset:1024
	flat_store_dword v[4:5], v10 offset:2048
	;; [unrolled: 1-line block ×3, first 2 shown]
	v_add_co_u32_e32 v4, vcc, s4, v26
	s_movk_i32 s4, 0x3000
	s_nop 0
	v_addc_co_u32_e32 v5, vcc, 0, v27, vcc
	flat_store_dword v[4:5], v12
	flat_store_dword v[4:5], v13 offset:1024
	flat_store_dword v[4:5], v14 offset:2048
	;; [unrolled: 1-line block ×3, first 2 shown]
	v_add_co_u32_e32 v4, vcc, s4, v26
	s_or_b64 s[2:3], s[2:3], exec
	s_nop 0
	v_addc_co_u32_e32 v5, vcc, 0, v27, vcc
	flat_store_dword v[4:5], v16
	flat_store_dword v[4:5], v17 offset:1024
	flat_store_dword v[4:5], v18 offset:2048
	flat_store_dword v[4:5], v19 offset:3072
	v_add_co_u32_e32 v4, vcc, 0x4000, v26
	s_nop 1
	v_addc_co_u32_e32 v5, vcc, 0, v27, vcc
	flat_store_dword v[4:5], v20
	flat_store_dword v[4:5], v21 offset:1024
	flat_store_dword v[4:5], v22 offset:2048
	;; [unrolled: 1-line block ×3, first 2 shown]
	v_add_co_u32_e32 v4, vcc, 0x5000, v26
	s_nop 1
	v_addc_co_u32_e32 v5, vcc, 0, v27, vcc
	flat_store_dword v[4:5], v24
	flat_store_dword v[4:5], v25 offset:1024
.LBB1858_240:
	s_and_saveexec_b64 s[4:5], s[2:3]
	s_cbranch_execnz .LBB1858_242
; %bb.241:
	s_endpgm
.LBB1858_242:
	s_waitcnt lgkmcnt(0)
	v_lshl_add_u64 v[0:1], v[0:1], 2, s[0:1]
	v_add_co_u32_e32 v0, vcc, 0x5000, v0
	s_nop 1
	v_addc_co_u32_e32 v1, vcc, 0, v1, vcc
	flat_store_dword v[0:1], v3 offset:2048
	s_endpgm
.LBB1858_243:
	v_lshl_add_u64 v[48:49], s[60:61], 0, v[44:45]
	flat_load_dword v48, v[48:49]
	s_or_b64 exec, exec, s[0:1]
                                        ; implicit-def: $vgpr49
	s_and_saveexec_b64 s[0:1], s[8:9]
	s_cbranch_execz .LBB1858_59
.LBB1858_244:
	v_mov_b32_e32 v45, 0
	v_lshl_add_u64 v[50:51], s[60:61], 0, v[44:45]
	flat_load_dword v49, v[50:51] offset:1024
	s_or_b64 exec, exec, s[0:1]
                                        ; implicit-def: $vgpr50
	s_and_saveexec_b64 s[0:1], s[10:11]
	s_cbranch_execz .LBB1858_60
.LBB1858_245:
	v_mov_b32_e32 v45, 0
	v_lshl_add_u64 v[50:51], s[60:61], 0, v[44:45]
	flat_load_dword v50, v[50:51] offset:2048
	s_or_b64 exec, exec, s[0:1]
                                        ; implicit-def: $vgpr45
	s_and_saveexec_b64 s[0:1], s[12:13]
	s_cbranch_execz .LBB1858_61
.LBB1858_246:
	v_mov_b32_e32 v45, 0
	v_lshl_add_u64 v[52:53], s[60:61], 0, v[44:45]
	flat_load_dword v45, v[52:53] offset:3072
	s_or_b64 exec, exec, s[0:1]
                                        ; implicit-def: $vgpr3
	s_and_saveexec_b64 s[0:1], s[14:15]
	s_cbranch_execz .LBB1858_62
.LBB1858_247:
	v_mov_b32_e32 v3, 0
	v_lshl_add_u64 v[2:3], s[60:61], 0, v[2:3]
	flat_load_dword v3, v[2:3]
	s_or_b64 exec, exec, s[0:1]
                                        ; implicit-def: $vgpr2
	s_and_saveexec_b64 s[0:1], s[16:17]
	s_cbranch_execz .LBB1858_63
.LBB1858_248:
	v_mov_b32_e32 v11, 0
	v_lshl_add_u64 v[10:11], s[60:61], 0, v[10:11]
	flat_load_dword v2, v[10:11]
	s_or_b64 exec, exec, s[0:1]
                                        ; implicit-def: $vgpr10
	s_and_saveexec_b64 s[0:1], s[18:19]
	s_cbranch_execz .LBB1858_64
.LBB1858_249:
	v_mov_b32_e32 v13, 0
	v_lshl_add_u64 v[10:11], s[60:61], 0, v[12:13]
	flat_load_dword v10, v[10:11]
	s_or_b64 exec, exec, s[0:1]
                                        ; implicit-def: $vgpr11
	s_and_saveexec_b64 s[0:1], s[20:21]
	s_cbranch_execz .LBB1858_65
.LBB1858_250:
	v_mov_b32_e32 v15, 0
	v_lshl_add_u64 v[12:13], s[60:61], 0, v[14:15]
	flat_load_dword v11, v[12:13]
	s_or_b64 exec, exec, s[0:1]
                                        ; implicit-def: $vgpr12
	s_and_saveexec_b64 s[0:1], s[22:23]
	s_cbranch_execz .LBB1858_66
.LBB1858_251:
	v_mov_b32_e32 v17, 0
	v_lshl_add_u64 v[12:13], s[60:61], 0, v[16:17]
	flat_load_dword v12, v[12:13]
	s_or_b64 exec, exec, s[0:1]
                                        ; implicit-def: $vgpr13
	s_and_saveexec_b64 s[0:1], s[24:25]
	s_cbranch_execz .LBB1858_67
.LBB1858_252:
	v_mov_b32_e32 v19, 0
	v_lshl_add_u64 v[14:15], s[60:61], 0, v[18:19]
	flat_load_dword v13, v[14:15]
	s_or_b64 exec, exec, s[0:1]
                                        ; implicit-def: $vgpr14
	s_and_saveexec_b64 s[0:1], s[26:27]
	s_cbranch_execz .LBB1858_68
.LBB1858_253:
	v_mov_b32_e32 v21, 0
	v_lshl_add_u64 v[14:15], s[60:61], 0, v[20:21]
	flat_load_dword v14, v[14:15]
	s_or_b64 exec, exec, s[0:1]
                                        ; implicit-def: $vgpr15
	s_and_saveexec_b64 s[0:1], s[28:29]
	s_cbranch_execz .LBB1858_69
.LBB1858_254:
	v_mov_b32_e32 v23, 0
	v_lshl_add_u64 v[16:17], s[60:61], 0, v[22:23]
	flat_load_dword v15, v[16:17]
	s_or_b64 exec, exec, s[0:1]
                                        ; implicit-def: $vgpr16
	s_and_saveexec_b64 s[0:1], s[30:31]
	s_cbranch_execz .LBB1858_70
.LBB1858_255:
	v_mov_b32_e32 v25, 0
	v_lshl_add_u64 v[16:17], s[60:61], 0, v[24:25]
	flat_load_dword v16, v[16:17]
	s_or_b64 exec, exec, s[0:1]
                                        ; implicit-def: $vgpr17
	s_and_saveexec_b64 s[0:1], s[34:35]
	s_cbranch_execz .LBB1858_71
.LBB1858_256:
	v_mov_b32_e32 v27, 0
	v_lshl_add_u64 v[18:19], s[60:61], 0, v[26:27]
	flat_load_dword v17, v[18:19]
	s_or_b64 exec, exec, s[0:1]
                                        ; implicit-def: $vgpr18
	s_and_saveexec_b64 s[0:1], s[36:37]
	s_cbranch_execz .LBB1858_72
.LBB1858_257:
	v_mov_b32_e32 v29, 0
	v_lshl_add_u64 v[18:19], s[60:61], 0, v[28:29]
	flat_load_dword v18, v[18:19]
	s_or_b64 exec, exec, s[0:1]
                                        ; implicit-def: $vgpr19
	s_and_saveexec_b64 s[0:1], s[38:39]
	s_cbranch_execz .LBB1858_73
.LBB1858_258:
	v_mov_b32_e32 v31, 0
	v_lshl_add_u64 v[20:21], s[60:61], 0, v[30:31]
	flat_load_dword v19, v[20:21]
	s_or_b64 exec, exec, s[0:1]
                                        ; implicit-def: $vgpr20
	s_and_saveexec_b64 s[0:1], s[40:41]
	s_cbranch_execz .LBB1858_74
.LBB1858_259:
	v_mov_b32_e32 v33, 0
	v_lshl_add_u64 v[20:21], s[60:61], 0, v[32:33]
	flat_load_dword v20, v[20:21]
	s_or_b64 exec, exec, s[0:1]
                                        ; implicit-def: $vgpr21
	s_and_saveexec_b64 s[0:1], s[42:43]
	s_cbranch_execz .LBB1858_75
.LBB1858_260:
	v_mov_b32_e32 v35, 0
	v_lshl_add_u64 v[22:23], s[60:61], 0, v[34:35]
	flat_load_dword v21, v[22:23]
	s_or_b64 exec, exec, s[0:1]
                                        ; implicit-def: $vgpr22
	s_and_saveexec_b64 s[0:1], s[44:45]
	s_cbranch_execz .LBB1858_76
.LBB1858_261:
	v_mov_b32_e32 v37, 0
	v_lshl_add_u64 v[22:23], s[60:61], 0, v[36:37]
	flat_load_dword v22, v[22:23]
	s_or_b64 exec, exec, s[0:1]
                                        ; implicit-def: $vgpr23
	s_and_saveexec_b64 s[0:1], s[46:47]
	s_cbranch_execz .LBB1858_77
.LBB1858_262:
	v_mov_b32_e32 v39, 0
	v_lshl_add_u64 v[24:25], s[60:61], 0, v[38:39]
	flat_load_dword v23, v[24:25]
	s_or_b64 exec, exec, s[0:1]
                                        ; implicit-def: $vgpr24
	s_and_saveexec_b64 s[0:1], s[48:49]
	s_cbranch_execz .LBB1858_78
.LBB1858_263:
	v_mov_b32_e32 v41, 0
	v_lshl_add_u64 v[24:25], s[60:61], 0, v[40:41]
	flat_load_dword v24, v[24:25]
	s_or_b64 exec, exec, s[0:1]
                                        ; implicit-def: $vgpr25
	s_and_saveexec_b64 s[0:1], s[50:51]
	s_cbranch_execz .LBB1858_79
.LBB1858_264:
	v_mov_b32_e32 v43, 0
	v_lshl_add_u64 v[26:27], s[60:61], 0, v[42:43]
	flat_load_dword v25, v[26:27]
	s_or_b64 exec, exec, s[0:1]
                                        ; implicit-def: $vgpr26
	s_and_saveexec_b64 s[0:1], s[52:53]
	s_cbranch_execnz .LBB1858_80
	s_branch .LBB1858_81
.LBB1858_265:
	v_add_u32_e32 v1, -1, v0
	v_lshrrev_b32_e32 v2, 5, v1
	v_add_lshl_u32 v1, v2, v1, 3
	ds_read_b32 v1, v1
	s_or_b64 exec, exec, s[0:1]
	s_and_saveexec_b64 s[50:51], s[4:5]
	s_cbranch_execz .LBB1858_189
.LBB1858_266:
	v_and_b32_e32 v3, 0xff, v11
	v_mov_b32_e32 v2, 0
	v_cmp_eq_u64_e64 s[0:1], 0, v[2:3]
	;;#ASMSTART
	;;#ASMEND
	s_waitcnt lgkmcnt(0)
	s_nop 0
	v_cndmask_b32_e64 v1, 0, v1, s[0:1]
	v_add_u32_e32 v10, v1, v10
	v_cndmask_b32_e32 v1, 0, v10, vcc
	v_add_u32_e32 v58, v1, v12
	v_cndmask_b32_e64 v1, 0, v58, s[6:7]
	v_add_u32_e32 v59, v1, v14
	v_cndmask_b32_e64 v1, 0, v59, s[8:9]
	;; [unrolled: 2-line block ×21, first 2 shown]
	v_add_u32_e32 v79, v1, v56
	s_or_b64 exec, exec, s[50:51]
	s_and_saveexec_b64 s[0:1], s[54:55]
	s_cbranch_execnz .LBB1858_190
	s_branch .LBB1858_191
.LBB1858_267:
                                        ; implicit-def: $sgpr0_sgpr1
	s_branch .LBB1858_54
.LBB1858_268:
                                        ; implicit-def: $sgpr0_sgpr1
	s_branch .LBB1858_130
	.section	.rodata,"a",@progbits
	.p2align	6, 0x0
	.amdhsa_kernel _ZN7rocprim17ROCPRIM_400000_NS6detail17trampoline_kernelINS0_14default_configENS1_27scan_by_key_config_selectorIjjEEZZNS1_16scan_by_key_implILNS1_25lookback_scan_determinismE0ELb0ES3_N6thrust23THRUST_200600_302600_NS6detail15normal_iteratorINS9_10device_ptrIjEEEESE_SE_jNS9_4plusIvEENS9_8equal_toIvEEjEE10hipError_tPvRmT2_T3_T4_T5_mT6_T7_P12ihipStream_tbENKUlT_T0_E_clISt17integral_constantIbLb0EESY_IbLb1EEEEDaSU_SV_EUlSU_E_NS1_11comp_targetILNS1_3genE5ELNS1_11target_archE942ELNS1_3gpuE9ELNS1_3repE0EEENS1_30default_config_static_selectorELNS0_4arch9wavefront6targetE1EEEvT1_
		.amdhsa_group_segment_fixed_size 25600
		.amdhsa_private_segment_fixed_size 0
		.amdhsa_kernarg_size 112
		.amdhsa_user_sgpr_count 2
		.amdhsa_user_sgpr_dispatch_ptr 0
		.amdhsa_user_sgpr_queue_ptr 0
		.amdhsa_user_sgpr_kernarg_segment_ptr 1
		.amdhsa_user_sgpr_dispatch_id 0
		.amdhsa_user_sgpr_kernarg_preload_length 0
		.amdhsa_user_sgpr_kernarg_preload_offset 0
		.amdhsa_user_sgpr_private_segment_size 0
		.amdhsa_uses_dynamic_stack 0
		.amdhsa_enable_private_segment 0
		.amdhsa_system_sgpr_workgroup_id_x 1
		.amdhsa_system_sgpr_workgroup_id_y 0
		.amdhsa_system_sgpr_workgroup_id_z 0
		.amdhsa_system_sgpr_workgroup_info 0
		.amdhsa_system_vgpr_workitem_id 0
		.amdhsa_next_free_vgpr 81
		.amdhsa_next_free_sgpr 85
		.amdhsa_accum_offset 84
		.amdhsa_reserve_vcc 1
		.amdhsa_float_round_mode_32 0
		.amdhsa_float_round_mode_16_64 0
		.amdhsa_float_denorm_mode_32 3
		.amdhsa_float_denorm_mode_16_64 3
		.amdhsa_dx10_clamp 1
		.amdhsa_ieee_mode 1
		.amdhsa_fp16_overflow 0
		.amdhsa_tg_split 0
		.amdhsa_exception_fp_ieee_invalid_op 0
		.amdhsa_exception_fp_denorm_src 0
		.amdhsa_exception_fp_ieee_div_zero 0
		.amdhsa_exception_fp_ieee_overflow 0
		.amdhsa_exception_fp_ieee_underflow 0
		.amdhsa_exception_fp_ieee_inexact 0
		.amdhsa_exception_int_div_zero 0
	.end_amdhsa_kernel
	.section	.text._ZN7rocprim17ROCPRIM_400000_NS6detail17trampoline_kernelINS0_14default_configENS1_27scan_by_key_config_selectorIjjEEZZNS1_16scan_by_key_implILNS1_25lookback_scan_determinismE0ELb0ES3_N6thrust23THRUST_200600_302600_NS6detail15normal_iteratorINS9_10device_ptrIjEEEESE_SE_jNS9_4plusIvEENS9_8equal_toIvEEjEE10hipError_tPvRmT2_T3_T4_T5_mT6_T7_P12ihipStream_tbENKUlT_T0_E_clISt17integral_constantIbLb0EESY_IbLb1EEEEDaSU_SV_EUlSU_E_NS1_11comp_targetILNS1_3genE5ELNS1_11target_archE942ELNS1_3gpuE9ELNS1_3repE0EEENS1_30default_config_static_selectorELNS0_4arch9wavefront6targetE1EEEvT1_,"axG",@progbits,_ZN7rocprim17ROCPRIM_400000_NS6detail17trampoline_kernelINS0_14default_configENS1_27scan_by_key_config_selectorIjjEEZZNS1_16scan_by_key_implILNS1_25lookback_scan_determinismE0ELb0ES3_N6thrust23THRUST_200600_302600_NS6detail15normal_iteratorINS9_10device_ptrIjEEEESE_SE_jNS9_4plusIvEENS9_8equal_toIvEEjEE10hipError_tPvRmT2_T3_T4_T5_mT6_T7_P12ihipStream_tbENKUlT_T0_E_clISt17integral_constantIbLb0EESY_IbLb1EEEEDaSU_SV_EUlSU_E_NS1_11comp_targetILNS1_3genE5ELNS1_11target_archE942ELNS1_3gpuE9ELNS1_3repE0EEENS1_30default_config_static_selectorELNS0_4arch9wavefront6targetE1EEEvT1_,comdat
.Lfunc_end1858:
	.size	_ZN7rocprim17ROCPRIM_400000_NS6detail17trampoline_kernelINS0_14default_configENS1_27scan_by_key_config_selectorIjjEEZZNS1_16scan_by_key_implILNS1_25lookback_scan_determinismE0ELb0ES3_N6thrust23THRUST_200600_302600_NS6detail15normal_iteratorINS9_10device_ptrIjEEEESE_SE_jNS9_4plusIvEENS9_8equal_toIvEEjEE10hipError_tPvRmT2_T3_T4_T5_mT6_T7_P12ihipStream_tbENKUlT_T0_E_clISt17integral_constantIbLb0EESY_IbLb1EEEEDaSU_SV_EUlSU_E_NS1_11comp_targetILNS1_3genE5ELNS1_11target_archE942ELNS1_3gpuE9ELNS1_3repE0EEENS1_30default_config_static_selectorELNS0_4arch9wavefront6targetE1EEEvT1_, .Lfunc_end1858-_ZN7rocprim17ROCPRIM_400000_NS6detail17trampoline_kernelINS0_14default_configENS1_27scan_by_key_config_selectorIjjEEZZNS1_16scan_by_key_implILNS1_25lookback_scan_determinismE0ELb0ES3_N6thrust23THRUST_200600_302600_NS6detail15normal_iteratorINS9_10device_ptrIjEEEESE_SE_jNS9_4plusIvEENS9_8equal_toIvEEjEE10hipError_tPvRmT2_T3_T4_T5_mT6_T7_P12ihipStream_tbENKUlT_T0_E_clISt17integral_constantIbLb0EESY_IbLb1EEEEDaSU_SV_EUlSU_E_NS1_11comp_targetILNS1_3genE5ELNS1_11target_archE942ELNS1_3gpuE9ELNS1_3repE0EEENS1_30default_config_static_selectorELNS0_4arch9wavefront6targetE1EEEvT1_
                                        ; -- End function
	.section	.AMDGPU.csdata,"",@progbits
; Kernel info:
; codeLenInByte = 15516
; NumSgprs: 91
; NumVgprs: 81
; NumAgprs: 0
; TotalNumVgprs: 81
; ScratchSize: 0
; MemoryBound: 0
; FloatMode: 240
; IeeeMode: 1
; LDSByteSize: 25600 bytes/workgroup (compile time only)
; SGPRBlocks: 11
; VGPRBlocks: 10
; NumSGPRsForWavesPerEU: 91
; NumVGPRsForWavesPerEU: 81
; AccumOffset: 84
; Occupancy: 2
; WaveLimiterHint : 1
; COMPUTE_PGM_RSRC2:SCRATCH_EN: 0
; COMPUTE_PGM_RSRC2:USER_SGPR: 2
; COMPUTE_PGM_RSRC2:TRAP_HANDLER: 0
; COMPUTE_PGM_RSRC2:TGID_X_EN: 1
; COMPUTE_PGM_RSRC2:TGID_Y_EN: 0
; COMPUTE_PGM_RSRC2:TGID_Z_EN: 0
; COMPUTE_PGM_RSRC2:TIDIG_COMP_CNT: 0
; COMPUTE_PGM_RSRC3_GFX90A:ACCUM_OFFSET: 20
; COMPUTE_PGM_RSRC3_GFX90A:TG_SPLIT: 0
	.section	.text._ZN7rocprim17ROCPRIM_400000_NS6detail17trampoline_kernelINS0_14default_configENS1_27scan_by_key_config_selectorIjjEEZZNS1_16scan_by_key_implILNS1_25lookback_scan_determinismE0ELb0ES3_N6thrust23THRUST_200600_302600_NS6detail15normal_iteratorINS9_10device_ptrIjEEEESE_SE_jNS9_4plusIvEENS9_8equal_toIvEEjEE10hipError_tPvRmT2_T3_T4_T5_mT6_T7_P12ihipStream_tbENKUlT_T0_E_clISt17integral_constantIbLb0EESY_IbLb1EEEEDaSU_SV_EUlSU_E_NS1_11comp_targetILNS1_3genE4ELNS1_11target_archE910ELNS1_3gpuE8ELNS1_3repE0EEENS1_30default_config_static_selectorELNS0_4arch9wavefront6targetE1EEEvT1_,"axG",@progbits,_ZN7rocprim17ROCPRIM_400000_NS6detail17trampoline_kernelINS0_14default_configENS1_27scan_by_key_config_selectorIjjEEZZNS1_16scan_by_key_implILNS1_25lookback_scan_determinismE0ELb0ES3_N6thrust23THRUST_200600_302600_NS6detail15normal_iteratorINS9_10device_ptrIjEEEESE_SE_jNS9_4plusIvEENS9_8equal_toIvEEjEE10hipError_tPvRmT2_T3_T4_T5_mT6_T7_P12ihipStream_tbENKUlT_T0_E_clISt17integral_constantIbLb0EESY_IbLb1EEEEDaSU_SV_EUlSU_E_NS1_11comp_targetILNS1_3genE4ELNS1_11target_archE910ELNS1_3gpuE8ELNS1_3repE0EEENS1_30default_config_static_selectorELNS0_4arch9wavefront6targetE1EEEvT1_,comdat
	.protected	_ZN7rocprim17ROCPRIM_400000_NS6detail17trampoline_kernelINS0_14default_configENS1_27scan_by_key_config_selectorIjjEEZZNS1_16scan_by_key_implILNS1_25lookback_scan_determinismE0ELb0ES3_N6thrust23THRUST_200600_302600_NS6detail15normal_iteratorINS9_10device_ptrIjEEEESE_SE_jNS9_4plusIvEENS9_8equal_toIvEEjEE10hipError_tPvRmT2_T3_T4_T5_mT6_T7_P12ihipStream_tbENKUlT_T0_E_clISt17integral_constantIbLb0EESY_IbLb1EEEEDaSU_SV_EUlSU_E_NS1_11comp_targetILNS1_3genE4ELNS1_11target_archE910ELNS1_3gpuE8ELNS1_3repE0EEENS1_30default_config_static_selectorELNS0_4arch9wavefront6targetE1EEEvT1_ ; -- Begin function _ZN7rocprim17ROCPRIM_400000_NS6detail17trampoline_kernelINS0_14default_configENS1_27scan_by_key_config_selectorIjjEEZZNS1_16scan_by_key_implILNS1_25lookback_scan_determinismE0ELb0ES3_N6thrust23THRUST_200600_302600_NS6detail15normal_iteratorINS9_10device_ptrIjEEEESE_SE_jNS9_4plusIvEENS9_8equal_toIvEEjEE10hipError_tPvRmT2_T3_T4_T5_mT6_T7_P12ihipStream_tbENKUlT_T0_E_clISt17integral_constantIbLb0EESY_IbLb1EEEEDaSU_SV_EUlSU_E_NS1_11comp_targetILNS1_3genE4ELNS1_11target_archE910ELNS1_3gpuE8ELNS1_3repE0EEENS1_30default_config_static_selectorELNS0_4arch9wavefront6targetE1EEEvT1_
	.globl	_ZN7rocprim17ROCPRIM_400000_NS6detail17trampoline_kernelINS0_14default_configENS1_27scan_by_key_config_selectorIjjEEZZNS1_16scan_by_key_implILNS1_25lookback_scan_determinismE0ELb0ES3_N6thrust23THRUST_200600_302600_NS6detail15normal_iteratorINS9_10device_ptrIjEEEESE_SE_jNS9_4plusIvEENS9_8equal_toIvEEjEE10hipError_tPvRmT2_T3_T4_T5_mT6_T7_P12ihipStream_tbENKUlT_T0_E_clISt17integral_constantIbLb0EESY_IbLb1EEEEDaSU_SV_EUlSU_E_NS1_11comp_targetILNS1_3genE4ELNS1_11target_archE910ELNS1_3gpuE8ELNS1_3repE0EEENS1_30default_config_static_selectorELNS0_4arch9wavefront6targetE1EEEvT1_
	.p2align	8
	.type	_ZN7rocprim17ROCPRIM_400000_NS6detail17trampoline_kernelINS0_14default_configENS1_27scan_by_key_config_selectorIjjEEZZNS1_16scan_by_key_implILNS1_25lookback_scan_determinismE0ELb0ES3_N6thrust23THRUST_200600_302600_NS6detail15normal_iteratorINS9_10device_ptrIjEEEESE_SE_jNS9_4plusIvEENS9_8equal_toIvEEjEE10hipError_tPvRmT2_T3_T4_T5_mT6_T7_P12ihipStream_tbENKUlT_T0_E_clISt17integral_constantIbLb0EESY_IbLb1EEEEDaSU_SV_EUlSU_E_NS1_11comp_targetILNS1_3genE4ELNS1_11target_archE910ELNS1_3gpuE8ELNS1_3repE0EEENS1_30default_config_static_selectorELNS0_4arch9wavefront6targetE1EEEvT1_,@function
_ZN7rocprim17ROCPRIM_400000_NS6detail17trampoline_kernelINS0_14default_configENS1_27scan_by_key_config_selectorIjjEEZZNS1_16scan_by_key_implILNS1_25lookback_scan_determinismE0ELb0ES3_N6thrust23THRUST_200600_302600_NS6detail15normal_iteratorINS9_10device_ptrIjEEEESE_SE_jNS9_4plusIvEENS9_8equal_toIvEEjEE10hipError_tPvRmT2_T3_T4_T5_mT6_T7_P12ihipStream_tbENKUlT_T0_E_clISt17integral_constantIbLb0EESY_IbLb1EEEEDaSU_SV_EUlSU_E_NS1_11comp_targetILNS1_3genE4ELNS1_11target_archE910ELNS1_3gpuE8ELNS1_3repE0EEENS1_30default_config_static_selectorELNS0_4arch9wavefront6targetE1EEEvT1_: ; @_ZN7rocprim17ROCPRIM_400000_NS6detail17trampoline_kernelINS0_14default_configENS1_27scan_by_key_config_selectorIjjEEZZNS1_16scan_by_key_implILNS1_25lookback_scan_determinismE0ELb0ES3_N6thrust23THRUST_200600_302600_NS6detail15normal_iteratorINS9_10device_ptrIjEEEESE_SE_jNS9_4plusIvEENS9_8equal_toIvEEjEE10hipError_tPvRmT2_T3_T4_T5_mT6_T7_P12ihipStream_tbENKUlT_T0_E_clISt17integral_constantIbLb0EESY_IbLb1EEEEDaSU_SV_EUlSU_E_NS1_11comp_targetILNS1_3genE4ELNS1_11target_archE910ELNS1_3gpuE8ELNS1_3repE0EEENS1_30default_config_static_selectorELNS0_4arch9wavefront6targetE1EEEvT1_
; %bb.0:
	.section	.rodata,"a",@progbits
	.p2align	6, 0x0
	.amdhsa_kernel _ZN7rocprim17ROCPRIM_400000_NS6detail17trampoline_kernelINS0_14default_configENS1_27scan_by_key_config_selectorIjjEEZZNS1_16scan_by_key_implILNS1_25lookback_scan_determinismE0ELb0ES3_N6thrust23THRUST_200600_302600_NS6detail15normal_iteratorINS9_10device_ptrIjEEEESE_SE_jNS9_4plusIvEENS9_8equal_toIvEEjEE10hipError_tPvRmT2_T3_T4_T5_mT6_T7_P12ihipStream_tbENKUlT_T0_E_clISt17integral_constantIbLb0EESY_IbLb1EEEEDaSU_SV_EUlSU_E_NS1_11comp_targetILNS1_3genE4ELNS1_11target_archE910ELNS1_3gpuE8ELNS1_3repE0EEENS1_30default_config_static_selectorELNS0_4arch9wavefront6targetE1EEEvT1_
		.amdhsa_group_segment_fixed_size 0
		.amdhsa_private_segment_fixed_size 0
		.amdhsa_kernarg_size 112
		.amdhsa_user_sgpr_count 2
		.amdhsa_user_sgpr_dispatch_ptr 0
		.amdhsa_user_sgpr_queue_ptr 0
		.amdhsa_user_sgpr_kernarg_segment_ptr 1
		.amdhsa_user_sgpr_dispatch_id 0
		.amdhsa_user_sgpr_kernarg_preload_length 0
		.amdhsa_user_sgpr_kernarg_preload_offset 0
		.amdhsa_user_sgpr_private_segment_size 0
		.amdhsa_uses_dynamic_stack 0
		.amdhsa_enable_private_segment 0
		.amdhsa_system_sgpr_workgroup_id_x 1
		.amdhsa_system_sgpr_workgroup_id_y 0
		.amdhsa_system_sgpr_workgroup_id_z 0
		.amdhsa_system_sgpr_workgroup_info 0
		.amdhsa_system_vgpr_workitem_id 0
		.amdhsa_next_free_vgpr 1
		.amdhsa_next_free_sgpr 0
		.amdhsa_accum_offset 4
		.amdhsa_reserve_vcc 0
		.amdhsa_float_round_mode_32 0
		.amdhsa_float_round_mode_16_64 0
		.amdhsa_float_denorm_mode_32 3
		.amdhsa_float_denorm_mode_16_64 3
		.amdhsa_dx10_clamp 1
		.amdhsa_ieee_mode 1
		.amdhsa_fp16_overflow 0
		.amdhsa_tg_split 0
		.amdhsa_exception_fp_ieee_invalid_op 0
		.amdhsa_exception_fp_denorm_src 0
		.amdhsa_exception_fp_ieee_div_zero 0
		.amdhsa_exception_fp_ieee_overflow 0
		.amdhsa_exception_fp_ieee_underflow 0
		.amdhsa_exception_fp_ieee_inexact 0
		.amdhsa_exception_int_div_zero 0
	.end_amdhsa_kernel
	.section	.text._ZN7rocprim17ROCPRIM_400000_NS6detail17trampoline_kernelINS0_14default_configENS1_27scan_by_key_config_selectorIjjEEZZNS1_16scan_by_key_implILNS1_25lookback_scan_determinismE0ELb0ES3_N6thrust23THRUST_200600_302600_NS6detail15normal_iteratorINS9_10device_ptrIjEEEESE_SE_jNS9_4plusIvEENS9_8equal_toIvEEjEE10hipError_tPvRmT2_T3_T4_T5_mT6_T7_P12ihipStream_tbENKUlT_T0_E_clISt17integral_constantIbLb0EESY_IbLb1EEEEDaSU_SV_EUlSU_E_NS1_11comp_targetILNS1_3genE4ELNS1_11target_archE910ELNS1_3gpuE8ELNS1_3repE0EEENS1_30default_config_static_selectorELNS0_4arch9wavefront6targetE1EEEvT1_,"axG",@progbits,_ZN7rocprim17ROCPRIM_400000_NS6detail17trampoline_kernelINS0_14default_configENS1_27scan_by_key_config_selectorIjjEEZZNS1_16scan_by_key_implILNS1_25lookback_scan_determinismE0ELb0ES3_N6thrust23THRUST_200600_302600_NS6detail15normal_iteratorINS9_10device_ptrIjEEEESE_SE_jNS9_4plusIvEENS9_8equal_toIvEEjEE10hipError_tPvRmT2_T3_T4_T5_mT6_T7_P12ihipStream_tbENKUlT_T0_E_clISt17integral_constantIbLb0EESY_IbLb1EEEEDaSU_SV_EUlSU_E_NS1_11comp_targetILNS1_3genE4ELNS1_11target_archE910ELNS1_3gpuE8ELNS1_3repE0EEENS1_30default_config_static_selectorELNS0_4arch9wavefront6targetE1EEEvT1_,comdat
.Lfunc_end1859:
	.size	_ZN7rocprim17ROCPRIM_400000_NS6detail17trampoline_kernelINS0_14default_configENS1_27scan_by_key_config_selectorIjjEEZZNS1_16scan_by_key_implILNS1_25lookback_scan_determinismE0ELb0ES3_N6thrust23THRUST_200600_302600_NS6detail15normal_iteratorINS9_10device_ptrIjEEEESE_SE_jNS9_4plusIvEENS9_8equal_toIvEEjEE10hipError_tPvRmT2_T3_T4_T5_mT6_T7_P12ihipStream_tbENKUlT_T0_E_clISt17integral_constantIbLb0EESY_IbLb1EEEEDaSU_SV_EUlSU_E_NS1_11comp_targetILNS1_3genE4ELNS1_11target_archE910ELNS1_3gpuE8ELNS1_3repE0EEENS1_30default_config_static_selectorELNS0_4arch9wavefront6targetE1EEEvT1_, .Lfunc_end1859-_ZN7rocprim17ROCPRIM_400000_NS6detail17trampoline_kernelINS0_14default_configENS1_27scan_by_key_config_selectorIjjEEZZNS1_16scan_by_key_implILNS1_25lookback_scan_determinismE0ELb0ES3_N6thrust23THRUST_200600_302600_NS6detail15normal_iteratorINS9_10device_ptrIjEEEESE_SE_jNS9_4plusIvEENS9_8equal_toIvEEjEE10hipError_tPvRmT2_T3_T4_T5_mT6_T7_P12ihipStream_tbENKUlT_T0_E_clISt17integral_constantIbLb0EESY_IbLb1EEEEDaSU_SV_EUlSU_E_NS1_11comp_targetILNS1_3genE4ELNS1_11target_archE910ELNS1_3gpuE8ELNS1_3repE0EEENS1_30default_config_static_selectorELNS0_4arch9wavefront6targetE1EEEvT1_
                                        ; -- End function
	.section	.AMDGPU.csdata,"",@progbits
; Kernel info:
; codeLenInByte = 0
; NumSgprs: 6
; NumVgprs: 0
; NumAgprs: 0
; TotalNumVgprs: 0
; ScratchSize: 0
; MemoryBound: 0
; FloatMode: 240
; IeeeMode: 1
; LDSByteSize: 0 bytes/workgroup (compile time only)
; SGPRBlocks: 0
; VGPRBlocks: 0
; NumSGPRsForWavesPerEU: 6
; NumVGPRsForWavesPerEU: 1
; AccumOffset: 4
; Occupancy: 8
; WaveLimiterHint : 0
; COMPUTE_PGM_RSRC2:SCRATCH_EN: 0
; COMPUTE_PGM_RSRC2:USER_SGPR: 2
; COMPUTE_PGM_RSRC2:TRAP_HANDLER: 0
; COMPUTE_PGM_RSRC2:TGID_X_EN: 1
; COMPUTE_PGM_RSRC2:TGID_Y_EN: 0
; COMPUTE_PGM_RSRC2:TGID_Z_EN: 0
; COMPUTE_PGM_RSRC2:TIDIG_COMP_CNT: 0
; COMPUTE_PGM_RSRC3_GFX90A:ACCUM_OFFSET: 0
; COMPUTE_PGM_RSRC3_GFX90A:TG_SPLIT: 0
	.section	.text._ZN7rocprim17ROCPRIM_400000_NS6detail17trampoline_kernelINS0_14default_configENS1_27scan_by_key_config_selectorIjjEEZZNS1_16scan_by_key_implILNS1_25lookback_scan_determinismE0ELb0ES3_N6thrust23THRUST_200600_302600_NS6detail15normal_iteratorINS9_10device_ptrIjEEEESE_SE_jNS9_4plusIvEENS9_8equal_toIvEEjEE10hipError_tPvRmT2_T3_T4_T5_mT6_T7_P12ihipStream_tbENKUlT_T0_E_clISt17integral_constantIbLb0EESY_IbLb1EEEEDaSU_SV_EUlSU_E_NS1_11comp_targetILNS1_3genE3ELNS1_11target_archE908ELNS1_3gpuE7ELNS1_3repE0EEENS1_30default_config_static_selectorELNS0_4arch9wavefront6targetE1EEEvT1_,"axG",@progbits,_ZN7rocprim17ROCPRIM_400000_NS6detail17trampoline_kernelINS0_14default_configENS1_27scan_by_key_config_selectorIjjEEZZNS1_16scan_by_key_implILNS1_25lookback_scan_determinismE0ELb0ES3_N6thrust23THRUST_200600_302600_NS6detail15normal_iteratorINS9_10device_ptrIjEEEESE_SE_jNS9_4plusIvEENS9_8equal_toIvEEjEE10hipError_tPvRmT2_T3_T4_T5_mT6_T7_P12ihipStream_tbENKUlT_T0_E_clISt17integral_constantIbLb0EESY_IbLb1EEEEDaSU_SV_EUlSU_E_NS1_11comp_targetILNS1_3genE3ELNS1_11target_archE908ELNS1_3gpuE7ELNS1_3repE0EEENS1_30default_config_static_selectorELNS0_4arch9wavefront6targetE1EEEvT1_,comdat
	.protected	_ZN7rocprim17ROCPRIM_400000_NS6detail17trampoline_kernelINS0_14default_configENS1_27scan_by_key_config_selectorIjjEEZZNS1_16scan_by_key_implILNS1_25lookback_scan_determinismE0ELb0ES3_N6thrust23THRUST_200600_302600_NS6detail15normal_iteratorINS9_10device_ptrIjEEEESE_SE_jNS9_4plusIvEENS9_8equal_toIvEEjEE10hipError_tPvRmT2_T3_T4_T5_mT6_T7_P12ihipStream_tbENKUlT_T0_E_clISt17integral_constantIbLb0EESY_IbLb1EEEEDaSU_SV_EUlSU_E_NS1_11comp_targetILNS1_3genE3ELNS1_11target_archE908ELNS1_3gpuE7ELNS1_3repE0EEENS1_30default_config_static_selectorELNS0_4arch9wavefront6targetE1EEEvT1_ ; -- Begin function _ZN7rocprim17ROCPRIM_400000_NS6detail17trampoline_kernelINS0_14default_configENS1_27scan_by_key_config_selectorIjjEEZZNS1_16scan_by_key_implILNS1_25lookback_scan_determinismE0ELb0ES3_N6thrust23THRUST_200600_302600_NS6detail15normal_iteratorINS9_10device_ptrIjEEEESE_SE_jNS9_4plusIvEENS9_8equal_toIvEEjEE10hipError_tPvRmT2_T3_T4_T5_mT6_T7_P12ihipStream_tbENKUlT_T0_E_clISt17integral_constantIbLb0EESY_IbLb1EEEEDaSU_SV_EUlSU_E_NS1_11comp_targetILNS1_3genE3ELNS1_11target_archE908ELNS1_3gpuE7ELNS1_3repE0EEENS1_30default_config_static_selectorELNS0_4arch9wavefront6targetE1EEEvT1_
	.globl	_ZN7rocprim17ROCPRIM_400000_NS6detail17trampoline_kernelINS0_14default_configENS1_27scan_by_key_config_selectorIjjEEZZNS1_16scan_by_key_implILNS1_25lookback_scan_determinismE0ELb0ES3_N6thrust23THRUST_200600_302600_NS6detail15normal_iteratorINS9_10device_ptrIjEEEESE_SE_jNS9_4plusIvEENS9_8equal_toIvEEjEE10hipError_tPvRmT2_T3_T4_T5_mT6_T7_P12ihipStream_tbENKUlT_T0_E_clISt17integral_constantIbLb0EESY_IbLb1EEEEDaSU_SV_EUlSU_E_NS1_11comp_targetILNS1_3genE3ELNS1_11target_archE908ELNS1_3gpuE7ELNS1_3repE0EEENS1_30default_config_static_selectorELNS0_4arch9wavefront6targetE1EEEvT1_
	.p2align	8
	.type	_ZN7rocprim17ROCPRIM_400000_NS6detail17trampoline_kernelINS0_14default_configENS1_27scan_by_key_config_selectorIjjEEZZNS1_16scan_by_key_implILNS1_25lookback_scan_determinismE0ELb0ES3_N6thrust23THRUST_200600_302600_NS6detail15normal_iteratorINS9_10device_ptrIjEEEESE_SE_jNS9_4plusIvEENS9_8equal_toIvEEjEE10hipError_tPvRmT2_T3_T4_T5_mT6_T7_P12ihipStream_tbENKUlT_T0_E_clISt17integral_constantIbLb0EESY_IbLb1EEEEDaSU_SV_EUlSU_E_NS1_11comp_targetILNS1_3genE3ELNS1_11target_archE908ELNS1_3gpuE7ELNS1_3repE0EEENS1_30default_config_static_selectorELNS0_4arch9wavefront6targetE1EEEvT1_,@function
_ZN7rocprim17ROCPRIM_400000_NS6detail17trampoline_kernelINS0_14default_configENS1_27scan_by_key_config_selectorIjjEEZZNS1_16scan_by_key_implILNS1_25lookback_scan_determinismE0ELb0ES3_N6thrust23THRUST_200600_302600_NS6detail15normal_iteratorINS9_10device_ptrIjEEEESE_SE_jNS9_4plusIvEENS9_8equal_toIvEEjEE10hipError_tPvRmT2_T3_T4_T5_mT6_T7_P12ihipStream_tbENKUlT_T0_E_clISt17integral_constantIbLb0EESY_IbLb1EEEEDaSU_SV_EUlSU_E_NS1_11comp_targetILNS1_3genE3ELNS1_11target_archE908ELNS1_3gpuE7ELNS1_3repE0EEENS1_30default_config_static_selectorELNS0_4arch9wavefront6targetE1EEEvT1_: ; @_ZN7rocprim17ROCPRIM_400000_NS6detail17trampoline_kernelINS0_14default_configENS1_27scan_by_key_config_selectorIjjEEZZNS1_16scan_by_key_implILNS1_25lookback_scan_determinismE0ELb0ES3_N6thrust23THRUST_200600_302600_NS6detail15normal_iteratorINS9_10device_ptrIjEEEESE_SE_jNS9_4plusIvEENS9_8equal_toIvEEjEE10hipError_tPvRmT2_T3_T4_T5_mT6_T7_P12ihipStream_tbENKUlT_T0_E_clISt17integral_constantIbLb0EESY_IbLb1EEEEDaSU_SV_EUlSU_E_NS1_11comp_targetILNS1_3genE3ELNS1_11target_archE908ELNS1_3gpuE7ELNS1_3repE0EEENS1_30default_config_static_selectorELNS0_4arch9wavefront6targetE1EEEvT1_
; %bb.0:
	.section	.rodata,"a",@progbits
	.p2align	6, 0x0
	.amdhsa_kernel _ZN7rocprim17ROCPRIM_400000_NS6detail17trampoline_kernelINS0_14default_configENS1_27scan_by_key_config_selectorIjjEEZZNS1_16scan_by_key_implILNS1_25lookback_scan_determinismE0ELb0ES3_N6thrust23THRUST_200600_302600_NS6detail15normal_iteratorINS9_10device_ptrIjEEEESE_SE_jNS9_4plusIvEENS9_8equal_toIvEEjEE10hipError_tPvRmT2_T3_T4_T5_mT6_T7_P12ihipStream_tbENKUlT_T0_E_clISt17integral_constantIbLb0EESY_IbLb1EEEEDaSU_SV_EUlSU_E_NS1_11comp_targetILNS1_3genE3ELNS1_11target_archE908ELNS1_3gpuE7ELNS1_3repE0EEENS1_30default_config_static_selectorELNS0_4arch9wavefront6targetE1EEEvT1_
		.amdhsa_group_segment_fixed_size 0
		.amdhsa_private_segment_fixed_size 0
		.amdhsa_kernarg_size 112
		.amdhsa_user_sgpr_count 2
		.amdhsa_user_sgpr_dispatch_ptr 0
		.amdhsa_user_sgpr_queue_ptr 0
		.amdhsa_user_sgpr_kernarg_segment_ptr 1
		.amdhsa_user_sgpr_dispatch_id 0
		.amdhsa_user_sgpr_kernarg_preload_length 0
		.amdhsa_user_sgpr_kernarg_preload_offset 0
		.amdhsa_user_sgpr_private_segment_size 0
		.amdhsa_uses_dynamic_stack 0
		.amdhsa_enable_private_segment 0
		.amdhsa_system_sgpr_workgroup_id_x 1
		.amdhsa_system_sgpr_workgroup_id_y 0
		.amdhsa_system_sgpr_workgroup_id_z 0
		.amdhsa_system_sgpr_workgroup_info 0
		.amdhsa_system_vgpr_workitem_id 0
		.amdhsa_next_free_vgpr 1
		.amdhsa_next_free_sgpr 0
		.amdhsa_accum_offset 4
		.amdhsa_reserve_vcc 0
		.amdhsa_float_round_mode_32 0
		.amdhsa_float_round_mode_16_64 0
		.amdhsa_float_denorm_mode_32 3
		.amdhsa_float_denorm_mode_16_64 3
		.amdhsa_dx10_clamp 1
		.amdhsa_ieee_mode 1
		.amdhsa_fp16_overflow 0
		.amdhsa_tg_split 0
		.amdhsa_exception_fp_ieee_invalid_op 0
		.amdhsa_exception_fp_denorm_src 0
		.amdhsa_exception_fp_ieee_div_zero 0
		.amdhsa_exception_fp_ieee_overflow 0
		.amdhsa_exception_fp_ieee_underflow 0
		.amdhsa_exception_fp_ieee_inexact 0
		.amdhsa_exception_int_div_zero 0
	.end_amdhsa_kernel
	.section	.text._ZN7rocprim17ROCPRIM_400000_NS6detail17trampoline_kernelINS0_14default_configENS1_27scan_by_key_config_selectorIjjEEZZNS1_16scan_by_key_implILNS1_25lookback_scan_determinismE0ELb0ES3_N6thrust23THRUST_200600_302600_NS6detail15normal_iteratorINS9_10device_ptrIjEEEESE_SE_jNS9_4plusIvEENS9_8equal_toIvEEjEE10hipError_tPvRmT2_T3_T4_T5_mT6_T7_P12ihipStream_tbENKUlT_T0_E_clISt17integral_constantIbLb0EESY_IbLb1EEEEDaSU_SV_EUlSU_E_NS1_11comp_targetILNS1_3genE3ELNS1_11target_archE908ELNS1_3gpuE7ELNS1_3repE0EEENS1_30default_config_static_selectorELNS0_4arch9wavefront6targetE1EEEvT1_,"axG",@progbits,_ZN7rocprim17ROCPRIM_400000_NS6detail17trampoline_kernelINS0_14default_configENS1_27scan_by_key_config_selectorIjjEEZZNS1_16scan_by_key_implILNS1_25lookback_scan_determinismE0ELb0ES3_N6thrust23THRUST_200600_302600_NS6detail15normal_iteratorINS9_10device_ptrIjEEEESE_SE_jNS9_4plusIvEENS9_8equal_toIvEEjEE10hipError_tPvRmT2_T3_T4_T5_mT6_T7_P12ihipStream_tbENKUlT_T0_E_clISt17integral_constantIbLb0EESY_IbLb1EEEEDaSU_SV_EUlSU_E_NS1_11comp_targetILNS1_3genE3ELNS1_11target_archE908ELNS1_3gpuE7ELNS1_3repE0EEENS1_30default_config_static_selectorELNS0_4arch9wavefront6targetE1EEEvT1_,comdat
.Lfunc_end1860:
	.size	_ZN7rocprim17ROCPRIM_400000_NS6detail17trampoline_kernelINS0_14default_configENS1_27scan_by_key_config_selectorIjjEEZZNS1_16scan_by_key_implILNS1_25lookback_scan_determinismE0ELb0ES3_N6thrust23THRUST_200600_302600_NS6detail15normal_iteratorINS9_10device_ptrIjEEEESE_SE_jNS9_4plusIvEENS9_8equal_toIvEEjEE10hipError_tPvRmT2_T3_T4_T5_mT6_T7_P12ihipStream_tbENKUlT_T0_E_clISt17integral_constantIbLb0EESY_IbLb1EEEEDaSU_SV_EUlSU_E_NS1_11comp_targetILNS1_3genE3ELNS1_11target_archE908ELNS1_3gpuE7ELNS1_3repE0EEENS1_30default_config_static_selectorELNS0_4arch9wavefront6targetE1EEEvT1_, .Lfunc_end1860-_ZN7rocprim17ROCPRIM_400000_NS6detail17trampoline_kernelINS0_14default_configENS1_27scan_by_key_config_selectorIjjEEZZNS1_16scan_by_key_implILNS1_25lookback_scan_determinismE0ELb0ES3_N6thrust23THRUST_200600_302600_NS6detail15normal_iteratorINS9_10device_ptrIjEEEESE_SE_jNS9_4plusIvEENS9_8equal_toIvEEjEE10hipError_tPvRmT2_T3_T4_T5_mT6_T7_P12ihipStream_tbENKUlT_T0_E_clISt17integral_constantIbLb0EESY_IbLb1EEEEDaSU_SV_EUlSU_E_NS1_11comp_targetILNS1_3genE3ELNS1_11target_archE908ELNS1_3gpuE7ELNS1_3repE0EEENS1_30default_config_static_selectorELNS0_4arch9wavefront6targetE1EEEvT1_
                                        ; -- End function
	.section	.AMDGPU.csdata,"",@progbits
; Kernel info:
; codeLenInByte = 0
; NumSgprs: 6
; NumVgprs: 0
; NumAgprs: 0
; TotalNumVgprs: 0
; ScratchSize: 0
; MemoryBound: 0
; FloatMode: 240
; IeeeMode: 1
; LDSByteSize: 0 bytes/workgroup (compile time only)
; SGPRBlocks: 0
; VGPRBlocks: 0
; NumSGPRsForWavesPerEU: 6
; NumVGPRsForWavesPerEU: 1
; AccumOffset: 4
; Occupancy: 8
; WaveLimiterHint : 0
; COMPUTE_PGM_RSRC2:SCRATCH_EN: 0
; COMPUTE_PGM_RSRC2:USER_SGPR: 2
; COMPUTE_PGM_RSRC2:TRAP_HANDLER: 0
; COMPUTE_PGM_RSRC2:TGID_X_EN: 1
; COMPUTE_PGM_RSRC2:TGID_Y_EN: 0
; COMPUTE_PGM_RSRC2:TGID_Z_EN: 0
; COMPUTE_PGM_RSRC2:TIDIG_COMP_CNT: 0
; COMPUTE_PGM_RSRC3_GFX90A:ACCUM_OFFSET: 0
; COMPUTE_PGM_RSRC3_GFX90A:TG_SPLIT: 0
	.section	.text._ZN7rocprim17ROCPRIM_400000_NS6detail17trampoline_kernelINS0_14default_configENS1_27scan_by_key_config_selectorIjjEEZZNS1_16scan_by_key_implILNS1_25lookback_scan_determinismE0ELb0ES3_N6thrust23THRUST_200600_302600_NS6detail15normal_iteratorINS9_10device_ptrIjEEEESE_SE_jNS9_4plusIvEENS9_8equal_toIvEEjEE10hipError_tPvRmT2_T3_T4_T5_mT6_T7_P12ihipStream_tbENKUlT_T0_E_clISt17integral_constantIbLb0EESY_IbLb1EEEEDaSU_SV_EUlSU_E_NS1_11comp_targetILNS1_3genE2ELNS1_11target_archE906ELNS1_3gpuE6ELNS1_3repE0EEENS1_30default_config_static_selectorELNS0_4arch9wavefront6targetE1EEEvT1_,"axG",@progbits,_ZN7rocprim17ROCPRIM_400000_NS6detail17trampoline_kernelINS0_14default_configENS1_27scan_by_key_config_selectorIjjEEZZNS1_16scan_by_key_implILNS1_25lookback_scan_determinismE0ELb0ES3_N6thrust23THRUST_200600_302600_NS6detail15normal_iteratorINS9_10device_ptrIjEEEESE_SE_jNS9_4plusIvEENS9_8equal_toIvEEjEE10hipError_tPvRmT2_T3_T4_T5_mT6_T7_P12ihipStream_tbENKUlT_T0_E_clISt17integral_constantIbLb0EESY_IbLb1EEEEDaSU_SV_EUlSU_E_NS1_11comp_targetILNS1_3genE2ELNS1_11target_archE906ELNS1_3gpuE6ELNS1_3repE0EEENS1_30default_config_static_selectorELNS0_4arch9wavefront6targetE1EEEvT1_,comdat
	.protected	_ZN7rocprim17ROCPRIM_400000_NS6detail17trampoline_kernelINS0_14default_configENS1_27scan_by_key_config_selectorIjjEEZZNS1_16scan_by_key_implILNS1_25lookback_scan_determinismE0ELb0ES3_N6thrust23THRUST_200600_302600_NS6detail15normal_iteratorINS9_10device_ptrIjEEEESE_SE_jNS9_4plusIvEENS9_8equal_toIvEEjEE10hipError_tPvRmT2_T3_T4_T5_mT6_T7_P12ihipStream_tbENKUlT_T0_E_clISt17integral_constantIbLb0EESY_IbLb1EEEEDaSU_SV_EUlSU_E_NS1_11comp_targetILNS1_3genE2ELNS1_11target_archE906ELNS1_3gpuE6ELNS1_3repE0EEENS1_30default_config_static_selectorELNS0_4arch9wavefront6targetE1EEEvT1_ ; -- Begin function _ZN7rocprim17ROCPRIM_400000_NS6detail17trampoline_kernelINS0_14default_configENS1_27scan_by_key_config_selectorIjjEEZZNS1_16scan_by_key_implILNS1_25lookback_scan_determinismE0ELb0ES3_N6thrust23THRUST_200600_302600_NS6detail15normal_iteratorINS9_10device_ptrIjEEEESE_SE_jNS9_4plusIvEENS9_8equal_toIvEEjEE10hipError_tPvRmT2_T3_T4_T5_mT6_T7_P12ihipStream_tbENKUlT_T0_E_clISt17integral_constantIbLb0EESY_IbLb1EEEEDaSU_SV_EUlSU_E_NS1_11comp_targetILNS1_3genE2ELNS1_11target_archE906ELNS1_3gpuE6ELNS1_3repE0EEENS1_30default_config_static_selectorELNS0_4arch9wavefront6targetE1EEEvT1_
	.globl	_ZN7rocprim17ROCPRIM_400000_NS6detail17trampoline_kernelINS0_14default_configENS1_27scan_by_key_config_selectorIjjEEZZNS1_16scan_by_key_implILNS1_25lookback_scan_determinismE0ELb0ES3_N6thrust23THRUST_200600_302600_NS6detail15normal_iteratorINS9_10device_ptrIjEEEESE_SE_jNS9_4plusIvEENS9_8equal_toIvEEjEE10hipError_tPvRmT2_T3_T4_T5_mT6_T7_P12ihipStream_tbENKUlT_T0_E_clISt17integral_constantIbLb0EESY_IbLb1EEEEDaSU_SV_EUlSU_E_NS1_11comp_targetILNS1_3genE2ELNS1_11target_archE906ELNS1_3gpuE6ELNS1_3repE0EEENS1_30default_config_static_selectorELNS0_4arch9wavefront6targetE1EEEvT1_
	.p2align	8
	.type	_ZN7rocprim17ROCPRIM_400000_NS6detail17trampoline_kernelINS0_14default_configENS1_27scan_by_key_config_selectorIjjEEZZNS1_16scan_by_key_implILNS1_25lookback_scan_determinismE0ELb0ES3_N6thrust23THRUST_200600_302600_NS6detail15normal_iteratorINS9_10device_ptrIjEEEESE_SE_jNS9_4plusIvEENS9_8equal_toIvEEjEE10hipError_tPvRmT2_T3_T4_T5_mT6_T7_P12ihipStream_tbENKUlT_T0_E_clISt17integral_constantIbLb0EESY_IbLb1EEEEDaSU_SV_EUlSU_E_NS1_11comp_targetILNS1_3genE2ELNS1_11target_archE906ELNS1_3gpuE6ELNS1_3repE0EEENS1_30default_config_static_selectorELNS0_4arch9wavefront6targetE1EEEvT1_,@function
_ZN7rocprim17ROCPRIM_400000_NS6detail17trampoline_kernelINS0_14default_configENS1_27scan_by_key_config_selectorIjjEEZZNS1_16scan_by_key_implILNS1_25lookback_scan_determinismE0ELb0ES3_N6thrust23THRUST_200600_302600_NS6detail15normal_iteratorINS9_10device_ptrIjEEEESE_SE_jNS9_4plusIvEENS9_8equal_toIvEEjEE10hipError_tPvRmT2_T3_T4_T5_mT6_T7_P12ihipStream_tbENKUlT_T0_E_clISt17integral_constantIbLb0EESY_IbLb1EEEEDaSU_SV_EUlSU_E_NS1_11comp_targetILNS1_3genE2ELNS1_11target_archE906ELNS1_3gpuE6ELNS1_3repE0EEENS1_30default_config_static_selectorELNS0_4arch9wavefront6targetE1EEEvT1_: ; @_ZN7rocprim17ROCPRIM_400000_NS6detail17trampoline_kernelINS0_14default_configENS1_27scan_by_key_config_selectorIjjEEZZNS1_16scan_by_key_implILNS1_25lookback_scan_determinismE0ELb0ES3_N6thrust23THRUST_200600_302600_NS6detail15normal_iteratorINS9_10device_ptrIjEEEESE_SE_jNS9_4plusIvEENS9_8equal_toIvEEjEE10hipError_tPvRmT2_T3_T4_T5_mT6_T7_P12ihipStream_tbENKUlT_T0_E_clISt17integral_constantIbLb0EESY_IbLb1EEEEDaSU_SV_EUlSU_E_NS1_11comp_targetILNS1_3genE2ELNS1_11target_archE906ELNS1_3gpuE6ELNS1_3repE0EEENS1_30default_config_static_selectorELNS0_4arch9wavefront6targetE1EEEvT1_
; %bb.0:
	.section	.rodata,"a",@progbits
	.p2align	6, 0x0
	.amdhsa_kernel _ZN7rocprim17ROCPRIM_400000_NS6detail17trampoline_kernelINS0_14default_configENS1_27scan_by_key_config_selectorIjjEEZZNS1_16scan_by_key_implILNS1_25lookback_scan_determinismE0ELb0ES3_N6thrust23THRUST_200600_302600_NS6detail15normal_iteratorINS9_10device_ptrIjEEEESE_SE_jNS9_4plusIvEENS9_8equal_toIvEEjEE10hipError_tPvRmT2_T3_T4_T5_mT6_T7_P12ihipStream_tbENKUlT_T0_E_clISt17integral_constantIbLb0EESY_IbLb1EEEEDaSU_SV_EUlSU_E_NS1_11comp_targetILNS1_3genE2ELNS1_11target_archE906ELNS1_3gpuE6ELNS1_3repE0EEENS1_30default_config_static_selectorELNS0_4arch9wavefront6targetE1EEEvT1_
		.amdhsa_group_segment_fixed_size 0
		.amdhsa_private_segment_fixed_size 0
		.amdhsa_kernarg_size 112
		.amdhsa_user_sgpr_count 2
		.amdhsa_user_sgpr_dispatch_ptr 0
		.amdhsa_user_sgpr_queue_ptr 0
		.amdhsa_user_sgpr_kernarg_segment_ptr 1
		.amdhsa_user_sgpr_dispatch_id 0
		.amdhsa_user_sgpr_kernarg_preload_length 0
		.amdhsa_user_sgpr_kernarg_preload_offset 0
		.amdhsa_user_sgpr_private_segment_size 0
		.amdhsa_uses_dynamic_stack 0
		.amdhsa_enable_private_segment 0
		.amdhsa_system_sgpr_workgroup_id_x 1
		.amdhsa_system_sgpr_workgroup_id_y 0
		.amdhsa_system_sgpr_workgroup_id_z 0
		.amdhsa_system_sgpr_workgroup_info 0
		.amdhsa_system_vgpr_workitem_id 0
		.amdhsa_next_free_vgpr 1
		.amdhsa_next_free_sgpr 0
		.amdhsa_accum_offset 4
		.amdhsa_reserve_vcc 0
		.amdhsa_float_round_mode_32 0
		.amdhsa_float_round_mode_16_64 0
		.amdhsa_float_denorm_mode_32 3
		.amdhsa_float_denorm_mode_16_64 3
		.amdhsa_dx10_clamp 1
		.amdhsa_ieee_mode 1
		.amdhsa_fp16_overflow 0
		.amdhsa_tg_split 0
		.amdhsa_exception_fp_ieee_invalid_op 0
		.amdhsa_exception_fp_denorm_src 0
		.amdhsa_exception_fp_ieee_div_zero 0
		.amdhsa_exception_fp_ieee_overflow 0
		.amdhsa_exception_fp_ieee_underflow 0
		.amdhsa_exception_fp_ieee_inexact 0
		.amdhsa_exception_int_div_zero 0
	.end_amdhsa_kernel
	.section	.text._ZN7rocprim17ROCPRIM_400000_NS6detail17trampoline_kernelINS0_14default_configENS1_27scan_by_key_config_selectorIjjEEZZNS1_16scan_by_key_implILNS1_25lookback_scan_determinismE0ELb0ES3_N6thrust23THRUST_200600_302600_NS6detail15normal_iteratorINS9_10device_ptrIjEEEESE_SE_jNS9_4plusIvEENS9_8equal_toIvEEjEE10hipError_tPvRmT2_T3_T4_T5_mT6_T7_P12ihipStream_tbENKUlT_T0_E_clISt17integral_constantIbLb0EESY_IbLb1EEEEDaSU_SV_EUlSU_E_NS1_11comp_targetILNS1_3genE2ELNS1_11target_archE906ELNS1_3gpuE6ELNS1_3repE0EEENS1_30default_config_static_selectorELNS0_4arch9wavefront6targetE1EEEvT1_,"axG",@progbits,_ZN7rocprim17ROCPRIM_400000_NS6detail17trampoline_kernelINS0_14default_configENS1_27scan_by_key_config_selectorIjjEEZZNS1_16scan_by_key_implILNS1_25lookback_scan_determinismE0ELb0ES3_N6thrust23THRUST_200600_302600_NS6detail15normal_iteratorINS9_10device_ptrIjEEEESE_SE_jNS9_4plusIvEENS9_8equal_toIvEEjEE10hipError_tPvRmT2_T3_T4_T5_mT6_T7_P12ihipStream_tbENKUlT_T0_E_clISt17integral_constantIbLb0EESY_IbLb1EEEEDaSU_SV_EUlSU_E_NS1_11comp_targetILNS1_3genE2ELNS1_11target_archE906ELNS1_3gpuE6ELNS1_3repE0EEENS1_30default_config_static_selectorELNS0_4arch9wavefront6targetE1EEEvT1_,comdat
.Lfunc_end1861:
	.size	_ZN7rocprim17ROCPRIM_400000_NS6detail17trampoline_kernelINS0_14default_configENS1_27scan_by_key_config_selectorIjjEEZZNS1_16scan_by_key_implILNS1_25lookback_scan_determinismE0ELb0ES3_N6thrust23THRUST_200600_302600_NS6detail15normal_iteratorINS9_10device_ptrIjEEEESE_SE_jNS9_4plusIvEENS9_8equal_toIvEEjEE10hipError_tPvRmT2_T3_T4_T5_mT6_T7_P12ihipStream_tbENKUlT_T0_E_clISt17integral_constantIbLb0EESY_IbLb1EEEEDaSU_SV_EUlSU_E_NS1_11comp_targetILNS1_3genE2ELNS1_11target_archE906ELNS1_3gpuE6ELNS1_3repE0EEENS1_30default_config_static_selectorELNS0_4arch9wavefront6targetE1EEEvT1_, .Lfunc_end1861-_ZN7rocprim17ROCPRIM_400000_NS6detail17trampoline_kernelINS0_14default_configENS1_27scan_by_key_config_selectorIjjEEZZNS1_16scan_by_key_implILNS1_25lookback_scan_determinismE0ELb0ES3_N6thrust23THRUST_200600_302600_NS6detail15normal_iteratorINS9_10device_ptrIjEEEESE_SE_jNS9_4plusIvEENS9_8equal_toIvEEjEE10hipError_tPvRmT2_T3_T4_T5_mT6_T7_P12ihipStream_tbENKUlT_T0_E_clISt17integral_constantIbLb0EESY_IbLb1EEEEDaSU_SV_EUlSU_E_NS1_11comp_targetILNS1_3genE2ELNS1_11target_archE906ELNS1_3gpuE6ELNS1_3repE0EEENS1_30default_config_static_selectorELNS0_4arch9wavefront6targetE1EEEvT1_
                                        ; -- End function
	.section	.AMDGPU.csdata,"",@progbits
; Kernel info:
; codeLenInByte = 0
; NumSgprs: 6
; NumVgprs: 0
; NumAgprs: 0
; TotalNumVgprs: 0
; ScratchSize: 0
; MemoryBound: 0
; FloatMode: 240
; IeeeMode: 1
; LDSByteSize: 0 bytes/workgroup (compile time only)
; SGPRBlocks: 0
; VGPRBlocks: 0
; NumSGPRsForWavesPerEU: 6
; NumVGPRsForWavesPerEU: 1
; AccumOffset: 4
; Occupancy: 8
; WaveLimiterHint : 0
; COMPUTE_PGM_RSRC2:SCRATCH_EN: 0
; COMPUTE_PGM_RSRC2:USER_SGPR: 2
; COMPUTE_PGM_RSRC2:TRAP_HANDLER: 0
; COMPUTE_PGM_RSRC2:TGID_X_EN: 1
; COMPUTE_PGM_RSRC2:TGID_Y_EN: 0
; COMPUTE_PGM_RSRC2:TGID_Z_EN: 0
; COMPUTE_PGM_RSRC2:TIDIG_COMP_CNT: 0
; COMPUTE_PGM_RSRC3_GFX90A:ACCUM_OFFSET: 0
; COMPUTE_PGM_RSRC3_GFX90A:TG_SPLIT: 0
	.section	.text._ZN7rocprim17ROCPRIM_400000_NS6detail17trampoline_kernelINS0_14default_configENS1_27scan_by_key_config_selectorIjjEEZZNS1_16scan_by_key_implILNS1_25lookback_scan_determinismE0ELb0ES3_N6thrust23THRUST_200600_302600_NS6detail15normal_iteratorINS9_10device_ptrIjEEEESE_SE_jNS9_4plusIvEENS9_8equal_toIvEEjEE10hipError_tPvRmT2_T3_T4_T5_mT6_T7_P12ihipStream_tbENKUlT_T0_E_clISt17integral_constantIbLb0EESY_IbLb1EEEEDaSU_SV_EUlSU_E_NS1_11comp_targetILNS1_3genE10ELNS1_11target_archE1200ELNS1_3gpuE4ELNS1_3repE0EEENS1_30default_config_static_selectorELNS0_4arch9wavefront6targetE1EEEvT1_,"axG",@progbits,_ZN7rocprim17ROCPRIM_400000_NS6detail17trampoline_kernelINS0_14default_configENS1_27scan_by_key_config_selectorIjjEEZZNS1_16scan_by_key_implILNS1_25lookback_scan_determinismE0ELb0ES3_N6thrust23THRUST_200600_302600_NS6detail15normal_iteratorINS9_10device_ptrIjEEEESE_SE_jNS9_4plusIvEENS9_8equal_toIvEEjEE10hipError_tPvRmT2_T3_T4_T5_mT6_T7_P12ihipStream_tbENKUlT_T0_E_clISt17integral_constantIbLb0EESY_IbLb1EEEEDaSU_SV_EUlSU_E_NS1_11comp_targetILNS1_3genE10ELNS1_11target_archE1200ELNS1_3gpuE4ELNS1_3repE0EEENS1_30default_config_static_selectorELNS0_4arch9wavefront6targetE1EEEvT1_,comdat
	.protected	_ZN7rocprim17ROCPRIM_400000_NS6detail17trampoline_kernelINS0_14default_configENS1_27scan_by_key_config_selectorIjjEEZZNS1_16scan_by_key_implILNS1_25lookback_scan_determinismE0ELb0ES3_N6thrust23THRUST_200600_302600_NS6detail15normal_iteratorINS9_10device_ptrIjEEEESE_SE_jNS9_4plusIvEENS9_8equal_toIvEEjEE10hipError_tPvRmT2_T3_T4_T5_mT6_T7_P12ihipStream_tbENKUlT_T0_E_clISt17integral_constantIbLb0EESY_IbLb1EEEEDaSU_SV_EUlSU_E_NS1_11comp_targetILNS1_3genE10ELNS1_11target_archE1200ELNS1_3gpuE4ELNS1_3repE0EEENS1_30default_config_static_selectorELNS0_4arch9wavefront6targetE1EEEvT1_ ; -- Begin function _ZN7rocprim17ROCPRIM_400000_NS6detail17trampoline_kernelINS0_14default_configENS1_27scan_by_key_config_selectorIjjEEZZNS1_16scan_by_key_implILNS1_25lookback_scan_determinismE0ELb0ES3_N6thrust23THRUST_200600_302600_NS6detail15normal_iteratorINS9_10device_ptrIjEEEESE_SE_jNS9_4plusIvEENS9_8equal_toIvEEjEE10hipError_tPvRmT2_T3_T4_T5_mT6_T7_P12ihipStream_tbENKUlT_T0_E_clISt17integral_constantIbLb0EESY_IbLb1EEEEDaSU_SV_EUlSU_E_NS1_11comp_targetILNS1_3genE10ELNS1_11target_archE1200ELNS1_3gpuE4ELNS1_3repE0EEENS1_30default_config_static_selectorELNS0_4arch9wavefront6targetE1EEEvT1_
	.globl	_ZN7rocprim17ROCPRIM_400000_NS6detail17trampoline_kernelINS0_14default_configENS1_27scan_by_key_config_selectorIjjEEZZNS1_16scan_by_key_implILNS1_25lookback_scan_determinismE0ELb0ES3_N6thrust23THRUST_200600_302600_NS6detail15normal_iteratorINS9_10device_ptrIjEEEESE_SE_jNS9_4plusIvEENS9_8equal_toIvEEjEE10hipError_tPvRmT2_T3_T4_T5_mT6_T7_P12ihipStream_tbENKUlT_T0_E_clISt17integral_constantIbLb0EESY_IbLb1EEEEDaSU_SV_EUlSU_E_NS1_11comp_targetILNS1_3genE10ELNS1_11target_archE1200ELNS1_3gpuE4ELNS1_3repE0EEENS1_30default_config_static_selectorELNS0_4arch9wavefront6targetE1EEEvT1_
	.p2align	8
	.type	_ZN7rocprim17ROCPRIM_400000_NS6detail17trampoline_kernelINS0_14default_configENS1_27scan_by_key_config_selectorIjjEEZZNS1_16scan_by_key_implILNS1_25lookback_scan_determinismE0ELb0ES3_N6thrust23THRUST_200600_302600_NS6detail15normal_iteratorINS9_10device_ptrIjEEEESE_SE_jNS9_4plusIvEENS9_8equal_toIvEEjEE10hipError_tPvRmT2_T3_T4_T5_mT6_T7_P12ihipStream_tbENKUlT_T0_E_clISt17integral_constantIbLb0EESY_IbLb1EEEEDaSU_SV_EUlSU_E_NS1_11comp_targetILNS1_3genE10ELNS1_11target_archE1200ELNS1_3gpuE4ELNS1_3repE0EEENS1_30default_config_static_selectorELNS0_4arch9wavefront6targetE1EEEvT1_,@function
_ZN7rocprim17ROCPRIM_400000_NS6detail17trampoline_kernelINS0_14default_configENS1_27scan_by_key_config_selectorIjjEEZZNS1_16scan_by_key_implILNS1_25lookback_scan_determinismE0ELb0ES3_N6thrust23THRUST_200600_302600_NS6detail15normal_iteratorINS9_10device_ptrIjEEEESE_SE_jNS9_4plusIvEENS9_8equal_toIvEEjEE10hipError_tPvRmT2_T3_T4_T5_mT6_T7_P12ihipStream_tbENKUlT_T0_E_clISt17integral_constantIbLb0EESY_IbLb1EEEEDaSU_SV_EUlSU_E_NS1_11comp_targetILNS1_3genE10ELNS1_11target_archE1200ELNS1_3gpuE4ELNS1_3repE0EEENS1_30default_config_static_selectorELNS0_4arch9wavefront6targetE1EEEvT1_: ; @_ZN7rocprim17ROCPRIM_400000_NS6detail17trampoline_kernelINS0_14default_configENS1_27scan_by_key_config_selectorIjjEEZZNS1_16scan_by_key_implILNS1_25lookback_scan_determinismE0ELb0ES3_N6thrust23THRUST_200600_302600_NS6detail15normal_iteratorINS9_10device_ptrIjEEEESE_SE_jNS9_4plusIvEENS9_8equal_toIvEEjEE10hipError_tPvRmT2_T3_T4_T5_mT6_T7_P12ihipStream_tbENKUlT_T0_E_clISt17integral_constantIbLb0EESY_IbLb1EEEEDaSU_SV_EUlSU_E_NS1_11comp_targetILNS1_3genE10ELNS1_11target_archE1200ELNS1_3gpuE4ELNS1_3repE0EEENS1_30default_config_static_selectorELNS0_4arch9wavefront6targetE1EEEvT1_
; %bb.0:
	.section	.rodata,"a",@progbits
	.p2align	6, 0x0
	.amdhsa_kernel _ZN7rocprim17ROCPRIM_400000_NS6detail17trampoline_kernelINS0_14default_configENS1_27scan_by_key_config_selectorIjjEEZZNS1_16scan_by_key_implILNS1_25lookback_scan_determinismE0ELb0ES3_N6thrust23THRUST_200600_302600_NS6detail15normal_iteratorINS9_10device_ptrIjEEEESE_SE_jNS9_4plusIvEENS9_8equal_toIvEEjEE10hipError_tPvRmT2_T3_T4_T5_mT6_T7_P12ihipStream_tbENKUlT_T0_E_clISt17integral_constantIbLb0EESY_IbLb1EEEEDaSU_SV_EUlSU_E_NS1_11comp_targetILNS1_3genE10ELNS1_11target_archE1200ELNS1_3gpuE4ELNS1_3repE0EEENS1_30default_config_static_selectorELNS0_4arch9wavefront6targetE1EEEvT1_
		.amdhsa_group_segment_fixed_size 0
		.amdhsa_private_segment_fixed_size 0
		.amdhsa_kernarg_size 112
		.amdhsa_user_sgpr_count 2
		.amdhsa_user_sgpr_dispatch_ptr 0
		.amdhsa_user_sgpr_queue_ptr 0
		.amdhsa_user_sgpr_kernarg_segment_ptr 1
		.amdhsa_user_sgpr_dispatch_id 0
		.amdhsa_user_sgpr_kernarg_preload_length 0
		.amdhsa_user_sgpr_kernarg_preload_offset 0
		.amdhsa_user_sgpr_private_segment_size 0
		.amdhsa_uses_dynamic_stack 0
		.amdhsa_enable_private_segment 0
		.amdhsa_system_sgpr_workgroup_id_x 1
		.amdhsa_system_sgpr_workgroup_id_y 0
		.amdhsa_system_sgpr_workgroup_id_z 0
		.amdhsa_system_sgpr_workgroup_info 0
		.amdhsa_system_vgpr_workitem_id 0
		.amdhsa_next_free_vgpr 1
		.amdhsa_next_free_sgpr 0
		.amdhsa_accum_offset 4
		.amdhsa_reserve_vcc 0
		.amdhsa_float_round_mode_32 0
		.amdhsa_float_round_mode_16_64 0
		.amdhsa_float_denorm_mode_32 3
		.amdhsa_float_denorm_mode_16_64 3
		.amdhsa_dx10_clamp 1
		.amdhsa_ieee_mode 1
		.amdhsa_fp16_overflow 0
		.amdhsa_tg_split 0
		.amdhsa_exception_fp_ieee_invalid_op 0
		.amdhsa_exception_fp_denorm_src 0
		.amdhsa_exception_fp_ieee_div_zero 0
		.amdhsa_exception_fp_ieee_overflow 0
		.amdhsa_exception_fp_ieee_underflow 0
		.amdhsa_exception_fp_ieee_inexact 0
		.amdhsa_exception_int_div_zero 0
	.end_amdhsa_kernel
	.section	.text._ZN7rocprim17ROCPRIM_400000_NS6detail17trampoline_kernelINS0_14default_configENS1_27scan_by_key_config_selectorIjjEEZZNS1_16scan_by_key_implILNS1_25lookback_scan_determinismE0ELb0ES3_N6thrust23THRUST_200600_302600_NS6detail15normal_iteratorINS9_10device_ptrIjEEEESE_SE_jNS9_4plusIvEENS9_8equal_toIvEEjEE10hipError_tPvRmT2_T3_T4_T5_mT6_T7_P12ihipStream_tbENKUlT_T0_E_clISt17integral_constantIbLb0EESY_IbLb1EEEEDaSU_SV_EUlSU_E_NS1_11comp_targetILNS1_3genE10ELNS1_11target_archE1200ELNS1_3gpuE4ELNS1_3repE0EEENS1_30default_config_static_selectorELNS0_4arch9wavefront6targetE1EEEvT1_,"axG",@progbits,_ZN7rocprim17ROCPRIM_400000_NS6detail17trampoline_kernelINS0_14default_configENS1_27scan_by_key_config_selectorIjjEEZZNS1_16scan_by_key_implILNS1_25lookback_scan_determinismE0ELb0ES3_N6thrust23THRUST_200600_302600_NS6detail15normal_iteratorINS9_10device_ptrIjEEEESE_SE_jNS9_4plusIvEENS9_8equal_toIvEEjEE10hipError_tPvRmT2_T3_T4_T5_mT6_T7_P12ihipStream_tbENKUlT_T0_E_clISt17integral_constantIbLb0EESY_IbLb1EEEEDaSU_SV_EUlSU_E_NS1_11comp_targetILNS1_3genE10ELNS1_11target_archE1200ELNS1_3gpuE4ELNS1_3repE0EEENS1_30default_config_static_selectorELNS0_4arch9wavefront6targetE1EEEvT1_,comdat
.Lfunc_end1862:
	.size	_ZN7rocprim17ROCPRIM_400000_NS6detail17trampoline_kernelINS0_14default_configENS1_27scan_by_key_config_selectorIjjEEZZNS1_16scan_by_key_implILNS1_25lookback_scan_determinismE0ELb0ES3_N6thrust23THRUST_200600_302600_NS6detail15normal_iteratorINS9_10device_ptrIjEEEESE_SE_jNS9_4plusIvEENS9_8equal_toIvEEjEE10hipError_tPvRmT2_T3_T4_T5_mT6_T7_P12ihipStream_tbENKUlT_T0_E_clISt17integral_constantIbLb0EESY_IbLb1EEEEDaSU_SV_EUlSU_E_NS1_11comp_targetILNS1_3genE10ELNS1_11target_archE1200ELNS1_3gpuE4ELNS1_3repE0EEENS1_30default_config_static_selectorELNS0_4arch9wavefront6targetE1EEEvT1_, .Lfunc_end1862-_ZN7rocprim17ROCPRIM_400000_NS6detail17trampoline_kernelINS0_14default_configENS1_27scan_by_key_config_selectorIjjEEZZNS1_16scan_by_key_implILNS1_25lookback_scan_determinismE0ELb0ES3_N6thrust23THRUST_200600_302600_NS6detail15normal_iteratorINS9_10device_ptrIjEEEESE_SE_jNS9_4plusIvEENS9_8equal_toIvEEjEE10hipError_tPvRmT2_T3_T4_T5_mT6_T7_P12ihipStream_tbENKUlT_T0_E_clISt17integral_constantIbLb0EESY_IbLb1EEEEDaSU_SV_EUlSU_E_NS1_11comp_targetILNS1_3genE10ELNS1_11target_archE1200ELNS1_3gpuE4ELNS1_3repE0EEENS1_30default_config_static_selectorELNS0_4arch9wavefront6targetE1EEEvT1_
                                        ; -- End function
	.section	.AMDGPU.csdata,"",@progbits
; Kernel info:
; codeLenInByte = 0
; NumSgprs: 6
; NumVgprs: 0
; NumAgprs: 0
; TotalNumVgprs: 0
; ScratchSize: 0
; MemoryBound: 0
; FloatMode: 240
; IeeeMode: 1
; LDSByteSize: 0 bytes/workgroup (compile time only)
; SGPRBlocks: 0
; VGPRBlocks: 0
; NumSGPRsForWavesPerEU: 6
; NumVGPRsForWavesPerEU: 1
; AccumOffset: 4
; Occupancy: 8
; WaveLimiterHint : 0
; COMPUTE_PGM_RSRC2:SCRATCH_EN: 0
; COMPUTE_PGM_RSRC2:USER_SGPR: 2
; COMPUTE_PGM_RSRC2:TRAP_HANDLER: 0
; COMPUTE_PGM_RSRC2:TGID_X_EN: 1
; COMPUTE_PGM_RSRC2:TGID_Y_EN: 0
; COMPUTE_PGM_RSRC2:TGID_Z_EN: 0
; COMPUTE_PGM_RSRC2:TIDIG_COMP_CNT: 0
; COMPUTE_PGM_RSRC3_GFX90A:ACCUM_OFFSET: 0
; COMPUTE_PGM_RSRC3_GFX90A:TG_SPLIT: 0
	.section	.text._ZN7rocprim17ROCPRIM_400000_NS6detail17trampoline_kernelINS0_14default_configENS1_27scan_by_key_config_selectorIjjEEZZNS1_16scan_by_key_implILNS1_25lookback_scan_determinismE0ELb0ES3_N6thrust23THRUST_200600_302600_NS6detail15normal_iteratorINS9_10device_ptrIjEEEESE_SE_jNS9_4plusIvEENS9_8equal_toIvEEjEE10hipError_tPvRmT2_T3_T4_T5_mT6_T7_P12ihipStream_tbENKUlT_T0_E_clISt17integral_constantIbLb0EESY_IbLb1EEEEDaSU_SV_EUlSU_E_NS1_11comp_targetILNS1_3genE9ELNS1_11target_archE1100ELNS1_3gpuE3ELNS1_3repE0EEENS1_30default_config_static_selectorELNS0_4arch9wavefront6targetE1EEEvT1_,"axG",@progbits,_ZN7rocprim17ROCPRIM_400000_NS6detail17trampoline_kernelINS0_14default_configENS1_27scan_by_key_config_selectorIjjEEZZNS1_16scan_by_key_implILNS1_25lookback_scan_determinismE0ELb0ES3_N6thrust23THRUST_200600_302600_NS6detail15normal_iteratorINS9_10device_ptrIjEEEESE_SE_jNS9_4plusIvEENS9_8equal_toIvEEjEE10hipError_tPvRmT2_T3_T4_T5_mT6_T7_P12ihipStream_tbENKUlT_T0_E_clISt17integral_constantIbLb0EESY_IbLb1EEEEDaSU_SV_EUlSU_E_NS1_11comp_targetILNS1_3genE9ELNS1_11target_archE1100ELNS1_3gpuE3ELNS1_3repE0EEENS1_30default_config_static_selectorELNS0_4arch9wavefront6targetE1EEEvT1_,comdat
	.protected	_ZN7rocprim17ROCPRIM_400000_NS6detail17trampoline_kernelINS0_14default_configENS1_27scan_by_key_config_selectorIjjEEZZNS1_16scan_by_key_implILNS1_25lookback_scan_determinismE0ELb0ES3_N6thrust23THRUST_200600_302600_NS6detail15normal_iteratorINS9_10device_ptrIjEEEESE_SE_jNS9_4plusIvEENS9_8equal_toIvEEjEE10hipError_tPvRmT2_T3_T4_T5_mT6_T7_P12ihipStream_tbENKUlT_T0_E_clISt17integral_constantIbLb0EESY_IbLb1EEEEDaSU_SV_EUlSU_E_NS1_11comp_targetILNS1_3genE9ELNS1_11target_archE1100ELNS1_3gpuE3ELNS1_3repE0EEENS1_30default_config_static_selectorELNS0_4arch9wavefront6targetE1EEEvT1_ ; -- Begin function _ZN7rocprim17ROCPRIM_400000_NS6detail17trampoline_kernelINS0_14default_configENS1_27scan_by_key_config_selectorIjjEEZZNS1_16scan_by_key_implILNS1_25lookback_scan_determinismE0ELb0ES3_N6thrust23THRUST_200600_302600_NS6detail15normal_iteratorINS9_10device_ptrIjEEEESE_SE_jNS9_4plusIvEENS9_8equal_toIvEEjEE10hipError_tPvRmT2_T3_T4_T5_mT6_T7_P12ihipStream_tbENKUlT_T0_E_clISt17integral_constantIbLb0EESY_IbLb1EEEEDaSU_SV_EUlSU_E_NS1_11comp_targetILNS1_3genE9ELNS1_11target_archE1100ELNS1_3gpuE3ELNS1_3repE0EEENS1_30default_config_static_selectorELNS0_4arch9wavefront6targetE1EEEvT1_
	.globl	_ZN7rocprim17ROCPRIM_400000_NS6detail17trampoline_kernelINS0_14default_configENS1_27scan_by_key_config_selectorIjjEEZZNS1_16scan_by_key_implILNS1_25lookback_scan_determinismE0ELb0ES3_N6thrust23THRUST_200600_302600_NS6detail15normal_iteratorINS9_10device_ptrIjEEEESE_SE_jNS9_4plusIvEENS9_8equal_toIvEEjEE10hipError_tPvRmT2_T3_T4_T5_mT6_T7_P12ihipStream_tbENKUlT_T0_E_clISt17integral_constantIbLb0EESY_IbLb1EEEEDaSU_SV_EUlSU_E_NS1_11comp_targetILNS1_3genE9ELNS1_11target_archE1100ELNS1_3gpuE3ELNS1_3repE0EEENS1_30default_config_static_selectorELNS0_4arch9wavefront6targetE1EEEvT1_
	.p2align	8
	.type	_ZN7rocprim17ROCPRIM_400000_NS6detail17trampoline_kernelINS0_14default_configENS1_27scan_by_key_config_selectorIjjEEZZNS1_16scan_by_key_implILNS1_25lookback_scan_determinismE0ELb0ES3_N6thrust23THRUST_200600_302600_NS6detail15normal_iteratorINS9_10device_ptrIjEEEESE_SE_jNS9_4plusIvEENS9_8equal_toIvEEjEE10hipError_tPvRmT2_T3_T4_T5_mT6_T7_P12ihipStream_tbENKUlT_T0_E_clISt17integral_constantIbLb0EESY_IbLb1EEEEDaSU_SV_EUlSU_E_NS1_11comp_targetILNS1_3genE9ELNS1_11target_archE1100ELNS1_3gpuE3ELNS1_3repE0EEENS1_30default_config_static_selectorELNS0_4arch9wavefront6targetE1EEEvT1_,@function
_ZN7rocprim17ROCPRIM_400000_NS6detail17trampoline_kernelINS0_14default_configENS1_27scan_by_key_config_selectorIjjEEZZNS1_16scan_by_key_implILNS1_25lookback_scan_determinismE0ELb0ES3_N6thrust23THRUST_200600_302600_NS6detail15normal_iteratorINS9_10device_ptrIjEEEESE_SE_jNS9_4plusIvEENS9_8equal_toIvEEjEE10hipError_tPvRmT2_T3_T4_T5_mT6_T7_P12ihipStream_tbENKUlT_T0_E_clISt17integral_constantIbLb0EESY_IbLb1EEEEDaSU_SV_EUlSU_E_NS1_11comp_targetILNS1_3genE9ELNS1_11target_archE1100ELNS1_3gpuE3ELNS1_3repE0EEENS1_30default_config_static_selectorELNS0_4arch9wavefront6targetE1EEEvT1_: ; @_ZN7rocprim17ROCPRIM_400000_NS6detail17trampoline_kernelINS0_14default_configENS1_27scan_by_key_config_selectorIjjEEZZNS1_16scan_by_key_implILNS1_25lookback_scan_determinismE0ELb0ES3_N6thrust23THRUST_200600_302600_NS6detail15normal_iteratorINS9_10device_ptrIjEEEESE_SE_jNS9_4plusIvEENS9_8equal_toIvEEjEE10hipError_tPvRmT2_T3_T4_T5_mT6_T7_P12ihipStream_tbENKUlT_T0_E_clISt17integral_constantIbLb0EESY_IbLb1EEEEDaSU_SV_EUlSU_E_NS1_11comp_targetILNS1_3genE9ELNS1_11target_archE1100ELNS1_3gpuE3ELNS1_3repE0EEENS1_30default_config_static_selectorELNS0_4arch9wavefront6targetE1EEEvT1_
; %bb.0:
	.section	.rodata,"a",@progbits
	.p2align	6, 0x0
	.amdhsa_kernel _ZN7rocprim17ROCPRIM_400000_NS6detail17trampoline_kernelINS0_14default_configENS1_27scan_by_key_config_selectorIjjEEZZNS1_16scan_by_key_implILNS1_25lookback_scan_determinismE0ELb0ES3_N6thrust23THRUST_200600_302600_NS6detail15normal_iteratorINS9_10device_ptrIjEEEESE_SE_jNS9_4plusIvEENS9_8equal_toIvEEjEE10hipError_tPvRmT2_T3_T4_T5_mT6_T7_P12ihipStream_tbENKUlT_T0_E_clISt17integral_constantIbLb0EESY_IbLb1EEEEDaSU_SV_EUlSU_E_NS1_11comp_targetILNS1_3genE9ELNS1_11target_archE1100ELNS1_3gpuE3ELNS1_3repE0EEENS1_30default_config_static_selectorELNS0_4arch9wavefront6targetE1EEEvT1_
		.amdhsa_group_segment_fixed_size 0
		.amdhsa_private_segment_fixed_size 0
		.amdhsa_kernarg_size 112
		.amdhsa_user_sgpr_count 2
		.amdhsa_user_sgpr_dispatch_ptr 0
		.amdhsa_user_sgpr_queue_ptr 0
		.amdhsa_user_sgpr_kernarg_segment_ptr 1
		.amdhsa_user_sgpr_dispatch_id 0
		.amdhsa_user_sgpr_kernarg_preload_length 0
		.amdhsa_user_sgpr_kernarg_preload_offset 0
		.amdhsa_user_sgpr_private_segment_size 0
		.amdhsa_uses_dynamic_stack 0
		.amdhsa_enable_private_segment 0
		.amdhsa_system_sgpr_workgroup_id_x 1
		.amdhsa_system_sgpr_workgroup_id_y 0
		.amdhsa_system_sgpr_workgroup_id_z 0
		.amdhsa_system_sgpr_workgroup_info 0
		.amdhsa_system_vgpr_workitem_id 0
		.amdhsa_next_free_vgpr 1
		.amdhsa_next_free_sgpr 0
		.amdhsa_accum_offset 4
		.amdhsa_reserve_vcc 0
		.amdhsa_float_round_mode_32 0
		.amdhsa_float_round_mode_16_64 0
		.amdhsa_float_denorm_mode_32 3
		.amdhsa_float_denorm_mode_16_64 3
		.amdhsa_dx10_clamp 1
		.amdhsa_ieee_mode 1
		.amdhsa_fp16_overflow 0
		.amdhsa_tg_split 0
		.amdhsa_exception_fp_ieee_invalid_op 0
		.amdhsa_exception_fp_denorm_src 0
		.amdhsa_exception_fp_ieee_div_zero 0
		.amdhsa_exception_fp_ieee_overflow 0
		.amdhsa_exception_fp_ieee_underflow 0
		.amdhsa_exception_fp_ieee_inexact 0
		.amdhsa_exception_int_div_zero 0
	.end_amdhsa_kernel
	.section	.text._ZN7rocprim17ROCPRIM_400000_NS6detail17trampoline_kernelINS0_14default_configENS1_27scan_by_key_config_selectorIjjEEZZNS1_16scan_by_key_implILNS1_25lookback_scan_determinismE0ELb0ES3_N6thrust23THRUST_200600_302600_NS6detail15normal_iteratorINS9_10device_ptrIjEEEESE_SE_jNS9_4plusIvEENS9_8equal_toIvEEjEE10hipError_tPvRmT2_T3_T4_T5_mT6_T7_P12ihipStream_tbENKUlT_T0_E_clISt17integral_constantIbLb0EESY_IbLb1EEEEDaSU_SV_EUlSU_E_NS1_11comp_targetILNS1_3genE9ELNS1_11target_archE1100ELNS1_3gpuE3ELNS1_3repE0EEENS1_30default_config_static_selectorELNS0_4arch9wavefront6targetE1EEEvT1_,"axG",@progbits,_ZN7rocprim17ROCPRIM_400000_NS6detail17trampoline_kernelINS0_14default_configENS1_27scan_by_key_config_selectorIjjEEZZNS1_16scan_by_key_implILNS1_25lookback_scan_determinismE0ELb0ES3_N6thrust23THRUST_200600_302600_NS6detail15normal_iteratorINS9_10device_ptrIjEEEESE_SE_jNS9_4plusIvEENS9_8equal_toIvEEjEE10hipError_tPvRmT2_T3_T4_T5_mT6_T7_P12ihipStream_tbENKUlT_T0_E_clISt17integral_constantIbLb0EESY_IbLb1EEEEDaSU_SV_EUlSU_E_NS1_11comp_targetILNS1_3genE9ELNS1_11target_archE1100ELNS1_3gpuE3ELNS1_3repE0EEENS1_30default_config_static_selectorELNS0_4arch9wavefront6targetE1EEEvT1_,comdat
.Lfunc_end1863:
	.size	_ZN7rocprim17ROCPRIM_400000_NS6detail17trampoline_kernelINS0_14default_configENS1_27scan_by_key_config_selectorIjjEEZZNS1_16scan_by_key_implILNS1_25lookback_scan_determinismE0ELb0ES3_N6thrust23THRUST_200600_302600_NS6detail15normal_iteratorINS9_10device_ptrIjEEEESE_SE_jNS9_4plusIvEENS9_8equal_toIvEEjEE10hipError_tPvRmT2_T3_T4_T5_mT6_T7_P12ihipStream_tbENKUlT_T0_E_clISt17integral_constantIbLb0EESY_IbLb1EEEEDaSU_SV_EUlSU_E_NS1_11comp_targetILNS1_3genE9ELNS1_11target_archE1100ELNS1_3gpuE3ELNS1_3repE0EEENS1_30default_config_static_selectorELNS0_4arch9wavefront6targetE1EEEvT1_, .Lfunc_end1863-_ZN7rocprim17ROCPRIM_400000_NS6detail17trampoline_kernelINS0_14default_configENS1_27scan_by_key_config_selectorIjjEEZZNS1_16scan_by_key_implILNS1_25lookback_scan_determinismE0ELb0ES3_N6thrust23THRUST_200600_302600_NS6detail15normal_iteratorINS9_10device_ptrIjEEEESE_SE_jNS9_4plusIvEENS9_8equal_toIvEEjEE10hipError_tPvRmT2_T3_T4_T5_mT6_T7_P12ihipStream_tbENKUlT_T0_E_clISt17integral_constantIbLb0EESY_IbLb1EEEEDaSU_SV_EUlSU_E_NS1_11comp_targetILNS1_3genE9ELNS1_11target_archE1100ELNS1_3gpuE3ELNS1_3repE0EEENS1_30default_config_static_selectorELNS0_4arch9wavefront6targetE1EEEvT1_
                                        ; -- End function
	.section	.AMDGPU.csdata,"",@progbits
; Kernel info:
; codeLenInByte = 0
; NumSgprs: 6
; NumVgprs: 0
; NumAgprs: 0
; TotalNumVgprs: 0
; ScratchSize: 0
; MemoryBound: 0
; FloatMode: 240
; IeeeMode: 1
; LDSByteSize: 0 bytes/workgroup (compile time only)
; SGPRBlocks: 0
; VGPRBlocks: 0
; NumSGPRsForWavesPerEU: 6
; NumVGPRsForWavesPerEU: 1
; AccumOffset: 4
; Occupancy: 8
; WaveLimiterHint : 0
; COMPUTE_PGM_RSRC2:SCRATCH_EN: 0
; COMPUTE_PGM_RSRC2:USER_SGPR: 2
; COMPUTE_PGM_RSRC2:TRAP_HANDLER: 0
; COMPUTE_PGM_RSRC2:TGID_X_EN: 1
; COMPUTE_PGM_RSRC2:TGID_Y_EN: 0
; COMPUTE_PGM_RSRC2:TGID_Z_EN: 0
; COMPUTE_PGM_RSRC2:TIDIG_COMP_CNT: 0
; COMPUTE_PGM_RSRC3_GFX90A:ACCUM_OFFSET: 0
; COMPUTE_PGM_RSRC3_GFX90A:TG_SPLIT: 0
	.section	.text._ZN7rocprim17ROCPRIM_400000_NS6detail17trampoline_kernelINS0_14default_configENS1_27scan_by_key_config_selectorIjjEEZZNS1_16scan_by_key_implILNS1_25lookback_scan_determinismE0ELb0ES3_N6thrust23THRUST_200600_302600_NS6detail15normal_iteratorINS9_10device_ptrIjEEEESE_SE_jNS9_4plusIvEENS9_8equal_toIvEEjEE10hipError_tPvRmT2_T3_T4_T5_mT6_T7_P12ihipStream_tbENKUlT_T0_E_clISt17integral_constantIbLb0EESY_IbLb1EEEEDaSU_SV_EUlSU_E_NS1_11comp_targetILNS1_3genE8ELNS1_11target_archE1030ELNS1_3gpuE2ELNS1_3repE0EEENS1_30default_config_static_selectorELNS0_4arch9wavefront6targetE1EEEvT1_,"axG",@progbits,_ZN7rocprim17ROCPRIM_400000_NS6detail17trampoline_kernelINS0_14default_configENS1_27scan_by_key_config_selectorIjjEEZZNS1_16scan_by_key_implILNS1_25lookback_scan_determinismE0ELb0ES3_N6thrust23THRUST_200600_302600_NS6detail15normal_iteratorINS9_10device_ptrIjEEEESE_SE_jNS9_4plusIvEENS9_8equal_toIvEEjEE10hipError_tPvRmT2_T3_T4_T5_mT6_T7_P12ihipStream_tbENKUlT_T0_E_clISt17integral_constantIbLb0EESY_IbLb1EEEEDaSU_SV_EUlSU_E_NS1_11comp_targetILNS1_3genE8ELNS1_11target_archE1030ELNS1_3gpuE2ELNS1_3repE0EEENS1_30default_config_static_selectorELNS0_4arch9wavefront6targetE1EEEvT1_,comdat
	.protected	_ZN7rocprim17ROCPRIM_400000_NS6detail17trampoline_kernelINS0_14default_configENS1_27scan_by_key_config_selectorIjjEEZZNS1_16scan_by_key_implILNS1_25lookback_scan_determinismE0ELb0ES3_N6thrust23THRUST_200600_302600_NS6detail15normal_iteratorINS9_10device_ptrIjEEEESE_SE_jNS9_4plusIvEENS9_8equal_toIvEEjEE10hipError_tPvRmT2_T3_T4_T5_mT6_T7_P12ihipStream_tbENKUlT_T0_E_clISt17integral_constantIbLb0EESY_IbLb1EEEEDaSU_SV_EUlSU_E_NS1_11comp_targetILNS1_3genE8ELNS1_11target_archE1030ELNS1_3gpuE2ELNS1_3repE0EEENS1_30default_config_static_selectorELNS0_4arch9wavefront6targetE1EEEvT1_ ; -- Begin function _ZN7rocprim17ROCPRIM_400000_NS6detail17trampoline_kernelINS0_14default_configENS1_27scan_by_key_config_selectorIjjEEZZNS1_16scan_by_key_implILNS1_25lookback_scan_determinismE0ELb0ES3_N6thrust23THRUST_200600_302600_NS6detail15normal_iteratorINS9_10device_ptrIjEEEESE_SE_jNS9_4plusIvEENS9_8equal_toIvEEjEE10hipError_tPvRmT2_T3_T4_T5_mT6_T7_P12ihipStream_tbENKUlT_T0_E_clISt17integral_constantIbLb0EESY_IbLb1EEEEDaSU_SV_EUlSU_E_NS1_11comp_targetILNS1_3genE8ELNS1_11target_archE1030ELNS1_3gpuE2ELNS1_3repE0EEENS1_30default_config_static_selectorELNS0_4arch9wavefront6targetE1EEEvT1_
	.globl	_ZN7rocprim17ROCPRIM_400000_NS6detail17trampoline_kernelINS0_14default_configENS1_27scan_by_key_config_selectorIjjEEZZNS1_16scan_by_key_implILNS1_25lookback_scan_determinismE0ELb0ES3_N6thrust23THRUST_200600_302600_NS6detail15normal_iteratorINS9_10device_ptrIjEEEESE_SE_jNS9_4plusIvEENS9_8equal_toIvEEjEE10hipError_tPvRmT2_T3_T4_T5_mT6_T7_P12ihipStream_tbENKUlT_T0_E_clISt17integral_constantIbLb0EESY_IbLb1EEEEDaSU_SV_EUlSU_E_NS1_11comp_targetILNS1_3genE8ELNS1_11target_archE1030ELNS1_3gpuE2ELNS1_3repE0EEENS1_30default_config_static_selectorELNS0_4arch9wavefront6targetE1EEEvT1_
	.p2align	8
	.type	_ZN7rocprim17ROCPRIM_400000_NS6detail17trampoline_kernelINS0_14default_configENS1_27scan_by_key_config_selectorIjjEEZZNS1_16scan_by_key_implILNS1_25lookback_scan_determinismE0ELb0ES3_N6thrust23THRUST_200600_302600_NS6detail15normal_iteratorINS9_10device_ptrIjEEEESE_SE_jNS9_4plusIvEENS9_8equal_toIvEEjEE10hipError_tPvRmT2_T3_T4_T5_mT6_T7_P12ihipStream_tbENKUlT_T0_E_clISt17integral_constantIbLb0EESY_IbLb1EEEEDaSU_SV_EUlSU_E_NS1_11comp_targetILNS1_3genE8ELNS1_11target_archE1030ELNS1_3gpuE2ELNS1_3repE0EEENS1_30default_config_static_selectorELNS0_4arch9wavefront6targetE1EEEvT1_,@function
_ZN7rocprim17ROCPRIM_400000_NS6detail17trampoline_kernelINS0_14default_configENS1_27scan_by_key_config_selectorIjjEEZZNS1_16scan_by_key_implILNS1_25lookback_scan_determinismE0ELb0ES3_N6thrust23THRUST_200600_302600_NS6detail15normal_iteratorINS9_10device_ptrIjEEEESE_SE_jNS9_4plusIvEENS9_8equal_toIvEEjEE10hipError_tPvRmT2_T3_T4_T5_mT6_T7_P12ihipStream_tbENKUlT_T0_E_clISt17integral_constantIbLb0EESY_IbLb1EEEEDaSU_SV_EUlSU_E_NS1_11comp_targetILNS1_3genE8ELNS1_11target_archE1030ELNS1_3gpuE2ELNS1_3repE0EEENS1_30default_config_static_selectorELNS0_4arch9wavefront6targetE1EEEvT1_: ; @_ZN7rocprim17ROCPRIM_400000_NS6detail17trampoline_kernelINS0_14default_configENS1_27scan_by_key_config_selectorIjjEEZZNS1_16scan_by_key_implILNS1_25lookback_scan_determinismE0ELb0ES3_N6thrust23THRUST_200600_302600_NS6detail15normal_iteratorINS9_10device_ptrIjEEEESE_SE_jNS9_4plusIvEENS9_8equal_toIvEEjEE10hipError_tPvRmT2_T3_T4_T5_mT6_T7_P12ihipStream_tbENKUlT_T0_E_clISt17integral_constantIbLb0EESY_IbLb1EEEEDaSU_SV_EUlSU_E_NS1_11comp_targetILNS1_3genE8ELNS1_11target_archE1030ELNS1_3gpuE2ELNS1_3repE0EEENS1_30default_config_static_selectorELNS0_4arch9wavefront6targetE1EEEvT1_
; %bb.0:
	.section	.rodata,"a",@progbits
	.p2align	6, 0x0
	.amdhsa_kernel _ZN7rocprim17ROCPRIM_400000_NS6detail17trampoline_kernelINS0_14default_configENS1_27scan_by_key_config_selectorIjjEEZZNS1_16scan_by_key_implILNS1_25lookback_scan_determinismE0ELb0ES3_N6thrust23THRUST_200600_302600_NS6detail15normal_iteratorINS9_10device_ptrIjEEEESE_SE_jNS9_4plusIvEENS9_8equal_toIvEEjEE10hipError_tPvRmT2_T3_T4_T5_mT6_T7_P12ihipStream_tbENKUlT_T0_E_clISt17integral_constantIbLb0EESY_IbLb1EEEEDaSU_SV_EUlSU_E_NS1_11comp_targetILNS1_3genE8ELNS1_11target_archE1030ELNS1_3gpuE2ELNS1_3repE0EEENS1_30default_config_static_selectorELNS0_4arch9wavefront6targetE1EEEvT1_
		.amdhsa_group_segment_fixed_size 0
		.amdhsa_private_segment_fixed_size 0
		.amdhsa_kernarg_size 112
		.amdhsa_user_sgpr_count 2
		.amdhsa_user_sgpr_dispatch_ptr 0
		.amdhsa_user_sgpr_queue_ptr 0
		.amdhsa_user_sgpr_kernarg_segment_ptr 1
		.amdhsa_user_sgpr_dispatch_id 0
		.amdhsa_user_sgpr_kernarg_preload_length 0
		.amdhsa_user_sgpr_kernarg_preload_offset 0
		.amdhsa_user_sgpr_private_segment_size 0
		.amdhsa_uses_dynamic_stack 0
		.amdhsa_enable_private_segment 0
		.amdhsa_system_sgpr_workgroup_id_x 1
		.amdhsa_system_sgpr_workgroup_id_y 0
		.amdhsa_system_sgpr_workgroup_id_z 0
		.amdhsa_system_sgpr_workgroup_info 0
		.amdhsa_system_vgpr_workitem_id 0
		.amdhsa_next_free_vgpr 1
		.amdhsa_next_free_sgpr 0
		.amdhsa_accum_offset 4
		.amdhsa_reserve_vcc 0
		.amdhsa_float_round_mode_32 0
		.amdhsa_float_round_mode_16_64 0
		.amdhsa_float_denorm_mode_32 3
		.amdhsa_float_denorm_mode_16_64 3
		.amdhsa_dx10_clamp 1
		.amdhsa_ieee_mode 1
		.amdhsa_fp16_overflow 0
		.amdhsa_tg_split 0
		.amdhsa_exception_fp_ieee_invalid_op 0
		.amdhsa_exception_fp_denorm_src 0
		.amdhsa_exception_fp_ieee_div_zero 0
		.amdhsa_exception_fp_ieee_overflow 0
		.amdhsa_exception_fp_ieee_underflow 0
		.amdhsa_exception_fp_ieee_inexact 0
		.amdhsa_exception_int_div_zero 0
	.end_amdhsa_kernel
	.section	.text._ZN7rocprim17ROCPRIM_400000_NS6detail17trampoline_kernelINS0_14default_configENS1_27scan_by_key_config_selectorIjjEEZZNS1_16scan_by_key_implILNS1_25lookback_scan_determinismE0ELb0ES3_N6thrust23THRUST_200600_302600_NS6detail15normal_iteratorINS9_10device_ptrIjEEEESE_SE_jNS9_4plusIvEENS9_8equal_toIvEEjEE10hipError_tPvRmT2_T3_T4_T5_mT6_T7_P12ihipStream_tbENKUlT_T0_E_clISt17integral_constantIbLb0EESY_IbLb1EEEEDaSU_SV_EUlSU_E_NS1_11comp_targetILNS1_3genE8ELNS1_11target_archE1030ELNS1_3gpuE2ELNS1_3repE0EEENS1_30default_config_static_selectorELNS0_4arch9wavefront6targetE1EEEvT1_,"axG",@progbits,_ZN7rocprim17ROCPRIM_400000_NS6detail17trampoline_kernelINS0_14default_configENS1_27scan_by_key_config_selectorIjjEEZZNS1_16scan_by_key_implILNS1_25lookback_scan_determinismE0ELb0ES3_N6thrust23THRUST_200600_302600_NS6detail15normal_iteratorINS9_10device_ptrIjEEEESE_SE_jNS9_4plusIvEENS9_8equal_toIvEEjEE10hipError_tPvRmT2_T3_T4_T5_mT6_T7_P12ihipStream_tbENKUlT_T0_E_clISt17integral_constantIbLb0EESY_IbLb1EEEEDaSU_SV_EUlSU_E_NS1_11comp_targetILNS1_3genE8ELNS1_11target_archE1030ELNS1_3gpuE2ELNS1_3repE0EEENS1_30default_config_static_selectorELNS0_4arch9wavefront6targetE1EEEvT1_,comdat
.Lfunc_end1864:
	.size	_ZN7rocprim17ROCPRIM_400000_NS6detail17trampoline_kernelINS0_14default_configENS1_27scan_by_key_config_selectorIjjEEZZNS1_16scan_by_key_implILNS1_25lookback_scan_determinismE0ELb0ES3_N6thrust23THRUST_200600_302600_NS6detail15normal_iteratorINS9_10device_ptrIjEEEESE_SE_jNS9_4plusIvEENS9_8equal_toIvEEjEE10hipError_tPvRmT2_T3_T4_T5_mT6_T7_P12ihipStream_tbENKUlT_T0_E_clISt17integral_constantIbLb0EESY_IbLb1EEEEDaSU_SV_EUlSU_E_NS1_11comp_targetILNS1_3genE8ELNS1_11target_archE1030ELNS1_3gpuE2ELNS1_3repE0EEENS1_30default_config_static_selectorELNS0_4arch9wavefront6targetE1EEEvT1_, .Lfunc_end1864-_ZN7rocprim17ROCPRIM_400000_NS6detail17trampoline_kernelINS0_14default_configENS1_27scan_by_key_config_selectorIjjEEZZNS1_16scan_by_key_implILNS1_25lookback_scan_determinismE0ELb0ES3_N6thrust23THRUST_200600_302600_NS6detail15normal_iteratorINS9_10device_ptrIjEEEESE_SE_jNS9_4plusIvEENS9_8equal_toIvEEjEE10hipError_tPvRmT2_T3_T4_T5_mT6_T7_P12ihipStream_tbENKUlT_T0_E_clISt17integral_constantIbLb0EESY_IbLb1EEEEDaSU_SV_EUlSU_E_NS1_11comp_targetILNS1_3genE8ELNS1_11target_archE1030ELNS1_3gpuE2ELNS1_3repE0EEENS1_30default_config_static_selectorELNS0_4arch9wavefront6targetE1EEEvT1_
                                        ; -- End function
	.section	.AMDGPU.csdata,"",@progbits
; Kernel info:
; codeLenInByte = 0
; NumSgprs: 6
; NumVgprs: 0
; NumAgprs: 0
; TotalNumVgprs: 0
; ScratchSize: 0
; MemoryBound: 0
; FloatMode: 240
; IeeeMode: 1
; LDSByteSize: 0 bytes/workgroup (compile time only)
; SGPRBlocks: 0
; VGPRBlocks: 0
; NumSGPRsForWavesPerEU: 6
; NumVGPRsForWavesPerEU: 1
; AccumOffset: 4
; Occupancy: 8
; WaveLimiterHint : 0
; COMPUTE_PGM_RSRC2:SCRATCH_EN: 0
; COMPUTE_PGM_RSRC2:USER_SGPR: 2
; COMPUTE_PGM_RSRC2:TRAP_HANDLER: 0
; COMPUTE_PGM_RSRC2:TGID_X_EN: 1
; COMPUTE_PGM_RSRC2:TGID_Y_EN: 0
; COMPUTE_PGM_RSRC2:TGID_Z_EN: 0
; COMPUTE_PGM_RSRC2:TIDIG_COMP_CNT: 0
; COMPUTE_PGM_RSRC3_GFX90A:ACCUM_OFFSET: 0
; COMPUTE_PGM_RSRC3_GFX90A:TG_SPLIT: 0
	.section	.text._ZN6thrust23THRUST_200600_302600_NS11hip_rocprim14__parallel_for6kernelILj256ENS1_10for_each_fINS0_10device_ptrI11FixedVectorIiLj1EEEENS0_6detail16wrapped_functionINS9_23allocator_traits_detail5gozerEvEEEElLj1EEEvT0_T1_SG_,"axG",@progbits,_ZN6thrust23THRUST_200600_302600_NS11hip_rocprim14__parallel_for6kernelILj256ENS1_10for_each_fINS0_10device_ptrI11FixedVectorIiLj1EEEENS0_6detail16wrapped_functionINS9_23allocator_traits_detail5gozerEvEEEElLj1EEEvT0_T1_SG_,comdat
	.protected	_ZN6thrust23THRUST_200600_302600_NS11hip_rocprim14__parallel_for6kernelILj256ENS1_10for_each_fINS0_10device_ptrI11FixedVectorIiLj1EEEENS0_6detail16wrapped_functionINS9_23allocator_traits_detail5gozerEvEEEElLj1EEEvT0_T1_SG_ ; -- Begin function _ZN6thrust23THRUST_200600_302600_NS11hip_rocprim14__parallel_for6kernelILj256ENS1_10for_each_fINS0_10device_ptrI11FixedVectorIiLj1EEEENS0_6detail16wrapped_functionINS9_23allocator_traits_detail5gozerEvEEEElLj1EEEvT0_T1_SG_
	.globl	_ZN6thrust23THRUST_200600_302600_NS11hip_rocprim14__parallel_for6kernelILj256ENS1_10for_each_fINS0_10device_ptrI11FixedVectorIiLj1EEEENS0_6detail16wrapped_functionINS9_23allocator_traits_detail5gozerEvEEEElLj1EEEvT0_T1_SG_
	.p2align	8
	.type	_ZN6thrust23THRUST_200600_302600_NS11hip_rocprim14__parallel_for6kernelILj256ENS1_10for_each_fINS0_10device_ptrI11FixedVectorIiLj1EEEENS0_6detail16wrapped_functionINS9_23allocator_traits_detail5gozerEvEEEElLj1EEEvT0_T1_SG_,@function
_ZN6thrust23THRUST_200600_302600_NS11hip_rocprim14__parallel_for6kernelILj256ENS1_10for_each_fINS0_10device_ptrI11FixedVectorIiLj1EEEENS0_6detail16wrapped_functionINS9_23allocator_traits_detail5gozerEvEEEElLj1EEEvT0_T1_SG_: ; @_ZN6thrust23THRUST_200600_302600_NS11hip_rocprim14__parallel_for6kernelILj256ENS1_10for_each_fINS0_10device_ptrI11FixedVectorIiLj1EEEENS0_6detail16wrapped_functionINS9_23allocator_traits_detail5gozerEvEEEElLj1EEEvT0_T1_SG_
; %bb.0:
	s_endpgm
	.section	.rodata,"a",@progbits
	.p2align	6, 0x0
	.amdhsa_kernel _ZN6thrust23THRUST_200600_302600_NS11hip_rocprim14__parallel_for6kernelILj256ENS1_10for_each_fINS0_10device_ptrI11FixedVectorIiLj1EEEENS0_6detail16wrapped_functionINS9_23allocator_traits_detail5gozerEvEEEElLj1EEEvT0_T1_SG_
		.amdhsa_group_segment_fixed_size 0
		.amdhsa_private_segment_fixed_size 0
		.amdhsa_kernarg_size 32
		.amdhsa_user_sgpr_count 2
		.amdhsa_user_sgpr_dispatch_ptr 0
		.amdhsa_user_sgpr_queue_ptr 0
		.amdhsa_user_sgpr_kernarg_segment_ptr 1
		.amdhsa_user_sgpr_dispatch_id 0
		.amdhsa_user_sgpr_kernarg_preload_length 0
		.amdhsa_user_sgpr_kernarg_preload_offset 0
		.amdhsa_user_sgpr_private_segment_size 0
		.amdhsa_uses_dynamic_stack 0
		.amdhsa_enable_private_segment 0
		.amdhsa_system_sgpr_workgroup_id_x 1
		.amdhsa_system_sgpr_workgroup_id_y 0
		.amdhsa_system_sgpr_workgroup_id_z 0
		.amdhsa_system_sgpr_workgroup_info 0
		.amdhsa_system_vgpr_workitem_id 0
		.amdhsa_next_free_vgpr 1
		.amdhsa_next_free_sgpr 0
		.amdhsa_accum_offset 4
		.amdhsa_reserve_vcc 0
		.amdhsa_float_round_mode_32 0
		.amdhsa_float_round_mode_16_64 0
		.amdhsa_float_denorm_mode_32 3
		.amdhsa_float_denorm_mode_16_64 3
		.amdhsa_dx10_clamp 1
		.amdhsa_ieee_mode 1
		.amdhsa_fp16_overflow 0
		.amdhsa_tg_split 0
		.amdhsa_exception_fp_ieee_invalid_op 0
		.amdhsa_exception_fp_denorm_src 0
		.amdhsa_exception_fp_ieee_div_zero 0
		.amdhsa_exception_fp_ieee_overflow 0
		.amdhsa_exception_fp_ieee_underflow 0
		.amdhsa_exception_fp_ieee_inexact 0
		.amdhsa_exception_int_div_zero 0
	.end_amdhsa_kernel
	.section	.text._ZN6thrust23THRUST_200600_302600_NS11hip_rocprim14__parallel_for6kernelILj256ENS1_10for_each_fINS0_10device_ptrI11FixedVectorIiLj1EEEENS0_6detail16wrapped_functionINS9_23allocator_traits_detail5gozerEvEEEElLj1EEEvT0_T1_SG_,"axG",@progbits,_ZN6thrust23THRUST_200600_302600_NS11hip_rocprim14__parallel_for6kernelILj256ENS1_10for_each_fINS0_10device_ptrI11FixedVectorIiLj1EEEENS0_6detail16wrapped_functionINS9_23allocator_traits_detail5gozerEvEEEElLj1EEEvT0_T1_SG_,comdat
.Lfunc_end1865:
	.size	_ZN6thrust23THRUST_200600_302600_NS11hip_rocprim14__parallel_for6kernelILj256ENS1_10for_each_fINS0_10device_ptrI11FixedVectorIiLj1EEEENS0_6detail16wrapped_functionINS9_23allocator_traits_detail5gozerEvEEEElLj1EEEvT0_T1_SG_, .Lfunc_end1865-_ZN6thrust23THRUST_200600_302600_NS11hip_rocprim14__parallel_for6kernelILj256ENS1_10for_each_fINS0_10device_ptrI11FixedVectorIiLj1EEEENS0_6detail16wrapped_functionINS9_23allocator_traits_detail5gozerEvEEEElLj1EEEvT0_T1_SG_
                                        ; -- End function
	.section	.AMDGPU.csdata,"",@progbits
; Kernel info:
; codeLenInByte = 4
; NumSgprs: 6
; NumVgprs: 0
; NumAgprs: 0
; TotalNumVgprs: 0
; ScratchSize: 0
; MemoryBound: 0
; FloatMode: 240
; IeeeMode: 1
; LDSByteSize: 0 bytes/workgroup (compile time only)
; SGPRBlocks: 0
; VGPRBlocks: 0
; NumSGPRsForWavesPerEU: 6
; NumVGPRsForWavesPerEU: 1
; AccumOffset: 4
; Occupancy: 8
; WaveLimiterHint : 0
; COMPUTE_PGM_RSRC2:SCRATCH_EN: 0
; COMPUTE_PGM_RSRC2:USER_SGPR: 2
; COMPUTE_PGM_RSRC2:TRAP_HANDLER: 0
; COMPUTE_PGM_RSRC2:TGID_X_EN: 1
; COMPUTE_PGM_RSRC2:TGID_Y_EN: 0
; COMPUTE_PGM_RSRC2:TGID_Z_EN: 0
; COMPUTE_PGM_RSRC2:TIDIG_COMP_CNT: 0
; COMPUTE_PGM_RSRC3_GFX90A:ACCUM_OFFSET: 0
; COMPUTE_PGM_RSRC3_GFX90A:TG_SPLIT: 0
	.section	.text._ZN6thrust23THRUST_200600_302600_NS11hip_rocprim14__parallel_for6kernelILj256ENS1_10for_each_fINS0_10device_ptrI11FixedVectorIiLj1EEEENS0_6detail16wrapped_functionINS9_23allocator_traits_detail24construct1_via_allocatorINS0_16device_allocatorIS7_EEEEvEEEEmLj1EEEvT0_T1_SJ_,"axG",@progbits,_ZN6thrust23THRUST_200600_302600_NS11hip_rocprim14__parallel_for6kernelILj256ENS1_10for_each_fINS0_10device_ptrI11FixedVectorIiLj1EEEENS0_6detail16wrapped_functionINS9_23allocator_traits_detail24construct1_via_allocatorINS0_16device_allocatorIS7_EEEEvEEEEmLj1EEEvT0_T1_SJ_,comdat
	.protected	_ZN6thrust23THRUST_200600_302600_NS11hip_rocprim14__parallel_for6kernelILj256ENS1_10for_each_fINS0_10device_ptrI11FixedVectorIiLj1EEEENS0_6detail16wrapped_functionINS9_23allocator_traits_detail24construct1_via_allocatorINS0_16device_allocatorIS7_EEEEvEEEEmLj1EEEvT0_T1_SJ_ ; -- Begin function _ZN6thrust23THRUST_200600_302600_NS11hip_rocprim14__parallel_for6kernelILj256ENS1_10for_each_fINS0_10device_ptrI11FixedVectorIiLj1EEEENS0_6detail16wrapped_functionINS9_23allocator_traits_detail24construct1_via_allocatorINS0_16device_allocatorIS7_EEEEvEEEEmLj1EEEvT0_T1_SJ_
	.globl	_ZN6thrust23THRUST_200600_302600_NS11hip_rocprim14__parallel_for6kernelILj256ENS1_10for_each_fINS0_10device_ptrI11FixedVectorIiLj1EEEENS0_6detail16wrapped_functionINS9_23allocator_traits_detail24construct1_via_allocatorINS0_16device_allocatorIS7_EEEEvEEEEmLj1EEEvT0_T1_SJ_
	.p2align	8
	.type	_ZN6thrust23THRUST_200600_302600_NS11hip_rocprim14__parallel_for6kernelILj256ENS1_10for_each_fINS0_10device_ptrI11FixedVectorIiLj1EEEENS0_6detail16wrapped_functionINS9_23allocator_traits_detail24construct1_via_allocatorINS0_16device_allocatorIS7_EEEEvEEEEmLj1EEEvT0_T1_SJ_,@function
_ZN6thrust23THRUST_200600_302600_NS11hip_rocprim14__parallel_for6kernelILj256ENS1_10for_each_fINS0_10device_ptrI11FixedVectorIiLj1EEEENS0_6detail16wrapped_functionINS9_23allocator_traits_detail24construct1_via_allocatorINS0_16device_allocatorIS7_EEEEvEEEEmLj1EEEvT0_T1_SJ_: ; @_ZN6thrust23THRUST_200600_302600_NS11hip_rocprim14__parallel_for6kernelILj256ENS1_10for_each_fINS0_10device_ptrI11FixedVectorIiLj1EEEENS0_6detail16wrapped_functionINS9_23allocator_traits_detail24construct1_via_allocatorINS0_16device_allocatorIS7_EEEEvEEEEmLj1EEEvT0_T1_SJ_
; %bb.0:
	s_load_dwordx4 s[4:7], s[0:1], 0x10
	s_lshl_b32 s2, s2, 8
	v_mov_b64_e32 v[2:3], 0x100
	s_waitcnt lgkmcnt(0)
	s_add_u32 s2, s2, s6
	s_addc_u32 s3, 0, s7
	s_sub_u32 s4, s4, s2
	s_subb_u32 s5, s5, s3
	v_cmp_lt_u64_e32 vcc, s[4:5], v[2:3]
	s_cbranch_vccz .LBB1866_2
; %bb.1:
	v_cmp_gt_u32_e32 vcc, s4, v0
	s_and_b64 s[4:5], vcc, exec
	s_cbranch_execz .LBB1866_3
	s_branch .LBB1866_4
.LBB1866_2:
	s_mov_b64 s[4:5], 0
.LBB1866_3:
	s_or_b64 s[4:5], s[4:5], exec
.LBB1866_4:
	s_and_saveexec_b64 s[6:7], s[4:5]
	s_cbranch_execnz .LBB1866_6
; %bb.5:
	s_endpgm
.LBB1866_6:
	s_load_dwordx2 s[0:1], s[0:1], 0x0
	s_lshl_b64 s[2:3], s[2:3], 2
	v_mov_b32_e32 v1, 0
	s_waitcnt lgkmcnt(0)
	s_add_u32 s0, s0, s2
	s_addc_u32 s1, s1, s3
	v_lshl_add_u64 v[2:3], v[0:1], 2, s[0:1]
	flat_store_dword v[2:3], v1
	s_endpgm
	.section	.rodata,"a",@progbits
	.p2align	6, 0x0
	.amdhsa_kernel _ZN6thrust23THRUST_200600_302600_NS11hip_rocprim14__parallel_for6kernelILj256ENS1_10for_each_fINS0_10device_ptrI11FixedVectorIiLj1EEEENS0_6detail16wrapped_functionINS9_23allocator_traits_detail24construct1_via_allocatorINS0_16device_allocatorIS7_EEEEvEEEEmLj1EEEvT0_T1_SJ_
		.amdhsa_group_segment_fixed_size 0
		.amdhsa_private_segment_fixed_size 0
		.amdhsa_kernarg_size 32
		.amdhsa_user_sgpr_count 2
		.amdhsa_user_sgpr_dispatch_ptr 0
		.amdhsa_user_sgpr_queue_ptr 0
		.amdhsa_user_sgpr_kernarg_segment_ptr 1
		.amdhsa_user_sgpr_dispatch_id 0
		.amdhsa_user_sgpr_kernarg_preload_length 0
		.amdhsa_user_sgpr_kernarg_preload_offset 0
		.amdhsa_user_sgpr_private_segment_size 0
		.amdhsa_uses_dynamic_stack 0
		.amdhsa_enable_private_segment 0
		.amdhsa_system_sgpr_workgroup_id_x 1
		.amdhsa_system_sgpr_workgroup_id_y 0
		.amdhsa_system_sgpr_workgroup_id_z 0
		.amdhsa_system_sgpr_workgroup_info 0
		.amdhsa_system_vgpr_workitem_id 0
		.amdhsa_next_free_vgpr 4
		.amdhsa_next_free_sgpr 8
		.amdhsa_accum_offset 4
		.amdhsa_reserve_vcc 1
		.amdhsa_float_round_mode_32 0
		.amdhsa_float_round_mode_16_64 0
		.amdhsa_float_denorm_mode_32 3
		.amdhsa_float_denorm_mode_16_64 3
		.amdhsa_dx10_clamp 1
		.amdhsa_ieee_mode 1
		.amdhsa_fp16_overflow 0
		.amdhsa_tg_split 0
		.amdhsa_exception_fp_ieee_invalid_op 0
		.amdhsa_exception_fp_denorm_src 0
		.amdhsa_exception_fp_ieee_div_zero 0
		.amdhsa_exception_fp_ieee_overflow 0
		.amdhsa_exception_fp_ieee_underflow 0
		.amdhsa_exception_fp_ieee_inexact 0
		.amdhsa_exception_int_div_zero 0
	.end_amdhsa_kernel
	.section	.text._ZN6thrust23THRUST_200600_302600_NS11hip_rocprim14__parallel_for6kernelILj256ENS1_10for_each_fINS0_10device_ptrI11FixedVectorIiLj1EEEENS0_6detail16wrapped_functionINS9_23allocator_traits_detail24construct1_via_allocatorINS0_16device_allocatorIS7_EEEEvEEEEmLj1EEEvT0_T1_SJ_,"axG",@progbits,_ZN6thrust23THRUST_200600_302600_NS11hip_rocprim14__parallel_for6kernelILj256ENS1_10for_each_fINS0_10device_ptrI11FixedVectorIiLj1EEEENS0_6detail16wrapped_functionINS9_23allocator_traits_detail24construct1_via_allocatorINS0_16device_allocatorIS7_EEEEvEEEEmLj1EEEvT0_T1_SJ_,comdat
.Lfunc_end1866:
	.size	_ZN6thrust23THRUST_200600_302600_NS11hip_rocprim14__parallel_for6kernelILj256ENS1_10for_each_fINS0_10device_ptrI11FixedVectorIiLj1EEEENS0_6detail16wrapped_functionINS9_23allocator_traits_detail24construct1_via_allocatorINS0_16device_allocatorIS7_EEEEvEEEEmLj1EEEvT0_T1_SJ_, .Lfunc_end1866-_ZN6thrust23THRUST_200600_302600_NS11hip_rocprim14__parallel_for6kernelILj256ENS1_10for_each_fINS0_10device_ptrI11FixedVectorIiLj1EEEENS0_6detail16wrapped_functionINS9_23allocator_traits_detail24construct1_via_allocatorINS0_16device_allocatorIS7_EEEEvEEEEmLj1EEEvT0_T1_SJ_
                                        ; -- End function
	.section	.AMDGPU.csdata,"",@progbits
; Kernel info:
; codeLenInByte = 132
; NumSgprs: 14
; NumVgprs: 4
; NumAgprs: 0
; TotalNumVgprs: 4
; ScratchSize: 0
; MemoryBound: 0
; FloatMode: 240
; IeeeMode: 1
; LDSByteSize: 0 bytes/workgroup (compile time only)
; SGPRBlocks: 1
; VGPRBlocks: 0
; NumSGPRsForWavesPerEU: 14
; NumVGPRsForWavesPerEU: 4
; AccumOffset: 4
; Occupancy: 8
; WaveLimiterHint : 0
; COMPUTE_PGM_RSRC2:SCRATCH_EN: 0
; COMPUTE_PGM_RSRC2:USER_SGPR: 2
; COMPUTE_PGM_RSRC2:TRAP_HANDLER: 0
; COMPUTE_PGM_RSRC2:TGID_X_EN: 1
; COMPUTE_PGM_RSRC2:TGID_Y_EN: 0
; COMPUTE_PGM_RSRC2:TGID_Z_EN: 0
; COMPUTE_PGM_RSRC2:TIDIG_COMP_CNT: 0
; COMPUTE_PGM_RSRC3_GFX90A:ACCUM_OFFSET: 0
; COMPUTE_PGM_RSRC3_GFX90A:TG_SPLIT: 0
	.section	.text._ZN7rocprim17ROCPRIM_400000_NS6detail30init_device_scan_by_key_kernelINS1_19lookback_scan_stateINS0_5tupleIJ11FixedVectorIiLj1EEbEEELb0ELb1EEEN6thrust23THRUST_200600_302600_NS6detail15normal_iteratorINSA_10device_ptrIjEEEEjNS1_16block_id_wrapperIjLb0EEEEEvT_jjPNSI_10value_typeET0_PNSt15iterator_traitsISL_E10value_typeEmT1_T2_,"axG",@progbits,_ZN7rocprim17ROCPRIM_400000_NS6detail30init_device_scan_by_key_kernelINS1_19lookback_scan_stateINS0_5tupleIJ11FixedVectorIiLj1EEbEEELb0ELb1EEEN6thrust23THRUST_200600_302600_NS6detail15normal_iteratorINSA_10device_ptrIjEEEEjNS1_16block_id_wrapperIjLb0EEEEEvT_jjPNSI_10value_typeET0_PNSt15iterator_traitsISL_E10value_typeEmT1_T2_,comdat
	.protected	_ZN7rocprim17ROCPRIM_400000_NS6detail30init_device_scan_by_key_kernelINS1_19lookback_scan_stateINS0_5tupleIJ11FixedVectorIiLj1EEbEEELb0ELb1EEEN6thrust23THRUST_200600_302600_NS6detail15normal_iteratorINSA_10device_ptrIjEEEEjNS1_16block_id_wrapperIjLb0EEEEEvT_jjPNSI_10value_typeET0_PNSt15iterator_traitsISL_E10value_typeEmT1_T2_ ; -- Begin function _ZN7rocprim17ROCPRIM_400000_NS6detail30init_device_scan_by_key_kernelINS1_19lookback_scan_stateINS0_5tupleIJ11FixedVectorIiLj1EEbEEELb0ELb1EEEN6thrust23THRUST_200600_302600_NS6detail15normal_iteratorINSA_10device_ptrIjEEEEjNS1_16block_id_wrapperIjLb0EEEEEvT_jjPNSI_10value_typeET0_PNSt15iterator_traitsISL_E10value_typeEmT1_T2_
	.globl	_ZN7rocprim17ROCPRIM_400000_NS6detail30init_device_scan_by_key_kernelINS1_19lookback_scan_stateINS0_5tupleIJ11FixedVectorIiLj1EEbEEELb0ELb1EEEN6thrust23THRUST_200600_302600_NS6detail15normal_iteratorINSA_10device_ptrIjEEEEjNS1_16block_id_wrapperIjLb0EEEEEvT_jjPNSI_10value_typeET0_PNSt15iterator_traitsISL_E10value_typeEmT1_T2_
	.p2align	8
	.type	_ZN7rocprim17ROCPRIM_400000_NS6detail30init_device_scan_by_key_kernelINS1_19lookback_scan_stateINS0_5tupleIJ11FixedVectorIiLj1EEbEEELb0ELb1EEEN6thrust23THRUST_200600_302600_NS6detail15normal_iteratorINSA_10device_ptrIjEEEEjNS1_16block_id_wrapperIjLb0EEEEEvT_jjPNSI_10value_typeET0_PNSt15iterator_traitsISL_E10value_typeEmT1_T2_,@function
_ZN7rocprim17ROCPRIM_400000_NS6detail30init_device_scan_by_key_kernelINS1_19lookback_scan_stateINS0_5tupleIJ11FixedVectorIiLj1EEbEEELb0ELb1EEEN6thrust23THRUST_200600_302600_NS6detail15normal_iteratorINSA_10device_ptrIjEEEEjNS1_16block_id_wrapperIjLb0EEEEEvT_jjPNSI_10value_typeET0_PNSt15iterator_traitsISL_E10value_typeEmT1_T2_: ; @_ZN7rocprim17ROCPRIM_400000_NS6detail30init_device_scan_by_key_kernelINS1_19lookback_scan_stateINS0_5tupleIJ11FixedVectorIiLj1EEbEEELb0ELb1EEEN6thrust23THRUST_200600_302600_NS6detail15normal_iteratorINSA_10device_ptrIjEEEEjNS1_16block_id_wrapperIjLb0EEEEEvT_jjPNSI_10value_typeET0_PNSt15iterator_traitsISL_E10value_typeEmT1_T2_
; %bb.0:
	s_load_dword s3, s[0:1], 0x44
	s_load_dwordx8 s[4:11], s[0:1], 0x0
	s_load_dword s18, s[0:1], 0x38
	s_waitcnt lgkmcnt(0)
	s_and_b32 s19, s3, 0xffff
	s_mul_i32 s2, s2, s19
	s_cmp_eq_u64 s[8:9], 0
	v_add_u32_e32 v4, s2, v0
	s_cbranch_scc1 .LBB1867_8
; %bb.1:
	s_cmp_lt_u32 s7, s6
	s_cselect_b32 s2, s7, 0
	s_mov_b32 s13, 0
	v_cmp_eq_u32_e32 vcc, s2, v4
	s_and_saveexec_b64 s[2:3], vcc
	s_cbranch_execz .LBB1867_7
; %bb.2:
	s_add_i32 s12, s7, 64
	s_lshl_b64 s[12:13], s[12:13], 4
	s_add_u32 s16, s4, s12
	s_addc_u32 s17, s5, s13
	v_mov_b64_e32 v[0:1], s[16:17]
	;;#ASMSTART
	global_load_dwordx4 v[0:3], v[0:1] off sc1	
s_waitcnt vmcnt(0)
	;;#ASMEND
	v_mov_b32_e32 v7, 0
	v_and_b32_e32 v6, 0xff, v2
	s_mov_b64 s[14:15], 0
	v_cmp_eq_u64_e32 vcc, 0, v[6:7]
	s_and_saveexec_b64 s[12:13], vcc
	s_cbranch_execz .LBB1867_6
; %bb.3:
	v_mov_b64_e32 v[8:9], s[16:17]
.LBB1867_4:                             ; =>This Inner Loop Header: Depth=1
	;;#ASMSTART
	global_load_dwordx4 v[0:3], v[8:9] off sc1	
s_waitcnt vmcnt(0)
	;;#ASMEND
	s_nop 0
	v_and_b32_e32 v6, 0xff, v2
	v_cmp_ne_u64_e32 vcc, 0, v[6:7]
	s_or_b64 s[14:15], vcc, s[14:15]
	s_andn2_b64 exec, exec, s[14:15]
	s_cbranch_execnz .LBB1867_4
; %bb.5:
	s_or_b64 exec, exec, s[14:15]
.LBB1867_6:
	s_or_b64 exec, exec, s[12:13]
	v_mov_b32_e32 v2, 0
	global_store_dword v2, v0, s[8:9]
	global_store_byte v2, v1, s[8:9] offset:4
.LBB1867_7:
	s_or_b64 exec, exec, s[2:3]
.LBB1867_8:
	v_cmp_gt_u32_e32 vcc, s6, v4
	s_and_saveexec_b64 s[2:3], vcc
	s_cbranch_execz .LBB1867_10
; %bb.9:
	v_add_u32_e32 v0, 64, v4
	v_mov_b32_e32 v1, 0
	v_lshl_add_u64 v[6:7], v[0:1], 4, s[4:5]
	v_mov_b32_e32 v0, v1
	v_mov_b32_e32 v2, v1
	;; [unrolled: 1-line block ×3, first 2 shown]
	global_store_dwordx4 v[6:7], v[0:3], off
.LBB1867_10:
	s_or_b64 exec, exec, s[2:3]
	v_cmp_gt_u32_e32 vcc, 64, v4
	v_mov_b32_e32 v5, 0
	s_and_saveexec_b64 s[2:3], vcc
	s_cbranch_execz .LBB1867_12
; %bb.11:
	v_lshl_add_u64 v[6:7], v[4:5], 4, s[4:5]
	v_mov_b32_e32 v2, 0xff
	v_mov_b32_e32 v0, v5
	;; [unrolled: 1-line block ×4, first 2 shown]
	global_store_dwordx4 v[6:7], v[0:3], off
.LBB1867_12:
	s_or_b64 exec, exec, s[2:3]
	s_load_dwordx2 s[2:3], s[0:1], 0x28
	s_waitcnt lgkmcnt(0)
	v_cmp_gt_u64_e32 vcc, s[2:3], v[4:5]
	s_and_saveexec_b64 s[4:5], vcc
	s_cbranch_execz .LBB1867_15
; %bb.13:
	s_load_dword s12, s[0:1], 0x30
	s_load_dwordx2 s[6:7], s[0:1], 0x20
	s_mov_b32 s5, 0
	s_mov_b32 s1, s5
	s_mul_i32 s0, s18, s19
	s_waitcnt lgkmcnt(0)
	s_add_i32 s4, s12, -1
	s_lshl_b64 s[4:5], s[4:5], 2
	s_add_u32 s4, s10, s4
	v_mad_u64_u32 v[0:1], s[8:9], s12, v4, 0
	s_addc_u32 s5, s11, s5
	v_lshl_add_u64 v[0:1], v[0:1], 2, s[4:5]
	s_mul_hi_u32 s5, s12, s0
	s_mul_i32 s4, s12, s0
	s_lshl_b64 s[4:5], s[4:5], 2
	v_lshl_add_u64 v[2:3], v[4:5], 2, s[6:7]
	s_lshl_b64 s[6:7], s[0:1], 2
	s_mov_b64 s[8:9], 0
.LBB1867_14:                            ; =>This Inner Loop Header: Depth=1
	global_load_dword v6, v[0:1], off
	v_lshl_add_u64 v[4:5], v[4:5], 0, s[0:1]
	v_cmp_le_u64_e32 vcc, s[2:3], v[4:5]
	v_lshl_add_u64 v[0:1], v[0:1], 0, s[4:5]
	s_or_b64 s[8:9], vcc, s[8:9]
	s_waitcnt vmcnt(0)
	global_store_dword v[2:3], v6, off
	v_lshl_add_u64 v[2:3], v[2:3], 0, s[6:7]
	s_andn2_b64 exec, exec, s[8:9]
	s_cbranch_execnz .LBB1867_14
.LBB1867_15:
	s_endpgm
	.section	.rodata,"a",@progbits
	.p2align	6, 0x0
	.amdhsa_kernel _ZN7rocprim17ROCPRIM_400000_NS6detail30init_device_scan_by_key_kernelINS1_19lookback_scan_stateINS0_5tupleIJ11FixedVectorIiLj1EEbEEELb0ELb1EEEN6thrust23THRUST_200600_302600_NS6detail15normal_iteratorINSA_10device_ptrIjEEEEjNS1_16block_id_wrapperIjLb0EEEEEvT_jjPNSI_10value_typeET0_PNSt15iterator_traitsISL_E10value_typeEmT1_T2_
		.amdhsa_group_segment_fixed_size 0
		.amdhsa_private_segment_fixed_size 0
		.amdhsa_kernarg_size 312
		.amdhsa_user_sgpr_count 2
		.amdhsa_user_sgpr_dispatch_ptr 0
		.amdhsa_user_sgpr_queue_ptr 0
		.amdhsa_user_sgpr_kernarg_segment_ptr 1
		.amdhsa_user_sgpr_dispatch_id 0
		.amdhsa_user_sgpr_kernarg_preload_length 0
		.amdhsa_user_sgpr_kernarg_preload_offset 0
		.amdhsa_user_sgpr_private_segment_size 0
		.amdhsa_uses_dynamic_stack 0
		.amdhsa_enable_private_segment 0
		.amdhsa_system_sgpr_workgroup_id_x 1
		.amdhsa_system_sgpr_workgroup_id_y 0
		.amdhsa_system_sgpr_workgroup_id_z 0
		.amdhsa_system_sgpr_workgroup_info 0
		.amdhsa_system_vgpr_workitem_id 0
		.amdhsa_next_free_vgpr 10
		.amdhsa_next_free_sgpr 20
		.amdhsa_accum_offset 12
		.amdhsa_reserve_vcc 1
		.amdhsa_float_round_mode_32 0
		.amdhsa_float_round_mode_16_64 0
		.amdhsa_float_denorm_mode_32 3
		.amdhsa_float_denorm_mode_16_64 3
		.amdhsa_dx10_clamp 1
		.amdhsa_ieee_mode 1
		.amdhsa_fp16_overflow 0
		.amdhsa_tg_split 0
		.amdhsa_exception_fp_ieee_invalid_op 0
		.amdhsa_exception_fp_denorm_src 0
		.amdhsa_exception_fp_ieee_div_zero 0
		.amdhsa_exception_fp_ieee_overflow 0
		.amdhsa_exception_fp_ieee_underflow 0
		.amdhsa_exception_fp_ieee_inexact 0
		.amdhsa_exception_int_div_zero 0
	.end_amdhsa_kernel
	.section	.text._ZN7rocprim17ROCPRIM_400000_NS6detail30init_device_scan_by_key_kernelINS1_19lookback_scan_stateINS0_5tupleIJ11FixedVectorIiLj1EEbEEELb0ELb1EEEN6thrust23THRUST_200600_302600_NS6detail15normal_iteratorINSA_10device_ptrIjEEEEjNS1_16block_id_wrapperIjLb0EEEEEvT_jjPNSI_10value_typeET0_PNSt15iterator_traitsISL_E10value_typeEmT1_T2_,"axG",@progbits,_ZN7rocprim17ROCPRIM_400000_NS6detail30init_device_scan_by_key_kernelINS1_19lookback_scan_stateINS0_5tupleIJ11FixedVectorIiLj1EEbEEELb0ELb1EEEN6thrust23THRUST_200600_302600_NS6detail15normal_iteratorINSA_10device_ptrIjEEEEjNS1_16block_id_wrapperIjLb0EEEEEvT_jjPNSI_10value_typeET0_PNSt15iterator_traitsISL_E10value_typeEmT1_T2_,comdat
.Lfunc_end1867:
	.size	_ZN7rocprim17ROCPRIM_400000_NS6detail30init_device_scan_by_key_kernelINS1_19lookback_scan_stateINS0_5tupleIJ11FixedVectorIiLj1EEbEEELb0ELb1EEEN6thrust23THRUST_200600_302600_NS6detail15normal_iteratorINSA_10device_ptrIjEEEEjNS1_16block_id_wrapperIjLb0EEEEEvT_jjPNSI_10value_typeET0_PNSt15iterator_traitsISL_E10value_typeEmT1_T2_, .Lfunc_end1867-_ZN7rocprim17ROCPRIM_400000_NS6detail30init_device_scan_by_key_kernelINS1_19lookback_scan_stateINS0_5tupleIJ11FixedVectorIiLj1EEbEEELb0ELb1EEEN6thrust23THRUST_200600_302600_NS6detail15normal_iteratorINSA_10device_ptrIjEEEEjNS1_16block_id_wrapperIjLb0EEEEEvT_jjPNSI_10value_typeET0_PNSt15iterator_traitsISL_E10value_typeEmT1_T2_
                                        ; -- End function
	.section	.AMDGPU.csdata,"",@progbits
; Kernel info:
; codeLenInByte = 508
; NumSgprs: 26
; NumVgprs: 10
; NumAgprs: 0
; TotalNumVgprs: 10
; ScratchSize: 0
; MemoryBound: 0
; FloatMode: 240
; IeeeMode: 1
; LDSByteSize: 0 bytes/workgroup (compile time only)
; SGPRBlocks: 3
; VGPRBlocks: 1
; NumSGPRsForWavesPerEU: 26
; NumVGPRsForWavesPerEU: 10
; AccumOffset: 12
; Occupancy: 8
; WaveLimiterHint : 0
; COMPUTE_PGM_RSRC2:SCRATCH_EN: 0
; COMPUTE_PGM_RSRC2:USER_SGPR: 2
; COMPUTE_PGM_RSRC2:TRAP_HANDLER: 0
; COMPUTE_PGM_RSRC2:TGID_X_EN: 1
; COMPUTE_PGM_RSRC2:TGID_Y_EN: 0
; COMPUTE_PGM_RSRC2:TGID_Z_EN: 0
; COMPUTE_PGM_RSRC2:TIDIG_COMP_CNT: 0
; COMPUTE_PGM_RSRC3_GFX90A:ACCUM_OFFSET: 2
; COMPUTE_PGM_RSRC3_GFX90A:TG_SPLIT: 0
	.section	.text._ZN7rocprim17ROCPRIM_400000_NS6detail30init_device_scan_by_key_kernelINS1_19lookback_scan_stateINS0_5tupleIJ11FixedVectorIiLj1EEbEEELb0ELb1EEENS1_16block_id_wrapperIjLb0EEEEEvT_jjPNSB_10value_typeET0_,"axG",@progbits,_ZN7rocprim17ROCPRIM_400000_NS6detail30init_device_scan_by_key_kernelINS1_19lookback_scan_stateINS0_5tupleIJ11FixedVectorIiLj1EEbEEELb0ELb1EEENS1_16block_id_wrapperIjLb0EEEEEvT_jjPNSB_10value_typeET0_,comdat
	.protected	_ZN7rocprim17ROCPRIM_400000_NS6detail30init_device_scan_by_key_kernelINS1_19lookback_scan_stateINS0_5tupleIJ11FixedVectorIiLj1EEbEEELb0ELb1EEENS1_16block_id_wrapperIjLb0EEEEEvT_jjPNSB_10value_typeET0_ ; -- Begin function _ZN7rocprim17ROCPRIM_400000_NS6detail30init_device_scan_by_key_kernelINS1_19lookback_scan_stateINS0_5tupleIJ11FixedVectorIiLj1EEbEEELb0ELb1EEENS1_16block_id_wrapperIjLb0EEEEEvT_jjPNSB_10value_typeET0_
	.globl	_ZN7rocprim17ROCPRIM_400000_NS6detail30init_device_scan_by_key_kernelINS1_19lookback_scan_stateINS0_5tupleIJ11FixedVectorIiLj1EEbEEELb0ELb1EEENS1_16block_id_wrapperIjLb0EEEEEvT_jjPNSB_10value_typeET0_
	.p2align	8
	.type	_ZN7rocprim17ROCPRIM_400000_NS6detail30init_device_scan_by_key_kernelINS1_19lookback_scan_stateINS0_5tupleIJ11FixedVectorIiLj1EEbEEELb0ELb1EEENS1_16block_id_wrapperIjLb0EEEEEvT_jjPNSB_10value_typeET0_,@function
_ZN7rocprim17ROCPRIM_400000_NS6detail30init_device_scan_by_key_kernelINS1_19lookback_scan_stateINS0_5tupleIJ11FixedVectorIiLj1EEbEEELb0ELb1EEENS1_16block_id_wrapperIjLb0EEEEEvT_jjPNSB_10value_typeET0_: ; @_ZN7rocprim17ROCPRIM_400000_NS6detail30init_device_scan_by_key_kernelINS1_19lookback_scan_stateINS0_5tupleIJ11FixedVectorIiLj1EEbEEELb0ELb1EEENS1_16block_id_wrapperIjLb0EEEEEvT_jjPNSB_10value_typeET0_
; %bb.0:
	s_load_dword s3, s[0:1], 0x2c
	s_load_dwordx2 s[8:9], s[0:1], 0x10
	s_load_dwordx4 s[4:7], s[0:1], 0x0
	s_waitcnt lgkmcnt(0)
	s_and_b32 s0, s3, 0xffff
	s_mul_i32 s2, s2, s0
	s_cmp_eq_u64 s[8:9], 0
	v_add_u32_e32 v0, s2, v0
	s_cbranch_scc1 .LBB1868_8
; %bb.1:
	s_cmp_lt_u32 s7, s6
	s_cselect_b32 s0, s7, 0
	s_mov_b32 s3, 0
	v_cmp_eq_u32_e32 vcc, s0, v0
	s_and_saveexec_b64 s[0:1], vcc
	s_cbranch_execz .LBB1868_7
; %bb.2:
	s_add_i32 s2, s7, 64
	s_lshl_b64 s[2:3], s[2:3], 4
	s_add_u32 s12, s4, s2
	s_addc_u32 s13, s5, s3
	v_mov_b64_e32 v[2:3], s[12:13]
	;;#ASMSTART
	global_load_dwordx4 v[2:5], v[2:3] off sc1	
s_waitcnt vmcnt(0)
	;;#ASMEND
	v_mov_b32_e32 v7, 0
	v_and_b32_e32 v6, 0xff, v4
	s_mov_b64 s[10:11], 0
	v_cmp_eq_u64_e32 vcc, 0, v[6:7]
	s_and_saveexec_b64 s[2:3], vcc
	s_cbranch_execz .LBB1868_6
; %bb.3:
	v_mov_b64_e32 v[8:9], s[12:13]
.LBB1868_4:                             ; =>This Inner Loop Header: Depth=1
	;;#ASMSTART
	global_load_dwordx4 v[2:5], v[8:9] off sc1	
s_waitcnt vmcnt(0)
	;;#ASMEND
	s_nop 0
	v_and_b32_e32 v6, 0xff, v4
	v_cmp_ne_u64_e32 vcc, 0, v[6:7]
	s_or_b64 s[10:11], vcc, s[10:11]
	s_andn2_b64 exec, exec, s[10:11]
	s_cbranch_execnz .LBB1868_4
; %bb.5:
	s_or_b64 exec, exec, s[10:11]
.LBB1868_6:
	s_or_b64 exec, exec, s[2:3]
	v_mov_b32_e32 v1, 0
	global_store_dword v1, v2, s[8:9]
	global_store_byte v1, v3, s[8:9] offset:4
.LBB1868_7:
	s_or_b64 exec, exec, s[0:1]
.LBB1868_8:
	v_cmp_gt_u32_e32 vcc, s6, v0
	s_and_saveexec_b64 s[0:1], vcc
	s_cbranch_execnz .LBB1868_11
; %bb.9:
	s_or_b64 exec, exec, s[0:1]
	v_cmp_gt_u32_e32 vcc, 64, v0
	s_and_saveexec_b64 s[0:1], vcc
	s_cbranch_execnz .LBB1868_12
.LBB1868_10:
	s_endpgm
.LBB1868_11:
	v_add_u32_e32 v2, 64, v0
	v_mov_b32_e32 v3, 0
	v_lshl_add_u64 v[6:7], v[2:3], 4, s[4:5]
	v_mov_b32_e32 v2, v3
	v_mov_b32_e32 v4, v3
	;; [unrolled: 1-line block ×3, first 2 shown]
	global_store_dwordx4 v[6:7], v[2:5], off
	s_or_b64 exec, exec, s[0:1]
	v_cmp_gt_u32_e32 vcc, 64, v0
	s_and_saveexec_b64 s[0:1], vcc
	s_cbranch_execz .LBB1868_10
.LBB1868_12:
	v_mov_b32_e32 v1, 0
	v_lshl_add_u64 v[4:5], v[0:1], 4, s[4:5]
	v_mov_b32_e32 v2, 0xff
	v_mov_b32_e32 v0, v1
	;; [unrolled: 1-line block ×3, first 2 shown]
	global_store_dwordx4 v[4:5], v[0:3], off
	s_endpgm
	.section	.rodata,"a",@progbits
	.p2align	6, 0x0
	.amdhsa_kernel _ZN7rocprim17ROCPRIM_400000_NS6detail30init_device_scan_by_key_kernelINS1_19lookback_scan_stateINS0_5tupleIJ11FixedVectorIiLj1EEbEEELb0ELb1EEENS1_16block_id_wrapperIjLb0EEEEEvT_jjPNSB_10value_typeET0_
		.amdhsa_group_segment_fixed_size 0
		.amdhsa_private_segment_fixed_size 0
		.amdhsa_kernarg_size 288
		.amdhsa_user_sgpr_count 2
		.amdhsa_user_sgpr_dispatch_ptr 0
		.amdhsa_user_sgpr_queue_ptr 0
		.amdhsa_user_sgpr_kernarg_segment_ptr 1
		.amdhsa_user_sgpr_dispatch_id 0
		.amdhsa_user_sgpr_kernarg_preload_length 0
		.amdhsa_user_sgpr_kernarg_preload_offset 0
		.amdhsa_user_sgpr_private_segment_size 0
		.amdhsa_uses_dynamic_stack 0
		.amdhsa_enable_private_segment 0
		.amdhsa_system_sgpr_workgroup_id_x 1
		.amdhsa_system_sgpr_workgroup_id_y 0
		.amdhsa_system_sgpr_workgroup_id_z 0
		.amdhsa_system_sgpr_workgroup_info 0
		.amdhsa_system_vgpr_workitem_id 0
		.amdhsa_next_free_vgpr 10
		.amdhsa_next_free_sgpr 14
		.amdhsa_accum_offset 12
		.amdhsa_reserve_vcc 1
		.amdhsa_float_round_mode_32 0
		.amdhsa_float_round_mode_16_64 0
		.amdhsa_float_denorm_mode_32 3
		.amdhsa_float_denorm_mode_16_64 3
		.amdhsa_dx10_clamp 1
		.amdhsa_ieee_mode 1
		.amdhsa_fp16_overflow 0
		.amdhsa_tg_split 0
		.amdhsa_exception_fp_ieee_invalid_op 0
		.amdhsa_exception_fp_denorm_src 0
		.amdhsa_exception_fp_ieee_div_zero 0
		.amdhsa_exception_fp_ieee_overflow 0
		.amdhsa_exception_fp_ieee_underflow 0
		.amdhsa_exception_fp_ieee_inexact 0
		.amdhsa_exception_int_div_zero 0
	.end_amdhsa_kernel
	.section	.text._ZN7rocprim17ROCPRIM_400000_NS6detail30init_device_scan_by_key_kernelINS1_19lookback_scan_stateINS0_5tupleIJ11FixedVectorIiLj1EEbEEELb0ELb1EEENS1_16block_id_wrapperIjLb0EEEEEvT_jjPNSB_10value_typeET0_,"axG",@progbits,_ZN7rocprim17ROCPRIM_400000_NS6detail30init_device_scan_by_key_kernelINS1_19lookback_scan_stateINS0_5tupleIJ11FixedVectorIiLj1EEbEEELb0ELb1EEENS1_16block_id_wrapperIjLb0EEEEEvT_jjPNSB_10value_typeET0_,comdat
.Lfunc_end1868:
	.size	_ZN7rocprim17ROCPRIM_400000_NS6detail30init_device_scan_by_key_kernelINS1_19lookback_scan_stateINS0_5tupleIJ11FixedVectorIiLj1EEbEEELb0ELb1EEENS1_16block_id_wrapperIjLb0EEEEEvT_jjPNSB_10value_typeET0_, .Lfunc_end1868-_ZN7rocprim17ROCPRIM_400000_NS6detail30init_device_scan_by_key_kernelINS1_19lookback_scan_stateINS0_5tupleIJ11FixedVectorIiLj1EEbEEELb0ELb1EEENS1_16block_id_wrapperIjLb0EEEEEvT_jjPNSB_10value_typeET0_
                                        ; -- End function
	.section	.AMDGPU.csdata,"",@progbits
; Kernel info:
; codeLenInByte = 344
; NumSgprs: 20
; NumVgprs: 10
; NumAgprs: 0
; TotalNumVgprs: 10
; ScratchSize: 0
; MemoryBound: 0
; FloatMode: 240
; IeeeMode: 1
; LDSByteSize: 0 bytes/workgroup (compile time only)
; SGPRBlocks: 2
; VGPRBlocks: 1
; NumSGPRsForWavesPerEU: 20
; NumVGPRsForWavesPerEU: 10
; AccumOffset: 12
; Occupancy: 8
; WaveLimiterHint : 0
; COMPUTE_PGM_RSRC2:SCRATCH_EN: 0
; COMPUTE_PGM_RSRC2:USER_SGPR: 2
; COMPUTE_PGM_RSRC2:TRAP_HANDLER: 0
; COMPUTE_PGM_RSRC2:TGID_X_EN: 1
; COMPUTE_PGM_RSRC2:TGID_Y_EN: 0
; COMPUTE_PGM_RSRC2:TGID_Z_EN: 0
; COMPUTE_PGM_RSRC2:TIDIG_COMP_CNT: 0
; COMPUTE_PGM_RSRC3_GFX90A:ACCUM_OFFSET: 2
; COMPUTE_PGM_RSRC3_GFX90A:TG_SPLIT: 0
	.section	.text._ZN7rocprim17ROCPRIM_400000_NS6detail17trampoline_kernelINS0_14default_configENS1_27scan_by_key_config_selectorIj11FixedVectorIiLj1EEEEZZNS1_16scan_by_key_implILNS1_25lookback_scan_determinismE0ELb0ES3_N6thrust23THRUST_200600_302600_NS6detail15normal_iteratorINSB_10device_ptrIjEEEENSD_INSE_IS6_EEEESI_S6_NSB_4plusIvEENSB_8equal_toIvEES6_EE10hipError_tPvRmT2_T3_T4_T5_mT6_T7_P12ihipStream_tbENKUlT_T0_E_clISt17integral_constantIbLb0EES13_EEDaSY_SZ_EUlSY_E_NS1_11comp_targetILNS1_3genE0ELNS1_11target_archE4294967295ELNS1_3gpuE0ELNS1_3repE0EEENS1_30default_config_static_selectorELNS0_4arch9wavefront6targetE1EEEvT1_,"axG",@progbits,_ZN7rocprim17ROCPRIM_400000_NS6detail17trampoline_kernelINS0_14default_configENS1_27scan_by_key_config_selectorIj11FixedVectorIiLj1EEEEZZNS1_16scan_by_key_implILNS1_25lookback_scan_determinismE0ELb0ES3_N6thrust23THRUST_200600_302600_NS6detail15normal_iteratorINSB_10device_ptrIjEEEENSD_INSE_IS6_EEEESI_S6_NSB_4plusIvEENSB_8equal_toIvEES6_EE10hipError_tPvRmT2_T3_T4_T5_mT6_T7_P12ihipStream_tbENKUlT_T0_E_clISt17integral_constantIbLb0EES13_EEDaSY_SZ_EUlSY_E_NS1_11comp_targetILNS1_3genE0ELNS1_11target_archE4294967295ELNS1_3gpuE0ELNS1_3repE0EEENS1_30default_config_static_selectorELNS0_4arch9wavefront6targetE1EEEvT1_,comdat
	.protected	_ZN7rocprim17ROCPRIM_400000_NS6detail17trampoline_kernelINS0_14default_configENS1_27scan_by_key_config_selectorIj11FixedVectorIiLj1EEEEZZNS1_16scan_by_key_implILNS1_25lookback_scan_determinismE0ELb0ES3_N6thrust23THRUST_200600_302600_NS6detail15normal_iteratorINSB_10device_ptrIjEEEENSD_INSE_IS6_EEEESI_S6_NSB_4plusIvEENSB_8equal_toIvEES6_EE10hipError_tPvRmT2_T3_T4_T5_mT6_T7_P12ihipStream_tbENKUlT_T0_E_clISt17integral_constantIbLb0EES13_EEDaSY_SZ_EUlSY_E_NS1_11comp_targetILNS1_3genE0ELNS1_11target_archE4294967295ELNS1_3gpuE0ELNS1_3repE0EEENS1_30default_config_static_selectorELNS0_4arch9wavefront6targetE1EEEvT1_ ; -- Begin function _ZN7rocprim17ROCPRIM_400000_NS6detail17trampoline_kernelINS0_14default_configENS1_27scan_by_key_config_selectorIj11FixedVectorIiLj1EEEEZZNS1_16scan_by_key_implILNS1_25lookback_scan_determinismE0ELb0ES3_N6thrust23THRUST_200600_302600_NS6detail15normal_iteratorINSB_10device_ptrIjEEEENSD_INSE_IS6_EEEESI_S6_NSB_4plusIvEENSB_8equal_toIvEES6_EE10hipError_tPvRmT2_T3_T4_T5_mT6_T7_P12ihipStream_tbENKUlT_T0_E_clISt17integral_constantIbLb0EES13_EEDaSY_SZ_EUlSY_E_NS1_11comp_targetILNS1_3genE0ELNS1_11target_archE4294967295ELNS1_3gpuE0ELNS1_3repE0EEENS1_30default_config_static_selectorELNS0_4arch9wavefront6targetE1EEEvT1_
	.globl	_ZN7rocprim17ROCPRIM_400000_NS6detail17trampoline_kernelINS0_14default_configENS1_27scan_by_key_config_selectorIj11FixedVectorIiLj1EEEEZZNS1_16scan_by_key_implILNS1_25lookback_scan_determinismE0ELb0ES3_N6thrust23THRUST_200600_302600_NS6detail15normal_iteratorINSB_10device_ptrIjEEEENSD_INSE_IS6_EEEESI_S6_NSB_4plusIvEENSB_8equal_toIvEES6_EE10hipError_tPvRmT2_T3_T4_T5_mT6_T7_P12ihipStream_tbENKUlT_T0_E_clISt17integral_constantIbLb0EES13_EEDaSY_SZ_EUlSY_E_NS1_11comp_targetILNS1_3genE0ELNS1_11target_archE4294967295ELNS1_3gpuE0ELNS1_3repE0EEENS1_30default_config_static_selectorELNS0_4arch9wavefront6targetE1EEEvT1_
	.p2align	8
	.type	_ZN7rocprim17ROCPRIM_400000_NS6detail17trampoline_kernelINS0_14default_configENS1_27scan_by_key_config_selectorIj11FixedVectorIiLj1EEEEZZNS1_16scan_by_key_implILNS1_25lookback_scan_determinismE0ELb0ES3_N6thrust23THRUST_200600_302600_NS6detail15normal_iteratorINSB_10device_ptrIjEEEENSD_INSE_IS6_EEEESI_S6_NSB_4plusIvEENSB_8equal_toIvEES6_EE10hipError_tPvRmT2_T3_T4_T5_mT6_T7_P12ihipStream_tbENKUlT_T0_E_clISt17integral_constantIbLb0EES13_EEDaSY_SZ_EUlSY_E_NS1_11comp_targetILNS1_3genE0ELNS1_11target_archE4294967295ELNS1_3gpuE0ELNS1_3repE0EEENS1_30default_config_static_selectorELNS0_4arch9wavefront6targetE1EEEvT1_,@function
_ZN7rocprim17ROCPRIM_400000_NS6detail17trampoline_kernelINS0_14default_configENS1_27scan_by_key_config_selectorIj11FixedVectorIiLj1EEEEZZNS1_16scan_by_key_implILNS1_25lookback_scan_determinismE0ELb0ES3_N6thrust23THRUST_200600_302600_NS6detail15normal_iteratorINSB_10device_ptrIjEEEENSD_INSE_IS6_EEEESI_S6_NSB_4plusIvEENSB_8equal_toIvEES6_EE10hipError_tPvRmT2_T3_T4_T5_mT6_T7_P12ihipStream_tbENKUlT_T0_E_clISt17integral_constantIbLb0EES13_EEDaSY_SZ_EUlSY_E_NS1_11comp_targetILNS1_3genE0ELNS1_11target_archE4294967295ELNS1_3gpuE0ELNS1_3repE0EEENS1_30default_config_static_selectorELNS0_4arch9wavefront6targetE1EEEvT1_: ; @_ZN7rocprim17ROCPRIM_400000_NS6detail17trampoline_kernelINS0_14default_configENS1_27scan_by_key_config_selectorIj11FixedVectorIiLj1EEEEZZNS1_16scan_by_key_implILNS1_25lookback_scan_determinismE0ELb0ES3_N6thrust23THRUST_200600_302600_NS6detail15normal_iteratorINSB_10device_ptrIjEEEENSD_INSE_IS6_EEEESI_S6_NSB_4plusIvEENSB_8equal_toIvEES6_EE10hipError_tPvRmT2_T3_T4_T5_mT6_T7_P12ihipStream_tbENKUlT_T0_E_clISt17integral_constantIbLb0EES13_EEDaSY_SZ_EUlSY_E_NS1_11comp_targetILNS1_3genE0ELNS1_11target_archE4294967295ELNS1_3gpuE0ELNS1_3repE0EEENS1_30default_config_static_selectorELNS0_4arch9wavefront6targetE1EEEvT1_
; %bb.0:
	.section	.rodata,"a",@progbits
	.p2align	6, 0x0
	.amdhsa_kernel _ZN7rocprim17ROCPRIM_400000_NS6detail17trampoline_kernelINS0_14default_configENS1_27scan_by_key_config_selectorIj11FixedVectorIiLj1EEEEZZNS1_16scan_by_key_implILNS1_25lookback_scan_determinismE0ELb0ES3_N6thrust23THRUST_200600_302600_NS6detail15normal_iteratorINSB_10device_ptrIjEEEENSD_INSE_IS6_EEEESI_S6_NSB_4plusIvEENSB_8equal_toIvEES6_EE10hipError_tPvRmT2_T3_T4_T5_mT6_T7_P12ihipStream_tbENKUlT_T0_E_clISt17integral_constantIbLb0EES13_EEDaSY_SZ_EUlSY_E_NS1_11comp_targetILNS1_3genE0ELNS1_11target_archE4294967295ELNS1_3gpuE0ELNS1_3repE0EEENS1_30default_config_static_selectorELNS0_4arch9wavefront6targetE1EEEvT1_
		.amdhsa_group_segment_fixed_size 0
		.amdhsa_private_segment_fixed_size 0
		.amdhsa_kernarg_size 112
		.amdhsa_user_sgpr_count 2
		.amdhsa_user_sgpr_dispatch_ptr 0
		.amdhsa_user_sgpr_queue_ptr 0
		.amdhsa_user_sgpr_kernarg_segment_ptr 1
		.amdhsa_user_sgpr_dispatch_id 0
		.amdhsa_user_sgpr_kernarg_preload_length 0
		.amdhsa_user_sgpr_kernarg_preload_offset 0
		.amdhsa_user_sgpr_private_segment_size 0
		.amdhsa_uses_dynamic_stack 0
		.amdhsa_enable_private_segment 0
		.amdhsa_system_sgpr_workgroup_id_x 1
		.amdhsa_system_sgpr_workgroup_id_y 0
		.amdhsa_system_sgpr_workgroup_id_z 0
		.amdhsa_system_sgpr_workgroup_info 0
		.amdhsa_system_vgpr_workitem_id 0
		.amdhsa_next_free_vgpr 1
		.amdhsa_next_free_sgpr 0
		.amdhsa_accum_offset 4
		.amdhsa_reserve_vcc 0
		.amdhsa_float_round_mode_32 0
		.amdhsa_float_round_mode_16_64 0
		.amdhsa_float_denorm_mode_32 3
		.amdhsa_float_denorm_mode_16_64 3
		.amdhsa_dx10_clamp 1
		.amdhsa_ieee_mode 1
		.amdhsa_fp16_overflow 0
		.amdhsa_tg_split 0
		.amdhsa_exception_fp_ieee_invalid_op 0
		.amdhsa_exception_fp_denorm_src 0
		.amdhsa_exception_fp_ieee_div_zero 0
		.amdhsa_exception_fp_ieee_overflow 0
		.amdhsa_exception_fp_ieee_underflow 0
		.amdhsa_exception_fp_ieee_inexact 0
		.amdhsa_exception_int_div_zero 0
	.end_amdhsa_kernel
	.section	.text._ZN7rocprim17ROCPRIM_400000_NS6detail17trampoline_kernelINS0_14default_configENS1_27scan_by_key_config_selectorIj11FixedVectorIiLj1EEEEZZNS1_16scan_by_key_implILNS1_25lookback_scan_determinismE0ELb0ES3_N6thrust23THRUST_200600_302600_NS6detail15normal_iteratorINSB_10device_ptrIjEEEENSD_INSE_IS6_EEEESI_S6_NSB_4plusIvEENSB_8equal_toIvEES6_EE10hipError_tPvRmT2_T3_T4_T5_mT6_T7_P12ihipStream_tbENKUlT_T0_E_clISt17integral_constantIbLb0EES13_EEDaSY_SZ_EUlSY_E_NS1_11comp_targetILNS1_3genE0ELNS1_11target_archE4294967295ELNS1_3gpuE0ELNS1_3repE0EEENS1_30default_config_static_selectorELNS0_4arch9wavefront6targetE1EEEvT1_,"axG",@progbits,_ZN7rocprim17ROCPRIM_400000_NS6detail17trampoline_kernelINS0_14default_configENS1_27scan_by_key_config_selectorIj11FixedVectorIiLj1EEEEZZNS1_16scan_by_key_implILNS1_25lookback_scan_determinismE0ELb0ES3_N6thrust23THRUST_200600_302600_NS6detail15normal_iteratorINSB_10device_ptrIjEEEENSD_INSE_IS6_EEEESI_S6_NSB_4plusIvEENSB_8equal_toIvEES6_EE10hipError_tPvRmT2_T3_T4_T5_mT6_T7_P12ihipStream_tbENKUlT_T0_E_clISt17integral_constantIbLb0EES13_EEDaSY_SZ_EUlSY_E_NS1_11comp_targetILNS1_3genE0ELNS1_11target_archE4294967295ELNS1_3gpuE0ELNS1_3repE0EEENS1_30default_config_static_selectorELNS0_4arch9wavefront6targetE1EEEvT1_,comdat
.Lfunc_end1869:
	.size	_ZN7rocprim17ROCPRIM_400000_NS6detail17trampoline_kernelINS0_14default_configENS1_27scan_by_key_config_selectorIj11FixedVectorIiLj1EEEEZZNS1_16scan_by_key_implILNS1_25lookback_scan_determinismE0ELb0ES3_N6thrust23THRUST_200600_302600_NS6detail15normal_iteratorINSB_10device_ptrIjEEEENSD_INSE_IS6_EEEESI_S6_NSB_4plusIvEENSB_8equal_toIvEES6_EE10hipError_tPvRmT2_T3_T4_T5_mT6_T7_P12ihipStream_tbENKUlT_T0_E_clISt17integral_constantIbLb0EES13_EEDaSY_SZ_EUlSY_E_NS1_11comp_targetILNS1_3genE0ELNS1_11target_archE4294967295ELNS1_3gpuE0ELNS1_3repE0EEENS1_30default_config_static_selectorELNS0_4arch9wavefront6targetE1EEEvT1_, .Lfunc_end1869-_ZN7rocprim17ROCPRIM_400000_NS6detail17trampoline_kernelINS0_14default_configENS1_27scan_by_key_config_selectorIj11FixedVectorIiLj1EEEEZZNS1_16scan_by_key_implILNS1_25lookback_scan_determinismE0ELb0ES3_N6thrust23THRUST_200600_302600_NS6detail15normal_iteratorINSB_10device_ptrIjEEEENSD_INSE_IS6_EEEESI_S6_NSB_4plusIvEENSB_8equal_toIvEES6_EE10hipError_tPvRmT2_T3_T4_T5_mT6_T7_P12ihipStream_tbENKUlT_T0_E_clISt17integral_constantIbLb0EES13_EEDaSY_SZ_EUlSY_E_NS1_11comp_targetILNS1_3genE0ELNS1_11target_archE4294967295ELNS1_3gpuE0ELNS1_3repE0EEENS1_30default_config_static_selectorELNS0_4arch9wavefront6targetE1EEEvT1_
                                        ; -- End function
	.section	.AMDGPU.csdata,"",@progbits
; Kernel info:
; codeLenInByte = 0
; NumSgprs: 6
; NumVgprs: 0
; NumAgprs: 0
; TotalNumVgprs: 0
; ScratchSize: 0
; MemoryBound: 0
; FloatMode: 240
; IeeeMode: 1
; LDSByteSize: 0 bytes/workgroup (compile time only)
; SGPRBlocks: 0
; VGPRBlocks: 0
; NumSGPRsForWavesPerEU: 6
; NumVGPRsForWavesPerEU: 1
; AccumOffset: 4
; Occupancy: 8
; WaveLimiterHint : 0
; COMPUTE_PGM_RSRC2:SCRATCH_EN: 0
; COMPUTE_PGM_RSRC2:USER_SGPR: 2
; COMPUTE_PGM_RSRC2:TRAP_HANDLER: 0
; COMPUTE_PGM_RSRC2:TGID_X_EN: 1
; COMPUTE_PGM_RSRC2:TGID_Y_EN: 0
; COMPUTE_PGM_RSRC2:TGID_Z_EN: 0
; COMPUTE_PGM_RSRC2:TIDIG_COMP_CNT: 0
; COMPUTE_PGM_RSRC3_GFX90A:ACCUM_OFFSET: 0
; COMPUTE_PGM_RSRC3_GFX90A:TG_SPLIT: 0
	.section	.text._ZN7rocprim17ROCPRIM_400000_NS6detail17trampoline_kernelINS0_14default_configENS1_27scan_by_key_config_selectorIj11FixedVectorIiLj1EEEEZZNS1_16scan_by_key_implILNS1_25lookback_scan_determinismE0ELb0ES3_N6thrust23THRUST_200600_302600_NS6detail15normal_iteratorINSB_10device_ptrIjEEEENSD_INSE_IS6_EEEESI_S6_NSB_4plusIvEENSB_8equal_toIvEES6_EE10hipError_tPvRmT2_T3_T4_T5_mT6_T7_P12ihipStream_tbENKUlT_T0_E_clISt17integral_constantIbLb0EES13_EEDaSY_SZ_EUlSY_E_NS1_11comp_targetILNS1_3genE10ELNS1_11target_archE1201ELNS1_3gpuE5ELNS1_3repE0EEENS1_30default_config_static_selectorELNS0_4arch9wavefront6targetE1EEEvT1_,"axG",@progbits,_ZN7rocprim17ROCPRIM_400000_NS6detail17trampoline_kernelINS0_14default_configENS1_27scan_by_key_config_selectorIj11FixedVectorIiLj1EEEEZZNS1_16scan_by_key_implILNS1_25lookback_scan_determinismE0ELb0ES3_N6thrust23THRUST_200600_302600_NS6detail15normal_iteratorINSB_10device_ptrIjEEEENSD_INSE_IS6_EEEESI_S6_NSB_4plusIvEENSB_8equal_toIvEES6_EE10hipError_tPvRmT2_T3_T4_T5_mT6_T7_P12ihipStream_tbENKUlT_T0_E_clISt17integral_constantIbLb0EES13_EEDaSY_SZ_EUlSY_E_NS1_11comp_targetILNS1_3genE10ELNS1_11target_archE1201ELNS1_3gpuE5ELNS1_3repE0EEENS1_30default_config_static_selectorELNS0_4arch9wavefront6targetE1EEEvT1_,comdat
	.protected	_ZN7rocprim17ROCPRIM_400000_NS6detail17trampoline_kernelINS0_14default_configENS1_27scan_by_key_config_selectorIj11FixedVectorIiLj1EEEEZZNS1_16scan_by_key_implILNS1_25lookback_scan_determinismE0ELb0ES3_N6thrust23THRUST_200600_302600_NS6detail15normal_iteratorINSB_10device_ptrIjEEEENSD_INSE_IS6_EEEESI_S6_NSB_4plusIvEENSB_8equal_toIvEES6_EE10hipError_tPvRmT2_T3_T4_T5_mT6_T7_P12ihipStream_tbENKUlT_T0_E_clISt17integral_constantIbLb0EES13_EEDaSY_SZ_EUlSY_E_NS1_11comp_targetILNS1_3genE10ELNS1_11target_archE1201ELNS1_3gpuE5ELNS1_3repE0EEENS1_30default_config_static_selectorELNS0_4arch9wavefront6targetE1EEEvT1_ ; -- Begin function _ZN7rocprim17ROCPRIM_400000_NS6detail17trampoline_kernelINS0_14default_configENS1_27scan_by_key_config_selectorIj11FixedVectorIiLj1EEEEZZNS1_16scan_by_key_implILNS1_25lookback_scan_determinismE0ELb0ES3_N6thrust23THRUST_200600_302600_NS6detail15normal_iteratorINSB_10device_ptrIjEEEENSD_INSE_IS6_EEEESI_S6_NSB_4plusIvEENSB_8equal_toIvEES6_EE10hipError_tPvRmT2_T3_T4_T5_mT6_T7_P12ihipStream_tbENKUlT_T0_E_clISt17integral_constantIbLb0EES13_EEDaSY_SZ_EUlSY_E_NS1_11comp_targetILNS1_3genE10ELNS1_11target_archE1201ELNS1_3gpuE5ELNS1_3repE0EEENS1_30default_config_static_selectorELNS0_4arch9wavefront6targetE1EEEvT1_
	.globl	_ZN7rocprim17ROCPRIM_400000_NS6detail17trampoline_kernelINS0_14default_configENS1_27scan_by_key_config_selectorIj11FixedVectorIiLj1EEEEZZNS1_16scan_by_key_implILNS1_25lookback_scan_determinismE0ELb0ES3_N6thrust23THRUST_200600_302600_NS6detail15normal_iteratorINSB_10device_ptrIjEEEENSD_INSE_IS6_EEEESI_S6_NSB_4plusIvEENSB_8equal_toIvEES6_EE10hipError_tPvRmT2_T3_T4_T5_mT6_T7_P12ihipStream_tbENKUlT_T0_E_clISt17integral_constantIbLb0EES13_EEDaSY_SZ_EUlSY_E_NS1_11comp_targetILNS1_3genE10ELNS1_11target_archE1201ELNS1_3gpuE5ELNS1_3repE0EEENS1_30default_config_static_selectorELNS0_4arch9wavefront6targetE1EEEvT1_
	.p2align	8
	.type	_ZN7rocprim17ROCPRIM_400000_NS6detail17trampoline_kernelINS0_14default_configENS1_27scan_by_key_config_selectorIj11FixedVectorIiLj1EEEEZZNS1_16scan_by_key_implILNS1_25lookback_scan_determinismE0ELb0ES3_N6thrust23THRUST_200600_302600_NS6detail15normal_iteratorINSB_10device_ptrIjEEEENSD_INSE_IS6_EEEESI_S6_NSB_4plusIvEENSB_8equal_toIvEES6_EE10hipError_tPvRmT2_T3_T4_T5_mT6_T7_P12ihipStream_tbENKUlT_T0_E_clISt17integral_constantIbLb0EES13_EEDaSY_SZ_EUlSY_E_NS1_11comp_targetILNS1_3genE10ELNS1_11target_archE1201ELNS1_3gpuE5ELNS1_3repE0EEENS1_30default_config_static_selectorELNS0_4arch9wavefront6targetE1EEEvT1_,@function
_ZN7rocprim17ROCPRIM_400000_NS6detail17trampoline_kernelINS0_14default_configENS1_27scan_by_key_config_selectorIj11FixedVectorIiLj1EEEEZZNS1_16scan_by_key_implILNS1_25lookback_scan_determinismE0ELb0ES3_N6thrust23THRUST_200600_302600_NS6detail15normal_iteratorINSB_10device_ptrIjEEEENSD_INSE_IS6_EEEESI_S6_NSB_4plusIvEENSB_8equal_toIvEES6_EE10hipError_tPvRmT2_T3_T4_T5_mT6_T7_P12ihipStream_tbENKUlT_T0_E_clISt17integral_constantIbLb0EES13_EEDaSY_SZ_EUlSY_E_NS1_11comp_targetILNS1_3genE10ELNS1_11target_archE1201ELNS1_3gpuE5ELNS1_3repE0EEENS1_30default_config_static_selectorELNS0_4arch9wavefront6targetE1EEEvT1_: ; @_ZN7rocprim17ROCPRIM_400000_NS6detail17trampoline_kernelINS0_14default_configENS1_27scan_by_key_config_selectorIj11FixedVectorIiLj1EEEEZZNS1_16scan_by_key_implILNS1_25lookback_scan_determinismE0ELb0ES3_N6thrust23THRUST_200600_302600_NS6detail15normal_iteratorINSB_10device_ptrIjEEEENSD_INSE_IS6_EEEESI_S6_NSB_4plusIvEENSB_8equal_toIvEES6_EE10hipError_tPvRmT2_T3_T4_T5_mT6_T7_P12ihipStream_tbENKUlT_T0_E_clISt17integral_constantIbLb0EES13_EEDaSY_SZ_EUlSY_E_NS1_11comp_targetILNS1_3genE10ELNS1_11target_archE1201ELNS1_3gpuE5ELNS1_3repE0EEENS1_30default_config_static_selectorELNS0_4arch9wavefront6targetE1EEEvT1_
; %bb.0:
	.section	.rodata,"a",@progbits
	.p2align	6, 0x0
	.amdhsa_kernel _ZN7rocprim17ROCPRIM_400000_NS6detail17trampoline_kernelINS0_14default_configENS1_27scan_by_key_config_selectorIj11FixedVectorIiLj1EEEEZZNS1_16scan_by_key_implILNS1_25lookback_scan_determinismE0ELb0ES3_N6thrust23THRUST_200600_302600_NS6detail15normal_iteratorINSB_10device_ptrIjEEEENSD_INSE_IS6_EEEESI_S6_NSB_4plusIvEENSB_8equal_toIvEES6_EE10hipError_tPvRmT2_T3_T4_T5_mT6_T7_P12ihipStream_tbENKUlT_T0_E_clISt17integral_constantIbLb0EES13_EEDaSY_SZ_EUlSY_E_NS1_11comp_targetILNS1_3genE10ELNS1_11target_archE1201ELNS1_3gpuE5ELNS1_3repE0EEENS1_30default_config_static_selectorELNS0_4arch9wavefront6targetE1EEEvT1_
		.amdhsa_group_segment_fixed_size 0
		.amdhsa_private_segment_fixed_size 0
		.amdhsa_kernarg_size 112
		.amdhsa_user_sgpr_count 2
		.amdhsa_user_sgpr_dispatch_ptr 0
		.amdhsa_user_sgpr_queue_ptr 0
		.amdhsa_user_sgpr_kernarg_segment_ptr 1
		.amdhsa_user_sgpr_dispatch_id 0
		.amdhsa_user_sgpr_kernarg_preload_length 0
		.amdhsa_user_sgpr_kernarg_preload_offset 0
		.amdhsa_user_sgpr_private_segment_size 0
		.amdhsa_uses_dynamic_stack 0
		.amdhsa_enable_private_segment 0
		.amdhsa_system_sgpr_workgroup_id_x 1
		.amdhsa_system_sgpr_workgroup_id_y 0
		.amdhsa_system_sgpr_workgroup_id_z 0
		.amdhsa_system_sgpr_workgroup_info 0
		.amdhsa_system_vgpr_workitem_id 0
		.amdhsa_next_free_vgpr 1
		.amdhsa_next_free_sgpr 0
		.amdhsa_accum_offset 4
		.amdhsa_reserve_vcc 0
		.amdhsa_float_round_mode_32 0
		.amdhsa_float_round_mode_16_64 0
		.amdhsa_float_denorm_mode_32 3
		.amdhsa_float_denorm_mode_16_64 3
		.amdhsa_dx10_clamp 1
		.amdhsa_ieee_mode 1
		.amdhsa_fp16_overflow 0
		.amdhsa_tg_split 0
		.amdhsa_exception_fp_ieee_invalid_op 0
		.amdhsa_exception_fp_denorm_src 0
		.amdhsa_exception_fp_ieee_div_zero 0
		.amdhsa_exception_fp_ieee_overflow 0
		.amdhsa_exception_fp_ieee_underflow 0
		.amdhsa_exception_fp_ieee_inexact 0
		.amdhsa_exception_int_div_zero 0
	.end_amdhsa_kernel
	.section	.text._ZN7rocprim17ROCPRIM_400000_NS6detail17trampoline_kernelINS0_14default_configENS1_27scan_by_key_config_selectorIj11FixedVectorIiLj1EEEEZZNS1_16scan_by_key_implILNS1_25lookback_scan_determinismE0ELb0ES3_N6thrust23THRUST_200600_302600_NS6detail15normal_iteratorINSB_10device_ptrIjEEEENSD_INSE_IS6_EEEESI_S6_NSB_4plusIvEENSB_8equal_toIvEES6_EE10hipError_tPvRmT2_T3_T4_T5_mT6_T7_P12ihipStream_tbENKUlT_T0_E_clISt17integral_constantIbLb0EES13_EEDaSY_SZ_EUlSY_E_NS1_11comp_targetILNS1_3genE10ELNS1_11target_archE1201ELNS1_3gpuE5ELNS1_3repE0EEENS1_30default_config_static_selectorELNS0_4arch9wavefront6targetE1EEEvT1_,"axG",@progbits,_ZN7rocprim17ROCPRIM_400000_NS6detail17trampoline_kernelINS0_14default_configENS1_27scan_by_key_config_selectorIj11FixedVectorIiLj1EEEEZZNS1_16scan_by_key_implILNS1_25lookback_scan_determinismE0ELb0ES3_N6thrust23THRUST_200600_302600_NS6detail15normal_iteratorINSB_10device_ptrIjEEEENSD_INSE_IS6_EEEESI_S6_NSB_4plusIvEENSB_8equal_toIvEES6_EE10hipError_tPvRmT2_T3_T4_T5_mT6_T7_P12ihipStream_tbENKUlT_T0_E_clISt17integral_constantIbLb0EES13_EEDaSY_SZ_EUlSY_E_NS1_11comp_targetILNS1_3genE10ELNS1_11target_archE1201ELNS1_3gpuE5ELNS1_3repE0EEENS1_30default_config_static_selectorELNS0_4arch9wavefront6targetE1EEEvT1_,comdat
.Lfunc_end1870:
	.size	_ZN7rocprim17ROCPRIM_400000_NS6detail17trampoline_kernelINS0_14default_configENS1_27scan_by_key_config_selectorIj11FixedVectorIiLj1EEEEZZNS1_16scan_by_key_implILNS1_25lookback_scan_determinismE0ELb0ES3_N6thrust23THRUST_200600_302600_NS6detail15normal_iteratorINSB_10device_ptrIjEEEENSD_INSE_IS6_EEEESI_S6_NSB_4plusIvEENSB_8equal_toIvEES6_EE10hipError_tPvRmT2_T3_T4_T5_mT6_T7_P12ihipStream_tbENKUlT_T0_E_clISt17integral_constantIbLb0EES13_EEDaSY_SZ_EUlSY_E_NS1_11comp_targetILNS1_3genE10ELNS1_11target_archE1201ELNS1_3gpuE5ELNS1_3repE0EEENS1_30default_config_static_selectorELNS0_4arch9wavefront6targetE1EEEvT1_, .Lfunc_end1870-_ZN7rocprim17ROCPRIM_400000_NS6detail17trampoline_kernelINS0_14default_configENS1_27scan_by_key_config_selectorIj11FixedVectorIiLj1EEEEZZNS1_16scan_by_key_implILNS1_25lookback_scan_determinismE0ELb0ES3_N6thrust23THRUST_200600_302600_NS6detail15normal_iteratorINSB_10device_ptrIjEEEENSD_INSE_IS6_EEEESI_S6_NSB_4plusIvEENSB_8equal_toIvEES6_EE10hipError_tPvRmT2_T3_T4_T5_mT6_T7_P12ihipStream_tbENKUlT_T0_E_clISt17integral_constantIbLb0EES13_EEDaSY_SZ_EUlSY_E_NS1_11comp_targetILNS1_3genE10ELNS1_11target_archE1201ELNS1_3gpuE5ELNS1_3repE0EEENS1_30default_config_static_selectorELNS0_4arch9wavefront6targetE1EEEvT1_
                                        ; -- End function
	.section	.AMDGPU.csdata,"",@progbits
; Kernel info:
; codeLenInByte = 0
; NumSgprs: 6
; NumVgprs: 0
; NumAgprs: 0
; TotalNumVgprs: 0
; ScratchSize: 0
; MemoryBound: 0
; FloatMode: 240
; IeeeMode: 1
; LDSByteSize: 0 bytes/workgroup (compile time only)
; SGPRBlocks: 0
; VGPRBlocks: 0
; NumSGPRsForWavesPerEU: 6
; NumVGPRsForWavesPerEU: 1
; AccumOffset: 4
; Occupancy: 8
; WaveLimiterHint : 0
; COMPUTE_PGM_RSRC2:SCRATCH_EN: 0
; COMPUTE_PGM_RSRC2:USER_SGPR: 2
; COMPUTE_PGM_RSRC2:TRAP_HANDLER: 0
; COMPUTE_PGM_RSRC2:TGID_X_EN: 1
; COMPUTE_PGM_RSRC2:TGID_Y_EN: 0
; COMPUTE_PGM_RSRC2:TGID_Z_EN: 0
; COMPUTE_PGM_RSRC2:TIDIG_COMP_CNT: 0
; COMPUTE_PGM_RSRC3_GFX90A:ACCUM_OFFSET: 0
; COMPUTE_PGM_RSRC3_GFX90A:TG_SPLIT: 0
	.section	.text._ZN7rocprim17ROCPRIM_400000_NS6detail17trampoline_kernelINS0_14default_configENS1_27scan_by_key_config_selectorIj11FixedVectorIiLj1EEEEZZNS1_16scan_by_key_implILNS1_25lookback_scan_determinismE0ELb0ES3_N6thrust23THRUST_200600_302600_NS6detail15normal_iteratorINSB_10device_ptrIjEEEENSD_INSE_IS6_EEEESI_S6_NSB_4plusIvEENSB_8equal_toIvEES6_EE10hipError_tPvRmT2_T3_T4_T5_mT6_T7_P12ihipStream_tbENKUlT_T0_E_clISt17integral_constantIbLb0EES13_EEDaSY_SZ_EUlSY_E_NS1_11comp_targetILNS1_3genE5ELNS1_11target_archE942ELNS1_3gpuE9ELNS1_3repE0EEENS1_30default_config_static_selectorELNS0_4arch9wavefront6targetE1EEEvT1_,"axG",@progbits,_ZN7rocprim17ROCPRIM_400000_NS6detail17trampoline_kernelINS0_14default_configENS1_27scan_by_key_config_selectorIj11FixedVectorIiLj1EEEEZZNS1_16scan_by_key_implILNS1_25lookback_scan_determinismE0ELb0ES3_N6thrust23THRUST_200600_302600_NS6detail15normal_iteratorINSB_10device_ptrIjEEEENSD_INSE_IS6_EEEESI_S6_NSB_4plusIvEENSB_8equal_toIvEES6_EE10hipError_tPvRmT2_T3_T4_T5_mT6_T7_P12ihipStream_tbENKUlT_T0_E_clISt17integral_constantIbLb0EES13_EEDaSY_SZ_EUlSY_E_NS1_11comp_targetILNS1_3genE5ELNS1_11target_archE942ELNS1_3gpuE9ELNS1_3repE0EEENS1_30default_config_static_selectorELNS0_4arch9wavefront6targetE1EEEvT1_,comdat
	.protected	_ZN7rocprim17ROCPRIM_400000_NS6detail17trampoline_kernelINS0_14default_configENS1_27scan_by_key_config_selectorIj11FixedVectorIiLj1EEEEZZNS1_16scan_by_key_implILNS1_25lookback_scan_determinismE0ELb0ES3_N6thrust23THRUST_200600_302600_NS6detail15normal_iteratorINSB_10device_ptrIjEEEENSD_INSE_IS6_EEEESI_S6_NSB_4plusIvEENSB_8equal_toIvEES6_EE10hipError_tPvRmT2_T3_T4_T5_mT6_T7_P12ihipStream_tbENKUlT_T0_E_clISt17integral_constantIbLb0EES13_EEDaSY_SZ_EUlSY_E_NS1_11comp_targetILNS1_3genE5ELNS1_11target_archE942ELNS1_3gpuE9ELNS1_3repE0EEENS1_30default_config_static_selectorELNS0_4arch9wavefront6targetE1EEEvT1_ ; -- Begin function _ZN7rocprim17ROCPRIM_400000_NS6detail17trampoline_kernelINS0_14default_configENS1_27scan_by_key_config_selectorIj11FixedVectorIiLj1EEEEZZNS1_16scan_by_key_implILNS1_25lookback_scan_determinismE0ELb0ES3_N6thrust23THRUST_200600_302600_NS6detail15normal_iteratorINSB_10device_ptrIjEEEENSD_INSE_IS6_EEEESI_S6_NSB_4plusIvEENSB_8equal_toIvEES6_EE10hipError_tPvRmT2_T3_T4_T5_mT6_T7_P12ihipStream_tbENKUlT_T0_E_clISt17integral_constantIbLb0EES13_EEDaSY_SZ_EUlSY_E_NS1_11comp_targetILNS1_3genE5ELNS1_11target_archE942ELNS1_3gpuE9ELNS1_3repE0EEENS1_30default_config_static_selectorELNS0_4arch9wavefront6targetE1EEEvT1_
	.globl	_ZN7rocprim17ROCPRIM_400000_NS6detail17trampoline_kernelINS0_14default_configENS1_27scan_by_key_config_selectorIj11FixedVectorIiLj1EEEEZZNS1_16scan_by_key_implILNS1_25lookback_scan_determinismE0ELb0ES3_N6thrust23THRUST_200600_302600_NS6detail15normal_iteratorINSB_10device_ptrIjEEEENSD_INSE_IS6_EEEESI_S6_NSB_4plusIvEENSB_8equal_toIvEES6_EE10hipError_tPvRmT2_T3_T4_T5_mT6_T7_P12ihipStream_tbENKUlT_T0_E_clISt17integral_constantIbLb0EES13_EEDaSY_SZ_EUlSY_E_NS1_11comp_targetILNS1_3genE5ELNS1_11target_archE942ELNS1_3gpuE9ELNS1_3repE0EEENS1_30default_config_static_selectorELNS0_4arch9wavefront6targetE1EEEvT1_
	.p2align	8
	.type	_ZN7rocprim17ROCPRIM_400000_NS6detail17trampoline_kernelINS0_14default_configENS1_27scan_by_key_config_selectorIj11FixedVectorIiLj1EEEEZZNS1_16scan_by_key_implILNS1_25lookback_scan_determinismE0ELb0ES3_N6thrust23THRUST_200600_302600_NS6detail15normal_iteratorINSB_10device_ptrIjEEEENSD_INSE_IS6_EEEESI_S6_NSB_4plusIvEENSB_8equal_toIvEES6_EE10hipError_tPvRmT2_T3_T4_T5_mT6_T7_P12ihipStream_tbENKUlT_T0_E_clISt17integral_constantIbLb0EES13_EEDaSY_SZ_EUlSY_E_NS1_11comp_targetILNS1_3genE5ELNS1_11target_archE942ELNS1_3gpuE9ELNS1_3repE0EEENS1_30default_config_static_selectorELNS0_4arch9wavefront6targetE1EEEvT1_,@function
_ZN7rocprim17ROCPRIM_400000_NS6detail17trampoline_kernelINS0_14default_configENS1_27scan_by_key_config_selectorIj11FixedVectorIiLj1EEEEZZNS1_16scan_by_key_implILNS1_25lookback_scan_determinismE0ELb0ES3_N6thrust23THRUST_200600_302600_NS6detail15normal_iteratorINSB_10device_ptrIjEEEENSD_INSE_IS6_EEEESI_S6_NSB_4plusIvEENSB_8equal_toIvEES6_EE10hipError_tPvRmT2_T3_T4_T5_mT6_T7_P12ihipStream_tbENKUlT_T0_E_clISt17integral_constantIbLb0EES13_EEDaSY_SZ_EUlSY_E_NS1_11comp_targetILNS1_3genE5ELNS1_11target_archE942ELNS1_3gpuE9ELNS1_3repE0EEENS1_30default_config_static_selectorELNS0_4arch9wavefront6targetE1EEEvT1_: ; @_ZN7rocprim17ROCPRIM_400000_NS6detail17trampoline_kernelINS0_14default_configENS1_27scan_by_key_config_selectorIj11FixedVectorIiLj1EEEEZZNS1_16scan_by_key_implILNS1_25lookback_scan_determinismE0ELb0ES3_N6thrust23THRUST_200600_302600_NS6detail15normal_iteratorINSB_10device_ptrIjEEEENSD_INSE_IS6_EEEESI_S6_NSB_4plusIvEENSB_8equal_toIvEES6_EE10hipError_tPvRmT2_T3_T4_T5_mT6_T7_P12ihipStream_tbENKUlT_T0_E_clISt17integral_constantIbLb0EES13_EEDaSY_SZ_EUlSY_E_NS1_11comp_targetILNS1_3genE5ELNS1_11target_archE942ELNS1_3gpuE9ELNS1_3repE0EEENS1_30default_config_static_selectorELNS0_4arch9wavefront6targetE1EEEvT1_
; %bb.0:
	s_load_dwordx8 s[52:59], s[0:1], 0x0
	s_load_dwordx4 s[68:71], s[0:1], 0x28
	s_load_dwordx2 s[74:75], s[0:1], 0x38
	s_load_dword s3, s[0:1], 0x40
	s_load_dwordx8 s[60:67], s[0:1], 0x48
	s_waitcnt lgkmcnt(0)
	s_lshl_b64 s[72:73], s[54:55], 2
	s_add_u32 s4, s52, s72
	s_addc_u32 s5, s53, s73
	s_add_u32 s6, s56, s72
	s_mul_i32 s0, s75, s3
	s_mul_hi_u32 s1, s74, s3
	s_addc_u32 s7, s57, s73
	s_add_i32 s8, s1, s0
	s_cmp_lg_u64 s[64:65], 0
	s_mul_i32 s0, s2, 0x1700
	s_mov_b32 s1, 0
	s_cselect_b64 s[64:65], -1, 0
	s_lshl_b64 s[56:57], s[0:1], 2
	s_add_u32 s54, s4, s56
	s_addc_u32 s55, s5, s57
	s_add_u32 s52, s6, s56
	s_mul_i32 s3, s74, s3
	s_addc_u32 s53, s7, s57
	s_add_u32 s76, s3, s2
	s_addc_u32 s77, s8, 0
	s_add_u32 s4, s60, -1
	s_addc_u32 s5, s61, -1
	v_mov_b64_e32 v[2:3], s[4:5]
	v_cmp_ge_u64_e64 s[0:1], s[76:77], v[2:3]
	s_mov_b64 s[10:11], 0
	s_mov_b64 s[6:7], -1
	s_and_b64 vcc, exec, s[0:1]
	s_mul_i32 s33, s4, 0xffffe900
	s_barrier
	s_cbranch_vccz .LBB1871_142
; %bb.1:
	v_mov_b64_e32 v[2:3], s[54:55]
	flat_load_dword v1, v[2:3]
	s_add_i32 s3, s33, s70
	v_cmp_gt_u32_e64 s[50:51], s3, v0
	s_waitcnt vmcnt(0) lgkmcnt(0)
	v_mov_b32_e32 v4, v1
	s_and_saveexec_b64 s[4:5], s[50:51]
	s_cbranch_execz .LBB1871_3
; %bb.2:
	v_lshlrev_b32_e32 v2, 2, v0
	v_mov_b32_e32 v3, 0
	v_lshl_add_u64 v[2:3], s[54:55], 0, v[2:3]
	flat_load_dword v4, v[2:3]
.LBB1871_3:
	s_or_b64 exec, exec, s[4:5]
	v_or_b32_e32 v2, 0x100, v0
	v_cmp_gt_u32_e64 s[4:5], s3, v2
	v_mov_b32_e32 v5, v1
	s_and_saveexec_b64 s[6:7], s[4:5]
	s_cbranch_execz .LBB1871_5
; %bb.4:
	v_lshlrev_b32_e32 v2, 2, v0
	v_mov_b32_e32 v3, 0
	v_lshl_add_u64 v[2:3], s[54:55], 0, v[2:3]
	flat_load_dword v5, v[2:3] offset:1024
.LBB1871_5:
	s_or_b64 exec, exec, s[6:7]
	v_or_b32_e32 v2, 0x200, v0
	v_cmp_gt_u32_e64 s[6:7], s3, v2
	v_mov_b32_e32 v6, v1
	s_and_saveexec_b64 s[8:9], s[6:7]
	s_cbranch_execz .LBB1871_7
; %bb.6:
	v_lshlrev_b32_e32 v2, 2, v0
	v_mov_b32_e32 v3, 0
	v_lshl_add_u64 v[2:3], s[54:55], 0, v[2:3]
	flat_load_dword v6, v[2:3] offset:2048
.LBB1871_7:
	;; [unrolled: 12-line block ×3, first 2 shown]
	s_or_b64 exec, exec, s[10:11]
	v_or_b32_e32 v2, 0x400, v0
	v_cmp_gt_u32_e64 s[10:11], s3, v2
	v_lshlrev_b32_e32 v2, 2, v2
	v_mov_b32_e32 v3, v1
	s_and_saveexec_b64 s[12:13], s[10:11]
	s_cbranch_execz .LBB1871_11
; %bb.10:
	v_mov_b32_e32 v3, 0
	v_lshl_add_u64 v[8:9], s[54:55], 0, v[2:3]
	flat_load_dword v3, v[8:9]
.LBB1871_11:
	s_or_b64 exec, exec, s[12:13]
	v_or_b32_e32 v8, 0x500, v0
	v_cmp_gt_u32_e64 s[12:13], s3, v8
	v_lshlrev_b32_e32 v10, 2, v8
	v_mov_b32_e32 v8, v1
	s_and_saveexec_b64 s[14:15], s[12:13]
	s_cbranch_execz .LBB1871_13
; %bb.12:
	v_mov_b32_e32 v11, 0
	v_lshl_add_u64 v[8:9], s[54:55], 0, v[10:11]
	flat_load_dword v8, v[8:9]
.LBB1871_13:
	;; [unrolled: 12-line block ×18, first 2 shown]
	s_or_b64 exec, exec, s[48:49]
	v_or_b32_e32 v41, 0x1600, v0
	v_cmp_gt_u32_e64 s[48:49], s3, v41
	v_lshlrev_b32_e32 v46, 2, v41
	s_and_saveexec_b64 s[60:61], s[48:49]
	s_cbranch_execz .LBB1871_47
; %bb.46:
	v_mov_b32_e32 v47, 0
	v_lshl_add_u64 v[44:45], s[54:55], 0, v[46:47]
	flat_load_dword v1, v[44:45]
.LBB1871_47:
	s_or_b64 exec, exec, s[60:61]
	v_lshlrev_b32_e32 v44, 2, v0
	s_movk_i32 s60, 0x58
	s_waitcnt vmcnt(0) lgkmcnt(0)
	ds_write2st64_b32 v44, v4, v5 offset1:4
	ds_write2st64_b32 v44, v6, v7 offset0:8 offset1:12
	ds_write2st64_b32 v44, v3, v8 offset0:16 offset1:20
	;; [unrolled: 1-line block ×10, first 2 shown]
	ds_write_b32 v44, v1 offset:22528
	v_mad_u32_u24 v1, v0, s60, v44
	s_waitcnt lgkmcnt(0)
	s_barrier
	ds_read2_b32 v[68:69], v1 offset1:1
	ds_read2_b32 v[66:67], v1 offset0:2 offset1:3
	ds_read2_b32 v[64:65], v1 offset0:4 offset1:5
	;; [unrolled: 1-line block ×10, first 2 shown]
	ds_read_b32 v72, v1 offset:88
	s_cmp_eq_u64 s[76:77], 0
	s_mov_b64 s[60:61], s[54:55]
	s_cbranch_scc1 .LBB1871_51
; %bb.48:
	s_andn2_b64 vcc, exec, s[64:65]
	s_cbranch_vccnz .LBB1871_305
; %bb.49:
	s_lshl_b64 s[60:61], s[76:77], 2
	s_add_u32 s60, s66, s60
	s_addc_u32 s61, s67, s61
	s_add_u32 s60, s60, -4
	s_addc_u32 s61, s61, -1
	s_cbranch_execnz .LBB1871_51
.LBB1871_50:
	s_add_u32 s60, s54, -4
	s_addc_u32 s61, s55, -1
.LBB1871_51:
	v_mov_b64_e32 v[48:49], s[60:61]
	flat_load_dword v70, v[48:49]
	s_movk_i32 s60, 0xffa8
	v_mad_i32_i24 v3, v0, s60, v1
	v_cmp_ne_u32_e32 vcc, 0, v0
	s_waitcnt lgkmcnt(0)
	ds_write_b32 v3, v72 offset:23552
	s_waitcnt lgkmcnt(0)
	s_barrier
	s_and_saveexec_b64 s[60:61], vcc
	s_cbranch_execz .LBB1871_53
; %bb.52:
	v_mul_i32_i24_e32 v3, 0xffffffa8, v0
	v_add_u32_e32 v3, v1, v3
	s_waitcnt vmcnt(0)
	ds_read_b32 v70, v3 offset:23548
.LBB1871_53:
	s_or_b64 exec, exec, s[60:61]
	v_mov_b32_e32 v48, 0
	v_mov_b32_e32 v49, 0
	s_waitcnt lgkmcnt(0)
	s_barrier
	s_and_saveexec_b64 s[60:61], s[50:51]
	s_cbranch_execz .LBB1871_55
; %bb.54:
	v_mov_b32_e32 v45, 0
	v_lshl_add_u64 v[50:51], s[52:53], 0, v[44:45]
	flat_load_dword v49, v[50:51]
.LBB1871_55:
	s_or_b64 exec, exec, s[60:61]
	s_and_saveexec_b64 s[50:51], s[4:5]
	s_cbranch_execz .LBB1871_57
; %bb.56:
	v_mov_b32_e32 v45, 0
	v_lshl_add_u64 v[50:51], s[52:53], 0, v[44:45]
	flat_load_dword v48, v[50:51] offset:1024
.LBB1871_57:
	s_or_b64 exec, exec, s[50:51]
	v_mov_b32_e32 v50, 0
	v_mov_b32_e32 v51, 0
	s_and_saveexec_b64 s[4:5], s[6:7]
	s_cbranch_execz .LBB1871_59
; %bb.58:
	v_mov_b32_e32 v45, 0
	v_lshl_add_u64 v[54:55], s[52:53], 0, v[44:45]
	flat_load_dword v51, v[54:55] offset:2048
.LBB1871_59:
	s_or_b64 exec, exec, s[4:5]
	s_and_saveexec_b64 s[4:5], s[8:9]
	s_cbranch_execz .LBB1871_61
; %bb.60:
	v_mov_b32_e32 v45, 0
	v_lshl_add_u64 v[54:55], s[52:53], 0, v[44:45]
	flat_load_dword v50, v[54:55] offset:3072
.LBB1871_61:
	s_or_b64 exec, exec, s[4:5]
	v_mov_b32_e32 v11, 0
	v_mov_b32_e32 v3, 0
	s_and_saveexec_b64 s[4:5], s[10:11]
	s_cbranch_execz .LBB1871_63
; %bb.62:
	v_mov_b32_e32 v3, 0
	v_lshl_add_u64 v[2:3], s[52:53], 0, v[2:3]
	flat_load_dword v3, v[2:3]
.LBB1871_63:
	s_or_b64 exec, exec, s[4:5]
	s_and_saveexec_b64 s[4:5], s[12:13]
	s_cbranch_execz .LBB1871_65
; %bb.64:
	v_mov_b32_e32 v11, 0
	v_lshl_add_u64 v[10:11], s[52:53], 0, v[10:11]
	flat_load_dword v11, v[10:11]
.LBB1871_65:
	s_or_b64 exec, exec, s[4:5]
	v_mov_b32_e32 v2, 0
	v_mov_b32_e32 v10, 0
	s_and_saveexec_b64 s[4:5], s[14:15]
	s_cbranch_execz .LBB1871_67
; %bb.66:
	v_mov_b32_e32 v13, 0
	v_lshl_add_u64 v[12:13], s[52:53], 0, v[12:13]
	flat_load_dword v10, v[12:13]
.LBB1871_67:
	s_or_b64 exec, exec, s[4:5]
	s_and_saveexec_b64 s[4:5], s[16:17]
	s_cbranch_execz .LBB1871_69
; %bb.68:
	v_mov_b32_e32 v15, 0
	v_lshl_add_u64 v[12:13], s[52:53], 0, v[14:15]
	flat_load_dword v2, v[12:13]
.LBB1871_69:
	;; [unrolled: 18-line block ×8, first 2 shown]
	s_or_b64 exec, exec, s[4:5]
	v_mov_b32_e32 v24, 0
	v_mov_b32_e32 v25, 0
	s_and_saveexec_b64 s[4:5], s[44:45]
	s_cbranch_execnz .LBB1871_301
; %bb.94:
	s_or_b64 exec, exec, s[4:5]
	s_and_saveexec_b64 s[4:5], s[46:47]
	s_cbranch_execnz .LBB1871_302
.LBB1871_95:
	s_or_b64 exec, exec, s[4:5]
	v_mov_b32_e32 v26, 0
	s_and_saveexec_b64 s[4:5], s[48:49]
	s_cbranch_execz .LBB1871_97
.LBB1871_96:
	v_mov_b32_e32 v47, 0
	v_lshl_add_u64 v[26:27], s[52:53], 0, v[46:47]
	flat_load_dword v26, v[26:27]
.LBB1871_97:
	s_or_b64 exec, exec, s[4:5]
	v_mul_u32_u24_e32 v73, 23, v0
	s_waitcnt vmcnt(0) lgkmcnt(0)
	ds_write2st64_b32 v44, v49, v48 offset1:4
	ds_write2st64_b32 v44, v51, v50 offset0:8 offset1:12
	ds_write2st64_b32 v44, v3, v11 offset0:16 offset1:20
	ds_write2st64_b32 v44, v10, v2 offset0:24 offset1:28
	ds_write2st64_b32 v44, v13, v12 offset0:32 offset1:36
	ds_write2st64_b32 v44, v15, v14 offset0:40 offset1:44
	ds_write2st64_b32 v44, v17, v16 offset0:48 offset1:52
	ds_write2st64_b32 v44, v19, v18 offset0:56 offset1:60
	ds_write2st64_b32 v44, v21, v20 offset0:64 offset1:68
	ds_write2st64_b32 v44, v23, v22 offset0:72 offset1:76
	ds_write2st64_b32 v44, v25, v24 offset0:80 offset1:84
	ds_write_b32 v44, v26 offset:22528
	v_mov_b64_e32 v[10:11], 0
	v_cmp_gt_u32_e32 vcc, s3, v73
	s_mov_b64 s[10:11], 0
	s_mov_b64 s[6:7], 0
	v_mov_b64_e32 v[12:13], v[10:11]
	v_mov_b64_e32 v[14:15], v[10:11]
	;; [unrolled: 1-line block ×21, first 2 shown]
	s_waitcnt lgkmcnt(0)
	s_barrier
	s_waitcnt lgkmcnt(0)
                                        ; implicit-def: $sgpr4_sgpr5
                                        ; implicit-def: $vgpr3
	s_and_saveexec_b64 s[8:9], vcc
	s_cbranch_execz .LBB1871_141
; %bb.98:
	ds_read_b32 v10, v1
	v_add_u32_e32 v2, 1, v73
	v_cmp_ne_u32_e32 vcc, v70, v68
	v_mov_b64_e32 v[12:13], 0
	s_mov_b64 s[12:13], 0
	v_cndmask_b32_e64 v11, 0, 1, vcc
	v_cmp_gt_u32_e32 vcc, s3, v2
	s_mov_b64 s[4:5], 0
	v_mov_b64_e32 v[14:15], v[12:13]
	v_mov_b64_e32 v[16:17], v[12:13]
	;; [unrolled: 1-line block ×20, first 2 shown]
                                        ; implicit-def: $sgpr14_sgpr15
                                        ; implicit-def: $vgpr3
	s_and_saveexec_b64 s[10:11], vcc
	s_cbranch_execz .LBB1871_140
; %bb.99:
	ds_read2_b32 v[70:71], v1 offset0:1 offset1:2
	v_add_u32_e32 v2, 2, v73
	v_cmp_ne_u32_e32 vcc, v68, v69
	v_mov_b64_e32 v[14:15], 0
	s_mov_b64 s[16:17], 0
	v_cndmask_b32_e64 v13, 0, 1, vcc
	v_cmp_gt_u32_e32 vcc, s3, v2
	s_waitcnt lgkmcnt(0)
	v_mov_b32_e32 v12, v70
	v_mov_b64_e32 v[16:17], v[14:15]
	v_mov_b64_e32 v[18:19], v[14:15]
	;; [unrolled: 1-line block ×19, first 2 shown]
                                        ; implicit-def: $sgpr14_sgpr15
                                        ; implicit-def: $vgpr3
	s_and_saveexec_b64 s[12:13], vcc
	s_cbranch_execz .LBB1871_139
; %bb.100:
	v_add_u32_e32 v2, 3, v73
	v_cmp_ne_u32_e32 vcc, v69, v66
	v_mov_b64_e32 v[16:17], 0
	v_mov_b32_e32 v14, v71
	v_cndmask_b32_e64 v15, 0, 1, vcc
	v_cmp_gt_u32_e32 vcc, s3, v2
	v_mov_b64_e32 v[18:19], v[16:17]
	v_mov_b64_e32 v[20:21], v[16:17]
	;; [unrolled: 1-line block ×18, first 2 shown]
                                        ; implicit-def: $sgpr18_sgpr19
                                        ; implicit-def: $vgpr3
	s_and_saveexec_b64 s[14:15], vcc
	s_cbranch_execz .LBB1871_138
; %bb.101:
	ds_read2_b32 v[68:69], v1 offset0:3 offset1:4
	v_add_u32_e32 v2, 4, v73
	v_cmp_ne_u32_e32 vcc, v66, v67
	v_mov_b64_e32 v[18:19], 0
	s_mov_b64 s[20:21], 0
	v_cndmask_b32_e64 v17, 0, 1, vcc
	v_cmp_gt_u32_e32 vcc, s3, v2
	s_waitcnt lgkmcnt(0)
	v_mov_b32_e32 v16, v68
	v_mov_b64_e32 v[20:21], v[18:19]
	v_mov_b64_e32 v[22:23], v[18:19]
	;; [unrolled: 1-line block ×17, first 2 shown]
                                        ; implicit-def: $sgpr18_sgpr19
                                        ; implicit-def: $vgpr3
	s_and_saveexec_b64 s[16:17], vcc
	s_cbranch_execz .LBB1871_137
; %bb.102:
	v_add_u32_e32 v2, 5, v73
	v_cmp_ne_u32_e32 vcc, v67, v64
	v_mov_b64_e32 v[20:21], 0
	v_mov_b32_e32 v18, v69
	v_cndmask_b32_e64 v19, 0, 1, vcc
	v_cmp_gt_u32_e32 vcc, s3, v2
	v_mov_b64_e32 v[22:23], v[20:21]
	v_mov_b64_e32 v[24:25], v[20:21]
	v_mov_b64_e32 v[26:27], v[20:21]
	v_mov_b64_e32 v[28:29], v[20:21]
	v_mov_b64_e32 v[30:31], v[20:21]
	v_mov_b64_e32 v[32:33], v[20:21]
	v_mov_b64_e32 v[34:35], v[20:21]
	v_mov_b64_e32 v[36:37], v[20:21]
	v_mov_b64_e32 v[38:39], v[20:21]
	v_mov_b64_e32 v[40:41], v[20:21]
	v_mov_b64_e32 v[42:43], v[20:21]
	v_mov_b64_e32 v[44:45], v[20:21]
	v_mov_b64_e32 v[46:47], v[20:21]
	v_mov_b64_e32 v[48:49], v[20:21]
	v_mov_b64_e32 v[50:51], v[20:21]
	v_mov_b64_e32 v[54:55], v[20:21]
                                        ; implicit-def: $sgpr22_sgpr23
                                        ; implicit-def: $vgpr3
	s_and_saveexec_b64 s[18:19], vcc
	s_cbranch_execz .LBB1871_136
; %bb.103:
	ds_read2_b32 v[66:67], v1 offset0:5 offset1:6
	v_add_u32_e32 v2, 6, v73
	v_cmp_ne_u32_e32 vcc, v64, v65
	v_mov_b64_e32 v[22:23], 0
	s_mov_b64 s[24:25], 0
	v_cndmask_b32_e64 v21, 0, 1, vcc
	v_cmp_gt_u32_e32 vcc, s3, v2
	s_waitcnt lgkmcnt(0)
	v_mov_b32_e32 v20, v66
	v_mov_b64_e32 v[24:25], v[22:23]
	v_mov_b64_e32 v[26:27], v[22:23]
	;; [unrolled: 1-line block ×15, first 2 shown]
                                        ; implicit-def: $sgpr22_sgpr23
                                        ; implicit-def: $vgpr3
	s_and_saveexec_b64 s[20:21], vcc
	s_cbranch_execz .LBB1871_135
; %bb.104:
	v_add_u32_e32 v2, 7, v73
	v_cmp_ne_u32_e32 vcc, v65, v62
	v_mov_b64_e32 v[24:25], 0
	v_mov_b32_e32 v22, v67
	v_cndmask_b32_e64 v23, 0, 1, vcc
	v_cmp_gt_u32_e32 vcc, s3, v2
	v_mov_b64_e32 v[26:27], v[24:25]
	v_mov_b64_e32 v[28:29], v[24:25]
	;; [unrolled: 1-line block ×14, first 2 shown]
                                        ; implicit-def: $sgpr26_sgpr27
                                        ; implicit-def: $vgpr3
	s_and_saveexec_b64 s[22:23], vcc
	s_cbranch_execz .LBB1871_134
; %bb.105:
	ds_read2_b32 v[64:65], v1 offset0:7 offset1:8
	v_add_u32_e32 v2, 8, v73
	v_cmp_ne_u32_e32 vcc, v62, v63
	v_mov_b64_e32 v[26:27], 0
	s_mov_b64 s[28:29], 0
	v_cndmask_b32_e64 v25, 0, 1, vcc
	v_cmp_gt_u32_e32 vcc, s3, v2
	s_waitcnt lgkmcnt(0)
	v_mov_b32_e32 v24, v64
	v_mov_b64_e32 v[28:29], v[26:27]
	v_mov_b64_e32 v[30:31], v[26:27]
	;; [unrolled: 1-line block ×13, first 2 shown]
                                        ; implicit-def: $sgpr26_sgpr27
                                        ; implicit-def: $vgpr3
	s_and_saveexec_b64 s[24:25], vcc
	s_cbranch_execz .LBB1871_133
; %bb.106:
	v_add_u32_e32 v2, 9, v73
	v_cmp_ne_u32_e32 vcc, v63, v60
	v_mov_b64_e32 v[28:29], 0
	v_mov_b32_e32 v26, v65
	v_cndmask_b32_e64 v27, 0, 1, vcc
	v_cmp_gt_u32_e32 vcc, s3, v2
	v_mov_b64_e32 v[30:31], v[28:29]
	v_mov_b64_e32 v[32:33], v[28:29]
	;; [unrolled: 1-line block ×12, first 2 shown]
                                        ; implicit-def: $sgpr30_sgpr31
                                        ; implicit-def: $vgpr3
	s_and_saveexec_b64 s[26:27], vcc
	s_cbranch_execz .LBB1871_132
; %bb.107:
	ds_read2_b32 v[62:63], v1 offset0:9 offset1:10
	v_add_u32_e32 v2, 10, v73
	v_cmp_ne_u32_e32 vcc, v60, v61
	v_mov_b64_e32 v[30:31], 0
	s_mov_b64 s[34:35], 0
	v_cndmask_b32_e64 v29, 0, 1, vcc
	v_cmp_gt_u32_e32 vcc, s3, v2
	s_waitcnt lgkmcnt(0)
	v_mov_b32_e32 v28, v62
	v_mov_b64_e32 v[32:33], v[30:31]
	v_mov_b64_e32 v[34:35], v[30:31]
	;; [unrolled: 1-line block ×11, first 2 shown]
                                        ; implicit-def: $sgpr30_sgpr31
                                        ; implicit-def: $vgpr3
	s_and_saveexec_b64 s[28:29], vcc
	s_cbranch_execz .LBB1871_131
; %bb.108:
	v_add_u32_e32 v2, 11, v73
	v_cmp_ne_u32_e32 vcc, v61, v58
	v_mov_b64_e32 v[32:33], 0
	v_mov_b32_e32 v30, v63
	v_cndmask_b32_e64 v31, 0, 1, vcc
	v_cmp_gt_u32_e32 vcc, s3, v2
	v_mov_b64_e32 v[34:35], v[32:33]
	v_mov_b64_e32 v[36:37], v[32:33]
	;; [unrolled: 1-line block ×10, first 2 shown]
                                        ; implicit-def: $sgpr36_sgpr37
                                        ; implicit-def: $vgpr3
	s_and_saveexec_b64 s[30:31], vcc
	s_cbranch_execz .LBB1871_130
; %bb.109:
	ds_read2_b32 v[60:61], v1 offset0:11 offset1:12
	v_add_u32_e32 v2, 12, v73
	v_cmp_ne_u32_e32 vcc, v58, v59
	v_mov_b64_e32 v[34:35], 0
	s_mov_b64 s[38:39], 0
	v_cndmask_b32_e64 v33, 0, 1, vcc
	v_cmp_gt_u32_e32 vcc, s3, v2
	s_waitcnt lgkmcnt(0)
	v_mov_b32_e32 v32, v60
	v_mov_b64_e32 v[36:37], v[34:35]
	v_mov_b64_e32 v[38:39], v[34:35]
	;; [unrolled: 1-line block ×9, first 2 shown]
                                        ; implicit-def: $sgpr36_sgpr37
                                        ; implicit-def: $vgpr3
	s_and_saveexec_b64 s[34:35], vcc
	s_cbranch_execz .LBB1871_129
; %bb.110:
	v_add_u32_e32 v2, 13, v73
	v_cmp_ne_u32_e32 vcc, v59, v56
	v_mov_b64_e32 v[36:37], 0
	v_mov_b32_e32 v34, v61
	v_cndmask_b32_e64 v35, 0, 1, vcc
	v_cmp_gt_u32_e32 vcc, s3, v2
	v_mov_b64_e32 v[38:39], v[36:37]
	v_mov_b64_e32 v[40:41], v[36:37]
	;; [unrolled: 1-line block ×8, first 2 shown]
                                        ; implicit-def: $sgpr40_sgpr41
                                        ; implicit-def: $vgpr3
	s_and_saveexec_b64 s[36:37], vcc
	s_cbranch_execz .LBB1871_128
; %bb.111:
	ds_read2_b32 v[58:59], v1 offset0:13 offset1:14
	v_add_u32_e32 v2, 14, v73
	v_cmp_ne_u32_e32 vcc, v56, v57
	v_mov_b64_e32 v[38:39], 0
	s_mov_b64 s[42:43], 0
	v_cndmask_b32_e64 v37, 0, 1, vcc
	v_cmp_gt_u32_e32 vcc, s3, v2
	s_waitcnt lgkmcnt(0)
	v_mov_b32_e32 v36, v58
	v_mov_b64_e32 v[40:41], v[38:39]
	v_mov_b64_e32 v[42:43], v[38:39]
	v_mov_b64_e32 v[44:45], v[38:39]
	v_mov_b64_e32 v[46:47], v[38:39]
	v_mov_b64_e32 v[48:49], v[38:39]
	v_mov_b64_e32 v[50:51], v[38:39]
	v_mov_b64_e32 v[54:55], v[38:39]
                                        ; implicit-def: $sgpr40_sgpr41
                                        ; implicit-def: $vgpr3
	s_and_saveexec_b64 s[38:39], vcc
	s_cbranch_execz .LBB1871_127
; %bb.112:
	v_add_u32_e32 v2, 15, v73
	v_cmp_ne_u32_e32 vcc, v57, v52
	v_mov_b64_e32 v[40:41], 0
	v_mov_b32_e32 v38, v59
	v_cndmask_b32_e64 v39, 0, 1, vcc
	v_cmp_gt_u32_e32 vcc, s3, v2
	v_mov_b64_e32 v[42:43], v[40:41]
	v_mov_b64_e32 v[44:45], v[40:41]
	;; [unrolled: 1-line block ×6, first 2 shown]
                                        ; implicit-def: $sgpr44_sgpr45
                                        ; implicit-def: $vgpr3
	s_and_saveexec_b64 s[40:41], vcc
	s_cbranch_execz .LBB1871_126
; %bb.113:
	ds_read2_b32 v[56:57], v1 offset0:15 offset1:16
	v_add_u32_e32 v2, 16, v73
	v_cmp_ne_u32_e32 vcc, v52, v53
	v_mov_b64_e32 v[42:43], 0
	s_mov_b64 s[46:47], 0
	v_cndmask_b32_e64 v41, 0, 1, vcc
	v_cmp_gt_u32_e32 vcc, s3, v2
	s_waitcnt lgkmcnt(0)
	v_mov_b32_e32 v40, v56
	v_mov_b64_e32 v[44:45], v[42:43]
	v_mov_b64_e32 v[46:47], v[42:43]
	;; [unrolled: 1-line block ×5, first 2 shown]
                                        ; implicit-def: $sgpr44_sgpr45
                                        ; implicit-def: $vgpr3
	s_and_saveexec_b64 s[42:43], vcc
	s_cbranch_execz .LBB1871_125
; %bb.114:
	v_add_u32_e32 v2, 17, v73
	v_cmp_ne_u32_e32 vcc, v53, v8
	v_mov_b64_e32 v[44:45], 0
	v_mov_b32_e32 v42, v57
	v_cndmask_b32_e64 v43, 0, 1, vcc
	v_cmp_gt_u32_e32 vcc, s3, v2
	v_mov_b64_e32 v[46:47], v[44:45]
	v_mov_b64_e32 v[48:49], v[44:45]
	;; [unrolled: 1-line block ×4, first 2 shown]
                                        ; implicit-def: $sgpr48_sgpr49
                                        ; implicit-def: $vgpr3
	s_and_saveexec_b64 s[44:45], vcc
	s_cbranch_execz .LBB1871_124
; %bb.115:
	ds_read2_b32 v[52:53], v1 offset0:17 offset1:18
	v_add_u32_e32 v2, 18, v73
	v_cmp_ne_u32_e32 vcc, v8, v9
	v_mov_b64_e32 v[46:47], 0
	s_mov_b64 s[50:51], 0
	v_cndmask_b32_e64 v45, 0, 1, vcc
	v_cmp_gt_u32_e32 vcc, s3, v2
	s_waitcnt lgkmcnt(0)
	v_mov_b32_e32 v44, v52
	v_mov_b64_e32 v[48:49], v[46:47]
	v_mov_b64_e32 v[50:51], v[46:47]
	;; [unrolled: 1-line block ×3, first 2 shown]
                                        ; implicit-def: $sgpr48_sgpr49
                                        ; implicit-def: $vgpr3
	s_and_saveexec_b64 s[46:47], vcc
	s_cbranch_execz .LBB1871_123
; %bb.116:
	v_add_u32_e32 v2, 19, v73
	v_cmp_ne_u32_e32 vcc, v9, v6
	v_mov_b64_e32 v[48:49], 0
	v_mov_b32_e32 v46, v53
	v_cndmask_b32_e64 v47, 0, 1, vcc
	v_cmp_gt_u32_e32 vcc, s3, v2
	v_mov_b64_e32 v[50:51], v[48:49]
	v_mov_b64_e32 v[54:55], v[48:49]
                                        ; implicit-def: $sgpr60_sgpr61
                                        ; implicit-def: $vgpr3
	s_and_saveexec_b64 s[48:49], vcc
	s_cbranch_execz .LBB1871_122
; %bb.117:
	ds_read2_b32 v[8:9], v1 offset0:19 offset1:20
	v_add_u32_e32 v2, 20, v73
	v_cmp_ne_u32_e32 vcc, v6, v7
	v_mov_b64_e32 v[50:51], 0
	s_mov_b64 s[60:61], 0
	v_cndmask_b32_e64 v49, 0, 1, vcc
	v_cmp_gt_u32_e32 vcc, s3, v2
	s_waitcnt lgkmcnt(0)
	v_mov_b32_e32 v48, v8
	v_mov_b64_e32 v[54:55], v[50:51]
                                        ; implicit-def: $sgpr78_sgpr79
                                        ; implicit-def: $vgpr3
	s_and_saveexec_b64 s[50:51], vcc
	s_cbranch_execz .LBB1871_121
; %bb.118:
	v_add_u32_e32 v2, 21, v73
	v_cmp_ne_u32_e32 vcc, v7, v4
	v_mov_b32_e32 v50, v9
	v_mov_b64_e32 v[54:55], 0
	v_cndmask_b32_e64 v51, 0, 1, vcc
	v_cmp_gt_u32_e32 vcc, s3, v2
                                        ; implicit-def: $sgpr78_sgpr79
                                        ; implicit-def: $vgpr3
	s_and_saveexec_b64 s[4:5], vcc
	s_xor_b64 s[80:81], exec, s[4:5]
	s_cbranch_execz .LBB1871_120
; %bb.119:
	ds_read2_b32 v[2:3], v1 offset0:21 offset1:22
	v_add_u32_e32 v1, 22, v73
	v_cmp_ne_u32_e64 s[4:5], v4, v5
	v_cmp_ne_u32_e32 vcc, v5, v72
	s_and_b64 s[78:79], vcc, exec
	v_cndmask_b32_e64 v55, 0, 1, s[4:5]
	v_cmp_gt_u32_e64 s[4:5], s3, v1
	s_waitcnt lgkmcnt(0)
	v_mov_b32_e32 v54, v2
	s_and_b64 s[60:61], s[4:5], exec
.LBB1871_120:
	s_or_b64 exec, exec, s[80:81]
	s_and_b64 s[78:79], s[78:79], exec
	s_and_b64 s[4:5], s[60:61], exec
.LBB1871_121:
	s_or_b64 exec, exec, s[50:51]
	s_and_b64 s[60:61], s[78:79], exec
	s_and_b64 s[50:51], s[4:5], exec
.LBB1871_122:
	s_or_b64 exec, exec, s[48:49]
	s_and_b64 s[48:49], s[60:61], exec
	s_and_b64 s[4:5], s[50:51], exec
.LBB1871_123:
	s_or_b64 exec, exec, s[46:47]
	s_and_b64 s[48:49], s[48:49], exec
	s_and_b64 s[46:47], s[4:5], exec
.LBB1871_124:
	s_or_b64 exec, exec, s[44:45]
	s_and_b64 s[44:45], s[48:49], exec
	s_and_b64 s[4:5], s[46:47], exec
.LBB1871_125:
	s_or_b64 exec, exec, s[42:43]
	s_and_b64 s[44:45], s[44:45], exec
	s_and_b64 s[42:43], s[4:5], exec
.LBB1871_126:
	s_or_b64 exec, exec, s[40:41]
	s_and_b64 s[40:41], s[44:45], exec
	s_and_b64 s[4:5], s[42:43], exec
.LBB1871_127:
	s_or_b64 exec, exec, s[38:39]
	s_and_b64 s[40:41], s[40:41], exec
	s_and_b64 s[38:39], s[4:5], exec
.LBB1871_128:
	s_or_b64 exec, exec, s[36:37]
	s_and_b64 s[36:37], s[40:41], exec
	s_and_b64 s[4:5], s[38:39], exec
.LBB1871_129:
	s_or_b64 exec, exec, s[34:35]
	s_and_b64 s[36:37], s[36:37], exec
	s_and_b64 s[34:35], s[4:5], exec
.LBB1871_130:
	s_or_b64 exec, exec, s[30:31]
	s_and_b64 s[30:31], s[36:37], exec
	s_and_b64 s[4:5], s[34:35], exec
.LBB1871_131:
	s_or_b64 exec, exec, s[28:29]
	s_and_b64 s[30:31], s[30:31], exec
	s_and_b64 s[28:29], s[4:5], exec
.LBB1871_132:
	s_or_b64 exec, exec, s[26:27]
	s_and_b64 s[26:27], s[30:31], exec
	s_and_b64 s[4:5], s[28:29], exec
.LBB1871_133:
	s_or_b64 exec, exec, s[24:25]
	s_and_b64 s[26:27], s[26:27], exec
	s_and_b64 s[24:25], s[4:5], exec
.LBB1871_134:
	s_or_b64 exec, exec, s[22:23]
	s_and_b64 s[22:23], s[26:27], exec
	s_and_b64 s[4:5], s[24:25], exec
.LBB1871_135:
	s_or_b64 exec, exec, s[20:21]
	s_and_b64 s[22:23], s[22:23], exec
	s_and_b64 s[20:21], s[4:5], exec
.LBB1871_136:
	s_or_b64 exec, exec, s[18:19]
	s_and_b64 s[18:19], s[22:23], exec
	s_and_b64 s[4:5], s[20:21], exec
.LBB1871_137:
	s_or_b64 exec, exec, s[16:17]
	s_and_b64 s[18:19], s[18:19], exec
	s_and_b64 s[16:17], s[4:5], exec
.LBB1871_138:
	s_or_b64 exec, exec, s[14:15]
	s_and_b64 s[14:15], s[18:19], exec
	s_and_b64 s[4:5], s[16:17], exec
.LBB1871_139:
	s_or_b64 exec, exec, s[12:13]
	s_and_b64 s[14:15], s[14:15], exec
	s_and_b64 s[12:13], s[4:5], exec
.LBB1871_140:
	s_or_b64 exec, exec, s[10:11]
	s_and_b64 s[4:5], s[14:15], exec
	s_and_b64 s[10:11], s[12:13], exec
.LBB1871_141:
	s_or_b64 exec, exec, s[8:9]
	s_mov_b64 s[8:9], 0
	s_and_b64 vcc, exec, s[6:7]
	v_lshlrev_b32_e32 v52, 2, v0
	s_cbranch_vccnz .LBB1871_143
	s_branch .LBB1871_151
.LBB1871_142:
                                        ; implicit-def: $sgpr4_sgpr5
                                        ; implicit-def: $vgpr3
                                        ; implicit-def: $vgpr10_vgpr11
                                        ; implicit-def: $vgpr12_vgpr13
                                        ; implicit-def: $vgpr14_vgpr15
                                        ; implicit-def: $vgpr16_vgpr17
                                        ; implicit-def: $vgpr18_vgpr19
                                        ; implicit-def: $vgpr20_vgpr21
                                        ; implicit-def: $vgpr22_vgpr23
                                        ; implicit-def: $vgpr24_vgpr25
                                        ; implicit-def: $vgpr26_vgpr27
                                        ; implicit-def: $vgpr28_vgpr29
                                        ; implicit-def: $vgpr30_vgpr31
                                        ; implicit-def: $vgpr32_vgpr33
                                        ; implicit-def: $vgpr34_vgpr35
                                        ; implicit-def: $vgpr36_vgpr37
                                        ; implicit-def: $vgpr38_vgpr39
                                        ; implicit-def: $vgpr40_vgpr41
                                        ; implicit-def: $vgpr42_vgpr43
                                        ; implicit-def: $vgpr44_vgpr45
                                        ; implicit-def: $vgpr46_vgpr47
                                        ; implicit-def: $vgpr48_vgpr49
                                        ; implicit-def: $vgpr50_vgpr51
                                        ; implicit-def: $vgpr54_vgpr55
                                        ; implicit-def: $sgpr8_sgpr9
	s_and_b64 vcc, exec, s[6:7]
	v_lshlrev_b32_e32 v52, 2, v0
	s_cbranch_vccz .LBB1871_151
.LBB1871_143:
	v_mov_b32_e32 v53, 0
	v_lshl_add_u64 v[2:3], s[54:55], 0, v[52:53]
	v_add_co_u32_e32 v4, vcc, 0x1000, v2
	s_movk_i32 s3, 0x58
	s_nop 0
	v_addc_co_u32_e32 v5, vcc, 0, v3, vcc
	flat_load_dword v8, v[2:3]
	flat_load_dword v9, v[2:3] offset:1024
	s_waitcnt lgkmcnt(0)
	flat_load_dword v10, v[2:3] offset:2048
	flat_load_dword v11, v[2:3] offset:3072
	flat_load_dword v12, v[4:5]
	flat_load_dword v13, v[4:5] offset:1024
	flat_load_dword v14, v[4:5] offset:2048
	;; [unrolled: 1-line block ×3, first 2 shown]
	v_add_co_u32_e32 v4, vcc, 0x2000, v2
	v_mad_u32_u24 v1, v0, s3, v52
	s_nop 0
	v_addc_co_u32_e32 v5, vcc, 0, v3, vcc
	v_add_co_u32_e32 v6, vcc, 0x3000, v2
	s_cmp_eq_u64 s[76:77], 0
	s_nop 0
	v_addc_co_u32_e32 v7, vcc, 0, v3, vcc
	flat_load_dword v16, v[4:5]
	flat_load_dword v17, v[4:5] offset:1024
	flat_load_dword v18, v[4:5] offset:2048
	;; [unrolled: 1-line block ×3, first 2 shown]
	flat_load_dword v20, v[6:7]
	flat_load_dword v21, v[6:7] offset:1024
	flat_load_dword v22, v[6:7] offset:2048
	;; [unrolled: 1-line block ×3, first 2 shown]
	v_add_co_u32_e32 v4, vcc, 0x4000, v2
	s_nop 1
	v_addc_co_u32_e32 v5, vcc, 0, v3, vcc
	v_add_co_u32_e32 v2, vcc, 0x5000, v2
	s_nop 1
	v_addc_co_u32_e32 v3, vcc, 0, v3, vcc
	flat_load_dword v6, v[4:5]
	flat_load_dword v7, v[4:5] offset:1024
	flat_load_dword v24, v[4:5] offset:2048
	;; [unrolled: 1-line block ×3, first 2 shown]
	flat_load_dword v26, v[2:3]
	flat_load_dword v27, v[2:3] offset:1024
	flat_load_dword v28, v[2:3] offset:2048
	s_waitcnt vmcnt(0)
	ds_write2st64_b32 v52, v8, v9 offset1:4
	s_waitcnt lgkmcnt(0)
	ds_write2st64_b32 v52, v10, v11 offset0:8 offset1:12
	ds_write2st64_b32 v52, v12, v13 offset0:16 offset1:20
	;; [unrolled: 1-line block ×10, first 2 shown]
	ds_write_b32 v52, v28 offset:22528
	s_waitcnt lgkmcnt(0)
	s_barrier
	ds_read2_b32 v[2:3], v1 offset1:1
	ds_read2_b32 v[18:19], v1 offset0:2 offset1:3
	ds_read2_b32 v[22:23], v1 offset0:4 offset1:5
	;; [unrolled: 1-line block ×10, first 2 shown]
	ds_read_b32 v10, v1 offset:88
	s_cbranch_scc1 .LBB1871_148
; %bb.144:
	s_andn2_b64 vcc, exec, s[64:65]
	s_cbranch_vccnz .LBB1871_306
; %bb.145:
	s_lshl_b64 s[4:5], s[76:77], 2
	s_add_u32 s3, s66, s4
	s_addc_u32 s5, s67, s5
	s_add_u32 s4, s3, -4
	s_addc_u32 s5, s5, -1
	s_cbranch_execnz .LBB1871_147
.LBB1871_146:
	s_add_u32 s4, s54, -4
	s_addc_u32 s5, s55, -1
.LBB1871_147:
	s_mov_b64 s[54:55], s[4:5]
.LBB1871_148:
	v_mov_b64_e32 v[12:13], s[54:55]
	flat_load_dword v11, v[12:13]
	s_movk_i32 s3, 0xffa8
	v_mad_i32_i24 v12, v0, s3, v1
	v_cmp_ne_u32_e32 vcc, 0, v0
	s_waitcnt lgkmcnt(0)
	ds_write_b32 v12, v10 offset:23552
	s_waitcnt lgkmcnt(0)
	s_barrier
	s_and_saveexec_b64 s[4:5], vcc
	s_cbranch_execz .LBB1871_150
; %bb.149:
	s_waitcnt vmcnt(0)
	v_mul_i32_i24_e32 v11, 0xffffffa8, v0
	v_add_u32_e32 v11, v1, v11
	ds_read_b32 v11, v11 offset:23548
.LBB1871_150:
	s_or_b64 exec, exec, s[4:5]
	v_mov_b32_e32 v53, 0
	v_lshl_add_u64 v[12:13], s[52:53], 0, v[52:53]
	s_movk_i32 s3, 0x1000
	v_add_co_u32_e32 v14, vcc, s3, v12
	s_movk_i32 s3, 0x2000
	s_nop 0
	v_addc_co_u32_e32 v15, vcc, 0, v13, vcc
	s_waitcnt lgkmcnt(0)
	s_barrier
	flat_load_dword v20, v[12:13]
	flat_load_dword v21, v[12:13] offset:1024
	flat_load_dword v24, v[12:13] offset:2048
	;; [unrolled: 1-line block ×3, first 2 shown]
	flat_load_dword v28, v[14:15]
	flat_load_dword v29, v[14:15] offset:1024
	flat_load_dword v32, v[14:15] offset:2048
	;; [unrolled: 1-line block ×3, first 2 shown]
	v_add_co_u32_e32 v14, vcc, s3, v12
	s_movk_i32 s3, 0x3000
	s_nop 0
	v_addc_co_u32_e32 v15, vcc, 0, v13, vcc
	v_add_co_u32_e32 v16, vcc, s3, v12
	s_movk_i32 s3, 0x4000
	s_nop 0
	v_addc_co_u32_e32 v17, vcc, 0, v13, vcc
	flat_load_dword v36, v[14:15]
	flat_load_dword v37, v[14:15] offset:1024
	flat_load_dword v40, v[14:15] offset:2048
	;; [unrolled: 1-line block ×3, first 2 shown]
	flat_load_dword v44, v[16:17]
	flat_load_dword v45, v[16:17] offset:1024
	flat_load_dword v46, v[16:17] offset:2048
	;; [unrolled: 1-line block ×3, first 2 shown]
	v_add_co_u32_e32 v14, vcc, s3, v12
	s_movk_i32 s3, 0x5000
	s_nop 0
	v_addc_co_u32_e32 v15, vcc, 0, v13, vcc
	v_add_co_u32_e32 v12, vcc, s3, v12
	v_cmp_ne_u32_e64 s[4:5], v5, v10
	s_nop 0
	v_addc_co_u32_e32 v13, vcc, 0, v13, vcc
	flat_load_dword v16, v[14:15]
	flat_load_dword v17, v[14:15] offset:1024
	flat_load_dword v48, v[14:15] offset:2048
	;; [unrolled: 1-line block ×3, first 2 shown]
	flat_load_dword v50, v[12:13]
	flat_load_dword v51, v[12:13] offset:1024
	flat_load_dword v53, v[12:13] offset:2048
	s_waitcnt vmcnt(0)
	v_cmp_ne_u32_e32 vcc, v11, v2
	s_mov_b64 s[10:11], -1
                                        ; implicit-def: $sgpr8_sgpr9
	s_waitcnt lgkmcnt(0)
	ds_write2st64_b32 v52, v20, v21 offset1:4
	ds_write2st64_b32 v52, v24, v25 offset0:8 offset1:12
	ds_write2st64_b32 v52, v28, v29 offset0:16 offset1:20
	ds_write2st64_b32 v52, v32, v33 offset0:24 offset1:28
	ds_write2st64_b32 v52, v36, v37 offset0:32 offset1:36
	ds_write2st64_b32 v52, v40, v41 offset0:40 offset1:44
	ds_write2st64_b32 v52, v44, v45 offset0:48 offset1:52
	ds_write2st64_b32 v52, v46, v47 offset0:56 offset1:60
	ds_write2st64_b32 v52, v16, v17 offset0:64 offset1:68
	ds_write2st64_b32 v52, v48, v49 offset0:72 offset1:76
	ds_write2st64_b32 v52, v50, v51 offset0:80 offset1:84
	ds_write_b32 v52, v53 offset:22528
	v_cndmask_b32_e64 v11, 0, 1, vcc
	v_cmp_ne_u32_e32 vcc, v2, v3
	s_waitcnt lgkmcnt(0)
	s_barrier
	v_cndmask_b32_e64 v13, 0, 1, vcc
	v_cmp_ne_u32_e32 vcc, v3, v18
	ds_read2_b32 v[16:17], v1 offset1:1
	ds_read2_b32 v[20:21], v1 offset0:2 offset1:3
	ds_read2_b32 v[24:25], v1 offset0:4 offset1:5
	;; [unrolled: 1-line block ×10, first 2 shown]
	ds_read_b32 v3, v1 offset:88
	v_cndmask_b32_e64 v15, 0, 1, vcc
	v_cmp_ne_u32_e32 vcc, v18, v19
	s_waitcnt lgkmcnt(11)
	v_mov_b32_e32 v12, v17
	v_mov_b32_e32 v10, v16
	v_cndmask_b32_e64 v17, 0, 1, vcc
	v_cmp_ne_u32_e32 vcc, v19, v22
	s_waitcnt lgkmcnt(10)
	v_mov_b32_e32 v16, v21
	v_mov_b32_e32 v14, v20
	v_cndmask_b32_e64 v19, 0, 1, vcc
	v_cmp_ne_u32_e32 vcc, v22, v23
	s_waitcnt lgkmcnt(9)
	v_mov_b32_e32 v20, v25
	v_mov_b32_e32 v18, v24
	v_cndmask_b32_e64 v21, 0, 1, vcc
	v_cmp_ne_u32_e32 vcc, v23, v26
	s_waitcnt lgkmcnt(8)
	v_mov_b32_e32 v24, v29
	v_mov_b32_e32 v22, v28
	v_cndmask_b32_e64 v23, 0, 1, vcc
	v_cmp_ne_u32_e32 vcc, v26, v27
	s_waitcnt lgkmcnt(7)
	v_mov_b32_e32 v28, v33
	v_mov_b32_e32 v26, v32
	v_cndmask_b32_e64 v25, 0, 1, vcc
	v_cmp_ne_u32_e32 vcc, v27, v30
	s_waitcnt lgkmcnt(6)
	v_mov_b32_e32 v32, v37
	s_waitcnt lgkmcnt(2)
	v_mov_b32_e32 v48, v51
	v_cndmask_b32_e64 v27, 0, 1, vcc
	v_cmp_ne_u32_e32 vcc, v30, v31
	v_mov_b32_e32 v30, v36
	v_mov_b32_e32 v36, v41
	v_cndmask_b32_e64 v29, 0, 1, vcc
	v_cmp_ne_u32_e32 vcc, v31, v34
	s_waitcnt lgkmcnt(1)
	v_mov_b32_e32 v54, v57
	v_cndmask_b32_e64 v31, 0, 1, vcc
	v_cmp_ne_u32_e32 vcc, v34, v35
	v_mov_b32_e32 v34, v40
	v_mov_b32_e32 v40, v45
	v_cndmask_b32_e64 v33, 0, 1, vcc
	v_cmp_ne_u32_e32 vcc, v35, v38
	s_nop 1
	v_cndmask_b32_e64 v35, 0, 1, vcc
	v_cmp_ne_u32_e32 vcc, v38, v39
	v_mov_b32_e32 v38, v44
	v_mov_b32_e32 v44, v47
	v_cndmask_b32_e64 v37, 0, 1, vcc
	v_cmp_ne_u32_e32 vcc, v39, v42
	s_nop 1
	v_cndmask_b32_e64 v39, 0, 1, vcc
	v_cmp_ne_u32_e32 vcc, v42, v43
	v_mov_b32_e32 v42, v46
	v_mov_b32_e32 v46, v50
	v_cndmask_b32_e64 v41, 0, 1, vcc
	v_cmp_ne_u32_e32 vcc, v43, v8
	v_mov_b32_e32 v50, v56
	s_nop 0
	v_cndmask_b32_e64 v43, 0, 1, vcc
	v_cmp_ne_u32_e32 vcc, v8, v9
	s_nop 1
	v_cndmask_b32_e64 v45, 0, 1, vcc
	v_cmp_ne_u32_e32 vcc, v9, v6
	s_nop 1
	v_cndmask_b32_e64 v47, 0, 1, vcc
	v_cmp_ne_u32_e32 vcc, v6, v7
	s_nop 1
	v_cndmask_b32_e64 v49, 0, 1, vcc
	v_cmp_ne_u32_e32 vcc, v7, v4
	s_nop 1
	v_cndmask_b32_e64 v51, 0, 1, vcc
	v_cmp_ne_u32_e32 vcc, v4, v5
	s_nop 1
	v_cndmask_b32_e64 v55, 0, 1, vcc
.LBB1871_151:
	v_mov_b64_e32 v[56:57], s[8:9]
	s_and_saveexec_b64 s[6:7], s[10:11]
	s_cbranch_execz .LBB1871_153
; %bb.152:
	v_cndmask_b32_e64 v57, 0, 1, s[4:5]
	s_waitcnt lgkmcnt(0)
	v_mov_b32_e32 v56, v3
.LBB1871_153:
	s_or_b64 exec, exec, s[6:7]
	s_mov_b32 s46, 0
	s_cmp_lg_u32 s2, 0
	v_or_b32_e32 v53, v57, v55
	v_lshrrev_b32_e32 v1, 5, v0
	v_cmp_gt_u32_e32 vcc, 64, v0
	s_waitcnt lgkmcnt(0)
	s_barrier
	s_cbranch_scc0 .LBB1871_188
; %bb.154:
	s_mov_b32 s47, 1
	v_cmp_gt_u64_e64 s[52:53], s[46:47], v[12:13]
	v_cmp_gt_u64_e64 s[4:5], s[46:47], v[14:15]
	v_cmp_gt_u64_e64 s[6:7], s[46:47], v[16:17]
	v_cndmask_b32_e64 v2, 0, v10, s[52:53]
	v_add_u32_e32 v2, v2, v12
	v_cndmask_b32_e64 v2, 0, v2, s[4:5]
	v_add_u32_e32 v2, v2, v14
	v_cndmask_b32_e64 v2, 0, v2, s[6:7]
	v_add_u32_e32 v2, v2, v16
	v_cmp_gt_u64_e64 s[8:9], s[46:47], v[18:19]
	v_cmp_gt_u64_e64 s[10:11], s[46:47], v[20:21]
	v_cmp_gt_u64_e64 s[12:13], s[46:47], v[22:23]
	v_cndmask_b32_e64 v2, 0, v2, s[8:9]
	v_add_u32_e32 v2, v2, v18
	v_cndmask_b32_e64 v2, 0, v2, s[10:11]
	v_add_u32_e32 v2, v2, v20
	v_cndmask_b32_e64 v2, 0, v2, s[12:13]
	v_add_u32_e32 v2, v2, v22
	;; [unrolled: 9-line block ×7, first 2 shown]
	v_cmp_gt_u64_e64 s[46:47], s[46:47], v[56:57]
	s_nop 1
	v_cndmask_b32_e64 v2, 0, v2, s[46:47]
	v_add_u32_e32 v62, v2, v56
	v_or3_b32 v2, v53, v51, v49
	v_or3_b32 v2, v2, v47, v45
	v_or3_b32 v2, v2, v43, v41
	v_or3_b32 v2, v2, v39, v37
	v_or3_b32 v2, v2, v35, v33
	v_or3_b32 v2, v2, v31, v29
	v_or3_b32 v2, v2, v27, v25
	v_or3_b32 v2, v2, v23, v21
	v_or3_b32 v2, v2, v19, v17
	v_or3_b32 v2, v2, v15, v13
	v_and_b32_e32 v2, 1, v2
	v_cmp_eq_u32_e64 s[48:49], 1, v2
	v_add_lshl_u32 v2, v1, v0, 3
	s_nop 0
	v_cndmask_b32_e64 v63, v11, 1, s[48:49]
	ds_write_b32 v2, v62
	ds_write_b8 v2, v63 offset:4
	s_waitcnt lgkmcnt(0)
	s_barrier
	s_and_saveexec_b64 s[50:51], vcc
	s_cbranch_execz .LBB1871_166
; %bb.155:
	v_lshrrev_b32_e32 v2, 3, v0
	v_add_lshl_u32 v4, v2, v52, 3
	ds_read2_b32 v[6:7], v4 offset0:2 offset1:4
	ds_read_b64 v[2:3], v4
	ds_read_u8 v8, v4 offset:12
	ds_read_u8 v9, v4 offset:20
	ds_read_b32 v58, v4 offset:24
	ds_read_u8 v59, v4 offset:28
	v_mov_b32_e32 v60, 0
	s_waitcnt lgkmcnt(3)
	v_cmp_eq_u16_sdwa s[48:49], v8, v60 src0_sel:BYTE_0 src1_sel:DWORD
	v_and_b32_e32 v5, 1, v3
	s_nop 0
	v_cndmask_b32_e64 v61, 0, v2, s[48:49]
	v_add_u32_e32 v6, v61, v6
	s_waitcnt lgkmcnt(2)
	v_cmp_eq_u16_sdwa s[48:49], v9, v60 src0_sel:BYTE_0 src1_sel:DWORD
	s_nop 1
	v_cndmask_b32_e64 v6, 0, v6, s[48:49]
	v_add_u32_e32 v6, v6, v7
	s_waitcnt lgkmcnt(0)
	v_cmp_eq_u16_e64 s[48:49], 0, v59
	s_nop 1
	v_cndmask_b32_e64 v6, 0, v6, s[48:49]
	v_add_u32_e32 v7, v6, v58
	v_or_b32_e32 v6, v59, v9
	v_or_b32_e32 v6, v6, v8
	v_and_b32_e32 v6, 1, v6
	v_cmp_eq_u32_e64 s[48:49], 1, v6
	v_mbcnt_lo_u32_b32 v8, -1, 0
	v_and_b32_e32 v6, 0xffffff00, v3
	v_cndmask_b32_e64 v9, v5, 1, s[48:49]
	v_mbcnt_hi_u32_b32 v8, -1, v8
	v_and_b32_e32 v59, 15, v8
	v_or_b32_sdwa v58, v6, v9 dst_sel:DWORD dst_unused:UNUSED_PAD src0_sel:DWORD src1_sel:WORD_0
	v_mov_b32_dpp v60, v7 row_shr:1 row_mask:0xf bank_mask:0xf
	v_cmp_ne_u32_e64 s[48:49], 0, v59
	v_mov_b32_dpp v61, v58 row_shr:1 row_mask:0xf bank_mask:0xf
	s_and_saveexec_b64 s[54:55], s[48:49]
; %bb.156:
	v_and_b32_e32 v58, 1, v9
	v_and_b32_e32 v61, 1, v61
	v_cmp_eq_u32_e64 s[48:49], 1, v58
	s_nop 1
	v_cndmask_b32_e64 v61, v61, 1, s[48:49]
	v_cmp_eq_u16_e64 s[48:49], 0, v9
	v_or_b32_sdwa v58, v6, v61 dst_sel:DWORD dst_unused:UNUSED_PAD src0_sel:DWORD src1_sel:WORD_0
	s_nop 0
	v_cndmask_b32_e64 v9, 0, v60, s[48:49]
	v_add_u32_e32 v7, v9, v7
	v_mov_b32_e32 v9, v61
; %bb.157:
	s_or_b64 exec, exec, s[54:55]
	v_mov_b32_dpp v60, v7 row_shr:2 row_mask:0xf bank_mask:0xf
	v_mov_b32_dpp v61, v58 row_shr:2 row_mask:0xf bank_mask:0xf
	v_cmp_lt_u32_e64 s[48:49], 1, v59
	s_and_saveexec_b64 s[54:55], s[48:49]
; %bb.158:
	v_and_b32_e32 v58, 1, v9
	v_and_b32_e32 v61, 1, v61
	v_cmp_eq_u32_e64 s[48:49], 1, v58
	s_nop 1
	v_cndmask_b32_e64 v61, v61, 1, s[48:49]
	v_cmp_eq_u16_e64 s[48:49], 0, v9
	v_or_b32_sdwa v58, v6, v61 dst_sel:DWORD dst_unused:UNUSED_PAD src0_sel:DWORD src1_sel:WORD_0
	s_nop 0
	v_cndmask_b32_e64 v9, 0, v60, s[48:49]
	v_add_u32_e32 v7, v9, v7
	v_mov_b32_e32 v9, v61
; %bb.159:
	s_or_b64 exec, exec, s[54:55]
	v_mov_b32_dpp v60, v7 row_shr:4 row_mask:0xf bank_mask:0xf
	v_mov_b32_dpp v61, v58 row_shr:4 row_mask:0xf bank_mask:0xf
	v_cmp_lt_u32_e64 s[48:49], 3, v59
	s_and_saveexec_b64 s[54:55], s[48:49]
; %bb.160:
	v_and_b32_e32 v58, 1, v9
	v_and_b32_e32 v61, 1, v61
	v_cmp_eq_u32_e64 s[48:49], 1, v58
	s_nop 1
	v_cndmask_b32_e64 v61, v61, 1, s[48:49]
	v_cmp_eq_u16_e64 s[48:49], 0, v9
	v_or_b32_sdwa v58, v6, v61 dst_sel:DWORD dst_unused:UNUSED_PAD src0_sel:DWORD src1_sel:WORD_0
	s_nop 0
	v_cndmask_b32_e64 v9, 0, v60, s[48:49]
	v_add_u32_e32 v7, v9, v7
	v_mov_b32_e32 v9, v61
; %bb.161:
	s_or_b64 exec, exec, s[54:55]
	v_mov_b32_dpp v60, v7 row_shr:8 row_mask:0xf bank_mask:0xf
	v_mov_b32_dpp v61, v58 row_shr:8 row_mask:0xf bank_mask:0xf
	v_cmp_lt_u32_e64 s[48:49], 7, v59
	s_and_saveexec_b64 s[54:55], s[48:49]
; %bb.162:
	v_and_b32_e32 v58, 1, v9
	v_and_b32_e32 v59, 1, v61
	v_cmp_eq_u32_e64 s[48:49], 1, v58
	s_nop 1
	v_cndmask_b32_e64 v59, v59, 1, s[48:49]
	v_cmp_eq_u16_e64 s[48:49], 0, v9
	v_or_b32_sdwa v58, v6, v59 dst_sel:DWORD dst_unused:UNUSED_PAD src0_sel:DWORD src1_sel:WORD_0
	s_nop 0
	v_cndmask_b32_e64 v9, 0, v60, s[48:49]
	v_add_u32_e32 v7, v9, v7
	v_mov_b32_e32 v9, v59
; %bb.163:
	s_or_b64 exec, exec, s[54:55]
	v_and_b32_e32 v61, 16, v8
	v_mov_b32_dpp v59, v7 row_bcast:15 row_mask:0xf bank_mask:0xf
	v_mov_b32_dpp v60, v58 row_bcast:15 row_mask:0xf bank_mask:0xf
	v_cmp_ne_u32_e64 s[48:49], 0, v61
	s_and_saveexec_b64 s[54:55], s[48:49]
; %bb.164:
	v_and_b32_e32 v58, 1, v9
	v_and_b32_e32 v60, 1, v60
	v_cmp_eq_u32_e64 s[48:49], 1, v58
	s_nop 1
	v_cndmask_b32_e64 v60, v60, 1, s[48:49]
	v_cmp_eq_u16_e64 s[48:49], 0, v9
	v_or_b32_sdwa v58, v6, v60 dst_sel:DWORD dst_unused:UNUSED_PAD src0_sel:DWORD src1_sel:WORD_0
	s_nop 0
	v_cndmask_b32_e64 v9, 0, v59, s[48:49]
	v_add_u32_e32 v7, v9, v7
	v_mov_b32_e32 v9, v60
; %bb.165:
	s_or_b64 exec, exec, s[54:55]
	v_mov_b32_dpp v58, v58 row_bcast:31 row_mask:0xf bank_mask:0xf
	v_and_b32_e32 v60, 1, v9
	v_and_b32_e32 v58, 1, v58
	v_cmp_eq_u32_e64 s[48:49], 1, v60
	v_mov_b32_e32 v60, 0
	v_cmp_eq_u16_sdwa s[54:55], v9, v60 src0_sel:BYTE_0 src1_sel:DWORD
	v_cndmask_b32_e64 v58, v58, 1, s[48:49]
	v_cmp_lt_u32_e64 s[48:49], 31, v8
	v_mov_b32_dpp v59, v7 row_bcast:31 row_mask:0xf bank_mask:0xf
	s_movk_i32 s3, 0xff
	v_cndmask_b32_e64 v9, v9, v58, s[48:49]
	s_and_b64 s[48:49], s[48:49], s[54:55]
	v_cndmask_b32_e64 v58, 0, v59, s[48:49]
	v_add_u32_e32 v7, v58, v7
	v_add_u32_e32 v58, -1, v8
	v_and_b32_e32 v59, 64, v8
	v_cmp_lt_i32_e64 s[48:49], v58, v59
	v_and_or_b32 v6, v9, s3, v6
	s_nop 0
	v_cndmask_b32_e64 v8, v58, v8, s[48:49]
	v_lshlrev_b32_e32 v8, 2, v8
	ds_bpermute_b32 v7, v8, v7
	ds_bpermute_b32 v6, v8, v6
	v_cmp_eq_u16_sdwa s[48:49], v3, v60 src0_sel:BYTE_0 src1_sel:DWORD
	; wave barrier
	s_waitcnt lgkmcnt(1)
	s_nop 0
	v_cndmask_b32_e64 v3, 0, v7, s[48:49]
	v_add_u32_e32 v2, v3, v2
	s_waitcnt lgkmcnt(0)
	v_and_b32_e32 v3, 1, v6
	v_cmp_eq_u32_e64 s[48:49], 1, v5
	s_nop 1
	v_cndmask_b32_e64 v3, v3, 1, s[48:49]
	v_cmp_eq_u32_e64 s[48:49], 0, v0
	s_nop 1
	v_cndmask_b32_e64 v5, v2, v62, s[48:49]
	v_cndmask_b32_e64 v6, v3, v63, s[48:49]
	ds_write_b32 v4, v5
	ds_write_b8 v4, v6 offset:4
	; wave barrier
	ds_read_u8 v7, v4 offset:12
	ds_read2_b32 v[2:3], v4 offset0:2 offset1:4
	ds_read_u8 v8, v4 offset:20
	ds_read_b32 v9, v4 offset:24
	ds_read_u8 v58, v4 offset:28
	s_waitcnt lgkmcnt(4)
	v_cmp_eq_u16_e64 s[48:49], 0, v7
	s_nop 1
	v_cndmask_b32_e64 v5, 0, v5, s[48:49]
	s_waitcnt lgkmcnt(3)
	v_add_u32_e32 v2, v5, v2
	v_and_b32_e32 v5, 1, v7
	v_cmp_eq_u32_e64 s[48:49], 1, v5
	s_nop 1
	v_cndmask_b32_e64 v5, v6, 1, s[48:49]
	s_waitcnt lgkmcnt(2)
	v_cmp_eq_u16_e64 s[48:49], 0, v8
	ds_write_b8 v4, v5 offset:12
	s_nop 0
	v_cndmask_b32_e64 v6, 0, v2, s[48:49]
	v_add_u32_e32 v3, v6, v3
	v_and_b32_e32 v6, 1, v8
	v_cmp_eq_u32_e64 s[48:49], 1, v6
	s_nop 1
	v_cndmask_b32_e64 v5, v5, 1, s[48:49]
	s_waitcnt lgkmcnt(1)
	v_cmp_eq_u16_e64 s[48:49], 0, v58
	ds_write2_b32 v4, v2, v3 offset0:2 offset1:4
	ds_write_b8 v4, v5 offset:20
	v_cndmask_b32_e64 v2, 0, v3, s[48:49]
	v_and_b32_e32 v3, 1, v58
	v_add_u32_e32 v2, v2, v9
	v_cmp_eq_u32_e64 s[48:49], 1, v3
	s_nop 1
	v_cndmask_b32_e64 v3, v5, 1, s[48:49]
	ds_write_b32 v4, v2 offset:24
	ds_write_b8 v4, v3 offset:28
.LBB1871_166:
	s_or_b64 exec, exec, s[50:51]
	v_cmp_eq_u32_e64 s[48:49], 0, v0
	v_cmp_ne_u32_e64 s[50:51], 0, v0
	s_waitcnt lgkmcnt(0)
	s_barrier
	s_and_saveexec_b64 s[54:55], s[50:51]
	s_cbranch_execz .LBB1871_168
; %bb.167:
	v_add_u32_e32 v2, -1, v0
	v_lshrrev_b32_e32 v3, 5, v2
	v_add_lshl_u32 v2, v3, v2, 3
	ds_read_b32 v62, v2
	ds_read_u8 v63, v2 offset:4
.LBB1871_168:
	s_or_b64 exec, exec, s[54:55]
	s_and_saveexec_b64 s[60:61], vcc
	s_cbranch_execz .LBB1871_187
; %bb.169:
	v_mov_b32_e32 v5, 0
	ds_read_b64 v[2:3], v5 offset:2096
	v_mbcnt_lo_u32_b32 v4, -1, 0
	v_mbcnt_hi_u32_b32 v73, -1, v4
	s_mov_b32 s65, 0
	v_cmp_eq_u32_e64 s[50:51], 0, v73
	s_waitcnt lgkmcnt(0)
	v_readfirstlane_b32 s3, v3
	s_and_saveexec_b64 s[54:55], s[50:51]
	s_cbranch_execz .LBB1871_171
; %bb.170:
	s_add_i32 s64, s2, 64
	s_lshl_b64 s[66:67], s[64:65], 4
	s_add_u32 s66, s68, s66
	s_addc_u32 s67, s69, s67
	s_and_b32 s77, s3, 0xff000000
	s_mov_b32 s76, s65
	s_and_b32 s79, s3, 0xff0000
	s_mov_b32 s78, s65
	s_or_b64 s[76:77], s[78:79], s[76:77]
	s_and_b32 s79, s3, 0xff00
	s_or_b64 s[76:77], s[76:77], s[78:79]
	s_and_b32 s79, s3, 0xff
	s_or_b64 s[64:65], s[76:77], s[78:79]
	v_mov_b32_e32 v3, s65
	v_mov_b32_e32 v4, 1
	v_mov_b64_e32 v[6:7], s[66:67]
	;;#ASMSTART
	global_store_dwordx4 v[6:7], v[2:5] off sc1	
s_waitcnt vmcnt(0)
	;;#ASMEND
.LBB1871_171:
	s_or_b64 exec, exec, s[54:55]
	v_xad_u32 v58, v73, -1, s2
	v_add_u32_e32 v4, 64, v58
	v_lshl_add_u64 v[60:61], v[4:5], 4, s[68:69]
	;;#ASMSTART
	global_load_dwordx4 v[6:9], v[60:61] off sc1	
s_waitcnt vmcnt(0)
	;;#ASMEND
	s_nop 0
	v_and_b32_e32 v3, 0xff0000, v6
	v_and_b32_e32 v4, 0xff000000, v6
	;; [unrolled: 1-line block ×3, first 2 shown]
	v_or_b32_sdwa v3, v6, v3 dst_sel:DWORD dst_unused:UNUSED_PAD src0_sel:WORD_0 src1_sel:DWORD
	v_or3_b32 v7, 0, 0, v7
	v_or3_b32 v6, v3, v4, 0
	v_cmp_eq_u16_sdwa s[64:65], v8, v5 src0_sel:BYTE_0 src1_sel:DWORD
	s_and_saveexec_b64 s[54:55], s[64:65]
	s_cbranch_execz .LBB1871_175
; %bb.172:
	s_mov_b64 s[64:65], 0
	v_mov_b32_e32 v3, 0
.LBB1871_173:                           ; =>This Inner Loop Header: Depth=1
	;;#ASMSTART
	global_load_dwordx4 v[6:9], v[60:61] off sc1	
s_waitcnt vmcnt(0)
	;;#ASMEND
	s_nop 0
	v_cmp_ne_u16_sdwa s[66:67], v8, v3 src0_sel:BYTE_0 src1_sel:DWORD
	s_or_b64 s[64:65], s[66:67], s[64:65]
	s_andn2_b64 exec, exec, s[64:65]
	s_cbranch_execnz .LBB1871_173
; %bb.174:
	s_or_b64 exec, exec, s[64:65]
	v_and_b32_e32 v7, 0xff, v7
.LBB1871_175:
	s_or_b64 exec, exec, s[54:55]
	v_mov_b32_e32 v3, 2
	v_cmp_eq_u16_sdwa s[54:55], v8, v3 src0_sel:BYTE_0 src1_sel:DWORD
	v_lshlrev_b64 v[4:5], v73, -1
	v_and_b32_e32 v64, 63, v73
	v_and_b32_e32 v9, s55, v5
	v_or_b32_e32 v9, 0x80000000, v9
	v_and_b32_e32 v59, s54, v4
	v_ffbl_b32_e32 v9, v9
	v_add_u32_e32 v9, 32, v9
	v_ffbl_b32_e32 v59, v59
	v_cmp_ne_u32_e32 vcc, 63, v64
	v_min_u32_e32 v9, v59, v9
	s_mov_b32 s64, 0
	v_addc_co_u32_e32 v59, vcc, 0, v73, vcc
	v_lshlrev_b32_e32 v65, 2, v59
	ds_bpermute_b32 v59, v65, v7
	ds_bpermute_b32 v60, v65, v6
	v_and_b32_e32 v61, 1, v7
	s_mov_b32 s65, 1
	v_cmp_eq_u32_e32 vcc, 1, v61
	s_waitcnt lgkmcnt(1)
	v_and_b32_e32 v59, 1, v59
	v_cmp_lt_u32_e64 s[54:55], v64, v9
	v_cndmask_b32_e64 v59, v59, 1, vcc
	v_cmp_gt_u64_e32 vcc, s[64:65], v[6:7]
	s_and_b64 vcc, s[54:55], vcc
	v_and_b32_e32 v61, 0xffff, v59
	v_cndmask_b32_e64 v68, v7, v59, s[54:55]
	s_waitcnt lgkmcnt(0)
	v_cndmask_b32_e32 v59, 0, v60, vcc
	v_cmp_gt_u32_e32 vcc, 62, v64
	v_cndmask_b32_e64 v7, v7, v61, s[54:55]
	v_add_u32_e32 v6, v59, v6
	v_cndmask_b32_e64 v60, 0, 1, vcc
	v_lshlrev_b32_e32 v60, 1, v60
	v_add_lshl_u32 v66, v60, v73, 2
	ds_bpermute_b32 v60, v66, v7
	ds_bpermute_b32 v61, v66, v6
	v_and_b32_e32 v59, 1, v68
	v_cmp_eq_u32_e32 vcc, 1, v59
	v_mov_b32_e32 v59, 0
	s_waitcnt lgkmcnt(1)
	v_and_b32_e32 v60, 1, v60
	v_add_u32_e32 v67, 2, v64
	v_cndmask_b32_e64 v60, v60, 1, vcc
	v_cmp_eq_u16_sdwa vcc, v68, v59 src0_sel:BYTE_0 src1_sel:DWORD
	v_and_b32_e32 v69, 0xffff, v60
	v_add_u32_e32 v77, 32, v64
	s_waitcnt lgkmcnt(0)
	v_cndmask_b32_e32 v61, 0, v61, vcc
	v_cmp_gt_u32_e32 vcc, v67, v9
	s_nop 1
	v_cndmask_b32_e32 v60, v60, v68, vcc
	v_cndmask_b32_e64 v61, v61, 0, vcc
	v_cndmask_b32_e32 v7, v69, v7, vcc
	v_cmp_gt_u32_e32 vcc, 60, v64
	v_add_u32_e32 v6, v61, v6
	v_and_b32_e32 v71, 1, v60
	v_cndmask_b32_e64 v68, 0, 1, vcc
	v_lshlrev_b32_e32 v68, 2, v68
	v_add_lshl_u32 v68, v68, v73, 2
	ds_bpermute_b32 v70, v68, v7
	ds_bpermute_b32 v61, v68, v6
	v_cmp_eq_u32_e32 vcc, 1, v71
	v_add_u32_e32 v69, 4, v64
	s_waitcnt lgkmcnt(1)
	v_and_b32_e32 v70, 1, v70
	v_cndmask_b32_e64 v70, v70, 1, vcc
	v_cmp_eq_u16_sdwa vcc, v60, v59 src0_sel:BYTE_0 src1_sel:DWORD
	v_and_b32_e32 v71, 0xffff, v70
	s_waitcnt lgkmcnt(0)
	v_cndmask_b32_e32 v61, 0, v61, vcc
	v_cmp_gt_u32_e32 vcc, v69, v9
	s_nop 1
	v_cndmask_b32_e32 v60, v70, v60, vcc
	v_cndmask_b32_e64 v61, v61, 0, vcc
	v_cndmask_b32_e32 v7, v71, v7, vcc
	v_cmp_gt_u32_e32 vcc, 56, v64
	v_add_u32_e32 v6, v61, v6
	v_and_b32_e32 v74, 1, v60
	v_cndmask_b32_e64 v70, 0, 1, vcc
	v_lshlrev_b32_e32 v70, 3, v70
	v_add_lshl_u32 v70, v70, v73, 2
	ds_bpermute_b32 v72, v70, v7
	ds_bpermute_b32 v61, v70, v6
	v_cmp_eq_u32_e32 vcc, 1, v74
	v_add_u32_e32 v71, 8, v64
	s_waitcnt lgkmcnt(1)
	v_and_b32_e32 v72, 1, v72
	v_cndmask_b32_e64 v72, v72, 1, vcc
	v_cmp_eq_u16_sdwa vcc, v60, v59 src0_sel:BYTE_0 src1_sel:DWORD
	v_and_b32_e32 v74, 0xffff, v72
	;; [unrolled: 22-line block ×3, first 2 shown]
	s_waitcnt lgkmcnt(0)
	v_cndmask_b32_e32 v61, 0, v61, vcc
	v_cmp_gt_u32_e32 vcc, v74, v9
	s_nop 1
	v_cndmask_b32_e32 v60, v75, v60, vcc
	v_cndmask_b32_e64 v61, v61, 0, vcc
	v_cndmask_b32_e32 v7, v76, v7, vcc
	v_cmp_gt_u32_e32 vcc, 32, v64
	v_add_u32_e32 v6, v61, v6
	s_nop 0
	v_cndmask_b32_e64 v75, 0, 1, vcc
	v_lshlrev_b32_e32 v75, 5, v75
	v_add_lshl_u32 v76, v75, v73, 2
	ds_bpermute_b32 v7, v76, v7
	ds_bpermute_b32 v61, v76, v6
	v_and_b32_e32 v73, 1, v60
	v_cmp_eq_u32_e32 vcc, 1, v73
	s_waitcnt lgkmcnt(1)
	v_and_b32_e32 v7, 1, v7
	v_cndmask_b32_e64 v7, v7, 1, vcc
	v_cmp_eq_u16_sdwa vcc, v60, v59 src0_sel:BYTE_0 src1_sel:DWORD
	s_waitcnt lgkmcnt(0)
	s_nop 0
	v_cndmask_b32_e32 v61, 0, v61, vcc
	v_cmp_gt_u32_e32 vcc, v77, v9
	s_nop 1
	v_cndmask_b32_e64 v9, v61, 0, vcc
	v_cndmask_b32_e32 v7, v7, v60, vcc
	v_add_u32_e32 v6, v9, v6
	s_branch .LBB1871_177
.LBB1871_176:                           ;   in Loop: Header=BB1871_177 Depth=1
	s_or_b64 exec, exec, s[54:55]
	v_cmp_eq_u16_sdwa s[54:55], v8, v3 src0_sel:BYTE_0 src1_sel:DWORD
	ds_bpermute_b32 v61, v65, v7
	v_and_b32_e32 v78, 1, v7
	v_and_b32_e32 v9, s55, v5
	v_or_b32_e32 v9, 0x80000000, v9
	v_and_b32_e32 v60, s54, v4
	v_ffbl_b32_e32 v9, v9
	v_add_u32_e32 v9, 32, v9
	v_ffbl_b32_e32 v60, v60
	v_min_u32_e32 v9, v60, v9
	ds_bpermute_b32 v60, v65, v6
	s_waitcnt lgkmcnt(1)
	v_and_b32_e32 v61, 1, v61
	v_cmp_eq_u32_e32 vcc, 1, v78
	v_cmp_lt_u32_e64 s[54:55], v64, v9
	v_subrev_u32_e32 v58, 64, v58
	v_cndmask_b32_e64 v61, v61, 1, vcc
	v_cmp_gt_u64_e32 vcc, s[64:65], v[6:7]
	v_and_b32_e32 v78, 0xffff, v61
	v_cndmask_b32_e64 v61, v7, v61, s[54:55]
	v_cndmask_b32_e64 v7, v7, v78, s[54:55]
	s_and_b64 vcc, s[54:55], vcc
	ds_bpermute_b32 v78, v66, v7
	s_waitcnt lgkmcnt(1)
	v_cndmask_b32_e32 v60, 0, v60, vcc
	v_add_u32_e32 v6, v60, v6
	ds_bpermute_b32 v60, v66, v6
	v_and_b32_e32 v79, 1, v61
	s_waitcnt lgkmcnt(1)
	v_and_b32_e32 v78, 1, v78
	v_cmp_eq_u32_e32 vcc, 1, v79
	s_nop 1
	v_cndmask_b32_e64 v78, v78, 1, vcc
	v_cmp_eq_u16_sdwa vcc, v61, v59 src0_sel:BYTE_0 src1_sel:DWORD
	v_and_b32_e32 v79, 0xffff, v78
	s_waitcnt lgkmcnt(0)
	v_cndmask_b32_e32 v60, 0, v60, vcc
	v_cmp_gt_u32_e32 vcc, v67, v9
	s_nop 1
	v_cndmask_b32_e32 v7, v79, v7, vcc
	v_cndmask_b32_e32 v61, v78, v61, vcc
	ds_bpermute_b32 v78, v68, v7
	v_cndmask_b32_e64 v60, v60, 0, vcc
	v_add_u32_e32 v6, v60, v6
	ds_bpermute_b32 v60, v68, v6
	v_and_b32_e32 v79, 1, v61
	s_waitcnt lgkmcnt(1)
	v_and_b32_e32 v78, 1, v78
	v_cmp_eq_u32_e32 vcc, 1, v79
	s_nop 1
	v_cndmask_b32_e64 v78, v78, 1, vcc
	v_cmp_eq_u16_sdwa vcc, v61, v59 src0_sel:BYTE_0 src1_sel:DWORD
	v_and_b32_e32 v79, 0xffff, v78
	s_waitcnt lgkmcnt(0)
	v_cndmask_b32_e32 v60, 0, v60, vcc
	v_cmp_gt_u32_e32 vcc, v69, v9
	s_nop 1
	v_cndmask_b32_e32 v7, v79, v7, vcc
	v_cndmask_b32_e32 v61, v78, v61, vcc
	ds_bpermute_b32 v78, v70, v7
	v_cndmask_b32_e64 v60, v60, 0, vcc
	;; [unrolled: 18-line block ×3, first 2 shown]
	v_add_u32_e32 v6, v60, v6
	ds_bpermute_b32 v60, v72, v6
	v_and_b32_e32 v79, 1, v61
	s_waitcnt lgkmcnt(1)
	v_and_b32_e32 v78, 1, v78
	v_cmp_eq_u32_e32 vcc, 1, v79
	s_nop 1
	v_cndmask_b32_e64 v78, v78, 1, vcc
	v_cmp_eq_u16_sdwa vcc, v61, v59 src0_sel:BYTE_0 src1_sel:DWORD
	v_and_b32_e32 v79, 0xffff, v78
	s_waitcnt lgkmcnt(0)
	v_cndmask_b32_e32 v60, 0, v60, vcc
	v_cmp_gt_u32_e32 vcc, v74, v9
	s_nop 1
	v_cndmask_b32_e64 v60, v60, 0, vcc
	v_cndmask_b32_e32 v7, v79, v7, vcc
	ds_bpermute_b32 v7, v76, v7
	v_add_u32_e32 v6, v60, v6
	ds_bpermute_b32 v60, v76, v6
	v_cndmask_b32_e32 v61, v78, v61, vcc
	v_and_b32_e32 v78, 1, v61
	v_cmp_eq_u32_e32 vcc, 1, v78
	s_waitcnt lgkmcnt(1)
	s_nop 0
	v_cndmask_b32_e64 v7, v7, 1, vcc
	v_cmp_eq_u16_sdwa vcc, v61, v59 src0_sel:BYTE_0 src1_sel:DWORD
	s_waitcnt lgkmcnt(0)
	s_nop 0
	v_cndmask_b32_e32 v60, 0, v60, vcc
	v_cmp_gt_u32_e32 vcc, v77, v9
	s_nop 1
	v_cndmask_b32_e64 v9, v60, 0, vcc
	v_cndmask_b32_e32 v7, v7, v61, vcc
	v_add_u32_e32 v6, v9, v6
	v_cmp_eq_u16_sdwa vcc, v73, v59 src0_sel:BYTE_0 src1_sel:DWORD
	v_and_b32_e32 v9, 1, v73
	v_and_b32_e32 v7, 1, v7
	v_cndmask_b32_e32 v6, 0, v6, vcc
	v_cmp_eq_u32_e32 vcc, 1, v9
	v_add_u32_e32 v6, v6, v75
	s_nop 0
	v_cndmask_b32_e64 v7, v7, 1, vcc
.LBB1871_177:                           ; =>This Loop Header: Depth=1
                                        ;     Child Loop BB1871_180 Depth 2
	v_cmp_ne_u16_sdwa s[54:55], v8, v3 src0_sel:BYTE_0 src1_sel:DWORD
	v_mov_b32_e32 v73, v7
	v_mov_b32_e32 v75, v6
	v_cndmask_b32_e64 v7, 0, 1, s[54:55]
	;;#ASMSTART
	;;#ASMEND
	s_nop 0
	v_cmp_ne_u32_e32 vcc, 0, v7
	s_cmp_lg_u64 vcc, exec
	s_cbranch_scc1 .LBB1871_182
; %bb.178:                              ;   in Loop: Header=BB1871_177 Depth=1
	v_lshl_add_u64 v[60:61], v[58:59], 4, s[68:69]
	;;#ASMSTART
	global_load_dwordx4 v[6:9], v[60:61] off sc1	
s_waitcnt vmcnt(0)
	;;#ASMEND
	s_nop 0
	v_and_b32_e32 v9, 0xff0000, v6
	v_and_b32_e32 v78, 0xff000000, v6
	;; [unrolled: 1-line block ×3, first 2 shown]
	v_or_b32_sdwa v6, v6, v9 dst_sel:DWORD dst_unused:UNUSED_PAD src0_sel:WORD_0 src1_sel:DWORD
	v_or3_b32 v7, 0, 0, v7
	v_or3_b32 v6, v6, v78, 0
	v_cmp_eq_u16_sdwa s[66:67], v8, v59 src0_sel:BYTE_0 src1_sel:DWORD
	s_and_saveexec_b64 s[54:55], s[66:67]
	s_cbranch_execz .LBB1871_176
; %bb.179:                              ;   in Loop: Header=BB1871_177 Depth=1
	s_mov_b64 s[66:67], 0
.LBB1871_180:                           ;   Parent Loop BB1871_177 Depth=1
                                        ; =>  This Inner Loop Header: Depth=2
	;;#ASMSTART
	global_load_dwordx4 v[6:9], v[60:61] off sc1	
s_waitcnt vmcnt(0)
	;;#ASMEND
	s_nop 0
	v_cmp_ne_u16_sdwa s[76:77], v8, v59 src0_sel:BYTE_0 src1_sel:DWORD
	s_or_b64 s[66:67], s[76:77], s[66:67]
	s_andn2_b64 exec, exec, s[66:67]
	s_cbranch_execnz .LBB1871_180
; %bb.181:                              ;   in Loop: Header=BB1871_177 Depth=1
	s_or_b64 exec, exec, s[66:67]
	v_and_b32_e32 v7, 0xff, v7
	s_branch .LBB1871_176
.LBB1871_182:                           ;   in Loop: Header=BB1871_177 Depth=1
                                        ; implicit-def: $vgpr7
                                        ; implicit-def: $vgpr6
                                        ; implicit-def: $vgpr8
	s_cbranch_execz .LBB1871_177
; %bb.183:
	s_and_saveexec_b64 s[54:55], s[50:51]
	s_cbranch_execz .LBB1871_185
; %bb.184:
	s_and_b32 s50, s3, 0xff
	s_cmp_eq_u32 s50, 0
	s_cselect_b64 vcc, -1, 0
	s_bitcmp1_b32 s3, 0
	s_mov_b32 s51, 0
	s_cselect_b64 s[64:65], -1, 0
	s_add_i32 s50, s2, 64
	s_lshl_b64 s[2:3], s[50:51], 4
	v_cndmask_b32_e32 v3, 0, v75, vcc
	s_add_u32 s2, s68, s2
	v_add_u32_e32 v2, v3, v2
	v_and_b32_e32 v3, 1, v73
	s_addc_u32 s3, s69, s3
	v_mov_b32_e32 v5, 0
	v_cndmask_b32_e64 v3, v3, 1, s[64:65]
	v_mov_b32_e32 v4, 2
	v_mov_b64_e32 v[6:7], s[2:3]
	;;#ASMSTART
	global_store_dwordx4 v[6:7], v[2:5] off sc1	
s_waitcnt vmcnt(0)
	;;#ASMEND
.LBB1871_185:
	s_or_b64 exec, exec, s[54:55]
	s_and_b64 exec, exec, s[48:49]
	s_cbranch_execz .LBB1871_187
; %bb.186:
	v_mov_b32_e32 v2, 0
	ds_write_b32 v2, v75
	ds_write_b8 v2, v73 offset:4
.LBB1871_187:
	s_or_b64 exec, exec, s[60:61]
	s_mov_b32 s2, 0
	v_mov_b32_e32 v2, 0
	s_mov_b32 s3, 1
	s_waitcnt lgkmcnt(0)
	s_barrier
	ds_read_b32 v3, v2
	v_cmp_gt_u64_e32 vcc, s[2:3], v[10:11]
	v_and_b32_e32 v5, 1, v11
	v_and_b32_e32 v6, 1, v63
	v_cndmask_b32_e32 v4, 0, v62, vcc
	v_cmp_eq_u32_e32 vcc, 1, v5
	v_cndmask_b32_e64 v4, v4, 0, s[48:49]
	s_nop 0
	v_cndmask_b32_e64 v5, v6, 1, vcc
	v_cndmask_b32_e64 v5, v5, v11, s[48:49]
	v_cmp_eq_u16_sdwa vcc, v5, v2 src0_sel:BYTE_0 src1_sel:DWORD
	s_waitcnt lgkmcnt(0)
	s_nop 0
	v_cndmask_b32_e32 v2, 0, v3, vcc
	v_add3_u32 v80, v4, v10, v2
	v_cndmask_b32_e64 v2, 0, v80, s[52:53]
	v_add_u32_e32 v58, v2, v12
	v_cndmask_b32_e64 v2, 0, v58, s[4:5]
	v_add_u32_e32 v59, v2, v14
	;; [unrolled: 2-line block ×22, first 2 shown]
	s_branch .LBB1871_208
.LBB1871_188:
                                        ; implicit-def: $vgpr78
                                        ; implicit-def: $vgpr77
                                        ; implicit-def: $vgpr76
                                        ; implicit-def: $vgpr75
                                        ; implicit-def: $vgpr74
                                        ; implicit-def: $vgpr73
                                        ; implicit-def: $vgpr72
                                        ; implicit-def: $vgpr71
                                        ; implicit-def: $vgpr70
                                        ; implicit-def: $vgpr69
                                        ; implicit-def: $vgpr68
                                        ; implicit-def: $vgpr67
                                        ; implicit-def: $vgpr66
                                        ; implicit-def: $vgpr65
                                        ; implicit-def: $vgpr64
                                        ; implicit-def: $vgpr63
                                        ; implicit-def: $vgpr62
                                        ; implicit-def: $vgpr61
                                        ; implicit-def: $vgpr60
                                        ; implicit-def: $vgpr59
                                        ; implicit-def: $vgpr58
                                        ; implicit-def: $vgpr80
                                        ; implicit-def: $vgpr79
	s_cbranch_execz .LBB1871_208
; %bb.189:
	s_cmp_lg_u64 s[74:75], 0
	s_cselect_b32 s5, s63, 0
	s_cselect_b32 s4, s62, 0
	s_cmp_lg_u64 s[4:5], 0
	s_cselect_b64 s[6:7], -1, 0
	v_cmp_eq_u32_e32 vcc, 0, v0
	s_mov_b32 s48, 0
	v_cmp_ne_u32_e64 s[2:3], 0, v0
	s_and_b64 s[8:9], vcc, s[6:7]
	s_and_saveexec_b64 s[6:7], s[8:9]
	s_cbranch_execz .LBB1871_191
; %bb.190:
	v_mov_b32_e32 v2, 0
	global_load_dword v4, v2, s[4:5]
	global_load_ubyte v5, v2, s[4:5] offset:4
	s_mov_b32 s49, 1
	v_and_b32_e32 v3, 1, v11
	v_cmp_gt_u64_e64 s[4:5], s[48:49], v[10:11]
	s_waitcnt vmcnt(0)
	v_and_b32_e32 v5, 1, v5
	v_cndmask_b32_e64 v4, 0, v4, s[4:5]
	v_cmp_eq_u64_e64 s[4:5], 0, v[2:3]
	v_add_u32_e32 v10, v4, v10
	s_nop 0
	v_cndmask_b32_e64 v11, 1, v5, s[4:5]
.LBB1871_191:
	s_or_b64 exec, exec, s[6:7]
	s_mov_b32 s49, 1
	v_cmp_gt_u64_e64 s[4:5], s[48:49], v[12:13]
	v_cmp_gt_u64_e64 s[6:7], s[48:49], v[14:15]
	v_cmp_gt_u64_e64 s[8:9], s[48:49], v[16:17]
	v_cndmask_b32_e64 v2, 0, v10, s[4:5]
	v_add_u32_e32 v58, v2, v12
	v_cndmask_b32_e64 v2, 0, v58, s[6:7]
	v_add_u32_e32 v59, v2, v14
	v_cndmask_b32_e64 v2, 0, v59, s[8:9]
	v_add_u32_e32 v60, v2, v16
	v_cmp_gt_u64_e64 s[10:11], s[48:49], v[18:19]
	v_cmp_gt_u64_e64 s[12:13], s[48:49], v[20:21]
	v_cmp_gt_u64_e64 s[14:15], s[48:49], v[22:23]
	v_cndmask_b32_e64 v2, 0, v60, s[10:11]
	v_add_u32_e32 v61, v2, v18
	v_cndmask_b32_e64 v2, 0, v61, s[12:13]
	v_add_u32_e32 v62, v2, v20
	v_cndmask_b32_e64 v2, 0, v62, s[14:15]
	v_add_u32_e32 v63, v2, v22
	;; [unrolled: 9-line block ×7, first 2 shown]
	v_cmp_gt_u64_e64 s[48:49], s[48:49], v[56:57]
	v_add_lshl_u32 v1, v1, v0, 3
	s_nop 0
	v_cndmask_b32_e64 v2, 0, v78, s[48:49]
	v_add_u32_e32 v79, v2, v56
	v_or3_b32 v2, v53, v51, v49
	v_or3_b32 v2, v2, v47, v45
	;; [unrolled: 1-line block ×10, first 2 shown]
	v_and_b32_e32 v2, 1, v2
	v_cmp_eq_u32_e64 s[50:51], 1, v2
	s_nop 1
	v_cndmask_b32_e64 v4, v11, 1, s[50:51]
	v_cmp_gt_u32_e64 s[50:51], 64, v0
	ds_write_b32 v1, v79
	ds_write_b8 v1, v4 offset:4
	s_waitcnt lgkmcnt(0)
	s_barrier
	s_and_saveexec_b64 s[52:53], s[50:51]
	s_cbranch_execz .LBB1871_203
; %bb.192:
	v_lshrrev_b32_e32 v1, 3, v0
	v_add_lshl_u32 v1, v1, v52, 3
	ds_read2_b32 v[6:7], v1 offset0:2 offset1:4
	ds_read_b64 v[2:3], v1
	ds_read_u8 v8, v1 offset:12
	ds_read_u8 v9, v1 offset:20
	ds_read_b32 v13, v1 offset:24
	ds_read_u8 v15, v1 offset:28
	v_mov_b32_e32 v17, 0
	s_waitcnt lgkmcnt(3)
	v_cmp_eq_u16_sdwa s[50:51], v8, v17 src0_sel:BYTE_0 src1_sel:DWORD
	v_and_b32_e32 v5, 1, v3
	s_nop 0
	v_cndmask_b32_e64 v19, 0, v2, s[50:51]
	v_add_u32_e32 v6, v19, v6
	s_waitcnt lgkmcnt(2)
	v_cmp_eq_u16_sdwa s[50:51], v9, v17 src0_sel:BYTE_0 src1_sel:DWORD
	s_nop 1
	v_cndmask_b32_e64 v6, 0, v6, s[50:51]
	v_add_u32_e32 v6, v6, v7
	s_waitcnt lgkmcnt(0)
	v_cmp_eq_u16_e64 s[50:51], 0, v15
	s_nop 1
	v_cndmask_b32_e64 v6, 0, v6, s[50:51]
	v_add_u32_e32 v7, v6, v13
	v_or_b32_e32 v6, v15, v9
	v_or_b32_e32 v6, v6, v8
	v_and_b32_e32 v6, 1, v6
	v_cmp_eq_u32_e64 s[50:51], 1, v6
	v_mbcnt_lo_u32_b32 v8, -1, 0
	v_and_b32_e32 v6, 0xffffff00, v3
	v_cndmask_b32_e64 v9, v5, 1, s[50:51]
	v_mbcnt_hi_u32_b32 v8, -1, v8
	v_and_b32_e32 v15, 15, v8
	v_or_b32_sdwa v13, v6, v9 dst_sel:DWORD dst_unused:UNUSED_PAD src0_sel:DWORD src1_sel:WORD_0
	v_mov_b32_dpp v17, v7 row_shr:1 row_mask:0xf bank_mask:0xf
	v_cmp_ne_u32_e64 s[50:51], 0, v15
	v_mov_b32_dpp v19, v13 row_shr:1 row_mask:0xf bank_mask:0xf
	s_and_saveexec_b64 s[54:55], s[50:51]
; %bb.193:
	v_and_b32_e32 v13, 1, v9
	v_and_b32_e32 v19, 1, v19
	v_cmp_eq_u32_e64 s[50:51], 1, v13
	s_nop 1
	v_cndmask_b32_e64 v19, v19, 1, s[50:51]
	v_cmp_eq_u16_e64 s[50:51], 0, v9
	v_or_b32_sdwa v13, v6, v19 dst_sel:DWORD dst_unused:UNUSED_PAD src0_sel:DWORD src1_sel:WORD_0
	s_nop 0
	v_cndmask_b32_e64 v9, 0, v17, s[50:51]
	v_add_u32_e32 v7, v9, v7
	v_mov_b32_e32 v9, v19
; %bb.194:
	s_or_b64 exec, exec, s[54:55]
	v_mov_b32_dpp v17, v7 row_shr:2 row_mask:0xf bank_mask:0xf
	v_mov_b32_dpp v19, v13 row_shr:2 row_mask:0xf bank_mask:0xf
	v_cmp_lt_u32_e64 s[50:51], 1, v15
	s_and_saveexec_b64 s[54:55], s[50:51]
; %bb.195:
	v_and_b32_e32 v13, 1, v9
	v_and_b32_e32 v19, 1, v19
	v_cmp_eq_u32_e64 s[50:51], 1, v13
	s_nop 1
	v_cndmask_b32_e64 v19, v19, 1, s[50:51]
	v_cmp_eq_u16_e64 s[50:51], 0, v9
	v_or_b32_sdwa v13, v6, v19 dst_sel:DWORD dst_unused:UNUSED_PAD src0_sel:DWORD src1_sel:WORD_0
	s_nop 0
	v_cndmask_b32_e64 v9, 0, v17, s[50:51]
	v_add_u32_e32 v7, v9, v7
	v_mov_b32_e32 v9, v19
; %bb.196:
	s_or_b64 exec, exec, s[54:55]
	v_mov_b32_dpp v17, v7 row_shr:4 row_mask:0xf bank_mask:0xf
	v_mov_b32_dpp v19, v13 row_shr:4 row_mask:0xf bank_mask:0xf
	v_cmp_lt_u32_e64 s[50:51], 3, v15
	;; [unrolled: 18-line block ×3, first 2 shown]
	s_and_saveexec_b64 s[54:55], s[50:51]
; %bb.199:
	v_and_b32_e32 v13, 1, v9
	v_and_b32_e32 v15, 1, v19
	v_cmp_eq_u32_e64 s[50:51], 1, v13
	s_nop 1
	v_cndmask_b32_e64 v15, v15, 1, s[50:51]
	v_cmp_eq_u16_e64 s[50:51], 0, v9
	v_or_b32_sdwa v13, v6, v15 dst_sel:DWORD dst_unused:UNUSED_PAD src0_sel:DWORD src1_sel:WORD_0
	s_nop 0
	v_cndmask_b32_e64 v9, 0, v17, s[50:51]
	v_add_u32_e32 v7, v9, v7
	v_mov_b32_e32 v9, v15
; %bb.200:
	s_or_b64 exec, exec, s[54:55]
	v_and_b32_e32 v19, 16, v8
	v_mov_b32_dpp v15, v7 row_bcast:15 row_mask:0xf bank_mask:0xf
	v_mov_b32_dpp v17, v13 row_bcast:15 row_mask:0xf bank_mask:0xf
	v_cmp_ne_u32_e64 s[50:51], 0, v19
	s_and_saveexec_b64 s[54:55], s[50:51]
; %bb.201:
	v_and_b32_e32 v13, 1, v9
	v_and_b32_e32 v17, 1, v17
	v_cmp_eq_u32_e64 s[50:51], 1, v13
	s_nop 1
	v_cndmask_b32_e64 v17, v17, 1, s[50:51]
	v_cmp_eq_u16_e64 s[50:51], 0, v9
	v_or_b32_sdwa v13, v6, v17 dst_sel:DWORD dst_unused:UNUSED_PAD src0_sel:DWORD src1_sel:WORD_0
	s_nop 0
	v_cndmask_b32_e64 v9, 0, v15, s[50:51]
	v_add_u32_e32 v7, v9, v7
	v_mov_b32_e32 v9, v17
; %bb.202:
	s_or_b64 exec, exec, s[54:55]
	v_mov_b32_dpp v13, v13 row_bcast:31 row_mask:0xf bank_mask:0xf
	v_and_b32_e32 v17, 1, v9
	v_and_b32_e32 v13, 1, v13
	v_cmp_eq_u32_e64 s[50:51], 1, v17
	v_mov_b32_e32 v17, 0
	v_cmp_eq_u16_sdwa s[54:55], v9, v17 src0_sel:BYTE_0 src1_sel:DWORD
	v_cndmask_b32_e64 v13, v13, 1, s[50:51]
	v_cmp_lt_u32_e64 s[50:51], 31, v8
	v_mov_b32_dpp v15, v7 row_bcast:31 row_mask:0xf bank_mask:0xf
	s_movk_i32 s60, 0xff
	v_cndmask_b32_e64 v9, v9, v13, s[50:51]
	s_and_b64 s[50:51], s[50:51], s[54:55]
	v_cndmask_b32_e64 v13, 0, v15, s[50:51]
	v_add_u32_e32 v7, v13, v7
	v_add_u32_e32 v13, -1, v8
	v_and_b32_e32 v15, 64, v8
	v_cmp_lt_i32_e64 s[50:51], v13, v15
	v_and_or_b32 v6, v9, s60, v6
	s_nop 0
	v_cndmask_b32_e64 v8, v13, v8, s[50:51]
	v_lshlrev_b32_e32 v8, 2, v8
	ds_bpermute_b32 v7, v8, v7
	ds_bpermute_b32 v6, v8, v6
	v_cmp_eq_u16_sdwa s[50:51], v3, v17 src0_sel:BYTE_0 src1_sel:DWORD
	; wave barrier
	s_waitcnt lgkmcnt(1)
	s_nop 0
	v_cndmask_b32_e64 v3, 0, v7, s[50:51]
	v_add_u32_e32 v2, v3, v2
	s_waitcnt lgkmcnt(0)
	v_and_b32_e32 v3, 1, v6
	v_cmp_eq_u32_e64 s[50:51], 1, v5
	v_cndmask_b32_e32 v5, v2, v79, vcc
	s_nop 0
	v_cndmask_b32_e64 v3, v3, 1, s[50:51]
	v_cndmask_b32_e32 v4, v3, v4, vcc
	ds_write_b32 v1, v5
	ds_write_b8 v1, v4 offset:4
	; wave barrier
	ds_read_u8 v6, v1 offset:12
	ds_read2_b32 v[2:3], v1 offset0:2 offset1:4
	ds_read_u8 v7, v1 offset:20
	ds_read_b32 v8, v1 offset:24
	ds_read_u8 v9, v1 offset:28
	s_waitcnt lgkmcnt(4)
	v_cmp_eq_u16_e64 s[50:51], 0, v6
	s_nop 1
	v_cndmask_b32_e64 v5, 0, v5, s[50:51]
	s_waitcnt lgkmcnt(3)
	v_add_u32_e32 v2, v5, v2
	v_and_b32_e32 v5, 1, v6
	v_cmp_eq_u32_e64 s[50:51], 1, v5
	s_nop 1
	v_cndmask_b32_e64 v4, v4, 1, s[50:51]
	s_waitcnt lgkmcnt(2)
	v_cmp_eq_u16_e64 s[50:51], 0, v7
	ds_write_b8 v1, v4 offset:12
	s_nop 0
	v_cndmask_b32_e64 v5, 0, v2, s[50:51]
	v_add_u32_e32 v3, v5, v3
	v_and_b32_e32 v5, 1, v7
	v_cmp_eq_u32_e64 s[50:51], 1, v5
	s_nop 1
	v_cndmask_b32_e64 v4, v4, 1, s[50:51]
	s_waitcnt lgkmcnt(1)
	v_cmp_eq_u16_e64 s[50:51], 0, v9
	ds_write2_b32 v1, v2, v3 offset0:2 offset1:4
	ds_write_b8 v1, v4 offset:20
	v_cndmask_b32_e64 v2, 0, v3, s[50:51]
	v_and_b32_e32 v3, 1, v9
	v_add_u32_e32 v2, v2, v8
	v_cmp_eq_u32_e64 s[50:51], 1, v3
	s_nop 1
	v_cndmask_b32_e64 v3, v4, 1, s[50:51]
	ds_write_b32 v1, v2 offset:24
	ds_write_b8 v1, v3 offset:28
.LBB1871_203:
	s_or_b64 exec, exec, s[52:53]
	v_mov_b32_e32 v1, v79
	s_waitcnt lgkmcnt(0)
	s_barrier
	s_and_saveexec_b64 s[50:51], s[2:3]
	s_cbranch_execnz .LBB1871_303
; %bb.204:
	s_or_b64 exec, exec, s[50:51]
	s_and_saveexec_b64 s[50:51], s[2:3]
	s_cbranch_execnz .LBB1871_304
.LBB1871_205:
	s_or_b64 exec, exec, s[50:51]
	s_and_saveexec_b64 s[2:3], vcc
	s_cbranch_execz .LBB1871_207
.LBB1871_206:
	v_mov_b32_e32 v5, 0
	ds_read_b32 v2, v5 offset:2096
	ds_read_u8 v3, v5 offset:2100
	s_add_u32 s4, s68, 0x400
	s_addc_u32 s5, s69, 0
	v_mov_b32_e32 v4, 2
	v_mov_b64_e32 v[6:7], s[4:5]
	s_waitcnt lgkmcnt(0)
	;;#ASMSTART
	global_store_dwordx4 v[6:7], v[2:5] off sc1	
s_waitcnt vmcnt(0)
	;;#ASMEND
.LBB1871_207:
	s_or_b64 exec, exec, s[2:3]
	v_mov_b32_e32 v80, v10
.LBB1871_208:
	s_add_u32 s2, s58, s72
	s_addc_u32 s3, s59, s73
	s_add_u32 s2, s2, s56
	s_addc_u32 s3, s3, s57
	s_and_b64 vcc, exec, s[0:1]
	s_cbranch_vccz .LBB1871_296
; %bb.209:
	s_add_i32 s33, s33, s70
	s_waitcnt lgkmcnt(0)
	v_mul_u32_u24_e32 v1, 23, v0
	v_cmp_gt_u32_e32 vcc, s33, v1
	v_mov_b32_e32 v53, 0
	v_mov_b32_e32 v9, 0
	;; [unrolled: 1-line block ×24, first 2 shown]
	s_and_saveexec_b64 s[4:5], vcc
	s_cbranch_execz .LBB1871_251
; %bb.210:
	v_add_u32_e32 v2, 1, v1
	v_cmp_gt_u32_e32 vcc, s33, v2
	v_mov_b32_e32 v2, 0
	v_mov_b32_e32 v3, 0
	;; [unrolled: 1-line block ×22, first 2 shown]
	s_and_saveexec_b64 s[6:7], vcc
	s_cbranch_execz .LBB1871_250
; %bb.211:
	v_add_u32_e32 v2, 2, v1
	v_cmp_gt_u32_e32 vcc, s33, v2
	v_mov_b32_e32 v2, 0
	v_mov_b32_e32 v3, 0
	;; [unrolled: 1-line block ×21, first 2 shown]
	s_and_saveexec_b64 s[8:9], vcc
	s_cbranch_execz .LBB1871_249
; %bb.212:
	v_add_u32_e32 v2, 3, v1
	v_cmp_gt_u32_e32 vcc, s33, v2
	v_mov_b32_e32 v2, 0
	v_mov_b32_e32 v3, 0
	;; [unrolled: 1-line block ×20, first 2 shown]
	s_and_saveexec_b64 s[10:11], vcc
	s_cbranch_execz .LBB1871_248
; %bb.213:
	v_add_u32_e32 v2, 4, v1
	v_cmp_gt_u32_e32 vcc, s33, v2
	v_mov_b32_e32 v2, 0
	v_mov_b32_e32 v3, 0
	;; [unrolled: 1-line block ×19, first 2 shown]
	s_and_saveexec_b64 s[12:13], vcc
	s_cbranch_execz .LBB1871_247
; %bb.214:
	v_add_u32_e32 v2, 5, v1
	v_cmp_gt_u32_e32 vcc, s33, v2
	v_mov_b32_e32 v2, 0
	v_mov_b32_e32 v3, 0
	;; [unrolled: 1-line block ×18, first 2 shown]
	s_and_saveexec_b64 s[14:15], vcc
	s_cbranch_execz .LBB1871_246
; %bb.215:
	v_add_u32_e32 v2, 6, v1
	v_cmp_gt_u32_e32 vcc, s33, v2
	v_mov_b32_e32 v2, 0
	v_mov_b32_e32 v3, 0
	;; [unrolled: 1-line block ×17, first 2 shown]
	s_and_saveexec_b64 s[16:17], vcc
	s_cbranch_execz .LBB1871_245
; %bb.216:
	v_add_u32_e32 v2, 7, v1
	v_cmp_gt_u32_e32 vcc, s33, v2
	v_mov_b32_e32 v2, 0
	v_mov_b32_e32 v3, 0
	;; [unrolled: 1-line block ×16, first 2 shown]
	s_and_saveexec_b64 s[18:19], vcc
	s_cbranch_execz .LBB1871_244
; %bb.217:
	v_add_u32_e32 v2, 8, v1
	v_cmp_gt_u32_e32 vcc, s33, v2
	v_mov_b32_e32 v2, 0
	v_mov_b32_e32 v3, 0
	;; [unrolled: 1-line block ×15, first 2 shown]
	s_and_saveexec_b64 s[20:21], vcc
	s_cbranch_execz .LBB1871_243
; %bb.218:
	v_add_u32_e32 v2, 9, v1
	v_cmp_gt_u32_e32 vcc, s33, v2
	v_mov_b32_e32 v2, 0
	v_mov_b32_e32 v3, 0
	;; [unrolled: 1-line block ×14, first 2 shown]
	s_and_saveexec_b64 s[22:23], vcc
	s_cbranch_execz .LBB1871_242
; %bb.219:
	v_add_u32_e32 v2, 10, v1
	v_cmp_gt_u32_e32 vcc, s33, v2
	v_mov_b32_e32 v2, 0
	v_mov_b32_e32 v3, 0
	;; [unrolled: 1-line block ×13, first 2 shown]
	s_and_saveexec_b64 s[24:25], vcc
	s_cbranch_execz .LBB1871_241
; %bb.220:
	v_add_u32_e32 v2, 11, v1
	v_cmp_gt_u32_e32 vcc, s33, v2
	v_mov_b32_e32 v2, 0
	v_mov_b32_e32 v3, 0
	;; [unrolled: 1-line block ×12, first 2 shown]
	s_and_saveexec_b64 s[26:27], vcc
	s_cbranch_execz .LBB1871_240
; %bb.221:
	v_add_u32_e32 v2, 12, v1
	v_cmp_gt_u32_e32 vcc, s33, v2
	v_mov_b32_e32 v2, 0
	v_mov_b32_e32 v3, 0
	;; [unrolled: 1-line block ×11, first 2 shown]
	s_and_saveexec_b64 s[28:29], vcc
	s_cbranch_execz .LBB1871_239
; %bb.222:
	v_add_u32_e32 v2, 13, v1
	v_cmp_gt_u32_e32 vcc, s33, v2
	v_mov_b32_e32 v2, 0
	v_mov_b32_e32 v3, 0
	;; [unrolled: 1-line block ×10, first 2 shown]
	s_and_saveexec_b64 s[30:31], vcc
	s_cbranch_execz .LBB1871_238
; %bb.223:
	v_add_u32_e32 v2, 14, v1
	v_cmp_gt_u32_e32 vcc, s33, v2
	v_mov_b32_e32 v2, 0
	v_mov_b32_e32 v3, 0
	;; [unrolled: 1-line block ×9, first 2 shown]
	s_and_saveexec_b64 s[34:35], vcc
	s_cbranch_execz .LBB1871_237
; %bb.224:
	v_add_u32_e32 v2, 15, v1
	v_cmp_gt_u32_e32 vcc, s33, v2
	v_mov_b32_e32 v2, 0
	v_mov_b32_e32 v3, 0
	;; [unrolled: 1-line block ×8, first 2 shown]
	s_and_saveexec_b64 s[36:37], vcc
	s_cbranch_execz .LBB1871_236
; %bb.225:
	v_add_u32_e32 v2, 16, v1
	v_cmp_gt_u32_e32 vcc, s33, v2
	v_mov_b32_e32 v2, 0
	v_mov_b32_e32 v3, 0
	;; [unrolled: 1-line block ×7, first 2 shown]
	s_and_saveexec_b64 s[38:39], vcc
	s_cbranch_execz .LBB1871_235
; %bb.226:
	v_add_u32_e32 v2, 17, v1
	v_cmp_gt_u32_e32 vcc, s33, v2
	v_mov_b32_e32 v2, 0
	v_mov_b32_e32 v3, 0
	;; [unrolled: 1-line block ×6, first 2 shown]
	s_and_saveexec_b64 s[40:41], vcc
	s_cbranch_execz .LBB1871_234
; %bb.227:
	v_add_u32_e32 v2, 18, v1
	v_cmp_gt_u32_e32 vcc, s33, v2
	v_mov_b32_e32 v2, 0
	v_mov_b32_e32 v3, 0
	;; [unrolled: 1-line block ×5, first 2 shown]
	s_and_saveexec_b64 s[42:43], vcc
	s_cbranch_execz .LBB1871_233
; %bb.228:
	v_add_u32_e32 v2, 19, v1
	v_cmp_gt_u32_e32 vcc, s33, v2
	v_mov_b32_e32 v2, 0
	v_mov_b32_e32 v3, 0
	;; [unrolled: 1-line block ×4, first 2 shown]
	s_and_saveexec_b64 s[44:45], vcc
	s_cbranch_execz .LBB1871_232
; %bb.229:
	v_add_u32_e32 v2, 20, v1
	v_cmp_gt_u32_e32 vcc, s33, v2
	v_mov_b32_e32 v2, 0
	v_mov_b32_e32 v3, 0
	;; [unrolled: 1-line block ×3, first 2 shown]
	s_and_saveexec_b64 s[46:47], vcc
; %bb.230:
	v_add_u32_e32 v2, 21, v1
	v_add_u32_e32 v3, 22, v1
	v_cmp_gt_u32_e32 vcc, s33, v2
	v_cmp_gt_u32_e64 s[0:1], s33, v3
	v_mov_b32_e32 v3, v77
	v_cndmask_b32_e32 v2, 0, v78, vcc
	s_and_b64 vcc, vcc, s[0:1]
	v_cndmask_b32_e32 v9, 0, v79, vcc
; %bb.231:
	s_or_b64 exec, exec, s[46:47]
	v_mov_b32_e32 v4, v76
.LBB1871_232:
	s_or_b64 exec, exec, s[44:45]
	v_mov_b32_e32 v5, v75
.LBB1871_233:
	s_or_b64 exec, exec, s[42:43]
	v_mov_b32_e32 v6, v74
.LBB1871_234:
	s_or_b64 exec, exec, s[40:41]
	v_mov_b32_e32 v7, v73
.LBB1871_235:
	s_or_b64 exec, exec, s[38:39]
	v_mov_b32_e32 v8, v72
.LBB1871_236:
	s_or_b64 exec, exec, s[36:37]
	v_mov_b32_e32 v10, v71
.LBB1871_237:
	s_or_b64 exec, exec, s[34:35]
	v_mov_b32_e32 v11, v70
.LBB1871_238:
	s_or_b64 exec, exec, s[30:31]
	v_mov_b32_e32 v12, v69
.LBB1871_239:
	s_or_b64 exec, exec, s[28:29]
	v_mov_b32_e32 v13, v68
.LBB1871_240:
	s_or_b64 exec, exec, s[26:27]
	v_mov_b32_e32 v14, v67
.LBB1871_241:
	s_or_b64 exec, exec, s[24:25]
	v_mov_b32_e32 v15, v66
.LBB1871_242:
	s_or_b64 exec, exec, s[22:23]
	v_mov_b32_e32 v16, v65
.LBB1871_243:
	s_or_b64 exec, exec, s[20:21]
	v_mov_b32_e32 v17, v64
.LBB1871_244:
	s_or_b64 exec, exec, s[18:19]
	v_mov_b32_e32 v18, v63
.LBB1871_245:
	s_or_b64 exec, exec, s[16:17]
	v_mov_b32_e32 v19, v62
.LBB1871_246:
	s_or_b64 exec, exec, s[14:15]
	v_mov_b32_e32 v20, v61
.LBB1871_247:
	s_or_b64 exec, exec, s[12:13]
	v_mov_b32_e32 v21, v60
.LBB1871_248:
	s_or_b64 exec, exec, s[10:11]
	v_mov_b32_e32 v22, v59
.LBB1871_249:
	s_or_b64 exec, exec, s[8:9]
	v_mov_b32_e32 v23, v58
.LBB1871_250:
	s_or_b64 exec, exec, s[6:7]
	v_mov_b32_e32 v24, v80
.LBB1871_251:
	s_or_b64 exec, exec, s[4:5]
	v_lshlrev_b32_e32 v1, 2, v1
	s_movk_i32 s0, 0xffa8
	s_barrier
	ds_write2_b32 v1, v24, v23 offset1:1
	ds_write2_b32 v1, v22, v21 offset0:2 offset1:3
	ds_write2_b32 v1, v20, v19 offset0:4 offset1:5
	;; [unrolled: 1-line block ×10, first 2 shown]
	ds_write_b32 v1, v9 offset:88
	v_mad_i32_i24 v2, v0, s0, v1
	s_waitcnt lgkmcnt(0)
	s_barrier
	ds_read2st64_b32 v[24:25], v2 offset0:4 offset1:8
	ds_read2st64_b32 v[22:23], v2 offset0:12 offset1:16
	;; [unrolled: 1-line block ×11, first 2 shown]
	v_lshl_add_u64 v[4:5], s[2:3], 0, v[52:53]
	v_cmp_gt_u32_e32 vcc, s33, v0
	s_and_saveexec_b64 s[0:1], vcc
	s_cbranch_execz .LBB1871_253
; %bb.252:
	v_mul_i32_i24_e32 v26, 0xffffffa8, v0
	v_add_u32_e32 v1, v1, v26
	ds_read_b32 v1, v1
	s_waitcnt lgkmcnt(0)
	flat_store_dword v[4:5], v1
.LBB1871_253:
	s_or_b64 exec, exec, s[0:1]
	v_or_b32_e32 v1, 0x100, v0
	v_cmp_gt_u32_e32 vcc, s33, v1
	s_and_saveexec_b64 s[0:1], vcc
	s_cbranch_execz .LBB1871_255
; %bb.254:
	s_waitcnt lgkmcnt(0)
	flat_store_dword v[4:5], v24 offset:1024
.LBB1871_255:
	s_or_b64 exec, exec, s[0:1]
	v_or_b32_e32 v1, 0x200, v0
	v_cmp_gt_u32_e32 vcc, s33, v1
	s_and_saveexec_b64 s[0:1], vcc
	s_cbranch_execz .LBB1871_257
; %bb.256:
	s_waitcnt lgkmcnt(0)
	flat_store_dword v[4:5], v25 offset:2048
.LBB1871_257:
	s_or_b64 exec, exec, s[0:1]
	v_or_b32_e32 v1, 0x300, v0
	v_cmp_gt_u32_e32 vcc, s33, v1
	s_and_saveexec_b64 s[0:1], vcc
	s_cbranch_execz .LBB1871_259
; %bb.258:
	s_waitcnt lgkmcnt(0)
	flat_store_dword v[4:5], v22 offset:3072
.LBB1871_259:
	s_or_b64 exec, exec, s[0:1]
	v_or_b32_e32 v1, 0x400, v0
	v_cmp_gt_u32_e32 vcc, s33, v1
	s_and_saveexec_b64 s[0:1], vcc
	s_cbranch_execz .LBB1871_261
; %bb.260:
	s_waitcnt lgkmcnt(0)
	v_add_co_u32_e32 v24, vcc, 0x1000, v4
	s_nop 1
	v_addc_co_u32_e32 v25, vcc, 0, v5, vcc
	flat_store_dword v[24:25], v23
.LBB1871_261:
	s_or_b64 exec, exec, s[0:1]
	v_or_b32_e32 v1, 0x500, v0
	v_cmp_gt_u32_e32 vcc, s33, v1
	s_and_saveexec_b64 s[0:1], vcc
	s_cbranch_execz .LBB1871_263
; %bb.262:
	s_waitcnt lgkmcnt(0)
	v_add_co_u32_e32 v22, vcc, 0x1000, v4
	s_nop 1
	v_addc_co_u32_e32 v23, vcc, 0, v5, vcc
	flat_store_dword v[22:23], v20 offset:1024
.LBB1871_263:
	s_or_b64 exec, exec, s[0:1]
	v_or_b32_e32 v1, 0x600, v0
	v_cmp_gt_u32_e32 vcc, s33, v1
	s_and_saveexec_b64 s[0:1], vcc
	s_cbranch_execz .LBB1871_265
; %bb.264:
	s_waitcnt lgkmcnt(0)
	v_add_co_u32_e32 v22, vcc, 0x1000, v4
	s_nop 1
	v_addc_co_u32_e32 v23, vcc, 0, v5, vcc
	flat_store_dword v[22:23], v21 offset:2048
.LBB1871_265:
	s_or_b64 exec, exec, s[0:1]
	v_or_b32_e32 v1, 0x700, v0
	v_cmp_gt_u32_e32 vcc, s33, v1
	s_and_saveexec_b64 s[0:1], vcc
	s_cbranch_execz .LBB1871_267
; %bb.266:
	s_waitcnt lgkmcnt(0)
	v_add_co_u32_e32 v20, vcc, 0x1000, v4
	s_nop 1
	v_addc_co_u32_e32 v21, vcc, 0, v5, vcc
	flat_store_dword v[20:21], v18 offset:3072
.LBB1871_267:
	s_or_b64 exec, exec, s[0:1]
	v_or_b32_e32 v1, 0x800, v0
	v_cmp_gt_u32_e32 vcc, s33, v1
	s_and_saveexec_b64 s[0:1], vcc
	s_cbranch_execz .LBB1871_269
; %bb.268:
	s_waitcnt lgkmcnt(0)
	v_add_co_u32_e32 v20, vcc, 0x2000, v4
	s_nop 1
	v_addc_co_u32_e32 v21, vcc, 0, v5, vcc
	flat_store_dword v[20:21], v19
.LBB1871_269:
	s_or_b64 exec, exec, s[0:1]
	v_or_b32_e32 v1, 0x900, v0
	v_cmp_gt_u32_e32 vcc, s33, v1
	s_and_saveexec_b64 s[0:1], vcc
	s_cbranch_execz .LBB1871_271
; %bb.270:
	s_waitcnt lgkmcnt(0)
	v_add_co_u32_e32 v18, vcc, 0x2000, v4
	s_nop 1
	v_addc_co_u32_e32 v19, vcc, 0, v5, vcc
	flat_store_dword v[18:19], v16 offset:1024
.LBB1871_271:
	s_or_b64 exec, exec, s[0:1]
	v_or_b32_e32 v1, 0xa00, v0
	v_cmp_gt_u32_e32 vcc, s33, v1
	s_and_saveexec_b64 s[0:1], vcc
	s_cbranch_execz .LBB1871_273
; %bb.272:
	s_waitcnt lgkmcnt(0)
	v_add_co_u32_e32 v18, vcc, 0x2000, v4
	s_nop 1
	v_addc_co_u32_e32 v19, vcc, 0, v5, vcc
	flat_store_dword v[18:19], v17 offset:2048
.LBB1871_273:
	s_or_b64 exec, exec, s[0:1]
	v_or_b32_e32 v1, 0xb00, v0
	v_cmp_gt_u32_e32 vcc, s33, v1
	s_and_saveexec_b64 s[0:1], vcc
	s_cbranch_execz .LBB1871_275
; %bb.274:
	s_waitcnt lgkmcnt(0)
	v_add_co_u32_e32 v16, vcc, 0x2000, v4
	s_nop 1
	v_addc_co_u32_e32 v17, vcc, 0, v5, vcc
	flat_store_dword v[16:17], v14 offset:3072
.LBB1871_275:
	s_or_b64 exec, exec, s[0:1]
	v_or_b32_e32 v1, 0xc00, v0
	v_cmp_gt_u32_e32 vcc, s33, v1
	s_and_saveexec_b64 s[0:1], vcc
	s_cbranch_execz .LBB1871_277
; %bb.276:
	s_waitcnt lgkmcnt(0)
	v_add_co_u32_e32 v16, vcc, 0x3000, v4
	s_nop 1
	v_addc_co_u32_e32 v17, vcc, 0, v5, vcc
	flat_store_dword v[16:17], v15
.LBB1871_277:
	s_or_b64 exec, exec, s[0:1]
	v_or_b32_e32 v1, 0xd00, v0
	v_cmp_gt_u32_e32 vcc, s33, v1
	s_and_saveexec_b64 s[0:1], vcc
	s_cbranch_execz .LBB1871_279
; %bb.278:
	s_waitcnt lgkmcnt(0)
	v_add_co_u32_e32 v14, vcc, 0x3000, v4
	s_nop 1
	v_addc_co_u32_e32 v15, vcc, 0, v5, vcc
	flat_store_dword v[14:15], v12 offset:1024
.LBB1871_279:
	s_or_b64 exec, exec, s[0:1]
	v_or_b32_e32 v1, 0xe00, v0
	v_cmp_gt_u32_e32 vcc, s33, v1
	s_and_saveexec_b64 s[0:1], vcc
	s_cbranch_execz .LBB1871_281
; %bb.280:
	s_waitcnt lgkmcnt(0)
	v_add_co_u32_e32 v14, vcc, 0x3000, v4
	s_nop 1
	v_addc_co_u32_e32 v15, vcc, 0, v5, vcc
	flat_store_dword v[14:15], v13 offset:2048
.LBB1871_281:
	s_or_b64 exec, exec, s[0:1]
	v_or_b32_e32 v1, 0xf00, v0
	v_cmp_gt_u32_e32 vcc, s33, v1
	s_and_saveexec_b64 s[0:1], vcc
	s_cbranch_execz .LBB1871_283
; %bb.282:
	s_waitcnt lgkmcnt(0)
	v_add_co_u32_e32 v12, vcc, 0x3000, v4
	s_nop 1
	v_addc_co_u32_e32 v13, vcc, 0, v5, vcc
	flat_store_dword v[12:13], v10 offset:3072
.LBB1871_283:
	s_or_b64 exec, exec, s[0:1]
	v_or_b32_e32 v1, 0x1000, v0
	v_cmp_gt_u32_e32 vcc, s33, v1
	s_and_saveexec_b64 s[0:1], vcc
	s_cbranch_execz .LBB1871_285
; %bb.284:
	s_waitcnt lgkmcnt(0)
	v_add_co_u32_e32 v12, vcc, 0x4000, v4
	s_nop 1
	v_addc_co_u32_e32 v13, vcc, 0, v5, vcc
	flat_store_dword v[12:13], v11
.LBB1871_285:
	s_or_b64 exec, exec, s[0:1]
	v_or_b32_e32 v1, 0x1100, v0
	v_cmp_gt_u32_e32 vcc, s33, v1
	s_and_saveexec_b64 s[0:1], vcc
	s_cbranch_execz .LBB1871_287
; %bb.286:
	s_waitcnt lgkmcnt(0)
	v_add_co_u32_e32 v10, vcc, 0x4000, v4
	s_nop 1
	v_addc_co_u32_e32 v11, vcc, 0, v5, vcc
	flat_store_dword v[10:11], v8 offset:1024
.LBB1871_287:
	s_or_b64 exec, exec, s[0:1]
	v_or_b32_e32 v1, 0x1200, v0
	v_cmp_gt_u32_e32 vcc, s33, v1
	s_and_saveexec_b64 s[0:1], vcc
	s_cbranch_execz .LBB1871_289
; %bb.288:
	s_waitcnt lgkmcnt(0)
	v_add_co_u32_e32 v10, vcc, 0x4000, v4
	s_nop 1
	v_addc_co_u32_e32 v11, vcc, 0, v5, vcc
	flat_store_dword v[10:11], v9 offset:2048
.LBB1871_289:
	s_or_b64 exec, exec, s[0:1]
	v_or_b32_e32 v1, 0x1300, v0
	v_cmp_gt_u32_e32 vcc, s33, v1
	s_and_saveexec_b64 s[0:1], vcc
	s_cbranch_execz .LBB1871_291
; %bb.290:
	s_waitcnt lgkmcnt(0)
	v_add_co_u32_e32 v8, vcc, 0x4000, v4
	s_nop 1
	v_addc_co_u32_e32 v9, vcc, 0, v5, vcc
	flat_store_dword v[8:9], v6 offset:3072
.LBB1871_291:
	s_or_b64 exec, exec, s[0:1]
	v_or_b32_e32 v1, 0x1400, v0
	v_cmp_gt_u32_e32 vcc, s33, v1
	s_and_saveexec_b64 s[0:1], vcc
	s_cbranch_execz .LBB1871_293
; %bb.292:
	s_waitcnt lgkmcnt(0)
	v_add_co_u32_e32 v8, vcc, 0x5000, v4
	s_nop 1
	v_addc_co_u32_e32 v9, vcc, 0, v5, vcc
	flat_store_dword v[8:9], v7
.LBB1871_293:
	s_or_b64 exec, exec, s[0:1]
	v_or_b32_e32 v1, 0x1500, v0
	v_cmp_gt_u32_e32 vcc, s33, v1
	s_and_saveexec_b64 s[0:1], vcc
	s_cbranch_execz .LBB1871_295
; %bb.294:
	v_add_co_u32_e32 v4, vcc, 0x5000, v4
	s_nop 1
	v_addc_co_u32_e32 v5, vcc, 0, v5, vcc
	s_waitcnt lgkmcnt(0)
	flat_store_dword v[4:5], v2 offset:1024
.LBB1871_295:
	s_or_b64 exec, exec, s[0:1]
	s_waitcnt lgkmcnt(0)
	v_or_b32_e32 v2, 0x1600, v0
	v_mov_b32_e32 v1, v53
	v_cmp_gt_u32_e64 s[0:1], s33, v2
	s_branch .LBB1871_298
.LBB1871_296:
	s_mov_b64 s[0:1], 0
                                        ; implicit-def: $vgpr3
	s_cbranch_execz .LBB1871_298
; %bb.297:
	s_waitcnt lgkmcnt(0)
	v_mul_u32_u24_e32 v1, 0x5c, v0
	s_barrier
	s_movk_i32 s4, 0x5c
	ds_write2_b32 v1, v80, v58 offset1:1
	ds_write2_b32 v1, v59, v60 offset0:2 offset1:3
	ds_write2_b32 v1, v61, v62 offset0:4 offset1:5
	;; [unrolled: 1-line block ×10, first 2 shown]
	ds_write_b32 v1, v79 offset:88
	v_mov_b32_e32 v1, 0
	v_mul_i32_i24_e32 v2, 0xffffffa8, v0
	v_mad_u32_u24 v2, v0, s4, v2
	v_mov_b32_e32 v53, v1
	s_waitcnt lgkmcnt(0)
	s_barrier
	ds_read2st64_b32 v[4:5], v2 offset1:4
	ds_read2st64_b32 v[6:7], v2 offset0:8 offset1:12
	ds_read2st64_b32 v[8:9], v2 offset0:16 offset1:20
	;; [unrolled: 1-line block ×10, first 2 shown]
	ds_read_b32 v3, v2 offset:22528
	v_lshl_add_u64 v[26:27], s[2:3], 0, v[52:53]
	s_movk_i32 s4, 0x1000
	s_waitcnt lgkmcnt(0)
	flat_store_dword v[26:27], v4
	flat_store_dword v[26:27], v5 offset:1024
	flat_store_dword v[26:27], v6 offset:2048
	;; [unrolled: 1-line block ×3, first 2 shown]
	v_add_co_u32_e32 v4, vcc, s4, v26
	s_movk_i32 s4, 0x2000
	s_nop 0
	v_addc_co_u32_e32 v5, vcc, 0, v27, vcc
	flat_store_dword v[4:5], v8
	flat_store_dword v[4:5], v9 offset:1024
	flat_store_dword v[4:5], v10 offset:2048
	;; [unrolled: 1-line block ×3, first 2 shown]
	v_add_co_u32_e32 v4, vcc, s4, v26
	s_movk_i32 s4, 0x3000
	s_nop 0
	v_addc_co_u32_e32 v5, vcc, 0, v27, vcc
	flat_store_dword v[4:5], v12
	flat_store_dword v[4:5], v13 offset:1024
	flat_store_dword v[4:5], v14 offset:2048
	;; [unrolled: 1-line block ×3, first 2 shown]
	v_add_co_u32_e32 v4, vcc, s4, v26
	s_or_b64 s[0:1], s[0:1], exec
	s_nop 0
	v_addc_co_u32_e32 v5, vcc, 0, v27, vcc
	flat_store_dword v[4:5], v16
	flat_store_dword v[4:5], v17 offset:1024
	flat_store_dword v[4:5], v18 offset:2048
	;; [unrolled: 1-line block ×3, first 2 shown]
	v_add_co_u32_e32 v4, vcc, 0x4000, v26
	s_nop 1
	v_addc_co_u32_e32 v5, vcc, 0, v27, vcc
	flat_store_dword v[4:5], v20
	flat_store_dword v[4:5], v21 offset:1024
	flat_store_dword v[4:5], v22 offset:2048
	flat_store_dword v[4:5], v23 offset:3072
	v_add_co_u32_e32 v4, vcc, 0x5000, v26
	s_nop 1
	v_addc_co_u32_e32 v5, vcc, 0, v27, vcc
	flat_store_dword v[4:5], v24
	flat_store_dword v[4:5], v25 offset:1024
.LBB1871_298:
	s_and_saveexec_b64 s[4:5], s[0:1]
	s_cbranch_execnz .LBB1871_300
; %bb.299:
	s_endpgm
.LBB1871_300:
	s_waitcnt lgkmcnt(0)
	v_lshl_add_u64 v[0:1], v[0:1], 2, s[2:3]
	v_add_co_u32_e32 v0, vcc, 0x5000, v0
	s_nop 1
	v_addc_co_u32_e32 v1, vcc, 0, v1, vcc
	flat_store_dword v[0:1], v3 offset:2048
	s_endpgm
.LBB1871_301:
	v_mov_b32_e32 v41, 0
	v_lshl_add_u64 v[26:27], s[52:53], 0, v[40:41]
	flat_load_dword v25, v[26:27]
	s_or_b64 exec, exec, s[4:5]
	s_and_saveexec_b64 s[4:5], s[46:47]
	s_cbranch_execz .LBB1871_95
.LBB1871_302:
	v_mov_b32_e32 v43, 0
	v_lshl_add_u64 v[26:27], s[52:53], 0, v[42:43]
	flat_load_dword v24, v[26:27]
	s_or_b64 exec, exec, s[4:5]
	v_mov_b32_e32 v26, 0
	s_and_saveexec_b64 s[4:5], s[48:49]
	s_cbranch_execnz .LBB1871_96
	s_branch .LBB1871_97
.LBB1871_303:
	v_add_u32_e32 v1, -1, v0
	v_lshrrev_b32_e32 v2, 5, v1
	v_add_lshl_u32 v1, v2, v1, 3
	ds_read_b32 v1, v1
	s_or_b64 exec, exec, s[50:51]
	s_and_saveexec_b64 s[50:51], s[2:3]
	s_cbranch_execz .LBB1871_205
.LBB1871_304:
	v_and_b32_e32 v3, 0xff, v11
	v_mov_b32_e32 v2, 0
	v_cmp_eq_u64_e64 s[2:3], 0, v[2:3]
	;;#ASMSTART
	;;#ASMEND
	s_waitcnt lgkmcnt(0)
	s_nop 0
	v_cndmask_b32_e64 v1, 0, v1, s[2:3]
	v_add_u32_e32 v10, v1, v10
	v_cndmask_b32_e64 v1, 0, v10, s[4:5]
	v_add_u32_e32 v58, v1, v12
	;; [unrolled: 2-line block ×23, first 2 shown]
	s_or_b64 exec, exec, s[50:51]
	s_and_saveexec_b64 s[2:3], vcc
	s_cbranch_execnz .LBB1871_206
	s_branch .LBB1871_207
.LBB1871_305:
                                        ; implicit-def: $sgpr60_sgpr61
	s_branch .LBB1871_50
.LBB1871_306:
                                        ; implicit-def: $sgpr4_sgpr5
	s_branch .LBB1871_146
	.section	.rodata,"a",@progbits
	.p2align	6, 0x0
	.amdhsa_kernel _ZN7rocprim17ROCPRIM_400000_NS6detail17trampoline_kernelINS0_14default_configENS1_27scan_by_key_config_selectorIj11FixedVectorIiLj1EEEEZZNS1_16scan_by_key_implILNS1_25lookback_scan_determinismE0ELb0ES3_N6thrust23THRUST_200600_302600_NS6detail15normal_iteratorINSB_10device_ptrIjEEEENSD_INSE_IS6_EEEESI_S6_NSB_4plusIvEENSB_8equal_toIvEES6_EE10hipError_tPvRmT2_T3_T4_T5_mT6_T7_P12ihipStream_tbENKUlT_T0_E_clISt17integral_constantIbLb0EES13_EEDaSY_SZ_EUlSY_E_NS1_11comp_targetILNS1_3genE5ELNS1_11target_archE942ELNS1_3gpuE9ELNS1_3repE0EEENS1_30default_config_static_selectorELNS0_4arch9wavefront6targetE1EEEvT1_
		.amdhsa_group_segment_fixed_size 25600
		.amdhsa_private_segment_fixed_size 0
		.amdhsa_kernarg_size 112
		.amdhsa_user_sgpr_count 2
		.amdhsa_user_sgpr_dispatch_ptr 0
		.amdhsa_user_sgpr_queue_ptr 0
		.amdhsa_user_sgpr_kernarg_segment_ptr 1
		.amdhsa_user_sgpr_dispatch_id 0
		.amdhsa_user_sgpr_kernarg_preload_length 0
		.amdhsa_user_sgpr_kernarg_preload_offset 0
		.amdhsa_user_sgpr_private_segment_size 0
		.amdhsa_uses_dynamic_stack 0
		.amdhsa_enable_private_segment 0
		.amdhsa_system_sgpr_workgroup_id_x 1
		.amdhsa_system_sgpr_workgroup_id_y 0
		.amdhsa_system_sgpr_workgroup_id_z 0
		.amdhsa_system_sgpr_workgroup_info 0
		.amdhsa_system_vgpr_workitem_id 0
		.amdhsa_next_free_vgpr 81
		.amdhsa_next_free_sgpr 82
		.amdhsa_accum_offset 84
		.amdhsa_reserve_vcc 1
		.amdhsa_float_round_mode_32 0
		.amdhsa_float_round_mode_16_64 0
		.amdhsa_float_denorm_mode_32 3
		.amdhsa_float_denorm_mode_16_64 3
		.amdhsa_dx10_clamp 1
		.amdhsa_ieee_mode 1
		.amdhsa_fp16_overflow 0
		.amdhsa_tg_split 0
		.amdhsa_exception_fp_ieee_invalid_op 0
		.amdhsa_exception_fp_denorm_src 0
		.amdhsa_exception_fp_ieee_div_zero 0
		.amdhsa_exception_fp_ieee_overflow 0
		.amdhsa_exception_fp_ieee_underflow 0
		.amdhsa_exception_fp_ieee_inexact 0
		.amdhsa_exception_int_div_zero 0
	.end_amdhsa_kernel
	.section	.text._ZN7rocprim17ROCPRIM_400000_NS6detail17trampoline_kernelINS0_14default_configENS1_27scan_by_key_config_selectorIj11FixedVectorIiLj1EEEEZZNS1_16scan_by_key_implILNS1_25lookback_scan_determinismE0ELb0ES3_N6thrust23THRUST_200600_302600_NS6detail15normal_iteratorINSB_10device_ptrIjEEEENSD_INSE_IS6_EEEESI_S6_NSB_4plusIvEENSB_8equal_toIvEES6_EE10hipError_tPvRmT2_T3_T4_T5_mT6_T7_P12ihipStream_tbENKUlT_T0_E_clISt17integral_constantIbLb0EES13_EEDaSY_SZ_EUlSY_E_NS1_11comp_targetILNS1_3genE5ELNS1_11target_archE942ELNS1_3gpuE9ELNS1_3repE0EEENS1_30default_config_static_selectorELNS0_4arch9wavefront6targetE1EEEvT1_,"axG",@progbits,_ZN7rocprim17ROCPRIM_400000_NS6detail17trampoline_kernelINS0_14default_configENS1_27scan_by_key_config_selectorIj11FixedVectorIiLj1EEEEZZNS1_16scan_by_key_implILNS1_25lookback_scan_determinismE0ELb0ES3_N6thrust23THRUST_200600_302600_NS6detail15normal_iteratorINSB_10device_ptrIjEEEENSD_INSE_IS6_EEEESI_S6_NSB_4plusIvEENSB_8equal_toIvEES6_EE10hipError_tPvRmT2_T3_T4_T5_mT6_T7_P12ihipStream_tbENKUlT_T0_E_clISt17integral_constantIbLb0EES13_EEDaSY_SZ_EUlSY_E_NS1_11comp_targetILNS1_3genE5ELNS1_11target_archE942ELNS1_3gpuE9ELNS1_3repE0EEENS1_30default_config_static_selectorELNS0_4arch9wavefront6targetE1EEEvT1_,comdat
.Lfunc_end1871:
	.size	_ZN7rocprim17ROCPRIM_400000_NS6detail17trampoline_kernelINS0_14default_configENS1_27scan_by_key_config_selectorIj11FixedVectorIiLj1EEEEZZNS1_16scan_by_key_implILNS1_25lookback_scan_determinismE0ELb0ES3_N6thrust23THRUST_200600_302600_NS6detail15normal_iteratorINSB_10device_ptrIjEEEENSD_INSE_IS6_EEEESI_S6_NSB_4plusIvEENSB_8equal_toIvEES6_EE10hipError_tPvRmT2_T3_T4_T5_mT6_T7_P12ihipStream_tbENKUlT_T0_E_clISt17integral_constantIbLb0EES13_EEDaSY_SZ_EUlSY_E_NS1_11comp_targetILNS1_3genE5ELNS1_11target_archE942ELNS1_3gpuE9ELNS1_3repE0EEENS1_30default_config_static_selectorELNS0_4arch9wavefront6targetE1EEEvT1_, .Lfunc_end1871-_ZN7rocprim17ROCPRIM_400000_NS6detail17trampoline_kernelINS0_14default_configENS1_27scan_by_key_config_selectorIj11FixedVectorIiLj1EEEEZZNS1_16scan_by_key_implILNS1_25lookback_scan_determinismE0ELb0ES3_N6thrust23THRUST_200600_302600_NS6detail15normal_iteratorINSB_10device_ptrIjEEEENSD_INSE_IS6_EEEESI_S6_NSB_4plusIvEENSB_8equal_toIvEES6_EE10hipError_tPvRmT2_T3_T4_T5_mT6_T7_P12ihipStream_tbENKUlT_T0_E_clISt17integral_constantIbLb0EES13_EEDaSY_SZ_EUlSY_E_NS1_11comp_targetILNS1_3genE5ELNS1_11target_archE942ELNS1_3gpuE9ELNS1_3repE0EEENS1_30default_config_static_selectorELNS0_4arch9wavefront6targetE1EEEvT1_
                                        ; -- End function
	.section	.AMDGPU.csdata,"",@progbits
; Kernel info:
; codeLenInByte = 16904
; NumSgprs: 88
; NumVgprs: 81
; NumAgprs: 0
; TotalNumVgprs: 81
; ScratchSize: 0
; MemoryBound: 0
; FloatMode: 240
; IeeeMode: 1
; LDSByteSize: 25600 bytes/workgroup (compile time only)
; SGPRBlocks: 10
; VGPRBlocks: 10
; NumSGPRsForWavesPerEU: 88
; NumVGPRsForWavesPerEU: 81
; AccumOffset: 84
; Occupancy: 2
; WaveLimiterHint : 1
; COMPUTE_PGM_RSRC2:SCRATCH_EN: 0
; COMPUTE_PGM_RSRC2:USER_SGPR: 2
; COMPUTE_PGM_RSRC2:TRAP_HANDLER: 0
; COMPUTE_PGM_RSRC2:TGID_X_EN: 1
; COMPUTE_PGM_RSRC2:TGID_Y_EN: 0
; COMPUTE_PGM_RSRC2:TGID_Z_EN: 0
; COMPUTE_PGM_RSRC2:TIDIG_COMP_CNT: 0
; COMPUTE_PGM_RSRC3_GFX90A:ACCUM_OFFSET: 20
; COMPUTE_PGM_RSRC3_GFX90A:TG_SPLIT: 0
	.section	.text._ZN7rocprim17ROCPRIM_400000_NS6detail17trampoline_kernelINS0_14default_configENS1_27scan_by_key_config_selectorIj11FixedVectorIiLj1EEEEZZNS1_16scan_by_key_implILNS1_25lookback_scan_determinismE0ELb0ES3_N6thrust23THRUST_200600_302600_NS6detail15normal_iteratorINSB_10device_ptrIjEEEENSD_INSE_IS6_EEEESI_S6_NSB_4plusIvEENSB_8equal_toIvEES6_EE10hipError_tPvRmT2_T3_T4_T5_mT6_T7_P12ihipStream_tbENKUlT_T0_E_clISt17integral_constantIbLb0EES13_EEDaSY_SZ_EUlSY_E_NS1_11comp_targetILNS1_3genE4ELNS1_11target_archE910ELNS1_3gpuE8ELNS1_3repE0EEENS1_30default_config_static_selectorELNS0_4arch9wavefront6targetE1EEEvT1_,"axG",@progbits,_ZN7rocprim17ROCPRIM_400000_NS6detail17trampoline_kernelINS0_14default_configENS1_27scan_by_key_config_selectorIj11FixedVectorIiLj1EEEEZZNS1_16scan_by_key_implILNS1_25lookback_scan_determinismE0ELb0ES3_N6thrust23THRUST_200600_302600_NS6detail15normal_iteratorINSB_10device_ptrIjEEEENSD_INSE_IS6_EEEESI_S6_NSB_4plusIvEENSB_8equal_toIvEES6_EE10hipError_tPvRmT2_T3_T4_T5_mT6_T7_P12ihipStream_tbENKUlT_T0_E_clISt17integral_constantIbLb0EES13_EEDaSY_SZ_EUlSY_E_NS1_11comp_targetILNS1_3genE4ELNS1_11target_archE910ELNS1_3gpuE8ELNS1_3repE0EEENS1_30default_config_static_selectorELNS0_4arch9wavefront6targetE1EEEvT1_,comdat
	.protected	_ZN7rocprim17ROCPRIM_400000_NS6detail17trampoline_kernelINS0_14default_configENS1_27scan_by_key_config_selectorIj11FixedVectorIiLj1EEEEZZNS1_16scan_by_key_implILNS1_25lookback_scan_determinismE0ELb0ES3_N6thrust23THRUST_200600_302600_NS6detail15normal_iteratorINSB_10device_ptrIjEEEENSD_INSE_IS6_EEEESI_S6_NSB_4plusIvEENSB_8equal_toIvEES6_EE10hipError_tPvRmT2_T3_T4_T5_mT6_T7_P12ihipStream_tbENKUlT_T0_E_clISt17integral_constantIbLb0EES13_EEDaSY_SZ_EUlSY_E_NS1_11comp_targetILNS1_3genE4ELNS1_11target_archE910ELNS1_3gpuE8ELNS1_3repE0EEENS1_30default_config_static_selectorELNS0_4arch9wavefront6targetE1EEEvT1_ ; -- Begin function _ZN7rocprim17ROCPRIM_400000_NS6detail17trampoline_kernelINS0_14default_configENS1_27scan_by_key_config_selectorIj11FixedVectorIiLj1EEEEZZNS1_16scan_by_key_implILNS1_25lookback_scan_determinismE0ELb0ES3_N6thrust23THRUST_200600_302600_NS6detail15normal_iteratorINSB_10device_ptrIjEEEENSD_INSE_IS6_EEEESI_S6_NSB_4plusIvEENSB_8equal_toIvEES6_EE10hipError_tPvRmT2_T3_T4_T5_mT6_T7_P12ihipStream_tbENKUlT_T0_E_clISt17integral_constantIbLb0EES13_EEDaSY_SZ_EUlSY_E_NS1_11comp_targetILNS1_3genE4ELNS1_11target_archE910ELNS1_3gpuE8ELNS1_3repE0EEENS1_30default_config_static_selectorELNS0_4arch9wavefront6targetE1EEEvT1_
	.globl	_ZN7rocprim17ROCPRIM_400000_NS6detail17trampoline_kernelINS0_14default_configENS1_27scan_by_key_config_selectorIj11FixedVectorIiLj1EEEEZZNS1_16scan_by_key_implILNS1_25lookback_scan_determinismE0ELb0ES3_N6thrust23THRUST_200600_302600_NS6detail15normal_iteratorINSB_10device_ptrIjEEEENSD_INSE_IS6_EEEESI_S6_NSB_4plusIvEENSB_8equal_toIvEES6_EE10hipError_tPvRmT2_T3_T4_T5_mT6_T7_P12ihipStream_tbENKUlT_T0_E_clISt17integral_constantIbLb0EES13_EEDaSY_SZ_EUlSY_E_NS1_11comp_targetILNS1_3genE4ELNS1_11target_archE910ELNS1_3gpuE8ELNS1_3repE0EEENS1_30default_config_static_selectorELNS0_4arch9wavefront6targetE1EEEvT1_
	.p2align	8
	.type	_ZN7rocprim17ROCPRIM_400000_NS6detail17trampoline_kernelINS0_14default_configENS1_27scan_by_key_config_selectorIj11FixedVectorIiLj1EEEEZZNS1_16scan_by_key_implILNS1_25lookback_scan_determinismE0ELb0ES3_N6thrust23THRUST_200600_302600_NS6detail15normal_iteratorINSB_10device_ptrIjEEEENSD_INSE_IS6_EEEESI_S6_NSB_4plusIvEENSB_8equal_toIvEES6_EE10hipError_tPvRmT2_T3_T4_T5_mT6_T7_P12ihipStream_tbENKUlT_T0_E_clISt17integral_constantIbLb0EES13_EEDaSY_SZ_EUlSY_E_NS1_11comp_targetILNS1_3genE4ELNS1_11target_archE910ELNS1_3gpuE8ELNS1_3repE0EEENS1_30default_config_static_selectorELNS0_4arch9wavefront6targetE1EEEvT1_,@function
_ZN7rocprim17ROCPRIM_400000_NS6detail17trampoline_kernelINS0_14default_configENS1_27scan_by_key_config_selectorIj11FixedVectorIiLj1EEEEZZNS1_16scan_by_key_implILNS1_25lookback_scan_determinismE0ELb0ES3_N6thrust23THRUST_200600_302600_NS6detail15normal_iteratorINSB_10device_ptrIjEEEENSD_INSE_IS6_EEEESI_S6_NSB_4plusIvEENSB_8equal_toIvEES6_EE10hipError_tPvRmT2_T3_T4_T5_mT6_T7_P12ihipStream_tbENKUlT_T0_E_clISt17integral_constantIbLb0EES13_EEDaSY_SZ_EUlSY_E_NS1_11comp_targetILNS1_3genE4ELNS1_11target_archE910ELNS1_3gpuE8ELNS1_3repE0EEENS1_30default_config_static_selectorELNS0_4arch9wavefront6targetE1EEEvT1_: ; @_ZN7rocprim17ROCPRIM_400000_NS6detail17trampoline_kernelINS0_14default_configENS1_27scan_by_key_config_selectorIj11FixedVectorIiLj1EEEEZZNS1_16scan_by_key_implILNS1_25lookback_scan_determinismE0ELb0ES3_N6thrust23THRUST_200600_302600_NS6detail15normal_iteratorINSB_10device_ptrIjEEEENSD_INSE_IS6_EEEESI_S6_NSB_4plusIvEENSB_8equal_toIvEES6_EE10hipError_tPvRmT2_T3_T4_T5_mT6_T7_P12ihipStream_tbENKUlT_T0_E_clISt17integral_constantIbLb0EES13_EEDaSY_SZ_EUlSY_E_NS1_11comp_targetILNS1_3genE4ELNS1_11target_archE910ELNS1_3gpuE8ELNS1_3repE0EEENS1_30default_config_static_selectorELNS0_4arch9wavefront6targetE1EEEvT1_
; %bb.0:
	.section	.rodata,"a",@progbits
	.p2align	6, 0x0
	.amdhsa_kernel _ZN7rocprim17ROCPRIM_400000_NS6detail17trampoline_kernelINS0_14default_configENS1_27scan_by_key_config_selectorIj11FixedVectorIiLj1EEEEZZNS1_16scan_by_key_implILNS1_25lookback_scan_determinismE0ELb0ES3_N6thrust23THRUST_200600_302600_NS6detail15normal_iteratorINSB_10device_ptrIjEEEENSD_INSE_IS6_EEEESI_S6_NSB_4plusIvEENSB_8equal_toIvEES6_EE10hipError_tPvRmT2_T3_T4_T5_mT6_T7_P12ihipStream_tbENKUlT_T0_E_clISt17integral_constantIbLb0EES13_EEDaSY_SZ_EUlSY_E_NS1_11comp_targetILNS1_3genE4ELNS1_11target_archE910ELNS1_3gpuE8ELNS1_3repE0EEENS1_30default_config_static_selectorELNS0_4arch9wavefront6targetE1EEEvT1_
		.amdhsa_group_segment_fixed_size 0
		.amdhsa_private_segment_fixed_size 0
		.amdhsa_kernarg_size 112
		.amdhsa_user_sgpr_count 2
		.amdhsa_user_sgpr_dispatch_ptr 0
		.amdhsa_user_sgpr_queue_ptr 0
		.amdhsa_user_sgpr_kernarg_segment_ptr 1
		.amdhsa_user_sgpr_dispatch_id 0
		.amdhsa_user_sgpr_kernarg_preload_length 0
		.amdhsa_user_sgpr_kernarg_preload_offset 0
		.amdhsa_user_sgpr_private_segment_size 0
		.amdhsa_uses_dynamic_stack 0
		.amdhsa_enable_private_segment 0
		.amdhsa_system_sgpr_workgroup_id_x 1
		.amdhsa_system_sgpr_workgroup_id_y 0
		.amdhsa_system_sgpr_workgroup_id_z 0
		.amdhsa_system_sgpr_workgroup_info 0
		.amdhsa_system_vgpr_workitem_id 0
		.amdhsa_next_free_vgpr 1
		.amdhsa_next_free_sgpr 0
		.amdhsa_accum_offset 4
		.amdhsa_reserve_vcc 0
		.amdhsa_float_round_mode_32 0
		.amdhsa_float_round_mode_16_64 0
		.amdhsa_float_denorm_mode_32 3
		.amdhsa_float_denorm_mode_16_64 3
		.amdhsa_dx10_clamp 1
		.amdhsa_ieee_mode 1
		.amdhsa_fp16_overflow 0
		.amdhsa_tg_split 0
		.amdhsa_exception_fp_ieee_invalid_op 0
		.amdhsa_exception_fp_denorm_src 0
		.amdhsa_exception_fp_ieee_div_zero 0
		.amdhsa_exception_fp_ieee_overflow 0
		.amdhsa_exception_fp_ieee_underflow 0
		.amdhsa_exception_fp_ieee_inexact 0
		.amdhsa_exception_int_div_zero 0
	.end_amdhsa_kernel
	.section	.text._ZN7rocprim17ROCPRIM_400000_NS6detail17trampoline_kernelINS0_14default_configENS1_27scan_by_key_config_selectorIj11FixedVectorIiLj1EEEEZZNS1_16scan_by_key_implILNS1_25lookback_scan_determinismE0ELb0ES3_N6thrust23THRUST_200600_302600_NS6detail15normal_iteratorINSB_10device_ptrIjEEEENSD_INSE_IS6_EEEESI_S6_NSB_4plusIvEENSB_8equal_toIvEES6_EE10hipError_tPvRmT2_T3_T4_T5_mT6_T7_P12ihipStream_tbENKUlT_T0_E_clISt17integral_constantIbLb0EES13_EEDaSY_SZ_EUlSY_E_NS1_11comp_targetILNS1_3genE4ELNS1_11target_archE910ELNS1_3gpuE8ELNS1_3repE0EEENS1_30default_config_static_selectorELNS0_4arch9wavefront6targetE1EEEvT1_,"axG",@progbits,_ZN7rocprim17ROCPRIM_400000_NS6detail17trampoline_kernelINS0_14default_configENS1_27scan_by_key_config_selectorIj11FixedVectorIiLj1EEEEZZNS1_16scan_by_key_implILNS1_25lookback_scan_determinismE0ELb0ES3_N6thrust23THRUST_200600_302600_NS6detail15normal_iteratorINSB_10device_ptrIjEEEENSD_INSE_IS6_EEEESI_S6_NSB_4plusIvEENSB_8equal_toIvEES6_EE10hipError_tPvRmT2_T3_T4_T5_mT6_T7_P12ihipStream_tbENKUlT_T0_E_clISt17integral_constantIbLb0EES13_EEDaSY_SZ_EUlSY_E_NS1_11comp_targetILNS1_3genE4ELNS1_11target_archE910ELNS1_3gpuE8ELNS1_3repE0EEENS1_30default_config_static_selectorELNS0_4arch9wavefront6targetE1EEEvT1_,comdat
.Lfunc_end1872:
	.size	_ZN7rocprim17ROCPRIM_400000_NS6detail17trampoline_kernelINS0_14default_configENS1_27scan_by_key_config_selectorIj11FixedVectorIiLj1EEEEZZNS1_16scan_by_key_implILNS1_25lookback_scan_determinismE0ELb0ES3_N6thrust23THRUST_200600_302600_NS6detail15normal_iteratorINSB_10device_ptrIjEEEENSD_INSE_IS6_EEEESI_S6_NSB_4plusIvEENSB_8equal_toIvEES6_EE10hipError_tPvRmT2_T3_T4_T5_mT6_T7_P12ihipStream_tbENKUlT_T0_E_clISt17integral_constantIbLb0EES13_EEDaSY_SZ_EUlSY_E_NS1_11comp_targetILNS1_3genE4ELNS1_11target_archE910ELNS1_3gpuE8ELNS1_3repE0EEENS1_30default_config_static_selectorELNS0_4arch9wavefront6targetE1EEEvT1_, .Lfunc_end1872-_ZN7rocprim17ROCPRIM_400000_NS6detail17trampoline_kernelINS0_14default_configENS1_27scan_by_key_config_selectorIj11FixedVectorIiLj1EEEEZZNS1_16scan_by_key_implILNS1_25lookback_scan_determinismE0ELb0ES3_N6thrust23THRUST_200600_302600_NS6detail15normal_iteratorINSB_10device_ptrIjEEEENSD_INSE_IS6_EEEESI_S6_NSB_4plusIvEENSB_8equal_toIvEES6_EE10hipError_tPvRmT2_T3_T4_T5_mT6_T7_P12ihipStream_tbENKUlT_T0_E_clISt17integral_constantIbLb0EES13_EEDaSY_SZ_EUlSY_E_NS1_11comp_targetILNS1_3genE4ELNS1_11target_archE910ELNS1_3gpuE8ELNS1_3repE0EEENS1_30default_config_static_selectorELNS0_4arch9wavefront6targetE1EEEvT1_
                                        ; -- End function
	.section	.AMDGPU.csdata,"",@progbits
; Kernel info:
; codeLenInByte = 0
; NumSgprs: 6
; NumVgprs: 0
; NumAgprs: 0
; TotalNumVgprs: 0
; ScratchSize: 0
; MemoryBound: 0
; FloatMode: 240
; IeeeMode: 1
; LDSByteSize: 0 bytes/workgroup (compile time only)
; SGPRBlocks: 0
; VGPRBlocks: 0
; NumSGPRsForWavesPerEU: 6
; NumVGPRsForWavesPerEU: 1
; AccumOffset: 4
; Occupancy: 8
; WaveLimiterHint : 0
; COMPUTE_PGM_RSRC2:SCRATCH_EN: 0
; COMPUTE_PGM_RSRC2:USER_SGPR: 2
; COMPUTE_PGM_RSRC2:TRAP_HANDLER: 0
; COMPUTE_PGM_RSRC2:TGID_X_EN: 1
; COMPUTE_PGM_RSRC2:TGID_Y_EN: 0
; COMPUTE_PGM_RSRC2:TGID_Z_EN: 0
; COMPUTE_PGM_RSRC2:TIDIG_COMP_CNT: 0
; COMPUTE_PGM_RSRC3_GFX90A:ACCUM_OFFSET: 0
; COMPUTE_PGM_RSRC3_GFX90A:TG_SPLIT: 0
	.section	.text._ZN7rocprim17ROCPRIM_400000_NS6detail17trampoline_kernelINS0_14default_configENS1_27scan_by_key_config_selectorIj11FixedVectorIiLj1EEEEZZNS1_16scan_by_key_implILNS1_25lookback_scan_determinismE0ELb0ES3_N6thrust23THRUST_200600_302600_NS6detail15normal_iteratorINSB_10device_ptrIjEEEENSD_INSE_IS6_EEEESI_S6_NSB_4plusIvEENSB_8equal_toIvEES6_EE10hipError_tPvRmT2_T3_T4_T5_mT6_T7_P12ihipStream_tbENKUlT_T0_E_clISt17integral_constantIbLb0EES13_EEDaSY_SZ_EUlSY_E_NS1_11comp_targetILNS1_3genE3ELNS1_11target_archE908ELNS1_3gpuE7ELNS1_3repE0EEENS1_30default_config_static_selectorELNS0_4arch9wavefront6targetE1EEEvT1_,"axG",@progbits,_ZN7rocprim17ROCPRIM_400000_NS6detail17trampoline_kernelINS0_14default_configENS1_27scan_by_key_config_selectorIj11FixedVectorIiLj1EEEEZZNS1_16scan_by_key_implILNS1_25lookback_scan_determinismE0ELb0ES3_N6thrust23THRUST_200600_302600_NS6detail15normal_iteratorINSB_10device_ptrIjEEEENSD_INSE_IS6_EEEESI_S6_NSB_4plusIvEENSB_8equal_toIvEES6_EE10hipError_tPvRmT2_T3_T4_T5_mT6_T7_P12ihipStream_tbENKUlT_T0_E_clISt17integral_constantIbLb0EES13_EEDaSY_SZ_EUlSY_E_NS1_11comp_targetILNS1_3genE3ELNS1_11target_archE908ELNS1_3gpuE7ELNS1_3repE0EEENS1_30default_config_static_selectorELNS0_4arch9wavefront6targetE1EEEvT1_,comdat
	.protected	_ZN7rocprim17ROCPRIM_400000_NS6detail17trampoline_kernelINS0_14default_configENS1_27scan_by_key_config_selectorIj11FixedVectorIiLj1EEEEZZNS1_16scan_by_key_implILNS1_25lookback_scan_determinismE0ELb0ES3_N6thrust23THRUST_200600_302600_NS6detail15normal_iteratorINSB_10device_ptrIjEEEENSD_INSE_IS6_EEEESI_S6_NSB_4plusIvEENSB_8equal_toIvEES6_EE10hipError_tPvRmT2_T3_T4_T5_mT6_T7_P12ihipStream_tbENKUlT_T0_E_clISt17integral_constantIbLb0EES13_EEDaSY_SZ_EUlSY_E_NS1_11comp_targetILNS1_3genE3ELNS1_11target_archE908ELNS1_3gpuE7ELNS1_3repE0EEENS1_30default_config_static_selectorELNS0_4arch9wavefront6targetE1EEEvT1_ ; -- Begin function _ZN7rocprim17ROCPRIM_400000_NS6detail17trampoline_kernelINS0_14default_configENS1_27scan_by_key_config_selectorIj11FixedVectorIiLj1EEEEZZNS1_16scan_by_key_implILNS1_25lookback_scan_determinismE0ELb0ES3_N6thrust23THRUST_200600_302600_NS6detail15normal_iteratorINSB_10device_ptrIjEEEENSD_INSE_IS6_EEEESI_S6_NSB_4plusIvEENSB_8equal_toIvEES6_EE10hipError_tPvRmT2_T3_T4_T5_mT6_T7_P12ihipStream_tbENKUlT_T0_E_clISt17integral_constantIbLb0EES13_EEDaSY_SZ_EUlSY_E_NS1_11comp_targetILNS1_3genE3ELNS1_11target_archE908ELNS1_3gpuE7ELNS1_3repE0EEENS1_30default_config_static_selectorELNS0_4arch9wavefront6targetE1EEEvT1_
	.globl	_ZN7rocprim17ROCPRIM_400000_NS6detail17trampoline_kernelINS0_14default_configENS1_27scan_by_key_config_selectorIj11FixedVectorIiLj1EEEEZZNS1_16scan_by_key_implILNS1_25lookback_scan_determinismE0ELb0ES3_N6thrust23THRUST_200600_302600_NS6detail15normal_iteratorINSB_10device_ptrIjEEEENSD_INSE_IS6_EEEESI_S6_NSB_4plusIvEENSB_8equal_toIvEES6_EE10hipError_tPvRmT2_T3_T4_T5_mT6_T7_P12ihipStream_tbENKUlT_T0_E_clISt17integral_constantIbLb0EES13_EEDaSY_SZ_EUlSY_E_NS1_11comp_targetILNS1_3genE3ELNS1_11target_archE908ELNS1_3gpuE7ELNS1_3repE0EEENS1_30default_config_static_selectorELNS0_4arch9wavefront6targetE1EEEvT1_
	.p2align	8
	.type	_ZN7rocprim17ROCPRIM_400000_NS6detail17trampoline_kernelINS0_14default_configENS1_27scan_by_key_config_selectorIj11FixedVectorIiLj1EEEEZZNS1_16scan_by_key_implILNS1_25lookback_scan_determinismE0ELb0ES3_N6thrust23THRUST_200600_302600_NS6detail15normal_iteratorINSB_10device_ptrIjEEEENSD_INSE_IS6_EEEESI_S6_NSB_4plusIvEENSB_8equal_toIvEES6_EE10hipError_tPvRmT2_T3_T4_T5_mT6_T7_P12ihipStream_tbENKUlT_T0_E_clISt17integral_constantIbLb0EES13_EEDaSY_SZ_EUlSY_E_NS1_11comp_targetILNS1_3genE3ELNS1_11target_archE908ELNS1_3gpuE7ELNS1_3repE0EEENS1_30default_config_static_selectorELNS0_4arch9wavefront6targetE1EEEvT1_,@function
_ZN7rocprim17ROCPRIM_400000_NS6detail17trampoline_kernelINS0_14default_configENS1_27scan_by_key_config_selectorIj11FixedVectorIiLj1EEEEZZNS1_16scan_by_key_implILNS1_25lookback_scan_determinismE0ELb0ES3_N6thrust23THRUST_200600_302600_NS6detail15normal_iteratorINSB_10device_ptrIjEEEENSD_INSE_IS6_EEEESI_S6_NSB_4plusIvEENSB_8equal_toIvEES6_EE10hipError_tPvRmT2_T3_T4_T5_mT6_T7_P12ihipStream_tbENKUlT_T0_E_clISt17integral_constantIbLb0EES13_EEDaSY_SZ_EUlSY_E_NS1_11comp_targetILNS1_3genE3ELNS1_11target_archE908ELNS1_3gpuE7ELNS1_3repE0EEENS1_30default_config_static_selectorELNS0_4arch9wavefront6targetE1EEEvT1_: ; @_ZN7rocprim17ROCPRIM_400000_NS6detail17trampoline_kernelINS0_14default_configENS1_27scan_by_key_config_selectorIj11FixedVectorIiLj1EEEEZZNS1_16scan_by_key_implILNS1_25lookback_scan_determinismE0ELb0ES3_N6thrust23THRUST_200600_302600_NS6detail15normal_iteratorINSB_10device_ptrIjEEEENSD_INSE_IS6_EEEESI_S6_NSB_4plusIvEENSB_8equal_toIvEES6_EE10hipError_tPvRmT2_T3_T4_T5_mT6_T7_P12ihipStream_tbENKUlT_T0_E_clISt17integral_constantIbLb0EES13_EEDaSY_SZ_EUlSY_E_NS1_11comp_targetILNS1_3genE3ELNS1_11target_archE908ELNS1_3gpuE7ELNS1_3repE0EEENS1_30default_config_static_selectorELNS0_4arch9wavefront6targetE1EEEvT1_
; %bb.0:
	.section	.rodata,"a",@progbits
	.p2align	6, 0x0
	.amdhsa_kernel _ZN7rocprim17ROCPRIM_400000_NS6detail17trampoline_kernelINS0_14default_configENS1_27scan_by_key_config_selectorIj11FixedVectorIiLj1EEEEZZNS1_16scan_by_key_implILNS1_25lookback_scan_determinismE0ELb0ES3_N6thrust23THRUST_200600_302600_NS6detail15normal_iteratorINSB_10device_ptrIjEEEENSD_INSE_IS6_EEEESI_S6_NSB_4plusIvEENSB_8equal_toIvEES6_EE10hipError_tPvRmT2_T3_T4_T5_mT6_T7_P12ihipStream_tbENKUlT_T0_E_clISt17integral_constantIbLb0EES13_EEDaSY_SZ_EUlSY_E_NS1_11comp_targetILNS1_3genE3ELNS1_11target_archE908ELNS1_3gpuE7ELNS1_3repE0EEENS1_30default_config_static_selectorELNS0_4arch9wavefront6targetE1EEEvT1_
		.amdhsa_group_segment_fixed_size 0
		.amdhsa_private_segment_fixed_size 0
		.amdhsa_kernarg_size 112
		.amdhsa_user_sgpr_count 2
		.amdhsa_user_sgpr_dispatch_ptr 0
		.amdhsa_user_sgpr_queue_ptr 0
		.amdhsa_user_sgpr_kernarg_segment_ptr 1
		.amdhsa_user_sgpr_dispatch_id 0
		.amdhsa_user_sgpr_kernarg_preload_length 0
		.amdhsa_user_sgpr_kernarg_preload_offset 0
		.amdhsa_user_sgpr_private_segment_size 0
		.amdhsa_uses_dynamic_stack 0
		.amdhsa_enable_private_segment 0
		.amdhsa_system_sgpr_workgroup_id_x 1
		.amdhsa_system_sgpr_workgroup_id_y 0
		.amdhsa_system_sgpr_workgroup_id_z 0
		.amdhsa_system_sgpr_workgroup_info 0
		.amdhsa_system_vgpr_workitem_id 0
		.amdhsa_next_free_vgpr 1
		.amdhsa_next_free_sgpr 0
		.amdhsa_accum_offset 4
		.amdhsa_reserve_vcc 0
		.amdhsa_float_round_mode_32 0
		.amdhsa_float_round_mode_16_64 0
		.amdhsa_float_denorm_mode_32 3
		.amdhsa_float_denorm_mode_16_64 3
		.amdhsa_dx10_clamp 1
		.amdhsa_ieee_mode 1
		.amdhsa_fp16_overflow 0
		.amdhsa_tg_split 0
		.amdhsa_exception_fp_ieee_invalid_op 0
		.amdhsa_exception_fp_denorm_src 0
		.amdhsa_exception_fp_ieee_div_zero 0
		.amdhsa_exception_fp_ieee_overflow 0
		.amdhsa_exception_fp_ieee_underflow 0
		.amdhsa_exception_fp_ieee_inexact 0
		.amdhsa_exception_int_div_zero 0
	.end_amdhsa_kernel
	.section	.text._ZN7rocprim17ROCPRIM_400000_NS6detail17trampoline_kernelINS0_14default_configENS1_27scan_by_key_config_selectorIj11FixedVectorIiLj1EEEEZZNS1_16scan_by_key_implILNS1_25lookback_scan_determinismE0ELb0ES3_N6thrust23THRUST_200600_302600_NS6detail15normal_iteratorINSB_10device_ptrIjEEEENSD_INSE_IS6_EEEESI_S6_NSB_4plusIvEENSB_8equal_toIvEES6_EE10hipError_tPvRmT2_T3_T4_T5_mT6_T7_P12ihipStream_tbENKUlT_T0_E_clISt17integral_constantIbLb0EES13_EEDaSY_SZ_EUlSY_E_NS1_11comp_targetILNS1_3genE3ELNS1_11target_archE908ELNS1_3gpuE7ELNS1_3repE0EEENS1_30default_config_static_selectorELNS0_4arch9wavefront6targetE1EEEvT1_,"axG",@progbits,_ZN7rocprim17ROCPRIM_400000_NS6detail17trampoline_kernelINS0_14default_configENS1_27scan_by_key_config_selectorIj11FixedVectorIiLj1EEEEZZNS1_16scan_by_key_implILNS1_25lookback_scan_determinismE0ELb0ES3_N6thrust23THRUST_200600_302600_NS6detail15normal_iteratorINSB_10device_ptrIjEEEENSD_INSE_IS6_EEEESI_S6_NSB_4plusIvEENSB_8equal_toIvEES6_EE10hipError_tPvRmT2_T3_T4_T5_mT6_T7_P12ihipStream_tbENKUlT_T0_E_clISt17integral_constantIbLb0EES13_EEDaSY_SZ_EUlSY_E_NS1_11comp_targetILNS1_3genE3ELNS1_11target_archE908ELNS1_3gpuE7ELNS1_3repE0EEENS1_30default_config_static_selectorELNS0_4arch9wavefront6targetE1EEEvT1_,comdat
.Lfunc_end1873:
	.size	_ZN7rocprim17ROCPRIM_400000_NS6detail17trampoline_kernelINS0_14default_configENS1_27scan_by_key_config_selectorIj11FixedVectorIiLj1EEEEZZNS1_16scan_by_key_implILNS1_25lookback_scan_determinismE0ELb0ES3_N6thrust23THRUST_200600_302600_NS6detail15normal_iteratorINSB_10device_ptrIjEEEENSD_INSE_IS6_EEEESI_S6_NSB_4plusIvEENSB_8equal_toIvEES6_EE10hipError_tPvRmT2_T3_T4_T5_mT6_T7_P12ihipStream_tbENKUlT_T0_E_clISt17integral_constantIbLb0EES13_EEDaSY_SZ_EUlSY_E_NS1_11comp_targetILNS1_3genE3ELNS1_11target_archE908ELNS1_3gpuE7ELNS1_3repE0EEENS1_30default_config_static_selectorELNS0_4arch9wavefront6targetE1EEEvT1_, .Lfunc_end1873-_ZN7rocprim17ROCPRIM_400000_NS6detail17trampoline_kernelINS0_14default_configENS1_27scan_by_key_config_selectorIj11FixedVectorIiLj1EEEEZZNS1_16scan_by_key_implILNS1_25lookback_scan_determinismE0ELb0ES3_N6thrust23THRUST_200600_302600_NS6detail15normal_iteratorINSB_10device_ptrIjEEEENSD_INSE_IS6_EEEESI_S6_NSB_4plusIvEENSB_8equal_toIvEES6_EE10hipError_tPvRmT2_T3_T4_T5_mT6_T7_P12ihipStream_tbENKUlT_T0_E_clISt17integral_constantIbLb0EES13_EEDaSY_SZ_EUlSY_E_NS1_11comp_targetILNS1_3genE3ELNS1_11target_archE908ELNS1_3gpuE7ELNS1_3repE0EEENS1_30default_config_static_selectorELNS0_4arch9wavefront6targetE1EEEvT1_
                                        ; -- End function
	.section	.AMDGPU.csdata,"",@progbits
; Kernel info:
; codeLenInByte = 0
; NumSgprs: 6
; NumVgprs: 0
; NumAgprs: 0
; TotalNumVgprs: 0
; ScratchSize: 0
; MemoryBound: 0
; FloatMode: 240
; IeeeMode: 1
; LDSByteSize: 0 bytes/workgroup (compile time only)
; SGPRBlocks: 0
; VGPRBlocks: 0
; NumSGPRsForWavesPerEU: 6
; NumVGPRsForWavesPerEU: 1
; AccumOffset: 4
; Occupancy: 8
; WaveLimiterHint : 0
; COMPUTE_PGM_RSRC2:SCRATCH_EN: 0
; COMPUTE_PGM_RSRC2:USER_SGPR: 2
; COMPUTE_PGM_RSRC2:TRAP_HANDLER: 0
; COMPUTE_PGM_RSRC2:TGID_X_EN: 1
; COMPUTE_PGM_RSRC2:TGID_Y_EN: 0
; COMPUTE_PGM_RSRC2:TGID_Z_EN: 0
; COMPUTE_PGM_RSRC2:TIDIG_COMP_CNT: 0
; COMPUTE_PGM_RSRC3_GFX90A:ACCUM_OFFSET: 0
; COMPUTE_PGM_RSRC3_GFX90A:TG_SPLIT: 0
	.section	.text._ZN7rocprim17ROCPRIM_400000_NS6detail17trampoline_kernelINS0_14default_configENS1_27scan_by_key_config_selectorIj11FixedVectorIiLj1EEEEZZNS1_16scan_by_key_implILNS1_25lookback_scan_determinismE0ELb0ES3_N6thrust23THRUST_200600_302600_NS6detail15normal_iteratorINSB_10device_ptrIjEEEENSD_INSE_IS6_EEEESI_S6_NSB_4plusIvEENSB_8equal_toIvEES6_EE10hipError_tPvRmT2_T3_T4_T5_mT6_T7_P12ihipStream_tbENKUlT_T0_E_clISt17integral_constantIbLb0EES13_EEDaSY_SZ_EUlSY_E_NS1_11comp_targetILNS1_3genE2ELNS1_11target_archE906ELNS1_3gpuE6ELNS1_3repE0EEENS1_30default_config_static_selectorELNS0_4arch9wavefront6targetE1EEEvT1_,"axG",@progbits,_ZN7rocprim17ROCPRIM_400000_NS6detail17trampoline_kernelINS0_14default_configENS1_27scan_by_key_config_selectorIj11FixedVectorIiLj1EEEEZZNS1_16scan_by_key_implILNS1_25lookback_scan_determinismE0ELb0ES3_N6thrust23THRUST_200600_302600_NS6detail15normal_iteratorINSB_10device_ptrIjEEEENSD_INSE_IS6_EEEESI_S6_NSB_4plusIvEENSB_8equal_toIvEES6_EE10hipError_tPvRmT2_T3_T4_T5_mT6_T7_P12ihipStream_tbENKUlT_T0_E_clISt17integral_constantIbLb0EES13_EEDaSY_SZ_EUlSY_E_NS1_11comp_targetILNS1_3genE2ELNS1_11target_archE906ELNS1_3gpuE6ELNS1_3repE0EEENS1_30default_config_static_selectorELNS0_4arch9wavefront6targetE1EEEvT1_,comdat
	.protected	_ZN7rocprim17ROCPRIM_400000_NS6detail17trampoline_kernelINS0_14default_configENS1_27scan_by_key_config_selectorIj11FixedVectorIiLj1EEEEZZNS1_16scan_by_key_implILNS1_25lookback_scan_determinismE0ELb0ES3_N6thrust23THRUST_200600_302600_NS6detail15normal_iteratorINSB_10device_ptrIjEEEENSD_INSE_IS6_EEEESI_S6_NSB_4plusIvEENSB_8equal_toIvEES6_EE10hipError_tPvRmT2_T3_T4_T5_mT6_T7_P12ihipStream_tbENKUlT_T0_E_clISt17integral_constantIbLb0EES13_EEDaSY_SZ_EUlSY_E_NS1_11comp_targetILNS1_3genE2ELNS1_11target_archE906ELNS1_3gpuE6ELNS1_3repE0EEENS1_30default_config_static_selectorELNS0_4arch9wavefront6targetE1EEEvT1_ ; -- Begin function _ZN7rocprim17ROCPRIM_400000_NS6detail17trampoline_kernelINS0_14default_configENS1_27scan_by_key_config_selectorIj11FixedVectorIiLj1EEEEZZNS1_16scan_by_key_implILNS1_25lookback_scan_determinismE0ELb0ES3_N6thrust23THRUST_200600_302600_NS6detail15normal_iteratorINSB_10device_ptrIjEEEENSD_INSE_IS6_EEEESI_S6_NSB_4plusIvEENSB_8equal_toIvEES6_EE10hipError_tPvRmT2_T3_T4_T5_mT6_T7_P12ihipStream_tbENKUlT_T0_E_clISt17integral_constantIbLb0EES13_EEDaSY_SZ_EUlSY_E_NS1_11comp_targetILNS1_3genE2ELNS1_11target_archE906ELNS1_3gpuE6ELNS1_3repE0EEENS1_30default_config_static_selectorELNS0_4arch9wavefront6targetE1EEEvT1_
	.globl	_ZN7rocprim17ROCPRIM_400000_NS6detail17trampoline_kernelINS0_14default_configENS1_27scan_by_key_config_selectorIj11FixedVectorIiLj1EEEEZZNS1_16scan_by_key_implILNS1_25lookback_scan_determinismE0ELb0ES3_N6thrust23THRUST_200600_302600_NS6detail15normal_iteratorINSB_10device_ptrIjEEEENSD_INSE_IS6_EEEESI_S6_NSB_4plusIvEENSB_8equal_toIvEES6_EE10hipError_tPvRmT2_T3_T4_T5_mT6_T7_P12ihipStream_tbENKUlT_T0_E_clISt17integral_constantIbLb0EES13_EEDaSY_SZ_EUlSY_E_NS1_11comp_targetILNS1_3genE2ELNS1_11target_archE906ELNS1_3gpuE6ELNS1_3repE0EEENS1_30default_config_static_selectorELNS0_4arch9wavefront6targetE1EEEvT1_
	.p2align	8
	.type	_ZN7rocprim17ROCPRIM_400000_NS6detail17trampoline_kernelINS0_14default_configENS1_27scan_by_key_config_selectorIj11FixedVectorIiLj1EEEEZZNS1_16scan_by_key_implILNS1_25lookback_scan_determinismE0ELb0ES3_N6thrust23THRUST_200600_302600_NS6detail15normal_iteratorINSB_10device_ptrIjEEEENSD_INSE_IS6_EEEESI_S6_NSB_4plusIvEENSB_8equal_toIvEES6_EE10hipError_tPvRmT2_T3_T4_T5_mT6_T7_P12ihipStream_tbENKUlT_T0_E_clISt17integral_constantIbLb0EES13_EEDaSY_SZ_EUlSY_E_NS1_11comp_targetILNS1_3genE2ELNS1_11target_archE906ELNS1_3gpuE6ELNS1_3repE0EEENS1_30default_config_static_selectorELNS0_4arch9wavefront6targetE1EEEvT1_,@function
_ZN7rocprim17ROCPRIM_400000_NS6detail17trampoline_kernelINS0_14default_configENS1_27scan_by_key_config_selectorIj11FixedVectorIiLj1EEEEZZNS1_16scan_by_key_implILNS1_25lookback_scan_determinismE0ELb0ES3_N6thrust23THRUST_200600_302600_NS6detail15normal_iteratorINSB_10device_ptrIjEEEENSD_INSE_IS6_EEEESI_S6_NSB_4plusIvEENSB_8equal_toIvEES6_EE10hipError_tPvRmT2_T3_T4_T5_mT6_T7_P12ihipStream_tbENKUlT_T0_E_clISt17integral_constantIbLb0EES13_EEDaSY_SZ_EUlSY_E_NS1_11comp_targetILNS1_3genE2ELNS1_11target_archE906ELNS1_3gpuE6ELNS1_3repE0EEENS1_30default_config_static_selectorELNS0_4arch9wavefront6targetE1EEEvT1_: ; @_ZN7rocprim17ROCPRIM_400000_NS6detail17trampoline_kernelINS0_14default_configENS1_27scan_by_key_config_selectorIj11FixedVectorIiLj1EEEEZZNS1_16scan_by_key_implILNS1_25lookback_scan_determinismE0ELb0ES3_N6thrust23THRUST_200600_302600_NS6detail15normal_iteratorINSB_10device_ptrIjEEEENSD_INSE_IS6_EEEESI_S6_NSB_4plusIvEENSB_8equal_toIvEES6_EE10hipError_tPvRmT2_T3_T4_T5_mT6_T7_P12ihipStream_tbENKUlT_T0_E_clISt17integral_constantIbLb0EES13_EEDaSY_SZ_EUlSY_E_NS1_11comp_targetILNS1_3genE2ELNS1_11target_archE906ELNS1_3gpuE6ELNS1_3repE0EEENS1_30default_config_static_selectorELNS0_4arch9wavefront6targetE1EEEvT1_
; %bb.0:
	.section	.rodata,"a",@progbits
	.p2align	6, 0x0
	.amdhsa_kernel _ZN7rocprim17ROCPRIM_400000_NS6detail17trampoline_kernelINS0_14default_configENS1_27scan_by_key_config_selectorIj11FixedVectorIiLj1EEEEZZNS1_16scan_by_key_implILNS1_25lookback_scan_determinismE0ELb0ES3_N6thrust23THRUST_200600_302600_NS6detail15normal_iteratorINSB_10device_ptrIjEEEENSD_INSE_IS6_EEEESI_S6_NSB_4plusIvEENSB_8equal_toIvEES6_EE10hipError_tPvRmT2_T3_T4_T5_mT6_T7_P12ihipStream_tbENKUlT_T0_E_clISt17integral_constantIbLb0EES13_EEDaSY_SZ_EUlSY_E_NS1_11comp_targetILNS1_3genE2ELNS1_11target_archE906ELNS1_3gpuE6ELNS1_3repE0EEENS1_30default_config_static_selectorELNS0_4arch9wavefront6targetE1EEEvT1_
		.amdhsa_group_segment_fixed_size 0
		.amdhsa_private_segment_fixed_size 0
		.amdhsa_kernarg_size 112
		.amdhsa_user_sgpr_count 2
		.amdhsa_user_sgpr_dispatch_ptr 0
		.amdhsa_user_sgpr_queue_ptr 0
		.amdhsa_user_sgpr_kernarg_segment_ptr 1
		.amdhsa_user_sgpr_dispatch_id 0
		.amdhsa_user_sgpr_kernarg_preload_length 0
		.amdhsa_user_sgpr_kernarg_preload_offset 0
		.amdhsa_user_sgpr_private_segment_size 0
		.amdhsa_uses_dynamic_stack 0
		.amdhsa_enable_private_segment 0
		.amdhsa_system_sgpr_workgroup_id_x 1
		.amdhsa_system_sgpr_workgroup_id_y 0
		.amdhsa_system_sgpr_workgroup_id_z 0
		.amdhsa_system_sgpr_workgroup_info 0
		.amdhsa_system_vgpr_workitem_id 0
		.amdhsa_next_free_vgpr 1
		.amdhsa_next_free_sgpr 0
		.amdhsa_accum_offset 4
		.amdhsa_reserve_vcc 0
		.amdhsa_float_round_mode_32 0
		.amdhsa_float_round_mode_16_64 0
		.amdhsa_float_denorm_mode_32 3
		.amdhsa_float_denorm_mode_16_64 3
		.amdhsa_dx10_clamp 1
		.amdhsa_ieee_mode 1
		.amdhsa_fp16_overflow 0
		.amdhsa_tg_split 0
		.amdhsa_exception_fp_ieee_invalid_op 0
		.amdhsa_exception_fp_denorm_src 0
		.amdhsa_exception_fp_ieee_div_zero 0
		.amdhsa_exception_fp_ieee_overflow 0
		.amdhsa_exception_fp_ieee_underflow 0
		.amdhsa_exception_fp_ieee_inexact 0
		.amdhsa_exception_int_div_zero 0
	.end_amdhsa_kernel
	.section	.text._ZN7rocprim17ROCPRIM_400000_NS6detail17trampoline_kernelINS0_14default_configENS1_27scan_by_key_config_selectorIj11FixedVectorIiLj1EEEEZZNS1_16scan_by_key_implILNS1_25lookback_scan_determinismE0ELb0ES3_N6thrust23THRUST_200600_302600_NS6detail15normal_iteratorINSB_10device_ptrIjEEEENSD_INSE_IS6_EEEESI_S6_NSB_4plusIvEENSB_8equal_toIvEES6_EE10hipError_tPvRmT2_T3_T4_T5_mT6_T7_P12ihipStream_tbENKUlT_T0_E_clISt17integral_constantIbLb0EES13_EEDaSY_SZ_EUlSY_E_NS1_11comp_targetILNS1_3genE2ELNS1_11target_archE906ELNS1_3gpuE6ELNS1_3repE0EEENS1_30default_config_static_selectorELNS0_4arch9wavefront6targetE1EEEvT1_,"axG",@progbits,_ZN7rocprim17ROCPRIM_400000_NS6detail17trampoline_kernelINS0_14default_configENS1_27scan_by_key_config_selectorIj11FixedVectorIiLj1EEEEZZNS1_16scan_by_key_implILNS1_25lookback_scan_determinismE0ELb0ES3_N6thrust23THRUST_200600_302600_NS6detail15normal_iteratorINSB_10device_ptrIjEEEENSD_INSE_IS6_EEEESI_S6_NSB_4plusIvEENSB_8equal_toIvEES6_EE10hipError_tPvRmT2_T3_T4_T5_mT6_T7_P12ihipStream_tbENKUlT_T0_E_clISt17integral_constantIbLb0EES13_EEDaSY_SZ_EUlSY_E_NS1_11comp_targetILNS1_3genE2ELNS1_11target_archE906ELNS1_3gpuE6ELNS1_3repE0EEENS1_30default_config_static_selectorELNS0_4arch9wavefront6targetE1EEEvT1_,comdat
.Lfunc_end1874:
	.size	_ZN7rocprim17ROCPRIM_400000_NS6detail17trampoline_kernelINS0_14default_configENS1_27scan_by_key_config_selectorIj11FixedVectorIiLj1EEEEZZNS1_16scan_by_key_implILNS1_25lookback_scan_determinismE0ELb0ES3_N6thrust23THRUST_200600_302600_NS6detail15normal_iteratorINSB_10device_ptrIjEEEENSD_INSE_IS6_EEEESI_S6_NSB_4plusIvEENSB_8equal_toIvEES6_EE10hipError_tPvRmT2_T3_T4_T5_mT6_T7_P12ihipStream_tbENKUlT_T0_E_clISt17integral_constantIbLb0EES13_EEDaSY_SZ_EUlSY_E_NS1_11comp_targetILNS1_3genE2ELNS1_11target_archE906ELNS1_3gpuE6ELNS1_3repE0EEENS1_30default_config_static_selectorELNS0_4arch9wavefront6targetE1EEEvT1_, .Lfunc_end1874-_ZN7rocprim17ROCPRIM_400000_NS6detail17trampoline_kernelINS0_14default_configENS1_27scan_by_key_config_selectorIj11FixedVectorIiLj1EEEEZZNS1_16scan_by_key_implILNS1_25lookback_scan_determinismE0ELb0ES3_N6thrust23THRUST_200600_302600_NS6detail15normal_iteratorINSB_10device_ptrIjEEEENSD_INSE_IS6_EEEESI_S6_NSB_4plusIvEENSB_8equal_toIvEES6_EE10hipError_tPvRmT2_T3_T4_T5_mT6_T7_P12ihipStream_tbENKUlT_T0_E_clISt17integral_constantIbLb0EES13_EEDaSY_SZ_EUlSY_E_NS1_11comp_targetILNS1_3genE2ELNS1_11target_archE906ELNS1_3gpuE6ELNS1_3repE0EEENS1_30default_config_static_selectorELNS0_4arch9wavefront6targetE1EEEvT1_
                                        ; -- End function
	.section	.AMDGPU.csdata,"",@progbits
; Kernel info:
; codeLenInByte = 0
; NumSgprs: 6
; NumVgprs: 0
; NumAgprs: 0
; TotalNumVgprs: 0
; ScratchSize: 0
; MemoryBound: 0
; FloatMode: 240
; IeeeMode: 1
; LDSByteSize: 0 bytes/workgroup (compile time only)
; SGPRBlocks: 0
; VGPRBlocks: 0
; NumSGPRsForWavesPerEU: 6
; NumVGPRsForWavesPerEU: 1
; AccumOffset: 4
; Occupancy: 8
; WaveLimiterHint : 0
; COMPUTE_PGM_RSRC2:SCRATCH_EN: 0
; COMPUTE_PGM_RSRC2:USER_SGPR: 2
; COMPUTE_PGM_RSRC2:TRAP_HANDLER: 0
; COMPUTE_PGM_RSRC2:TGID_X_EN: 1
; COMPUTE_PGM_RSRC2:TGID_Y_EN: 0
; COMPUTE_PGM_RSRC2:TGID_Z_EN: 0
; COMPUTE_PGM_RSRC2:TIDIG_COMP_CNT: 0
; COMPUTE_PGM_RSRC3_GFX90A:ACCUM_OFFSET: 0
; COMPUTE_PGM_RSRC3_GFX90A:TG_SPLIT: 0
	.section	.text._ZN7rocprim17ROCPRIM_400000_NS6detail17trampoline_kernelINS0_14default_configENS1_27scan_by_key_config_selectorIj11FixedVectorIiLj1EEEEZZNS1_16scan_by_key_implILNS1_25lookback_scan_determinismE0ELb0ES3_N6thrust23THRUST_200600_302600_NS6detail15normal_iteratorINSB_10device_ptrIjEEEENSD_INSE_IS6_EEEESI_S6_NSB_4plusIvEENSB_8equal_toIvEES6_EE10hipError_tPvRmT2_T3_T4_T5_mT6_T7_P12ihipStream_tbENKUlT_T0_E_clISt17integral_constantIbLb0EES13_EEDaSY_SZ_EUlSY_E_NS1_11comp_targetILNS1_3genE10ELNS1_11target_archE1200ELNS1_3gpuE4ELNS1_3repE0EEENS1_30default_config_static_selectorELNS0_4arch9wavefront6targetE1EEEvT1_,"axG",@progbits,_ZN7rocprim17ROCPRIM_400000_NS6detail17trampoline_kernelINS0_14default_configENS1_27scan_by_key_config_selectorIj11FixedVectorIiLj1EEEEZZNS1_16scan_by_key_implILNS1_25lookback_scan_determinismE0ELb0ES3_N6thrust23THRUST_200600_302600_NS6detail15normal_iteratorINSB_10device_ptrIjEEEENSD_INSE_IS6_EEEESI_S6_NSB_4plusIvEENSB_8equal_toIvEES6_EE10hipError_tPvRmT2_T3_T4_T5_mT6_T7_P12ihipStream_tbENKUlT_T0_E_clISt17integral_constantIbLb0EES13_EEDaSY_SZ_EUlSY_E_NS1_11comp_targetILNS1_3genE10ELNS1_11target_archE1200ELNS1_3gpuE4ELNS1_3repE0EEENS1_30default_config_static_selectorELNS0_4arch9wavefront6targetE1EEEvT1_,comdat
	.protected	_ZN7rocprim17ROCPRIM_400000_NS6detail17trampoline_kernelINS0_14default_configENS1_27scan_by_key_config_selectorIj11FixedVectorIiLj1EEEEZZNS1_16scan_by_key_implILNS1_25lookback_scan_determinismE0ELb0ES3_N6thrust23THRUST_200600_302600_NS6detail15normal_iteratorINSB_10device_ptrIjEEEENSD_INSE_IS6_EEEESI_S6_NSB_4plusIvEENSB_8equal_toIvEES6_EE10hipError_tPvRmT2_T3_T4_T5_mT6_T7_P12ihipStream_tbENKUlT_T0_E_clISt17integral_constantIbLb0EES13_EEDaSY_SZ_EUlSY_E_NS1_11comp_targetILNS1_3genE10ELNS1_11target_archE1200ELNS1_3gpuE4ELNS1_3repE0EEENS1_30default_config_static_selectorELNS0_4arch9wavefront6targetE1EEEvT1_ ; -- Begin function _ZN7rocprim17ROCPRIM_400000_NS6detail17trampoline_kernelINS0_14default_configENS1_27scan_by_key_config_selectorIj11FixedVectorIiLj1EEEEZZNS1_16scan_by_key_implILNS1_25lookback_scan_determinismE0ELb0ES3_N6thrust23THRUST_200600_302600_NS6detail15normal_iteratorINSB_10device_ptrIjEEEENSD_INSE_IS6_EEEESI_S6_NSB_4plusIvEENSB_8equal_toIvEES6_EE10hipError_tPvRmT2_T3_T4_T5_mT6_T7_P12ihipStream_tbENKUlT_T0_E_clISt17integral_constantIbLb0EES13_EEDaSY_SZ_EUlSY_E_NS1_11comp_targetILNS1_3genE10ELNS1_11target_archE1200ELNS1_3gpuE4ELNS1_3repE0EEENS1_30default_config_static_selectorELNS0_4arch9wavefront6targetE1EEEvT1_
	.globl	_ZN7rocprim17ROCPRIM_400000_NS6detail17trampoline_kernelINS0_14default_configENS1_27scan_by_key_config_selectorIj11FixedVectorIiLj1EEEEZZNS1_16scan_by_key_implILNS1_25lookback_scan_determinismE0ELb0ES3_N6thrust23THRUST_200600_302600_NS6detail15normal_iteratorINSB_10device_ptrIjEEEENSD_INSE_IS6_EEEESI_S6_NSB_4plusIvEENSB_8equal_toIvEES6_EE10hipError_tPvRmT2_T3_T4_T5_mT6_T7_P12ihipStream_tbENKUlT_T0_E_clISt17integral_constantIbLb0EES13_EEDaSY_SZ_EUlSY_E_NS1_11comp_targetILNS1_3genE10ELNS1_11target_archE1200ELNS1_3gpuE4ELNS1_3repE0EEENS1_30default_config_static_selectorELNS0_4arch9wavefront6targetE1EEEvT1_
	.p2align	8
	.type	_ZN7rocprim17ROCPRIM_400000_NS6detail17trampoline_kernelINS0_14default_configENS1_27scan_by_key_config_selectorIj11FixedVectorIiLj1EEEEZZNS1_16scan_by_key_implILNS1_25lookback_scan_determinismE0ELb0ES3_N6thrust23THRUST_200600_302600_NS6detail15normal_iteratorINSB_10device_ptrIjEEEENSD_INSE_IS6_EEEESI_S6_NSB_4plusIvEENSB_8equal_toIvEES6_EE10hipError_tPvRmT2_T3_T4_T5_mT6_T7_P12ihipStream_tbENKUlT_T0_E_clISt17integral_constantIbLb0EES13_EEDaSY_SZ_EUlSY_E_NS1_11comp_targetILNS1_3genE10ELNS1_11target_archE1200ELNS1_3gpuE4ELNS1_3repE0EEENS1_30default_config_static_selectorELNS0_4arch9wavefront6targetE1EEEvT1_,@function
_ZN7rocprim17ROCPRIM_400000_NS6detail17trampoline_kernelINS0_14default_configENS1_27scan_by_key_config_selectorIj11FixedVectorIiLj1EEEEZZNS1_16scan_by_key_implILNS1_25lookback_scan_determinismE0ELb0ES3_N6thrust23THRUST_200600_302600_NS6detail15normal_iteratorINSB_10device_ptrIjEEEENSD_INSE_IS6_EEEESI_S6_NSB_4plusIvEENSB_8equal_toIvEES6_EE10hipError_tPvRmT2_T3_T4_T5_mT6_T7_P12ihipStream_tbENKUlT_T0_E_clISt17integral_constantIbLb0EES13_EEDaSY_SZ_EUlSY_E_NS1_11comp_targetILNS1_3genE10ELNS1_11target_archE1200ELNS1_3gpuE4ELNS1_3repE0EEENS1_30default_config_static_selectorELNS0_4arch9wavefront6targetE1EEEvT1_: ; @_ZN7rocprim17ROCPRIM_400000_NS6detail17trampoline_kernelINS0_14default_configENS1_27scan_by_key_config_selectorIj11FixedVectorIiLj1EEEEZZNS1_16scan_by_key_implILNS1_25lookback_scan_determinismE0ELb0ES3_N6thrust23THRUST_200600_302600_NS6detail15normal_iteratorINSB_10device_ptrIjEEEENSD_INSE_IS6_EEEESI_S6_NSB_4plusIvEENSB_8equal_toIvEES6_EE10hipError_tPvRmT2_T3_T4_T5_mT6_T7_P12ihipStream_tbENKUlT_T0_E_clISt17integral_constantIbLb0EES13_EEDaSY_SZ_EUlSY_E_NS1_11comp_targetILNS1_3genE10ELNS1_11target_archE1200ELNS1_3gpuE4ELNS1_3repE0EEENS1_30default_config_static_selectorELNS0_4arch9wavefront6targetE1EEEvT1_
; %bb.0:
	.section	.rodata,"a",@progbits
	.p2align	6, 0x0
	.amdhsa_kernel _ZN7rocprim17ROCPRIM_400000_NS6detail17trampoline_kernelINS0_14default_configENS1_27scan_by_key_config_selectorIj11FixedVectorIiLj1EEEEZZNS1_16scan_by_key_implILNS1_25lookback_scan_determinismE0ELb0ES3_N6thrust23THRUST_200600_302600_NS6detail15normal_iteratorINSB_10device_ptrIjEEEENSD_INSE_IS6_EEEESI_S6_NSB_4plusIvEENSB_8equal_toIvEES6_EE10hipError_tPvRmT2_T3_T4_T5_mT6_T7_P12ihipStream_tbENKUlT_T0_E_clISt17integral_constantIbLb0EES13_EEDaSY_SZ_EUlSY_E_NS1_11comp_targetILNS1_3genE10ELNS1_11target_archE1200ELNS1_3gpuE4ELNS1_3repE0EEENS1_30default_config_static_selectorELNS0_4arch9wavefront6targetE1EEEvT1_
		.amdhsa_group_segment_fixed_size 0
		.amdhsa_private_segment_fixed_size 0
		.amdhsa_kernarg_size 112
		.amdhsa_user_sgpr_count 2
		.amdhsa_user_sgpr_dispatch_ptr 0
		.amdhsa_user_sgpr_queue_ptr 0
		.amdhsa_user_sgpr_kernarg_segment_ptr 1
		.amdhsa_user_sgpr_dispatch_id 0
		.amdhsa_user_sgpr_kernarg_preload_length 0
		.amdhsa_user_sgpr_kernarg_preload_offset 0
		.amdhsa_user_sgpr_private_segment_size 0
		.amdhsa_uses_dynamic_stack 0
		.amdhsa_enable_private_segment 0
		.amdhsa_system_sgpr_workgroup_id_x 1
		.amdhsa_system_sgpr_workgroup_id_y 0
		.amdhsa_system_sgpr_workgroup_id_z 0
		.amdhsa_system_sgpr_workgroup_info 0
		.amdhsa_system_vgpr_workitem_id 0
		.amdhsa_next_free_vgpr 1
		.amdhsa_next_free_sgpr 0
		.amdhsa_accum_offset 4
		.amdhsa_reserve_vcc 0
		.amdhsa_float_round_mode_32 0
		.amdhsa_float_round_mode_16_64 0
		.amdhsa_float_denorm_mode_32 3
		.amdhsa_float_denorm_mode_16_64 3
		.amdhsa_dx10_clamp 1
		.amdhsa_ieee_mode 1
		.amdhsa_fp16_overflow 0
		.amdhsa_tg_split 0
		.amdhsa_exception_fp_ieee_invalid_op 0
		.amdhsa_exception_fp_denorm_src 0
		.amdhsa_exception_fp_ieee_div_zero 0
		.amdhsa_exception_fp_ieee_overflow 0
		.amdhsa_exception_fp_ieee_underflow 0
		.amdhsa_exception_fp_ieee_inexact 0
		.amdhsa_exception_int_div_zero 0
	.end_amdhsa_kernel
	.section	.text._ZN7rocprim17ROCPRIM_400000_NS6detail17trampoline_kernelINS0_14default_configENS1_27scan_by_key_config_selectorIj11FixedVectorIiLj1EEEEZZNS1_16scan_by_key_implILNS1_25lookback_scan_determinismE0ELb0ES3_N6thrust23THRUST_200600_302600_NS6detail15normal_iteratorINSB_10device_ptrIjEEEENSD_INSE_IS6_EEEESI_S6_NSB_4plusIvEENSB_8equal_toIvEES6_EE10hipError_tPvRmT2_T3_T4_T5_mT6_T7_P12ihipStream_tbENKUlT_T0_E_clISt17integral_constantIbLb0EES13_EEDaSY_SZ_EUlSY_E_NS1_11comp_targetILNS1_3genE10ELNS1_11target_archE1200ELNS1_3gpuE4ELNS1_3repE0EEENS1_30default_config_static_selectorELNS0_4arch9wavefront6targetE1EEEvT1_,"axG",@progbits,_ZN7rocprim17ROCPRIM_400000_NS6detail17trampoline_kernelINS0_14default_configENS1_27scan_by_key_config_selectorIj11FixedVectorIiLj1EEEEZZNS1_16scan_by_key_implILNS1_25lookback_scan_determinismE0ELb0ES3_N6thrust23THRUST_200600_302600_NS6detail15normal_iteratorINSB_10device_ptrIjEEEENSD_INSE_IS6_EEEESI_S6_NSB_4plusIvEENSB_8equal_toIvEES6_EE10hipError_tPvRmT2_T3_T4_T5_mT6_T7_P12ihipStream_tbENKUlT_T0_E_clISt17integral_constantIbLb0EES13_EEDaSY_SZ_EUlSY_E_NS1_11comp_targetILNS1_3genE10ELNS1_11target_archE1200ELNS1_3gpuE4ELNS1_3repE0EEENS1_30default_config_static_selectorELNS0_4arch9wavefront6targetE1EEEvT1_,comdat
.Lfunc_end1875:
	.size	_ZN7rocprim17ROCPRIM_400000_NS6detail17trampoline_kernelINS0_14default_configENS1_27scan_by_key_config_selectorIj11FixedVectorIiLj1EEEEZZNS1_16scan_by_key_implILNS1_25lookback_scan_determinismE0ELb0ES3_N6thrust23THRUST_200600_302600_NS6detail15normal_iteratorINSB_10device_ptrIjEEEENSD_INSE_IS6_EEEESI_S6_NSB_4plusIvEENSB_8equal_toIvEES6_EE10hipError_tPvRmT2_T3_T4_T5_mT6_T7_P12ihipStream_tbENKUlT_T0_E_clISt17integral_constantIbLb0EES13_EEDaSY_SZ_EUlSY_E_NS1_11comp_targetILNS1_3genE10ELNS1_11target_archE1200ELNS1_3gpuE4ELNS1_3repE0EEENS1_30default_config_static_selectorELNS0_4arch9wavefront6targetE1EEEvT1_, .Lfunc_end1875-_ZN7rocprim17ROCPRIM_400000_NS6detail17trampoline_kernelINS0_14default_configENS1_27scan_by_key_config_selectorIj11FixedVectorIiLj1EEEEZZNS1_16scan_by_key_implILNS1_25lookback_scan_determinismE0ELb0ES3_N6thrust23THRUST_200600_302600_NS6detail15normal_iteratorINSB_10device_ptrIjEEEENSD_INSE_IS6_EEEESI_S6_NSB_4plusIvEENSB_8equal_toIvEES6_EE10hipError_tPvRmT2_T3_T4_T5_mT6_T7_P12ihipStream_tbENKUlT_T0_E_clISt17integral_constantIbLb0EES13_EEDaSY_SZ_EUlSY_E_NS1_11comp_targetILNS1_3genE10ELNS1_11target_archE1200ELNS1_3gpuE4ELNS1_3repE0EEENS1_30default_config_static_selectorELNS0_4arch9wavefront6targetE1EEEvT1_
                                        ; -- End function
	.section	.AMDGPU.csdata,"",@progbits
; Kernel info:
; codeLenInByte = 0
; NumSgprs: 6
; NumVgprs: 0
; NumAgprs: 0
; TotalNumVgprs: 0
; ScratchSize: 0
; MemoryBound: 0
; FloatMode: 240
; IeeeMode: 1
; LDSByteSize: 0 bytes/workgroup (compile time only)
; SGPRBlocks: 0
; VGPRBlocks: 0
; NumSGPRsForWavesPerEU: 6
; NumVGPRsForWavesPerEU: 1
; AccumOffset: 4
; Occupancy: 8
; WaveLimiterHint : 0
; COMPUTE_PGM_RSRC2:SCRATCH_EN: 0
; COMPUTE_PGM_RSRC2:USER_SGPR: 2
; COMPUTE_PGM_RSRC2:TRAP_HANDLER: 0
; COMPUTE_PGM_RSRC2:TGID_X_EN: 1
; COMPUTE_PGM_RSRC2:TGID_Y_EN: 0
; COMPUTE_PGM_RSRC2:TGID_Z_EN: 0
; COMPUTE_PGM_RSRC2:TIDIG_COMP_CNT: 0
; COMPUTE_PGM_RSRC3_GFX90A:ACCUM_OFFSET: 0
; COMPUTE_PGM_RSRC3_GFX90A:TG_SPLIT: 0
	.section	.text._ZN7rocprim17ROCPRIM_400000_NS6detail17trampoline_kernelINS0_14default_configENS1_27scan_by_key_config_selectorIj11FixedVectorIiLj1EEEEZZNS1_16scan_by_key_implILNS1_25lookback_scan_determinismE0ELb0ES3_N6thrust23THRUST_200600_302600_NS6detail15normal_iteratorINSB_10device_ptrIjEEEENSD_INSE_IS6_EEEESI_S6_NSB_4plusIvEENSB_8equal_toIvEES6_EE10hipError_tPvRmT2_T3_T4_T5_mT6_T7_P12ihipStream_tbENKUlT_T0_E_clISt17integral_constantIbLb0EES13_EEDaSY_SZ_EUlSY_E_NS1_11comp_targetILNS1_3genE9ELNS1_11target_archE1100ELNS1_3gpuE3ELNS1_3repE0EEENS1_30default_config_static_selectorELNS0_4arch9wavefront6targetE1EEEvT1_,"axG",@progbits,_ZN7rocprim17ROCPRIM_400000_NS6detail17trampoline_kernelINS0_14default_configENS1_27scan_by_key_config_selectorIj11FixedVectorIiLj1EEEEZZNS1_16scan_by_key_implILNS1_25lookback_scan_determinismE0ELb0ES3_N6thrust23THRUST_200600_302600_NS6detail15normal_iteratorINSB_10device_ptrIjEEEENSD_INSE_IS6_EEEESI_S6_NSB_4plusIvEENSB_8equal_toIvEES6_EE10hipError_tPvRmT2_T3_T4_T5_mT6_T7_P12ihipStream_tbENKUlT_T0_E_clISt17integral_constantIbLb0EES13_EEDaSY_SZ_EUlSY_E_NS1_11comp_targetILNS1_3genE9ELNS1_11target_archE1100ELNS1_3gpuE3ELNS1_3repE0EEENS1_30default_config_static_selectorELNS0_4arch9wavefront6targetE1EEEvT1_,comdat
	.protected	_ZN7rocprim17ROCPRIM_400000_NS6detail17trampoline_kernelINS0_14default_configENS1_27scan_by_key_config_selectorIj11FixedVectorIiLj1EEEEZZNS1_16scan_by_key_implILNS1_25lookback_scan_determinismE0ELb0ES3_N6thrust23THRUST_200600_302600_NS6detail15normal_iteratorINSB_10device_ptrIjEEEENSD_INSE_IS6_EEEESI_S6_NSB_4plusIvEENSB_8equal_toIvEES6_EE10hipError_tPvRmT2_T3_T4_T5_mT6_T7_P12ihipStream_tbENKUlT_T0_E_clISt17integral_constantIbLb0EES13_EEDaSY_SZ_EUlSY_E_NS1_11comp_targetILNS1_3genE9ELNS1_11target_archE1100ELNS1_3gpuE3ELNS1_3repE0EEENS1_30default_config_static_selectorELNS0_4arch9wavefront6targetE1EEEvT1_ ; -- Begin function _ZN7rocprim17ROCPRIM_400000_NS6detail17trampoline_kernelINS0_14default_configENS1_27scan_by_key_config_selectorIj11FixedVectorIiLj1EEEEZZNS1_16scan_by_key_implILNS1_25lookback_scan_determinismE0ELb0ES3_N6thrust23THRUST_200600_302600_NS6detail15normal_iteratorINSB_10device_ptrIjEEEENSD_INSE_IS6_EEEESI_S6_NSB_4plusIvEENSB_8equal_toIvEES6_EE10hipError_tPvRmT2_T3_T4_T5_mT6_T7_P12ihipStream_tbENKUlT_T0_E_clISt17integral_constantIbLb0EES13_EEDaSY_SZ_EUlSY_E_NS1_11comp_targetILNS1_3genE9ELNS1_11target_archE1100ELNS1_3gpuE3ELNS1_3repE0EEENS1_30default_config_static_selectorELNS0_4arch9wavefront6targetE1EEEvT1_
	.globl	_ZN7rocprim17ROCPRIM_400000_NS6detail17trampoline_kernelINS0_14default_configENS1_27scan_by_key_config_selectorIj11FixedVectorIiLj1EEEEZZNS1_16scan_by_key_implILNS1_25lookback_scan_determinismE0ELb0ES3_N6thrust23THRUST_200600_302600_NS6detail15normal_iteratorINSB_10device_ptrIjEEEENSD_INSE_IS6_EEEESI_S6_NSB_4plusIvEENSB_8equal_toIvEES6_EE10hipError_tPvRmT2_T3_T4_T5_mT6_T7_P12ihipStream_tbENKUlT_T0_E_clISt17integral_constantIbLb0EES13_EEDaSY_SZ_EUlSY_E_NS1_11comp_targetILNS1_3genE9ELNS1_11target_archE1100ELNS1_3gpuE3ELNS1_3repE0EEENS1_30default_config_static_selectorELNS0_4arch9wavefront6targetE1EEEvT1_
	.p2align	8
	.type	_ZN7rocprim17ROCPRIM_400000_NS6detail17trampoline_kernelINS0_14default_configENS1_27scan_by_key_config_selectorIj11FixedVectorIiLj1EEEEZZNS1_16scan_by_key_implILNS1_25lookback_scan_determinismE0ELb0ES3_N6thrust23THRUST_200600_302600_NS6detail15normal_iteratorINSB_10device_ptrIjEEEENSD_INSE_IS6_EEEESI_S6_NSB_4plusIvEENSB_8equal_toIvEES6_EE10hipError_tPvRmT2_T3_T4_T5_mT6_T7_P12ihipStream_tbENKUlT_T0_E_clISt17integral_constantIbLb0EES13_EEDaSY_SZ_EUlSY_E_NS1_11comp_targetILNS1_3genE9ELNS1_11target_archE1100ELNS1_3gpuE3ELNS1_3repE0EEENS1_30default_config_static_selectorELNS0_4arch9wavefront6targetE1EEEvT1_,@function
_ZN7rocprim17ROCPRIM_400000_NS6detail17trampoline_kernelINS0_14default_configENS1_27scan_by_key_config_selectorIj11FixedVectorIiLj1EEEEZZNS1_16scan_by_key_implILNS1_25lookback_scan_determinismE0ELb0ES3_N6thrust23THRUST_200600_302600_NS6detail15normal_iteratorINSB_10device_ptrIjEEEENSD_INSE_IS6_EEEESI_S6_NSB_4plusIvEENSB_8equal_toIvEES6_EE10hipError_tPvRmT2_T3_T4_T5_mT6_T7_P12ihipStream_tbENKUlT_T0_E_clISt17integral_constantIbLb0EES13_EEDaSY_SZ_EUlSY_E_NS1_11comp_targetILNS1_3genE9ELNS1_11target_archE1100ELNS1_3gpuE3ELNS1_3repE0EEENS1_30default_config_static_selectorELNS0_4arch9wavefront6targetE1EEEvT1_: ; @_ZN7rocprim17ROCPRIM_400000_NS6detail17trampoline_kernelINS0_14default_configENS1_27scan_by_key_config_selectorIj11FixedVectorIiLj1EEEEZZNS1_16scan_by_key_implILNS1_25lookback_scan_determinismE0ELb0ES3_N6thrust23THRUST_200600_302600_NS6detail15normal_iteratorINSB_10device_ptrIjEEEENSD_INSE_IS6_EEEESI_S6_NSB_4plusIvEENSB_8equal_toIvEES6_EE10hipError_tPvRmT2_T3_T4_T5_mT6_T7_P12ihipStream_tbENKUlT_T0_E_clISt17integral_constantIbLb0EES13_EEDaSY_SZ_EUlSY_E_NS1_11comp_targetILNS1_3genE9ELNS1_11target_archE1100ELNS1_3gpuE3ELNS1_3repE0EEENS1_30default_config_static_selectorELNS0_4arch9wavefront6targetE1EEEvT1_
; %bb.0:
	.section	.rodata,"a",@progbits
	.p2align	6, 0x0
	.amdhsa_kernel _ZN7rocprim17ROCPRIM_400000_NS6detail17trampoline_kernelINS0_14default_configENS1_27scan_by_key_config_selectorIj11FixedVectorIiLj1EEEEZZNS1_16scan_by_key_implILNS1_25lookback_scan_determinismE0ELb0ES3_N6thrust23THRUST_200600_302600_NS6detail15normal_iteratorINSB_10device_ptrIjEEEENSD_INSE_IS6_EEEESI_S6_NSB_4plusIvEENSB_8equal_toIvEES6_EE10hipError_tPvRmT2_T3_T4_T5_mT6_T7_P12ihipStream_tbENKUlT_T0_E_clISt17integral_constantIbLb0EES13_EEDaSY_SZ_EUlSY_E_NS1_11comp_targetILNS1_3genE9ELNS1_11target_archE1100ELNS1_3gpuE3ELNS1_3repE0EEENS1_30default_config_static_selectorELNS0_4arch9wavefront6targetE1EEEvT1_
		.amdhsa_group_segment_fixed_size 0
		.amdhsa_private_segment_fixed_size 0
		.amdhsa_kernarg_size 112
		.amdhsa_user_sgpr_count 2
		.amdhsa_user_sgpr_dispatch_ptr 0
		.amdhsa_user_sgpr_queue_ptr 0
		.amdhsa_user_sgpr_kernarg_segment_ptr 1
		.amdhsa_user_sgpr_dispatch_id 0
		.amdhsa_user_sgpr_kernarg_preload_length 0
		.amdhsa_user_sgpr_kernarg_preload_offset 0
		.amdhsa_user_sgpr_private_segment_size 0
		.amdhsa_uses_dynamic_stack 0
		.amdhsa_enable_private_segment 0
		.amdhsa_system_sgpr_workgroup_id_x 1
		.amdhsa_system_sgpr_workgroup_id_y 0
		.amdhsa_system_sgpr_workgroup_id_z 0
		.amdhsa_system_sgpr_workgroup_info 0
		.amdhsa_system_vgpr_workitem_id 0
		.amdhsa_next_free_vgpr 1
		.amdhsa_next_free_sgpr 0
		.amdhsa_accum_offset 4
		.amdhsa_reserve_vcc 0
		.amdhsa_float_round_mode_32 0
		.amdhsa_float_round_mode_16_64 0
		.amdhsa_float_denorm_mode_32 3
		.amdhsa_float_denorm_mode_16_64 3
		.amdhsa_dx10_clamp 1
		.amdhsa_ieee_mode 1
		.amdhsa_fp16_overflow 0
		.amdhsa_tg_split 0
		.amdhsa_exception_fp_ieee_invalid_op 0
		.amdhsa_exception_fp_denorm_src 0
		.amdhsa_exception_fp_ieee_div_zero 0
		.amdhsa_exception_fp_ieee_overflow 0
		.amdhsa_exception_fp_ieee_underflow 0
		.amdhsa_exception_fp_ieee_inexact 0
		.amdhsa_exception_int_div_zero 0
	.end_amdhsa_kernel
	.section	.text._ZN7rocprim17ROCPRIM_400000_NS6detail17trampoline_kernelINS0_14default_configENS1_27scan_by_key_config_selectorIj11FixedVectorIiLj1EEEEZZNS1_16scan_by_key_implILNS1_25lookback_scan_determinismE0ELb0ES3_N6thrust23THRUST_200600_302600_NS6detail15normal_iteratorINSB_10device_ptrIjEEEENSD_INSE_IS6_EEEESI_S6_NSB_4plusIvEENSB_8equal_toIvEES6_EE10hipError_tPvRmT2_T3_T4_T5_mT6_T7_P12ihipStream_tbENKUlT_T0_E_clISt17integral_constantIbLb0EES13_EEDaSY_SZ_EUlSY_E_NS1_11comp_targetILNS1_3genE9ELNS1_11target_archE1100ELNS1_3gpuE3ELNS1_3repE0EEENS1_30default_config_static_selectorELNS0_4arch9wavefront6targetE1EEEvT1_,"axG",@progbits,_ZN7rocprim17ROCPRIM_400000_NS6detail17trampoline_kernelINS0_14default_configENS1_27scan_by_key_config_selectorIj11FixedVectorIiLj1EEEEZZNS1_16scan_by_key_implILNS1_25lookback_scan_determinismE0ELb0ES3_N6thrust23THRUST_200600_302600_NS6detail15normal_iteratorINSB_10device_ptrIjEEEENSD_INSE_IS6_EEEESI_S6_NSB_4plusIvEENSB_8equal_toIvEES6_EE10hipError_tPvRmT2_T3_T4_T5_mT6_T7_P12ihipStream_tbENKUlT_T0_E_clISt17integral_constantIbLb0EES13_EEDaSY_SZ_EUlSY_E_NS1_11comp_targetILNS1_3genE9ELNS1_11target_archE1100ELNS1_3gpuE3ELNS1_3repE0EEENS1_30default_config_static_selectorELNS0_4arch9wavefront6targetE1EEEvT1_,comdat
.Lfunc_end1876:
	.size	_ZN7rocprim17ROCPRIM_400000_NS6detail17trampoline_kernelINS0_14default_configENS1_27scan_by_key_config_selectorIj11FixedVectorIiLj1EEEEZZNS1_16scan_by_key_implILNS1_25lookback_scan_determinismE0ELb0ES3_N6thrust23THRUST_200600_302600_NS6detail15normal_iteratorINSB_10device_ptrIjEEEENSD_INSE_IS6_EEEESI_S6_NSB_4plusIvEENSB_8equal_toIvEES6_EE10hipError_tPvRmT2_T3_T4_T5_mT6_T7_P12ihipStream_tbENKUlT_T0_E_clISt17integral_constantIbLb0EES13_EEDaSY_SZ_EUlSY_E_NS1_11comp_targetILNS1_3genE9ELNS1_11target_archE1100ELNS1_3gpuE3ELNS1_3repE0EEENS1_30default_config_static_selectorELNS0_4arch9wavefront6targetE1EEEvT1_, .Lfunc_end1876-_ZN7rocprim17ROCPRIM_400000_NS6detail17trampoline_kernelINS0_14default_configENS1_27scan_by_key_config_selectorIj11FixedVectorIiLj1EEEEZZNS1_16scan_by_key_implILNS1_25lookback_scan_determinismE0ELb0ES3_N6thrust23THRUST_200600_302600_NS6detail15normal_iteratorINSB_10device_ptrIjEEEENSD_INSE_IS6_EEEESI_S6_NSB_4plusIvEENSB_8equal_toIvEES6_EE10hipError_tPvRmT2_T3_T4_T5_mT6_T7_P12ihipStream_tbENKUlT_T0_E_clISt17integral_constantIbLb0EES13_EEDaSY_SZ_EUlSY_E_NS1_11comp_targetILNS1_3genE9ELNS1_11target_archE1100ELNS1_3gpuE3ELNS1_3repE0EEENS1_30default_config_static_selectorELNS0_4arch9wavefront6targetE1EEEvT1_
                                        ; -- End function
	.section	.AMDGPU.csdata,"",@progbits
; Kernel info:
; codeLenInByte = 0
; NumSgprs: 6
; NumVgprs: 0
; NumAgprs: 0
; TotalNumVgprs: 0
; ScratchSize: 0
; MemoryBound: 0
; FloatMode: 240
; IeeeMode: 1
; LDSByteSize: 0 bytes/workgroup (compile time only)
; SGPRBlocks: 0
; VGPRBlocks: 0
; NumSGPRsForWavesPerEU: 6
; NumVGPRsForWavesPerEU: 1
; AccumOffset: 4
; Occupancy: 8
; WaveLimiterHint : 0
; COMPUTE_PGM_RSRC2:SCRATCH_EN: 0
; COMPUTE_PGM_RSRC2:USER_SGPR: 2
; COMPUTE_PGM_RSRC2:TRAP_HANDLER: 0
; COMPUTE_PGM_RSRC2:TGID_X_EN: 1
; COMPUTE_PGM_RSRC2:TGID_Y_EN: 0
; COMPUTE_PGM_RSRC2:TGID_Z_EN: 0
; COMPUTE_PGM_RSRC2:TIDIG_COMP_CNT: 0
; COMPUTE_PGM_RSRC3_GFX90A:ACCUM_OFFSET: 0
; COMPUTE_PGM_RSRC3_GFX90A:TG_SPLIT: 0
	.section	.text._ZN7rocprim17ROCPRIM_400000_NS6detail17trampoline_kernelINS0_14default_configENS1_27scan_by_key_config_selectorIj11FixedVectorIiLj1EEEEZZNS1_16scan_by_key_implILNS1_25lookback_scan_determinismE0ELb0ES3_N6thrust23THRUST_200600_302600_NS6detail15normal_iteratorINSB_10device_ptrIjEEEENSD_INSE_IS6_EEEESI_S6_NSB_4plusIvEENSB_8equal_toIvEES6_EE10hipError_tPvRmT2_T3_T4_T5_mT6_T7_P12ihipStream_tbENKUlT_T0_E_clISt17integral_constantIbLb0EES13_EEDaSY_SZ_EUlSY_E_NS1_11comp_targetILNS1_3genE8ELNS1_11target_archE1030ELNS1_3gpuE2ELNS1_3repE0EEENS1_30default_config_static_selectorELNS0_4arch9wavefront6targetE1EEEvT1_,"axG",@progbits,_ZN7rocprim17ROCPRIM_400000_NS6detail17trampoline_kernelINS0_14default_configENS1_27scan_by_key_config_selectorIj11FixedVectorIiLj1EEEEZZNS1_16scan_by_key_implILNS1_25lookback_scan_determinismE0ELb0ES3_N6thrust23THRUST_200600_302600_NS6detail15normal_iteratorINSB_10device_ptrIjEEEENSD_INSE_IS6_EEEESI_S6_NSB_4plusIvEENSB_8equal_toIvEES6_EE10hipError_tPvRmT2_T3_T4_T5_mT6_T7_P12ihipStream_tbENKUlT_T0_E_clISt17integral_constantIbLb0EES13_EEDaSY_SZ_EUlSY_E_NS1_11comp_targetILNS1_3genE8ELNS1_11target_archE1030ELNS1_3gpuE2ELNS1_3repE0EEENS1_30default_config_static_selectorELNS0_4arch9wavefront6targetE1EEEvT1_,comdat
	.protected	_ZN7rocprim17ROCPRIM_400000_NS6detail17trampoline_kernelINS0_14default_configENS1_27scan_by_key_config_selectorIj11FixedVectorIiLj1EEEEZZNS1_16scan_by_key_implILNS1_25lookback_scan_determinismE0ELb0ES3_N6thrust23THRUST_200600_302600_NS6detail15normal_iteratorINSB_10device_ptrIjEEEENSD_INSE_IS6_EEEESI_S6_NSB_4plusIvEENSB_8equal_toIvEES6_EE10hipError_tPvRmT2_T3_T4_T5_mT6_T7_P12ihipStream_tbENKUlT_T0_E_clISt17integral_constantIbLb0EES13_EEDaSY_SZ_EUlSY_E_NS1_11comp_targetILNS1_3genE8ELNS1_11target_archE1030ELNS1_3gpuE2ELNS1_3repE0EEENS1_30default_config_static_selectorELNS0_4arch9wavefront6targetE1EEEvT1_ ; -- Begin function _ZN7rocprim17ROCPRIM_400000_NS6detail17trampoline_kernelINS0_14default_configENS1_27scan_by_key_config_selectorIj11FixedVectorIiLj1EEEEZZNS1_16scan_by_key_implILNS1_25lookback_scan_determinismE0ELb0ES3_N6thrust23THRUST_200600_302600_NS6detail15normal_iteratorINSB_10device_ptrIjEEEENSD_INSE_IS6_EEEESI_S6_NSB_4plusIvEENSB_8equal_toIvEES6_EE10hipError_tPvRmT2_T3_T4_T5_mT6_T7_P12ihipStream_tbENKUlT_T0_E_clISt17integral_constantIbLb0EES13_EEDaSY_SZ_EUlSY_E_NS1_11comp_targetILNS1_3genE8ELNS1_11target_archE1030ELNS1_3gpuE2ELNS1_3repE0EEENS1_30default_config_static_selectorELNS0_4arch9wavefront6targetE1EEEvT1_
	.globl	_ZN7rocprim17ROCPRIM_400000_NS6detail17trampoline_kernelINS0_14default_configENS1_27scan_by_key_config_selectorIj11FixedVectorIiLj1EEEEZZNS1_16scan_by_key_implILNS1_25lookback_scan_determinismE0ELb0ES3_N6thrust23THRUST_200600_302600_NS6detail15normal_iteratorINSB_10device_ptrIjEEEENSD_INSE_IS6_EEEESI_S6_NSB_4plusIvEENSB_8equal_toIvEES6_EE10hipError_tPvRmT2_T3_T4_T5_mT6_T7_P12ihipStream_tbENKUlT_T0_E_clISt17integral_constantIbLb0EES13_EEDaSY_SZ_EUlSY_E_NS1_11comp_targetILNS1_3genE8ELNS1_11target_archE1030ELNS1_3gpuE2ELNS1_3repE0EEENS1_30default_config_static_selectorELNS0_4arch9wavefront6targetE1EEEvT1_
	.p2align	8
	.type	_ZN7rocprim17ROCPRIM_400000_NS6detail17trampoline_kernelINS0_14default_configENS1_27scan_by_key_config_selectorIj11FixedVectorIiLj1EEEEZZNS1_16scan_by_key_implILNS1_25lookback_scan_determinismE0ELb0ES3_N6thrust23THRUST_200600_302600_NS6detail15normal_iteratorINSB_10device_ptrIjEEEENSD_INSE_IS6_EEEESI_S6_NSB_4plusIvEENSB_8equal_toIvEES6_EE10hipError_tPvRmT2_T3_T4_T5_mT6_T7_P12ihipStream_tbENKUlT_T0_E_clISt17integral_constantIbLb0EES13_EEDaSY_SZ_EUlSY_E_NS1_11comp_targetILNS1_3genE8ELNS1_11target_archE1030ELNS1_3gpuE2ELNS1_3repE0EEENS1_30default_config_static_selectorELNS0_4arch9wavefront6targetE1EEEvT1_,@function
_ZN7rocprim17ROCPRIM_400000_NS6detail17trampoline_kernelINS0_14default_configENS1_27scan_by_key_config_selectorIj11FixedVectorIiLj1EEEEZZNS1_16scan_by_key_implILNS1_25lookback_scan_determinismE0ELb0ES3_N6thrust23THRUST_200600_302600_NS6detail15normal_iteratorINSB_10device_ptrIjEEEENSD_INSE_IS6_EEEESI_S6_NSB_4plusIvEENSB_8equal_toIvEES6_EE10hipError_tPvRmT2_T3_T4_T5_mT6_T7_P12ihipStream_tbENKUlT_T0_E_clISt17integral_constantIbLb0EES13_EEDaSY_SZ_EUlSY_E_NS1_11comp_targetILNS1_3genE8ELNS1_11target_archE1030ELNS1_3gpuE2ELNS1_3repE0EEENS1_30default_config_static_selectorELNS0_4arch9wavefront6targetE1EEEvT1_: ; @_ZN7rocprim17ROCPRIM_400000_NS6detail17trampoline_kernelINS0_14default_configENS1_27scan_by_key_config_selectorIj11FixedVectorIiLj1EEEEZZNS1_16scan_by_key_implILNS1_25lookback_scan_determinismE0ELb0ES3_N6thrust23THRUST_200600_302600_NS6detail15normal_iteratorINSB_10device_ptrIjEEEENSD_INSE_IS6_EEEESI_S6_NSB_4plusIvEENSB_8equal_toIvEES6_EE10hipError_tPvRmT2_T3_T4_T5_mT6_T7_P12ihipStream_tbENKUlT_T0_E_clISt17integral_constantIbLb0EES13_EEDaSY_SZ_EUlSY_E_NS1_11comp_targetILNS1_3genE8ELNS1_11target_archE1030ELNS1_3gpuE2ELNS1_3repE0EEENS1_30default_config_static_selectorELNS0_4arch9wavefront6targetE1EEEvT1_
; %bb.0:
	.section	.rodata,"a",@progbits
	.p2align	6, 0x0
	.amdhsa_kernel _ZN7rocprim17ROCPRIM_400000_NS6detail17trampoline_kernelINS0_14default_configENS1_27scan_by_key_config_selectorIj11FixedVectorIiLj1EEEEZZNS1_16scan_by_key_implILNS1_25lookback_scan_determinismE0ELb0ES3_N6thrust23THRUST_200600_302600_NS6detail15normal_iteratorINSB_10device_ptrIjEEEENSD_INSE_IS6_EEEESI_S6_NSB_4plusIvEENSB_8equal_toIvEES6_EE10hipError_tPvRmT2_T3_T4_T5_mT6_T7_P12ihipStream_tbENKUlT_T0_E_clISt17integral_constantIbLb0EES13_EEDaSY_SZ_EUlSY_E_NS1_11comp_targetILNS1_3genE8ELNS1_11target_archE1030ELNS1_3gpuE2ELNS1_3repE0EEENS1_30default_config_static_selectorELNS0_4arch9wavefront6targetE1EEEvT1_
		.amdhsa_group_segment_fixed_size 0
		.amdhsa_private_segment_fixed_size 0
		.amdhsa_kernarg_size 112
		.amdhsa_user_sgpr_count 2
		.amdhsa_user_sgpr_dispatch_ptr 0
		.amdhsa_user_sgpr_queue_ptr 0
		.amdhsa_user_sgpr_kernarg_segment_ptr 1
		.amdhsa_user_sgpr_dispatch_id 0
		.amdhsa_user_sgpr_kernarg_preload_length 0
		.amdhsa_user_sgpr_kernarg_preload_offset 0
		.amdhsa_user_sgpr_private_segment_size 0
		.amdhsa_uses_dynamic_stack 0
		.amdhsa_enable_private_segment 0
		.amdhsa_system_sgpr_workgroup_id_x 1
		.amdhsa_system_sgpr_workgroup_id_y 0
		.amdhsa_system_sgpr_workgroup_id_z 0
		.amdhsa_system_sgpr_workgroup_info 0
		.amdhsa_system_vgpr_workitem_id 0
		.amdhsa_next_free_vgpr 1
		.amdhsa_next_free_sgpr 0
		.amdhsa_accum_offset 4
		.amdhsa_reserve_vcc 0
		.amdhsa_float_round_mode_32 0
		.amdhsa_float_round_mode_16_64 0
		.amdhsa_float_denorm_mode_32 3
		.amdhsa_float_denorm_mode_16_64 3
		.amdhsa_dx10_clamp 1
		.amdhsa_ieee_mode 1
		.amdhsa_fp16_overflow 0
		.amdhsa_tg_split 0
		.amdhsa_exception_fp_ieee_invalid_op 0
		.amdhsa_exception_fp_denorm_src 0
		.amdhsa_exception_fp_ieee_div_zero 0
		.amdhsa_exception_fp_ieee_overflow 0
		.amdhsa_exception_fp_ieee_underflow 0
		.amdhsa_exception_fp_ieee_inexact 0
		.amdhsa_exception_int_div_zero 0
	.end_amdhsa_kernel
	.section	.text._ZN7rocprim17ROCPRIM_400000_NS6detail17trampoline_kernelINS0_14default_configENS1_27scan_by_key_config_selectorIj11FixedVectorIiLj1EEEEZZNS1_16scan_by_key_implILNS1_25lookback_scan_determinismE0ELb0ES3_N6thrust23THRUST_200600_302600_NS6detail15normal_iteratorINSB_10device_ptrIjEEEENSD_INSE_IS6_EEEESI_S6_NSB_4plusIvEENSB_8equal_toIvEES6_EE10hipError_tPvRmT2_T3_T4_T5_mT6_T7_P12ihipStream_tbENKUlT_T0_E_clISt17integral_constantIbLb0EES13_EEDaSY_SZ_EUlSY_E_NS1_11comp_targetILNS1_3genE8ELNS1_11target_archE1030ELNS1_3gpuE2ELNS1_3repE0EEENS1_30default_config_static_selectorELNS0_4arch9wavefront6targetE1EEEvT1_,"axG",@progbits,_ZN7rocprim17ROCPRIM_400000_NS6detail17trampoline_kernelINS0_14default_configENS1_27scan_by_key_config_selectorIj11FixedVectorIiLj1EEEEZZNS1_16scan_by_key_implILNS1_25lookback_scan_determinismE0ELb0ES3_N6thrust23THRUST_200600_302600_NS6detail15normal_iteratorINSB_10device_ptrIjEEEENSD_INSE_IS6_EEEESI_S6_NSB_4plusIvEENSB_8equal_toIvEES6_EE10hipError_tPvRmT2_T3_T4_T5_mT6_T7_P12ihipStream_tbENKUlT_T0_E_clISt17integral_constantIbLb0EES13_EEDaSY_SZ_EUlSY_E_NS1_11comp_targetILNS1_3genE8ELNS1_11target_archE1030ELNS1_3gpuE2ELNS1_3repE0EEENS1_30default_config_static_selectorELNS0_4arch9wavefront6targetE1EEEvT1_,comdat
.Lfunc_end1877:
	.size	_ZN7rocprim17ROCPRIM_400000_NS6detail17trampoline_kernelINS0_14default_configENS1_27scan_by_key_config_selectorIj11FixedVectorIiLj1EEEEZZNS1_16scan_by_key_implILNS1_25lookback_scan_determinismE0ELb0ES3_N6thrust23THRUST_200600_302600_NS6detail15normal_iteratorINSB_10device_ptrIjEEEENSD_INSE_IS6_EEEESI_S6_NSB_4plusIvEENSB_8equal_toIvEES6_EE10hipError_tPvRmT2_T3_T4_T5_mT6_T7_P12ihipStream_tbENKUlT_T0_E_clISt17integral_constantIbLb0EES13_EEDaSY_SZ_EUlSY_E_NS1_11comp_targetILNS1_3genE8ELNS1_11target_archE1030ELNS1_3gpuE2ELNS1_3repE0EEENS1_30default_config_static_selectorELNS0_4arch9wavefront6targetE1EEEvT1_, .Lfunc_end1877-_ZN7rocprim17ROCPRIM_400000_NS6detail17trampoline_kernelINS0_14default_configENS1_27scan_by_key_config_selectorIj11FixedVectorIiLj1EEEEZZNS1_16scan_by_key_implILNS1_25lookback_scan_determinismE0ELb0ES3_N6thrust23THRUST_200600_302600_NS6detail15normal_iteratorINSB_10device_ptrIjEEEENSD_INSE_IS6_EEEESI_S6_NSB_4plusIvEENSB_8equal_toIvEES6_EE10hipError_tPvRmT2_T3_T4_T5_mT6_T7_P12ihipStream_tbENKUlT_T0_E_clISt17integral_constantIbLb0EES13_EEDaSY_SZ_EUlSY_E_NS1_11comp_targetILNS1_3genE8ELNS1_11target_archE1030ELNS1_3gpuE2ELNS1_3repE0EEENS1_30default_config_static_selectorELNS0_4arch9wavefront6targetE1EEEvT1_
                                        ; -- End function
	.section	.AMDGPU.csdata,"",@progbits
; Kernel info:
; codeLenInByte = 0
; NumSgprs: 6
; NumVgprs: 0
; NumAgprs: 0
; TotalNumVgprs: 0
; ScratchSize: 0
; MemoryBound: 0
; FloatMode: 240
; IeeeMode: 1
; LDSByteSize: 0 bytes/workgroup (compile time only)
; SGPRBlocks: 0
; VGPRBlocks: 0
; NumSGPRsForWavesPerEU: 6
; NumVGPRsForWavesPerEU: 1
; AccumOffset: 4
; Occupancy: 8
; WaveLimiterHint : 0
; COMPUTE_PGM_RSRC2:SCRATCH_EN: 0
; COMPUTE_PGM_RSRC2:USER_SGPR: 2
; COMPUTE_PGM_RSRC2:TRAP_HANDLER: 0
; COMPUTE_PGM_RSRC2:TGID_X_EN: 1
; COMPUTE_PGM_RSRC2:TGID_Y_EN: 0
; COMPUTE_PGM_RSRC2:TGID_Z_EN: 0
; COMPUTE_PGM_RSRC2:TIDIG_COMP_CNT: 0
; COMPUTE_PGM_RSRC3_GFX90A:ACCUM_OFFSET: 0
; COMPUTE_PGM_RSRC3_GFX90A:TG_SPLIT: 0
	.section	.text._ZN7rocprim17ROCPRIM_400000_NS6detail30init_device_scan_by_key_kernelINS1_19lookback_scan_stateINS0_5tupleIJ11FixedVectorIiLj1EEbEEELb1ELb1EEEN6thrust23THRUST_200600_302600_NS6detail15normal_iteratorINSA_10device_ptrIjEEEEjNS1_16block_id_wrapperIjLb1EEEEEvT_jjPNSI_10value_typeET0_PNSt15iterator_traitsISL_E10value_typeEmT1_T2_,"axG",@progbits,_ZN7rocprim17ROCPRIM_400000_NS6detail30init_device_scan_by_key_kernelINS1_19lookback_scan_stateINS0_5tupleIJ11FixedVectorIiLj1EEbEEELb1ELb1EEEN6thrust23THRUST_200600_302600_NS6detail15normal_iteratorINSA_10device_ptrIjEEEEjNS1_16block_id_wrapperIjLb1EEEEEvT_jjPNSI_10value_typeET0_PNSt15iterator_traitsISL_E10value_typeEmT1_T2_,comdat
	.protected	_ZN7rocprim17ROCPRIM_400000_NS6detail30init_device_scan_by_key_kernelINS1_19lookback_scan_stateINS0_5tupleIJ11FixedVectorIiLj1EEbEEELb1ELb1EEEN6thrust23THRUST_200600_302600_NS6detail15normal_iteratorINSA_10device_ptrIjEEEEjNS1_16block_id_wrapperIjLb1EEEEEvT_jjPNSI_10value_typeET0_PNSt15iterator_traitsISL_E10value_typeEmT1_T2_ ; -- Begin function _ZN7rocprim17ROCPRIM_400000_NS6detail30init_device_scan_by_key_kernelINS1_19lookback_scan_stateINS0_5tupleIJ11FixedVectorIiLj1EEbEEELb1ELb1EEEN6thrust23THRUST_200600_302600_NS6detail15normal_iteratorINSA_10device_ptrIjEEEEjNS1_16block_id_wrapperIjLb1EEEEEvT_jjPNSI_10value_typeET0_PNSt15iterator_traitsISL_E10value_typeEmT1_T2_
	.globl	_ZN7rocprim17ROCPRIM_400000_NS6detail30init_device_scan_by_key_kernelINS1_19lookback_scan_stateINS0_5tupleIJ11FixedVectorIiLj1EEbEEELb1ELb1EEEN6thrust23THRUST_200600_302600_NS6detail15normal_iteratorINSA_10device_ptrIjEEEEjNS1_16block_id_wrapperIjLb1EEEEEvT_jjPNSI_10value_typeET0_PNSt15iterator_traitsISL_E10value_typeEmT1_T2_
	.p2align	8
	.type	_ZN7rocprim17ROCPRIM_400000_NS6detail30init_device_scan_by_key_kernelINS1_19lookback_scan_stateINS0_5tupleIJ11FixedVectorIiLj1EEbEEELb1ELb1EEEN6thrust23THRUST_200600_302600_NS6detail15normal_iteratorINSA_10device_ptrIjEEEEjNS1_16block_id_wrapperIjLb1EEEEEvT_jjPNSI_10value_typeET0_PNSt15iterator_traitsISL_E10value_typeEmT1_T2_,@function
_ZN7rocprim17ROCPRIM_400000_NS6detail30init_device_scan_by_key_kernelINS1_19lookback_scan_stateINS0_5tupleIJ11FixedVectorIiLj1EEbEEELb1ELb1EEEN6thrust23THRUST_200600_302600_NS6detail15normal_iteratorINSA_10device_ptrIjEEEEjNS1_16block_id_wrapperIjLb1EEEEEvT_jjPNSI_10value_typeET0_PNSt15iterator_traitsISL_E10value_typeEmT1_T2_: ; @_ZN7rocprim17ROCPRIM_400000_NS6detail30init_device_scan_by_key_kernelINS1_19lookback_scan_stateINS0_5tupleIJ11FixedVectorIiLj1EEbEEELb1ELb1EEEN6thrust23THRUST_200600_302600_NS6detail15normal_iteratorINSA_10device_ptrIjEEEEjNS1_16block_id_wrapperIjLb1EEEEEvT_jjPNSI_10value_typeET0_PNSt15iterator_traitsISL_E10value_typeEmT1_T2_
; %bb.0:
	s_load_dword s3, s[0:1], 0x4c
	s_load_dwordx8 s[4:11], s[0:1], 0x0
	s_load_dword s18, s[0:1], 0x40
	s_waitcnt lgkmcnt(0)
	s_and_b32 s19, s3, 0xffff
	s_mul_i32 s2, s2, s19
	s_cmp_eq_u64 s[8:9], 0
	v_add_u32_e32 v4, s2, v0
	s_cbranch_scc1 .LBB1878_10
; %bb.1:
	s_cmp_lt_u32 s7, s6
	s_cselect_b32 s2, s7, 0
	s_mov_b32 s13, 0
	v_cmp_eq_u32_e32 vcc, s2, v4
	s_and_saveexec_b64 s[2:3], vcc
	s_cbranch_execz .LBB1878_9
; %bb.2:
	s_add_i32 s12, s7, 64
	s_lshl_b64 s[12:13], s[12:13], 4
	s_add_u32 s16, s4, s12
	s_addc_u32 s17, s5, s13
	v_mov_b64_e32 v[0:1], s[16:17]
	;;#ASMSTART
	global_load_dwordx4 v[0:3], v[0:1] off sc1	
s_waitcnt vmcnt(0)
	;;#ASMEND
	v_mov_b32_e32 v7, 0
	v_and_b32_e32 v6, 0xff, v2
	s_mov_b64 s[14:15], 0
	v_cmp_eq_u64_e32 vcc, 0, v[6:7]
	s_and_saveexec_b64 s[12:13], vcc
	s_cbranch_execz .LBB1878_8
; %bb.3:
	s_mov_b32 s7, 1
	v_mov_b64_e32 v[8:9], s[16:17]
.LBB1878_4:                             ; =>This Loop Header: Depth=1
                                        ;     Child Loop BB1878_5 Depth 2
	s_max_u32 s16, s7, 1
.LBB1878_5:                             ;   Parent Loop BB1878_4 Depth=1
                                        ; =>  This Inner Loop Header: Depth=2
	s_add_i32 s16, s16, -1
	s_cmp_eq_u32 s16, 0
	s_sleep 1
	s_cbranch_scc0 .LBB1878_5
; %bb.6:                                ;   in Loop: Header=BB1878_4 Depth=1
	s_cmp_lt_u32 s7, 32
	s_cselect_b64 s[16:17], -1, 0
	s_cmp_lg_u64 s[16:17], 0
	;;#ASMSTART
	global_load_dwordx4 v[0:3], v[8:9] off sc1	
s_waitcnt vmcnt(0)
	;;#ASMEND
	s_addc_u32 s7, s7, 0
	v_and_b32_e32 v6, 0xff, v2
	v_cmp_ne_u64_e32 vcc, 0, v[6:7]
	s_or_b64 s[14:15], vcc, s[14:15]
	s_andn2_b64 exec, exec, s[14:15]
	s_cbranch_execnz .LBB1878_4
; %bb.7:
	s_or_b64 exec, exec, s[14:15]
.LBB1878_8:
	s_or_b64 exec, exec, s[12:13]
	v_mov_b32_e32 v2, 0
	global_store_dword v2, v0, s[8:9]
	global_store_byte v2, v1, s[8:9] offset:4
.LBB1878_9:
	s_or_b64 exec, exec, s[2:3]
.LBB1878_10:
	v_cmp_eq_u32_e32 vcc, 0, v4
	s_and_saveexec_b64 s[2:3], vcc
	s_cbranch_execz .LBB1878_12
; %bb.11:
	s_load_dwordx2 s[8:9], s[0:1], 0x38
	v_mov_b32_e32 v0, 0
	s_waitcnt lgkmcnt(0)
	global_store_dword v0, v0, s[8:9]
.LBB1878_12:
	s_or_b64 exec, exec, s[2:3]
	v_cmp_gt_u32_e32 vcc, s6, v4
	s_and_saveexec_b64 s[2:3], vcc
	s_cbranch_execz .LBB1878_14
; %bb.13:
	v_add_u32_e32 v0, 64, v4
	v_mov_b32_e32 v1, 0
	v_lshl_add_u64 v[6:7], v[0:1], 4, s[4:5]
	v_mov_b32_e32 v0, v1
	v_mov_b32_e32 v2, v1
	;; [unrolled: 1-line block ×3, first 2 shown]
	global_store_dwordx4 v[6:7], v[0:3], off
.LBB1878_14:
	s_or_b64 exec, exec, s[2:3]
	v_cmp_gt_u32_e32 vcc, 64, v4
	v_mov_b32_e32 v5, 0
	s_and_saveexec_b64 s[2:3], vcc
	s_cbranch_execz .LBB1878_16
; %bb.15:
	v_lshl_add_u64 v[6:7], v[4:5], 4, s[4:5]
	v_mov_b32_e32 v2, 0xff
	v_mov_b32_e32 v0, v5
	;; [unrolled: 1-line block ×4, first 2 shown]
	global_store_dwordx4 v[6:7], v[0:3], off
.LBB1878_16:
	s_or_b64 exec, exec, s[2:3]
	s_load_dwordx2 s[2:3], s[0:1], 0x28
	s_waitcnt lgkmcnt(0)
	v_cmp_gt_u64_e32 vcc, s[2:3], v[4:5]
	s_and_saveexec_b64 s[4:5], vcc
	s_cbranch_execz .LBB1878_19
; %bb.17:
	s_load_dword s12, s[0:1], 0x30
	s_load_dwordx2 s[6:7], s[0:1], 0x20
	s_mov_b32 s5, 0
	s_mov_b32 s1, s5
	s_mul_i32 s0, s18, s19
	s_waitcnt lgkmcnt(0)
	s_add_i32 s4, s12, -1
	s_lshl_b64 s[4:5], s[4:5], 2
	s_add_u32 s4, s10, s4
	v_mad_u64_u32 v[0:1], s[8:9], s12, v4, 0
	s_addc_u32 s5, s11, s5
	v_lshl_add_u64 v[0:1], v[0:1], 2, s[4:5]
	s_mul_hi_u32 s5, s12, s0
	s_mul_i32 s4, s12, s0
	s_lshl_b64 s[4:5], s[4:5], 2
	v_lshl_add_u64 v[2:3], v[4:5], 2, s[6:7]
	s_lshl_b64 s[6:7], s[0:1], 2
	s_mov_b64 s[8:9], 0
.LBB1878_18:                            ; =>This Inner Loop Header: Depth=1
	global_load_dword v6, v[0:1], off
	v_lshl_add_u64 v[4:5], v[4:5], 0, s[0:1]
	v_cmp_le_u64_e32 vcc, s[2:3], v[4:5]
	v_lshl_add_u64 v[0:1], v[0:1], 0, s[4:5]
	s_or_b64 s[8:9], vcc, s[8:9]
	s_waitcnt vmcnt(0)
	global_store_dword v[2:3], v6, off
	v_lshl_add_u64 v[2:3], v[2:3], 0, s[6:7]
	s_andn2_b64 exec, exec, s[8:9]
	s_cbranch_execnz .LBB1878_18
.LBB1878_19:
	s_endpgm
	.section	.rodata,"a",@progbits
	.p2align	6, 0x0
	.amdhsa_kernel _ZN7rocprim17ROCPRIM_400000_NS6detail30init_device_scan_by_key_kernelINS1_19lookback_scan_stateINS0_5tupleIJ11FixedVectorIiLj1EEbEEELb1ELb1EEEN6thrust23THRUST_200600_302600_NS6detail15normal_iteratorINSA_10device_ptrIjEEEEjNS1_16block_id_wrapperIjLb1EEEEEvT_jjPNSI_10value_typeET0_PNSt15iterator_traitsISL_E10value_typeEmT1_T2_
		.amdhsa_group_segment_fixed_size 0
		.amdhsa_private_segment_fixed_size 0
		.amdhsa_kernarg_size 320
		.amdhsa_user_sgpr_count 2
		.amdhsa_user_sgpr_dispatch_ptr 0
		.amdhsa_user_sgpr_queue_ptr 0
		.amdhsa_user_sgpr_kernarg_segment_ptr 1
		.amdhsa_user_sgpr_dispatch_id 0
		.amdhsa_user_sgpr_kernarg_preload_length 0
		.amdhsa_user_sgpr_kernarg_preload_offset 0
		.amdhsa_user_sgpr_private_segment_size 0
		.amdhsa_uses_dynamic_stack 0
		.amdhsa_enable_private_segment 0
		.amdhsa_system_sgpr_workgroup_id_x 1
		.amdhsa_system_sgpr_workgroup_id_y 0
		.amdhsa_system_sgpr_workgroup_id_z 0
		.amdhsa_system_sgpr_workgroup_info 0
		.amdhsa_system_vgpr_workitem_id 0
		.amdhsa_next_free_vgpr 10
		.amdhsa_next_free_sgpr 20
		.amdhsa_accum_offset 12
		.amdhsa_reserve_vcc 1
		.amdhsa_float_round_mode_32 0
		.amdhsa_float_round_mode_16_64 0
		.amdhsa_float_denorm_mode_32 3
		.amdhsa_float_denorm_mode_16_64 3
		.amdhsa_dx10_clamp 1
		.amdhsa_ieee_mode 1
		.amdhsa_fp16_overflow 0
		.amdhsa_tg_split 0
		.amdhsa_exception_fp_ieee_invalid_op 0
		.amdhsa_exception_fp_denorm_src 0
		.amdhsa_exception_fp_ieee_div_zero 0
		.amdhsa_exception_fp_ieee_overflow 0
		.amdhsa_exception_fp_ieee_underflow 0
		.amdhsa_exception_fp_ieee_inexact 0
		.amdhsa_exception_int_div_zero 0
	.end_amdhsa_kernel
	.section	.text._ZN7rocprim17ROCPRIM_400000_NS6detail30init_device_scan_by_key_kernelINS1_19lookback_scan_stateINS0_5tupleIJ11FixedVectorIiLj1EEbEEELb1ELb1EEEN6thrust23THRUST_200600_302600_NS6detail15normal_iteratorINSA_10device_ptrIjEEEEjNS1_16block_id_wrapperIjLb1EEEEEvT_jjPNSI_10value_typeET0_PNSt15iterator_traitsISL_E10value_typeEmT1_T2_,"axG",@progbits,_ZN7rocprim17ROCPRIM_400000_NS6detail30init_device_scan_by_key_kernelINS1_19lookback_scan_stateINS0_5tupleIJ11FixedVectorIiLj1EEbEEELb1ELb1EEEN6thrust23THRUST_200600_302600_NS6detail15normal_iteratorINSA_10device_ptrIjEEEEjNS1_16block_id_wrapperIjLb1EEEEEvT_jjPNSI_10value_typeET0_PNSt15iterator_traitsISL_E10value_typeEmT1_T2_,comdat
.Lfunc_end1878:
	.size	_ZN7rocprim17ROCPRIM_400000_NS6detail30init_device_scan_by_key_kernelINS1_19lookback_scan_stateINS0_5tupleIJ11FixedVectorIiLj1EEbEEELb1ELb1EEEN6thrust23THRUST_200600_302600_NS6detail15normal_iteratorINSA_10device_ptrIjEEEEjNS1_16block_id_wrapperIjLb1EEEEEvT_jjPNSI_10value_typeET0_PNSt15iterator_traitsISL_E10value_typeEmT1_T2_, .Lfunc_end1878-_ZN7rocprim17ROCPRIM_400000_NS6detail30init_device_scan_by_key_kernelINS1_19lookback_scan_stateINS0_5tupleIJ11FixedVectorIiLj1EEbEEELb1ELb1EEEN6thrust23THRUST_200600_302600_NS6detail15normal_iteratorINSA_10device_ptrIjEEEEjNS1_16block_id_wrapperIjLb1EEEEEvT_jjPNSI_10value_typeET0_PNSt15iterator_traitsISL_E10value_typeEmT1_T2_
                                        ; -- End function
	.section	.AMDGPU.csdata,"",@progbits
; Kernel info:
; codeLenInByte = 584
; NumSgprs: 26
; NumVgprs: 10
; NumAgprs: 0
; TotalNumVgprs: 10
; ScratchSize: 0
; MemoryBound: 0
; FloatMode: 240
; IeeeMode: 1
; LDSByteSize: 0 bytes/workgroup (compile time only)
; SGPRBlocks: 3
; VGPRBlocks: 1
; NumSGPRsForWavesPerEU: 26
; NumVGPRsForWavesPerEU: 10
; AccumOffset: 12
; Occupancy: 8
; WaveLimiterHint : 0
; COMPUTE_PGM_RSRC2:SCRATCH_EN: 0
; COMPUTE_PGM_RSRC2:USER_SGPR: 2
; COMPUTE_PGM_RSRC2:TRAP_HANDLER: 0
; COMPUTE_PGM_RSRC2:TGID_X_EN: 1
; COMPUTE_PGM_RSRC2:TGID_Y_EN: 0
; COMPUTE_PGM_RSRC2:TGID_Z_EN: 0
; COMPUTE_PGM_RSRC2:TIDIG_COMP_CNT: 0
; COMPUTE_PGM_RSRC3_GFX90A:ACCUM_OFFSET: 2
; COMPUTE_PGM_RSRC3_GFX90A:TG_SPLIT: 0
	.section	.text._ZN7rocprim17ROCPRIM_400000_NS6detail30init_device_scan_by_key_kernelINS1_19lookback_scan_stateINS0_5tupleIJ11FixedVectorIiLj1EEbEEELb1ELb1EEENS1_16block_id_wrapperIjLb1EEEEEvT_jjPNSB_10value_typeET0_,"axG",@progbits,_ZN7rocprim17ROCPRIM_400000_NS6detail30init_device_scan_by_key_kernelINS1_19lookback_scan_stateINS0_5tupleIJ11FixedVectorIiLj1EEbEEELb1ELb1EEENS1_16block_id_wrapperIjLb1EEEEEvT_jjPNSB_10value_typeET0_,comdat
	.protected	_ZN7rocprim17ROCPRIM_400000_NS6detail30init_device_scan_by_key_kernelINS1_19lookback_scan_stateINS0_5tupleIJ11FixedVectorIiLj1EEbEEELb1ELb1EEENS1_16block_id_wrapperIjLb1EEEEEvT_jjPNSB_10value_typeET0_ ; -- Begin function _ZN7rocprim17ROCPRIM_400000_NS6detail30init_device_scan_by_key_kernelINS1_19lookback_scan_stateINS0_5tupleIJ11FixedVectorIiLj1EEbEEELb1ELb1EEENS1_16block_id_wrapperIjLb1EEEEEvT_jjPNSB_10value_typeET0_
	.globl	_ZN7rocprim17ROCPRIM_400000_NS6detail30init_device_scan_by_key_kernelINS1_19lookback_scan_stateINS0_5tupleIJ11FixedVectorIiLj1EEbEEELb1ELb1EEENS1_16block_id_wrapperIjLb1EEEEEvT_jjPNSB_10value_typeET0_
	.p2align	8
	.type	_ZN7rocprim17ROCPRIM_400000_NS6detail30init_device_scan_by_key_kernelINS1_19lookback_scan_stateINS0_5tupleIJ11FixedVectorIiLj1EEbEEELb1ELb1EEENS1_16block_id_wrapperIjLb1EEEEEvT_jjPNSB_10value_typeET0_,@function
_ZN7rocprim17ROCPRIM_400000_NS6detail30init_device_scan_by_key_kernelINS1_19lookback_scan_stateINS0_5tupleIJ11FixedVectorIiLj1EEbEEELb1ELb1EEENS1_16block_id_wrapperIjLb1EEEEEvT_jjPNSB_10value_typeET0_: ; @_ZN7rocprim17ROCPRIM_400000_NS6detail30init_device_scan_by_key_kernelINS1_19lookback_scan_stateINS0_5tupleIJ11FixedVectorIiLj1EEbEEELb1ELb1EEENS1_16block_id_wrapperIjLb1EEEEEvT_jjPNSB_10value_typeET0_
; %bb.0:
	s_load_dword s3, s[0:1], 0x2c
	s_load_dwordx8 s[4:11], s[0:1], 0x0
	s_waitcnt lgkmcnt(0)
	s_and_b32 s0, s3, 0xffff
	s_mul_i32 s2, s2, s0
	s_cmp_eq_u64 s[8:9], 0
	v_add_u32_e32 v0, s2, v0
	s_cbranch_scc1 .LBB1879_10
; %bb.1:
	s_cmp_lt_u32 s7, s6
	s_cselect_b32 s0, s7, 0
	s_mov_b32 s3, 0
	v_cmp_eq_u32_e32 vcc, s0, v0
	s_and_saveexec_b64 s[0:1], vcc
	s_cbranch_execz .LBB1879_9
; %bb.2:
	s_add_i32 s2, s7, 64
	s_lshl_b64 s[2:3], s[2:3], 4
	s_add_u32 s14, s4, s2
	s_addc_u32 s15, s5, s3
	v_mov_b64_e32 v[2:3], s[14:15]
	;;#ASMSTART
	global_load_dwordx4 v[2:5], v[2:3] off sc1	
s_waitcnt vmcnt(0)
	;;#ASMEND
	v_mov_b32_e32 v7, 0
	v_and_b32_e32 v6, 0xff, v4
	s_mov_b64 s[12:13], 0
	v_cmp_eq_u64_e32 vcc, 0, v[6:7]
	s_and_saveexec_b64 s[2:3], vcc
	s_cbranch_execz .LBB1879_8
; %bb.3:
	s_mov_b32 s7, 1
	v_mov_b64_e32 v[8:9], s[14:15]
.LBB1879_4:                             ; =>This Loop Header: Depth=1
                                        ;     Child Loop BB1879_5 Depth 2
	s_max_u32 s14, s7, 1
.LBB1879_5:                             ;   Parent Loop BB1879_4 Depth=1
                                        ; =>  This Inner Loop Header: Depth=2
	s_add_i32 s14, s14, -1
	s_cmp_eq_u32 s14, 0
	s_sleep 1
	s_cbranch_scc0 .LBB1879_5
; %bb.6:                                ;   in Loop: Header=BB1879_4 Depth=1
	s_cmp_lt_u32 s7, 32
	s_cselect_b64 s[14:15], -1, 0
	s_cmp_lg_u64 s[14:15], 0
	;;#ASMSTART
	global_load_dwordx4 v[2:5], v[8:9] off sc1	
s_waitcnt vmcnt(0)
	;;#ASMEND
	s_addc_u32 s7, s7, 0
	v_and_b32_e32 v6, 0xff, v4
	v_cmp_ne_u64_e32 vcc, 0, v[6:7]
	s_or_b64 s[12:13], vcc, s[12:13]
	s_andn2_b64 exec, exec, s[12:13]
	s_cbranch_execnz .LBB1879_4
; %bb.7:
	s_or_b64 exec, exec, s[12:13]
.LBB1879_8:
	s_or_b64 exec, exec, s[2:3]
	v_mov_b32_e32 v1, 0
	global_store_dword v1, v2, s[8:9]
	global_store_byte v1, v3, s[8:9] offset:4
.LBB1879_9:
	s_or_b64 exec, exec, s[0:1]
.LBB1879_10:
	v_cmp_eq_u32_e32 vcc, 0, v0
	s_and_saveexec_b64 s[0:1], vcc
	s_cbranch_execnz .LBB1879_14
; %bb.11:
	s_or_b64 exec, exec, s[0:1]
	v_cmp_gt_u32_e32 vcc, s6, v0
	s_and_saveexec_b64 s[0:1], vcc
	s_cbranch_execnz .LBB1879_15
.LBB1879_12:
	s_or_b64 exec, exec, s[0:1]
	v_cmp_gt_u32_e32 vcc, 64, v0
	s_and_saveexec_b64 s[0:1], vcc
	s_cbranch_execnz .LBB1879_16
.LBB1879_13:
	s_endpgm
.LBB1879_14:
	v_mov_b32_e32 v1, 0
	global_store_dword v1, v1, s[10:11]
	s_or_b64 exec, exec, s[0:1]
	v_cmp_gt_u32_e32 vcc, s6, v0
	s_and_saveexec_b64 s[0:1], vcc
	s_cbranch_execz .LBB1879_12
.LBB1879_15:
	v_add_u32_e32 v2, 64, v0
	v_mov_b32_e32 v3, 0
	v_lshl_add_u64 v[6:7], v[2:3], 4, s[4:5]
	v_mov_b32_e32 v2, v3
	v_mov_b32_e32 v4, v3
	;; [unrolled: 1-line block ×3, first 2 shown]
	global_store_dwordx4 v[6:7], v[2:5], off
	s_or_b64 exec, exec, s[0:1]
	v_cmp_gt_u32_e32 vcc, 64, v0
	s_and_saveexec_b64 s[0:1], vcc
	s_cbranch_execz .LBB1879_13
.LBB1879_16:
	v_mov_b32_e32 v1, 0
	v_lshl_add_u64 v[4:5], v[0:1], 4, s[4:5]
	v_mov_b32_e32 v2, 0xff
	v_mov_b32_e32 v0, v1
	v_mov_b32_e32 v3, v1
	global_store_dwordx4 v[4:5], v[0:3], off
	s_endpgm
	.section	.rodata,"a",@progbits
	.p2align	6, 0x0
	.amdhsa_kernel _ZN7rocprim17ROCPRIM_400000_NS6detail30init_device_scan_by_key_kernelINS1_19lookback_scan_stateINS0_5tupleIJ11FixedVectorIiLj1EEbEEELb1ELb1EEENS1_16block_id_wrapperIjLb1EEEEEvT_jjPNSB_10value_typeET0_
		.amdhsa_group_segment_fixed_size 0
		.amdhsa_private_segment_fixed_size 0
		.amdhsa_kernarg_size 288
		.amdhsa_user_sgpr_count 2
		.amdhsa_user_sgpr_dispatch_ptr 0
		.amdhsa_user_sgpr_queue_ptr 0
		.amdhsa_user_sgpr_kernarg_segment_ptr 1
		.amdhsa_user_sgpr_dispatch_id 0
		.amdhsa_user_sgpr_kernarg_preload_length 0
		.amdhsa_user_sgpr_kernarg_preload_offset 0
		.amdhsa_user_sgpr_private_segment_size 0
		.amdhsa_uses_dynamic_stack 0
		.amdhsa_enable_private_segment 0
		.amdhsa_system_sgpr_workgroup_id_x 1
		.amdhsa_system_sgpr_workgroup_id_y 0
		.amdhsa_system_sgpr_workgroup_id_z 0
		.amdhsa_system_sgpr_workgroup_info 0
		.amdhsa_system_vgpr_workitem_id 0
		.amdhsa_next_free_vgpr 10
		.amdhsa_next_free_sgpr 16
		.amdhsa_accum_offset 12
		.amdhsa_reserve_vcc 1
		.amdhsa_float_round_mode_32 0
		.amdhsa_float_round_mode_16_64 0
		.amdhsa_float_denorm_mode_32 3
		.amdhsa_float_denorm_mode_16_64 3
		.amdhsa_dx10_clamp 1
		.amdhsa_ieee_mode 1
		.amdhsa_fp16_overflow 0
		.amdhsa_tg_split 0
		.amdhsa_exception_fp_ieee_invalid_op 0
		.amdhsa_exception_fp_denorm_src 0
		.amdhsa_exception_fp_ieee_div_zero 0
		.amdhsa_exception_fp_ieee_overflow 0
		.amdhsa_exception_fp_ieee_underflow 0
		.amdhsa_exception_fp_ieee_inexact 0
		.amdhsa_exception_int_div_zero 0
	.end_amdhsa_kernel
	.section	.text._ZN7rocprim17ROCPRIM_400000_NS6detail30init_device_scan_by_key_kernelINS1_19lookback_scan_stateINS0_5tupleIJ11FixedVectorIiLj1EEbEEELb1ELb1EEENS1_16block_id_wrapperIjLb1EEEEEvT_jjPNSB_10value_typeET0_,"axG",@progbits,_ZN7rocprim17ROCPRIM_400000_NS6detail30init_device_scan_by_key_kernelINS1_19lookback_scan_stateINS0_5tupleIJ11FixedVectorIiLj1EEbEEELb1ELb1EEENS1_16block_id_wrapperIjLb1EEEEEvT_jjPNSB_10value_typeET0_,comdat
.Lfunc_end1879:
	.size	_ZN7rocprim17ROCPRIM_400000_NS6detail30init_device_scan_by_key_kernelINS1_19lookback_scan_stateINS0_5tupleIJ11FixedVectorIiLj1EEbEEELb1ELb1EEENS1_16block_id_wrapperIjLb1EEEEEvT_jjPNSB_10value_typeET0_, .Lfunc_end1879-_ZN7rocprim17ROCPRIM_400000_NS6detail30init_device_scan_by_key_kernelINS1_19lookback_scan_stateINS0_5tupleIJ11FixedVectorIiLj1EEbEEELb1ELb1EEENS1_16block_id_wrapperIjLb1EEEEEvT_jjPNSB_10value_typeET0_
                                        ; -- End function
	.section	.AMDGPU.csdata,"",@progbits
; Kernel info:
; codeLenInByte = 416
; NumSgprs: 22
; NumVgprs: 10
; NumAgprs: 0
; TotalNumVgprs: 10
; ScratchSize: 0
; MemoryBound: 0
; FloatMode: 240
; IeeeMode: 1
; LDSByteSize: 0 bytes/workgroup (compile time only)
; SGPRBlocks: 2
; VGPRBlocks: 1
; NumSGPRsForWavesPerEU: 22
; NumVGPRsForWavesPerEU: 10
; AccumOffset: 12
; Occupancy: 8
; WaveLimiterHint : 0
; COMPUTE_PGM_RSRC2:SCRATCH_EN: 0
; COMPUTE_PGM_RSRC2:USER_SGPR: 2
; COMPUTE_PGM_RSRC2:TRAP_HANDLER: 0
; COMPUTE_PGM_RSRC2:TGID_X_EN: 1
; COMPUTE_PGM_RSRC2:TGID_Y_EN: 0
; COMPUTE_PGM_RSRC2:TGID_Z_EN: 0
; COMPUTE_PGM_RSRC2:TIDIG_COMP_CNT: 0
; COMPUTE_PGM_RSRC3_GFX90A:ACCUM_OFFSET: 2
; COMPUTE_PGM_RSRC3_GFX90A:TG_SPLIT: 0
	.section	.text._ZN7rocprim17ROCPRIM_400000_NS6detail17trampoline_kernelINS0_14default_configENS1_27scan_by_key_config_selectorIj11FixedVectorIiLj1EEEEZZNS1_16scan_by_key_implILNS1_25lookback_scan_determinismE0ELb0ES3_N6thrust23THRUST_200600_302600_NS6detail15normal_iteratorINSB_10device_ptrIjEEEENSD_INSE_IS6_EEEESI_S6_NSB_4plusIvEENSB_8equal_toIvEES6_EE10hipError_tPvRmT2_T3_T4_T5_mT6_T7_P12ihipStream_tbENKUlT_T0_E_clISt17integral_constantIbLb1EES13_EEDaSY_SZ_EUlSY_E_NS1_11comp_targetILNS1_3genE0ELNS1_11target_archE4294967295ELNS1_3gpuE0ELNS1_3repE0EEENS1_30default_config_static_selectorELNS0_4arch9wavefront6targetE1EEEvT1_,"axG",@progbits,_ZN7rocprim17ROCPRIM_400000_NS6detail17trampoline_kernelINS0_14default_configENS1_27scan_by_key_config_selectorIj11FixedVectorIiLj1EEEEZZNS1_16scan_by_key_implILNS1_25lookback_scan_determinismE0ELb0ES3_N6thrust23THRUST_200600_302600_NS6detail15normal_iteratorINSB_10device_ptrIjEEEENSD_INSE_IS6_EEEESI_S6_NSB_4plusIvEENSB_8equal_toIvEES6_EE10hipError_tPvRmT2_T3_T4_T5_mT6_T7_P12ihipStream_tbENKUlT_T0_E_clISt17integral_constantIbLb1EES13_EEDaSY_SZ_EUlSY_E_NS1_11comp_targetILNS1_3genE0ELNS1_11target_archE4294967295ELNS1_3gpuE0ELNS1_3repE0EEENS1_30default_config_static_selectorELNS0_4arch9wavefront6targetE1EEEvT1_,comdat
	.protected	_ZN7rocprim17ROCPRIM_400000_NS6detail17trampoline_kernelINS0_14default_configENS1_27scan_by_key_config_selectorIj11FixedVectorIiLj1EEEEZZNS1_16scan_by_key_implILNS1_25lookback_scan_determinismE0ELb0ES3_N6thrust23THRUST_200600_302600_NS6detail15normal_iteratorINSB_10device_ptrIjEEEENSD_INSE_IS6_EEEESI_S6_NSB_4plusIvEENSB_8equal_toIvEES6_EE10hipError_tPvRmT2_T3_T4_T5_mT6_T7_P12ihipStream_tbENKUlT_T0_E_clISt17integral_constantIbLb1EES13_EEDaSY_SZ_EUlSY_E_NS1_11comp_targetILNS1_3genE0ELNS1_11target_archE4294967295ELNS1_3gpuE0ELNS1_3repE0EEENS1_30default_config_static_selectorELNS0_4arch9wavefront6targetE1EEEvT1_ ; -- Begin function _ZN7rocprim17ROCPRIM_400000_NS6detail17trampoline_kernelINS0_14default_configENS1_27scan_by_key_config_selectorIj11FixedVectorIiLj1EEEEZZNS1_16scan_by_key_implILNS1_25lookback_scan_determinismE0ELb0ES3_N6thrust23THRUST_200600_302600_NS6detail15normal_iteratorINSB_10device_ptrIjEEEENSD_INSE_IS6_EEEESI_S6_NSB_4plusIvEENSB_8equal_toIvEES6_EE10hipError_tPvRmT2_T3_T4_T5_mT6_T7_P12ihipStream_tbENKUlT_T0_E_clISt17integral_constantIbLb1EES13_EEDaSY_SZ_EUlSY_E_NS1_11comp_targetILNS1_3genE0ELNS1_11target_archE4294967295ELNS1_3gpuE0ELNS1_3repE0EEENS1_30default_config_static_selectorELNS0_4arch9wavefront6targetE1EEEvT1_
	.globl	_ZN7rocprim17ROCPRIM_400000_NS6detail17trampoline_kernelINS0_14default_configENS1_27scan_by_key_config_selectorIj11FixedVectorIiLj1EEEEZZNS1_16scan_by_key_implILNS1_25lookback_scan_determinismE0ELb0ES3_N6thrust23THRUST_200600_302600_NS6detail15normal_iteratorINSB_10device_ptrIjEEEENSD_INSE_IS6_EEEESI_S6_NSB_4plusIvEENSB_8equal_toIvEES6_EE10hipError_tPvRmT2_T3_T4_T5_mT6_T7_P12ihipStream_tbENKUlT_T0_E_clISt17integral_constantIbLb1EES13_EEDaSY_SZ_EUlSY_E_NS1_11comp_targetILNS1_3genE0ELNS1_11target_archE4294967295ELNS1_3gpuE0ELNS1_3repE0EEENS1_30default_config_static_selectorELNS0_4arch9wavefront6targetE1EEEvT1_
	.p2align	8
	.type	_ZN7rocprim17ROCPRIM_400000_NS6detail17trampoline_kernelINS0_14default_configENS1_27scan_by_key_config_selectorIj11FixedVectorIiLj1EEEEZZNS1_16scan_by_key_implILNS1_25lookback_scan_determinismE0ELb0ES3_N6thrust23THRUST_200600_302600_NS6detail15normal_iteratorINSB_10device_ptrIjEEEENSD_INSE_IS6_EEEESI_S6_NSB_4plusIvEENSB_8equal_toIvEES6_EE10hipError_tPvRmT2_T3_T4_T5_mT6_T7_P12ihipStream_tbENKUlT_T0_E_clISt17integral_constantIbLb1EES13_EEDaSY_SZ_EUlSY_E_NS1_11comp_targetILNS1_3genE0ELNS1_11target_archE4294967295ELNS1_3gpuE0ELNS1_3repE0EEENS1_30default_config_static_selectorELNS0_4arch9wavefront6targetE1EEEvT1_,@function
_ZN7rocprim17ROCPRIM_400000_NS6detail17trampoline_kernelINS0_14default_configENS1_27scan_by_key_config_selectorIj11FixedVectorIiLj1EEEEZZNS1_16scan_by_key_implILNS1_25lookback_scan_determinismE0ELb0ES3_N6thrust23THRUST_200600_302600_NS6detail15normal_iteratorINSB_10device_ptrIjEEEENSD_INSE_IS6_EEEESI_S6_NSB_4plusIvEENSB_8equal_toIvEES6_EE10hipError_tPvRmT2_T3_T4_T5_mT6_T7_P12ihipStream_tbENKUlT_T0_E_clISt17integral_constantIbLb1EES13_EEDaSY_SZ_EUlSY_E_NS1_11comp_targetILNS1_3genE0ELNS1_11target_archE4294967295ELNS1_3gpuE0ELNS1_3repE0EEENS1_30default_config_static_selectorELNS0_4arch9wavefront6targetE1EEEvT1_: ; @_ZN7rocprim17ROCPRIM_400000_NS6detail17trampoline_kernelINS0_14default_configENS1_27scan_by_key_config_selectorIj11FixedVectorIiLj1EEEEZZNS1_16scan_by_key_implILNS1_25lookback_scan_determinismE0ELb0ES3_N6thrust23THRUST_200600_302600_NS6detail15normal_iteratorINSB_10device_ptrIjEEEENSD_INSE_IS6_EEEESI_S6_NSB_4plusIvEENSB_8equal_toIvEES6_EE10hipError_tPvRmT2_T3_T4_T5_mT6_T7_P12ihipStream_tbENKUlT_T0_E_clISt17integral_constantIbLb1EES13_EEDaSY_SZ_EUlSY_E_NS1_11comp_targetILNS1_3genE0ELNS1_11target_archE4294967295ELNS1_3gpuE0ELNS1_3repE0EEENS1_30default_config_static_selectorELNS0_4arch9wavefront6targetE1EEEvT1_
; %bb.0:
	.section	.rodata,"a",@progbits
	.p2align	6, 0x0
	.amdhsa_kernel _ZN7rocprim17ROCPRIM_400000_NS6detail17trampoline_kernelINS0_14default_configENS1_27scan_by_key_config_selectorIj11FixedVectorIiLj1EEEEZZNS1_16scan_by_key_implILNS1_25lookback_scan_determinismE0ELb0ES3_N6thrust23THRUST_200600_302600_NS6detail15normal_iteratorINSB_10device_ptrIjEEEENSD_INSE_IS6_EEEESI_S6_NSB_4plusIvEENSB_8equal_toIvEES6_EE10hipError_tPvRmT2_T3_T4_T5_mT6_T7_P12ihipStream_tbENKUlT_T0_E_clISt17integral_constantIbLb1EES13_EEDaSY_SZ_EUlSY_E_NS1_11comp_targetILNS1_3genE0ELNS1_11target_archE4294967295ELNS1_3gpuE0ELNS1_3repE0EEENS1_30default_config_static_selectorELNS0_4arch9wavefront6targetE1EEEvT1_
		.amdhsa_group_segment_fixed_size 0
		.amdhsa_private_segment_fixed_size 0
		.amdhsa_kernarg_size 112
		.amdhsa_user_sgpr_count 2
		.amdhsa_user_sgpr_dispatch_ptr 0
		.amdhsa_user_sgpr_queue_ptr 0
		.amdhsa_user_sgpr_kernarg_segment_ptr 1
		.amdhsa_user_sgpr_dispatch_id 0
		.amdhsa_user_sgpr_kernarg_preload_length 0
		.amdhsa_user_sgpr_kernarg_preload_offset 0
		.amdhsa_user_sgpr_private_segment_size 0
		.amdhsa_uses_dynamic_stack 0
		.amdhsa_enable_private_segment 0
		.amdhsa_system_sgpr_workgroup_id_x 1
		.amdhsa_system_sgpr_workgroup_id_y 0
		.amdhsa_system_sgpr_workgroup_id_z 0
		.amdhsa_system_sgpr_workgroup_info 0
		.amdhsa_system_vgpr_workitem_id 0
		.amdhsa_next_free_vgpr 1
		.amdhsa_next_free_sgpr 0
		.amdhsa_accum_offset 4
		.amdhsa_reserve_vcc 0
		.amdhsa_float_round_mode_32 0
		.amdhsa_float_round_mode_16_64 0
		.amdhsa_float_denorm_mode_32 3
		.amdhsa_float_denorm_mode_16_64 3
		.amdhsa_dx10_clamp 1
		.amdhsa_ieee_mode 1
		.amdhsa_fp16_overflow 0
		.amdhsa_tg_split 0
		.amdhsa_exception_fp_ieee_invalid_op 0
		.amdhsa_exception_fp_denorm_src 0
		.amdhsa_exception_fp_ieee_div_zero 0
		.amdhsa_exception_fp_ieee_overflow 0
		.amdhsa_exception_fp_ieee_underflow 0
		.amdhsa_exception_fp_ieee_inexact 0
		.amdhsa_exception_int_div_zero 0
	.end_amdhsa_kernel
	.section	.text._ZN7rocprim17ROCPRIM_400000_NS6detail17trampoline_kernelINS0_14default_configENS1_27scan_by_key_config_selectorIj11FixedVectorIiLj1EEEEZZNS1_16scan_by_key_implILNS1_25lookback_scan_determinismE0ELb0ES3_N6thrust23THRUST_200600_302600_NS6detail15normal_iteratorINSB_10device_ptrIjEEEENSD_INSE_IS6_EEEESI_S6_NSB_4plusIvEENSB_8equal_toIvEES6_EE10hipError_tPvRmT2_T3_T4_T5_mT6_T7_P12ihipStream_tbENKUlT_T0_E_clISt17integral_constantIbLb1EES13_EEDaSY_SZ_EUlSY_E_NS1_11comp_targetILNS1_3genE0ELNS1_11target_archE4294967295ELNS1_3gpuE0ELNS1_3repE0EEENS1_30default_config_static_selectorELNS0_4arch9wavefront6targetE1EEEvT1_,"axG",@progbits,_ZN7rocprim17ROCPRIM_400000_NS6detail17trampoline_kernelINS0_14default_configENS1_27scan_by_key_config_selectorIj11FixedVectorIiLj1EEEEZZNS1_16scan_by_key_implILNS1_25lookback_scan_determinismE0ELb0ES3_N6thrust23THRUST_200600_302600_NS6detail15normal_iteratorINSB_10device_ptrIjEEEENSD_INSE_IS6_EEEESI_S6_NSB_4plusIvEENSB_8equal_toIvEES6_EE10hipError_tPvRmT2_T3_T4_T5_mT6_T7_P12ihipStream_tbENKUlT_T0_E_clISt17integral_constantIbLb1EES13_EEDaSY_SZ_EUlSY_E_NS1_11comp_targetILNS1_3genE0ELNS1_11target_archE4294967295ELNS1_3gpuE0ELNS1_3repE0EEENS1_30default_config_static_selectorELNS0_4arch9wavefront6targetE1EEEvT1_,comdat
.Lfunc_end1880:
	.size	_ZN7rocprim17ROCPRIM_400000_NS6detail17trampoline_kernelINS0_14default_configENS1_27scan_by_key_config_selectorIj11FixedVectorIiLj1EEEEZZNS1_16scan_by_key_implILNS1_25lookback_scan_determinismE0ELb0ES3_N6thrust23THRUST_200600_302600_NS6detail15normal_iteratorINSB_10device_ptrIjEEEENSD_INSE_IS6_EEEESI_S6_NSB_4plusIvEENSB_8equal_toIvEES6_EE10hipError_tPvRmT2_T3_T4_T5_mT6_T7_P12ihipStream_tbENKUlT_T0_E_clISt17integral_constantIbLb1EES13_EEDaSY_SZ_EUlSY_E_NS1_11comp_targetILNS1_3genE0ELNS1_11target_archE4294967295ELNS1_3gpuE0ELNS1_3repE0EEENS1_30default_config_static_selectorELNS0_4arch9wavefront6targetE1EEEvT1_, .Lfunc_end1880-_ZN7rocprim17ROCPRIM_400000_NS6detail17trampoline_kernelINS0_14default_configENS1_27scan_by_key_config_selectorIj11FixedVectorIiLj1EEEEZZNS1_16scan_by_key_implILNS1_25lookback_scan_determinismE0ELb0ES3_N6thrust23THRUST_200600_302600_NS6detail15normal_iteratorINSB_10device_ptrIjEEEENSD_INSE_IS6_EEEESI_S6_NSB_4plusIvEENSB_8equal_toIvEES6_EE10hipError_tPvRmT2_T3_T4_T5_mT6_T7_P12ihipStream_tbENKUlT_T0_E_clISt17integral_constantIbLb1EES13_EEDaSY_SZ_EUlSY_E_NS1_11comp_targetILNS1_3genE0ELNS1_11target_archE4294967295ELNS1_3gpuE0ELNS1_3repE0EEENS1_30default_config_static_selectorELNS0_4arch9wavefront6targetE1EEEvT1_
                                        ; -- End function
	.section	.AMDGPU.csdata,"",@progbits
; Kernel info:
; codeLenInByte = 0
; NumSgprs: 6
; NumVgprs: 0
; NumAgprs: 0
; TotalNumVgprs: 0
; ScratchSize: 0
; MemoryBound: 0
; FloatMode: 240
; IeeeMode: 1
; LDSByteSize: 0 bytes/workgroup (compile time only)
; SGPRBlocks: 0
; VGPRBlocks: 0
; NumSGPRsForWavesPerEU: 6
; NumVGPRsForWavesPerEU: 1
; AccumOffset: 4
; Occupancy: 8
; WaveLimiterHint : 0
; COMPUTE_PGM_RSRC2:SCRATCH_EN: 0
; COMPUTE_PGM_RSRC2:USER_SGPR: 2
; COMPUTE_PGM_RSRC2:TRAP_HANDLER: 0
; COMPUTE_PGM_RSRC2:TGID_X_EN: 1
; COMPUTE_PGM_RSRC2:TGID_Y_EN: 0
; COMPUTE_PGM_RSRC2:TGID_Z_EN: 0
; COMPUTE_PGM_RSRC2:TIDIG_COMP_CNT: 0
; COMPUTE_PGM_RSRC3_GFX90A:ACCUM_OFFSET: 0
; COMPUTE_PGM_RSRC3_GFX90A:TG_SPLIT: 0
	.section	.text._ZN7rocprim17ROCPRIM_400000_NS6detail17trampoline_kernelINS0_14default_configENS1_27scan_by_key_config_selectorIj11FixedVectorIiLj1EEEEZZNS1_16scan_by_key_implILNS1_25lookback_scan_determinismE0ELb0ES3_N6thrust23THRUST_200600_302600_NS6detail15normal_iteratorINSB_10device_ptrIjEEEENSD_INSE_IS6_EEEESI_S6_NSB_4plusIvEENSB_8equal_toIvEES6_EE10hipError_tPvRmT2_T3_T4_T5_mT6_T7_P12ihipStream_tbENKUlT_T0_E_clISt17integral_constantIbLb1EES13_EEDaSY_SZ_EUlSY_E_NS1_11comp_targetILNS1_3genE10ELNS1_11target_archE1201ELNS1_3gpuE5ELNS1_3repE0EEENS1_30default_config_static_selectorELNS0_4arch9wavefront6targetE1EEEvT1_,"axG",@progbits,_ZN7rocprim17ROCPRIM_400000_NS6detail17trampoline_kernelINS0_14default_configENS1_27scan_by_key_config_selectorIj11FixedVectorIiLj1EEEEZZNS1_16scan_by_key_implILNS1_25lookback_scan_determinismE0ELb0ES3_N6thrust23THRUST_200600_302600_NS6detail15normal_iteratorINSB_10device_ptrIjEEEENSD_INSE_IS6_EEEESI_S6_NSB_4plusIvEENSB_8equal_toIvEES6_EE10hipError_tPvRmT2_T3_T4_T5_mT6_T7_P12ihipStream_tbENKUlT_T0_E_clISt17integral_constantIbLb1EES13_EEDaSY_SZ_EUlSY_E_NS1_11comp_targetILNS1_3genE10ELNS1_11target_archE1201ELNS1_3gpuE5ELNS1_3repE0EEENS1_30default_config_static_selectorELNS0_4arch9wavefront6targetE1EEEvT1_,comdat
	.protected	_ZN7rocprim17ROCPRIM_400000_NS6detail17trampoline_kernelINS0_14default_configENS1_27scan_by_key_config_selectorIj11FixedVectorIiLj1EEEEZZNS1_16scan_by_key_implILNS1_25lookback_scan_determinismE0ELb0ES3_N6thrust23THRUST_200600_302600_NS6detail15normal_iteratorINSB_10device_ptrIjEEEENSD_INSE_IS6_EEEESI_S6_NSB_4plusIvEENSB_8equal_toIvEES6_EE10hipError_tPvRmT2_T3_T4_T5_mT6_T7_P12ihipStream_tbENKUlT_T0_E_clISt17integral_constantIbLb1EES13_EEDaSY_SZ_EUlSY_E_NS1_11comp_targetILNS1_3genE10ELNS1_11target_archE1201ELNS1_3gpuE5ELNS1_3repE0EEENS1_30default_config_static_selectorELNS0_4arch9wavefront6targetE1EEEvT1_ ; -- Begin function _ZN7rocprim17ROCPRIM_400000_NS6detail17trampoline_kernelINS0_14default_configENS1_27scan_by_key_config_selectorIj11FixedVectorIiLj1EEEEZZNS1_16scan_by_key_implILNS1_25lookback_scan_determinismE0ELb0ES3_N6thrust23THRUST_200600_302600_NS6detail15normal_iteratorINSB_10device_ptrIjEEEENSD_INSE_IS6_EEEESI_S6_NSB_4plusIvEENSB_8equal_toIvEES6_EE10hipError_tPvRmT2_T3_T4_T5_mT6_T7_P12ihipStream_tbENKUlT_T0_E_clISt17integral_constantIbLb1EES13_EEDaSY_SZ_EUlSY_E_NS1_11comp_targetILNS1_3genE10ELNS1_11target_archE1201ELNS1_3gpuE5ELNS1_3repE0EEENS1_30default_config_static_selectorELNS0_4arch9wavefront6targetE1EEEvT1_
	.globl	_ZN7rocprim17ROCPRIM_400000_NS6detail17trampoline_kernelINS0_14default_configENS1_27scan_by_key_config_selectorIj11FixedVectorIiLj1EEEEZZNS1_16scan_by_key_implILNS1_25lookback_scan_determinismE0ELb0ES3_N6thrust23THRUST_200600_302600_NS6detail15normal_iteratorINSB_10device_ptrIjEEEENSD_INSE_IS6_EEEESI_S6_NSB_4plusIvEENSB_8equal_toIvEES6_EE10hipError_tPvRmT2_T3_T4_T5_mT6_T7_P12ihipStream_tbENKUlT_T0_E_clISt17integral_constantIbLb1EES13_EEDaSY_SZ_EUlSY_E_NS1_11comp_targetILNS1_3genE10ELNS1_11target_archE1201ELNS1_3gpuE5ELNS1_3repE0EEENS1_30default_config_static_selectorELNS0_4arch9wavefront6targetE1EEEvT1_
	.p2align	8
	.type	_ZN7rocprim17ROCPRIM_400000_NS6detail17trampoline_kernelINS0_14default_configENS1_27scan_by_key_config_selectorIj11FixedVectorIiLj1EEEEZZNS1_16scan_by_key_implILNS1_25lookback_scan_determinismE0ELb0ES3_N6thrust23THRUST_200600_302600_NS6detail15normal_iteratorINSB_10device_ptrIjEEEENSD_INSE_IS6_EEEESI_S6_NSB_4plusIvEENSB_8equal_toIvEES6_EE10hipError_tPvRmT2_T3_T4_T5_mT6_T7_P12ihipStream_tbENKUlT_T0_E_clISt17integral_constantIbLb1EES13_EEDaSY_SZ_EUlSY_E_NS1_11comp_targetILNS1_3genE10ELNS1_11target_archE1201ELNS1_3gpuE5ELNS1_3repE0EEENS1_30default_config_static_selectorELNS0_4arch9wavefront6targetE1EEEvT1_,@function
_ZN7rocprim17ROCPRIM_400000_NS6detail17trampoline_kernelINS0_14default_configENS1_27scan_by_key_config_selectorIj11FixedVectorIiLj1EEEEZZNS1_16scan_by_key_implILNS1_25lookback_scan_determinismE0ELb0ES3_N6thrust23THRUST_200600_302600_NS6detail15normal_iteratorINSB_10device_ptrIjEEEENSD_INSE_IS6_EEEESI_S6_NSB_4plusIvEENSB_8equal_toIvEES6_EE10hipError_tPvRmT2_T3_T4_T5_mT6_T7_P12ihipStream_tbENKUlT_T0_E_clISt17integral_constantIbLb1EES13_EEDaSY_SZ_EUlSY_E_NS1_11comp_targetILNS1_3genE10ELNS1_11target_archE1201ELNS1_3gpuE5ELNS1_3repE0EEENS1_30default_config_static_selectorELNS0_4arch9wavefront6targetE1EEEvT1_: ; @_ZN7rocprim17ROCPRIM_400000_NS6detail17trampoline_kernelINS0_14default_configENS1_27scan_by_key_config_selectorIj11FixedVectorIiLj1EEEEZZNS1_16scan_by_key_implILNS1_25lookback_scan_determinismE0ELb0ES3_N6thrust23THRUST_200600_302600_NS6detail15normal_iteratorINSB_10device_ptrIjEEEENSD_INSE_IS6_EEEESI_S6_NSB_4plusIvEENSB_8equal_toIvEES6_EE10hipError_tPvRmT2_T3_T4_T5_mT6_T7_P12ihipStream_tbENKUlT_T0_E_clISt17integral_constantIbLb1EES13_EEDaSY_SZ_EUlSY_E_NS1_11comp_targetILNS1_3genE10ELNS1_11target_archE1201ELNS1_3gpuE5ELNS1_3repE0EEENS1_30default_config_static_selectorELNS0_4arch9wavefront6targetE1EEEvT1_
; %bb.0:
	.section	.rodata,"a",@progbits
	.p2align	6, 0x0
	.amdhsa_kernel _ZN7rocprim17ROCPRIM_400000_NS6detail17trampoline_kernelINS0_14default_configENS1_27scan_by_key_config_selectorIj11FixedVectorIiLj1EEEEZZNS1_16scan_by_key_implILNS1_25lookback_scan_determinismE0ELb0ES3_N6thrust23THRUST_200600_302600_NS6detail15normal_iteratorINSB_10device_ptrIjEEEENSD_INSE_IS6_EEEESI_S6_NSB_4plusIvEENSB_8equal_toIvEES6_EE10hipError_tPvRmT2_T3_T4_T5_mT6_T7_P12ihipStream_tbENKUlT_T0_E_clISt17integral_constantIbLb1EES13_EEDaSY_SZ_EUlSY_E_NS1_11comp_targetILNS1_3genE10ELNS1_11target_archE1201ELNS1_3gpuE5ELNS1_3repE0EEENS1_30default_config_static_selectorELNS0_4arch9wavefront6targetE1EEEvT1_
		.amdhsa_group_segment_fixed_size 0
		.amdhsa_private_segment_fixed_size 0
		.amdhsa_kernarg_size 112
		.amdhsa_user_sgpr_count 2
		.amdhsa_user_sgpr_dispatch_ptr 0
		.amdhsa_user_sgpr_queue_ptr 0
		.amdhsa_user_sgpr_kernarg_segment_ptr 1
		.amdhsa_user_sgpr_dispatch_id 0
		.amdhsa_user_sgpr_kernarg_preload_length 0
		.amdhsa_user_sgpr_kernarg_preload_offset 0
		.amdhsa_user_sgpr_private_segment_size 0
		.amdhsa_uses_dynamic_stack 0
		.amdhsa_enable_private_segment 0
		.amdhsa_system_sgpr_workgroup_id_x 1
		.amdhsa_system_sgpr_workgroup_id_y 0
		.amdhsa_system_sgpr_workgroup_id_z 0
		.amdhsa_system_sgpr_workgroup_info 0
		.amdhsa_system_vgpr_workitem_id 0
		.amdhsa_next_free_vgpr 1
		.amdhsa_next_free_sgpr 0
		.amdhsa_accum_offset 4
		.amdhsa_reserve_vcc 0
		.amdhsa_float_round_mode_32 0
		.amdhsa_float_round_mode_16_64 0
		.amdhsa_float_denorm_mode_32 3
		.amdhsa_float_denorm_mode_16_64 3
		.amdhsa_dx10_clamp 1
		.amdhsa_ieee_mode 1
		.amdhsa_fp16_overflow 0
		.amdhsa_tg_split 0
		.amdhsa_exception_fp_ieee_invalid_op 0
		.amdhsa_exception_fp_denorm_src 0
		.amdhsa_exception_fp_ieee_div_zero 0
		.amdhsa_exception_fp_ieee_overflow 0
		.amdhsa_exception_fp_ieee_underflow 0
		.amdhsa_exception_fp_ieee_inexact 0
		.amdhsa_exception_int_div_zero 0
	.end_amdhsa_kernel
	.section	.text._ZN7rocprim17ROCPRIM_400000_NS6detail17trampoline_kernelINS0_14default_configENS1_27scan_by_key_config_selectorIj11FixedVectorIiLj1EEEEZZNS1_16scan_by_key_implILNS1_25lookback_scan_determinismE0ELb0ES3_N6thrust23THRUST_200600_302600_NS6detail15normal_iteratorINSB_10device_ptrIjEEEENSD_INSE_IS6_EEEESI_S6_NSB_4plusIvEENSB_8equal_toIvEES6_EE10hipError_tPvRmT2_T3_T4_T5_mT6_T7_P12ihipStream_tbENKUlT_T0_E_clISt17integral_constantIbLb1EES13_EEDaSY_SZ_EUlSY_E_NS1_11comp_targetILNS1_3genE10ELNS1_11target_archE1201ELNS1_3gpuE5ELNS1_3repE0EEENS1_30default_config_static_selectorELNS0_4arch9wavefront6targetE1EEEvT1_,"axG",@progbits,_ZN7rocprim17ROCPRIM_400000_NS6detail17trampoline_kernelINS0_14default_configENS1_27scan_by_key_config_selectorIj11FixedVectorIiLj1EEEEZZNS1_16scan_by_key_implILNS1_25lookback_scan_determinismE0ELb0ES3_N6thrust23THRUST_200600_302600_NS6detail15normal_iteratorINSB_10device_ptrIjEEEENSD_INSE_IS6_EEEESI_S6_NSB_4plusIvEENSB_8equal_toIvEES6_EE10hipError_tPvRmT2_T3_T4_T5_mT6_T7_P12ihipStream_tbENKUlT_T0_E_clISt17integral_constantIbLb1EES13_EEDaSY_SZ_EUlSY_E_NS1_11comp_targetILNS1_3genE10ELNS1_11target_archE1201ELNS1_3gpuE5ELNS1_3repE0EEENS1_30default_config_static_selectorELNS0_4arch9wavefront6targetE1EEEvT1_,comdat
.Lfunc_end1881:
	.size	_ZN7rocprim17ROCPRIM_400000_NS6detail17trampoline_kernelINS0_14default_configENS1_27scan_by_key_config_selectorIj11FixedVectorIiLj1EEEEZZNS1_16scan_by_key_implILNS1_25lookback_scan_determinismE0ELb0ES3_N6thrust23THRUST_200600_302600_NS6detail15normal_iteratorINSB_10device_ptrIjEEEENSD_INSE_IS6_EEEESI_S6_NSB_4plusIvEENSB_8equal_toIvEES6_EE10hipError_tPvRmT2_T3_T4_T5_mT6_T7_P12ihipStream_tbENKUlT_T0_E_clISt17integral_constantIbLb1EES13_EEDaSY_SZ_EUlSY_E_NS1_11comp_targetILNS1_3genE10ELNS1_11target_archE1201ELNS1_3gpuE5ELNS1_3repE0EEENS1_30default_config_static_selectorELNS0_4arch9wavefront6targetE1EEEvT1_, .Lfunc_end1881-_ZN7rocprim17ROCPRIM_400000_NS6detail17trampoline_kernelINS0_14default_configENS1_27scan_by_key_config_selectorIj11FixedVectorIiLj1EEEEZZNS1_16scan_by_key_implILNS1_25lookback_scan_determinismE0ELb0ES3_N6thrust23THRUST_200600_302600_NS6detail15normal_iteratorINSB_10device_ptrIjEEEENSD_INSE_IS6_EEEESI_S6_NSB_4plusIvEENSB_8equal_toIvEES6_EE10hipError_tPvRmT2_T3_T4_T5_mT6_T7_P12ihipStream_tbENKUlT_T0_E_clISt17integral_constantIbLb1EES13_EEDaSY_SZ_EUlSY_E_NS1_11comp_targetILNS1_3genE10ELNS1_11target_archE1201ELNS1_3gpuE5ELNS1_3repE0EEENS1_30default_config_static_selectorELNS0_4arch9wavefront6targetE1EEEvT1_
                                        ; -- End function
	.section	.AMDGPU.csdata,"",@progbits
; Kernel info:
; codeLenInByte = 0
; NumSgprs: 6
; NumVgprs: 0
; NumAgprs: 0
; TotalNumVgprs: 0
; ScratchSize: 0
; MemoryBound: 0
; FloatMode: 240
; IeeeMode: 1
; LDSByteSize: 0 bytes/workgroup (compile time only)
; SGPRBlocks: 0
; VGPRBlocks: 0
; NumSGPRsForWavesPerEU: 6
; NumVGPRsForWavesPerEU: 1
; AccumOffset: 4
; Occupancy: 8
; WaveLimiterHint : 0
; COMPUTE_PGM_RSRC2:SCRATCH_EN: 0
; COMPUTE_PGM_RSRC2:USER_SGPR: 2
; COMPUTE_PGM_RSRC2:TRAP_HANDLER: 0
; COMPUTE_PGM_RSRC2:TGID_X_EN: 1
; COMPUTE_PGM_RSRC2:TGID_Y_EN: 0
; COMPUTE_PGM_RSRC2:TGID_Z_EN: 0
; COMPUTE_PGM_RSRC2:TIDIG_COMP_CNT: 0
; COMPUTE_PGM_RSRC3_GFX90A:ACCUM_OFFSET: 0
; COMPUTE_PGM_RSRC3_GFX90A:TG_SPLIT: 0
	.section	.text._ZN7rocprim17ROCPRIM_400000_NS6detail17trampoline_kernelINS0_14default_configENS1_27scan_by_key_config_selectorIj11FixedVectorIiLj1EEEEZZNS1_16scan_by_key_implILNS1_25lookback_scan_determinismE0ELb0ES3_N6thrust23THRUST_200600_302600_NS6detail15normal_iteratorINSB_10device_ptrIjEEEENSD_INSE_IS6_EEEESI_S6_NSB_4plusIvEENSB_8equal_toIvEES6_EE10hipError_tPvRmT2_T3_T4_T5_mT6_T7_P12ihipStream_tbENKUlT_T0_E_clISt17integral_constantIbLb1EES13_EEDaSY_SZ_EUlSY_E_NS1_11comp_targetILNS1_3genE5ELNS1_11target_archE942ELNS1_3gpuE9ELNS1_3repE0EEENS1_30default_config_static_selectorELNS0_4arch9wavefront6targetE1EEEvT1_,"axG",@progbits,_ZN7rocprim17ROCPRIM_400000_NS6detail17trampoline_kernelINS0_14default_configENS1_27scan_by_key_config_selectorIj11FixedVectorIiLj1EEEEZZNS1_16scan_by_key_implILNS1_25lookback_scan_determinismE0ELb0ES3_N6thrust23THRUST_200600_302600_NS6detail15normal_iteratorINSB_10device_ptrIjEEEENSD_INSE_IS6_EEEESI_S6_NSB_4plusIvEENSB_8equal_toIvEES6_EE10hipError_tPvRmT2_T3_T4_T5_mT6_T7_P12ihipStream_tbENKUlT_T0_E_clISt17integral_constantIbLb1EES13_EEDaSY_SZ_EUlSY_E_NS1_11comp_targetILNS1_3genE5ELNS1_11target_archE942ELNS1_3gpuE9ELNS1_3repE0EEENS1_30default_config_static_selectorELNS0_4arch9wavefront6targetE1EEEvT1_,comdat
	.protected	_ZN7rocprim17ROCPRIM_400000_NS6detail17trampoline_kernelINS0_14default_configENS1_27scan_by_key_config_selectorIj11FixedVectorIiLj1EEEEZZNS1_16scan_by_key_implILNS1_25lookback_scan_determinismE0ELb0ES3_N6thrust23THRUST_200600_302600_NS6detail15normal_iteratorINSB_10device_ptrIjEEEENSD_INSE_IS6_EEEESI_S6_NSB_4plusIvEENSB_8equal_toIvEES6_EE10hipError_tPvRmT2_T3_T4_T5_mT6_T7_P12ihipStream_tbENKUlT_T0_E_clISt17integral_constantIbLb1EES13_EEDaSY_SZ_EUlSY_E_NS1_11comp_targetILNS1_3genE5ELNS1_11target_archE942ELNS1_3gpuE9ELNS1_3repE0EEENS1_30default_config_static_selectorELNS0_4arch9wavefront6targetE1EEEvT1_ ; -- Begin function _ZN7rocprim17ROCPRIM_400000_NS6detail17trampoline_kernelINS0_14default_configENS1_27scan_by_key_config_selectorIj11FixedVectorIiLj1EEEEZZNS1_16scan_by_key_implILNS1_25lookback_scan_determinismE0ELb0ES3_N6thrust23THRUST_200600_302600_NS6detail15normal_iteratorINSB_10device_ptrIjEEEENSD_INSE_IS6_EEEESI_S6_NSB_4plusIvEENSB_8equal_toIvEES6_EE10hipError_tPvRmT2_T3_T4_T5_mT6_T7_P12ihipStream_tbENKUlT_T0_E_clISt17integral_constantIbLb1EES13_EEDaSY_SZ_EUlSY_E_NS1_11comp_targetILNS1_3genE5ELNS1_11target_archE942ELNS1_3gpuE9ELNS1_3repE0EEENS1_30default_config_static_selectorELNS0_4arch9wavefront6targetE1EEEvT1_
	.globl	_ZN7rocprim17ROCPRIM_400000_NS6detail17trampoline_kernelINS0_14default_configENS1_27scan_by_key_config_selectorIj11FixedVectorIiLj1EEEEZZNS1_16scan_by_key_implILNS1_25lookback_scan_determinismE0ELb0ES3_N6thrust23THRUST_200600_302600_NS6detail15normal_iteratorINSB_10device_ptrIjEEEENSD_INSE_IS6_EEEESI_S6_NSB_4plusIvEENSB_8equal_toIvEES6_EE10hipError_tPvRmT2_T3_T4_T5_mT6_T7_P12ihipStream_tbENKUlT_T0_E_clISt17integral_constantIbLb1EES13_EEDaSY_SZ_EUlSY_E_NS1_11comp_targetILNS1_3genE5ELNS1_11target_archE942ELNS1_3gpuE9ELNS1_3repE0EEENS1_30default_config_static_selectorELNS0_4arch9wavefront6targetE1EEEvT1_
	.p2align	8
	.type	_ZN7rocprim17ROCPRIM_400000_NS6detail17trampoline_kernelINS0_14default_configENS1_27scan_by_key_config_selectorIj11FixedVectorIiLj1EEEEZZNS1_16scan_by_key_implILNS1_25lookback_scan_determinismE0ELb0ES3_N6thrust23THRUST_200600_302600_NS6detail15normal_iteratorINSB_10device_ptrIjEEEENSD_INSE_IS6_EEEESI_S6_NSB_4plusIvEENSB_8equal_toIvEES6_EE10hipError_tPvRmT2_T3_T4_T5_mT6_T7_P12ihipStream_tbENKUlT_T0_E_clISt17integral_constantIbLb1EES13_EEDaSY_SZ_EUlSY_E_NS1_11comp_targetILNS1_3genE5ELNS1_11target_archE942ELNS1_3gpuE9ELNS1_3repE0EEENS1_30default_config_static_selectorELNS0_4arch9wavefront6targetE1EEEvT1_,@function
_ZN7rocprim17ROCPRIM_400000_NS6detail17trampoline_kernelINS0_14default_configENS1_27scan_by_key_config_selectorIj11FixedVectorIiLj1EEEEZZNS1_16scan_by_key_implILNS1_25lookback_scan_determinismE0ELb0ES3_N6thrust23THRUST_200600_302600_NS6detail15normal_iteratorINSB_10device_ptrIjEEEENSD_INSE_IS6_EEEESI_S6_NSB_4plusIvEENSB_8equal_toIvEES6_EE10hipError_tPvRmT2_T3_T4_T5_mT6_T7_P12ihipStream_tbENKUlT_T0_E_clISt17integral_constantIbLb1EES13_EEDaSY_SZ_EUlSY_E_NS1_11comp_targetILNS1_3genE5ELNS1_11target_archE942ELNS1_3gpuE9ELNS1_3repE0EEENS1_30default_config_static_selectorELNS0_4arch9wavefront6targetE1EEEvT1_: ; @_ZN7rocprim17ROCPRIM_400000_NS6detail17trampoline_kernelINS0_14default_configENS1_27scan_by_key_config_selectorIj11FixedVectorIiLj1EEEEZZNS1_16scan_by_key_implILNS1_25lookback_scan_determinismE0ELb0ES3_N6thrust23THRUST_200600_302600_NS6detail15normal_iteratorINSB_10device_ptrIjEEEENSD_INSE_IS6_EEEESI_S6_NSB_4plusIvEENSB_8equal_toIvEES6_EE10hipError_tPvRmT2_T3_T4_T5_mT6_T7_P12ihipStream_tbENKUlT_T0_E_clISt17integral_constantIbLb1EES13_EEDaSY_SZ_EUlSY_E_NS1_11comp_targetILNS1_3genE5ELNS1_11target_archE942ELNS1_3gpuE9ELNS1_3repE0EEENS1_30default_config_static_selectorELNS0_4arch9wavefront6targetE1EEEvT1_
; %bb.0:
	s_load_dwordx4 s[72:75], s[0:1], 0x28
	s_load_dwordx2 s[76:77], s[0:1], 0x38
	v_cmp_ne_u32_e64 s[4:5], 0, v0
	v_cmp_eq_u32_e64 s[54:55], 0, v0
	s_and_saveexec_b64 s[2:3], s[54:55]
	s_cbranch_execz .LBB1882_4
; %bb.1:
	s_mov_b64 s[8:9], exec
	v_mbcnt_lo_u32_b32 v1, s8, 0
	v_mbcnt_hi_u32_b32 v1, s9, v1
	v_cmp_eq_u32_e32 vcc, 0, v1
                                        ; implicit-def: $vgpr2
	s_and_saveexec_b64 s[6:7], vcc
	s_cbranch_execz .LBB1882_3
; %bb.2:
	s_load_dwordx2 s[10:11], s[0:1], 0x68
	s_bcnt1_i32_b64 s8, s[8:9]
	v_mov_b32_e32 v2, 0
	v_mov_b32_e32 v3, s8
	s_waitcnt lgkmcnt(0)
	global_atomic_add v2, v2, v3, s[10:11] sc0
.LBB1882_3:
	s_or_b64 exec, exec, s[6:7]
	s_waitcnt vmcnt(0)
	v_readfirstlane_b32 s6, v2
	v_mov_b32_e32 v2, 0
	s_nop 0
	v_add_u32_e32 v1, s6, v1
	ds_write_b32 v2, v1
.LBB1882_4:
	s_or_b64 exec, exec, s[2:3]
	s_load_dwordx8 s[56:63], s[0:1], 0x0
	s_load_dword s2, s[0:1], 0x40
	s_load_dwordx8 s[64:71], s[0:1], 0x48
	v_mov_b32_e32 v1, 0
	s_waitcnt lgkmcnt(0)
	s_barrier
	ds_read_b32 v1, v1
	s_lshl_b64 s[58:59], s[58:59], 2
	s_add_u32 s3, s56, s58
	s_addc_u32 s6, s57, s59
	s_add_u32 s7, s60, s58
	s_mul_i32 s0, s77, s2
	s_mul_hi_u32 s1, s76, s2
	s_addc_u32 s8, s61, s59
	s_add_i32 s9, s1, s0
	s_waitcnt lgkmcnt(0)
	v_readfirstlane_b32 s75, v1
	s_cmp_lg_u64 s[68:69], 0
	s_mov_b32 s1, 0
	s_mul_i32 s0, s75, 0x1700
	s_cselect_b64 s[78:79], -1, 0
	s_lshl_b64 s[56:57], s[0:1], 2
	s_add_u32 s68, s3, s56
	s_addc_u32 s69, s6, s57
	s_add_u32 s60, s7, s56
	s_mul_i32 s2, s76, s2
	s_addc_u32 s61, s8, s57
	s_add_u32 s80, s2, s75
	s_addc_u32 s81, s9, 0
	s_add_u32 s0, s64, -1
	s_addc_u32 s1, s65, -1
	v_mov_b64_e32 v[2:3], s[0:1]
	v_cmp_ge_u64_e64 s[2:3], s[80:81], v[2:3]
	s_mov_b64 s[10:11], 0
	s_mov_b64 s[6:7], -1
	s_and_b64 vcc, exec, s[2:3]
	s_mul_i32 s33, s0, 0xffffe900
	s_barrier
	s_barrier
	s_cbranch_vccz .LBB1882_146
; %bb.5:
	v_mov_b64_e32 v[2:3], s[68:69]
	flat_load_dword v1, v[2:3]
	s_add_i32 s84, s33, s74
	v_cmp_gt_u32_e64 s[6:7], s84, v0
	s_waitcnt vmcnt(0) lgkmcnt(0)
	v_mov_b32_e32 v3, v1
	s_and_saveexec_b64 s[0:1], s[6:7]
	s_cbranch_execz .LBB1882_7
; %bb.6:
	v_lshlrev_b32_e32 v2, 2, v0
	v_mov_b32_e32 v3, 0
	v_lshl_add_u64 v[2:3], s[68:69], 0, v[2:3]
	flat_load_dword v3, v[2:3]
.LBB1882_7:
	s_or_b64 exec, exec, s[0:1]
	v_or_b32_e32 v2, 0x100, v0
	v_cmp_gt_u32_e64 s[8:9], s84, v2
	v_mov_b32_e32 v4, v1
	s_and_saveexec_b64 s[0:1], s[8:9]
	s_cbranch_execz .LBB1882_9
; %bb.8:
	v_lshlrev_b32_e32 v4, 2, v0
	v_mov_b32_e32 v5, 0
	v_lshl_add_u64 v[4:5], s[68:69], 0, v[4:5]
	flat_load_dword v4, v[4:5] offset:1024
.LBB1882_9:
	s_or_b64 exec, exec, s[0:1]
	v_or_b32_e32 v2, 0x200, v0
	v_cmp_gt_u32_e64 s[10:11], s84, v2
	v_mov_b32_e32 v5, v1
	s_and_saveexec_b64 s[0:1], s[10:11]
	s_cbranch_execz .LBB1882_11
; %bb.10:
	v_lshlrev_b32_e32 v6, 2, v0
	v_mov_b32_e32 v7, 0
	v_lshl_add_u64 v[6:7], s[68:69], 0, v[6:7]
	flat_load_dword v5, v[6:7] offset:2048
.LBB1882_11:
	;; [unrolled: 12-line block ×3, first 2 shown]
	s_or_b64 exec, exec, s[0:1]
	v_or_b32_e32 v10, 0x400, v0
	v_cmp_gt_u32_e64 s[14:15], s84, v10
	v_mov_b32_e32 v7, v1
	s_and_saveexec_b64 s[0:1], s[14:15]
	s_cbranch_execz .LBB1882_15
; %bb.14:
	v_lshlrev_b32_e32 v8, 2, v10
	v_mov_b32_e32 v9, 0
	v_lshl_add_u64 v[8:9], s[68:69], 0, v[8:9]
	flat_load_dword v7, v[8:9]
.LBB1882_15:
	s_or_b64 exec, exec, s[0:1]
	v_or_b32_e32 v11, 0x500, v0
	v_cmp_gt_u32_e64 s[16:17], s84, v11
	v_mov_b32_e32 v8, v1
	s_and_saveexec_b64 s[0:1], s[16:17]
	s_cbranch_execz .LBB1882_17
; %bb.16:
	v_lshlrev_b32_e32 v8, 2, v11
	v_mov_b32_e32 v9, 0
	v_lshl_add_u64 v[8:9], s[68:69], 0, v[8:9]
	flat_load_dword v8, v[8:9]
.LBB1882_17:
	;; [unrolled: 12-line block ×18, first 2 shown]
	s_or_b64 exec, exec, s[0:1]
	v_or_b32_e32 v28, 0x1600, v0
	v_cmp_gt_u32_e64 s[52:53], s84, v28
	s_and_saveexec_b64 s[0:1], s[52:53]
	s_cbranch_execz .LBB1882_51
; %bb.50:
	v_lshlrev_b32_e32 v44, 2, v28
	v_mov_b32_e32 v45, 0
	v_lshl_add_u64 v[44:45], s[68:69], 0, v[44:45]
	flat_load_dword v1, v[44:45]
.LBB1882_51:
	s_or_b64 exec, exec, s[0:1]
	v_lshlrev_b32_e32 v2, 2, v0
	s_movk_i32 s0, 0x58
	s_waitcnt vmcnt(0) lgkmcnt(0)
	ds_write2st64_b32 v2, v3, v4 offset1:4
	ds_write2st64_b32 v2, v5, v6 offset0:8 offset1:12
	ds_write2st64_b32 v2, v7, v8 offset0:16 offset1:20
	ds_write2st64_b32 v2, v9, v29 offset0:24 offset1:28
	ds_write2st64_b32 v2, v30, v31 offset0:32 offset1:36
	ds_write2st64_b32 v2, v32, v33 offset0:40 offset1:44
	ds_write2st64_b32 v2, v34, v35 offset0:48 offset1:52
	ds_write2st64_b32 v2, v36, v37 offset0:56 offset1:60
	ds_write2st64_b32 v2, v38, v39 offset0:64 offset1:68
	ds_write2st64_b32 v2, v40, v41 offset0:72 offset1:76
	ds_write2st64_b32 v2, v42, v43 offset0:80 offset1:84
	ds_write_b32 v2, v1 offset:22528
	v_mad_u32_u24 v1, v0, s0, v2
	s_waitcnt lgkmcnt(0)
	s_barrier
	ds_read2_b32 v[68:69], v1 offset1:1
	ds_read2_b32 v[66:67], v1 offset0:2 offset1:3
	ds_read2_b32 v[64:65], v1 offset0:4 offset1:5
	;; [unrolled: 1-line block ×10, first 2 shown]
	ds_read_b32 v72, v1 offset:88
	s_cmp_eq_u64 s[80:81], 0
	s_mov_b64 s[0:1], s[68:69]
	s_cbranch_scc1 .LBB1882_55
; %bb.52:
	s_andn2_b64 vcc, exec, s[78:79]
	s_cbranch_vccnz .LBB1882_313
; %bb.53:
	s_lshl_b64 s[0:1], s[80:81], 2
	s_add_u32 s0, s70, s0
	s_addc_u32 s1, s71, s1
	s_add_u32 s0, s0, -4
	s_addc_u32 s1, s1, -1
	s_cbranch_execnz .LBB1882_55
.LBB1882_54:
	s_add_u32 s0, s68, -4
	s_addc_u32 s1, s69, -1
.LBB1882_55:
	v_mov_b64_e32 v[30:31], s[0:1]
	flat_load_dword v70, v[30:31]
	s_movk_i32 s0, 0xffa8
	v_mad_i32_i24 v3, v0, s0, v1
	s_waitcnt lgkmcnt(0)
	ds_write_b32 v3, v72 offset:23552
	s_waitcnt lgkmcnt(0)
	s_barrier
	s_and_saveexec_b64 s[0:1], s[4:5]
	s_cbranch_execz .LBB1882_57
; %bb.56:
	v_mul_i32_i24_e32 v3, 0xffffffa8, v0
	v_add_u32_e32 v3, v1, v3
	s_waitcnt vmcnt(0)
	ds_read_b32 v70, v3 offset:23548
.LBB1882_57:
	s_or_b64 exec, exec, s[0:1]
	v_mov_b32_e32 v29, 0
	v_mov_b32_e32 v30, 0
	s_waitcnt lgkmcnt(0)
	s_barrier
	s_and_saveexec_b64 s[0:1], s[6:7]
	s_cbranch_execz .LBB1882_59
; %bb.58:
	v_mov_b32_e32 v3, 0
	v_lshl_add_u64 v[30:31], s[60:61], 0, v[2:3]
	flat_load_dword v30, v[30:31]
.LBB1882_59:
	s_or_b64 exec, exec, s[0:1]
	s_and_saveexec_b64 s[0:1], s[8:9]
	s_cbranch_execz .LBB1882_61
; %bb.60:
	v_mov_b32_e32 v3, 0
	v_lshl_add_u64 v[32:33], s[60:61], 0, v[2:3]
	flat_load_dword v29, v[32:33] offset:1024
.LBB1882_61:
	s_or_b64 exec, exec, s[0:1]
	v_mov_b32_e32 v31, 0
	v_mov_b32_e32 v32, 0
	s_and_saveexec_b64 s[0:1], s[10:11]
	s_cbranch_execz .LBB1882_63
; %bb.62:
	v_mov_b32_e32 v3, 0
	v_lshl_add_u64 v[32:33], s[60:61], 0, v[2:3]
	flat_load_dword v32, v[32:33] offset:2048
.LBB1882_63:
	s_or_b64 exec, exec, s[0:1]
	s_and_saveexec_b64 s[0:1], s[12:13]
	s_cbranch_execz .LBB1882_65
; %bb.64:
	v_mov_b32_e32 v3, 0
	v_lshl_add_u64 v[34:35], s[60:61], 0, v[2:3]
	flat_load_dword v31, v[34:35] offset:3072
.LBB1882_65:
	s_or_b64 exec, exec, s[0:1]
	v_mov_b32_e32 v3, 0
	v_mov_b32_e32 v33, 0
	s_and_saveexec_b64 s[0:1], s[14:15]
	s_cbranch_execz .LBB1882_67
; %bb.66:
	v_lshlrev_b32_e32 v34, 2, v10
	v_mov_b32_e32 v35, 0
	v_lshl_add_u64 v[34:35], s[60:61], 0, v[34:35]
	flat_load_dword v33, v[34:35]
.LBB1882_67:
	s_or_b64 exec, exec, s[0:1]
	s_and_saveexec_b64 s[0:1], s[16:17]
	s_cbranch_execz .LBB1882_69
; %bb.68:
	v_lshlrev_b32_e32 v10, 2, v11
	v_mov_b32_e32 v11, 0
	v_lshl_add_u64 v[10:11], s[60:61], 0, v[10:11]
	flat_load_dword v3, v[10:11]
.LBB1882_69:
	s_or_b64 exec, exec, s[0:1]
	v_mov_b32_e32 v10, 0
	v_mov_b32_e32 v11, 0
	s_and_saveexec_b64 s[0:1], s[18:19]
	s_cbranch_execz .LBB1882_71
; %bb.70:
	v_lshlrev_b32_e32 v34, 2, v12
	v_mov_b32_e32 v35, 0
	v_lshl_add_u64 v[34:35], s[60:61], 0, v[34:35]
	flat_load_dword v11, v[34:35]
.LBB1882_71:
	s_or_b64 exec, exec, s[0:1]
	s_and_saveexec_b64 s[0:1], s[20:21]
	s_cbranch_execz .LBB1882_73
; %bb.72:
	v_lshlrev_b32_e32 v12, 2, v13
	v_mov_b32_e32 v13, 0
	v_lshl_add_u64 v[12:13], s[60:61], 0, v[12:13]
	flat_load_dword v10, v[12:13]
.LBB1882_73:
	;; [unrolled: 20-line block ×8, first 2 shown]
	s_or_b64 exec, exec, s[0:1]
	v_mov_b32_e32 v24, 0
	v_mov_b32_e32 v25, 0
	s_and_saveexec_b64 s[0:1], s[48:49]
	s_cbranch_execnz .LBB1882_309
; %bb.98:
	s_or_b64 exec, exec, s[0:1]
	s_and_saveexec_b64 s[0:1], s[50:51]
	s_cbranch_execnz .LBB1882_310
.LBB1882_99:
	s_or_b64 exec, exec, s[0:1]
	v_mov_b32_e32 v26, 0
	s_and_saveexec_b64 s[0:1], s[52:53]
	s_cbranch_execz .LBB1882_101
.LBB1882_100:
	v_lshlrev_b32_e32 v26, 2, v28
	v_mov_b32_e32 v27, 0
	v_lshl_add_u64 v[26:27], s[60:61], 0, v[26:27]
	flat_load_dword v26, v[26:27]
.LBB1882_101:
	s_or_b64 exec, exec, s[0:1]
	v_mul_u32_u24_e32 v73, 23, v0
	s_waitcnt vmcnt(0) lgkmcnt(0)
	ds_write2st64_b32 v2, v30, v29 offset1:4
	ds_write2st64_b32 v2, v32, v31 offset0:8 offset1:12
	ds_write2st64_b32 v2, v33, v3 offset0:16 offset1:20
	ds_write2st64_b32 v2, v11, v10 offset0:24 offset1:28
	ds_write2st64_b32 v2, v13, v12 offset0:32 offset1:36
	ds_write2st64_b32 v2, v15, v14 offset0:40 offset1:44
	ds_write2st64_b32 v2, v17, v16 offset0:48 offset1:52
	ds_write2st64_b32 v2, v19, v18 offset0:56 offset1:60
	ds_write2st64_b32 v2, v21, v20 offset0:64 offset1:68
	ds_write2st64_b32 v2, v23, v22 offset0:72 offset1:76
	ds_write2st64_b32 v2, v25, v24 offset0:80 offset1:84
	ds_write_b32 v2, v26 offset:22528
	v_mov_b64_e32 v[10:11], 0
	v_cmp_gt_u32_e32 vcc, s84, v73
	s_mov_b64 s[10:11], 0
	s_mov_b64 s[6:7], 0
	v_mov_b64_e32 v[12:13], v[10:11]
	v_mov_b64_e32 v[14:15], v[10:11]
	;; [unrolled: 1-line block ×21, first 2 shown]
	s_waitcnt lgkmcnt(0)
	s_barrier
	s_waitcnt lgkmcnt(0)
                                        ; implicit-def: $sgpr0_sgpr1
                                        ; implicit-def: $vgpr3
	s_and_saveexec_b64 s[8:9], vcc
	s_cbranch_execz .LBB1882_145
; %bb.102:
	ds_read_b32 v10, v1
	v_add_u32_e32 v2, 1, v73
	v_cmp_ne_u32_e32 vcc, v70, v68
	v_mov_b64_e32 v[12:13], 0
	s_mov_b64 s[12:13], 0
	v_cndmask_b32_e64 v11, 0, 1, vcc
	v_cmp_gt_u32_e32 vcc, s84, v2
	s_mov_b64 s[0:1], 0
	v_mov_b64_e32 v[14:15], v[12:13]
	v_mov_b64_e32 v[16:17], v[12:13]
	;; [unrolled: 1-line block ×20, first 2 shown]
                                        ; implicit-def: $sgpr14_sgpr15
                                        ; implicit-def: $vgpr3
	s_and_saveexec_b64 s[10:11], vcc
	s_cbranch_execz .LBB1882_144
; %bb.103:
	ds_read2_b32 v[70:71], v1 offset0:1 offset1:2
	v_add_u32_e32 v2, 2, v73
	v_cmp_ne_u32_e32 vcc, v68, v69
	v_mov_b64_e32 v[14:15], 0
	s_mov_b64 s[16:17], 0
	v_cndmask_b32_e64 v13, 0, 1, vcc
	v_cmp_gt_u32_e32 vcc, s84, v2
	s_waitcnt lgkmcnt(0)
	v_mov_b32_e32 v12, v70
	v_mov_b64_e32 v[16:17], v[14:15]
	v_mov_b64_e32 v[18:19], v[14:15]
	;; [unrolled: 1-line block ×19, first 2 shown]
                                        ; implicit-def: $sgpr14_sgpr15
                                        ; implicit-def: $vgpr3
	s_and_saveexec_b64 s[12:13], vcc
	s_cbranch_execz .LBB1882_143
; %bb.104:
	v_add_u32_e32 v2, 3, v73
	v_cmp_ne_u32_e32 vcc, v69, v66
	v_mov_b64_e32 v[16:17], 0
	v_mov_b32_e32 v14, v71
	v_cndmask_b32_e64 v15, 0, 1, vcc
	v_cmp_gt_u32_e32 vcc, s84, v2
	v_mov_b64_e32 v[18:19], v[16:17]
	v_mov_b64_e32 v[20:21], v[16:17]
	;; [unrolled: 1-line block ×18, first 2 shown]
                                        ; implicit-def: $sgpr18_sgpr19
                                        ; implicit-def: $vgpr3
	s_and_saveexec_b64 s[14:15], vcc
	s_cbranch_execz .LBB1882_142
; %bb.105:
	ds_read2_b32 v[68:69], v1 offset0:3 offset1:4
	v_add_u32_e32 v2, 4, v73
	v_cmp_ne_u32_e32 vcc, v66, v67
	v_mov_b64_e32 v[18:19], 0
	s_mov_b64 s[20:21], 0
	v_cndmask_b32_e64 v17, 0, 1, vcc
	v_cmp_gt_u32_e32 vcc, s84, v2
	s_waitcnt lgkmcnt(0)
	v_mov_b32_e32 v16, v68
	v_mov_b64_e32 v[20:21], v[18:19]
	v_mov_b64_e32 v[22:23], v[18:19]
	;; [unrolled: 1-line block ×17, first 2 shown]
                                        ; implicit-def: $sgpr18_sgpr19
                                        ; implicit-def: $vgpr3
	s_and_saveexec_b64 s[16:17], vcc
	s_cbranch_execz .LBB1882_141
; %bb.106:
	v_add_u32_e32 v2, 5, v73
	v_cmp_ne_u32_e32 vcc, v67, v64
	v_mov_b64_e32 v[20:21], 0
	v_mov_b32_e32 v18, v69
	v_cndmask_b32_e64 v19, 0, 1, vcc
	v_cmp_gt_u32_e32 vcc, s84, v2
	v_mov_b64_e32 v[22:23], v[20:21]
	v_mov_b64_e32 v[24:25], v[20:21]
	;; [unrolled: 1-line block ×16, first 2 shown]
                                        ; implicit-def: $sgpr22_sgpr23
                                        ; implicit-def: $vgpr3
	s_and_saveexec_b64 s[18:19], vcc
	s_cbranch_execz .LBB1882_140
; %bb.107:
	ds_read2_b32 v[66:67], v1 offset0:5 offset1:6
	v_add_u32_e32 v2, 6, v73
	v_cmp_ne_u32_e32 vcc, v64, v65
	v_mov_b64_e32 v[22:23], 0
	s_mov_b64 s[24:25], 0
	v_cndmask_b32_e64 v21, 0, 1, vcc
	v_cmp_gt_u32_e32 vcc, s84, v2
	s_waitcnt lgkmcnt(0)
	v_mov_b32_e32 v20, v66
	v_mov_b64_e32 v[24:25], v[22:23]
	v_mov_b64_e32 v[26:27], v[22:23]
	;; [unrolled: 1-line block ×15, first 2 shown]
                                        ; implicit-def: $sgpr22_sgpr23
                                        ; implicit-def: $vgpr3
	s_and_saveexec_b64 s[20:21], vcc
	s_cbranch_execz .LBB1882_139
; %bb.108:
	v_add_u32_e32 v2, 7, v73
	v_cmp_ne_u32_e32 vcc, v65, v62
	v_mov_b64_e32 v[24:25], 0
	v_mov_b32_e32 v22, v67
	v_cndmask_b32_e64 v23, 0, 1, vcc
	v_cmp_gt_u32_e32 vcc, s84, v2
	v_mov_b64_e32 v[26:27], v[24:25]
	v_mov_b64_e32 v[28:29], v[24:25]
	;; [unrolled: 1-line block ×14, first 2 shown]
                                        ; implicit-def: $sgpr26_sgpr27
                                        ; implicit-def: $vgpr3
	s_and_saveexec_b64 s[22:23], vcc
	s_cbranch_execz .LBB1882_138
; %bb.109:
	ds_read2_b32 v[64:65], v1 offset0:7 offset1:8
	v_add_u32_e32 v2, 8, v73
	v_cmp_ne_u32_e32 vcc, v62, v63
	v_mov_b64_e32 v[26:27], 0
	s_mov_b64 s[28:29], 0
	v_cndmask_b32_e64 v25, 0, 1, vcc
	v_cmp_gt_u32_e32 vcc, s84, v2
	s_waitcnt lgkmcnt(0)
	v_mov_b32_e32 v24, v64
	v_mov_b64_e32 v[28:29], v[26:27]
	v_mov_b64_e32 v[30:31], v[26:27]
	;; [unrolled: 1-line block ×13, first 2 shown]
                                        ; implicit-def: $sgpr26_sgpr27
                                        ; implicit-def: $vgpr3
	s_and_saveexec_b64 s[24:25], vcc
	s_cbranch_execz .LBB1882_137
; %bb.110:
	v_add_u32_e32 v2, 9, v73
	v_cmp_ne_u32_e32 vcc, v63, v60
	v_mov_b64_e32 v[28:29], 0
	v_mov_b32_e32 v26, v65
	v_cndmask_b32_e64 v27, 0, 1, vcc
	v_cmp_gt_u32_e32 vcc, s84, v2
	v_mov_b64_e32 v[30:31], v[28:29]
	v_mov_b64_e32 v[32:33], v[28:29]
	;; [unrolled: 1-line block ×12, first 2 shown]
                                        ; implicit-def: $sgpr30_sgpr31
                                        ; implicit-def: $vgpr3
	s_and_saveexec_b64 s[26:27], vcc
	s_cbranch_execz .LBB1882_136
; %bb.111:
	ds_read2_b32 v[62:63], v1 offset0:9 offset1:10
	v_add_u32_e32 v2, 10, v73
	v_cmp_ne_u32_e32 vcc, v60, v61
	v_mov_b64_e32 v[30:31], 0
	s_mov_b64 s[34:35], 0
	v_cndmask_b32_e64 v29, 0, 1, vcc
	v_cmp_gt_u32_e32 vcc, s84, v2
	s_waitcnt lgkmcnt(0)
	v_mov_b32_e32 v28, v62
	v_mov_b64_e32 v[32:33], v[30:31]
	v_mov_b64_e32 v[34:35], v[30:31]
	;; [unrolled: 1-line block ×11, first 2 shown]
                                        ; implicit-def: $sgpr30_sgpr31
                                        ; implicit-def: $vgpr3
	s_and_saveexec_b64 s[28:29], vcc
	s_cbranch_execz .LBB1882_135
; %bb.112:
	v_add_u32_e32 v2, 11, v73
	v_cmp_ne_u32_e32 vcc, v61, v58
	v_mov_b64_e32 v[32:33], 0
	v_mov_b32_e32 v30, v63
	v_cndmask_b32_e64 v31, 0, 1, vcc
	v_cmp_gt_u32_e32 vcc, s84, v2
	v_mov_b64_e32 v[34:35], v[32:33]
	v_mov_b64_e32 v[36:37], v[32:33]
	;; [unrolled: 1-line block ×10, first 2 shown]
                                        ; implicit-def: $sgpr36_sgpr37
                                        ; implicit-def: $vgpr3
	s_and_saveexec_b64 s[30:31], vcc
	s_cbranch_execz .LBB1882_134
; %bb.113:
	ds_read2_b32 v[60:61], v1 offset0:11 offset1:12
	v_add_u32_e32 v2, 12, v73
	v_cmp_ne_u32_e32 vcc, v58, v59
	v_mov_b64_e32 v[34:35], 0
	s_mov_b64 s[38:39], 0
	v_cndmask_b32_e64 v33, 0, 1, vcc
	v_cmp_gt_u32_e32 vcc, s84, v2
	s_waitcnt lgkmcnt(0)
	v_mov_b32_e32 v32, v60
	v_mov_b64_e32 v[36:37], v[34:35]
	v_mov_b64_e32 v[38:39], v[34:35]
	v_mov_b64_e32 v[40:41], v[34:35]
	v_mov_b64_e32 v[42:43], v[34:35]
	v_mov_b64_e32 v[44:45], v[34:35]
	v_mov_b64_e32 v[46:47], v[34:35]
	v_mov_b64_e32 v[48:49], v[34:35]
	v_mov_b64_e32 v[50:51], v[34:35]
	v_mov_b64_e32 v[54:55], v[34:35]
                                        ; implicit-def: $sgpr36_sgpr37
                                        ; implicit-def: $vgpr3
	s_and_saveexec_b64 s[34:35], vcc
	s_cbranch_execz .LBB1882_133
; %bb.114:
	v_add_u32_e32 v2, 13, v73
	v_cmp_ne_u32_e32 vcc, v59, v56
	v_mov_b64_e32 v[36:37], 0
	v_mov_b32_e32 v34, v61
	v_cndmask_b32_e64 v35, 0, 1, vcc
	v_cmp_gt_u32_e32 vcc, s84, v2
	v_mov_b64_e32 v[38:39], v[36:37]
	v_mov_b64_e32 v[40:41], v[36:37]
	;; [unrolled: 1-line block ×8, first 2 shown]
                                        ; implicit-def: $sgpr40_sgpr41
                                        ; implicit-def: $vgpr3
	s_and_saveexec_b64 s[36:37], vcc
	s_cbranch_execz .LBB1882_132
; %bb.115:
	ds_read2_b32 v[58:59], v1 offset0:13 offset1:14
	v_add_u32_e32 v2, 14, v73
	v_cmp_ne_u32_e32 vcc, v56, v57
	v_mov_b64_e32 v[38:39], 0
	s_mov_b64 s[42:43], 0
	v_cndmask_b32_e64 v37, 0, 1, vcc
	v_cmp_gt_u32_e32 vcc, s84, v2
	s_waitcnt lgkmcnt(0)
	v_mov_b32_e32 v36, v58
	v_mov_b64_e32 v[40:41], v[38:39]
	v_mov_b64_e32 v[42:43], v[38:39]
	;; [unrolled: 1-line block ×7, first 2 shown]
                                        ; implicit-def: $sgpr40_sgpr41
                                        ; implicit-def: $vgpr3
	s_and_saveexec_b64 s[38:39], vcc
	s_cbranch_execz .LBB1882_131
; %bb.116:
	v_add_u32_e32 v2, 15, v73
	v_cmp_ne_u32_e32 vcc, v57, v52
	v_mov_b64_e32 v[40:41], 0
	v_mov_b32_e32 v38, v59
	v_cndmask_b32_e64 v39, 0, 1, vcc
	v_cmp_gt_u32_e32 vcc, s84, v2
	v_mov_b64_e32 v[42:43], v[40:41]
	v_mov_b64_e32 v[44:45], v[40:41]
	;; [unrolled: 1-line block ×6, first 2 shown]
                                        ; implicit-def: $sgpr44_sgpr45
                                        ; implicit-def: $vgpr3
	s_and_saveexec_b64 s[40:41], vcc
	s_cbranch_execz .LBB1882_130
; %bb.117:
	ds_read2_b32 v[56:57], v1 offset0:15 offset1:16
	v_add_u32_e32 v2, 16, v73
	v_cmp_ne_u32_e32 vcc, v52, v53
	v_mov_b64_e32 v[42:43], 0
	s_mov_b64 s[46:47], 0
	v_cndmask_b32_e64 v41, 0, 1, vcc
	v_cmp_gt_u32_e32 vcc, s84, v2
	s_waitcnt lgkmcnt(0)
	v_mov_b32_e32 v40, v56
	v_mov_b64_e32 v[44:45], v[42:43]
	v_mov_b64_e32 v[46:47], v[42:43]
	;; [unrolled: 1-line block ×5, first 2 shown]
                                        ; implicit-def: $sgpr44_sgpr45
                                        ; implicit-def: $vgpr3
	s_and_saveexec_b64 s[42:43], vcc
	s_cbranch_execz .LBB1882_129
; %bb.118:
	v_add_u32_e32 v2, 17, v73
	v_cmp_ne_u32_e32 vcc, v53, v8
	v_mov_b64_e32 v[44:45], 0
	v_mov_b32_e32 v42, v57
	v_cndmask_b32_e64 v43, 0, 1, vcc
	v_cmp_gt_u32_e32 vcc, s84, v2
	v_mov_b64_e32 v[46:47], v[44:45]
	v_mov_b64_e32 v[48:49], v[44:45]
	;; [unrolled: 1-line block ×4, first 2 shown]
                                        ; implicit-def: $sgpr48_sgpr49
                                        ; implicit-def: $vgpr3
	s_and_saveexec_b64 s[44:45], vcc
	s_cbranch_execz .LBB1882_128
; %bb.119:
	ds_read2_b32 v[52:53], v1 offset0:17 offset1:18
	v_add_u32_e32 v2, 18, v73
	v_cmp_ne_u32_e32 vcc, v8, v9
	v_mov_b64_e32 v[46:47], 0
	s_mov_b64 s[50:51], 0
	v_cndmask_b32_e64 v45, 0, 1, vcc
	v_cmp_gt_u32_e32 vcc, s84, v2
	s_waitcnt lgkmcnt(0)
	v_mov_b32_e32 v44, v52
	v_mov_b64_e32 v[48:49], v[46:47]
	v_mov_b64_e32 v[50:51], v[46:47]
	;; [unrolled: 1-line block ×3, first 2 shown]
                                        ; implicit-def: $sgpr48_sgpr49
                                        ; implicit-def: $vgpr3
	s_and_saveexec_b64 s[46:47], vcc
	s_cbranch_execz .LBB1882_127
; %bb.120:
	v_add_u32_e32 v2, 19, v73
	v_cmp_ne_u32_e32 vcc, v9, v6
	v_mov_b64_e32 v[48:49], 0
	v_mov_b32_e32 v46, v53
	v_cndmask_b32_e64 v47, 0, 1, vcc
	v_cmp_gt_u32_e32 vcc, s84, v2
	v_mov_b64_e32 v[50:51], v[48:49]
	v_mov_b64_e32 v[54:55], v[48:49]
                                        ; implicit-def: $sgpr52_sgpr53
                                        ; implicit-def: $vgpr3
	s_and_saveexec_b64 s[48:49], vcc
	s_cbranch_execz .LBB1882_126
; %bb.121:
	ds_read2_b32 v[8:9], v1 offset0:19 offset1:20
	v_add_u32_e32 v2, 20, v73
	v_cmp_ne_u32_e32 vcc, v6, v7
	v_mov_b64_e32 v[50:51], 0
	s_mov_b64 s[52:53], 0
	v_cndmask_b32_e64 v49, 0, 1, vcc
	v_cmp_gt_u32_e32 vcc, s84, v2
	s_waitcnt lgkmcnt(0)
	v_mov_b32_e32 v48, v8
	v_mov_b64_e32 v[54:55], v[50:51]
                                        ; implicit-def: $sgpr64_sgpr65
                                        ; implicit-def: $vgpr3
	s_and_saveexec_b64 s[50:51], vcc
	s_cbranch_execz .LBB1882_125
; %bb.122:
	v_add_u32_e32 v2, 21, v73
	v_cmp_ne_u32_e32 vcc, v7, v4
	v_mov_b32_e32 v50, v9
	v_mov_b64_e32 v[54:55], 0
	v_cndmask_b32_e64 v51, 0, 1, vcc
	v_cmp_gt_u32_e32 vcc, s84, v2
                                        ; implicit-def: $sgpr64_sgpr65
                                        ; implicit-def: $vgpr3
	s_and_saveexec_b64 s[0:1], vcc
	s_xor_b64 s[82:83], exec, s[0:1]
	s_cbranch_execz .LBB1882_124
; %bb.123:
	ds_read2_b32 v[2:3], v1 offset0:21 offset1:22
	v_add_u32_e32 v1, 22, v73
	v_cmp_ne_u32_e64 s[0:1], v4, v5
	v_cmp_ne_u32_e32 vcc, v5, v72
	s_and_b64 s[64:65], vcc, exec
	v_cndmask_b32_e64 v55, 0, 1, s[0:1]
	v_cmp_gt_u32_e64 s[0:1], s84, v1
	s_waitcnt lgkmcnt(0)
	v_mov_b32_e32 v54, v2
	s_and_b64 s[52:53], s[0:1], exec
.LBB1882_124:
	s_or_b64 exec, exec, s[82:83]
	s_and_b64 s[64:65], s[64:65], exec
	s_and_b64 s[0:1], s[52:53], exec
.LBB1882_125:
	s_or_b64 exec, exec, s[50:51]
	s_and_b64 s[52:53], s[64:65], exec
	s_and_b64 s[50:51], s[0:1], exec
.LBB1882_126:
	s_or_b64 exec, exec, s[48:49]
	s_and_b64 s[48:49], s[52:53], exec
	s_and_b64 s[0:1], s[50:51], exec
.LBB1882_127:
	s_or_b64 exec, exec, s[46:47]
	s_and_b64 s[48:49], s[48:49], exec
	s_and_b64 s[46:47], s[0:1], exec
.LBB1882_128:
	s_or_b64 exec, exec, s[44:45]
	s_and_b64 s[44:45], s[48:49], exec
	s_and_b64 s[0:1], s[46:47], exec
.LBB1882_129:
	s_or_b64 exec, exec, s[42:43]
	s_and_b64 s[44:45], s[44:45], exec
	s_and_b64 s[42:43], s[0:1], exec
.LBB1882_130:
	s_or_b64 exec, exec, s[40:41]
	s_and_b64 s[40:41], s[44:45], exec
	s_and_b64 s[0:1], s[42:43], exec
.LBB1882_131:
	s_or_b64 exec, exec, s[38:39]
	s_and_b64 s[40:41], s[40:41], exec
	s_and_b64 s[38:39], s[0:1], exec
.LBB1882_132:
	s_or_b64 exec, exec, s[36:37]
	s_and_b64 s[36:37], s[40:41], exec
	s_and_b64 s[0:1], s[38:39], exec
.LBB1882_133:
	s_or_b64 exec, exec, s[34:35]
	s_and_b64 s[36:37], s[36:37], exec
	s_and_b64 s[34:35], s[0:1], exec
.LBB1882_134:
	s_or_b64 exec, exec, s[30:31]
	s_and_b64 s[30:31], s[36:37], exec
	s_and_b64 s[0:1], s[34:35], exec
.LBB1882_135:
	s_or_b64 exec, exec, s[28:29]
	s_and_b64 s[30:31], s[30:31], exec
	s_and_b64 s[28:29], s[0:1], exec
.LBB1882_136:
	s_or_b64 exec, exec, s[26:27]
	s_and_b64 s[26:27], s[30:31], exec
	s_and_b64 s[0:1], s[28:29], exec
.LBB1882_137:
	s_or_b64 exec, exec, s[24:25]
	s_and_b64 s[26:27], s[26:27], exec
	s_and_b64 s[24:25], s[0:1], exec
.LBB1882_138:
	s_or_b64 exec, exec, s[22:23]
	s_and_b64 s[22:23], s[26:27], exec
	s_and_b64 s[0:1], s[24:25], exec
.LBB1882_139:
	s_or_b64 exec, exec, s[20:21]
	s_and_b64 s[22:23], s[22:23], exec
	s_and_b64 s[20:21], s[0:1], exec
.LBB1882_140:
	s_or_b64 exec, exec, s[18:19]
	s_and_b64 s[18:19], s[22:23], exec
	s_and_b64 s[0:1], s[20:21], exec
.LBB1882_141:
	s_or_b64 exec, exec, s[16:17]
	s_and_b64 s[18:19], s[18:19], exec
	s_and_b64 s[16:17], s[0:1], exec
.LBB1882_142:
	s_or_b64 exec, exec, s[14:15]
	s_and_b64 s[14:15], s[18:19], exec
	s_and_b64 s[0:1], s[16:17], exec
.LBB1882_143:
	s_or_b64 exec, exec, s[12:13]
	s_and_b64 s[14:15], s[14:15], exec
	s_and_b64 s[12:13], s[0:1], exec
.LBB1882_144:
	s_or_b64 exec, exec, s[10:11]
	s_and_b64 s[0:1], s[14:15], exec
	s_and_b64 s[10:11], s[12:13], exec
.LBB1882_145:
	s_or_b64 exec, exec, s[8:9]
	s_mov_b64 s[8:9], 0
	s_and_b64 vcc, exec, s[6:7]
	v_lshlrev_b32_e32 v52, 2, v0
	s_cbranch_vccnz .LBB1882_147
	s_branch .LBB1882_155
.LBB1882_146:
                                        ; implicit-def: $sgpr0_sgpr1
                                        ; implicit-def: $vgpr3
                                        ; implicit-def: $vgpr10_vgpr11
                                        ; implicit-def: $vgpr12_vgpr13
                                        ; implicit-def: $vgpr14_vgpr15
                                        ; implicit-def: $vgpr16_vgpr17
                                        ; implicit-def: $vgpr18_vgpr19
                                        ; implicit-def: $vgpr20_vgpr21
                                        ; implicit-def: $vgpr22_vgpr23
                                        ; implicit-def: $vgpr24_vgpr25
                                        ; implicit-def: $vgpr26_vgpr27
                                        ; implicit-def: $vgpr28_vgpr29
                                        ; implicit-def: $vgpr30_vgpr31
                                        ; implicit-def: $vgpr32_vgpr33
                                        ; implicit-def: $vgpr34_vgpr35
                                        ; implicit-def: $vgpr36_vgpr37
                                        ; implicit-def: $vgpr38_vgpr39
                                        ; implicit-def: $vgpr40_vgpr41
                                        ; implicit-def: $vgpr42_vgpr43
                                        ; implicit-def: $vgpr44_vgpr45
                                        ; implicit-def: $vgpr46_vgpr47
                                        ; implicit-def: $vgpr48_vgpr49
                                        ; implicit-def: $vgpr50_vgpr51
                                        ; implicit-def: $vgpr54_vgpr55
                                        ; implicit-def: $sgpr8_sgpr9
	s_and_b64 vcc, exec, s[6:7]
	v_lshlrev_b32_e32 v52, 2, v0
	s_cbranch_vccz .LBB1882_155
.LBB1882_147:
	v_mov_b32_e32 v53, 0
	v_lshl_add_u64 v[2:3], s[68:69], 0, v[52:53]
	v_add_co_u32_e32 v4, vcc, 0x1000, v2
	s_movk_i32 s0, 0x58
	s_nop 0
	v_addc_co_u32_e32 v5, vcc, 0, v3, vcc
	flat_load_dword v8, v[2:3]
	flat_load_dword v9, v[2:3] offset:1024
	s_waitcnt lgkmcnt(0)
	flat_load_dword v10, v[2:3] offset:2048
	flat_load_dword v11, v[2:3] offset:3072
	flat_load_dword v12, v[4:5]
	flat_load_dword v13, v[4:5] offset:1024
	flat_load_dword v14, v[4:5] offset:2048
	flat_load_dword v15, v[4:5] offset:3072
	v_add_co_u32_e32 v4, vcc, 0x2000, v2
	v_mad_u32_u24 v1, v0, s0, v52
	s_nop 0
	v_addc_co_u32_e32 v5, vcc, 0, v3, vcc
	v_add_co_u32_e32 v6, vcc, 0x3000, v2
	s_cmp_eq_u64 s[80:81], 0
	s_nop 0
	v_addc_co_u32_e32 v7, vcc, 0, v3, vcc
	flat_load_dword v16, v[4:5]
	flat_load_dword v17, v[4:5] offset:1024
	flat_load_dword v18, v[4:5] offset:2048
	;; [unrolled: 1-line block ×3, first 2 shown]
	flat_load_dword v20, v[6:7]
	flat_load_dword v21, v[6:7] offset:1024
	flat_load_dword v22, v[6:7] offset:2048
	;; [unrolled: 1-line block ×3, first 2 shown]
	v_add_co_u32_e32 v4, vcc, 0x4000, v2
	s_nop 1
	v_addc_co_u32_e32 v5, vcc, 0, v3, vcc
	v_add_co_u32_e32 v2, vcc, 0x5000, v2
	s_nop 1
	v_addc_co_u32_e32 v3, vcc, 0, v3, vcc
	flat_load_dword v6, v[4:5]
	flat_load_dword v7, v[4:5] offset:1024
	flat_load_dword v24, v[4:5] offset:2048
	;; [unrolled: 1-line block ×3, first 2 shown]
	flat_load_dword v26, v[2:3]
	flat_load_dword v27, v[2:3] offset:1024
	flat_load_dword v28, v[2:3] offset:2048
	s_waitcnt vmcnt(0)
	ds_write2st64_b32 v52, v8, v9 offset1:4
	s_waitcnt lgkmcnt(0)
	ds_write2st64_b32 v52, v10, v11 offset0:8 offset1:12
	ds_write2st64_b32 v52, v12, v13 offset0:16 offset1:20
	;; [unrolled: 1-line block ×10, first 2 shown]
	ds_write_b32 v52, v28 offset:22528
	s_waitcnt lgkmcnt(0)
	s_barrier
	ds_read2_b32 v[2:3], v1 offset1:1
	ds_read2_b32 v[18:19], v1 offset0:2 offset1:3
	ds_read2_b32 v[22:23], v1 offset0:4 offset1:5
	;; [unrolled: 1-line block ×10, first 2 shown]
	ds_read_b32 v10, v1 offset:88
	s_cbranch_scc1 .LBB1882_152
; %bb.148:
	s_andn2_b64 vcc, exec, s[78:79]
	s_cbranch_vccnz .LBB1882_314
; %bb.149:
	s_lshl_b64 s[0:1], s[80:81], 2
	s_add_u32 s0, s70, s0
	s_addc_u32 s1, s71, s1
	s_add_u32 s0, s0, -4
	s_addc_u32 s1, s1, -1
	s_cbranch_execnz .LBB1882_151
.LBB1882_150:
	s_add_u32 s0, s68, -4
	s_addc_u32 s1, s69, -1
.LBB1882_151:
	s_mov_b64 s[68:69], s[0:1]
.LBB1882_152:
	v_mov_b64_e32 v[12:13], s[68:69]
	flat_load_dword v11, v[12:13]
	s_movk_i32 s0, 0xffa8
	v_mad_i32_i24 v12, v0, s0, v1
	s_waitcnt lgkmcnt(0)
	ds_write_b32 v12, v10 offset:23552
	s_waitcnt lgkmcnt(0)
	s_barrier
	s_and_saveexec_b64 s[0:1], s[4:5]
	s_cbranch_execz .LBB1882_154
; %bb.153:
	s_waitcnt vmcnt(0)
	v_mul_i32_i24_e32 v11, 0xffffffa8, v0
	v_add_u32_e32 v11, v1, v11
	ds_read_b32 v11, v11 offset:23548
.LBB1882_154:
	s_or_b64 exec, exec, s[0:1]
	v_mov_b32_e32 v53, 0
	v_lshl_add_u64 v[12:13], s[60:61], 0, v[52:53]
	s_movk_i32 s0, 0x1000
	v_add_co_u32_e32 v14, vcc, s0, v12
	s_movk_i32 s0, 0x2000
	s_nop 0
	v_addc_co_u32_e32 v15, vcc, 0, v13, vcc
	s_waitcnt lgkmcnt(0)
	s_barrier
	flat_load_dword v20, v[12:13]
	flat_load_dword v21, v[12:13] offset:1024
	flat_load_dword v24, v[12:13] offset:2048
	;; [unrolled: 1-line block ×3, first 2 shown]
	flat_load_dword v28, v[14:15]
	flat_load_dword v29, v[14:15] offset:1024
	flat_load_dword v32, v[14:15] offset:2048
	;; [unrolled: 1-line block ×3, first 2 shown]
	v_add_co_u32_e32 v14, vcc, s0, v12
	s_movk_i32 s0, 0x3000
	s_nop 0
	v_addc_co_u32_e32 v15, vcc, 0, v13, vcc
	v_add_co_u32_e32 v16, vcc, s0, v12
	s_movk_i32 s0, 0x4000
	s_nop 0
	v_addc_co_u32_e32 v17, vcc, 0, v13, vcc
	flat_load_dword v36, v[14:15]
	flat_load_dword v37, v[14:15] offset:1024
	flat_load_dword v40, v[14:15] offset:2048
	;; [unrolled: 1-line block ×3, first 2 shown]
	flat_load_dword v44, v[16:17]
	flat_load_dword v45, v[16:17] offset:1024
	flat_load_dword v46, v[16:17] offset:2048
	;; [unrolled: 1-line block ×3, first 2 shown]
	v_add_co_u32_e32 v14, vcc, s0, v12
	s_movk_i32 s0, 0x5000
	s_nop 0
	v_addc_co_u32_e32 v15, vcc, 0, v13, vcc
	v_add_co_u32_e32 v12, vcc, s0, v12
	v_cmp_ne_u32_e64 s[0:1], v5, v10
	s_nop 0
	v_addc_co_u32_e32 v13, vcc, 0, v13, vcc
	flat_load_dword v16, v[14:15]
	flat_load_dword v17, v[14:15] offset:1024
	flat_load_dword v48, v[14:15] offset:2048
	;; [unrolled: 1-line block ×3, first 2 shown]
	flat_load_dword v50, v[12:13]
	flat_load_dword v51, v[12:13] offset:1024
	flat_load_dword v53, v[12:13] offset:2048
	s_waitcnt vmcnt(0)
	v_cmp_ne_u32_e32 vcc, v11, v2
	s_mov_b64 s[10:11], -1
                                        ; implicit-def: $sgpr8_sgpr9
	s_waitcnt lgkmcnt(0)
	ds_write2st64_b32 v52, v20, v21 offset1:4
	ds_write2st64_b32 v52, v24, v25 offset0:8 offset1:12
	ds_write2st64_b32 v52, v28, v29 offset0:16 offset1:20
	;; [unrolled: 1-line block ×10, first 2 shown]
	ds_write_b32 v52, v53 offset:22528
	v_cndmask_b32_e64 v11, 0, 1, vcc
	v_cmp_ne_u32_e32 vcc, v2, v3
	s_waitcnt lgkmcnt(0)
	s_barrier
	v_cndmask_b32_e64 v13, 0, 1, vcc
	v_cmp_ne_u32_e32 vcc, v3, v18
	ds_read2_b32 v[16:17], v1 offset1:1
	ds_read2_b32 v[20:21], v1 offset0:2 offset1:3
	ds_read2_b32 v[24:25], v1 offset0:4 offset1:5
	;; [unrolled: 1-line block ×10, first 2 shown]
	ds_read_b32 v3, v1 offset:88
	v_cndmask_b32_e64 v15, 0, 1, vcc
	v_cmp_ne_u32_e32 vcc, v18, v19
	s_waitcnt lgkmcnt(11)
	v_mov_b32_e32 v12, v17
	v_mov_b32_e32 v10, v16
	v_cndmask_b32_e64 v17, 0, 1, vcc
	v_cmp_ne_u32_e32 vcc, v19, v22
	s_waitcnt lgkmcnt(10)
	v_mov_b32_e32 v16, v21
	v_mov_b32_e32 v14, v20
	;; [unrolled: 5-line block ×5, first 2 shown]
	v_cndmask_b32_e64 v25, 0, 1, vcc
	v_cmp_ne_u32_e32 vcc, v27, v30
	s_waitcnt lgkmcnt(6)
	v_mov_b32_e32 v32, v37
	s_waitcnt lgkmcnt(2)
	v_mov_b32_e32 v48, v51
	v_cndmask_b32_e64 v27, 0, 1, vcc
	v_cmp_ne_u32_e32 vcc, v30, v31
	v_mov_b32_e32 v30, v36
	v_mov_b32_e32 v36, v41
	v_cndmask_b32_e64 v29, 0, 1, vcc
	v_cmp_ne_u32_e32 vcc, v31, v34
	s_waitcnt lgkmcnt(1)
	v_mov_b32_e32 v54, v57
	v_cndmask_b32_e64 v31, 0, 1, vcc
	v_cmp_ne_u32_e32 vcc, v34, v35
	v_mov_b32_e32 v34, v40
	v_mov_b32_e32 v40, v45
	v_cndmask_b32_e64 v33, 0, 1, vcc
	v_cmp_ne_u32_e32 vcc, v35, v38
	s_nop 1
	v_cndmask_b32_e64 v35, 0, 1, vcc
	v_cmp_ne_u32_e32 vcc, v38, v39
	v_mov_b32_e32 v38, v44
	v_mov_b32_e32 v44, v47
	v_cndmask_b32_e64 v37, 0, 1, vcc
	v_cmp_ne_u32_e32 vcc, v39, v42
	s_nop 1
	v_cndmask_b32_e64 v39, 0, 1, vcc
	v_cmp_ne_u32_e32 vcc, v42, v43
	v_mov_b32_e32 v42, v46
	v_mov_b32_e32 v46, v50
	v_cndmask_b32_e64 v41, 0, 1, vcc
	v_cmp_ne_u32_e32 vcc, v43, v8
	v_mov_b32_e32 v50, v56
	s_nop 0
	v_cndmask_b32_e64 v43, 0, 1, vcc
	v_cmp_ne_u32_e32 vcc, v8, v9
	s_nop 1
	v_cndmask_b32_e64 v45, 0, 1, vcc
	v_cmp_ne_u32_e32 vcc, v9, v6
	;; [unrolled: 3-line block ×5, first 2 shown]
	s_nop 1
	v_cndmask_b32_e64 v55, 0, 1, vcc
.LBB1882_155:
	v_mov_b64_e32 v[56:57], s[8:9]
	s_and_saveexec_b64 s[6:7], s[10:11]
	s_cbranch_execz .LBB1882_157
; %bb.156:
	v_cndmask_b32_e64 v57, 0, 1, s[0:1]
	s_waitcnt lgkmcnt(0)
	v_mov_b32_e32 v56, v3
.LBB1882_157:
	s_or_b64 exec, exec, s[6:7]
	s_mov_b32 s0, 0
	s_cmp_lg_u32 s75, 0
	v_or_b32_e32 v53, v57, v55
	v_lshrrev_b32_e32 v1, 5, v0
	v_cmp_gt_u32_e32 vcc, 64, v0
	s_waitcnt lgkmcnt(0)
	s_barrier
	s_cbranch_scc0 .LBB1882_196
; %bb.158:
	s_mov_b32 s1, 1
	v_cmp_gt_u64_e64 s[6:7], s[0:1], v[12:13]
	v_cmp_gt_u64_e64 s[8:9], s[0:1], v[14:15]
	v_cmp_gt_u64_e64 s[10:11], s[0:1], v[16:17]
	v_cndmask_b32_e64 v2, 0, v10, s[6:7]
	v_add_u32_e32 v2, v2, v12
	v_cndmask_b32_e64 v2, 0, v2, s[8:9]
	v_add_u32_e32 v2, v2, v14
	v_cndmask_b32_e64 v2, 0, v2, s[10:11]
	v_add_u32_e32 v2, v2, v16
	v_cmp_gt_u64_e64 s[12:13], s[0:1], v[18:19]
	v_cmp_gt_u64_e64 s[14:15], s[0:1], v[20:21]
	v_cmp_gt_u64_e64 s[16:17], s[0:1], v[22:23]
	v_cndmask_b32_e64 v2, 0, v2, s[12:13]
	v_add_u32_e32 v2, v2, v18
	v_cndmask_b32_e64 v2, 0, v2, s[14:15]
	v_add_u32_e32 v2, v2, v20
	v_cndmask_b32_e64 v2, 0, v2, s[16:17]
	v_add_u32_e32 v2, v2, v22
	;; [unrolled: 9-line block ×7, first 2 shown]
	v_cmp_gt_u64_e64 s[50:51], s[0:1], v[56:57]
	s_nop 1
	v_cndmask_b32_e64 v2, 0, v2, s[50:51]
	v_add_u32_e32 v62, v2, v56
	v_or3_b32 v2, v53, v51, v49
	v_or3_b32 v2, v2, v47, v45
	;; [unrolled: 1-line block ×10, first 2 shown]
	v_and_b32_e32 v2, 1, v2
	v_cmp_eq_u32_e64 s[0:1], 1, v2
	v_add_lshl_u32 v2, v1, v0, 3
	s_nop 0
	v_cndmask_b32_e64 v63, v11, 1, s[0:1]
	ds_write_b32 v2, v62
	ds_write_b8 v2, v63 offset:4
	s_waitcnt lgkmcnt(0)
	s_barrier
	s_and_saveexec_b64 s[52:53], vcc
	s_cbranch_execz .LBB1882_170
; %bb.159:
	v_lshrrev_b32_e32 v2, 3, v0
	v_add_lshl_u32 v4, v2, v52, 3
	ds_read2_b32 v[6:7], v4 offset0:2 offset1:4
	ds_read_b64 v[2:3], v4
	ds_read_u8 v8, v4 offset:12
	ds_read_u8 v9, v4 offset:20
	ds_read_b32 v58, v4 offset:24
	ds_read_u8 v59, v4 offset:28
	v_mov_b32_e32 v60, 0
	s_waitcnt lgkmcnt(3)
	v_cmp_eq_u16_sdwa s[0:1], v8, v60 src0_sel:BYTE_0 src1_sel:DWORD
	v_and_b32_e32 v5, 1, v3
	s_nop 0
	v_cndmask_b32_e64 v61, 0, v2, s[0:1]
	v_add_u32_e32 v6, v61, v6
	s_waitcnt lgkmcnt(2)
	v_cmp_eq_u16_sdwa s[0:1], v9, v60 src0_sel:BYTE_0 src1_sel:DWORD
	s_nop 1
	v_cndmask_b32_e64 v6, 0, v6, s[0:1]
	v_add_u32_e32 v6, v6, v7
	s_waitcnt lgkmcnt(0)
	v_cmp_eq_u16_e64 s[0:1], 0, v59
	s_nop 1
	v_cndmask_b32_e64 v6, 0, v6, s[0:1]
	v_add_u32_e32 v7, v6, v58
	v_or_b32_e32 v6, v59, v9
	v_or_b32_e32 v6, v6, v8
	v_and_b32_e32 v6, 1, v6
	v_cmp_eq_u32_e64 s[0:1], 1, v6
	v_mbcnt_lo_u32_b32 v8, -1, 0
	v_and_b32_e32 v6, 0xffffff00, v3
	v_cndmask_b32_e64 v9, v5, 1, s[0:1]
	v_mbcnt_hi_u32_b32 v8, -1, v8
	v_and_b32_e32 v59, 15, v8
	v_or_b32_sdwa v58, v6, v9 dst_sel:DWORD dst_unused:UNUSED_PAD src0_sel:DWORD src1_sel:WORD_0
	v_mov_b32_dpp v60, v7 row_shr:1 row_mask:0xf bank_mask:0xf
	v_cmp_ne_u32_e64 s[0:1], 0, v59
	v_mov_b32_dpp v61, v58 row_shr:1 row_mask:0xf bank_mask:0xf
	s_and_saveexec_b64 s[60:61], s[0:1]
; %bb.160:
	v_and_b32_e32 v58, 1, v9
	v_and_b32_e32 v61, 1, v61
	v_cmp_eq_u32_e64 s[0:1], 1, v58
	s_nop 1
	v_cndmask_b32_e64 v61, v61, 1, s[0:1]
	v_cmp_eq_u16_e64 s[0:1], 0, v9
	v_or_b32_sdwa v58, v6, v61 dst_sel:DWORD dst_unused:UNUSED_PAD src0_sel:DWORD src1_sel:WORD_0
	s_nop 0
	v_cndmask_b32_e64 v9, 0, v60, s[0:1]
	v_add_u32_e32 v7, v9, v7
	v_mov_b32_e32 v9, v61
; %bb.161:
	s_or_b64 exec, exec, s[60:61]
	v_mov_b32_dpp v60, v7 row_shr:2 row_mask:0xf bank_mask:0xf
	v_mov_b32_dpp v61, v58 row_shr:2 row_mask:0xf bank_mask:0xf
	v_cmp_lt_u32_e64 s[0:1], 1, v59
	s_and_saveexec_b64 s[60:61], s[0:1]
; %bb.162:
	v_and_b32_e32 v58, 1, v9
	v_and_b32_e32 v61, 1, v61
	v_cmp_eq_u32_e64 s[0:1], 1, v58
	s_nop 1
	v_cndmask_b32_e64 v61, v61, 1, s[0:1]
	v_cmp_eq_u16_e64 s[0:1], 0, v9
	v_or_b32_sdwa v58, v6, v61 dst_sel:DWORD dst_unused:UNUSED_PAD src0_sel:DWORD src1_sel:WORD_0
	s_nop 0
	v_cndmask_b32_e64 v9, 0, v60, s[0:1]
	v_add_u32_e32 v7, v9, v7
	v_mov_b32_e32 v9, v61
; %bb.163:
	s_or_b64 exec, exec, s[60:61]
	v_mov_b32_dpp v60, v7 row_shr:4 row_mask:0xf bank_mask:0xf
	v_mov_b32_dpp v61, v58 row_shr:4 row_mask:0xf bank_mask:0xf
	v_cmp_lt_u32_e64 s[0:1], 3, v59
	;; [unrolled: 18-line block ×3, first 2 shown]
	s_and_saveexec_b64 s[60:61], s[0:1]
; %bb.166:
	v_and_b32_e32 v58, 1, v9
	v_and_b32_e32 v59, 1, v61
	v_cmp_eq_u32_e64 s[0:1], 1, v58
	s_nop 1
	v_cndmask_b32_e64 v59, v59, 1, s[0:1]
	v_cmp_eq_u16_e64 s[0:1], 0, v9
	v_or_b32_sdwa v58, v6, v59 dst_sel:DWORD dst_unused:UNUSED_PAD src0_sel:DWORD src1_sel:WORD_0
	s_nop 0
	v_cndmask_b32_e64 v9, 0, v60, s[0:1]
	v_add_u32_e32 v7, v9, v7
	v_mov_b32_e32 v9, v59
; %bb.167:
	s_or_b64 exec, exec, s[60:61]
	v_and_b32_e32 v61, 16, v8
	v_mov_b32_dpp v59, v7 row_bcast:15 row_mask:0xf bank_mask:0xf
	v_mov_b32_dpp v60, v58 row_bcast:15 row_mask:0xf bank_mask:0xf
	v_cmp_ne_u32_e64 s[0:1], 0, v61
	s_and_saveexec_b64 s[60:61], s[0:1]
; %bb.168:
	v_and_b32_e32 v58, 1, v9
	v_and_b32_e32 v60, 1, v60
	v_cmp_eq_u32_e64 s[0:1], 1, v58
	s_nop 1
	v_cndmask_b32_e64 v60, v60, 1, s[0:1]
	v_cmp_eq_u16_e64 s[0:1], 0, v9
	v_or_b32_sdwa v58, v6, v60 dst_sel:DWORD dst_unused:UNUSED_PAD src0_sel:DWORD src1_sel:WORD_0
	s_nop 0
	v_cndmask_b32_e64 v9, 0, v59, s[0:1]
	v_add_u32_e32 v7, v9, v7
	v_mov_b32_e32 v9, v60
; %bb.169:
	s_or_b64 exec, exec, s[60:61]
	v_mov_b32_dpp v58, v58 row_bcast:31 row_mask:0xf bank_mask:0xf
	v_and_b32_e32 v60, 1, v9
	v_and_b32_e32 v58, 1, v58
	v_cmp_eq_u32_e64 s[0:1], 1, v60
	v_mov_b32_e32 v60, 0
	v_cmp_eq_u16_sdwa s[60:61], v9, v60 src0_sel:BYTE_0 src1_sel:DWORD
	v_cndmask_b32_e64 v58, v58, 1, s[0:1]
	v_cmp_lt_u32_e64 s[0:1], 31, v8
	v_mov_b32_dpp v59, v7 row_bcast:31 row_mask:0xf bank_mask:0xf
	s_movk_i32 s64, 0xff
	v_cndmask_b32_e64 v9, v9, v58, s[0:1]
	s_and_b64 s[0:1], s[0:1], s[60:61]
	v_cndmask_b32_e64 v58, 0, v59, s[0:1]
	v_add_u32_e32 v7, v58, v7
	v_add_u32_e32 v58, -1, v8
	v_and_b32_e32 v59, 64, v8
	v_cmp_lt_i32_e64 s[0:1], v58, v59
	v_and_or_b32 v6, v9, s64, v6
	s_nop 0
	v_cndmask_b32_e64 v8, v58, v8, s[0:1]
	v_lshlrev_b32_e32 v8, 2, v8
	ds_bpermute_b32 v7, v8, v7
	ds_bpermute_b32 v6, v8, v6
	v_cmp_eq_u16_sdwa s[0:1], v3, v60 src0_sel:BYTE_0 src1_sel:DWORD
	; wave barrier
	s_waitcnt lgkmcnt(1)
	s_nop 0
	v_cndmask_b32_e64 v3, 0, v7, s[0:1]
	v_add_u32_e32 v2, v3, v2
	s_waitcnt lgkmcnt(0)
	v_and_b32_e32 v3, 1, v6
	v_cmp_eq_u32_e64 s[0:1], 1, v5
	v_cndmask_b32_e64 v5, v2, v62, s[54:55]
	s_nop 0
	v_cndmask_b32_e64 v3, v3, 1, s[0:1]
	v_cndmask_b32_e64 v6, v3, v63, s[54:55]
	ds_write_b32 v4, v5
	ds_write_b8 v4, v6 offset:4
	; wave barrier
	ds_read_u8 v7, v4 offset:12
	ds_read2_b32 v[2:3], v4 offset0:2 offset1:4
	ds_read_u8 v8, v4 offset:20
	ds_read_b32 v9, v4 offset:24
	ds_read_u8 v58, v4 offset:28
	s_waitcnt lgkmcnt(4)
	v_cmp_eq_u16_e64 s[0:1], 0, v7
	s_nop 1
	v_cndmask_b32_e64 v5, 0, v5, s[0:1]
	s_waitcnt lgkmcnt(3)
	v_add_u32_e32 v2, v5, v2
	v_and_b32_e32 v5, 1, v7
	v_cmp_eq_u32_e64 s[0:1], 1, v5
	s_nop 1
	v_cndmask_b32_e64 v5, v6, 1, s[0:1]
	s_waitcnt lgkmcnt(2)
	v_cmp_eq_u16_e64 s[0:1], 0, v8
	ds_write_b8 v4, v5 offset:12
	s_nop 0
	v_cndmask_b32_e64 v6, 0, v2, s[0:1]
	v_add_u32_e32 v3, v6, v3
	v_and_b32_e32 v6, 1, v8
	v_cmp_eq_u32_e64 s[0:1], 1, v6
	s_nop 1
	v_cndmask_b32_e64 v5, v5, 1, s[0:1]
	s_waitcnt lgkmcnt(1)
	v_cmp_eq_u16_e64 s[0:1], 0, v58
	ds_write2_b32 v4, v2, v3 offset0:2 offset1:4
	ds_write_b8 v4, v5 offset:20
	v_cndmask_b32_e64 v2, 0, v3, s[0:1]
	v_and_b32_e32 v3, 1, v58
	v_add_u32_e32 v2, v2, v9
	v_cmp_eq_u32_e64 s[0:1], 1, v3
	s_nop 1
	v_cndmask_b32_e64 v3, v5, 1, s[0:1]
	ds_write_b32 v4, v2 offset:24
	ds_write_b8 v4, v3 offset:28
.LBB1882_170:
	s_or_b64 exec, exec, s[52:53]
	s_waitcnt lgkmcnt(0)
	s_barrier
	s_and_saveexec_b64 s[0:1], s[4:5]
	s_cbranch_execz .LBB1882_172
; %bb.171:
	v_add_u32_e32 v2, -1, v0
	v_lshrrev_b32_e32 v3, 5, v2
	v_add_lshl_u32 v2, v3, v2, 3
	ds_read_b32 v62, v2
	ds_read_u8 v63, v2 offset:4
.LBB1882_172:
	s_or_b64 exec, exec, s[0:1]
	s_and_saveexec_b64 s[60:61], vcc
	s_cbranch_execz .LBB1882_195
; %bb.173:
	v_mov_b32_e32 v5, 0
	ds_read_b64 v[2:3], v5 offset:2096
	v_mbcnt_lo_u32_b32 v4, -1, 0
	v_mbcnt_hi_u32_b32 v73, -1, v4
	s_mov_b32 s65, 0
	v_cmp_eq_u32_e64 s[52:53], 0, v73
	s_waitcnt lgkmcnt(0)
	v_readfirstlane_b32 s70, v3
	s_and_saveexec_b64 s[0:1], s[52:53]
	s_cbranch_execz .LBB1882_175
; %bb.174:
	s_add_i32 s64, s75, 64
	s_lshl_b64 s[68:69], s[64:65], 4
	s_add_u32 s68, s72, s68
	s_addc_u32 s69, s73, s69
	s_and_b32 s79, s70, 0xff000000
	s_mov_b32 s78, s65
	s_and_b32 s81, s70, 0xff0000
	s_mov_b32 s80, s65
	s_or_b64 s[78:79], s[80:81], s[78:79]
	s_and_b32 s81, s70, 0xff00
	s_or_b64 s[78:79], s[78:79], s[80:81]
	s_and_b32 s81, s70, 0xff
	s_or_b64 s[64:65], s[78:79], s[80:81]
	v_mov_b32_e32 v3, s65
	v_mov_b32_e32 v4, 1
	v_mov_b64_e32 v[6:7], s[68:69]
	;;#ASMSTART
	global_store_dwordx4 v[6:7], v[2:5] off sc1	
s_waitcnt vmcnt(0)
	;;#ASMEND
.LBB1882_175:
	s_or_b64 exec, exec, s[0:1]
	v_xad_u32 v58, v73, -1, s75
	v_add_u32_e32 v4, 64, v58
	v_lshl_add_u64 v[60:61], v[4:5], 4, s[72:73]
	;;#ASMSTART
	global_load_dwordx4 v[6:9], v[60:61] off sc1	
s_waitcnt vmcnt(0)
	;;#ASMEND
	s_nop 0
	v_and_b32_e32 v3, 0xff0000, v6
	v_and_b32_e32 v4, 0xff000000, v6
	;; [unrolled: 1-line block ×3, first 2 shown]
	v_or_b32_sdwa v3, v6, v3 dst_sel:DWORD dst_unused:UNUSED_PAD src0_sel:WORD_0 src1_sel:DWORD
	v_or3_b32 v7, 0, 0, v7
	v_or3_b32 v6, v3, v4, 0
	v_cmp_eq_u16_sdwa s[64:65], v8, v5 src0_sel:BYTE_0 src1_sel:DWORD
	s_and_saveexec_b64 s[0:1], s[64:65]
	s_cbranch_execz .LBB1882_181
; %bb.176:
	s_mov_b32 s68, 1
	s_mov_b64 s[64:65], 0
	v_mov_b32_e32 v3, 0
.LBB1882_177:                           ; =>This Loop Header: Depth=1
                                        ;     Child Loop BB1882_178 Depth 2
	s_max_u32 s69, s68, 1
.LBB1882_178:                           ;   Parent Loop BB1882_177 Depth=1
                                        ; =>  This Inner Loop Header: Depth=2
	s_add_i32 s69, s69, -1
	s_cmp_eq_u32 s69, 0
	s_sleep 1
	s_cbranch_scc0 .LBB1882_178
; %bb.179:                              ;   in Loop: Header=BB1882_177 Depth=1
	s_cmp_lt_u32 s68, 32
	s_cselect_b64 s[78:79], -1, 0
	s_cmp_lg_u64 s[78:79], 0
	s_addc_u32 s68, s68, 0
	;;#ASMSTART
	global_load_dwordx4 v[6:9], v[60:61] off sc1	
s_waitcnt vmcnt(0)
	;;#ASMEND
	s_nop 0
	v_cmp_ne_u16_sdwa s[78:79], v8, v3 src0_sel:BYTE_0 src1_sel:DWORD
	s_or_b64 s[64:65], s[78:79], s[64:65]
	s_andn2_b64 exec, exec, s[64:65]
	s_cbranch_execnz .LBB1882_177
; %bb.180:
	s_or_b64 exec, exec, s[64:65]
	v_and_b32_e32 v7, 0xff, v7
.LBB1882_181:
	s_or_b64 exec, exec, s[0:1]
	v_mov_b32_e32 v3, 2
	v_cmp_eq_u16_sdwa s[0:1], v8, v3 src0_sel:BYTE_0 src1_sel:DWORD
	v_lshlrev_b64 v[4:5], v73, -1
	v_and_b32_e32 v64, 63, v73
	v_and_b32_e32 v9, s1, v5
	v_or_b32_e32 v9, 0x80000000, v9
	v_and_b32_e32 v59, s0, v4
	v_ffbl_b32_e32 v9, v9
	v_add_u32_e32 v9, 32, v9
	v_ffbl_b32_e32 v59, v59
	v_cmp_ne_u32_e32 vcc, 63, v64
	v_min_u32_e32 v9, v59, v9
	s_mov_b32 s64, 0
	v_addc_co_u32_e32 v59, vcc, 0, v73, vcc
	v_lshlrev_b32_e32 v65, 2, v59
	ds_bpermute_b32 v59, v65, v7
	ds_bpermute_b32 v60, v65, v6
	v_and_b32_e32 v61, 1, v7
	s_mov_b32 s65, 1
	v_cmp_eq_u32_e32 vcc, 1, v61
	s_waitcnt lgkmcnt(1)
	v_and_b32_e32 v59, 1, v59
	v_cmp_lt_u32_e64 s[0:1], v64, v9
	v_cndmask_b32_e64 v59, v59, 1, vcc
	v_cmp_gt_u64_e32 vcc, s[64:65], v[6:7]
	s_and_b64 vcc, s[0:1], vcc
	v_and_b32_e32 v61, 0xffff, v59
	v_cndmask_b32_e64 v68, v7, v59, s[0:1]
	s_waitcnt lgkmcnt(0)
	v_cndmask_b32_e32 v59, 0, v60, vcc
	v_cmp_gt_u32_e32 vcc, 62, v64
	v_cndmask_b32_e64 v7, v7, v61, s[0:1]
	v_add_u32_e32 v6, v59, v6
	v_cndmask_b32_e64 v60, 0, 1, vcc
	v_lshlrev_b32_e32 v60, 1, v60
	v_add_lshl_u32 v66, v60, v73, 2
	ds_bpermute_b32 v60, v66, v7
	ds_bpermute_b32 v61, v66, v6
	v_and_b32_e32 v59, 1, v68
	v_cmp_eq_u32_e32 vcc, 1, v59
	v_mov_b32_e32 v59, 0
	s_waitcnt lgkmcnt(1)
	v_and_b32_e32 v60, 1, v60
	v_add_u32_e32 v67, 2, v64
	v_cndmask_b32_e64 v60, v60, 1, vcc
	v_cmp_eq_u16_sdwa vcc, v68, v59 src0_sel:BYTE_0 src1_sel:DWORD
	v_and_b32_e32 v69, 0xffff, v60
	v_add_u32_e32 v77, 32, v64
	s_waitcnt lgkmcnt(0)
	v_cndmask_b32_e32 v61, 0, v61, vcc
	v_cmp_gt_u32_e32 vcc, v67, v9
	s_nop 1
	v_cndmask_b32_e32 v60, v60, v68, vcc
	v_cndmask_b32_e64 v61, v61, 0, vcc
	v_cndmask_b32_e32 v7, v69, v7, vcc
	v_cmp_gt_u32_e32 vcc, 60, v64
	v_add_u32_e32 v6, v61, v6
	v_and_b32_e32 v71, 1, v60
	v_cndmask_b32_e64 v68, 0, 1, vcc
	v_lshlrev_b32_e32 v68, 2, v68
	v_add_lshl_u32 v68, v68, v73, 2
	ds_bpermute_b32 v70, v68, v7
	ds_bpermute_b32 v61, v68, v6
	v_cmp_eq_u32_e32 vcc, 1, v71
	v_add_u32_e32 v69, 4, v64
	s_waitcnt lgkmcnt(1)
	v_and_b32_e32 v70, 1, v70
	v_cndmask_b32_e64 v70, v70, 1, vcc
	v_cmp_eq_u16_sdwa vcc, v60, v59 src0_sel:BYTE_0 src1_sel:DWORD
	v_and_b32_e32 v71, 0xffff, v70
	s_waitcnt lgkmcnt(0)
	v_cndmask_b32_e32 v61, 0, v61, vcc
	v_cmp_gt_u32_e32 vcc, v69, v9
	s_nop 1
	v_cndmask_b32_e32 v60, v70, v60, vcc
	v_cndmask_b32_e64 v61, v61, 0, vcc
	v_cndmask_b32_e32 v7, v71, v7, vcc
	v_cmp_gt_u32_e32 vcc, 56, v64
	v_add_u32_e32 v6, v61, v6
	v_and_b32_e32 v74, 1, v60
	v_cndmask_b32_e64 v70, 0, 1, vcc
	v_lshlrev_b32_e32 v70, 3, v70
	v_add_lshl_u32 v70, v70, v73, 2
	ds_bpermute_b32 v72, v70, v7
	ds_bpermute_b32 v61, v70, v6
	v_cmp_eq_u32_e32 vcc, 1, v74
	v_add_u32_e32 v71, 8, v64
	s_waitcnt lgkmcnt(1)
	v_and_b32_e32 v72, 1, v72
	v_cndmask_b32_e64 v72, v72, 1, vcc
	v_cmp_eq_u16_sdwa vcc, v60, v59 src0_sel:BYTE_0 src1_sel:DWORD
	v_and_b32_e32 v74, 0xffff, v72
	;; [unrolled: 22-line block ×3, first 2 shown]
	s_waitcnt lgkmcnt(0)
	v_cndmask_b32_e32 v61, 0, v61, vcc
	v_cmp_gt_u32_e32 vcc, v74, v9
	s_nop 1
	v_cndmask_b32_e32 v60, v75, v60, vcc
	v_cndmask_b32_e64 v61, v61, 0, vcc
	v_cndmask_b32_e32 v7, v76, v7, vcc
	v_cmp_gt_u32_e32 vcc, 32, v64
	v_add_u32_e32 v6, v61, v6
	s_nop 0
	v_cndmask_b32_e64 v75, 0, 1, vcc
	v_lshlrev_b32_e32 v75, 5, v75
	v_add_lshl_u32 v76, v75, v73, 2
	ds_bpermute_b32 v7, v76, v7
	ds_bpermute_b32 v61, v76, v6
	v_and_b32_e32 v73, 1, v60
	v_cmp_eq_u32_e32 vcc, 1, v73
	s_waitcnt lgkmcnt(1)
	v_and_b32_e32 v7, 1, v7
	v_cndmask_b32_e64 v7, v7, 1, vcc
	v_cmp_eq_u16_sdwa vcc, v60, v59 src0_sel:BYTE_0 src1_sel:DWORD
	s_waitcnt lgkmcnt(0)
	s_nop 0
	v_cndmask_b32_e32 v61, 0, v61, vcc
	v_cmp_gt_u32_e32 vcc, v77, v9
	s_nop 1
	v_cndmask_b32_e64 v9, v61, 0, vcc
	v_cndmask_b32_e32 v7, v7, v60, vcc
	v_add_u32_e32 v6, v9, v6
	s_branch .LBB1882_183
.LBB1882_182:                           ;   in Loop: Header=BB1882_183 Depth=1
	s_or_b64 exec, exec, s[0:1]
	v_cmp_eq_u16_sdwa s[0:1], v8, v3 src0_sel:BYTE_0 src1_sel:DWORD
	ds_bpermute_b32 v61, v65, v7
	v_and_b32_e32 v78, 1, v7
	v_and_b32_e32 v9, s1, v5
	v_or_b32_e32 v9, 0x80000000, v9
	v_and_b32_e32 v60, s0, v4
	v_ffbl_b32_e32 v9, v9
	v_add_u32_e32 v9, 32, v9
	v_ffbl_b32_e32 v60, v60
	v_min_u32_e32 v9, v60, v9
	ds_bpermute_b32 v60, v65, v6
	s_waitcnt lgkmcnt(1)
	v_and_b32_e32 v61, 1, v61
	v_cmp_eq_u32_e32 vcc, 1, v78
	v_cmp_lt_u32_e64 s[0:1], v64, v9
	v_subrev_u32_e32 v58, 64, v58
	v_cndmask_b32_e64 v61, v61, 1, vcc
	v_cmp_gt_u64_e32 vcc, s[64:65], v[6:7]
	v_and_b32_e32 v78, 0xffff, v61
	v_cndmask_b32_e64 v61, v7, v61, s[0:1]
	v_cndmask_b32_e64 v7, v7, v78, s[0:1]
	s_and_b64 vcc, s[0:1], vcc
	ds_bpermute_b32 v78, v66, v7
	s_waitcnt lgkmcnt(1)
	v_cndmask_b32_e32 v60, 0, v60, vcc
	v_add_u32_e32 v6, v60, v6
	ds_bpermute_b32 v60, v66, v6
	v_and_b32_e32 v79, 1, v61
	s_waitcnt lgkmcnt(1)
	v_and_b32_e32 v78, 1, v78
	v_cmp_eq_u32_e32 vcc, 1, v79
	s_nop 1
	v_cndmask_b32_e64 v78, v78, 1, vcc
	v_cmp_eq_u16_sdwa vcc, v61, v59 src0_sel:BYTE_0 src1_sel:DWORD
	v_and_b32_e32 v79, 0xffff, v78
	s_waitcnt lgkmcnt(0)
	v_cndmask_b32_e32 v60, 0, v60, vcc
	v_cmp_gt_u32_e32 vcc, v67, v9
	s_nop 1
	v_cndmask_b32_e32 v7, v79, v7, vcc
	v_cndmask_b32_e32 v61, v78, v61, vcc
	ds_bpermute_b32 v78, v68, v7
	v_cndmask_b32_e64 v60, v60, 0, vcc
	v_add_u32_e32 v6, v60, v6
	ds_bpermute_b32 v60, v68, v6
	v_and_b32_e32 v79, 1, v61
	s_waitcnt lgkmcnt(1)
	v_and_b32_e32 v78, 1, v78
	v_cmp_eq_u32_e32 vcc, 1, v79
	s_nop 1
	v_cndmask_b32_e64 v78, v78, 1, vcc
	v_cmp_eq_u16_sdwa vcc, v61, v59 src0_sel:BYTE_0 src1_sel:DWORD
	v_and_b32_e32 v79, 0xffff, v78
	s_waitcnt lgkmcnt(0)
	v_cndmask_b32_e32 v60, 0, v60, vcc
	v_cmp_gt_u32_e32 vcc, v69, v9
	s_nop 1
	v_cndmask_b32_e32 v7, v79, v7, vcc
	v_cndmask_b32_e32 v61, v78, v61, vcc
	ds_bpermute_b32 v78, v70, v7
	v_cndmask_b32_e64 v60, v60, 0, vcc
	;; [unrolled: 18-line block ×3, first 2 shown]
	v_add_u32_e32 v6, v60, v6
	ds_bpermute_b32 v60, v72, v6
	v_and_b32_e32 v79, 1, v61
	s_waitcnt lgkmcnt(1)
	v_and_b32_e32 v78, 1, v78
	v_cmp_eq_u32_e32 vcc, 1, v79
	s_nop 1
	v_cndmask_b32_e64 v78, v78, 1, vcc
	v_cmp_eq_u16_sdwa vcc, v61, v59 src0_sel:BYTE_0 src1_sel:DWORD
	v_and_b32_e32 v79, 0xffff, v78
	s_waitcnt lgkmcnt(0)
	v_cndmask_b32_e32 v60, 0, v60, vcc
	v_cmp_gt_u32_e32 vcc, v74, v9
	s_nop 1
	v_cndmask_b32_e64 v60, v60, 0, vcc
	v_cndmask_b32_e32 v7, v79, v7, vcc
	ds_bpermute_b32 v7, v76, v7
	v_add_u32_e32 v6, v60, v6
	ds_bpermute_b32 v60, v76, v6
	v_cndmask_b32_e32 v61, v78, v61, vcc
	v_and_b32_e32 v78, 1, v61
	v_cmp_eq_u32_e32 vcc, 1, v78
	s_waitcnt lgkmcnt(1)
	s_nop 0
	v_cndmask_b32_e64 v7, v7, 1, vcc
	v_cmp_eq_u16_sdwa vcc, v61, v59 src0_sel:BYTE_0 src1_sel:DWORD
	s_waitcnt lgkmcnt(0)
	s_nop 0
	v_cndmask_b32_e32 v60, 0, v60, vcc
	v_cmp_gt_u32_e32 vcc, v77, v9
	s_nop 1
	v_cndmask_b32_e64 v9, v60, 0, vcc
	v_cndmask_b32_e32 v7, v7, v61, vcc
	v_add_u32_e32 v6, v9, v6
	v_cmp_eq_u16_sdwa vcc, v73, v59 src0_sel:BYTE_0 src1_sel:DWORD
	v_and_b32_e32 v9, 1, v73
	v_and_b32_e32 v7, 1, v7
	v_cndmask_b32_e32 v6, 0, v6, vcc
	v_cmp_eq_u32_e32 vcc, 1, v9
	v_add_u32_e32 v6, v6, v75
	s_nop 0
	v_cndmask_b32_e64 v7, v7, 1, vcc
.LBB1882_183:                           ; =>This Loop Header: Depth=1
                                        ;     Child Loop BB1882_186 Depth 2
                                        ;       Child Loop BB1882_187 Depth 3
	v_cmp_ne_u16_sdwa s[0:1], v8, v3 src0_sel:BYTE_0 src1_sel:DWORD
	v_mov_b32_e32 v73, v7
	v_mov_b32_e32 v75, v6
	v_cndmask_b32_e64 v7, 0, 1, s[0:1]
	;;#ASMSTART
	;;#ASMEND
	s_nop 0
	v_cmp_ne_u32_e32 vcc, 0, v7
	s_cmp_lg_u64 vcc, exec
	s_cbranch_scc1 .LBB1882_190
; %bb.184:                              ;   in Loop: Header=BB1882_183 Depth=1
	v_lshl_add_u64 v[60:61], v[58:59], 4, s[72:73]
	;;#ASMSTART
	global_load_dwordx4 v[6:9], v[60:61] off sc1	
s_waitcnt vmcnt(0)
	;;#ASMEND
	s_nop 0
	v_and_b32_e32 v9, 0xff0000, v6
	v_and_b32_e32 v78, 0xff000000, v6
	;; [unrolled: 1-line block ×3, first 2 shown]
	v_or_b32_sdwa v6, v6, v9 dst_sel:DWORD dst_unused:UNUSED_PAD src0_sel:WORD_0 src1_sel:DWORD
	v_or3_b32 v7, 0, 0, v7
	v_or3_b32 v6, v6, v78, 0
	v_cmp_eq_u16_sdwa s[68:69], v8, v59 src0_sel:BYTE_0 src1_sel:DWORD
	s_and_saveexec_b64 s[0:1], s[68:69]
	s_cbranch_execz .LBB1882_182
; %bb.185:                              ;   in Loop: Header=BB1882_183 Depth=1
	s_mov_b32 s71, 1
	s_mov_b64 s[68:69], 0
.LBB1882_186:                           ;   Parent Loop BB1882_183 Depth=1
                                        ; =>  This Loop Header: Depth=2
                                        ;       Child Loop BB1882_187 Depth 3
	s_max_u32 s78, s71, 1
.LBB1882_187:                           ;   Parent Loop BB1882_183 Depth=1
                                        ;     Parent Loop BB1882_186 Depth=2
                                        ; =>    This Inner Loop Header: Depth=3
	s_add_i32 s78, s78, -1
	s_cmp_eq_u32 s78, 0
	s_sleep 1
	s_cbranch_scc0 .LBB1882_187
; %bb.188:                              ;   in Loop: Header=BB1882_186 Depth=2
	s_cmp_lt_u32 s71, 32
	s_cselect_b64 s[78:79], -1, 0
	s_cmp_lg_u64 s[78:79], 0
	s_addc_u32 s71, s71, 0
	;;#ASMSTART
	global_load_dwordx4 v[6:9], v[60:61] off sc1	
s_waitcnt vmcnt(0)
	;;#ASMEND
	s_nop 0
	v_cmp_ne_u16_sdwa s[78:79], v8, v59 src0_sel:BYTE_0 src1_sel:DWORD
	s_or_b64 s[68:69], s[78:79], s[68:69]
	s_andn2_b64 exec, exec, s[68:69]
	s_cbranch_execnz .LBB1882_186
; %bb.189:                              ;   in Loop: Header=BB1882_183 Depth=1
	s_or_b64 exec, exec, s[68:69]
	v_and_b32_e32 v7, 0xff, v7
	s_branch .LBB1882_182
.LBB1882_190:                           ;   in Loop: Header=BB1882_183 Depth=1
                                        ; implicit-def: $vgpr7
                                        ; implicit-def: $vgpr6
                                        ; implicit-def: $vgpr8
	s_cbranch_execz .LBB1882_183
; %bb.191:
	s_and_saveexec_b64 s[0:1], s[52:53]
	s_cbranch_execz .LBB1882_193
; %bb.192:
	s_and_b32 s52, s70, 0xff
	s_cmp_eq_u32 s52, 0
	s_cselect_b64 vcc, -1, 0
	s_bitcmp1_b32 s70, 0
	s_mov_b32 s53, 0
	s_cselect_b64 s[64:65], -1, 0
	s_add_i32 s52, s75, 64
	s_lshl_b64 s[52:53], s[52:53], 4
	v_cndmask_b32_e32 v3, 0, v75, vcc
	s_add_u32 s52, s72, s52
	v_add_u32_e32 v2, v3, v2
	v_and_b32_e32 v3, 1, v73
	s_addc_u32 s53, s73, s53
	v_mov_b32_e32 v5, 0
	v_cndmask_b32_e64 v3, v3, 1, s[64:65]
	v_mov_b32_e32 v4, 2
	v_mov_b64_e32 v[6:7], s[52:53]
	;;#ASMSTART
	global_store_dwordx4 v[6:7], v[2:5] off sc1	
s_waitcnt vmcnt(0)
	;;#ASMEND
.LBB1882_193:
	s_or_b64 exec, exec, s[0:1]
	s_and_b64 exec, exec, s[54:55]
	s_cbranch_execz .LBB1882_195
; %bb.194:
	v_mov_b32_e32 v2, 0
	ds_write_b32 v2, v75
	ds_write_b8 v2, v73 offset:4
.LBB1882_195:
	s_or_b64 exec, exec, s[60:61]
	s_mov_b32 s0, 0
	v_mov_b32_e32 v2, 0
	s_mov_b32 s1, 1
	s_waitcnt lgkmcnt(0)
	s_barrier
	ds_read_b32 v3, v2
	v_cmp_gt_u64_e32 vcc, s[0:1], v[10:11]
	v_and_b32_e32 v5, 1, v11
	v_and_b32_e32 v6, 1, v63
	v_cndmask_b32_e32 v4, 0, v62, vcc
	v_cmp_eq_u32_e32 vcc, 1, v5
	v_cndmask_b32_e64 v4, v4, 0, s[54:55]
	s_nop 0
	v_cndmask_b32_e64 v5, v6, 1, vcc
	v_cndmask_b32_e64 v5, v5, v11, s[54:55]
	v_cmp_eq_u16_sdwa vcc, v5, v2 src0_sel:BYTE_0 src1_sel:DWORD
	s_waitcnt lgkmcnt(0)
	s_nop 0
	v_cndmask_b32_e32 v2, 0, v3, vcc
	v_add3_u32 v80, v4, v10, v2
	v_cndmask_b32_e64 v2, 0, v80, s[6:7]
	v_add_u32_e32 v58, v2, v12
	v_cndmask_b32_e64 v2, 0, v58, s[8:9]
	v_add_u32_e32 v59, v2, v14
	;; [unrolled: 2-line block ×22, first 2 shown]
	s_branch .LBB1882_216
.LBB1882_196:
                                        ; implicit-def: $vgpr78
                                        ; implicit-def: $vgpr77
                                        ; implicit-def: $vgpr76
                                        ; implicit-def: $vgpr75
                                        ; implicit-def: $vgpr74
                                        ; implicit-def: $vgpr73
                                        ; implicit-def: $vgpr72
                                        ; implicit-def: $vgpr71
                                        ; implicit-def: $vgpr70
                                        ; implicit-def: $vgpr69
                                        ; implicit-def: $vgpr68
                                        ; implicit-def: $vgpr67
                                        ; implicit-def: $vgpr66
                                        ; implicit-def: $vgpr65
                                        ; implicit-def: $vgpr64
                                        ; implicit-def: $vgpr63
                                        ; implicit-def: $vgpr62
                                        ; implicit-def: $vgpr61
                                        ; implicit-def: $vgpr60
                                        ; implicit-def: $vgpr59
                                        ; implicit-def: $vgpr58
                                        ; implicit-def: $vgpr80
                                        ; implicit-def: $vgpr79
	s_cbranch_execz .LBB1882_216
; %bb.197:
	s_cmp_lg_u64 s[76:77], 0
	s_cselect_b32 s9, s67, 0
	s_cselect_b32 s8, s66, 0
	s_cmp_lg_u64 s[8:9], 0
	s_cselect_b64 s[6:7], -1, 0
	s_mov_b32 s0, 0
	s_and_b64 s[10:11], s[54:55], s[6:7]
	s_and_saveexec_b64 s[6:7], s[10:11]
	s_cbranch_execz .LBB1882_199
; %bb.198:
	v_mov_b32_e32 v2, 0
	global_load_dword v4, v2, s[8:9]
	global_load_ubyte v5, v2, s[8:9] offset:4
	s_mov_b32 s1, 1
	v_and_b32_e32 v3, 1, v11
	v_cmp_gt_u64_e32 vcc, s[0:1], v[10:11]
	s_waitcnt vmcnt(0)
	v_and_b32_e32 v5, 1, v5
	v_cndmask_b32_e32 v4, 0, v4, vcc
	v_cmp_eq_u64_e32 vcc, 0, v[2:3]
	v_add_u32_e32 v10, v4, v10
	s_nop 0
	v_cndmask_b32_e32 v11, 1, v5, vcc
.LBB1882_199:
	s_or_b64 exec, exec, s[6:7]
	s_mov_b32 s1, 1
	v_cmp_gt_u64_e32 vcc, s[0:1], v[12:13]
	v_cmp_gt_u64_e64 s[6:7], s[0:1], v[14:15]
	v_cmp_gt_u64_e64 s[8:9], s[0:1], v[16:17]
	v_cndmask_b32_e32 v2, 0, v10, vcc
	v_add_u32_e32 v58, v2, v12
	v_cndmask_b32_e64 v2, 0, v58, s[6:7]
	v_add_u32_e32 v59, v2, v14
	v_cndmask_b32_e64 v2, 0, v59, s[8:9]
	v_add_u32_e32 v60, v2, v16
	v_cmp_gt_u64_e64 s[10:11], s[0:1], v[18:19]
	v_cmp_gt_u64_e64 s[12:13], s[0:1], v[20:21]
	v_cmp_gt_u64_e64 s[14:15], s[0:1], v[22:23]
	v_cndmask_b32_e64 v2, 0, v60, s[10:11]
	v_add_u32_e32 v61, v2, v18
	v_cndmask_b32_e64 v2, 0, v61, s[12:13]
	v_add_u32_e32 v62, v2, v20
	v_cndmask_b32_e64 v2, 0, v62, s[14:15]
	v_add_u32_e32 v63, v2, v22
	v_cmp_gt_u64_e64 s[16:17], s[0:1], v[24:25]
	v_cmp_gt_u64_e64 s[18:19], s[0:1], v[26:27]
	v_cmp_gt_u64_e64 s[20:21], s[0:1], v[28:29]
	v_cndmask_b32_e64 v2, 0, v63, s[16:17]
	;; [unrolled: 9-line block ×6, first 2 shown]
	v_add_u32_e32 v76, v2, v48
	v_cndmask_b32_e64 v2, 0, v76, s[44:45]
	v_add_u32_e32 v77, v2, v50
	v_cndmask_b32_e64 v2, 0, v77, s[46:47]
	v_add_u32_e32 v78, v2, v54
	v_cmp_gt_u64_e64 s[48:49], s[0:1], v[56:57]
	v_add_lshl_u32 v1, v1, v0, 3
	s_nop 0
	v_cndmask_b32_e64 v2, 0, v78, s[48:49]
	v_add_u32_e32 v79, v2, v56
	v_or3_b32 v2, v53, v51, v49
	v_or3_b32 v2, v2, v47, v45
	;; [unrolled: 1-line block ×10, first 2 shown]
	v_and_b32_e32 v2, 1, v2
	v_cmp_eq_u32_e64 s[0:1], 1, v2
	s_nop 1
	v_cndmask_b32_e64 v4, v11, 1, s[0:1]
	v_cmp_gt_u32_e64 s[0:1], 64, v0
	ds_write_b32 v1, v79
	ds_write_b8 v1, v4 offset:4
	s_waitcnt lgkmcnt(0)
	s_barrier
	s_and_saveexec_b64 s[50:51], s[0:1]
	s_cbranch_execz .LBB1882_211
; %bb.200:
	v_lshrrev_b32_e32 v1, 3, v0
	v_add_lshl_u32 v1, v1, v52, 3
	ds_read2_b32 v[6:7], v1 offset0:2 offset1:4
	ds_read_b64 v[2:3], v1
	ds_read_u8 v8, v1 offset:12
	ds_read_u8 v9, v1 offset:20
	ds_read_b32 v13, v1 offset:24
	ds_read_u8 v15, v1 offset:28
	v_mov_b32_e32 v17, 0
	s_waitcnt lgkmcnt(3)
	v_cmp_eq_u16_sdwa s[0:1], v8, v17 src0_sel:BYTE_0 src1_sel:DWORD
	v_and_b32_e32 v5, 1, v3
	s_nop 0
	v_cndmask_b32_e64 v19, 0, v2, s[0:1]
	v_add_u32_e32 v6, v19, v6
	s_waitcnt lgkmcnt(2)
	v_cmp_eq_u16_sdwa s[0:1], v9, v17 src0_sel:BYTE_0 src1_sel:DWORD
	s_nop 1
	v_cndmask_b32_e64 v6, 0, v6, s[0:1]
	v_add_u32_e32 v6, v6, v7
	s_waitcnt lgkmcnt(0)
	v_cmp_eq_u16_e64 s[0:1], 0, v15
	s_nop 1
	v_cndmask_b32_e64 v6, 0, v6, s[0:1]
	v_add_u32_e32 v7, v6, v13
	v_or_b32_e32 v6, v15, v9
	v_or_b32_e32 v6, v6, v8
	v_and_b32_e32 v6, 1, v6
	v_cmp_eq_u32_e64 s[0:1], 1, v6
	v_mbcnt_lo_u32_b32 v8, -1, 0
	v_and_b32_e32 v6, 0xffffff00, v3
	v_cndmask_b32_e64 v9, v5, 1, s[0:1]
	v_mbcnt_hi_u32_b32 v8, -1, v8
	v_and_b32_e32 v15, 15, v8
	v_or_b32_sdwa v13, v6, v9 dst_sel:DWORD dst_unused:UNUSED_PAD src0_sel:DWORD src1_sel:WORD_0
	v_mov_b32_dpp v17, v7 row_shr:1 row_mask:0xf bank_mask:0xf
	v_cmp_ne_u32_e64 s[0:1], 0, v15
	v_mov_b32_dpp v19, v13 row_shr:1 row_mask:0xf bank_mask:0xf
	s_and_saveexec_b64 s[52:53], s[0:1]
; %bb.201:
	v_and_b32_e32 v13, 1, v9
	v_and_b32_e32 v19, 1, v19
	v_cmp_eq_u32_e64 s[0:1], 1, v13
	s_nop 1
	v_cndmask_b32_e64 v19, v19, 1, s[0:1]
	v_cmp_eq_u16_e64 s[0:1], 0, v9
	v_or_b32_sdwa v13, v6, v19 dst_sel:DWORD dst_unused:UNUSED_PAD src0_sel:DWORD src1_sel:WORD_0
	s_nop 0
	v_cndmask_b32_e64 v9, 0, v17, s[0:1]
	v_add_u32_e32 v7, v9, v7
	v_mov_b32_e32 v9, v19
; %bb.202:
	s_or_b64 exec, exec, s[52:53]
	v_mov_b32_dpp v17, v7 row_shr:2 row_mask:0xf bank_mask:0xf
	v_mov_b32_dpp v19, v13 row_shr:2 row_mask:0xf bank_mask:0xf
	v_cmp_lt_u32_e64 s[0:1], 1, v15
	s_and_saveexec_b64 s[52:53], s[0:1]
; %bb.203:
	v_and_b32_e32 v13, 1, v9
	v_and_b32_e32 v19, 1, v19
	v_cmp_eq_u32_e64 s[0:1], 1, v13
	s_nop 1
	v_cndmask_b32_e64 v19, v19, 1, s[0:1]
	v_cmp_eq_u16_e64 s[0:1], 0, v9
	v_or_b32_sdwa v13, v6, v19 dst_sel:DWORD dst_unused:UNUSED_PAD src0_sel:DWORD src1_sel:WORD_0
	s_nop 0
	v_cndmask_b32_e64 v9, 0, v17, s[0:1]
	v_add_u32_e32 v7, v9, v7
	v_mov_b32_e32 v9, v19
; %bb.204:
	s_or_b64 exec, exec, s[52:53]
	v_mov_b32_dpp v17, v7 row_shr:4 row_mask:0xf bank_mask:0xf
	v_mov_b32_dpp v19, v13 row_shr:4 row_mask:0xf bank_mask:0xf
	v_cmp_lt_u32_e64 s[0:1], 3, v15
	;; [unrolled: 18-line block ×3, first 2 shown]
	s_and_saveexec_b64 s[52:53], s[0:1]
; %bb.207:
	v_and_b32_e32 v13, 1, v9
	v_and_b32_e32 v15, 1, v19
	v_cmp_eq_u32_e64 s[0:1], 1, v13
	s_nop 1
	v_cndmask_b32_e64 v15, v15, 1, s[0:1]
	v_cmp_eq_u16_e64 s[0:1], 0, v9
	v_or_b32_sdwa v13, v6, v15 dst_sel:DWORD dst_unused:UNUSED_PAD src0_sel:DWORD src1_sel:WORD_0
	s_nop 0
	v_cndmask_b32_e64 v9, 0, v17, s[0:1]
	v_add_u32_e32 v7, v9, v7
	v_mov_b32_e32 v9, v15
; %bb.208:
	s_or_b64 exec, exec, s[52:53]
	v_and_b32_e32 v19, 16, v8
	v_mov_b32_dpp v15, v7 row_bcast:15 row_mask:0xf bank_mask:0xf
	v_mov_b32_dpp v17, v13 row_bcast:15 row_mask:0xf bank_mask:0xf
	v_cmp_ne_u32_e64 s[0:1], 0, v19
	s_and_saveexec_b64 s[52:53], s[0:1]
; %bb.209:
	v_and_b32_e32 v13, 1, v9
	v_and_b32_e32 v17, 1, v17
	v_cmp_eq_u32_e64 s[0:1], 1, v13
	s_nop 1
	v_cndmask_b32_e64 v17, v17, 1, s[0:1]
	v_cmp_eq_u16_e64 s[0:1], 0, v9
	v_or_b32_sdwa v13, v6, v17 dst_sel:DWORD dst_unused:UNUSED_PAD src0_sel:DWORD src1_sel:WORD_0
	s_nop 0
	v_cndmask_b32_e64 v9, 0, v15, s[0:1]
	v_add_u32_e32 v7, v9, v7
	v_mov_b32_e32 v9, v17
; %bb.210:
	s_or_b64 exec, exec, s[52:53]
	v_mov_b32_dpp v13, v13 row_bcast:31 row_mask:0xf bank_mask:0xf
	v_and_b32_e32 v17, 1, v9
	v_and_b32_e32 v13, 1, v13
	v_cmp_eq_u32_e64 s[0:1], 1, v17
	v_mov_b32_e32 v17, 0
	v_cmp_eq_u16_sdwa s[52:53], v9, v17 src0_sel:BYTE_0 src1_sel:DWORD
	v_cndmask_b32_e64 v13, v13, 1, s[0:1]
	v_cmp_lt_u32_e64 s[0:1], 31, v8
	v_mov_b32_dpp v15, v7 row_bcast:31 row_mask:0xf bank_mask:0xf
	s_movk_i32 s60, 0xff
	v_cndmask_b32_e64 v9, v9, v13, s[0:1]
	s_and_b64 s[0:1], s[0:1], s[52:53]
	v_cndmask_b32_e64 v13, 0, v15, s[0:1]
	v_add_u32_e32 v7, v13, v7
	v_add_u32_e32 v13, -1, v8
	v_and_b32_e32 v15, 64, v8
	v_cmp_lt_i32_e64 s[0:1], v13, v15
	v_and_or_b32 v6, v9, s60, v6
	s_nop 0
	v_cndmask_b32_e64 v8, v13, v8, s[0:1]
	v_lshlrev_b32_e32 v8, 2, v8
	ds_bpermute_b32 v7, v8, v7
	ds_bpermute_b32 v6, v8, v6
	v_cmp_eq_u16_sdwa s[0:1], v3, v17 src0_sel:BYTE_0 src1_sel:DWORD
	; wave barrier
	s_waitcnt lgkmcnt(1)
	s_nop 0
	v_cndmask_b32_e64 v3, 0, v7, s[0:1]
	v_add_u32_e32 v2, v3, v2
	s_waitcnt lgkmcnt(0)
	v_and_b32_e32 v3, 1, v6
	v_cmp_eq_u32_e64 s[0:1], 1, v5
	v_cndmask_b32_e64 v5, v2, v79, s[54:55]
	s_nop 0
	v_cndmask_b32_e64 v3, v3, 1, s[0:1]
	v_cndmask_b32_e64 v4, v3, v4, s[54:55]
	ds_write_b32 v1, v5
	ds_write_b8 v1, v4 offset:4
	; wave barrier
	ds_read_u8 v6, v1 offset:12
	ds_read2_b32 v[2:3], v1 offset0:2 offset1:4
	ds_read_u8 v7, v1 offset:20
	ds_read_b32 v8, v1 offset:24
	ds_read_u8 v9, v1 offset:28
	s_waitcnt lgkmcnt(4)
	v_cmp_eq_u16_e64 s[0:1], 0, v6
	s_nop 1
	v_cndmask_b32_e64 v5, 0, v5, s[0:1]
	s_waitcnt lgkmcnt(3)
	v_add_u32_e32 v2, v5, v2
	v_and_b32_e32 v5, 1, v6
	v_cmp_eq_u32_e64 s[0:1], 1, v5
	s_nop 1
	v_cndmask_b32_e64 v4, v4, 1, s[0:1]
	s_waitcnt lgkmcnt(2)
	v_cmp_eq_u16_e64 s[0:1], 0, v7
	ds_write_b8 v1, v4 offset:12
	s_nop 0
	v_cndmask_b32_e64 v5, 0, v2, s[0:1]
	v_add_u32_e32 v3, v5, v3
	v_and_b32_e32 v5, 1, v7
	v_cmp_eq_u32_e64 s[0:1], 1, v5
	s_nop 1
	v_cndmask_b32_e64 v4, v4, 1, s[0:1]
	s_waitcnt lgkmcnt(1)
	v_cmp_eq_u16_e64 s[0:1], 0, v9
	ds_write2_b32 v1, v2, v3 offset0:2 offset1:4
	ds_write_b8 v1, v4 offset:20
	v_cndmask_b32_e64 v2, 0, v3, s[0:1]
	v_and_b32_e32 v3, 1, v9
	v_add_u32_e32 v2, v2, v8
	v_cmp_eq_u32_e64 s[0:1], 1, v3
	s_nop 1
	v_cndmask_b32_e64 v3, v4, 1, s[0:1]
	ds_write_b32 v1, v2 offset:24
	ds_write_b8 v1, v3 offset:28
.LBB1882_211:
	s_or_b64 exec, exec, s[50:51]
	v_mov_b32_e32 v1, v79
	s_waitcnt lgkmcnt(0)
	s_barrier
	s_and_saveexec_b64 s[0:1], s[4:5]
	s_cbranch_execnz .LBB1882_311
; %bb.212:
	s_or_b64 exec, exec, s[0:1]
	s_and_saveexec_b64 s[50:51], s[4:5]
	s_cbranch_execnz .LBB1882_312
.LBB1882_213:
	s_or_b64 exec, exec, s[50:51]
	s_and_saveexec_b64 s[0:1], s[54:55]
	s_cbranch_execz .LBB1882_215
.LBB1882_214:
	v_mov_b32_e32 v5, 0
	ds_read_b32 v2, v5 offset:2096
	ds_read_u8 v3, v5 offset:2100
	s_add_u32 s4, s72, 0x400
	s_addc_u32 s5, s73, 0
	v_mov_b32_e32 v4, 2
	v_mov_b64_e32 v[6:7], s[4:5]
	s_waitcnt lgkmcnt(0)
	;;#ASMSTART
	global_store_dwordx4 v[6:7], v[2:5] off sc1	
s_waitcnt vmcnt(0)
	;;#ASMEND
.LBB1882_215:
	s_or_b64 exec, exec, s[0:1]
	v_mov_b32_e32 v80, v10
.LBB1882_216:
	s_add_u32 s0, s62, s58
	s_addc_u32 s1, s63, s59
	s_add_u32 s4, s0, s56
	s_addc_u32 s5, s1, s57
	s_and_b64 vcc, exec, s[2:3]
	s_cbranch_vccz .LBB1882_304
; %bb.217:
	s_add_i32 s33, s33, s74
	s_waitcnt lgkmcnt(0)
	v_mul_u32_u24_e32 v1, 23, v0
	v_cmp_gt_u32_e32 vcc, s33, v1
	v_mov_b32_e32 v53, 0
	v_mov_b32_e32 v9, 0
	;; [unrolled: 1-line block ×24, first 2 shown]
	s_and_saveexec_b64 s[2:3], vcc
	s_cbranch_execz .LBB1882_259
; %bb.218:
	v_add_u32_e32 v2, 1, v1
	v_cmp_gt_u32_e32 vcc, s33, v2
	v_mov_b32_e32 v2, 0
	v_mov_b32_e32 v3, 0
	;; [unrolled: 1-line block ×22, first 2 shown]
	s_and_saveexec_b64 s[6:7], vcc
	s_cbranch_execz .LBB1882_258
; %bb.219:
	v_add_u32_e32 v2, 2, v1
	v_cmp_gt_u32_e32 vcc, s33, v2
	v_mov_b32_e32 v2, 0
	v_mov_b32_e32 v3, 0
	;; [unrolled: 1-line block ×21, first 2 shown]
	s_and_saveexec_b64 s[8:9], vcc
	s_cbranch_execz .LBB1882_257
; %bb.220:
	v_add_u32_e32 v2, 3, v1
	v_cmp_gt_u32_e32 vcc, s33, v2
	v_mov_b32_e32 v2, 0
	v_mov_b32_e32 v3, 0
	;; [unrolled: 1-line block ×20, first 2 shown]
	s_and_saveexec_b64 s[10:11], vcc
	s_cbranch_execz .LBB1882_256
; %bb.221:
	v_add_u32_e32 v2, 4, v1
	v_cmp_gt_u32_e32 vcc, s33, v2
	v_mov_b32_e32 v2, 0
	v_mov_b32_e32 v3, 0
	;; [unrolled: 1-line block ×19, first 2 shown]
	s_and_saveexec_b64 s[12:13], vcc
	s_cbranch_execz .LBB1882_255
; %bb.222:
	v_add_u32_e32 v2, 5, v1
	v_cmp_gt_u32_e32 vcc, s33, v2
	v_mov_b32_e32 v2, 0
	v_mov_b32_e32 v3, 0
	v_mov_b32_e32 v4, 0
	v_mov_b32_e32 v5, 0
	v_mov_b32_e32 v6, 0
	v_mov_b32_e32 v7, 0
	v_mov_b32_e32 v8, 0
	v_mov_b32_e32 v10, 0
	v_mov_b32_e32 v11, 0
	v_mov_b32_e32 v12, 0
	v_mov_b32_e32 v13, 0
	v_mov_b32_e32 v14, 0
	v_mov_b32_e32 v15, 0
	v_mov_b32_e32 v16, 0
	v_mov_b32_e32 v17, 0
	v_mov_b32_e32 v18, 0
	v_mov_b32_e32 v19, 0
	v_mov_b32_e32 v9, 0
	s_and_saveexec_b64 s[14:15], vcc
	s_cbranch_execz .LBB1882_254
; %bb.223:
	v_add_u32_e32 v2, 6, v1
	v_cmp_gt_u32_e32 vcc, s33, v2
	v_mov_b32_e32 v2, 0
	v_mov_b32_e32 v3, 0
	v_mov_b32_e32 v4, 0
	v_mov_b32_e32 v5, 0
	v_mov_b32_e32 v6, 0
	v_mov_b32_e32 v7, 0
	v_mov_b32_e32 v8, 0
	v_mov_b32_e32 v10, 0
	v_mov_b32_e32 v11, 0
	v_mov_b32_e32 v12, 0
	v_mov_b32_e32 v13, 0
	v_mov_b32_e32 v14, 0
	v_mov_b32_e32 v15, 0
	v_mov_b32_e32 v16, 0
	v_mov_b32_e32 v17, 0
	v_mov_b32_e32 v18, 0
	v_mov_b32_e32 v9, 0
	s_and_saveexec_b64 s[16:17], vcc
	s_cbranch_execz .LBB1882_253
; %bb.224:
	v_add_u32_e32 v2, 7, v1
	v_cmp_gt_u32_e32 vcc, s33, v2
	v_mov_b32_e32 v2, 0
	v_mov_b32_e32 v3, 0
	v_mov_b32_e32 v4, 0
	v_mov_b32_e32 v5, 0
	v_mov_b32_e32 v6, 0
	v_mov_b32_e32 v7, 0
	v_mov_b32_e32 v8, 0
	v_mov_b32_e32 v10, 0
	v_mov_b32_e32 v11, 0
	v_mov_b32_e32 v12, 0
	v_mov_b32_e32 v13, 0
	v_mov_b32_e32 v14, 0
	v_mov_b32_e32 v15, 0
	v_mov_b32_e32 v16, 0
	v_mov_b32_e32 v17, 0
	v_mov_b32_e32 v9, 0
	s_and_saveexec_b64 s[18:19], vcc
	s_cbranch_execz .LBB1882_252
; %bb.225:
	v_add_u32_e32 v2, 8, v1
	v_cmp_gt_u32_e32 vcc, s33, v2
	v_mov_b32_e32 v2, 0
	v_mov_b32_e32 v3, 0
	;; [unrolled: 1-line block ×15, first 2 shown]
	s_and_saveexec_b64 s[20:21], vcc
	s_cbranch_execz .LBB1882_251
; %bb.226:
	v_add_u32_e32 v2, 9, v1
	v_cmp_gt_u32_e32 vcc, s33, v2
	v_mov_b32_e32 v2, 0
	v_mov_b32_e32 v3, 0
	;; [unrolled: 1-line block ×14, first 2 shown]
	s_and_saveexec_b64 s[22:23], vcc
	s_cbranch_execz .LBB1882_250
; %bb.227:
	v_add_u32_e32 v2, 10, v1
	v_cmp_gt_u32_e32 vcc, s33, v2
	v_mov_b32_e32 v2, 0
	v_mov_b32_e32 v3, 0
	v_mov_b32_e32 v4, 0
	v_mov_b32_e32 v5, 0
	v_mov_b32_e32 v6, 0
	v_mov_b32_e32 v7, 0
	v_mov_b32_e32 v8, 0
	v_mov_b32_e32 v10, 0
	v_mov_b32_e32 v11, 0
	v_mov_b32_e32 v12, 0
	v_mov_b32_e32 v13, 0
	v_mov_b32_e32 v14, 0
	v_mov_b32_e32 v9, 0
	s_and_saveexec_b64 s[24:25], vcc
	s_cbranch_execz .LBB1882_249
; %bb.228:
	v_add_u32_e32 v2, 11, v1
	v_cmp_gt_u32_e32 vcc, s33, v2
	v_mov_b32_e32 v2, 0
	v_mov_b32_e32 v3, 0
	;; [unrolled: 1-line block ×12, first 2 shown]
	s_and_saveexec_b64 s[26:27], vcc
	s_cbranch_execz .LBB1882_248
; %bb.229:
	v_add_u32_e32 v2, 12, v1
	v_cmp_gt_u32_e32 vcc, s33, v2
	v_mov_b32_e32 v2, 0
	v_mov_b32_e32 v3, 0
	;; [unrolled: 1-line block ×11, first 2 shown]
	s_and_saveexec_b64 s[28:29], vcc
	s_cbranch_execz .LBB1882_247
; %bb.230:
	v_add_u32_e32 v2, 13, v1
	v_cmp_gt_u32_e32 vcc, s33, v2
	v_mov_b32_e32 v2, 0
	v_mov_b32_e32 v3, 0
	;; [unrolled: 1-line block ×10, first 2 shown]
	s_and_saveexec_b64 s[30:31], vcc
	s_cbranch_execz .LBB1882_246
; %bb.231:
	v_add_u32_e32 v2, 14, v1
	v_cmp_gt_u32_e32 vcc, s33, v2
	v_mov_b32_e32 v2, 0
	v_mov_b32_e32 v3, 0
	v_mov_b32_e32 v4, 0
	v_mov_b32_e32 v5, 0
	v_mov_b32_e32 v6, 0
	v_mov_b32_e32 v7, 0
	v_mov_b32_e32 v8, 0
	v_mov_b32_e32 v10, 0
	v_mov_b32_e32 v9, 0
	s_and_saveexec_b64 s[34:35], vcc
	s_cbranch_execz .LBB1882_245
; %bb.232:
	v_add_u32_e32 v2, 15, v1
	v_cmp_gt_u32_e32 vcc, s33, v2
	v_mov_b32_e32 v2, 0
	v_mov_b32_e32 v3, 0
	;; [unrolled: 1-line block ×8, first 2 shown]
	s_and_saveexec_b64 s[36:37], vcc
	s_cbranch_execz .LBB1882_244
; %bb.233:
	v_add_u32_e32 v2, 16, v1
	v_cmp_gt_u32_e32 vcc, s33, v2
	v_mov_b32_e32 v2, 0
	v_mov_b32_e32 v3, 0
	;; [unrolled: 1-line block ×7, first 2 shown]
	s_and_saveexec_b64 s[38:39], vcc
	s_cbranch_execz .LBB1882_243
; %bb.234:
	v_add_u32_e32 v2, 17, v1
	v_cmp_gt_u32_e32 vcc, s33, v2
	v_mov_b32_e32 v2, 0
	v_mov_b32_e32 v3, 0
	;; [unrolled: 1-line block ×6, first 2 shown]
	s_and_saveexec_b64 s[40:41], vcc
	s_cbranch_execz .LBB1882_242
; %bb.235:
	v_add_u32_e32 v2, 18, v1
	v_cmp_gt_u32_e32 vcc, s33, v2
	v_mov_b32_e32 v2, 0
	v_mov_b32_e32 v3, 0
	;; [unrolled: 1-line block ×5, first 2 shown]
	s_and_saveexec_b64 s[42:43], vcc
	s_cbranch_execz .LBB1882_241
; %bb.236:
	v_add_u32_e32 v2, 19, v1
	v_cmp_gt_u32_e32 vcc, s33, v2
	v_mov_b32_e32 v2, 0
	v_mov_b32_e32 v3, 0
	;; [unrolled: 1-line block ×4, first 2 shown]
	s_and_saveexec_b64 s[44:45], vcc
	s_cbranch_execz .LBB1882_240
; %bb.237:
	v_add_u32_e32 v2, 20, v1
	v_cmp_gt_u32_e32 vcc, s33, v2
	v_mov_b32_e32 v2, 0
	v_mov_b32_e32 v3, 0
	;; [unrolled: 1-line block ×3, first 2 shown]
	s_and_saveexec_b64 s[46:47], vcc
; %bb.238:
	v_add_u32_e32 v2, 21, v1
	v_add_u32_e32 v3, 22, v1
	v_cmp_gt_u32_e32 vcc, s33, v2
	v_cmp_gt_u32_e64 s[0:1], s33, v3
	v_mov_b32_e32 v3, v77
	v_cndmask_b32_e32 v2, 0, v78, vcc
	s_and_b64 vcc, vcc, s[0:1]
	v_cndmask_b32_e32 v9, 0, v79, vcc
; %bb.239:
	s_or_b64 exec, exec, s[46:47]
	v_mov_b32_e32 v4, v76
.LBB1882_240:
	s_or_b64 exec, exec, s[44:45]
	v_mov_b32_e32 v5, v75
.LBB1882_241:
	s_or_b64 exec, exec, s[42:43]
	v_mov_b32_e32 v6, v74
.LBB1882_242:
	s_or_b64 exec, exec, s[40:41]
	v_mov_b32_e32 v7, v73
.LBB1882_243:
	s_or_b64 exec, exec, s[38:39]
	v_mov_b32_e32 v8, v72
.LBB1882_244:
	s_or_b64 exec, exec, s[36:37]
	v_mov_b32_e32 v10, v71
.LBB1882_245:
	s_or_b64 exec, exec, s[34:35]
	v_mov_b32_e32 v11, v70
.LBB1882_246:
	s_or_b64 exec, exec, s[30:31]
	v_mov_b32_e32 v12, v69
.LBB1882_247:
	s_or_b64 exec, exec, s[28:29]
	v_mov_b32_e32 v13, v68
.LBB1882_248:
	s_or_b64 exec, exec, s[26:27]
	v_mov_b32_e32 v14, v67
.LBB1882_249:
	s_or_b64 exec, exec, s[24:25]
	v_mov_b32_e32 v15, v66
.LBB1882_250:
	s_or_b64 exec, exec, s[22:23]
	v_mov_b32_e32 v16, v65
.LBB1882_251:
	s_or_b64 exec, exec, s[20:21]
	v_mov_b32_e32 v17, v64
.LBB1882_252:
	s_or_b64 exec, exec, s[18:19]
	v_mov_b32_e32 v18, v63
.LBB1882_253:
	s_or_b64 exec, exec, s[16:17]
	v_mov_b32_e32 v19, v62
.LBB1882_254:
	s_or_b64 exec, exec, s[14:15]
	v_mov_b32_e32 v20, v61
.LBB1882_255:
	s_or_b64 exec, exec, s[12:13]
	v_mov_b32_e32 v21, v60
.LBB1882_256:
	s_or_b64 exec, exec, s[10:11]
	v_mov_b32_e32 v22, v59
.LBB1882_257:
	s_or_b64 exec, exec, s[8:9]
	v_mov_b32_e32 v23, v58
.LBB1882_258:
	s_or_b64 exec, exec, s[6:7]
	v_mov_b32_e32 v24, v80
.LBB1882_259:
	s_or_b64 exec, exec, s[2:3]
	v_lshlrev_b32_e32 v1, 2, v1
	s_movk_i32 s0, 0xffa8
	s_barrier
	ds_write2_b32 v1, v24, v23 offset1:1
	ds_write2_b32 v1, v22, v21 offset0:2 offset1:3
	ds_write2_b32 v1, v20, v19 offset0:4 offset1:5
	;; [unrolled: 1-line block ×10, first 2 shown]
	ds_write_b32 v1, v9 offset:88
	v_mad_i32_i24 v2, v0, s0, v1
	s_waitcnt lgkmcnt(0)
	s_barrier
	ds_read2st64_b32 v[24:25], v2 offset0:4 offset1:8
	ds_read2st64_b32 v[22:23], v2 offset0:12 offset1:16
	;; [unrolled: 1-line block ×11, first 2 shown]
	v_lshl_add_u64 v[4:5], s[4:5], 0, v[52:53]
	v_cmp_gt_u32_e32 vcc, s33, v0
	s_and_saveexec_b64 s[0:1], vcc
	s_cbranch_execz .LBB1882_261
; %bb.260:
	v_mul_i32_i24_e32 v26, 0xffffffa8, v0
	v_add_u32_e32 v1, v1, v26
	ds_read_b32 v1, v1
	s_waitcnt lgkmcnt(0)
	flat_store_dword v[4:5], v1
.LBB1882_261:
	s_or_b64 exec, exec, s[0:1]
	v_or_b32_e32 v1, 0x100, v0
	v_cmp_gt_u32_e32 vcc, s33, v1
	s_and_saveexec_b64 s[0:1], vcc
	s_cbranch_execz .LBB1882_263
; %bb.262:
	s_waitcnt lgkmcnt(0)
	flat_store_dword v[4:5], v24 offset:1024
.LBB1882_263:
	s_or_b64 exec, exec, s[0:1]
	v_or_b32_e32 v1, 0x200, v0
	v_cmp_gt_u32_e32 vcc, s33, v1
	s_and_saveexec_b64 s[0:1], vcc
	s_cbranch_execz .LBB1882_265
; %bb.264:
	s_waitcnt lgkmcnt(0)
	flat_store_dword v[4:5], v25 offset:2048
.LBB1882_265:
	;; [unrolled: 9-line block ×3, first 2 shown]
	s_or_b64 exec, exec, s[0:1]
	v_or_b32_e32 v1, 0x400, v0
	v_cmp_gt_u32_e32 vcc, s33, v1
	s_and_saveexec_b64 s[0:1], vcc
	s_cbranch_execz .LBB1882_269
; %bb.268:
	s_waitcnt lgkmcnt(0)
	v_add_co_u32_e32 v24, vcc, 0x1000, v4
	s_nop 1
	v_addc_co_u32_e32 v25, vcc, 0, v5, vcc
	flat_store_dword v[24:25], v23
.LBB1882_269:
	s_or_b64 exec, exec, s[0:1]
	v_or_b32_e32 v1, 0x500, v0
	v_cmp_gt_u32_e32 vcc, s33, v1
	s_and_saveexec_b64 s[0:1], vcc
	s_cbranch_execz .LBB1882_271
; %bb.270:
	s_waitcnt lgkmcnt(0)
	v_add_co_u32_e32 v22, vcc, 0x1000, v4
	s_nop 1
	v_addc_co_u32_e32 v23, vcc, 0, v5, vcc
	flat_store_dword v[22:23], v20 offset:1024
.LBB1882_271:
	s_or_b64 exec, exec, s[0:1]
	v_or_b32_e32 v1, 0x600, v0
	v_cmp_gt_u32_e32 vcc, s33, v1
	s_and_saveexec_b64 s[0:1], vcc
	s_cbranch_execz .LBB1882_273
; %bb.272:
	s_waitcnt lgkmcnt(0)
	v_add_co_u32_e32 v22, vcc, 0x1000, v4
	s_nop 1
	v_addc_co_u32_e32 v23, vcc, 0, v5, vcc
	flat_store_dword v[22:23], v21 offset:2048
.LBB1882_273:
	s_or_b64 exec, exec, s[0:1]
	v_or_b32_e32 v1, 0x700, v0
	v_cmp_gt_u32_e32 vcc, s33, v1
	s_and_saveexec_b64 s[0:1], vcc
	s_cbranch_execz .LBB1882_275
; %bb.274:
	s_waitcnt lgkmcnt(0)
	v_add_co_u32_e32 v20, vcc, 0x1000, v4
	s_nop 1
	v_addc_co_u32_e32 v21, vcc, 0, v5, vcc
	flat_store_dword v[20:21], v18 offset:3072
.LBB1882_275:
	s_or_b64 exec, exec, s[0:1]
	v_or_b32_e32 v1, 0x800, v0
	v_cmp_gt_u32_e32 vcc, s33, v1
	s_and_saveexec_b64 s[0:1], vcc
	s_cbranch_execz .LBB1882_277
; %bb.276:
	s_waitcnt lgkmcnt(0)
	v_add_co_u32_e32 v20, vcc, 0x2000, v4
	s_nop 1
	v_addc_co_u32_e32 v21, vcc, 0, v5, vcc
	flat_store_dword v[20:21], v19
.LBB1882_277:
	s_or_b64 exec, exec, s[0:1]
	v_or_b32_e32 v1, 0x900, v0
	v_cmp_gt_u32_e32 vcc, s33, v1
	s_and_saveexec_b64 s[0:1], vcc
	s_cbranch_execz .LBB1882_279
; %bb.278:
	s_waitcnt lgkmcnt(0)
	v_add_co_u32_e32 v18, vcc, 0x2000, v4
	s_nop 1
	v_addc_co_u32_e32 v19, vcc, 0, v5, vcc
	flat_store_dword v[18:19], v16 offset:1024
.LBB1882_279:
	s_or_b64 exec, exec, s[0:1]
	v_or_b32_e32 v1, 0xa00, v0
	v_cmp_gt_u32_e32 vcc, s33, v1
	s_and_saveexec_b64 s[0:1], vcc
	s_cbranch_execz .LBB1882_281
; %bb.280:
	s_waitcnt lgkmcnt(0)
	v_add_co_u32_e32 v18, vcc, 0x2000, v4
	s_nop 1
	v_addc_co_u32_e32 v19, vcc, 0, v5, vcc
	flat_store_dword v[18:19], v17 offset:2048
.LBB1882_281:
	s_or_b64 exec, exec, s[0:1]
	v_or_b32_e32 v1, 0xb00, v0
	v_cmp_gt_u32_e32 vcc, s33, v1
	s_and_saveexec_b64 s[0:1], vcc
	s_cbranch_execz .LBB1882_283
; %bb.282:
	s_waitcnt lgkmcnt(0)
	v_add_co_u32_e32 v16, vcc, 0x2000, v4
	s_nop 1
	v_addc_co_u32_e32 v17, vcc, 0, v5, vcc
	flat_store_dword v[16:17], v14 offset:3072
.LBB1882_283:
	;; [unrolled: 48-line block ×4, first 2 shown]
	s_or_b64 exec, exec, s[0:1]
	v_or_b32_e32 v1, 0x1400, v0
	v_cmp_gt_u32_e32 vcc, s33, v1
	s_and_saveexec_b64 s[0:1], vcc
	s_cbranch_execz .LBB1882_301
; %bb.300:
	s_waitcnt lgkmcnt(0)
	v_add_co_u32_e32 v8, vcc, 0x5000, v4
	s_nop 1
	v_addc_co_u32_e32 v9, vcc, 0, v5, vcc
	flat_store_dword v[8:9], v7
.LBB1882_301:
	s_or_b64 exec, exec, s[0:1]
	v_or_b32_e32 v1, 0x1500, v0
	v_cmp_gt_u32_e32 vcc, s33, v1
	s_and_saveexec_b64 s[0:1], vcc
	s_cbranch_execz .LBB1882_303
; %bb.302:
	v_add_co_u32_e32 v4, vcc, 0x5000, v4
	s_nop 1
	v_addc_co_u32_e32 v5, vcc, 0, v5, vcc
	s_waitcnt lgkmcnt(0)
	flat_store_dword v[4:5], v2 offset:1024
.LBB1882_303:
	s_or_b64 exec, exec, s[0:1]
	s_waitcnt lgkmcnt(0)
	v_or_b32_e32 v2, 0x1600, v0
	v_mov_b32_e32 v1, v53
	v_cmp_gt_u32_e64 s[0:1], s33, v2
	s_branch .LBB1882_306
.LBB1882_304:
	s_mov_b64 s[0:1], 0
                                        ; implicit-def: $vgpr3
	s_cbranch_execz .LBB1882_306
; %bb.305:
	s_waitcnt lgkmcnt(0)
	v_mul_u32_u24_e32 v1, 0x5c, v0
	s_barrier
	s_movk_i32 s2, 0x5c
	ds_write2_b32 v1, v80, v58 offset1:1
	ds_write2_b32 v1, v59, v60 offset0:2 offset1:3
	ds_write2_b32 v1, v61, v62 offset0:4 offset1:5
	ds_write2_b32 v1, v63, v64 offset0:6 offset1:7
	ds_write2_b32 v1, v65, v66 offset0:8 offset1:9
	ds_write2_b32 v1, v67, v68 offset0:10 offset1:11
	ds_write2_b32 v1, v69, v70 offset0:12 offset1:13
	ds_write2_b32 v1, v71, v72 offset0:14 offset1:15
	ds_write2_b32 v1, v73, v74 offset0:16 offset1:17
	ds_write2_b32 v1, v75, v76 offset0:18 offset1:19
	ds_write2_b32 v1, v77, v78 offset0:20 offset1:21
	ds_write_b32 v1, v79 offset:88
	v_mov_b32_e32 v1, 0
	v_mul_i32_i24_e32 v2, 0xffffffa8, v0
	v_mad_u32_u24 v2, v0, s2, v2
	v_mov_b32_e32 v53, v1
	s_waitcnt lgkmcnt(0)
	s_barrier
	ds_read2st64_b32 v[4:5], v2 offset1:4
	ds_read2st64_b32 v[6:7], v2 offset0:8 offset1:12
	ds_read2st64_b32 v[8:9], v2 offset0:16 offset1:20
	ds_read2st64_b32 v[10:11], v2 offset0:24 offset1:28
	ds_read2st64_b32 v[12:13], v2 offset0:32 offset1:36
	ds_read2st64_b32 v[14:15], v2 offset0:40 offset1:44
	ds_read2st64_b32 v[16:17], v2 offset0:48 offset1:52
	ds_read2st64_b32 v[18:19], v2 offset0:56 offset1:60
	ds_read2st64_b32 v[20:21], v2 offset0:64 offset1:68
	ds_read2st64_b32 v[22:23], v2 offset0:72 offset1:76
	ds_read2st64_b32 v[24:25], v2 offset0:80 offset1:84
	ds_read_b32 v3, v2 offset:22528
	v_lshl_add_u64 v[26:27], s[4:5], 0, v[52:53]
	s_movk_i32 s2, 0x1000
	s_waitcnt lgkmcnt(0)
	flat_store_dword v[26:27], v4
	flat_store_dword v[26:27], v5 offset:1024
	flat_store_dword v[26:27], v6 offset:2048
	;; [unrolled: 1-line block ×3, first 2 shown]
	v_add_co_u32_e32 v4, vcc, s2, v26
	s_movk_i32 s2, 0x2000
	s_nop 0
	v_addc_co_u32_e32 v5, vcc, 0, v27, vcc
	flat_store_dword v[4:5], v8
	flat_store_dword v[4:5], v9 offset:1024
	flat_store_dword v[4:5], v10 offset:2048
	flat_store_dword v[4:5], v11 offset:3072
	v_add_co_u32_e32 v4, vcc, s2, v26
	s_movk_i32 s2, 0x3000
	s_nop 0
	v_addc_co_u32_e32 v5, vcc, 0, v27, vcc
	flat_store_dword v[4:5], v12
	flat_store_dword v[4:5], v13 offset:1024
	flat_store_dword v[4:5], v14 offset:2048
	;; [unrolled: 1-line block ×3, first 2 shown]
	v_add_co_u32_e32 v4, vcc, s2, v26
	s_or_b64 s[0:1], s[0:1], exec
	s_nop 0
	v_addc_co_u32_e32 v5, vcc, 0, v27, vcc
	flat_store_dword v[4:5], v16
	flat_store_dword v[4:5], v17 offset:1024
	flat_store_dword v[4:5], v18 offset:2048
	;; [unrolled: 1-line block ×3, first 2 shown]
	v_add_co_u32_e32 v4, vcc, 0x4000, v26
	s_nop 1
	v_addc_co_u32_e32 v5, vcc, 0, v27, vcc
	flat_store_dword v[4:5], v20
	flat_store_dword v[4:5], v21 offset:1024
	flat_store_dword v[4:5], v22 offset:2048
	;; [unrolled: 1-line block ×3, first 2 shown]
	v_add_co_u32_e32 v4, vcc, 0x5000, v26
	s_nop 1
	v_addc_co_u32_e32 v5, vcc, 0, v27, vcc
	flat_store_dword v[4:5], v24
	flat_store_dword v[4:5], v25 offset:1024
.LBB1882_306:
	s_and_saveexec_b64 s[2:3], s[0:1]
	s_cbranch_execnz .LBB1882_308
; %bb.307:
	s_endpgm
.LBB1882_308:
	s_waitcnt lgkmcnt(0)
	v_lshl_add_u64 v[0:1], v[0:1], 2, s[4:5]
	v_add_co_u32_e32 v0, vcc, 0x5000, v0
	s_nop 1
	v_addc_co_u32_e32 v1, vcc, 0, v1, vcc
	flat_store_dword v[0:1], v3 offset:2048
	s_endpgm
.LBB1882_309:
	v_lshlrev_b32_e32 v34, 2, v26
	v_mov_b32_e32 v35, 0
	v_lshl_add_u64 v[34:35], s[60:61], 0, v[34:35]
	flat_load_dword v25, v[34:35]
	s_or_b64 exec, exec, s[0:1]
	s_and_saveexec_b64 s[0:1], s[50:51]
	s_cbranch_execz .LBB1882_99
.LBB1882_310:
	v_lshlrev_b32_e32 v26, 2, v27
	v_mov_b32_e32 v27, 0
	v_lshl_add_u64 v[26:27], s[60:61], 0, v[26:27]
	flat_load_dword v24, v[26:27]
	s_or_b64 exec, exec, s[0:1]
	v_mov_b32_e32 v26, 0
	s_and_saveexec_b64 s[0:1], s[52:53]
	s_cbranch_execnz .LBB1882_100
	s_branch .LBB1882_101
.LBB1882_311:
	v_add_u32_e32 v1, -1, v0
	v_lshrrev_b32_e32 v2, 5, v1
	v_add_lshl_u32 v1, v2, v1, 3
	ds_read_b32 v1, v1
	s_or_b64 exec, exec, s[0:1]
	s_and_saveexec_b64 s[50:51], s[4:5]
	s_cbranch_execz .LBB1882_213
.LBB1882_312:
	v_and_b32_e32 v3, 0xff, v11
	v_mov_b32_e32 v2, 0
	v_cmp_eq_u64_e64 s[0:1], 0, v[2:3]
	;;#ASMSTART
	;;#ASMEND
	s_waitcnt lgkmcnt(0)
	s_nop 0
	v_cndmask_b32_e64 v1, 0, v1, s[0:1]
	v_add_u32_e32 v10, v1, v10
	v_cndmask_b32_e32 v1, 0, v10, vcc
	v_add_u32_e32 v58, v1, v12
	v_cndmask_b32_e64 v1, 0, v58, s[6:7]
	v_add_u32_e32 v59, v1, v14
	v_cndmask_b32_e64 v1, 0, v59, s[8:9]
	;; [unrolled: 2-line block ×21, first 2 shown]
	v_add_u32_e32 v79, v1, v56
	s_or_b64 exec, exec, s[50:51]
	s_and_saveexec_b64 s[0:1], s[54:55]
	s_cbranch_execnz .LBB1882_214
	s_branch .LBB1882_215
.LBB1882_313:
                                        ; implicit-def: $sgpr0_sgpr1
	s_branch .LBB1882_54
.LBB1882_314:
                                        ; implicit-def: $sgpr0_sgpr1
	s_branch .LBB1882_150
	.section	.rodata,"a",@progbits
	.p2align	6, 0x0
	.amdhsa_kernel _ZN7rocprim17ROCPRIM_400000_NS6detail17trampoline_kernelINS0_14default_configENS1_27scan_by_key_config_selectorIj11FixedVectorIiLj1EEEEZZNS1_16scan_by_key_implILNS1_25lookback_scan_determinismE0ELb0ES3_N6thrust23THRUST_200600_302600_NS6detail15normal_iteratorINSB_10device_ptrIjEEEENSD_INSE_IS6_EEEESI_S6_NSB_4plusIvEENSB_8equal_toIvEES6_EE10hipError_tPvRmT2_T3_T4_T5_mT6_T7_P12ihipStream_tbENKUlT_T0_E_clISt17integral_constantIbLb1EES13_EEDaSY_SZ_EUlSY_E_NS1_11comp_targetILNS1_3genE5ELNS1_11target_archE942ELNS1_3gpuE9ELNS1_3repE0EEENS1_30default_config_static_selectorELNS0_4arch9wavefront6targetE1EEEvT1_
		.amdhsa_group_segment_fixed_size 25600
		.amdhsa_private_segment_fixed_size 0
		.amdhsa_kernarg_size 112
		.amdhsa_user_sgpr_count 2
		.amdhsa_user_sgpr_dispatch_ptr 0
		.amdhsa_user_sgpr_queue_ptr 0
		.amdhsa_user_sgpr_kernarg_segment_ptr 1
		.amdhsa_user_sgpr_dispatch_id 0
		.amdhsa_user_sgpr_kernarg_preload_length 0
		.amdhsa_user_sgpr_kernarg_preload_offset 0
		.amdhsa_user_sgpr_private_segment_size 0
		.amdhsa_uses_dynamic_stack 0
		.amdhsa_enable_private_segment 0
		.amdhsa_system_sgpr_workgroup_id_x 1
		.amdhsa_system_sgpr_workgroup_id_y 0
		.amdhsa_system_sgpr_workgroup_id_z 0
		.amdhsa_system_sgpr_workgroup_info 0
		.amdhsa_system_vgpr_workitem_id 0
		.amdhsa_next_free_vgpr 81
		.amdhsa_next_free_sgpr 85
		.amdhsa_accum_offset 84
		.amdhsa_reserve_vcc 1
		.amdhsa_float_round_mode_32 0
		.amdhsa_float_round_mode_16_64 0
		.amdhsa_float_denorm_mode_32 3
		.amdhsa_float_denorm_mode_16_64 3
		.amdhsa_dx10_clamp 1
		.amdhsa_ieee_mode 1
		.amdhsa_fp16_overflow 0
		.amdhsa_tg_split 0
		.amdhsa_exception_fp_ieee_invalid_op 0
		.amdhsa_exception_fp_denorm_src 0
		.amdhsa_exception_fp_ieee_div_zero 0
		.amdhsa_exception_fp_ieee_overflow 0
		.amdhsa_exception_fp_ieee_underflow 0
		.amdhsa_exception_fp_ieee_inexact 0
		.amdhsa_exception_int_div_zero 0
	.end_amdhsa_kernel
	.section	.text._ZN7rocprim17ROCPRIM_400000_NS6detail17trampoline_kernelINS0_14default_configENS1_27scan_by_key_config_selectorIj11FixedVectorIiLj1EEEEZZNS1_16scan_by_key_implILNS1_25lookback_scan_determinismE0ELb0ES3_N6thrust23THRUST_200600_302600_NS6detail15normal_iteratorINSB_10device_ptrIjEEEENSD_INSE_IS6_EEEESI_S6_NSB_4plusIvEENSB_8equal_toIvEES6_EE10hipError_tPvRmT2_T3_T4_T5_mT6_T7_P12ihipStream_tbENKUlT_T0_E_clISt17integral_constantIbLb1EES13_EEDaSY_SZ_EUlSY_E_NS1_11comp_targetILNS1_3genE5ELNS1_11target_archE942ELNS1_3gpuE9ELNS1_3repE0EEENS1_30default_config_static_selectorELNS0_4arch9wavefront6targetE1EEEvT1_,"axG",@progbits,_ZN7rocprim17ROCPRIM_400000_NS6detail17trampoline_kernelINS0_14default_configENS1_27scan_by_key_config_selectorIj11FixedVectorIiLj1EEEEZZNS1_16scan_by_key_implILNS1_25lookback_scan_determinismE0ELb0ES3_N6thrust23THRUST_200600_302600_NS6detail15normal_iteratorINSB_10device_ptrIjEEEENSD_INSE_IS6_EEEESI_S6_NSB_4plusIvEENSB_8equal_toIvEES6_EE10hipError_tPvRmT2_T3_T4_T5_mT6_T7_P12ihipStream_tbENKUlT_T0_E_clISt17integral_constantIbLb1EES13_EEDaSY_SZ_EUlSY_E_NS1_11comp_targetILNS1_3genE5ELNS1_11target_archE942ELNS1_3gpuE9ELNS1_3repE0EEENS1_30default_config_static_selectorELNS0_4arch9wavefront6targetE1EEEvT1_,comdat
.Lfunc_end1882:
	.size	_ZN7rocprim17ROCPRIM_400000_NS6detail17trampoline_kernelINS0_14default_configENS1_27scan_by_key_config_selectorIj11FixedVectorIiLj1EEEEZZNS1_16scan_by_key_implILNS1_25lookback_scan_determinismE0ELb0ES3_N6thrust23THRUST_200600_302600_NS6detail15normal_iteratorINSB_10device_ptrIjEEEENSD_INSE_IS6_EEEESI_S6_NSB_4plusIvEENSB_8equal_toIvEES6_EE10hipError_tPvRmT2_T3_T4_T5_mT6_T7_P12ihipStream_tbENKUlT_T0_E_clISt17integral_constantIbLb1EES13_EEDaSY_SZ_EUlSY_E_NS1_11comp_targetILNS1_3genE5ELNS1_11target_archE942ELNS1_3gpuE9ELNS1_3repE0EEENS1_30default_config_static_selectorELNS0_4arch9wavefront6targetE1EEEvT1_, .Lfunc_end1882-_ZN7rocprim17ROCPRIM_400000_NS6detail17trampoline_kernelINS0_14default_configENS1_27scan_by_key_config_selectorIj11FixedVectorIiLj1EEEEZZNS1_16scan_by_key_implILNS1_25lookback_scan_determinismE0ELb0ES3_N6thrust23THRUST_200600_302600_NS6detail15normal_iteratorINSB_10device_ptrIjEEEENSD_INSE_IS6_EEEESI_S6_NSB_4plusIvEENSB_8equal_toIvEES6_EE10hipError_tPvRmT2_T3_T4_T5_mT6_T7_P12ihipStream_tbENKUlT_T0_E_clISt17integral_constantIbLb1EES13_EEDaSY_SZ_EUlSY_E_NS1_11comp_targetILNS1_3genE5ELNS1_11target_archE942ELNS1_3gpuE9ELNS1_3repE0EEENS1_30default_config_static_selectorELNS0_4arch9wavefront6targetE1EEEvT1_
                                        ; -- End function
	.section	.AMDGPU.csdata,"",@progbits
; Kernel info:
; codeLenInByte = 17144
; NumSgprs: 91
; NumVgprs: 81
; NumAgprs: 0
; TotalNumVgprs: 81
; ScratchSize: 0
; MemoryBound: 0
; FloatMode: 240
; IeeeMode: 1
; LDSByteSize: 25600 bytes/workgroup (compile time only)
; SGPRBlocks: 11
; VGPRBlocks: 10
; NumSGPRsForWavesPerEU: 91
; NumVGPRsForWavesPerEU: 81
; AccumOffset: 84
; Occupancy: 2
; WaveLimiterHint : 1
; COMPUTE_PGM_RSRC2:SCRATCH_EN: 0
; COMPUTE_PGM_RSRC2:USER_SGPR: 2
; COMPUTE_PGM_RSRC2:TRAP_HANDLER: 0
; COMPUTE_PGM_RSRC2:TGID_X_EN: 1
; COMPUTE_PGM_RSRC2:TGID_Y_EN: 0
; COMPUTE_PGM_RSRC2:TGID_Z_EN: 0
; COMPUTE_PGM_RSRC2:TIDIG_COMP_CNT: 0
; COMPUTE_PGM_RSRC3_GFX90A:ACCUM_OFFSET: 20
; COMPUTE_PGM_RSRC3_GFX90A:TG_SPLIT: 0
	.section	.text._ZN7rocprim17ROCPRIM_400000_NS6detail17trampoline_kernelINS0_14default_configENS1_27scan_by_key_config_selectorIj11FixedVectorIiLj1EEEEZZNS1_16scan_by_key_implILNS1_25lookback_scan_determinismE0ELb0ES3_N6thrust23THRUST_200600_302600_NS6detail15normal_iteratorINSB_10device_ptrIjEEEENSD_INSE_IS6_EEEESI_S6_NSB_4plusIvEENSB_8equal_toIvEES6_EE10hipError_tPvRmT2_T3_T4_T5_mT6_T7_P12ihipStream_tbENKUlT_T0_E_clISt17integral_constantIbLb1EES13_EEDaSY_SZ_EUlSY_E_NS1_11comp_targetILNS1_3genE4ELNS1_11target_archE910ELNS1_3gpuE8ELNS1_3repE0EEENS1_30default_config_static_selectorELNS0_4arch9wavefront6targetE1EEEvT1_,"axG",@progbits,_ZN7rocprim17ROCPRIM_400000_NS6detail17trampoline_kernelINS0_14default_configENS1_27scan_by_key_config_selectorIj11FixedVectorIiLj1EEEEZZNS1_16scan_by_key_implILNS1_25lookback_scan_determinismE0ELb0ES3_N6thrust23THRUST_200600_302600_NS6detail15normal_iteratorINSB_10device_ptrIjEEEENSD_INSE_IS6_EEEESI_S6_NSB_4plusIvEENSB_8equal_toIvEES6_EE10hipError_tPvRmT2_T3_T4_T5_mT6_T7_P12ihipStream_tbENKUlT_T0_E_clISt17integral_constantIbLb1EES13_EEDaSY_SZ_EUlSY_E_NS1_11comp_targetILNS1_3genE4ELNS1_11target_archE910ELNS1_3gpuE8ELNS1_3repE0EEENS1_30default_config_static_selectorELNS0_4arch9wavefront6targetE1EEEvT1_,comdat
	.protected	_ZN7rocprim17ROCPRIM_400000_NS6detail17trampoline_kernelINS0_14default_configENS1_27scan_by_key_config_selectorIj11FixedVectorIiLj1EEEEZZNS1_16scan_by_key_implILNS1_25lookback_scan_determinismE0ELb0ES3_N6thrust23THRUST_200600_302600_NS6detail15normal_iteratorINSB_10device_ptrIjEEEENSD_INSE_IS6_EEEESI_S6_NSB_4plusIvEENSB_8equal_toIvEES6_EE10hipError_tPvRmT2_T3_T4_T5_mT6_T7_P12ihipStream_tbENKUlT_T0_E_clISt17integral_constantIbLb1EES13_EEDaSY_SZ_EUlSY_E_NS1_11comp_targetILNS1_3genE4ELNS1_11target_archE910ELNS1_3gpuE8ELNS1_3repE0EEENS1_30default_config_static_selectorELNS0_4arch9wavefront6targetE1EEEvT1_ ; -- Begin function _ZN7rocprim17ROCPRIM_400000_NS6detail17trampoline_kernelINS0_14default_configENS1_27scan_by_key_config_selectorIj11FixedVectorIiLj1EEEEZZNS1_16scan_by_key_implILNS1_25lookback_scan_determinismE0ELb0ES3_N6thrust23THRUST_200600_302600_NS6detail15normal_iteratorINSB_10device_ptrIjEEEENSD_INSE_IS6_EEEESI_S6_NSB_4plusIvEENSB_8equal_toIvEES6_EE10hipError_tPvRmT2_T3_T4_T5_mT6_T7_P12ihipStream_tbENKUlT_T0_E_clISt17integral_constantIbLb1EES13_EEDaSY_SZ_EUlSY_E_NS1_11comp_targetILNS1_3genE4ELNS1_11target_archE910ELNS1_3gpuE8ELNS1_3repE0EEENS1_30default_config_static_selectorELNS0_4arch9wavefront6targetE1EEEvT1_
	.globl	_ZN7rocprim17ROCPRIM_400000_NS6detail17trampoline_kernelINS0_14default_configENS1_27scan_by_key_config_selectorIj11FixedVectorIiLj1EEEEZZNS1_16scan_by_key_implILNS1_25lookback_scan_determinismE0ELb0ES3_N6thrust23THRUST_200600_302600_NS6detail15normal_iteratorINSB_10device_ptrIjEEEENSD_INSE_IS6_EEEESI_S6_NSB_4plusIvEENSB_8equal_toIvEES6_EE10hipError_tPvRmT2_T3_T4_T5_mT6_T7_P12ihipStream_tbENKUlT_T0_E_clISt17integral_constantIbLb1EES13_EEDaSY_SZ_EUlSY_E_NS1_11comp_targetILNS1_3genE4ELNS1_11target_archE910ELNS1_3gpuE8ELNS1_3repE0EEENS1_30default_config_static_selectorELNS0_4arch9wavefront6targetE1EEEvT1_
	.p2align	8
	.type	_ZN7rocprim17ROCPRIM_400000_NS6detail17trampoline_kernelINS0_14default_configENS1_27scan_by_key_config_selectorIj11FixedVectorIiLj1EEEEZZNS1_16scan_by_key_implILNS1_25lookback_scan_determinismE0ELb0ES3_N6thrust23THRUST_200600_302600_NS6detail15normal_iteratorINSB_10device_ptrIjEEEENSD_INSE_IS6_EEEESI_S6_NSB_4plusIvEENSB_8equal_toIvEES6_EE10hipError_tPvRmT2_T3_T4_T5_mT6_T7_P12ihipStream_tbENKUlT_T0_E_clISt17integral_constantIbLb1EES13_EEDaSY_SZ_EUlSY_E_NS1_11comp_targetILNS1_3genE4ELNS1_11target_archE910ELNS1_3gpuE8ELNS1_3repE0EEENS1_30default_config_static_selectorELNS0_4arch9wavefront6targetE1EEEvT1_,@function
_ZN7rocprim17ROCPRIM_400000_NS6detail17trampoline_kernelINS0_14default_configENS1_27scan_by_key_config_selectorIj11FixedVectorIiLj1EEEEZZNS1_16scan_by_key_implILNS1_25lookback_scan_determinismE0ELb0ES3_N6thrust23THRUST_200600_302600_NS6detail15normal_iteratorINSB_10device_ptrIjEEEENSD_INSE_IS6_EEEESI_S6_NSB_4plusIvEENSB_8equal_toIvEES6_EE10hipError_tPvRmT2_T3_T4_T5_mT6_T7_P12ihipStream_tbENKUlT_T0_E_clISt17integral_constantIbLb1EES13_EEDaSY_SZ_EUlSY_E_NS1_11comp_targetILNS1_3genE4ELNS1_11target_archE910ELNS1_3gpuE8ELNS1_3repE0EEENS1_30default_config_static_selectorELNS0_4arch9wavefront6targetE1EEEvT1_: ; @_ZN7rocprim17ROCPRIM_400000_NS6detail17trampoline_kernelINS0_14default_configENS1_27scan_by_key_config_selectorIj11FixedVectorIiLj1EEEEZZNS1_16scan_by_key_implILNS1_25lookback_scan_determinismE0ELb0ES3_N6thrust23THRUST_200600_302600_NS6detail15normal_iteratorINSB_10device_ptrIjEEEENSD_INSE_IS6_EEEESI_S6_NSB_4plusIvEENSB_8equal_toIvEES6_EE10hipError_tPvRmT2_T3_T4_T5_mT6_T7_P12ihipStream_tbENKUlT_T0_E_clISt17integral_constantIbLb1EES13_EEDaSY_SZ_EUlSY_E_NS1_11comp_targetILNS1_3genE4ELNS1_11target_archE910ELNS1_3gpuE8ELNS1_3repE0EEENS1_30default_config_static_selectorELNS0_4arch9wavefront6targetE1EEEvT1_
; %bb.0:
	.section	.rodata,"a",@progbits
	.p2align	6, 0x0
	.amdhsa_kernel _ZN7rocprim17ROCPRIM_400000_NS6detail17trampoline_kernelINS0_14default_configENS1_27scan_by_key_config_selectorIj11FixedVectorIiLj1EEEEZZNS1_16scan_by_key_implILNS1_25lookback_scan_determinismE0ELb0ES3_N6thrust23THRUST_200600_302600_NS6detail15normal_iteratorINSB_10device_ptrIjEEEENSD_INSE_IS6_EEEESI_S6_NSB_4plusIvEENSB_8equal_toIvEES6_EE10hipError_tPvRmT2_T3_T4_T5_mT6_T7_P12ihipStream_tbENKUlT_T0_E_clISt17integral_constantIbLb1EES13_EEDaSY_SZ_EUlSY_E_NS1_11comp_targetILNS1_3genE4ELNS1_11target_archE910ELNS1_3gpuE8ELNS1_3repE0EEENS1_30default_config_static_selectorELNS0_4arch9wavefront6targetE1EEEvT1_
		.amdhsa_group_segment_fixed_size 0
		.amdhsa_private_segment_fixed_size 0
		.amdhsa_kernarg_size 112
		.amdhsa_user_sgpr_count 2
		.amdhsa_user_sgpr_dispatch_ptr 0
		.amdhsa_user_sgpr_queue_ptr 0
		.amdhsa_user_sgpr_kernarg_segment_ptr 1
		.amdhsa_user_sgpr_dispatch_id 0
		.amdhsa_user_sgpr_kernarg_preload_length 0
		.amdhsa_user_sgpr_kernarg_preload_offset 0
		.amdhsa_user_sgpr_private_segment_size 0
		.amdhsa_uses_dynamic_stack 0
		.amdhsa_enable_private_segment 0
		.amdhsa_system_sgpr_workgroup_id_x 1
		.amdhsa_system_sgpr_workgroup_id_y 0
		.amdhsa_system_sgpr_workgroup_id_z 0
		.amdhsa_system_sgpr_workgroup_info 0
		.amdhsa_system_vgpr_workitem_id 0
		.amdhsa_next_free_vgpr 1
		.amdhsa_next_free_sgpr 0
		.amdhsa_accum_offset 4
		.amdhsa_reserve_vcc 0
		.amdhsa_float_round_mode_32 0
		.amdhsa_float_round_mode_16_64 0
		.amdhsa_float_denorm_mode_32 3
		.amdhsa_float_denorm_mode_16_64 3
		.amdhsa_dx10_clamp 1
		.amdhsa_ieee_mode 1
		.amdhsa_fp16_overflow 0
		.amdhsa_tg_split 0
		.amdhsa_exception_fp_ieee_invalid_op 0
		.amdhsa_exception_fp_denorm_src 0
		.amdhsa_exception_fp_ieee_div_zero 0
		.amdhsa_exception_fp_ieee_overflow 0
		.amdhsa_exception_fp_ieee_underflow 0
		.amdhsa_exception_fp_ieee_inexact 0
		.amdhsa_exception_int_div_zero 0
	.end_amdhsa_kernel
	.section	.text._ZN7rocprim17ROCPRIM_400000_NS6detail17trampoline_kernelINS0_14default_configENS1_27scan_by_key_config_selectorIj11FixedVectorIiLj1EEEEZZNS1_16scan_by_key_implILNS1_25lookback_scan_determinismE0ELb0ES3_N6thrust23THRUST_200600_302600_NS6detail15normal_iteratorINSB_10device_ptrIjEEEENSD_INSE_IS6_EEEESI_S6_NSB_4plusIvEENSB_8equal_toIvEES6_EE10hipError_tPvRmT2_T3_T4_T5_mT6_T7_P12ihipStream_tbENKUlT_T0_E_clISt17integral_constantIbLb1EES13_EEDaSY_SZ_EUlSY_E_NS1_11comp_targetILNS1_3genE4ELNS1_11target_archE910ELNS1_3gpuE8ELNS1_3repE0EEENS1_30default_config_static_selectorELNS0_4arch9wavefront6targetE1EEEvT1_,"axG",@progbits,_ZN7rocprim17ROCPRIM_400000_NS6detail17trampoline_kernelINS0_14default_configENS1_27scan_by_key_config_selectorIj11FixedVectorIiLj1EEEEZZNS1_16scan_by_key_implILNS1_25lookback_scan_determinismE0ELb0ES3_N6thrust23THRUST_200600_302600_NS6detail15normal_iteratorINSB_10device_ptrIjEEEENSD_INSE_IS6_EEEESI_S6_NSB_4plusIvEENSB_8equal_toIvEES6_EE10hipError_tPvRmT2_T3_T4_T5_mT6_T7_P12ihipStream_tbENKUlT_T0_E_clISt17integral_constantIbLb1EES13_EEDaSY_SZ_EUlSY_E_NS1_11comp_targetILNS1_3genE4ELNS1_11target_archE910ELNS1_3gpuE8ELNS1_3repE0EEENS1_30default_config_static_selectorELNS0_4arch9wavefront6targetE1EEEvT1_,comdat
.Lfunc_end1883:
	.size	_ZN7rocprim17ROCPRIM_400000_NS6detail17trampoline_kernelINS0_14default_configENS1_27scan_by_key_config_selectorIj11FixedVectorIiLj1EEEEZZNS1_16scan_by_key_implILNS1_25lookback_scan_determinismE0ELb0ES3_N6thrust23THRUST_200600_302600_NS6detail15normal_iteratorINSB_10device_ptrIjEEEENSD_INSE_IS6_EEEESI_S6_NSB_4plusIvEENSB_8equal_toIvEES6_EE10hipError_tPvRmT2_T3_T4_T5_mT6_T7_P12ihipStream_tbENKUlT_T0_E_clISt17integral_constantIbLb1EES13_EEDaSY_SZ_EUlSY_E_NS1_11comp_targetILNS1_3genE4ELNS1_11target_archE910ELNS1_3gpuE8ELNS1_3repE0EEENS1_30default_config_static_selectorELNS0_4arch9wavefront6targetE1EEEvT1_, .Lfunc_end1883-_ZN7rocprim17ROCPRIM_400000_NS6detail17trampoline_kernelINS0_14default_configENS1_27scan_by_key_config_selectorIj11FixedVectorIiLj1EEEEZZNS1_16scan_by_key_implILNS1_25lookback_scan_determinismE0ELb0ES3_N6thrust23THRUST_200600_302600_NS6detail15normal_iteratorINSB_10device_ptrIjEEEENSD_INSE_IS6_EEEESI_S6_NSB_4plusIvEENSB_8equal_toIvEES6_EE10hipError_tPvRmT2_T3_T4_T5_mT6_T7_P12ihipStream_tbENKUlT_T0_E_clISt17integral_constantIbLb1EES13_EEDaSY_SZ_EUlSY_E_NS1_11comp_targetILNS1_3genE4ELNS1_11target_archE910ELNS1_3gpuE8ELNS1_3repE0EEENS1_30default_config_static_selectorELNS0_4arch9wavefront6targetE1EEEvT1_
                                        ; -- End function
	.section	.AMDGPU.csdata,"",@progbits
; Kernel info:
; codeLenInByte = 0
; NumSgprs: 6
; NumVgprs: 0
; NumAgprs: 0
; TotalNumVgprs: 0
; ScratchSize: 0
; MemoryBound: 0
; FloatMode: 240
; IeeeMode: 1
; LDSByteSize: 0 bytes/workgroup (compile time only)
; SGPRBlocks: 0
; VGPRBlocks: 0
; NumSGPRsForWavesPerEU: 6
; NumVGPRsForWavesPerEU: 1
; AccumOffset: 4
; Occupancy: 8
; WaveLimiterHint : 0
; COMPUTE_PGM_RSRC2:SCRATCH_EN: 0
; COMPUTE_PGM_RSRC2:USER_SGPR: 2
; COMPUTE_PGM_RSRC2:TRAP_HANDLER: 0
; COMPUTE_PGM_RSRC2:TGID_X_EN: 1
; COMPUTE_PGM_RSRC2:TGID_Y_EN: 0
; COMPUTE_PGM_RSRC2:TGID_Z_EN: 0
; COMPUTE_PGM_RSRC2:TIDIG_COMP_CNT: 0
; COMPUTE_PGM_RSRC3_GFX90A:ACCUM_OFFSET: 0
; COMPUTE_PGM_RSRC3_GFX90A:TG_SPLIT: 0
	.section	.text._ZN7rocprim17ROCPRIM_400000_NS6detail17trampoline_kernelINS0_14default_configENS1_27scan_by_key_config_selectorIj11FixedVectorIiLj1EEEEZZNS1_16scan_by_key_implILNS1_25lookback_scan_determinismE0ELb0ES3_N6thrust23THRUST_200600_302600_NS6detail15normal_iteratorINSB_10device_ptrIjEEEENSD_INSE_IS6_EEEESI_S6_NSB_4plusIvEENSB_8equal_toIvEES6_EE10hipError_tPvRmT2_T3_T4_T5_mT6_T7_P12ihipStream_tbENKUlT_T0_E_clISt17integral_constantIbLb1EES13_EEDaSY_SZ_EUlSY_E_NS1_11comp_targetILNS1_3genE3ELNS1_11target_archE908ELNS1_3gpuE7ELNS1_3repE0EEENS1_30default_config_static_selectorELNS0_4arch9wavefront6targetE1EEEvT1_,"axG",@progbits,_ZN7rocprim17ROCPRIM_400000_NS6detail17trampoline_kernelINS0_14default_configENS1_27scan_by_key_config_selectorIj11FixedVectorIiLj1EEEEZZNS1_16scan_by_key_implILNS1_25lookback_scan_determinismE0ELb0ES3_N6thrust23THRUST_200600_302600_NS6detail15normal_iteratorINSB_10device_ptrIjEEEENSD_INSE_IS6_EEEESI_S6_NSB_4plusIvEENSB_8equal_toIvEES6_EE10hipError_tPvRmT2_T3_T4_T5_mT6_T7_P12ihipStream_tbENKUlT_T0_E_clISt17integral_constantIbLb1EES13_EEDaSY_SZ_EUlSY_E_NS1_11comp_targetILNS1_3genE3ELNS1_11target_archE908ELNS1_3gpuE7ELNS1_3repE0EEENS1_30default_config_static_selectorELNS0_4arch9wavefront6targetE1EEEvT1_,comdat
	.protected	_ZN7rocprim17ROCPRIM_400000_NS6detail17trampoline_kernelINS0_14default_configENS1_27scan_by_key_config_selectorIj11FixedVectorIiLj1EEEEZZNS1_16scan_by_key_implILNS1_25lookback_scan_determinismE0ELb0ES3_N6thrust23THRUST_200600_302600_NS6detail15normal_iteratorINSB_10device_ptrIjEEEENSD_INSE_IS6_EEEESI_S6_NSB_4plusIvEENSB_8equal_toIvEES6_EE10hipError_tPvRmT2_T3_T4_T5_mT6_T7_P12ihipStream_tbENKUlT_T0_E_clISt17integral_constantIbLb1EES13_EEDaSY_SZ_EUlSY_E_NS1_11comp_targetILNS1_3genE3ELNS1_11target_archE908ELNS1_3gpuE7ELNS1_3repE0EEENS1_30default_config_static_selectorELNS0_4arch9wavefront6targetE1EEEvT1_ ; -- Begin function _ZN7rocprim17ROCPRIM_400000_NS6detail17trampoline_kernelINS0_14default_configENS1_27scan_by_key_config_selectorIj11FixedVectorIiLj1EEEEZZNS1_16scan_by_key_implILNS1_25lookback_scan_determinismE0ELb0ES3_N6thrust23THRUST_200600_302600_NS6detail15normal_iteratorINSB_10device_ptrIjEEEENSD_INSE_IS6_EEEESI_S6_NSB_4plusIvEENSB_8equal_toIvEES6_EE10hipError_tPvRmT2_T3_T4_T5_mT6_T7_P12ihipStream_tbENKUlT_T0_E_clISt17integral_constantIbLb1EES13_EEDaSY_SZ_EUlSY_E_NS1_11comp_targetILNS1_3genE3ELNS1_11target_archE908ELNS1_3gpuE7ELNS1_3repE0EEENS1_30default_config_static_selectorELNS0_4arch9wavefront6targetE1EEEvT1_
	.globl	_ZN7rocprim17ROCPRIM_400000_NS6detail17trampoline_kernelINS0_14default_configENS1_27scan_by_key_config_selectorIj11FixedVectorIiLj1EEEEZZNS1_16scan_by_key_implILNS1_25lookback_scan_determinismE0ELb0ES3_N6thrust23THRUST_200600_302600_NS6detail15normal_iteratorINSB_10device_ptrIjEEEENSD_INSE_IS6_EEEESI_S6_NSB_4plusIvEENSB_8equal_toIvEES6_EE10hipError_tPvRmT2_T3_T4_T5_mT6_T7_P12ihipStream_tbENKUlT_T0_E_clISt17integral_constantIbLb1EES13_EEDaSY_SZ_EUlSY_E_NS1_11comp_targetILNS1_3genE3ELNS1_11target_archE908ELNS1_3gpuE7ELNS1_3repE0EEENS1_30default_config_static_selectorELNS0_4arch9wavefront6targetE1EEEvT1_
	.p2align	8
	.type	_ZN7rocprim17ROCPRIM_400000_NS6detail17trampoline_kernelINS0_14default_configENS1_27scan_by_key_config_selectorIj11FixedVectorIiLj1EEEEZZNS1_16scan_by_key_implILNS1_25lookback_scan_determinismE0ELb0ES3_N6thrust23THRUST_200600_302600_NS6detail15normal_iteratorINSB_10device_ptrIjEEEENSD_INSE_IS6_EEEESI_S6_NSB_4plusIvEENSB_8equal_toIvEES6_EE10hipError_tPvRmT2_T3_T4_T5_mT6_T7_P12ihipStream_tbENKUlT_T0_E_clISt17integral_constantIbLb1EES13_EEDaSY_SZ_EUlSY_E_NS1_11comp_targetILNS1_3genE3ELNS1_11target_archE908ELNS1_3gpuE7ELNS1_3repE0EEENS1_30default_config_static_selectorELNS0_4arch9wavefront6targetE1EEEvT1_,@function
_ZN7rocprim17ROCPRIM_400000_NS6detail17trampoline_kernelINS0_14default_configENS1_27scan_by_key_config_selectorIj11FixedVectorIiLj1EEEEZZNS1_16scan_by_key_implILNS1_25lookback_scan_determinismE0ELb0ES3_N6thrust23THRUST_200600_302600_NS6detail15normal_iteratorINSB_10device_ptrIjEEEENSD_INSE_IS6_EEEESI_S6_NSB_4plusIvEENSB_8equal_toIvEES6_EE10hipError_tPvRmT2_T3_T4_T5_mT6_T7_P12ihipStream_tbENKUlT_T0_E_clISt17integral_constantIbLb1EES13_EEDaSY_SZ_EUlSY_E_NS1_11comp_targetILNS1_3genE3ELNS1_11target_archE908ELNS1_3gpuE7ELNS1_3repE0EEENS1_30default_config_static_selectorELNS0_4arch9wavefront6targetE1EEEvT1_: ; @_ZN7rocprim17ROCPRIM_400000_NS6detail17trampoline_kernelINS0_14default_configENS1_27scan_by_key_config_selectorIj11FixedVectorIiLj1EEEEZZNS1_16scan_by_key_implILNS1_25lookback_scan_determinismE0ELb0ES3_N6thrust23THRUST_200600_302600_NS6detail15normal_iteratorINSB_10device_ptrIjEEEENSD_INSE_IS6_EEEESI_S6_NSB_4plusIvEENSB_8equal_toIvEES6_EE10hipError_tPvRmT2_T3_T4_T5_mT6_T7_P12ihipStream_tbENKUlT_T0_E_clISt17integral_constantIbLb1EES13_EEDaSY_SZ_EUlSY_E_NS1_11comp_targetILNS1_3genE3ELNS1_11target_archE908ELNS1_3gpuE7ELNS1_3repE0EEENS1_30default_config_static_selectorELNS0_4arch9wavefront6targetE1EEEvT1_
; %bb.0:
	.section	.rodata,"a",@progbits
	.p2align	6, 0x0
	.amdhsa_kernel _ZN7rocprim17ROCPRIM_400000_NS6detail17trampoline_kernelINS0_14default_configENS1_27scan_by_key_config_selectorIj11FixedVectorIiLj1EEEEZZNS1_16scan_by_key_implILNS1_25lookback_scan_determinismE0ELb0ES3_N6thrust23THRUST_200600_302600_NS6detail15normal_iteratorINSB_10device_ptrIjEEEENSD_INSE_IS6_EEEESI_S6_NSB_4plusIvEENSB_8equal_toIvEES6_EE10hipError_tPvRmT2_T3_T4_T5_mT6_T7_P12ihipStream_tbENKUlT_T0_E_clISt17integral_constantIbLb1EES13_EEDaSY_SZ_EUlSY_E_NS1_11comp_targetILNS1_3genE3ELNS1_11target_archE908ELNS1_3gpuE7ELNS1_3repE0EEENS1_30default_config_static_selectorELNS0_4arch9wavefront6targetE1EEEvT1_
		.amdhsa_group_segment_fixed_size 0
		.amdhsa_private_segment_fixed_size 0
		.amdhsa_kernarg_size 112
		.amdhsa_user_sgpr_count 2
		.amdhsa_user_sgpr_dispatch_ptr 0
		.amdhsa_user_sgpr_queue_ptr 0
		.amdhsa_user_sgpr_kernarg_segment_ptr 1
		.amdhsa_user_sgpr_dispatch_id 0
		.amdhsa_user_sgpr_kernarg_preload_length 0
		.amdhsa_user_sgpr_kernarg_preload_offset 0
		.amdhsa_user_sgpr_private_segment_size 0
		.amdhsa_uses_dynamic_stack 0
		.amdhsa_enable_private_segment 0
		.amdhsa_system_sgpr_workgroup_id_x 1
		.amdhsa_system_sgpr_workgroup_id_y 0
		.amdhsa_system_sgpr_workgroup_id_z 0
		.amdhsa_system_sgpr_workgroup_info 0
		.amdhsa_system_vgpr_workitem_id 0
		.amdhsa_next_free_vgpr 1
		.amdhsa_next_free_sgpr 0
		.amdhsa_accum_offset 4
		.amdhsa_reserve_vcc 0
		.amdhsa_float_round_mode_32 0
		.amdhsa_float_round_mode_16_64 0
		.amdhsa_float_denorm_mode_32 3
		.amdhsa_float_denorm_mode_16_64 3
		.amdhsa_dx10_clamp 1
		.amdhsa_ieee_mode 1
		.amdhsa_fp16_overflow 0
		.amdhsa_tg_split 0
		.amdhsa_exception_fp_ieee_invalid_op 0
		.amdhsa_exception_fp_denorm_src 0
		.amdhsa_exception_fp_ieee_div_zero 0
		.amdhsa_exception_fp_ieee_overflow 0
		.amdhsa_exception_fp_ieee_underflow 0
		.amdhsa_exception_fp_ieee_inexact 0
		.amdhsa_exception_int_div_zero 0
	.end_amdhsa_kernel
	.section	.text._ZN7rocprim17ROCPRIM_400000_NS6detail17trampoline_kernelINS0_14default_configENS1_27scan_by_key_config_selectorIj11FixedVectorIiLj1EEEEZZNS1_16scan_by_key_implILNS1_25lookback_scan_determinismE0ELb0ES3_N6thrust23THRUST_200600_302600_NS6detail15normal_iteratorINSB_10device_ptrIjEEEENSD_INSE_IS6_EEEESI_S6_NSB_4plusIvEENSB_8equal_toIvEES6_EE10hipError_tPvRmT2_T3_T4_T5_mT6_T7_P12ihipStream_tbENKUlT_T0_E_clISt17integral_constantIbLb1EES13_EEDaSY_SZ_EUlSY_E_NS1_11comp_targetILNS1_3genE3ELNS1_11target_archE908ELNS1_3gpuE7ELNS1_3repE0EEENS1_30default_config_static_selectorELNS0_4arch9wavefront6targetE1EEEvT1_,"axG",@progbits,_ZN7rocprim17ROCPRIM_400000_NS6detail17trampoline_kernelINS0_14default_configENS1_27scan_by_key_config_selectorIj11FixedVectorIiLj1EEEEZZNS1_16scan_by_key_implILNS1_25lookback_scan_determinismE0ELb0ES3_N6thrust23THRUST_200600_302600_NS6detail15normal_iteratorINSB_10device_ptrIjEEEENSD_INSE_IS6_EEEESI_S6_NSB_4plusIvEENSB_8equal_toIvEES6_EE10hipError_tPvRmT2_T3_T4_T5_mT6_T7_P12ihipStream_tbENKUlT_T0_E_clISt17integral_constantIbLb1EES13_EEDaSY_SZ_EUlSY_E_NS1_11comp_targetILNS1_3genE3ELNS1_11target_archE908ELNS1_3gpuE7ELNS1_3repE0EEENS1_30default_config_static_selectorELNS0_4arch9wavefront6targetE1EEEvT1_,comdat
.Lfunc_end1884:
	.size	_ZN7rocprim17ROCPRIM_400000_NS6detail17trampoline_kernelINS0_14default_configENS1_27scan_by_key_config_selectorIj11FixedVectorIiLj1EEEEZZNS1_16scan_by_key_implILNS1_25lookback_scan_determinismE0ELb0ES3_N6thrust23THRUST_200600_302600_NS6detail15normal_iteratorINSB_10device_ptrIjEEEENSD_INSE_IS6_EEEESI_S6_NSB_4plusIvEENSB_8equal_toIvEES6_EE10hipError_tPvRmT2_T3_T4_T5_mT6_T7_P12ihipStream_tbENKUlT_T0_E_clISt17integral_constantIbLb1EES13_EEDaSY_SZ_EUlSY_E_NS1_11comp_targetILNS1_3genE3ELNS1_11target_archE908ELNS1_3gpuE7ELNS1_3repE0EEENS1_30default_config_static_selectorELNS0_4arch9wavefront6targetE1EEEvT1_, .Lfunc_end1884-_ZN7rocprim17ROCPRIM_400000_NS6detail17trampoline_kernelINS0_14default_configENS1_27scan_by_key_config_selectorIj11FixedVectorIiLj1EEEEZZNS1_16scan_by_key_implILNS1_25lookback_scan_determinismE0ELb0ES3_N6thrust23THRUST_200600_302600_NS6detail15normal_iteratorINSB_10device_ptrIjEEEENSD_INSE_IS6_EEEESI_S6_NSB_4plusIvEENSB_8equal_toIvEES6_EE10hipError_tPvRmT2_T3_T4_T5_mT6_T7_P12ihipStream_tbENKUlT_T0_E_clISt17integral_constantIbLb1EES13_EEDaSY_SZ_EUlSY_E_NS1_11comp_targetILNS1_3genE3ELNS1_11target_archE908ELNS1_3gpuE7ELNS1_3repE0EEENS1_30default_config_static_selectorELNS0_4arch9wavefront6targetE1EEEvT1_
                                        ; -- End function
	.section	.AMDGPU.csdata,"",@progbits
; Kernel info:
; codeLenInByte = 0
; NumSgprs: 6
; NumVgprs: 0
; NumAgprs: 0
; TotalNumVgprs: 0
; ScratchSize: 0
; MemoryBound: 0
; FloatMode: 240
; IeeeMode: 1
; LDSByteSize: 0 bytes/workgroup (compile time only)
; SGPRBlocks: 0
; VGPRBlocks: 0
; NumSGPRsForWavesPerEU: 6
; NumVGPRsForWavesPerEU: 1
; AccumOffset: 4
; Occupancy: 8
; WaveLimiterHint : 0
; COMPUTE_PGM_RSRC2:SCRATCH_EN: 0
; COMPUTE_PGM_RSRC2:USER_SGPR: 2
; COMPUTE_PGM_RSRC2:TRAP_HANDLER: 0
; COMPUTE_PGM_RSRC2:TGID_X_EN: 1
; COMPUTE_PGM_RSRC2:TGID_Y_EN: 0
; COMPUTE_PGM_RSRC2:TGID_Z_EN: 0
; COMPUTE_PGM_RSRC2:TIDIG_COMP_CNT: 0
; COMPUTE_PGM_RSRC3_GFX90A:ACCUM_OFFSET: 0
; COMPUTE_PGM_RSRC3_GFX90A:TG_SPLIT: 0
	.section	.text._ZN7rocprim17ROCPRIM_400000_NS6detail17trampoline_kernelINS0_14default_configENS1_27scan_by_key_config_selectorIj11FixedVectorIiLj1EEEEZZNS1_16scan_by_key_implILNS1_25lookback_scan_determinismE0ELb0ES3_N6thrust23THRUST_200600_302600_NS6detail15normal_iteratorINSB_10device_ptrIjEEEENSD_INSE_IS6_EEEESI_S6_NSB_4plusIvEENSB_8equal_toIvEES6_EE10hipError_tPvRmT2_T3_T4_T5_mT6_T7_P12ihipStream_tbENKUlT_T0_E_clISt17integral_constantIbLb1EES13_EEDaSY_SZ_EUlSY_E_NS1_11comp_targetILNS1_3genE2ELNS1_11target_archE906ELNS1_3gpuE6ELNS1_3repE0EEENS1_30default_config_static_selectorELNS0_4arch9wavefront6targetE1EEEvT1_,"axG",@progbits,_ZN7rocprim17ROCPRIM_400000_NS6detail17trampoline_kernelINS0_14default_configENS1_27scan_by_key_config_selectorIj11FixedVectorIiLj1EEEEZZNS1_16scan_by_key_implILNS1_25lookback_scan_determinismE0ELb0ES3_N6thrust23THRUST_200600_302600_NS6detail15normal_iteratorINSB_10device_ptrIjEEEENSD_INSE_IS6_EEEESI_S6_NSB_4plusIvEENSB_8equal_toIvEES6_EE10hipError_tPvRmT2_T3_T4_T5_mT6_T7_P12ihipStream_tbENKUlT_T0_E_clISt17integral_constantIbLb1EES13_EEDaSY_SZ_EUlSY_E_NS1_11comp_targetILNS1_3genE2ELNS1_11target_archE906ELNS1_3gpuE6ELNS1_3repE0EEENS1_30default_config_static_selectorELNS0_4arch9wavefront6targetE1EEEvT1_,comdat
	.protected	_ZN7rocprim17ROCPRIM_400000_NS6detail17trampoline_kernelINS0_14default_configENS1_27scan_by_key_config_selectorIj11FixedVectorIiLj1EEEEZZNS1_16scan_by_key_implILNS1_25lookback_scan_determinismE0ELb0ES3_N6thrust23THRUST_200600_302600_NS6detail15normal_iteratorINSB_10device_ptrIjEEEENSD_INSE_IS6_EEEESI_S6_NSB_4plusIvEENSB_8equal_toIvEES6_EE10hipError_tPvRmT2_T3_T4_T5_mT6_T7_P12ihipStream_tbENKUlT_T0_E_clISt17integral_constantIbLb1EES13_EEDaSY_SZ_EUlSY_E_NS1_11comp_targetILNS1_3genE2ELNS1_11target_archE906ELNS1_3gpuE6ELNS1_3repE0EEENS1_30default_config_static_selectorELNS0_4arch9wavefront6targetE1EEEvT1_ ; -- Begin function _ZN7rocprim17ROCPRIM_400000_NS6detail17trampoline_kernelINS0_14default_configENS1_27scan_by_key_config_selectorIj11FixedVectorIiLj1EEEEZZNS1_16scan_by_key_implILNS1_25lookback_scan_determinismE0ELb0ES3_N6thrust23THRUST_200600_302600_NS6detail15normal_iteratorINSB_10device_ptrIjEEEENSD_INSE_IS6_EEEESI_S6_NSB_4plusIvEENSB_8equal_toIvEES6_EE10hipError_tPvRmT2_T3_T4_T5_mT6_T7_P12ihipStream_tbENKUlT_T0_E_clISt17integral_constantIbLb1EES13_EEDaSY_SZ_EUlSY_E_NS1_11comp_targetILNS1_3genE2ELNS1_11target_archE906ELNS1_3gpuE6ELNS1_3repE0EEENS1_30default_config_static_selectorELNS0_4arch9wavefront6targetE1EEEvT1_
	.globl	_ZN7rocprim17ROCPRIM_400000_NS6detail17trampoline_kernelINS0_14default_configENS1_27scan_by_key_config_selectorIj11FixedVectorIiLj1EEEEZZNS1_16scan_by_key_implILNS1_25lookback_scan_determinismE0ELb0ES3_N6thrust23THRUST_200600_302600_NS6detail15normal_iteratorINSB_10device_ptrIjEEEENSD_INSE_IS6_EEEESI_S6_NSB_4plusIvEENSB_8equal_toIvEES6_EE10hipError_tPvRmT2_T3_T4_T5_mT6_T7_P12ihipStream_tbENKUlT_T0_E_clISt17integral_constantIbLb1EES13_EEDaSY_SZ_EUlSY_E_NS1_11comp_targetILNS1_3genE2ELNS1_11target_archE906ELNS1_3gpuE6ELNS1_3repE0EEENS1_30default_config_static_selectorELNS0_4arch9wavefront6targetE1EEEvT1_
	.p2align	8
	.type	_ZN7rocprim17ROCPRIM_400000_NS6detail17trampoline_kernelINS0_14default_configENS1_27scan_by_key_config_selectorIj11FixedVectorIiLj1EEEEZZNS1_16scan_by_key_implILNS1_25lookback_scan_determinismE0ELb0ES3_N6thrust23THRUST_200600_302600_NS6detail15normal_iteratorINSB_10device_ptrIjEEEENSD_INSE_IS6_EEEESI_S6_NSB_4plusIvEENSB_8equal_toIvEES6_EE10hipError_tPvRmT2_T3_T4_T5_mT6_T7_P12ihipStream_tbENKUlT_T0_E_clISt17integral_constantIbLb1EES13_EEDaSY_SZ_EUlSY_E_NS1_11comp_targetILNS1_3genE2ELNS1_11target_archE906ELNS1_3gpuE6ELNS1_3repE0EEENS1_30default_config_static_selectorELNS0_4arch9wavefront6targetE1EEEvT1_,@function
_ZN7rocprim17ROCPRIM_400000_NS6detail17trampoline_kernelINS0_14default_configENS1_27scan_by_key_config_selectorIj11FixedVectorIiLj1EEEEZZNS1_16scan_by_key_implILNS1_25lookback_scan_determinismE0ELb0ES3_N6thrust23THRUST_200600_302600_NS6detail15normal_iteratorINSB_10device_ptrIjEEEENSD_INSE_IS6_EEEESI_S6_NSB_4plusIvEENSB_8equal_toIvEES6_EE10hipError_tPvRmT2_T3_T4_T5_mT6_T7_P12ihipStream_tbENKUlT_T0_E_clISt17integral_constantIbLb1EES13_EEDaSY_SZ_EUlSY_E_NS1_11comp_targetILNS1_3genE2ELNS1_11target_archE906ELNS1_3gpuE6ELNS1_3repE0EEENS1_30default_config_static_selectorELNS0_4arch9wavefront6targetE1EEEvT1_: ; @_ZN7rocprim17ROCPRIM_400000_NS6detail17trampoline_kernelINS0_14default_configENS1_27scan_by_key_config_selectorIj11FixedVectorIiLj1EEEEZZNS1_16scan_by_key_implILNS1_25lookback_scan_determinismE0ELb0ES3_N6thrust23THRUST_200600_302600_NS6detail15normal_iteratorINSB_10device_ptrIjEEEENSD_INSE_IS6_EEEESI_S6_NSB_4plusIvEENSB_8equal_toIvEES6_EE10hipError_tPvRmT2_T3_T4_T5_mT6_T7_P12ihipStream_tbENKUlT_T0_E_clISt17integral_constantIbLb1EES13_EEDaSY_SZ_EUlSY_E_NS1_11comp_targetILNS1_3genE2ELNS1_11target_archE906ELNS1_3gpuE6ELNS1_3repE0EEENS1_30default_config_static_selectorELNS0_4arch9wavefront6targetE1EEEvT1_
; %bb.0:
	.section	.rodata,"a",@progbits
	.p2align	6, 0x0
	.amdhsa_kernel _ZN7rocprim17ROCPRIM_400000_NS6detail17trampoline_kernelINS0_14default_configENS1_27scan_by_key_config_selectorIj11FixedVectorIiLj1EEEEZZNS1_16scan_by_key_implILNS1_25lookback_scan_determinismE0ELb0ES3_N6thrust23THRUST_200600_302600_NS6detail15normal_iteratorINSB_10device_ptrIjEEEENSD_INSE_IS6_EEEESI_S6_NSB_4plusIvEENSB_8equal_toIvEES6_EE10hipError_tPvRmT2_T3_T4_T5_mT6_T7_P12ihipStream_tbENKUlT_T0_E_clISt17integral_constantIbLb1EES13_EEDaSY_SZ_EUlSY_E_NS1_11comp_targetILNS1_3genE2ELNS1_11target_archE906ELNS1_3gpuE6ELNS1_3repE0EEENS1_30default_config_static_selectorELNS0_4arch9wavefront6targetE1EEEvT1_
		.amdhsa_group_segment_fixed_size 0
		.amdhsa_private_segment_fixed_size 0
		.amdhsa_kernarg_size 112
		.amdhsa_user_sgpr_count 2
		.amdhsa_user_sgpr_dispatch_ptr 0
		.amdhsa_user_sgpr_queue_ptr 0
		.amdhsa_user_sgpr_kernarg_segment_ptr 1
		.amdhsa_user_sgpr_dispatch_id 0
		.amdhsa_user_sgpr_kernarg_preload_length 0
		.amdhsa_user_sgpr_kernarg_preload_offset 0
		.amdhsa_user_sgpr_private_segment_size 0
		.amdhsa_uses_dynamic_stack 0
		.amdhsa_enable_private_segment 0
		.amdhsa_system_sgpr_workgroup_id_x 1
		.amdhsa_system_sgpr_workgroup_id_y 0
		.amdhsa_system_sgpr_workgroup_id_z 0
		.amdhsa_system_sgpr_workgroup_info 0
		.amdhsa_system_vgpr_workitem_id 0
		.amdhsa_next_free_vgpr 1
		.amdhsa_next_free_sgpr 0
		.amdhsa_accum_offset 4
		.amdhsa_reserve_vcc 0
		.amdhsa_float_round_mode_32 0
		.amdhsa_float_round_mode_16_64 0
		.amdhsa_float_denorm_mode_32 3
		.amdhsa_float_denorm_mode_16_64 3
		.amdhsa_dx10_clamp 1
		.amdhsa_ieee_mode 1
		.amdhsa_fp16_overflow 0
		.amdhsa_tg_split 0
		.amdhsa_exception_fp_ieee_invalid_op 0
		.amdhsa_exception_fp_denorm_src 0
		.amdhsa_exception_fp_ieee_div_zero 0
		.amdhsa_exception_fp_ieee_overflow 0
		.amdhsa_exception_fp_ieee_underflow 0
		.amdhsa_exception_fp_ieee_inexact 0
		.amdhsa_exception_int_div_zero 0
	.end_amdhsa_kernel
	.section	.text._ZN7rocprim17ROCPRIM_400000_NS6detail17trampoline_kernelINS0_14default_configENS1_27scan_by_key_config_selectorIj11FixedVectorIiLj1EEEEZZNS1_16scan_by_key_implILNS1_25lookback_scan_determinismE0ELb0ES3_N6thrust23THRUST_200600_302600_NS6detail15normal_iteratorINSB_10device_ptrIjEEEENSD_INSE_IS6_EEEESI_S6_NSB_4plusIvEENSB_8equal_toIvEES6_EE10hipError_tPvRmT2_T3_T4_T5_mT6_T7_P12ihipStream_tbENKUlT_T0_E_clISt17integral_constantIbLb1EES13_EEDaSY_SZ_EUlSY_E_NS1_11comp_targetILNS1_3genE2ELNS1_11target_archE906ELNS1_3gpuE6ELNS1_3repE0EEENS1_30default_config_static_selectorELNS0_4arch9wavefront6targetE1EEEvT1_,"axG",@progbits,_ZN7rocprim17ROCPRIM_400000_NS6detail17trampoline_kernelINS0_14default_configENS1_27scan_by_key_config_selectorIj11FixedVectorIiLj1EEEEZZNS1_16scan_by_key_implILNS1_25lookback_scan_determinismE0ELb0ES3_N6thrust23THRUST_200600_302600_NS6detail15normal_iteratorINSB_10device_ptrIjEEEENSD_INSE_IS6_EEEESI_S6_NSB_4plusIvEENSB_8equal_toIvEES6_EE10hipError_tPvRmT2_T3_T4_T5_mT6_T7_P12ihipStream_tbENKUlT_T0_E_clISt17integral_constantIbLb1EES13_EEDaSY_SZ_EUlSY_E_NS1_11comp_targetILNS1_3genE2ELNS1_11target_archE906ELNS1_3gpuE6ELNS1_3repE0EEENS1_30default_config_static_selectorELNS0_4arch9wavefront6targetE1EEEvT1_,comdat
.Lfunc_end1885:
	.size	_ZN7rocprim17ROCPRIM_400000_NS6detail17trampoline_kernelINS0_14default_configENS1_27scan_by_key_config_selectorIj11FixedVectorIiLj1EEEEZZNS1_16scan_by_key_implILNS1_25lookback_scan_determinismE0ELb0ES3_N6thrust23THRUST_200600_302600_NS6detail15normal_iteratorINSB_10device_ptrIjEEEENSD_INSE_IS6_EEEESI_S6_NSB_4plusIvEENSB_8equal_toIvEES6_EE10hipError_tPvRmT2_T3_T4_T5_mT6_T7_P12ihipStream_tbENKUlT_T0_E_clISt17integral_constantIbLb1EES13_EEDaSY_SZ_EUlSY_E_NS1_11comp_targetILNS1_3genE2ELNS1_11target_archE906ELNS1_3gpuE6ELNS1_3repE0EEENS1_30default_config_static_selectorELNS0_4arch9wavefront6targetE1EEEvT1_, .Lfunc_end1885-_ZN7rocprim17ROCPRIM_400000_NS6detail17trampoline_kernelINS0_14default_configENS1_27scan_by_key_config_selectorIj11FixedVectorIiLj1EEEEZZNS1_16scan_by_key_implILNS1_25lookback_scan_determinismE0ELb0ES3_N6thrust23THRUST_200600_302600_NS6detail15normal_iteratorINSB_10device_ptrIjEEEENSD_INSE_IS6_EEEESI_S6_NSB_4plusIvEENSB_8equal_toIvEES6_EE10hipError_tPvRmT2_T3_T4_T5_mT6_T7_P12ihipStream_tbENKUlT_T0_E_clISt17integral_constantIbLb1EES13_EEDaSY_SZ_EUlSY_E_NS1_11comp_targetILNS1_3genE2ELNS1_11target_archE906ELNS1_3gpuE6ELNS1_3repE0EEENS1_30default_config_static_selectorELNS0_4arch9wavefront6targetE1EEEvT1_
                                        ; -- End function
	.section	.AMDGPU.csdata,"",@progbits
; Kernel info:
; codeLenInByte = 0
; NumSgprs: 6
; NumVgprs: 0
; NumAgprs: 0
; TotalNumVgprs: 0
; ScratchSize: 0
; MemoryBound: 0
; FloatMode: 240
; IeeeMode: 1
; LDSByteSize: 0 bytes/workgroup (compile time only)
; SGPRBlocks: 0
; VGPRBlocks: 0
; NumSGPRsForWavesPerEU: 6
; NumVGPRsForWavesPerEU: 1
; AccumOffset: 4
; Occupancy: 8
; WaveLimiterHint : 0
; COMPUTE_PGM_RSRC2:SCRATCH_EN: 0
; COMPUTE_PGM_RSRC2:USER_SGPR: 2
; COMPUTE_PGM_RSRC2:TRAP_HANDLER: 0
; COMPUTE_PGM_RSRC2:TGID_X_EN: 1
; COMPUTE_PGM_RSRC2:TGID_Y_EN: 0
; COMPUTE_PGM_RSRC2:TGID_Z_EN: 0
; COMPUTE_PGM_RSRC2:TIDIG_COMP_CNT: 0
; COMPUTE_PGM_RSRC3_GFX90A:ACCUM_OFFSET: 0
; COMPUTE_PGM_RSRC3_GFX90A:TG_SPLIT: 0
	.section	.text._ZN7rocprim17ROCPRIM_400000_NS6detail17trampoline_kernelINS0_14default_configENS1_27scan_by_key_config_selectorIj11FixedVectorIiLj1EEEEZZNS1_16scan_by_key_implILNS1_25lookback_scan_determinismE0ELb0ES3_N6thrust23THRUST_200600_302600_NS6detail15normal_iteratorINSB_10device_ptrIjEEEENSD_INSE_IS6_EEEESI_S6_NSB_4plusIvEENSB_8equal_toIvEES6_EE10hipError_tPvRmT2_T3_T4_T5_mT6_T7_P12ihipStream_tbENKUlT_T0_E_clISt17integral_constantIbLb1EES13_EEDaSY_SZ_EUlSY_E_NS1_11comp_targetILNS1_3genE10ELNS1_11target_archE1200ELNS1_3gpuE4ELNS1_3repE0EEENS1_30default_config_static_selectorELNS0_4arch9wavefront6targetE1EEEvT1_,"axG",@progbits,_ZN7rocprim17ROCPRIM_400000_NS6detail17trampoline_kernelINS0_14default_configENS1_27scan_by_key_config_selectorIj11FixedVectorIiLj1EEEEZZNS1_16scan_by_key_implILNS1_25lookback_scan_determinismE0ELb0ES3_N6thrust23THRUST_200600_302600_NS6detail15normal_iteratorINSB_10device_ptrIjEEEENSD_INSE_IS6_EEEESI_S6_NSB_4plusIvEENSB_8equal_toIvEES6_EE10hipError_tPvRmT2_T3_T4_T5_mT6_T7_P12ihipStream_tbENKUlT_T0_E_clISt17integral_constantIbLb1EES13_EEDaSY_SZ_EUlSY_E_NS1_11comp_targetILNS1_3genE10ELNS1_11target_archE1200ELNS1_3gpuE4ELNS1_3repE0EEENS1_30default_config_static_selectorELNS0_4arch9wavefront6targetE1EEEvT1_,comdat
	.protected	_ZN7rocprim17ROCPRIM_400000_NS6detail17trampoline_kernelINS0_14default_configENS1_27scan_by_key_config_selectorIj11FixedVectorIiLj1EEEEZZNS1_16scan_by_key_implILNS1_25lookback_scan_determinismE0ELb0ES3_N6thrust23THRUST_200600_302600_NS6detail15normal_iteratorINSB_10device_ptrIjEEEENSD_INSE_IS6_EEEESI_S6_NSB_4plusIvEENSB_8equal_toIvEES6_EE10hipError_tPvRmT2_T3_T4_T5_mT6_T7_P12ihipStream_tbENKUlT_T0_E_clISt17integral_constantIbLb1EES13_EEDaSY_SZ_EUlSY_E_NS1_11comp_targetILNS1_3genE10ELNS1_11target_archE1200ELNS1_3gpuE4ELNS1_3repE0EEENS1_30default_config_static_selectorELNS0_4arch9wavefront6targetE1EEEvT1_ ; -- Begin function _ZN7rocprim17ROCPRIM_400000_NS6detail17trampoline_kernelINS0_14default_configENS1_27scan_by_key_config_selectorIj11FixedVectorIiLj1EEEEZZNS1_16scan_by_key_implILNS1_25lookback_scan_determinismE0ELb0ES3_N6thrust23THRUST_200600_302600_NS6detail15normal_iteratorINSB_10device_ptrIjEEEENSD_INSE_IS6_EEEESI_S6_NSB_4plusIvEENSB_8equal_toIvEES6_EE10hipError_tPvRmT2_T3_T4_T5_mT6_T7_P12ihipStream_tbENKUlT_T0_E_clISt17integral_constantIbLb1EES13_EEDaSY_SZ_EUlSY_E_NS1_11comp_targetILNS1_3genE10ELNS1_11target_archE1200ELNS1_3gpuE4ELNS1_3repE0EEENS1_30default_config_static_selectorELNS0_4arch9wavefront6targetE1EEEvT1_
	.globl	_ZN7rocprim17ROCPRIM_400000_NS6detail17trampoline_kernelINS0_14default_configENS1_27scan_by_key_config_selectorIj11FixedVectorIiLj1EEEEZZNS1_16scan_by_key_implILNS1_25lookback_scan_determinismE0ELb0ES3_N6thrust23THRUST_200600_302600_NS6detail15normal_iteratorINSB_10device_ptrIjEEEENSD_INSE_IS6_EEEESI_S6_NSB_4plusIvEENSB_8equal_toIvEES6_EE10hipError_tPvRmT2_T3_T4_T5_mT6_T7_P12ihipStream_tbENKUlT_T0_E_clISt17integral_constantIbLb1EES13_EEDaSY_SZ_EUlSY_E_NS1_11comp_targetILNS1_3genE10ELNS1_11target_archE1200ELNS1_3gpuE4ELNS1_3repE0EEENS1_30default_config_static_selectorELNS0_4arch9wavefront6targetE1EEEvT1_
	.p2align	8
	.type	_ZN7rocprim17ROCPRIM_400000_NS6detail17trampoline_kernelINS0_14default_configENS1_27scan_by_key_config_selectorIj11FixedVectorIiLj1EEEEZZNS1_16scan_by_key_implILNS1_25lookback_scan_determinismE0ELb0ES3_N6thrust23THRUST_200600_302600_NS6detail15normal_iteratorINSB_10device_ptrIjEEEENSD_INSE_IS6_EEEESI_S6_NSB_4plusIvEENSB_8equal_toIvEES6_EE10hipError_tPvRmT2_T3_T4_T5_mT6_T7_P12ihipStream_tbENKUlT_T0_E_clISt17integral_constantIbLb1EES13_EEDaSY_SZ_EUlSY_E_NS1_11comp_targetILNS1_3genE10ELNS1_11target_archE1200ELNS1_3gpuE4ELNS1_3repE0EEENS1_30default_config_static_selectorELNS0_4arch9wavefront6targetE1EEEvT1_,@function
_ZN7rocprim17ROCPRIM_400000_NS6detail17trampoline_kernelINS0_14default_configENS1_27scan_by_key_config_selectorIj11FixedVectorIiLj1EEEEZZNS1_16scan_by_key_implILNS1_25lookback_scan_determinismE0ELb0ES3_N6thrust23THRUST_200600_302600_NS6detail15normal_iteratorINSB_10device_ptrIjEEEENSD_INSE_IS6_EEEESI_S6_NSB_4plusIvEENSB_8equal_toIvEES6_EE10hipError_tPvRmT2_T3_T4_T5_mT6_T7_P12ihipStream_tbENKUlT_T0_E_clISt17integral_constantIbLb1EES13_EEDaSY_SZ_EUlSY_E_NS1_11comp_targetILNS1_3genE10ELNS1_11target_archE1200ELNS1_3gpuE4ELNS1_3repE0EEENS1_30default_config_static_selectorELNS0_4arch9wavefront6targetE1EEEvT1_: ; @_ZN7rocprim17ROCPRIM_400000_NS6detail17trampoline_kernelINS0_14default_configENS1_27scan_by_key_config_selectorIj11FixedVectorIiLj1EEEEZZNS1_16scan_by_key_implILNS1_25lookback_scan_determinismE0ELb0ES3_N6thrust23THRUST_200600_302600_NS6detail15normal_iteratorINSB_10device_ptrIjEEEENSD_INSE_IS6_EEEESI_S6_NSB_4plusIvEENSB_8equal_toIvEES6_EE10hipError_tPvRmT2_T3_T4_T5_mT6_T7_P12ihipStream_tbENKUlT_T0_E_clISt17integral_constantIbLb1EES13_EEDaSY_SZ_EUlSY_E_NS1_11comp_targetILNS1_3genE10ELNS1_11target_archE1200ELNS1_3gpuE4ELNS1_3repE0EEENS1_30default_config_static_selectorELNS0_4arch9wavefront6targetE1EEEvT1_
; %bb.0:
	.section	.rodata,"a",@progbits
	.p2align	6, 0x0
	.amdhsa_kernel _ZN7rocprim17ROCPRIM_400000_NS6detail17trampoline_kernelINS0_14default_configENS1_27scan_by_key_config_selectorIj11FixedVectorIiLj1EEEEZZNS1_16scan_by_key_implILNS1_25lookback_scan_determinismE0ELb0ES3_N6thrust23THRUST_200600_302600_NS6detail15normal_iteratorINSB_10device_ptrIjEEEENSD_INSE_IS6_EEEESI_S6_NSB_4plusIvEENSB_8equal_toIvEES6_EE10hipError_tPvRmT2_T3_T4_T5_mT6_T7_P12ihipStream_tbENKUlT_T0_E_clISt17integral_constantIbLb1EES13_EEDaSY_SZ_EUlSY_E_NS1_11comp_targetILNS1_3genE10ELNS1_11target_archE1200ELNS1_3gpuE4ELNS1_3repE0EEENS1_30default_config_static_selectorELNS0_4arch9wavefront6targetE1EEEvT1_
		.amdhsa_group_segment_fixed_size 0
		.amdhsa_private_segment_fixed_size 0
		.amdhsa_kernarg_size 112
		.amdhsa_user_sgpr_count 2
		.amdhsa_user_sgpr_dispatch_ptr 0
		.amdhsa_user_sgpr_queue_ptr 0
		.amdhsa_user_sgpr_kernarg_segment_ptr 1
		.amdhsa_user_sgpr_dispatch_id 0
		.amdhsa_user_sgpr_kernarg_preload_length 0
		.amdhsa_user_sgpr_kernarg_preload_offset 0
		.amdhsa_user_sgpr_private_segment_size 0
		.amdhsa_uses_dynamic_stack 0
		.amdhsa_enable_private_segment 0
		.amdhsa_system_sgpr_workgroup_id_x 1
		.amdhsa_system_sgpr_workgroup_id_y 0
		.amdhsa_system_sgpr_workgroup_id_z 0
		.amdhsa_system_sgpr_workgroup_info 0
		.amdhsa_system_vgpr_workitem_id 0
		.amdhsa_next_free_vgpr 1
		.amdhsa_next_free_sgpr 0
		.amdhsa_accum_offset 4
		.amdhsa_reserve_vcc 0
		.amdhsa_float_round_mode_32 0
		.amdhsa_float_round_mode_16_64 0
		.amdhsa_float_denorm_mode_32 3
		.amdhsa_float_denorm_mode_16_64 3
		.amdhsa_dx10_clamp 1
		.amdhsa_ieee_mode 1
		.amdhsa_fp16_overflow 0
		.amdhsa_tg_split 0
		.amdhsa_exception_fp_ieee_invalid_op 0
		.amdhsa_exception_fp_denorm_src 0
		.amdhsa_exception_fp_ieee_div_zero 0
		.amdhsa_exception_fp_ieee_overflow 0
		.amdhsa_exception_fp_ieee_underflow 0
		.amdhsa_exception_fp_ieee_inexact 0
		.amdhsa_exception_int_div_zero 0
	.end_amdhsa_kernel
	.section	.text._ZN7rocprim17ROCPRIM_400000_NS6detail17trampoline_kernelINS0_14default_configENS1_27scan_by_key_config_selectorIj11FixedVectorIiLj1EEEEZZNS1_16scan_by_key_implILNS1_25lookback_scan_determinismE0ELb0ES3_N6thrust23THRUST_200600_302600_NS6detail15normal_iteratorINSB_10device_ptrIjEEEENSD_INSE_IS6_EEEESI_S6_NSB_4plusIvEENSB_8equal_toIvEES6_EE10hipError_tPvRmT2_T3_T4_T5_mT6_T7_P12ihipStream_tbENKUlT_T0_E_clISt17integral_constantIbLb1EES13_EEDaSY_SZ_EUlSY_E_NS1_11comp_targetILNS1_3genE10ELNS1_11target_archE1200ELNS1_3gpuE4ELNS1_3repE0EEENS1_30default_config_static_selectorELNS0_4arch9wavefront6targetE1EEEvT1_,"axG",@progbits,_ZN7rocprim17ROCPRIM_400000_NS6detail17trampoline_kernelINS0_14default_configENS1_27scan_by_key_config_selectorIj11FixedVectorIiLj1EEEEZZNS1_16scan_by_key_implILNS1_25lookback_scan_determinismE0ELb0ES3_N6thrust23THRUST_200600_302600_NS6detail15normal_iteratorINSB_10device_ptrIjEEEENSD_INSE_IS6_EEEESI_S6_NSB_4plusIvEENSB_8equal_toIvEES6_EE10hipError_tPvRmT2_T3_T4_T5_mT6_T7_P12ihipStream_tbENKUlT_T0_E_clISt17integral_constantIbLb1EES13_EEDaSY_SZ_EUlSY_E_NS1_11comp_targetILNS1_3genE10ELNS1_11target_archE1200ELNS1_3gpuE4ELNS1_3repE0EEENS1_30default_config_static_selectorELNS0_4arch9wavefront6targetE1EEEvT1_,comdat
.Lfunc_end1886:
	.size	_ZN7rocprim17ROCPRIM_400000_NS6detail17trampoline_kernelINS0_14default_configENS1_27scan_by_key_config_selectorIj11FixedVectorIiLj1EEEEZZNS1_16scan_by_key_implILNS1_25lookback_scan_determinismE0ELb0ES3_N6thrust23THRUST_200600_302600_NS6detail15normal_iteratorINSB_10device_ptrIjEEEENSD_INSE_IS6_EEEESI_S6_NSB_4plusIvEENSB_8equal_toIvEES6_EE10hipError_tPvRmT2_T3_T4_T5_mT6_T7_P12ihipStream_tbENKUlT_T0_E_clISt17integral_constantIbLb1EES13_EEDaSY_SZ_EUlSY_E_NS1_11comp_targetILNS1_3genE10ELNS1_11target_archE1200ELNS1_3gpuE4ELNS1_3repE0EEENS1_30default_config_static_selectorELNS0_4arch9wavefront6targetE1EEEvT1_, .Lfunc_end1886-_ZN7rocprim17ROCPRIM_400000_NS6detail17trampoline_kernelINS0_14default_configENS1_27scan_by_key_config_selectorIj11FixedVectorIiLj1EEEEZZNS1_16scan_by_key_implILNS1_25lookback_scan_determinismE0ELb0ES3_N6thrust23THRUST_200600_302600_NS6detail15normal_iteratorINSB_10device_ptrIjEEEENSD_INSE_IS6_EEEESI_S6_NSB_4plusIvEENSB_8equal_toIvEES6_EE10hipError_tPvRmT2_T3_T4_T5_mT6_T7_P12ihipStream_tbENKUlT_T0_E_clISt17integral_constantIbLb1EES13_EEDaSY_SZ_EUlSY_E_NS1_11comp_targetILNS1_3genE10ELNS1_11target_archE1200ELNS1_3gpuE4ELNS1_3repE0EEENS1_30default_config_static_selectorELNS0_4arch9wavefront6targetE1EEEvT1_
                                        ; -- End function
	.section	.AMDGPU.csdata,"",@progbits
; Kernel info:
; codeLenInByte = 0
; NumSgprs: 6
; NumVgprs: 0
; NumAgprs: 0
; TotalNumVgprs: 0
; ScratchSize: 0
; MemoryBound: 0
; FloatMode: 240
; IeeeMode: 1
; LDSByteSize: 0 bytes/workgroup (compile time only)
; SGPRBlocks: 0
; VGPRBlocks: 0
; NumSGPRsForWavesPerEU: 6
; NumVGPRsForWavesPerEU: 1
; AccumOffset: 4
; Occupancy: 8
; WaveLimiterHint : 0
; COMPUTE_PGM_RSRC2:SCRATCH_EN: 0
; COMPUTE_PGM_RSRC2:USER_SGPR: 2
; COMPUTE_PGM_RSRC2:TRAP_HANDLER: 0
; COMPUTE_PGM_RSRC2:TGID_X_EN: 1
; COMPUTE_PGM_RSRC2:TGID_Y_EN: 0
; COMPUTE_PGM_RSRC2:TGID_Z_EN: 0
; COMPUTE_PGM_RSRC2:TIDIG_COMP_CNT: 0
; COMPUTE_PGM_RSRC3_GFX90A:ACCUM_OFFSET: 0
; COMPUTE_PGM_RSRC3_GFX90A:TG_SPLIT: 0
	.section	.text._ZN7rocprim17ROCPRIM_400000_NS6detail17trampoline_kernelINS0_14default_configENS1_27scan_by_key_config_selectorIj11FixedVectorIiLj1EEEEZZNS1_16scan_by_key_implILNS1_25lookback_scan_determinismE0ELb0ES3_N6thrust23THRUST_200600_302600_NS6detail15normal_iteratorINSB_10device_ptrIjEEEENSD_INSE_IS6_EEEESI_S6_NSB_4plusIvEENSB_8equal_toIvEES6_EE10hipError_tPvRmT2_T3_T4_T5_mT6_T7_P12ihipStream_tbENKUlT_T0_E_clISt17integral_constantIbLb1EES13_EEDaSY_SZ_EUlSY_E_NS1_11comp_targetILNS1_3genE9ELNS1_11target_archE1100ELNS1_3gpuE3ELNS1_3repE0EEENS1_30default_config_static_selectorELNS0_4arch9wavefront6targetE1EEEvT1_,"axG",@progbits,_ZN7rocprim17ROCPRIM_400000_NS6detail17trampoline_kernelINS0_14default_configENS1_27scan_by_key_config_selectorIj11FixedVectorIiLj1EEEEZZNS1_16scan_by_key_implILNS1_25lookback_scan_determinismE0ELb0ES3_N6thrust23THRUST_200600_302600_NS6detail15normal_iteratorINSB_10device_ptrIjEEEENSD_INSE_IS6_EEEESI_S6_NSB_4plusIvEENSB_8equal_toIvEES6_EE10hipError_tPvRmT2_T3_T4_T5_mT6_T7_P12ihipStream_tbENKUlT_T0_E_clISt17integral_constantIbLb1EES13_EEDaSY_SZ_EUlSY_E_NS1_11comp_targetILNS1_3genE9ELNS1_11target_archE1100ELNS1_3gpuE3ELNS1_3repE0EEENS1_30default_config_static_selectorELNS0_4arch9wavefront6targetE1EEEvT1_,comdat
	.protected	_ZN7rocprim17ROCPRIM_400000_NS6detail17trampoline_kernelINS0_14default_configENS1_27scan_by_key_config_selectorIj11FixedVectorIiLj1EEEEZZNS1_16scan_by_key_implILNS1_25lookback_scan_determinismE0ELb0ES3_N6thrust23THRUST_200600_302600_NS6detail15normal_iteratorINSB_10device_ptrIjEEEENSD_INSE_IS6_EEEESI_S6_NSB_4plusIvEENSB_8equal_toIvEES6_EE10hipError_tPvRmT2_T3_T4_T5_mT6_T7_P12ihipStream_tbENKUlT_T0_E_clISt17integral_constantIbLb1EES13_EEDaSY_SZ_EUlSY_E_NS1_11comp_targetILNS1_3genE9ELNS1_11target_archE1100ELNS1_3gpuE3ELNS1_3repE0EEENS1_30default_config_static_selectorELNS0_4arch9wavefront6targetE1EEEvT1_ ; -- Begin function _ZN7rocprim17ROCPRIM_400000_NS6detail17trampoline_kernelINS0_14default_configENS1_27scan_by_key_config_selectorIj11FixedVectorIiLj1EEEEZZNS1_16scan_by_key_implILNS1_25lookback_scan_determinismE0ELb0ES3_N6thrust23THRUST_200600_302600_NS6detail15normal_iteratorINSB_10device_ptrIjEEEENSD_INSE_IS6_EEEESI_S6_NSB_4plusIvEENSB_8equal_toIvEES6_EE10hipError_tPvRmT2_T3_T4_T5_mT6_T7_P12ihipStream_tbENKUlT_T0_E_clISt17integral_constantIbLb1EES13_EEDaSY_SZ_EUlSY_E_NS1_11comp_targetILNS1_3genE9ELNS1_11target_archE1100ELNS1_3gpuE3ELNS1_3repE0EEENS1_30default_config_static_selectorELNS0_4arch9wavefront6targetE1EEEvT1_
	.globl	_ZN7rocprim17ROCPRIM_400000_NS6detail17trampoline_kernelINS0_14default_configENS1_27scan_by_key_config_selectorIj11FixedVectorIiLj1EEEEZZNS1_16scan_by_key_implILNS1_25lookback_scan_determinismE0ELb0ES3_N6thrust23THRUST_200600_302600_NS6detail15normal_iteratorINSB_10device_ptrIjEEEENSD_INSE_IS6_EEEESI_S6_NSB_4plusIvEENSB_8equal_toIvEES6_EE10hipError_tPvRmT2_T3_T4_T5_mT6_T7_P12ihipStream_tbENKUlT_T0_E_clISt17integral_constantIbLb1EES13_EEDaSY_SZ_EUlSY_E_NS1_11comp_targetILNS1_3genE9ELNS1_11target_archE1100ELNS1_3gpuE3ELNS1_3repE0EEENS1_30default_config_static_selectorELNS0_4arch9wavefront6targetE1EEEvT1_
	.p2align	8
	.type	_ZN7rocprim17ROCPRIM_400000_NS6detail17trampoline_kernelINS0_14default_configENS1_27scan_by_key_config_selectorIj11FixedVectorIiLj1EEEEZZNS1_16scan_by_key_implILNS1_25lookback_scan_determinismE0ELb0ES3_N6thrust23THRUST_200600_302600_NS6detail15normal_iteratorINSB_10device_ptrIjEEEENSD_INSE_IS6_EEEESI_S6_NSB_4plusIvEENSB_8equal_toIvEES6_EE10hipError_tPvRmT2_T3_T4_T5_mT6_T7_P12ihipStream_tbENKUlT_T0_E_clISt17integral_constantIbLb1EES13_EEDaSY_SZ_EUlSY_E_NS1_11comp_targetILNS1_3genE9ELNS1_11target_archE1100ELNS1_3gpuE3ELNS1_3repE0EEENS1_30default_config_static_selectorELNS0_4arch9wavefront6targetE1EEEvT1_,@function
_ZN7rocprim17ROCPRIM_400000_NS6detail17trampoline_kernelINS0_14default_configENS1_27scan_by_key_config_selectorIj11FixedVectorIiLj1EEEEZZNS1_16scan_by_key_implILNS1_25lookback_scan_determinismE0ELb0ES3_N6thrust23THRUST_200600_302600_NS6detail15normal_iteratorINSB_10device_ptrIjEEEENSD_INSE_IS6_EEEESI_S6_NSB_4plusIvEENSB_8equal_toIvEES6_EE10hipError_tPvRmT2_T3_T4_T5_mT6_T7_P12ihipStream_tbENKUlT_T0_E_clISt17integral_constantIbLb1EES13_EEDaSY_SZ_EUlSY_E_NS1_11comp_targetILNS1_3genE9ELNS1_11target_archE1100ELNS1_3gpuE3ELNS1_3repE0EEENS1_30default_config_static_selectorELNS0_4arch9wavefront6targetE1EEEvT1_: ; @_ZN7rocprim17ROCPRIM_400000_NS6detail17trampoline_kernelINS0_14default_configENS1_27scan_by_key_config_selectorIj11FixedVectorIiLj1EEEEZZNS1_16scan_by_key_implILNS1_25lookback_scan_determinismE0ELb0ES3_N6thrust23THRUST_200600_302600_NS6detail15normal_iteratorINSB_10device_ptrIjEEEENSD_INSE_IS6_EEEESI_S6_NSB_4plusIvEENSB_8equal_toIvEES6_EE10hipError_tPvRmT2_T3_T4_T5_mT6_T7_P12ihipStream_tbENKUlT_T0_E_clISt17integral_constantIbLb1EES13_EEDaSY_SZ_EUlSY_E_NS1_11comp_targetILNS1_3genE9ELNS1_11target_archE1100ELNS1_3gpuE3ELNS1_3repE0EEENS1_30default_config_static_selectorELNS0_4arch9wavefront6targetE1EEEvT1_
; %bb.0:
	.section	.rodata,"a",@progbits
	.p2align	6, 0x0
	.amdhsa_kernel _ZN7rocprim17ROCPRIM_400000_NS6detail17trampoline_kernelINS0_14default_configENS1_27scan_by_key_config_selectorIj11FixedVectorIiLj1EEEEZZNS1_16scan_by_key_implILNS1_25lookback_scan_determinismE0ELb0ES3_N6thrust23THRUST_200600_302600_NS6detail15normal_iteratorINSB_10device_ptrIjEEEENSD_INSE_IS6_EEEESI_S6_NSB_4plusIvEENSB_8equal_toIvEES6_EE10hipError_tPvRmT2_T3_T4_T5_mT6_T7_P12ihipStream_tbENKUlT_T0_E_clISt17integral_constantIbLb1EES13_EEDaSY_SZ_EUlSY_E_NS1_11comp_targetILNS1_3genE9ELNS1_11target_archE1100ELNS1_3gpuE3ELNS1_3repE0EEENS1_30default_config_static_selectorELNS0_4arch9wavefront6targetE1EEEvT1_
		.amdhsa_group_segment_fixed_size 0
		.amdhsa_private_segment_fixed_size 0
		.amdhsa_kernarg_size 112
		.amdhsa_user_sgpr_count 2
		.amdhsa_user_sgpr_dispatch_ptr 0
		.amdhsa_user_sgpr_queue_ptr 0
		.amdhsa_user_sgpr_kernarg_segment_ptr 1
		.amdhsa_user_sgpr_dispatch_id 0
		.amdhsa_user_sgpr_kernarg_preload_length 0
		.amdhsa_user_sgpr_kernarg_preload_offset 0
		.amdhsa_user_sgpr_private_segment_size 0
		.amdhsa_uses_dynamic_stack 0
		.amdhsa_enable_private_segment 0
		.amdhsa_system_sgpr_workgroup_id_x 1
		.amdhsa_system_sgpr_workgroup_id_y 0
		.amdhsa_system_sgpr_workgroup_id_z 0
		.amdhsa_system_sgpr_workgroup_info 0
		.amdhsa_system_vgpr_workitem_id 0
		.amdhsa_next_free_vgpr 1
		.amdhsa_next_free_sgpr 0
		.amdhsa_accum_offset 4
		.amdhsa_reserve_vcc 0
		.amdhsa_float_round_mode_32 0
		.amdhsa_float_round_mode_16_64 0
		.amdhsa_float_denorm_mode_32 3
		.amdhsa_float_denorm_mode_16_64 3
		.amdhsa_dx10_clamp 1
		.amdhsa_ieee_mode 1
		.amdhsa_fp16_overflow 0
		.amdhsa_tg_split 0
		.amdhsa_exception_fp_ieee_invalid_op 0
		.amdhsa_exception_fp_denorm_src 0
		.amdhsa_exception_fp_ieee_div_zero 0
		.amdhsa_exception_fp_ieee_overflow 0
		.amdhsa_exception_fp_ieee_underflow 0
		.amdhsa_exception_fp_ieee_inexact 0
		.amdhsa_exception_int_div_zero 0
	.end_amdhsa_kernel
	.section	.text._ZN7rocprim17ROCPRIM_400000_NS6detail17trampoline_kernelINS0_14default_configENS1_27scan_by_key_config_selectorIj11FixedVectorIiLj1EEEEZZNS1_16scan_by_key_implILNS1_25lookback_scan_determinismE0ELb0ES3_N6thrust23THRUST_200600_302600_NS6detail15normal_iteratorINSB_10device_ptrIjEEEENSD_INSE_IS6_EEEESI_S6_NSB_4plusIvEENSB_8equal_toIvEES6_EE10hipError_tPvRmT2_T3_T4_T5_mT6_T7_P12ihipStream_tbENKUlT_T0_E_clISt17integral_constantIbLb1EES13_EEDaSY_SZ_EUlSY_E_NS1_11comp_targetILNS1_3genE9ELNS1_11target_archE1100ELNS1_3gpuE3ELNS1_3repE0EEENS1_30default_config_static_selectorELNS0_4arch9wavefront6targetE1EEEvT1_,"axG",@progbits,_ZN7rocprim17ROCPRIM_400000_NS6detail17trampoline_kernelINS0_14default_configENS1_27scan_by_key_config_selectorIj11FixedVectorIiLj1EEEEZZNS1_16scan_by_key_implILNS1_25lookback_scan_determinismE0ELb0ES3_N6thrust23THRUST_200600_302600_NS6detail15normal_iteratorINSB_10device_ptrIjEEEENSD_INSE_IS6_EEEESI_S6_NSB_4plusIvEENSB_8equal_toIvEES6_EE10hipError_tPvRmT2_T3_T4_T5_mT6_T7_P12ihipStream_tbENKUlT_T0_E_clISt17integral_constantIbLb1EES13_EEDaSY_SZ_EUlSY_E_NS1_11comp_targetILNS1_3genE9ELNS1_11target_archE1100ELNS1_3gpuE3ELNS1_3repE0EEENS1_30default_config_static_selectorELNS0_4arch9wavefront6targetE1EEEvT1_,comdat
.Lfunc_end1887:
	.size	_ZN7rocprim17ROCPRIM_400000_NS6detail17trampoline_kernelINS0_14default_configENS1_27scan_by_key_config_selectorIj11FixedVectorIiLj1EEEEZZNS1_16scan_by_key_implILNS1_25lookback_scan_determinismE0ELb0ES3_N6thrust23THRUST_200600_302600_NS6detail15normal_iteratorINSB_10device_ptrIjEEEENSD_INSE_IS6_EEEESI_S6_NSB_4plusIvEENSB_8equal_toIvEES6_EE10hipError_tPvRmT2_T3_T4_T5_mT6_T7_P12ihipStream_tbENKUlT_T0_E_clISt17integral_constantIbLb1EES13_EEDaSY_SZ_EUlSY_E_NS1_11comp_targetILNS1_3genE9ELNS1_11target_archE1100ELNS1_3gpuE3ELNS1_3repE0EEENS1_30default_config_static_selectorELNS0_4arch9wavefront6targetE1EEEvT1_, .Lfunc_end1887-_ZN7rocprim17ROCPRIM_400000_NS6detail17trampoline_kernelINS0_14default_configENS1_27scan_by_key_config_selectorIj11FixedVectorIiLj1EEEEZZNS1_16scan_by_key_implILNS1_25lookback_scan_determinismE0ELb0ES3_N6thrust23THRUST_200600_302600_NS6detail15normal_iteratorINSB_10device_ptrIjEEEENSD_INSE_IS6_EEEESI_S6_NSB_4plusIvEENSB_8equal_toIvEES6_EE10hipError_tPvRmT2_T3_T4_T5_mT6_T7_P12ihipStream_tbENKUlT_T0_E_clISt17integral_constantIbLb1EES13_EEDaSY_SZ_EUlSY_E_NS1_11comp_targetILNS1_3genE9ELNS1_11target_archE1100ELNS1_3gpuE3ELNS1_3repE0EEENS1_30default_config_static_selectorELNS0_4arch9wavefront6targetE1EEEvT1_
                                        ; -- End function
	.section	.AMDGPU.csdata,"",@progbits
; Kernel info:
; codeLenInByte = 0
; NumSgprs: 6
; NumVgprs: 0
; NumAgprs: 0
; TotalNumVgprs: 0
; ScratchSize: 0
; MemoryBound: 0
; FloatMode: 240
; IeeeMode: 1
; LDSByteSize: 0 bytes/workgroup (compile time only)
; SGPRBlocks: 0
; VGPRBlocks: 0
; NumSGPRsForWavesPerEU: 6
; NumVGPRsForWavesPerEU: 1
; AccumOffset: 4
; Occupancy: 8
; WaveLimiterHint : 0
; COMPUTE_PGM_RSRC2:SCRATCH_EN: 0
; COMPUTE_PGM_RSRC2:USER_SGPR: 2
; COMPUTE_PGM_RSRC2:TRAP_HANDLER: 0
; COMPUTE_PGM_RSRC2:TGID_X_EN: 1
; COMPUTE_PGM_RSRC2:TGID_Y_EN: 0
; COMPUTE_PGM_RSRC2:TGID_Z_EN: 0
; COMPUTE_PGM_RSRC2:TIDIG_COMP_CNT: 0
; COMPUTE_PGM_RSRC3_GFX90A:ACCUM_OFFSET: 0
; COMPUTE_PGM_RSRC3_GFX90A:TG_SPLIT: 0
	.section	.text._ZN7rocprim17ROCPRIM_400000_NS6detail17trampoline_kernelINS0_14default_configENS1_27scan_by_key_config_selectorIj11FixedVectorIiLj1EEEEZZNS1_16scan_by_key_implILNS1_25lookback_scan_determinismE0ELb0ES3_N6thrust23THRUST_200600_302600_NS6detail15normal_iteratorINSB_10device_ptrIjEEEENSD_INSE_IS6_EEEESI_S6_NSB_4plusIvEENSB_8equal_toIvEES6_EE10hipError_tPvRmT2_T3_T4_T5_mT6_T7_P12ihipStream_tbENKUlT_T0_E_clISt17integral_constantIbLb1EES13_EEDaSY_SZ_EUlSY_E_NS1_11comp_targetILNS1_3genE8ELNS1_11target_archE1030ELNS1_3gpuE2ELNS1_3repE0EEENS1_30default_config_static_selectorELNS0_4arch9wavefront6targetE1EEEvT1_,"axG",@progbits,_ZN7rocprim17ROCPRIM_400000_NS6detail17trampoline_kernelINS0_14default_configENS1_27scan_by_key_config_selectorIj11FixedVectorIiLj1EEEEZZNS1_16scan_by_key_implILNS1_25lookback_scan_determinismE0ELb0ES3_N6thrust23THRUST_200600_302600_NS6detail15normal_iteratorINSB_10device_ptrIjEEEENSD_INSE_IS6_EEEESI_S6_NSB_4plusIvEENSB_8equal_toIvEES6_EE10hipError_tPvRmT2_T3_T4_T5_mT6_T7_P12ihipStream_tbENKUlT_T0_E_clISt17integral_constantIbLb1EES13_EEDaSY_SZ_EUlSY_E_NS1_11comp_targetILNS1_3genE8ELNS1_11target_archE1030ELNS1_3gpuE2ELNS1_3repE0EEENS1_30default_config_static_selectorELNS0_4arch9wavefront6targetE1EEEvT1_,comdat
	.protected	_ZN7rocprim17ROCPRIM_400000_NS6detail17trampoline_kernelINS0_14default_configENS1_27scan_by_key_config_selectorIj11FixedVectorIiLj1EEEEZZNS1_16scan_by_key_implILNS1_25lookback_scan_determinismE0ELb0ES3_N6thrust23THRUST_200600_302600_NS6detail15normal_iteratorINSB_10device_ptrIjEEEENSD_INSE_IS6_EEEESI_S6_NSB_4plusIvEENSB_8equal_toIvEES6_EE10hipError_tPvRmT2_T3_T4_T5_mT6_T7_P12ihipStream_tbENKUlT_T0_E_clISt17integral_constantIbLb1EES13_EEDaSY_SZ_EUlSY_E_NS1_11comp_targetILNS1_3genE8ELNS1_11target_archE1030ELNS1_3gpuE2ELNS1_3repE0EEENS1_30default_config_static_selectorELNS0_4arch9wavefront6targetE1EEEvT1_ ; -- Begin function _ZN7rocprim17ROCPRIM_400000_NS6detail17trampoline_kernelINS0_14default_configENS1_27scan_by_key_config_selectorIj11FixedVectorIiLj1EEEEZZNS1_16scan_by_key_implILNS1_25lookback_scan_determinismE0ELb0ES3_N6thrust23THRUST_200600_302600_NS6detail15normal_iteratorINSB_10device_ptrIjEEEENSD_INSE_IS6_EEEESI_S6_NSB_4plusIvEENSB_8equal_toIvEES6_EE10hipError_tPvRmT2_T3_T4_T5_mT6_T7_P12ihipStream_tbENKUlT_T0_E_clISt17integral_constantIbLb1EES13_EEDaSY_SZ_EUlSY_E_NS1_11comp_targetILNS1_3genE8ELNS1_11target_archE1030ELNS1_3gpuE2ELNS1_3repE0EEENS1_30default_config_static_selectorELNS0_4arch9wavefront6targetE1EEEvT1_
	.globl	_ZN7rocprim17ROCPRIM_400000_NS6detail17trampoline_kernelINS0_14default_configENS1_27scan_by_key_config_selectorIj11FixedVectorIiLj1EEEEZZNS1_16scan_by_key_implILNS1_25lookback_scan_determinismE0ELb0ES3_N6thrust23THRUST_200600_302600_NS6detail15normal_iteratorINSB_10device_ptrIjEEEENSD_INSE_IS6_EEEESI_S6_NSB_4plusIvEENSB_8equal_toIvEES6_EE10hipError_tPvRmT2_T3_T4_T5_mT6_T7_P12ihipStream_tbENKUlT_T0_E_clISt17integral_constantIbLb1EES13_EEDaSY_SZ_EUlSY_E_NS1_11comp_targetILNS1_3genE8ELNS1_11target_archE1030ELNS1_3gpuE2ELNS1_3repE0EEENS1_30default_config_static_selectorELNS0_4arch9wavefront6targetE1EEEvT1_
	.p2align	8
	.type	_ZN7rocprim17ROCPRIM_400000_NS6detail17trampoline_kernelINS0_14default_configENS1_27scan_by_key_config_selectorIj11FixedVectorIiLj1EEEEZZNS1_16scan_by_key_implILNS1_25lookback_scan_determinismE0ELb0ES3_N6thrust23THRUST_200600_302600_NS6detail15normal_iteratorINSB_10device_ptrIjEEEENSD_INSE_IS6_EEEESI_S6_NSB_4plusIvEENSB_8equal_toIvEES6_EE10hipError_tPvRmT2_T3_T4_T5_mT6_T7_P12ihipStream_tbENKUlT_T0_E_clISt17integral_constantIbLb1EES13_EEDaSY_SZ_EUlSY_E_NS1_11comp_targetILNS1_3genE8ELNS1_11target_archE1030ELNS1_3gpuE2ELNS1_3repE0EEENS1_30default_config_static_selectorELNS0_4arch9wavefront6targetE1EEEvT1_,@function
_ZN7rocprim17ROCPRIM_400000_NS6detail17trampoline_kernelINS0_14default_configENS1_27scan_by_key_config_selectorIj11FixedVectorIiLj1EEEEZZNS1_16scan_by_key_implILNS1_25lookback_scan_determinismE0ELb0ES3_N6thrust23THRUST_200600_302600_NS6detail15normal_iteratorINSB_10device_ptrIjEEEENSD_INSE_IS6_EEEESI_S6_NSB_4plusIvEENSB_8equal_toIvEES6_EE10hipError_tPvRmT2_T3_T4_T5_mT6_T7_P12ihipStream_tbENKUlT_T0_E_clISt17integral_constantIbLb1EES13_EEDaSY_SZ_EUlSY_E_NS1_11comp_targetILNS1_3genE8ELNS1_11target_archE1030ELNS1_3gpuE2ELNS1_3repE0EEENS1_30default_config_static_selectorELNS0_4arch9wavefront6targetE1EEEvT1_: ; @_ZN7rocprim17ROCPRIM_400000_NS6detail17trampoline_kernelINS0_14default_configENS1_27scan_by_key_config_selectorIj11FixedVectorIiLj1EEEEZZNS1_16scan_by_key_implILNS1_25lookback_scan_determinismE0ELb0ES3_N6thrust23THRUST_200600_302600_NS6detail15normal_iteratorINSB_10device_ptrIjEEEENSD_INSE_IS6_EEEESI_S6_NSB_4plusIvEENSB_8equal_toIvEES6_EE10hipError_tPvRmT2_T3_T4_T5_mT6_T7_P12ihipStream_tbENKUlT_T0_E_clISt17integral_constantIbLb1EES13_EEDaSY_SZ_EUlSY_E_NS1_11comp_targetILNS1_3genE8ELNS1_11target_archE1030ELNS1_3gpuE2ELNS1_3repE0EEENS1_30default_config_static_selectorELNS0_4arch9wavefront6targetE1EEEvT1_
; %bb.0:
	.section	.rodata,"a",@progbits
	.p2align	6, 0x0
	.amdhsa_kernel _ZN7rocprim17ROCPRIM_400000_NS6detail17trampoline_kernelINS0_14default_configENS1_27scan_by_key_config_selectorIj11FixedVectorIiLj1EEEEZZNS1_16scan_by_key_implILNS1_25lookback_scan_determinismE0ELb0ES3_N6thrust23THRUST_200600_302600_NS6detail15normal_iteratorINSB_10device_ptrIjEEEENSD_INSE_IS6_EEEESI_S6_NSB_4plusIvEENSB_8equal_toIvEES6_EE10hipError_tPvRmT2_T3_T4_T5_mT6_T7_P12ihipStream_tbENKUlT_T0_E_clISt17integral_constantIbLb1EES13_EEDaSY_SZ_EUlSY_E_NS1_11comp_targetILNS1_3genE8ELNS1_11target_archE1030ELNS1_3gpuE2ELNS1_3repE0EEENS1_30default_config_static_selectorELNS0_4arch9wavefront6targetE1EEEvT1_
		.amdhsa_group_segment_fixed_size 0
		.amdhsa_private_segment_fixed_size 0
		.amdhsa_kernarg_size 112
		.amdhsa_user_sgpr_count 2
		.amdhsa_user_sgpr_dispatch_ptr 0
		.amdhsa_user_sgpr_queue_ptr 0
		.amdhsa_user_sgpr_kernarg_segment_ptr 1
		.amdhsa_user_sgpr_dispatch_id 0
		.amdhsa_user_sgpr_kernarg_preload_length 0
		.amdhsa_user_sgpr_kernarg_preload_offset 0
		.amdhsa_user_sgpr_private_segment_size 0
		.amdhsa_uses_dynamic_stack 0
		.amdhsa_enable_private_segment 0
		.amdhsa_system_sgpr_workgroup_id_x 1
		.amdhsa_system_sgpr_workgroup_id_y 0
		.amdhsa_system_sgpr_workgroup_id_z 0
		.amdhsa_system_sgpr_workgroup_info 0
		.amdhsa_system_vgpr_workitem_id 0
		.amdhsa_next_free_vgpr 1
		.amdhsa_next_free_sgpr 0
		.amdhsa_accum_offset 4
		.amdhsa_reserve_vcc 0
		.amdhsa_float_round_mode_32 0
		.amdhsa_float_round_mode_16_64 0
		.amdhsa_float_denorm_mode_32 3
		.amdhsa_float_denorm_mode_16_64 3
		.amdhsa_dx10_clamp 1
		.amdhsa_ieee_mode 1
		.amdhsa_fp16_overflow 0
		.amdhsa_tg_split 0
		.amdhsa_exception_fp_ieee_invalid_op 0
		.amdhsa_exception_fp_denorm_src 0
		.amdhsa_exception_fp_ieee_div_zero 0
		.amdhsa_exception_fp_ieee_overflow 0
		.amdhsa_exception_fp_ieee_underflow 0
		.amdhsa_exception_fp_ieee_inexact 0
		.amdhsa_exception_int_div_zero 0
	.end_amdhsa_kernel
	.section	.text._ZN7rocprim17ROCPRIM_400000_NS6detail17trampoline_kernelINS0_14default_configENS1_27scan_by_key_config_selectorIj11FixedVectorIiLj1EEEEZZNS1_16scan_by_key_implILNS1_25lookback_scan_determinismE0ELb0ES3_N6thrust23THRUST_200600_302600_NS6detail15normal_iteratorINSB_10device_ptrIjEEEENSD_INSE_IS6_EEEESI_S6_NSB_4plusIvEENSB_8equal_toIvEES6_EE10hipError_tPvRmT2_T3_T4_T5_mT6_T7_P12ihipStream_tbENKUlT_T0_E_clISt17integral_constantIbLb1EES13_EEDaSY_SZ_EUlSY_E_NS1_11comp_targetILNS1_3genE8ELNS1_11target_archE1030ELNS1_3gpuE2ELNS1_3repE0EEENS1_30default_config_static_selectorELNS0_4arch9wavefront6targetE1EEEvT1_,"axG",@progbits,_ZN7rocprim17ROCPRIM_400000_NS6detail17trampoline_kernelINS0_14default_configENS1_27scan_by_key_config_selectorIj11FixedVectorIiLj1EEEEZZNS1_16scan_by_key_implILNS1_25lookback_scan_determinismE0ELb0ES3_N6thrust23THRUST_200600_302600_NS6detail15normal_iteratorINSB_10device_ptrIjEEEENSD_INSE_IS6_EEEESI_S6_NSB_4plusIvEENSB_8equal_toIvEES6_EE10hipError_tPvRmT2_T3_T4_T5_mT6_T7_P12ihipStream_tbENKUlT_T0_E_clISt17integral_constantIbLb1EES13_EEDaSY_SZ_EUlSY_E_NS1_11comp_targetILNS1_3genE8ELNS1_11target_archE1030ELNS1_3gpuE2ELNS1_3repE0EEENS1_30default_config_static_selectorELNS0_4arch9wavefront6targetE1EEEvT1_,comdat
.Lfunc_end1888:
	.size	_ZN7rocprim17ROCPRIM_400000_NS6detail17trampoline_kernelINS0_14default_configENS1_27scan_by_key_config_selectorIj11FixedVectorIiLj1EEEEZZNS1_16scan_by_key_implILNS1_25lookback_scan_determinismE0ELb0ES3_N6thrust23THRUST_200600_302600_NS6detail15normal_iteratorINSB_10device_ptrIjEEEENSD_INSE_IS6_EEEESI_S6_NSB_4plusIvEENSB_8equal_toIvEES6_EE10hipError_tPvRmT2_T3_T4_T5_mT6_T7_P12ihipStream_tbENKUlT_T0_E_clISt17integral_constantIbLb1EES13_EEDaSY_SZ_EUlSY_E_NS1_11comp_targetILNS1_3genE8ELNS1_11target_archE1030ELNS1_3gpuE2ELNS1_3repE0EEENS1_30default_config_static_selectorELNS0_4arch9wavefront6targetE1EEEvT1_, .Lfunc_end1888-_ZN7rocprim17ROCPRIM_400000_NS6detail17trampoline_kernelINS0_14default_configENS1_27scan_by_key_config_selectorIj11FixedVectorIiLj1EEEEZZNS1_16scan_by_key_implILNS1_25lookback_scan_determinismE0ELb0ES3_N6thrust23THRUST_200600_302600_NS6detail15normal_iteratorINSB_10device_ptrIjEEEENSD_INSE_IS6_EEEESI_S6_NSB_4plusIvEENSB_8equal_toIvEES6_EE10hipError_tPvRmT2_T3_T4_T5_mT6_T7_P12ihipStream_tbENKUlT_T0_E_clISt17integral_constantIbLb1EES13_EEDaSY_SZ_EUlSY_E_NS1_11comp_targetILNS1_3genE8ELNS1_11target_archE1030ELNS1_3gpuE2ELNS1_3repE0EEENS1_30default_config_static_selectorELNS0_4arch9wavefront6targetE1EEEvT1_
                                        ; -- End function
	.section	.AMDGPU.csdata,"",@progbits
; Kernel info:
; codeLenInByte = 0
; NumSgprs: 6
; NumVgprs: 0
; NumAgprs: 0
; TotalNumVgprs: 0
; ScratchSize: 0
; MemoryBound: 0
; FloatMode: 240
; IeeeMode: 1
; LDSByteSize: 0 bytes/workgroup (compile time only)
; SGPRBlocks: 0
; VGPRBlocks: 0
; NumSGPRsForWavesPerEU: 6
; NumVGPRsForWavesPerEU: 1
; AccumOffset: 4
; Occupancy: 8
; WaveLimiterHint : 0
; COMPUTE_PGM_RSRC2:SCRATCH_EN: 0
; COMPUTE_PGM_RSRC2:USER_SGPR: 2
; COMPUTE_PGM_RSRC2:TRAP_HANDLER: 0
; COMPUTE_PGM_RSRC2:TGID_X_EN: 1
; COMPUTE_PGM_RSRC2:TGID_Y_EN: 0
; COMPUTE_PGM_RSRC2:TGID_Z_EN: 0
; COMPUTE_PGM_RSRC2:TIDIG_COMP_CNT: 0
; COMPUTE_PGM_RSRC3_GFX90A:ACCUM_OFFSET: 0
; COMPUTE_PGM_RSRC3_GFX90A:TG_SPLIT: 0
	.section	.text._ZN7rocprim17ROCPRIM_400000_NS6detail30init_device_scan_by_key_kernelINS1_19lookback_scan_stateINS0_5tupleIJ11FixedVectorIiLj1EEbEEELb1ELb1EEEN6thrust23THRUST_200600_302600_NS6detail15normal_iteratorINSA_10device_ptrIjEEEEjNS1_16block_id_wrapperIjLb0EEEEEvT_jjPNSI_10value_typeET0_PNSt15iterator_traitsISL_E10value_typeEmT1_T2_,"axG",@progbits,_ZN7rocprim17ROCPRIM_400000_NS6detail30init_device_scan_by_key_kernelINS1_19lookback_scan_stateINS0_5tupleIJ11FixedVectorIiLj1EEbEEELb1ELb1EEEN6thrust23THRUST_200600_302600_NS6detail15normal_iteratorINSA_10device_ptrIjEEEEjNS1_16block_id_wrapperIjLb0EEEEEvT_jjPNSI_10value_typeET0_PNSt15iterator_traitsISL_E10value_typeEmT1_T2_,comdat
	.protected	_ZN7rocprim17ROCPRIM_400000_NS6detail30init_device_scan_by_key_kernelINS1_19lookback_scan_stateINS0_5tupleIJ11FixedVectorIiLj1EEbEEELb1ELb1EEEN6thrust23THRUST_200600_302600_NS6detail15normal_iteratorINSA_10device_ptrIjEEEEjNS1_16block_id_wrapperIjLb0EEEEEvT_jjPNSI_10value_typeET0_PNSt15iterator_traitsISL_E10value_typeEmT1_T2_ ; -- Begin function _ZN7rocprim17ROCPRIM_400000_NS6detail30init_device_scan_by_key_kernelINS1_19lookback_scan_stateINS0_5tupleIJ11FixedVectorIiLj1EEbEEELb1ELb1EEEN6thrust23THRUST_200600_302600_NS6detail15normal_iteratorINSA_10device_ptrIjEEEEjNS1_16block_id_wrapperIjLb0EEEEEvT_jjPNSI_10value_typeET0_PNSt15iterator_traitsISL_E10value_typeEmT1_T2_
	.globl	_ZN7rocprim17ROCPRIM_400000_NS6detail30init_device_scan_by_key_kernelINS1_19lookback_scan_stateINS0_5tupleIJ11FixedVectorIiLj1EEbEEELb1ELb1EEEN6thrust23THRUST_200600_302600_NS6detail15normal_iteratorINSA_10device_ptrIjEEEEjNS1_16block_id_wrapperIjLb0EEEEEvT_jjPNSI_10value_typeET0_PNSt15iterator_traitsISL_E10value_typeEmT1_T2_
	.p2align	8
	.type	_ZN7rocprim17ROCPRIM_400000_NS6detail30init_device_scan_by_key_kernelINS1_19lookback_scan_stateINS0_5tupleIJ11FixedVectorIiLj1EEbEEELb1ELb1EEEN6thrust23THRUST_200600_302600_NS6detail15normal_iteratorINSA_10device_ptrIjEEEEjNS1_16block_id_wrapperIjLb0EEEEEvT_jjPNSI_10value_typeET0_PNSt15iterator_traitsISL_E10value_typeEmT1_T2_,@function
_ZN7rocprim17ROCPRIM_400000_NS6detail30init_device_scan_by_key_kernelINS1_19lookback_scan_stateINS0_5tupleIJ11FixedVectorIiLj1EEbEEELb1ELb1EEEN6thrust23THRUST_200600_302600_NS6detail15normal_iteratorINSA_10device_ptrIjEEEEjNS1_16block_id_wrapperIjLb0EEEEEvT_jjPNSI_10value_typeET0_PNSt15iterator_traitsISL_E10value_typeEmT1_T2_: ; @_ZN7rocprim17ROCPRIM_400000_NS6detail30init_device_scan_by_key_kernelINS1_19lookback_scan_stateINS0_5tupleIJ11FixedVectorIiLj1EEbEEELb1ELb1EEEN6thrust23THRUST_200600_302600_NS6detail15normal_iteratorINSA_10device_ptrIjEEEEjNS1_16block_id_wrapperIjLb0EEEEEvT_jjPNSI_10value_typeET0_PNSt15iterator_traitsISL_E10value_typeEmT1_T2_
; %bb.0:
	s_load_dword s3, s[0:1], 0x44
	s_load_dwordx8 s[4:11], s[0:1], 0x0
	s_load_dword s18, s[0:1], 0x38
	s_waitcnt lgkmcnt(0)
	s_and_b32 s19, s3, 0xffff
	s_mul_i32 s2, s2, s19
	s_cmp_eq_u64 s[8:9], 0
	v_add_u32_e32 v4, s2, v0
	s_cbranch_scc1 .LBB1889_10
; %bb.1:
	s_cmp_lt_u32 s7, s6
	s_cselect_b32 s2, s7, 0
	s_mov_b32 s13, 0
	v_cmp_eq_u32_e32 vcc, s2, v4
	s_and_saveexec_b64 s[2:3], vcc
	s_cbranch_execz .LBB1889_9
; %bb.2:
	s_add_i32 s12, s7, 64
	s_lshl_b64 s[12:13], s[12:13], 4
	s_add_u32 s16, s4, s12
	s_addc_u32 s17, s5, s13
	v_mov_b64_e32 v[0:1], s[16:17]
	;;#ASMSTART
	global_load_dwordx4 v[0:3], v[0:1] off sc1	
s_waitcnt vmcnt(0)
	;;#ASMEND
	v_mov_b32_e32 v7, 0
	v_and_b32_e32 v6, 0xff, v2
	s_mov_b64 s[14:15], 0
	v_cmp_eq_u64_e32 vcc, 0, v[6:7]
	s_and_saveexec_b64 s[12:13], vcc
	s_cbranch_execz .LBB1889_8
; %bb.3:
	s_mov_b32 s7, 1
	v_mov_b64_e32 v[8:9], s[16:17]
.LBB1889_4:                             ; =>This Loop Header: Depth=1
                                        ;     Child Loop BB1889_5 Depth 2
	s_max_u32 s16, s7, 1
.LBB1889_5:                             ;   Parent Loop BB1889_4 Depth=1
                                        ; =>  This Inner Loop Header: Depth=2
	s_add_i32 s16, s16, -1
	s_cmp_eq_u32 s16, 0
	s_sleep 1
	s_cbranch_scc0 .LBB1889_5
; %bb.6:                                ;   in Loop: Header=BB1889_4 Depth=1
	s_cmp_lt_u32 s7, 32
	s_cselect_b64 s[16:17], -1, 0
	s_cmp_lg_u64 s[16:17], 0
	;;#ASMSTART
	global_load_dwordx4 v[0:3], v[8:9] off sc1	
s_waitcnt vmcnt(0)
	;;#ASMEND
	s_addc_u32 s7, s7, 0
	v_and_b32_e32 v6, 0xff, v2
	v_cmp_ne_u64_e32 vcc, 0, v[6:7]
	s_or_b64 s[14:15], vcc, s[14:15]
	s_andn2_b64 exec, exec, s[14:15]
	s_cbranch_execnz .LBB1889_4
; %bb.7:
	s_or_b64 exec, exec, s[14:15]
.LBB1889_8:
	s_or_b64 exec, exec, s[12:13]
	v_mov_b32_e32 v2, 0
	global_store_dword v2, v0, s[8:9]
	global_store_byte v2, v1, s[8:9] offset:4
.LBB1889_9:
	s_or_b64 exec, exec, s[2:3]
.LBB1889_10:
	v_cmp_gt_u32_e32 vcc, s6, v4
	s_and_saveexec_b64 s[2:3], vcc
	s_cbranch_execz .LBB1889_12
; %bb.11:
	v_add_u32_e32 v0, 64, v4
	v_mov_b32_e32 v1, 0
	v_lshl_add_u64 v[6:7], v[0:1], 4, s[4:5]
	v_mov_b32_e32 v0, v1
	v_mov_b32_e32 v2, v1
	;; [unrolled: 1-line block ×3, first 2 shown]
	global_store_dwordx4 v[6:7], v[0:3], off
.LBB1889_12:
	s_or_b64 exec, exec, s[2:3]
	v_cmp_gt_u32_e32 vcc, 64, v4
	v_mov_b32_e32 v5, 0
	s_and_saveexec_b64 s[2:3], vcc
	s_cbranch_execz .LBB1889_14
; %bb.13:
	v_lshl_add_u64 v[6:7], v[4:5], 4, s[4:5]
	v_mov_b32_e32 v2, 0xff
	v_mov_b32_e32 v0, v5
	;; [unrolled: 1-line block ×4, first 2 shown]
	global_store_dwordx4 v[6:7], v[0:3], off
.LBB1889_14:
	s_or_b64 exec, exec, s[2:3]
	s_load_dwordx2 s[2:3], s[0:1], 0x28
	s_waitcnt lgkmcnt(0)
	v_cmp_gt_u64_e32 vcc, s[2:3], v[4:5]
	s_and_saveexec_b64 s[4:5], vcc
	s_cbranch_execz .LBB1889_17
; %bb.15:
	s_load_dword s12, s[0:1], 0x30
	s_load_dwordx2 s[6:7], s[0:1], 0x20
	s_mov_b32 s5, 0
	s_mov_b32 s1, s5
	s_mul_i32 s0, s18, s19
	s_waitcnt lgkmcnt(0)
	s_add_i32 s4, s12, -1
	s_lshl_b64 s[4:5], s[4:5], 2
	s_add_u32 s4, s10, s4
	v_mad_u64_u32 v[0:1], s[8:9], s12, v4, 0
	s_addc_u32 s5, s11, s5
	v_lshl_add_u64 v[0:1], v[0:1], 2, s[4:5]
	s_mul_hi_u32 s5, s12, s0
	s_mul_i32 s4, s12, s0
	s_lshl_b64 s[4:5], s[4:5], 2
	v_lshl_add_u64 v[2:3], v[4:5], 2, s[6:7]
	s_lshl_b64 s[6:7], s[0:1], 2
	s_mov_b64 s[8:9], 0
.LBB1889_16:                            ; =>This Inner Loop Header: Depth=1
	global_load_dword v6, v[0:1], off
	v_lshl_add_u64 v[4:5], v[4:5], 0, s[0:1]
	v_cmp_le_u64_e32 vcc, s[2:3], v[4:5]
	v_lshl_add_u64 v[0:1], v[0:1], 0, s[4:5]
	s_or_b64 s[8:9], vcc, s[8:9]
	s_waitcnt vmcnt(0)
	global_store_dword v[2:3], v6, off
	v_lshl_add_u64 v[2:3], v[2:3], 0, s[6:7]
	s_andn2_b64 exec, exec, s[8:9]
	s_cbranch_execnz .LBB1889_16
.LBB1889_17:
	s_endpgm
	.section	.rodata,"a",@progbits
	.p2align	6, 0x0
	.amdhsa_kernel _ZN7rocprim17ROCPRIM_400000_NS6detail30init_device_scan_by_key_kernelINS1_19lookback_scan_stateINS0_5tupleIJ11FixedVectorIiLj1EEbEEELb1ELb1EEEN6thrust23THRUST_200600_302600_NS6detail15normal_iteratorINSA_10device_ptrIjEEEEjNS1_16block_id_wrapperIjLb0EEEEEvT_jjPNSI_10value_typeET0_PNSt15iterator_traitsISL_E10value_typeEmT1_T2_
		.amdhsa_group_segment_fixed_size 0
		.amdhsa_private_segment_fixed_size 0
		.amdhsa_kernarg_size 312
		.amdhsa_user_sgpr_count 2
		.amdhsa_user_sgpr_dispatch_ptr 0
		.amdhsa_user_sgpr_queue_ptr 0
		.amdhsa_user_sgpr_kernarg_segment_ptr 1
		.amdhsa_user_sgpr_dispatch_id 0
		.amdhsa_user_sgpr_kernarg_preload_length 0
		.amdhsa_user_sgpr_kernarg_preload_offset 0
		.amdhsa_user_sgpr_private_segment_size 0
		.amdhsa_uses_dynamic_stack 0
		.amdhsa_enable_private_segment 0
		.amdhsa_system_sgpr_workgroup_id_x 1
		.amdhsa_system_sgpr_workgroup_id_y 0
		.amdhsa_system_sgpr_workgroup_id_z 0
		.amdhsa_system_sgpr_workgroup_info 0
		.amdhsa_system_vgpr_workitem_id 0
		.amdhsa_next_free_vgpr 10
		.amdhsa_next_free_sgpr 20
		.amdhsa_accum_offset 12
		.amdhsa_reserve_vcc 1
		.amdhsa_float_round_mode_32 0
		.amdhsa_float_round_mode_16_64 0
		.amdhsa_float_denorm_mode_32 3
		.amdhsa_float_denorm_mode_16_64 3
		.amdhsa_dx10_clamp 1
		.amdhsa_ieee_mode 1
		.amdhsa_fp16_overflow 0
		.amdhsa_tg_split 0
		.amdhsa_exception_fp_ieee_invalid_op 0
		.amdhsa_exception_fp_denorm_src 0
		.amdhsa_exception_fp_ieee_div_zero 0
		.amdhsa_exception_fp_ieee_overflow 0
		.amdhsa_exception_fp_ieee_underflow 0
		.amdhsa_exception_fp_ieee_inexact 0
		.amdhsa_exception_int_div_zero 0
	.end_amdhsa_kernel
	.section	.text._ZN7rocprim17ROCPRIM_400000_NS6detail30init_device_scan_by_key_kernelINS1_19lookback_scan_stateINS0_5tupleIJ11FixedVectorIiLj1EEbEEELb1ELb1EEEN6thrust23THRUST_200600_302600_NS6detail15normal_iteratorINSA_10device_ptrIjEEEEjNS1_16block_id_wrapperIjLb0EEEEEvT_jjPNSI_10value_typeET0_PNSt15iterator_traitsISL_E10value_typeEmT1_T2_,"axG",@progbits,_ZN7rocprim17ROCPRIM_400000_NS6detail30init_device_scan_by_key_kernelINS1_19lookback_scan_stateINS0_5tupleIJ11FixedVectorIiLj1EEbEEELb1ELb1EEEN6thrust23THRUST_200600_302600_NS6detail15normal_iteratorINSA_10device_ptrIjEEEEjNS1_16block_id_wrapperIjLb0EEEEEvT_jjPNSI_10value_typeET0_PNSt15iterator_traitsISL_E10value_typeEmT1_T2_,comdat
.Lfunc_end1889:
	.size	_ZN7rocprim17ROCPRIM_400000_NS6detail30init_device_scan_by_key_kernelINS1_19lookback_scan_stateINS0_5tupleIJ11FixedVectorIiLj1EEbEEELb1ELb1EEEN6thrust23THRUST_200600_302600_NS6detail15normal_iteratorINSA_10device_ptrIjEEEEjNS1_16block_id_wrapperIjLb0EEEEEvT_jjPNSI_10value_typeET0_PNSt15iterator_traitsISL_E10value_typeEmT1_T2_, .Lfunc_end1889-_ZN7rocprim17ROCPRIM_400000_NS6detail30init_device_scan_by_key_kernelINS1_19lookback_scan_stateINS0_5tupleIJ11FixedVectorIiLj1EEbEEELb1ELb1EEEN6thrust23THRUST_200600_302600_NS6detail15normal_iteratorINSA_10device_ptrIjEEEEjNS1_16block_id_wrapperIjLb0EEEEEvT_jjPNSI_10value_typeET0_PNSt15iterator_traitsISL_E10value_typeEmT1_T2_
                                        ; -- End function
	.section	.AMDGPU.csdata,"",@progbits
; Kernel info:
; codeLenInByte = 544
; NumSgprs: 26
; NumVgprs: 10
; NumAgprs: 0
; TotalNumVgprs: 10
; ScratchSize: 0
; MemoryBound: 0
; FloatMode: 240
; IeeeMode: 1
; LDSByteSize: 0 bytes/workgroup (compile time only)
; SGPRBlocks: 3
; VGPRBlocks: 1
; NumSGPRsForWavesPerEU: 26
; NumVGPRsForWavesPerEU: 10
; AccumOffset: 12
; Occupancy: 8
; WaveLimiterHint : 0
; COMPUTE_PGM_RSRC2:SCRATCH_EN: 0
; COMPUTE_PGM_RSRC2:USER_SGPR: 2
; COMPUTE_PGM_RSRC2:TRAP_HANDLER: 0
; COMPUTE_PGM_RSRC2:TGID_X_EN: 1
; COMPUTE_PGM_RSRC2:TGID_Y_EN: 0
; COMPUTE_PGM_RSRC2:TGID_Z_EN: 0
; COMPUTE_PGM_RSRC2:TIDIG_COMP_CNT: 0
; COMPUTE_PGM_RSRC3_GFX90A:ACCUM_OFFSET: 2
; COMPUTE_PGM_RSRC3_GFX90A:TG_SPLIT: 0
	.section	.text._ZN7rocprim17ROCPRIM_400000_NS6detail30init_device_scan_by_key_kernelINS1_19lookback_scan_stateINS0_5tupleIJ11FixedVectorIiLj1EEbEEELb1ELb1EEENS1_16block_id_wrapperIjLb0EEEEEvT_jjPNSB_10value_typeET0_,"axG",@progbits,_ZN7rocprim17ROCPRIM_400000_NS6detail30init_device_scan_by_key_kernelINS1_19lookback_scan_stateINS0_5tupleIJ11FixedVectorIiLj1EEbEEELb1ELb1EEENS1_16block_id_wrapperIjLb0EEEEEvT_jjPNSB_10value_typeET0_,comdat
	.protected	_ZN7rocprim17ROCPRIM_400000_NS6detail30init_device_scan_by_key_kernelINS1_19lookback_scan_stateINS0_5tupleIJ11FixedVectorIiLj1EEbEEELb1ELb1EEENS1_16block_id_wrapperIjLb0EEEEEvT_jjPNSB_10value_typeET0_ ; -- Begin function _ZN7rocprim17ROCPRIM_400000_NS6detail30init_device_scan_by_key_kernelINS1_19lookback_scan_stateINS0_5tupleIJ11FixedVectorIiLj1EEbEEELb1ELb1EEENS1_16block_id_wrapperIjLb0EEEEEvT_jjPNSB_10value_typeET0_
	.globl	_ZN7rocprim17ROCPRIM_400000_NS6detail30init_device_scan_by_key_kernelINS1_19lookback_scan_stateINS0_5tupleIJ11FixedVectorIiLj1EEbEEELb1ELb1EEENS1_16block_id_wrapperIjLb0EEEEEvT_jjPNSB_10value_typeET0_
	.p2align	8
	.type	_ZN7rocprim17ROCPRIM_400000_NS6detail30init_device_scan_by_key_kernelINS1_19lookback_scan_stateINS0_5tupleIJ11FixedVectorIiLj1EEbEEELb1ELb1EEENS1_16block_id_wrapperIjLb0EEEEEvT_jjPNSB_10value_typeET0_,@function
_ZN7rocprim17ROCPRIM_400000_NS6detail30init_device_scan_by_key_kernelINS1_19lookback_scan_stateINS0_5tupleIJ11FixedVectorIiLj1EEbEEELb1ELb1EEENS1_16block_id_wrapperIjLb0EEEEEvT_jjPNSB_10value_typeET0_: ; @_ZN7rocprim17ROCPRIM_400000_NS6detail30init_device_scan_by_key_kernelINS1_19lookback_scan_stateINS0_5tupleIJ11FixedVectorIiLj1EEbEEELb1ELb1EEENS1_16block_id_wrapperIjLb0EEEEEvT_jjPNSB_10value_typeET0_
; %bb.0:
	s_load_dword s3, s[0:1], 0x2c
	s_load_dwordx2 s[8:9], s[0:1], 0x10
	s_load_dwordx4 s[4:7], s[0:1], 0x0
	s_waitcnt lgkmcnt(0)
	s_and_b32 s0, s3, 0xffff
	s_mul_i32 s2, s2, s0
	s_cmp_eq_u64 s[8:9], 0
	v_add_u32_e32 v0, s2, v0
	s_cbranch_scc1 .LBB1890_10
; %bb.1:
	s_cmp_lt_u32 s7, s6
	s_cselect_b32 s0, s7, 0
	s_mov_b32 s3, 0
	v_cmp_eq_u32_e32 vcc, s0, v0
	s_and_saveexec_b64 s[0:1], vcc
	s_cbranch_execz .LBB1890_9
; %bb.2:
	s_add_i32 s2, s7, 64
	s_lshl_b64 s[2:3], s[2:3], 4
	s_add_u32 s12, s4, s2
	s_addc_u32 s13, s5, s3
	v_mov_b64_e32 v[2:3], s[12:13]
	;;#ASMSTART
	global_load_dwordx4 v[2:5], v[2:3] off sc1	
s_waitcnt vmcnt(0)
	;;#ASMEND
	v_mov_b32_e32 v7, 0
	v_and_b32_e32 v6, 0xff, v4
	s_mov_b64 s[10:11], 0
	v_cmp_eq_u64_e32 vcc, 0, v[6:7]
	s_and_saveexec_b64 s[2:3], vcc
	s_cbranch_execz .LBB1890_8
; %bb.3:
	s_mov_b32 s7, 1
	v_mov_b64_e32 v[8:9], s[12:13]
.LBB1890_4:                             ; =>This Loop Header: Depth=1
                                        ;     Child Loop BB1890_5 Depth 2
	s_max_u32 s12, s7, 1
.LBB1890_5:                             ;   Parent Loop BB1890_4 Depth=1
                                        ; =>  This Inner Loop Header: Depth=2
	s_add_i32 s12, s12, -1
	s_cmp_eq_u32 s12, 0
	s_sleep 1
	s_cbranch_scc0 .LBB1890_5
; %bb.6:                                ;   in Loop: Header=BB1890_4 Depth=1
	s_cmp_lt_u32 s7, 32
	s_cselect_b64 s[12:13], -1, 0
	s_cmp_lg_u64 s[12:13], 0
	;;#ASMSTART
	global_load_dwordx4 v[2:5], v[8:9] off sc1	
s_waitcnt vmcnt(0)
	;;#ASMEND
	s_addc_u32 s7, s7, 0
	v_and_b32_e32 v6, 0xff, v4
	v_cmp_ne_u64_e32 vcc, 0, v[6:7]
	s_or_b64 s[10:11], vcc, s[10:11]
	s_andn2_b64 exec, exec, s[10:11]
	s_cbranch_execnz .LBB1890_4
; %bb.7:
	s_or_b64 exec, exec, s[10:11]
.LBB1890_8:
	s_or_b64 exec, exec, s[2:3]
	v_mov_b32_e32 v1, 0
	global_store_dword v1, v2, s[8:9]
	global_store_byte v1, v3, s[8:9] offset:4
.LBB1890_9:
	s_or_b64 exec, exec, s[0:1]
.LBB1890_10:
	v_cmp_gt_u32_e32 vcc, s6, v0
	s_and_saveexec_b64 s[0:1], vcc
	s_cbranch_execnz .LBB1890_13
; %bb.11:
	s_or_b64 exec, exec, s[0:1]
	v_cmp_gt_u32_e32 vcc, 64, v0
	s_and_saveexec_b64 s[0:1], vcc
	s_cbranch_execnz .LBB1890_14
.LBB1890_12:
	s_endpgm
.LBB1890_13:
	v_add_u32_e32 v2, 64, v0
	v_mov_b32_e32 v3, 0
	v_lshl_add_u64 v[6:7], v[2:3], 4, s[4:5]
	v_mov_b32_e32 v2, v3
	v_mov_b32_e32 v4, v3
	;; [unrolled: 1-line block ×3, first 2 shown]
	global_store_dwordx4 v[6:7], v[2:5], off
	s_or_b64 exec, exec, s[0:1]
	v_cmp_gt_u32_e32 vcc, 64, v0
	s_and_saveexec_b64 s[0:1], vcc
	s_cbranch_execz .LBB1890_12
.LBB1890_14:
	v_mov_b32_e32 v1, 0
	v_lshl_add_u64 v[4:5], v[0:1], 4, s[4:5]
	v_mov_b32_e32 v2, 0xff
	v_mov_b32_e32 v0, v1
	;; [unrolled: 1-line block ×3, first 2 shown]
	global_store_dwordx4 v[4:5], v[0:3], off
	s_endpgm
	.section	.rodata,"a",@progbits
	.p2align	6, 0x0
	.amdhsa_kernel _ZN7rocprim17ROCPRIM_400000_NS6detail30init_device_scan_by_key_kernelINS1_19lookback_scan_stateINS0_5tupleIJ11FixedVectorIiLj1EEbEEELb1ELb1EEENS1_16block_id_wrapperIjLb0EEEEEvT_jjPNSB_10value_typeET0_
		.amdhsa_group_segment_fixed_size 0
		.amdhsa_private_segment_fixed_size 0
		.amdhsa_kernarg_size 288
		.amdhsa_user_sgpr_count 2
		.amdhsa_user_sgpr_dispatch_ptr 0
		.amdhsa_user_sgpr_queue_ptr 0
		.amdhsa_user_sgpr_kernarg_segment_ptr 1
		.amdhsa_user_sgpr_dispatch_id 0
		.amdhsa_user_sgpr_kernarg_preload_length 0
		.amdhsa_user_sgpr_kernarg_preload_offset 0
		.amdhsa_user_sgpr_private_segment_size 0
		.amdhsa_uses_dynamic_stack 0
		.amdhsa_enable_private_segment 0
		.amdhsa_system_sgpr_workgroup_id_x 1
		.amdhsa_system_sgpr_workgroup_id_y 0
		.amdhsa_system_sgpr_workgroup_id_z 0
		.amdhsa_system_sgpr_workgroup_info 0
		.amdhsa_system_vgpr_workitem_id 0
		.amdhsa_next_free_vgpr 10
		.amdhsa_next_free_sgpr 14
		.amdhsa_accum_offset 12
		.amdhsa_reserve_vcc 1
		.amdhsa_float_round_mode_32 0
		.amdhsa_float_round_mode_16_64 0
		.amdhsa_float_denorm_mode_32 3
		.amdhsa_float_denorm_mode_16_64 3
		.amdhsa_dx10_clamp 1
		.amdhsa_ieee_mode 1
		.amdhsa_fp16_overflow 0
		.amdhsa_tg_split 0
		.amdhsa_exception_fp_ieee_invalid_op 0
		.amdhsa_exception_fp_denorm_src 0
		.amdhsa_exception_fp_ieee_div_zero 0
		.amdhsa_exception_fp_ieee_overflow 0
		.amdhsa_exception_fp_ieee_underflow 0
		.amdhsa_exception_fp_ieee_inexact 0
		.amdhsa_exception_int_div_zero 0
	.end_amdhsa_kernel
	.section	.text._ZN7rocprim17ROCPRIM_400000_NS6detail30init_device_scan_by_key_kernelINS1_19lookback_scan_stateINS0_5tupleIJ11FixedVectorIiLj1EEbEEELb1ELb1EEENS1_16block_id_wrapperIjLb0EEEEEvT_jjPNSB_10value_typeET0_,"axG",@progbits,_ZN7rocprim17ROCPRIM_400000_NS6detail30init_device_scan_by_key_kernelINS1_19lookback_scan_stateINS0_5tupleIJ11FixedVectorIiLj1EEbEEELb1ELb1EEENS1_16block_id_wrapperIjLb0EEEEEvT_jjPNSB_10value_typeET0_,comdat
.Lfunc_end1890:
	.size	_ZN7rocprim17ROCPRIM_400000_NS6detail30init_device_scan_by_key_kernelINS1_19lookback_scan_stateINS0_5tupleIJ11FixedVectorIiLj1EEbEEELb1ELb1EEENS1_16block_id_wrapperIjLb0EEEEEvT_jjPNSB_10value_typeET0_, .Lfunc_end1890-_ZN7rocprim17ROCPRIM_400000_NS6detail30init_device_scan_by_key_kernelINS1_19lookback_scan_stateINS0_5tupleIJ11FixedVectorIiLj1EEbEEELb1ELb1EEENS1_16block_id_wrapperIjLb0EEEEEvT_jjPNSB_10value_typeET0_
                                        ; -- End function
	.section	.AMDGPU.csdata,"",@progbits
; Kernel info:
; codeLenInByte = 380
; NumSgprs: 20
; NumVgprs: 10
; NumAgprs: 0
; TotalNumVgprs: 10
; ScratchSize: 0
; MemoryBound: 0
; FloatMode: 240
; IeeeMode: 1
; LDSByteSize: 0 bytes/workgroup (compile time only)
; SGPRBlocks: 2
; VGPRBlocks: 1
; NumSGPRsForWavesPerEU: 20
; NumVGPRsForWavesPerEU: 10
; AccumOffset: 12
; Occupancy: 8
; WaveLimiterHint : 0
; COMPUTE_PGM_RSRC2:SCRATCH_EN: 0
; COMPUTE_PGM_RSRC2:USER_SGPR: 2
; COMPUTE_PGM_RSRC2:TRAP_HANDLER: 0
; COMPUTE_PGM_RSRC2:TGID_X_EN: 1
; COMPUTE_PGM_RSRC2:TGID_Y_EN: 0
; COMPUTE_PGM_RSRC2:TGID_Z_EN: 0
; COMPUTE_PGM_RSRC2:TIDIG_COMP_CNT: 0
; COMPUTE_PGM_RSRC3_GFX90A:ACCUM_OFFSET: 2
; COMPUTE_PGM_RSRC3_GFX90A:TG_SPLIT: 0
	.section	.text._ZN7rocprim17ROCPRIM_400000_NS6detail17trampoline_kernelINS0_14default_configENS1_27scan_by_key_config_selectorIj11FixedVectorIiLj1EEEEZZNS1_16scan_by_key_implILNS1_25lookback_scan_determinismE0ELb0ES3_N6thrust23THRUST_200600_302600_NS6detail15normal_iteratorINSB_10device_ptrIjEEEENSD_INSE_IS6_EEEESI_S6_NSB_4plusIvEENSB_8equal_toIvEES6_EE10hipError_tPvRmT2_T3_T4_T5_mT6_T7_P12ihipStream_tbENKUlT_T0_E_clISt17integral_constantIbLb1EES12_IbLb0EEEEDaSY_SZ_EUlSY_E_NS1_11comp_targetILNS1_3genE0ELNS1_11target_archE4294967295ELNS1_3gpuE0ELNS1_3repE0EEENS1_30default_config_static_selectorELNS0_4arch9wavefront6targetE1EEEvT1_,"axG",@progbits,_ZN7rocprim17ROCPRIM_400000_NS6detail17trampoline_kernelINS0_14default_configENS1_27scan_by_key_config_selectorIj11FixedVectorIiLj1EEEEZZNS1_16scan_by_key_implILNS1_25lookback_scan_determinismE0ELb0ES3_N6thrust23THRUST_200600_302600_NS6detail15normal_iteratorINSB_10device_ptrIjEEEENSD_INSE_IS6_EEEESI_S6_NSB_4plusIvEENSB_8equal_toIvEES6_EE10hipError_tPvRmT2_T3_T4_T5_mT6_T7_P12ihipStream_tbENKUlT_T0_E_clISt17integral_constantIbLb1EES12_IbLb0EEEEDaSY_SZ_EUlSY_E_NS1_11comp_targetILNS1_3genE0ELNS1_11target_archE4294967295ELNS1_3gpuE0ELNS1_3repE0EEENS1_30default_config_static_selectorELNS0_4arch9wavefront6targetE1EEEvT1_,comdat
	.protected	_ZN7rocprim17ROCPRIM_400000_NS6detail17trampoline_kernelINS0_14default_configENS1_27scan_by_key_config_selectorIj11FixedVectorIiLj1EEEEZZNS1_16scan_by_key_implILNS1_25lookback_scan_determinismE0ELb0ES3_N6thrust23THRUST_200600_302600_NS6detail15normal_iteratorINSB_10device_ptrIjEEEENSD_INSE_IS6_EEEESI_S6_NSB_4plusIvEENSB_8equal_toIvEES6_EE10hipError_tPvRmT2_T3_T4_T5_mT6_T7_P12ihipStream_tbENKUlT_T0_E_clISt17integral_constantIbLb1EES12_IbLb0EEEEDaSY_SZ_EUlSY_E_NS1_11comp_targetILNS1_3genE0ELNS1_11target_archE4294967295ELNS1_3gpuE0ELNS1_3repE0EEENS1_30default_config_static_selectorELNS0_4arch9wavefront6targetE1EEEvT1_ ; -- Begin function _ZN7rocprim17ROCPRIM_400000_NS6detail17trampoline_kernelINS0_14default_configENS1_27scan_by_key_config_selectorIj11FixedVectorIiLj1EEEEZZNS1_16scan_by_key_implILNS1_25lookback_scan_determinismE0ELb0ES3_N6thrust23THRUST_200600_302600_NS6detail15normal_iteratorINSB_10device_ptrIjEEEENSD_INSE_IS6_EEEESI_S6_NSB_4plusIvEENSB_8equal_toIvEES6_EE10hipError_tPvRmT2_T3_T4_T5_mT6_T7_P12ihipStream_tbENKUlT_T0_E_clISt17integral_constantIbLb1EES12_IbLb0EEEEDaSY_SZ_EUlSY_E_NS1_11comp_targetILNS1_3genE0ELNS1_11target_archE4294967295ELNS1_3gpuE0ELNS1_3repE0EEENS1_30default_config_static_selectorELNS0_4arch9wavefront6targetE1EEEvT1_
	.globl	_ZN7rocprim17ROCPRIM_400000_NS6detail17trampoline_kernelINS0_14default_configENS1_27scan_by_key_config_selectorIj11FixedVectorIiLj1EEEEZZNS1_16scan_by_key_implILNS1_25lookback_scan_determinismE0ELb0ES3_N6thrust23THRUST_200600_302600_NS6detail15normal_iteratorINSB_10device_ptrIjEEEENSD_INSE_IS6_EEEESI_S6_NSB_4plusIvEENSB_8equal_toIvEES6_EE10hipError_tPvRmT2_T3_T4_T5_mT6_T7_P12ihipStream_tbENKUlT_T0_E_clISt17integral_constantIbLb1EES12_IbLb0EEEEDaSY_SZ_EUlSY_E_NS1_11comp_targetILNS1_3genE0ELNS1_11target_archE4294967295ELNS1_3gpuE0ELNS1_3repE0EEENS1_30default_config_static_selectorELNS0_4arch9wavefront6targetE1EEEvT1_
	.p2align	8
	.type	_ZN7rocprim17ROCPRIM_400000_NS6detail17trampoline_kernelINS0_14default_configENS1_27scan_by_key_config_selectorIj11FixedVectorIiLj1EEEEZZNS1_16scan_by_key_implILNS1_25lookback_scan_determinismE0ELb0ES3_N6thrust23THRUST_200600_302600_NS6detail15normal_iteratorINSB_10device_ptrIjEEEENSD_INSE_IS6_EEEESI_S6_NSB_4plusIvEENSB_8equal_toIvEES6_EE10hipError_tPvRmT2_T3_T4_T5_mT6_T7_P12ihipStream_tbENKUlT_T0_E_clISt17integral_constantIbLb1EES12_IbLb0EEEEDaSY_SZ_EUlSY_E_NS1_11comp_targetILNS1_3genE0ELNS1_11target_archE4294967295ELNS1_3gpuE0ELNS1_3repE0EEENS1_30default_config_static_selectorELNS0_4arch9wavefront6targetE1EEEvT1_,@function
_ZN7rocprim17ROCPRIM_400000_NS6detail17trampoline_kernelINS0_14default_configENS1_27scan_by_key_config_selectorIj11FixedVectorIiLj1EEEEZZNS1_16scan_by_key_implILNS1_25lookback_scan_determinismE0ELb0ES3_N6thrust23THRUST_200600_302600_NS6detail15normal_iteratorINSB_10device_ptrIjEEEENSD_INSE_IS6_EEEESI_S6_NSB_4plusIvEENSB_8equal_toIvEES6_EE10hipError_tPvRmT2_T3_T4_T5_mT6_T7_P12ihipStream_tbENKUlT_T0_E_clISt17integral_constantIbLb1EES12_IbLb0EEEEDaSY_SZ_EUlSY_E_NS1_11comp_targetILNS1_3genE0ELNS1_11target_archE4294967295ELNS1_3gpuE0ELNS1_3repE0EEENS1_30default_config_static_selectorELNS0_4arch9wavefront6targetE1EEEvT1_: ; @_ZN7rocprim17ROCPRIM_400000_NS6detail17trampoline_kernelINS0_14default_configENS1_27scan_by_key_config_selectorIj11FixedVectorIiLj1EEEEZZNS1_16scan_by_key_implILNS1_25lookback_scan_determinismE0ELb0ES3_N6thrust23THRUST_200600_302600_NS6detail15normal_iteratorINSB_10device_ptrIjEEEENSD_INSE_IS6_EEEESI_S6_NSB_4plusIvEENSB_8equal_toIvEES6_EE10hipError_tPvRmT2_T3_T4_T5_mT6_T7_P12ihipStream_tbENKUlT_T0_E_clISt17integral_constantIbLb1EES12_IbLb0EEEEDaSY_SZ_EUlSY_E_NS1_11comp_targetILNS1_3genE0ELNS1_11target_archE4294967295ELNS1_3gpuE0ELNS1_3repE0EEENS1_30default_config_static_selectorELNS0_4arch9wavefront6targetE1EEEvT1_
; %bb.0:
	.section	.rodata,"a",@progbits
	.p2align	6, 0x0
	.amdhsa_kernel _ZN7rocprim17ROCPRIM_400000_NS6detail17trampoline_kernelINS0_14default_configENS1_27scan_by_key_config_selectorIj11FixedVectorIiLj1EEEEZZNS1_16scan_by_key_implILNS1_25lookback_scan_determinismE0ELb0ES3_N6thrust23THRUST_200600_302600_NS6detail15normal_iteratorINSB_10device_ptrIjEEEENSD_INSE_IS6_EEEESI_S6_NSB_4plusIvEENSB_8equal_toIvEES6_EE10hipError_tPvRmT2_T3_T4_T5_mT6_T7_P12ihipStream_tbENKUlT_T0_E_clISt17integral_constantIbLb1EES12_IbLb0EEEEDaSY_SZ_EUlSY_E_NS1_11comp_targetILNS1_3genE0ELNS1_11target_archE4294967295ELNS1_3gpuE0ELNS1_3repE0EEENS1_30default_config_static_selectorELNS0_4arch9wavefront6targetE1EEEvT1_
		.amdhsa_group_segment_fixed_size 0
		.amdhsa_private_segment_fixed_size 0
		.amdhsa_kernarg_size 112
		.amdhsa_user_sgpr_count 2
		.amdhsa_user_sgpr_dispatch_ptr 0
		.amdhsa_user_sgpr_queue_ptr 0
		.amdhsa_user_sgpr_kernarg_segment_ptr 1
		.amdhsa_user_sgpr_dispatch_id 0
		.amdhsa_user_sgpr_kernarg_preload_length 0
		.amdhsa_user_sgpr_kernarg_preload_offset 0
		.amdhsa_user_sgpr_private_segment_size 0
		.amdhsa_uses_dynamic_stack 0
		.amdhsa_enable_private_segment 0
		.amdhsa_system_sgpr_workgroup_id_x 1
		.amdhsa_system_sgpr_workgroup_id_y 0
		.amdhsa_system_sgpr_workgroup_id_z 0
		.amdhsa_system_sgpr_workgroup_info 0
		.amdhsa_system_vgpr_workitem_id 0
		.amdhsa_next_free_vgpr 1
		.amdhsa_next_free_sgpr 0
		.amdhsa_accum_offset 4
		.amdhsa_reserve_vcc 0
		.amdhsa_float_round_mode_32 0
		.amdhsa_float_round_mode_16_64 0
		.amdhsa_float_denorm_mode_32 3
		.amdhsa_float_denorm_mode_16_64 3
		.amdhsa_dx10_clamp 1
		.amdhsa_ieee_mode 1
		.amdhsa_fp16_overflow 0
		.amdhsa_tg_split 0
		.amdhsa_exception_fp_ieee_invalid_op 0
		.amdhsa_exception_fp_denorm_src 0
		.amdhsa_exception_fp_ieee_div_zero 0
		.amdhsa_exception_fp_ieee_overflow 0
		.amdhsa_exception_fp_ieee_underflow 0
		.amdhsa_exception_fp_ieee_inexact 0
		.amdhsa_exception_int_div_zero 0
	.end_amdhsa_kernel
	.section	.text._ZN7rocprim17ROCPRIM_400000_NS6detail17trampoline_kernelINS0_14default_configENS1_27scan_by_key_config_selectorIj11FixedVectorIiLj1EEEEZZNS1_16scan_by_key_implILNS1_25lookback_scan_determinismE0ELb0ES3_N6thrust23THRUST_200600_302600_NS6detail15normal_iteratorINSB_10device_ptrIjEEEENSD_INSE_IS6_EEEESI_S6_NSB_4plusIvEENSB_8equal_toIvEES6_EE10hipError_tPvRmT2_T3_T4_T5_mT6_T7_P12ihipStream_tbENKUlT_T0_E_clISt17integral_constantIbLb1EES12_IbLb0EEEEDaSY_SZ_EUlSY_E_NS1_11comp_targetILNS1_3genE0ELNS1_11target_archE4294967295ELNS1_3gpuE0ELNS1_3repE0EEENS1_30default_config_static_selectorELNS0_4arch9wavefront6targetE1EEEvT1_,"axG",@progbits,_ZN7rocprim17ROCPRIM_400000_NS6detail17trampoline_kernelINS0_14default_configENS1_27scan_by_key_config_selectorIj11FixedVectorIiLj1EEEEZZNS1_16scan_by_key_implILNS1_25lookback_scan_determinismE0ELb0ES3_N6thrust23THRUST_200600_302600_NS6detail15normal_iteratorINSB_10device_ptrIjEEEENSD_INSE_IS6_EEEESI_S6_NSB_4plusIvEENSB_8equal_toIvEES6_EE10hipError_tPvRmT2_T3_T4_T5_mT6_T7_P12ihipStream_tbENKUlT_T0_E_clISt17integral_constantIbLb1EES12_IbLb0EEEEDaSY_SZ_EUlSY_E_NS1_11comp_targetILNS1_3genE0ELNS1_11target_archE4294967295ELNS1_3gpuE0ELNS1_3repE0EEENS1_30default_config_static_selectorELNS0_4arch9wavefront6targetE1EEEvT1_,comdat
.Lfunc_end1891:
	.size	_ZN7rocprim17ROCPRIM_400000_NS6detail17trampoline_kernelINS0_14default_configENS1_27scan_by_key_config_selectorIj11FixedVectorIiLj1EEEEZZNS1_16scan_by_key_implILNS1_25lookback_scan_determinismE0ELb0ES3_N6thrust23THRUST_200600_302600_NS6detail15normal_iteratorINSB_10device_ptrIjEEEENSD_INSE_IS6_EEEESI_S6_NSB_4plusIvEENSB_8equal_toIvEES6_EE10hipError_tPvRmT2_T3_T4_T5_mT6_T7_P12ihipStream_tbENKUlT_T0_E_clISt17integral_constantIbLb1EES12_IbLb0EEEEDaSY_SZ_EUlSY_E_NS1_11comp_targetILNS1_3genE0ELNS1_11target_archE4294967295ELNS1_3gpuE0ELNS1_3repE0EEENS1_30default_config_static_selectorELNS0_4arch9wavefront6targetE1EEEvT1_, .Lfunc_end1891-_ZN7rocprim17ROCPRIM_400000_NS6detail17trampoline_kernelINS0_14default_configENS1_27scan_by_key_config_selectorIj11FixedVectorIiLj1EEEEZZNS1_16scan_by_key_implILNS1_25lookback_scan_determinismE0ELb0ES3_N6thrust23THRUST_200600_302600_NS6detail15normal_iteratorINSB_10device_ptrIjEEEENSD_INSE_IS6_EEEESI_S6_NSB_4plusIvEENSB_8equal_toIvEES6_EE10hipError_tPvRmT2_T3_T4_T5_mT6_T7_P12ihipStream_tbENKUlT_T0_E_clISt17integral_constantIbLb1EES12_IbLb0EEEEDaSY_SZ_EUlSY_E_NS1_11comp_targetILNS1_3genE0ELNS1_11target_archE4294967295ELNS1_3gpuE0ELNS1_3repE0EEENS1_30default_config_static_selectorELNS0_4arch9wavefront6targetE1EEEvT1_
                                        ; -- End function
	.section	.AMDGPU.csdata,"",@progbits
; Kernel info:
; codeLenInByte = 0
; NumSgprs: 6
; NumVgprs: 0
; NumAgprs: 0
; TotalNumVgprs: 0
; ScratchSize: 0
; MemoryBound: 0
; FloatMode: 240
; IeeeMode: 1
; LDSByteSize: 0 bytes/workgroup (compile time only)
; SGPRBlocks: 0
; VGPRBlocks: 0
; NumSGPRsForWavesPerEU: 6
; NumVGPRsForWavesPerEU: 1
; AccumOffset: 4
; Occupancy: 8
; WaveLimiterHint : 0
; COMPUTE_PGM_RSRC2:SCRATCH_EN: 0
; COMPUTE_PGM_RSRC2:USER_SGPR: 2
; COMPUTE_PGM_RSRC2:TRAP_HANDLER: 0
; COMPUTE_PGM_RSRC2:TGID_X_EN: 1
; COMPUTE_PGM_RSRC2:TGID_Y_EN: 0
; COMPUTE_PGM_RSRC2:TGID_Z_EN: 0
; COMPUTE_PGM_RSRC2:TIDIG_COMP_CNT: 0
; COMPUTE_PGM_RSRC3_GFX90A:ACCUM_OFFSET: 0
; COMPUTE_PGM_RSRC3_GFX90A:TG_SPLIT: 0
	.section	.text._ZN7rocprim17ROCPRIM_400000_NS6detail17trampoline_kernelINS0_14default_configENS1_27scan_by_key_config_selectorIj11FixedVectorIiLj1EEEEZZNS1_16scan_by_key_implILNS1_25lookback_scan_determinismE0ELb0ES3_N6thrust23THRUST_200600_302600_NS6detail15normal_iteratorINSB_10device_ptrIjEEEENSD_INSE_IS6_EEEESI_S6_NSB_4plusIvEENSB_8equal_toIvEES6_EE10hipError_tPvRmT2_T3_T4_T5_mT6_T7_P12ihipStream_tbENKUlT_T0_E_clISt17integral_constantIbLb1EES12_IbLb0EEEEDaSY_SZ_EUlSY_E_NS1_11comp_targetILNS1_3genE10ELNS1_11target_archE1201ELNS1_3gpuE5ELNS1_3repE0EEENS1_30default_config_static_selectorELNS0_4arch9wavefront6targetE1EEEvT1_,"axG",@progbits,_ZN7rocprim17ROCPRIM_400000_NS6detail17trampoline_kernelINS0_14default_configENS1_27scan_by_key_config_selectorIj11FixedVectorIiLj1EEEEZZNS1_16scan_by_key_implILNS1_25lookback_scan_determinismE0ELb0ES3_N6thrust23THRUST_200600_302600_NS6detail15normal_iteratorINSB_10device_ptrIjEEEENSD_INSE_IS6_EEEESI_S6_NSB_4plusIvEENSB_8equal_toIvEES6_EE10hipError_tPvRmT2_T3_T4_T5_mT6_T7_P12ihipStream_tbENKUlT_T0_E_clISt17integral_constantIbLb1EES12_IbLb0EEEEDaSY_SZ_EUlSY_E_NS1_11comp_targetILNS1_3genE10ELNS1_11target_archE1201ELNS1_3gpuE5ELNS1_3repE0EEENS1_30default_config_static_selectorELNS0_4arch9wavefront6targetE1EEEvT1_,comdat
	.protected	_ZN7rocprim17ROCPRIM_400000_NS6detail17trampoline_kernelINS0_14default_configENS1_27scan_by_key_config_selectorIj11FixedVectorIiLj1EEEEZZNS1_16scan_by_key_implILNS1_25lookback_scan_determinismE0ELb0ES3_N6thrust23THRUST_200600_302600_NS6detail15normal_iteratorINSB_10device_ptrIjEEEENSD_INSE_IS6_EEEESI_S6_NSB_4plusIvEENSB_8equal_toIvEES6_EE10hipError_tPvRmT2_T3_T4_T5_mT6_T7_P12ihipStream_tbENKUlT_T0_E_clISt17integral_constantIbLb1EES12_IbLb0EEEEDaSY_SZ_EUlSY_E_NS1_11comp_targetILNS1_3genE10ELNS1_11target_archE1201ELNS1_3gpuE5ELNS1_3repE0EEENS1_30default_config_static_selectorELNS0_4arch9wavefront6targetE1EEEvT1_ ; -- Begin function _ZN7rocprim17ROCPRIM_400000_NS6detail17trampoline_kernelINS0_14default_configENS1_27scan_by_key_config_selectorIj11FixedVectorIiLj1EEEEZZNS1_16scan_by_key_implILNS1_25lookback_scan_determinismE0ELb0ES3_N6thrust23THRUST_200600_302600_NS6detail15normal_iteratorINSB_10device_ptrIjEEEENSD_INSE_IS6_EEEESI_S6_NSB_4plusIvEENSB_8equal_toIvEES6_EE10hipError_tPvRmT2_T3_T4_T5_mT6_T7_P12ihipStream_tbENKUlT_T0_E_clISt17integral_constantIbLb1EES12_IbLb0EEEEDaSY_SZ_EUlSY_E_NS1_11comp_targetILNS1_3genE10ELNS1_11target_archE1201ELNS1_3gpuE5ELNS1_3repE0EEENS1_30default_config_static_selectorELNS0_4arch9wavefront6targetE1EEEvT1_
	.globl	_ZN7rocprim17ROCPRIM_400000_NS6detail17trampoline_kernelINS0_14default_configENS1_27scan_by_key_config_selectorIj11FixedVectorIiLj1EEEEZZNS1_16scan_by_key_implILNS1_25lookback_scan_determinismE0ELb0ES3_N6thrust23THRUST_200600_302600_NS6detail15normal_iteratorINSB_10device_ptrIjEEEENSD_INSE_IS6_EEEESI_S6_NSB_4plusIvEENSB_8equal_toIvEES6_EE10hipError_tPvRmT2_T3_T4_T5_mT6_T7_P12ihipStream_tbENKUlT_T0_E_clISt17integral_constantIbLb1EES12_IbLb0EEEEDaSY_SZ_EUlSY_E_NS1_11comp_targetILNS1_3genE10ELNS1_11target_archE1201ELNS1_3gpuE5ELNS1_3repE0EEENS1_30default_config_static_selectorELNS0_4arch9wavefront6targetE1EEEvT1_
	.p2align	8
	.type	_ZN7rocprim17ROCPRIM_400000_NS6detail17trampoline_kernelINS0_14default_configENS1_27scan_by_key_config_selectorIj11FixedVectorIiLj1EEEEZZNS1_16scan_by_key_implILNS1_25lookback_scan_determinismE0ELb0ES3_N6thrust23THRUST_200600_302600_NS6detail15normal_iteratorINSB_10device_ptrIjEEEENSD_INSE_IS6_EEEESI_S6_NSB_4plusIvEENSB_8equal_toIvEES6_EE10hipError_tPvRmT2_T3_T4_T5_mT6_T7_P12ihipStream_tbENKUlT_T0_E_clISt17integral_constantIbLb1EES12_IbLb0EEEEDaSY_SZ_EUlSY_E_NS1_11comp_targetILNS1_3genE10ELNS1_11target_archE1201ELNS1_3gpuE5ELNS1_3repE0EEENS1_30default_config_static_selectorELNS0_4arch9wavefront6targetE1EEEvT1_,@function
_ZN7rocprim17ROCPRIM_400000_NS6detail17trampoline_kernelINS0_14default_configENS1_27scan_by_key_config_selectorIj11FixedVectorIiLj1EEEEZZNS1_16scan_by_key_implILNS1_25lookback_scan_determinismE0ELb0ES3_N6thrust23THRUST_200600_302600_NS6detail15normal_iteratorINSB_10device_ptrIjEEEENSD_INSE_IS6_EEEESI_S6_NSB_4plusIvEENSB_8equal_toIvEES6_EE10hipError_tPvRmT2_T3_T4_T5_mT6_T7_P12ihipStream_tbENKUlT_T0_E_clISt17integral_constantIbLb1EES12_IbLb0EEEEDaSY_SZ_EUlSY_E_NS1_11comp_targetILNS1_3genE10ELNS1_11target_archE1201ELNS1_3gpuE5ELNS1_3repE0EEENS1_30default_config_static_selectorELNS0_4arch9wavefront6targetE1EEEvT1_: ; @_ZN7rocprim17ROCPRIM_400000_NS6detail17trampoline_kernelINS0_14default_configENS1_27scan_by_key_config_selectorIj11FixedVectorIiLj1EEEEZZNS1_16scan_by_key_implILNS1_25lookback_scan_determinismE0ELb0ES3_N6thrust23THRUST_200600_302600_NS6detail15normal_iteratorINSB_10device_ptrIjEEEENSD_INSE_IS6_EEEESI_S6_NSB_4plusIvEENSB_8equal_toIvEES6_EE10hipError_tPvRmT2_T3_T4_T5_mT6_T7_P12ihipStream_tbENKUlT_T0_E_clISt17integral_constantIbLb1EES12_IbLb0EEEEDaSY_SZ_EUlSY_E_NS1_11comp_targetILNS1_3genE10ELNS1_11target_archE1201ELNS1_3gpuE5ELNS1_3repE0EEENS1_30default_config_static_selectorELNS0_4arch9wavefront6targetE1EEEvT1_
; %bb.0:
	.section	.rodata,"a",@progbits
	.p2align	6, 0x0
	.amdhsa_kernel _ZN7rocprim17ROCPRIM_400000_NS6detail17trampoline_kernelINS0_14default_configENS1_27scan_by_key_config_selectorIj11FixedVectorIiLj1EEEEZZNS1_16scan_by_key_implILNS1_25lookback_scan_determinismE0ELb0ES3_N6thrust23THRUST_200600_302600_NS6detail15normal_iteratorINSB_10device_ptrIjEEEENSD_INSE_IS6_EEEESI_S6_NSB_4plusIvEENSB_8equal_toIvEES6_EE10hipError_tPvRmT2_T3_T4_T5_mT6_T7_P12ihipStream_tbENKUlT_T0_E_clISt17integral_constantIbLb1EES12_IbLb0EEEEDaSY_SZ_EUlSY_E_NS1_11comp_targetILNS1_3genE10ELNS1_11target_archE1201ELNS1_3gpuE5ELNS1_3repE0EEENS1_30default_config_static_selectorELNS0_4arch9wavefront6targetE1EEEvT1_
		.amdhsa_group_segment_fixed_size 0
		.amdhsa_private_segment_fixed_size 0
		.amdhsa_kernarg_size 112
		.amdhsa_user_sgpr_count 2
		.amdhsa_user_sgpr_dispatch_ptr 0
		.amdhsa_user_sgpr_queue_ptr 0
		.amdhsa_user_sgpr_kernarg_segment_ptr 1
		.amdhsa_user_sgpr_dispatch_id 0
		.amdhsa_user_sgpr_kernarg_preload_length 0
		.amdhsa_user_sgpr_kernarg_preload_offset 0
		.amdhsa_user_sgpr_private_segment_size 0
		.amdhsa_uses_dynamic_stack 0
		.amdhsa_enable_private_segment 0
		.amdhsa_system_sgpr_workgroup_id_x 1
		.amdhsa_system_sgpr_workgroup_id_y 0
		.amdhsa_system_sgpr_workgroup_id_z 0
		.amdhsa_system_sgpr_workgroup_info 0
		.amdhsa_system_vgpr_workitem_id 0
		.amdhsa_next_free_vgpr 1
		.amdhsa_next_free_sgpr 0
		.amdhsa_accum_offset 4
		.amdhsa_reserve_vcc 0
		.amdhsa_float_round_mode_32 0
		.amdhsa_float_round_mode_16_64 0
		.amdhsa_float_denorm_mode_32 3
		.amdhsa_float_denorm_mode_16_64 3
		.amdhsa_dx10_clamp 1
		.amdhsa_ieee_mode 1
		.amdhsa_fp16_overflow 0
		.amdhsa_tg_split 0
		.amdhsa_exception_fp_ieee_invalid_op 0
		.amdhsa_exception_fp_denorm_src 0
		.amdhsa_exception_fp_ieee_div_zero 0
		.amdhsa_exception_fp_ieee_overflow 0
		.amdhsa_exception_fp_ieee_underflow 0
		.amdhsa_exception_fp_ieee_inexact 0
		.amdhsa_exception_int_div_zero 0
	.end_amdhsa_kernel
	.section	.text._ZN7rocprim17ROCPRIM_400000_NS6detail17trampoline_kernelINS0_14default_configENS1_27scan_by_key_config_selectorIj11FixedVectorIiLj1EEEEZZNS1_16scan_by_key_implILNS1_25lookback_scan_determinismE0ELb0ES3_N6thrust23THRUST_200600_302600_NS6detail15normal_iteratorINSB_10device_ptrIjEEEENSD_INSE_IS6_EEEESI_S6_NSB_4plusIvEENSB_8equal_toIvEES6_EE10hipError_tPvRmT2_T3_T4_T5_mT6_T7_P12ihipStream_tbENKUlT_T0_E_clISt17integral_constantIbLb1EES12_IbLb0EEEEDaSY_SZ_EUlSY_E_NS1_11comp_targetILNS1_3genE10ELNS1_11target_archE1201ELNS1_3gpuE5ELNS1_3repE0EEENS1_30default_config_static_selectorELNS0_4arch9wavefront6targetE1EEEvT1_,"axG",@progbits,_ZN7rocprim17ROCPRIM_400000_NS6detail17trampoline_kernelINS0_14default_configENS1_27scan_by_key_config_selectorIj11FixedVectorIiLj1EEEEZZNS1_16scan_by_key_implILNS1_25lookback_scan_determinismE0ELb0ES3_N6thrust23THRUST_200600_302600_NS6detail15normal_iteratorINSB_10device_ptrIjEEEENSD_INSE_IS6_EEEESI_S6_NSB_4plusIvEENSB_8equal_toIvEES6_EE10hipError_tPvRmT2_T3_T4_T5_mT6_T7_P12ihipStream_tbENKUlT_T0_E_clISt17integral_constantIbLb1EES12_IbLb0EEEEDaSY_SZ_EUlSY_E_NS1_11comp_targetILNS1_3genE10ELNS1_11target_archE1201ELNS1_3gpuE5ELNS1_3repE0EEENS1_30default_config_static_selectorELNS0_4arch9wavefront6targetE1EEEvT1_,comdat
.Lfunc_end1892:
	.size	_ZN7rocprim17ROCPRIM_400000_NS6detail17trampoline_kernelINS0_14default_configENS1_27scan_by_key_config_selectorIj11FixedVectorIiLj1EEEEZZNS1_16scan_by_key_implILNS1_25lookback_scan_determinismE0ELb0ES3_N6thrust23THRUST_200600_302600_NS6detail15normal_iteratorINSB_10device_ptrIjEEEENSD_INSE_IS6_EEEESI_S6_NSB_4plusIvEENSB_8equal_toIvEES6_EE10hipError_tPvRmT2_T3_T4_T5_mT6_T7_P12ihipStream_tbENKUlT_T0_E_clISt17integral_constantIbLb1EES12_IbLb0EEEEDaSY_SZ_EUlSY_E_NS1_11comp_targetILNS1_3genE10ELNS1_11target_archE1201ELNS1_3gpuE5ELNS1_3repE0EEENS1_30default_config_static_selectorELNS0_4arch9wavefront6targetE1EEEvT1_, .Lfunc_end1892-_ZN7rocprim17ROCPRIM_400000_NS6detail17trampoline_kernelINS0_14default_configENS1_27scan_by_key_config_selectorIj11FixedVectorIiLj1EEEEZZNS1_16scan_by_key_implILNS1_25lookback_scan_determinismE0ELb0ES3_N6thrust23THRUST_200600_302600_NS6detail15normal_iteratorINSB_10device_ptrIjEEEENSD_INSE_IS6_EEEESI_S6_NSB_4plusIvEENSB_8equal_toIvEES6_EE10hipError_tPvRmT2_T3_T4_T5_mT6_T7_P12ihipStream_tbENKUlT_T0_E_clISt17integral_constantIbLb1EES12_IbLb0EEEEDaSY_SZ_EUlSY_E_NS1_11comp_targetILNS1_3genE10ELNS1_11target_archE1201ELNS1_3gpuE5ELNS1_3repE0EEENS1_30default_config_static_selectorELNS0_4arch9wavefront6targetE1EEEvT1_
                                        ; -- End function
	.section	.AMDGPU.csdata,"",@progbits
; Kernel info:
; codeLenInByte = 0
; NumSgprs: 6
; NumVgprs: 0
; NumAgprs: 0
; TotalNumVgprs: 0
; ScratchSize: 0
; MemoryBound: 0
; FloatMode: 240
; IeeeMode: 1
; LDSByteSize: 0 bytes/workgroup (compile time only)
; SGPRBlocks: 0
; VGPRBlocks: 0
; NumSGPRsForWavesPerEU: 6
; NumVGPRsForWavesPerEU: 1
; AccumOffset: 4
; Occupancy: 8
; WaveLimiterHint : 0
; COMPUTE_PGM_RSRC2:SCRATCH_EN: 0
; COMPUTE_PGM_RSRC2:USER_SGPR: 2
; COMPUTE_PGM_RSRC2:TRAP_HANDLER: 0
; COMPUTE_PGM_RSRC2:TGID_X_EN: 1
; COMPUTE_PGM_RSRC2:TGID_Y_EN: 0
; COMPUTE_PGM_RSRC2:TGID_Z_EN: 0
; COMPUTE_PGM_RSRC2:TIDIG_COMP_CNT: 0
; COMPUTE_PGM_RSRC3_GFX90A:ACCUM_OFFSET: 0
; COMPUTE_PGM_RSRC3_GFX90A:TG_SPLIT: 0
	.section	.text._ZN7rocprim17ROCPRIM_400000_NS6detail17trampoline_kernelINS0_14default_configENS1_27scan_by_key_config_selectorIj11FixedVectorIiLj1EEEEZZNS1_16scan_by_key_implILNS1_25lookback_scan_determinismE0ELb0ES3_N6thrust23THRUST_200600_302600_NS6detail15normal_iteratorINSB_10device_ptrIjEEEENSD_INSE_IS6_EEEESI_S6_NSB_4plusIvEENSB_8equal_toIvEES6_EE10hipError_tPvRmT2_T3_T4_T5_mT6_T7_P12ihipStream_tbENKUlT_T0_E_clISt17integral_constantIbLb1EES12_IbLb0EEEEDaSY_SZ_EUlSY_E_NS1_11comp_targetILNS1_3genE5ELNS1_11target_archE942ELNS1_3gpuE9ELNS1_3repE0EEENS1_30default_config_static_selectorELNS0_4arch9wavefront6targetE1EEEvT1_,"axG",@progbits,_ZN7rocprim17ROCPRIM_400000_NS6detail17trampoline_kernelINS0_14default_configENS1_27scan_by_key_config_selectorIj11FixedVectorIiLj1EEEEZZNS1_16scan_by_key_implILNS1_25lookback_scan_determinismE0ELb0ES3_N6thrust23THRUST_200600_302600_NS6detail15normal_iteratorINSB_10device_ptrIjEEEENSD_INSE_IS6_EEEESI_S6_NSB_4plusIvEENSB_8equal_toIvEES6_EE10hipError_tPvRmT2_T3_T4_T5_mT6_T7_P12ihipStream_tbENKUlT_T0_E_clISt17integral_constantIbLb1EES12_IbLb0EEEEDaSY_SZ_EUlSY_E_NS1_11comp_targetILNS1_3genE5ELNS1_11target_archE942ELNS1_3gpuE9ELNS1_3repE0EEENS1_30default_config_static_selectorELNS0_4arch9wavefront6targetE1EEEvT1_,comdat
	.protected	_ZN7rocprim17ROCPRIM_400000_NS6detail17trampoline_kernelINS0_14default_configENS1_27scan_by_key_config_selectorIj11FixedVectorIiLj1EEEEZZNS1_16scan_by_key_implILNS1_25lookback_scan_determinismE0ELb0ES3_N6thrust23THRUST_200600_302600_NS6detail15normal_iteratorINSB_10device_ptrIjEEEENSD_INSE_IS6_EEEESI_S6_NSB_4plusIvEENSB_8equal_toIvEES6_EE10hipError_tPvRmT2_T3_T4_T5_mT6_T7_P12ihipStream_tbENKUlT_T0_E_clISt17integral_constantIbLb1EES12_IbLb0EEEEDaSY_SZ_EUlSY_E_NS1_11comp_targetILNS1_3genE5ELNS1_11target_archE942ELNS1_3gpuE9ELNS1_3repE0EEENS1_30default_config_static_selectorELNS0_4arch9wavefront6targetE1EEEvT1_ ; -- Begin function _ZN7rocprim17ROCPRIM_400000_NS6detail17trampoline_kernelINS0_14default_configENS1_27scan_by_key_config_selectorIj11FixedVectorIiLj1EEEEZZNS1_16scan_by_key_implILNS1_25lookback_scan_determinismE0ELb0ES3_N6thrust23THRUST_200600_302600_NS6detail15normal_iteratorINSB_10device_ptrIjEEEENSD_INSE_IS6_EEEESI_S6_NSB_4plusIvEENSB_8equal_toIvEES6_EE10hipError_tPvRmT2_T3_T4_T5_mT6_T7_P12ihipStream_tbENKUlT_T0_E_clISt17integral_constantIbLb1EES12_IbLb0EEEEDaSY_SZ_EUlSY_E_NS1_11comp_targetILNS1_3genE5ELNS1_11target_archE942ELNS1_3gpuE9ELNS1_3repE0EEENS1_30default_config_static_selectorELNS0_4arch9wavefront6targetE1EEEvT1_
	.globl	_ZN7rocprim17ROCPRIM_400000_NS6detail17trampoline_kernelINS0_14default_configENS1_27scan_by_key_config_selectorIj11FixedVectorIiLj1EEEEZZNS1_16scan_by_key_implILNS1_25lookback_scan_determinismE0ELb0ES3_N6thrust23THRUST_200600_302600_NS6detail15normal_iteratorINSB_10device_ptrIjEEEENSD_INSE_IS6_EEEESI_S6_NSB_4plusIvEENSB_8equal_toIvEES6_EE10hipError_tPvRmT2_T3_T4_T5_mT6_T7_P12ihipStream_tbENKUlT_T0_E_clISt17integral_constantIbLb1EES12_IbLb0EEEEDaSY_SZ_EUlSY_E_NS1_11comp_targetILNS1_3genE5ELNS1_11target_archE942ELNS1_3gpuE9ELNS1_3repE0EEENS1_30default_config_static_selectorELNS0_4arch9wavefront6targetE1EEEvT1_
	.p2align	8
	.type	_ZN7rocprim17ROCPRIM_400000_NS6detail17trampoline_kernelINS0_14default_configENS1_27scan_by_key_config_selectorIj11FixedVectorIiLj1EEEEZZNS1_16scan_by_key_implILNS1_25lookback_scan_determinismE0ELb0ES3_N6thrust23THRUST_200600_302600_NS6detail15normal_iteratorINSB_10device_ptrIjEEEENSD_INSE_IS6_EEEESI_S6_NSB_4plusIvEENSB_8equal_toIvEES6_EE10hipError_tPvRmT2_T3_T4_T5_mT6_T7_P12ihipStream_tbENKUlT_T0_E_clISt17integral_constantIbLb1EES12_IbLb0EEEEDaSY_SZ_EUlSY_E_NS1_11comp_targetILNS1_3genE5ELNS1_11target_archE942ELNS1_3gpuE9ELNS1_3repE0EEENS1_30default_config_static_selectorELNS0_4arch9wavefront6targetE1EEEvT1_,@function
_ZN7rocprim17ROCPRIM_400000_NS6detail17trampoline_kernelINS0_14default_configENS1_27scan_by_key_config_selectorIj11FixedVectorIiLj1EEEEZZNS1_16scan_by_key_implILNS1_25lookback_scan_determinismE0ELb0ES3_N6thrust23THRUST_200600_302600_NS6detail15normal_iteratorINSB_10device_ptrIjEEEENSD_INSE_IS6_EEEESI_S6_NSB_4plusIvEENSB_8equal_toIvEES6_EE10hipError_tPvRmT2_T3_T4_T5_mT6_T7_P12ihipStream_tbENKUlT_T0_E_clISt17integral_constantIbLb1EES12_IbLb0EEEEDaSY_SZ_EUlSY_E_NS1_11comp_targetILNS1_3genE5ELNS1_11target_archE942ELNS1_3gpuE9ELNS1_3repE0EEENS1_30default_config_static_selectorELNS0_4arch9wavefront6targetE1EEEvT1_: ; @_ZN7rocprim17ROCPRIM_400000_NS6detail17trampoline_kernelINS0_14default_configENS1_27scan_by_key_config_selectorIj11FixedVectorIiLj1EEEEZZNS1_16scan_by_key_implILNS1_25lookback_scan_determinismE0ELb0ES3_N6thrust23THRUST_200600_302600_NS6detail15normal_iteratorINSB_10device_ptrIjEEEENSD_INSE_IS6_EEEESI_S6_NSB_4plusIvEENSB_8equal_toIvEES6_EE10hipError_tPvRmT2_T3_T4_T5_mT6_T7_P12ihipStream_tbENKUlT_T0_E_clISt17integral_constantIbLb1EES12_IbLb0EEEEDaSY_SZ_EUlSY_E_NS1_11comp_targetILNS1_3genE5ELNS1_11target_archE942ELNS1_3gpuE9ELNS1_3repE0EEENS1_30default_config_static_selectorELNS0_4arch9wavefront6targetE1EEEvT1_
; %bb.0:
	s_load_dwordx8 s[52:59], s[0:1], 0x0
	s_load_dwordx4 s[68:71], s[0:1], 0x28
	s_load_dwordx2 s[74:75], s[0:1], 0x38
	s_load_dword s3, s[0:1], 0x40
	s_load_dwordx8 s[60:67], s[0:1], 0x48
	s_waitcnt lgkmcnt(0)
	s_lshl_b64 s[72:73], s[54:55], 2
	s_add_u32 s4, s52, s72
	s_addc_u32 s5, s53, s73
	s_add_u32 s6, s56, s72
	s_mul_i32 s0, s75, s3
	s_mul_hi_u32 s1, s74, s3
	s_addc_u32 s7, s57, s73
	s_add_i32 s8, s1, s0
	s_cmp_lg_u64 s[64:65], 0
	s_mul_i32 s0, s2, 0x1700
	s_mov_b32 s1, 0
	s_cselect_b64 s[64:65], -1, 0
	s_lshl_b64 s[56:57], s[0:1], 2
	s_add_u32 s54, s4, s56
	s_addc_u32 s55, s5, s57
	s_add_u32 s52, s6, s56
	s_mul_i32 s3, s74, s3
	s_addc_u32 s53, s7, s57
	s_add_u32 s76, s3, s2
	s_addc_u32 s77, s8, 0
	s_add_u32 s4, s60, -1
	s_addc_u32 s5, s61, -1
	v_mov_b64_e32 v[2:3], s[4:5]
	v_cmp_ge_u64_e64 s[0:1], s[76:77], v[2:3]
	s_mov_b64 s[10:11], 0
	s_mov_b64 s[6:7], -1
	s_and_b64 vcc, exec, s[0:1]
	s_mul_i32 s33, s4, 0xffffe900
	s_barrier
	s_cbranch_vccz .LBB1893_142
; %bb.1:
	v_mov_b64_e32 v[2:3], s[54:55]
	flat_load_dword v1, v[2:3]
	s_add_i32 s3, s33, s70
	v_cmp_gt_u32_e64 s[50:51], s3, v0
	s_waitcnt vmcnt(0) lgkmcnt(0)
	v_mov_b32_e32 v3, v1
	s_and_saveexec_b64 s[4:5], s[50:51]
	s_cbranch_execz .LBB1893_3
; %bb.2:
	v_lshlrev_b32_e32 v2, 2, v0
	v_mov_b32_e32 v3, 0
	v_lshl_add_u64 v[2:3], s[54:55], 0, v[2:3]
	flat_load_dword v3, v[2:3]
.LBB1893_3:
	s_or_b64 exec, exec, s[4:5]
	v_or_b32_e32 v2, 0x100, v0
	v_cmp_gt_u32_e64 s[4:5], s3, v2
	v_mov_b32_e32 v4, v1
	s_and_saveexec_b64 s[6:7], s[4:5]
	s_cbranch_execz .LBB1893_5
; %bb.4:
	v_lshlrev_b32_e32 v4, 2, v0
	v_mov_b32_e32 v5, 0
	v_lshl_add_u64 v[4:5], s[54:55], 0, v[4:5]
	flat_load_dword v4, v[4:5] offset:1024
.LBB1893_5:
	s_or_b64 exec, exec, s[6:7]
	v_or_b32_e32 v2, 0x200, v0
	v_cmp_gt_u32_e64 s[6:7], s3, v2
	v_mov_b32_e32 v5, v1
	s_and_saveexec_b64 s[8:9], s[6:7]
	s_cbranch_execz .LBB1893_7
; %bb.6:
	v_lshlrev_b32_e32 v6, 2, v0
	v_mov_b32_e32 v7, 0
	v_lshl_add_u64 v[6:7], s[54:55], 0, v[6:7]
	flat_load_dword v5, v[6:7] offset:2048
.LBB1893_7:
	;; [unrolled: 12-line block ×3, first 2 shown]
	s_or_b64 exec, exec, s[10:11]
	v_or_b32_e32 v10, 0x400, v0
	v_cmp_gt_u32_e64 s[10:11], s3, v10
	v_mov_b32_e32 v7, v1
	s_and_saveexec_b64 s[12:13], s[10:11]
	s_cbranch_execz .LBB1893_11
; %bb.10:
	v_lshlrev_b32_e32 v8, 2, v10
	v_mov_b32_e32 v9, 0
	v_lshl_add_u64 v[8:9], s[54:55], 0, v[8:9]
	flat_load_dword v7, v[8:9]
.LBB1893_11:
	s_or_b64 exec, exec, s[12:13]
	v_or_b32_e32 v11, 0x500, v0
	v_cmp_gt_u32_e64 s[12:13], s3, v11
	v_mov_b32_e32 v8, v1
	s_and_saveexec_b64 s[14:15], s[12:13]
	s_cbranch_execz .LBB1893_13
; %bb.12:
	v_lshlrev_b32_e32 v8, 2, v11
	v_mov_b32_e32 v9, 0
	v_lshl_add_u64 v[8:9], s[54:55], 0, v[8:9]
	flat_load_dword v8, v[8:9]
.LBB1893_13:
	s_or_b64 exec, exec, s[14:15]
	v_or_b32_e32 v12, 0x600, v0
	v_cmp_gt_u32_e64 s[14:15], s3, v12
	v_mov_b32_e32 v9, v1
	s_and_saveexec_b64 s[16:17], s[14:15]
	s_cbranch_execz .LBB1893_15
; %bb.14:
	v_lshlrev_b32_e32 v14, 2, v12
	v_mov_b32_e32 v15, 0
	v_lshl_add_u64 v[14:15], s[54:55], 0, v[14:15]
	flat_load_dword v9, v[14:15]
.LBB1893_15:
	s_or_b64 exec, exec, s[16:17]
	v_or_b32_e32 v13, 0x700, v0
	v_cmp_gt_u32_e64 s[16:17], s3, v13
	v_mov_b32_e32 v29, v1
	s_and_saveexec_b64 s[18:19], s[16:17]
	s_cbranch_execz .LBB1893_17
; %bb.16:
	v_lshlrev_b32_e32 v14, 2, v13
	v_mov_b32_e32 v15, 0
	v_lshl_add_u64 v[14:15], s[54:55], 0, v[14:15]
	flat_load_dword v29, v[14:15]
.LBB1893_17:
	s_or_b64 exec, exec, s[18:19]
	v_or_b32_e32 v14, 0x800, v0
	v_cmp_gt_u32_e64 s[18:19], s3, v14
	v_mov_b32_e32 v30, v1
	s_and_saveexec_b64 s[20:21], s[18:19]
	s_cbranch_execz .LBB1893_19
; %bb.18:
	v_lshlrev_b32_e32 v16, 2, v14
	v_mov_b32_e32 v17, 0
	v_lshl_add_u64 v[16:17], s[54:55], 0, v[16:17]
	flat_load_dword v30, v[16:17]
.LBB1893_19:
	s_or_b64 exec, exec, s[20:21]
	v_or_b32_e32 v15, 0x900, v0
	v_cmp_gt_u32_e64 s[20:21], s3, v15
	v_mov_b32_e32 v31, v1
	s_and_saveexec_b64 s[22:23], s[20:21]
	s_cbranch_execz .LBB1893_21
; %bb.20:
	v_lshlrev_b32_e32 v16, 2, v15
	v_mov_b32_e32 v17, 0
	v_lshl_add_u64 v[16:17], s[54:55], 0, v[16:17]
	flat_load_dword v31, v[16:17]
.LBB1893_21:
	s_or_b64 exec, exec, s[22:23]
	v_or_b32_e32 v16, 0xa00, v0
	v_cmp_gt_u32_e64 s[22:23], s3, v16
	v_mov_b32_e32 v32, v1
	s_and_saveexec_b64 s[24:25], s[22:23]
	s_cbranch_execz .LBB1893_23
; %bb.22:
	v_lshlrev_b32_e32 v18, 2, v16
	v_mov_b32_e32 v19, 0
	v_lshl_add_u64 v[18:19], s[54:55], 0, v[18:19]
	flat_load_dword v32, v[18:19]
.LBB1893_23:
	s_or_b64 exec, exec, s[24:25]
	v_or_b32_e32 v17, 0xb00, v0
	v_cmp_gt_u32_e64 s[24:25], s3, v17
	v_mov_b32_e32 v33, v1
	s_and_saveexec_b64 s[26:27], s[24:25]
	s_cbranch_execz .LBB1893_25
; %bb.24:
	v_lshlrev_b32_e32 v18, 2, v17
	v_mov_b32_e32 v19, 0
	v_lshl_add_u64 v[18:19], s[54:55], 0, v[18:19]
	flat_load_dword v33, v[18:19]
.LBB1893_25:
	s_or_b64 exec, exec, s[26:27]
	v_or_b32_e32 v18, 0xc00, v0
	v_cmp_gt_u32_e64 s[26:27], s3, v18
	v_mov_b32_e32 v34, v1
	s_and_saveexec_b64 s[28:29], s[26:27]
	s_cbranch_execz .LBB1893_27
; %bb.26:
	v_lshlrev_b32_e32 v20, 2, v18
	v_mov_b32_e32 v21, 0
	v_lshl_add_u64 v[20:21], s[54:55], 0, v[20:21]
	flat_load_dword v34, v[20:21]
.LBB1893_27:
	s_or_b64 exec, exec, s[28:29]
	v_or_b32_e32 v19, 0xd00, v0
	v_cmp_gt_u32_e64 s[28:29], s3, v19
	v_mov_b32_e32 v35, v1
	s_and_saveexec_b64 s[30:31], s[28:29]
	s_cbranch_execz .LBB1893_29
; %bb.28:
	v_lshlrev_b32_e32 v20, 2, v19
	v_mov_b32_e32 v21, 0
	v_lshl_add_u64 v[20:21], s[54:55], 0, v[20:21]
	flat_load_dword v35, v[20:21]
.LBB1893_29:
	s_or_b64 exec, exec, s[30:31]
	v_or_b32_e32 v20, 0xe00, v0
	v_cmp_gt_u32_e64 s[30:31], s3, v20
	v_mov_b32_e32 v36, v1
	s_and_saveexec_b64 s[34:35], s[30:31]
	s_cbranch_execz .LBB1893_31
; %bb.30:
	v_lshlrev_b32_e32 v22, 2, v20
	v_mov_b32_e32 v23, 0
	v_lshl_add_u64 v[22:23], s[54:55], 0, v[22:23]
	flat_load_dword v36, v[22:23]
.LBB1893_31:
	s_or_b64 exec, exec, s[34:35]
	v_or_b32_e32 v21, 0xf00, v0
	v_cmp_gt_u32_e64 s[34:35], s3, v21
	v_mov_b32_e32 v37, v1
	s_and_saveexec_b64 s[36:37], s[34:35]
	s_cbranch_execz .LBB1893_33
; %bb.32:
	v_lshlrev_b32_e32 v22, 2, v21
	v_mov_b32_e32 v23, 0
	v_lshl_add_u64 v[22:23], s[54:55], 0, v[22:23]
	flat_load_dword v37, v[22:23]
.LBB1893_33:
	s_or_b64 exec, exec, s[36:37]
	v_or_b32_e32 v22, 0x1000, v0
	v_cmp_gt_u32_e64 s[36:37], s3, v22
	v_mov_b32_e32 v38, v1
	s_and_saveexec_b64 s[38:39], s[36:37]
	s_cbranch_execz .LBB1893_35
; %bb.34:
	v_lshlrev_b32_e32 v24, 2, v22
	v_mov_b32_e32 v25, 0
	v_lshl_add_u64 v[24:25], s[54:55], 0, v[24:25]
	flat_load_dword v38, v[24:25]
.LBB1893_35:
	s_or_b64 exec, exec, s[38:39]
	v_or_b32_e32 v23, 0x1100, v0
	v_cmp_gt_u32_e64 s[38:39], s3, v23
	v_mov_b32_e32 v39, v1
	s_and_saveexec_b64 s[40:41], s[38:39]
	s_cbranch_execz .LBB1893_37
; %bb.36:
	v_lshlrev_b32_e32 v24, 2, v23
	v_mov_b32_e32 v25, 0
	v_lshl_add_u64 v[24:25], s[54:55], 0, v[24:25]
	flat_load_dword v39, v[24:25]
.LBB1893_37:
	s_or_b64 exec, exec, s[40:41]
	v_or_b32_e32 v24, 0x1200, v0
	v_cmp_gt_u32_e64 s[40:41], s3, v24
	v_mov_b32_e32 v40, v1
	s_and_saveexec_b64 s[42:43], s[40:41]
	s_cbranch_execz .LBB1893_39
; %bb.38:
	v_lshlrev_b32_e32 v26, 2, v24
	v_mov_b32_e32 v27, 0
	v_lshl_add_u64 v[26:27], s[54:55], 0, v[26:27]
	flat_load_dword v40, v[26:27]
.LBB1893_39:
	s_or_b64 exec, exec, s[42:43]
	v_or_b32_e32 v25, 0x1300, v0
	v_cmp_gt_u32_e64 s[42:43], s3, v25
	v_mov_b32_e32 v41, v1
	s_and_saveexec_b64 s[44:45], s[42:43]
	s_cbranch_execz .LBB1893_41
; %bb.40:
	v_lshlrev_b32_e32 v26, 2, v25
	v_mov_b32_e32 v27, 0
	v_lshl_add_u64 v[26:27], s[54:55], 0, v[26:27]
	flat_load_dword v41, v[26:27]
.LBB1893_41:
	s_or_b64 exec, exec, s[44:45]
	v_or_b32_e32 v26, 0x1400, v0
	v_cmp_gt_u32_e64 s[44:45], s3, v26
	v_mov_b32_e32 v42, v1
	s_and_saveexec_b64 s[46:47], s[44:45]
	s_cbranch_execz .LBB1893_43
; %bb.42:
	v_lshlrev_b32_e32 v42, 2, v26
	v_mov_b32_e32 v43, 0
	v_lshl_add_u64 v[42:43], s[54:55], 0, v[42:43]
	flat_load_dword v42, v[42:43]
.LBB1893_43:
	s_or_b64 exec, exec, s[46:47]
	v_or_b32_e32 v27, 0x1500, v0
	v_cmp_gt_u32_e64 s[46:47], s3, v27
	v_mov_b32_e32 v43, v1
	s_and_saveexec_b64 s[48:49], s[46:47]
	s_cbranch_execz .LBB1893_45
; %bb.44:
	v_lshlrev_b32_e32 v44, 2, v27
	v_mov_b32_e32 v45, 0
	v_lshl_add_u64 v[44:45], s[54:55], 0, v[44:45]
	flat_load_dword v43, v[44:45]
.LBB1893_45:
	s_or_b64 exec, exec, s[48:49]
	v_or_b32_e32 v28, 0x1600, v0
	v_cmp_gt_u32_e64 s[48:49], s3, v28
	s_and_saveexec_b64 s[60:61], s[48:49]
	s_cbranch_execz .LBB1893_47
; %bb.46:
	v_lshlrev_b32_e32 v44, 2, v28
	v_mov_b32_e32 v45, 0
	v_lshl_add_u64 v[44:45], s[54:55], 0, v[44:45]
	flat_load_dword v1, v[44:45]
.LBB1893_47:
	s_or_b64 exec, exec, s[60:61]
	v_lshlrev_b32_e32 v2, 2, v0
	s_movk_i32 s60, 0x58
	s_waitcnt vmcnt(0) lgkmcnt(0)
	ds_write2st64_b32 v2, v3, v4 offset1:4
	ds_write2st64_b32 v2, v5, v6 offset0:8 offset1:12
	ds_write2st64_b32 v2, v7, v8 offset0:16 offset1:20
	;; [unrolled: 1-line block ×10, first 2 shown]
	ds_write_b32 v2, v1 offset:22528
	v_mad_u32_u24 v1, v0, s60, v2
	s_waitcnt lgkmcnt(0)
	s_barrier
	ds_read2_b32 v[68:69], v1 offset1:1
	ds_read2_b32 v[66:67], v1 offset0:2 offset1:3
	ds_read2_b32 v[64:65], v1 offset0:4 offset1:5
	;; [unrolled: 1-line block ×10, first 2 shown]
	ds_read_b32 v72, v1 offset:88
	s_cmp_eq_u64 s[76:77], 0
	s_mov_b64 s[60:61], s[54:55]
	s_cbranch_scc1 .LBB1893_51
; %bb.48:
	s_andn2_b64 vcc, exec, s[64:65]
	s_cbranch_vccnz .LBB1893_309
; %bb.49:
	s_lshl_b64 s[60:61], s[76:77], 2
	s_add_u32 s60, s66, s60
	s_addc_u32 s61, s67, s61
	s_add_u32 s60, s60, -4
	s_addc_u32 s61, s61, -1
	s_cbranch_execnz .LBB1893_51
.LBB1893_50:
	s_add_u32 s60, s54, -4
	s_addc_u32 s61, s55, -1
.LBB1893_51:
	v_mov_b64_e32 v[30:31], s[60:61]
	flat_load_dword v70, v[30:31]
	s_movk_i32 s60, 0xffa8
	v_mad_i32_i24 v3, v0, s60, v1
	v_cmp_ne_u32_e32 vcc, 0, v0
	s_waitcnt lgkmcnt(0)
	ds_write_b32 v3, v72 offset:23552
	s_waitcnt lgkmcnt(0)
	s_barrier
	s_and_saveexec_b64 s[60:61], vcc
	s_cbranch_execz .LBB1893_53
; %bb.52:
	v_mul_i32_i24_e32 v3, 0xffffffa8, v0
	v_add_u32_e32 v3, v1, v3
	s_waitcnt vmcnt(0)
	ds_read_b32 v70, v3 offset:23548
.LBB1893_53:
	s_or_b64 exec, exec, s[60:61]
	v_mov_b32_e32 v29, 0
	v_mov_b32_e32 v30, 0
	s_waitcnt lgkmcnt(0)
	s_barrier
	s_and_saveexec_b64 s[60:61], s[50:51]
	s_cbranch_execz .LBB1893_55
; %bb.54:
	v_mov_b32_e32 v3, 0
	v_lshl_add_u64 v[30:31], s[52:53], 0, v[2:3]
	flat_load_dword v30, v[30:31]
.LBB1893_55:
	s_or_b64 exec, exec, s[60:61]
	s_and_saveexec_b64 s[50:51], s[4:5]
	s_cbranch_execz .LBB1893_57
; %bb.56:
	v_mov_b32_e32 v3, 0
	v_lshl_add_u64 v[32:33], s[52:53], 0, v[2:3]
	flat_load_dword v29, v[32:33] offset:1024
.LBB1893_57:
	s_or_b64 exec, exec, s[50:51]
	v_mov_b32_e32 v31, 0
	v_mov_b32_e32 v32, 0
	s_and_saveexec_b64 s[4:5], s[6:7]
	s_cbranch_execz .LBB1893_59
; %bb.58:
	v_mov_b32_e32 v3, 0
	v_lshl_add_u64 v[32:33], s[52:53], 0, v[2:3]
	flat_load_dword v32, v[32:33] offset:2048
.LBB1893_59:
	s_or_b64 exec, exec, s[4:5]
	s_and_saveexec_b64 s[4:5], s[8:9]
	s_cbranch_execz .LBB1893_61
; %bb.60:
	v_mov_b32_e32 v3, 0
	v_lshl_add_u64 v[34:35], s[52:53], 0, v[2:3]
	flat_load_dword v31, v[34:35] offset:3072
.LBB1893_61:
	s_or_b64 exec, exec, s[4:5]
	v_mov_b32_e32 v3, 0
	v_mov_b32_e32 v33, 0
	s_and_saveexec_b64 s[4:5], s[10:11]
	s_cbranch_execz .LBB1893_63
; %bb.62:
	v_lshlrev_b32_e32 v34, 2, v10
	v_mov_b32_e32 v35, 0
	v_lshl_add_u64 v[34:35], s[52:53], 0, v[34:35]
	flat_load_dword v33, v[34:35]
.LBB1893_63:
	s_or_b64 exec, exec, s[4:5]
	s_and_saveexec_b64 s[4:5], s[12:13]
	s_cbranch_execz .LBB1893_65
; %bb.64:
	v_lshlrev_b32_e32 v10, 2, v11
	v_mov_b32_e32 v11, 0
	v_lshl_add_u64 v[10:11], s[52:53], 0, v[10:11]
	flat_load_dword v3, v[10:11]
.LBB1893_65:
	s_or_b64 exec, exec, s[4:5]
	v_mov_b32_e32 v10, 0
	v_mov_b32_e32 v11, 0
	s_and_saveexec_b64 s[4:5], s[14:15]
	s_cbranch_execz .LBB1893_67
; %bb.66:
	v_lshlrev_b32_e32 v34, 2, v12
	v_mov_b32_e32 v35, 0
	v_lshl_add_u64 v[34:35], s[52:53], 0, v[34:35]
	flat_load_dword v11, v[34:35]
.LBB1893_67:
	s_or_b64 exec, exec, s[4:5]
	s_and_saveexec_b64 s[4:5], s[16:17]
	s_cbranch_execz .LBB1893_69
; %bb.68:
	v_lshlrev_b32_e32 v12, 2, v13
	v_mov_b32_e32 v13, 0
	v_lshl_add_u64 v[12:13], s[52:53], 0, v[12:13]
	flat_load_dword v10, v[12:13]
.LBB1893_69:
	;; [unrolled: 20-line block ×8, first 2 shown]
	s_or_b64 exec, exec, s[4:5]
	v_mov_b32_e32 v24, 0
	v_mov_b32_e32 v25, 0
	s_and_saveexec_b64 s[4:5], s[44:45]
	s_cbranch_execnz .LBB1893_305
; %bb.94:
	s_or_b64 exec, exec, s[4:5]
	s_and_saveexec_b64 s[4:5], s[46:47]
	s_cbranch_execnz .LBB1893_306
.LBB1893_95:
	s_or_b64 exec, exec, s[4:5]
	v_mov_b32_e32 v26, 0
	s_and_saveexec_b64 s[4:5], s[48:49]
	s_cbranch_execz .LBB1893_97
.LBB1893_96:
	v_lshlrev_b32_e32 v26, 2, v28
	v_mov_b32_e32 v27, 0
	v_lshl_add_u64 v[26:27], s[52:53], 0, v[26:27]
	flat_load_dword v26, v[26:27]
.LBB1893_97:
	s_or_b64 exec, exec, s[4:5]
	v_mul_u32_u24_e32 v73, 23, v0
	s_waitcnt vmcnt(0) lgkmcnt(0)
	ds_write2st64_b32 v2, v30, v29 offset1:4
	ds_write2st64_b32 v2, v32, v31 offset0:8 offset1:12
	ds_write2st64_b32 v2, v33, v3 offset0:16 offset1:20
	;; [unrolled: 1-line block ×10, first 2 shown]
	ds_write_b32 v2, v26 offset:22528
	v_mov_b64_e32 v[10:11], 0
	v_cmp_gt_u32_e32 vcc, s3, v73
	s_mov_b64 s[10:11], 0
	s_mov_b64 s[6:7], 0
	v_mov_b64_e32 v[12:13], v[10:11]
	v_mov_b64_e32 v[14:15], v[10:11]
	v_mov_b64_e32 v[16:17], v[10:11]
	v_mov_b64_e32 v[18:19], v[10:11]
	v_mov_b64_e32 v[20:21], v[10:11]
	v_mov_b64_e32 v[22:23], v[10:11]
	v_mov_b64_e32 v[24:25], v[10:11]
	v_mov_b64_e32 v[26:27], v[10:11]
	v_mov_b64_e32 v[28:29], v[10:11]
	v_mov_b64_e32 v[30:31], v[10:11]
	v_mov_b64_e32 v[32:33], v[10:11]
	v_mov_b64_e32 v[34:35], v[10:11]
	v_mov_b64_e32 v[36:37], v[10:11]
	v_mov_b64_e32 v[38:39], v[10:11]
	v_mov_b64_e32 v[40:41], v[10:11]
	v_mov_b64_e32 v[42:43], v[10:11]
	v_mov_b64_e32 v[44:45], v[10:11]
	v_mov_b64_e32 v[46:47], v[10:11]
	v_mov_b64_e32 v[48:49], v[10:11]
	v_mov_b64_e32 v[50:51], v[10:11]
	v_mov_b64_e32 v[54:55], v[10:11]
	s_waitcnt lgkmcnt(0)
	s_barrier
	s_waitcnt lgkmcnt(0)
                                        ; implicit-def: $sgpr4_sgpr5
                                        ; implicit-def: $vgpr3
	s_and_saveexec_b64 s[8:9], vcc
	s_cbranch_execz .LBB1893_141
; %bb.98:
	ds_read_b32 v10, v1
	v_add_u32_e32 v2, 1, v73
	v_cmp_ne_u32_e32 vcc, v70, v68
	v_mov_b64_e32 v[12:13], 0
	s_mov_b64 s[12:13], 0
	v_cndmask_b32_e64 v11, 0, 1, vcc
	v_cmp_gt_u32_e32 vcc, s3, v2
	s_mov_b64 s[4:5], 0
	v_mov_b64_e32 v[14:15], v[12:13]
	v_mov_b64_e32 v[16:17], v[12:13]
	;; [unrolled: 1-line block ×20, first 2 shown]
                                        ; implicit-def: $sgpr14_sgpr15
                                        ; implicit-def: $vgpr3
	s_and_saveexec_b64 s[10:11], vcc
	s_cbranch_execz .LBB1893_140
; %bb.99:
	ds_read2_b32 v[70:71], v1 offset0:1 offset1:2
	v_add_u32_e32 v2, 2, v73
	v_cmp_ne_u32_e32 vcc, v68, v69
	v_mov_b64_e32 v[14:15], 0
	s_mov_b64 s[16:17], 0
	v_cndmask_b32_e64 v13, 0, 1, vcc
	v_cmp_gt_u32_e32 vcc, s3, v2
	s_waitcnt lgkmcnt(0)
	v_mov_b32_e32 v12, v70
	v_mov_b64_e32 v[16:17], v[14:15]
	v_mov_b64_e32 v[18:19], v[14:15]
	;; [unrolled: 1-line block ×19, first 2 shown]
                                        ; implicit-def: $sgpr14_sgpr15
                                        ; implicit-def: $vgpr3
	s_and_saveexec_b64 s[12:13], vcc
	s_cbranch_execz .LBB1893_139
; %bb.100:
	v_add_u32_e32 v2, 3, v73
	v_cmp_ne_u32_e32 vcc, v69, v66
	v_mov_b64_e32 v[16:17], 0
	v_mov_b32_e32 v14, v71
	v_cndmask_b32_e64 v15, 0, 1, vcc
	v_cmp_gt_u32_e32 vcc, s3, v2
	v_mov_b64_e32 v[18:19], v[16:17]
	v_mov_b64_e32 v[20:21], v[16:17]
	;; [unrolled: 1-line block ×18, first 2 shown]
                                        ; implicit-def: $sgpr18_sgpr19
                                        ; implicit-def: $vgpr3
	s_and_saveexec_b64 s[14:15], vcc
	s_cbranch_execz .LBB1893_138
; %bb.101:
	ds_read2_b32 v[68:69], v1 offset0:3 offset1:4
	v_add_u32_e32 v2, 4, v73
	v_cmp_ne_u32_e32 vcc, v66, v67
	v_mov_b64_e32 v[18:19], 0
	s_mov_b64 s[20:21], 0
	v_cndmask_b32_e64 v17, 0, 1, vcc
	v_cmp_gt_u32_e32 vcc, s3, v2
	s_waitcnt lgkmcnt(0)
	v_mov_b32_e32 v16, v68
	v_mov_b64_e32 v[20:21], v[18:19]
	v_mov_b64_e32 v[22:23], v[18:19]
	;; [unrolled: 1-line block ×17, first 2 shown]
                                        ; implicit-def: $sgpr18_sgpr19
                                        ; implicit-def: $vgpr3
	s_and_saveexec_b64 s[16:17], vcc
	s_cbranch_execz .LBB1893_137
; %bb.102:
	v_add_u32_e32 v2, 5, v73
	v_cmp_ne_u32_e32 vcc, v67, v64
	v_mov_b64_e32 v[20:21], 0
	v_mov_b32_e32 v18, v69
	v_cndmask_b32_e64 v19, 0, 1, vcc
	v_cmp_gt_u32_e32 vcc, s3, v2
	v_mov_b64_e32 v[22:23], v[20:21]
	v_mov_b64_e32 v[24:25], v[20:21]
	;; [unrolled: 1-line block ×16, first 2 shown]
                                        ; implicit-def: $sgpr22_sgpr23
                                        ; implicit-def: $vgpr3
	s_and_saveexec_b64 s[18:19], vcc
	s_cbranch_execz .LBB1893_136
; %bb.103:
	ds_read2_b32 v[66:67], v1 offset0:5 offset1:6
	v_add_u32_e32 v2, 6, v73
	v_cmp_ne_u32_e32 vcc, v64, v65
	v_mov_b64_e32 v[22:23], 0
	s_mov_b64 s[24:25], 0
	v_cndmask_b32_e64 v21, 0, 1, vcc
	v_cmp_gt_u32_e32 vcc, s3, v2
	s_waitcnt lgkmcnt(0)
	v_mov_b32_e32 v20, v66
	v_mov_b64_e32 v[24:25], v[22:23]
	v_mov_b64_e32 v[26:27], v[22:23]
	;; [unrolled: 1-line block ×15, first 2 shown]
                                        ; implicit-def: $sgpr22_sgpr23
                                        ; implicit-def: $vgpr3
	s_and_saveexec_b64 s[20:21], vcc
	s_cbranch_execz .LBB1893_135
; %bb.104:
	v_add_u32_e32 v2, 7, v73
	v_cmp_ne_u32_e32 vcc, v65, v62
	v_mov_b64_e32 v[24:25], 0
	v_mov_b32_e32 v22, v67
	v_cndmask_b32_e64 v23, 0, 1, vcc
	v_cmp_gt_u32_e32 vcc, s3, v2
	v_mov_b64_e32 v[26:27], v[24:25]
	v_mov_b64_e32 v[28:29], v[24:25]
	;; [unrolled: 1-line block ×14, first 2 shown]
                                        ; implicit-def: $sgpr26_sgpr27
                                        ; implicit-def: $vgpr3
	s_and_saveexec_b64 s[22:23], vcc
	s_cbranch_execz .LBB1893_134
; %bb.105:
	ds_read2_b32 v[64:65], v1 offset0:7 offset1:8
	v_add_u32_e32 v2, 8, v73
	v_cmp_ne_u32_e32 vcc, v62, v63
	v_mov_b64_e32 v[26:27], 0
	s_mov_b64 s[28:29], 0
	v_cndmask_b32_e64 v25, 0, 1, vcc
	v_cmp_gt_u32_e32 vcc, s3, v2
	s_waitcnt lgkmcnt(0)
	v_mov_b32_e32 v24, v64
	v_mov_b64_e32 v[28:29], v[26:27]
	v_mov_b64_e32 v[30:31], v[26:27]
	;; [unrolled: 1-line block ×13, first 2 shown]
                                        ; implicit-def: $sgpr26_sgpr27
                                        ; implicit-def: $vgpr3
	s_and_saveexec_b64 s[24:25], vcc
	s_cbranch_execz .LBB1893_133
; %bb.106:
	v_add_u32_e32 v2, 9, v73
	v_cmp_ne_u32_e32 vcc, v63, v60
	v_mov_b64_e32 v[28:29], 0
	v_mov_b32_e32 v26, v65
	v_cndmask_b32_e64 v27, 0, 1, vcc
	v_cmp_gt_u32_e32 vcc, s3, v2
	v_mov_b64_e32 v[30:31], v[28:29]
	v_mov_b64_e32 v[32:33], v[28:29]
	;; [unrolled: 1-line block ×12, first 2 shown]
                                        ; implicit-def: $sgpr30_sgpr31
                                        ; implicit-def: $vgpr3
	s_and_saveexec_b64 s[26:27], vcc
	s_cbranch_execz .LBB1893_132
; %bb.107:
	ds_read2_b32 v[62:63], v1 offset0:9 offset1:10
	v_add_u32_e32 v2, 10, v73
	v_cmp_ne_u32_e32 vcc, v60, v61
	v_mov_b64_e32 v[30:31], 0
	s_mov_b64 s[34:35], 0
	v_cndmask_b32_e64 v29, 0, 1, vcc
	v_cmp_gt_u32_e32 vcc, s3, v2
	s_waitcnt lgkmcnt(0)
	v_mov_b32_e32 v28, v62
	v_mov_b64_e32 v[32:33], v[30:31]
	v_mov_b64_e32 v[34:35], v[30:31]
	;; [unrolled: 1-line block ×11, first 2 shown]
                                        ; implicit-def: $sgpr30_sgpr31
                                        ; implicit-def: $vgpr3
	s_and_saveexec_b64 s[28:29], vcc
	s_cbranch_execz .LBB1893_131
; %bb.108:
	v_add_u32_e32 v2, 11, v73
	v_cmp_ne_u32_e32 vcc, v61, v58
	v_mov_b64_e32 v[32:33], 0
	v_mov_b32_e32 v30, v63
	v_cndmask_b32_e64 v31, 0, 1, vcc
	v_cmp_gt_u32_e32 vcc, s3, v2
	v_mov_b64_e32 v[34:35], v[32:33]
	v_mov_b64_e32 v[36:37], v[32:33]
	;; [unrolled: 1-line block ×10, first 2 shown]
                                        ; implicit-def: $sgpr36_sgpr37
                                        ; implicit-def: $vgpr3
	s_and_saveexec_b64 s[30:31], vcc
	s_cbranch_execz .LBB1893_130
; %bb.109:
	ds_read2_b32 v[60:61], v1 offset0:11 offset1:12
	v_add_u32_e32 v2, 12, v73
	v_cmp_ne_u32_e32 vcc, v58, v59
	v_mov_b64_e32 v[34:35], 0
	s_mov_b64 s[38:39], 0
	v_cndmask_b32_e64 v33, 0, 1, vcc
	v_cmp_gt_u32_e32 vcc, s3, v2
	s_waitcnt lgkmcnt(0)
	v_mov_b32_e32 v32, v60
	v_mov_b64_e32 v[36:37], v[34:35]
	v_mov_b64_e32 v[38:39], v[34:35]
	;; [unrolled: 1-line block ×9, first 2 shown]
                                        ; implicit-def: $sgpr36_sgpr37
                                        ; implicit-def: $vgpr3
	s_and_saveexec_b64 s[34:35], vcc
	s_cbranch_execz .LBB1893_129
; %bb.110:
	v_add_u32_e32 v2, 13, v73
	v_cmp_ne_u32_e32 vcc, v59, v56
	v_mov_b64_e32 v[36:37], 0
	v_mov_b32_e32 v34, v61
	v_cndmask_b32_e64 v35, 0, 1, vcc
	v_cmp_gt_u32_e32 vcc, s3, v2
	v_mov_b64_e32 v[38:39], v[36:37]
	v_mov_b64_e32 v[40:41], v[36:37]
	;; [unrolled: 1-line block ×8, first 2 shown]
                                        ; implicit-def: $sgpr40_sgpr41
                                        ; implicit-def: $vgpr3
	s_and_saveexec_b64 s[36:37], vcc
	s_cbranch_execz .LBB1893_128
; %bb.111:
	ds_read2_b32 v[58:59], v1 offset0:13 offset1:14
	v_add_u32_e32 v2, 14, v73
	v_cmp_ne_u32_e32 vcc, v56, v57
	v_mov_b64_e32 v[38:39], 0
	s_mov_b64 s[42:43], 0
	v_cndmask_b32_e64 v37, 0, 1, vcc
	v_cmp_gt_u32_e32 vcc, s3, v2
	s_waitcnt lgkmcnt(0)
	v_mov_b32_e32 v36, v58
	v_mov_b64_e32 v[40:41], v[38:39]
	v_mov_b64_e32 v[42:43], v[38:39]
	;; [unrolled: 1-line block ×7, first 2 shown]
                                        ; implicit-def: $sgpr40_sgpr41
                                        ; implicit-def: $vgpr3
	s_and_saveexec_b64 s[38:39], vcc
	s_cbranch_execz .LBB1893_127
; %bb.112:
	v_add_u32_e32 v2, 15, v73
	v_cmp_ne_u32_e32 vcc, v57, v52
	v_mov_b64_e32 v[40:41], 0
	v_mov_b32_e32 v38, v59
	v_cndmask_b32_e64 v39, 0, 1, vcc
	v_cmp_gt_u32_e32 vcc, s3, v2
	v_mov_b64_e32 v[42:43], v[40:41]
	v_mov_b64_e32 v[44:45], v[40:41]
	;; [unrolled: 1-line block ×6, first 2 shown]
                                        ; implicit-def: $sgpr44_sgpr45
                                        ; implicit-def: $vgpr3
	s_and_saveexec_b64 s[40:41], vcc
	s_cbranch_execz .LBB1893_126
; %bb.113:
	ds_read2_b32 v[56:57], v1 offset0:15 offset1:16
	v_add_u32_e32 v2, 16, v73
	v_cmp_ne_u32_e32 vcc, v52, v53
	v_mov_b64_e32 v[42:43], 0
	s_mov_b64 s[46:47], 0
	v_cndmask_b32_e64 v41, 0, 1, vcc
	v_cmp_gt_u32_e32 vcc, s3, v2
	s_waitcnt lgkmcnt(0)
	v_mov_b32_e32 v40, v56
	v_mov_b64_e32 v[44:45], v[42:43]
	v_mov_b64_e32 v[46:47], v[42:43]
	;; [unrolled: 1-line block ×5, first 2 shown]
                                        ; implicit-def: $sgpr44_sgpr45
                                        ; implicit-def: $vgpr3
	s_and_saveexec_b64 s[42:43], vcc
	s_cbranch_execz .LBB1893_125
; %bb.114:
	v_add_u32_e32 v2, 17, v73
	v_cmp_ne_u32_e32 vcc, v53, v8
	v_mov_b64_e32 v[44:45], 0
	v_mov_b32_e32 v42, v57
	v_cndmask_b32_e64 v43, 0, 1, vcc
	v_cmp_gt_u32_e32 vcc, s3, v2
	v_mov_b64_e32 v[46:47], v[44:45]
	v_mov_b64_e32 v[48:49], v[44:45]
	;; [unrolled: 1-line block ×4, first 2 shown]
                                        ; implicit-def: $sgpr48_sgpr49
                                        ; implicit-def: $vgpr3
	s_and_saveexec_b64 s[44:45], vcc
	s_cbranch_execz .LBB1893_124
; %bb.115:
	ds_read2_b32 v[52:53], v1 offset0:17 offset1:18
	v_add_u32_e32 v2, 18, v73
	v_cmp_ne_u32_e32 vcc, v8, v9
	v_mov_b64_e32 v[46:47], 0
	s_mov_b64 s[50:51], 0
	v_cndmask_b32_e64 v45, 0, 1, vcc
	v_cmp_gt_u32_e32 vcc, s3, v2
	s_waitcnt lgkmcnt(0)
	v_mov_b32_e32 v44, v52
	v_mov_b64_e32 v[48:49], v[46:47]
	v_mov_b64_e32 v[50:51], v[46:47]
	v_mov_b64_e32 v[54:55], v[46:47]
                                        ; implicit-def: $sgpr48_sgpr49
                                        ; implicit-def: $vgpr3
	s_and_saveexec_b64 s[46:47], vcc
	s_cbranch_execz .LBB1893_123
; %bb.116:
	v_add_u32_e32 v2, 19, v73
	v_cmp_ne_u32_e32 vcc, v9, v6
	v_mov_b64_e32 v[48:49], 0
	v_mov_b32_e32 v46, v53
	v_cndmask_b32_e64 v47, 0, 1, vcc
	v_cmp_gt_u32_e32 vcc, s3, v2
	v_mov_b64_e32 v[50:51], v[48:49]
	v_mov_b64_e32 v[54:55], v[48:49]
                                        ; implicit-def: $sgpr60_sgpr61
                                        ; implicit-def: $vgpr3
	s_and_saveexec_b64 s[48:49], vcc
	s_cbranch_execz .LBB1893_122
; %bb.117:
	ds_read2_b32 v[8:9], v1 offset0:19 offset1:20
	v_add_u32_e32 v2, 20, v73
	v_cmp_ne_u32_e32 vcc, v6, v7
	v_mov_b64_e32 v[50:51], 0
	s_mov_b64 s[60:61], 0
	v_cndmask_b32_e64 v49, 0, 1, vcc
	v_cmp_gt_u32_e32 vcc, s3, v2
	s_waitcnt lgkmcnt(0)
	v_mov_b32_e32 v48, v8
	v_mov_b64_e32 v[54:55], v[50:51]
                                        ; implicit-def: $sgpr78_sgpr79
                                        ; implicit-def: $vgpr3
	s_and_saveexec_b64 s[50:51], vcc
	s_cbranch_execz .LBB1893_121
; %bb.118:
	v_add_u32_e32 v2, 21, v73
	v_cmp_ne_u32_e32 vcc, v7, v4
	v_mov_b32_e32 v50, v9
	v_mov_b64_e32 v[54:55], 0
	v_cndmask_b32_e64 v51, 0, 1, vcc
	v_cmp_gt_u32_e32 vcc, s3, v2
                                        ; implicit-def: $sgpr78_sgpr79
                                        ; implicit-def: $vgpr3
	s_and_saveexec_b64 s[4:5], vcc
	s_xor_b64 s[80:81], exec, s[4:5]
	s_cbranch_execz .LBB1893_120
; %bb.119:
	ds_read2_b32 v[2:3], v1 offset0:21 offset1:22
	v_add_u32_e32 v1, 22, v73
	v_cmp_ne_u32_e64 s[4:5], v4, v5
	v_cmp_ne_u32_e32 vcc, v5, v72
	s_and_b64 s[78:79], vcc, exec
	v_cndmask_b32_e64 v55, 0, 1, s[4:5]
	v_cmp_gt_u32_e64 s[4:5], s3, v1
	s_waitcnt lgkmcnt(0)
	v_mov_b32_e32 v54, v2
	s_and_b64 s[60:61], s[4:5], exec
.LBB1893_120:
	s_or_b64 exec, exec, s[80:81]
	s_and_b64 s[78:79], s[78:79], exec
	s_and_b64 s[4:5], s[60:61], exec
.LBB1893_121:
	s_or_b64 exec, exec, s[50:51]
	s_and_b64 s[60:61], s[78:79], exec
	s_and_b64 s[50:51], s[4:5], exec
.LBB1893_122:
	s_or_b64 exec, exec, s[48:49]
	s_and_b64 s[48:49], s[60:61], exec
	s_and_b64 s[4:5], s[50:51], exec
.LBB1893_123:
	s_or_b64 exec, exec, s[46:47]
	s_and_b64 s[48:49], s[48:49], exec
	s_and_b64 s[46:47], s[4:5], exec
.LBB1893_124:
	s_or_b64 exec, exec, s[44:45]
	s_and_b64 s[44:45], s[48:49], exec
	s_and_b64 s[4:5], s[46:47], exec
.LBB1893_125:
	s_or_b64 exec, exec, s[42:43]
	s_and_b64 s[44:45], s[44:45], exec
	s_and_b64 s[42:43], s[4:5], exec
.LBB1893_126:
	s_or_b64 exec, exec, s[40:41]
	s_and_b64 s[40:41], s[44:45], exec
	s_and_b64 s[4:5], s[42:43], exec
.LBB1893_127:
	s_or_b64 exec, exec, s[38:39]
	s_and_b64 s[40:41], s[40:41], exec
	s_and_b64 s[38:39], s[4:5], exec
.LBB1893_128:
	s_or_b64 exec, exec, s[36:37]
	s_and_b64 s[36:37], s[40:41], exec
	s_and_b64 s[4:5], s[38:39], exec
.LBB1893_129:
	s_or_b64 exec, exec, s[34:35]
	s_and_b64 s[36:37], s[36:37], exec
	s_and_b64 s[34:35], s[4:5], exec
.LBB1893_130:
	s_or_b64 exec, exec, s[30:31]
	s_and_b64 s[30:31], s[36:37], exec
	s_and_b64 s[4:5], s[34:35], exec
.LBB1893_131:
	s_or_b64 exec, exec, s[28:29]
	s_and_b64 s[30:31], s[30:31], exec
	s_and_b64 s[28:29], s[4:5], exec
.LBB1893_132:
	s_or_b64 exec, exec, s[26:27]
	s_and_b64 s[26:27], s[30:31], exec
	s_and_b64 s[4:5], s[28:29], exec
.LBB1893_133:
	s_or_b64 exec, exec, s[24:25]
	s_and_b64 s[26:27], s[26:27], exec
	s_and_b64 s[24:25], s[4:5], exec
.LBB1893_134:
	s_or_b64 exec, exec, s[22:23]
	s_and_b64 s[22:23], s[26:27], exec
	s_and_b64 s[4:5], s[24:25], exec
.LBB1893_135:
	s_or_b64 exec, exec, s[20:21]
	s_and_b64 s[22:23], s[22:23], exec
	s_and_b64 s[20:21], s[4:5], exec
.LBB1893_136:
	s_or_b64 exec, exec, s[18:19]
	s_and_b64 s[18:19], s[22:23], exec
	s_and_b64 s[4:5], s[20:21], exec
.LBB1893_137:
	s_or_b64 exec, exec, s[16:17]
	s_and_b64 s[18:19], s[18:19], exec
	s_and_b64 s[16:17], s[4:5], exec
.LBB1893_138:
	s_or_b64 exec, exec, s[14:15]
	s_and_b64 s[14:15], s[18:19], exec
	s_and_b64 s[4:5], s[16:17], exec
.LBB1893_139:
	s_or_b64 exec, exec, s[12:13]
	s_and_b64 s[14:15], s[14:15], exec
	s_and_b64 s[12:13], s[4:5], exec
.LBB1893_140:
	s_or_b64 exec, exec, s[10:11]
	s_and_b64 s[4:5], s[14:15], exec
	s_and_b64 s[10:11], s[12:13], exec
.LBB1893_141:
	s_or_b64 exec, exec, s[8:9]
	s_mov_b64 s[8:9], 0
	s_and_b64 vcc, exec, s[6:7]
	v_lshlrev_b32_e32 v52, 2, v0
	s_cbranch_vccnz .LBB1893_143
	s_branch .LBB1893_151
.LBB1893_142:
                                        ; implicit-def: $sgpr4_sgpr5
                                        ; implicit-def: $vgpr3
                                        ; implicit-def: $vgpr10_vgpr11
                                        ; implicit-def: $vgpr12_vgpr13
                                        ; implicit-def: $vgpr14_vgpr15
                                        ; implicit-def: $vgpr16_vgpr17
                                        ; implicit-def: $vgpr18_vgpr19
                                        ; implicit-def: $vgpr20_vgpr21
                                        ; implicit-def: $vgpr22_vgpr23
                                        ; implicit-def: $vgpr24_vgpr25
                                        ; implicit-def: $vgpr26_vgpr27
                                        ; implicit-def: $vgpr28_vgpr29
                                        ; implicit-def: $vgpr30_vgpr31
                                        ; implicit-def: $vgpr32_vgpr33
                                        ; implicit-def: $vgpr34_vgpr35
                                        ; implicit-def: $vgpr36_vgpr37
                                        ; implicit-def: $vgpr38_vgpr39
                                        ; implicit-def: $vgpr40_vgpr41
                                        ; implicit-def: $vgpr42_vgpr43
                                        ; implicit-def: $vgpr44_vgpr45
                                        ; implicit-def: $vgpr46_vgpr47
                                        ; implicit-def: $vgpr48_vgpr49
                                        ; implicit-def: $vgpr50_vgpr51
                                        ; implicit-def: $vgpr54_vgpr55
                                        ; implicit-def: $sgpr8_sgpr9
	s_and_b64 vcc, exec, s[6:7]
	v_lshlrev_b32_e32 v52, 2, v0
	s_cbranch_vccz .LBB1893_151
.LBB1893_143:
	v_mov_b32_e32 v53, 0
	v_lshl_add_u64 v[2:3], s[54:55], 0, v[52:53]
	v_add_co_u32_e32 v4, vcc, 0x1000, v2
	s_movk_i32 s3, 0x58
	s_nop 0
	v_addc_co_u32_e32 v5, vcc, 0, v3, vcc
	flat_load_dword v8, v[2:3]
	flat_load_dword v9, v[2:3] offset:1024
	s_waitcnt lgkmcnt(0)
	flat_load_dword v10, v[2:3] offset:2048
	flat_load_dword v11, v[2:3] offset:3072
	flat_load_dword v12, v[4:5]
	flat_load_dword v13, v[4:5] offset:1024
	flat_load_dword v14, v[4:5] offset:2048
	;; [unrolled: 1-line block ×3, first 2 shown]
	v_add_co_u32_e32 v4, vcc, 0x2000, v2
	v_mad_u32_u24 v1, v0, s3, v52
	s_nop 0
	v_addc_co_u32_e32 v5, vcc, 0, v3, vcc
	v_add_co_u32_e32 v6, vcc, 0x3000, v2
	s_cmp_eq_u64 s[76:77], 0
	s_nop 0
	v_addc_co_u32_e32 v7, vcc, 0, v3, vcc
	flat_load_dword v16, v[4:5]
	flat_load_dword v17, v[4:5] offset:1024
	flat_load_dword v18, v[4:5] offset:2048
	;; [unrolled: 1-line block ×3, first 2 shown]
	flat_load_dword v20, v[6:7]
	flat_load_dword v21, v[6:7] offset:1024
	flat_load_dword v22, v[6:7] offset:2048
	flat_load_dword v23, v[6:7] offset:3072
	v_add_co_u32_e32 v4, vcc, 0x4000, v2
	s_nop 1
	v_addc_co_u32_e32 v5, vcc, 0, v3, vcc
	v_add_co_u32_e32 v2, vcc, 0x5000, v2
	s_nop 1
	v_addc_co_u32_e32 v3, vcc, 0, v3, vcc
	flat_load_dword v6, v[4:5]
	flat_load_dword v7, v[4:5] offset:1024
	flat_load_dword v24, v[4:5] offset:2048
	;; [unrolled: 1-line block ×3, first 2 shown]
	flat_load_dword v26, v[2:3]
	flat_load_dword v27, v[2:3] offset:1024
	flat_load_dword v28, v[2:3] offset:2048
	s_waitcnt vmcnt(0)
	ds_write2st64_b32 v52, v8, v9 offset1:4
	s_waitcnt lgkmcnt(0)
	ds_write2st64_b32 v52, v10, v11 offset0:8 offset1:12
	ds_write2st64_b32 v52, v12, v13 offset0:16 offset1:20
	;; [unrolled: 1-line block ×10, first 2 shown]
	ds_write_b32 v52, v28 offset:22528
	s_waitcnt lgkmcnt(0)
	s_barrier
	ds_read2_b32 v[2:3], v1 offset1:1
	ds_read2_b32 v[18:19], v1 offset0:2 offset1:3
	ds_read2_b32 v[22:23], v1 offset0:4 offset1:5
	;; [unrolled: 1-line block ×10, first 2 shown]
	ds_read_b32 v10, v1 offset:88
	s_cbranch_scc1 .LBB1893_148
; %bb.144:
	s_andn2_b64 vcc, exec, s[64:65]
	s_cbranch_vccnz .LBB1893_310
; %bb.145:
	s_lshl_b64 s[4:5], s[76:77], 2
	s_add_u32 s3, s66, s4
	s_addc_u32 s5, s67, s5
	s_add_u32 s4, s3, -4
	s_addc_u32 s5, s5, -1
	s_cbranch_execnz .LBB1893_147
.LBB1893_146:
	s_add_u32 s4, s54, -4
	s_addc_u32 s5, s55, -1
.LBB1893_147:
	s_mov_b64 s[54:55], s[4:5]
.LBB1893_148:
	v_mov_b64_e32 v[12:13], s[54:55]
	flat_load_dword v11, v[12:13]
	s_movk_i32 s3, 0xffa8
	v_mad_i32_i24 v12, v0, s3, v1
	v_cmp_ne_u32_e32 vcc, 0, v0
	s_waitcnt lgkmcnt(0)
	ds_write_b32 v12, v10 offset:23552
	s_waitcnt lgkmcnt(0)
	s_barrier
	s_and_saveexec_b64 s[4:5], vcc
	s_cbranch_execz .LBB1893_150
; %bb.149:
	s_waitcnt vmcnt(0)
	v_mul_i32_i24_e32 v11, 0xffffffa8, v0
	v_add_u32_e32 v11, v1, v11
	ds_read_b32 v11, v11 offset:23548
.LBB1893_150:
	s_or_b64 exec, exec, s[4:5]
	v_mov_b32_e32 v53, 0
	v_lshl_add_u64 v[12:13], s[52:53], 0, v[52:53]
	s_movk_i32 s3, 0x1000
	v_add_co_u32_e32 v14, vcc, s3, v12
	s_movk_i32 s3, 0x2000
	s_nop 0
	v_addc_co_u32_e32 v15, vcc, 0, v13, vcc
	s_waitcnt lgkmcnt(0)
	s_barrier
	flat_load_dword v20, v[12:13]
	flat_load_dword v21, v[12:13] offset:1024
	flat_load_dword v24, v[12:13] offset:2048
	;; [unrolled: 1-line block ×3, first 2 shown]
	flat_load_dword v28, v[14:15]
	flat_load_dword v29, v[14:15] offset:1024
	flat_load_dword v32, v[14:15] offset:2048
	;; [unrolled: 1-line block ×3, first 2 shown]
	v_add_co_u32_e32 v14, vcc, s3, v12
	s_movk_i32 s3, 0x3000
	s_nop 0
	v_addc_co_u32_e32 v15, vcc, 0, v13, vcc
	v_add_co_u32_e32 v16, vcc, s3, v12
	s_movk_i32 s3, 0x4000
	s_nop 0
	v_addc_co_u32_e32 v17, vcc, 0, v13, vcc
	flat_load_dword v36, v[14:15]
	flat_load_dword v37, v[14:15] offset:1024
	flat_load_dword v40, v[14:15] offset:2048
	;; [unrolled: 1-line block ×3, first 2 shown]
	flat_load_dword v44, v[16:17]
	flat_load_dword v45, v[16:17] offset:1024
	flat_load_dword v46, v[16:17] offset:2048
	;; [unrolled: 1-line block ×3, first 2 shown]
	v_add_co_u32_e32 v14, vcc, s3, v12
	s_movk_i32 s3, 0x5000
	s_nop 0
	v_addc_co_u32_e32 v15, vcc, 0, v13, vcc
	v_add_co_u32_e32 v12, vcc, s3, v12
	v_cmp_ne_u32_e64 s[4:5], v5, v10
	s_nop 0
	v_addc_co_u32_e32 v13, vcc, 0, v13, vcc
	flat_load_dword v16, v[14:15]
	flat_load_dword v17, v[14:15] offset:1024
	flat_load_dword v48, v[14:15] offset:2048
	;; [unrolled: 1-line block ×3, first 2 shown]
	flat_load_dword v50, v[12:13]
	flat_load_dword v51, v[12:13] offset:1024
	flat_load_dword v53, v[12:13] offset:2048
	s_waitcnt vmcnt(0)
	v_cmp_ne_u32_e32 vcc, v11, v2
	s_mov_b64 s[10:11], -1
                                        ; implicit-def: $sgpr8_sgpr9
	s_waitcnt lgkmcnt(0)
	ds_write2st64_b32 v52, v20, v21 offset1:4
	ds_write2st64_b32 v52, v24, v25 offset0:8 offset1:12
	ds_write2st64_b32 v52, v28, v29 offset0:16 offset1:20
	;; [unrolled: 1-line block ×10, first 2 shown]
	ds_write_b32 v52, v53 offset:22528
	v_cndmask_b32_e64 v11, 0, 1, vcc
	v_cmp_ne_u32_e32 vcc, v2, v3
	s_waitcnt lgkmcnt(0)
	s_barrier
	v_cndmask_b32_e64 v13, 0, 1, vcc
	v_cmp_ne_u32_e32 vcc, v3, v18
	ds_read2_b32 v[16:17], v1 offset1:1
	ds_read2_b32 v[20:21], v1 offset0:2 offset1:3
	ds_read2_b32 v[24:25], v1 offset0:4 offset1:5
	;; [unrolled: 1-line block ×10, first 2 shown]
	ds_read_b32 v3, v1 offset:88
	v_cndmask_b32_e64 v15, 0, 1, vcc
	v_cmp_ne_u32_e32 vcc, v18, v19
	s_waitcnt lgkmcnt(11)
	v_mov_b32_e32 v12, v17
	v_mov_b32_e32 v10, v16
	v_cndmask_b32_e64 v17, 0, 1, vcc
	v_cmp_ne_u32_e32 vcc, v19, v22
	s_waitcnt lgkmcnt(10)
	v_mov_b32_e32 v16, v21
	v_mov_b32_e32 v14, v20
	;; [unrolled: 5-line block ×5, first 2 shown]
	v_cndmask_b32_e64 v25, 0, 1, vcc
	v_cmp_ne_u32_e32 vcc, v27, v30
	s_waitcnt lgkmcnt(6)
	v_mov_b32_e32 v32, v37
	s_waitcnt lgkmcnt(2)
	v_mov_b32_e32 v48, v51
	v_cndmask_b32_e64 v27, 0, 1, vcc
	v_cmp_ne_u32_e32 vcc, v30, v31
	v_mov_b32_e32 v30, v36
	v_mov_b32_e32 v36, v41
	v_cndmask_b32_e64 v29, 0, 1, vcc
	v_cmp_ne_u32_e32 vcc, v31, v34
	s_waitcnt lgkmcnt(1)
	v_mov_b32_e32 v54, v57
	v_cndmask_b32_e64 v31, 0, 1, vcc
	v_cmp_ne_u32_e32 vcc, v34, v35
	v_mov_b32_e32 v34, v40
	v_mov_b32_e32 v40, v45
	v_cndmask_b32_e64 v33, 0, 1, vcc
	v_cmp_ne_u32_e32 vcc, v35, v38
	s_nop 1
	v_cndmask_b32_e64 v35, 0, 1, vcc
	v_cmp_ne_u32_e32 vcc, v38, v39
	v_mov_b32_e32 v38, v44
	v_mov_b32_e32 v44, v47
	v_cndmask_b32_e64 v37, 0, 1, vcc
	v_cmp_ne_u32_e32 vcc, v39, v42
	s_nop 1
	v_cndmask_b32_e64 v39, 0, 1, vcc
	v_cmp_ne_u32_e32 vcc, v42, v43
	v_mov_b32_e32 v42, v46
	v_mov_b32_e32 v46, v50
	v_cndmask_b32_e64 v41, 0, 1, vcc
	v_cmp_ne_u32_e32 vcc, v43, v8
	v_mov_b32_e32 v50, v56
	s_nop 0
	v_cndmask_b32_e64 v43, 0, 1, vcc
	v_cmp_ne_u32_e32 vcc, v8, v9
	s_nop 1
	v_cndmask_b32_e64 v45, 0, 1, vcc
	v_cmp_ne_u32_e32 vcc, v9, v6
	;; [unrolled: 3-line block ×5, first 2 shown]
	s_nop 1
	v_cndmask_b32_e64 v55, 0, 1, vcc
.LBB1893_151:
	v_mov_b64_e32 v[56:57], s[8:9]
	s_and_saveexec_b64 s[6:7], s[10:11]
	s_cbranch_execz .LBB1893_153
; %bb.152:
	v_cndmask_b32_e64 v57, 0, 1, s[4:5]
	s_waitcnt lgkmcnt(0)
	v_mov_b32_e32 v56, v3
.LBB1893_153:
	s_or_b64 exec, exec, s[6:7]
	s_mov_b32 s46, 0
	s_cmp_lg_u32 s2, 0
	v_or_b32_e32 v53, v57, v55
	v_lshrrev_b32_e32 v1, 5, v0
	v_cmp_gt_u32_e32 vcc, 64, v0
	s_waitcnt lgkmcnt(0)
	s_barrier
	s_cbranch_scc0 .LBB1893_192
; %bb.154:
	s_mov_b32 s47, 1
	v_cmp_gt_u64_e64 s[52:53], s[46:47], v[12:13]
	v_cmp_gt_u64_e64 s[4:5], s[46:47], v[14:15]
	v_cmp_gt_u64_e64 s[6:7], s[46:47], v[16:17]
	v_cndmask_b32_e64 v2, 0, v10, s[52:53]
	v_add_u32_e32 v2, v2, v12
	v_cndmask_b32_e64 v2, 0, v2, s[4:5]
	v_add_u32_e32 v2, v2, v14
	v_cndmask_b32_e64 v2, 0, v2, s[6:7]
	v_add_u32_e32 v2, v2, v16
	v_cmp_gt_u64_e64 s[8:9], s[46:47], v[18:19]
	v_cmp_gt_u64_e64 s[10:11], s[46:47], v[20:21]
	v_cmp_gt_u64_e64 s[12:13], s[46:47], v[22:23]
	v_cndmask_b32_e64 v2, 0, v2, s[8:9]
	v_add_u32_e32 v2, v2, v18
	v_cndmask_b32_e64 v2, 0, v2, s[10:11]
	v_add_u32_e32 v2, v2, v20
	v_cndmask_b32_e64 v2, 0, v2, s[12:13]
	v_add_u32_e32 v2, v2, v22
	;; [unrolled: 9-line block ×7, first 2 shown]
	v_cmp_gt_u64_e64 s[46:47], s[46:47], v[56:57]
	s_nop 1
	v_cndmask_b32_e64 v2, 0, v2, s[46:47]
	v_add_u32_e32 v62, v2, v56
	v_or3_b32 v2, v53, v51, v49
	v_or3_b32 v2, v2, v47, v45
	;; [unrolled: 1-line block ×10, first 2 shown]
	v_and_b32_e32 v2, 1, v2
	v_cmp_eq_u32_e64 s[48:49], 1, v2
	v_add_lshl_u32 v2, v1, v0, 3
	s_nop 0
	v_cndmask_b32_e64 v63, v11, 1, s[48:49]
	ds_write_b32 v2, v62
	ds_write_b8 v2, v63 offset:4
	s_waitcnt lgkmcnt(0)
	s_barrier
	s_and_saveexec_b64 s[50:51], vcc
	s_cbranch_execz .LBB1893_166
; %bb.155:
	v_lshrrev_b32_e32 v2, 3, v0
	v_add_lshl_u32 v4, v2, v52, 3
	ds_read2_b32 v[6:7], v4 offset0:2 offset1:4
	ds_read_b64 v[2:3], v4
	ds_read_u8 v8, v4 offset:12
	ds_read_u8 v9, v4 offset:20
	ds_read_b32 v58, v4 offset:24
	ds_read_u8 v59, v4 offset:28
	v_mov_b32_e32 v60, 0
	s_waitcnt lgkmcnt(3)
	v_cmp_eq_u16_sdwa s[48:49], v8, v60 src0_sel:BYTE_0 src1_sel:DWORD
	v_and_b32_e32 v5, 1, v3
	s_nop 0
	v_cndmask_b32_e64 v61, 0, v2, s[48:49]
	v_add_u32_e32 v6, v61, v6
	s_waitcnt lgkmcnt(2)
	v_cmp_eq_u16_sdwa s[48:49], v9, v60 src0_sel:BYTE_0 src1_sel:DWORD
	s_nop 1
	v_cndmask_b32_e64 v6, 0, v6, s[48:49]
	v_add_u32_e32 v6, v6, v7
	s_waitcnt lgkmcnt(0)
	v_cmp_eq_u16_e64 s[48:49], 0, v59
	s_nop 1
	v_cndmask_b32_e64 v6, 0, v6, s[48:49]
	v_add_u32_e32 v7, v6, v58
	v_or_b32_e32 v6, v59, v9
	v_or_b32_e32 v6, v6, v8
	v_and_b32_e32 v6, 1, v6
	v_cmp_eq_u32_e64 s[48:49], 1, v6
	v_mbcnt_lo_u32_b32 v8, -1, 0
	v_and_b32_e32 v6, 0xffffff00, v3
	v_cndmask_b32_e64 v9, v5, 1, s[48:49]
	v_mbcnt_hi_u32_b32 v8, -1, v8
	v_and_b32_e32 v59, 15, v8
	v_or_b32_sdwa v58, v6, v9 dst_sel:DWORD dst_unused:UNUSED_PAD src0_sel:DWORD src1_sel:WORD_0
	v_mov_b32_dpp v60, v7 row_shr:1 row_mask:0xf bank_mask:0xf
	v_cmp_ne_u32_e64 s[48:49], 0, v59
	v_mov_b32_dpp v61, v58 row_shr:1 row_mask:0xf bank_mask:0xf
	s_and_saveexec_b64 s[54:55], s[48:49]
; %bb.156:
	v_and_b32_e32 v58, 1, v9
	v_and_b32_e32 v61, 1, v61
	v_cmp_eq_u32_e64 s[48:49], 1, v58
	s_nop 1
	v_cndmask_b32_e64 v61, v61, 1, s[48:49]
	v_cmp_eq_u16_e64 s[48:49], 0, v9
	v_or_b32_sdwa v58, v6, v61 dst_sel:DWORD dst_unused:UNUSED_PAD src0_sel:DWORD src1_sel:WORD_0
	s_nop 0
	v_cndmask_b32_e64 v9, 0, v60, s[48:49]
	v_add_u32_e32 v7, v9, v7
	v_mov_b32_e32 v9, v61
; %bb.157:
	s_or_b64 exec, exec, s[54:55]
	v_mov_b32_dpp v60, v7 row_shr:2 row_mask:0xf bank_mask:0xf
	v_mov_b32_dpp v61, v58 row_shr:2 row_mask:0xf bank_mask:0xf
	v_cmp_lt_u32_e64 s[48:49], 1, v59
	s_and_saveexec_b64 s[54:55], s[48:49]
; %bb.158:
	v_and_b32_e32 v58, 1, v9
	v_and_b32_e32 v61, 1, v61
	v_cmp_eq_u32_e64 s[48:49], 1, v58
	s_nop 1
	v_cndmask_b32_e64 v61, v61, 1, s[48:49]
	v_cmp_eq_u16_e64 s[48:49], 0, v9
	v_or_b32_sdwa v58, v6, v61 dst_sel:DWORD dst_unused:UNUSED_PAD src0_sel:DWORD src1_sel:WORD_0
	s_nop 0
	v_cndmask_b32_e64 v9, 0, v60, s[48:49]
	v_add_u32_e32 v7, v9, v7
	v_mov_b32_e32 v9, v61
; %bb.159:
	s_or_b64 exec, exec, s[54:55]
	v_mov_b32_dpp v60, v7 row_shr:4 row_mask:0xf bank_mask:0xf
	v_mov_b32_dpp v61, v58 row_shr:4 row_mask:0xf bank_mask:0xf
	v_cmp_lt_u32_e64 s[48:49], 3, v59
	;; [unrolled: 18-line block ×3, first 2 shown]
	s_and_saveexec_b64 s[54:55], s[48:49]
; %bb.162:
	v_and_b32_e32 v58, 1, v9
	v_and_b32_e32 v59, 1, v61
	v_cmp_eq_u32_e64 s[48:49], 1, v58
	s_nop 1
	v_cndmask_b32_e64 v59, v59, 1, s[48:49]
	v_cmp_eq_u16_e64 s[48:49], 0, v9
	v_or_b32_sdwa v58, v6, v59 dst_sel:DWORD dst_unused:UNUSED_PAD src0_sel:DWORD src1_sel:WORD_0
	s_nop 0
	v_cndmask_b32_e64 v9, 0, v60, s[48:49]
	v_add_u32_e32 v7, v9, v7
	v_mov_b32_e32 v9, v59
; %bb.163:
	s_or_b64 exec, exec, s[54:55]
	v_and_b32_e32 v61, 16, v8
	v_mov_b32_dpp v59, v7 row_bcast:15 row_mask:0xf bank_mask:0xf
	v_mov_b32_dpp v60, v58 row_bcast:15 row_mask:0xf bank_mask:0xf
	v_cmp_ne_u32_e64 s[48:49], 0, v61
	s_and_saveexec_b64 s[54:55], s[48:49]
; %bb.164:
	v_and_b32_e32 v58, 1, v9
	v_and_b32_e32 v60, 1, v60
	v_cmp_eq_u32_e64 s[48:49], 1, v58
	s_nop 1
	v_cndmask_b32_e64 v60, v60, 1, s[48:49]
	v_cmp_eq_u16_e64 s[48:49], 0, v9
	v_or_b32_sdwa v58, v6, v60 dst_sel:DWORD dst_unused:UNUSED_PAD src0_sel:DWORD src1_sel:WORD_0
	s_nop 0
	v_cndmask_b32_e64 v9, 0, v59, s[48:49]
	v_add_u32_e32 v7, v9, v7
	v_mov_b32_e32 v9, v60
; %bb.165:
	s_or_b64 exec, exec, s[54:55]
	v_mov_b32_dpp v58, v58 row_bcast:31 row_mask:0xf bank_mask:0xf
	v_and_b32_e32 v60, 1, v9
	v_and_b32_e32 v58, 1, v58
	v_cmp_eq_u32_e64 s[48:49], 1, v60
	v_mov_b32_e32 v60, 0
	v_cmp_eq_u16_sdwa s[54:55], v9, v60 src0_sel:BYTE_0 src1_sel:DWORD
	v_cndmask_b32_e64 v58, v58, 1, s[48:49]
	v_cmp_lt_u32_e64 s[48:49], 31, v8
	v_mov_b32_dpp v59, v7 row_bcast:31 row_mask:0xf bank_mask:0xf
	s_movk_i32 s3, 0xff
	v_cndmask_b32_e64 v9, v9, v58, s[48:49]
	s_and_b64 s[48:49], s[48:49], s[54:55]
	v_cndmask_b32_e64 v58, 0, v59, s[48:49]
	v_add_u32_e32 v7, v58, v7
	v_add_u32_e32 v58, -1, v8
	v_and_b32_e32 v59, 64, v8
	v_cmp_lt_i32_e64 s[48:49], v58, v59
	v_and_or_b32 v6, v9, s3, v6
	s_nop 0
	v_cndmask_b32_e64 v8, v58, v8, s[48:49]
	v_lshlrev_b32_e32 v8, 2, v8
	ds_bpermute_b32 v7, v8, v7
	ds_bpermute_b32 v6, v8, v6
	v_cmp_eq_u16_sdwa s[48:49], v3, v60 src0_sel:BYTE_0 src1_sel:DWORD
	; wave barrier
	s_waitcnt lgkmcnt(1)
	s_nop 0
	v_cndmask_b32_e64 v3, 0, v7, s[48:49]
	v_add_u32_e32 v2, v3, v2
	s_waitcnt lgkmcnt(0)
	v_and_b32_e32 v3, 1, v6
	v_cmp_eq_u32_e64 s[48:49], 1, v5
	s_nop 1
	v_cndmask_b32_e64 v3, v3, 1, s[48:49]
	v_cmp_eq_u32_e64 s[48:49], 0, v0
	s_nop 1
	v_cndmask_b32_e64 v5, v2, v62, s[48:49]
	v_cndmask_b32_e64 v6, v3, v63, s[48:49]
	ds_write_b32 v4, v5
	ds_write_b8 v4, v6 offset:4
	; wave barrier
	ds_read_u8 v7, v4 offset:12
	ds_read2_b32 v[2:3], v4 offset0:2 offset1:4
	ds_read_u8 v8, v4 offset:20
	ds_read_b32 v9, v4 offset:24
	ds_read_u8 v58, v4 offset:28
	s_waitcnt lgkmcnt(4)
	v_cmp_eq_u16_e64 s[48:49], 0, v7
	s_nop 1
	v_cndmask_b32_e64 v5, 0, v5, s[48:49]
	s_waitcnt lgkmcnt(3)
	v_add_u32_e32 v2, v5, v2
	v_and_b32_e32 v5, 1, v7
	v_cmp_eq_u32_e64 s[48:49], 1, v5
	s_nop 1
	v_cndmask_b32_e64 v5, v6, 1, s[48:49]
	s_waitcnt lgkmcnt(2)
	v_cmp_eq_u16_e64 s[48:49], 0, v8
	ds_write_b8 v4, v5 offset:12
	s_nop 0
	v_cndmask_b32_e64 v6, 0, v2, s[48:49]
	v_add_u32_e32 v3, v6, v3
	v_and_b32_e32 v6, 1, v8
	v_cmp_eq_u32_e64 s[48:49], 1, v6
	s_nop 1
	v_cndmask_b32_e64 v5, v5, 1, s[48:49]
	s_waitcnt lgkmcnt(1)
	v_cmp_eq_u16_e64 s[48:49], 0, v58
	ds_write2_b32 v4, v2, v3 offset0:2 offset1:4
	ds_write_b8 v4, v5 offset:20
	v_cndmask_b32_e64 v2, 0, v3, s[48:49]
	v_and_b32_e32 v3, 1, v58
	v_add_u32_e32 v2, v2, v9
	v_cmp_eq_u32_e64 s[48:49], 1, v3
	s_nop 1
	v_cndmask_b32_e64 v3, v5, 1, s[48:49]
	ds_write_b32 v4, v2 offset:24
	ds_write_b8 v4, v3 offset:28
.LBB1893_166:
	s_or_b64 exec, exec, s[50:51]
	v_cmp_eq_u32_e64 s[48:49], 0, v0
	v_cmp_ne_u32_e64 s[50:51], 0, v0
	s_waitcnt lgkmcnt(0)
	s_barrier
	s_and_saveexec_b64 s[54:55], s[50:51]
	s_cbranch_execz .LBB1893_168
; %bb.167:
	v_add_u32_e32 v2, -1, v0
	v_lshrrev_b32_e32 v3, 5, v2
	v_add_lshl_u32 v2, v3, v2, 3
	ds_read_b32 v62, v2
	ds_read_u8 v63, v2 offset:4
.LBB1893_168:
	s_or_b64 exec, exec, s[54:55]
	s_and_saveexec_b64 s[60:61], vcc
	s_cbranch_execz .LBB1893_191
; %bb.169:
	v_mov_b32_e32 v5, 0
	ds_read_b64 v[2:3], v5 offset:2096
	v_mbcnt_lo_u32_b32 v4, -1, 0
	v_mbcnt_hi_u32_b32 v73, -1, v4
	s_mov_b32 s65, 0
	v_cmp_eq_u32_e64 s[50:51], 0, v73
	s_waitcnt lgkmcnt(0)
	v_readfirstlane_b32 s3, v3
	s_and_saveexec_b64 s[54:55], s[50:51]
	s_cbranch_execz .LBB1893_171
; %bb.170:
	s_add_i32 s64, s2, 64
	s_lshl_b64 s[66:67], s[64:65], 4
	s_add_u32 s66, s68, s66
	s_addc_u32 s67, s69, s67
	s_and_b32 s77, s3, 0xff000000
	s_mov_b32 s76, s65
	s_and_b32 s79, s3, 0xff0000
	s_mov_b32 s78, s65
	s_or_b64 s[76:77], s[78:79], s[76:77]
	s_and_b32 s79, s3, 0xff00
	s_or_b64 s[76:77], s[76:77], s[78:79]
	s_and_b32 s79, s3, 0xff
	s_or_b64 s[64:65], s[76:77], s[78:79]
	v_mov_b32_e32 v3, s65
	v_mov_b32_e32 v4, 1
	v_mov_b64_e32 v[6:7], s[66:67]
	;;#ASMSTART
	global_store_dwordx4 v[6:7], v[2:5] off sc1	
s_waitcnt vmcnt(0)
	;;#ASMEND
.LBB1893_171:
	s_or_b64 exec, exec, s[54:55]
	v_xad_u32 v58, v73, -1, s2
	v_add_u32_e32 v4, 64, v58
	v_lshl_add_u64 v[60:61], v[4:5], 4, s[68:69]
	;;#ASMSTART
	global_load_dwordx4 v[6:9], v[60:61] off sc1	
s_waitcnt vmcnt(0)
	;;#ASMEND
	s_nop 0
	v_and_b32_e32 v3, 0xff0000, v6
	v_and_b32_e32 v4, 0xff000000, v6
	v_and_b32_e32 v7, 0xff, v7
	v_or_b32_sdwa v3, v6, v3 dst_sel:DWORD dst_unused:UNUSED_PAD src0_sel:WORD_0 src1_sel:DWORD
	v_or3_b32 v7, 0, 0, v7
	v_or3_b32 v6, v3, v4, 0
	v_cmp_eq_u16_sdwa s[64:65], v8, v5 src0_sel:BYTE_0 src1_sel:DWORD
	s_and_saveexec_b64 s[54:55], s[64:65]
	s_cbranch_execz .LBB1893_177
; %bb.172:
	s_mov_b32 s66, 1
	s_mov_b64 s[64:65], 0
	v_mov_b32_e32 v3, 0
.LBB1893_173:                           ; =>This Loop Header: Depth=1
                                        ;     Child Loop BB1893_174 Depth 2
	s_max_u32 s67, s66, 1
.LBB1893_174:                           ;   Parent Loop BB1893_173 Depth=1
                                        ; =>  This Inner Loop Header: Depth=2
	s_add_i32 s67, s67, -1
	s_cmp_eq_u32 s67, 0
	s_sleep 1
	s_cbranch_scc0 .LBB1893_174
; %bb.175:                              ;   in Loop: Header=BB1893_173 Depth=1
	s_cmp_lt_u32 s66, 32
	s_cselect_b64 s[76:77], -1, 0
	s_cmp_lg_u64 s[76:77], 0
	s_addc_u32 s66, s66, 0
	;;#ASMSTART
	global_load_dwordx4 v[6:9], v[60:61] off sc1	
s_waitcnt vmcnt(0)
	;;#ASMEND
	s_nop 0
	v_cmp_ne_u16_sdwa s[76:77], v8, v3 src0_sel:BYTE_0 src1_sel:DWORD
	s_or_b64 s[64:65], s[76:77], s[64:65]
	s_andn2_b64 exec, exec, s[64:65]
	s_cbranch_execnz .LBB1893_173
; %bb.176:
	s_or_b64 exec, exec, s[64:65]
	v_and_b32_e32 v7, 0xff, v7
.LBB1893_177:
	s_or_b64 exec, exec, s[54:55]
	v_mov_b32_e32 v3, 2
	v_cmp_eq_u16_sdwa s[54:55], v8, v3 src0_sel:BYTE_0 src1_sel:DWORD
	v_lshlrev_b64 v[4:5], v73, -1
	v_and_b32_e32 v64, 63, v73
	v_and_b32_e32 v9, s55, v5
	v_or_b32_e32 v9, 0x80000000, v9
	v_and_b32_e32 v59, s54, v4
	v_ffbl_b32_e32 v9, v9
	v_add_u32_e32 v9, 32, v9
	v_ffbl_b32_e32 v59, v59
	v_cmp_ne_u32_e32 vcc, 63, v64
	v_min_u32_e32 v9, v59, v9
	s_mov_b32 s64, 0
	v_addc_co_u32_e32 v59, vcc, 0, v73, vcc
	v_lshlrev_b32_e32 v65, 2, v59
	ds_bpermute_b32 v59, v65, v7
	ds_bpermute_b32 v60, v65, v6
	v_and_b32_e32 v61, 1, v7
	s_mov_b32 s65, 1
	v_cmp_eq_u32_e32 vcc, 1, v61
	s_waitcnt lgkmcnt(1)
	v_and_b32_e32 v59, 1, v59
	v_cmp_lt_u32_e64 s[54:55], v64, v9
	v_cndmask_b32_e64 v59, v59, 1, vcc
	v_cmp_gt_u64_e32 vcc, s[64:65], v[6:7]
	s_and_b64 vcc, s[54:55], vcc
	v_and_b32_e32 v61, 0xffff, v59
	v_cndmask_b32_e64 v68, v7, v59, s[54:55]
	s_waitcnt lgkmcnt(0)
	v_cndmask_b32_e32 v59, 0, v60, vcc
	v_cmp_gt_u32_e32 vcc, 62, v64
	v_cndmask_b32_e64 v7, v7, v61, s[54:55]
	v_add_u32_e32 v6, v59, v6
	v_cndmask_b32_e64 v60, 0, 1, vcc
	v_lshlrev_b32_e32 v60, 1, v60
	v_add_lshl_u32 v66, v60, v73, 2
	ds_bpermute_b32 v60, v66, v7
	ds_bpermute_b32 v61, v66, v6
	v_and_b32_e32 v59, 1, v68
	v_cmp_eq_u32_e32 vcc, 1, v59
	v_mov_b32_e32 v59, 0
	s_waitcnt lgkmcnt(1)
	v_and_b32_e32 v60, 1, v60
	v_add_u32_e32 v67, 2, v64
	v_cndmask_b32_e64 v60, v60, 1, vcc
	v_cmp_eq_u16_sdwa vcc, v68, v59 src0_sel:BYTE_0 src1_sel:DWORD
	v_and_b32_e32 v69, 0xffff, v60
	v_add_u32_e32 v77, 32, v64
	s_waitcnt lgkmcnt(0)
	v_cndmask_b32_e32 v61, 0, v61, vcc
	v_cmp_gt_u32_e32 vcc, v67, v9
	s_nop 1
	v_cndmask_b32_e32 v60, v60, v68, vcc
	v_cndmask_b32_e64 v61, v61, 0, vcc
	v_cndmask_b32_e32 v7, v69, v7, vcc
	v_cmp_gt_u32_e32 vcc, 60, v64
	v_add_u32_e32 v6, v61, v6
	v_and_b32_e32 v71, 1, v60
	v_cndmask_b32_e64 v68, 0, 1, vcc
	v_lshlrev_b32_e32 v68, 2, v68
	v_add_lshl_u32 v68, v68, v73, 2
	ds_bpermute_b32 v70, v68, v7
	ds_bpermute_b32 v61, v68, v6
	v_cmp_eq_u32_e32 vcc, 1, v71
	v_add_u32_e32 v69, 4, v64
	s_waitcnt lgkmcnt(1)
	v_and_b32_e32 v70, 1, v70
	v_cndmask_b32_e64 v70, v70, 1, vcc
	v_cmp_eq_u16_sdwa vcc, v60, v59 src0_sel:BYTE_0 src1_sel:DWORD
	v_and_b32_e32 v71, 0xffff, v70
	s_waitcnt lgkmcnt(0)
	v_cndmask_b32_e32 v61, 0, v61, vcc
	v_cmp_gt_u32_e32 vcc, v69, v9
	s_nop 1
	v_cndmask_b32_e32 v60, v70, v60, vcc
	v_cndmask_b32_e64 v61, v61, 0, vcc
	v_cndmask_b32_e32 v7, v71, v7, vcc
	v_cmp_gt_u32_e32 vcc, 56, v64
	v_add_u32_e32 v6, v61, v6
	v_and_b32_e32 v74, 1, v60
	v_cndmask_b32_e64 v70, 0, 1, vcc
	v_lshlrev_b32_e32 v70, 3, v70
	v_add_lshl_u32 v70, v70, v73, 2
	ds_bpermute_b32 v72, v70, v7
	ds_bpermute_b32 v61, v70, v6
	v_cmp_eq_u32_e32 vcc, 1, v74
	v_add_u32_e32 v71, 8, v64
	s_waitcnt lgkmcnt(1)
	v_and_b32_e32 v72, 1, v72
	v_cndmask_b32_e64 v72, v72, 1, vcc
	v_cmp_eq_u16_sdwa vcc, v60, v59 src0_sel:BYTE_0 src1_sel:DWORD
	v_and_b32_e32 v74, 0xffff, v72
	;; [unrolled: 22-line block ×3, first 2 shown]
	s_waitcnt lgkmcnt(0)
	v_cndmask_b32_e32 v61, 0, v61, vcc
	v_cmp_gt_u32_e32 vcc, v74, v9
	s_nop 1
	v_cndmask_b32_e32 v60, v75, v60, vcc
	v_cndmask_b32_e64 v61, v61, 0, vcc
	v_cndmask_b32_e32 v7, v76, v7, vcc
	v_cmp_gt_u32_e32 vcc, 32, v64
	v_add_u32_e32 v6, v61, v6
	s_nop 0
	v_cndmask_b32_e64 v75, 0, 1, vcc
	v_lshlrev_b32_e32 v75, 5, v75
	v_add_lshl_u32 v76, v75, v73, 2
	ds_bpermute_b32 v7, v76, v7
	ds_bpermute_b32 v61, v76, v6
	v_and_b32_e32 v73, 1, v60
	v_cmp_eq_u32_e32 vcc, 1, v73
	s_waitcnt lgkmcnt(1)
	v_and_b32_e32 v7, 1, v7
	v_cndmask_b32_e64 v7, v7, 1, vcc
	v_cmp_eq_u16_sdwa vcc, v60, v59 src0_sel:BYTE_0 src1_sel:DWORD
	s_waitcnt lgkmcnt(0)
	s_nop 0
	v_cndmask_b32_e32 v61, 0, v61, vcc
	v_cmp_gt_u32_e32 vcc, v77, v9
	s_nop 1
	v_cndmask_b32_e64 v9, v61, 0, vcc
	v_cndmask_b32_e32 v7, v7, v60, vcc
	v_add_u32_e32 v6, v9, v6
	s_branch .LBB1893_179
.LBB1893_178:                           ;   in Loop: Header=BB1893_179 Depth=1
	s_or_b64 exec, exec, s[54:55]
	v_cmp_eq_u16_sdwa s[54:55], v8, v3 src0_sel:BYTE_0 src1_sel:DWORD
	ds_bpermute_b32 v61, v65, v7
	v_and_b32_e32 v78, 1, v7
	v_and_b32_e32 v9, s55, v5
	v_or_b32_e32 v9, 0x80000000, v9
	v_and_b32_e32 v60, s54, v4
	v_ffbl_b32_e32 v9, v9
	v_add_u32_e32 v9, 32, v9
	v_ffbl_b32_e32 v60, v60
	v_min_u32_e32 v9, v60, v9
	ds_bpermute_b32 v60, v65, v6
	s_waitcnt lgkmcnt(1)
	v_and_b32_e32 v61, 1, v61
	v_cmp_eq_u32_e32 vcc, 1, v78
	v_cmp_lt_u32_e64 s[54:55], v64, v9
	v_subrev_u32_e32 v58, 64, v58
	v_cndmask_b32_e64 v61, v61, 1, vcc
	v_cmp_gt_u64_e32 vcc, s[64:65], v[6:7]
	v_and_b32_e32 v78, 0xffff, v61
	v_cndmask_b32_e64 v61, v7, v61, s[54:55]
	v_cndmask_b32_e64 v7, v7, v78, s[54:55]
	s_and_b64 vcc, s[54:55], vcc
	ds_bpermute_b32 v78, v66, v7
	s_waitcnt lgkmcnt(1)
	v_cndmask_b32_e32 v60, 0, v60, vcc
	v_add_u32_e32 v6, v60, v6
	ds_bpermute_b32 v60, v66, v6
	v_and_b32_e32 v79, 1, v61
	s_waitcnt lgkmcnt(1)
	v_and_b32_e32 v78, 1, v78
	v_cmp_eq_u32_e32 vcc, 1, v79
	s_nop 1
	v_cndmask_b32_e64 v78, v78, 1, vcc
	v_cmp_eq_u16_sdwa vcc, v61, v59 src0_sel:BYTE_0 src1_sel:DWORD
	v_and_b32_e32 v79, 0xffff, v78
	s_waitcnt lgkmcnt(0)
	v_cndmask_b32_e32 v60, 0, v60, vcc
	v_cmp_gt_u32_e32 vcc, v67, v9
	s_nop 1
	v_cndmask_b32_e32 v7, v79, v7, vcc
	v_cndmask_b32_e32 v61, v78, v61, vcc
	ds_bpermute_b32 v78, v68, v7
	v_cndmask_b32_e64 v60, v60, 0, vcc
	v_add_u32_e32 v6, v60, v6
	ds_bpermute_b32 v60, v68, v6
	v_and_b32_e32 v79, 1, v61
	s_waitcnt lgkmcnt(1)
	v_and_b32_e32 v78, 1, v78
	v_cmp_eq_u32_e32 vcc, 1, v79
	s_nop 1
	v_cndmask_b32_e64 v78, v78, 1, vcc
	v_cmp_eq_u16_sdwa vcc, v61, v59 src0_sel:BYTE_0 src1_sel:DWORD
	v_and_b32_e32 v79, 0xffff, v78
	s_waitcnt lgkmcnt(0)
	v_cndmask_b32_e32 v60, 0, v60, vcc
	v_cmp_gt_u32_e32 vcc, v69, v9
	s_nop 1
	v_cndmask_b32_e32 v7, v79, v7, vcc
	v_cndmask_b32_e32 v61, v78, v61, vcc
	ds_bpermute_b32 v78, v70, v7
	v_cndmask_b32_e64 v60, v60, 0, vcc
	;; [unrolled: 18-line block ×3, first 2 shown]
	v_add_u32_e32 v6, v60, v6
	ds_bpermute_b32 v60, v72, v6
	v_and_b32_e32 v79, 1, v61
	s_waitcnt lgkmcnt(1)
	v_and_b32_e32 v78, 1, v78
	v_cmp_eq_u32_e32 vcc, 1, v79
	s_nop 1
	v_cndmask_b32_e64 v78, v78, 1, vcc
	v_cmp_eq_u16_sdwa vcc, v61, v59 src0_sel:BYTE_0 src1_sel:DWORD
	v_and_b32_e32 v79, 0xffff, v78
	s_waitcnt lgkmcnt(0)
	v_cndmask_b32_e32 v60, 0, v60, vcc
	v_cmp_gt_u32_e32 vcc, v74, v9
	s_nop 1
	v_cndmask_b32_e64 v60, v60, 0, vcc
	v_cndmask_b32_e32 v7, v79, v7, vcc
	ds_bpermute_b32 v7, v76, v7
	v_add_u32_e32 v6, v60, v6
	ds_bpermute_b32 v60, v76, v6
	v_cndmask_b32_e32 v61, v78, v61, vcc
	v_and_b32_e32 v78, 1, v61
	v_cmp_eq_u32_e32 vcc, 1, v78
	s_waitcnt lgkmcnt(1)
	s_nop 0
	v_cndmask_b32_e64 v7, v7, 1, vcc
	v_cmp_eq_u16_sdwa vcc, v61, v59 src0_sel:BYTE_0 src1_sel:DWORD
	s_waitcnt lgkmcnt(0)
	s_nop 0
	v_cndmask_b32_e32 v60, 0, v60, vcc
	v_cmp_gt_u32_e32 vcc, v77, v9
	s_nop 1
	v_cndmask_b32_e64 v9, v60, 0, vcc
	v_cndmask_b32_e32 v7, v7, v61, vcc
	v_add_u32_e32 v6, v9, v6
	v_cmp_eq_u16_sdwa vcc, v73, v59 src0_sel:BYTE_0 src1_sel:DWORD
	v_and_b32_e32 v9, 1, v73
	v_and_b32_e32 v7, 1, v7
	v_cndmask_b32_e32 v6, 0, v6, vcc
	v_cmp_eq_u32_e32 vcc, 1, v9
	v_add_u32_e32 v6, v6, v75
	s_nop 0
	v_cndmask_b32_e64 v7, v7, 1, vcc
.LBB1893_179:                           ; =>This Loop Header: Depth=1
                                        ;     Child Loop BB1893_182 Depth 2
                                        ;       Child Loop BB1893_183 Depth 3
	v_cmp_ne_u16_sdwa s[54:55], v8, v3 src0_sel:BYTE_0 src1_sel:DWORD
	v_mov_b32_e32 v73, v7
	v_mov_b32_e32 v75, v6
	v_cndmask_b32_e64 v7, 0, 1, s[54:55]
	;;#ASMSTART
	;;#ASMEND
	s_nop 0
	v_cmp_ne_u32_e32 vcc, 0, v7
	s_cmp_lg_u64 vcc, exec
	s_cbranch_scc1 .LBB1893_186
; %bb.180:                              ;   in Loop: Header=BB1893_179 Depth=1
	v_lshl_add_u64 v[60:61], v[58:59], 4, s[68:69]
	;;#ASMSTART
	global_load_dwordx4 v[6:9], v[60:61] off sc1	
s_waitcnt vmcnt(0)
	;;#ASMEND
	s_nop 0
	v_and_b32_e32 v9, 0xff0000, v6
	v_and_b32_e32 v78, 0xff000000, v6
	;; [unrolled: 1-line block ×3, first 2 shown]
	v_or_b32_sdwa v6, v6, v9 dst_sel:DWORD dst_unused:UNUSED_PAD src0_sel:WORD_0 src1_sel:DWORD
	v_or3_b32 v7, 0, 0, v7
	v_or3_b32 v6, v6, v78, 0
	v_cmp_eq_u16_sdwa s[66:67], v8, v59 src0_sel:BYTE_0 src1_sel:DWORD
	s_and_saveexec_b64 s[54:55], s[66:67]
	s_cbranch_execz .LBB1893_178
; %bb.181:                              ;   in Loop: Header=BB1893_179 Depth=1
	s_mov_b32 s71, 1
	s_mov_b64 s[66:67], 0
.LBB1893_182:                           ;   Parent Loop BB1893_179 Depth=1
                                        ; =>  This Loop Header: Depth=2
                                        ;       Child Loop BB1893_183 Depth 3
	s_max_u32 s76, s71, 1
.LBB1893_183:                           ;   Parent Loop BB1893_179 Depth=1
                                        ;     Parent Loop BB1893_182 Depth=2
                                        ; =>    This Inner Loop Header: Depth=3
	s_add_i32 s76, s76, -1
	s_cmp_eq_u32 s76, 0
	s_sleep 1
	s_cbranch_scc0 .LBB1893_183
; %bb.184:                              ;   in Loop: Header=BB1893_182 Depth=2
	s_cmp_lt_u32 s71, 32
	s_cselect_b64 s[76:77], -1, 0
	s_cmp_lg_u64 s[76:77], 0
	s_addc_u32 s71, s71, 0
	;;#ASMSTART
	global_load_dwordx4 v[6:9], v[60:61] off sc1	
s_waitcnt vmcnt(0)
	;;#ASMEND
	s_nop 0
	v_cmp_ne_u16_sdwa s[76:77], v8, v59 src0_sel:BYTE_0 src1_sel:DWORD
	s_or_b64 s[66:67], s[76:77], s[66:67]
	s_andn2_b64 exec, exec, s[66:67]
	s_cbranch_execnz .LBB1893_182
; %bb.185:                              ;   in Loop: Header=BB1893_179 Depth=1
	s_or_b64 exec, exec, s[66:67]
	v_and_b32_e32 v7, 0xff, v7
	s_branch .LBB1893_178
.LBB1893_186:                           ;   in Loop: Header=BB1893_179 Depth=1
                                        ; implicit-def: $vgpr7
                                        ; implicit-def: $vgpr6
                                        ; implicit-def: $vgpr8
	s_cbranch_execz .LBB1893_179
; %bb.187:
	s_and_saveexec_b64 s[54:55], s[50:51]
	s_cbranch_execz .LBB1893_189
; %bb.188:
	s_and_b32 s50, s3, 0xff
	s_cmp_eq_u32 s50, 0
	s_cselect_b64 vcc, -1, 0
	s_bitcmp1_b32 s3, 0
	s_mov_b32 s51, 0
	s_cselect_b64 s[64:65], -1, 0
	s_add_i32 s50, s2, 64
	s_lshl_b64 s[2:3], s[50:51], 4
	v_cndmask_b32_e32 v3, 0, v75, vcc
	s_add_u32 s2, s68, s2
	v_add_u32_e32 v2, v3, v2
	v_and_b32_e32 v3, 1, v73
	s_addc_u32 s3, s69, s3
	v_mov_b32_e32 v5, 0
	v_cndmask_b32_e64 v3, v3, 1, s[64:65]
	v_mov_b32_e32 v4, 2
	v_mov_b64_e32 v[6:7], s[2:3]
	;;#ASMSTART
	global_store_dwordx4 v[6:7], v[2:5] off sc1	
s_waitcnt vmcnt(0)
	;;#ASMEND
.LBB1893_189:
	s_or_b64 exec, exec, s[54:55]
	s_and_b64 exec, exec, s[48:49]
	s_cbranch_execz .LBB1893_191
; %bb.190:
	v_mov_b32_e32 v2, 0
	ds_write_b32 v2, v75
	ds_write_b8 v2, v73 offset:4
.LBB1893_191:
	s_or_b64 exec, exec, s[60:61]
	s_mov_b32 s2, 0
	v_mov_b32_e32 v2, 0
	s_mov_b32 s3, 1
	s_waitcnt lgkmcnt(0)
	s_barrier
	ds_read_b32 v3, v2
	v_cmp_gt_u64_e32 vcc, s[2:3], v[10:11]
	v_and_b32_e32 v5, 1, v11
	v_and_b32_e32 v6, 1, v63
	v_cndmask_b32_e32 v4, 0, v62, vcc
	v_cmp_eq_u32_e32 vcc, 1, v5
	v_cndmask_b32_e64 v4, v4, 0, s[48:49]
	s_nop 0
	v_cndmask_b32_e64 v5, v6, 1, vcc
	v_cndmask_b32_e64 v5, v5, v11, s[48:49]
	v_cmp_eq_u16_sdwa vcc, v5, v2 src0_sel:BYTE_0 src1_sel:DWORD
	s_waitcnt lgkmcnt(0)
	s_nop 0
	v_cndmask_b32_e32 v2, 0, v3, vcc
	v_add3_u32 v80, v4, v10, v2
	v_cndmask_b32_e64 v2, 0, v80, s[52:53]
	v_add_u32_e32 v58, v2, v12
	v_cndmask_b32_e64 v2, 0, v58, s[4:5]
	v_add_u32_e32 v59, v2, v14
	;; [unrolled: 2-line block ×22, first 2 shown]
	s_branch .LBB1893_212
.LBB1893_192:
                                        ; implicit-def: $vgpr78
                                        ; implicit-def: $vgpr77
                                        ; implicit-def: $vgpr76
                                        ; implicit-def: $vgpr75
                                        ; implicit-def: $vgpr74
                                        ; implicit-def: $vgpr73
                                        ; implicit-def: $vgpr72
                                        ; implicit-def: $vgpr71
                                        ; implicit-def: $vgpr70
                                        ; implicit-def: $vgpr69
                                        ; implicit-def: $vgpr68
                                        ; implicit-def: $vgpr67
                                        ; implicit-def: $vgpr66
                                        ; implicit-def: $vgpr65
                                        ; implicit-def: $vgpr64
                                        ; implicit-def: $vgpr63
                                        ; implicit-def: $vgpr62
                                        ; implicit-def: $vgpr61
                                        ; implicit-def: $vgpr60
                                        ; implicit-def: $vgpr59
                                        ; implicit-def: $vgpr58
                                        ; implicit-def: $vgpr80
                                        ; implicit-def: $vgpr79
	s_cbranch_execz .LBB1893_212
; %bb.193:
	s_cmp_lg_u64 s[74:75], 0
	s_cselect_b32 s5, s63, 0
	s_cselect_b32 s4, s62, 0
	s_cmp_lg_u64 s[4:5], 0
	s_cselect_b64 s[6:7], -1, 0
	v_cmp_eq_u32_e32 vcc, 0, v0
	s_mov_b32 s48, 0
	v_cmp_ne_u32_e64 s[2:3], 0, v0
	s_and_b64 s[8:9], vcc, s[6:7]
	s_and_saveexec_b64 s[6:7], s[8:9]
	s_cbranch_execz .LBB1893_195
; %bb.194:
	v_mov_b32_e32 v2, 0
	global_load_dword v4, v2, s[4:5]
	global_load_ubyte v5, v2, s[4:5] offset:4
	s_mov_b32 s49, 1
	v_and_b32_e32 v3, 1, v11
	v_cmp_gt_u64_e64 s[4:5], s[48:49], v[10:11]
	s_waitcnt vmcnt(0)
	v_and_b32_e32 v5, 1, v5
	v_cndmask_b32_e64 v4, 0, v4, s[4:5]
	v_cmp_eq_u64_e64 s[4:5], 0, v[2:3]
	v_add_u32_e32 v10, v4, v10
	s_nop 0
	v_cndmask_b32_e64 v11, 1, v5, s[4:5]
.LBB1893_195:
	s_or_b64 exec, exec, s[6:7]
	s_mov_b32 s49, 1
	v_cmp_gt_u64_e64 s[4:5], s[48:49], v[12:13]
	v_cmp_gt_u64_e64 s[6:7], s[48:49], v[14:15]
	v_cmp_gt_u64_e64 s[8:9], s[48:49], v[16:17]
	v_cndmask_b32_e64 v2, 0, v10, s[4:5]
	v_add_u32_e32 v58, v2, v12
	v_cndmask_b32_e64 v2, 0, v58, s[6:7]
	v_add_u32_e32 v59, v2, v14
	v_cndmask_b32_e64 v2, 0, v59, s[8:9]
	v_add_u32_e32 v60, v2, v16
	v_cmp_gt_u64_e64 s[10:11], s[48:49], v[18:19]
	v_cmp_gt_u64_e64 s[12:13], s[48:49], v[20:21]
	v_cmp_gt_u64_e64 s[14:15], s[48:49], v[22:23]
	v_cndmask_b32_e64 v2, 0, v60, s[10:11]
	v_add_u32_e32 v61, v2, v18
	v_cndmask_b32_e64 v2, 0, v61, s[12:13]
	v_add_u32_e32 v62, v2, v20
	v_cndmask_b32_e64 v2, 0, v62, s[14:15]
	v_add_u32_e32 v63, v2, v22
	;; [unrolled: 9-line block ×7, first 2 shown]
	v_cmp_gt_u64_e64 s[48:49], s[48:49], v[56:57]
	v_add_lshl_u32 v1, v1, v0, 3
	s_nop 0
	v_cndmask_b32_e64 v2, 0, v78, s[48:49]
	v_add_u32_e32 v79, v2, v56
	v_or3_b32 v2, v53, v51, v49
	v_or3_b32 v2, v2, v47, v45
	;; [unrolled: 1-line block ×10, first 2 shown]
	v_and_b32_e32 v2, 1, v2
	v_cmp_eq_u32_e64 s[50:51], 1, v2
	s_nop 1
	v_cndmask_b32_e64 v4, v11, 1, s[50:51]
	v_cmp_gt_u32_e64 s[50:51], 64, v0
	ds_write_b32 v1, v79
	ds_write_b8 v1, v4 offset:4
	s_waitcnt lgkmcnt(0)
	s_barrier
	s_and_saveexec_b64 s[52:53], s[50:51]
	s_cbranch_execz .LBB1893_207
; %bb.196:
	v_lshrrev_b32_e32 v1, 3, v0
	v_add_lshl_u32 v1, v1, v52, 3
	ds_read2_b32 v[6:7], v1 offset0:2 offset1:4
	ds_read_b64 v[2:3], v1
	ds_read_u8 v8, v1 offset:12
	ds_read_u8 v9, v1 offset:20
	ds_read_b32 v13, v1 offset:24
	ds_read_u8 v15, v1 offset:28
	v_mov_b32_e32 v17, 0
	s_waitcnt lgkmcnt(3)
	v_cmp_eq_u16_sdwa s[50:51], v8, v17 src0_sel:BYTE_0 src1_sel:DWORD
	v_and_b32_e32 v5, 1, v3
	s_nop 0
	v_cndmask_b32_e64 v19, 0, v2, s[50:51]
	v_add_u32_e32 v6, v19, v6
	s_waitcnt lgkmcnt(2)
	v_cmp_eq_u16_sdwa s[50:51], v9, v17 src0_sel:BYTE_0 src1_sel:DWORD
	s_nop 1
	v_cndmask_b32_e64 v6, 0, v6, s[50:51]
	v_add_u32_e32 v6, v6, v7
	s_waitcnt lgkmcnt(0)
	v_cmp_eq_u16_e64 s[50:51], 0, v15
	s_nop 1
	v_cndmask_b32_e64 v6, 0, v6, s[50:51]
	v_add_u32_e32 v7, v6, v13
	v_or_b32_e32 v6, v15, v9
	v_or_b32_e32 v6, v6, v8
	v_and_b32_e32 v6, 1, v6
	v_cmp_eq_u32_e64 s[50:51], 1, v6
	v_mbcnt_lo_u32_b32 v8, -1, 0
	v_and_b32_e32 v6, 0xffffff00, v3
	v_cndmask_b32_e64 v9, v5, 1, s[50:51]
	v_mbcnt_hi_u32_b32 v8, -1, v8
	v_and_b32_e32 v15, 15, v8
	v_or_b32_sdwa v13, v6, v9 dst_sel:DWORD dst_unused:UNUSED_PAD src0_sel:DWORD src1_sel:WORD_0
	v_mov_b32_dpp v17, v7 row_shr:1 row_mask:0xf bank_mask:0xf
	v_cmp_ne_u32_e64 s[50:51], 0, v15
	v_mov_b32_dpp v19, v13 row_shr:1 row_mask:0xf bank_mask:0xf
	s_and_saveexec_b64 s[54:55], s[50:51]
; %bb.197:
	v_and_b32_e32 v13, 1, v9
	v_and_b32_e32 v19, 1, v19
	v_cmp_eq_u32_e64 s[50:51], 1, v13
	s_nop 1
	v_cndmask_b32_e64 v19, v19, 1, s[50:51]
	v_cmp_eq_u16_e64 s[50:51], 0, v9
	v_or_b32_sdwa v13, v6, v19 dst_sel:DWORD dst_unused:UNUSED_PAD src0_sel:DWORD src1_sel:WORD_0
	s_nop 0
	v_cndmask_b32_e64 v9, 0, v17, s[50:51]
	v_add_u32_e32 v7, v9, v7
	v_mov_b32_e32 v9, v19
; %bb.198:
	s_or_b64 exec, exec, s[54:55]
	v_mov_b32_dpp v17, v7 row_shr:2 row_mask:0xf bank_mask:0xf
	v_mov_b32_dpp v19, v13 row_shr:2 row_mask:0xf bank_mask:0xf
	v_cmp_lt_u32_e64 s[50:51], 1, v15
	s_and_saveexec_b64 s[54:55], s[50:51]
; %bb.199:
	v_and_b32_e32 v13, 1, v9
	v_and_b32_e32 v19, 1, v19
	v_cmp_eq_u32_e64 s[50:51], 1, v13
	s_nop 1
	v_cndmask_b32_e64 v19, v19, 1, s[50:51]
	v_cmp_eq_u16_e64 s[50:51], 0, v9
	v_or_b32_sdwa v13, v6, v19 dst_sel:DWORD dst_unused:UNUSED_PAD src0_sel:DWORD src1_sel:WORD_0
	s_nop 0
	v_cndmask_b32_e64 v9, 0, v17, s[50:51]
	v_add_u32_e32 v7, v9, v7
	v_mov_b32_e32 v9, v19
; %bb.200:
	s_or_b64 exec, exec, s[54:55]
	v_mov_b32_dpp v17, v7 row_shr:4 row_mask:0xf bank_mask:0xf
	v_mov_b32_dpp v19, v13 row_shr:4 row_mask:0xf bank_mask:0xf
	v_cmp_lt_u32_e64 s[50:51], 3, v15
	;; [unrolled: 18-line block ×3, first 2 shown]
	s_and_saveexec_b64 s[54:55], s[50:51]
; %bb.203:
	v_and_b32_e32 v13, 1, v9
	v_and_b32_e32 v15, 1, v19
	v_cmp_eq_u32_e64 s[50:51], 1, v13
	s_nop 1
	v_cndmask_b32_e64 v15, v15, 1, s[50:51]
	v_cmp_eq_u16_e64 s[50:51], 0, v9
	v_or_b32_sdwa v13, v6, v15 dst_sel:DWORD dst_unused:UNUSED_PAD src0_sel:DWORD src1_sel:WORD_0
	s_nop 0
	v_cndmask_b32_e64 v9, 0, v17, s[50:51]
	v_add_u32_e32 v7, v9, v7
	v_mov_b32_e32 v9, v15
; %bb.204:
	s_or_b64 exec, exec, s[54:55]
	v_and_b32_e32 v19, 16, v8
	v_mov_b32_dpp v15, v7 row_bcast:15 row_mask:0xf bank_mask:0xf
	v_mov_b32_dpp v17, v13 row_bcast:15 row_mask:0xf bank_mask:0xf
	v_cmp_ne_u32_e64 s[50:51], 0, v19
	s_and_saveexec_b64 s[54:55], s[50:51]
; %bb.205:
	v_and_b32_e32 v13, 1, v9
	v_and_b32_e32 v17, 1, v17
	v_cmp_eq_u32_e64 s[50:51], 1, v13
	s_nop 1
	v_cndmask_b32_e64 v17, v17, 1, s[50:51]
	v_cmp_eq_u16_e64 s[50:51], 0, v9
	v_or_b32_sdwa v13, v6, v17 dst_sel:DWORD dst_unused:UNUSED_PAD src0_sel:DWORD src1_sel:WORD_0
	s_nop 0
	v_cndmask_b32_e64 v9, 0, v15, s[50:51]
	v_add_u32_e32 v7, v9, v7
	v_mov_b32_e32 v9, v17
; %bb.206:
	s_or_b64 exec, exec, s[54:55]
	v_mov_b32_dpp v13, v13 row_bcast:31 row_mask:0xf bank_mask:0xf
	v_and_b32_e32 v17, 1, v9
	v_and_b32_e32 v13, 1, v13
	v_cmp_eq_u32_e64 s[50:51], 1, v17
	v_mov_b32_e32 v17, 0
	v_cmp_eq_u16_sdwa s[54:55], v9, v17 src0_sel:BYTE_0 src1_sel:DWORD
	v_cndmask_b32_e64 v13, v13, 1, s[50:51]
	v_cmp_lt_u32_e64 s[50:51], 31, v8
	v_mov_b32_dpp v15, v7 row_bcast:31 row_mask:0xf bank_mask:0xf
	s_movk_i32 s60, 0xff
	v_cndmask_b32_e64 v9, v9, v13, s[50:51]
	s_and_b64 s[50:51], s[50:51], s[54:55]
	v_cndmask_b32_e64 v13, 0, v15, s[50:51]
	v_add_u32_e32 v7, v13, v7
	v_add_u32_e32 v13, -1, v8
	v_and_b32_e32 v15, 64, v8
	v_cmp_lt_i32_e64 s[50:51], v13, v15
	v_and_or_b32 v6, v9, s60, v6
	s_nop 0
	v_cndmask_b32_e64 v8, v13, v8, s[50:51]
	v_lshlrev_b32_e32 v8, 2, v8
	ds_bpermute_b32 v7, v8, v7
	ds_bpermute_b32 v6, v8, v6
	v_cmp_eq_u16_sdwa s[50:51], v3, v17 src0_sel:BYTE_0 src1_sel:DWORD
	; wave barrier
	s_waitcnt lgkmcnt(1)
	s_nop 0
	v_cndmask_b32_e64 v3, 0, v7, s[50:51]
	v_add_u32_e32 v2, v3, v2
	s_waitcnt lgkmcnt(0)
	v_and_b32_e32 v3, 1, v6
	v_cmp_eq_u32_e64 s[50:51], 1, v5
	v_cndmask_b32_e32 v5, v2, v79, vcc
	s_nop 0
	v_cndmask_b32_e64 v3, v3, 1, s[50:51]
	v_cndmask_b32_e32 v4, v3, v4, vcc
	ds_write_b32 v1, v5
	ds_write_b8 v1, v4 offset:4
	; wave barrier
	ds_read_u8 v6, v1 offset:12
	ds_read2_b32 v[2:3], v1 offset0:2 offset1:4
	ds_read_u8 v7, v1 offset:20
	ds_read_b32 v8, v1 offset:24
	ds_read_u8 v9, v1 offset:28
	s_waitcnt lgkmcnt(4)
	v_cmp_eq_u16_e64 s[50:51], 0, v6
	s_nop 1
	v_cndmask_b32_e64 v5, 0, v5, s[50:51]
	s_waitcnt lgkmcnt(3)
	v_add_u32_e32 v2, v5, v2
	v_and_b32_e32 v5, 1, v6
	v_cmp_eq_u32_e64 s[50:51], 1, v5
	s_nop 1
	v_cndmask_b32_e64 v4, v4, 1, s[50:51]
	s_waitcnt lgkmcnt(2)
	v_cmp_eq_u16_e64 s[50:51], 0, v7
	ds_write_b8 v1, v4 offset:12
	s_nop 0
	v_cndmask_b32_e64 v5, 0, v2, s[50:51]
	v_add_u32_e32 v3, v5, v3
	v_and_b32_e32 v5, 1, v7
	v_cmp_eq_u32_e64 s[50:51], 1, v5
	s_nop 1
	v_cndmask_b32_e64 v4, v4, 1, s[50:51]
	s_waitcnt lgkmcnt(1)
	v_cmp_eq_u16_e64 s[50:51], 0, v9
	ds_write2_b32 v1, v2, v3 offset0:2 offset1:4
	ds_write_b8 v1, v4 offset:20
	v_cndmask_b32_e64 v2, 0, v3, s[50:51]
	v_and_b32_e32 v3, 1, v9
	v_add_u32_e32 v2, v2, v8
	v_cmp_eq_u32_e64 s[50:51], 1, v3
	s_nop 1
	v_cndmask_b32_e64 v3, v4, 1, s[50:51]
	ds_write_b32 v1, v2 offset:24
	ds_write_b8 v1, v3 offset:28
.LBB1893_207:
	s_or_b64 exec, exec, s[52:53]
	v_mov_b32_e32 v1, v79
	s_waitcnt lgkmcnt(0)
	s_barrier
	s_and_saveexec_b64 s[50:51], s[2:3]
	s_cbranch_execnz .LBB1893_307
; %bb.208:
	s_or_b64 exec, exec, s[50:51]
	s_and_saveexec_b64 s[50:51], s[2:3]
	s_cbranch_execnz .LBB1893_308
.LBB1893_209:
	s_or_b64 exec, exec, s[50:51]
	s_and_saveexec_b64 s[2:3], vcc
	s_cbranch_execz .LBB1893_211
.LBB1893_210:
	v_mov_b32_e32 v5, 0
	ds_read_b32 v2, v5 offset:2096
	ds_read_u8 v3, v5 offset:2100
	s_add_u32 s4, s68, 0x400
	s_addc_u32 s5, s69, 0
	v_mov_b32_e32 v4, 2
	v_mov_b64_e32 v[6:7], s[4:5]
	s_waitcnt lgkmcnt(0)
	;;#ASMSTART
	global_store_dwordx4 v[6:7], v[2:5] off sc1	
s_waitcnt vmcnt(0)
	;;#ASMEND
.LBB1893_211:
	s_or_b64 exec, exec, s[2:3]
	v_mov_b32_e32 v80, v10
.LBB1893_212:
	s_add_u32 s2, s58, s72
	s_addc_u32 s3, s59, s73
	s_add_u32 s2, s2, s56
	s_addc_u32 s3, s3, s57
	s_and_b64 vcc, exec, s[0:1]
	s_cbranch_vccz .LBB1893_300
; %bb.213:
	s_add_i32 s33, s33, s70
	s_waitcnt lgkmcnt(0)
	v_mul_u32_u24_e32 v1, 23, v0
	v_cmp_gt_u32_e32 vcc, s33, v1
	v_mov_b32_e32 v53, 0
	v_mov_b32_e32 v9, 0
	v_mov_b32_e32 v24, 0
	v_mov_b32_e32 v23, 0
	v_mov_b32_e32 v22, 0
	v_mov_b32_e32 v21, 0
	v_mov_b32_e32 v20, 0
	v_mov_b32_e32 v19, 0
	v_mov_b32_e32 v18, 0
	v_mov_b32_e32 v17, 0
	v_mov_b32_e32 v16, 0
	v_mov_b32_e32 v15, 0
	v_mov_b32_e32 v14, 0
	v_mov_b32_e32 v13, 0
	v_mov_b32_e32 v12, 0
	v_mov_b32_e32 v11, 0
	v_mov_b32_e32 v10, 0
	v_mov_b32_e32 v8, 0
	v_mov_b32_e32 v7, 0
	v_mov_b32_e32 v6, 0
	v_mov_b32_e32 v5, 0
	v_mov_b32_e32 v4, 0
	v_mov_b32_e32 v3, 0
	v_mov_b32_e32 v2, 0
	s_and_saveexec_b64 s[4:5], vcc
	s_cbranch_execz .LBB1893_255
; %bb.214:
	v_add_u32_e32 v2, 1, v1
	v_cmp_gt_u32_e32 vcc, s33, v2
	v_mov_b32_e32 v2, 0
	v_mov_b32_e32 v3, 0
	;; [unrolled: 1-line block ×22, first 2 shown]
	s_and_saveexec_b64 s[6:7], vcc
	s_cbranch_execz .LBB1893_254
; %bb.215:
	v_add_u32_e32 v2, 2, v1
	v_cmp_gt_u32_e32 vcc, s33, v2
	v_mov_b32_e32 v2, 0
	v_mov_b32_e32 v3, 0
	;; [unrolled: 1-line block ×21, first 2 shown]
	s_and_saveexec_b64 s[8:9], vcc
	s_cbranch_execz .LBB1893_253
; %bb.216:
	v_add_u32_e32 v2, 3, v1
	v_cmp_gt_u32_e32 vcc, s33, v2
	v_mov_b32_e32 v2, 0
	v_mov_b32_e32 v3, 0
	;; [unrolled: 1-line block ×20, first 2 shown]
	s_and_saveexec_b64 s[10:11], vcc
	s_cbranch_execz .LBB1893_252
; %bb.217:
	v_add_u32_e32 v2, 4, v1
	v_cmp_gt_u32_e32 vcc, s33, v2
	v_mov_b32_e32 v2, 0
	v_mov_b32_e32 v3, 0
	;; [unrolled: 1-line block ×19, first 2 shown]
	s_and_saveexec_b64 s[12:13], vcc
	s_cbranch_execz .LBB1893_251
; %bb.218:
	v_add_u32_e32 v2, 5, v1
	v_cmp_gt_u32_e32 vcc, s33, v2
	v_mov_b32_e32 v2, 0
	v_mov_b32_e32 v3, 0
	;; [unrolled: 1-line block ×18, first 2 shown]
	s_and_saveexec_b64 s[14:15], vcc
	s_cbranch_execz .LBB1893_250
; %bb.219:
	v_add_u32_e32 v2, 6, v1
	v_cmp_gt_u32_e32 vcc, s33, v2
	v_mov_b32_e32 v2, 0
	v_mov_b32_e32 v3, 0
	;; [unrolled: 1-line block ×17, first 2 shown]
	s_and_saveexec_b64 s[16:17], vcc
	s_cbranch_execz .LBB1893_249
; %bb.220:
	v_add_u32_e32 v2, 7, v1
	v_cmp_gt_u32_e32 vcc, s33, v2
	v_mov_b32_e32 v2, 0
	v_mov_b32_e32 v3, 0
	;; [unrolled: 1-line block ×16, first 2 shown]
	s_and_saveexec_b64 s[18:19], vcc
	s_cbranch_execz .LBB1893_248
; %bb.221:
	v_add_u32_e32 v2, 8, v1
	v_cmp_gt_u32_e32 vcc, s33, v2
	v_mov_b32_e32 v2, 0
	v_mov_b32_e32 v3, 0
	;; [unrolled: 1-line block ×15, first 2 shown]
	s_and_saveexec_b64 s[20:21], vcc
	s_cbranch_execz .LBB1893_247
; %bb.222:
	v_add_u32_e32 v2, 9, v1
	v_cmp_gt_u32_e32 vcc, s33, v2
	v_mov_b32_e32 v2, 0
	v_mov_b32_e32 v3, 0
	;; [unrolled: 1-line block ×14, first 2 shown]
	s_and_saveexec_b64 s[22:23], vcc
	s_cbranch_execz .LBB1893_246
; %bb.223:
	v_add_u32_e32 v2, 10, v1
	v_cmp_gt_u32_e32 vcc, s33, v2
	v_mov_b32_e32 v2, 0
	v_mov_b32_e32 v3, 0
	;; [unrolled: 1-line block ×13, first 2 shown]
	s_and_saveexec_b64 s[24:25], vcc
	s_cbranch_execz .LBB1893_245
; %bb.224:
	v_add_u32_e32 v2, 11, v1
	v_cmp_gt_u32_e32 vcc, s33, v2
	v_mov_b32_e32 v2, 0
	v_mov_b32_e32 v3, 0
	v_mov_b32_e32 v4, 0
	v_mov_b32_e32 v5, 0
	v_mov_b32_e32 v6, 0
	v_mov_b32_e32 v7, 0
	v_mov_b32_e32 v8, 0
	v_mov_b32_e32 v10, 0
	v_mov_b32_e32 v11, 0
	v_mov_b32_e32 v12, 0
	v_mov_b32_e32 v13, 0
	v_mov_b32_e32 v9, 0
	s_and_saveexec_b64 s[26:27], vcc
	s_cbranch_execz .LBB1893_244
; %bb.225:
	v_add_u32_e32 v2, 12, v1
	v_cmp_gt_u32_e32 vcc, s33, v2
	v_mov_b32_e32 v2, 0
	v_mov_b32_e32 v3, 0
	;; [unrolled: 1-line block ×11, first 2 shown]
	s_and_saveexec_b64 s[28:29], vcc
	s_cbranch_execz .LBB1893_243
; %bb.226:
	v_add_u32_e32 v2, 13, v1
	v_cmp_gt_u32_e32 vcc, s33, v2
	v_mov_b32_e32 v2, 0
	v_mov_b32_e32 v3, 0
	v_mov_b32_e32 v4, 0
	v_mov_b32_e32 v5, 0
	v_mov_b32_e32 v6, 0
	v_mov_b32_e32 v7, 0
	v_mov_b32_e32 v8, 0
	v_mov_b32_e32 v10, 0
	v_mov_b32_e32 v11, 0
	v_mov_b32_e32 v9, 0
	s_and_saveexec_b64 s[30:31], vcc
	s_cbranch_execz .LBB1893_242
; %bb.227:
	v_add_u32_e32 v2, 14, v1
	v_cmp_gt_u32_e32 vcc, s33, v2
	v_mov_b32_e32 v2, 0
	v_mov_b32_e32 v3, 0
	;; [unrolled: 1-line block ×9, first 2 shown]
	s_and_saveexec_b64 s[34:35], vcc
	s_cbranch_execz .LBB1893_241
; %bb.228:
	v_add_u32_e32 v2, 15, v1
	v_cmp_gt_u32_e32 vcc, s33, v2
	v_mov_b32_e32 v2, 0
	v_mov_b32_e32 v3, 0
	;; [unrolled: 1-line block ×8, first 2 shown]
	s_and_saveexec_b64 s[36:37], vcc
	s_cbranch_execz .LBB1893_240
; %bb.229:
	v_add_u32_e32 v2, 16, v1
	v_cmp_gt_u32_e32 vcc, s33, v2
	v_mov_b32_e32 v2, 0
	v_mov_b32_e32 v3, 0
	;; [unrolled: 1-line block ×7, first 2 shown]
	s_and_saveexec_b64 s[38:39], vcc
	s_cbranch_execz .LBB1893_239
; %bb.230:
	v_add_u32_e32 v2, 17, v1
	v_cmp_gt_u32_e32 vcc, s33, v2
	v_mov_b32_e32 v2, 0
	v_mov_b32_e32 v3, 0
	v_mov_b32_e32 v4, 0
	v_mov_b32_e32 v5, 0
	v_mov_b32_e32 v6, 0
	v_mov_b32_e32 v9, 0
	s_and_saveexec_b64 s[40:41], vcc
	s_cbranch_execz .LBB1893_238
; %bb.231:
	v_add_u32_e32 v2, 18, v1
	v_cmp_gt_u32_e32 vcc, s33, v2
	v_mov_b32_e32 v2, 0
	v_mov_b32_e32 v3, 0
	v_mov_b32_e32 v4, 0
	v_mov_b32_e32 v5, 0
	v_mov_b32_e32 v9, 0
	s_and_saveexec_b64 s[42:43], vcc
	s_cbranch_execz .LBB1893_237
; %bb.232:
	v_add_u32_e32 v2, 19, v1
	v_cmp_gt_u32_e32 vcc, s33, v2
	v_mov_b32_e32 v2, 0
	v_mov_b32_e32 v3, 0
	;; [unrolled: 1-line block ×4, first 2 shown]
	s_and_saveexec_b64 s[44:45], vcc
	s_cbranch_execz .LBB1893_236
; %bb.233:
	v_add_u32_e32 v2, 20, v1
	v_cmp_gt_u32_e32 vcc, s33, v2
	v_mov_b32_e32 v2, 0
	v_mov_b32_e32 v3, 0
	;; [unrolled: 1-line block ×3, first 2 shown]
	s_and_saveexec_b64 s[46:47], vcc
; %bb.234:
	v_add_u32_e32 v2, 21, v1
	v_add_u32_e32 v3, 22, v1
	v_cmp_gt_u32_e32 vcc, s33, v2
	v_cmp_gt_u32_e64 s[0:1], s33, v3
	v_mov_b32_e32 v3, v77
	v_cndmask_b32_e32 v2, 0, v78, vcc
	s_and_b64 vcc, vcc, s[0:1]
	v_cndmask_b32_e32 v9, 0, v79, vcc
; %bb.235:
	s_or_b64 exec, exec, s[46:47]
	v_mov_b32_e32 v4, v76
.LBB1893_236:
	s_or_b64 exec, exec, s[44:45]
	v_mov_b32_e32 v5, v75
.LBB1893_237:
	s_or_b64 exec, exec, s[42:43]
	v_mov_b32_e32 v6, v74
.LBB1893_238:
	s_or_b64 exec, exec, s[40:41]
	v_mov_b32_e32 v7, v73
.LBB1893_239:
	s_or_b64 exec, exec, s[38:39]
	v_mov_b32_e32 v8, v72
.LBB1893_240:
	s_or_b64 exec, exec, s[36:37]
	v_mov_b32_e32 v10, v71
.LBB1893_241:
	s_or_b64 exec, exec, s[34:35]
	v_mov_b32_e32 v11, v70
.LBB1893_242:
	s_or_b64 exec, exec, s[30:31]
	v_mov_b32_e32 v12, v69
.LBB1893_243:
	s_or_b64 exec, exec, s[28:29]
	v_mov_b32_e32 v13, v68
.LBB1893_244:
	s_or_b64 exec, exec, s[26:27]
	v_mov_b32_e32 v14, v67
.LBB1893_245:
	s_or_b64 exec, exec, s[24:25]
	v_mov_b32_e32 v15, v66
.LBB1893_246:
	s_or_b64 exec, exec, s[22:23]
	v_mov_b32_e32 v16, v65
.LBB1893_247:
	s_or_b64 exec, exec, s[20:21]
	v_mov_b32_e32 v17, v64
.LBB1893_248:
	s_or_b64 exec, exec, s[18:19]
	v_mov_b32_e32 v18, v63
.LBB1893_249:
	s_or_b64 exec, exec, s[16:17]
	v_mov_b32_e32 v19, v62
.LBB1893_250:
	s_or_b64 exec, exec, s[14:15]
	v_mov_b32_e32 v20, v61
.LBB1893_251:
	s_or_b64 exec, exec, s[12:13]
	v_mov_b32_e32 v21, v60
.LBB1893_252:
	s_or_b64 exec, exec, s[10:11]
	v_mov_b32_e32 v22, v59
.LBB1893_253:
	s_or_b64 exec, exec, s[8:9]
	v_mov_b32_e32 v23, v58
.LBB1893_254:
	s_or_b64 exec, exec, s[6:7]
	v_mov_b32_e32 v24, v80
.LBB1893_255:
	s_or_b64 exec, exec, s[4:5]
	v_lshlrev_b32_e32 v1, 2, v1
	s_movk_i32 s0, 0xffa8
	s_barrier
	ds_write2_b32 v1, v24, v23 offset1:1
	ds_write2_b32 v1, v22, v21 offset0:2 offset1:3
	ds_write2_b32 v1, v20, v19 offset0:4 offset1:5
	;; [unrolled: 1-line block ×10, first 2 shown]
	ds_write_b32 v1, v9 offset:88
	v_mad_i32_i24 v2, v0, s0, v1
	s_waitcnt lgkmcnt(0)
	s_barrier
	ds_read2st64_b32 v[24:25], v2 offset0:4 offset1:8
	ds_read2st64_b32 v[22:23], v2 offset0:12 offset1:16
	;; [unrolled: 1-line block ×11, first 2 shown]
	v_lshl_add_u64 v[4:5], s[2:3], 0, v[52:53]
	v_cmp_gt_u32_e32 vcc, s33, v0
	s_and_saveexec_b64 s[0:1], vcc
	s_cbranch_execz .LBB1893_257
; %bb.256:
	v_mul_i32_i24_e32 v26, 0xffffffa8, v0
	v_add_u32_e32 v1, v1, v26
	ds_read_b32 v1, v1
	s_waitcnt lgkmcnt(0)
	flat_store_dword v[4:5], v1
.LBB1893_257:
	s_or_b64 exec, exec, s[0:1]
	v_or_b32_e32 v1, 0x100, v0
	v_cmp_gt_u32_e32 vcc, s33, v1
	s_and_saveexec_b64 s[0:1], vcc
	s_cbranch_execz .LBB1893_259
; %bb.258:
	s_waitcnt lgkmcnt(0)
	flat_store_dword v[4:5], v24 offset:1024
.LBB1893_259:
	s_or_b64 exec, exec, s[0:1]
	v_or_b32_e32 v1, 0x200, v0
	v_cmp_gt_u32_e32 vcc, s33, v1
	s_and_saveexec_b64 s[0:1], vcc
	s_cbranch_execz .LBB1893_261
; %bb.260:
	s_waitcnt lgkmcnt(0)
	flat_store_dword v[4:5], v25 offset:2048
.LBB1893_261:
	;; [unrolled: 9-line block ×3, first 2 shown]
	s_or_b64 exec, exec, s[0:1]
	v_or_b32_e32 v1, 0x400, v0
	v_cmp_gt_u32_e32 vcc, s33, v1
	s_and_saveexec_b64 s[0:1], vcc
	s_cbranch_execz .LBB1893_265
; %bb.264:
	s_waitcnt lgkmcnt(0)
	v_add_co_u32_e32 v24, vcc, 0x1000, v4
	s_nop 1
	v_addc_co_u32_e32 v25, vcc, 0, v5, vcc
	flat_store_dword v[24:25], v23
.LBB1893_265:
	s_or_b64 exec, exec, s[0:1]
	v_or_b32_e32 v1, 0x500, v0
	v_cmp_gt_u32_e32 vcc, s33, v1
	s_and_saveexec_b64 s[0:1], vcc
	s_cbranch_execz .LBB1893_267
; %bb.266:
	s_waitcnt lgkmcnt(0)
	v_add_co_u32_e32 v22, vcc, 0x1000, v4
	s_nop 1
	v_addc_co_u32_e32 v23, vcc, 0, v5, vcc
	flat_store_dword v[22:23], v20 offset:1024
.LBB1893_267:
	s_or_b64 exec, exec, s[0:1]
	v_or_b32_e32 v1, 0x600, v0
	v_cmp_gt_u32_e32 vcc, s33, v1
	s_and_saveexec_b64 s[0:1], vcc
	s_cbranch_execz .LBB1893_269
; %bb.268:
	s_waitcnt lgkmcnt(0)
	v_add_co_u32_e32 v22, vcc, 0x1000, v4
	s_nop 1
	v_addc_co_u32_e32 v23, vcc, 0, v5, vcc
	flat_store_dword v[22:23], v21 offset:2048
.LBB1893_269:
	s_or_b64 exec, exec, s[0:1]
	v_or_b32_e32 v1, 0x700, v0
	v_cmp_gt_u32_e32 vcc, s33, v1
	s_and_saveexec_b64 s[0:1], vcc
	s_cbranch_execz .LBB1893_271
; %bb.270:
	s_waitcnt lgkmcnt(0)
	v_add_co_u32_e32 v20, vcc, 0x1000, v4
	s_nop 1
	v_addc_co_u32_e32 v21, vcc, 0, v5, vcc
	flat_store_dword v[20:21], v18 offset:3072
.LBB1893_271:
	s_or_b64 exec, exec, s[0:1]
	v_or_b32_e32 v1, 0x800, v0
	v_cmp_gt_u32_e32 vcc, s33, v1
	s_and_saveexec_b64 s[0:1], vcc
	s_cbranch_execz .LBB1893_273
; %bb.272:
	s_waitcnt lgkmcnt(0)
	v_add_co_u32_e32 v20, vcc, 0x2000, v4
	s_nop 1
	v_addc_co_u32_e32 v21, vcc, 0, v5, vcc
	flat_store_dword v[20:21], v19
.LBB1893_273:
	s_or_b64 exec, exec, s[0:1]
	v_or_b32_e32 v1, 0x900, v0
	v_cmp_gt_u32_e32 vcc, s33, v1
	s_and_saveexec_b64 s[0:1], vcc
	s_cbranch_execz .LBB1893_275
; %bb.274:
	s_waitcnt lgkmcnt(0)
	v_add_co_u32_e32 v18, vcc, 0x2000, v4
	s_nop 1
	v_addc_co_u32_e32 v19, vcc, 0, v5, vcc
	flat_store_dword v[18:19], v16 offset:1024
.LBB1893_275:
	s_or_b64 exec, exec, s[0:1]
	v_or_b32_e32 v1, 0xa00, v0
	v_cmp_gt_u32_e32 vcc, s33, v1
	s_and_saveexec_b64 s[0:1], vcc
	s_cbranch_execz .LBB1893_277
; %bb.276:
	s_waitcnt lgkmcnt(0)
	v_add_co_u32_e32 v18, vcc, 0x2000, v4
	s_nop 1
	v_addc_co_u32_e32 v19, vcc, 0, v5, vcc
	flat_store_dword v[18:19], v17 offset:2048
.LBB1893_277:
	s_or_b64 exec, exec, s[0:1]
	v_or_b32_e32 v1, 0xb00, v0
	v_cmp_gt_u32_e32 vcc, s33, v1
	s_and_saveexec_b64 s[0:1], vcc
	s_cbranch_execz .LBB1893_279
; %bb.278:
	s_waitcnt lgkmcnt(0)
	v_add_co_u32_e32 v16, vcc, 0x2000, v4
	s_nop 1
	v_addc_co_u32_e32 v17, vcc, 0, v5, vcc
	flat_store_dword v[16:17], v14 offset:3072
.LBB1893_279:
	;; [unrolled: 48-line block ×4, first 2 shown]
	s_or_b64 exec, exec, s[0:1]
	v_or_b32_e32 v1, 0x1400, v0
	v_cmp_gt_u32_e32 vcc, s33, v1
	s_and_saveexec_b64 s[0:1], vcc
	s_cbranch_execz .LBB1893_297
; %bb.296:
	s_waitcnt lgkmcnt(0)
	v_add_co_u32_e32 v8, vcc, 0x5000, v4
	s_nop 1
	v_addc_co_u32_e32 v9, vcc, 0, v5, vcc
	flat_store_dword v[8:9], v7
.LBB1893_297:
	s_or_b64 exec, exec, s[0:1]
	v_or_b32_e32 v1, 0x1500, v0
	v_cmp_gt_u32_e32 vcc, s33, v1
	s_and_saveexec_b64 s[0:1], vcc
	s_cbranch_execz .LBB1893_299
; %bb.298:
	v_add_co_u32_e32 v4, vcc, 0x5000, v4
	s_nop 1
	v_addc_co_u32_e32 v5, vcc, 0, v5, vcc
	s_waitcnt lgkmcnt(0)
	flat_store_dword v[4:5], v2 offset:1024
.LBB1893_299:
	s_or_b64 exec, exec, s[0:1]
	s_waitcnt lgkmcnt(0)
	v_or_b32_e32 v2, 0x1600, v0
	v_mov_b32_e32 v1, v53
	v_cmp_gt_u32_e64 s[0:1], s33, v2
	s_branch .LBB1893_302
.LBB1893_300:
	s_mov_b64 s[0:1], 0
                                        ; implicit-def: $vgpr3
	s_cbranch_execz .LBB1893_302
; %bb.301:
	s_waitcnt lgkmcnt(0)
	v_mul_u32_u24_e32 v1, 0x5c, v0
	s_barrier
	s_movk_i32 s4, 0x5c
	ds_write2_b32 v1, v80, v58 offset1:1
	ds_write2_b32 v1, v59, v60 offset0:2 offset1:3
	ds_write2_b32 v1, v61, v62 offset0:4 offset1:5
	;; [unrolled: 1-line block ×10, first 2 shown]
	ds_write_b32 v1, v79 offset:88
	v_mov_b32_e32 v1, 0
	v_mul_i32_i24_e32 v2, 0xffffffa8, v0
	v_mad_u32_u24 v2, v0, s4, v2
	v_mov_b32_e32 v53, v1
	s_waitcnt lgkmcnt(0)
	s_barrier
	ds_read2st64_b32 v[4:5], v2 offset1:4
	ds_read2st64_b32 v[6:7], v2 offset0:8 offset1:12
	ds_read2st64_b32 v[8:9], v2 offset0:16 offset1:20
	;; [unrolled: 1-line block ×10, first 2 shown]
	ds_read_b32 v3, v2 offset:22528
	v_lshl_add_u64 v[26:27], s[2:3], 0, v[52:53]
	s_movk_i32 s4, 0x1000
	s_waitcnt lgkmcnt(0)
	flat_store_dword v[26:27], v4
	flat_store_dword v[26:27], v5 offset:1024
	flat_store_dword v[26:27], v6 offset:2048
	;; [unrolled: 1-line block ×3, first 2 shown]
	v_add_co_u32_e32 v4, vcc, s4, v26
	s_movk_i32 s4, 0x2000
	s_nop 0
	v_addc_co_u32_e32 v5, vcc, 0, v27, vcc
	flat_store_dword v[4:5], v8
	flat_store_dword v[4:5], v9 offset:1024
	flat_store_dword v[4:5], v10 offset:2048
	;; [unrolled: 1-line block ×3, first 2 shown]
	v_add_co_u32_e32 v4, vcc, s4, v26
	s_movk_i32 s4, 0x3000
	s_nop 0
	v_addc_co_u32_e32 v5, vcc, 0, v27, vcc
	flat_store_dword v[4:5], v12
	flat_store_dword v[4:5], v13 offset:1024
	flat_store_dword v[4:5], v14 offset:2048
	;; [unrolled: 1-line block ×3, first 2 shown]
	v_add_co_u32_e32 v4, vcc, s4, v26
	s_or_b64 s[0:1], s[0:1], exec
	s_nop 0
	v_addc_co_u32_e32 v5, vcc, 0, v27, vcc
	flat_store_dword v[4:5], v16
	flat_store_dword v[4:5], v17 offset:1024
	flat_store_dword v[4:5], v18 offset:2048
	;; [unrolled: 1-line block ×3, first 2 shown]
	v_add_co_u32_e32 v4, vcc, 0x4000, v26
	s_nop 1
	v_addc_co_u32_e32 v5, vcc, 0, v27, vcc
	flat_store_dword v[4:5], v20
	flat_store_dword v[4:5], v21 offset:1024
	flat_store_dword v[4:5], v22 offset:2048
	;; [unrolled: 1-line block ×3, first 2 shown]
	v_add_co_u32_e32 v4, vcc, 0x5000, v26
	s_nop 1
	v_addc_co_u32_e32 v5, vcc, 0, v27, vcc
	flat_store_dword v[4:5], v24
	flat_store_dword v[4:5], v25 offset:1024
.LBB1893_302:
	s_and_saveexec_b64 s[4:5], s[0:1]
	s_cbranch_execnz .LBB1893_304
; %bb.303:
	s_endpgm
.LBB1893_304:
	s_waitcnt lgkmcnt(0)
	v_lshl_add_u64 v[0:1], v[0:1], 2, s[2:3]
	v_add_co_u32_e32 v0, vcc, 0x5000, v0
	s_nop 1
	v_addc_co_u32_e32 v1, vcc, 0, v1, vcc
	flat_store_dword v[0:1], v3 offset:2048
	s_endpgm
.LBB1893_305:
	v_lshlrev_b32_e32 v34, 2, v26
	v_mov_b32_e32 v35, 0
	v_lshl_add_u64 v[34:35], s[52:53], 0, v[34:35]
	flat_load_dword v25, v[34:35]
	s_or_b64 exec, exec, s[4:5]
	s_and_saveexec_b64 s[4:5], s[46:47]
	s_cbranch_execz .LBB1893_95
.LBB1893_306:
	v_lshlrev_b32_e32 v26, 2, v27
	v_mov_b32_e32 v27, 0
	v_lshl_add_u64 v[26:27], s[52:53], 0, v[26:27]
	flat_load_dword v24, v[26:27]
	s_or_b64 exec, exec, s[4:5]
	v_mov_b32_e32 v26, 0
	s_and_saveexec_b64 s[4:5], s[48:49]
	s_cbranch_execnz .LBB1893_96
	s_branch .LBB1893_97
.LBB1893_307:
	v_add_u32_e32 v1, -1, v0
	v_lshrrev_b32_e32 v2, 5, v1
	v_add_lshl_u32 v1, v2, v1, 3
	ds_read_b32 v1, v1
	s_or_b64 exec, exec, s[50:51]
	s_and_saveexec_b64 s[50:51], s[2:3]
	s_cbranch_execz .LBB1893_209
.LBB1893_308:
	v_and_b32_e32 v3, 0xff, v11
	v_mov_b32_e32 v2, 0
	v_cmp_eq_u64_e64 s[2:3], 0, v[2:3]
	;;#ASMSTART
	;;#ASMEND
	s_waitcnt lgkmcnt(0)
	s_nop 0
	v_cndmask_b32_e64 v1, 0, v1, s[2:3]
	v_add_u32_e32 v10, v1, v10
	v_cndmask_b32_e64 v1, 0, v10, s[4:5]
	v_add_u32_e32 v58, v1, v12
	;; [unrolled: 2-line block ×23, first 2 shown]
	s_or_b64 exec, exec, s[50:51]
	s_and_saveexec_b64 s[2:3], vcc
	s_cbranch_execnz .LBB1893_210
	s_branch .LBB1893_211
.LBB1893_309:
                                        ; implicit-def: $sgpr60_sgpr61
	s_branch .LBB1893_50
.LBB1893_310:
                                        ; implicit-def: $sgpr4_sgpr5
	s_branch .LBB1893_146
	.section	.rodata,"a",@progbits
	.p2align	6, 0x0
	.amdhsa_kernel _ZN7rocprim17ROCPRIM_400000_NS6detail17trampoline_kernelINS0_14default_configENS1_27scan_by_key_config_selectorIj11FixedVectorIiLj1EEEEZZNS1_16scan_by_key_implILNS1_25lookback_scan_determinismE0ELb0ES3_N6thrust23THRUST_200600_302600_NS6detail15normal_iteratorINSB_10device_ptrIjEEEENSD_INSE_IS6_EEEESI_S6_NSB_4plusIvEENSB_8equal_toIvEES6_EE10hipError_tPvRmT2_T3_T4_T5_mT6_T7_P12ihipStream_tbENKUlT_T0_E_clISt17integral_constantIbLb1EES12_IbLb0EEEEDaSY_SZ_EUlSY_E_NS1_11comp_targetILNS1_3genE5ELNS1_11target_archE942ELNS1_3gpuE9ELNS1_3repE0EEENS1_30default_config_static_selectorELNS0_4arch9wavefront6targetE1EEEvT1_
		.amdhsa_group_segment_fixed_size 25600
		.amdhsa_private_segment_fixed_size 0
		.amdhsa_kernarg_size 112
		.amdhsa_user_sgpr_count 2
		.amdhsa_user_sgpr_dispatch_ptr 0
		.amdhsa_user_sgpr_queue_ptr 0
		.amdhsa_user_sgpr_kernarg_segment_ptr 1
		.amdhsa_user_sgpr_dispatch_id 0
		.amdhsa_user_sgpr_kernarg_preload_length 0
		.amdhsa_user_sgpr_kernarg_preload_offset 0
		.amdhsa_user_sgpr_private_segment_size 0
		.amdhsa_uses_dynamic_stack 0
		.amdhsa_enable_private_segment 0
		.amdhsa_system_sgpr_workgroup_id_x 1
		.amdhsa_system_sgpr_workgroup_id_y 0
		.amdhsa_system_sgpr_workgroup_id_z 0
		.amdhsa_system_sgpr_workgroup_info 0
		.amdhsa_system_vgpr_workitem_id 0
		.amdhsa_next_free_vgpr 81
		.amdhsa_next_free_sgpr 82
		.amdhsa_accum_offset 84
		.amdhsa_reserve_vcc 1
		.amdhsa_float_round_mode_32 0
		.amdhsa_float_round_mode_16_64 0
		.amdhsa_float_denorm_mode_32 3
		.amdhsa_float_denorm_mode_16_64 3
		.amdhsa_dx10_clamp 1
		.amdhsa_ieee_mode 1
		.amdhsa_fp16_overflow 0
		.amdhsa_tg_split 0
		.amdhsa_exception_fp_ieee_invalid_op 0
		.amdhsa_exception_fp_denorm_src 0
		.amdhsa_exception_fp_ieee_div_zero 0
		.amdhsa_exception_fp_ieee_overflow 0
		.amdhsa_exception_fp_ieee_underflow 0
		.amdhsa_exception_fp_ieee_inexact 0
		.amdhsa_exception_int_div_zero 0
	.end_amdhsa_kernel
	.section	.text._ZN7rocprim17ROCPRIM_400000_NS6detail17trampoline_kernelINS0_14default_configENS1_27scan_by_key_config_selectorIj11FixedVectorIiLj1EEEEZZNS1_16scan_by_key_implILNS1_25lookback_scan_determinismE0ELb0ES3_N6thrust23THRUST_200600_302600_NS6detail15normal_iteratorINSB_10device_ptrIjEEEENSD_INSE_IS6_EEEESI_S6_NSB_4plusIvEENSB_8equal_toIvEES6_EE10hipError_tPvRmT2_T3_T4_T5_mT6_T7_P12ihipStream_tbENKUlT_T0_E_clISt17integral_constantIbLb1EES12_IbLb0EEEEDaSY_SZ_EUlSY_E_NS1_11comp_targetILNS1_3genE5ELNS1_11target_archE942ELNS1_3gpuE9ELNS1_3repE0EEENS1_30default_config_static_selectorELNS0_4arch9wavefront6targetE1EEEvT1_,"axG",@progbits,_ZN7rocprim17ROCPRIM_400000_NS6detail17trampoline_kernelINS0_14default_configENS1_27scan_by_key_config_selectorIj11FixedVectorIiLj1EEEEZZNS1_16scan_by_key_implILNS1_25lookback_scan_determinismE0ELb0ES3_N6thrust23THRUST_200600_302600_NS6detail15normal_iteratorINSB_10device_ptrIjEEEENSD_INSE_IS6_EEEESI_S6_NSB_4plusIvEENSB_8equal_toIvEES6_EE10hipError_tPvRmT2_T3_T4_T5_mT6_T7_P12ihipStream_tbENKUlT_T0_E_clISt17integral_constantIbLb1EES12_IbLb0EEEEDaSY_SZ_EUlSY_E_NS1_11comp_targetILNS1_3genE5ELNS1_11target_archE942ELNS1_3gpuE9ELNS1_3repE0EEENS1_30default_config_static_selectorELNS0_4arch9wavefront6targetE1EEEvT1_,comdat
.Lfunc_end1893:
	.size	_ZN7rocprim17ROCPRIM_400000_NS6detail17trampoline_kernelINS0_14default_configENS1_27scan_by_key_config_selectorIj11FixedVectorIiLj1EEEEZZNS1_16scan_by_key_implILNS1_25lookback_scan_determinismE0ELb0ES3_N6thrust23THRUST_200600_302600_NS6detail15normal_iteratorINSB_10device_ptrIjEEEENSD_INSE_IS6_EEEESI_S6_NSB_4plusIvEENSB_8equal_toIvEES6_EE10hipError_tPvRmT2_T3_T4_T5_mT6_T7_P12ihipStream_tbENKUlT_T0_E_clISt17integral_constantIbLb1EES12_IbLb0EEEEDaSY_SZ_EUlSY_E_NS1_11comp_targetILNS1_3genE5ELNS1_11target_archE942ELNS1_3gpuE9ELNS1_3repE0EEENS1_30default_config_static_selectorELNS0_4arch9wavefront6targetE1EEEvT1_, .Lfunc_end1893-_ZN7rocprim17ROCPRIM_400000_NS6detail17trampoline_kernelINS0_14default_configENS1_27scan_by_key_config_selectorIj11FixedVectorIiLj1EEEEZZNS1_16scan_by_key_implILNS1_25lookback_scan_determinismE0ELb0ES3_N6thrust23THRUST_200600_302600_NS6detail15normal_iteratorINSB_10device_ptrIjEEEENSD_INSE_IS6_EEEESI_S6_NSB_4plusIvEENSB_8equal_toIvEES6_EE10hipError_tPvRmT2_T3_T4_T5_mT6_T7_P12ihipStream_tbENKUlT_T0_E_clISt17integral_constantIbLb1EES12_IbLb0EEEEDaSY_SZ_EUlSY_E_NS1_11comp_targetILNS1_3genE5ELNS1_11target_archE942ELNS1_3gpuE9ELNS1_3repE0EEENS1_30default_config_static_selectorELNS0_4arch9wavefront6targetE1EEEvT1_
                                        ; -- End function
	.section	.AMDGPU.csdata,"",@progbits
; Kernel info:
; codeLenInByte = 17060
; NumSgprs: 88
; NumVgprs: 81
; NumAgprs: 0
; TotalNumVgprs: 81
; ScratchSize: 0
; MemoryBound: 0
; FloatMode: 240
; IeeeMode: 1
; LDSByteSize: 25600 bytes/workgroup (compile time only)
; SGPRBlocks: 10
; VGPRBlocks: 10
; NumSGPRsForWavesPerEU: 88
; NumVGPRsForWavesPerEU: 81
; AccumOffset: 84
; Occupancy: 2
; WaveLimiterHint : 1
; COMPUTE_PGM_RSRC2:SCRATCH_EN: 0
; COMPUTE_PGM_RSRC2:USER_SGPR: 2
; COMPUTE_PGM_RSRC2:TRAP_HANDLER: 0
; COMPUTE_PGM_RSRC2:TGID_X_EN: 1
; COMPUTE_PGM_RSRC2:TGID_Y_EN: 0
; COMPUTE_PGM_RSRC2:TGID_Z_EN: 0
; COMPUTE_PGM_RSRC2:TIDIG_COMP_CNT: 0
; COMPUTE_PGM_RSRC3_GFX90A:ACCUM_OFFSET: 20
; COMPUTE_PGM_RSRC3_GFX90A:TG_SPLIT: 0
	.section	.text._ZN7rocprim17ROCPRIM_400000_NS6detail17trampoline_kernelINS0_14default_configENS1_27scan_by_key_config_selectorIj11FixedVectorIiLj1EEEEZZNS1_16scan_by_key_implILNS1_25lookback_scan_determinismE0ELb0ES3_N6thrust23THRUST_200600_302600_NS6detail15normal_iteratorINSB_10device_ptrIjEEEENSD_INSE_IS6_EEEESI_S6_NSB_4plusIvEENSB_8equal_toIvEES6_EE10hipError_tPvRmT2_T3_T4_T5_mT6_T7_P12ihipStream_tbENKUlT_T0_E_clISt17integral_constantIbLb1EES12_IbLb0EEEEDaSY_SZ_EUlSY_E_NS1_11comp_targetILNS1_3genE4ELNS1_11target_archE910ELNS1_3gpuE8ELNS1_3repE0EEENS1_30default_config_static_selectorELNS0_4arch9wavefront6targetE1EEEvT1_,"axG",@progbits,_ZN7rocprim17ROCPRIM_400000_NS6detail17trampoline_kernelINS0_14default_configENS1_27scan_by_key_config_selectorIj11FixedVectorIiLj1EEEEZZNS1_16scan_by_key_implILNS1_25lookback_scan_determinismE0ELb0ES3_N6thrust23THRUST_200600_302600_NS6detail15normal_iteratorINSB_10device_ptrIjEEEENSD_INSE_IS6_EEEESI_S6_NSB_4plusIvEENSB_8equal_toIvEES6_EE10hipError_tPvRmT2_T3_T4_T5_mT6_T7_P12ihipStream_tbENKUlT_T0_E_clISt17integral_constantIbLb1EES12_IbLb0EEEEDaSY_SZ_EUlSY_E_NS1_11comp_targetILNS1_3genE4ELNS1_11target_archE910ELNS1_3gpuE8ELNS1_3repE0EEENS1_30default_config_static_selectorELNS0_4arch9wavefront6targetE1EEEvT1_,comdat
	.protected	_ZN7rocprim17ROCPRIM_400000_NS6detail17trampoline_kernelINS0_14default_configENS1_27scan_by_key_config_selectorIj11FixedVectorIiLj1EEEEZZNS1_16scan_by_key_implILNS1_25lookback_scan_determinismE0ELb0ES3_N6thrust23THRUST_200600_302600_NS6detail15normal_iteratorINSB_10device_ptrIjEEEENSD_INSE_IS6_EEEESI_S6_NSB_4plusIvEENSB_8equal_toIvEES6_EE10hipError_tPvRmT2_T3_T4_T5_mT6_T7_P12ihipStream_tbENKUlT_T0_E_clISt17integral_constantIbLb1EES12_IbLb0EEEEDaSY_SZ_EUlSY_E_NS1_11comp_targetILNS1_3genE4ELNS1_11target_archE910ELNS1_3gpuE8ELNS1_3repE0EEENS1_30default_config_static_selectorELNS0_4arch9wavefront6targetE1EEEvT1_ ; -- Begin function _ZN7rocprim17ROCPRIM_400000_NS6detail17trampoline_kernelINS0_14default_configENS1_27scan_by_key_config_selectorIj11FixedVectorIiLj1EEEEZZNS1_16scan_by_key_implILNS1_25lookback_scan_determinismE0ELb0ES3_N6thrust23THRUST_200600_302600_NS6detail15normal_iteratorINSB_10device_ptrIjEEEENSD_INSE_IS6_EEEESI_S6_NSB_4plusIvEENSB_8equal_toIvEES6_EE10hipError_tPvRmT2_T3_T4_T5_mT6_T7_P12ihipStream_tbENKUlT_T0_E_clISt17integral_constantIbLb1EES12_IbLb0EEEEDaSY_SZ_EUlSY_E_NS1_11comp_targetILNS1_3genE4ELNS1_11target_archE910ELNS1_3gpuE8ELNS1_3repE0EEENS1_30default_config_static_selectorELNS0_4arch9wavefront6targetE1EEEvT1_
	.globl	_ZN7rocprim17ROCPRIM_400000_NS6detail17trampoline_kernelINS0_14default_configENS1_27scan_by_key_config_selectorIj11FixedVectorIiLj1EEEEZZNS1_16scan_by_key_implILNS1_25lookback_scan_determinismE0ELb0ES3_N6thrust23THRUST_200600_302600_NS6detail15normal_iteratorINSB_10device_ptrIjEEEENSD_INSE_IS6_EEEESI_S6_NSB_4plusIvEENSB_8equal_toIvEES6_EE10hipError_tPvRmT2_T3_T4_T5_mT6_T7_P12ihipStream_tbENKUlT_T0_E_clISt17integral_constantIbLb1EES12_IbLb0EEEEDaSY_SZ_EUlSY_E_NS1_11comp_targetILNS1_3genE4ELNS1_11target_archE910ELNS1_3gpuE8ELNS1_3repE0EEENS1_30default_config_static_selectorELNS0_4arch9wavefront6targetE1EEEvT1_
	.p2align	8
	.type	_ZN7rocprim17ROCPRIM_400000_NS6detail17trampoline_kernelINS0_14default_configENS1_27scan_by_key_config_selectorIj11FixedVectorIiLj1EEEEZZNS1_16scan_by_key_implILNS1_25lookback_scan_determinismE0ELb0ES3_N6thrust23THRUST_200600_302600_NS6detail15normal_iteratorINSB_10device_ptrIjEEEENSD_INSE_IS6_EEEESI_S6_NSB_4plusIvEENSB_8equal_toIvEES6_EE10hipError_tPvRmT2_T3_T4_T5_mT6_T7_P12ihipStream_tbENKUlT_T0_E_clISt17integral_constantIbLb1EES12_IbLb0EEEEDaSY_SZ_EUlSY_E_NS1_11comp_targetILNS1_3genE4ELNS1_11target_archE910ELNS1_3gpuE8ELNS1_3repE0EEENS1_30default_config_static_selectorELNS0_4arch9wavefront6targetE1EEEvT1_,@function
_ZN7rocprim17ROCPRIM_400000_NS6detail17trampoline_kernelINS0_14default_configENS1_27scan_by_key_config_selectorIj11FixedVectorIiLj1EEEEZZNS1_16scan_by_key_implILNS1_25lookback_scan_determinismE0ELb0ES3_N6thrust23THRUST_200600_302600_NS6detail15normal_iteratorINSB_10device_ptrIjEEEENSD_INSE_IS6_EEEESI_S6_NSB_4plusIvEENSB_8equal_toIvEES6_EE10hipError_tPvRmT2_T3_T4_T5_mT6_T7_P12ihipStream_tbENKUlT_T0_E_clISt17integral_constantIbLb1EES12_IbLb0EEEEDaSY_SZ_EUlSY_E_NS1_11comp_targetILNS1_3genE4ELNS1_11target_archE910ELNS1_3gpuE8ELNS1_3repE0EEENS1_30default_config_static_selectorELNS0_4arch9wavefront6targetE1EEEvT1_: ; @_ZN7rocprim17ROCPRIM_400000_NS6detail17trampoline_kernelINS0_14default_configENS1_27scan_by_key_config_selectorIj11FixedVectorIiLj1EEEEZZNS1_16scan_by_key_implILNS1_25lookback_scan_determinismE0ELb0ES3_N6thrust23THRUST_200600_302600_NS6detail15normal_iteratorINSB_10device_ptrIjEEEENSD_INSE_IS6_EEEESI_S6_NSB_4plusIvEENSB_8equal_toIvEES6_EE10hipError_tPvRmT2_T3_T4_T5_mT6_T7_P12ihipStream_tbENKUlT_T0_E_clISt17integral_constantIbLb1EES12_IbLb0EEEEDaSY_SZ_EUlSY_E_NS1_11comp_targetILNS1_3genE4ELNS1_11target_archE910ELNS1_3gpuE8ELNS1_3repE0EEENS1_30default_config_static_selectorELNS0_4arch9wavefront6targetE1EEEvT1_
; %bb.0:
	.section	.rodata,"a",@progbits
	.p2align	6, 0x0
	.amdhsa_kernel _ZN7rocprim17ROCPRIM_400000_NS6detail17trampoline_kernelINS0_14default_configENS1_27scan_by_key_config_selectorIj11FixedVectorIiLj1EEEEZZNS1_16scan_by_key_implILNS1_25lookback_scan_determinismE0ELb0ES3_N6thrust23THRUST_200600_302600_NS6detail15normal_iteratorINSB_10device_ptrIjEEEENSD_INSE_IS6_EEEESI_S6_NSB_4plusIvEENSB_8equal_toIvEES6_EE10hipError_tPvRmT2_T3_T4_T5_mT6_T7_P12ihipStream_tbENKUlT_T0_E_clISt17integral_constantIbLb1EES12_IbLb0EEEEDaSY_SZ_EUlSY_E_NS1_11comp_targetILNS1_3genE4ELNS1_11target_archE910ELNS1_3gpuE8ELNS1_3repE0EEENS1_30default_config_static_selectorELNS0_4arch9wavefront6targetE1EEEvT1_
		.amdhsa_group_segment_fixed_size 0
		.amdhsa_private_segment_fixed_size 0
		.amdhsa_kernarg_size 112
		.amdhsa_user_sgpr_count 2
		.amdhsa_user_sgpr_dispatch_ptr 0
		.amdhsa_user_sgpr_queue_ptr 0
		.amdhsa_user_sgpr_kernarg_segment_ptr 1
		.amdhsa_user_sgpr_dispatch_id 0
		.amdhsa_user_sgpr_kernarg_preload_length 0
		.amdhsa_user_sgpr_kernarg_preload_offset 0
		.amdhsa_user_sgpr_private_segment_size 0
		.amdhsa_uses_dynamic_stack 0
		.amdhsa_enable_private_segment 0
		.amdhsa_system_sgpr_workgroup_id_x 1
		.amdhsa_system_sgpr_workgroup_id_y 0
		.amdhsa_system_sgpr_workgroup_id_z 0
		.amdhsa_system_sgpr_workgroup_info 0
		.amdhsa_system_vgpr_workitem_id 0
		.amdhsa_next_free_vgpr 1
		.amdhsa_next_free_sgpr 0
		.amdhsa_accum_offset 4
		.amdhsa_reserve_vcc 0
		.amdhsa_float_round_mode_32 0
		.amdhsa_float_round_mode_16_64 0
		.amdhsa_float_denorm_mode_32 3
		.amdhsa_float_denorm_mode_16_64 3
		.amdhsa_dx10_clamp 1
		.amdhsa_ieee_mode 1
		.amdhsa_fp16_overflow 0
		.amdhsa_tg_split 0
		.amdhsa_exception_fp_ieee_invalid_op 0
		.amdhsa_exception_fp_denorm_src 0
		.amdhsa_exception_fp_ieee_div_zero 0
		.amdhsa_exception_fp_ieee_overflow 0
		.amdhsa_exception_fp_ieee_underflow 0
		.amdhsa_exception_fp_ieee_inexact 0
		.amdhsa_exception_int_div_zero 0
	.end_amdhsa_kernel
	.section	.text._ZN7rocprim17ROCPRIM_400000_NS6detail17trampoline_kernelINS0_14default_configENS1_27scan_by_key_config_selectorIj11FixedVectorIiLj1EEEEZZNS1_16scan_by_key_implILNS1_25lookback_scan_determinismE0ELb0ES3_N6thrust23THRUST_200600_302600_NS6detail15normal_iteratorINSB_10device_ptrIjEEEENSD_INSE_IS6_EEEESI_S6_NSB_4plusIvEENSB_8equal_toIvEES6_EE10hipError_tPvRmT2_T3_T4_T5_mT6_T7_P12ihipStream_tbENKUlT_T0_E_clISt17integral_constantIbLb1EES12_IbLb0EEEEDaSY_SZ_EUlSY_E_NS1_11comp_targetILNS1_3genE4ELNS1_11target_archE910ELNS1_3gpuE8ELNS1_3repE0EEENS1_30default_config_static_selectorELNS0_4arch9wavefront6targetE1EEEvT1_,"axG",@progbits,_ZN7rocprim17ROCPRIM_400000_NS6detail17trampoline_kernelINS0_14default_configENS1_27scan_by_key_config_selectorIj11FixedVectorIiLj1EEEEZZNS1_16scan_by_key_implILNS1_25lookback_scan_determinismE0ELb0ES3_N6thrust23THRUST_200600_302600_NS6detail15normal_iteratorINSB_10device_ptrIjEEEENSD_INSE_IS6_EEEESI_S6_NSB_4plusIvEENSB_8equal_toIvEES6_EE10hipError_tPvRmT2_T3_T4_T5_mT6_T7_P12ihipStream_tbENKUlT_T0_E_clISt17integral_constantIbLb1EES12_IbLb0EEEEDaSY_SZ_EUlSY_E_NS1_11comp_targetILNS1_3genE4ELNS1_11target_archE910ELNS1_3gpuE8ELNS1_3repE0EEENS1_30default_config_static_selectorELNS0_4arch9wavefront6targetE1EEEvT1_,comdat
.Lfunc_end1894:
	.size	_ZN7rocprim17ROCPRIM_400000_NS6detail17trampoline_kernelINS0_14default_configENS1_27scan_by_key_config_selectorIj11FixedVectorIiLj1EEEEZZNS1_16scan_by_key_implILNS1_25lookback_scan_determinismE0ELb0ES3_N6thrust23THRUST_200600_302600_NS6detail15normal_iteratorINSB_10device_ptrIjEEEENSD_INSE_IS6_EEEESI_S6_NSB_4plusIvEENSB_8equal_toIvEES6_EE10hipError_tPvRmT2_T3_T4_T5_mT6_T7_P12ihipStream_tbENKUlT_T0_E_clISt17integral_constantIbLb1EES12_IbLb0EEEEDaSY_SZ_EUlSY_E_NS1_11comp_targetILNS1_3genE4ELNS1_11target_archE910ELNS1_3gpuE8ELNS1_3repE0EEENS1_30default_config_static_selectorELNS0_4arch9wavefront6targetE1EEEvT1_, .Lfunc_end1894-_ZN7rocprim17ROCPRIM_400000_NS6detail17trampoline_kernelINS0_14default_configENS1_27scan_by_key_config_selectorIj11FixedVectorIiLj1EEEEZZNS1_16scan_by_key_implILNS1_25lookback_scan_determinismE0ELb0ES3_N6thrust23THRUST_200600_302600_NS6detail15normal_iteratorINSB_10device_ptrIjEEEENSD_INSE_IS6_EEEESI_S6_NSB_4plusIvEENSB_8equal_toIvEES6_EE10hipError_tPvRmT2_T3_T4_T5_mT6_T7_P12ihipStream_tbENKUlT_T0_E_clISt17integral_constantIbLb1EES12_IbLb0EEEEDaSY_SZ_EUlSY_E_NS1_11comp_targetILNS1_3genE4ELNS1_11target_archE910ELNS1_3gpuE8ELNS1_3repE0EEENS1_30default_config_static_selectorELNS0_4arch9wavefront6targetE1EEEvT1_
                                        ; -- End function
	.section	.AMDGPU.csdata,"",@progbits
; Kernel info:
; codeLenInByte = 0
; NumSgprs: 6
; NumVgprs: 0
; NumAgprs: 0
; TotalNumVgprs: 0
; ScratchSize: 0
; MemoryBound: 0
; FloatMode: 240
; IeeeMode: 1
; LDSByteSize: 0 bytes/workgroup (compile time only)
; SGPRBlocks: 0
; VGPRBlocks: 0
; NumSGPRsForWavesPerEU: 6
; NumVGPRsForWavesPerEU: 1
; AccumOffset: 4
; Occupancy: 8
; WaveLimiterHint : 0
; COMPUTE_PGM_RSRC2:SCRATCH_EN: 0
; COMPUTE_PGM_RSRC2:USER_SGPR: 2
; COMPUTE_PGM_RSRC2:TRAP_HANDLER: 0
; COMPUTE_PGM_RSRC2:TGID_X_EN: 1
; COMPUTE_PGM_RSRC2:TGID_Y_EN: 0
; COMPUTE_PGM_RSRC2:TGID_Z_EN: 0
; COMPUTE_PGM_RSRC2:TIDIG_COMP_CNT: 0
; COMPUTE_PGM_RSRC3_GFX90A:ACCUM_OFFSET: 0
; COMPUTE_PGM_RSRC3_GFX90A:TG_SPLIT: 0
	.section	.text._ZN7rocprim17ROCPRIM_400000_NS6detail17trampoline_kernelINS0_14default_configENS1_27scan_by_key_config_selectorIj11FixedVectorIiLj1EEEEZZNS1_16scan_by_key_implILNS1_25lookback_scan_determinismE0ELb0ES3_N6thrust23THRUST_200600_302600_NS6detail15normal_iteratorINSB_10device_ptrIjEEEENSD_INSE_IS6_EEEESI_S6_NSB_4plusIvEENSB_8equal_toIvEES6_EE10hipError_tPvRmT2_T3_T4_T5_mT6_T7_P12ihipStream_tbENKUlT_T0_E_clISt17integral_constantIbLb1EES12_IbLb0EEEEDaSY_SZ_EUlSY_E_NS1_11comp_targetILNS1_3genE3ELNS1_11target_archE908ELNS1_3gpuE7ELNS1_3repE0EEENS1_30default_config_static_selectorELNS0_4arch9wavefront6targetE1EEEvT1_,"axG",@progbits,_ZN7rocprim17ROCPRIM_400000_NS6detail17trampoline_kernelINS0_14default_configENS1_27scan_by_key_config_selectorIj11FixedVectorIiLj1EEEEZZNS1_16scan_by_key_implILNS1_25lookback_scan_determinismE0ELb0ES3_N6thrust23THRUST_200600_302600_NS6detail15normal_iteratorINSB_10device_ptrIjEEEENSD_INSE_IS6_EEEESI_S6_NSB_4plusIvEENSB_8equal_toIvEES6_EE10hipError_tPvRmT2_T3_T4_T5_mT6_T7_P12ihipStream_tbENKUlT_T0_E_clISt17integral_constantIbLb1EES12_IbLb0EEEEDaSY_SZ_EUlSY_E_NS1_11comp_targetILNS1_3genE3ELNS1_11target_archE908ELNS1_3gpuE7ELNS1_3repE0EEENS1_30default_config_static_selectorELNS0_4arch9wavefront6targetE1EEEvT1_,comdat
	.protected	_ZN7rocprim17ROCPRIM_400000_NS6detail17trampoline_kernelINS0_14default_configENS1_27scan_by_key_config_selectorIj11FixedVectorIiLj1EEEEZZNS1_16scan_by_key_implILNS1_25lookback_scan_determinismE0ELb0ES3_N6thrust23THRUST_200600_302600_NS6detail15normal_iteratorINSB_10device_ptrIjEEEENSD_INSE_IS6_EEEESI_S6_NSB_4plusIvEENSB_8equal_toIvEES6_EE10hipError_tPvRmT2_T3_T4_T5_mT6_T7_P12ihipStream_tbENKUlT_T0_E_clISt17integral_constantIbLb1EES12_IbLb0EEEEDaSY_SZ_EUlSY_E_NS1_11comp_targetILNS1_3genE3ELNS1_11target_archE908ELNS1_3gpuE7ELNS1_3repE0EEENS1_30default_config_static_selectorELNS0_4arch9wavefront6targetE1EEEvT1_ ; -- Begin function _ZN7rocprim17ROCPRIM_400000_NS6detail17trampoline_kernelINS0_14default_configENS1_27scan_by_key_config_selectorIj11FixedVectorIiLj1EEEEZZNS1_16scan_by_key_implILNS1_25lookback_scan_determinismE0ELb0ES3_N6thrust23THRUST_200600_302600_NS6detail15normal_iteratorINSB_10device_ptrIjEEEENSD_INSE_IS6_EEEESI_S6_NSB_4plusIvEENSB_8equal_toIvEES6_EE10hipError_tPvRmT2_T3_T4_T5_mT6_T7_P12ihipStream_tbENKUlT_T0_E_clISt17integral_constantIbLb1EES12_IbLb0EEEEDaSY_SZ_EUlSY_E_NS1_11comp_targetILNS1_3genE3ELNS1_11target_archE908ELNS1_3gpuE7ELNS1_3repE0EEENS1_30default_config_static_selectorELNS0_4arch9wavefront6targetE1EEEvT1_
	.globl	_ZN7rocprim17ROCPRIM_400000_NS6detail17trampoline_kernelINS0_14default_configENS1_27scan_by_key_config_selectorIj11FixedVectorIiLj1EEEEZZNS1_16scan_by_key_implILNS1_25lookback_scan_determinismE0ELb0ES3_N6thrust23THRUST_200600_302600_NS6detail15normal_iteratorINSB_10device_ptrIjEEEENSD_INSE_IS6_EEEESI_S6_NSB_4plusIvEENSB_8equal_toIvEES6_EE10hipError_tPvRmT2_T3_T4_T5_mT6_T7_P12ihipStream_tbENKUlT_T0_E_clISt17integral_constantIbLb1EES12_IbLb0EEEEDaSY_SZ_EUlSY_E_NS1_11comp_targetILNS1_3genE3ELNS1_11target_archE908ELNS1_3gpuE7ELNS1_3repE0EEENS1_30default_config_static_selectorELNS0_4arch9wavefront6targetE1EEEvT1_
	.p2align	8
	.type	_ZN7rocprim17ROCPRIM_400000_NS6detail17trampoline_kernelINS0_14default_configENS1_27scan_by_key_config_selectorIj11FixedVectorIiLj1EEEEZZNS1_16scan_by_key_implILNS1_25lookback_scan_determinismE0ELb0ES3_N6thrust23THRUST_200600_302600_NS6detail15normal_iteratorINSB_10device_ptrIjEEEENSD_INSE_IS6_EEEESI_S6_NSB_4plusIvEENSB_8equal_toIvEES6_EE10hipError_tPvRmT2_T3_T4_T5_mT6_T7_P12ihipStream_tbENKUlT_T0_E_clISt17integral_constantIbLb1EES12_IbLb0EEEEDaSY_SZ_EUlSY_E_NS1_11comp_targetILNS1_3genE3ELNS1_11target_archE908ELNS1_3gpuE7ELNS1_3repE0EEENS1_30default_config_static_selectorELNS0_4arch9wavefront6targetE1EEEvT1_,@function
_ZN7rocprim17ROCPRIM_400000_NS6detail17trampoline_kernelINS0_14default_configENS1_27scan_by_key_config_selectorIj11FixedVectorIiLj1EEEEZZNS1_16scan_by_key_implILNS1_25lookback_scan_determinismE0ELb0ES3_N6thrust23THRUST_200600_302600_NS6detail15normal_iteratorINSB_10device_ptrIjEEEENSD_INSE_IS6_EEEESI_S6_NSB_4plusIvEENSB_8equal_toIvEES6_EE10hipError_tPvRmT2_T3_T4_T5_mT6_T7_P12ihipStream_tbENKUlT_T0_E_clISt17integral_constantIbLb1EES12_IbLb0EEEEDaSY_SZ_EUlSY_E_NS1_11comp_targetILNS1_3genE3ELNS1_11target_archE908ELNS1_3gpuE7ELNS1_3repE0EEENS1_30default_config_static_selectorELNS0_4arch9wavefront6targetE1EEEvT1_: ; @_ZN7rocprim17ROCPRIM_400000_NS6detail17trampoline_kernelINS0_14default_configENS1_27scan_by_key_config_selectorIj11FixedVectorIiLj1EEEEZZNS1_16scan_by_key_implILNS1_25lookback_scan_determinismE0ELb0ES3_N6thrust23THRUST_200600_302600_NS6detail15normal_iteratorINSB_10device_ptrIjEEEENSD_INSE_IS6_EEEESI_S6_NSB_4plusIvEENSB_8equal_toIvEES6_EE10hipError_tPvRmT2_T3_T4_T5_mT6_T7_P12ihipStream_tbENKUlT_T0_E_clISt17integral_constantIbLb1EES12_IbLb0EEEEDaSY_SZ_EUlSY_E_NS1_11comp_targetILNS1_3genE3ELNS1_11target_archE908ELNS1_3gpuE7ELNS1_3repE0EEENS1_30default_config_static_selectorELNS0_4arch9wavefront6targetE1EEEvT1_
; %bb.0:
	.section	.rodata,"a",@progbits
	.p2align	6, 0x0
	.amdhsa_kernel _ZN7rocprim17ROCPRIM_400000_NS6detail17trampoline_kernelINS0_14default_configENS1_27scan_by_key_config_selectorIj11FixedVectorIiLj1EEEEZZNS1_16scan_by_key_implILNS1_25lookback_scan_determinismE0ELb0ES3_N6thrust23THRUST_200600_302600_NS6detail15normal_iteratorINSB_10device_ptrIjEEEENSD_INSE_IS6_EEEESI_S6_NSB_4plusIvEENSB_8equal_toIvEES6_EE10hipError_tPvRmT2_T3_T4_T5_mT6_T7_P12ihipStream_tbENKUlT_T0_E_clISt17integral_constantIbLb1EES12_IbLb0EEEEDaSY_SZ_EUlSY_E_NS1_11comp_targetILNS1_3genE3ELNS1_11target_archE908ELNS1_3gpuE7ELNS1_3repE0EEENS1_30default_config_static_selectorELNS0_4arch9wavefront6targetE1EEEvT1_
		.amdhsa_group_segment_fixed_size 0
		.amdhsa_private_segment_fixed_size 0
		.amdhsa_kernarg_size 112
		.amdhsa_user_sgpr_count 2
		.amdhsa_user_sgpr_dispatch_ptr 0
		.amdhsa_user_sgpr_queue_ptr 0
		.amdhsa_user_sgpr_kernarg_segment_ptr 1
		.amdhsa_user_sgpr_dispatch_id 0
		.amdhsa_user_sgpr_kernarg_preload_length 0
		.amdhsa_user_sgpr_kernarg_preload_offset 0
		.amdhsa_user_sgpr_private_segment_size 0
		.amdhsa_uses_dynamic_stack 0
		.amdhsa_enable_private_segment 0
		.amdhsa_system_sgpr_workgroup_id_x 1
		.amdhsa_system_sgpr_workgroup_id_y 0
		.amdhsa_system_sgpr_workgroup_id_z 0
		.amdhsa_system_sgpr_workgroup_info 0
		.amdhsa_system_vgpr_workitem_id 0
		.amdhsa_next_free_vgpr 1
		.amdhsa_next_free_sgpr 0
		.amdhsa_accum_offset 4
		.amdhsa_reserve_vcc 0
		.amdhsa_float_round_mode_32 0
		.amdhsa_float_round_mode_16_64 0
		.amdhsa_float_denorm_mode_32 3
		.amdhsa_float_denorm_mode_16_64 3
		.amdhsa_dx10_clamp 1
		.amdhsa_ieee_mode 1
		.amdhsa_fp16_overflow 0
		.amdhsa_tg_split 0
		.amdhsa_exception_fp_ieee_invalid_op 0
		.amdhsa_exception_fp_denorm_src 0
		.amdhsa_exception_fp_ieee_div_zero 0
		.amdhsa_exception_fp_ieee_overflow 0
		.amdhsa_exception_fp_ieee_underflow 0
		.amdhsa_exception_fp_ieee_inexact 0
		.amdhsa_exception_int_div_zero 0
	.end_amdhsa_kernel
	.section	.text._ZN7rocprim17ROCPRIM_400000_NS6detail17trampoline_kernelINS0_14default_configENS1_27scan_by_key_config_selectorIj11FixedVectorIiLj1EEEEZZNS1_16scan_by_key_implILNS1_25lookback_scan_determinismE0ELb0ES3_N6thrust23THRUST_200600_302600_NS6detail15normal_iteratorINSB_10device_ptrIjEEEENSD_INSE_IS6_EEEESI_S6_NSB_4plusIvEENSB_8equal_toIvEES6_EE10hipError_tPvRmT2_T3_T4_T5_mT6_T7_P12ihipStream_tbENKUlT_T0_E_clISt17integral_constantIbLb1EES12_IbLb0EEEEDaSY_SZ_EUlSY_E_NS1_11comp_targetILNS1_3genE3ELNS1_11target_archE908ELNS1_3gpuE7ELNS1_3repE0EEENS1_30default_config_static_selectorELNS0_4arch9wavefront6targetE1EEEvT1_,"axG",@progbits,_ZN7rocprim17ROCPRIM_400000_NS6detail17trampoline_kernelINS0_14default_configENS1_27scan_by_key_config_selectorIj11FixedVectorIiLj1EEEEZZNS1_16scan_by_key_implILNS1_25lookback_scan_determinismE0ELb0ES3_N6thrust23THRUST_200600_302600_NS6detail15normal_iteratorINSB_10device_ptrIjEEEENSD_INSE_IS6_EEEESI_S6_NSB_4plusIvEENSB_8equal_toIvEES6_EE10hipError_tPvRmT2_T3_T4_T5_mT6_T7_P12ihipStream_tbENKUlT_T0_E_clISt17integral_constantIbLb1EES12_IbLb0EEEEDaSY_SZ_EUlSY_E_NS1_11comp_targetILNS1_3genE3ELNS1_11target_archE908ELNS1_3gpuE7ELNS1_3repE0EEENS1_30default_config_static_selectorELNS0_4arch9wavefront6targetE1EEEvT1_,comdat
.Lfunc_end1895:
	.size	_ZN7rocprim17ROCPRIM_400000_NS6detail17trampoline_kernelINS0_14default_configENS1_27scan_by_key_config_selectorIj11FixedVectorIiLj1EEEEZZNS1_16scan_by_key_implILNS1_25lookback_scan_determinismE0ELb0ES3_N6thrust23THRUST_200600_302600_NS6detail15normal_iteratorINSB_10device_ptrIjEEEENSD_INSE_IS6_EEEESI_S6_NSB_4plusIvEENSB_8equal_toIvEES6_EE10hipError_tPvRmT2_T3_T4_T5_mT6_T7_P12ihipStream_tbENKUlT_T0_E_clISt17integral_constantIbLb1EES12_IbLb0EEEEDaSY_SZ_EUlSY_E_NS1_11comp_targetILNS1_3genE3ELNS1_11target_archE908ELNS1_3gpuE7ELNS1_3repE0EEENS1_30default_config_static_selectorELNS0_4arch9wavefront6targetE1EEEvT1_, .Lfunc_end1895-_ZN7rocprim17ROCPRIM_400000_NS6detail17trampoline_kernelINS0_14default_configENS1_27scan_by_key_config_selectorIj11FixedVectorIiLj1EEEEZZNS1_16scan_by_key_implILNS1_25lookback_scan_determinismE0ELb0ES3_N6thrust23THRUST_200600_302600_NS6detail15normal_iteratorINSB_10device_ptrIjEEEENSD_INSE_IS6_EEEESI_S6_NSB_4plusIvEENSB_8equal_toIvEES6_EE10hipError_tPvRmT2_T3_T4_T5_mT6_T7_P12ihipStream_tbENKUlT_T0_E_clISt17integral_constantIbLb1EES12_IbLb0EEEEDaSY_SZ_EUlSY_E_NS1_11comp_targetILNS1_3genE3ELNS1_11target_archE908ELNS1_3gpuE7ELNS1_3repE0EEENS1_30default_config_static_selectorELNS0_4arch9wavefront6targetE1EEEvT1_
                                        ; -- End function
	.section	.AMDGPU.csdata,"",@progbits
; Kernel info:
; codeLenInByte = 0
; NumSgprs: 6
; NumVgprs: 0
; NumAgprs: 0
; TotalNumVgprs: 0
; ScratchSize: 0
; MemoryBound: 0
; FloatMode: 240
; IeeeMode: 1
; LDSByteSize: 0 bytes/workgroup (compile time only)
; SGPRBlocks: 0
; VGPRBlocks: 0
; NumSGPRsForWavesPerEU: 6
; NumVGPRsForWavesPerEU: 1
; AccumOffset: 4
; Occupancy: 8
; WaveLimiterHint : 0
; COMPUTE_PGM_RSRC2:SCRATCH_EN: 0
; COMPUTE_PGM_RSRC2:USER_SGPR: 2
; COMPUTE_PGM_RSRC2:TRAP_HANDLER: 0
; COMPUTE_PGM_RSRC2:TGID_X_EN: 1
; COMPUTE_PGM_RSRC2:TGID_Y_EN: 0
; COMPUTE_PGM_RSRC2:TGID_Z_EN: 0
; COMPUTE_PGM_RSRC2:TIDIG_COMP_CNT: 0
; COMPUTE_PGM_RSRC3_GFX90A:ACCUM_OFFSET: 0
; COMPUTE_PGM_RSRC3_GFX90A:TG_SPLIT: 0
	.section	.text._ZN7rocprim17ROCPRIM_400000_NS6detail17trampoline_kernelINS0_14default_configENS1_27scan_by_key_config_selectorIj11FixedVectorIiLj1EEEEZZNS1_16scan_by_key_implILNS1_25lookback_scan_determinismE0ELb0ES3_N6thrust23THRUST_200600_302600_NS6detail15normal_iteratorINSB_10device_ptrIjEEEENSD_INSE_IS6_EEEESI_S6_NSB_4plusIvEENSB_8equal_toIvEES6_EE10hipError_tPvRmT2_T3_T4_T5_mT6_T7_P12ihipStream_tbENKUlT_T0_E_clISt17integral_constantIbLb1EES12_IbLb0EEEEDaSY_SZ_EUlSY_E_NS1_11comp_targetILNS1_3genE2ELNS1_11target_archE906ELNS1_3gpuE6ELNS1_3repE0EEENS1_30default_config_static_selectorELNS0_4arch9wavefront6targetE1EEEvT1_,"axG",@progbits,_ZN7rocprim17ROCPRIM_400000_NS6detail17trampoline_kernelINS0_14default_configENS1_27scan_by_key_config_selectorIj11FixedVectorIiLj1EEEEZZNS1_16scan_by_key_implILNS1_25lookback_scan_determinismE0ELb0ES3_N6thrust23THRUST_200600_302600_NS6detail15normal_iteratorINSB_10device_ptrIjEEEENSD_INSE_IS6_EEEESI_S6_NSB_4plusIvEENSB_8equal_toIvEES6_EE10hipError_tPvRmT2_T3_T4_T5_mT6_T7_P12ihipStream_tbENKUlT_T0_E_clISt17integral_constantIbLb1EES12_IbLb0EEEEDaSY_SZ_EUlSY_E_NS1_11comp_targetILNS1_3genE2ELNS1_11target_archE906ELNS1_3gpuE6ELNS1_3repE0EEENS1_30default_config_static_selectorELNS0_4arch9wavefront6targetE1EEEvT1_,comdat
	.protected	_ZN7rocprim17ROCPRIM_400000_NS6detail17trampoline_kernelINS0_14default_configENS1_27scan_by_key_config_selectorIj11FixedVectorIiLj1EEEEZZNS1_16scan_by_key_implILNS1_25lookback_scan_determinismE0ELb0ES3_N6thrust23THRUST_200600_302600_NS6detail15normal_iteratorINSB_10device_ptrIjEEEENSD_INSE_IS6_EEEESI_S6_NSB_4plusIvEENSB_8equal_toIvEES6_EE10hipError_tPvRmT2_T3_T4_T5_mT6_T7_P12ihipStream_tbENKUlT_T0_E_clISt17integral_constantIbLb1EES12_IbLb0EEEEDaSY_SZ_EUlSY_E_NS1_11comp_targetILNS1_3genE2ELNS1_11target_archE906ELNS1_3gpuE6ELNS1_3repE0EEENS1_30default_config_static_selectorELNS0_4arch9wavefront6targetE1EEEvT1_ ; -- Begin function _ZN7rocprim17ROCPRIM_400000_NS6detail17trampoline_kernelINS0_14default_configENS1_27scan_by_key_config_selectorIj11FixedVectorIiLj1EEEEZZNS1_16scan_by_key_implILNS1_25lookback_scan_determinismE0ELb0ES3_N6thrust23THRUST_200600_302600_NS6detail15normal_iteratorINSB_10device_ptrIjEEEENSD_INSE_IS6_EEEESI_S6_NSB_4plusIvEENSB_8equal_toIvEES6_EE10hipError_tPvRmT2_T3_T4_T5_mT6_T7_P12ihipStream_tbENKUlT_T0_E_clISt17integral_constantIbLb1EES12_IbLb0EEEEDaSY_SZ_EUlSY_E_NS1_11comp_targetILNS1_3genE2ELNS1_11target_archE906ELNS1_3gpuE6ELNS1_3repE0EEENS1_30default_config_static_selectorELNS0_4arch9wavefront6targetE1EEEvT1_
	.globl	_ZN7rocprim17ROCPRIM_400000_NS6detail17trampoline_kernelINS0_14default_configENS1_27scan_by_key_config_selectorIj11FixedVectorIiLj1EEEEZZNS1_16scan_by_key_implILNS1_25lookback_scan_determinismE0ELb0ES3_N6thrust23THRUST_200600_302600_NS6detail15normal_iteratorINSB_10device_ptrIjEEEENSD_INSE_IS6_EEEESI_S6_NSB_4plusIvEENSB_8equal_toIvEES6_EE10hipError_tPvRmT2_T3_T4_T5_mT6_T7_P12ihipStream_tbENKUlT_T0_E_clISt17integral_constantIbLb1EES12_IbLb0EEEEDaSY_SZ_EUlSY_E_NS1_11comp_targetILNS1_3genE2ELNS1_11target_archE906ELNS1_3gpuE6ELNS1_3repE0EEENS1_30default_config_static_selectorELNS0_4arch9wavefront6targetE1EEEvT1_
	.p2align	8
	.type	_ZN7rocprim17ROCPRIM_400000_NS6detail17trampoline_kernelINS0_14default_configENS1_27scan_by_key_config_selectorIj11FixedVectorIiLj1EEEEZZNS1_16scan_by_key_implILNS1_25lookback_scan_determinismE0ELb0ES3_N6thrust23THRUST_200600_302600_NS6detail15normal_iteratorINSB_10device_ptrIjEEEENSD_INSE_IS6_EEEESI_S6_NSB_4plusIvEENSB_8equal_toIvEES6_EE10hipError_tPvRmT2_T3_T4_T5_mT6_T7_P12ihipStream_tbENKUlT_T0_E_clISt17integral_constantIbLb1EES12_IbLb0EEEEDaSY_SZ_EUlSY_E_NS1_11comp_targetILNS1_3genE2ELNS1_11target_archE906ELNS1_3gpuE6ELNS1_3repE0EEENS1_30default_config_static_selectorELNS0_4arch9wavefront6targetE1EEEvT1_,@function
_ZN7rocprim17ROCPRIM_400000_NS6detail17trampoline_kernelINS0_14default_configENS1_27scan_by_key_config_selectorIj11FixedVectorIiLj1EEEEZZNS1_16scan_by_key_implILNS1_25lookback_scan_determinismE0ELb0ES3_N6thrust23THRUST_200600_302600_NS6detail15normal_iteratorINSB_10device_ptrIjEEEENSD_INSE_IS6_EEEESI_S6_NSB_4plusIvEENSB_8equal_toIvEES6_EE10hipError_tPvRmT2_T3_T4_T5_mT6_T7_P12ihipStream_tbENKUlT_T0_E_clISt17integral_constantIbLb1EES12_IbLb0EEEEDaSY_SZ_EUlSY_E_NS1_11comp_targetILNS1_3genE2ELNS1_11target_archE906ELNS1_3gpuE6ELNS1_3repE0EEENS1_30default_config_static_selectorELNS0_4arch9wavefront6targetE1EEEvT1_: ; @_ZN7rocprim17ROCPRIM_400000_NS6detail17trampoline_kernelINS0_14default_configENS1_27scan_by_key_config_selectorIj11FixedVectorIiLj1EEEEZZNS1_16scan_by_key_implILNS1_25lookback_scan_determinismE0ELb0ES3_N6thrust23THRUST_200600_302600_NS6detail15normal_iteratorINSB_10device_ptrIjEEEENSD_INSE_IS6_EEEESI_S6_NSB_4plusIvEENSB_8equal_toIvEES6_EE10hipError_tPvRmT2_T3_T4_T5_mT6_T7_P12ihipStream_tbENKUlT_T0_E_clISt17integral_constantIbLb1EES12_IbLb0EEEEDaSY_SZ_EUlSY_E_NS1_11comp_targetILNS1_3genE2ELNS1_11target_archE906ELNS1_3gpuE6ELNS1_3repE0EEENS1_30default_config_static_selectorELNS0_4arch9wavefront6targetE1EEEvT1_
; %bb.0:
	.section	.rodata,"a",@progbits
	.p2align	6, 0x0
	.amdhsa_kernel _ZN7rocprim17ROCPRIM_400000_NS6detail17trampoline_kernelINS0_14default_configENS1_27scan_by_key_config_selectorIj11FixedVectorIiLj1EEEEZZNS1_16scan_by_key_implILNS1_25lookback_scan_determinismE0ELb0ES3_N6thrust23THRUST_200600_302600_NS6detail15normal_iteratorINSB_10device_ptrIjEEEENSD_INSE_IS6_EEEESI_S6_NSB_4plusIvEENSB_8equal_toIvEES6_EE10hipError_tPvRmT2_T3_T4_T5_mT6_T7_P12ihipStream_tbENKUlT_T0_E_clISt17integral_constantIbLb1EES12_IbLb0EEEEDaSY_SZ_EUlSY_E_NS1_11comp_targetILNS1_3genE2ELNS1_11target_archE906ELNS1_3gpuE6ELNS1_3repE0EEENS1_30default_config_static_selectorELNS0_4arch9wavefront6targetE1EEEvT1_
		.amdhsa_group_segment_fixed_size 0
		.amdhsa_private_segment_fixed_size 0
		.amdhsa_kernarg_size 112
		.amdhsa_user_sgpr_count 2
		.amdhsa_user_sgpr_dispatch_ptr 0
		.amdhsa_user_sgpr_queue_ptr 0
		.amdhsa_user_sgpr_kernarg_segment_ptr 1
		.amdhsa_user_sgpr_dispatch_id 0
		.amdhsa_user_sgpr_kernarg_preload_length 0
		.amdhsa_user_sgpr_kernarg_preload_offset 0
		.amdhsa_user_sgpr_private_segment_size 0
		.amdhsa_uses_dynamic_stack 0
		.amdhsa_enable_private_segment 0
		.amdhsa_system_sgpr_workgroup_id_x 1
		.amdhsa_system_sgpr_workgroup_id_y 0
		.amdhsa_system_sgpr_workgroup_id_z 0
		.amdhsa_system_sgpr_workgroup_info 0
		.amdhsa_system_vgpr_workitem_id 0
		.amdhsa_next_free_vgpr 1
		.amdhsa_next_free_sgpr 0
		.amdhsa_accum_offset 4
		.amdhsa_reserve_vcc 0
		.amdhsa_float_round_mode_32 0
		.amdhsa_float_round_mode_16_64 0
		.amdhsa_float_denorm_mode_32 3
		.amdhsa_float_denorm_mode_16_64 3
		.amdhsa_dx10_clamp 1
		.amdhsa_ieee_mode 1
		.amdhsa_fp16_overflow 0
		.amdhsa_tg_split 0
		.amdhsa_exception_fp_ieee_invalid_op 0
		.amdhsa_exception_fp_denorm_src 0
		.amdhsa_exception_fp_ieee_div_zero 0
		.amdhsa_exception_fp_ieee_overflow 0
		.amdhsa_exception_fp_ieee_underflow 0
		.amdhsa_exception_fp_ieee_inexact 0
		.amdhsa_exception_int_div_zero 0
	.end_amdhsa_kernel
	.section	.text._ZN7rocprim17ROCPRIM_400000_NS6detail17trampoline_kernelINS0_14default_configENS1_27scan_by_key_config_selectorIj11FixedVectorIiLj1EEEEZZNS1_16scan_by_key_implILNS1_25lookback_scan_determinismE0ELb0ES3_N6thrust23THRUST_200600_302600_NS6detail15normal_iteratorINSB_10device_ptrIjEEEENSD_INSE_IS6_EEEESI_S6_NSB_4plusIvEENSB_8equal_toIvEES6_EE10hipError_tPvRmT2_T3_T4_T5_mT6_T7_P12ihipStream_tbENKUlT_T0_E_clISt17integral_constantIbLb1EES12_IbLb0EEEEDaSY_SZ_EUlSY_E_NS1_11comp_targetILNS1_3genE2ELNS1_11target_archE906ELNS1_3gpuE6ELNS1_3repE0EEENS1_30default_config_static_selectorELNS0_4arch9wavefront6targetE1EEEvT1_,"axG",@progbits,_ZN7rocprim17ROCPRIM_400000_NS6detail17trampoline_kernelINS0_14default_configENS1_27scan_by_key_config_selectorIj11FixedVectorIiLj1EEEEZZNS1_16scan_by_key_implILNS1_25lookback_scan_determinismE0ELb0ES3_N6thrust23THRUST_200600_302600_NS6detail15normal_iteratorINSB_10device_ptrIjEEEENSD_INSE_IS6_EEEESI_S6_NSB_4plusIvEENSB_8equal_toIvEES6_EE10hipError_tPvRmT2_T3_T4_T5_mT6_T7_P12ihipStream_tbENKUlT_T0_E_clISt17integral_constantIbLb1EES12_IbLb0EEEEDaSY_SZ_EUlSY_E_NS1_11comp_targetILNS1_3genE2ELNS1_11target_archE906ELNS1_3gpuE6ELNS1_3repE0EEENS1_30default_config_static_selectorELNS0_4arch9wavefront6targetE1EEEvT1_,comdat
.Lfunc_end1896:
	.size	_ZN7rocprim17ROCPRIM_400000_NS6detail17trampoline_kernelINS0_14default_configENS1_27scan_by_key_config_selectorIj11FixedVectorIiLj1EEEEZZNS1_16scan_by_key_implILNS1_25lookback_scan_determinismE0ELb0ES3_N6thrust23THRUST_200600_302600_NS6detail15normal_iteratorINSB_10device_ptrIjEEEENSD_INSE_IS6_EEEESI_S6_NSB_4plusIvEENSB_8equal_toIvEES6_EE10hipError_tPvRmT2_T3_T4_T5_mT6_T7_P12ihipStream_tbENKUlT_T0_E_clISt17integral_constantIbLb1EES12_IbLb0EEEEDaSY_SZ_EUlSY_E_NS1_11comp_targetILNS1_3genE2ELNS1_11target_archE906ELNS1_3gpuE6ELNS1_3repE0EEENS1_30default_config_static_selectorELNS0_4arch9wavefront6targetE1EEEvT1_, .Lfunc_end1896-_ZN7rocprim17ROCPRIM_400000_NS6detail17trampoline_kernelINS0_14default_configENS1_27scan_by_key_config_selectorIj11FixedVectorIiLj1EEEEZZNS1_16scan_by_key_implILNS1_25lookback_scan_determinismE0ELb0ES3_N6thrust23THRUST_200600_302600_NS6detail15normal_iteratorINSB_10device_ptrIjEEEENSD_INSE_IS6_EEEESI_S6_NSB_4plusIvEENSB_8equal_toIvEES6_EE10hipError_tPvRmT2_T3_T4_T5_mT6_T7_P12ihipStream_tbENKUlT_T0_E_clISt17integral_constantIbLb1EES12_IbLb0EEEEDaSY_SZ_EUlSY_E_NS1_11comp_targetILNS1_3genE2ELNS1_11target_archE906ELNS1_3gpuE6ELNS1_3repE0EEENS1_30default_config_static_selectorELNS0_4arch9wavefront6targetE1EEEvT1_
                                        ; -- End function
	.section	.AMDGPU.csdata,"",@progbits
; Kernel info:
; codeLenInByte = 0
; NumSgprs: 6
; NumVgprs: 0
; NumAgprs: 0
; TotalNumVgprs: 0
; ScratchSize: 0
; MemoryBound: 0
; FloatMode: 240
; IeeeMode: 1
; LDSByteSize: 0 bytes/workgroup (compile time only)
; SGPRBlocks: 0
; VGPRBlocks: 0
; NumSGPRsForWavesPerEU: 6
; NumVGPRsForWavesPerEU: 1
; AccumOffset: 4
; Occupancy: 8
; WaveLimiterHint : 0
; COMPUTE_PGM_RSRC2:SCRATCH_EN: 0
; COMPUTE_PGM_RSRC2:USER_SGPR: 2
; COMPUTE_PGM_RSRC2:TRAP_HANDLER: 0
; COMPUTE_PGM_RSRC2:TGID_X_EN: 1
; COMPUTE_PGM_RSRC2:TGID_Y_EN: 0
; COMPUTE_PGM_RSRC2:TGID_Z_EN: 0
; COMPUTE_PGM_RSRC2:TIDIG_COMP_CNT: 0
; COMPUTE_PGM_RSRC3_GFX90A:ACCUM_OFFSET: 0
; COMPUTE_PGM_RSRC3_GFX90A:TG_SPLIT: 0
	.section	.text._ZN7rocprim17ROCPRIM_400000_NS6detail17trampoline_kernelINS0_14default_configENS1_27scan_by_key_config_selectorIj11FixedVectorIiLj1EEEEZZNS1_16scan_by_key_implILNS1_25lookback_scan_determinismE0ELb0ES3_N6thrust23THRUST_200600_302600_NS6detail15normal_iteratorINSB_10device_ptrIjEEEENSD_INSE_IS6_EEEESI_S6_NSB_4plusIvEENSB_8equal_toIvEES6_EE10hipError_tPvRmT2_T3_T4_T5_mT6_T7_P12ihipStream_tbENKUlT_T0_E_clISt17integral_constantIbLb1EES12_IbLb0EEEEDaSY_SZ_EUlSY_E_NS1_11comp_targetILNS1_3genE10ELNS1_11target_archE1200ELNS1_3gpuE4ELNS1_3repE0EEENS1_30default_config_static_selectorELNS0_4arch9wavefront6targetE1EEEvT1_,"axG",@progbits,_ZN7rocprim17ROCPRIM_400000_NS6detail17trampoline_kernelINS0_14default_configENS1_27scan_by_key_config_selectorIj11FixedVectorIiLj1EEEEZZNS1_16scan_by_key_implILNS1_25lookback_scan_determinismE0ELb0ES3_N6thrust23THRUST_200600_302600_NS6detail15normal_iteratorINSB_10device_ptrIjEEEENSD_INSE_IS6_EEEESI_S6_NSB_4plusIvEENSB_8equal_toIvEES6_EE10hipError_tPvRmT2_T3_T4_T5_mT6_T7_P12ihipStream_tbENKUlT_T0_E_clISt17integral_constantIbLb1EES12_IbLb0EEEEDaSY_SZ_EUlSY_E_NS1_11comp_targetILNS1_3genE10ELNS1_11target_archE1200ELNS1_3gpuE4ELNS1_3repE0EEENS1_30default_config_static_selectorELNS0_4arch9wavefront6targetE1EEEvT1_,comdat
	.protected	_ZN7rocprim17ROCPRIM_400000_NS6detail17trampoline_kernelINS0_14default_configENS1_27scan_by_key_config_selectorIj11FixedVectorIiLj1EEEEZZNS1_16scan_by_key_implILNS1_25lookback_scan_determinismE0ELb0ES3_N6thrust23THRUST_200600_302600_NS6detail15normal_iteratorINSB_10device_ptrIjEEEENSD_INSE_IS6_EEEESI_S6_NSB_4plusIvEENSB_8equal_toIvEES6_EE10hipError_tPvRmT2_T3_T4_T5_mT6_T7_P12ihipStream_tbENKUlT_T0_E_clISt17integral_constantIbLb1EES12_IbLb0EEEEDaSY_SZ_EUlSY_E_NS1_11comp_targetILNS1_3genE10ELNS1_11target_archE1200ELNS1_3gpuE4ELNS1_3repE0EEENS1_30default_config_static_selectorELNS0_4arch9wavefront6targetE1EEEvT1_ ; -- Begin function _ZN7rocprim17ROCPRIM_400000_NS6detail17trampoline_kernelINS0_14default_configENS1_27scan_by_key_config_selectorIj11FixedVectorIiLj1EEEEZZNS1_16scan_by_key_implILNS1_25lookback_scan_determinismE0ELb0ES3_N6thrust23THRUST_200600_302600_NS6detail15normal_iteratorINSB_10device_ptrIjEEEENSD_INSE_IS6_EEEESI_S6_NSB_4plusIvEENSB_8equal_toIvEES6_EE10hipError_tPvRmT2_T3_T4_T5_mT6_T7_P12ihipStream_tbENKUlT_T0_E_clISt17integral_constantIbLb1EES12_IbLb0EEEEDaSY_SZ_EUlSY_E_NS1_11comp_targetILNS1_3genE10ELNS1_11target_archE1200ELNS1_3gpuE4ELNS1_3repE0EEENS1_30default_config_static_selectorELNS0_4arch9wavefront6targetE1EEEvT1_
	.globl	_ZN7rocprim17ROCPRIM_400000_NS6detail17trampoline_kernelINS0_14default_configENS1_27scan_by_key_config_selectorIj11FixedVectorIiLj1EEEEZZNS1_16scan_by_key_implILNS1_25lookback_scan_determinismE0ELb0ES3_N6thrust23THRUST_200600_302600_NS6detail15normal_iteratorINSB_10device_ptrIjEEEENSD_INSE_IS6_EEEESI_S6_NSB_4plusIvEENSB_8equal_toIvEES6_EE10hipError_tPvRmT2_T3_T4_T5_mT6_T7_P12ihipStream_tbENKUlT_T0_E_clISt17integral_constantIbLb1EES12_IbLb0EEEEDaSY_SZ_EUlSY_E_NS1_11comp_targetILNS1_3genE10ELNS1_11target_archE1200ELNS1_3gpuE4ELNS1_3repE0EEENS1_30default_config_static_selectorELNS0_4arch9wavefront6targetE1EEEvT1_
	.p2align	8
	.type	_ZN7rocprim17ROCPRIM_400000_NS6detail17trampoline_kernelINS0_14default_configENS1_27scan_by_key_config_selectorIj11FixedVectorIiLj1EEEEZZNS1_16scan_by_key_implILNS1_25lookback_scan_determinismE0ELb0ES3_N6thrust23THRUST_200600_302600_NS6detail15normal_iteratorINSB_10device_ptrIjEEEENSD_INSE_IS6_EEEESI_S6_NSB_4plusIvEENSB_8equal_toIvEES6_EE10hipError_tPvRmT2_T3_T4_T5_mT6_T7_P12ihipStream_tbENKUlT_T0_E_clISt17integral_constantIbLb1EES12_IbLb0EEEEDaSY_SZ_EUlSY_E_NS1_11comp_targetILNS1_3genE10ELNS1_11target_archE1200ELNS1_3gpuE4ELNS1_3repE0EEENS1_30default_config_static_selectorELNS0_4arch9wavefront6targetE1EEEvT1_,@function
_ZN7rocprim17ROCPRIM_400000_NS6detail17trampoline_kernelINS0_14default_configENS1_27scan_by_key_config_selectorIj11FixedVectorIiLj1EEEEZZNS1_16scan_by_key_implILNS1_25lookback_scan_determinismE0ELb0ES3_N6thrust23THRUST_200600_302600_NS6detail15normal_iteratorINSB_10device_ptrIjEEEENSD_INSE_IS6_EEEESI_S6_NSB_4plusIvEENSB_8equal_toIvEES6_EE10hipError_tPvRmT2_T3_T4_T5_mT6_T7_P12ihipStream_tbENKUlT_T0_E_clISt17integral_constantIbLb1EES12_IbLb0EEEEDaSY_SZ_EUlSY_E_NS1_11comp_targetILNS1_3genE10ELNS1_11target_archE1200ELNS1_3gpuE4ELNS1_3repE0EEENS1_30default_config_static_selectorELNS0_4arch9wavefront6targetE1EEEvT1_: ; @_ZN7rocprim17ROCPRIM_400000_NS6detail17trampoline_kernelINS0_14default_configENS1_27scan_by_key_config_selectorIj11FixedVectorIiLj1EEEEZZNS1_16scan_by_key_implILNS1_25lookback_scan_determinismE0ELb0ES3_N6thrust23THRUST_200600_302600_NS6detail15normal_iteratorINSB_10device_ptrIjEEEENSD_INSE_IS6_EEEESI_S6_NSB_4plusIvEENSB_8equal_toIvEES6_EE10hipError_tPvRmT2_T3_T4_T5_mT6_T7_P12ihipStream_tbENKUlT_T0_E_clISt17integral_constantIbLb1EES12_IbLb0EEEEDaSY_SZ_EUlSY_E_NS1_11comp_targetILNS1_3genE10ELNS1_11target_archE1200ELNS1_3gpuE4ELNS1_3repE0EEENS1_30default_config_static_selectorELNS0_4arch9wavefront6targetE1EEEvT1_
; %bb.0:
	.section	.rodata,"a",@progbits
	.p2align	6, 0x0
	.amdhsa_kernel _ZN7rocprim17ROCPRIM_400000_NS6detail17trampoline_kernelINS0_14default_configENS1_27scan_by_key_config_selectorIj11FixedVectorIiLj1EEEEZZNS1_16scan_by_key_implILNS1_25lookback_scan_determinismE0ELb0ES3_N6thrust23THRUST_200600_302600_NS6detail15normal_iteratorINSB_10device_ptrIjEEEENSD_INSE_IS6_EEEESI_S6_NSB_4plusIvEENSB_8equal_toIvEES6_EE10hipError_tPvRmT2_T3_T4_T5_mT6_T7_P12ihipStream_tbENKUlT_T0_E_clISt17integral_constantIbLb1EES12_IbLb0EEEEDaSY_SZ_EUlSY_E_NS1_11comp_targetILNS1_3genE10ELNS1_11target_archE1200ELNS1_3gpuE4ELNS1_3repE0EEENS1_30default_config_static_selectorELNS0_4arch9wavefront6targetE1EEEvT1_
		.amdhsa_group_segment_fixed_size 0
		.amdhsa_private_segment_fixed_size 0
		.amdhsa_kernarg_size 112
		.amdhsa_user_sgpr_count 2
		.amdhsa_user_sgpr_dispatch_ptr 0
		.amdhsa_user_sgpr_queue_ptr 0
		.amdhsa_user_sgpr_kernarg_segment_ptr 1
		.amdhsa_user_sgpr_dispatch_id 0
		.amdhsa_user_sgpr_kernarg_preload_length 0
		.amdhsa_user_sgpr_kernarg_preload_offset 0
		.amdhsa_user_sgpr_private_segment_size 0
		.amdhsa_uses_dynamic_stack 0
		.amdhsa_enable_private_segment 0
		.amdhsa_system_sgpr_workgroup_id_x 1
		.amdhsa_system_sgpr_workgroup_id_y 0
		.amdhsa_system_sgpr_workgroup_id_z 0
		.amdhsa_system_sgpr_workgroup_info 0
		.amdhsa_system_vgpr_workitem_id 0
		.amdhsa_next_free_vgpr 1
		.amdhsa_next_free_sgpr 0
		.amdhsa_accum_offset 4
		.amdhsa_reserve_vcc 0
		.amdhsa_float_round_mode_32 0
		.amdhsa_float_round_mode_16_64 0
		.amdhsa_float_denorm_mode_32 3
		.amdhsa_float_denorm_mode_16_64 3
		.amdhsa_dx10_clamp 1
		.amdhsa_ieee_mode 1
		.amdhsa_fp16_overflow 0
		.amdhsa_tg_split 0
		.amdhsa_exception_fp_ieee_invalid_op 0
		.amdhsa_exception_fp_denorm_src 0
		.amdhsa_exception_fp_ieee_div_zero 0
		.amdhsa_exception_fp_ieee_overflow 0
		.amdhsa_exception_fp_ieee_underflow 0
		.amdhsa_exception_fp_ieee_inexact 0
		.amdhsa_exception_int_div_zero 0
	.end_amdhsa_kernel
	.section	.text._ZN7rocprim17ROCPRIM_400000_NS6detail17trampoline_kernelINS0_14default_configENS1_27scan_by_key_config_selectorIj11FixedVectorIiLj1EEEEZZNS1_16scan_by_key_implILNS1_25lookback_scan_determinismE0ELb0ES3_N6thrust23THRUST_200600_302600_NS6detail15normal_iteratorINSB_10device_ptrIjEEEENSD_INSE_IS6_EEEESI_S6_NSB_4plusIvEENSB_8equal_toIvEES6_EE10hipError_tPvRmT2_T3_T4_T5_mT6_T7_P12ihipStream_tbENKUlT_T0_E_clISt17integral_constantIbLb1EES12_IbLb0EEEEDaSY_SZ_EUlSY_E_NS1_11comp_targetILNS1_3genE10ELNS1_11target_archE1200ELNS1_3gpuE4ELNS1_3repE0EEENS1_30default_config_static_selectorELNS0_4arch9wavefront6targetE1EEEvT1_,"axG",@progbits,_ZN7rocprim17ROCPRIM_400000_NS6detail17trampoline_kernelINS0_14default_configENS1_27scan_by_key_config_selectorIj11FixedVectorIiLj1EEEEZZNS1_16scan_by_key_implILNS1_25lookback_scan_determinismE0ELb0ES3_N6thrust23THRUST_200600_302600_NS6detail15normal_iteratorINSB_10device_ptrIjEEEENSD_INSE_IS6_EEEESI_S6_NSB_4plusIvEENSB_8equal_toIvEES6_EE10hipError_tPvRmT2_T3_T4_T5_mT6_T7_P12ihipStream_tbENKUlT_T0_E_clISt17integral_constantIbLb1EES12_IbLb0EEEEDaSY_SZ_EUlSY_E_NS1_11comp_targetILNS1_3genE10ELNS1_11target_archE1200ELNS1_3gpuE4ELNS1_3repE0EEENS1_30default_config_static_selectorELNS0_4arch9wavefront6targetE1EEEvT1_,comdat
.Lfunc_end1897:
	.size	_ZN7rocprim17ROCPRIM_400000_NS6detail17trampoline_kernelINS0_14default_configENS1_27scan_by_key_config_selectorIj11FixedVectorIiLj1EEEEZZNS1_16scan_by_key_implILNS1_25lookback_scan_determinismE0ELb0ES3_N6thrust23THRUST_200600_302600_NS6detail15normal_iteratorINSB_10device_ptrIjEEEENSD_INSE_IS6_EEEESI_S6_NSB_4plusIvEENSB_8equal_toIvEES6_EE10hipError_tPvRmT2_T3_T4_T5_mT6_T7_P12ihipStream_tbENKUlT_T0_E_clISt17integral_constantIbLb1EES12_IbLb0EEEEDaSY_SZ_EUlSY_E_NS1_11comp_targetILNS1_3genE10ELNS1_11target_archE1200ELNS1_3gpuE4ELNS1_3repE0EEENS1_30default_config_static_selectorELNS0_4arch9wavefront6targetE1EEEvT1_, .Lfunc_end1897-_ZN7rocprim17ROCPRIM_400000_NS6detail17trampoline_kernelINS0_14default_configENS1_27scan_by_key_config_selectorIj11FixedVectorIiLj1EEEEZZNS1_16scan_by_key_implILNS1_25lookback_scan_determinismE0ELb0ES3_N6thrust23THRUST_200600_302600_NS6detail15normal_iteratorINSB_10device_ptrIjEEEENSD_INSE_IS6_EEEESI_S6_NSB_4plusIvEENSB_8equal_toIvEES6_EE10hipError_tPvRmT2_T3_T4_T5_mT6_T7_P12ihipStream_tbENKUlT_T0_E_clISt17integral_constantIbLb1EES12_IbLb0EEEEDaSY_SZ_EUlSY_E_NS1_11comp_targetILNS1_3genE10ELNS1_11target_archE1200ELNS1_3gpuE4ELNS1_3repE0EEENS1_30default_config_static_selectorELNS0_4arch9wavefront6targetE1EEEvT1_
                                        ; -- End function
	.section	.AMDGPU.csdata,"",@progbits
; Kernel info:
; codeLenInByte = 0
; NumSgprs: 6
; NumVgprs: 0
; NumAgprs: 0
; TotalNumVgprs: 0
; ScratchSize: 0
; MemoryBound: 0
; FloatMode: 240
; IeeeMode: 1
; LDSByteSize: 0 bytes/workgroup (compile time only)
; SGPRBlocks: 0
; VGPRBlocks: 0
; NumSGPRsForWavesPerEU: 6
; NumVGPRsForWavesPerEU: 1
; AccumOffset: 4
; Occupancy: 8
; WaveLimiterHint : 0
; COMPUTE_PGM_RSRC2:SCRATCH_EN: 0
; COMPUTE_PGM_RSRC2:USER_SGPR: 2
; COMPUTE_PGM_RSRC2:TRAP_HANDLER: 0
; COMPUTE_PGM_RSRC2:TGID_X_EN: 1
; COMPUTE_PGM_RSRC2:TGID_Y_EN: 0
; COMPUTE_PGM_RSRC2:TGID_Z_EN: 0
; COMPUTE_PGM_RSRC2:TIDIG_COMP_CNT: 0
; COMPUTE_PGM_RSRC3_GFX90A:ACCUM_OFFSET: 0
; COMPUTE_PGM_RSRC3_GFX90A:TG_SPLIT: 0
	.section	.text._ZN7rocprim17ROCPRIM_400000_NS6detail17trampoline_kernelINS0_14default_configENS1_27scan_by_key_config_selectorIj11FixedVectorIiLj1EEEEZZNS1_16scan_by_key_implILNS1_25lookback_scan_determinismE0ELb0ES3_N6thrust23THRUST_200600_302600_NS6detail15normal_iteratorINSB_10device_ptrIjEEEENSD_INSE_IS6_EEEESI_S6_NSB_4plusIvEENSB_8equal_toIvEES6_EE10hipError_tPvRmT2_T3_T4_T5_mT6_T7_P12ihipStream_tbENKUlT_T0_E_clISt17integral_constantIbLb1EES12_IbLb0EEEEDaSY_SZ_EUlSY_E_NS1_11comp_targetILNS1_3genE9ELNS1_11target_archE1100ELNS1_3gpuE3ELNS1_3repE0EEENS1_30default_config_static_selectorELNS0_4arch9wavefront6targetE1EEEvT1_,"axG",@progbits,_ZN7rocprim17ROCPRIM_400000_NS6detail17trampoline_kernelINS0_14default_configENS1_27scan_by_key_config_selectorIj11FixedVectorIiLj1EEEEZZNS1_16scan_by_key_implILNS1_25lookback_scan_determinismE0ELb0ES3_N6thrust23THRUST_200600_302600_NS6detail15normal_iteratorINSB_10device_ptrIjEEEENSD_INSE_IS6_EEEESI_S6_NSB_4plusIvEENSB_8equal_toIvEES6_EE10hipError_tPvRmT2_T3_T4_T5_mT6_T7_P12ihipStream_tbENKUlT_T0_E_clISt17integral_constantIbLb1EES12_IbLb0EEEEDaSY_SZ_EUlSY_E_NS1_11comp_targetILNS1_3genE9ELNS1_11target_archE1100ELNS1_3gpuE3ELNS1_3repE0EEENS1_30default_config_static_selectorELNS0_4arch9wavefront6targetE1EEEvT1_,comdat
	.protected	_ZN7rocprim17ROCPRIM_400000_NS6detail17trampoline_kernelINS0_14default_configENS1_27scan_by_key_config_selectorIj11FixedVectorIiLj1EEEEZZNS1_16scan_by_key_implILNS1_25lookback_scan_determinismE0ELb0ES3_N6thrust23THRUST_200600_302600_NS6detail15normal_iteratorINSB_10device_ptrIjEEEENSD_INSE_IS6_EEEESI_S6_NSB_4plusIvEENSB_8equal_toIvEES6_EE10hipError_tPvRmT2_T3_T4_T5_mT6_T7_P12ihipStream_tbENKUlT_T0_E_clISt17integral_constantIbLb1EES12_IbLb0EEEEDaSY_SZ_EUlSY_E_NS1_11comp_targetILNS1_3genE9ELNS1_11target_archE1100ELNS1_3gpuE3ELNS1_3repE0EEENS1_30default_config_static_selectorELNS0_4arch9wavefront6targetE1EEEvT1_ ; -- Begin function _ZN7rocprim17ROCPRIM_400000_NS6detail17trampoline_kernelINS0_14default_configENS1_27scan_by_key_config_selectorIj11FixedVectorIiLj1EEEEZZNS1_16scan_by_key_implILNS1_25lookback_scan_determinismE0ELb0ES3_N6thrust23THRUST_200600_302600_NS6detail15normal_iteratorINSB_10device_ptrIjEEEENSD_INSE_IS6_EEEESI_S6_NSB_4plusIvEENSB_8equal_toIvEES6_EE10hipError_tPvRmT2_T3_T4_T5_mT6_T7_P12ihipStream_tbENKUlT_T0_E_clISt17integral_constantIbLb1EES12_IbLb0EEEEDaSY_SZ_EUlSY_E_NS1_11comp_targetILNS1_3genE9ELNS1_11target_archE1100ELNS1_3gpuE3ELNS1_3repE0EEENS1_30default_config_static_selectorELNS0_4arch9wavefront6targetE1EEEvT1_
	.globl	_ZN7rocprim17ROCPRIM_400000_NS6detail17trampoline_kernelINS0_14default_configENS1_27scan_by_key_config_selectorIj11FixedVectorIiLj1EEEEZZNS1_16scan_by_key_implILNS1_25lookback_scan_determinismE0ELb0ES3_N6thrust23THRUST_200600_302600_NS6detail15normal_iteratorINSB_10device_ptrIjEEEENSD_INSE_IS6_EEEESI_S6_NSB_4plusIvEENSB_8equal_toIvEES6_EE10hipError_tPvRmT2_T3_T4_T5_mT6_T7_P12ihipStream_tbENKUlT_T0_E_clISt17integral_constantIbLb1EES12_IbLb0EEEEDaSY_SZ_EUlSY_E_NS1_11comp_targetILNS1_3genE9ELNS1_11target_archE1100ELNS1_3gpuE3ELNS1_3repE0EEENS1_30default_config_static_selectorELNS0_4arch9wavefront6targetE1EEEvT1_
	.p2align	8
	.type	_ZN7rocprim17ROCPRIM_400000_NS6detail17trampoline_kernelINS0_14default_configENS1_27scan_by_key_config_selectorIj11FixedVectorIiLj1EEEEZZNS1_16scan_by_key_implILNS1_25lookback_scan_determinismE0ELb0ES3_N6thrust23THRUST_200600_302600_NS6detail15normal_iteratorINSB_10device_ptrIjEEEENSD_INSE_IS6_EEEESI_S6_NSB_4plusIvEENSB_8equal_toIvEES6_EE10hipError_tPvRmT2_T3_T4_T5_mT6_T7_P12ihipStream_tbENKUlT_T0_E_clISt17integral_constantIbLb1EES12_IbLb0EEEEDaSY_SZ_EUlSY_E_NS1_11comp_targetILNS1_3genE9ELNS1_11target_archE1100ELNS1_3gpuE3ELNS1_3repE0EEENS1_30default_config_static_selectorELNS0_4arch9wavefront6targetE1EEEvT1_,@function
_ZN7rocprim17ROCPRIM_400000_NS6detail17trampoline_kernelINS0_14default_configENS1_27scan_by_key_config_selectorIj11FixedVectorIiLj1EEEEZZNS1_16scan_by_key_implILNS1_25lookback_scan_determinismE0ELb0ES3_N6thrust23THRUST_200600_302600_NS6detail15normal_iteratorINSB_10device_ptrIjEEEENSD_INSE_IS6_EEEESI_S6_NSB_4plusIvEENSB_8equal_toIvEES6_EE10hipError_tPvRmT2_T3_T4_T5_mT6_T7_P12ihipStream_tbENKUlT_T0_E_clISt17integral_constantIbLb1EES12_IbLb0EEEEDaSY_SZ_EUlSY_E_NS1_11comp_targetILNS1_3genE9ELNS1_11target_archE1100ELNS1_3gpuE3ELNS1_3repE0EEENS1_30default_config_static_selectorELNS0_4arch9wavefront6targetE1EEEvT1_: ; @_ZN7rocprim17ROCPRIM_400000_NS6detail17trampoline_kernelINS0_14default_configENS1_27scan_by_key_config_selectorIj11FixedVectorIiLj1EEEEZZNS1_16scan_by_key_implILNS1_25lookback_scan_determinismE0ELb0ES3_N6thrust23THRUST_200600_302600_NS6detail15normal_iteratorINSB_10device_ptrIjEEEENSD_INSE_IS6_EEEESI_S6_NSB_4plusIvEENSB_8equal_toIvEES6_EE10hipError_tPvRmT2_T3_T4_T5_mT6_T7_P12ihipStream_tbENKUlT_T0_E_clISt17integral_constantIbLb1EES12_IbLb0EEEEDaSY_SZ_EUlSY_E_NS1_11comp_targetILNS1_3genE9ELNS1_11target_archE1100ELNS1_3gpuE3ELNS1_3repE0EEENS1_30default_config_static_selectorELNS0_4arch9wavefront6targetE1EEEvT1_
; %bb.0:
	.section	.rodata,"a",@progbits
	.p2align	6, 0x0
	.amdhsa_kernel _ZN7rocprim17ROCPRIM_400000_NS6detail17trampoline_kernelINS0_14default_configENS1_27scan_by_key_config_selectorIj11FixedVectorIiLj1EEEEZZNS1_16scan_by_key_implILNS1_25lookback_scan_determinismE0ELb0ES3_N6thrust23THRUST_200600_302600_NS6detail15normal_iteratorINSB_10device_ptrIjEEEENSD_INSE_IS6_EEEESI_S6_NSB_4plusIvEENSB_8equal_toIvEES6_EE10hipError_tPvRmT2_T3_T4_T5_mT6_T7_P12ihipStream_tbENKUlT_T0_E_clISt17integral_constantIbLb1EES12_IbLb0EEEEDaSY_SZ_EUlSY_E_NS1_11comp_targetILNS1_3genE9ELNS1_11target_archE1100ELNS1_3gpuE3ELNS1_3repE0EEENS1_30default_config_static_selectorELNS0_4arch9wavefront6targetE1EEEvT1_
		.amdhsa_group_segment_fixed_size 0
		.amdhsa_private_segment_fixed_size 0
		.amdhsa_kernarg_size 112
		.amdhsa_user_sgpr_count 2
		.amdhsa_user_sgpr_dispatch_ptr 0
		.amdhsa_user_sgpr_queue_ptr 0
		.amdhsa_user_sgpr_kernarg_segment_ptr 1
		.amdhsa_user_sgpr_dispatch_id 0
		.amdhsa_user_sgpr_kernarg_preload_length 0
		.amdhsa_user_sgpr_kernarg_preload_offset 0
		.amdhsa_user_sgpr_private_segment_size 0
		.amdhsa_uses_dynamic_stack 0
		.amdhsa_enable_private_segment 0
		.amdhsa_system_sgpr_workgroup_id_x 1
		.amdhsa_system_sgpr_workgroup_id_y 0
		.amdhsa_system_sgpr_workgroup_id_z 0
		.amdhsa_system_sgpr_workgroup_info 0
		.amdhsa_system_vgpr_workitem_id 0
		.amdhsa_next_free_vgpr 1
		.amdhsa_next_free_sgpr 0
		.amdhsa_accum_offset 4
		.amdhsa_reserve_vcc 0
		.amdhsa_float_round_mode_32 0
		.amdhsa_float_round_mode_16_64 0
		.amdhsa_float_denorm_mode_32 3
		.amdhsa_float_denorm_mode_16_64 3
		.amdhsa_dx10_clamp 1
		.amdhsa_ieee_mode 1
		.amdhsa_fp16_overflow 0
		.amdhsa_tg_split 0
		.amdhsa_exception_fp_ieee_invalid_op 0
		.amdhsa_exception_fp_denorm_src 0
		.amdhsa_exception_fp_ieee_div_zero 0
		.amdhsa_exception_fp_ieee_overflow 0
		.amdhsa_exception_fp_ieee_underflow 0
		.amdhsa_exception_fp_ieee_inexact 0
		.amdhsa_exception_int_div_zero 0
	.end_amdhsa_kernel
	.section	.text._ZN7rocprim17ROCPRIM_400000_NS6detail17trampoline_kernelINS0_14default_configENS1_27scan_by_key_config_selectorIj11FixedVectorIiLj1EEEEZZNS1_16scan_by_key_implILNS1_25lookback_scan_determinismE0ELb0ES3_N6thrust23THRUST_200600_302600_NS6detail15normal_iteratorINSB_10device_ptrIjEEEENSD_INSE_IS6_EEEESI_S6_NSB_4plusIvEENSB_8equal_toIvEES6_EE10hipError_tPvRmT2_T3_T4_T5_mT6_T7_P12ihipStream_tbENKUlT_T0_E_clISt17integral_constantIbLb1EES12_IbLb0EEEEDaSY_SZ_EUlSY_E_NS1_11comp_targetILNS1_3genE9ELNS1_11target_archE1100ELNS1_3gpuE3ELNS1_3repE0EEENS1_30default_config_static_selectorELNS0_4arch9wavefront6targetE1EEEvT1_,"axG",@progbits,_ZN7rocprim17ROCPRIM_400000_NS6detail17trampoline_kernelINS0_14default_configENS1_27scan_by_key_config_selectorIj11FixedVectorIiLj1EEEEZZNS1_16scan_by_key_implILNS1_25lookback_scan_determinismE0ELb0ES3_N6thrust23THRUST_200600_302600_NS6detail15normal_iteratorINSB_10device_ptrIjEEEENSD_INSE_IS6_EEEESI_S6_NSB_4plusIvEENSB_8equal_toIvEES6_EE10hipError_tPvRmT2_T3_T4_T5_mT6_T7_P12ihipStream_tbENKUlT_T0_E_clISt17integral_constantIbLb1EES12_IbLb0EEEEDaSY_SZ_EUlSY_E_NS1_11comp_targetILNS1_3genE9ELNS1_11target_archE1100ELNS1_3gpuE3ELNS1_3repE0EEENS1_30default_config_static_selectorELNS0_4arch9wavefront6targetE1EEEvT1_,comdat
.Lfunc_end1898:
	.size	_ZN7rocprim17ROCPRIM_400000_NS6detail17trampoline_kernelINS0_14default_configENS1_27scan_by_key_config_selectorIj11FixedVectorIiLj1EEEEZZNS1_16scan_by_key_implILNS1_25lookback_scan_determinismE0ELb0ES3_N6thrust23THRUST_200600_302600_NS6detail15normal_iteratorINSB_10device_ptrIjEEEENSD_INSE_IS6_EEEESI_S6_NSB_4plusIvEENSB_8equal_toIvEES6_EE10hipError_tPvRmT2_T3_T4_T5_mT6_T7_P12ihipStream_tbENKUlT_T0_E_clISt17integral_constantIbLb1EES12_IbLb0EEEEDaSY_SZ_EUlSY_E_NS1_11comp_targetILNS1_3genE9ELNS1_11target_archE1100ELNS1_3gpuE3ELNS1_3repE0EEENS1_30default_config_static_selectorELNS0_4arch9wavefront6targetE1EEEvT1_, .Lfunc_end1898-_ZN7rocprim17ROCPRIM_400000_NS6detail17trampoline_kernelINS0_14default_configENS1_27scan_by_key_config_selectorIj11FixedVectorIiLj1EEEEZZNS1_16scan_by_key_implILNS1_25lookback_scan_determinismE0ELb0ES3_N6thrust23THRUST_200600_302600_NS6detail15normal_iteratorINSB_10device_ptrIjEEEENSD_INSE_IS6_EEEESI_S6_NSB_4plusIvEENSB_8equal_toIvEES6_EE10hipError_tPvRmT2_T3_T4_T5_mT6_T7_P12ihipStream_tbENKUlT_T0_E_clISt17integral_constantIbLb1EES12_IbLb0EEEEDaSY_SZ_EUlSY_E_NS1_11comp_targetILNS1_3genE9ELNS1_11target_archE1100ELNS1_3gpuE3ELNS1_3repE0EEENS1_30default_config_static_selectorELNS0_4arch9wavefront6targetE1EEEvT1_
                                        ; -- End function
	.section	.AMDGPU.csdata,"",@progbits
; Kernel info:
; codeLenInByte = 0
; NumSgprs: 6
; NumVgprs: 0
; NumAgprs: 0
; TotalNumVgprs: 0
; ScratchSize: 0
; MemoryBound: 0
; FloatMode: 240
; IeeeMode: 1
; LDSByteSize: 0 bytes/workgroup (compile time only)
; SGPRBlocks: 0
; VGPRBlocks: 0
; NumSGPRsForWavesPerEU: 6
; NumVGPRsForWavesPerEU: 1
; AccumOffset: 4
; Occupancy: 8
; WaveLimiterHint : 0
; COMPUTE_PGM_RSRC2:SCRATCH_EN: 0
; COMPUTE_PGM_RSRC2:USER_SGPR: 2
; COMPUTE_PGM_RSRC2:TRAP_HANDLER: 0
; COMPUTE_PGM_RSRC2:TGID_X_EN: 1
; COMPUTE_PGM_RSRC2:TGID_Y_EN: 0
; COMPUTE_PGM_RSRC2:TGID_Z_EN: 0
; COMPUTE_PGM_RSRC2:TIDIG_COMP_CNT: 0
; COMPUTE_PGM_RSRC3_GFX90A:ACCUM_OFFSET: 0
; COMPUTE_PGM_RSRC3_GFX90A:TG_SPLIT: 0
	.section	.text._ZN7rocprim17ROCPRIM_400000_NS6detail17trampoline_kernelINS0_14default_configENS1_27scan_by_key_config_selectorIj11FixedVectorIiLj1EEEEZZNS1_16scan_by_key_implILNS1_25lookback_scan_determinismE0ELb0ES3_N6thrust23THRUST_200600_302600_NS6detail15normal_iteratorINSB_10device_ptrIjEEEENSD_INSE_IS6_EEEESI_S6_NSB_4plusIvEENSB_8equal_toIvEES6_EE10hipError_tPvRmT2_T3_T4_T5_mT6_T7_P12ihipStream_tbENKUlT_T0_E_clISt17integral_constantIbLb1EES12_IbLb0EEEEDaSY_SZ_EUlSY_E_NS1_11comp_targetILNS1_3genE8ELNS1_11target_archE1030ELNS1_3gpuE2ELNS1_3repE0EEENS1_30default_config_static_selectorELNS0_4arch9wavefront6targetE1EEEvT1_,"axG",@progbits,_ZN7rocprim17ROCPRIM_400000_NS6detail17trampoline_kernelINS0_14default_configENS1_27scan_by_key_config_selectorIj11FixedVectorIiLj1EEEEZZNS1_16scan_by_key_implILNS1_25lookback_scan_determinismE0ELb0ES3_N6thrust23THRUST_200600_302600_NS6detail15normal_iteratorINSB_10device_ptrIjEEEENSD_INSE_IS6_EEEESI_S6_NSB_4plusIvEENSB_8equal_toIvEES6_EE10hipError_tPvRmT2_T3_T4_T5_mT6_T7_P12ihipStream_tbENKUlT_T0_E_clISt17integral_constantIbLb1EES12_IbLb0EEEEDaSY_SZ_EUlSY_E_NS1_11comp_targetILNS1_3genE8ELNS1_11target_archE1030ELNS1_3gpuE2ELNS1_3repE0EEENS1_30default_config_static_selectorELNS0_4arch9wavefront6targetE1EEEvT1_,comdat
	.protected	_ZN7rocprim17ROCPRIM_400000_NS6detail17trampoline_kernelINS0_14default_configENS1_27scan_by_key_config_selectorIj11FixedVectorIiLj1EEEEZZNS1_16scan_by_key_implILNS1_25lookback_scan_determinismE0ELb0ES3_N6thrust23THRUST_200600_302600_NS6detail15normal_iteratorINSB_10device_ptrIjEEEENSD_INSE_IS6_EEEESI_S6_NSB_4plusIvEENSB_8equal_toIvEES6_EE10hipError_tPvRmT2_T3_T4_T5_mT6_T7_P12ihipStream_tbENKUlT_T0_E_clISt17integral_constantIbLb1EES12_IbLb0EEEEDaSY_SZ_EUlSY_E_NS1_11comp_targetILNS1_3genE8ELNS1_11target_archE1030ELNS1_3gpuE2ELNS1_3repE0EEENS1_30default_config_static_selectorELNS0_4arch9wavefront6targetE1EEEvT1_ ; -- Begin function _ZN7rocprim17ROCPRIM_400000_NS6detail17trampoline_kernelINS0_14default_configENS1_27scan_by_key_config_selectorIj11FixedVectorIiLj1EEEEZZNS1_16scan_by_key_implILNS1_25lookback_scan_determinismE0ELb0ES3_N6thrust23THRUST_200600_302600_NS6detail15normal_iteratorINSB_10device_ptrIjEEEENSD_INSE_IS6_EEEESI_S6_NSB_4plusIvEENSB_8equal_toIvEES6_EE10hipError_tPvRmT2_T3_T4_T5_mT6_T7_P12ihipStream_tbENKUlT_T0_E_clISt17integral_constantIbLb1EES12_IbLb0EEEEDaSY_SZ_EUlSY_E_NS1_11comp_targetILNS1_3genE8ELNS1_11target_archE1030ELNS1_3gpuE2ELNS1_3repE0EEENS1_30default_config_static_selectorELNS0_4arch9wavefront6targetE1EEEvT1_
	.globl	_ZN7rocprim17ROCPRIM_400000_NS6detail17trampoline_kernelINS0_14default_configENS1_27scan_by_key_config_selectorIj11FixedVectorIiLj1EEEEZZNS1_16scan_by_key_implILNS1_25lookback_scan_determinismE0ELb0ES3_N6thrust23THRUST_200600_302600_NS6detail15normal_iteratorINSB_10device_ptrIjEEEENSD_INSE_IS6_EEEESI_S6_NSB_4plusIvEENSB_8equal_toIvEES6_EE10hipError_tPvRmT2_T3_T4_T5_mT6_T7_P12ihipStream_tbENKUlT_T0_E_clISt17integral_constantIbLb1EES12_IbLb0EEEEDaSY_SZ_EUlSY_E_NS1_11comp_targetILNS1_3genE8ELNS1_11target_archE1030ELNS1_3gpuE2ELNS1_3repE0EEENS1_30default_config_static_selectorELNS0_4arch9wavefront6targetE1EEEvT1_
	.p2align	8
	.type	_ZN7rocprim17ROCPRIM_400000_NS6detail17trampoline_kernelINS0_14default_configENS1_27scan_by_key_config_selectorIj11FixedVectorIiLj1EEEEZZNS1_16scan_by_key_implILNS1_25lookback_scan_determinismE0ELb0ES3_N6thrust23THRUST_200600_302600_NS6detail15normal_iteratorINSB_10device_ptrIjEEEENSD_INSE_IS6_EEEESI_S6_NSB_4plusIvEENSB_8equal_toIvEES6_EE10hipError_tPvRmT2_T3_T4_T5_mT6_T7_P12ihipStream_tbENKUlT_T0_E_clISt17integral_constantIbLb1EES12_IbLb0EEEEDaSY_SZ_EUlSY_E_NS1_11comp_targetILNS1_3genE8ELNS1_11target_archE1030ELNS1_3gpuE2ELNS1_3repE0EEENS1_30default_config_static_selectorELNS0_4arch9wavefront6targetE1EEEvT1_,@function
_ZN7rocprim17ROCPRIM_400000_NS6detail17trampoline_kernelINS0_14default_configENS1_27scan_by_key_config_selectorIj11FixedVectorIiLj1EEEEZZNS1_16scan_by_key_implILNS1_25lookback_scan_determinismE0ELb0ES3_N6thrust23THRUST_200600_302600_NS6detail15normal_iteratorINSB_10device_ptrIjEEEENSD_INSE_IS6_EEEESI_S6_NSB_4plusIvEENSB_8equal_toIvEES6_EE10hipError_tPvRmT2_T3_T4_T5_mT6_T7_P12ihipStream_tbENKUlT_T0_E_clISt17integral_constantIbLb1EES12_IbLb0EEEEDaSY_SZ_EUlSY_E_NS1_11comp_targetILNS1_3genE8ELNS1_11target_archE1030ELNS1_3gpuE2ELNS1_3repE0EEENS1_30default_config_static_selectorELNS0_4arch9wavefront6targetE1EEEvT1_: ; @_ZN7rocprim17ROCPRIM_400000_NS6detail17trampoline_kernelINS0_14default_configENS1_27scan_by_key_config_selectorIj11FixedVectorIiLj1EEEEZZNS1_16scan_by_key_implILNS1_25lookback_scan_determinismE0ELb0ES3_N6thrust23THRUST_200600_302600_NS6detail15normal_iteratorINSB_10device_ptrIjEEEENSD_INSE_IS6_EEEESI_S6_NSB_4plusIvEENSB_8equal_toIvEES6_EE10hipError_tPvRmT2_T3_T4_T5_mT6_T7_P12ihipStream_tbENKUlT_T0_E_clISt17integral_constantIbLb1EES12_IbLb0EEEEDaSY_SZ_EUlSY_E_NS1_11comp_targetILNS1_3genE8ELNS1_11target_archE1030ELNS1_3gpuE2ELNS1_3repE0EEENS1_30default_config_static_selectorELNS0_4arch9wavefront6targetE1EEEvT1_
; %bb.0:
	.section	.rodata,"a",@progbits
	.p2align	6, 0x0
	.amdhsa_kernel _ZN7rocprim17ROCPRIM_400000_NS6detail17trampoline_kernelINS0_14default_configENS1_27scan_by_key_config_selectorIj11FixedVectorIiLj1EEEEZZNS1_16scan_by_key_implILNS1_25lookback_scan_determinismE0ELb0ES3_N6thrust23THRUST_200600_302600_NS6detail15normal_iteratorINSB_10device_ptrIjEEEENSD_INSE_IS6_EEEESI_S6_NSB_4plusIvEENSB_8equal_toIvEES6_EE10hipError_tPvRmT2_T3_T4_T5_mT6_T7_P12ihipStream_tbENKUlT_T0_E_clISt17integral_constantIbLb1EES12_IbLb0EEEEDaSY_SZ_EUlSY_E_NS1_11comp_targetILNS1_3genE8ELNS1_11target_archE1030ELNS1_3gpuE2ELNS1_3repE0EEENS1_30default_config_static_selectorELNS0_4arch9wavefront6targetE1EEEvT1_
		.amdhsa_group_segment_fixed_size 0
		.amdhsa_private_segment_fixed_size 0
		.amdhsa_kernarg_size 112
		.amdhsa_user_sgpr_count 2
		.amdhsa_user_sgpr_dispatch_ptr 0
		.amdhsa_user_sgpr_queue_ptr 0
		.amdhsa_user_sgpr_kernarg_segment_ptr 1
		.amdhsa_user_sgpr_dispatch_id 0
		.amdhsa_user_sgpr_kernarg_preload_length 0
		.amdhsa_user_sgpr_kernarg_preload_offset 0
		.amdhsa_user_sgpr_private_segment_size 0
		.amdhsa_uses_dynamic_stack 0
		.amdhsa_enable_private_segment 0
		.amdhsa_system_sgpr_workgroup_id_x 1
		.amdhsa_system_sgpr_workgroup_id_y 0
		.amdhsa_system_sgpr_workgroup_id_z 0
		.amdhsa_system_sgpr_workgroup_info 0
		.amdhsa_system_vgpr_workitem_id 0
		.amdhsa_next_free_vgpr 1
		.amdhsa_next_free_sgpr 0
		.amdhsa_accum_offset 4
		.amdhsa_reserve_vcc 0
		.amdhsa_float_round_mode_32 0
		.amdhsa_float_round_mode_16_64 0
		.amdhsa_float_denorm_mode_32 3
		.amdhsa_float_denorm_mode_16_64 3
		.amdhsa_dx10_clamp 1
		.amdhsa_ieee_mode 1
		.amdhsa_fp16_overflow 0
		.amdhsa_tg_split 0
		.amdhsa_exception_fp_ieee_invalid_op 0
		.amdhsa_exception_fp_denorm_src 0
		.amdhsa_exception_fp_ieee_div_zero 0
		.amdhsa_exception_fp_ieee_overflow 0
		.amdhsa_exception_fp_ieee_underflow 0
		.amdhsa_exception_fp_ieee_inexact 0
		.amdhsa_exception_int_div_zero 0
	.end_amdhsa_kernel
	.section	.text._ZN7rocprim17ROCPRIM_400000_NS6detail17trampoline_kernelINS0_14default_configENS1_27scan_by_key_config_selectorIj11FixedVectorIiLj1EEEEZZNS1_16scan_by_key_implILNS1_25lookback_scan_determinismE0ELb0ES3_N6thrust23THRUST_200600_302600_NS6detail15normal_iteratorINSB_10device_ptrIjEEEENSD_INSE_IS6_EEEESI_S6_NSB_4plusIvEENSB_8equal_toIvEES6_EE10hipError_tPvRmT2_T3_T4_T5_mT6_T7_P12ihipStream_tbENKUlT_T0_E_clISt17integral_constantIbLb1EES12_IbLb0EEEEDaSY_SZ_EUlSY_E_NS1_11comp_targetILNS1_3genE8ELNS1_11target_archE1030ELNS1_3gpuE2ELNS1_3repE0EEENS1_30default_config_static_selectorELNS0_4arch9wavefront6targetE1EEEvT1_,"axG",@progbits,_ZN7rocprim17ROCPRIM_400000_NS6detail17trampoline_kernelINS0_14default_configENS1_27scan_by_key_config_selectorIj11FixedVectorIiLj1EEEEZZNS1_16scan_by_key_implILNS1_25lookback_scan_determinismE0ELb0ES3_N6thrust23THRUST_200600_302600_NS6detail15normal_iteratorINSB_10device_ptrIjEEEENSD_INSE_IS6_EEEESI_S6_NSB_4plusIvEENSB_8equal_toIvEES6_EE10hipError_tPvRmT2_T3_T4_T5_mT6_T7_P12ihipStream_tbENKUlT_T0_E_clISt17integral_constantIbLb1EES12_IbLb0EEEEDaSY_SZ_EUlSY_E_NS1_11comp_targetILNS1_3genE8ELNS1_11target_archE1030ELNS1_3gpuE2ELNS1_3repE0EEENS1_30default_config_static_selectorELNS0_4arch9wavefront6targetE1EEEvT1_,comdat
.Lfunc_end1899:
	.size	_ZN7rocprim17ROCPRIM_400000_NS6detail17trampoline_kernelINS0_14default_configENS1_27scan_by_key_config_selectorIj11FixedVectorIiLj1EEEEZZNS1_16scan_by_key_implILNS1_25lookback_scan_determinismE0ELb0ES3_N6thrust23THRUST_200600_302600_NS6detail15normal_iteratorINSB_10device_ptrIjEEEENSD_INSE_IS6_EEEESI_S6_NSB_4plusIvEENSB_8equal_toIvEES6_EE10hipError_tPvRmT2_T3_T4_T5_mT6_T7_P12ihipStream_tbENKUlT_T0_E_clISt17integral_constantIbLb1EES12_IbLb0EEEEDaSY_SZ_EUlSY_E_NS1_11comp_targetILNS1_3genE8ELNS1_11target_archE1030ELNS1_3gpuE2ELNS1_3repE0EEENS1_30default_config_static_selectorELNS0_4arch9wavefront6targetE1EEEvT1_, .Lfunc_end1899-_ZN7rocprim17ROCPRIM_400000_NS6detail17trampoline_kernelINS0_14default_configENS1_27scan_by_key_config_selectorIj11FixedVectorIiLj1EEEEZZNS1_16scan_by_key_implILNS1_25lookback_scan_determinismE0ELb0ES3_N6thrust23THRUST_200600_302600_NS6detail15normal_iteratorINSB_10device_ptrIjEEEENSD_INSE_IS6_EEEESI_S6_NSB_4plusIvEENSB_8equal_toIvEES6_EE10hipError_tPvRmT2_T3_T4_T5_mT6_T7_P12ihipStream_tbENKUlT_T0_E_clISt17integral_constantIbLb1EES12_IbLb0EEEEDaSY_SZ_EUlSY_E_NS1_11comp_targetILNS1_3genE8ELNS1_11target_archE1030ELNS1_3gpuE2ELNS1_3repE0EEENS1_30default_config_static_selectorELNS0_4arch9wavefront6targetE1EEEvT1_
                                        ; -- End function
	.section	.AMDGPU.csdata,"",@progbits
; Kernel info:
; codeLenInByte = 0
; NumSgprs: 6
; NumVgprs: 0
; NumAgprs: 0
; TotalNumVgprs: 0
; ScratchSize: 0
; MemoryBound: 0
; FloatMode: 240
; IeeeMode: 1
; LDSByteSize: 0 bytes/workgroup (compile time only)
; SGPRBlocks: 0
; VGPRBlocks: 0
; NumSGPRsForWavesPerEU: 6
; NumVGPRsForWavesPerEU: 1
; AccumOffset: 4
; Occupancy: 8
; WaveLimiterHint : 0
; COMPUTE_PGM_RSRC2:SCRATCH_EN: 0
; COMPUTE_PGM_RSRC2:USER_SGPR: 2
; COMPUTE_PGM_RSRC2:TRAP_HANDLER: 0
; COMPUTE_PGM_RSRC2:TGID_X_EN: 1
; COMPUTE_PGM_RSRC2:TGID_Y_EN: 0
; COMPUTE_PGM_RSRC2:TGID_Z_EN: 0
; COMPUTE_PGM_RSRC2:TIDIG_COMP_CNT: 0
; COMPUTE_PGM_RSRC3_GFX90A:ACCUM_OFFSET: 0
; COMPUTE_PGM_RSRC3_GFX90A:TG_SPLIT: 0
	.section	.text._ZN7rocprim17ROCPRIM_400000_NS6detail30init_device_scan_by_key_kernelINS1_19lookback_scan_stateINS0_5tupleIJ11FixedVectorIiLj1EEbEEELb0ELb1EEEN6thrust23THRUST_200600_302600_NS6detail15normal_iteratorINSA_10device_ptrIjEEEEjNS1_16block_id_wrapperIjLb1EEEEEvT_jjPNSI_10value_typeET0_PNSt15iterator_traitsISL_E10value_typeEmT1_T2_,"axG",@progbits,_ZN7rocprim17ROCPRIM_400000_NS6detail30init_device_scan_by_key_kernelINS1_19lookback_scan_stateINS0_5tupleIJ11FixedVectorIiLj1EEbEEELb0ELb1EEEN6thrust23THRUST_200600_302600_NS6detail15normal_iteratorINSA_10device_ptrIjEEEEjNS1_16block_id_wrapperIjLb1EEEEEvT_jjPNSI_10value_typeET0_PNSt15iterator_traitsISL_E10value_typeEmT1_T2_,comdat
	.protected	_ZN7rocprim17ROCPRIM_400000_NS6detail30init_device_scan_by_key_kernelINS1_19lookback_scan_stateINS0_5tupleIJ11FixedVectorIiLj1EEbEEELb0ELb1EEEN6thrust23THRUST_200600_302600_NS6detail15normal_iteratorINSA_10device_ptrIjEEEEjNS1_16block_id_wrapperIjLb1EEEEEvT_jjPNSI_10value_typeET0_PNSt15iterator_traitsISL_E10value_typeEmT1_T2_ ; -- Begin function _ZN7rocprim17ROCPRIM_400000_NS6detail30init_device_scan_by_key_kernelINS1_19lookback_scan_stateINS0_5tupleIJ11FixedVectorIiLj1EEbEEELb0ELb1EEEN6thrust23THRUST_200600_302600_NS6detail15normal_iteratorINSA_10device_ptrIjEEEEjNS1_16block_id_wrapperIjLb1EEEEEvT_jjPNSI_10value_typeET0_PNSt15iterator_traitsISL_E10value_typeEmT1_T2_
	.globl	_ZN7rocprim17ROCPRIM_400000_NS6detail30init_device_scan_by_key_kernelINS1_19lookback_scan_stateINS0_5tupleIJ11FixedVectorIiLj1EEbEEELb0ELb1EEEN6thrust23THRUST_200600_302600_NS6detail15normal_iteratorINSA_10device_ptrIjEEEEjNS1_16block_id_wrapperIjLb1EEEEEvT_jjPNSI_10value_typeET0_PNSt15iterator_traitsISL_E10value_typeEmT1_T2_
	.p2align	8
	.type	_ZN7rocprim17ROCPRIM_400000_NS6detail30init_device_scan_by_key_kernelINS1_19lookback_scan_stateINS0_5tupleIJ11FixedVectorIiLj1EEbEEELb0ELb1EEEN6thrust23THRUST_200600_302600_NS6detail15normal_iteratorINSA_10device_ptrIjEEEEjNS1_16block_id_wrapperIjLb1EEEEEvT_jjPNSI_10value_typeET0_PNSt15iterator_traitsISL_E10value_typeEmT1_T2_,@function
_ZN7rocprim17ROCPRIM_400000_NS6detail30init_device_scan_by_key_kernelINS1_19lookback_scan_stateINS0_5tupleIJ11FixedVectorIiLj1EEbEEELb0ELb1EEEN6thrust23THRUST_200600_302600_NS6detail15normal_iteratorINSA_10device_ptrIjEEEEjNS1_16block_id_wrapperIjLb1EEEEEvT_jjPNSI_10value_typeET0_PNSt15iterator_traitsISL_E10value_typeEmT1_T2_: ; @_ZN7rocprim17ROCPRIM_400000_NS6detail30init_device_scan_by_key_kernelINS1_19lookback_scan_stateINS0_5tupleIJ11FixedVectorIiLj1EEbEEELb0ELb1EEEN6thrust23THRUST_200600_302600_NS6detail15normal_iteratorINSA_10device_ptrIjEEEEjNS1_16block_id_wrapperIjLb1EEEEEvT_jjPNSI_10value_typeET0_PNSt15iterator_traitsISL_E10value_typeEmT1_T2_
; %bb.0:
	s_load_dword s3, s[0:1], 0x4c
	s_load_dwordx8 s[4:11], s[0:1], 0x0
	s_load_dword s18, s[0:1], 0x40
	s_waitcnt lgkmcnt(0)
	s_and_b32 s19, s3, 0xffff
	s_mul_i32 s2, s2, s19
	s_cmp_eq_u64 s[8:9], 0
	v_add_u32_e32 v4, s2, v0
	s_cbranch_scc1 .LBB1900_8
; %bb.1:
	s_cmp_lt_u32 s7, s6
	s_cselect_b32 s2, s7, 0
	s_mov_b32 s13, 0
	v_cmp_eq_u32_e32 vcc, s2, v4
	s_and_saveexec_b64 s[2:3], vcc
	s_cbranch_execz .LBB1900_7
; %bb.2:
	s_add_i32 s12, s7, 64
	s_lshl_b64 s[12:13], s[12:13], 4
	s_add_u32 s16, s4, s12
	s_addc_u32 s17, s5, s13
	v_mov_b64_e32 v[0:1], s[16:17]
	;;#ASMSTART
	global_load_dwordx4 v[0:3], v[0:1] off sc1	
s_waitcnt vmcnt(0)
	;;#ASMEND
	v_mov_b32_e32 v7, 0
	v_and_b32_e32 v6, 0xff, v2
	s_mov_b64 s[14:15], 0
	v_cmp_eq_u64_e32 vcc, 0, v[6:7]
	s_and_saveexec_b64 s[12:13], vcc
	s_cbranch_execz .LBB1900_6
; %bb.3:
	v_mov_b64_e32 v[8:9], s[16:17]
.LBB1900_4:                             ; =>This Inner Loop Header: Depth=1
	;;#ASMSTART
	global_load_dwordx4 v[0:3], v[8:9] off sc1	
s_waitcnt vmcnt(0)
	;;#ASMEND
	s_nop 0
	v_and_b32_e32 v6, 0xff, v2
	v_cmp_ne_u64_e32 vcc, 0, v[6:7]
	s_or_b64 s[14:15], vcc, s[14:15]
	s_andn2_b64 exec, exec, s[14:15]
	s_cbranch_execnz .LBB1900_4
; %bb.5:
	s_or_b64 exec, exec, s[14:15]
.LBB1900_6:
	s_or_b64 exec, exec, s[12:13]
	v_mov_b32_e32 v2, 0
	global_store_dword v2, v0, s[8:9]
	global_store_byte v2, v1, s[8:9] offset:4
.LBB1900_7:
	s_or_b64 exec, exec, s[2:3]
.LBB1900_8:
	v_cmp_eq_u32_e32 vcc, 0, v4
	s_and_saveexec_b64 s[2:3], vcc
	s_cbranch_execz .LBB1900_10
; %bb.9:
	s_load_dwordx2 s[8:9], s[0:1], 0x38
	v_mov_b32_e32 v0, 0
	s_waitcnt lgkmcnt(0)
	global_store_dword v0, v0, s[8:9]
.LBB1900_10:
	s_or_b64 exec, exec, s[2:3]
	v_cmp_gt_u32_e32 vcc, s6, v4
	s_and_saveexec_b64 s[2:3], vcc
	s_cbranch_execz .LBB1900_12
; %bb.11:
	v_add_u32_e32 v0, 64, v4
	v_mov_b32_e32 v1, 0
	v_lshl_add_u64 v[6:7], v[0:1], 4, s[4:5]
	v_mov_b32_e32 v0, v1
	v_mov_b32_e32 v2, v1
	;; [unrolled: 1-line block ×3, first 2 shown]
	global_store_dwordx4 v[6:7], v[0:3], off
.LBB1900_12:
	s_or_b64 exec, exec, s[2:3]
	v_cmp_gt_u32_e32 vcc, 64, v4
	v_mov_b32_e32 v5, 0
	s_and_saveexec_b64 s[2:3], vcc
	s_cbranch_execz .LBB1900_14
; %bb.13:
	v_lshl_add_u64 v[6:7], v[4:5], 4, s[4:5]
	v_mov_b32_e32 v2, 0xff
	v_mov_b32_e32 v0, v5
	;; [unrolled: 1-line block ×4, first 2 shown]
	global_store_dwordx4 v[6:7], v[0:3], off
.LBB1900_14:
	s_or_b64 exec, exec, s[2:3]
	s_load_dwordx2 s[2:3], s[0:1], 0x28
	s_waitcnt lgkmcnt(0)
	v_cmp_gt_u64_e32 vcc, s[2:3], v[4:5]
	s_and_saveexec_b64 s[4:5], vcc
	s_cbranch_execz .LBB1900_17
; %bb.15:
	s_load_dword s12, s[0:1], 0x30
	s_load_dwordx2 s[6:7], s[0:1], 0x20
	s_mov_b32 s5, 0
	s_mov_b32 s1, s5
	s_mul_i32 s0, s18, s19
	s_waitcnt lgkmcnt(0)
	s_add_i32 s4, s12, -1
	s_lshl_b64 s[4:5], s[4:5], 2
	s_add_u32 s4, s10, s4
	v_mad_u64_u32 v[0:1], s[8:9], s12, v4, 0
	s_addc_u32 s5, s11, s5
	v_lshl_add_u64 v[0:1], v[0:1], 2, s[4:5]
	s_mul_hi_u32 s5, s12, s0
	s_mul_i32 s4, s12, s0
	s_lshl_b64 s[4:5], s[4:5], 2
	v_lshl_add_u64 v[2:3], v[4:5], 2, s[6:7]
	s_lshl_b64 s[6:7], s[0:1], 2
	s_mov_b64 s[8:9], 0
.LBB1900_16:                            ; =>This Inner Loop Header: Depth=1
	global_load_dword v6, v[0:1], off
	v_lshl_add_u64 v[4:5], v[4:5], 0, s[0:1]
	v_cmp_le_u64_e32 vcc, s[2:3], v[4:5]
	v_lshl_add_u64 v[0:1], v[0:1], 0, s[4:5]
	s_or_b64 s[8:9], vcc, s[8:9]
	s_waitcnt vmcnt(0)
	global_store_dword v[2:3], v6, off
	v_lshl_add_u64 v[2:3], v[2:3], 0, s[6:7]
	s_andn2_b64 exec, exec, s[8:9]
	s_cbranch_execnz .LBB1900_16
.LBB1900_17:
	s_endpgm
	.section	.rodata,"a",@progbits
	.p2align	6, 0x0
	.amdhsa_kernel _ZN7rocprim17ROCPRIM_400000_NS6detail30init_device_scan_by_key_kernelINS1_19lookback_scan_stateINS0_5tupleIJ11FixedVectorIiLj1EEbEEELb0ELb1EEEN6thrust23THRUST_200600_302600_NS6detail15normal_iteratorINSA_10device_ptrIjEEEEjNS1_16block_id_wrapperIjLb1EEEEEvT_jjPNSI_10value_typeET0_PNSt15iterator_traitsISL_E10value_typeEmT1_T2_
		.amdhsa_group_segment_fixed_size 0
		.amdhsa_private_segment_fixed_size 0
		.amdhsa_kernarg_size 320
		.amdhsa_user_sgpr_count 2
		.amdhsa_user_sgpr_dispatch_ptr 0
		.amdhsa_user_sgpr_queue_ptr 0
		.amdhsa_user_sgpr_kernarg_segment_ptr 1
		.amdhsa_user_sgpr_dispatch_id 0
		.amdhsa_user_sgpr_kernarg_preload_length 0
		.amdhsa_user_sgpr_kernarg_preload_offset 0
		.amdhsa_user_sgpr_private_segment_size 0
		.amdhsa_uses_dynamic_stack 0
		.amdhsa_enable_private_segment 0
		.amdhsa_system_sgpr_workgroup_id_x 1
		.amdhsa_system_sgpr_workgroup_id_y 0
		.amdhsa_system_sgpr_workgroup_id_z 0
		.amdhsa_system_sgpr_workgroup_info 0
		.amdhsa_system_vgpr_workitem_id 0
		.amdhsa_next_free_vgpr 10
		.amdhsa_next_free_sgpr 20
		.amdhsa_accum_offset 12
		.amdhsa_reserve_vcc 1
		.amdhsa_float_round_mode_32 0
		.amdhsa_float_round_mode_16_64 0
		.amdhsa_float_denorm_mode_32 3
		.amdhsa_float_denorm_mode_16_64 3
		.amdhsa_dx10_clamp 1
		.amdhsa_ieee_mode 1
		.amdhsa_fp16_overflow 0
		.amdhsa_tg_split 0
		.amdhsa_exception_fp_ieee_invalid_op 0
		.amdhsa_exception_fp_denorm_src 0
		.amdhsa_exception_fp_ieee_div_zero 0
		.amdhsa_exception_fp_ieee_overflow 0
		.amdhsa_exception_fp_ieee_underflow 0
		.amdhsa_exception_fp_ieee_inexact 0
		.amdhsa_exception_int_div_zero 0
	.end_amdhsa_kernel
	.section	.text._ZN7rocprim17ROCPRIM_400000_NS6detail30init_device_scan_by_key_kernelINS1_19lookback_scan_stateINS0_5tupleIJ11FixedVectorIiLj1EEbEEELb0ELb1EEEN6thrust23THRUST_200600_302600_NS6detail15normal_iteratorINSA_10device_ptrIjEEEEjNS1_16block_id_wrapperIjLb1EEEEEvT_jjPNSI_10value_typeET0_PNSt15iterator_traitsISL_E10value_typeEmT1_T2_,"axG",@progbits,_ZN7rocprim17ROCPRIM_400000_NS6detail30init_device_scan_by_key_kernelINS1_19lookback_scan_stateINS0_5tupleIJ11FixedVectorIiLj1EEbEEELb0ELb1EEEN6thrust23THRUST_200600_302600_NS6detail15normal_iteratorINSA_10device_ptrIjEEEEjNS1_16block_id_wrapperIjLb1EEEEEvT_jjPNSI_10value_typeET0_PNSt15iterator_traitsISL_E10value_typeEmT1_T2_,comdat
.Lfunc_end1900:
	.size	_ZN7rocprim17ROCPRIM_400000_NS6detail30init_device_scan_by_key_kernelINS1_19lookback_scan_stateINS0_5tupleIJ11FixedVectorIiLj1EEbEEELb0ELb1EEEN6thrust23THRUST_200600_302600_NS6detail15normal_iteratorINSA_10device_ptrIjEEEEjNS1_16block_id_wrapperIjLb1EEEEEvT_jjPNSI_10value_typeET0_PNSt15iterator_traitsISL_E10value_typeEmT1_T2_, .Lfunc_end1900-_ZN7rocprim17ROCPRIM_400000_NS6detail30init_device_scan_by_key_kernelINS1_19lookback_scan_stateINS0_5tupleIJ11FixedVectorIiLj1EEbEEELb0ELb1EEEN6thrust23THRUST_200600_302600_NS6detail15normal_iteratorINSA_10device_ptrIjEEEEjNS1_16block_id_wrapperIjLb1EEEEEvT_jjPNSI_10value_typeET0_PNSt15iterator_traitsISL_E10value_typeEmT1_T2_
                                        ; -- End function
	.section	.AMDGPU.csdata,"",@progbits
; Kernel info:
; codeLenInByte = 548
; NumSgprs: 26
; NumVgprs: 10
; NumAgprs: 0
; TotalNumVgprs: 10
; ScratchSize: 0
; MemoryBound: 0
; FloatMode: 240
; IeeeMode: 1
; LDSByteSize: 0 bytes/workgroup (compile time only)
; SGPRBlocks: 3
; VGPRBlocks: 1
; NumSGPRsForWavesPerEU: 26
; NumVGPRsForWavesPerEU: 10
; AccumOffset: 12
; Occupancy: 8
; WaveLimiterHint : 0
; COMPUTE_PGM_RSRC2:SCRATCH_EN: 0
; COMPUTE_PGM_RSRC2:USER_SGPR: 2
; COMPUTE_PGM_RSRC2:TRAP_HANDLER: 0
; COMPUTE_PGM_RSRC2:TGID_X_EN: 1
; COMPUTE_PGM_RSRC2:TGID_Y_EN: 0
; COMPUTE_PGM_RSRC2:TGID_Z_EN: 0
; COMPUTE_PGM_RSRC2:TIDIG_COMP_CNT: 0
; COMPUTE_PGM_RSRC3_GFX90A:ACCUM_OFFSET: 2
; COMPUTE_PGM_RSRC3_GFX90A:TG_SPLIT: 0
	.section	.text._ZN7rocprim17ROCPRIM_400000_NS6detail30init_device_scan_by_key_kernelINS1_19lookback_scan_stateINS0_5tupleIJ11FixedVectorIiLj1EEbEEELb0ELb1EEENS1_16block_id_wrapperIjLb1EEEEEvT_jjPNSB_10value_typeET0_,"axG",@progbits,_ZN7rocprim17ROCPRIM_400000_NS6detail30init_device_scan_by_key_kernelINS1_19lookback_scan_stateINS0_5tupleIJ11FixedVectorIiLj1EEbEEELb0ELb1EEENS1_16block_id_wrapperIjLb1EEEEEvT_jjPNSB_10value_typeET0_,comdat
	.protected	_ZN7rocprim17ROCPRIM_400000_NS6detail30init_device_scan_by_key_kernelINS1_19lookback_scan_stateINS0_5tupleIJ11FixedVectorIiLj1EEbEEELb0ELb1EEENS1_16block_id_wrapperIjLb1EEEEEvT_jjPNSB_10value_typeET0_ ; -- Begin function _ZN7rocprim17ROCPRIM_400000_NS6detail30init_device_scan_by_key_kernelINS1_19lookback_scan_stateINS0_5tupleIJ11FixedVectorIiLj1EEbEEELb0ELb1EEENS1_16block_id_wrapperIjLb1EEEEEvT_jjPNSB_10value_typeET0_
	.globl	_ZN7rocprim17ROCPRIM_400000_NS6detail30init_device_scan_by_key_kernelINS1_19lookback_scan_stateINS0_5tupleIJ11FixedVectorIiLj1EEbEEELb0ELb1EEENS1_16block_id_wrapperIjLb1EEEEEvT_jjPNSB_10value_typeET0_
	.p2align	8
	.type	_ZN7rocprim17ROCPRIM_400000_NS6detail30init_device_scan_by_key_kernelINS1_19lookback_scan_stateINS0_5tupleIJ11FixedVectorIiLj1EEbEEELb0ELb1EEENS1_16block_id_wrapperIjLb1EEEEEvT_jjPNSB_10value_typeET0_,@function
_ZN7rocprim17ROCPRIM_400000_NS6detail30init_device_scan_by_key_kernelINS1_19lookback_scan_stateINS0_5tupleIJ11FixedVectorIiLj1EEbEEELb0ELb1EEENS1_16block_id_wrapperIjLb1EEEEEvT_jjPNSB_10value_typeET0_: ; @_ZN7rocprim17ROCPRIM_400000_NS6detail30init_device_scan_by_key_kernelINS1_19lookback_scan_stateINS0_5tupleIJ11FixedVectorIiLj1EEbEEELb0ELb1EEENS1_16block_id_wrapperIjLb1EEEEEvT_jjPNSB_10value_typeET0_
; %bb.0:
	s_load_dword s3, s[0:1], 0x2c
	s_load_dwordx8 s[4:11], s[0:1], 0x0
	s_waitcnt lgkmcnt(0)
	s_and_b32 s0, s3, 0xffff
	s_mul_i32 s2, s2, s0
	s_cmp_eq_u64 s[8:9], 0
	v_add_u32_e32 v0, s2, v0
	s_cbranch_scc1 .LBB1901_8
; %bb.1:
	s_cmp_lt_u32 s7, s6
	s_cselect_b32 s0, s7, 0
	s_mov_b32 s3, 0
	v_cmp_eq_u32_e32 vcc, s0, v0
	s_and_saveexec_b64 s[0:1], vcc
	s_cbranch_execz .LBB1901_7
; %bb.2:
	s_add_i32 s2, s7, 64
	s_lshl_b64 s[2:3], s[2:3], 4
	s_add_u32 s14, s4, s2
	s_addc_u32 s15, s5, s3
	v_mov_b64_e32 v[2:3], s[14:15]
	;;#ASMSTART
	global_load_dwordx4 v[2:5], v[2:3] off sc1	
s_waitcnt vmcnt(0)
	;;#ASMEND
	v_mov_b32_e32 v7, 0
	v_and_b32_e32 v6, 0xff, v4
	s_mov_b64 s[12:13], 0
	v_cmp_eq_u64_e32 vcc, 0, v[6:7]
	s_and_saveexec_b64 s[2:3], vcc
	s_cbranch_execz .LBB1901_6
; %bb.3:
	v_mov_b64_e32 v[8:9], s[14:15]
.LBB1901_4:                             ; =>This Inner Loop Header: Depth=1
	;;#ASMSTART
	global_load_dwordx4 v[2:5], v[8:9] off sc1	
s_waitcnt vmcnt(0)
	;;#ASMEND
	s_nop 0
	v_and_b32_e32 v6, 0xff, v4
	v_cmp_ne_u64_e32 vcc, 0, v[6:7]
	s_or_b64 s[12:13], vcc, s[12:13]
	s_andn2_b64 exec, exec, s[12:13]
	s_cbranch_execnz .LBB1901_4
; %bb.5:
	s_or_b64 exec, exec, s[12:13]
.LBB1901_6:
	s_or_b64 exec, exec, s[2:3]
	v_mov_b32_e32 v1, 0
	global_store_dword v1, v2, s[8:9]
	global_store_byte v1, v3, s[8:9] offset:4
.LBB1901_7:
	s_or_b64 exec, exec, s[0:1]
.LBB1901_8:
	v_cmp_eq_u32_e32 vcc, 0, v0
	s_and_saveexec_b64 s[0:1], vcc
	s_cbranch_execnz .LBB1901_12
; %bb.9:
	s_or_b64 exec, exec, s[0:1]
	v_cmp_gt_u32_e32 vcc, s6, v0
	s_and_saveexec_b64 s[0:1], vcc
	s_cbranch_execnz .LBB1901_13
.LBB1901_10:
	s_or_b64 exec, exec, s[0:1]
	v_cmp_gt_u32_e32 vcc, 64, v0
	s_and_saveexec_b64 s[0:1], vcc
	s_cbranch_execnz .LBB1901_14
.LBB1901_11:
	s_endpgm
.LBB1901_12:
	v_mov_b32_e32 v1, 0
	global_store_dword v1, v1, s[10:11]
	s_or_b64 exec, exec, s[0:1]
	v_cmp_gt_u32_e32 vcc, s6, v0
	s_and_saveexec_b64 s[0:1], vcc
	s_cbranch_execz .LBB1901_10
.LBB1901_13:
	v_add_u32_e32 v2, 64, v0
	v_mov_b32_e32 v3, 0
	v_lshl_add_u64 v[6:7], v[2:3], 4, s[4:5]
	v_mov_b32_e32 v2, v3
	v_mov_b32_e32 v4, v3
	;; [unrolled: 1-line block ×3, first 2 shown]
	global_store_dwordx4 v[6:7], v[2:5], off
	s_or_b64 exec, exec, s[0:1]
	v_cmp_gt_u32_e32 vcc, 64, v0
	s_and_saveexec_b64 s[0:1], vcc
	s_cbranch_execz .LBB1901_11
.LBB1901_14:
	v_mov_b32_e32 v1, 0
	v_lshl_add_u64 v[4:5], v[0:1], 4, s[4:5]
	v_mov_b32_e32 v2, 0xff
	v_mov_b32_e32 v0, v1
	;; [unrolled: 1-line block ×3, first 2 shown]
	global_store_dwordx4 v[4:5], v[0:3], off
	s_endpgm
	.section	.rodata,"a",@progbits
	.p2align	6, 0x0
	.amdhsa_kernel _ZN7rocprim17ROCPRIM_400000_NS6detail30init_device_scan_by_key_kernelINS1_19lookback_scan_stateINS0_5tupleIJ11FixedVectorIiLj1EEbEEELb0ELb1EEENS1_16block_id_wrapperIjLb1EEEEEvT_jjPNSB_10value_typeET0_
		.amdhsa_group_segment_fixed_size 0
		.amdhsa_private_segment_fixed_size 0
		.amdhsa_kernarg_size 288
		.amdhsa_user_sgpr_count 2
		.amdhsa_user_sgpr_dispatch_ptr 0
		.amdhsa_user_sgpr_queue_ptr 0
		.amdhsa_user_sgpr_kernarg_segment_ptr 1
		.amdhsa_user_sgpr_dispatch_id 0
		.amdhsa_user_sgpr_kernarg_preload_length 0
		.amdhsa_user_sgpr_kernarg_preload_offset 0
		.amdhsa_user_sgpr_private_segment_size 0
		.amdhsa_uses_dynamic_stack 0
		.amdhsa_enable_private_segment 0
		.amdhsa_system_sgpr_workgroup_id_x 1
		.amdhsa_system_sgpr_workgroup_id_y 0
		.amdhsa_system_sgpr_workgroup_id_z 0
		.amdhsa_system_sgpr_workgroup_info 0
		.amdhsa_system_vgpr_workitem_id 0
		.amdhsa_next_free_vgpr 10
		.amdhsa_next_free_sgpr 16
		.amdhsa_accum_offset 12
		.amdhsa_reserve_vcc 1
		.amdhsa_float_round_mode_32 0
		.amdhsa_float_round_mode_16_64 0
		.amdhsa_float_denorm_mode_32 3
		.amdhsa_float_denorm_mode_16_64 3
		.amdhsa_dx10_clamp 1
		.amdhsa_ieee_mode 1
		.amdhsa_fp16_overflow 0
		.amdhsa_tg_split 0
		.amdhsa_exception_fp_ieee_invalid_op 0
		.amdhsa_exception_fp_denorm_src 0
		.amdhsa_exception_fp_ieee_div_zero 0
		.amdhsa_exception_fp_ieee_overflow 0
		.amdhsa_exception_fp_ieee_underflow 0
		.amdhsa_exception_fp_ieee_inexact 0
		.amdhsa_exception_int_div_zero 0
	.end_amdhsa_kernel
	.section	.text._ZN7rocprim17ROCPRIM_400000_NS6detail30init_device_scan_by_key_kernelINS1_19lookback_scan_stateINS0_5tupleIJ11FixedVectorIiLj1EEbEEELb0ELb1EEENS1_16block_id_wrapperIjLb1EEEEEvT_jjPNSB_10value_typeET0_,"axG",@progbits,_ZN7rocprim17ROCPRIM_400000_NS6detail30init_device_scan_by_key_kernelINS1_19lookback_scan_stateINS0_5tupleIJ11FixedVectorIiLj1EEbEEELb0ELb1EEENS1_16block_id_wrapperIjLb1EEEEEvT_jjPNSB_10value_typeET0_,comdat
.Lfunc_end1901:
	.size	_ZN7rocprim17ROCPRIM_400000_NS6detail30init_device_scan_by_key_kernelINS1_19lookback_scan_stateINS0_5tupleIJ11FixedVectorIiLj1EEbEEELb0ELb1EEENS1_16block_id_wrapperIjLb1EEEEEvT_jjPNSB_10value_typeET0_, .Lfunc_end1901-_ZN7rocprim17ROCPRIM_400000_NS6detail30init_device_scan_by_key_kernelINS1_19lookback_scan_stateINS0_5tupleIJ11FixedVectorIiLj1EEbEEELb0ELb1EEENS1_16block_id_wrapperIjLb1EEEEEvT_jjPNSB_10value_typeET0_
                                        ; -- End function
	.section	.AMDGPU.csdata,"",@progbits
; Kernel info:
; codeLenInByte = 380
; NumSgprs: 22
; NumVgprs: 10
; NumAgprs: 0
; TotalNumVgprs: 10
; ScratchSize: 0
; MemoryBound: 0
; FloatMode: 240
; IeeeMode: 1
; LDSByteSize: 0 bytes/workgroup (compile time only)
; SGPRBlocks: 2
; VGPRBlocks: 1
; NumSGPRsForWavesPerEU: 22
; NumVGPRsForWavesPerEU: 10
; AccumOffset: 12
; Occupancy: 8
; WaveLimiterHint : 0
; COMPUTE_PGM_RSRC2:SCRATCH_EN: 0
; COMPUTE_PGM_RSRC2:USER_SGPR: 2
; COMPUTE_PGM_RSRC2:TRAP_HANDLER: 0
; COMPUTE_PGM_RSRC2:TGID_X_EN: 1
; COMPUTE_PGM_RSRC2:TGID_Y_EN: 0
; COMPUTE_PGM_RSRC2:TGID_Z_EN: 0
; COMPUTE_PGM_RSRC2:TIDIG_COMP_CNT: 0
; COMPUTE_PGM_RSRC3_GFX90A:ACCUM_OFFSET: 2
; COMPUTE_PGM_RSRC3_GFX90A:TG_SPLIT: 0
	.section	.text._ZN7rocprim17ROCPRIM_400000_NS6detail17trampoline_kernelINS0_14default_configENS1_27scan_by_key_config_selectorIj11FixedVectorIiLj1EEEEZZNS1_16scan_by_key_implILNS1_25lookback_scan_determinismE0ELb0ES3_N6thrust23THRUST_200600_302600_NS6detail15normal_iteratorINSB_10device_ptrIjEEEENSD_INSE_IS6_EEEESI_S6_NSB_4plusIvEENSB_8equal_toIvEES6_EE10hipError_tPvRmT2_T3_T4_T5_mT6_T7_P12ihipStream_tbENKUlT_T0_E_clISt17integral_constantIbLb0EES12_IbLb1EEEEDaSY_SZ_EUlSY_E_NS1_11comp_targetILNS1_3genE0ELNS1_11target_archE4294967295ELNS1_3gpuE0ELNS1_3repE0EEENS1_30default_config_static_selectorELNS0_4arch9wavefront6targetE1EEEvT1_,"axG",@progbits,_ZN7rocprim17ROCPRIM_400000_NS6detail17trampoline_kernelINS0_14default_configENS1_27scan_by_key_config_selectorIj11FixedVectorIiLj1EEEEZZNS1_16scan_by_key_implILNS1_25lookback_scan_determinismE0ELb0ES3_N6thrust23THRUST_200600_302600_NS6detail15normal_iteratorINSB_10device_ptrIjEEEENSD_INSE_IS6_EEEESI_S6_NSB_4plusIvEENSB_8equal_toIvEES6_EE10hipError_tPvRmT2_T3_T4_T5_mT6_T7_P12ihipStream_tbENKUlT_T0_E_clISt17integral_constantIbLb0EES12_IbLb1EEEEDaSY_SZ_EUlSY_E_NS1_11comp_targetILNS1_3genE0ELNS1_11target_archE4294967295ELNS1_3gpuE0ELNS1_3repE0EEENS1_30default_config_static_selectorELNS0_4arch9wavefront6targetE1EEEvT1_,comdat
	.protected	_ZN7rocprim17ROCPRIM_400000_NS6detail17trampoline_kernelINS0_14default_configENS1_27scan_by_key_config_selectorIj11FixedVectorIiLj1EEEEZZNS1_16scan_by_key_implILNS1_25lookback_scan_determinismE0ELb0ES3_N6thrust23THRUST_200600_302600_NS6detail15normal_iteratorINSB_10device_ptrIjEEEENSD_INSE_IS6_EEEESI_S6_NSB_4plusIvEENSB_8equal_toIvEES6_EE10hipError_tPvRmT2_T3_T4_T5_mT6_T7_P12ihipStream_tbENKUlT_T0_E_clISt17integral_constantIbLb0EES12_IbLb1EEEEDaSY_SZ_EUlSY_E_NS1_11comp_targetILNS1_3genE0ELNS1_11target_archE4294967295ELNS1_3gpuE0ELNS1_3repE0EEENS1_30default_config_static_selectorELNS0_4arch9wavefront6targetE1EEEvT1_ ; -- Begin function _ZN7rocprim17ROCPRIM_400000_NS6detail17trampoline_kernelINS0_14default_configENS1_27scan_by_key_config_selectorIj11FixedVectorIiLj1EEEEZZNS1_16scan_by_key_implILNS1_25lookback_scan_determinismE0ELb0ES3_N6thrust23THRUST_200600_302600_NS6detail15normal_iteratorINSB_10device_ptrIjEEEENSD_INSE_IS6_EEEESI_S6_NSB_4plusIvEENSB_8equal_toIvEES6_EE10hipError_tPvRmT2_T3_T4_T5_mT6_T7_P12ihipStream_tbENKUlT_T0_E_clISt17integral_constantIbLb0EES12_IbLb1EEEEDaSY_SZ_EUlSY_E_NS1_11comp_targetILNS1_3genE0ELNS1_11target_archE4294967295ELNS1_3gpuE0ELNS1_3repE0EEENS1_30default_config_static_selectorELNS0_4arch9wavefront6targetE1EEEvT1_
	.globl	_ZN7rocprim17ROCPRIM_400000_NS6detail17trampoline_kernelINS0_14default_configENS1_27scan_by_key_config_selectorIj11FixedVectorIiLj1EEEEZZNS1_16scan_by_key_implILNS1_25lookback_scan_determinismE0ELb0ES3_N6thrust23THRUST_200600_302600_NS6detail15normal_iteratorINSB_10device_ptrIjEEEENSD_INSE_IS6_EEEESI_S6_NSB_4plusIvEENSB_8equal_toIvEES6_EE10hipError_tPvRmT2_T3_T4_T5_mT6_T7_P12ihipStream_tbENKUlT_T0_E_clISt17integral_constantIbLb0EES12_IbLb1EEEEDaSY_SZ_EUlSY_E_NS1_11comp_targetILNS1_3genE0ELNS1_11target_archE4294967295ELNS1_3gpuE0ELNS1_3repE0EEENS1_30default_config_static_selectorELNS0_4arch9wavefront6targetE1EEEvT1_
	.p2align	8
	.type	_ZN7rocprim17ROCPRIM_400000_NS6detail17trampoline_kernelINS0_14default_configENS1_27scan_by_key_config_selectorIj11FixedVectorIiLj1EEEEZZNS1_16scan_by_key_implILNS1_25lookback_scan_determinismE0ELb0ES3_N6thrust23THRUST_200600_302600_NS6detail15normal_iteratorINSB_10device_ptrIjEEEENSD_INSE_IS6_EEEESI_S6_NSB_4plusIvEENSB_8equal_toIvEES6_EE10hipError_tPvRmT2_T3_T4_T5_mT6_T7_P12ihipStream_tbENKUlT_T0_E_clISt17integral_constantIbLb0EES12_IbLb1EEEEDaSY_SZ_EUlSY_E_NS1_11comp_targetILNS1_3genE0ELNS1_11target_archE4294967295ELNS1_3gpuE0ELNS1_3repE0EEENS1_30default_config_static_selectorELNS0_4arch9wavefront6targetE1EEEvT1_,@function
_ZN7rocprim17ROCPRIM_400000_NS6detail17trampoline_kernelINS0_14default_configENS1_27scan_by_key_config_selectorIj11FixedVectorIiLj1EEEEZZNS1_16scan_by_key_implILNS1_25lookback_scan_determinismE0ELb0ES3_N6thrust23THRUST_200600_302600_NS6detail15normal_iteratorINSB_10device_ptrIjEEEENSD_INSE_IS6_EEEESI_S6_NSB_4plusIvEENSB_8equal_toIvEES6_EE10hipError_tPvRmT2_T3_T4_T5_mT6_T7_P12ihipStream_tbENKUlT_T0_E_clISt17integral_constantIbLb0EES12_IbLb1EEEEDaSY_SZ_EUlSY_E_NS1_11comp_targetILNS1_3genE0ELNS1_11target_archE4294967295ELNS1_3gpuE0ELNS1_3repE0EEENS1_30default_config_static_selectorELNS0_4arch9wavefront6targetE1EEEvT1_: ; @_ZN7rocprim17ROCPRIM_400000_NS6detail17trampoline_kernelINS0_14default_configENS1_27scan_by_key_config_selectorIj11FixedVectorIiLj1EEEEZZNS1_16scan_by_key_implILNS1_25lookback_scan_determinismE0ELb0ES3_N6thrust23THRUST_200600_302600_NS6detail15normal_iteratorINSB_10device_ptrIjEEEENSD_INSE_IS6_EEEESI_S6_NSB_4plusIvEENSB_8equal_toIvEES6_EE10hipError_tPvRmT2_T3_T4_T5_mT6_T7_P12ihipStream_tbENKUlT_T0_E_clISt17integral_constantIbLb0EES12_IbLb1EEEEDaSY_SZ_EUlSY_E_NS1_11comp_targetILNS1_3genE0ELNS1_11target_archE4294967295ELNS1_3gpuE0ELNS1_3repE0EEENS1_30default_config_static_selectorELNS0_4arch9wavefront6targetE1EEEvT1_
; %bb.0:
	.section	.rodata,"a",@progbits
	.p2align	6, 0x0
	.amdhsa_kernel _ZN7rocprim17ROCPRIM_400000_NS6detail17trampoline_kernelINS0_14default_configENS1_27scan_by_key_config_selectorIj11FixedVectorIiLj1EEEEZZNS1_16scan_by_key_implILNS1_25lookback_scan_determinismE0ELb0ES3_N6thrust23THRUST_200600_302600_NS6detail15normal_iteratorINSB_10device_ptrIjEEEENSD_INSE_IS6_EEEESI_S6_NSB_4plusIvEENSB_8equal_toIvEES6_EE10hipError_tPvRmT2_T3_T4_T5_mT6_T7_P12ihipStream_tbENKUlT_T0_E_clISt17integral_constantIbLb0EES12_IbLb1EEEEDaSY_SZ_EUlSY_E_NS1_11comp_targetILNS1_3genE0ELNS1_11target_archE4294967295ELNS1_3gpuE0ELNS1_3repE0EEENS1_30default_config_static_selectorELNS0_4arch9wavefront6targetE1EEEvT1_
		.amdhsa_group_segment_fixed_size 0
		.amdhsa_private_segment_fixed_size 0
		.amdhsa_kernarg_size 112
		.amdhsa_user_sgpr_count 2
		.amdhsa_user_sgpr_dispatch_ptr 0
		.amdhsa_user_sgpr_queue_ptr 0
		.amdhsa_user_sgpr_kernarg_segment_ptr 1
		.amdhsa_user_sgpr_dispatch_id 0
		.amdhsa_user_sgpr_kernarg_preload_length 0
		.amdhsa_user_sgpr_kernarg_preload_offset 0
		.amdhsa_user_sgpr_private_segment_size 0
		.amdhsa_uses_dynamic_stack 0
		.amdhsa_enable_private_segment 0
		.amdhsa_system_sgpr_workgroup_id_x 1
		.amdhsa_system_sgpr_workgroup_id_y 0
		.amdhsa_system_sgpr_workgroup_id_z 0
		.amdhsa_system_sgpr_workgroup_info 0
		.amdhsa_system_vgpr_workitem_id 0
		.amdhsa_next_free_vgpr 1
		.amdhsa_next_free_sgpr 0
		.amdhsa_accum_offset 4
		.amdhsa_reserve_vcc 0
		.amdhsa_float_round_mode_32 0
		.amdhsa_float_round_mode_16_64 0
		.amdhsa_float_denorm_mode_32 3
		.amdhsa_float_denorm_mode_16_64 3
		.amdhsa_dx10_clamp 1
		.amdhsa_ieee_mode 1
		.amdhsa_fp16_overflow 0
		.amdhsa_tg_split 0
		.amdhsa_exception_fp_ieee_invalid_op 0
		.amdhsa_exception_fp_denorm_src 0
		.amdhsa_exception_fp_ieee_div_zero 0
		.amdhsa_exception_fp_ieee_overflow 0
		.amdhsa_exception_fp_ieee_underflow 0
		.amdhsa_exception_fp_ieee_inexact 0
		.amdhsa_exception_int_div_zero 0
	.end_amdhsa_kernel
	.section	.text._ZN7rocprim17ROCPRIM_400000_NS6detail17trampoline_kernelINS0_14default_configENS1_27scan_by_key_config_selectorIj11FixedVectorIiLj1EEEEZZNS1_16scan_by_key_implILNS1_25lookback_scan_determinismE0ELb0ES3_N6thrust23THRUST_200600_302600_NS6detail15normal_iteratorINSB_10device_ptrIjEEEENSD_INSE_IS6_EEEESI_S6_NSB_4plusIvEENSB_8equal_toIvEES6_EE10hipError_tPvRmT2_T3_T4_T5_mT6_T7_P12ihipStream_tbENKUlT_T0_E_clISt17integral_constantIbLb0EES12_IbLb1EEEEDaSY_SZ_EUlSY_E_NS1_11comp_targetILNS1_3genE0ELNS1_11target_archE4294967295ELNS1_3gpuE0ELNS1_3repE0EEENS1_30default_config_static_selectorELNS0_4arch9wavefront6targetE1EEEvT1_,"axG",@progbits,_ZN7rocprim17ROCPRIM_400000_NS6detail17trampoline_kernelINS0_14default_configENS1_27scan_by_key_config_selectorIj11FixedVectorIiLj1EEEEZZNS1_16scan_by_key_implILNS1_25lookback_scan_determinismE0ELb0ES3_N6thrust23THRUST_200600_302600_NS6detail15normal_iteratorINSB_10device_ptrIjEEEENSD_INSE_IS6_EEEESI_S6_NSB_4plusIvEENSB_8equal_toIvEES6_EE10hipError_tPvRmT2_T3_T4_T5_mT6_T7_P12ihipStream_tbENKUlT_T0_E_clISt17integral_constantIbLb0EES12_IbLb1EEEEDaSY_SZ_EUlSY_E_NS1_11comp_targetILNS1_3genE0ELNS1_11target_archE4294967295ELNS1_3gpuE0ELNS1_3repE0EEENS1_30default_config_static_selectorELNS0_4arch9wavefront6targetE1EEEvT1_,comdat
.Lfunc_end1902:
	.size	_ZN7rocprim17ROCPRIM_400000_NS6detail17trampoline_kernelINS0_14default_configENS1_27scan_by_key_config_selectorIj11FixedVectorIiLj1EEEEZZNS1_16scan_by_key_implILNS1_25lookback_scan_determinismE0ELb0ES3_N6thrust23THRUST_200600_302600_NS6detail15normal_iteratorINSB_10device_ptrIjEEEENSD_INSE_IS6_EEEESI_S6_NSB_4plusIvEENSB_8equal_toIvEES6_EE10hipError_tPvRmT2_T3_T4_T5_mT6_T7_P12ihipStream_tbENKUlT_T0_E_clISt17integral_constantIbLb0EES12_IbLb1EEEEDaSY_SZ_EUlSY_E_NS1_11comp_targetILNS1_3genE0ELNS1_11target_archE4294967295ELNS1_3gpuE0ELNS1_3repE0EEENS1_30default_config_static_selectorELNS0_4arch9wavefront6targetE1EEEvT1_, .Lfunc_end1902-_ZN7rocprim17ROCPRIM_400000_NS6detail17trampoline_kernelINS0_14default_configENS1_27scan_by_key_config_selectorIj11FixedVectorIiLj1EEEEZZNS1_16scan_by_key_implILNS1_25lookback_scan_determinismE0ELb0ES3_N6thrust23THRUST_200600_302600_NS6detail15normal_iteratorINSB_10device_ptrIjEEEENSD_INSE_IS6_EEEESI_S6_NSB_4plusIvEENSB_8equal_toIvEES6_EE10hipError_tPvRmT2_T3_T4_T5_mT6_T7_P12ihipStream_tbENKUlT_T0_E_clISt17integral_constantIbLb0EES12_IbLb1EEEEDaSY_SZ_EUlSY_E_NS1_11comp_targetILNS1_3genE0ELNS1_11target_archE4294967295ELNS1_3gpuE0ELNS1_3repE0EEENS1_30default_config_static_selectorELNS0_4arch9wavefront6targetE1EEEvT1_
                                        ; -- End function
	.section	.AMDGPU.csdata,"",@progbits
; Kernel info:
; codeLenInByte = 0
; NumSgprs: 6
; NumVgprs: 0
; NumAgprs: 0
; TotalNumVgprs: 0
; ScratchSize: 0
; MemoryBound: 0
; FloatMode: 240
; IeeeMode: 1
; LDSByteSize: 0 bytes/workgroup (compile time only)
; SGPRBlocks: 0
; VGPRBlocks: 0
; NumSGPRsForWavesPerEU: 6
; NumVGPRsForWavesPerEU: 1
; AccumOffset: 4
; Occupancy: 8
; WaveLimiterHint : 0
; COMPUTE_PGM_RSRC2:SCRATCH_EN: 0
; COMPUTE_PGM_RSRC2:USER_SGPR: 2
; COMPUTE_PGM_RSRC2:TRAP_HANDLER: 0
; COMPUTE_PGM_RSRC2:TGID_X_EN: 1
; COMPUTE_PGM_RSRC2:TGID_Y_EN: 0
; COMPUTE_PGM_RSRC2:TGID_Z_EN: 0
; COMPUTE_PGM_RSRC2:TIDIG_COMP_CNT: 0
; COMPUTE_PGM_RSRC3_GFX90A:ACCUM_OFFSET: 0
; COMPUTE_PGM_RSRC3_GFX90A:TG_SPLIT: 0
	.section	.text._ZN7rocprim17ROCPRIM_400000_NS6detail17trampoline_kernelINS0_14default_configENS1_27scan_by_key_config_selectorIj11FixedVectorIiLj1EEEEZZNS1_16scan_by_key_implILNS1_25lookback_scan_determinismE0ELb0ES3_N6thrust23THRUST_200600_302600_NS6detail15normal_iteratorINSB_10device_ptrIjEEEENSD_INSE_IS6_EEEESI_S6_NSB_4plusIvEENSB_8equal_toIvEES6_EE10hipError_tPvRmT2_T3_T4_T5_mT6_T7_P12ihipStream_tbENKUlT_T0_E_clISt17integral_constantIbLb0EES12_IbLb1EEEEDaSY_SZ_EUlSY_E_NS1_11comp_targetILNS1_3genE10ELNS1_11target_archE1201ELNS1_3gpuE5ELNS1_3repE0EEENS1_30default_config_static_selectorELNS0_4arch9wavefront6targetE1EEEvT1_,"axG",@progbits,_ZN7rocprim17ROCPRIM_400000_NS6detail17trampoline_kernelINS0_14default_configENS1_27scan_by_key_config_selectorIj11FixedVectorIiLj1EEEEZZNS1_16scan_by_key_implILNS1_25lookback_scan_determinismE0ELb0ES3_N6thrust23THRUST_200600_302600_NS6detail15normal_iteratorINSB_10device_ptrIjEEEENSD_INSE_IS6_EEEESI_S6_NSB_4plusIvEENSB_8equal_toIvEES6_EE10hipError_tPvRmT2_T3_T4_T5_mT6_T7_P12ihipStream_tbENKUlT_T0_E_clISt17integral_constantIbLb0EES12_IbLb1EEEEDaSY_SZ_EUlSY_E_NS1_11comp_targetILNS1_3genE10ELNS1_11target_archE1201ELNS1_3gpuE5ELNS1_3repE0EEENS1_30default_config_static_selectorELNS0_4arch9wavefront6targetE1EEEvT1_,comdat
	.protected	_ZN7rocprim17ROCPRIM_400000_NS6detail17trampoline_kernelINS0_14default_configENS1_27scan_by_key_config_selectorIj11FixedVectorIiLj1EEEEZZNS1_16scan_by_key_implILNS1_25lookback_scan_determinismE0ELb0ES3_N6thrust23THRUST_200600_302600_NS6detail15normal_iteratorINSB_10device_ptrIjEEEENSD_INSE_IS6_EEEESI_S6_NSB_4plusIvEENSB_8equal_toIvEES6_EE10hipError_tPvRmT2_T3_T4_T5_mT6_T7_P12ihipStream_tbENKUlT_T0_E_clISt17integral_constantIbLb0EES12_IbLb1EEEEDaSY_SZ_EUlSY_E_NS1_11comp_targetILNS1_3genE10ELNS1_11target_archE1201ELNS1_3gpuE5ELNS1_3repE0EEENS1_30default_config_static_selectorELNS0_4arch9wavefront6targetE1EEEvT1_ ; -- Begin function _ZN7rocprim17ROCPRIM_400000_NS6detail17trampoline_kernelINS0_14default_configENS1_27scan_by_key_config_selectorIj11FixedVectorIiLj1EEEEZZNS1_16scan_by_key_implILNS1_25lookback_scan_determinismE0ELb0ES3_N6thrust23THRUST_200600_302600_NS6detail15normal_iteratorINSB_10device_ptrIjEEEENSD_INSE_IS6_EEEESI_S6_NSB_4plusIvEENSB_8equal_toIvEES6_EE10hipError_tPvRmT2_T3_T4_T5_mT6_T7_P12ihipStream_tbENKUlT_T0_E_clISt17integral_constantIbLb0EES12_IbLb1EEEEDaSY_SZ_EUlSY_E_NS1_11comp_targetILNS1_3genE10ELNS1_11target_archE1201ELNS1_3gpuE5ELNS1_3repE0EEENS1_30default_config_static_selectorELNS0_4arch9wavefront6targetE1EEEvT1_
	.globl	_ZN7rocprim17ROCPRIM_400000_NS6detail17trampoline_kernelINS0_14default_configENS1_27scan_by_key_config_selectorIj11FixedVectorIiLj1EEEEZZNS1_16scan_by_key_implILNS1_25lookback_scan_determinismE0ELb0ES3_N6thrust23THRUST_200600_302600_NS6detail15normal_iteratorINSB_10device_ptrIjEEEENSD_INSE_IS6_EEEESI_S6_NSB_4plusIvEENSB_8equal_toIvEES6_EE10hipError_tPvRmT2_T3_T4_T5_mT6_T7_P12ihipStream_tbENKUlT_T0_E_clISt17integral_constantIbLb0EES12_IbLb1EEEEDaSY_SZ_EUlSY_E_NS1_11comp_targetILNS1_3genE10ELNS1_11target_archE1201ELNS1_3gpuE5ELNS1_3repE0EEENS1_30default_config_static_selectorELNS0_4arch9wavefront6targetE1EEEvT1_
	.p2align	8
	.type	_ZN7rocprim17ROCPRIM_400000_NS6detail17trampoline_kernelINS0_14default_configENS1_27scan_by_key_config_selectorIj11FixedVectorIiLj1EEEEZZNS1_16scan_by_key_implILNS1_25lookback_scan_determinismE0ELb0ES3_N6thrust23THRUST_200600_302600_NS6detail15normal_iteratorINSB_10device_ptrIjEEEENSD_INSE_IS6_EEEESI_S6_NSB_4plusIvEENSB_8equal_toIvEES6_EE10hipError_tPvRmT2_T3_T4_T5_mT6_T7_P12ihipStream_tbENKUlT_T0_E_clISt17integral_constantIbLb0EES12_IbLb1EEEEDaSY_SZ_EUlSY_E_NS1_11comp_targetILNS1_3genE10ELNS1_11target_archE1201ELNS1_3gpuE5ELNS1_3repE0EEENS1_30default_config_static_selectorELNS0_4arch9wavefront6targetE1EEEvT1_,@function
_ZN7rocprim17ROCPRIM_400000_NS6detail17trampoline_kernelINS0_14default_configENS1_27scan_by_key_config_selectorIj11FixedVectorIiLj1EEEEZZNS1_16scan_by_key_implILNS1_25lookback_scan_determinismE0ELb0ES3_N6thrust23THRUST_200600_302600_NS6detail15normal_iteratorINSB_10device_ptrIjEEEENSD_INSE_IS6_EEEESI_S6_NSB_4plusIvEENSB_8equal_toIvEES6_EE10hipError_tPvRmT2_T3_T4_T5_mT6_T7_P12ihipStream_tbENKUlT_T0_E_clISt17integral_constantIbLb0EES12_IbLb1EEEEDaSY_SZ_EUlSY_E_NS1_11comp_targetILNS1_3genE10ELNS1_11target_archE1201ELNS1_3gpuE5ELNS1_3repE0EEENS1_30default_config_static_selectorELNS0_4arch9wavefront6targetE1EEEvT1_: ; @_ZN7rocprim17ROCPRIM_400000_NS6detail17trampoline_kernelINS0_14default_configENS1_27scan_by_key_config_selectorIj11FixedVectorIiLj1EEEEZZNS1_16scan_by_key_implILNS1_25lookback_scan_determinismE0ELb0ES3_N6thrust23THRUST_200600_302600_NS6detail15normal_iteratorINSB_10device_ptrIjEEEENSD_INSE_IS6_EEEESI_S6_NSB_4plusIvEENSB_8equal_toIvEES6_EE10hipError_tPvRmT2_T3_T4_T5_mT6_T7_P12ihipStream_tbENKUlT_T0_E_clISt17integral_constantIbLb0EES12_IbLb1EEEEDaSY_SZ_EUlSY_E_NS1_11comp_targetILNS1_3genE10ELNS1_11target_archE1201ELNS1_3gpuE5ELNS1_3repE0EEENS1_30default_config_static_selectorELNS0_4arch9wavefront6targetE1EEEvT1_
; %bb.0:
	.section	.rodata,"a",@progbits
	.p2align	6, 0x0
	.amdhsa_kernel _ZN7rocprim17ROCPRIM_400000_NS6detail17trampoline_kernelINS0_14default_configENS1_27scan_by_key_config_selectorIj11FixedVectorIiLj1EEEEZZNS1_16scan_by_key_implILNS1_25lookback_scan_determinismE0ELb0ES3_N6thrust23THRUST_200600_302600_NS6detail15normal_iteratorINSB_10device_ptrIjEEEENSD_INSE_IS6_EEEESI_S6_NSB_4plusIvEENSB_8equal_toIvEES6_EE10hipError_tPvRmT2_T3_T4_T5_mT6_T7_P12ihipStream_tbENKUlT_T0_E_clISt17integral_constantIbLb0EES12_IbLb1EEEEDaSY_SZ_EUlSY_E_NS1_11comp_targetILNS1_3genE10ELNS1_11target_archE1201ELNS1_3gpuE5ELNS1_3repE0EEENS1_30default_config_static_selectorELNS0_4arch9wavefront6targetE1EEEvT1_
		.amdhsa_group_segment_fixed_size 0
		.amdhsa_private_segment_fixed_size 0
		.amdhsa_kernarg_size 112
		.amdhsa_user_sgpr_count 2
		.amdhsa_user_sgpr_dispatch_ptr 0
		.amdhsa_user_sgpr_queue_ptr 0
		.amdhsa_user_sgpr_kernarg_segment_ptr 1
		.amdhsa_user_sgpr_dispatch_id 0
		.amdhsa_user_sgpr_kernarg_preload_length 0
		.amdhsa_user_sgpr_kernarg_preload_offset 0
		.amdhsa_user_sgpr_private_segment_size 0
		.amdhsa_uses_dynamic_stack 0
		.amdhsa_enable_private_segment 0
		.amdhsa_system_sgpr_workgroup_id_x 1
		.amdhsa_system_sgpr_workgroup_id_y 0
		.amdhsa_system_sgpr_workgroup_id_z 0
		.amdhsa_system_sgpr_workgroup_info 0
		.amdhsa_system_vgpr_workitem_id 0
		.amdhsa_next_free_vgpr 1
		.amdhsa_next_free_sgpr 0
		.amdhsa_accum_offset 4
		.amdhsa_reserve_vcc 0
		.amdhsa_float_round_mode_32 0
		.amdhsa_float_round_mode_16_64 0
		.amdhsa_float_denorm_mode_32 3
		.amdhsa_float_denorm_mode_16_64 3
		.amdhsa_dx10_clamp 1
		.amdhsa_ieee_mode 1
		.amdhsa_fp16_overflow 0
		.amdhsa_tg_split 0
		.amdhsa_exception_fp_ieee_invalid_op 0
		.amdhsa_exception_fp_denorm_src 0
		.amdhsa_exception_fp_ieee_div_zero 0
		.amdhsa_exception_fp_ieee_overflow 0
		.amdhsa_exception_fp_ieee_underflow 0
		.amdhsa_exception_fp_ieee_inexact 0
		.amdhsa_exception_int_div_zero 0
	.end_amdhsa_kernel
	.section	.text._ZN7rocprim17ROCPRIM_400000_NS6detail17trampoline_kernelINS0_14default_configENS1_27scan_by_key_config_selectorIj11FixedVectorIiLj1EEEEZZNS1_16scan_by_key_implILNS1_25lookback_scan_determinismE0ELb0ES3_N6thrust23THRUST_200600_302600_NS6detail15normal_iteratorINSB_10device_ptrIjEEEENSD_INSE_IS6_EEEESI_S6_NSB_4plusIvEENSB_8equal_toIvEES6_EE10hipError_tPvRmT2_T3_T4_T5_mT6_T7_P12ihipStream_tbENKUlT_T0_E_clISt17integral_constantIbLb0EES12_IbLb1EEEEDaSY_SZ_EUlSY_E_NS1_11comp_targetILNS1_3genE10ELNS1_11target_archE1201ELNS1_3gpuE5ELNS1_3repE0EEENS1_30default_config_static_selectorELNS0_4arch9wavefront6targetE1EEEvT1_,"axG",@progbits,_ZN7rocprim17ROCPRIM_400000_NS6detail17trampoline_kernelINS0_14default_configENS1_27scan_by_key_config_selectorIj11FixedVectorIiLj1EEEEZZNS1_16scan_by_key_implILNS1_25lookback_scan_determinismE0ELb0ES3_N6thrust23THRUST_200600_302600_NS6detail15normal_iteratorINSB_10device_ptrIjEEEENSD_INSE_IS6_EEEESI_S6_NSB_4plusIvEENSB_8equal_toIvEES6_EE10hipError_tPvRmT2_T3_T4_T5_mT6_T7_P12ihipStream_tbENKUlT_T0_E_clISt17integral_constantIbLb0EES12_IbLb1EEEEDaSY_SZ_EUlSY_E_NS1_11comp_targetILNS1_3genE10ELNS1_11target_archE1201ELNS1_3gpuE5ELNS1_3repE0EEENS1_30default_config_static_selectorELNS0_4arch9wavefront6targetE1EEEvT1_,comdat
.Lfunc_end1903:
	.size	_ZN7rocprim17ROCPRIM_400000_NS6detail17trampoline_kernelINS0_14default_configENS1_27scan_by_key_config_selectorIj11FixedVectorIiLj1EEEEZZNS1_16scan_by_key_implILNS1_25lookback_scan_determinismE0ELb0ES3_N6thrust23THRUST_200600_302600_NS6detail15normal_iteratorINSB_10device_ptrIjEEEENSD_INSE_IS6_EEEESI_S6_NSB_4plusIvEENSB_8equal_toIvEES6_EE10hipError_tPvRmT2_T3_T4_T5_mT6_T7_P12ihipStream_tbENKUlT_T0_E_clISt17integral_constantIbLb0EES12_IbLb1EEEEDaSY_SZ_EUlSY_E_NS1_11comp_targetILNS1_3genE10ELNS1_11target_archE1201ELNS1_3gpuE5ELNS1_3repE0EEENS1_30default_config_static_selectorELNS0_4arch9wavefront6targetE1EEEvT1_, .Lfunc_end1903-_ZN7rocprim17ROCPRIM_400000_NS6detail17trampoline_kernelINS0_14default_configENS1_27scan_by_key_config_selectorIj11FixedVectorIiLj1EEEEZZNS1_16scan_by_key_implILNS1_25lookback_scan_determinismE0ELb0ES3_N6thrust23THRUST_200600_302600_NS6detail15normal_iteratorINSB_10device_ptrIjEEEENSD_INSE_IS6_EEEESI_S6_NSB_4plusIvEENSB_8equal_toIvEES6_EE10hipError_tPvRmT2_T3_T4_T5_mT6_T7_P12ihipStream_tbENKUlT_T0_E_clISt17integral_constantIbLb0EES12_IbLb1EEEEDaSY_SZ_EUlSY_E_NS1_11comp_targetILNS1_3genE10ELNS1_11target_archE1201ELNS1_3gpuE5ELNS1_3repE0EEENS1_30default_config_static_selectorELNS0_4arch9wavefront6targetE1EEEvT1_
                                        ; -- End function
	.section	.AMDGPU.csdata,"",@progbits
; Kernel info:
; codeLenInByte = 0
; NumSgprs: 6
; NumVgprs: 0
; NumAgprs: 0
; TotalNumVgprs: 0
; ScratchSize: 0
; MemoryBound: 0
; FloatMode: 240
; IeeeMode: 1
; LDSByteSize: 0 bytes/workgroup (compile time only)
; SGPRBlocks: 0
; VGPRBlocks: 0
; NumSGPRsForWavesPerEU: 6
; NumVGPRsForWavesPerEU: 1
; AccumOffset: 4
; Occupancy: 8
; WaveLimiterHint : 0
; COMPUTE_PGM_RSRC2:SCRATCH_EN: 0
; COMPUTE_PGM_RSRC2:USER_SGPR: 2
; COMPUTE_PGM_RSRC2:TRAP_HANDLER: 0
; COMPUTE_PGM_RSRC2:TGID_X_EN: 1
; COMPUTE_PGM_RSRC2:TGID_Y_EN: 0
; COMPUTE_PGM_RSRC2:TGID_Z_EN: 0
; COMPUTE_PGM_RSRC2:TIDIG_COMP_CNT: 0
; COMPUTE_PGM_RSRC3_GFX90A:ACCUM_OFFSET: 0
; COMPUTE_PGM_RSRC3_GFX90A:TG_SPLIT: 0
	.section	.text._ZN7rocprim17ROCPRIM_400000_NS6detail17trampoline_kernelINS0_14default_configENS1_27scan_by_key_config_selectorIj11FixedVectorIiLj1EEEEZZNS1_16scan_by_key_implILNS1_25lookback_scan_determinismE0ELb0ES3_N6thrust23THRUST_200600_302600_NS6detail15normal_iteratorINSB_10device_ptrIjEEEENSD_INSE_IS6_EEEESI_S6_NSB_4plusIvEENSB_8equal_toIvEES6_EE10hipError_tPvRmT2_T3_T4_T5_mT6_T7_P12ihipStream_tbENKUlT_T0_E_clISt17integral_constantIbLb0EES12_IbLb1EEEEDaSY_SZ_EUlSY_E_NS1_11comp_targetILNS1_3genE5ELNS1_11target_archE942ELNS1_3gpuE9ELNS1_3repE0EEENS1_30default_config_static_selectorELNS0_4arch9wavefront6targetE1EEEvT1_,"axG",@progbits,_ZN7rocprim17ROCPRIM_400000_NS6detail17trampoline_kernelINS0_14default_configENS1_27scan_by_key_config_selectorIj11FixedVectorIiLj1EEEEZZNS1_16scan_by_key_implILNS1_25lookback_scan_determinismE0ELb0ES3_N6thrust23THRUST_200600_302600_NS6detail15normal_iteratorINSB_10device_ptrIjEEEENSD_INSE_IS6_EEEESI_S6_NSB_4plusIvEENSB_8equal_toIvEES6_EE10hipError_tPvRmT2_T3_T4_T5_mT6_T7_P12ihipStream_tbENKUlT_T0_E_clISt17integral_constantIbLb0EES12_IbLb1EEEEDaSY_SZ_EUlSY_E_NS1_11comp_targetILNS1_3genE5ELNS1_11target_archE942ELNS1_3gpuE9ELNS1_3repE0EEENS1_30default_config_static_selectorELNS0_4arch9wavefront6targetE1EEEvT1_,comdat
	.protected	_ZN7rocprim17ROCPRIM_400000_NS6detail17trampoline_kernelINS0_14default_configENS1_27scan_by_key_config_selectorIj11FixedVectorIiLj1EEEEZZNS1_16scan_by_key_implILNS1_25lookback_scan_determinismE0ELb0ES3_N6thrust23THRUST_200600_302600_NS6detail15normal_iteratorINSB_10device_ptrIjEEEENSD_INSE_IS6_EEEESI_S6_NSB_4plusIvEENSB_8equal_toIvEES6_EE10hipError_tPvRmT2_T3_T4_T5_mT6_T7_P12ihipStream_tbENKUlT_T0_E_clISt17integral_constantIbLb0EES12_IbLb1EEEEDaSY_SZ_EUlSY_E_NS1_11comp_targetILNS1_3genE5ELNS1_11target_archE942ELNS1_3gpuE9ELNS1_3repE0EEENS1_30default_config_static_selectorELNS0_4arch9wavefront6targetE1EEEvT1_ ; -- Begin function _ZN7rocprim17ROCPRIM_400000_NS6detail17trampoline_kernelINS0_14default_configENS1_27scan_by_key_config_selectorIj11FixedVectorIiLj1EEEEZZNS1_16scan_by_key_implILNS1_25lookback_scan_determinismE0ELb0ES3_N6thrust23THRUST_200600_302600_NS6detail15normal_iteratorINSB_10device_ptrIjEEEENSD_INSE_IS6_EEEESI_S6_NSB_4plusIvEENSB_8equal_toIvEES6_EE10hipError_tPvRmT2_T3_T4_T5_mT6_T7_P12ihipStream_tbENKUlT_T0_E_clISt17integral_constantIbLb0EES12_IbLb1EEEEDaSY_SZ_EUlSY_E_NS1_11comp_targetILNS1_3genE5ELNS1_11target_archE942ELNS1_3gpuE9ELNS1_3repE0EEENS1_30default_config_static_selectorELNS0_4arch9wavefront6targetE1EEEvT1_
	.globl	_ZN7rocprim17ROCPRIM_400000_NS6detail17trampoline_kernelINS0_14default_configENS1_27scan_by_key_config_selectorIj11FixedVectorIiLj1EEEEZZNS1_16scan_by_key_implILNS1_25lookback_scan_determinismE0ELb0ES3_N6thrust23THRUST_200600_302600_NS6detail15normal_iteratorINSB_10device_ptrIjEEEENSD_INSE_IS6_EEEESI_S6_NSB_4plusIvEENSB_8equal_toIvEES6_EE10hipError_tPvRmT2_T3_T4_T5_mT6_T7_P12ihipStream_tbENKUlT_T0_E_clISt17integral_constantIbLb0EES12_IbLb1EEEEDaSY_SZ_EUlSY_E_NS1_11comp_targetILNS1_3genE5ELNS1_11target_archE942ELNS1_3gpuE9ELNS1_3repE0EEENS1_30default_config_static_selectorELNS0_4arch9wavefront6targetE1EEEvT1_
	.p2align	8
	.type	_ZN7rocprim17ROCPRIM_400000_NS6detail17trampoline_kernelINS0_14default_configENS1_27scan_by_key_config_selectorIj11FixedVectorIiLj1EEEEZZNS1_16scan_by_key_implILNS1_25lookback_scan_determinismE0ELb0ES3_N6thrust23THRUST_200600_302600_NS6detail15normal_iteratorINSB_10device_ptrIjEEEENSD_INSE_IS6_EEEESI_S6_NSB_4plusIvEENSB_8equal_toIvEES6_EE10hipError_tPvRmT2_T3_T4_T5_mT6_T7_P12ihipStream_tbENKUlT_T0_E_clISt17integral_constantIbLb0EES12_IbLb1EEEEDaSY_SZ_EUlSY_E_NS1_11comp_targetILNS1_3genE5ELNS1_11target_archE942ELNS1_3gpuE9ELNS1_3repE0EEENS1_30default_config_static_selectorELNS0_4arch9wavefront6targetE1EEEvT1_,@function
_ZN7rocprim17ROCPRIM_400000_NS6detail17trampoline_kernelINS0_14default_configENS1_27scan_by_key_config_selectorIj11FixedVectorIiLj1EEEEZZNS1_16scan_by_key_implILNS1_25lookback_scan_determinismE0ELb0ES3_N6thrust23THRUST_200600_302600_NS6detail15normal_iteratorINSB_10device_ptrIjEEEENSD_INSE_IS6_EEEESI_S6_NSB_4plusIvEENSB_8equal_toIvEES6_EE10hipError_tPvRmT2_T3_T4_T5_mT6_T7_P12ihipStream_tbENKUlT_T0_E_clISt17integral_constantIbLb0EES12_IbLb1EEEEDaSY_SZ_EUlSY_E_NS1_11comp_targetILNS1_3genE5ELNS1_11target_archE942ELNS1_3gpuE9ELNS1_3repE0EEENS1_30default_config_static_selectorELNS0_4arch9wavefront6targetE1EEEvT1_: ; @_ZN7rocprim17ROCPRIM_400000_NS6detail17trampoline_kernelINS0_14default_configENS1_27scan_by_key_config_selectorIj11FixedVectorIiLj1EEEEZZNS1_16scan_by_key_implILNS1_25lookback_scan_determinismE0ELb0ES3_N6thrust23THRUST_200600_302600_NS6detail15normal_iteratorINSB_10device_ptrIjEEEENSD_INSE_IS6_EEEESI_S6_NSB_4plusIvEENSB_8equal_toIvEES6_EE10hipError_tPvRmT2_T3_T4_T5_mT6_T7_P12ihipStream_tbENKUlT_T0_E_clISt17integral_constantIbLb0EES12_IbLb1EEEEDaSY_SZ_EUlSY_E_NS1_11comp_targetILNS1_3genE5ELNS1_11target_archE942ELNS1_3gpuE9ELNS1_3repE0EEENS1_30default_config_static_selectorELNS0_4arch9wavefront6targetE1EEEvT1_
; %bb.0:
	s_load_dwordx4 s[72:75], s[0:1], 0x28
	s_load_dwordx2 s[76:77], s[0:1], 0x38
	v_cmp_ne_u32_e64 s[4:5], 0, v0
	v_cmp_eq_u32_e64 s[54:55], 0, v0
	s_and_saveexec_b64 s[2:3], s[54:55]
	s_cbranch_execz .LBB1904_4
; %bb.1:
	s_mov_b64 s[8:9], exec
	v_mbcnt_lo_u32_b32 v1, s8, 0
	v_mbcnt_hi_u32_b32 v1, s9, v1
	v_cmp_eq_u32_e32 vcc, 0, v1
                                        ; implicit-def: $vgpr2
	s_and_saveexec_b64 s[6:7], vcc
	s_cbranch_execz .LBB1904_3
; %bb.2:
	s_load_dwordx2 s[10:11], s[0:1], 0x68
	s_bcnt1_i32_b64 s8, s[8:9]
	v_mov_b32_e32 v2, 0
	v_mov_b32_e32 v3, s8
	s_waitcnt lgkmcnt(0)
	global_atomic_add v2, v2, v3, s[10:11] sc0
.LBB1904_3:
	s_or_b64 exec, exec, s[6:7]
	s_waitcnt vmcnt(0)
	v_readfirstlane_b32 s6, v2
	v_mov_b32_e32 v2, 0
	s_nop 0
	v_add_u32_e32 v1, s6, v1
	ds_write_b32 v2, v1
.LBB1904_4:
	s_or_b64 exec, exec, s[2:3]
	s_load_dwordx8 s[56:63], s[0:1], 0x0
	s_load_dword s2, s[0:1], 0x40
	s_load_dwordx8 s[64:71], s[0:1], 0x48
	v_mov_b32_e32 v1, 0
	s_waitcnt lgkmcnt(0)
	s_barrier
	ds_read_b32 v1, v1
	s_lshl_b64 s[58:59], s[58:59], 2
	s_add_u32 s3, s56, s58
	s_addc_u32 s6, s57, s59
	s_add_u32 s7, s60, s58
	s_mul_i32 s0, s77, s2
	s_mul_hi_u32 s1, s76, s2
	s_addc_u32 s8, s61, s59
	s_add_i32 s9, s1, s0
	s_waitcnt lgkmcnt(0)
	v_readfirstlane_b32 s75, v1
	s_cmp_lg_u64 s[68:69], 0
	s_mov_b32 s1, 0
	s_mul_i32 s0, s75, 0x1700
	s_cselect_b64 s[78:79], -1, 0
	s_lshl_b64 s[56:57], s[0:1], 2
	s_add_u32 s68, s3, s56
	s_addc_u32 s69, s6, s57
	s_add_u32 s60, s7, s56
	s_mul_i32 s2, s76, s2
	s_addc_u32 s61, s8, s57
	s_add_u32 s80, s2, s75
	s_addc_u32 s81, s9, 0
	s_add_u32 s0, s64, -1
	s_addc_u32 s1, s65, -1
	v_mov_b64_e32 v[2:3], s[0:1]
	v_cmp_ge_u64_e64 s[2:3], s[80:81], v[2:3]
	s_mov_b64 s[10:11], 0
	s_mov_b64 s[6:7], -1
	s_and_b64 vcc, exec, s[2:3]
	s_mul_i32 s33, s0, 0xffffe900
	s_barrier
	s_barrier
	s_cbranch_vccz .LBB1904_146
; %bb.5:
	v_mov_b64_e32 v[2:3], s[68:69]
	flat_load_dword v1, v[2:3]
	s_add_i32 s84, s33, s74
	v_cmp_gt_u32_e64 s[6:7], s84, v0
	s_waitcnt vmcnt(0) lgkmcnt(0)
	v_mov_b32_e32 v4, v1
	s_and_saveexec_b64 s[0:1], s[6:7]
	s_cbranch_execz .LBB1904_7
; %bb.6:
	v_lshlrev_b32_e32 v2, 2, v0
	v_mov_b32_e32 v3, 0
	v_lshl_add_u64 v[2:3], s[68:69], 0, v[2:3]
	flat_load_dword v4, v[2:3]
.LBB1904_7:
	s_or_b64 exec, exec, s[0:1]
	v_or_b32_e32 v2, 0x100, v0
	v_cmp_gt_u32_e64 s[8:9], s84, v2
	v_mov_b32_e32 v5, v1
	s_and_saveexec_b64 s[0:1], s[8:9]
	s_cbranch_execz .LBB1904_9
; %bb.8:
	v_lshlrev_b32_e32 v2, 2, v0
	v_mov_b32_e32 v3, 0
	v_lshl_add_u64 v[2:3], s[68:69], 0, v[2:3]
	flat_load_dword v5, v[2:3] offset:1024
.LBB1904_9:
	s_or_b64 exec, exec, s[0:1]
	v_or_b32_e32 v2, 0x200, v0
	v_cmp_gt_u32_e64 s[10:11], s84, v2
	v_mov_b32_e32 v6, v1
	s_and_saveexec_b64 s[0:1], s[10:11]
	s_cbranch_execz .LBB1904_11
; %bb.10:
	v_lshlrev_b32_e32 v2, 2, v0
	v_mov_b32_e32 v3, 0
	v_lshl_add_u64 v[2:3], s[68:69], 0, v[2:3]
	flat_load_dword v6, v[2:3] offset:2048
.LBB1904_11:
	s_or_b64 exec, exec, s[0:1]
	v_or_b32_e32 v2, 0x300, v0
	v_cmp_gt_u32_e64 s[12:13], s84, v2
	v_mov_b32_e32 v7, v1
	s_and_saveexec_b64 s[0:1], s[12:13]
	s_cbranch_execz .LBB1904_13
; %bb.12:
	v_lshlrev_b32_e32 v2, 2, v0
	v_mov_b32_e32 v3, 0
	v_lshl_add_u64 v[2:3], s[68:69], 0, v[2:3]
	flat_load_dword v7, v[2:3] offset:3072
.LBB1904_13:
	s_or_b64 exec, exec, s[0:1]
	v_or_b32_e32 v2, 0x400, v0
	v_cmp_gt_u32_e64 s[14:15], s84, v2
	v_lshlrev_b32_e32 v2, 2, v2
	v_mov_b32_e32 v3, v1
	s_and_saveexec_b64 s[0:1], s[14:15]
	s_cbranch_execz .LBB1904_15
; %bb.14:
	v_mov_b32_e32 v3, 0
	v_lshl_add_u64 v[8:9], s[68:69], 0, v[2:3]
	flat_load_dword v3, v[8:9]
.LBB1904_15:
	s_or_b64 exec, exec, s[0:1]
	v_or_b32_e32 v8, 0x500, v0
	v_cmp_gt_u32_e64 s[16:17], s84, v8
	v_lshlrev_b32_e32 v10, 2, v8
	v_mov_b32_e32 v8, v1
	s_and_saveexec_b64 s[0:1], s[16:17]
	s_cbranch_execz .LBB1904_17
; %bb.16:
	v_mov_b32_e32 v11, 0
	v_lshl_add_u64 v[8:9], s[68:69], 0, v[10:11]
	flat_load_dword v8, v[8:9]
.LBB1904_17:
	s_or_b64 exec, exec, s[0:1]
	v_or_b32_e32 v9, 0x600, v0
	v_cmp_gt_u32_e64 s[18:19], s84, v9
	v_lshlrev_b32_e32 v12, 2, v9
	v_mov_b32_e32 v9, v1
	s_and_saveexec_b64 s[0:1], s[18:19]
	s_cbranch_execz .LBB1904_19
; %bb.18:
	v_mov_b32_e32 v13, 0
	v_lshl_add_u64 v[14:15], s[68:69], 0, v[12:13]
	flat_load_dword v9, v[14:15]
.LBB1904_19:
	s_or_b64 exec, exec, s[0:1]
	v_or_b32_e32 v11, 0x700, v0
	v_cmp_gt_u32_e64 s[20:21], s84, v11
	v_lshlrev_b32_e32 v14, 2, v11
	v_mov_b32_e32 v11, v1
	s_and_saveexec_b64 s[0:1], s[20:21]
	s_cbranch_execz .LBB1904_21
; %bb.20:
	v_mov_b32_e32 v15, 0
	v_lshl_add_u64 v[16:17], s[68:69], 0, v[14:15]
	flat_load_dword v11, v[16:17]
.LBB1904_21:
	s_or_b64 exec, exec, s[0:1]
	v_or_b32_e32 v13, 0x800, v0
	v_cmp_gt_u32_e64 s[22:23], s84, v13
	v_lshlrev_b32_e32 v16, 2, v13
	v_mov_b32_e32 v13, v1
	s_and_saveexec_b64 s[0:1], s[22:23]
	s_cbranch_execz .LBB1904_23
; %bb.22:
	v_mov_b32_e32 v17, 0
	v_lshl_add_u64 v[18:19], s[68:69], 0, v[16:17]
	flat_load_dword v13, v[18:19]
.LBB1904_23:
	s_or_b64 exec, exec, s[0:1]
	v_or_b32_e32 v15, 0x900, v0
	v_cmp_gt_u32_e64 s[24:25], s84, v15
	v_lshlrev_b32_e32 v18, 2, v15
	v_mov_b32_e32 v15, v1
	s_and_saveexec_b64 s[0:1], s[24:25]
	s_cbranch_execz .LBB1904_25
; %bb.24:
	v_mov_b32_e32 v19, 0
	v_lshl_add_u64 v[20:21], s[68:69], 0, v[18:19]
	flat_load_dword v15, v[20:21]
.LBB1904_25:
	s_or_b64 exec, exec, s[0:1]
	v_or_b32_e32 v17, 0xa00, v0
	v_cmp_gt_u32_e64 s[26:27], s84, v17
	v_lshlrev_b32_e32 v20, 2, v17
	v_mov_b32_e32 v17, v1
	s_and_saveexec_b64 s[0:1], s[26:27]
	s_cbranch_execz .LBB1904_27
; %bb.26:
	v_mov_b32_e32 v21, 0
	v_lshl_add_u64 v[22:23], s[68:69], 0, v[20:21]
	flat_load_dword v17, v[22:23]
.LBB1904_27:
	s_or_b64 exec, exec, s[0:1]
	v_or_b32_e32 v19, 0xb00, v0
	v_cmp_gt_u32_e64 s[28:29], s84, v19
	v_lshlrev_b32_e32 v22, 2, v19
	v_mov_b32_e32 v19, v1
	s_and_saveexec_b64 s[0:1], s[28:29]
	s_cbranch_execz .LBB1904_29
; %bb.28:
	v_mov_b32_e32 v23, 0
	v_lshl_add_u64 v[24:25], s[68:69], 0, v[22:23]
	flat_load_dword v19, v[24:25]
.LBB1904_29:
	s_or_b64 exec, exec, s[0:1]
	v_or_b32_e32 v21, 0xc00, v0
	v_cmp_gt_u32_e64 s[30:31], s84, v21
	v_lshlrev_b32_e32 v24, 2, v21
	v_mov_b32_e32 v21, v1
	s_and_saveexec_b64 s[0:1], s[30:31]
	s_cbranch_execz .LBB1904_31
; %bb.30:
	v_mov_b32_e32 v25, 0
	v_lshl_add_u64 v[26:27], s[68:69], 0, v[24:25]
	flat_load_dword v21, v[26:27]
.LBB1904_31:
	s_or_b64 exec, exec, s[0:1]
	v_or_b32_e32 v23, 0xd00, v0
	v_cmp_gt_u32_e64 s[34:35], s84, v23
	v_lshlrev_b32_e32 v26, 2, v23
	v_mov_b32_e32 v23, v1
	s_and_saveexec_b64 s[0:1], s[34:35]
	s_cbranch_execz .LBB1904_33
; %bb.32:
	v_mov_b32_e32 v27, 0
	v_lshl_add_u64 v[28:29], s[68:69], 0, v[26:27]
	flat_load_dword v23, v[28:29]
.LBB1904_33:
	s_or_b64 exec, exec, s[0:1]
	v_or_b32_e32 v25, 0xe00, v0
	v_cmp_gt_u32_e64 s[36:37], s84, v25
	v_lshlrev_b32_e32 v28, 2, v25
	v_mov_b32_e32 v25, v1
	s_and_saveexec_b64 s[0:1], s[36:37]
	s_cbranch_execz .LBB1904_35
; %bb.34:
	v_mov_b32_e32 v29, 0
	v_lshl_add_u64 v[30:31], s[68:69], 0, v[28:29]
	flat_load_dword v25, v[30:31]
.LBB1904_35:
	s_or_b64 exec, exec, s[0:1]
	v_or_b32_e32 v27, 0xf00, v0
	v_cmp_gt_u32_e64 s[38:39], s84, v27
	v_lshlrev_b32_e32 v30, 2, v27
	v_mov_b32_e32 v27, v1
	s_and_saveexec_b64 s[0:1], s[38:39]
	s_cbranch_execz .LBB1904_37
; %bb.36:
	v_mov_b32_e32 v31, 0
	v_lshl_add_u64 v[32:33], s[68:69], 0, v[30:31]
	flat_load_dword v27, v[32:33]
.LBB1904_37:
	s_or_b64 exec, exec, s[0:1]
	v_or_b32_e32 v29, 0x1000, v0
	v_cmp_gt_u32_e64 s[40:41], s84, v29
	v_lshlrev_b32_e32 v32, 2, v29
	v_mov_b32_e32 v29, v1
	s_and_saveexec_b64 s[0:1], s[40:41]
	s_cbranch_execz .LBB1904_39
; %bb.38:
	v_mov_b32_e32 v33, 0
	v_lshl_add_u64 v[34:35], s[68:69], 0, v[32:33]
	flat_load_dword v29, v[34:35]
.LBB1904_39:
	s_or_b64 exec, exec, s[0:1]
	v_or_b32_e32 v31, 0x1100, v0
	v_cmp_gt_u32_e64 s[42:43], s84, v31
	v_lshlrev_b32_e32 v34, 2, v31
	v_mov_b32_e32 v31, v1
	s_and_saveexec_b64 s[0:1], s[42:43]
	s_cbranch_execz .LBB1904_41
; %bb.40:
	v_mov_b32_e32 v35, 0
	v_lshl_add_u64 v[36:37], s[68:69], 0, v[34:35]
	flat_load_dword v31, v[36:37]
.LBB1904_41:
	s_or_b64 exec, exec, s[0:1]
	v_or_b32_e32 v33, 0x1200, v0
	v_cmp_gt_u32_e64 s[44:45], s84, v33
	v_lshlrev_b32_e32 v36, 2, v33
	v_mov_b32_e32 v33, v1
	s_and_saveexec_b64 s[0:1], s[44:45]
	s_cbranch_execz .LBB1904_43
; %bb.42:
	v_mov_b32_e32 v37, 0
	v_lshl_add_u64 v[38:39], s[68:69], 0, v[36:37]
	flat_load_dword v33, v[38:39]
.LBB1904_43:
	s_or_b64 exec, exec, s[0:1]
	v_or_b32_e32 v35, 0x1300, v0
	v_cmp_gt_u32_e64 s[46:47], s84, v35
	v_lshlrev_b32_e32 v38, 2, v35
	v_mov_b32_e32 v35, v1
	s_and_saveexec_b64 s[0:1], s[46:47]
	s_cbranch_execz .LBB1904_45
; %bb.44:
	v_mov_b32_e32 v39, 0
	v_lshl_add_u64 v[40:41], s[68:69], 0, v[38:39]
	flat_load_dword v35, v[40:41]
.LBB1904_45:
	s_or_b64 exec, exec, s[0:1]
	v_or_b32_e32 v37, 0x1400, v0
	v_cmp_gt_u32_e64 s[48:49], s84, v37
	v_lshlrev_b32_e32 v40, 2, v37
	v_mov_b32_e32 v37, v1
	s_and_saveexec_b64 s[0:1], s[48:49]
	s_cbranch_execz .LBB1904_47
; %bb.46:
	v_mov_b32_e32 v41, 0
	v_lshl_add_u64 v[42:43], s[68:69], 0, v[40:41]
	flat_load_dword v37, v[42:43]
.LBB1904_47:
	s_or_b64 exec, exec, s[0:1]
	v_or_b32_e32 v39, 0x1500, v0
	v_cmp_gt_u32_e64 s[50:51], s84, v39
	v_lshlrev_b32_e32 v42, 2, v39
	v_mov_b32_e32 v39, v1
	s_and_saveexec_b64 s[0:1], s[50:51]
	s_cbranch_execz .LBB1904_49
; %bb.48:
	v_mov_b32_e32 v43, 0
	v_lshl_add_u64 v[44:45], s[68:69], 0, v[42:43]
	flat_load_dword v39, v[44:45]
.LBB1904_49:
	s_or_b64 exec, exec, s[0:1]
	v_or_b32_e32 v41, 0x1600, v0
	v_cmp_gt_u32_e64 s[52:53], s84, v41
	v_lshlrev_b32_e32 v46, 2, v41
	s_and_saveexec_b64 s[0:1], s[52:53]
	s_cbranch_execz .LBB1904_51
; %bb.50:
	v_mov_b32_e32 v47, 0
	v_lshl_add_u64 v[44:45], s[68:69], 0, v[46:47]
	flat_load_dword v1, v[44:45]
.LBB1904_51:
	s_or_b64 exec, exec, s[0:1]
	v_lshlrev_b32_e32 v44, 2, v0
	s_movk_i32 s0, 0x58
	s_waitcnt vmcnt(0) lgkmcnt(0)
	ds_write2st64_b32 v44, v4, v5 offset1:4
	ds_write2st64_b32 v44, v6, v7 offset0:8 offset1:12
	ds_write2st64_b32 v44, v3, v8 offset0:16 offset1:20
	;; [unrolled: 1-line block ×10, first 2 shown]
	ds_write_b32 v44, v1 offset:22528
	v_mad_u32_u24 v1, v0, s0, v44
	s_waitcnt lgkmcnt(0)
	s_barrier
	ds_read2_b32 v[68:69], v1 offset1:1
	ds_read2_b32 v[66:67], v1 offset0:2 offset1:3
	ds_read2_b32 v[64:65], v1 offset0:4 offset1:5
	ds_read2_b32 v[62:63], v1 offset0:6 offset1:7
	ds_read2_b32 v[60:61], v1 offset0:8 offset1:9
	ds_read2_b32 v[58:59], v1 offset0:10 offset1:11
	ds_read2_b32 v[56:57], v1 offset0:12 offset1:13
	ds_read2_b32 v[52:53], v1 offset0:14 offset1:15
	ds_read2_b32 v[8:9], v1 offset0:16 offset1:17
	ds_read2_b32 v[6:7], v1 offset0:18 offset1:19
	ds_read2_b32 v[4:5], v1 offset0:20 offset1:21
	ds_read_b32 v72, v1 offset:88
	s_cmp_eq_u64 s[80:81], 0
	s_mov_b64 s[0:1], s[68:69]
	s_cbranch_scc1 .LBB1904_55
; %bb.52:
	s_andn2_b64 vcc, exec, s[78:79]
	s_cbranch_vccnz .LBB1904_309
; %bb.53:
	s_lshl_b64 s[0:1], s[80:81], 2
	s_add_u32 s0, s70, s0
	s_addc_u32 s1, s71, s1
	s_add_u32 s0, s0, -4
	s_addc_u32 s1, s1, -1
	s_cbranch_execnz .LBB1904_55
.LBB1904_54:
	s_add_u32 s0, s68, -4
	s_addc_u32 s1, s69, -1
.LBB1904_55:
	v_mov_b64_e32 v[48:49], s[0:1]
	flat_load_dword v70, v[48:49]
	s_movk_i32 s0, 0xffa8
	v_mad_i32_i24 v3, v0, s0, v1
	s_waitcnt lgkmcnt(0)
	ds_write_b32 v3, v72 offset:23552
	s_waitcnt lgkmcnt(0)
	s_barrier
	s_and_saveexec_b64 s[0:1], s[4:5]
	s_cbranch_execz .LBB1904_57
; %bb.56:
	v_mul_i32_i24_e32 v3, 0xffffffa8, v0
	v_add_u32_e32 v3, v1, v3
	s_waitcnt vmcnt(0)
	ds_read_b32 v70, v3 offset:23548
.LBB1904_57:
	s_or_b64 exec, exec, s[0:1]
	v_mov_b32_e32 v48, 0
	v_mov_b32_e32 v49, 0
	s_waitcnt lgkmcnt(0)
	s_barrier
	s_and_saveexec_b64 s[0:1], s[6:7]
	s_cbranch_execz .LBB1904_59
; %bb.58:
	v_mov_b32_e32 v45, 0
	v_lshl_add_u64 v[50:51], s[60:61], 0, v[44:45]
	flat_load_dword v49, v[50:51]
.LBB1904_59:
	s_or_b64 exec, exec, s[0:1]
	s_and_saveexec_b64 s[0:1], s[8:9]
	s_cbranch_execz .LBB1904_61
; %bb.60:
	v_mov_b32_e32 v45, 0
	v_lshl_add_u64 v[50:51], s[60:61], 0, v[44:45]
	flat_load_dword v48, v[50:51] offset:1024
.LBB1904_61:
	s_or_b64 exec, exec, s[0:1]
	v_mov_b32_e32 v50, 0
	v_mov_b32_e32 v51, 0
	s_and_saveexec_b64 s[0:1], s[10:11]
	s_cbranch_execz .LBB1904_63
; %bb.62:
	v_mov_b32_e32 v45, 0
	v_lshl_add_u64 v[54:55], s[60:61], 0, v[44:45]
	flat_load_dword v51, v[54:55] offset:2048
.LBB1904_63:
	s_or_b64 exec, exec, s[0:1]
	s_and_saveexec_b64 s[0:1], s[12:13]
	s_cbranch_execz .LBB1904_65
; %bb.64:
	v_mov_b32_e32 v45, 0
	v_lshl_add_u64 v[54:55], s[60:61], 0, v[44:45]
	flat_load_dword v50, v[54:55] offset:3072
.LBB1904_65:
	s_or_b64 exec, exec, s[0:1]
	v_mov_b32_e32 v11, 0
	v_mov_b32_e32 v3, 0
	s_and_saveexec_b64 s[0:1], s[14:15]
	s_cbranch_execz .LBB1904_67
; %bb.66:
	v_mov_b32_e32 v3, 0
	v_lshl_add_u64 v[2:3], s[60:61], 0, v[2:3]
	flat_load_dword v3, v[2:3]
.LBB1904_67:
	s_or_b64 exec, exec, s[0:1]
	s_and_saveexec_b64 s[0:1], s[16:17]
	s_cbranch_execz .LBB1904_69
; %bb.68:
	v_mov_b32_e32 v11, 0
	v_lshl_add_u64 v[10:11], s[60:61], 0, v[10:11]
	flat_load_dword v11, v[10:11]
.LBB1904_69:
	s_or_b64 exec, exec, s[0:1]
	v_mov_b32_e32 v2, 0
	v_mov_b32_e32 v10, 0
	s_and_saveexec_b64 s[0:1], s[18:19]
	s_cbranch_execz .LBB1904_71
; %bb.70:
	v_mov_b32_e32 v13, 0
	v_lshl_add_u64 v[12:13], s[60:61], 0, v[12:13]
	flat_load_dword v10, v[12:13]
.LBB1904_71:
	s_or_b64 exec, exec, s[0:1]
	s_and_saveexec_b64 s[0:1], s[20:21]
	s_cbranch_execz .LBB1904_73
; %bb.72:
	v_mov_b32_e32 v15, 0
	v_lshl_add_u64 v[12:13], s[60:61], 0, v[14:15]
	flat_load_dword v2, v[12:13]
.LBB1904_73:
	;; [unrolled: 18-line block ×8, first 2 shown]
	s_or_b64 exec, exec, s[0:1]
	v_mov_b32_e32 v24, 0
	v_mov_b32_e32 v25, 0
	s_and_saveexec_b64 s[0:1], s[48:49]
	s_cbranch_execnz .LBB1904_305
; %bb.98:
	s_or_b64 exec, exec, s[0:1]
	s_and_saveexec_b64 s[0:1], s[50:51]
	s_cbranch_execnz .LBB1904_306
.LBB1904_99:
	s_or_b64 exec, exec, s[0:1]
	v_mov_b32_e32 v26, 0
	s_and_saveexec_b64 s[0:1], s[52:53]
	s_cbranch_execz .LBB1904_101
.LBB1904_100:
	v_mov_b32_e32 v47, 0
	v_lshl_add_u64 v[26:27], s[60:61], 0, v[46:47]
	flat_load_dword v26, v[26:27]
.LBB1904_101:
	s_or_b64 exec, exec, s[0:1]
	v_mul_u32_u24_e32 v73, 23, v0
	s_waitcnt vmcnt(0) lgkmcnt(0)
	ds_write2st64_b32 v44, v49, v48 offset1:4
	ds_write2st64_b32 v44, v51, v50 offset0:8 offset1:12
	ds_write2st64_b32 v44, v3, v11 offset0:16 offset1:20
	;; [unrolled: 1-line block ×10, first 2 shown]
	ds_write_b32 v44, v26 offset:22528
	v_mov_b64_e32 v[10:11], 0
	v_cmp_gt_u32_e32 vcc, s84, v73
	s_mov_b64 s[10:11], 0
	s_mov_b64 s[6:7], 0
	v_mov_b64_e32 v[12:13], v[10:11]
	v_mov_b64_e32 v[14:15], v[10:11]
	;; [unrolled: 1-line block ×21, first 2 shown]
	s_waitcnt lgkmcnt(0)
	s_barrier
	s_waitcnt lgkmcnt(0)
                                        ; implicit-def: $sgpr0_sgpr1
                                        ; implicit-def: $vgpr3
	s_and_saveexec_b64 s[8:9], vcc
	s_cbranch_execz .LBB1904_145
; %bb.102:
	ds_read_b32 v10, v1
	v_add_u32_e32 v2, 1, v73
	v_cmp_ne_u32_e32 vcc, v70, v68
	v_mov_b64_e32 v[12:13], 0
	s_mov_b64 s[12:13], 0
	v_cndmask_b32_e64 v11, 0, 1, vcc
	v_cmp_gt_u32_e32 vcc, s84, v2
	s_mov_b64 s[0:1], 0
	v_mov_b64_e32 v[14:15], v[12:13]
	v_mov_b64_e32 v[16:17], v[12:13]
	;; [unrolled: 1-line block ×20, first 2 shown]
                                        ; implicit-def: $sgpr14_sgpr15
                                        ; implicit-def: $vgpr3
	s_and_saveexec_b64 s[10:11], vcc
	s_cbranch_execz .LBB1904_144
; %bb.103:
	ds_read2_b32 v[70:71], v1 offset0:1 offset1:2
	v_add_u32_e32 v2, 2, v73
	v_cmp_ne_u32_e32 vcc, v68, v69
	v_mov_b64_e32 v[14:15], 0
	s_mov_b64 s[16:17], 0
	v_cndmask_b32_e64 v13, 0, 1, vcc
	v_cmp_gt_u32_e32 vcc, s84, v2
	s_waitcnt lgkmcnt(0)
	v_mov_b32_e32 v12, v70
	v_mov_b64_e32 v[16:17], v[14:15]
	v_mov_b64_e32 v[18:19], v[14:15]
	;; [unrolled: 1-line block ×19, first 2 shown]
                                        ; implicit-def: $sgpr14_sgpr15
                                        ; implicit-def: $vgpr3
	s_and_saveexec_b64 s[12:13], vcc
	s_cbranch_execz .LBB1904_143
; %bb.104:
	v_add_u32_e32 v2, 3, v73
	v_cmp_ne_u32_e32 vcc, v69, v66
	v_mov_b64_e32 v[16:17], 0
	v_mov_b32_e32 v14, v71
	v_cndmask_b32_e64 v15, 0, 1, vcc
	v_cmp_gt_u32_e32 vcc, s84, v2
	v_mov_b64_e32 v[18:19], v[16:17]
	v_mov_b64_e32 v[20:21], v[16:17]
	v_mov_b64_e32 v[22:23], v[16:17]
	v_mov_b64_e32 v[24:25], v[16:17]
	v_mov_b64_e32 v[26:27], v[16:17]
	v_mov_b64_e32 v[28:29], v[16:17]
	v_mov_b64_e32 v[30:31], v[16:17]
	v_mov_b64_e32 v[32:33], v[16:17]
	v_mov_b64_e32 v[34:35], v[16:17]
	v_mov_b64_e32 v[36:37], v[16:17]
	v_mov_b64_e32 v[38:39], v[16:17]
	v_mov_b64_e32 v[40:41], v[16:17]
	v_mov_b64_e32 v[42:43], v[16:17]
	v_mov_b64_e32 v[44:45], v[16:17]
	v_mov_b64_e32 v[46:47], v[16:17]
	v_mov_b64_e32 v[48:49], v[16:17]
	v_mov_b64_e32 v[50:51], v[16:17]
	v_mov_b64_e32 v[54:55], v[16:17]
                                        ; implicit-def: $sgpr18_sgpr19
                                        ; implicit-def: $vgpr3
	s_and_saveexec_b64 s[14:15], vcc
	s_cbranch_execz .LBB1904_142
; %bb.105:
	ds_read2_b32 v[68:69], v1 offset0:3 offset1:4
	v_add_u32_e32 v2, 4, v73
	v_cmp_ne_u32_e32 vcc, v66, v67
	v_mov_b64_e32 v[18:19], 0
	s_mov_b64 s[20:21], 0
	v_cndmask_b32_e64 v17, 0, 1, vcc
	v_cmp_gt_u32_e32 vcc, s84, v2
	s_waitcnt lgkmcnt(0)
	v_mov_b32_e32 v16, v68
	v_mov_b64_e32 v[20:21], v[18:19]
	v_mov_b64_e32 v[22:23], v[18:19]
	v_mov_b64_e32 v[24:25], v[18:19]
	v_mov_b64_e32 v[26:27], v[18:19]
	v_mov_b64_e32 v[28:29], v[18:19]
	v_mov_b64_e32 v[30:31], v[18:19]
	v_mov_b64_e32 v[32:33], v[18:19]
	v_mov_b64_e32 v[34:35], v[18:19]
	v_mov_b64_e32 v[36:37], v[18:19]
	v_mov_b64_e32 v[38:39], v[18:19]
	v_mov_b64_e32 v[40:41], v[18:19]
	v_mov_b64_e32 v[42:43], v[18:19]
	v_mov_b64_e32 v[44:45], v[18:19]
	v_mov_b64_e32 v[46:47], v[18:19]
	v_mov_b64_e32 v[48:49], v[18:19]
	v_mov_b64_e32 v[50:51], v[18:19]
	v_mov_b64_e32 v[54:55], v[18:19]
                                        ; implicit-def: $sgpr18_sgpr19
                                        ; implicit-def: $vgpr3
	s_and_saveexec_b64 s[16:17], vcc
	s_cbranch_execz .LBB1904_141
; %bb.106:
	v_add_u32_e32 v2, 5, v73
	v_cmp_ne_u32_e32 vcc, v67, v64
	v_mov_b64_e32 v[20:21], 0
	v_mov_b32_e32 v18, v69
	v_cndmask_b32_e64 v19, 0, 1, vcc
	v_cmp_gt_u32_e32 vcc, s84, v2
	v_mov_b64_e32 v[22:23], v[20:21]
	v_mov_b64_e32 v[24:25], v[20:21]
	;; [unrolled: 1-line block ×16, first 2 shown]
                                        ; implicit-def: $sgpr22_sgpr23
                                        ; implicit-def: $vgpr3
	s_and_saveexec_b64 s[18:19], vcc
	s_cbranch_execz .LBB1904_140
; %bb.107:
	ds_read2_b32 v[66:67], v1 offset0:5 offset1:6
	v_add_u32_e32 v2, 6, v73
	v_cmp_ne_u32_e32 vcc, v64, v65
	v_mov_b64_e32 v[22:23], 0
	s_mov_b64 s[24:25], 0
	v_cndmask_b32_e64 v21, 0, 1, vcc
	v_cmp_gt_u32_e32 vcc, s84, v2
	s_waitcnt lgkmcnt(0)
	v_mov_b32_e32 v20, v66
	v_mov_b64_e32 v[24:25], v[22:23]
	v_mov_b64_e32 v[26:27], v[22:23]
	;; [unrolled: 1-line block ×15, first 2 shown]
                                        ; implicit-def: $sgpr22_sgpr23
                                        ; implicit-def: $vgpr3
	s_and_saveexec_b64 s[20:21], vcc
	s_cbranch_execz .LBB1904_139
; %bb.108:
	v_add_u32_e32 v2, 7, v73
	v_cmp_ne_u32_e32 vcc, v65, v62
	v_mov_b64_e32 v[24:25], 0
	v_mov_b32_e32 v22, v67
	v_cndmask_b32_e64 v23, 0, 1, vcc
	v_cmp_gt_u32_e32 vcc, s84, v2
	v_mov_b64_e32 v[26:27], v[24:25]
	v_mov_b64_e32 v[28:29], v[24:25]
	;; [unrolled: 1-line block ×14, first 2 shown]
                                        ; implicit-def: $sgpr26_sgpr27
                                        ; implicit-def: $vgpr3
	s_and_saveexec_b64 s[22:23], vcc
	s_cbranch_execz .LBB1904_138
; %bb.109:
	ds_read2_b32 v[64:65], v1 offset0:7 offset1:8
	v_add_u32_e32 v2, 8, v73
	v_cmp_ne_u32_e32 vcc, v62, v63
	v_mov_b64_e32 v[26:27], 0
	s_mov_b64 s[28:29], 0
	v_cndmask_b32_e64 v25, 0, 1, vcc
	v_cmp_gt_u32_e32 vcc, s84, v2
	s_waitcnt lgkmcnt(0)
	v_mov_b32_e32 v24, v64
	v_mov_b64_e32 v[28:29], v[26:27]
	v_mov_b64_e32 v[30:31], v[26:27]
	;; [unrolled: 1-line block ×13, first 2 shown]
                                        ; implicit-def: $sgpr26_sgpr27
                                        ; implicit-def: $vgpr3
	s_and_saveexec_b64 s[24:25], vcc
	s_cbranch_execz .LBB1904_137
; %bb.110:
	v_add_u32_e32 v2, 9, v73
	v_cmp_ne_u32_e32 vcc, v63, v60
	v_mov_b64_e32 v[28:29], 0
	v_mov_b32_e32 v26, v65
	v_cndmask_b32_e64 v27, 0, 1, vcc
	v_cmp_gt_u32_e32 vcc, s84, v2
	v_mov_b64_e32 v[30:31], v[28:29]
	v_mov_b64_e32 v[32:33], v[28:29]
	;; [unrolled: 1-line block ×12, first 2 shown]
                                        ; implicit-def: $sgpr30_sgpr31
                                        ; implicit-def: $vgpr3
	s_and_saveexec_b64 s[26:27], vcc
	s_cbranch_execz .LBB1904_136
; %bb.111:
	ds_read2_b32 v[62:63], v1 offset0:9 offset1:10
	v_add_u32_e32 v2, 10, v73
	v_cmp_ne_u32_e32 vcc, v60, v61
	v_mov_b64_e32 v[30:31], 0
	s_mov_b64 s[34:35], 0
	v_cndmask_b32_e64 v29, 0, 1, vcc
	v_cmp_gt_u32_e32 vcc, s84, v2
	s_waitcnt lgkmcnt(0)
	v_mov_b32_e32 v28, v62
	v_mov_b64_e32 v[32:33], v[30:31]
	v_mov_b64_e32 v[34:35], v[30:31]
	v_mov_b64_e32 v[36:37], v[30:31]
	v_mov_b64_e32 v[38:39], v[30:31]
	v_mov_b64_e32 v[40:41], v[30:31]
	v_mov_b64_e32 v[42:43], v[30:31]
	v_mov_b64_e32 v[44:45], v[30:31]
	v_mov_b64_e32 v[46:47], v[30:31]
	v_mov_b64_e32 v[48:49], v[30:31]
	v_mov_b64_e32 v[50:51], v[30:31]
	v_mov_b64_e32 v[54:55], v[30:31]
                                        ; implicit-def: $sgpr30_sgpr31
                                        ; implicit-def: $vgpr3
	s_and_saveexec_b64 s[28:29], vcc
	s_cbranch_execz .LBB1904_135
; %bb.112:
	v_add_u32_e32 v2, 11, v73
	v_cmp_ne_u32_e32 vcc, v61, v58
	v_mov_b64_e32 v[32:33], 0
	v_mov_b32_e32 v30, v63
	v_cndmask_b32_e64 v31, 0, 1, vcc
	v_cmp_gt_u32_e32 vcc, s84, v2
	v_mov_b64_e32 v[34:35], v[32:33]
	v_mov_b64_e32 v[36:37], v[32:33]
	;; [unrolled: 1-line block ×10, first 2 shown]
                                        ; implicit-def: $sgpr36_sgpr37
                                        ; implicit-def: $vgpr3
	s_and_saveexec_b64 s[30:31], vcc
	s_cbranch_execz .LBB1904_134
; %bb.113:
	ds_read2_b32 v[60:61], v1 offset0:11 offset1:12
	v_add_u32_e32 v2, 12, v73
	v_cmp_ne_u32_e32 vcc, v58, v59
	v_mov_b64_e32 v[34:35], 0
	s_mov_b64 s[38:39], 0
	v_cndmask_b32_e64 v33, 0, 1, vcc
	v_cmp_gt_u32_e32 vcc, s84, v2
	s_waitcnt lgkmcnt(0)
	v_mov_b32_e32 v32, v60
	v_mov_b64_e32 v[36:37], v[34:35]
	v_mov_b64_e32 v[38:39], v[34:35]
	;; [unrolled: 1-line block ×9, first 2 shown]
                                        ; implicit-def: $sgpr36_sgpr37
                                        ; implicit-def: $vgpr3
	s_and_saveexec_b64 s[34:35], vcc
	s_cbranch_execz .LBB1904_133
; %bb.114:
	v_add_u32_e32 v2, 13, v73
	v_cmp_ne_u32_e32 vcc, v59, v56
	v_mov_b64_e32 v[36:37], 0
	v_mov_b32_e32 v34, v61
	v_cndmask_b32_e64 v35, 0, 1, vcc
	v_cmp_gt_u32_e32 vcc, s84, v2
	v_mov_b64_e32 v[38:39], v[36:37]
	v_mov_b64_e32 v[40:41], v[36:37]
	;; [unrolled: 1-line block ×8, first 2 shown]
                                        ; implicit-def: $sgpr40_sgpr41
                                        ; implicit-def: $vgpr3
	s_and_saveexec_b64 s[36:37], vcc
	s_cbranch_execz .LBB1904_132
; %bb.115:
	ds_read2_b32 v[58:59], v1 offset0:13 offset1:14
	v_add_u32_e32 v2, 14, v73
	v_cmp_ne_u32_e32 vcc, v56, v57
	v_mov_b64_e32 v[38:39], 0
	s_mov_b64 s[42:43], 0
	v_cndmask_b32_e64 v37, 0, 1, vcc
	v_cmp_gt_u32_e32 vcc, s84, v2
	s_waitcnt lgkmcnt(0)
	v_mov_b32_e32 v36, v58
	v_mov_b64_e32 v[40:41], v[38:39]
	v_mov_b64_e32 v[42:43], v[38:39]
	;; [unrolled: 1-line block ×7, first 2 shown]
                                        ; implicit-def: $sgpr40_sgpr41
                                        ; implicit-def: $vgpr3
	s_and_saveexec_b64 s[38:39], vcc
	s_cbranch_execz .LBB1904_131
; %bb.116:
	v_add_u32_e32 v2, 15, v73
	v_cmp_ne_u32_e32 vcc, v57, v52
	v_mov_b64_e32 v[40:41], 0
	v_mov_b32_e32 v38, v59
	v_cndmask_b32_e64 v39, 0, 1, vcc
	v_cmp_gt_u32_e32 vcc, s84, v2
	v_mov_b64_e32 v[42:43], v[40:41]
	v_mov_b64_e32 v[44:45], v[40:41]
	;; [unrolled: 1-line block ×6, first 2 shown]
                                        ; implicit-def: $sgpr44_sgpr45
                                        ; implicit-def: $vgpr3
	s_and_saveexec_b64 s[40:41], vcc
	s_cbranch_execz .LBB1904_130
; %bb.117:
	ds_read2_b32 v[56:57], v1 offset0:15 offset1:16
	v_add_u32_e32 v2, 16, v73
	v_cmp_ne_u32_e32 vcc, v52, v53
	v_mov_b64_e32 v[42:43], 0
	s_mov_b64 s[46:47], 0
	v_cndmask_b32_e64 v41, 0, 1, vcc
	v_cmp_gt_u32_e32 vcc, s84, v2
	s_waitcnt lgkmcnt(0)
	v_mov_b32_e32 v40, v56
	v_mov_b64_e32 v[44:45], v[42:43]
	v_mov_b64_e32 v[46:47], v[42:43]
	;; [unrolled: 1-line block ×5, first 2 shown]
                                        ; implicit-def: $sgpr44_sgpr45
                                        ; implicit-def: $vgpr3
	s_and_saveexec_b64 s[42:43], vcc
	s_cbranch_execz .LBB1904_129
; %bb.118:
	v_add_u32_e32 v2, 17, v73
	v_cmp_ne_u32_e32 vcc, v53, v8
	v_mov_b64_e32 v[44:45], 0
	v_mov_b32_e32 v42, v57
	v_cndmask_b32_e64 v43, 0, 1, vcc
	v_cmp_gt_u32_e32 vcc, s84, v2
	v_mov_b64_e32 v[46:47], v[44:45]
	v_mov_b64_e32 v[48:49], v[44:45]
	;; [unrolled: 1-line block ×4, first 2 shown]
                                        ; implicit-def: $sgpr48_sgpr49
                                        ; implicit-def: $vgpr3
	s_and_saveexec_b64 s[44:45], vcc
	s_cbranch_execz .LBB1904_128
; %bb.119:
	ds_read2_b32 v[52:53], v1 offset0:17 offset1:18
	v_add_u32_e32 v2, 18, v73
	v_cmp_ne_u32_e32 vcc, v8, v9
	v_mov_b64_e32 v[46:47], 0
	s_mov_b64 s[50:51], 0
	v_cndmask_b32_e64 v45, 0, 1, vcc
	v_cmp_gt_u32_e32 vcc, s84, v2
	s_waitcnt lgkmcnt(0)
	v_mov_b32_e32 v44, v52
	v_mov_b64_e32 v[48:49], v[46:47]
	v_mov_b64_e32 v[50:51], v[46:47]
	;; [unrolled: 1-line block ×3, first 2 shown]
                                        ; implicit-def: $sgpr48_sgpr49
                                        ; implicit-def: $vgpr3
	s_and_saveexec_b64 s[46:47], vcc
	s_cbranch_execz .LBB1904_127
; %bb.120:
	v_add_u32_e32 v2, 19, v73
	v_cmp_ne_u32_e32 vcc, v9, v6
	v_mov_b64_e32 v[48:49], 0
	v_mov_b32_e32 v46, v53
	v_cndmask_b32_e64 v47, 0, 1, vcc
	v_cmp_gt_u32_e32 vcc, s84, v2
	v_mov_b64_e32 v[50:51], v[48:49]
	v_mov_b64_e32 v[54:55], v[48:49]
                                        ; implicit-def: $sgpr52_sgpr53
                                        ; implicit-def: $vgpr3
	s_and_saveexec_b64 s[48:49], vcc
	s_cbranch_execz .LBB1904_126
; %bb.121:
	ds_read2_b32 v[8:9], v1 offset0:19 offset1:20
	v_add_u32_e32 v2, 20, v73
	v_cmp_ne_u32_e32 vcc, v6, v7
	v_mov_b64_e32 v[50:51], 0
	s_mov_b64 s[52:53], 0
	v_cndmask_b32_e64 v49, 0, 1, vcc
	v_cmp_gt_u32_e32 vcc, s84, v2
	s_waitcnt lgkmcnt(0)
	v_mov_b32_e32 v48, v8
	v_mov_b64_e32 v[54:55], v[50:51]
                                        ; implicit-def: $sgpr64_sgpr65
                                        ; implicit-def: $vgpr3
	s_and_saveexec_b64 s[50:51], vcc
	s_cbranch_execz .LBB1904_125
; %bb.122:
	v_add_u32_e32 v2, 21, v73
	v_cmp_ne_u32_e32 vcc, v7, v4
	v_mov_b32_e32 v50, v9
	v_mov_b64_e32 v[54:55], 0
	v_cndmask_b32_e64 v51, 0, 1, vcc
	v_cmp_gt_u32_e32 vcc, s84, v2
                                        ; implicit-def: $sgpr64_sgpr65
                                        ; implicit-def: $vgpr3
	s_and_saveexec_b64 s[0:1], vcc
	s_xor_b64 s[82:83], exec, s[0:1]
	s_cbranch_execz .LBB1904_124
; %bb.123:
	ds_read2_b32 v[2:3], v1 offset0:21 offset1:22
	v_add_u32_e32 v1, 22, v73
	v_cmp_ne_u32_e64 s[0:1], v4, v5
	v_cmp_ne_u32_e32 vcc, v5, v72
	s_and_b64 s[64:65], vcc, exec
	v_cndmask_b32_e64 v55, 0, 1, s[0:1]
	v_cmp_gt_u32_e64 s[0:1], s84, v1
	s_waitcnt lgkmcnt(0)
	v_mov_b32_e32 v54, v2
	s_and_b64 s[52:53], s[0:1], exec
.LBB1904_124:
	s_or_b64 exec, exec, s[82:83]
	s_and_b64 s[64:65], s[64:65], exec
	s_and_b64 s[0:1], s[52:53], exec
.LBB1904_125:
	s_or_b64 exec, exec, s[50:51]
	s_and_b64 s[52:53], s[64:65], exec
	s_and_b64 s[50:51], s[0:1], exec
.LBB1904_126:
	s_or_b64 exec, exec, s[48:49]
	s_and_b64 s[48:49], s[52:53], exec
	s_and_b64 s[0:1], s[50:51], exec
.LBB1904_127:
	s_or_b64 exec, exec, s[46:47]
	s_and_b64 s[48:49], s[48:49], exec
	s_and_b64 s[46:47], s[0:1], exec
.LBB1904_128:
	s_or_b64 exec, exec, s[44:45]
	s_and_b64 s[44:45], s[48:49], exec
	s_and_b64 s[0:1], s[46:47], exec
.LBB1904_129:
	s_or_b64 exec, exec, s[42:43]
	s_and_b64 s[44:45], s[44:45], exec
	s_and_b64 s[42:43], s[0:1], exec
.LBB1904_130:
	s_or_b64 exec, exec, s[40:41]
	s_and_b64 s[40:41], s[44:45], exec
	s_and_b64 s[0:1], s[42:43], exec
.LBB1904_131:
	s_or_b64 exec, exec, s[38:39]
	s_and_b64 s[40:41], s[40:41], exec
	s_and_b64 s[38:39], s[0:1], exec
.LBB1904_132:
	s_or_b64 exec, exec, s[36:37]
	s_and_b64 s[36:37], s[40:41], exec
	s_and_b64 s[0:1], s[38:39], exec
.LBB1904_133:
	s_or_b64 exec, exec, s[34:35]
	s_and_b64 s[36:37], s[36:37], exec
	s_and_b64 s[34:35], s[0:1], exec
.LBB1904_134:
	s_or_b64 exec, exec, s[30:31]
	s_and_b64 s[30:31], s[36:37], exec
	s_and_b64 s[0:1], s[34:35], exec
.LBB1904_135:
	s_or_b64 exec, exec, s[28:29]
	s_and_b64 s[30:31], s[30:31], exec
	s_and_b64 s[28:29], s[0:1], exec
.LBB1904_136:
	s_or_b64 exec, exec, s[26:27]
	s_and_b64 s[26:27], s[30:31], exec
	s_and_b64 s[0:1], s[28:29], exec
.LBB1904_137:
	s_or_b64 exec, exec, s[24:25]
	s_and_b64 s[26:27], s[26:27], exec
	s_and_b64 s[24:25], s[0:1], exec
.LBB1904_138:
	s_or_b64 exec, exec, s[22:23]
	s_and_b64 s[22:23], s[26:27], exec
	s_and_b64 s[0:1], s[24:25], exec
.LBB1904_139:
	s_or_b64 exec, exec, s[20:21]
	s_and_b64 s[22:23], s[22:23], exec
	s_and_b64 s[20:21], s[0:1], exec
.LBB1904_140:
	s_or_b64 exec, exec, s[18:19]
	s_and_b64 s[18:19], s[22:23], exec
	s_and_b64 s[0:1], s[20:21], exec
.LBB1904_141:
	s_or_b64 exec, exec, s[16:17]
	s_and_b64 s[18:19], s[18:19], exec
	s_and_b64 s[16:17], s[0:1], exec
.LBB1904_142:
	s_or_b64 exec, exec, s[14:15]
	s_and_b64 s[14:15], s[18:19], exec
	s_and_b64 s[0:1], s[16:17], exec
.LBB1904_143:
	s_or_b64 exec, exec, s[12:13]
	s_and_b64 s[14:15], s[14:15], exec
	s_and_b64 s[12:13], s[0:1], exec
.LBB1904_144:
	s_or_b64 exec, exec, s[10:11]
	s_and_b64 s[0:1], s[14:15], exec
	s_and_b64 s[10:11], s[12:13], exec
.LBB1904_145:
	s_or_b64 exec, exec, s[8:9]
	s_mov_b64 s[8:9], 0
	s_and_b64 vcc, exec, s[6:7]
	v_lshlrev_b32_e32 v52, 2, v0
	s_cbranch_vccnz .LBB1904_147
	s_branch .LBB1904_155
.LBB1904_146:
                                        ; implicit-def: $sgpr0_sgpr1
                                        ; implicit-def: $vgpr3
                                        ; implicit-def: $vgpr10_vgpr11
                                        ; implicit-def: $vgpr12_vgpr13
                                        ; implicit-def: $vgpr14_vgpr15
                                        ; implicit-def: $vgpr16_vgpr17
                                        ; implicit-def: $vgpr18_vgpr19
                                        ; implicit-def: $vgpr20_vgpr21
                                        ; implicit-def: $vgpr22_vgpr23
                                        ; implicit-def: $vgpr24_vgpr25
                                        ; implicit-def: $vgpr26_vgpr27
                                        ; implicit-def: $vgpr28_vgpr29
                                        ; implicit-def: $vgpr30_vgpr31
                                        ; implicit-def: $vgpr32_vgpr33
                                        ; implicit-def: $vgpr34_vgpr35
                                        ; implicit-def: $vgpr36_vgpr37
                                        ; implicit-def: $vgpr38_vgpr39
                                        ; implicit-def: $vgpr40_vgpr41
                                        ; implicit-def: $vgpr42_vgpr43
                                        ; implicit-def: $vgpr44_vgpr45
                                        ; implicit-def: $vgpr46_vgpr47
                                        ; implicit-def: $vgpr48_vgpr49
                                        ; implicit-def: $vgpr50_vgpr51
                                        ; implicit-def: $vgpr54_vgpr55
                                        ; implicit-def: $sgpr8_sgpr9
	s_and_b64 vcc, exec, s[6:7]
	v_lshlrev_b32_e32 v52, 2, v0
	s_cbranch_vccz .LBB1904_155
.LBB1904_147:
	v_mov_b32_e32 v53, 0
	v_lshl_add_u64 v[2:3], s[68:69], 0, v[52:53]
	v_add_co_u32_e32 v4, vcc, 0x1000, v2
	s_movk_i32 s0, 0x58
	s_nop 0
	v_addc_co_u32_e32 v5, vcc, 0, v3, vcc
	flat_load_dword v8, v[2:3]
	flat_load_dword v9, v[2:3] offset:1024
	s_waitcnt lgkmcnt(0)
	flat_load_dword v10, v[2:3] offset:2048
	flat_load_dword v11, v[2:3] offset:3072
	flat_load_dword v12, v[4:5]
	flat_load_dword v13, v[4:5] offset:1024
	flat_load_dword v14, v[4:5] offset:2048
	;; [unrolled: 1-line block ×3, first 2 shown]
	v_add_co_u32_e32 v4, vcc, 0x2000, v2
	v_mad_u32_u24 v1, v0, s0, v52
	s_nop 0
	v_addc_co_u32_e32 v5, vcc, 0, v3, vcc
	v_add_co_u32_e32 v6, vcc, 0x3000, v2
	s_cmp_eq_u64 s[80:81], 0
	s_nop 0
	v_addc_co_u32_e32 v7, vcc, 0, v3, vcc
	flat_load_dword v16, v[4:5]
	flat_load_dword v17, v[4:5] offset:1024
	flat_load_dword v18, v[4:5] offset:2048
	flat_load_dword v19, v[4:5] offset:3072
	flat_load_dword v20, v[6:7]
	flat_load_dword v21, v[6:7] offset:1024
	flat_load_dword v22, v[6:7] offset:2048
	;; [unrolled: 1-line block ×3, first 2 shown]
	v_add_co_u32_e32 v4, vcc, 0x4000, v2
	s_nop 1
	v_addc_co_u32_e32 v5, vcc, 0, v3, vcc
	v_add_co_u32_e32 v2, vcc, 0x5000, v2
	s_nop 1
	v_addc_co_u32_e32 v3, vcc, 0, v3, vcc
	flat_load_dword v6, v[4:5]
	flat_load_dword v7, v[4:5] offset:1024
	flat_load_dword v24, v[4:5] offset:2048
	;; [unrolled: 1-line block ×3, first 2 shown]
	flat_load_dword v26, v[2:3]
	flat_load_dword v27, v[2:3] offset:1024
	flat_load_dword v28, v[2:3] offset:2048
	s_waitcnt vmcnt(0)
	ds_write2st64_b32 v52, v8, v9 offset1:4
	s_waitcnt lgkmcnt(0)
	ds_write2st64_b32 v52, v10, v11 offset0:8 offset1:12
	ds_write2st64_b32 v52, v12, v13 offset0:16 offset1:20
	;; [unrolled: 1-line block ×10, first 2 shown]
	ds_write_b32 v52, v28 offset:22528
	s_waitcnt lgkmcnt(0)
	s_barrier
	ds_read2_b32 v[2:3], v1 offset1:1
	ds_read2_b32 v[18:19], v1 offset0:2 offset1:3
	ds_read2_b32 v[22:23], v1 offset0:4 offset1:5
	;; [unrolled: 1-line block ×10, first 2 shown]
	ds_read_b32 v10, v1 offset:88
	s_cbranch_scc1 .LBB1904_152
; %bb.148:
	s_andn2_b64 vcc, exec, s[78:79]
	s_cbranch_vccnz .LBB1904_310
; %bb.149:
	s_lshl_b64 s[0:1], s[80:81], 2
	s_add_u32 s0, s70, s0
	s_addc_u32 s1, s71, s1
	s_add_u32 s0, s0, -4
	s_addc_u32 s1, s1, -1
	s_cbranch_execnz .LBB1904_151
.LBB1904_150:
	s_add_u32 s0, s68, -4
	s_addc_u32 s1, s69, -1
.LBB1904_151:
	s_mov_b64 s[68:69], s[0:1]
.LBB1904_152:
	v_mov_b64_e32 v[12:13], s[68:69]
	flat_load_dword v11, v[12:13]
	s_movk_i32 s0, 0xffa8
	v_mad_i32_i24 v12, v0, s0, v1
	s_waitcnt lgkmcnt(0)
	ds_write_b32 v12, v10 offset:23552
	s_waitcnt lgkmcnt(0)
	s_barrier
	s_and_saveexec_b64 s[0:1], s[4:5]
	s_cbranch_execz .LBB1904_154
; %bb.153:
	s_waitcnt vmcnt(0)
	v_mul_i32_i24_e32 v11, 0xffffffa8, v0
	v_add_u32_e32 v11, v1, v11
	ds_read_b32 v11, v11 offset:23548
.LBB1904_154:
	s_or_b64 exec, exec, s[0:1]
	v_mov_b32_e32 v53, 0
	v_lshl_add_u64 v[12:13], s[60:61], 0, v[52:53]
	s_movk_i32 s0, 0x1000
	v_add_co_u32_e32 v14, vcc, s0, v12
	s_movk_i32 s0, 0x2000
	s_nop 0
	v_addc_co_u32_e32 v15, vcc, 0, v13, vcc
	s_waitcnt lgkmcnt(0)
	s_barrier
	flat_load_dword v20, v[12:13]
	flat_load_dword v21, v[12:13] offset:1024
	flat_load_dword v24, v[12:13] offset:2048
	flat_load_dword v25, v[12:13] offset:3072
	flat_load_dword v28, v[14:15]
	flat_load_dword v29, v[14:15] offset:1024
	flat_load_dword v32, v[14:15] offset:2048
	;; [unrolled: 1-line block ×3, first 2 shown]
	v_add_co_u32_e32 v14, vcc, s0, v12
	s_movk_i32 s0, 0x3000
	s_nop 0
	v_addc_co_u32_e32 v15, vcc, 0, v13, vcc
	v_add_co_u32_e32 v16, vcc, s0, v12
	s_movk_i32 s0, 0x4000
	s_nop 0
	v_addc_co_u32_e32 v17, vcc, 0, v13, vcc
	flat_load_dword v36, v[14:15]
	flat_load_dword v37, v[14:15] offset:1024
	flat_load_dword v40, v[14:15] offset:2048
	;; [unrolled: 1-line block ×3, first 2 shown]
	flat_load_dword v44, v[16:17]
	flat_load_dword v45, v[16:17] offset:1024
	flat_load_dword v46, v[16:17] offset:2048
	;; [unrolled: 1-line block ×3, first 2 shown]
	v_add_co_u32_e32 v14, vcc, s0, v12
	s_movk_i32 s0, 0x5000
	s_nop 0
	v_addc_co_u32_e32 v15, vcc, 0, v13, vcc
	v_add_co_u32_e32 v12, vcc, s0, v12
	v_cmp_ne_u32_e64 s[0:1], v5, v10
	s_nop 0
	v_addc_co_u32_e32 v13, vcc, 0, v13, vcc
	flat_load_dword v16, v[14:15]
	flat_load_dword v17, v[14:15] offset:1024
	flat_load_dword v48, v[14:15] offset:2048
	;; [unrolled: 1-line block ×3, first 2 shown]
	flat_load_dword v50, v[12:13]
	flat_load_dword v51, v[12:13] offset:1024
	flat_load_dword v53, v[12:13] offset:2048
	s_waitcnt vmcnt(0)
	v_cmp_ne_u32_e32 vcc, v11, v2
	s_mov_b64 s[10:11], -1
                                        ; implicit-def: $sgpr8_sgpr9
	s_waitcnt lgkmcnt(0)
	ds_write2st64_b32 v52, v20, v21 offset1:4
	ds_write2st64_b32 v52, v24, v25 offset0:8 offset1:12
	ds_write2st64_b32 v52, v28, v29 offset0:16 offset1:20
	ds_write2st64_b32 v52, v32, v33 offset0:24 offset1:28
	ds_write2st64_b32 v52, v36, v37 offset0:32 offset1:36
	ds_write2st64_b32 v52, v40, v41 offset0:40 offset1:44
	ds_write2st64_b32 v52, v44, v45 offset0:48 offset1:52
	ds_write2st64_b32 v52, v46, v47 offset0:56 offset1:60
	ds_write2st64_b32 v52, v16, v17 offset0:64 offset1:68
	ds_write2st64_b32 v52, v48, v49 offset0:72 offset1:76
	ds_write2st64_b32 v52, v50, v51 offset0:80 offset1:84
	ds_write_b32 v52, v53 offset:22528
	v_cndmask_b32_e64 v11, 0, 1, vcc
	v_cmp_ne_u32_e32 vcc, v2, v3
	s_waitcnt lgkmcnt(0)
	s_barrier
	v_cndmask_b32_e64 v13, 0, 1, vcc
	v_cmp_ne_u32_e32 vcc, v3, v18
	ds_read2_b32 v[16:17], v1 offset1:1
	ds_read2_b32 v[20:21], v1 offset0:2 offset1:3
	ds_read2_b32 v[24:25], v1 offset0:4 offset1:5
	;; [unrolled: 1-line block ×10, first 2 shown]
	ds_read_b32 v3, v1 offset:88
	v_cndmask_b32_e64 v15, 0, 1, vcc
	v_cmp_ne_u32_e32 vcc, v18, v19
	s_waitcnt lgkmcnt(11)
	v_mov_b32_e32 v12, v17
	v_mov_b32_e32 v10, v16
	v_cndmask_b32_e64 v17, 0, 1, vcc
	v_cmp_ne_u32_e32 vcc, v19, v22
	s_waitcnt lgkmcnt(10)
	v_mov_b32_e32 v16, v21
	v_mov_b32_e32 v14, v20
	v_cndmask_b32_e64 v19, 0, 1, vcc
	v_cmp_ne_u32_e32 vcc, v22, v23
	s_waitcnt lgkmcnt(9)
	v_mov_b32_e32 v20, v25
	v_mov_b32_e32 v18, v24
	v_cndmask_b32_e64 v21, 0, 1, vcc
	v_cmp_ne_u32_e32 vcc, v23, v26
	s_waitcnt lgkmcnt(8)
	v_mov_b32_e32 v24, v29
	v_mov_b32_e32 v22, v28
	v_cndmask_b32_e64 v23, 0, 1, vcc
	v_cmp_ne_u32_e32 vcc, v26, v27
	s_waitcnt lgkmcnt(7)
	v_mov_b32_e32 v28, v33
	v_mov_b32_e32 v26, v32
	v_cndmask_b32_e64 v25, 0, 1, vcc
	v_cmp_ne_u32_e32 vcc, v27, v30
	s_waitcnt lgkmcnt(6)
	v_mov_b32_e32 v32, v37
	s_waitcnt lgkmcnt(2)
	v_mov_b32_e32 v48, v51
	v_cndmask_b32_e64 v27, 0, 1, vcc
	v_cmp_ne_u32_e32 vcc, v30, v31
	v_mov_b32_e32 v30, v36
	v_mov_b32_e32 v36, v41
	v_cndmask_b32_e64 v29, 0, 1, vcc
	v_cmp_ne_u32_e32 vcc, v31, v34
	s_waitcnt lgkmcnt(1)
	v_mov_b32_e32 v54, v57
	v_cndmask_b32_e64 v31, 0, 1, vcc
	v_cmp_ne_u32_e32 vcc, v34, v35
	v_mov_b32_e32 v34, v40
	v_mov_b32_e32 v40, v45
	v_cndmask_b32_e64 v33, 0, 1, vcc
	v_cmp_ne_u32_e32 vcc, v35, v38
	s_nop 1
	v_cndmask_b32_e64 v35, 0, 1, vcc
	v_cmp_ne_u32_e32 vcc, v38, v39
	v_mov_b32_e32 v38, v44
	v_mov_b32_e32 v44, v47
	v_cndmask_b32_e64 v37, 0, 1, vcc
	v_cmp_ne_u32_e32 vcc, v39, v42
	s_nop 1
	v_cndmask_b32_e64 v39, 0, 1, vcc
	v_cmp_ne_u32_e32 vcc, v42, v43
	v_mov_b32_e32 v42, v46
	v_mov_b32_e32 v46, v50
	v_cndmask_b32_e64 v41, 0, 1, vcc
	v_cmp_ne_u32_e32 vcc, v43, v8
	v_mov_b32_e32 v50, v56
	s_nop 0
	v_cndmask_b32_e64 v43, 0, 1, vcc
	v_cmp_ne_u32_e32 vcc, v8, v9
	s_nop 1
	v_cndmask_b32_e64 v45, 0, 1, vcc
	v_cmp_ne_u32_e32 vcc, v9, v6
	;; [unrolled: 3-line block ×5, first 2 shown]
	s_nop 1
	v_cndmask_b32_e64 v55, 0, 1, vcc
.LBB1904_155:
	v_mov_b64_e32 v[56:57], s[8:9]
	s_and_saveexec_b64 s[6:7], s[10:11]
	s_cbranch_execz .LBB1904_157
; %bb.156:
	v_cndmask_b32_e64 v57, 0, 1, s[0:1]
	s_waitcnt lgkmcnt(0)
	v_mov_b32_e32 v56, v3
.LBB1904_157:
	s_or_b64 exec, exec, s[6:7]
	s_mov_b32 s0, 0
	s_cmp_lg_u32 s75, 0
	v_or_b32_e32 v53, v57, v55
	v_lshrrev_b32_e32 v1, 5, v0
	v_cmp_gt_u32_e32 vcc, 64, v0
	s_waitcnt lgkmcnt(0)
	s_barrier
	s_cbranch_scc0 .LBB1904_192
; %bb.158:
	s_mov_b32 s1, 1
	v_cmp_gt_u64_e64 s[6:7], s[0:1], v[12:13]
	v_cmp_gt_u64_e64 s[8:9], s[0:1], v[14:15]
	v_cmp_gt_u64_e64 s[10:11], s[0:1], v[16:17]
	v_cndmask_b32_e64 v2, 0, v10, s[6:7]
	v_add_u32_e32 v2, v2, v12
	v_cndmask_b32_e64 v2, 0, v2, s[8:9]
	v_add_u32_e32 v2, v2, v14
	v_cndmask_b32_e64 v2, 0, v2, s[10:11]
	v_add_u32_e32 v2, v2, v16
	v_cmp_gt_u64_e64 s[12:13], s[0:1], v[18:19]
	v_cmp_gt_u64_e64 s[14:15], s[0:1], v[20:21]
	v_cmp_gt_u64_e64 s[16:17], s[0:1], v[22:23]
	v_cndmask_b32_e64 v2, 0, v2, s[12:13]
	v_add_u32_e32 v2, v2, v18
	v_cndmask_b32_e64 v2, 0, v2, s[14:15]
	v_add_u32_e32 v2, v2, v20
	v_cndmask_b32_e64 v2, 0, v2, s[16:17]
	v_add_u32_e32 v2, v2, v22
	;; [unrolled: 9-line block ×7, first 2 shown]
	v_cmp_gt_u64_e64 s[50:51], s[0:1], v[56:57]
	s_nop 1
	v_cndmask_b32_e64 v2, 0, v2, s[50:51]
	v_add_u32_e32 v62, v2, v56
	v_or3_b32 v2, v53, v51, v49
	v_or3_b32 v2, v2, v47, v45
	;; [unrolled: 1-line block ×10, first 2 shown]
	v_and_b32_e32 v2, 1, v2
	v_cmp_eq_u32_e64 s[0:1], 1, v2
	v_add_lshl_u32 v2, v1, v0, 3
	s_nop 0
	v_cndmask_b32_e64 v63, v11, 1, s[0:1]
	ds_write_b32 v2, v62
	ds_write_b8 v2, v63 offset:4
	s_waitcnt lgkmcnt(0)
	s_barrier
	s_and_saveexec_b64 s[52:53], vcc
	s_cbranch_execz .LBB1904_170
; %bb.159:
	v_lshrrev_b32_e32 v2, 3, v0
	v_add_lshl_u32 v4, v2, v52, 3
	ds_read2_b32 v[6:7], v4 offset0:2 offset1:4
	ds_read_b64 v[2:3], v4
	ds_read_u8 v8, v4 offset:12
	ds_read_u8 v9, v4 offset:20
	ds_read_b32 v58, v4 offset:24
	ds_read_u8 v59, v4 offset:28
	v_mov_b32_e32 v60, 0
	s_waitcnt lgkmcnt(3)
	v_cmp_eq_u16_sdwa s[0:1], v8, v60 src0_sel:BYTE_0 src1_sel:DWORD
	v_and_b32_e32 v5, 1, v3
	s_nop 0
	v_cndmask_b32_e64 v61, 0, v2, s[0:1]
	v_add_u32_e32 v6, v61, v6
	s_waitcnt lgkmcnt(2)
	v_cmp_eq_u16_sdwa s[0:1], v9, v60 src0_sel:BYTE_0 src1_sel:DWORD
	s_nop 1
	v_cndmask_b32_e64 v6, 0, v6, s[0:1]
	v_add_u32_e32 v6, v6, v7
	s_waitcnt lgkmcnt(0)
	v_cmp_eq_u16_e64 s[0:1], 0, v59
	s_nop 1
	v_cndmask_b32_e64 v6, 0, v6, s[0:1]
	v_add_u32_e32 v7, v6, v58
	v_or_b32_e32 v6, v59, v9
	v_or_b32_e32 v6, v6, v8
	v_and_b32_e32 v6, 1, v6
	v_cmp_eq_u32_e64 s[0:1], 1, v6
	v_mbcnt_lo_u32_b32 v8, -1, 0
	v_and_b32_e32 v6, 0xffffff00, v3
	v_cndmask_b32_e64 v9, v5, 1, s[0:1]
	v_mbcnt_hi_u32_b32 v8, -1, v8
	v_and_b32_e32 v59, 15, v8
	v_or_b32_sdwa v58, v6, v9 dst_sel:DWORD dst_unused:UNUSED_PAD src0_sel:DWORD src1_sel:WORD_0
	v_mov_b32_dpp v60, v7 row_shr:1 row_mask:0xf bank_mask:0xf
	v_cmp_ne_u32_e64 s[0:1], 0, v59
	v_mov_b32_dpp v61, v58 row_shr:1 row_mask:0xf bank_mask:0xf
	s_and_saveexec_b64 s[60:61], s[0:1]
; %bb.160:
	v_and_b32_e32 v58, 1, v9
	v_and_b32_e32 v61, 1, v61
	v_cmp_eq_u32_e64 s[0:1], 1, v58
	s_nop 1
	v_cndmask_b32_e64 v61, v61, 1, s[0:1]
	v_cmp_eq_u16_e64 s[0:1], 0, v9
	v_or_b32_sdwa v58, v6, v61 dst_sel:DWORD dst_unused:UNUSED_PAD src0_sel:DWORD src1_sel:WORD_0
	s_nop 0
	v_cndmask_b32_e64 v9, 0, v60, s[0:1]
	v_add_u32_e32 v7, v9, v7
	v_mov_b32_e32 v9, v61
; %bb.161:
	s_or_b64 exec, exec, s[60:61]
	v_mov_b32_dpp v60, v7 row_shr:2 row_mask:0xf bank_mask:0xf
	v_mov_b32_dpp v61, v58 row_shr:2 row_mask:0xf bank_mask:0xf
	v_cmp_lt_u32_e64 s[0:1], 1, v59
	s_and_saveexec_b64 s[60:61], s[0:1]
; %bb.162:
	v_and_b32_e32 v58, 1, v9
	v_and_b32_e32 v61, 1, v61
	v_cmp_eq_u32_e64 s[0:1], 1, v58
	s_nop 1
	v_cndmask_b32_e64 v61, v61, 1, s[0:1]
	v_cmp_eq_u16_e64 s[0:1], 0, v9
	v_or_b32_sdwa v58, v6, v61 dst_sel:DWORD dst_unused:UNUSED_PAD src0_sel:DWORD src1_sel:WORD_0
	s_nop 0
	v_cndmask_b32_e64 v9, 0, v60, s[0:1]
	v_add_u32_e32 v7, v9, v7
	v_mov_b32_e32 v9, v61
; %bb.163:
	s_or_b64 exec, exec, s[60:61]
	v_mov_b32_dpp v60, v7 row_shr:4 row_mask:0xf bank_mask:0xf
	v_mov_b32_dpp v61, v58 row_shr:4 row_mask:0xf bank_mask:0xf
	v_cmp_lt_u32_e64 s[0:1], 3, v59
	;; [unrolled: 18-line block ×3, first 2 shown]
	s_and_saveexec_b64 s[60:61], s[0:1]
; %bb.166:
	v_and_b32_e32 v58, 1, v9
	v_and_b32_e32 v59, 1, v61
	v_cmp_eq_u32_e64 s[0:1], 1, v58
	s_nop 1
	v_cndmask_b32_e64 v59, v59, 1, s[0:1]
	v_cmp_eq_u16_e64 s[0:1], 0, v9
	v_or_b32_sdwa v58, v6, v59 dst_sel:DWORD dst_unused:UNUSED_PAD src0_sel:DWORD src1_sel:WORD_0
	s_nop 0
	v_cndmask_b32_e64 v9, 0, v60, s[0:1]
	v_add_u32_e32 v7, v9, v7
	v_mov_b32_e32 v9, v59
; %bb.167:
	s_or_b64 exec, exec, s[60:61]
	v_and_b32_e32 v61, 16, v8
	v_mov_b32_dpp v59, v7 row_bcast:15 row_mask:0xf bank_mask:0xf
	v_mov_b32_dpp v60, v58 row_bcast:15 row_mask:0xf bank_mask:0xf
	v_cmp_ne_u32_e64 s[0:1], 0, v61
	s_and_saveexec_b64 s[60:61], s[0:1]
; %bb.168:
	v_and_b32_e32 v58, 1, v9
	v_and_b32_e32 v60, 1, v60
	v_cmp_eq_u32_e64 s[0:1], 1, v58
	s_nop 1
	v_cndmask_b32_e64 v60, v60, 1, s[0:1]
	v_cmp_eq_u16_e64 s[0:1], 0, v9
	v_or_b32_sdwa v58, v6, v60 dst_sel:DWORD dst_unused:UNUSED_PAD src0_sel:DWORD src1_sel:WORD_0
	s_nop 0
	v_cndmask_b32_e64 v9, 0, v59, s[0:1]
	v_add_u32_e32 v7, v9, v7
	v_mov_b32_e32 v9, v60
; %bb.169:
	s_or_b64 exec, exec, s[60:61]
	v_mov_b32_dpp v58, v58 row_bcast:31 row_mask:0xf bank_mask:0xf
	v_and_b32_e32 v60, 1, v9
	v_and_b32_e32 v58, 1, v58
	v_cmp_eq_u32_e64 s[0:1], 1, v60
	v_mov_b32_e32 v60, 0
	v_cmp_eq_u16_sdwa s[60:61], v9, v60 src0_sel:BYTE_0 src1_sel:DWORD
	v_cndmask_b32_e64 v58, v58, 1, s[0:1]
	v_cmp_lt_u32_e64 s[0:1], 31, v8
	v_mov_b32_dpp v59, v7 row_bcast:31 row_mask:0xf bank_mask:0xf
	s_movk_i32 s64, 0xff
	v_cndmask_b32_e64 v9, v9, v58, s[0:1]
	s_and_b64 s[0:1], s[0:1], s[60:61]
	v_cndmask_b32_e64 v58, 0, v59, s[0:1]
	v_add_u32_e32 v7, v58, v7
	v_add_u32_e32 v58, -1, v8
	v_and_b32_e32 v59, 64, v8
	v_cmp_lt_i32_e64 s[0:1], v58, v59
	v_and_or_b32 v6, v9, s64, v6
	s_nop 0
	v_cndmask_b32_e64 v8, v58, v8, s[0:1]
	v_lshlrev_b32_e32 v8, 2, v8
	ds_bpermute_b32 v7, v8, v7
	ds_bpermute_b32 v6, v8, v6
	v_cmp_eq_u16_sdwa s[0:1], v3, v60 src0_sel:BYTE_0 src1_sel:DWORD
	; wave barrier
	s_waitcnt lgkmcnt(1)
	s_nop 0
	v_cndmask_b32_e64 v3, 0, v7, s[0:1]
	v_add_u32_e32 v2, v3, v2
	s_waitcnt lgkmcnt(0)
	v_and_b32_e32 v3, 1, v6
	v_cmp_eq_u32_e64 s[0:1], 1, v5
	v_cndmask_b32_e64 v5, v2, v62, s[54:55]
	s_nop 0
	v_cndmask_b32_e64 v3, v3, 1, s[0:1]
	v_cndmask_b32_e64 v6, v3, v63, s[54:55]
	ds_write_b32 v4, v5
	ds_write_b8 v4, v6 offset:4
	; wave barrier
	ds_read_u8 v7, v4 offset:12
	ds_read2_b32 v[2:3], v4 offset0:2 offset1:4
	ds_read_u8 v8, v4 offset:20
	ds_read_b32 v9, v4 offset:24
	ds_read_u8 v58, v4 offset:28
	s_waitcnt lgkmcnt(4)
	v_cmp_eq_u16_e64 s[0:1], 0, v7
	s_nop 1
	v_cndmask_b32_e64 v5, 0, v5, s[0:1]
	s_waitcnt lgkmcnt(3)
	v_add_u32_e32 v2, v5, v2
	v_and_b32_e32 v5, 1, v7
	v_cmp_eq_u32_e64 s[0:1], 1, v5
	s_nop 1
	v_cndmask_b32_e64 v5, v6, 1, s[0:1]
	s_waitcnt lgkmcnt(2)
	v_cmp_eq_u16_e64 s[0:1], 0, v8
	ds_write_b8 v4, v5 offset:12
	s_nop 0
	v_cndmask_b32_e64 v6, 0, v2, s[0:1]
	v_add_u32_e32 v3, v6, v3
	v_and_b32_e32 v6, 1, v8
	v_cmp_eq_u32_e64 s[0:1], 1, v6
	s_nop 1
	v_cndmask_b32_e64 v5, v5, 1, s[0:1]
	s_waitcnt lgkmcnt(1)
	v_cmp_eq_u16_e64 s[0:1], 0, v58
	ds_write2_b32 v4, v2, v3 offset0:2 offset1:4
	ds_write_b8 v4, v5 offset:20
	v_cndmask_b32_e64 v2, 0, v3, s[0:1]
	v_and_b32_e32 v3, 1, v58
	v_add_u32_e32 v2, v2, v9
	v_cmp_eq_u32_e64 s[0:1], 1, v3
	s_nop 1
	v_cndmask_b32_e64 v3, v5, 1, s[0:1]
	ds_write_b32 v4, v2 offset:24
	ds_write_b8 v4, v3 offset:28
.LBB1904_170:
	s_or_b64 exec, exec, s[52:53]
	s_waitcnt lgkmcnt(0)
	s_barrier
	s_and_saveexec_b64 s[0:1], s[4:5]
	s_cbranch_execz .LBB1904_172
; %bb.171:
	v_add_u32_e32 v2, -1, v0
	v_lshrrev_b32_e32 v3, 5, v2
	v_add_lshl_u32 v2, v3, v2, 3
	ds_read_b32 v62, v2
	ds_read_u8 v63, v2 offset:4
.LBB1904_172:
	s_or_b64 exec, exec, s[0:1]
	s_and_saveexec_b64 s[60:61], vcc
	s_cbranch_execz .LBB1904_191
; %bb.173:
	v_mov_b32_e32 v5, 0
	ds_read_b64 v[2:3], v5 offset:2096
	v_mbcnt_lo_u32_b32 v4, -1, 0
	v_mbcnt_hi_u32_b32 v73, -1, v4
	s_mov_b32 s65, 0
	v_cmp_eq_u32_e64 s[52:53], 0, v73
	s_waitcnt lgkmcnt(0)
	v_readfirstlane_b32 s70, v3
	s_and_saveexec_b64 s[0:1], s[52:53]
	s_cbranch_execz .LBB1904_175
; %bb.174:
	s_add_i32 s64, s75, 64
	s_lshl_b64 s[68:69], s[64:65], 4
	s_add_u32 s68, s72, s68
	s_addc_u32 s69, s73, s69
	s_and_b32 s79, s70, 0xff000000
	s_mov_b32 s78, s65
	s_and_b32 s81, s70, 0xff0000
	s_mov_b32 s80, s65
	s_or_b64 s[78:79], s[80:81], s[78:79]
	s_and_b32 s81, s70, 0xff00
	s_or_b64 s[78:79], s[78:79], s[80:81]
	s_and_b32 s81, s70, 0xff
	s_or_b64 s[64:65], s[78:79], s[80:81]
	v_mov_b32_e32 v3, s65
	v_mov_b32_e32 v4, 1
	v_mov_b64_e32 v[6:7], s[68:69]
	;;#ASMSTART
	global_store_dwordx4 v[6:7], v[2:5] off sc1	
s_waitcnt vmcnt(0)
	;;#ASMEND
.LBB1904_175:
	s_or_b64 exec, exec, s[0:1]
	v_xad_u32 v58, v73, -1, s75
	v_add_u32_e32 v4, 64, v58
	v_lshl_add_u64 v[60:61], v[4:5], 4, s[72:73]
	;;#ASMSTART
	global_load_dwordx4 v[6:9], v[60:61] off sc1	
s_waitcnt vmcnt(0)
	;;#ASMEND
	s_nop 0
	v_and_b32_e32 v3, 0xff0000, v6
	v_and_b32_e32 v4, 0xff000000, v6
	;; [unrolled: 1-line block ×3, first 2 shown]
	v_or_b32_sdwa v3, v6, v3 dst_sel:DWORD dst_unused:UNUSED_PAD src0_sel:WORD_0 src1_sel:DWORD
	v_or3_b32 v7, 0, 0, v7
	v_or3_b32 v6, v3, v4, 0
	v_cmp_eq_u16_sdwa s[64:65], v8, v5 src0_sel:BYTE_0 src1_sel:DWORD
	s_and_saveexec_b64 s[0:1], s[64:65]
	s_cbranch_execz .LBB1904_179
; %bb.176:
	s_mov_b64 s[64:65], 0
	v_mov_b32_e32 v3, 0
.LBB1904_177:                           ; =>This Inner Loop Header: Depth=1
	;;#ASMSTART
	global_load_dwordx4 v[6:9], v[60:61] off sc1	
s_waitcnt vmcnt(0)
	;;#ASMEND
	s_nop 0
	v_cmp_ne_u16_sdwa s[68:69], v8, v3 src0_sel:BYTE_0 src1_sel:DWORD
	s_or_b64 s[64:65], s[68:69], s[64:65]
	s_andn2_b64 exec, exec, s[64:65]
	s_cbranch_execnz .LBB1904_177
; %bb.178:
	s_or_b64 exec, exec, s[64:65]
	v_and_b32_e32 v7, 0xff, v7
.LBB1904_179:
	s_or_b64 exec, exec, s[0:1]
	v_mov_b32_e32 v3, 2
	v_cmp_eq_u16_sdwa s[0:1], v8, v3 src0_sel:BYTE_0 src1_sel:DWORD
	v_lshlrev_b64 v[4:5], v73, -1
	v_and_b32_e32 v64, 63, v73
	v_and_b32_e32 v9, s1, v5
	v_or_b32_e32 v9, 0x80000000, v9
	v_and_b32_e32 v59, s0, v4
	v_ffbl_b32_e32 v9, v9
	v_add_u32_e32 v9, 32, v9
	v_ffbl_b32_e32 v59, v59
	v_cmp_ne_u32_e32 vcc, 63, v64
	v_min_u32_e32 v9, v59, v9
	s_mov_b32 s64, 0
	v_addc_co_u32_e32 v59, vcc, 0, v73, vcc
	v_lshlrev_b32_e32 v65, 2, v59
	ds_bpermute_b32 v59, v65, v7
	ds_bpermute_b32 v60, v65, v6
	v_and_b32_e32 v61, 1, v7
	s_mov_b32 s65, 1
	v_cmp_eq_u32_e32 vcc, 1, v61
	s_waitcnt lgkmcnt(1)
	v_and_b32_e32 v59, 1, v59
	v_cmp_lt_u32_e64 s[0:1], v64, v9
	v_cndmask_b32_e64 v59, v59, 1, vcc
	v_cmp_gt_u64_e32 vcc, s[64:65], v[6:7]
	s_and_b64 vcc, s[0:1], vcc
	v_and_b32_e32 v61, 0xffff, v59
	v_cndmask_b32_e64 v68, v7, v59, s[0:1]
	s_waitcnt lgkmcnt(0)
	v_cndmask_b32_e32 v59, 0, v60, vcc
	v_cmp_gt_u32_e32 vcc, 62, v64
	v_cndmask_b32_e64 v7, v7, v61, s[0:1]
	v_add_u32_e32 v6, v59, v6
	v_cndmask_b32_e64 v60, 0, 1, vcc
	v_lshlrev_b32_e32 v60, 1, v60
	v_add_lshl_u32 v66, v60, v73, 2
	ds_bpermute_b32 v60, v66, v7
	ds_bpermute_b32 v61, v66, v6
	v_and_b32_e32 v59, 1, v68
	v_cmp_eq_u32_e32 vcc, 1, v59
	v_mov_b32_e32 v59, 0
	s_waitcnt lgkmcnt(1)
	v_and_b32_e32 v60, 1, v60
	v_add_u32_e32 v67, 2, v64
	v_cndmask_b32_e64 v60, v60, 1, vcc
	v_cmp_eq_u16_sdwa vcc, v68, v59 src0_sel:BYTE_0 src1_sel:DWORD
	v_and_b32_e32 v69, 0xffff, v60
	v_add_u32_e32 v77, 32, v64
	s_waitcnt lgkmcnt(0)
	v_cndmask_b32_e32 v61, 0, v61, vcc
	v_cmp_gt_u32_e32 vcc, v67, v9
	s_nop 1
	v_cndmask_b32_e32 v60, v60, v68, vcc
	v_cndmask_b32_e64 v61, v61, 0, vcc
	v_cndmask_b32_e32 v7, v69, v7, vcc
	v_cmp_gt_u32_e32 vcc, 60, v64
	v_add_u32_e32 v6, v61, v6
	v_and_b32_e32 v71, 1, v60
	v_cndmask_b32_e64 v68, 0, 1, vcc
	v_lshlrev_b32_e32 v68, 2, v68
	v_add_lshl_u32 v68, v68, v73, 2
	ds_bpermute_b32 v70, v68, v7
	ds_bpermute_b32 v61, v68, v6
	v_cmp_eq_u32_e32 vcc, 1, v71
	v_add_u32_e32 v69, 4, v64
	s_waitcnt lgkmcnt(1)
	v_and_b32_e32 v70, 1, v70
	v_cndmask_b32_e64 v70, v70, 1, vcc
	v_cmp_eq_u16_sdwa vcc, v60, v59 src0_sel:BYTE_0 src1_sel:DWORD
	v_and_b32_e32 v71, 0xffff, v70
	s_waitcnt lgkmcnt(0)
	v_cndmask_b32_e32 v61, 0, v61, vcc
	v_cmp_gt_u32_e32 vcc, v69, v9
	s_nop 1
	v_cndmask_b32_e32 v60, v70, v60, vcc
	v_cndmask_b32_e64 v61, v61, 0, vcc
	v_cndmask_b32_e32 v7, v71, v7, vcc
	v_cmp_gt_u32_e32 vcc, 56, v64
	v_add_u32_e32 v6, v61, v6
	v_and_b32_e32 v74, 1, v60
	v_cndmask_b32_e64 v70, 0, 1, vcc
	v_lshlrev_b32_e32 v70, 3, v70
	v_add_lshl_u32 v70, v70, v73, 2
	ds_bpermute_b32 v72, v70, v7
	ds_bpermute_b32 v61, v70, v6
	v_cmp_eq_u32_e32 vcc, 1, v74
	v_add_u32_e32 v71, 8, v64
	s_waitcnt lgkmcnt(1)
	v_and_b32_e32 v72, 1, v72
	v_cndmask_b32_e64 v72, v72, 1, vcc
	v_cmp_eq_u16_sdwa vcc, v60, v59 src0_sel:BYTE_0 src1_sel:DWORD
	v_and_b32_e32 v74, 0xffff, v72
	;; [unrolled: 22-line block ×3, first 2 shown]
	s_waitcnt lgkmcnt(0)
	v_cndmask_b32_e32 v61, 0, v61, vcc
	v_cmp_gt_u32_e32 vcc, v74, v9
	s_nop 1
	v_cndmask_b32_e32 v60, v75, v60, vcc
	v_cndmask_b32_e64 v61, v61, 0, vcc
	v_cndmask_b32_e32 v7, v76, v7, vcc
	v_cmp_gt_u32_e32 vcc, 32, v64
	v_add_u32_e32 v6, v61, v6
	s_nop 0
	v_cndmask_b32_e64 v75, 0, 1, vcc
	v_lshlrev_b32_e32 v75, 5, v75
	v_add_lshl_u32 v76, v75, v73, 2
	ds_bpermute_b32 v7, v76, v7
	ds_bpermute_b32 v61, v76, v6
	v_and_b32_e32 v73, 1, v60
	v_cmp_eq_u32_e32 vcc, 1, v73
	s_waitcnt lgkmcnt(1)
	v_and_b32_e32 v7, 1, v7
	v_cndmask_b32_e64 v7, v7, 1, vcc
	v_cmp_eq_u16_sdwa vcc, v60, v59 src0_sel:BYTE_0 src1_sel:DWORD
	s_waitcnt lgkmcnt(0)
	s_nop 0
	v_cndmask_b32_e32 v61, 0, v61, vcc
	v_cmp_gt_u32_e32 vcc, v77, v9
	s_nop 1
	v_cndmask_b32_e64 v9, v61, 0, vcc
	v_cndmask_b32_e32 v7, v7, v60, vcc
	v_add_u32_e32 v6, v9, v6
	s_branch .LBB1904_181
.LBB1904_180:                           ;   in Loop: Header=BB1904_181 Depth=1
	s_or_b64 exec, exec, s[0:1]
	v_cmp_eq_u16_sdwa s[0:1], v8, v3 src0_sel:BYTE_0 src1_sel:DWORD
	ds_bpermute_b32 v61, v65, v7
	v_and_b32_e32 v78, 1, v7
	v_and_b32_e32 v9, s1, v5
	v_or_b32_e32 v9, 0x80000000, v9
	v_and_b32_e32 v60, s0, v4
	v_ffbl_b32_e32 v9, v9
	v_add_u32_e32 v9, 32, v9
	v_ffbl_b32_e32 v60, v60
	v_min_u32_e32 v9, v60, v9
	ds_bpermute_b32 v60, v65, v6
	s_waitcnt lgkmcnt(1)
	v_and_b32_e32 v61, 1, v61
	v_cmp_eq_u32_e32 vcc, 1, v78
	v_cmp_lt_u32_e64 s[0:1], v64, v9
	v_subrev_u32_e32 v58, 64, v58
	v_cndmask_b32_e64 v61, v61, 1, vcc
	v_cmp_gt_u64_e32 vcc, s[64:65], v[6:7]
	v_and_b32_e32 v78, 0xffff, v61
	v_cndmask_b32_e64 v61, v7, v61, s[0:1]
	v_cndmask_b32_e64 v7, v7, v78, s[0:1]
	s_and_b64 vcc, s[0:1], vcc
	ds_bpermute_b32 v78, v66, v7
	s_waitcnt lgkmcnt(1)
	v_cndmask_b32_e32 v60, 0, v60, vcc
	v_add_u32_e32 v6, v60, v6
	ds_bpermute_b32 v60, v66, v6
	v_and_b32_e32 v79, 1, v61
	s_waitcnt lgkmcnt(1)
	v_and_b32_e32 v78, 1, v78
	v_cmp_eq_u32_e32 vcc, 1, v79
	s_nop 1
	v_cndmask_b32_e64 v78, v78, 1, vcc
	v_cmp_eq_u16_sdwa vcc, v61, v59 src0_sel:BYTE_0 src1_sel:DWORD
	v_and_b32_e32 v79, 0xffff, v78
	s_waitcnt lgkmcnt(0)
	v_cndmask_b32_e32 v60, 0, v60, vcc
	v_cmp_gt_u32_e32 vcc, v67, v9
	s_nop 1
	v_cndmask_b32_e32 v7, v79, v7, vcc
	v_cndmask_b32_e32 v61, v78, v61, vcc
	ds_bpermute_b32 v78, v68, v7
	v_cndmask_b32_e64 v60, v60, 0, vcc
	v_add_u32_e32 v6, v60, v6
	ds_bpermute_b32 v60, v68, v6
	v_and_b32_e32 v79, 1, v61
	s_waitcnt lgkmcnt(1)
	v_and_b32_e32 v78, 1, v78
	v_cmp_eq_u32_e32 vcc, 1, v79
	s_nop 1
	v_cndmask_b32_e64 v78, v78, 1, vcc
	v_cmp_eq_u16_sdwa vcc, v61, v59 src0_sel:BYTE_0 src1_sel:DWORD
	v_and_b32_e32 v79, 0xffff, v78
	s_waitcnt lgkmcnt(0)
	v_cndmask_b32_e32 v60, 0, v60, vcc
	v_cmp_gt_u32_e32 vcc, v69, v9
	s_nop 1
	v_cndmask_b32_e32 v7, v79, v7, vcc
	v_cndmask_b32_e32 v61, v78, v61, vcc
	ds_bpermute_b32 v78, v70, v7
	v_cndmask_b32_e64 v60, v60, 0, vcc
	;; [unrolled: 18-line block ×3, first 2 shown]
	v_add_u32_e32 v6, v60, v6
	ds_bpermute_b32 v60, v72, v6
	v_and_b32_e32 v79, 1, v61
	s_waitcnt lgkmcnt(1)
	v_and_b32_e32 v78, 1, v78
	v_cmp_eq_u32_e32 vcc, 1, v79
	s_nop 1
	v_cndmask_b32_e64 v78, v78, 1, vcc
	v_cmp_eq_u16_sdwa vcc, v61, v59 src0_sel:BYTE_0 src1_sel:DWORD
	v_and_b32_e32 v79, 0xffff, v78
	s_waitcnt lgkmcnt(0)
	v_cndmask_b32_e32 v60, 0, v60, vcc
	v_cmp_gt_u32_e32 vcc, v74, v9
	s_nop 1
	v_cndmask_b32_e64 v60, v60, 0, vcc
	v_cndmask_b32_e32 v7, v79, v7, vcc
	ds_bpermute_b32 v7, v76, v7
	v_add_u32_e32 v6, v60, v6
	ds_bpermute_b32 v60, v76, v6
	v_cndmask_b32_e32 v61, v78, v61, vcc
	v_and_b32_e32 v78, 1, v61
	v_cmp_eq_u32_e32 vcc, 1, v78
	s_waitcnt lgkmcnt(1)
	s_nop 0
	v_cndmask_b32_e64 v7, v7, 1, vcc
	v_cmp_eq_u16_sdwa vcc, v61, v59 src0_sel:BYTE_0 src1_sel:DWORD
	s_waitcnt lgkmcnt(0)
	s_nop 0
	v_cndmask_b32_e32 v60, 0, v60, vcc
	v_cmp_gt_u32_e32 vcc, v77, v9
	s_nop 1
	v_cndmask_b32_e64 v9, v60, 0, vcc
	v_cndmask_b32_e32 v7, v7, v61, vcc
	v_add_u32_e32 v6, v9, v6
	v_cmp_eq_u16_sdwa vcc, v73, v59 src0_sel:BYTE_0 src1_sel:DWORD
	v_and_b32_e32 v9, 1, v73
	v_and_b32_e32 v7, 1, v7
	v_cndmask_b32_e32 v6, 0, v6, vcc
	v_cmp_eq_u32_e32 vcc, 1, v9
	v_add_u32_e32 v6, v6, v75
	s_nop 0
	v_cndmask_b32_e64 v7, v7, 1, vcc
.LBB1904_181:                           ; =>This Loop Header: Depth=1
                                        ;     Child Loop BB1904_184 Depth 2
	v_cmp_ne_u16_sdwa s[0:1], v8, v3 src0_sel:BYTE_0 src1_sel:DWORD
	v_mov_b32_e32 v73, v7
	v_mov_b32_e32 v75, v6
	v_cndmask_b32_e64 v7, 0, 1, s[0:1]
	;;#ASMSTART
	;;#ASMEND
	s_nop 0
	v_cmp_ne_u32_e32 vcc, 0, v7
	s_cmp_lg_u64 vcc, exec
	s_cbranch_scc1 .LBB1904_186
; %bb.182:                              ;   in Loop: Header=BB1904_181 Depth=1
	v_lshl_add_u64 v[60:61], v[58:59], 4, s[72:73]
	;;#ASMSTART
	global_load_dwordx4 v[6:9], v[60:61] off sc1	
s_waitcnt vmcnt(0)
	;;#ASMEND
	s_nop 0
	v_and_b32_e32 v9, 0xff0000, v6
	v_and_b32_e32 v78, 0xff000000, v6
	v_and_b32_e32 v7, 0xff, v7
	v_or_b32_sdwa v6, v6, v9 dst_sel:DWORD dst_unused:UNUSED_PAD src0_sel:WORD_0 src1_sel:DWORD
	v_or3_b32 v7, 0, 0, v7
	v_or3_b32 v6, v6, v78, 0
	v_cmp_eq_u16_sdwa s[68:69], v8, v59 src0_sel:BYTE_0 src1_sel:DWORD
	s_and_saveexec_b64 s[0:1], s[68:69]
	s_cbranch_execz .LBB1904_180
; %bb.183:                              ;   in Loop: Header=BB1904_181 Depth=1
	s_mov_b64 s[68:69], 0
.LBB1904_184:                           ;   Parent Loop BB1904_181 Depth=1
                                        ; =>  This Inner Loop Header: Depth=2
	;;#ASMSTART
	global_load_dwordx4 v[6:9], v[60:61] off sc1	
s_waitcnt vmcnt(0)
	;;#ASMEND
	s_nop 0
	v_cmp_ne_u16_sdwa s[78:79], v8, v59 src0_sel:BYTE_0 src1_sel:DWORD
	s_or_b64 s[68:69], s[78:79], s[68:69]
	s_andn2_b64 exec, exec, s[68:69]
	s_cbranch_execnz .LBB1904_184
; %bb.185:                              ;   in Loop: Header=BB1904_181 Depth=1
	s_or_b64 exec, exec, s[68:69]
	v_and_b32_e32 v7, 0xff, v7
	s_branch .LBB1904_180
.LBB1904_186:                           ;   in Loop: Header=BB1904_181 Depth=1
                                        ; implicit-def: $vgpr7
                                        ; implicit-def: $vgpr6
                                        ; implicit-def: $vgpr8
	s_cbranch_execz .LBB1904_181
; %bb.187:
	s_and_saveexec_b64 s[0:1], s[52:53]
	s_cbranch_execz .LBB1904_189
; %bb.188:
	s_and_b32 s52, s70, 0xff
	s_cmp_eq_u32 s52, 0
	s_cselect_b64 vcc, -1, 0
	s_bitcmp1_b32 s70, 0
	s_mov_b32 s53, 0
	s_cselect_b64 s[64:65], -1, 0
	s_add_i32 s52, s75, 64
	s_lshl_b64 s[52:53], s[52:53], 4
	v_cndmask_b32_e32 v3, 0, v75, vcc
	s_add_u32 s52, s72, s52
	v_add_u32_e32 v2, v3, v2
	v_and_b32_e32 v3, 1, v73
	s_addc_u32 s53, s73, s53
	v_mov_b32_e32 v5, 0
	v_cndmask_b32_e64 v3, v3, 1, s[64:65]
	v_mov_b32_e32 v4, 2
	v_mov_b64_e32 v[6:7], s[52:53]
	;;#ASMSTART
	global_store_dwordx4 v[6:7], v[2:5] off sc1	
s_waitcnt vmcnt(0)
	;;#ASMEND
.LBB1904_189:
	s_or_b64 exec, exec, s[0:1]
	s_and_b64 exec, exec, s[54:55]
	s_cbranch_execz .LBB1904_191
; %bb.190:
	v_mov_b32_e32 v2, 0
	ds_write_b32 v2, v75
	ds_write_b8 v2, v73 offset:4
.LBB1904_191:
	s_or_b64 exec, exec, s[60:61]
	s_mov_b32 s0, 0
	v_mov_b32_e32 v2, 0
	s_mov_b32 s1, 1
	s_waitcnt lgkmcnt(0)
	s_barrier
	ds_read_b32 v3, v2
	v_cmp_gt_u64_e32 vcc, s[0:1], v[10:11]
	v_and_b32_e32 v5, 1, v11
	v_and_b32_e32 v6, 1, v63
	v_cndmask_b32_e32 v4, 0, v62, vcc
	v_cmp_eq_u32_e32 vcc, 1, v5
	v_cndmask_b32_e64 v4, v4, 0, s[54:55]
	s_nop 0
	v_cndmask_b32_e64 v5, v6, 1, vcc
	v_cndmask_b32_e64 v5, v5, v11, s[54:55]
	v_cmp_eq_u16_sdwa vcc, v5, v2 src0_sel:BYTE_0 src1_sel:DWORD
	s_waitcnt lgkmcnt(0)
	s_nop 0
	v_cndmask_b32_e32 v2, 0, v3, vcc
	v_add3_u32 v80, v4, v10, v2
	v_cndmask_b32_e64 v2, 0, v80, s[6:7]
	v_add_u32_e32 v58, v2, v12
	v_cndmask_b32_e64 v2, 0, v58, s[8:9]
	v_add_u32_e32 v59, v2, v14
	;; [unrolled: 2-line block ×22, first 2 shown]
	s_branch .LBB1904_212
.LBB1904_192:
                                        ; implicit-def: $vgpr78
                                        ; implicit-def: $vgpr77
                                        ; implicit-def: $vgpr76
                                        ; implicit-def: $vgpr75
                                        ; implicit-def: $vgpr74
                                        ; implicit-def: $vgpr73
                                        ; implicit-def: $vgpr72
                                        ; implicit-def: $vgpr71
                                        ; implicit-def: $vgpr70
                                        ; implicit-def: $vgpr69
                                        ; implicit-def: $vgpr68
                                        ; implicit-def: $vgpr67
                                        ; implicit-def: $vgpr66
                                        ; implicit-def: $vgpr65
                                        ; implicit-def: $vgpr64
                                        ; implicit-def: $vgpr63
                                        ; implicit-def: $vgpr62
                                        ; implicit-def: $vgpr61
                                        ; implicit-def: $vgpr60
                                        ; implicit-def: $vgpr59
                                        ; implicit-def: $vgpr58
                                        ; implicit-def: $vgpr80
                                        ; implicit-def: $vgpr79
	s_cbranch_execz .LBB1904_212
; %bb.193:
	s_cmp_lg_u64 s[76:77], 0
	s_cselect_b32 s9, s67, 0
	s_cselect_b32 s8, s66, 0
	s_cmp_lg_u64 s[8:9], 0
	s_cselect_b64 s[6:7], -1, 0
	s_mov_b32 s0, 0
	s_and_b64 s[10:11], s[54:55], s[6:7]
	s_and_saveexec_b64 s[6:7], s[10:11]
	s_cbranch_execz .LBB1904_195
; %bb.194:
	v_mov_b32_e32 v2, 0
	global_load_dword v4, v2, s[8:9]
	global_load_ubyte v5, v2, s[8:9] offset:4
	s_mov_b32 s1, 1
	v_and_b32_e32 v3, 1, v11
	v_cmp_gt_u64_e32 vcc, s[0:1], v[10:11]
	s_waitcnt vmcnt(0)
	v_and_b32_e32 v5, 1, v5
	v_cndmask_b32_e32 v4, 0, v4, vcc
	v_cmp_eq_u64_e32 vcc, 0, v[2:3]
	v_add_u32_e32 v10, v4, v10
	s_nop 0
	v_cndmask_b32_e32 v11, 1, v5, vcc
.LBB1904_195:
	s_or_b64 exec, exec, s[6:7]
	s_mov_b32 s1, 1
	v_cmp_gt_u64_e32 vcc, s[0:1], v[12:13]
	v_cmp_gt_u64_e64 s[6:7], s[0:1], v[14:15]
	v_cmp_gt_u64_e64 s[8:9], s[0:1], v[16:17]
	v_cndmask_b32_e32 v2, 0, v10, vcc
	v_add_u32_e32 v58, v2, v12
	v_cndmask_b32_e64 v2, 0, v58, s[6:7]
	v_add_u32_e32 v59, v2, v14
	v_cndmask_b32_e64 v2, 0, v59, s[8:9]
	v_add_u32_e32 v60, v2, v16
	v_cmp_gt_u64_e64 s[10:11], s[0:1], v[18:19]
	v_cmp_gt_u64_e64 s[12:13], s[0:1], v[20:21]
	v_cmp_gt_u64_e64 s[14:15], s[0:1], v[22:23]
	v_cndmask_b32_e64 v2, 0, v60, s[10:11]
	v_add_u32_e32 v61, v2, v18
	v_cndmask_b32_e64 v2, 0, v61, s[12:13]
	v_add_u32_e32 v62, v2, v20
	v_cndmask_b32_e64 v2, 0, v62, s[14:15]
	v_add_u32_e32 v63, v2, v22
	v_cmp_gt_u64_e64 s[16:17], s[0:1], v[24:25]
	v_cmp_gt_u64_e64 s[18:19], s[0:1], v[26:27]
	v_cmp_gt_u64_e64 s[20:21], s[0:1], v[28:29]
	v_cndmask_b32_e64 v2, 0, v63, s[16:17]
	;; [unrolled: 9-line block ×6, first 2 shown]
	v_add_u32_e32 v76, v2, v48
	v_cndmask_b32_e64 v2, 0, v76, s[44:45]
	v_add_u32_e32 v77, v2, v50
	v_cndmask_b32_e64 v2, 0, v77, s[46:47]
	v_add_u32_e32 v78, v2, v54
	v_cmp_gt_u64_e64 s[48:49], s[0:1], v[56:57]
	v_add_lshl_u32 v1, v1, v0, 3
	s_nop 0
	v_cndmask_b32_e64 v2, 0, v78, s[48:49]
	v_add_u32_e32 v79, v2, v56
	v_or3_b32 v2, v53, v51, v49
	v_or3_b32 v2, v2, v47, v45
	;; [unrolled: 1-line block ×10, first 2 shown]
	v_and_b32_e32 v2, 1, v2
	v_cmp_eq_u32_e64 s[0:1], 1, v2
	s_nop 1
	v_cndmask_b32_e64 v4, v11, 1, s[0:1]
	v_cmp_gt_u32_e64 s[0:1], 64, v0
	ds_write_b32 v1, v79
	ds_write_b8 v1, v4 offset:4
	s_waitcnt lgkmcnt(0)
	s_barrier
	s_and_saveexec_b64 s[50:51], s[0:1]
	s_cbranch_execz .LBB1904_207
; %bb.196:
	v_lshrrev_b32_e32 v1, 3, v0
	v_add_lshl_u32 v1, v1, v52, 3
	ds_read2_b32 v[6:7], v1 offset0:2 offset1:4
	ds_read_b64 v[2:3], v1
	ds_read_u8 v8, v1 offset:12
	ds_read_u8 v9, v1 offset:20
	ds_read_b32 v13, v1 offset:24
	ds_read_u8 v15, v1 offset:28
	v_mov_b32_e32 v17, 0
	s_waitcnt lgkmcnt(3)
	v_cmp_eq_u16_sdwa s[0:1], v8, v17 src0_sel:BYTE_0 src1_sel:DWORD
	v_and_b32_e32 v5, 1, v3
	s_nop 0
	v_cndmask_b32_e64 v19, 0, v2, s[0:1]
	v_add_u32_e32 v6, v19, v6
	s_waitcnt lgkmcnt(2)
	v_cmp_eq_u16_sdwa s[0:1], v9, v17 src0_sel:BYTE_0 src1_sel:DWORD
	s_nop 1
	v_cndmask_b32_e64 v6, 0, v6, s[0:1]
	v_add_u32_e32 v6, v6, v7
	s_waitcnt lgkmcnt(0)
	v_cmp_eq_u16_e64 s[0:1], 0, v15
	s_nop 1
	v_cndmask_b32_e64 v6, 0, v6, s[0:1]
	v_add_u32_e32 v7, v6, v13
	v_or_b32_e32 v6, v15, v9
	v_or_b32_e32 v6, v6, v8
	v_and_b32_e32 v6, 1, v6
	v_cmp_eq_u32_e64 s[0:1], 1, v6
	v_mbcnt_lo_u32_b32 v8, -1, 0
	v_and_b32_e32 v6, 0xffffff00, v3
	v_cndmask_b32_e64 v9, v5, 1, s[0:1]
	v_mbcnt_hi_u32_b32 v8, -1, v8
	v_and_b32_e32 v15, 15, v8
	v_or_b32_sdwa v13, v6, v9 dst_sel:DWORD dst_unused:UNUSED_PAD src0_sel:DWORD src1_sel:WORD_0
	v_mov_b32_dpp v17, v7 row_shr:1 row_mask:0xf bank_mask:0xf
	v_cmp_ne_u32_e64 s[0:1], 0, v15
	v_mov_b32_dpp v19, v13 row_shr:1 row_mask:0xf bank_mask:0xf
	s_and_saveexec_b64 s[52:53], s[0:1]
; %bb.197:
	v_and_b32_e32 v13, 1, v9
	v_and_b32_e32 v19, 1, v19
	v_cmp_eq_u32_e64 s[0:1], 1, v13
	s_nop 1
	v_cndmask_b32_e64 v19, v19, 1, s[0:1]
	v_cmp_eq_u16_e64 s[0:1], 0, v9
	v_or_b32_sdwa v13, v6, v19 dst_sel:DWORD dst_unused:UNUSED_PAD src0_sel:DWORD src1_sel:WORD_0
	s_nop 0
	v_cndmask_b32_e64 v9, 0, v17, s[0:1]
	v_add_u32_e32 v7, v9, v7
	v_mov_b32_e32 v9, v19
; %bb.198:
	s_or_b64 exec, exec, s[52:53]
	v_mov_b32_dpp v17, v7 row_shr:2 row_mask:0xf bank_mask:0xf
	v_mov_b32_dpp v19, v13 row_shr:2 row_mask:0xf bank_mask:0xf
	v_cmp_lt_u32_e64 s[0:1], 1, v15
	s_and_saveexec_b64 s[52:53], s[0:1]
; %bb.199:
	v_and_b32_e32 v13, 1, v9
	v_and_b32_e32 v19, 1, v19
	v_cmp_eq_u32_e64 s[0:1], 1, v13
	s_nop 1
	v_cndmask_b32_e64 v19, v19, 1, s[0:1]
	v_cmp_eq_u16_e64 s[0:1], 0, v9
	v_or_b32_sdwa v13, v6, v19 dst_sel:DWORD dst_unused:UNUSED_PAD src0_sel:DWORD src1_sel:WORD_0
	s_nop 0
	v_cndmask_b32_e64 v9, 0, v17, s[0:1]
	v_add_u32_e32 v7, v9, v7
	v_mov_b32_e32 v9, v19
; %bb.200:
	s_or_b64 exec, exec, s[52:53]
	v_mov_b32_dpp v17, v7 row_shr:4 row_mask:0xf bank_mask:0xf
	v_mov_b32_dpp v19, v13 row_shr:4 row_mask:0xf bank_mask:0xf
	v_cmp_lt_u32_e64 s[0:1], 3, v15
	s_and_saveexec_b64 s[52:53], s[0:1]
; %bb.201:
	v_and_b32_e32 v13, 1, v9
	v_and_b32_e32 v19, 1, v19
	v_cmp_eq_u32_e64 s[0:1], 1, v13
	s_nop 1
	v_cndmask_b32_e64 v19, v19, 1, s[0:1]
	v_cmp_eq_u16_e64 s[0:1], 0, v9
	v_or_b32_sdwa v13, v6, v19 dst_sel:DWORD dst_unused:UNUSED_PAD src0_sel:DWORD src1_sel:WORD_0
	s_nop 0
	v_cndmask_b32_e64 v9, 0, v17, s[0:1]
	v_add_u32_e32 v7, v9, v7
	v_mov_b32_e32 v9, v19
; %bb.202:
	s_or_b64 exec, exec, s[52:53]
	v_mov_b32_dpp v17, v7 row_shr:8 row_mask:0xf bank_mask:0xf
	v_mov_b32_dpp v19, v13 row_shr:8 row_mask:0xf bank_mask:0xf
	v_cmp_lt_u32_e64 s[0:1], 7, v15
	s_and_saveexec_b64 s[52:53], s[0:1]
; %bb.203:
	v_and_b32_e32 v13, 1, v9
	v_and_b32_e32 v15, 1, v19
	v_cmp_eq_u32_e64 s[0:1], 1, v13
	s_nop 1
	v_cndmask_b32_e64 v15, v15, 1, s[0:1]
	v_cmp_eq_u16_e64 s[0:1], 0, v9
	v_or_b32_sdwa v13, v6, v15 dst_sel:DWORD dst_unused:UNUSED_PAD src0_sel:DWORD src1_sel:WORD_0
	s_nop 0
	v_cndmask_b32_e64 v9, 0, v17, s[0:1]
	v_add_u32_e32 v7, v9, v7
	v_mov_b32_e32 v9, v15
; %bb.204:
	s_or_b64 exec, exec, s[52:53]
	v_and_b32_e32 v19, 16, v8
	v_mov_b32_dpp v15, v7 row_bcast:15 row_mask:0xf bank_mask:0xf
	v_mov_b32_dpp v17, v13 row_bcast:15 row_mask:0xf bank_mask:0xf
	v_cmp_ne_u32_e64 s[0:1], 0, v19
	s_and_saveexec_b64 s[52:53], s[0:1]
; %bb.205:
	v_and_b32_e32 v13, 1, v9
	v_and_b32_e32 v17, 1, v17
	v_cmp_eq_u32_e64 s[0:1], 1, v13
	s_nop 1
	v_cndmask_b32_e64 v17, v17, 1, s[0:1]
	v_cmp_eq_u16_e64 s[0:1], 0, v9
	v_or_b32_sdwa v13, v6, v17 dst_sel:DWORD dst_unused:UNUSED_PAD src0_sel:DWORD src1_sel:WORD_0
	s_nop 0
	v_cndmask_b32_e64 v9, 0, v15, s[0:1]
	v_add_u32_e32 v7, v9, v7
	v_mov_b32_e32 v9, v17
; %bb.206:
	s_or_b64 exec, exec, s[52:53]
	v_mov_b32_dpp v13, v13 row_bcast:31 row_mask:0xf bank_mask:0xf
	v_and_b32_e32 v17, 1, v9
	v_and_b32_e32 v13, 1, v13
	v_cmp_eq_u32_e64 s[0:1], 1, v17
	v_mov_b32_e32 v17, 0
	v_cmp_eq_u16_sdwa s[52:53], v9, v17 src0_sel:BYTE_0 src1_sel:DWORD
	v_cndmask_b32_e64 v13, v13, 1, s[0:1]
	v_cmp_lt_u32_e64 s[0:1], 31, v8
	v_mov_b32_dpp v15, v7 row_bcast:31 row_mask:0xf bank_mask:0xf
	s_movk_i32 s60, 0xff
	v_cndmask_b32_e64 v9, v9, v13, s[0:1]
	s_and_b64 s[0:1], s[0:1], s[52:53]
	v_cndmask_b32_e64 v13, 0, v15, s[0:1]
	v_add_u32_e32 v7, v13, v7
	v_add_u32_e32 v13, -1, v8
	v_and_b32_e32 v15, 64, v8
	v_cmp_lt_i32_e64 s[0:1], v13, v15
	v_and_or_b32 v6, v9, s60, v6
	s_nop 0
	v_cndmask_b32_e64 v8, v13, v8, s[0:1]
	v_lshlrev_b32_e32 v8, 2, v8
	ds_bpermute_b32 v7, v8, v7
	ds_bpermute_b32 v6, v8, v6
	v_cmp_eq_u16_sdwa s[0:1], v3, v17 src0_sel:BYTE_0 src1_sel:DWORD
	; wave barrier
	s_waitcnt lgkmcnt(1)
	s_nop 0
	v_cndmask_b32_e64 v3, 0, v7, s[0:1]
	v_add_u32_e32 v2, v3, v2
	s_waitcnt lgkmcnt(0)
	v_and_b32_e32 v3, 1, v6
	v_cmp_eq_u32_e64 s[0:1], 1, v5
	v_cndmask_b32_e64 v5, v2, v79, s[54:55]
	s_nop 0
	v_cndmask_b32_e64 v3, v3, 1, s[0:1]
	v_cndmask_b32_e64 v4, v3, v4, s[54:55]
	ds_write_b32 v1, v5
	ds_write_b8 v1, v4 offset:4
	; wave barrier
	ds_read_u8 v6, v1 offset:12
	ds_read2_b32 v[2:3], v1 offset0:2 offset1:4
	ds_read_u8 v7, v1 offset:20
	ds_read_b32 v8, v1 offset:24
	ds_read_u8 v9, v1 offset:28
	s_waitcnt lgkmcnt(4)
	v_cmp_eq_u16_e64 s[0:1], 0, v6
	s_nop 1
	v_cndmask_b32_e64 v5, 0, v5, s[0:1]
	s_waitcnt lgkmcnt(3)
	v_add_u32_e32 v2, v5, v2
	v_and_b32_e32 v5, 1, v6
	v_cmp_eq_u32_e64 s[0:1], 1, v5
	s_nop 1
	v_cndmask_b32_e64 v4, v4, 1, s[0:1]
	s_waitcnt lgkmcnt(2)
	v_cmp_eq_u16_e64 s[0:1], 0, v7
	ds_write_b8 v1, v4 offset:12
	s_nop 0
	v_cndmask_b32_e64 v5, 0, v2, s[0:1]
	v_add_u32_e32 v3, v5, v3
	v_and_b32_e32 v5, 1, v7
	v_cmp_eq_u32_e64 s[0:1], 1, v5
	s_nop 1
	v_cndmask_b32_e64 v4, v4, 1, s[0:1]
	s_waitcnt lgkmcnt(1)
	v_cmp_eq_u16_e64 s[0:1], 0, v9
	ds_write2_b32 v1, v2, v3 offset0:2 offset1:4
	ds_write_b8 v1, v4 offset:20
	v_cndmask_b32_e64 v2, 0, v3, s[0:1]
	v_and_b32_e32 v3, 1, v9
	v_add_u32_e32 v2, v2, v8
	v_cmp_eq_u32_e64 s[0:1], 1, v3
	s_nop 1
	v_cndmask_b32_e64 v3, v4, 1, s[0:1]
	ds_write_b32 v1, v2 offset:24
	ds_write_b8 v1, v3 offset:28
.LBB1904_207:
	s_or_b64 exec, exec, s[50:51]
	v_mov_b32_e32 v1, v79
	s_waitcnt lgkmcnt(0)
	s_barrier
	s_and_saveexec_b64 s[0:1], s[4:5]
	s_cbranch_execnz .LBB1904_307
; %bb.208:
	s_or_b64 exec, exec, s[0:1]
	s_and_saveexec_b64 s[50:51], s[4:5]
	s_cbranch_execnz .LBB1904_308
.LBB1904_209:
	s_or_b64 exec, exec, s[50:51]
	s_and_saveexec_b64 s[0:1], s[54:55]
	s_cbranch_execz .LBB1904_211
.LBB1904_210:
	v_mov_b32_e32 v5, 0
	ds_read_b32 v2, v5 offset:2096
	ds_read_u8 v3, v5 offset:2100
	s_add_u32 s4, s72, 0x400
	s_addc_u32 s5, s73, 0
	v_mov_b32_e32 v4, 2
	v_mov_b64_e32 v[6:7], s[4:5]
	s_waitcnt lgkmcnt(0)
	;;#ASMSTART
	global_store_dwordx4 v[6:7], v[2:5] off sc1	
s_waitcnt vmcnt(0)
	;;#ASMEND
.LBB1904_211:
	s_or_b64 exec, exec, s[0:1]
	v_mov_b32_e32 v80, v10
.LBB1904_212:
	s_add_u32 s0, s62, s58
	s_addc_u32 s1, s63, s59
	s_add_u32 s4, s0, s56
	s_addc_u32 s5, s1, s57
	s_and_b64 vcc, exec, s[2:3]
	s_cbranch_vccz .LBB1904_300
; %bb.213:
	s_add_i32 s33, s33, s74
	s_waitcnt lgkmcnt(0)
	v_mul_u32_u24_e32 v1, 23, v0
	v_cmp_gt_u32_e32 vcc, s33, v1
	v_mov_b32_e32 v53, 0
	v_mov_b32_e32 v9, 0
	;; [unrolled: 1-line block ×24, first 2 shown]
	s_and_saveexec_b64 s[2:3], vcc
	s_cbranch_execz .LBB1904_255
; %bb.214:
	v_add_u32_e32 v2, 1, v1
	v_cmp_gt_u32_e32 vcc, s33, v2
	v_mov_b32_e32 v2, 0
	v_mov_b32_e32 v3, 0
	;; [unrolled: 1-line block ×22, first 2 shown]
	s_and_saveexec_b64 s[6:7], vcc
	s_cbranch_execz .LBB1904_254
; %bb.215:
	v_add_u32_e32 v2, 2, v1
	v_cmp_gt_u32_e32 vcc, s33, v2
	v_mov_b32_e32 v2, 0
	v_mov_b32_e32 v3, 0
	;; [unrolled: 1-line block ×21, first 2 shown]
	s_and_saveexec_b64 s[8:9], vcc
	s_cbranch_execz .LBB1904_253
; %bb.216:
	v_add_u32_e32 v2, 3, v1
	v_cmp_gt_u32_e32 vcc, s33, v2
	v_mov_b32_e32 v2, 0
	v_mov_b32_e32 v3, 0
	;; [unrolled: 1-line block ×20, first 2 shown]
	s_and_saveexec_b64 s[10:11], vcc
	s_cbranch_execz .LBB1904_252
; %bb.217:
	v_add_u32_e32 v2, 4, v1
	v_cmp_gt_u32_e32 vcc, s33, v2
	v_mov_b32_e32 v2, 0
	v_mov_b32_e32 v3, 0
	;; [unrolled: 1-line block ×19, first 2 shown]
	s_and_saveexec_b64 s[12:13], vcc
	s_cbranch_execz .LBB1904_251
; %bb.218:
	v_add_u32_e32 v2, 5, v1
	v_cmp_gt_u32_e32 vcc, s33, v2
	v_mov_b32_e32 v2, 0
	v_mov_b32_e32 v3, 0
	v_mov_b32_e32 v4, 0
	v_mov_b32_e32 v5, 0
	v_mov_b32_e32 v6, 0
	v_mov_b32_e32 v7, 0
	v_mov_b32_e32 v8, 0
	v_mov_b32_e32 v10, 0
	v_mov_b32_e32 v11, 0
	v_mov_b32_e32 v12, 0
	v_mov_b32_e32 v13, 0
	v_mov_b32_e32 v14, 0
	v_mov_b32_e32 v15, 0
	v_mov_b32_e32 v16, 0
	v_mov_b32_e32 v17, 0
	v_mov_b32_e32 v18, 0
	v_mov_b32_e32 v19, 0
	v_mov_b32_e32 v9, 0
	s_and_saveexec_b64 s[14:15], vcc
	s_cbranch_execz .LBB1904_250
; %bb.219:
	v_add_u32_e32 v2, 6, v1
	v_cmp_gt_u32_e32 vcc, s33, v2
	v_mov_b32_e32 v2, 0
	v_mov_b32_e32 v3, 0
	;; [unrolled: 1-line block ×17, first 2 shown]
	s_and_saveexec_b64 s[16:17], vcc
	s_cbranch_execz .LBB1904_249
; %bb.220:
	v_add_u32_e32 v2, 7, v1
	v_cmp_gt_u32_e32 vcc, s33, v2
	v_mov_b32_e32 v2, 0
	v_mov_b32_e32 v3, 0
	;; [unrolled: 1-line block ×16, first 2 shown]
	s_and_saveexec_b64 s[18:19], vcc
	s_cbranch_execz .LBB1904_248
; %bb.221:
	v_add_u32_e32 v2, 8, v1
	v_cmp_gt_u32_e32 vcc, s33, v2
	v_mov_b32_e32 v2, 0
	v_mov_b32_e32 v3, 0
	;; [unrolled: 1-line block ×15, first 2 shown]
	s_and_saveexec_b64 s[20:21], vcc
	s_cbranch_execz .LBB1904_247
; %bb.222:
	v_add_u32_e32 v2, 9, v1
	v_cmp_gt_u32_e32 vcc, s33, v2
	v_mov_b32_e32 v2, 0
	v_mov_b32_e32 v3, 0
	v_mov_b32_e32 v4, 0
	v_mov_b32_e32 v5, 0
	v_mov_b32_e32 v6, 0
	v_mov_b32_e32 v7, 0
	v_mov_b32_e32 v8, 0
	v_mov_b32_e32 v10, 0
	v_mov_b32_e32 v11, 0
	v_mov_b32_e32 v12, 0
	v_mov_b32_e32 v13, 0
	v_mov_b32_e32 v14, 0
	v_mov_b32_e32 v15, 0
	v_mov_b32_e32 v9, 0
	s_and_saveexec_b64 s[22:23], vcc
	s_cbranch_execz .LBB1904_246
; %bb.223:
	v_add_u32_e32 v2, 10, v1
	v_cmp_gt_u32_e32 vcc, s33, v2
	v_mov_b32_e32 v2, 0
	v_mov_b32_e32 v3, 0
	;; [unrolled: 1-line block ×13, first 2 shown]
	s_and_saveexec_b64 s[24:25], vcc
	s_cbranch_execz .LBB1904_245
; %bb.224:
	v_add_u32_e32 v2, 11, v1
	v_cmp_gt_u32_e32 vcc, s33, v2
	v_mov_b32_e32 v2, 0
	v_mov_b32_e32 v3, 0
	;; [unrolled: 1-line block ×12, first 2 shown]
	s_and_saveexec_b64 s[26:27], vcc
	s_cbranch_execz .LBB1904_244
; %bb.225:
	v_add_u32_e32 v2, 12, v1
	v_cmp_gt_u32_e32 vcc, s33, v2
	v_mov_b32_e32 v2, 0
	v_mov_b32_e32 v3, 0
	;; [unrolled: 1-line block ×11, first 2 shown]
	s_and_saveexec_b64 s[28:29], vcc
	s_cbranch_execz .LBB1904_243
; %bb.226:
	v_add_u32_e32 v2, 13, v1
	v_cmp_gt_u32_e32 vcc, s33, v2
	v_mov_b32_e32 v2, 0
	v_mov_b32_e32 v3, 0
	v_mov_b32_e32 v4, 0
	v_mov_b32_e32 v5, 0
	v_mov_b32_e32 v6, 0
	v_mov_b32_e32 v7, 0
	v_mov_b32_e32 v8, 0
	v_mov_b32_e32 v10, 0
	v_mov_b32_e32 v11, 0
	v_mov_b32_e32 v9, 0
	s_and_saveexec_b64 s[30:31], vcc
	s_cbranch_execz .LBB1904_242
; %bb.227:
	v_add_u32_e32 v2, 14, v1
	v_cmp_gt_u32_e32 vcc, s33, v2
	v_mov_b32_e32 v2, 0
	v_mov_b32_e32 v3, 0
	;; [unrolled: 1-line block ×9, first 2 shown]
	s_and_saveexec_b64 s[34:35], vcc
	s_cbranch_execz .LBB1904_241
; %bb.228:
	v_add_u32_e32 v2, 15, v1
	v_cmp_gt_u32_e32 vcc, s33, v2
	v_mov_b32_e32 v2, 0
	v_mov_b32_e32 v3, 0
	;; [unrolled: 1-line block ×8, first 2 shown]
	s_and_saveexec_b64 s[36:37], vcc
	s_cbranch_execz .LBB1904_240
; %bb.229:
	v_add_u32_e32 v2, 16, v1
	v_cmp_gt_u32_e32 vcc, s33, v2
	v_mov_b32_e32 v2, 0
	v_mov_b32_e32 v3, 0
	;; [unrolled: 1-line block ×7, first 2 shown]
	s_and_saveexec_b64 s[38:39], vcc
	s_cbranch_execz .LBB1904_239
; %bb.230:
	v_add_u32_e32 v2, 17, v1
	v_cmp_gt_u32_e32 vcc, s33, v2
	v_mov_b32_e32 v2, 0
	v_mov_b32_e32 v3, 0
	;; [unrolled: 1-line block ×6, first 2 shown]
	s_and_saveexec_b64 s[40:41], vcc
	s_cbranch_execz .LBB1904_238
; %bb.231:
	v_add_u32_e32 v2, 18, v1
	v_cmp_gt_u32_e32 vcc, s33, v2
	v_mov_b32_e32 v2, 0
	v_mov_b32_e32 v3, 0
	;; [unrolled: 1-line block ×5, first 2 shown]
	s_and_saveexec_b64 s[42:43], vcc
	s_cbranch_execz .LBB1904_237
; %bb.232:
	v_add_u32_e32 v2, 19, v1
	v_cmp_gt_u32_e32 vcc, s33, v2
	v_mov_b32_e32 v2, 0
	v_mov_b32_e32 v3, 0
	;; [unrolled: 1-line block ×4, first 2 shown]
	s_and_saveexec_b64 s[44:45], vcc
	s_cbranch_execz .LBB1904_236
; %bb.233:
	v_add_u32_e32 v2, 20, v1
	v_cmp_gt_u32_e32 vcc, s33, v2
	v_mov_b32_e32 v2, 0
	v_mov_b32_e32 v3, 0
	;; [unrolled: 1-line block ×3, first 2 shown]
	s_and_saveexec_b64 s[46:47], vcc
; %bb.234:
	v_add_u32_e32 v2, 21, v1
	v_add_u32_e32 v3, 22, v1
	v_cmp_gt_u32_e32 vcc, s33, v2
	v_cmp_gt_u32_e64 s[0:1], s33, v3
	v_mov_b32_e32 v3, v77
	v_cndmask_b32_e32 v2, 0, v78, vcc
	s_and_b64 vcc, vcc, s[0:1]
	v_cndmask_b32_e32 v9, 0, v79, vcc
; %bb.235:
	s_or_b64 exec, exec, s[46:47]
	v_mov_b32_e32 v4, v76
.LBB1904_236:
	s_or_b64 exec, exec, s[44:45]
	v_mov_b32_e32 v5, v75
.LBB1904_237:
	s_or_b64 exec, exec, s[42:43]
	v_mov_b32_e32 v6, v74
.LBB1904_238:
	s_or_b64 exec, exec, s[40:41]
	v_mov_b32_e32 v7, v73
.LBB1904_239:
	s_or_b64 exec, exec, s[38:39]
	v_mov_b32_e32 v8, v72
.LBB1904_240:
	s_or_b64 exec, exec, s[36:37]
	v_mov_b32_e32 v10, v71
.LBB1904_241:
	s_or_b64 exec, exec, s[34:35]
	v_mov_b32_e32 v11, v70
.LBB1904_242:
	s_or_b64 exec, exec, s[30:31]
	v_mov_b32_e32 v12, v69
.LBB1904_243:
	s_or_b64 exec, exec, s[28:29]
	v_mov_b32_e32 v13, v68
.LBB1904_244:
	s_or_b64 exec, exec, s[26:27]
	v_mov_b32_e32 v14, v67
.LBB1904_245:
	s_or_b64 exec, exec, s[24:25]
	v_mov_b32_e32 v15, v66
.LBB1904_246:
	s_or_b64 exec, exec, s[22:23]
	v_mov_b32_e32 v16, v65
.LBB1904_247:
	s_or_b64 exec, exec, s[20:21]
	v_mov_b32_e32 v17, v64
.LBB1904_248:
	s_or_b64 exec, exec, s[18:19]
	v_mov_b32_e32 v18, v63
.LBB1904_249:
	s_or_b64 exec, exec, s[16:17]
	v_mov_b32_e32 v19, v62
.LBB1904_250:
	s_or_b64 exec, exec, s[14:15]
	v_mov_b32_e32 v20, v61
.LBB1904_251:
	s_or_b64 exec, exec, s[12:13]
	v_mov_b32_e32 v21, v60
.LBB1904_252:
	s_or_b64 exec, exec, s[10:11]
	v_mov_b32_e32 v22, v59
.LBB1904_253:
	s_or_b64 exec, exec, s[8:9]
	v_mov_b32_e32 v23, v58
.LBB1904_254:
	s_or_b64 exec, exec, s[6:7]
	v_mov_b32_e32 v24, v80
.LBB1904_255:
	s_or_b64 exec, exec, s[2:3]
	v_lshlrev_b32_e32 v1, 2, v1
	s_movk_i32 s0, 0xffa8
	s_barrier
	ds_write2_b32 v1, v24, v23 offset1:1
	ds_write2_b32 v1, v22, v21 offset0:2 offset1:3
	ds_write2_b32 v1, v20, v19 offset0:4 offset1:5
	;; [unrolled: 1-line block ×10, first 2 shown]
	ds_write_b32 v1, v9 offset:88
	v_mad_i32_i24 v2, v0, s0, v1
	s_waitcnt lgkmcnt(0)
	s_barrier
	ds_read2st64_b32 v[24:25], v2 offset0:4 offset1:8
	ds_read2st64_b32 v[22:23], v2 offset0:12 offset1:16
	;; [unrolled: 1-line block ×11, first 2 shown]
	v_lshl_add_u64 v[4:5], s[4:5], 0, v[52:53]
	v_cmp_gt_u32_e32 vcc, s33, v0
	s_and_saveexec_b64 s[0:1], vcc
	s_cbranch_execz .LBB1904_257
; %bb.256:
	v_mul_i32_i24_e32 v26, 0xffffffa8, v0
	v_add_u32_e32 v1, v1, v26
	ds_read_b32 v1, v1
	s_waitcnt lgkmcnt(0)
	flat_store_dword v[4:5], v1
.LBB1904_257:
	s_or_b64 exec, exec, s[0:1]
	v_or_b32_e32 v1, 0x100, v0
	v_cmp_gt_u32_e32 vcc, s33, v1
	s_and_saveexec_b64 s[0:1], vcc
	s_cbranch_execz .LBB1904_259
; %bb.258:
	s_waitcnt lgkmcnt(0)
	flat_store_dword v[4:5], v24 offset:1024
.LBB1904_259:
	s_or_b64 exec, exec, s[0:1]
	v_or_b32_e32 v1, 0x200, v0
	v_cmp_gt_u32_e32 vcc, s33, v1
	s_and_saveexec_b64 s[0:1], vcc
	s_cbranch_execz .LBB1904_261
; %bb.260:
	s_waitcnt lgkmcnt(0)
	flat_store_dword v[4:5], v25 offset:2048
.LBB1904_261:
	;; [unrolled: 9-line block ×3, first 2 shown]
	s_or_b64 exec, exec, s[0:1]
	v_or_b32_e32 v1, 0x400, v0
	v_cmp_gt_u32_e32 vcc, s33, v1
	s_and_saveexec_b64 s[0:1], vcc
	s_cbranch_execz .LBB1904_265
; %bb.264:
	s_waitcnt lgkmcnt(0)
	v_add_co_u32_e32 v24, vcc, 0x1000, v4
	s_nop 1
	v_addc_co_u32_e32 v25, vcc, 0, v5, vcc
	flat_store_dword v[24:25], v23
.LBB1904_265:
	s_or_b64 exec, exec, s[0:1]
	v_or_b32_e32 v1, 0x500, v0
	v_cmp_gt_u32_e32 vcc, s33, v1
	s_and_saveexec_b64 s[0:1], vcc
	s_cbranch_execz .LBB1904_267
; %bb.266:
	s_waitcnt lgkmcnt(0)
	v_add_co_u32_e32 v22, vcc, 0x1000, v4
	s_nop 1
	v_addc_co_u32_e32 v23, vcc, 0, v5, vcc
	flat_store_dword v[22:23], v20 offset:1024
.LBB1904_267:
	s_or_b64 exec, exec, s[0:1]
	v_or_b32_e32 v1, 0x600, v0
	v_cmp_gt_u32_e32 vcc, s33, v1
	s_and_saveexec_b64 s[0:1], vcc
	s_cbranch_execz .LBB1904_269
; %bb.268:
	s_waitcnt lgkmcnt(0)
	v_add_co_u32_e32 v22, vcc, 0x1000, v4
	s_nop 1
	v_addc_co_u32_e32 v23, vcc, 0, v5, vcc
	flat_store_dword v[22:23], v21 offset:2048
.LBB1904_269:
	s_or_b64 exec, exec, s[0:1]
	v_or_b32_e32 v1, 0x700, v0
	v_cmp_gt_u32_e32 vcc, s33, v1
	s_and_saveexec_b64 s[0:1], vcc
	s_cbranch_execz .LBB1904_271
; %bb.270:
	s_waitcnt lgkmcnt(0)
	v_add_co_u32_e32 v20, vcc, 0x1000, v4
	s_nop 1
	v_addc_co_u32_e32 v21, vcc, 0, v5, vcc
	flat_store_dword v[20:21], v18 offset:3072
.LBB1904_271:
	s_or_b64 exec, exec, s[0:1]
	v_or_b32_e32 v1, 0x800, v0
	v_cmp_gt_u32_e32 vcc, s33, v1
	s_and_saveexec_b64 s[0:1], vcc
	s_cbranch_execz .LBB1904_273
; %bb.272:
	s_waitcnt lgkmcnt(0)
	v_add_co_u32_e32 v20, vcc, 0x2000, v4
	s_nop 1
	v_addc_co_u32_e32 v21, vcc, 0, v5, vcc
	flat_store_dword v[20:21], v19
.LBB1904_273:
	s_or_b64 exec, exec, s[0:1]
	v_or_b32_e32 v1, 0x900, v0
	v_cmp_gt_u32_e32 vcc, s33, v1
	s_and_saveexec_b64 s[0:1], vcc
	s_cbranch_execz .LBB1904_275
; %bb.274:
	s_waitcnt lgkmcnt(0)
	v_add_co_u32_e32 v18, vcc, 0x2000, v4
	s_nop 1
	v_addc_co_u32_e32 v19, vcc, 0, v5, vcc
	flat_store_dword v[18:19], v16 offset:1024
.LBB1904_275:
	s_or_b64 exec, exec, s[0:1]
	v_or_b32_e32 v1, 0xa00, v0
	v_cmp_gt_u32_e32 vcc, s33, v1
	s_and_saveexec_b64 s[0:1], vcc
	s_cbranch_execz .LBB1904_277
; %bb.276:
	s_waitcnt lgkmcnt(0)
	v_add_co_u32_e32 v18, vcc, 0x2000, v4
	s_nop 1
	v_addc_co_u32_e32 v19, vcc, 0, v5, vcc
	flat_store_dword v[18:19], v17 offset:2048
.LBB1904_277:
	s_or_b64 exec, exec, s[0:1]
	v_or_b32_e32 v1, 0xb00, v0
	v_cmp_gt_u32_e32 vcc, s33, v1
	s_and_saveexec_b64 s[0:1], vcc
	s_cbranch_execz .LBB1904_279
; %bb.278:
	s_waitcnt lgkmcnt(0)
	v_add_co_u32_e32 v16, vcc, 0x2000, v4
	s_nop 1
	v_addc_co_u32_e32 v17, vcc, 0, v5, vcc
	flat_store_dword v[16:17], v14 offset:3072
.LBB1904_279:
	;; [unrolled: 48-line block ×4, first 2 shown]
	s_or_b64 exec, exec, s[0:1]
	v_or_b32_e32 v1, 0x1400, v0
	v_cmp_gt_u32_e32 vcc, s33, v1
	s_and_saveexec_b64 s[0:1], vcc
	s_cbranch_execz .LBB1904_297
; %bb.296:
	s_waitcnt lgkmcnt(0)
	v_add_co_u32_e32 v8, vcc, 0x5000, v4
	s_nop 1
	v_addc_co_u32_e32 v9, vcc, 0, v5, vcc
	flat_store_dword v[8:9], v7
.LBB1904_297:
	s_or_b64 exec, exec, s[0:1]
	v_or_b32_e32 v1, 0x1500, v0
	v_cmp_gt_u32_e32 vcc, s33, v1
	s_and_saveexec_b64 s[0:1], vcc
	s_cbranch_execz .LBB1904_299
; %bb.298:
	v_add_co_u32_e32 v4, vcc, 0x5000, v4
	s_nop 1
	v_addc_co_u32_e32 v5, vcc, 0, v5, vcc
	s_waitcnt lgkmcnt(0)
	flat_store_dword v[4:5], v2 offset:1024
.LBB1904_299:
	s_or_b64 exec, exec, s[0:1]
	s_waitcnt lgkmcnt(0)
	v_or_b32_e32 v2, 0x1600, v0
	v_mov_b32_e32 v1, v53
	v_cmp_gt_u32_e64 s[0:1], s33, v2
	s_branch .LBB1904_302
.LBB1904_300:
	s_mov_b64 s[0:1], 0
                                        ; implicit-def: $vgpr3
	s_cbranch_execz .LBB1904_302
; %bb.301:
	s_waitcnt lgkmcnt(0)
	v_mul_u32_u24_e32 v1, 0x5c, v0
	s_barrier
	s_movk_i32 s2, 0x5c
	ds_write2_b32 v1, v80, v58 offset1:1
	ds_write2_b32 v1, v59, v60 offset0:2 offset1:3
	ds_write2_b32 v1, v61, v62 offset0:4 offset1:5
	;; [unrolled: 1-line block ×10, first 2 shown]
	ds_write_b32 v1, v79 offset:88
	v_mov_b32_e32 v1, 0
	v_mul_i32_i24_e32 v2, 0xffffffa8, v0
	v_mad_u32_u24 v2, v0, s2, v2
	v_mov_b32_e32 v53, v1
	s_waitcnt lgkmcnt(0)
	s_barrier
	ds_read2st64_b32 v[4:5], v2 offset1:4
	ds_read2st64_b32 v[6:7], v2 offset0:8 offset1:12
	ds_read2st64_b32 v[8:9], v2 offset0:16 offset1:20
	;; [unrolled: 1-line block ×10, first 2 shown]
	ds_read_b32 v3, v2 offset:22528
	v_lshl_add_u64 v[26:27], s[4:5], 0, v[52:53]
	s_movk_i32 s2, 0x1000
	s_waitcnt lgkmcnt(0)
	flat_store_dword v[26:27], v4
	flat_store_dword v[26:27], v5 offset:1024
	flat_store_dword v[26:27], v6 offset:2048
	flat_store_dword v[26:27], v7 offset:3072
	v_add_co_u32_e32 v4, vcc, s2, v26
	s_movk_i32 s2, 0x2000
	s_nop 0
	v_addc_co_u32_e32 v5, vcc, 0, v27, vcc
	flat_store_dword v[4:5], v8
	flat_store_dword v[4:5], v9 offset:1024
	flat_store_dword v[4:5], v10 offset:2048
	;; [unrolled: 1-line block ×3, first 2 shown]
	v_add_co_u32_e32 v4, vcc, s2, v26
	s_movk_i32 s2, 0x3000
	s_nop 0
	v_addc_co_u32_e32 v5, vcc, 0, v27, vcc
	flat_store_dword v[4:5], v12
	flat_store_dword v[4:5], v13 offset:1024
	flat_store_dword v[4:5], v14 offset:2048
	;; [unrolled: 1-line block ×3, first 2 shown]
	v_add_co_u32_e32 v4, vcc, s2, v26
	s_or_b64 s[0:1], s[0:1], exec
	s_nop 0
	v_addc_co_u32_e32 v5, vcc, 0, v27, vcc
	flat_store_dword v[4:5], v16
	flat_store_dword v[4:5], v17 offset:1024
	flat_store_dword v[4:5], v18 offset:2048
	;; [unrolled: 1-line block ×3, first 2 shown]
	v_add_co_u32_e32 v4, vcc, 0x4000, v26
	s_nop 1
	v_addc_co_u32_e32 v5, vcc, 0, v27, vcc
	flat_store_dword v[4:5], v20
	flat_store_dword v[4:5], v21 offset:1024
	flat_store_dword v[4:5], v22 offset:2048
	;; [unrolled: 1-line block ×3, first 2 shown]
	v_add_co_u32_e32 v4, vcc, 0x5000, v26
	s_nop 1
	v_addc_co_u32_e32 v5, vcc, 0, v27, vcc
	flat_store_dword v[4:5], v24
	flat_store_dword v[4:5], v25 offset:1024
.LBB1904_302:
	s_and_saveexec_b64 s[2:3], s[0:1]
	s_cbranch_execnz .LBB1904_304
; %bb.303:
	s_endpgm
.LBB1904_304:
	s_waitcnt lgkmcnt(0)
	v_lshl_add_u64 v[0:1], v[0:1], 2, s[4:5]
	v_add_co_u32_e32 v0, vcc, 0x5000, v0
	s_nop 1
	v_addc_co_u32_e32 v1, vcc, 0, v1, vcc
	flat_store_dword v[0:1], v3 offset:2048
	s_endpgm
.LBB1904_305:
	v_mov_b32_e32 v41, 0
	v_lshl_add_u64 v[26:27], s[60:61], 0, v[40:41]
	flat_load_dword v25, v[26:27]
	s_or_b64 exec, exec, s[0:1]
	s_and_saveexec_b64 s[0:1], s[50:51]
	s_cbranch_execz .LBB1904_99
.LBB1904_306:
	v_mov_b32_e32 v43, 0
	v_lshl_add_u64 v[26:27], s[60:61], 0, v[42:43]
	flat_load_dword v24, v[26:27]
	s_or_b64 exec, exec, s[0:1]
	v_mov_b32_e32 v26, 0
	s_and_saveexec_b64 s[0:1], s[52:53]
	s_cbranch_execnz .LBB1904_100
	s_branch .LBB1904_101
.LBB1904_307:
	v_add_u32_e32 v1, -1, v0
	v_lshrrev_b32_e32 v2, 5, v1
	v_add_lshl_u32 v1, v2, v1, 3
	ds_read_b32 v1, v1
	s_or_b64 exec, exec, s[0:1]
	s_and_saveexec_b64 s[50:51], s[4:5]
	s_cbranch_execz .LBB1904_209
.LBB1904_308:
	v_and_b32_e32 v3, 0xff, v11
	v_mov_b32_e32 v2, 0
	v_cmp_eq_u64_e64 s[0:1], 0, v[2:3]
	;;#ASMSTART
	;;#ASMEND
	s_waitcnt lgkmcnt(0)
	s_nop 0
	v_cndmask_b32_e64 v1, 0, v1, s[0:1]
	v_add_u32_e32 v10, v1, v10
	v_cndmask_b32_e32 v1, 0, v10, vcc
	v_add_u32_e32 v58, v1, v12
	v_cndmask_b32_e64 v1, 0, v58, s[6:7]
	v_add_u32_e32 v59, v1, v14
	v_cndmask_b32_e64 v1, 0, v59, s[8:9]
	;; [unrolled: 2-line block ×21, first 2 shown]
	v_add_u32_e32 v79, v1, v56
	s_or_b64 exec, exec, s[50:51]
	s_and_saveexec_b64 s[0:1], s[54:55]
	s_cbranch_execnz .LBB1904_210
	s_branch .LBB1904_211
.LBB1904_309:
                                        ; implicit-def: $sgpr0_sgpr1
	s_branch .LBB1904_54
.LBB1904_310:
                                        ; implicit-def: $sgpr0_sgpr1
	s_branch .LBB1904_150
	.section	.rodata,"a",@progbits
	.p2align	6, 0x0
	.amdhsa_kernel _ZN7rocprim17ROCPRIM_400000_NS6detail17trampoline_kernelINS0_14default_configENS1_27scan_by_key_config_selectorIj11FixedVectorIiLj1EEEEZZNS1_16scan_by_key_implILNS1_25lookback_scan_determinismE0ELb0ES3_N6thrust23THRUST_200600_302600_NS6detail15normal_iteratorINSB_10device_ptrIjEEEENSD_INSE_IS6_EEEESI_S6_NSB_4plusIvEENSB_8equal_toIvEES6_EE10hipError_tPvRmT2_T3_T4_T5_mT6_T7_P12ihipStream_tbENKUlT_T0_E_clISt17integral_constantIbLb0EES12_IbLb1EEEEDaSY_SZ_EUlSY_E_NS1_11comp_targetILNS1_3genE5ELNS1_11target_archE942ELNS1_3gpuE9ELNS1_3repE0EEENS1_30default_config_static_selectorELNS0_4arch9wavefront6targetE1EEEvT1_
		.amdhsa_group_segment_fixed_size 25600
		.amdhsa_private_segment_fixed_size 0
		.amdhsa_kernarg_size 112
		.amdhsa_user_sgpr_count 2
		.amdhsa_user_sgpr_dispatch_ptr 0
		.amdhsa_user_sgpr_queue_ptr 0
		.amdhsa_user_sgpr_kernarg_segment_ptr 1
		.amdhsa_user_sgpr_dispatch_id 0
		.amdhsa_user_sgpr_kernarg_preload_length 0
		.amdhsa_user_sgpr_kernarg_preload_offset 0
		.amdhsa_user_sgpr_private_segment_size 0
		.amdhsa_uses_dynamic_stack 0
		.amdhsa_enable_private_segment 0
		.amdhsa_system_sgpr_workgroup_id_x 1
		.amdhsa_system_sgpr_workgroup_id_y 0
		.amdhsa_system_sgpr_workgroup_id_z 0
		.amdhsa_system_sgpr_workgroup_info 0
		.amdhsa_system_vgpr_workitem_id 0
		.amdhsa_next_free_vgpr 81
		.amdhsa_next_free_sgpr 85
		.amdhsa_accum_offset 84
		.amdhsa_reserve_vcc 1
		.amdhsa_float_round_mode_32 0
		.amdhsa_float_round_mode_16_64 0
		.amdhsa_float_denorm_mode_32 3
		.amdhsa_float_denorm_mode_16_64 3
		.amdhsa_dx10_clamp 1
		.amdhsa_ieee_mode 1
		.amdhsa_fp16_overflow 0
		.amdhsa_tg_split 0
		.amdhsa_exception_fp_ieee_invalid_op 0
		.amdhsa_exception_fp_denorm_src 0
		.amdhsa_exception_fp_ieee_div_zero 0
		.amdhsa_exception_fp_ieee_overflow 0
		.amdhsa_exception_fp_ieee_underflow 0
		.amdhsa_exception_fp_ieee_inexact 0
		.amdhsa_exception_int_div_zero 0
	.end_amdhsa_kernel
	.section	.text._ZN7rocprim17ROCPRIM_400000_NS6detail17trampoline_kernelINS0_14default_configENS1_27scan_by_key_config_selectorIj11FixedVectorIiLj1EEEEZZNS1_16scan_by_key_implILNS1_25lookback_scan_determinismE0ELb0ES3_N6thrust23THRUST_200600_302600_NS6detail15normal_iteratorINSB_10device_ptrIjEEEENSD_INSE_IS6_EEEESI_S6_NSB_4plusIvEENSB_8equal_toIvEES6_EE10hipError_tPvRmT2_T3_T4_T5_mT6_T7_P12ihipStream_tbENKUlT_T0_E_clISt17integral_constantIbLb0EES12_IbLb1EEEEDaSY_SZ_EUlSY_E_NS1_11comp_targetILNS1_3genE5ELNS1_11target_archE942ELNS1_3gpuE9ELNS1_3repE0EEENS1_30default_config_static_selectorELNS0_4arch9wavefront6targetE1EEEvT1_,"axG",@progbits,_ZN7rocprim17ROCPRIM_400000_NS6detail17trampoline_kernelINS0_14default_configENS1_27scan_by_key_config_selectorIj11FixedVectorIiLj1EEEEZZNS1_16scan_by_key_implILNS1_25lookback_scan_determinismE0ELb0ES3_N6thrust23THRUST_200600_302600_NS6detail15normal_iteratorINSB_10device_ptrIjEEEENSD_INSE_IS6_EEEESI_S6_NSB_4plusIvEENSB_8equal_toIvEES6_EE10hipError_tPvRmT2_T3_T4_T5_mT6_T7_P12ihipStream_tbENKUlT_T0_E_clISt17integral_constantIbLb0EES12_IbLb1EEEEDaSY_SZ_EUlSY_E_NS1_11comp_targetILNS1_3genE5ELNS1_11target_archE942ELNS1_3gpuE9ELNS1_3repE0EEENS1_30default_config_static_selectorELNS0_4arch9wavefront6targetE1EEEvT1_,comdat
.Lfunc_end1904:
	.size	_ZN7rocprim17ROCPRIM_400000_NS6detail17trampoline_kernelINS0_14default_configENS1_27scan_by_key_config_selectorIj11FixedVectorIiLj1EEEEZZNS1_16scan_by_key_implILNS1_25lookback_scan_determinismE0ELb0ES3_N6thrust23THRUST_200600_302600_NS6detail15normal_iteratorINSB_10device_ptrIjEEEENSD_INSE_IS6_EEEESI_S6_NSB_4plusIvEENSB_8equal_toIvEES6_EE10hipError_tPvRmT2_T3_T4_T5_mT6_T7_P12ihipStream_tbENKUlT_T0_E_clISt17integral_constantIbLb0EES12_IbLb1EEEEDaSY_SZ_EUlSY_E_NS1_11comp_targetILNS1_3genE5ELNS1_11target_archE942ELNS1_3gpuE9ELNS1_3repE0EEENS1_30default_config_static_selectorELNS0_4arch9wavefront6targetE1EEEvT1_, .Lfunc_end1904-_ZN7rocprim17ROCPRIM_400000_NS6detail17trampoline_kernelINS0_14default_configENS1_27scan_by_key_config_selectorIj11FixedVectorIiLj1EEEEZZNS1_16scan_by_key_implILNS1_25lookback_scan_determinismE0ELb0ES3_N6thrust23THRUST_200600_302600_NS6detail15normal_iteratorINSB_10device_ptrIjEEEENSD_INSE_IS6_EEEESI_S6_NSB_4plusIvEENSB_8equal_toIvEES6_EE10hipError_tPvRmT2_T3_T4_T5_mT6_T7_P12ihipStream_tbENKUlT_T0_E_clISt17integral_constantIbLb0EES12_IbLb1EEEEDaSY_SZ_EUlSY_E_NS1_11comp_targetILNS1_3genE5ELNS1_11target_archE942ELNS1_3gpuE9ELNS1_3repE0EEENS1_30default_config_static_selectorELNS0_4arch9wavefront6targetE1EEEvT1_
                                        ; -- End function
	.section	.AMDGPU.csdata,"",@progbits
; Kernel info:
; codeLenInByte = 16988
; NumSgprs: 91
; NumVgprs: 81
; NumAgprs: 0
; TotalNumVgprs: 81
; ScratchSize: 0
; MemoryBound: 0
; FloatMode: 240
; IeeeMode: 1
; LDSByteSize: 25600 bytes/workgroup (compile time only)
; SGPRBlocks: 11
; VGPRBlocks: 10
; NumSGPRsForWavesPerEU: 91
; NumVGPRsForWavesPerEU: 81
; AccumOffset: 84
; Occupancy: 2
; WaveLimiterHint : 1
; COMPUTE_PGM_RSRC2:SCRATCH_EN: 0
; COMPUTE_PGM_RSRC2:USER_SGPR: 2
; COMPUTE_PGM_RSRC2:TRAP_HANDLER: 0
; COMPUTE_PGM_RSRC2:TGID_X_EN: 1
; COMPUTE_PGM_RSRC2:TGID_Y_EN: 0
; COMPUTE_PGM_RSRC2:TGID_Z_EN: 0
; COMPUTE_PGM_RSRC2:TIDIG_COMP_CNT: 0
; COMPUTE_PGM_RSRC3_GFX90A:ACCUM_OFFSET: 20
; COMPUTE_PGM_RSRC3_GFX90A:TG_SPLIT: 0
	.section	.text._ZN7rocprim17ROCPRIM_400000_NS6detail17trampoline_kernelINS0_14default_configENS1_27scan_by_key_config_selectorIj11FixedVectorIiLj1EEEEZZNS1_16scan_by_key_implILNS1_25lookback_scan_determinismE0ELb0ES3_N6thrust23THRUST_200600_302600_NS6detail15normal_iteratorINSB_10device_ptrIjEEEENSD_INSE_IS6_EEEESI_S6_NSB_4plusIvEENSB_8equal_toIvEES6_EE10hipError_tPvRmT2_T3_T4_T5_mT6_T7_P12ihipStream_tbENKUlT_T0_E_clISt17integral_constantIbLb0EES12_IbLb1EEEEDaSY_SZ_EUlSY_E_NS1_11comp_targetILNS1_3genE4ELNS1_11target_archE910ELNS1_3gpuE8ELNS1_3repE0EEENS1_30default_config_static_selectorELNS0_4arch9wavefront6targetE1EEEvT1_,"axG",@progbits,_ZN7rocprim17ROCPRIM_400000_NS6detail17trampoline_kernelINS0_14default_configENS1_27scan_by_key_config_selectorIj11FixedVectorIiLj1EEEEZZNS1_16scan_by_key_implILNS1_25lookback_scan_determinismE0ELb0ES3_N6thrust23THRUST_200600_302600_NS6detail15normal_iteratorINSB_10device_ptrIjEEEENSD_INSE_IS6_EEEESI_S6_NSB_4plusIvEENSB_8equal_toIvEES6_EE10hipError_tPvRmT2_T3_T4_T5_mT6_T7_P12ihipStream_tbENKUlT_T0_E_clISt17integral_constantIbLb0EES12_IbLb1EEEEDaSY_SZ_EUlSY_E_NS1_11comp_targetILNS1_3genE4ELNS1_11target_archE910ELNS1_3gpuE8ELNS1_3repE0EEENS1_30default_config_static_selectorELNS0_4arch9wavefront6targetE1EEEvT1_,comdat
	.protected	_ZN7rocprim17ROCPRIM_400000_NS6detail17trampoline_kernelINS0_14default_configENS1_27scan_by_key_config_selectorIj11FixedVectorIiLj1EEEEZZNS1_16scan_by_key_implILNS1_25lookback_scan_determinismE0ELb0ES3_N6thrust23THRUST_200600_302600_NS6detail15normal_iteratorINSB_10device_ptrIjEEEENSD_INSE_IS6_EEEESI_S6_NSB_4plusIvEENSB_8equal_toIvEES6_EE10hipError_tPvRmT2_T3_T4_T5_mT6_T7_P12ihipStream_tbENKUlT_T0_E_clISt17integral_constantIbLb0EES12_IbLb1EEEEDaSY_SZ_EUlSY_E_NS1_11comp_targetILNS1_3genE4ELNS1_11target_archE910ELNS1_3gpuE8ELNS1_3repE0EEENS1_30default_config_static_selectorELNS0_4arch9wavefront6targetE1EEEvT1_ ; -- Begin function _ZN7rocprim17ROCPRIM_400000_NS6detail17trampoline_kernelINS0_14default_configENS1_27scan_by_key_config_selectorIj11FixedVectorIiLj1EEEEZZNS1_16scan_by_key_implILNS1_25lookback_scan_determinismE0ELb0ES3_N6thrust23THRUST_200600_302600_NS6detail15normal_iteratorINSB_10device_ptrIjEEEENSD_INSE_IS6_EEEESI_S6_NSB_4plusIvEENSB_8equal_toIvEES6_EE10hipError_tPvRmT2_T3_T4_T5_mT6_T7_P12ihipStream_tbENKUlT_T0_E_clISt17integral_constantIbLb0EES12_IbLb1EEEEDaSY_SZ_EUlSY_E_NS1_11comp_targetILNS1_3genE4ELNS1_11target_archE910ELNS1_3gpuE8ELNS1_3repE0EEENS1_30default_config_static_selectorELNS0_4arch9wavefront6targetE1EEEvT1_
	.globl	_ZN7rocprim17ROCPRIM_400000_NS6detail17trampoline_kernelINS0_14default_configENS1_27scan_by_key_config_selectorIj11FixedVectorIiLj1EEEEZZNS1_16scan_by_key_implILNS1_25lookback_scan_determinismE0ELb0ES3_N6thrust23THRUST_200600_302600_NS6detail15normal_iteratorINSB_10device_ptrIjEEEENSD_INSE_IS6_EEEESI_S6_NSB_4plusIvEENSB_8equal_toIvEES6_EE10hipError_tPvRmT2_T3_T4_T5_mT6_T7_P12ihipStream_tbENKUlT_T0_E_clISt17integral_constantIbLb0EES12_IbLb1EEEEDaSY_SZ_EUlSY_E_NS1_11comp_targetILNS1_3genE4ELNS1_11target_archE910ELNS1_3gpuE8ELNS1_3repE0EEENS1_30default_config_static_selectorELNS0_4arch9wavefront6targetE1EEEvT1_
	.p2align	8
	.type	_ZN7rocprim17ROCPRIM_400000_NS6detail17trampoline_kernelINS0_14default_configENS1_27scan_by_key_config_selectorIj11FixedVectorIiLj1EEEEZZNS1_16scan_by_key_implILNS1_25lookback_scan_determinismE0ELb0ES3_N6thrust23THRUST_200600_302600_NS6detail15normal_iteratorINSB_10device_ptrIjEEEENSD_INSE_IS6_EEEESI_S6_NSB_4plusIvEENSB_8equal_toIvEES6_EE10hipError_tPvRmT2_T3_T4_T5_mT6_T7_P12ihipStream_tbENKUlT_T0_E_clISt17integral_constantIbLb0EES12_IbLb1EEEEDaSY_SZ_EUlSY_E_NS1_11comp_targetILNS1_3genE4ELNS1_11target_archE910ELNS1_3gpuE8ELNS1_3repE0EEENS1_30default_config_static_selectorELNS0_4arch9wavefront6targetE1EEEvT1_,@function
_ZN7rocprim17ROCPRIM_400000_NS6detail17trampoline_kernelINS0_14default_configENS1_27scan_by_key_config_selectorIj11FixedVectorIiLj1EEEEZZNS1_16scan_by_key_implILNS1_25lookback_scan_determinismE0ELb0ES3_N6thrust23THRUST_200600_302600_NS6detail15normal_iteratorINSB_10device_ptrIjEEEENSD_INSE_IS6_EEEESI_S6_NSB_4plusIvEENSB_8equal_toIvEES6_EE10hipError_tPvRmT2_T3_T4_T5_mT6_T7_P12ihipStream_tbENKUlT_T0_E_clISt17integral_constantIbLb0EES12_IbLb1EEEEDaSY_SZ_EUlSY_E_NS1_11comp_targetILNS1_3genE4ELNS1_11target_archE910ELNS1_3gpuE8ELNS1_3repE0EEENS1_30default_config_static_selectorELNS0_4arch9wavefront6targetE1EEEvT1_: ; @_ZN7rocprim17ROCPRIM_400000_NS6detail17trampoline_kernelINS0_14default_configENS1_27scan_by_key_config_selectorIj11FixedVectorIiLj1EEEEZZNS1_16scan_by_key_implILNS1_25lookback_scan_determinismE0ELb0ES3_N6thrust23THRUST_200600_302600_NS6detail15normal_iteratorINSB_10device_ptrIjEEEENSD_INSE_IS6_EEEESI_S6_NSB_4plusIvEENSB_8equal_toIvEES6_EE10hipError_tPvRmT2_T3_T4_T5_mT6_T7_P12ihipStream_tbENKUlT_T0_E_clISt17integral_constantIbLb0EES12_IbLb1EEEEDaSY_SZ_EUlSY_E_NS1_11comp_targetILNS1_3genE4ELNS1_11target_archE910ELNS1_3gpuE8ELNS1_3repE0EEENS1_30default_config_static_selectorELNS0_4arch9wavefront6targetE1EEEvT1_
; %bb.0:
	.section	.rodata,"a",@progbits
	.p2align	6, 0x0
	.amdhsa_kernel _ZN7rocprim17ROCPRIM_400000_NS6detail17trampoline_kernelINS0_14default_configENS1_27scan_by_key_config_selectorIj11FixedVectorIiLj1EEEEZZNS1_16scan_by_key_implILNS1_25lookback_scan_determinismE0ELb0ES3_N6thrust23THRUST_200600_302600_NS6detail15normal_iteratorINSB_10device_ptrIjEEEENSD_INSE_IS6_EEEESI_S6_NSB_4plusIvEENSB_8equal_toIvEES6_EE10hipError_tPvRmT2_T3_T4_T5_mT6_T7_P12ihipStream_tbENKUlT_T0_E_clISt17integral_constantIbLb0EES12_IbLb1EEEEDaSY_SZ_EUlSY_E_NS1_11comp_targetILNS1_3genE4ELNS1_11target_archE910ELNS1_3gpuE8ELNS1_3repE0EEENS1_30default_config_static_selectorELNS0_4arch9wavefront6targetE1EEEvT1_
		.amdhsa_group_segment_fixed_size 0
		.amdhsa_private_segment_fixed_size 0
		.amdhsa_kernarg_size 112
		.amdhsa_user_sgpr_count 2
		.amdhsa_user_sgpr_dispatch_ptr 0
		.amdhsa_user_sgpr_queue_ptr 0
		.amdhsa_user_sgpr_kernarg_segment_ptr 1
		.amdhsa_user_sgpr_dispatch_id 0
		.amdhsa_user_sgpr_kernarg_preload_length 0
		.amdhsa_user_sgpr_kernarg_preload_offset 0
		.amdhsa_user_sgpr_private_segment_size 0
		.amdhsa_uses_dynamic_stack 0
		.amdhsa_enable_private_segment 0
		.amdhsa_system_sgpr_workgroup_id_x 1
		.amdhsa_system_sgpr_workgroup_id_y 0
		.amdhsa_system_sgpr_workgroup_id_z 0
		.amdhsa_system_sgpr_workgroup_info 0
		.amdhsa_system_vgpr_workitem_id 0
		.amdhsa_next_free_vgpr 1
		.amdhsa_next_free_sgpr 0
		.amdhsa_accum_offset 4
		.amdhsa_reserve_vcc 0
		.amdhsa_float_round_mode_32 0
		.amdhsa_float_round_mode_16_64 0
		.amdhsa_float_denorm_mode_32 3
		.amdhsa_float_denorm_mode_16_64 3
		.amdhsa_dx10_clamp 1
		.amdhsa_ieee_mode 1
		.amdhsa_fp16_overflow 0
		.amdhsa_tg_split 0
		.amdhsa_exception_fp_ieee_invalid_op 0
		.amdhsa_exception_fp_denorm_src 0
		.amdhsa_exception_fp_ieee_div_zero 0
		.amdhsa_exception_fp_ieee_overflow 0
		.amdhsa_exception_fp_ieee_underflow 0
		.amdhsa_exception_fp_ieee_inexact 0
		.amdhsa_exception_int_div_zero 0
	.end_amdhsa_kernel
	.section	.text._ZN7rocprim17ROCPRIM_400000_NS6detail17trampoline_kernelINS0_14default_configENS1_27scan_by_key_config_selectorIj11FixedVectorIiLj1EEEEZZNS1_16scan_by_key_implILNS1_25lookback_scan_determinismE0ELb0ES3_N6thrust23THRUST_200600_302600_NS6detail15normal_iteratorINSB_10device_ptrIjEEEENSD_INSE_IS6_EEEESI_S6_NSB_4plusIvEENSB_8equal_toIvEES6_EE10hipError_tPvRmT2_T3_T4_T5_mT6_T7_P12ihipStream_tbENKUlT_T0_E_clISt17integral_constantIbLb0EES12_IbLb1EEEEDaSY_SZ_EUlSY_E_NS1_11comp_targetILNS1_3genE4ELNS1_11target_archE910ELNS1_3gpuE8ELNS1_3repE0EEENS1_30default_config_static_selectorELNS0_4arch9wavefront6targetE1EEEvT1_,"axG",@progbits,_ZN7rocprim17ROCPRIM_400000_NS6detail17trampoline_kernelINS0_14default_configENS1_27scan_by_key_config_selectorIj11FixedVectorIiLj1EEEEZZNS1_16scan_by_key_implILNS1_25lookback_scan_determinismE0ELb0ES3_N6thrust23THRUST_200600_302600_NS6detail15normal_iteratorINSB_10device_ptrIjEEEENSD_INSE_IS6_EEEESI_S6_NSB_4plusIvEENSB_8equal_toIvEES6_EE10hipError_tPvRmT2_T3_T4_T5_mT6_T7_P12ihipStream_tbENKUlT_T0_E_clISt17integral_constantIbLb0EES12_IbLb1EEEEDaSY_SZ_EUlSY_E_NS1_11comp_targetILNS1_3genE4ELNS1_11target_archE910ELNS1_3gpuE8ELNS1_3repE0EEENS1_30default_config_static_selectorELNS0_4arch9wavefront6targetE1EEEvT1_,comdat
.Lfunc_end1905:
	.size	_ZN7rocprim17ROCPRIM_400000_NS6detail17trampoline_kernelINS0_14default_configENS1_27scan_by_key_config_selectorIj11FixedVectorIiLj1EEEEZZNS1_16scan_by_key_implILNS1_25lookback_scan_determinismE0ELb0ES3_N6thrust23THRUST_200600_302600_NS6detail15normal_iteratorINSB_10device_ptrIjEEEENSD_INSE_IS6_EEEESI_S6_NSB_4plusIvEENSB_8equal_toIvEES6_EE10hipError_tPvRmT2_T3_T4_T5_mT6_T7_P12ihipStream_tbENKUlT_T0_E_clISt17integral_constantIbLb0EES12_IbLb1EEEEDaSY_SZ_EUlSY_E_NS1_11comp_targetILNS1_3genE4ELNS1_11target_archE910ELNS1_3gpuE8ELNS1_3repE0EEENS1_30default_config_static_selectorELNS0_4arch9wavefront6targetE1EEEvT1_, .Lfunc_end1905-_ZN7rocprim17ROCPRIM_400000_NS6detail17trampoline_kernelINS0_14default_configENS1_27scan_by_key_config_selectorIj11FixedVectorIiLj1EEEEZZNS1_16scan_by_key_implILNS1_25lookback_scan_determinismE0ELb0ES3_N6thrust23THRUST_200600_302600_NS6detail15normal_iteratorINSB_10device_ptrIjEEEENSD_INSE_IS6_EEEESI_S6_NSB_4plusIvEENSB_8equal_toIvEES6_EE10hipError_tPvRmT2_T3_T4_T5_mT6_T7_P12ihipStream_tbENKUlT_T0_E_clISt17integral_constantIbLb0EES12_IbLb1EEEEDaSY_SZ_EUlSY_E_NS1_11comp_targetILNS1_3genE4ELNS1_11target_archE910ELNS1_3gpuE8ELNS1_3repE0EEENS1_30default_config_static_selectorELNS0_4arch9wavefront6targetE1EEEvT1_
                                        ; -- End function
	.section	.AMDGPU.csdata,"",@progbits
; Kernel info:
; codeLenInByte = 0
; NumSgprs: 6
; NumVgprs: 0
; NumAgprs: 0
; TotalNumVgprs: 0
; ScratchSize: 0
; MemoryBound: 0
; FloatMode: 240
; IeeeMode: 1
; LDSByteSize: 0 bytes/workgroup (compile time only)
; SGPRBlocks: 0
; VGPRBlocks: 0
; NumSGPRsForWavesPerEU: 6
; NumVGPRsForWavesPerEU: 1
; AccumOffset: 4
; Occupancy: 8
; WaveLimiterHint : 0
; COMPUTE_PGM_RSRC2:SCRATCH_EN: 0
; COMPUTE_PGM_RSRC2:USER_SGPR: 2
; COMPUTE_PGM_RSRC2:TRAP_HANDLER: 0
; COMPUTE_PGM_RSRC2:TGID_X_EN: 1
; COMPUTE_PGM_RSRC2:TGID_Y_EN: 0
; COMPUTE_PGM_RSRC2:TGID_Z_EN: 0
; COMPUTE_PGM_RSRC2:TIDIG_COMP_CNT: 0
; COMPUTE_PGM_RSRC3_GFX90A:ACCUM_OFFSET: 0
; COMPUTE_PGM_RSRC3_GFX90A:TG_SPLIT: 0
	.section	.text._ZN7rocprim17ROCPRIM_400000_NS6detail17trampoline_kernelINS0_14default_configENS1_27scan_by_key_config_selectorIj11FixedVectorIiLj1EEEEZZNS1_16scan_by_key_implILNS1_25lookback_scan_determinismE0ELb0ES3_N6thrust23THRUST_200600_302600_NS6detail15normal_iteratorINSB_10device_ptrIjEEEENSD_INSE_IS6_EEEESI_S6_NSB_4plusIvEENSB_8equal_toIvEES6_EE10hipError_tPvRmT2_T3_T4_T5_mT6_T7_P12ihipStream_tbENKUlT_T0_E_clISt17integral_constantIbLb0EES12_IbLb1EEEEDaSY_SZ_EUlSY_E_NS1_11comp_targetILNS1_3genE3ELNS1_11target_archE908ELNS1_3gpuE7ELNS1_3repE0EEENS1_30default_config_static_selectorELNS0_4arch9wavefront6targetE1EEEvT1_,"axG",@progbits,_ZN7rocprim17ROCPRIM_400000_NS6detail17trampoline_kernelINS0_14default_configENS1_27scan_by_key_config_selectorIj11FixedVectorIiLj1EEEEZZNS1_16scan_by_key_implILNS1_25lookback_scan_determinismE0ELb0ES3_N6thrust23THRUST_200600_302600_NS6detail15normal_iteratorINSB_10device_ptrIjEEEENSD_INSE_IS6_EEEESI_S6_NSB_4plusIvEENSB_8equal_toIvEES6_EE10hipError_tPvRmT2_T3_T4_T5_mT6_T7_P12ihipStream_tbENKUlT_T0_E_clISt17integral_constantIbLb0EES12_IbLb1EEEEDaSY_SZ_EUlSY_E_NS1_11comp_targetILNS1_3genE3ELNS1_11target_archE908ELNS1_3gpuE7ELNS1_3repE0EEENS1_30default_config_static_selectorELNS0_4arch9wavefront6targetE1EEEvT1_,comdat
	.protected	_ZN7rocprim17ROCPRIM_400000_NS6detail17trampoline_kernelINS0_14default_configENS1_27scan_by_key_config_selectorIj11FixedVectorIiLj1EEEEZZNS1_16scan_by_key_implILNS1_25lookback_scan_determinismE0ELb0ES3_N6thrust23THRUST_200600_302600_NS6detail15normal_iteratorINSB_10device_ptrIjEEEENSD_INSE_IS6_EEEESI_S6_NSB_4plusIvEENSB_8equal_toIvEES6_EE10hipError_tPvRmT2_T3_T4_T5_mT6_T7_P12ihipStream_tbENKUlT_T0_E_clISt17integral_constantIbLb0EES12_IbLb1EEEEDaSY_SZ_EUlSY_E_NS1_11comp_targetILNS1_3genE3ELNS1_11target_archE908ELNS1_3gpuE7ELNS1_3repE0EEENS1_30default_config_static_selectorELNS0_4arch9wavefront6targetE1EEEvT1_ ; -- Begin function _ZN7rocprim17ROCPRIM_400000_NS6detail17trampoline_kernelINS0_14default_configENS1_27scan_by_key_config_selectorIj11FixedVectorIiLj1EEEEZZNS1_16scan_by_key_implILNS1_25lookback_scan_determinismE0ELb0ES3_N6thrust23THRUST_200600_302600_NS6detail15normal_iteratorINSB_10device_ptrIjEEEENSD_INSE_IS6_EEEESI_S6_NSB_4plusIvEENSB_8equal_toIvEES6_EE10hipError_tPvRmT2_T3_T4_T5_mT6_T7_P12ihipStream_tbENKUlT_T0_E_clISt17integral_constantIbLb0EES12_IbLb1EEEEDaSY_SZ_EUlSY_E_NS1_11comp_targetILNS1_3genE3ELNS1_11target_archE908ELNS1_3gpuE7ELNS1_3repE0EEENS1_30default_config_static_selectorELNS0_4arch9wavefront6targetE1EEEvT1_
	.globl	_ZN7rocprim17ROCPRIM_400000_NS6detail17trampoline_kernelINS0_14default_configENS1_27scan_by_key_config_selectorIj11FixedVectorIiLj1EEEEZZNS1_16scan_by_key_implILNS1_25lookback_scan_determinismE0ELb0ES3_N6thrust23THRUST_200600_302600_NS6detail15normal_iteratorINSB_10device_ptrIjEEEENSD_INSE_IS6_EEEESI_S6_NSB_4plusIvEENSB_8equal_toIvEES6_EE10hipError_tPvRmT2_T3_T4_T5_mT6_T7_P12ihipStream_tbENKUlT_T0_E_clISt17integral_constantIbLb0EES12_IbLb1EEEEDaSY_SZ_EUlSY_E_NS1_11comp_targetILNS1_3genE3ELNS1_11target_archE908ELNS1_3gpuE7ELNS1_3repE0EEENS1_30default_config_static_selectorELNS0_4arch9wavefront6targetE1EEEvT1_
	.p2align	8
	.type	_ZN7rocprim17ROCPRIM_400000_NS6detail17trampoline_kernelINS0_14default_configENS1_27scan_by_key_config_selectorIj11FixedVectorIiLj1EEEEZZNS1_16scan_by_key_implILNS1_25lookback_scan_determinismE0ELb0ES3_N6thrust23THRUST_200600_302600_NS6detail15normal_iteratorINSB_10device_ptrIjEEEENSD_INSE_IS6_EEEESI_S6_NSB_4plusIvEENSB_8equal_toIvEES6_EE10hipError_tPvRmT2_T3_T4_T5_mT6_T7_P12ihipStream_tbENKUlT_T0_E_clISt17integral_constantIbLb0EES12_IbLb1EEEEDaSY_SZ_EUlSY_E_NS1_11comp_targetILNS1_3genE3ELNS1_11target_archE908ELNS1_3gpuE7ELNS1_3repE0EEENS1_30default_config_static_selectorELNS0_4arch9wavefront6targetE1EEEvT1_,@function
_ZN7rocprim17ROCPRIM_400000_NS6detail17trampoline_kernelINS0_14default_configENS1_27scan_by_key_config_selectorIj11FixedVectorIiLj1EEEEZZNS1_16scan_by_key_implILNS1_25lookback_scan_determinismE0ELb0ES3_N6thrust23THRUST_200600_302600_NS6detail15normal_iteratorINSB_10device_ptrIjEEEENSD_INSE_IS6_EEEESI_S6_NSB_4plusIvEENSB_8equal_toIvEES6_EE10hipError_tPvRmT2_T3_T4_T5_mT6_T7_P12ihipStream_tbENKUlT_T0_E_clISt17integral_constantIbLb0EES12_IbLb1EEEEDaSY_SZ_EUlSY_E_NS1_11comp_targetILNS1_3genE3ELNS1_11target_archE908ELNS1_3gpuE7ELNS1_3repE0EEENS1_30default_config_static_selectorELNS0_4arch9wavefront6targetE1EEEvT1_: ; @_ZN7rocprim17ROCPRIM_400000_NS6detail17trampoline_kernelINS0_14default_configENS1_27scan_by_key_config_selectorIj11FixedVectorIiLj1EEEEZZNS1_16scan_by_key_implILNS1_25lookback_scan_determinismE0ELb0ES3_N6thrust23THRUST_200600_302600_NS6detail15normal_iteratorINSB_10device_ptrIjEEEENSD_INSE_IS6_EEEESI_S6_NSB_4plusIvEENSB_8equal_toIvEES6_EE10hipError_tPvRmT2_T3_T4_T5_mT6_T7_P12ihipStream_tbENKUlT_T0_E_clISt17integral_constantIbLb0EES12_IbLb1EEEEDaSY_SZ_EUlSY_E_NS1_11comp_targetILNS1_3genE3ELNS1_11target_archE908ELNS1_3gpuE7ELNS1_3repE0EEENS1_30default_config_static_selectorELNS0_4arch9wavefront6targetE1EEEvT1_
; %bb.0:
	.section	.rodata,"a",@progbits
	.p2align	6, 0x0
	.amdhsa_kernel _ZN7rocprim17ROCPRIM_400000_NS6detail17trampoline_kernelINS0_14default_configENS1_27scan_by_key_config_selectorIj11FixedVectorIiLj1EEEEZZNS1_16scan_by_key_implILNS1_25lookback_scan_determinismE0ELb0ES3_N6thrust23THRUST_200600_302600_NS6detail15normal_iteratorINSB_10device_ptrIjEEEENSD_INSE_IS6_EEEESI_S6_NSB_4plusIvEENSB_8equal_toIvEES6_EE10hipError_tPvRmT2_T3_T4_T5_mT6_T7_P12ihipStream_tbENKUlT_T0_E_clISt17integral_constantIbLb0EES12_IbLb1EEEEDaSY_SZ_EUlSY_E_NS1_11comp_targetILNS1_3genE3ELNS1_11target_archE908ELNS1_3gpuE7ELNS1_3repE0EEENS1_30default_config_static_selectorELNS0_4arch9wavefront6targetE1EEEvT1_
		.amdhsa_group_segment_fixed_size 0
		.amdhsa_private_segment_fixed_size 0
		.amdhsa_kernarg_size 112
		.amdhsa_user_sgpr_count 2
		.amdhsa_user_sgpr_dispatch_ptr 0
		.amdhsa_user_sgpr_queue_ptr 0
		.amdhsa_user_sgpr_kernarg_segment_ptr 1
		.amdhsa_user_sgpr_dispatch_id 0
		.amdhsa_user_sgpr_kernarg_preload_length 0
		.amdhsa_user_sgpr_kernarg_preload_offset 0
		.amdhsa_user_sgpr_private_segment_size 0
		.amdhsa_uses_dynamic_stack 0
		.amdhsa_enable_private_segment 0
		.amdhsa_system_sgpr_workgroup_id_x 1
		.amdhsa_system_sgpr_workgroup_id_y 0
		.amdhsa_system_sgpr_workgroup_id_z 0
		.amdhsa_system_sgpr_workgroup_info 0
		.amdhsa_system_vgpr_workitem_id 0
		.amdhsa_next_free_vgpr 1
		.amdhsa_next_free_sgpr 0
		.amdhsa_accum_offset 4
		.amdhsa_reserve_vcc 0
		.amdhsa_float_round_mode_32 0
		.amdhsa_float_round_mode_16_64 0
		.amdhsa_float_denorm_mode_32 3
		.amdhsa_float_denorm_mode_16_64 3
		.amdhsa_dx10_clamp 1
		.amdhsa_ieee_mode 1
		.amdhsa_fp16_overflow 0
		.amdhsa_tg_split 0
		.amdhsa_exception_fp_ieee_invalid_op 0
		.amdhsa_exception_fp_denorm_src 0
		.amdhsa_exception_fp_ieee_div_zero 0
		.amdhsa_exception_fp_ieee_overflow 0
		.amdhsa_exception_fp_ieee_underflow 0
		.amdhsa_exception_fp_ieee_inexact 0
		.amdhsa_exception_int_div_zero 0
	.end_amdhsa_kernel
	.section	.text._ZN7rocprim17ROCPRIM_400000_NS6detail17trampoline_kernelINS0_14default_configENS1_27scan_by_key_config_selectorIj11FixedVectorIiLj1EEEEZZNS1_16scan_by_key_implILNS1_25lookback_scan_determinismE0ELb0ES3_N6thrust23THRUST_200600_302600_NS6detail15normal_iteratorINSB_10device_ptrIjEEEENSD_INSE_IS6_EEEESI_S6_NSB_4plusIvEENSB_8equal_toIvEES6_EE10hipError_tPvRmT2_T3_T4_T5_mT6_T7_P12ihipStream_tbENKUlT_T0_E_clISt17integral_constantIbLb0EES12_IbLb1EEEEDaSY_SZ_EUlSY_E_NS1_11comp_targetILNS1_3genE3ELNS1_11target_archE908ELNS1_3gpuE7ELNS1_3repE0EEENS1_30default_config_static_selectorELNS0_4arch9wavefront6targetE1EEEvT1_,"axG",@progbits,_ZN7rocprim17ROCPRIM_400000_NS6detail17trampoline_kernelINS0_14default_configENS1_27scan_by_key_config_selectorIj11FixedVectorIiLj1EEEEZZNS1_16scan_by_key_implILNS1_25lookback_scan_determinismE0ELb0ES3_N6thrust23THRUST_200600_302600_NS6detail15normal_iteratorINSB_10device_ptrIjEEEENSD_INSE_IS6_EEEESI_S6_NSB_4plusIvEENSB_8equal_toIvEES6_EE10hipError_tPvRmT2_T3_T4_T5_mT6_T7_P12ihipStream_tbENKUlT_T0_E_clISt17integral_constantIbLb0EES12_IbLb1EEEEDaSY_SZ_EUlSY_E_NS1_11comp_targetILNS1_3genE3ELNS1_11target_archE908ELNS1_3gpuE7ELNS1_3repE0EEENS1_30default_config_static_selectorELNS0_4arch9wavefront6targetE1EEEvT1_,comdat
.Lfunc_end1906:
	.size	_ZN7rocprim17ROCPRIM_400000_NS6detail17trampoline_kernelINS0_14default_configENS1_27scan_by_key_config_selectorIj11FixedVectorIiLj1EEEEZZNS1_16scan_by_key_implILNS1_25lookback_scan_determinismE0ELb0ES3_N6thrust23THRUST_200600_302600_NS6detail15normal_iteratorINSB_10device_ptrIjEEEENSD_INSE_IS6_EEEESI_S6_NSB_4plusIvEENSB_8equal_toIvEES6_EE10hipError_tPvRmT2_T3_T4_T5_mT6_T7_P12ihipStream_tbENKUlT_T0_E_clISt17integral_constantIbLb0EES12_IbLb1EEEEDaSY_SZ_EUlSY_E_NS1_11comp_targetILNS1_3genE3ELNS1_11target_archE908ELNS1_3gpuE7ELNS1_3repE0EEENS1_30default_config_static_selectorELNS0_4arch9wavefront6targetE1EEEvT1_, .Lfunc_end1906-_ZN7rocprim17ROCPRIM_400000_NS6detail17trampoline_kernelINS0_14default_configENS1_27scan_by_key_config_selectorIj11FixedVectorIiLj1EEEEZZNS1_16scan_by_key_implILNS1_25lookback_scan_determinismE0ELb0ES3_N6thrust23THRUST_200600_302600_NS6detail15normal_iteratorINSB_10device_ptrIjEEEENSD_INSE_IS6_EEEESI_S6_NSB_4plusIvEENSB_8equal_toIvEES6_EE10hipError_tPvRmT2_T3_T4_T5_mT6_T7_P12ihipStream_tbENKUlT_T0_E_clISt17integral_constantIbLb0EES12_IbLb1EEEEDaSY_SZ_EUlSY_E_NS1_11comp_targetILNS1_3genE3ELNS1_11target_archE908ELNS1_3gpuE7ELNS1_3repE0EEENS1_30default_config_static_selectorELNS0_4arch9wavefront6targetE1EEEvT1_
                                        ; -- End function
	.section	.AMDGPU.csdata,"",@progbits
; Kernel info:
; codeLenInByte = 0
; NumSgprs: 6
; NumVgprs: 0
; NumAgprs: 0
; TotalNumVgprs: 0
; ScratchSize: 0
; MemoryBound: 0
; FloatMode: 240
; IeeeMode: 1
; LDSByteSize: 0 bytes/workgroup (compile time only)
; SGPRBlocks: 0
; VGPRBlocks: 0
; NumSGPRsForWavesPerEU: 6
; NumVGPRsForWavesPerEU: 1
; AccumOffset: 4
; Occupancy: 8
; WaveLimiterHint : 0
; COMPUTE_PGM_RSRC2:SCRATCH_EN: 0
; COMPUTE_PGM_RSRC2:USER_SGPR: 2
; COMPUTE_PGM_RSRC2:TRAP_HANDLER: 0
; COMPUTE_PGM_RSRC2:TGID_X_EN: 1
; COMPUTE_PGM_RSRC2:TGID_Y_EN: 0
; COMPUTE_PGM_RSRC2:TGID_Z_EN: 0
; COMPUTE_PGM_RSRC2:TIDIG_COMP_CNT: 0
; COMPUTE_PGM_RSRC3_GFX90A:ACCUM_OFFSET: 0
; COMPUTE_PGM_RSRC3_GFX90A:TG_SPLIT: 0
	.section	.text._ZN7rocprim17ROCPRIM_400000_NS6detail17trampoline_kernelINS0_14default_configENS1_27scan_by_key_config_selectorIj11FixedVectorIiLj1EEEEZZNS1_16scan_by_key_implILNS1_25lookback_scan_determinismE0ELb0ES3_N6thrust23THRUST_200600_302600_NS6detail15normal_iteratorINSB_10device_ptrIjEEEENSD_INSE_IS6_EEEESI_S6_NSB_4plusIvEENSB_8equal_toIvEES6_EE10hipError_tPvRmT2_T3_T4_T5_mT6_T7_P12ihipStream_tbENKUlT_T0_E_clISt17integral_constantIbLb0EES12_IbLb1EEEEDaSY_SZ_EUlSY_E_NS1_11comp_targetILNS1_3genE2ELNS1_11target_archE906ELNS1_3gpuE6ELNS1_3repE0EEENS1_30default_config_static_selectorELNS0_4arch9wavefront6targetE1EEEvT1_,"axG",@progbits,_ZN7rocprim17ROCPRIM_400000_NS6detail17trampoline_kernelINS0_14default_configENS1_27scan_by_key_config_selectorIj11FixedVectorIiLj1EEEEZZNS1_16scan_by_key_implILNS1_25lookback_scan_determinismE0ELb0ES3_N6thrust23THRUST_200600_302600_NS6detail15normal_iteratorINSB_10device_ptrIjEEEENSD_INSE_IS6_EEEESI_S6_NSB_4plusIvEENSB_8equal_toIvEES6_EE10hipError_tPvRmT2_T3_T4_T5_mT6_T7_P12ihipStream_tbENKUlT_T0_E_clISt17integral_constantIbLb0EES12_IbLb1EEEEDaSY_SZ_EUlSY_E_NS1_11comp_targetILNS1_3genE2ELNS1_11target_archE906ELNS1_3gpuE6ELNS1_3repE0EEENS1_30default_config_static_selectorELNS0_4arch9wavefront6targetE1EEEvT1_,comdat
	.protected	_ZN7rocprim17ROCPRIM_400000_NS6detail17trampoline_kernelINS0_14default_configENS1_27scan_by_key_config_selectorIj11FixedVectorIiLj1EEEEZZNS1_16scan_by_key_implILNS1_25lookback_scan_determinismE0ELb0ES3_N6thrust23THRUST_200600_302600_NS6detail15normal_iteratorINSB_10device_ptrIjEEEENSD_INSE_IS6_EEEESI_S6_NSB_4plusIvEENSB_8equal_toIvEES6_EE10hipError_tPvRmT2_T3_T4_T5_mT6_T7_P12ihipStream_tbENKUlT_T0_E_clISt17integral_constantIbLb0EES12_IbLb1EEEEDaSY_SZ_EUlSY_E_NS1_11comp_targetILNS1_3genE2ELNS1_11target_archE906ELNS1_3gpuE6ELNS1_3repE0EEENS1_30default_config_static_selectorELNS0_4arch9wavefront6targetE1EEEvT1_ ; -- Begin function _ZN7rocprim17ROCPRIM_400000_NS6detail17trampoline_kernelINS0_14default_configENS1_27scan_by_key_config_selectorIj11FixedVectorIiLj1EEEEZZNS1_16scan_by_key_implILNS1_25lookback_scan_determinismE0ELb0ES3_N6thrust23THRUST_200600_302600_NS6detail15normal_iteratorINSB_10device_ptrIjEEEENSD_INSE_IS6_EEEESI_S6_NSB_4plusIvEENSB_8equal_toIvEES6_EE10hipError_tPvRmT2_T3_T4_T5_mT6_T7_P12ihipStream_tbENKUlT_T0_E_clISt17integral_constantIbLb0EES12_IbLb1EEEEDaSY_SZ_EUlSY_E_NS1_11comp_targetILNS1_3genE2ELNS1_11target_archE906ELNS1_3gpuE6ELNS1_3repE0EEENS1_30default_config_static_selectorELNS0_4arch9wavefront6targetE1EEEvT1_
	.globl	_ZN7rocprim17ROCPRIM_400000_NS6detail17trampoline_kernelINS0_14default_configENS1_27scan_by_key_config_selectorIj11FixedVectorIiLj1EEEEZZNS1_16scan_by_key_implILNS1_25lookback_scan_determinismE0ELb0ES3_N6thrust23THRUST_200600_302600_NS6detail15normal_iteratorINSB_10device_ptrIjEEEENSD_INSE_IS6_EEEESI_S6_NSB_4plusIvEENSB_8equal_toIvEES6_EE10hipError_tPvRmT2_T3_T4_T5_mT6_T7_P12ihipStream_tbENKUlT_T0_E_clISt17integral_constantIbLb0EES12_IbLb1EEEEDaSY_SZ_EUlSY_E_NS1_11comp_targetILNS1_3genE2ELNS1_11target_archE906ELNS1_3gpuE6ELNS1_3repE0EEENS1_30default_config_static_selectorELNS0_4arch9wavefront6targetE1EEEvT1_
	.p2align	8
	.type	_ZN7rocprim17ROCPRIM_400000_NS6detail17trampoline_kernelINS0_14default_configENS1_27scan_by_key_config_selectorIj11FixedVectorIiLj1EEEEZZNS1_16scan_by_key_implILNS1_25lookback_scan_determinismE0ELb0ES3_N6thrust23THRUST_200600_302600_NS6detail15normal_iteratorINSB_10device_ptrIjEEEENSD_INSE_IS6_EEEESI_S6_NSB_4plusIvEENSB_8equal_toIvEES6_EE10hipError_tPvRmT2_T3_T4_T5_mT6_T7_P12ihipStream_tbENKUlT_T0_E_clISt17integral_constantIbLb0EES12_IbLb1EEEEDaSY_SZ_EUlSY_E_NS1_11comp_targetILNS1_3genE2ELNS1_11target_archE906ELNS1_3gpuE6ELNS1_3repE0EEENS1_30default_config_static_selectorELNS0_4arch9wavefront6targetE1EEEvT1_,@function
_ZN7rocprim17ROCPRIM_400000_NS6detail17trampoline_kernelINS0_14default_configENS1_27scan_by_key_config_selectorIj11FixedVectorIiLj1EEEEZZNS1_16scan_by_key_implILNS1_25lookback_scan_determinismE0ELb0ES3_N6thrust23THRUST_200600_302600_NS6detail15normal_iteratorINSB_10device_ptrIjEEEENSD_INSE_IS6_EEEESI_S6_NSB_4plusIvEENSB_8equal_toIvEES6_EE10hipError_tPvRmT2_T3_T4_T5_mT6_T7_P12ihipStream_tbENKUlT_T0_E_clISt17integral_constantIbLb0EES12_IbLb1EEEEDaSY_SZ_EUlSY_E_NS1_11comp_targetILNS1_3genE2ELNS1_11target_archE906ELNS1_3gpuE6ELNS1_3repE0EEENS1_30default_config_static_selectorELNS0_4arch9wavefront6targetE1EEEvT1_: ; @_ZN7rocprim17ROCPRIM_400000_NS6detail17trampoline_kernelINS0_14default_configENS1_27scan_by_key_config_selectorIj11FixedVectorIiLj1EEEEZZNS1_16scan_by_key_implILNS1_25lookback_scan_determinismE0ELb0ES3_N6thrust23THRUST_200600_302600_NS6detail15normal_iteratorINSB_10device_ptrIjEEEENSD_INSE_IS6_EEEESI_S6_NSB_4plusIvEENSB_8equal_toIvEES6_EE10hipError_tPvRmT2_T3_T4_T5_mT6_T7_P12ihipStream_tbENKUlT_T0_E_clISt17integral_constantIbLb0EES12_IbLb1EEEEDaSY_SZ_EUlSY_E_NS1_11comp_targetILNS1_3genE2ELNS1_11target_archE906ELNS1_3gpuE6ELNS1_3repE0EEENS1_30default_config_static_selectorELNS0_4arch9wavefront6targetE1EEEvT1_
; %bb.0:
	.section	.rodata,"a",@progbits
	.p2align	6, 0x0
	.amdhsa_kernel _ZN7rocprim17ROCPRIM_400000_NS6detail17trampoline_kernelINS0_14default_configENS1_27scan_by_key_config_selectorIj11FixedVectorIiLj1EEEEZZNS1_16scan_by_key_implILNS1_25lookback_scan_determinismE0ELb0ES3_N6thrust23THRUST_200600_302600_NS6detail15normal_iteratorINSB_10device_ptrIjEEEENSD_INSE_IS6_EEEESI_S6_NSB_4plusIvEENSB_8equal_toIvEES6_EE10hipError_tPvRmT2_T3_T4_T5_mT6_T7_P12ihipStream_tbENKUlT_T0_E_clISt17integral_constantIbLb0EES12_IbLb1EEEEDaSY_SZ_EUlSY_E_NS1_11comp_targetILNS1_3genE2ELNS1_11target_archE906ELNS1_3gpuE6ELNS1_3repE0EEENS1_30default_config_static_selectorELNS0_4arch9wavefront6targetE1EEEvT1_
		.amdhsa_group_segment_fixed_size 0
		.amdhsa_private_segment_fixed_size 0
		.amdhsa_kernarg_size 112
		.amdhsa_user_sgpr_count 2
		.amdhsa_user_sgpr_dispatch_ptr 0
		.amdhsa_user_sgpr_queue_ptr 0
		.amdhsa_user_sgpr_kernarg_segment_ptr 1
		.amdhsa_user_sgpr_dispatch_id 0
		.amdhsa_user_sgpr_kernarg_preload_length 0
		.amdhsa_user_sgpr_kernarg_preload_offset 0
		.amdhsa_user_sgpr_private_segment_size 0
		.amdhsa_uses_dynamic_stack 0
		.amdhsa_enable_private_segment 0
		.amdhsa_system_sgpr_workgroup_id_x 1
		.amdhsa_system_sgpr_workgroup_id_y 0
		.amdhsa_system_sgpr_workgroup_id_z 0
		.amdhsa_system_sgpr_workgroup_info 0
		.amdhsa_system_vgpr_workitem_id 0
		.amdhsa_next_free_vgpr 1
		.amdhsa_next_free_sgpr 0
		.amdhsa_accum_offset 4
		.amdhsa_reserve_vcc 0
		.amdhsa_float_round_mode_32 0
		.amdhsa_float_round_mode_16_64 0
		.amdhsa_float_denorm_mode_32 3
		.amdhsa_float_denorm_mode_16_64 3
		.amdhsa_dx10_clamp 1
		.amdhsa_ieee_mode 1
		.amdhsa_fp16_overflow 0
		.amdhsa_tg_split 0
		.amdhsa_exception_fp_ieee_invalid_op 0
		.amdhsa_exception_fp_denorm_src 0
		.amdhsa_exception_fp_ieee_div_zero 0
		.amdhsa_exception_fp_ieee_overflow 0
		.amdhsa_exception_fp_ieee_underflow 0
		.amdhsa_exception_fp_ieee_inexact 0
		.amdhsa_exception_int_div_zero 0
	.end_amdhsa_kernel
	.section	.text._ZN7rocprim17ROCPRIM_400000_NS6detail17trampoline_kernelINS0_14default_configENS1_27scan_by_key_config_selectorIj11FixedVectorIiLj1EEEEZZNS1_16scan_by_key_implILNS1_25lookback_scan_determinismE0ELb0ES3_N6thrust23THRUST_200600_302600_NS6detail15normal_iteratorINSB_10device_ptrIjEEEENSD_INSE_IS6_EEEESI_S6_NSB_4plusIvEENSB_8equal_toIvEES6_EE10hipError_tPvRmT2_T3_T4_T5_mT6_T7_P12ihipStream_tbENKUlT_T0_E_clISt17integral_constantIbLb0EES12_IbLb1EEEEDaSY_SZ_EUlSY_E_NS1_11comp_targetILNS1_3genE2ELNS1_11target_archE906ELNS1_3gpuE6ELNS1_3repE0EEENS1_30default_config_static_selectorELNS0_4arch9wavefront6targetE1EEEvT1_,"axG",@progbits,_ZN7rocprim17ROCPRIM_400000_NS6detail17trampoline_kernelINS0_14default_configENS1_27scan_by_key_config_selectorIj11FixedVectorIiLj1EEEEZZNS1_16scan_by_key_implILNS1_25lookback_scan_determinismE0ELb0ES3_N6thrust23THRUST_200600_302600_NS6detail15normal_iteratorINSB_10device_ptrIjEEEENSD_INSE_IS6_EEEESI_S6_NSB_4plusIvEENSB_8equal_toIvEES6_EE10hipError_tPvRmT2_T3_T4_T5_mT6_T7_P12ihipStream_tbENKUlT_T0_E_clISt17integral_constantIbLb0EES12_IbLb1EEEEDaSY_SZ_EUlSY_E_NS1_11comp_targetILNS1_3genE2ELNS1_11target_archE906ELNS1_3gpuE6ELNS1_3repE0EEENS1_30default_config_static_selectorELNS0_4arch9wavefront6targetE1EEEvT1_,comdat
.Lfunc_end1907:
	.size	_ZN7rocprim17ROCPRIM_400000_NS6detail17trampoline_kernelINS0_14default_configENS1_27scan_by_key_config_selectorIj11FixedVectorIiLj1EEEEZZNS1_16scan_by_key_implILNS1_25lookback_scan_determinismE0ELb0ES3_N6thrust23THRUST_200600_302600_NS6detail15normal_iteratorINSB_10device_ptrIjEEEENSD_INSE_IS6_EEEESI_S6_NSB_4plusIvEENSB_8equal_toIvEES6_EE10hipError_tPvRmT2_T3_T4_T5_mT6_T7_P12ihipStream_tbENKUlT_T0_E_clISt17integral_constantIbLb0EES12_IbLb1EEEEDaSY_SZ_EUlSY_E_NS1_11comp_targetILNS1_3genE2ELNS1_11target_archE906ELNS1_3gpuE6ELNS1_3repE0EEENS1_30default_config_static_selectorELNS0_4arch9wavefront6targetE1EEEvT1_, .Lfunc_end1907-_ZN7rocprim17ROCPRIM_400000_NS6detail17trampoline_kernelINS0_14default_configENS1_27scan_by_key_config_selectorIj11FixedVectorIiLj1EEEEZZNS1_16scan_by_key_implILNS1_25lookback_scan_determinismE0ELb0ES3_N6thrust23THRUST_200600_302600_NS6detail15normal_iteratorINSB_10device_ptrIjEEEENSD_INSE_IS6_EEEESI_S6_NSB_4plusIvEENSB_8equal_toIvEES6_EE10hipError_tPvRmT2_T3_T4_T5_mT6_T7_P12ihipStream_tbENKUlT_T0_E_clISt17integral_constantIbLb0EES12_IbLb1EEEEDaSY_SZ_EUlSY_E_NS1_11comp_targetILNS1_3genE2ELNS1_11target_archE906ELNS1_3gpuE6ELNS1_3repE0EEENS1_30default_config_static_selectorELNS0_4arch9wavefront6targetE1EEEvT1_
                                        ; -- End function
	.section	.AMDGPU.csdata,"",@progbits
; Kernel info:
; codeLenInByte = 0
; NumSgprs: 6
; NumVgprs: 0
; NumAgprs: 0
; TotalNumVgprs: 0
; ScratchSize: 0
; MemoryBound: 0
; FloatMode: 240
; IeeeMode: 1
; LDSByteSize: 0 bytes/workgroup (compile time only)
; SGPRBlocks: 0
; VGPRBlocks: 0
; NumSGPRsForWavesPerEU: 6
; NumVGPRsForWavesPerEU: 1
; AccumOffset: 4
; Occupancy: 8
; WaveLimiterHint : 0
; COMPUTE_PGM_RSRC2:SCRATCH_EN: 0
; COMPUTE_PGM_RSRC2:USER_SGPR: 2
; COMPUTE_PGM_RSRC2:TRAP_HANDLER: 0
; COMPUTE_PGM_RSRC2:TGID_X_EN: 1
; COMPUTE_PGM_RSRC2:TGID_Y_EN: 0
; COMPUTE_PGM_RSRC2:TGID_Z_EN: 0
; COMPUTE_PGM_RSRC2:TIDIG_COMP_CNT: 0
; COMPUTE_PGM_RSRC3_GFX90A:ACCUM_OFFSET: 0
; COMPUTE_PGM_RSRC3_GFX90A:TG_SPLIT: 0
	.section	.text._ZN7rocprim17ROCPRIM_400000_NS6detail17trampoline_kernelINS0_14default_configENS1_27scan_by_key_config_selectorIj11FixedVectorIiLj1EEEEZZNS1_16scan_by_key_implILNS1_25lookback_scan_determinismE0ELb0ES3_N6thrust23THRUST_200600_302600_NS6detail15normal_iteratorINSB_10device_ptrIjEEEENSD_INSE_IS6_EEEESI_S6_NSB_4plusIvEENSB_8equal_toIvEES6_EE10hipError_tPvRmT2_T3_T4_T5_mT6_T7_P12ihipStream_tbENKUlT_T0_E_clISt17integral_constantIbLb0EES12_IbLb1EEEEDaSY_SZ_EUlSY_E_NS1_11comp_targetILNS1_3genE10ELNS1_11target_archE1200ELNS1_3gpuE4ELNS1_3repE0EEENS1_30default_config_static_selectorELNS0_4arch9wavefront6targetE1EEEvT1_,"axG",@progbits,_ZN7rocprim17ROCPRIM_400000_NS6detail17trampoline_kernelINS0_14default_configENS1_27scan_by_key_config_selectorIj11FixedVectorIiLj1EEEEZZNS1_16scan_by_key_implILNS1_25lookback_scan_determinismE0ELb0ES3_N6thrust23THRUST_200600_302600_NS6detail15normal_iteratorINSB_10device_ptrIjEEEENSD_INSE_IS6_EEEESI_S6_NSB_4plusIvEENSB_8equal_toIvEES6_EE10hipError_tPvRmT2_T3_T4_T5_mT6_T7_P12ihipStream_tbENKUlT_T0_E_clISt17integral_constantIbLb0EES12_IbLb1EEEEDaSY_SZ_EUlSY_E_NS1_11comp_targetILNS1_3genE10ELNS1_11target_archE1200ELNS1_3gpuE4ELNS1_3repE0EEENS1_30default_config_static_selectorELNS0_4arch9wavefront6targetE1EEEvT1_,comdat
	.protected	_ZN7rocprim17ROCPRIM_400000_NS6detail17trampoline_kernelINS0_14default_configENS1_27scan_by_key_config_selectorIj11FixedVectorIiLj1EEEEZZNS1_16scan_by_key_implILNS1_25lookback_scan_determinismE0ELb0ES3_N6thrust23THRUST_200600_302600_NS6detail15normal_iteratorINSB_10device_ptrIjEEEENSD_INSE_IS6_EEEESI_S6_NSB_4plusIvEENSB_8equal_toIvEES6_EE10hipError_tPvRmT2_T3_T4_T5_mT6_T7_P12ihipStream_tbENKUlT_T0_E_clISt17integral_constantIbLb0EES12_IbLb1EEEEDaSY_SZ_EUlSY_E_NS1_11comp_targetILNS1_3genE10ELNS1_11target_archE1200ELNS1_3gpuE4ELNS1_3repE0EEENS1_30default_config_static_selectorELNS0_4arch9wavefront6targetE1EEEvT1_ ; -- Begin function _ZN7rocprim17ROCPRIM_400000_NS6detail17trampoline_kernelINS0_14default_configENS1_27scan_by_key_config_selectorIj11FixedVectorIiLj1EEEEZZNS1_16scan_by_key_implILNS1_25lookback_scan_determinismE0ELb0ES3_N6thrust23THRUST_200600_302600_NS6detail15normal_iteratorINSB_10device_ptrIjEEEENSD_INSE_IS6_EEEESI_S6_NSB_4plusIvEENSB_8equal_toIvEES6_EE10hipError_tPvRmT2_T3_T4_T5_mT6_T7_P12ihipStream_tbENKUlT_T0_E_clISt17integral_constantIbLb0EES12_IbLb1EEEEDaSY_SZ_EUlSY_E_NS1_11comp_targetILNS1_3genE10ELNS1_11target_archE1200ELNS1_3gpuE4ELNS1_3repE0EEENS1_30default_config_static_selectorELNS0_4arch9wavefront6targetE1EEEvT1_
	.globl	_ZN7rocprim17ROCPRIM_400000_NS6detail17trampoline_kernelINS0_14default_configENS1_27scan_by_key_config_selectorIj11FixedVectorIiLj1EEEEZZNS1_16scan_by_key_implILNS1_25lookback_scan_determinismE0ELb0ES3_N6thrust23THRUST_200600_302600_NS6detail15normal_iteratorINSB_10device_ptrIjEEEENSD_INSE_IS6_EEEESI_S6_NSB_4plusIvEENSB_8equal_toIvEES6_EE10hipError_tPvRmT2_T3_T4_T5_mT6_T7_P12ihipStream_tbENKUlT_T0_E_clISt17integral_constantIbLb0EES12_IbLb1EEEEDaSY_SZ_EUlSY_E_NS1_11comp_targetILNS1_3genE10ELNS1_11target_archE1200ELNS1_3gpuE4ELNS1_3repE0EEENS1_30default_config_static_selectorELNS0_4arch9wavefront6targetE1EEEvT1_
	.p2align	8
	.type	_ZN7rocprim17ROCPRIM_400000_NS6detail17trampoline_kernelINS0_14default_configENS1_27scan_by_key_config_selectorIj11FixedVectorIiLj1EEEEZZNS1_16scan_by_key_implILNS1_25lookback_scan_determinismE0ELb0ES3_N6thrust23THRUST_200600_302600_NS6detail15normal_iteratorINSB_10device_ptrIjEEEENSD_INSE_IS6_EEEESI_S6_NSB_4plusIvEENSB_8equal_toIvEES6_EE10hipError_tPvRmT2_T3_T4_T5_mT6_T7_P12ihipStream_tbENKUlT_T0_E_clISt17integral_constantIbLb0EES12_IbLb1EEEEDaSY_SZ_EUlSY_E_NS1_11comp_targetILNS1_3genE10ELNS1_11target_archE1200ELNS1_3gpuE4ELNS1_3repE0EEENS1_30default_config_static_selectorELNS0_4arch9wavefront6targetE1EEEvT1_,@function
_ZN7rocprim17ROCPRIM_400000_NS6detail17trampoline_kernelINS0_14default_configENS1_27scan_by_key_config_selectorIj11FixedVectorIiLj1EEEEZZNS1_16scan_by_key_implILNS1_25lookback_scan_determinismE0ELb0ES3_N6thrust23THRUST_200600_302600_NS6detail15normal_iteratorINSB_10device_ptrIjEEEENSD_INSE_IS6_EEEESI_S6_NSB_4plusIvEENSB_8equal_toIvEES6_EE10hipError_tPvRmT2_T3_T4_T5_mT6_T7_P12ihipStream_tbENKUlT_T0_E_clISt17integral_constantIbLb0EES12_IbLb1EEEEDaSY_SZ_EUlSY_E_NS1_11comp_targetILNS1_3genE10ELNS1_11target_archE1200ELNS1_3gpuE4ELNS1_3repE0EEENS1_30default_config_static_selectorELNS0_4arch9wavefront6targetE1EEEvT1_: ; @_ZN7rocprim17ROCPRIM_400000_NS6detail17trampoline_kernelINS0_14default_configENS1_27scan_by_key_config_selectorIj11FixedVectorIiLj1EEEEZZNS1_16scan_by_key_implILNS1_25lookback_scan_determinismE0ELb0ES3_N6thrust23THRUST_200600_302600_NS6detail15normal_iteratorINSB_10device_ptrIjEEEENSD_INSE_IS6_EEEESI_S6_NSB_4plusIvEENSB_8equal_toIvEES6_EE10hipError_tPvRmT2_T3_T4_T5_mT6_T7_P12ihipStream_tbENKUlT_T0_E_clISt17integral_constantIbLb0EES12_IbLb1EEEEDaSY_SZ_EUlSY_E_NS1_11comp_targetILNS1_3genE10ELNS1_11target_archE1200ELNS1_3gpuE4ELNS1_3repE0EEENS1_30default_config_static_selectorELNS0_4arch9wavefront6targetE1EEEvT1_
; %bb.0:
	.section	.rodata,"a",@progbits
	.p2align	6, 0x0
	.amdhsa_kernel _ZN7rocprim17ROCPRIM_400000_NS6detail17trampoline_kernelINS0_14default_configENS1_27scan_by_key_config_selectorIj11FixedVectorIiLj1EEEEZZNS1_16scan_by_key_implILNS1_25lookback_scan_determinismE0ELb0ES3_N6thrust23THRUST_200600_302600_NS6detail15normal_iteratorINSB_10device_ptrIjEEEENSD_INSE_IS6_EEEESI_S6_NSB_4plusIvEENSB_8equal_toIvEES6_EE10hipError_tPvRmT2_T3_T4_T5_mT6_T7_P12ihipStream_tbENKUlT_T0_E_clISt17integral_constantIbLb0EES12_IbLb1EEEEDaSY_SZ_EUlSY_E_NS1_11comp_targetILNS1_3genE10ELNS1_11target_archE1200ELNS1_3gpuE4ELNS1_3repE0EEENS1_30default_config_static_selectorELNS0_4arch9wavefront6targetE1EEEvT1_
		.amdhsa_group_segment_fixed_size 0
		.amdhsa_private_segment_fixed_size 0
		.amdhsa_kernarg_size 112
		.amdhsa_user_sgpr_count 2
		.amdhsa_user_sgpr_dispatch_ptr 0
		.amdhsa_user_sgpr_queue_ptr 0
		.amdhsa_user_sgpr_kernarg_segment_ptr 1
		.amdhsa_user_sgpr_dispatch_id 0
		.amdhsa_user_sgpr_kernarg_preload_length 0
		.amdhsa_user_sgpr_kernarg_preload_offset 0
		.amdhsa_user_sgpr_private_segment_size 0
		.amdhsa_uses_dynamic_stack 0
		.amdhsa_enable_private_segment 0
		.amdhsa_system_sgpr_workgroup_id_x 1
		.amdhsa_system_sgpr_workgroup_id_y 0
		.amdhsa_system_sgpr_workgroup_id_z 0
		.amdhsa_system_sgpr_workgroup_info 0
		.amdhsa_system_vgpr_workitem_id 0
		.amdhsa_next_free_vgpr 1
		.amdhsa_next_free_sgpr 0
		.amdhsa_accum_offset 4
		.amdhsa_reserve_vcc 0
		.amdhsa_float_round_mode_32 0
		.amdhsa_float_round_mode_16_64 0
		.amdhsa_float_denorm_mode_32 3
		.amdhsa_float_denorm_mode_16_64 3
		.amdhsa_dx10_clamp 1
		.amdhsa_ieee_mode 1
		.amdhsa_fp16_overflow 0
		.amdhsa_tg_split 0
		.amdhsa_exception_fp_ieee_invalid_op 0
		.amdhsa_exception_fp_denorm_src 0
		.amdhsa_exception_fp_ieee_div_zero 0
		.amdhsa_exception_fp_ieee_overflow 0
		.amdhsa_exception_fp_ieee_underflow 0
		.amdhsa_exception_fp_ieee_inexact 0
		.amdhsa_exception_int_div_zero 0
	.end_amdhsa_kernel
	.section	.text._ZN7rocprim17ROCPRIM_400000_NS6detail17trampoline_kernelINS0_14default_configENS1_27scan_by_key_config_selectorIj11FixedVectorIiLj1EEEEZZNS1_16scan_by_key_implILNS1_25lookback_scan_determinismE0ELb0ES3_N6thrust23THRUST_200600_302600_NS6detail15normal_iteratorINSB_10device_ptrIjEEEENSD_INSE_IS6_EEEESI_S6_NSB_4plusIvEENSB_8equal_toIvEES6_EE10hipError_tPvRmT2_T3_T4_T5_mT6_T7_P12ihipStream_tbENKUlT_T0_E_clISt17integral_constantIbLb0EES12_IbLb1EEEEDaSY_SZ_EUlSY_E_NS1_11comp_targetILNS1_3genE10ELNS1_11target_archE1200ELNS1_3gpuE4ELNS1_3repE0EEENS1_30default_config_static_selectorELNS0_4arch9wavefront6targetE1EEEvT1_,"axG",@progbits,_ZN7rocprim17ROCPRIM_400000_NS6detail17trampoline_kernelINS0_14default_configENS1_27scan_by_key_config_selectorIj11FixedVectorIiLj1EEEEZZNS1_16scan_by_key_implILNS1_25lookback_scan_determinismE0ELb0ES3_N6thrust23THRUST_200600_302600_NS6detail15normal_iteratorINSB_10device_ptrIjEEEENSD_INSE_IS6_EEEESI_S6_NSB_4plusIvEENSB_8equal_toIvEES6_EE10hipError_tPvRmT2_T3_T4_T5_mT6_T7_P12ihipStream_tbENKUlT_T0_E_clISt17integral_constantIbLb0EES12_IbLb1EEEEDaSY_SZ_EUlSY_E_NS1_11comp_targetILNS1_3genE10ELNS1_11target_archE1200ELNS1_3gpuE4ELNS1_3repE0EEENS1_30default_config_static_selectorELNS0_4arch9wavefront6targetE1EEEvT1_,comdat
.Lfunc_end1908:
	.size	_ZN7rocprim17ROCPRIM_400000_NS6detail17trampoline_kernelINS0_14default_configENS1_27scan_by_key_config_selectorIj11FixedVectorIiLj1EEEEZZNS1_16scan_by_key_implILNS1_25lookback_scan_determinismE0ELb0ES3_N6thrust23THRUST_200600_302600_NS6detail15normal_iteratorINSB_10device_ptrIjEEEENSD_INSE_IS6_EEEESI_S6_NSB_4plusIvEENSB_8equal_toIvEES6_EE10hipError_tPvRmT2_T3_T4_T5_mT6_T7_P12ihipStream_tbENKUlT_T0_E_clISt17integral_constantIbLb0EES12_IbLb1EEEEDaSY_SZ_EUlSY_E_NS1_11comp_targetILNS1_3genE10ELNS1_11target_archE1200ELNS1_3gpuE4ELNS1_3repE0EEENS1_30default_config_static_selectorELNS0_4arch9wavefront6targetE1EEEvT1_, .Lfunc_end1908-_ZN7rocprim17ROCPRIM_400000_NS6detail17trampoline_kernelINS0_14default_configENS1_27scan_by_key_config_selectorIj11FixedVectorIiLj1EEEEZZNS1_16scan_by_key_implILNS1_25lookback_scan_determinismE0ELb0ES3_N6thrust23THRUST_200600_302600_NS6detail15normal_iteratorINSB_10device_ptrIjEEEENSD_INSE_IS6_EEEESI_S6_NSB_4plusIvEENSB_8equal_toIvEES6_EE10hipError_tPvRmT2_T3_T4_T5_mT6_T7_P12ihipStream_tbENKUlT_T0_E_clISt17integral_constantIbLb0EES12_IbLb1EEEEDaSY_SZ_EUlSY_E_NS1_11comp_targetILNS1_3genE10ELNS1_11target_archE1200ELNS1_3gpuE4ELNS1_3repE0EEENS1_30default_config_static_selectorELNS0_4arch9wavefront6targetE1EEEvT1_
                                        ; -- End function
	.section	.AMDGPU.csdata,"",@progbits
; Kernel info:
; codeLenInByte = 0
; NumSgprs: 6
; NumVgprs: 0
; NumAgprs: 0
; TotalNumVgprs: 0
; ScratchSize: 0
; MemoryBound: 0
; FloatMode: 240
; IeeeMode: 1
; LDSByteSize: 0 bytes/workgroup (compile time only)
; SGPRBlocks: 0
; VGPRBlocks: 0
; NumSGPRsForWavesPerEU: 6
; NumVGPRsForWavesPerEU: 1
; AccumOffset: 4
; Occupancy: 8
; WaveLimiterHint : 0
; COMPUTE_PGM_RSRC2:SCRATCH_EN: 0
; COMPUTE_PGM_RSRC2:USER_SGPR: 2
; COMPUTE_PGM_RSRC2:TRAP_HANDLER: 0
; COMPUTE_PGM_RSRC2:TGID_X_EN: 1
; COMPUTE_PGM_RSRC2:TGID_Y_EN: 0
; COMPUTE_PGM_RSRC2:TGID_Z_EN: 0
; COMPUTE_PGM_RSRC2:TIDIG_COMP_CNT: 0
; COMPUTE_PGM_RSRC3_GFX90A:ACCUM_OFFSET: 0
; COMPUTE_PGM_RSRC3_GFX90A:TG_SPLIT: 0
	.section	.text._ZN7rocprim17ROCPRIM_400000_NS6detail17trampoline_kernelINS0_14default_configENS1_27scan_by_key_config_selectorIj11FixedVectorIiLj1EEEEZZNS1_16scan_by_key_implILNS1_25lookback_scan_determinismE0ELb0ES3_N6thrust23THRUST_200600_302600_NS6detail15normal_iteratorINSB_10device_ptrIjEEEENSD_INSE_IS6_EEEESI_S6_NSB_4plusIvEENSB_8equal_toIvEES6_EE10hipError_tPvRmT2_T3_T4_T5_mT6_T7_P12ihipStream_tbENKUlT_T0_E_clISt17integral_constantIbLb0EES12_IbLb1EEEEDaSY_SZ_EUlSY_E_NS1_11comp_targetILNS1_3genE9ELNS1_11target_archE1100ELNS1_3gpuE3ELNS1_3repE0EEENS1_30default_config_static_selectorELNS0_4arch9wavefront6targetE1EEEvT1_,"axG",@progbits,_ZN7rocprim17ROCPRIM_400000_NS6detail17trampoline_kernelINS0_14default_configENS1_27scan_by_key_config_selectorIj11FixedVectorIiLj1EEEEZZNS1_16scan_by_key_implILNS1_25lookback_scan_determinismE0ELb0ES3_N6thrust23THRUST_200600_302600_NS6detail15normal_iteratorINSB_10device_ptrIjEEEENSD_INSE_IS6_EEEESI_S6_NSB_4plusIvEENSB_8equal_toIvEES6_EE10hipError_tPvRmT2_T3_T4_T5_mT6_T7_P12ihipStream_tbENKUlT_T0_E_clISt17integral_constantIbLb0EES12_IbLb1EEEEDaSY_SZ_EUlSY_E_NS1_11comp_targetILNS1_3genE9ELNS1_11target_archE1100ELNS1_3gpuE3ELNS1_3repE0EEENS1_30default_config_static_selectorELNS0_4arch9wavefront6targetE1EEEvT1_,comdat
	.protected	_ZN7rocprim17ROCPRIM_400000_NS6detail17trampoline_kernelINS0_14default_configENS1_27scan_by_key_config_selectorIj11FixedVectorIiLj1EEEEZZNS1_16scan_by_key_implILNS1_25lookback_scan_determinismE0ELb0ES3_N6thrust23THRUST_200600_302600_NS6detail15normal_iteratorINSB_10device_ptrIjEEEENSD_INSE_IS6_EEEESI_S6_NSB_4plusIvEENSB_8equal_toIvEES6_EE10hipError_tPvRmT2_T3_T4_T5_mT6_T7_P12ihipStream_tbENKUlT_T0_E_clISt17integral_constantIbLb0EES12_IbLb1EEEEDaSY_SZ_EUlSY_E_NS1_11comp_targetILNS1_3genE9ELNS1_11target_archE1100ELNS1_3gpuE3ELNS1_3repE0EEENS1_30default_config_static_selectorELNS0_4arch9wavefront6targetE1EEEvT1_ ; -- Begin function _ZN7rocprim17ROCPRIM_400000_NS6detail17trampoline_kernelINS0_14default_configENS1_27scan_by_key_config_selectorIj11FixedVectorIiLj1EEEEZZNS1_16scan_by_key_implILNS1_25lookback_scan_determinismE0ELb0ES3_N6thrust23THRUST_200600_302600_NS6detail15normal_iteratorINSB_10device_ptrIjEEEENSD_INSE_IS6_EEEESI_S6_NSB_4plusIvEENSB_8equal_toIvEES6_EE10hipError_tPvRmT2_T3_T4_T5_mT6_T7_P12ihipStream_tbENKUlT_T0_E_clISt17integral_constantIbLb0EES12_IbLb1EEEEDaSY_SZ_EUlSY_E_NS1_11comp_targetILNS1_3genE9ELNS1_11target_archE1100ELNS1_3gpuE3ELNS1_3repE0EEENS1_30default_config_static_selectorELNS0_4arch9wavefront6targetE1EEEvT1_
	.globl	_ZN7rocprim17ROCPRIM_400000_NS6detail17trampoline_kernelINS0_14default_configENS1_27scan_by_key_config_selectorIj11FixedVectorIiLj1EEEEZZNS1_16scan_by_key_implILNS1_25lookback_scan_determinismE0ELb0ES3_N6thrust23THRUST_200600_302600_NS6detail15normal_iteratorINSB_10device_ptrIjEEEENSD_INSE_IS6_EEEESI_S6_NSB_4plusIvEENSB_8equal_toIvEES6_EE10hipError_tPvRmT2_T3_T4_T5_mT6_T7_P12ihipStream_tbENKUlT_T0_E_clISt17integral_constantIbLb0EES12_IbLb1EEEEDaSY_SZ_EUlSY_E_NS1_11comp_targetILNS1_3genE9ELNS1_11target_archE1100ELNS1_3gpuE3ELNS1_3repE0EEENS1_30default_config_static_selectorELNS0_4arch9wavefront6targetE1EEEvT1_
	.p2align	8
	.type	_ZN7rocprim17ROCPRIM_400000_NS6detail17trampoline_kernelINS0_14default_configENS1_27scan_by_key_config_selectorIj11FixedVectorIiLj1EEEEZZNS1_16scan_by_key_implILNS1_25lookback_scan_determinismE0ELb0ES3_N6thrust23THRUST_200600_302600_NS6detail15normal_iteratorINSB_10device_ptrIjEEEENSD_INSE_IS6_EEEESI_S6_NSB_4plusIvEENSB_8equal_toIvEES6_EE10hipError_tPvRmT2_T3_T4_T5_mT6_T7_P12ihipStream_tbENKUlT_T0_E_clISt17integral_constantIbLb0EES12_IbLb1EEEEDaSY_SZ_EUlSY_E_NS1_11comp_targetILNS1_3genE9ELNS1_11target_archE1100ELNS1_3gpuE3ELNS1_3repE0EEENS1_30default_config_static_selectorELNS0_4arch9wavefront6targetE1EEEvT1_,@function
_ZN7rocprim17ROCPRIM_400000_NS6detail17trampoline_kernelINS0_14default_configENS1_27scan_by_key_config_selectorIj11FixedVectorIiLj1EEEEZZNS1_16scan_by_key_implILNS1_25lookback_scan_determinismE0ELb0ES3_N6thrust23THRUST_200600_302600_NS6detail15normal_iteratorINSB_10device_ptrIjEEEENSD_INSE_IS6_EEEESI_S6_NSB_4plusIvEENSB_8equal_toIvEES6_EE10hipError_tPvRmT2_T3_T4_T5_mT6_T7_P12ihipStream_tbENKUlT_T0_E_clISt17integral_constantIbLb0EES12_IbLb1EEEEDaSY_SZ_EUlSY_E_NS1_11comp_targetILNS1_3genE9ELNS1_11target_archE1100ELNS1_3gpuE3ELNS1_3repE0EEENS1_30default_config_static_selectorELNS0_4arch9wavefront6targetE1EEEvT1_: ; @_ZN7rocprim17ROCPRIM_400000_NS6detail17trampoline_kernelINS0_14default_configENS1_27scan_by_key_config_selectorIj11FixedVectorIiLj1EEEEZZNS1_16scan_by_key_implILNS1_25lookback_scan_determinismE0ELb0ES3_N6thrust23THRUST_200600_302600_NS6detail15normal_iteratorINSB_10device_ptrIjEEEENSD_INSE_IS6_EEEESI_S6_NSB_4plusIvEENSB_8equal_toIvEES6_EE10hipError_tPvRmT2_T3_T4_T5_mT6_T7_P12ihipStream_tbENKUlT_T0_E_clISt17integral_constantIbLb0EES12_IbLb1EEEEDaSY_SZ_EUlSY_E_NS1_11comp_targetILNS1_3genE9ELNS1_11target_archE1100ELNS1_3gpuE3ELNS1_3repE0EEENS1_30default_config_static_selectorELNS0_4arch9wavefront6targetE1EEEvT1_
; %bb.0:
	.section	.rodata,"a",@progbits
	.p2align	6, 0x0
	.amdhsa_kernel _ZN7rocprim17ROCPRIM_400000_NS6detail17trampoline_kernelINS0_14default_configENS1_27scan_by_key_config_selectorIj11FixedVectorIiLj1EEEEZZNS1_16scan_by_key_implILNS1_25lookback_scan_determinismE0ELb0ES3_N6thrust23THRUST_200600_302600_NS6detail15normal_iteratorINSB_10device_ptrIjEEEENSD_INSE_IS6_EEEESI_S6_NSB_4plusIvEENSB_8equal_toIvEES6_EE10hipError_tPvRmT2_T3_T4_T5_mT6_T7_P12ihipStream_tbENKUlT_T0_E_clISt17integral_constantIbLb0EES12_IbLb1EEEEDaSY_SZ_EUlSY_E_NS1_11comp_targetILNS1_3genE9ELNS1_11target_archE1100ELNS1_3gpuE3ELNS1_3repE0EEENS1_30default_config_static_selectorELNS0_4arch9wavefront6targetE1EEEvT1_
		.amdhsa_group_segment_fixed_size 0
		.amdhsa_private_segment_fixed_size 0
		.amdhsa_kernarg_size 112
		.amdhsa_user_sgpr_count 2
		.amdhsa_user_sgpr_dispatch_ptr 0
		.amdhsa_user_sgpr_queue_ptr 0
		.amdhsa_user_sgpr_kernarg_segment_ptr 1
		.amdhsa_user_sgpr_dispatch_id 0
		.amdhsa_user_sgpr_kernarg_preload_length 0
		.amdhsa_user_sgpr_kernarg_preload_offset 0
		.amdhsa_user_sgpr_private_segment_size 0
		.amdhsa_uses_dynamic_stack 0
		.amdhsa_enable_private_segment 0
		.amdhsa_system_sgpr_workgroup_id_x 1
		.amdhsa_system_sgpr_workgroup_id_y 0
		.amdhsa_system_sgpr_workgroup_id_z 0
		.amdhsa_system_sgpr_workgroup_info 0
		.amdhsa_system_vgpr_workitem_id 0
		.amdhsa_next_free_vgpr 1
		.amdhsa_next_free_sgpr 0
		.amdhsa_accum_offset 4
		.amdhsa_reserve_vcc 0
		.amdhsa_float_round_mode_32 0
		.amdhsa_float_round_mode_16_64 0
		.amdhsa_float_denorm_mode_32 3
		.amdhsa_float_denorm_mode_16_64 3
		.amdhsa_dx10_clamp 1
		.amdhsa_ieee_mode 1
		.amdhsa_fp16_overflow 0
		.amdhsa_tg_split 0
		.amdhsa_exception_fp_ieee_invalid_op 0
		.amdhsa_exception_fp_denorm_src 0
		.amdhsa_exception_fp_ieee_div_zero 0
		.amdhsa_exception_fp_ieee_overflow 0
		.amdhsa_exception_fp_ieee_underflow 0
		.amdhsa_exception_fp_ieee_inexact 0
		.amdhsa_exception_int_div_zero 0
	.end_amdhsa_kernel
	.section	.text._ZN7rocprim17ROCPRIM_400000_NS6detail17trampoline_kernelINS0_14default_configENS1_27scan_by_key_config_selectorIj11FixedVectorIiLj1EEEEZZNS1_16scan_by_key_implILNS1_25lookback_scan_determinismE0ELb0ES3_N6thrust23THRUST_200600_302600_NS6detail15normal_iteratorINSB_10device_ptrIjEEEENSD_INSE_IS6_EEEESI_S6_NSB_4plusIvEENSB_8equal_toIvEES6_EE10hipError_tPvRmT2_T3_T4_T5_mT6_T7_P12ihipStream_tbENKUlT_T0_E_clISt17integral_constantIbLb0EES12_IbLb1EEEEDaSY_SZ_EUlSY_E_NS1_11comp_targetILNS1_3genE9ELNS1_11target_archE1100ELNS1_3gpuE3ELNS1_3repE0EEENS1_30default_config_static_selectorELNS0_4arch9wavefront6targetE1EEEvT1_,"axG",@progbits,_ZN7rocprim17ROCPRIM_400000_NS6detail17trampoline_kernelINS0_14default_configENS1_27scan_by_key_config_selectorIj11FixedVectorIiLj1EEEEZZNS1_16scan_by_key_implILNS1_25lookback_scan_determinismE0ELb0ES3_N6thrust23THRUST_200600_302600_NS6detail15normal_iteratorINSB_10device_ptrIjEEEENSD_INSE_IS6_EEEESI_S6_NSB_4plusIvEENSB_8equal_toIvEES6_EE10hipError_tPvRmT2_T3_T4_T5_mT6_T7_P12ihipStream_tbENKUlT_T0_E_clISt17integral_constantIbLb0EES12_IbLb1EEEEDaSY_SZ_EUlSY_E_NS1_11comp_targetILNS1_3genE9ELNS1_11target_archE1100ELNS1_3gpuE3ELNS1_3repE0EEENS1_30default_config_static_selectorELNS0_4arch9wavefront6targetE1EEEvT1_,comdat
.Lfunc_end1909:
	.size	_ZN7rocprim17ROCPRIM_400000_NS6detail17trampoline_kernelINS0_14default_configENS1_27scan_by_key_config_selectorIj11FixedVectorIiLj1EEEEZZNS1_16scan_by_key_implILNS1_25lookback_scan_determinismE0ELb0ES3_N6thrust23THRUST_200600_302600_NS6detail15normal_iteratorINSB_10device_ptrIjEEEENSD_INSE_IS6_EEEESI_S6_NSB_4plusIvEENSB_8equal_toIvEES6_EE10hipError_tPvRmT2_T3_T4_T5_mT6_T7_P12ihipStream_tbENKUlT_T0_E_clISt17integral_constantIbLb0EES12_IbLb1EEEEDaSY_SZ_EUlSY_E_NS1_11comp_targetILNS1_3genE9ELNS1_11target_archE1100ELNS1_3gpuE3ELNS1_3repE0EEENS1_30default_config_static_selectorELNS0_4arch9wavefront6targetE1EEEvT1_, .Lfunc_end1909-_ZN7rocprim17ROCPRIM_400000_NS6detail17trampoline_kernelINS0_14default_configENS1_27scan_by_key_config_selectorIj11FixedVectorIiLj1EEEEZZNS1_16scan_by_key_implILNS1_25lookback_scan_determinismE0ELb0ES3_N6thrust23THRUST_200600_302600_NS6detail15normal_iteratorINSB_10device_ptrIjEEEENSD_INSE_IS6_EEEESI_S6_NSB_4plusIvEENSB_8equal_toIvEES6_EE10hipError_tPvRmT2_T3_T4_T5_mT6_T7_P12ihipStream_tbENKUlT_T0_E_clISt17integral_constantIbLb0EES12_IbLb1EEEEDaSY_SZ_EUlSY_E_NS1_11comp_targetILNS1_3genE9ELNS1_11target_archE1100ELNS1_3gpuE3ELNS1_3repE0EEENS1_30default_config_static_selectorELNS0_4arch9wavefront6targetE1EEEvT1_
                                        ; -- End function
	.section	.AMDGPU.csdata,"",@progbits
; Kernel info:
; codeLenInByte = 0
; NumSgprs: 6
; NumVgprs: 0
; NumAgprs: 0
; TotalNumVgprs: 0
; ScratchSize: 0
; MemoryBound: 0
; FloatMode: 240
; IeeeMode: 1
; LDSByteSize: 0 bytes/workgroup (compile time only)
; SGPRBlocks: 0
; VGPRBlocks: 0
; NumSGPRsForWavesPerEU: 6
; NumVGPRsForWavesPerEU: 1
; AccumOffset: 4
; Occupancy: 8
; WaveLimiterHint : 0
; COMPUTE_PGM_RSRC2:SCRATCH_EN: 0
; COMPUTE_PGM_RSRC2:USER_SGPR: 2
; COMPUTE_PGM_RSRC2:TRAP_HANDLER: 0
; COMPUTE_PGM_RSRC2:TGID_X_EN: 1
; COMPUTE_PGM_RSRC2:TGID_Y_EN: 0
; COMPUTE_PGM_RSRC2:TGID_Z_EN: 0
; COMPUTE_PGM_RSRC2:TIDIG_COMP_CNT: 0
; COMPUTE_PGM_RSRC3_GFX90A:ACCUM_OFFSET: 0
; COMPUTE_PGM_RSRC3_GFX90A:TG_SPLIT: 0
	.section	.text._ZN7rocprim17ROCPRIM_400000_NS6detail17trampoline_kernelINS0_14default_configENS1_27scan_by_key_config_selectorIj11FixedVectorIiLj1EEEEZZNS1_16scan_by_key_implILNS1_25lookback_scan_determinismE0ELb0ES3_N6thrust23THRUST_200600_302600_NS6detail15normal_iteratorINSB_10device_ptrIjEEEENSD_INSE_IS6_EEEESI_S6_NSB_4plusIvEENSB_8equal_toIvEES6_EE10hipError_tPvRmT2_T3_T4_T5_mT6_T7_P12ihipStream_tbENKUlT_T0_E_clISt17integral_constantIbLb0EES12_IbLb1EEEEDaSY_SZ_EUlSY_E_NS1_11comp_targetILNS1_3genE8ELNS1_11target_archE1030ELNS1_3gpuE2ELNS1_3repE0EEENS1_30default_config_static_selectorELNS0_4arch9wavefront6targetE1EEEvT1_,"axG",@progbits,_ZN7rocprim17ROCPRIM_400000_NS6detail17trampoline_kernelINS0_14default_configENS1_27scan_by_key_config_selectorIj11FixedVectorIiLj1EEEEZZNS1_16scan_by_key_implILNS1_25lookback_scan_determinismE0ELb0ES3_N6thrust23THRUST_200600_302600_NS6detail15normal_iteratorINSB_10device_ptrIjEEEENSD_INSE_IS6_EEEESI_S6_NSB_4plusIvEENSB_8equal_toIvEES6_EE10hipError_tPvRmT2_T3_T4_T5_mT6_T7_P12ihipStream_tbENKUlT_T0_E_clISt17integral_constantIbLb0EES12_IbLb1EEEEDaSY_SZ_EUlSY_E_NS1_11comp_targetILNS1_3genE8ELNS1_11target_archE1030ELNS1_3gpuE2ELNS1_3repE0EEENS1_30default_config_static_selectorELNS0_4arch9wavefront6targetE1EEEvT1_,comdat
	.protected	_ZN7rocprim17ROCPRIM_400000_NS6detail17trampoline_kernelINS0_14default_configENS1_27scan_by_key_config_selectorIj11FixedVectorIiLj1EEEEZZNS1_16scan_by_key_implILNS1_25lookback_scan_determinismE0ELb0ES3_N6thrust23THRUST_200600_302600_NS6detail15normal_iteratorINSB_10device_ptrIjEEEENSD_INSE_IS6_EEEESI_S6_NSB_4plusIvEENSB_8equal_toIvEES6_EE10hipError_tPvRmT2_T3_T4_T5_mT6_T7_P12ihipStream_tbENKUlT_T0_E_clISt17integral_constantIbLb0EES12_IbLb1EEEEDaSY_SZ_EUlSY_E_NS1_11comp_targetILNS1_3genE8ELNS1_11target_archE1030ELNS1_3gpuE2ELNS1_3repE0EEENS1_30default_config_static_selectorELNS0_4arch9wavefront6targetE1EEEvT1_ ; -- Begin function _ZN7rocprim17ROCPRIM_400000_NS6detail17trampoline_kernelINS0_14default_configENS1_27scan_by_key_config_selectorIj11FixedVectorIiLj1EEEEZZNS1_16scan_by_key_implILNS1_25lookback_scan_determinismE0ELb0ES3_N6thrust23THRUST_200600_302600_NS6detail15normal_iteratorINSB_10device_ptrIjEEEENSD_INSE_IS6_EEEESI_S6_NSB_4plusIvEENSB_8equal_toIvEES6_EE10hipError_tPvRmT2_T3_T4_T5_mT6_T7_P12ihipStream_tbENKUlT_T0_E_clISt17integral_constantIbLb0EES12_IbLb1EEEEDaSY_SZ_EUlSY_E_NS1_11comp_targetILNS1_3genE8ELNS1_11target_archE1030ELNS1_3gpuE2ELNS1_3repE0EEENS1_30default_config_static_selectorELNS0_4arch9wavefront6targetE1EEEvT1_
	.globl	_ZN7rocprim17ROCPRIM_400000_NS6detail17trampoline_kernelINS0_14default_configENS1_27scan_by_key_config_selectorIj11FixedVectorIiLj1EEEEZZNS1_16scan_by_key_implILNS1_25lookback_scan_determinismE0ELb0ES3_N6thrust23THRUST_200600_302600_NS6detail15normal_iteratorINSB_10device_ptrIjEEEENSD_INSE_IS6_EEEESI_S6_NSB_4plusIvEENSB_8equal_toIvEES6_EE10hipError_tPvRmT2_T3_T4_T5_mT6_T7_P12ihipStream_tbENKUlT_T0_E_clISt17integral_constantIbLb0EES12_IbLb1EEEEDaSY_SZ_EUlSY_E_NS1_11comp_targetILNS1_3genE8ELNS1_11target_archE1030ELNS1_3gpuE2ELNS1_3repE0EEENS1_30default_config_static_selectorELNS0_4arch9wavefront6targetE1EEEvT1_
	.p2align	8
	.type	_ZN7rocprim17ROCPRIM_400000_NS6detail17trampoline_kernelINS0_14default_configENS1_27scan_by_key_config_selectorIj11FixedVectorIiLj1EEEEZZNS1_16scan_by_key_implILNS1_25lookback_scan_determinismE0ELb0ES3_N6thrust23THRUST_200600_302600_NS6detail15normal_iteratorINSB_10device_ptrIjEEEENSD_INSE_IS6_EEEESI_S6_NSB_4plusIvEENSB_8equal_toIvEES6_EE10hipError_tPvRmT2_T3_T4_T5_mT6_T7_P12ihipStream_tbENKUlT_T0_E_clISt17integral_constantIbLb0EES12_IbLb1EEEEDaSY_SZ_EUlSY_E_NS1_11comp_targetILNS1_3genE8ELNS1_11target_archE1030ELNS1_3gpuE2ELNS1_3repE0EEENS1_30default_config_static_selectorELNS0_4arch9wavefront6targetE1EEEvT1_,@function
_ZN7rocprim17ROCPRIM_400000_NS6detail17trampoline_kernelINS0_14default_configENS1_27scan_by_key_config_selectorIj11FixedVectorIiLj1EEEEZZNS1_16scan_by_key_implILNS1_25lookback_scan_determinismE0ELb0ES3_N6thrust23THRUST_200600_302600_NS6detail15normal_iteratorINSB_10device_ptrIjEEEENSD_INSE_IS6_EEEESI_S6_NSB_4plusIvEENSB_8equal_toIvEES6_EE10hipError_tPvRmT2_T3_T4_T5_mT6_T7_P12ihipStream_tbENKUlT_T0_E_clISt17integral_constantIbLb0EES12_IbLb1EEEEDaSY_SZ_EUlSY_E_NS1_11comp_targetILNS1_3genE8ELNS1_11target_archE1030ELNS1_3gpuE2ELNS1_3repE0EEENS1_30default_config_static_selectorELNS0_4arch9wavefront6targetE1EEEvT1_: ; @_ZN7rocprim17ROCPRIM_400000_NS6detail17trampoline_kernelINS0_14default_configENS1_27scan_by_key_config_selectorIj11FixedVectorIiLj1EEEEZZNS1_16scan_by_key_implILNS1_25lookback_scan_determinismE0ELb0ES3_N6thrust23THRUST_200600_302600_NS6detail15normal_iteratorINSB_10device_ptrIjEEEENSD_INSE_IS6_EEEESI_S6_NSB_4plusIvEENSB_8equal_toIvEES6_EE10hipError_tPvRmT2_T3_T4_T5_mT6_T7_P12ihipStream_tbENKUlT_T0_E_clISt17integral_constantIbLb0EES12_IbLb1EEEEDaSY_SZ_EUlSY_E_NS1_11comp_targetILNS1_3genE8ELNS1_11target_archE1030ELNS1_3gpuE2ELNS1_3repE0EEENS1_30default_config_static_selectorELNS0_4arch9wavefront6targetE1EEEvT1_
; %bb.0:
	.section	.rodata,"a",@progbits
	.p2align	6, 0x0
	.amdhsa_kernel _ZN7rocprim17ROCPRIM_400000_NS6detail17trampoline_kernelINS0_14default_configENS1_27scan_by_key_config_selectorIj11FixedVectorIiLj1EEEEZZNS1_16scan_by_key_implILNS1_25lookback_scan_determinismE0ELb0ES3_N6thrust23THRUST_200600_302600_NS6detail15normal_iteratorINSB_10device_ptrIjEEEENSD_INSE_IS6_EEEESI_S6_NSB_4plusIvEENSB_8equal_toIvEES6_EE10hipError_tPvRmT2_T3_T4_T5_mT6_T7_P12ihipStream_tbENKUlT_T0_E_clISt17integral_constantIbLb0EES12_IbLb1EEEEDaSY_SZ_EUlSY_E_NS1_11comp_targetILNS1_3genE8ELNS1_11target_archE1030ELNS1_3gpuE2ELNS1_3repE0EEENS1_30default_config_static_selectorELNS0_4arch9wavefront6targetE1EEEvT1_
		.amdhsa_group_segment_fixed_size 0
		.amdhsa_private_segment_fixed_size 0
		.amdhsa_kernarg_size 112
		.amdhsa_user_sgpr_count 2
		.amdhsa_user_sgpr_dispatch_ptr 0
		.amdhsa_user_sgpr_queue_ptr 0
		.amdhsa_user_sgpr_kernarg_segment_ptr 1
		.amdhsa_user_sgpr_dispatch_id 0
		.amdhsa_user_sgpr_kernarg_preload_length 0
		.amdhsa_user_sgpr_kernarg_preload_offset 0
		.amdhsa_user_sgpr_private_segment_size 0
		.amdhsa_uses_dynamic_stack 0
		.amdhsa_enable_private_segment 0
		.amdhsa_system_sgpr_workgroup_id_x 1
		.amdhsa_system_sgpr_workgroup_id_y 0
		.amdhsa_system_sgpr_workgroup_id_z 0
		.amdhsa_system_sgpr_workgroup_info 0
		.amdhsa_system_vgpr_workitem_id 0
		.amdhsa_next_free_vgpr 1
		.amdhsa_next_free_sgpr 0
		.amdhsa_accum_offset 4
		.amdhsa_reserve_vcc 0
		.amdhsa_float_round_mode_32 0
		.amdhsa_float_round_mode_16_64 0
		.amdhsa_float_denorm_mode_32 3
		.amdhsa_float_denorm_mode_16_64 3
		.amdhsa_dx10_clamp 1
		.amdhsa_ieee_mode 1
		.amdhsa_fp16_overflow 0
		.amdhsa_tg_split 0
		.amdhsa_exception_fp_ieee_invalid_op 0
		.amdhsa_exception_fp_denorm_src 0
		.amdhsa_exception_fp_ieee_div_zero 0
		.amdhsa_exception_fp_ieee_overflow 0
		.amdhsa_exception_fp_ieee_underflow 0
		.amdhsa_exception_fp_ieee_inexact 0
		.amdhsa_exception_int_div_zero 0
	.end_amdhsa_kernel
	.section	.text._ZN7rocprim17ROCPRIM_400000_NS6detail17trampoline_kernelINS0_14default_configENS1_27scan_by_key_config_selectorIj11FixedVectorIiLj1EEEEZZNS1_16scan_by_key_implILNS1_25lookback_scan_determinismE0ELb0ES3_N6thrust23THRUST_200600_302600_NS6detail15normal_iteratorINSB_10device_ptrIjEEEENSD_INSE_IS6_EEEESI_S6_NSB_4plusIvEENSB_8equal_toIvEES6_EE10hipError_tPvRmT2_T3_T4_T5_mT6_T7_P12ihipStream_tbENKUlT_T0_E_clISt17integral_constantIbLb0EES12_IbLb1EEEEDaSY_SZ_EUlSY_E_NS1_11comp_targetILNS1_3genE8ELNS1_11target_archE1030ELNS1_3gpuE2ELNS1_3repE0EEENS1_30default_config_static_selectorELNS0_4arch9wavefront6targetE1EEEvT1_,"axG",@progbits,_ZN7rocprim17ROCPRIM_400000_NS6detail17trampoline_kernelINS0_14default_configENS1_27scan_by_key_config_selectorIj11FixedVectorIiLj1EEEEZZNS1_16scan_by_key_implILNS1_25lookback_scan_determinismE0ELb0ES3_N6thrust23THRUST_200600_302600_NS6detail15normal_iteratorINSB_10device_ptrIjEEEENSD_INSE_IS6_EEEESI_S6_NSB_4plusIvEENSB_8equal_toIvEES6_EE10hipError_tPvRmT2_T3_T4_T5_mT6_T7_P12ihipStream_tbENKUlT_T0_E_clISt17integral_constantIbLb0EES12_IbLb1EEEEDaSY_SZ_EUlSY_E_NS1_11comp_targetILNS1_3genE8ELNS1_11target_archE1030ELNS1_3gpuE2ELNS1_3repE0EEENS1_30default_config_static_selectorELNS0_4arch9wavefront6targetE1EEEvT1_,comdat
.Lfunc_end1910:
	.size	_ZN7rocprim17ROCPRIM_400000_NS6detail17trampoline_kernelINS0_14default_configENS1_27scan_by_key_config_selectorIj11FixedVectorIiLj1EEEEZZNS1_16scan_by_key_implILNS1_25lookback_scan_determinismE0ELb0ES3_N6thrust23THRUST_200600_302600_NS6detail15normal_iteratorINSB_10device_ptrIjEEEENSD_INSE_IS6_EEEESI_S6_NSB_4plusIvEENSB_8equal_toIvEES6_EE10hipError_tPvRmT2_T3_T4_T5_mT6_T7_P12ihipStream_tbENKUlT_T0_E_clISt17integral_constantIbLb0EES12_IbLb1EEEEDaSY_SZ_EUlSY_E_NS1_11comp_targetILNS1_3genE8ELNS1_11target_archE1030ELNS1_3gpuE2ELNS1_3repE0EEENS1_30default_config_static_selectorELNS0_4arch9wavefront6targetE1EEEvT1_, .Lfunc_end1910-_ZN7rocprim17ROCPRIM_400000_NS6detail17trampoline_kernelINS0_14default_configENS1_27scan_by_key_config_selectorIj11FixedVectorIiLj1EEEEZZNS1_16scan_by_key_implILNS1_25lookback_scan_determinismE0ELb0ES3_N6thrust23THRUST_200600_302600_NS6detail15normal_iteratorINSB_10device_ptrIjEEEENSD_INSE_IS6_EEEESI_S6_NSB_4plusIvEENSB_8equal_toIvEES6_EE10hipError_tPvRmT2_T3_T4_T5_mT6_T7_P12ihipStream_tbENKUlT_T0_E_clISt17integral_constantIbLb0EES12_IbLb1EEEEDaSY_SZ_EUlSY_E_NS1_11comp_targetILNS1_3genE8ELNS1_11target_archE1030ELNS1_3gpuE2ELNS1_3repE0EEENS1_30default_config_static_selectorELNS0_4arch9wavefront6targetE1EEEvT1_
                                        ; -- End function
	.section	.AMDGPU.csdata,"",@progbits
; Kernel info:
; codeLenInByte = 0
; NumSgprs: 6
; NumVgprs: 0
; NumAgprs: 0
; TotalNumVgprs: 0
; ScratchSize: 0
; MemoryBound: 0
; FloatMode: 240
; IeeeMode: 1
; LDSByteSize: 0 bytes/workgroup (compile time only)
; SGPRBlocks: 0
; VGPRBlocks: 0
; NumSGPRsForWavesPerEU: 6
; NumVGPRsForWavesPerEU: 1
; AccumOffset: 4
; Occupancy: 8
; WaveLimiterHint : 0
; COMPUTE_PGM_RSRC2:SCRATCH_EN: 0
; COMPUTE_PGM_RSRC2:USER_SGPR: 2
; COMPUTE_PGM_RSRC2:TRAP_HANDLER: 0
; COMPUTE_PGM_RSRC2:TGID_X_EN: 1
; COMPUTE_PGM_RSRC2:TGID_Y_EN: 0
; COMPUTE_PGM_RSRC2:TGID_Z_EN: 0
; COMPUTE_PGM_RSRC2:TIDIG_COMP_CNT: 0
; COMPUTE_PGM_RSRC3_GFX90A:ACCUM_OFFSET: 0
; COMPUTE_PGM_RSRC3_GFX90A:TG_SPLIT: 0
	.section	.text._ZN7rocprim17ROCPRIM_400000_NS6detail17trampoline_kernelINS0_14default_configENS1_27scan_by_key_config_selectorIj11FixedVectorIiLj1EEEEZZNS1_16scan_by_key_implILNS1_25lookback_scan_determinismE0ELb1ES3_N6thrust23THRUST_200600_302600_NS6detail15normal_iteratorINSB_10device_ptrIjEEEENSD_INSE_IS6_EEEESI_S6_NSB_4plusIvEENSB_8equal_toIvEES6_EE10hipError_tPvRmT2_T3_T4_T5_mT6_T7_P12ihipStream_tbENKUlT_T0_E_clISt17integral_constantIbLb0EES13_EEDaSY_SZ_EUlSY_E_NS1_11comp_targetILNS1_3genE0ELNS1_11target_archE4294967295ELNS1_3gpuE0ELNS1_3repE0EEENS1_30default_config_static_selectorELNS0_4arch9wavefront6targetE1EEEvT1_,"axG",@progbits,_ZN7rocprim17ROCPRIM_400000_NS6detail17trampoline_kernelINS0_14default_configENS1_27scan_by_key_config_selectorIj11FixedVectorIiLj1EEEEZZNS1_16scan_by_key_implILNS1_25lookback_scan_determinismE0ELb1ES3_N6thrust23THRUST_200600_302600_NS6detail15normal_iteratorINSB_10device_ptrIjEEEENSD_INSE_IS6_EEEESI_S6_NSB_4plusIvEENSB_8equal_toIvEES6_EE10hipError_tPvRmT2_T3_T4_T5_mT6_T7_P12ihipStream_tbENKUlT_T0_E_clISt17integral_constantIbLb0EES13_EEDaSY_SZ_EUlSY_E_NS1_11comp_targetILNS1_3genE0ELNS1_11target_archE4294967295ELNS1_3gpuE0ELNS1_3repE0EEENS1_30default_config_static_selectorELNS0_4arch9wavefront6targetE1EEEvT1_,comdat
	.protected	_ZN7rocprim17ROCPRIM_400000_NS6detail17trampoline_kernelINS0_14default_configENS1_27scan_by_key_config_selectorIj11FixedVectorIiLj1EEEEZZNS1_16scan_by_key_implILNS1_25lookback_scan_determinismE0ELb1ES3_N6thrust23THRUST_200600_302600_NS6detail15normal_iteratorINSB_10device_ptrIjEEEENSD_INSE_IS6_EEEESI_S6_NSB_4plusIvEENSB_8equal_toIvEES6_EE10hipError_tPvRmT2_T3_T4_T5_mT6_T7_P12ihipStream_tbENKUlT_T0_E_clISt17integral_constantIbLb0EES13_EEDaSY_SZ_EUlSY_E_NS1_11comp_targetILNS1_3genE0ELNS1_11target_archE4294967295ELNS1_3gpuE0ELNS1_3repE0EEENS1_30default_config_static_selectorELNS0_4arch9wavefront6targetE1EEEvT1_ ; -- Begin function _ZN7rocprim17ROCPRIM_400000_NS6detail17trampoline_kernelINS0_14default_configENS1_27scan_by_key_config_selectorIj11FixedVectorIiLj1EEEEZZNS1_16scan_by_key_implILNS1_25lookback_scan_determinismE0ELb1ES3_N6thrust23THRUST_200600_302600_NS6detail15normal_iteratorINSB_10device_ptrIjEEEENSD_INSE_IS6_EEEESI_S6_NSB_4plusIvEENSB_8equal_toIvEES6_EE10hipError_tPvRmT2_T3_T4_T5_mT6_T7_P12ihipStream_tbENKUlT_T0_E_clISt17integral_constantIbLb0EES13_EEDaSY_SZ_EUlSY_E_NS1_11comp_targetILNS1_3genE0ELNS1_11target_archE4294967295ELNS1_3gpuE0ELNS1_3repE0EEENS1_30default_config_static_selectorELNS0_4arch9wavefront6targetE1EEEvT1_
	.globl	_ZN7rocprim17ROCPRIM_400000_NS6detail17trampoline_kernelINS0_14default_configENS1_27scan_by_key_config_selectorIj11FixedVectorIiLj1EEEEZZNS1_16scan_by_key_implILNS1_25lookback_scan_determinismE0ELb1ES3_N6thrust23THRUST_200600_302600_NS6detail15normal_iteratorINSB_10device_ptrIjEEEENSD_INSE_IS6_EEEESI_S6_NSB_4plusIvEENSB_8equal_toIvEES6_EE10hipError_tPvRmT2_T3_T4_T5_mT6_T7_P12ihipStream_tbENKUlT_T0_E_clISt17integral_constantIbLb0EES13_EEDaSY_SZ_EUlSY_E_NS1_11comp_targetILNS1_3genE0ELNS1_11target_archE4294967295ELNS1_3gpuE0ELNS1_3repE0EEENS1_30default_config_static_selectorELNS0_4arch9wavefront6targetE1EEEvT1_
	.p2align	8
	.type	_ZN7rocprim17ROCPRIM_400000_NS6detail17trampoline_kernelINS0_14default_configENS1_27scan_by_key_config_selectorIj11FixedVectorIiLj1EEEEZZNS1_16scan_by_key_implILNS1_25lookback_scan_determinismE0ELb1ES3_N6thrust23THRUST_200600_302600_NS6detail15normal_iteratorINSB_10device_ptrIjEEEENSD_INSE_IS6_EEEESI_S6_NSB_4plusIvEENSB_8equal_toIvEES6_EE10hipError_tPvRmT2_T3_T4_T5_mT6_T7_P12ihipStream_tbENKUlT_T0_E_clISt17integral_constantIbLb0EES13_EEDaSY_SZ_EUlSY_E_NS1_11comp_targetILNS1_3genE0ELNS1_11target_archE4294967295ELNS1_3gpuE0ELNS1_3repE0EEENS1_30default_config_static_selectorELNS0_4arch9wavefront6targetE1EEEvT1_,@function
_ZN7rocprim17ROCPRIM_400000_NS6detail17trampoline_kernelINS0_14default_configENS1_27scan_by_key_config_selectorIj11FixedVectorIiLj1EEEEZZNS1_16scan_by_key_implILNS1_25lookback_scan_determinismE0ELb1ES3_N6thrust23THRUST_200600_302600_NS6detail15normal_iteratorINSB_10device_ptrIjEEEENSD_INSE_IS6_EEEESI_S6_NSB_4plusIvEENSB_8equal_toIvEES6_EE10hipError_tPvRmT2_T3_T4_T5_mT6_T7_P12ihipStream_tbENKUlT_T0_E_clISt17integral_constantIbLb0EES13_EEDaSY_SZ_EUlSY_E_NS1_11comp_targetILNS1_3genE0ELNS1_11target_archE4294967295ELNS1_3gpuE0ELNS1_3repE0EEENS1_30default_config_static_selectorELNS0_4arch9wavefront6targetE1EEEvT1_: ; @_ZN7rocprim17ROCPRIM_400000_NS6detail17trampoline_kernelINS0_14default_configENS1_27scan_by_key_config_selectorIj11FixedVectorIiLj1EEEEZZNS1_16scan_by_key_implILNS1_25lookback_scan_determinismE0ELb1ES3_N6thrust23THRUST_200600_302600_NS6detail15normal_iteratorINSB_10device_ptrIjEEEENSD_INSE_IS6_EEEESI_S6_NSB_4plusIvEENSB_8equal_toIvEES6_EE10hipError_tPvRmT2_T3_T4_T5_mT6_T7_P12ihipStream_tbENKUlT_T0_E_clISt17integral_constantIbLb0EES13_EEDaSY_SZ_EUlSY_E_NS1_11comp_targetILNS1_3genE0ELNS1_11target_archE4294967295ELNS1_3gpuE0ELNS1_3repE0EEENS1_30default_config_static_selectorELNS0_4arch9wavefront6targetE1EEEvT1_
; %bb.0:
	.section	.rodata,"a",@progbits
	.p2align	6, 0x0
	.amdhsa_kernel _ZN7rocprim17ROCPRIM_400000_NS6detail17trampoline_kernelINS0_14default_configENS1_27scan_by_key_config_selectorIj11FixedVectorIiLj1EEEEZZNS1_16scan_by_key_implILNS1_25lookback_scan_determinismE0ELb1ES3_N6thrust23THRUST_200600_302600_NS6detail15normal_iteratorINSB_10device_ptrIjEEEENSD_INSE_IS6_EEEESI_S6_NSB_4plusIvEENSB_8equal_toIvEES6_EE10hipError_tPvRmT2_T3_T4_T5_mT6_T7_P12ihipStream_tbENKUlT_T0_E_clISt17integral_constantIbLb0EES13_EEDaSY_SZ_EUlSY_E_NS1_11comp_targetILNS1_3genE0ELNS1_11target_archE4294967295ELNS1_3gpuE0ELNS1_3repE0EEENS1_30default_config_static_selectorELNS0_4arch9wavefront6targetE1EEEvT1_
		.amdhsa_group_segment_fixed_size 0
		.amdhsa_private_segment_fixed_size 0
		.amdhsa_kernarg_size 112
		.amdhsa_user_sgpr_count 2
		.amdhsa_user_sgpr_dispatch_ptr 0
		.amdhsa_user_sgpr_queue_ptr 0
		.amdhsa_user_sgpr_kernarg_segment_ptr 1
		.amdhsa_user_sgpr_dispatch_id 0
		.amdhsa_user_sgpr_kernarg_preload_length 0
		.amdhsa_user_sgpr_kernarg_preload_offset 0
		.amdhsa_user_sgpr_private_segment_size 0
		.amdhsa_uses_dynamic_stack 0
		.amdhsa_enable_private_segment 0
		.amdhsa_system_sgpr_workgroup_id_x 1
		.amdhsa_system_sgpr_workgroup_id_y 0
		.amdhsa_system_sgpr_workgroup_id_z 0
		.amdhsa_system_sgpr_workgroup_info 0
		.amdhsa_system_vgpr_workitem_id 0
		.amdhsa_next_free_vgpr 1
		.amdhsa_next_free_sgpr 0
		.amdhsa_accum_offset 4
		.amdhsa_reserve_vcc 0
		.amdhsa_float_round_mode_32 0
		.amdhsa_float_round_mode_16_64 0
		.amdhsa_float_denorm_mode_32 3
		.amdhsa_float_denorm_mode_16_64 3
		.amdhsa_dx10_clamp 1
		.amdhsa_ieee_mode 1
		.amdhsa_fp16_overflow 0
		.amdhsa_tg_split 0
		.amdhsa_exception_fp_ieee_invalid_op 0
		.amdhsa_exception_fp_denorm_src 0
		.amdhsa_exception_fp_ieee_div_zero 0
		.amdhsa_exception_fp_ieee_overflow 0
		.amdhsa_exception_fp_ieee_underflow 0
		.amdhsa_exception_fp_ieee_inexact 0
		.amdhsa_exception_int_div_zero 0
	.end_amdhsa_kernel
	.section	.text._ZN7rocprim17ROCPRIM_400000_NS6detail17trampoline_kernelINS0_14default_configENS1_27scan_by_key_config_selectorIj11FixedVectorIiLj1EEEEZZNS1_16scan_by_key_implILNS1_25lookback_scan_determinismE0ELb1ES3_N6thrust23THRUST_200600_302600_NS6detail15normal_iteratorINSB_10device_ptrIjEEEENSD_INSE_IS6_EEEESI_S6_NSB_4plusIvEENSB_8equal_toIvEES6_EE10hipError_tPvRmT2_T3_T4_T5_mT6_T7_P12ihipStream_tbENKUlT_T0_E_clISt17integral_constantIbLb0EES13_EEDaSY_SZ_EUlSY_E_NS1_11comp_targetILNS1_3genE0ELNS1_11target_archE4294967295ELNS1_3gpuE0ELNS1_3repE0EEENS1_30default_config_static_selectorELNS0_4arch9wavefront6targetE1EEEvT1_,"axG",@progbits,_ZN7rocprim17ROCPRIM_400000_NS6detail17trampoline_kernelINS0_14default_configENS1_27scan_by_key_config_selectorIj11FixedVectorIiLj1EEEEZZNS1_16scan_by_key_implILNS1_25lookback_scan_determinismE0ELb1ES3_N6thrust23THRUST_200600_302600_NS6detail15normal_iteratorINSB_10device_ptrIjEEEENSD_INSE_IS6_EEEESI_S6_NSB_4plusIvEENSB_8equal_toIvEES6_EE10hipError_tPvRmT2_T3_T4_T5_mT6_T7_P12ihipStream_tbENKUlT_T0_E_clISt17integral_constantIbLb0EES13_EEDaSY_SZ_EUlSY_E_NS1_11comp_targetILNS1_3genE0ELNS1_11target_archE4294967295ELNS1_3gpuE0ELNS1_3repE0EEENS1_30default_config_static_selectorELNS0_4arch9wavefront6targetE1EEEvT1_,comdat
.Lfunc_end1911:
	.size	_ZN7rocprim17ROCPRIM_400000_NS6detail17trampoline_kernelINS0_14default_configENS1_27scan_by_key_config_selectorIj11FixedVectorIiLj1EEEEZZNS1_16scan_by_key_implILNS1_25lookback_scan_determinismE0ELb1ES3_N6thrust23THRUST_200600_302600_NS6detail15normal_iteratorINSB_10device_ptrIjEEEENSD_INSE_IS6_EEEESI_S6_NSB_4plusIvEENSB_8equal_toIvEES6_EE10hipError_tPvRmT2_T3_T4_T5_mT6_T7_P12ihipStream_tbENKUlT_T0_E_clISt17integral_constantIbLb0EES13_EEDaSY_SZ_EUlSY_E_NS1_11comp_targetILNS1_3genE0ELNS1_11target_archE4294967295ELNS1_3gpuE0ELNS1_3repE0EEENS1_30default_config_static_selectorELNS0_4arch9wavefront6targetE1EEEvT1_, .Lfunc_end1911-_ZN7rocprim17ROCPRIM_400000_NS6detail17trampoline_kernelINS0_14default_configENS1_27scan_by_key_config_selectorIj11FixedVectorIiLj1EEEEZZNS1_16scan_by_key_implILNS1_25lookback_scan_determinismE0ELb1ES3_N6thrust23THRUST_200600_302600_NS6detail15normal_iteratorINSB_10device_ptrIjEEEENSD_INSE_IS6_EEEESI_S6_NSB_4plusIvEENSB_8equal_toIvEES6_EE10hipError_tPvRmT2_T3_T4_T5_mT6_T7_P12ihipStream_tbENKUlT_T0_E_clISt17integral_constantIbLb0EES13_EEDaSY_SZ_EUlSY_E_NS1_11comp_targetILNS1_3genE0ELNS1_11target_archE4294967295ELNS1_3gpuE0ELNS1_3repE0EEENS1_30default_config_static_selectorELNS0_4arch9wavefront6targetE1EEEvT1_
                                        ; -- End function
	.section	.AMDGPU.csdata,"",@progbits
; Kernel info:
; codeLenInByte = 0
; NumSgprs: 6
; NumVgprs: 0
; NumAgprs: 0
; TotalNumVgprs: 0
; ScratchSize: 0
; MemoryBound: 0
; FloatMode: 240
; IeeeMode: 1
; LDSByteSize: 0 bytes/workgroup (compile time only)
; SGPRBlocks: 0
; VGPRBlocks: 0
; NumSGPRsForWavesPerEU: 6
; NumVGPRsForWavesPerEU: 1
; AccumOffset: 4
; Occupancy: 8
; WaveLimiterHint : 0
; COMPUTE_PGM_RSRC2:SCRATCH_EN: 0
; COMPUTE_PGM_RSRC2:USER_SGPR: 2
; COMPUTE_PGM_RSRC2:TRAP_HANDLER: 0
; COMPUTE_PGM_RSRC2:TGID_X_EN: 1
; COMPUTE_PGM_RSRC2:TGID_Y_EN: 0
; COMPUTE_PGM_RSRC2:TGID_Z_EN: 0
; COMPUTE_PGM_RSRC2:TIDIG_COMP_CNT: 0
; COMPUTE_PGM_RSRC3_GFX90A:ACCUM_OFFSET: 0
; COMPUTE_PGM_RSRC3_GFX90A:TG_SPLIT: 0
	.section	.text._ZN7rocprim17ROCPRIM_400000_NS6detail17trampoline_kernelINS0_14default_configENS1_27scan_by_key_config_selectorIj11FixedVectorIiLj1EEEEZZNS1_16scan_by_key_implILNS1_25lookback_scan_determinismE0ELb1ES3_N6thrust23THRUST_200600_302600_NS6detail15normal_iteratorINSB_10device_ptrIjEEEENSD_INSE_IS6_EEEESI_S6_NSB_4plusIvEENSB_8equal_toIvEES6_EE10hipError_tPvRmT2_T3_T4_T5_mT6_T7_P12ihipStream_tbENKUlT_T0_E_clISt17integral_constantIbLb0EES13_EEDaSY_SZ_EUlSY_E_NS1_11comp_targetILNS1_3genE10ELNS1_11target_archE1201ELNS1_3gpuE5ELNS1_3repE0EEENS1_30default_config_static_selectorELNS0_4arch9wavefront6targetE1EEEvT1_,"axG",@progbits,_ZN7rocprim17ROCPRIM_400000_NS6detail17trampoline_kernelINS0_14default_configENS1_27scan_by_key_config_selectorIj11FixedVectorIiLj1EEEEZZNS1_16scan_by_key_implILNS1_25lookback_scan_determinismE0ELb1ES3_N6thrust23THRUST_200600_302600_NS6detail15normal_iteratorINSB_10device_ptrIjEEEENSD_INSE_IS6_EEEESI_S6_NSB_4plusIvEENSB_8equal_toIvEES6_EE10hipError_tPvRmT2_T3_T4_T5_mT6_T7_P12ihipStream_tbENKUlT_T0_E_clISt17integral_constantIbLb0EES13_EEDaSY_SZ_EUlSY_E_NS1_11comp_targetILNS1_3genE10ELNS1_11target_archE1201ELNS1_3gpuE5ELNS1_3repE0EEENS1_30default_config_static_selectorELNS0_4arch9wavefront6targetE1EEEvT1_,comdat
	.protected	_ZN7rocprim17ROCPRIM_400000_NS6detail17trampoline_kernelINS0_14default_configENS1_27scan_by_key_config_selectorIj11FixedVectorIiLj1EEEEZZNS1_16scan_by_key_implILNS1_25lookback_scan_determinismE0ELb1ES3_N6thrust23THRUST_200600_302600_NS6detail15normal_iteratorINSB_10device_ptrIjEEEENSD_INSE_IS6_EEEESI_S6_NSB_4plusIvEENSB_8equal_toIvEES6_EE10hipError_tPvRmT2_T3_T4_T5_mT6_T7_P12ihipStream_tbENKUlT_T0_E_clISt17integral_constantIbLb0EES13_EEDaSY_SZ_EUlSY_E_NS1_11comp_targetILNS1_3genE10ELNS1_11target_archE1201ELNS1_3gpuE5ELNS1_3repE0EEENS1_30default_config_static_selectorELNS0_4arch9wavefront6targetE1EEEvT1_ ; -- Begin function _ZN7rocprim17ROCPRIM_400000_NS6detail17trampoline_kernelINS0_14default_configENS1_27scan_by_key_config_selectorIj11FixedVectorIiLj1EEEEZZNS1_16scan_by_key_implILNS1_25lookback_scan_determinismE0ELb1ES3_N6thrust23THRUST_200600_302600_NS6detail15normal_iteratorINSB_10device_ptrIjEEEENSD_INSE_IS6_EEEESI_S6_NSB_4plusIvEENSB_8equal_toIvEES6_EE10hipError_tPvRmT2_T3_T4_T5_mT6_T7_P12ihipStream_tbENKUlT_T0_E_clISt17integral_constantIbLb0EES13_EEDaSY_SZ_EUlSY_E_NS1_11comp_targetILNS1_3genE10ELNS1_11target_archE1201ELNS1_3gpuE5ELNS1_3repE0EEENS1_30default_config_static_selectorELNS0_4arch9wavefront6targetE1EEEvT1_
	.globl	_ZN7rocprim17ROCPRIM_400000_NS6detail17trampoline_kernelINS0_14default_configENS1_27scan_by_key_config_selectorIj11FixedVectorIiLj1EEEEZZNS1_16scan_by_key_implILNS1_25lookback_scan_determinismE0ELb1ES3_N6thrust23THRUST_200600_302600_NS6detail15normal_iteratorINSB_10device_ptrIjEEEENSD_INSE_IS6_EEEESI_S6_NSB_4plusIvEENSB_8equal_toIvEES6_EE10hipError_tPvRmT2_T3_T4_T5_mT6_T7_P12ihipStream_tbENKUlT_T0_E_clISt17integral_constantIbLb0EES13_EEDaSY_SZ_EUlSY_E_NS1_11comp_targetILNS1_3genE10ELNS1_11target_archE1201ELNS1_3gpuE5ELNS1_3repE0EEENS1_30default_config_static_selectorELNS0_4arch9wavefront6targetE1EEEvT1_
	.p2align	8
	.type	_ZN7rocprim17ROCPRIM_400000_NS6detail17trampoline_kernelINS0_14default_configENS1_27scan_by_key_config_selectorIj11FixedVectorIiLj1EEEEZZNS1_16scan_by_key_implILNS1_25lookback_scan_determinismE0ELb1ES3_N6thrust23THRUST_200600_302600_NS6detail15normal_iteratorINSB_10device_ptrIjEEEENSD_INSE_IS6_EEEESI_S6_NSB_4plusIvEENSB_8equal_toIvEES6_EE10hipError_tPvRmT2_T3_T4_T5_mT6_T7_P12ihipStream_tbENKUlT_T0_E_clISt17integral_constantIbLb0EES13_EEDaSY_SZ_EUlSY_E_NS1_11comp_targetILNS1_3genE10ELNS1_11target_archE1201ELNS1_3gpuE5ELNS1_3repE0EEENS1_30default_config_static_selectorELNS0_4arch9wavefront6targetE1EEEvT1_,@function
_ZN7rocprim17ROCPRIM_400000_NS6detail17trampoline_kernelINS0_14default_configENS1_27scan_by_key_config_selectorIj11FixedVectorIiLj1EEEEZZNS1_16scan_by_key_implILNS1_25lookback_scan_determinismE0ELb1ES3_N6thrust23THRUST_200600_302600_NS6detail15normal_iteratorINSB_10device_ptrIjEEEENSD_INSE_IS6_EEEESI_S6_NSB_4plusIvEENSB_8equal_toIvEES6_EE10hipError_tPvRmT2_T3_T4_T5_mT6_T7_P12ihipStream_tbENKUlT_T0_E_clISt17integral_constantIbLb0EES13_EEDaSY_SZ_EUlSY_E_NS1_11comp_targetILNS1_3genE10ELNS1_11target_archE1201ELNS1_3gpuE5ELNS1_3repE0EEENS1_30default_config_static_selectorELNS0_4arch9wavefront6targetE1EEEvT1_: ; @_ZN7rocprim17ROCPRIM_400000_NS6detail17trampoline_kernelINS0_14default_configENS1_27scan_by_key_config_selectorIj11FixedVectorIiLj1EEEEZZNS1_16scan_by_key_implILNS1_25lookback_scan_determinismE0ELb1ES3_N6thrust23THRUST_200600_302600_NS6detail15normal_iteratorINSB_10device_ptrIjEEEENSD_INSE_IS6_EEEESI_S6_NSB_4plusIvEENSB_8equal_toIvEES6_EE10hipError_tPvRmT2_T3_T4_T5_mT6_T7_P12ihipStream_tbENKUlT_T0_E_clISt17integral_constantIbLb0EES13_EEDaSY_SZ_EUlSY_E_NS1_11comp_targetILNS1_3genE10ELNS1_11target_archE1201ELNS1_3gpuE5ELNS1_3repE0EEENS1_30default_config_static_selectorELNS0_4arch9wavefront6targetE1EEEvT1_
; %bb.0:
	.section	.rodata,"a",@progbits
	.p2align	6, 0x0
	.amdhsa_kernel _ZN7rocprim17ROCPRIM_400000_NS6detail17trampoline_kernelINS0_14default_configENS1_27scan_by_key_config_selectorIj11FixedVectorIiLj1EEEEZZNS1_16scan_by_key_implILNS1_25lookback_scan_determinismE0ELb1ES3_N6thrust23THRUST_200600_302600_NS6detail15normal_iteratorINSB_10device_ptrIjEEEENSD_INSE_IS6_EEEESI_S6_NSB_4plusIvEENSB_8equal_toIvEES6_EE10hipError_tPvRmT2_T3_T4_T5_mT6_T7_P12ihipStream_tbENKUlT_T0_E_clISt17integral_constantIbLb0EES13_EEDaSY_SZ_EUlSY_E_NS1_11comp_targetILNS1_3genE10ELNS1_11target_archE1201ELNS1_3gpuE5ELNS1_3repE0EEENS1_30default_config_static_selectorELNS0_4arch9wavefront6targetE1EEEvT1_
		.amdhsa_group_segment_fixed_size 0
		.amdhsa_private_segment_fixed_size 0
		.amdhsa_kernarg_size 112
		.amdhsa_user_sgpr_count 2
		.amdhsa_user_sgpr_dispatch_ptr 0
		.amdhsa_user_sgpr_queue_ptr 0
		.amdhsa_user_sgpr_kernarg_segment_ptr 1
		.amdhsa_user_sgpr_dispatch_id 0
		.amdhsa_user_sgpr_kernarg_preload_length 0
		.amdhsa_user_sgpr_kernarg_preload_offset 0
		.amdhsa_user_sgpr_private_segment_size 0
		.amdhsa_uses_dynamic_stack 0
		.amdhsa_enable_private_segment 0
		.amdhsa_system_sgpr_workgroup_id_x 1
		.amdhsa_system_sgpr_workgroup_id_y 0
		.amdhsa_system_sgpr_workgroup_id_z 0
		.amdhsa_system_sgpr_workgroup_info 0
		.amdhsa_system_vgpr_workitem_id 0
		.amdhsa_next_free_vgpr 1
		.amdhsa_next_free_sgpr 0
		.amdhsa_accum_offset 4
		.amdhsa_reserve_vcc 0
		.amdhsa_float_round_mode_32 0
		.amdhsa_float_round_mode_16_64 0
		.amdhsa_float_denorm_mode_32 3
		.amdhsa_float_denorm_mode_16_64 3
		.amdhsa_dx10_clamp 1
		.amdhsa_ieee_mode 1
		.amdhsa_fp16_overflow 0
		.amdhsa_tg_split 0
		.amdhsa_exception_fp_ieee_invalid_op 0
		.amdhsa_exception_fp_denorm_src 0
		.amdhsa_exception_fp_ieee_div_zero 0
		.amdhsa_exception_fp_ieee_overflow 0
		.amdhsa_exception_fp_ieee_underflow 0
		.amdhsa_exception_fp_ieee_inexact 0
		.amdhsa_exception_int_div_zero 0
	.end_amdhsa_kernel
	.section	.text._ZN7rocprim17ROCPRIM_400000_NS6detail17trampoline_kernelINS0_14default_configENS1_27scan_by_key_config_selectorIj11FixedVectorIiLj1EEEEZZNS1_16scan_by_key_implILNS1_25lookback_scan_determinismE0ELb1ES3_N6thrust23THRUST_200600_302600_NS6detail15normal_iteratorINSB_10device_ptrIjEEEENSD_INSE_IS6_EEEESI_S6_NSB_4plusIvEENSB_8equal_toIvEES6_EE10hipError_tPvRmT2_T3_T4_T5_mT6_T7_P12ihipStream_tbENKUlT_T0_E_clISt17integral_constantIbLb0EES13_EEDaSY_SZ_EUlSY_E_NS1_11comp_targetILNS1_3genE10ELNS1_11target_archE1201ELNS1_3gpuE5ELNS1_3repE0EEENS1_30default_config_static_selectorELNS0_4arch9wavefront6targetE1EEEvT1_,"axG",@progbits,_ZN7rocprim17ROCPRIM_400000_NS6detail17trampoline_kernelINS0_14default_configENS1_27scan_by_key_config_selectorIj11FixedVectorIiLj1EEEEZZNS1_16scan_by_key_implILNS1_25lookback_scan_determinismE0ELb1ES3_N6thrust23THRUST_200600_302600_NS6detail15normal_iteratorINSB_10device_ptrIjEEEENSD_INSE_IS6_EEEESI_S6_NSB_4plusIvEENSB_8equal_toIvEES6_EE10hipError_tPvRmT2_T3_T4_T5_mT6_T7_P12ihipStream_tbENKUlT_T0_E_clISt17integral_constantIbLb0EES13_EEDaSY_SZ_EUlSY_E_NS1_11comp_targetILNS1_3genE10ELNS1_11target_archE1201ELNS1_3gpuE5ELNS1_3repE0EEENS1_30default_config_static_selectorELNS0_4arch9wavefront6targetE1EEEvT1_,comdat
.Lfunc_end1912:
	.size	_ZN7rocprim17ROCPRIM_400000_NS6detail17trampoline_kernelINS0_14default_configENS1_27scan_by_key_config_selectorIj11FixedVectorIiLj1EEEEZZNS1_16scan_by_key_implILNS1_25lookback_scan_determinismE0ELb1ES3_N6thrust23THRUST_200600_302600_NS6detail15normal_iteratorINSB_10device_ptrIjEEEENSD_INSE_IS6_EEEESI_S6_NSB_4plusIvEENSB_8equal_toIvEES6_EE10hipError_tPvRmT2_T3_T4_T5_mT6_T7_P12ihipStream_tbENKUlT_T0_E_clISt17integral_constantIbLb0EES13_EEDaSY_SZ_EUlSY_E_NS1_11comp_targetILNS1_3genE10ELNS1_11target_archE1201ELNS1_3gpuE5ELNS1_3repE0EEENS1_30default_config_static_selectorELNS0_4arch9wavefront6targetE1EEEvT1_, .Lfunc_end1912-_ZN7rocprim17ROCPRIM_400000_NS6detail17trampoline_kernelINS0_14default_configENS1_27scan_by_key_config_selectorIj11FixedVectorIiLj1EEEEZZNS1_16scan_by_key_implILNS1_25lookback_scan_determinismE0ELb1ES3_N6thrust23THRUST_200600_302600_NS6detail15normal_iteratorINSB_10device_ptrIjEEEENSD_INSE_IS6_EEEESI_S6_NSB_4plusIvEENSB_8equal_toIvEES6_EE10hipError_tPvRmT2_T3_T4_T5_mT6_T7_P12ihipStream_tbENKUlT_T0_E_clISt17integral_constantIbLb0EES13_EEDaSY_SZ_EUlSY_E_NS1_11comp_targetILNS1_3genE10ELNS1_11target_archE1201ELNS1_3gpuE5ELNS1_3repE0EEENS1_30default_config_static_selectorELNS0_4arch9wavefront6targetE1EEEvT1_
                                        ; -- End function
	.section	.AMDGPU.csdata,"",@progbits
; Kernel info:
; codeLenInByte = 0
; NumSgprs: 6
; NumVgprs: 0
; NumAgprs: 0
; TotalNumVgprs: 0
; ScratchSize: 0
; MemoryBound: 0
; FloatMode: 240
; IeeeMode: 1
; LDSByteSize: 0 bytes/workgroup (compile time only)
; SGPRBlocks: 0
; VGPRBlocks: 0
; NumSGPRsForWavesPerEU: 6
; NumVGPRsForWavesPerEU: 1
; AccumOffset: 4
; Occupancy: 8
; WaveLimiterHint : 0
; COMPUTE_PGM_RSRC2:SCRATCH_EN: 0
; COMPUTE_PGM_RSRC2:USER_SGPR: 2
; COMPUTE_PGM_RSRC2:TRAP_HANDLER: 0
; COMPUTE_PGM_RSRC2:TGID_X_EN: 1
; COMPUTE_PGM_RSRC2:TGID_Y_EN: 0
; COMPUTE_PGM_RSRC2:TGID_Z_EN: 0
; COMPUTE_PGM_RSRC2:TIDIG_COMP_CNT: 0
; COMPUTE_PGM_RSRC3_GFX90A:ACCUM_OFFSET: 0
; COMPUTE_PGM_RSRC3_GFX90A:TG_SPLIT: 0
	.section	.text._ZN7rocprim17ROCPRIM_400000_NS6detail17trampoline_kernelINS0_14default_configENS1_27scan_by_key_config_selectorIj11FixedVectorIiLj1EEEEZZNS1_16scan_by_key_implILNS1_25lookback_scan_determinismE0ELb1ES3_N6thrust23THRUST_200600_302600_NS6detail15normal_iteratorINSB_10device_ptrIjEEEENSD_INSE_IS6_EEEESI_S6_NSB_4plusIvEENSB_8equal_toIvEES6_EE10hipError_tPvRmT2_T3_T4_T5_mT6_T7_P12ihipStream_tbENKUlT_T0_E_clISt17integral_constantIbLb0EES13_EEDaSY_SZ_EUlSY_E_NS1_11comp_targetILNS1_3genE5ELNS1_11target_archE942ELNS1_3gpuE9ELNS1_3repE0EEENS1_30default_config_static_selectorELNS0_4arch9wavefront6targetE1EEEvT1_,"axG",@progbits,_ZN7rocprim17ROCPRIM_400000_NS6detail17trampoline_kernelINS0_14default_configENS1_27scan_by_key_config_selectorIj11FixedVectorIiLj1EEEEZZNS1_16scan_by_key_implILNS1_25lookback_scan_determinismE0ELb1ES3_N6thrust23THRUST_200600_302600_NS6detail15normal_iteratorINSB_10device_ptrIjEEEENSD_INSE_IS6_EEEESI_S6_NSB_4plusIvEENSB_8equal_toIvEES6_EE10hipError_tPvRmT2_T3_T4_T5_mT6_T7_P12ihipStream_tbENKUlT_T0_E_clISt17integral_constantIbLb0EES13_EEDaSY_SZ_EUlSY_E_NS1_11comp_targetILNS1_3genE5ELNS1_11target_archE942ELNS1_3gpuE9ELNS1_3repE0EEENS1_30default_config_static_selectorELNS0_4arch9wavefront6targetE1EEEvT1_,comdat
	.protected	_ZN7rocprim17ROCPRIM_400000_NS6detail17trampoline_kernelINS0_14default_configENS1_27scan_by_key_config_selectorIj11FixedVectorIiLj1EEEEZZNS1_16scan_by_key_implILNS1_25lookback_scan_determinismE0ELb1ES3_N6thrust23THRUST_200600_302600_NS6detail15normal_iteratorINSB_10device_ptrIjEEEENSD_INSE_IS6_EEEESI_S6_NSB_4plusIvEENSB_8equal_toIvEES6_EE10hipError_tPvRmT2_T3_T4_T5_mT6_T7_P12ihipStream_tbENKUlT_T0_E_clISt17integral_constantIbLb0EES13_EEDaSY_SZ_EUlSY_E_NS1_11comp_targetILNS1_3genE5ELNS1_11target_archE942ELNS1_3gpuE9ELNS1_3repE0EEENS1_30default_config_static_selectorELNS0_4arch9wavefront6targetE1EEEvT1_ ; -- Begin function _ZN7rocprim17ROCPRIM_400000_NS6detail17trampoline_kernelINS0_14default_configENS1_27scan_by_key_config_selectorIj11FixedVectorIiLj1EEEEZZNS1_16scan_by_key_implILNS1_25lookback_scan_determinismE0ELb1ES3_N6thrust23THRUST_200600_302600_NS6detail15normal_iteratorINSB_10device_ptrIjEEEENSD_INSE_IS6_EEEESI_S6_NSB_4plusIvEENSB_8equal_toIvEES6_EE10hipError_tPvRmT2_T3_T4_T5_mT6_T7_P12ihipStream_tbENKUlT_T0_E_clISt17integral_constantIbLb0EES13_EEDaSY_SZ_EUlSY_E_NS1_11comp_targetILNS1_3genE5ELNS1_11target_archE942ELNS1_3gpuE9ELNS1_3repE0EEENS1_30default_config_static_selectorELNS0_4arch9wavefront6targetE1EEEvT1_
	.globl	_ZN7rocprim17ROCPRIM_400000_NS6detail17trampoline_kernelINS0_14default_configENS1_27scan_by_key_config_selectorIj11FixedVectorIiLj1EEEEZZNS1_16scan_by_key_implILNS1_25lookback_scan_determinismE0ELb1ES3_N6thrust23THRUST_200600_302600_NS6detail15normal_iteratorINSB_10device_ptrIjEEEENSD_INSE_IS6_EEEESI_S6_NSB_4plusIvEENSB_8equal_toIvEES6_EE10hipError_tPvRmT2_T3_T4_T5_mT6_T7_P12ihipStream_tbENKUlT_T0_E_clISt17integral_constantIbLb0EES13_EEDaSY_SZ_EUlSY_E_NS1_11comp_targetILNS1_3genE5ELNS1_11target_archE942ELNS1_3gpuE9ELNS1_3repE0EEENS1_30default_config_static_selectorELNS0_4arch9wavefront6targetE1EEEvT1_
	.p2align	8
	.type	_ZN7rocprim17ROCPRIM_400000_NS6detail17trampoline_kernelINS0_14default_configENS1_27scan_by_key_config_selectorIj11FixedVectorIiLj1EEEEZZNS1_16scan_by_key_implILNS1_25lookback_scan_determinismE0ELb1ES3_N6thrust23THRUST_200600_302600_NS6detail15normal_iteratorINSB_10device_ptrIjEEEENSD_INSE_IS6_EEEESI_S6_NSB_4plusIvEENSB_8equal_toIvEES6_EE10hipError_tPvRmT2_T3_T4_T5_mT6_T7_P12ihipStream_tbENKUlT_T0_E_clISt17integral_constantIbLb0EES13_EEDaSY_SZ_EUlSY_E_NS1_11comp_targetILNS1_3genE5ELNS1_11target_archE942ELNS1_3gpuE9ELNS1_3repE0EEENS1_30default_config_static_selectorELNS0_4arch9wavefront6targetE1EEEvT1_,@function
_ZN7rocprim17ROCPRIM_400000_NS6detail17trampoline_kernelINS0_14default_configENS1_27scan_by_key_config_selectorIj11FixedVectorIiLj1EEEEZZNS1_16scan_by_key_implILNS1_25lookback_scan_determinismE0ELb1ES3_N6thrust23THRUST_200600_302600_NS6detail15normal_iteratorINSB_10device_ptrIjEEEENSD_INSE_IS6_EEEESI_S6_NSB_4plusIvEENSB_8equal_toIvEES6_EE10hipError_tPvRmT2_T3_T4_T5_mT6_T7_P12ihipStream_tbENKUlT_T0_E_clISt17integral_constantIbLb0EES13_EEDaSY_SZ_EUlSY_E_NS1_11comp_targetILNS1_3genE5ELNS1_11target_archE942ELNS1_3gpuE9ELNS1_3repE0EEENS1_30default_config_static_selectorELNS0_4arch9wavefront6targetE1EEEvT1_: ; @_ZN7rocprim17ROCPRIM_400000_NS6detail17trampoline_kernelINS0_14default_configENS1_27scan_by_key_config_selectorIj11FixedVectorIiLj1EEEEZZNS1_16scan_by_key_implILNS1_25lookback_scan_determinismE0ELb1ES3_N6thrust23THRUST_200600_302600_NS6detail15normal_iteratorINSB_10device_ptrIjEEEENSD_INSE_IS6_EEEESI_S6_NSB_4plusIvEENSB_8equal_toIvEES6_EE10hipError_tPvRmT2_T3_T4_T5_mT6_T7_P12ihipStream_tbENKUlT_T0_E_clISt17integral_constantIbLb0EES13_EEDaSY_SZ_EUlSY_E_NS1_11comp_targetILNS1_3genE5ELNS1_11target_archE942ELNS1_3gpuE9ELNS1_3repE0EEENS1_30default_config_static_selectorELNS0_4arch9wavefront6targetE1EEEvT1_
; %bb.0:
	s_load_dwordx8 s[48:55], s[0:1], 0x0
	s_load_dword s76, s[0:1], 0x20
	s_load_dwordx4 s[56:59], s[0:1], 0x28
	s_load_dwordx2 s[68:69], s[0:1], 0x38
	s_load_dword s3, s[0:1], 0x40
	s_load_dwordx4 s[60:63], s[0:1], 0x48
	s_waitcnt lgkmcnt(0)
	s_lshl_b64 s[64:65], s[50:51], 2
	s_add_u32 s4, s48, s64
	s_addc_u32 s5, s49, s65
	s_add_u32 s6, s52, s64
	s_mul_i32 s0, s69, s3
	s_mul_hi_u32 s1, s68, s3
	s_addc_u32 s7, s53, s65
	s_add_i32 s8, s1, s0
	s_mul_i32 s0, s2, 0x1700
	s_mov_b32 s1, 0
	s_lshl_b64 s[66:67], s[0:1], 2
	s_add_u32 s70, s4, s66
	s_addc_u32 s71, s5, s67
	s_add_u32 s52, s6, s66
	s_mul_i32 s3, s68, s3
	s_addc_u32 s53, s7, s67
	s_add_u32 s0, s3, s2
	s_addc_u32 s1, s8, 0
	s_add_u32 s6, s60, -1
	s_addc_u32 s7, s61, -1
	v_mov_b64_e32 v[2:3], s[6:7]
	v_cmp_ge_u64_e64 s[0:1], s[0:1], v[2:3]
	s_mov_b64 s[4:5], -1
	s_and_b64 vcc, exec, s[0:1]
	s_mul_i32 s33, s6, 0xffffe900
	s_barrier
	s_cbranch_vccz .LBB1913_142
; %bb.1:
	v_mov_b64_e32 v[2:3], s[70:71]
	flat_load_dword v1, v[2:3]
	s_add_i32 s3, s33, s58
	v_cmp_gt_u32_e32 vcc, s3, v0
	s_waitcnt vmcnt(0) lgkmcnt(0)
	v_mov_b32_e32 v4, v1
	s_and_saveexec_b64 s[4:5], vcc
	s_cbranch_execz .LBB1913_3
; %bb.2:
	v_lshlrev_b32_e32 v2, 2, v0
	v_mov_b32_e32 v3, 0
	v_lshl_add_u64 v[2:3], s[70:71], 0, v[2:3]
	flat_load_dword v4, v[2:3]
.LBB1913_3:
	s_or_b64 exec, exec, s[4:5]
	v_or_b32_e32 v2, 0x100, v0
	v_cmp_gt_u32_e64 s[48:49], s3, v2
	v_mov_b32_e32 v5, v1
	s_and_saveexec_b64 s[4:5], s[48:49]
	s_cbranch_execz .LBB1913_5
; %bb.4:
	v_lshlrev_b32_e32 v2, 2, v0
	v_mov_b32_e32 v3, 0
	v_lshl_add_u64 v[2:3], s[70:71], 0, v[2:3]
	flat_load_dword v5, v[2:3] offset:1024
.LBB1913_5:
	s_or_b64 exec, exec, s[4:5]
	v_or_b32_e32 v2, 0x200, v0
	v_cmp_gt_u32_e64 s[4:5], s3, v2
	v_mov_b32_e32 v6, v1
	s_and_saveexec_b64 s[6:7], s[4:5]
	s_cbranch_execz .LBB1913_7
; %bb.6:
	v_lshlrev_b32_e32 v2, 2, v0
	v_mov_b32_e32 v3, 0
	v_lshl_add_u64 v[2:3], s[70:71], 0, v[2:3]
	flat_load_dword v6, v[2:3] offset:2048
.LBB1913_7:
	;; [unrolled: 12-line block ×3, first 2 shown]
	s_or_b64 exec, exec, s[8:9]
	v_or_b32_e32 v2, 0x400, v0
	v_cmp_gt_u32_e64 s[8:9], s3, v2
	v_lshlrev_b32_e32 v2, 2, v2
	v_mov_b32_e32 v3, v1
	s_and_saveexec_b64 s[10:11], s[8:9]
	s_cbranch_execz .LBB1913_11
; %bb.10:
	v_mov_b32_e32 v3, 0
	v_lshl_add_u64 v[8:9], s[70:71], 0, v[2:3]
	flat_load_dword v3, v[8:9]
.LBB1913_11:
	s_or_b64 exec, exec, s[10:11]
	v_or_b32_e32 v8, 0x500, v0
	v_cmp_gt_u32_e64 s[10:11], s3, v8
	v_lshlrev_b32_e32 v10, 2, v8
	v_mov_b32_e32 v8, v1
	s_and_saveexec_b64 s[12:13], s[10:11]
	s_cbranch_execz .LBB1913_13
; %bb.12:
	v_mov_b32_e32 v11, 0
	v_lshl_add_u64 v[8:9], s[70:71], 0, v[10:11]
	flat_load_dword v8, v[8:9]
.LBB1913_13:
	;; [unrolled: 12-line block ×18, first 2 shown]
	s_or_b64 exec, exec, s[46:47]
	v_or_b32_e32 v41, 0x1600, v0
	v_cmp_gt_u32_e64 s[46:47], s3, v41
	v_lshlrev_b32_e32 v44, 2, v41
	s_and_saveexec_b64 s[50:51], s[46:47]
	s_cbranch_execz .LBB1913_47
; %bb.46:
	v_mov_b32_e32 v45, 0
	v_lshl_add_u64 v[46:47], s[70:71], 0, v[44:45]
	flat_load_dword v1, v[46:47]
.LBB1913_47:
	s_or_b64 exec, exec, s[50:51]
	v_lshlrev_b32_e32 v46, 2, v0
	s_waitcnt vmcnt(0) lgkmcnt(0)
	ds_write2st64_b32 v46, v4, v5 offset1:4
	ds_write2st64_b32 v46, v6, v7 offset0:8 offset1:12
	ds_write2st64_b32 v46, v3, v8 offset0:16 offset1:20
	;; [unrolled: 1-line block ×10, first 2 shown]
	ds_write_b32 v46, v1 offset:22528
	v_mov_b64_e32 v[4:5], s[70:71]
	s_waitcnt lgkmcnt(0)
	s_barrier
	flat_load_dword v1, v[4:5]
	s_movk_i32 s50, 0x58
	v_mad_u32_u24 v70, v0, s50, v46
	s_movk_i32 s50, 0xffa8
	v_mad_i32_i24 v3, v0, s50, v70
	s_movk_i32 s50, 0xff
	v_cmp_ne_u32_e64 s[50:51], s50, v0
	ds_read_b32 v72, v70
	ds_read2_b32 v[68:69], v70 offset0:1 offset1:2
	ds_read2_b32 v[66:67], v70 offset0:3 offset1:4
	;; [unrolled: 1-line block ×11, first 2 shown]
	s_waitcnt lgkmcnt(0)
	ds_write_b32 v3, v72 offset:24576
	s_waitcnt lgkmcnt(0)
	s_barrier
	s_and_saveexec_b64 s[60:61], s[50:51]
	s_cbranch_execz .LBB1913_49
; %bb.48:
	s_waitcnt vmcnt(0)
	ds_read_b32 v1, v46 offset:24580
.LBB1913_49:
	s_or_b64 exec, exec, s[60:61]
	v_mov_b32_e32 v48, 0
	v_mov_b32_e32 v49, 0
	s_waitcnt lgkmcnt(0)
	s_barrier
	s_and_saveexec_b64 s[50:51], vcc
	s_cbranch_execz .LBB1913_51
; %bb.50:
	v_mov_b32_e32 v47, 0
	v_lshl_add_u64 v[50:51], s[52:53], 0, v[46:47]
	flat_load_dword v49, v[50:51]
.LBB1913_51:
	s_or_b64 exec, exec, s[50:51]
	s_and_saveexec_b64 s[50:51], s[48:49]
	s_cbranch_execz .LBB1913_53
; %bb.52:
	v_mov_b32_e32 v47, 0
	v_lshl_add_u64 v[50:51], s[52:53], 0, v[46:47]
	flat_load_dword v48, v[50:51] offset:1024
.LBB1913_53:
	s_or_b64 exec, exec, s[50:51]
	v_mov_b32_e32 v50, 0
	v_mov_b32_e32 v51, 0
	s_and_saveexec_b64 s[48:49], s[4:5]
	s_cbranch_execz .LBB1913_55
; %bb.54:
	v_mov_b32_e32 v47, 0
	v_lshl_add_u64 v[52:53], s[52:53], 0, v[46:47]
	flat_load_dword v51, v[52:53] offset:2048
.LBB1913_55:
	s_or_b64 exec, exec, s[48:49]
	s_and_saveexec_b64 s[4:5], s[6:7]
	s_cbranch_execz .LBB1913_57
; %bb.56:
	v_mov_b32_e32 v47, 0
	v_lshl_add_u64 v[52:53], s[52:53], 0, v[46:47]
	flat_load_dword v50, v[52:53] offset:3072
.LBB1913_57:
	s_or_b64 exec, exec, s[4:5]
	v_mov_b32_e32 v11, 0
	v_mov_b32_e32 v3, 0
	s_and_saveexec_b64 s[4:5], s[8:9]
	s_cbranch_execz .LBB1913_59
; %bb.58:
	v_mov_b32_e32 v3, 0
	v_lshl_add_u64 v[2:3], s[52:53], 0, v[2:3]
	flat_load_dword v3, v[2:3]
.LBB1913_59:
	s_or_b64 exec, exec, s[4:5]
	s_and_saveexec_b64 s[4:5], s[10:11]
	s_cbranch_execz .LBB1913_61
; %bb.60:
	v_mov_b32_e32 v11, 0
	v_lshl_add_u64 v[10:11], s[52:53], 0, v[10:11]
	flat_load_dword v11, v[10:11]
.LBB1913_61:
	s_or_b64 exec, exec, s[4:5]
	v_mov_b32_e32 v2, 0
	v_mov_b32_e32 v10, 0
	s_and_saveexec_b64 s[4:5], s[12:13]
	s_cbranch_execz .LBB1913_63
; %bb.62:
	v_mov_b32_e32 v13, 0
	v_lshl_add_u64 v[12:13], s[52:53], 0, v[12:13]
	flat_load_dword v10, v[12:13]
.LBB1913_63:
	s_or_b64 exec, exec, s[4:5]
	s_and_saveexec_b64 s[4:5], s[14:15]
	s_cbranch_execz .LBB1913_65
; %bb.64:
	v_mov_b32_e32 v15, 0
	v_lshl_add_u64 v[12:13], s[52:53], 0, v[14:15]
	flat_load_dword v2, v[12:13]
.LBB1913_65:
	;; [unrolled: 18-line block ×9, first 2 shown]
	s_or_b64 exec, exec, s[4:5]
	v_mul_u32_u24_e32 v71, 23, v0
	v_mov_b32_e32 v26, 0
	s_and_saveexec_b64 s[4:5], s[46:47]
	s_cbranch_execz .LBB1913_95
; %bb.94:
	v_mov_b32_e32 v45, 0
	v_lshl_add_u64 v[26:27], s[52:53], 0, v[44:45]
	flat_load_dword v26, v[26:27]
.LBB1913_95:
	s_or_b64 exec, exec, s[4:5]
	s_waitcnt vmcnt(0) lgkmcnt(0)
	ds_write2st64_b32 v46, v49, v48 offset1:4
	ds_write2st64_b32 v46, v51, v50 offset0:8 offset1:12
	ds_write2st64_b32 v46, v3, v11 offset0:16 offset1:20
	;; [unrolled: 1-line block ×10, first 2 shown]
	ds_write_b32 v46, v26 offset:22528
	v_mov_b64_e32 v[10:11], 0
	v_cmp_gt_u32_e32 vcc, s3, v71
	s_mov_b64 s[10:11], 0
	s_mov_b64 s[4:5], 0
	v_mov_b64_e32 v[12:13], v[10:11]
	v_mov_b64_e32 v[14:15], v[10:11]
	;; [unrolled: 1-line block ×21, first 2 shown]
	s_waitcnt lgkmcnt(0)
	s_barrier
	s_waitcnt lgkmcnt(0)
                                        ; implicit-def: $sgpr8_sgpr9
                                        ; implicit-def: $vgpr2
	s_and_saveexec_b64 s[6:7], vcc
	s_cbranch_execz .LBB1913_141
; %bb.96:
	ds_read_b32 v2, v70
	v_mov_b32_e32 v10, s76
	v_cmp_eq_u32_e32 vcc, v72, v68
	v_add_u32_e32 v3, 1, v71
	v_mov_b64_e32 v[12:13], 0
	s_waitcnt lgkmcnt(0)
	v_cndmask_b32_e32 v10, v10, v2, vcc
	v_cmp_ne_u32_e32 vcc, v72, v68
	s_mov_b64 s[12:13], 0
	v_mov_b64_e32 v[14:15], v[12:13]
	v_cndmask_b32_e64 v11, 0, 1, vcc
	v_cmp_gt_u32_e32 vcc, s3, v3
	v_mov_b64_e32 v[16:17], v[12:13]
	v_mov_b64_e32 v[18:19], v[12:13]
	;; [unrolled: 1-line block ×19, first 2 shown]
                                        ; implicit-def: $sgpr14_sgpr15
                                        ; implicit-def: $vgpr2
	s_and_saveexec_b64 s[8:9], vcc
	s_cbranch_execz .LBB1913_140
; %bb.97:
	ds_read2_b32 v[2:3], v70 offset0:1 offset1:2
	v_mov_b32_e32 v12, s76
	v_cmp_eq_u32_e32 vcc, v68, v69
	v_add_u32_e32 v14, 2, v71
	s_mov_b64 s[14:15], 0
	s_waitcnt lgkmcnt(0)
	v_cndmask_b32_e32 v12, v12, v2, vcc
	v_cmp_ne_u32_e32 vcc, v68, v69
                                        ; implicit-def: $sgpr16_sgpr17
                                        ; implicit-def: $vgpr2
	s_nop 1
	v_cndmask_b32_e64 v13, 0, 1, vcc
	v_cmp_gt_u32_e32 vcc, s3, v14
	v_mov_b64_e32 v[14:15], 0
	v_mov_b64_e32 v[16:17], v[14:15]
	;; [unrolled: 1-line block ×20, first 2 shown]
	s_and_saveexec_b64 s[10:11], vcc
	s_cbranch_execz .LBB1913_139
; %bb.98:
	v_mov_b32_e32 v14, s76
	v_cmp_eq_u32_e32 vcc, v69, v66
	v_add_u32_e32 v2, 3, v71
	v_mov_b64_e32 v[16:17], 0
	v_cndmask_b32_e32 v14, v14, v3, vcc
	v_cmp_ne_u32_e32 vcc, v69, v66
	s_mov_b64 s[16:17], 0
	v_mov_b64_e32 v[18:19], v[16:17]
	v_cndmask_b32_e64 v15, 0, 1, vcc
	v_cmp_gt_u32_e32 vcc, s3, v2
	v_mov_b64_e32 v[20:21], v[16:17]
	v_mov_b64_e32 v[22:23], v[16:17]
	;; [unrolled: 1-line block ×17, first 2 shown]
                                        ; implicit-def: $sgpr18_sgpr19
                                        ; implicit-def: $vgpr2
	s_and_saveexec_b64 s[12:13], vcc
	s_cbranch_execz .LBB1913_138
; %bb.99:
	ds_read2_b32 v[2:3], v70 offset0:3 offset1:4
	v_mov_b32_e32 v16, s76
	v_cmp_eq_u32_e32 vcc, v66, v67
	v_add_u32_e32 v18, 4, v71
	s_mov_b64 s[18:19], 0
	s_waitcnt lgkmcnt(0)
	v_cndmask_b32_e32 v16, v16, v2, vcc
	v_cmp_ne_u32_e32 vcc, v66, v67
                                        ; implicit-def: $sgpr20_sgpr21
                                        ; implicit-def: $vgpr2
	s_nop 1
	v_cndmask_b32_e64 v17, 0, 1, vcc
	v_cmp_gt_u32_e32 vcc, s3, v18
	v_mov_b64_e32 v[18:19], 0
	v_mov_b64_e32 v[20:21], v[18:19]
	;; [unrolled: 1-line block ×18, first 2 shown]
	s_and_saveexec_b64 s[14:15], vcc
	s_cbranch_execz .LBB1913_137
; %bb.100:
	v_mov_b32_e32 v18, s76
	v_cmp_eq_u32_e32 vcc, v67, v64
	v_add_u32_e32 v2, 5, v71
	v_mov_b64_e32 v[20:21], 0
	v_cndmask_b32_e32 v18, v18, v3, vcc
	v_cmp_ne_u32_e32 vcc, v67, v64
	s_mov_b64 s[20:21], 0
	v_mov_b64_e32 v[22:23], v[20:21]
	v_cndmask_b32_e64 v19, 0, 1, vcc
	v_cmp_gt_u32_e32 vcc, s3, v2
	v_mov_b64_e32 v[24:25], v[20:21]
	v_mov_b64_e32 v[26:27], v[20:21]
	;; [unrolled: 1-line block ×15, first 2 shown]
                                        ; implicit-def: $sgpr22_sgpr23
                                        ; implicit-def: $vgpr2
	s_and_saveexec_b64 s[16:17], vcc
	s_cbranch_execz .LBB1913_136
; %bb.101:
	ds_read2_b32 v[2:3], v70 offset0:5 offset1:6
	v_mov_b32_e32 v20, s76
	v_cmp_eq_u32_e32 vcc, v64, v65
	v_add_u32_e32 v22, 6, v71
	s_mov_b64 s[22:23], 0
	s_waitcnt lgkmcnt(0)
	v_cndmask_b32_e32 v20, v20, v2, vcc
	v_cmp_ne_u32_e32 vcc, v64, v65
                                        ; implicit-def: $sgpr24_sgpr25
                                        ; implicit-def: $vgpr2
	s_nop 1
	v_cndmask_b32_e64 v21, 0, 1, vcc
	v_cmp_gt_u32_e32 vcc, s3, v22
	v_mov_b64_e32 v[22:23], 0
	v_mov_b64_e32 v[24:25], v[22:23]
	;; [unrolled: 1-line block ×16, first 2 shown]
	s_and_saveexec_b64 s[18:19], vcc
	s_cbranch_execz .LBB1913_135
; %bb.102:
	v_mov_b32_e32 v22, s76
	v_cmp_eq_u32_e32 vcc, v65, v62
	v_add_u32_e32 v2, 7, v71
	v_mov_b64_e32 v[24:25], 0
	v_cndmask_b32_e32 v22, v22, v3, vcc
	v_cmp_ne_u32_e32 vcc, v65, v62
	s_mov_b64 s[24:25], 0
	v_mov_b64_e32 v[26:27], v[24:25]
	v_cndmask_b32_e64 v23, 0, 1, vcc
	v_cmp_gt_u32_e32 vcc, s3, v2
	v_mov_b64_e32 v[28:29], v[24:25]
	v_mov_b64_e32 v[30:31], v[24:25]
	;; [unrolled: 1-line block ×13, first 2 shown]
                                        ; implicit-def: $sgpr26_sgpr27
                                        ; implicit-def: $vgpr2
	s_and_saveexec_b64 s[20:21], vcc
	s_cbranch_execz .LBB1913_134
; %bb.103:
	ds_read2_b32 v[2:3], v70 offset0:7 offset1:8
	v_mov_b32_e32 v24, s76
	v_cmp_eq_u32_e32 vcc, v62, v63
	v_add_u32_e32 v26, 8, v71
	s_mov_b64 s[26:27], 0
	s_waitcnt lgkmcnt(0)
	v_cndmask_b32_e32 v24, v24, v2, vcc
	v_cmp_ne_u32_e32 vcc, v62, v63
                                        ; implicit-def: $sgpr28_sgpr29
                                        ; implicit-def: $vgpr2
	s_nop 1
	v_cndmask_b32_e64 v25, 0, 1, vcc
	v_cmp_gt_u32_e32 vcc, s3, v26
	v_mov_b64_e32 v[26:27], 0
	v_mov_b64_e32 v[28:29], v[26:27]
	;; [unrolled: 1-line block ×14, first 2 shown]
	s_and_saveexec_b64 s[22:23], vcc
	s_cbranch_execz .LBB1913_133
; %bb.104:
	v_mov_b32_e32 v26, s76
	v_cmp_eq_u32_e32 vcc, v63, v60
	v_add_u32_e32 v2, 9, v71
	v_mov_b64_e32 v[28:29], 0
	v_cndmask_b32_e32 v26, v26, v3, vcc
	v_cmp_ne_u32_e32 vcc, v63, v60
	s_mov_b64 s[28:29], 0
	v_mov_b64_e32 v[30:31], v[28:29]
	v_cndmask_b32_e64 v27, 0, 1, vcc
	v_cmp_gt_u32_e32 vcc, s3, v2
	v_mov_b64_e32 v[32:33], v[28:29]
	v_mov_b64_e32 v[34:35], v[28:29]
	;; [unrolled: 1-line block ×11, first 2 shown]
                                        ; implicit-def: $sgpr30_sgpr31
                                        ; implicit-def: $vgpr2
	s_and_saveexec_b64 s[24:25], vcc
	s_cbranch_execz .LBB1913_132
; %bb.105:
	ds_read2_b32 v[2:3], v70 offset0:9 offset1:10
	v_mov_b32_e32 v28, s76
	v_cmp_eq_u32_e32 vcc, v60, v61
	v_add_u32_e32 v30, 10, v71
	s_mov_b64 s[30:31], 0
	s_waitcnt lgkmcnt(0)
	v_cndmask_b32_e32 v28, v28, v2, vcc
	v_cmp_ne_u32_e32 vcc, v60, v61
                                        ; implicit-def: $sgpr34_sgpr35
                                        ; implicit-def: $vgpr2
	s_nop 1
	v_cndmask_b32_e64 v29, 0, 1, vcc
	v_cmp_gt_u32_e32 vcc, s3, v30
	v_mov_b64_e32 v[30:31], 0
	v_mov_b64_e32 v[32:33], v[30:31]
	;; [unrolled: 1-line block ×12, first 2 shown]
	s_and_saveexec_b64 s[26:27], vcc
	s_cbranch_execz .LBB1913_131
; %bb.106:
	v_mov_b32_e32 v30, s76
	v_cmp_eq_u32_e32 vcc, v61, v58
	v_add_u32_e32 v2, 11, v71
	v_mov_b64_e32 v[32:33], 0
	v_cndmask_b32_e32 v30, v30, v3, vcc
	v_cmp_ne_u32_e32 vcc, v61, v58
	s_mov_b64 s[34:35], 0
	v_mov_b64_e32 v[34:35], v[32:33]
	v_cndmask_b32_e64 v31, 0, 1, vcc
	v_cmp_gt_u32_e32 vcc, s3, v2
	v_mov_b64_e32 v[36:37], v[32:33]
	v_mov_b64_e32 v[38:39], v[32:33]
	;; [unrolled: 1-line block ×9, first 2 shown]
                                        ; implicit-def: $sgpr36_sgpr37
                                        ; implicit-def: $vgpr2
	s_and_saveexec_b64 s[28:29], vcc
	s_cbranch_execz .LBB1913_130
; %bb.107:
	ds_read2_b32 v[2:3], v70 offset0:11 offset1:12
	v_mov_b32_e32 v32, s76
	v_cmp_eq_u32_e32 vcc, v58, v59
	v_add_u32_e32 v34, 12, v71
	s_mov_b64 s[36:37], 0
	s_waitcnt lgkmcnt(0)
	v_cndmask_b32_e32 v32, v32, v2, vcc
	v_cmp_ne_u32_e32 vcc, v58, v59
                                        ; implicit-def: $sgpr38_sgpr39
                                        ; implicit-def: $vgpr2
	s_nop 1
	v_cndmask_b32_e64 v33, 0, 1, vcc
	v_cmp_gt_u32_e32 vcc, s3, v34
	v_mov_b64_e32 v[34:35], 0
	v_mov_b64_e32 v[36:37], v[34:35]
	;; [unrolled: 1-line block ×10, first 2 shown]
	s_and_saveexec_b64 s[30:31], vcc
	s_cbranch_execz .LBB1913_129
; %bb.108:
	v_mov_b32_e32 v34, s76
	v_cmp_eq_u32_e32 vcc, v59, v56
	v_add_u32_e32 v2, 13, v71
	v_mov_b64_e32 v[36:37], 0
	v_cndmask_b32_e32 v34, v34, v3, vcc
	v_cmp_ne_u32_e32 vcc, v59, v56
	s_mov_b64 s[38:39], 0
	v_mov_b64_e32 v[38:39], v[36:37]
	v_cndmask_b32_e64 v35, 0, 1, vcc
	v_cmp_gt_u32_e32 vcc, s3, v2
	v_mov_b64_e32 v[40:41], v[36:37]
	v_mov_b64_e32 v[42:43], v[36:37]
	;; [unrolled: 1-line block ×7, first 2 shown]
                                        ; implicit-def: $sgpr40_sgpr41
                                        ; implicit-def: $vgpr2
	s_and_saveexec_b64 s[34:35], vcc
	s_cbranch_execz .LBB1913_128
; %bb.109:
	ds_read2_b32 v[2:3], v70 offset0:13 offset1:14
	v_mov_b32_e32 v36, s76
	v_cmp_eq_u32_e32 vcc, v56, v57
	v_add_u32_e32 v38, 14, v71
	s_mov_b64 s[40:41], 0
	s_waitcnt lgkmcnt(0)
	v_cndmask_b32_e32 v36, v36, v2, vcc
	v_cmp_ne_u32_e32 vcc, v56, v57
                                        ; implicit-def: $sgpr42_sgpr43
                                        ; implicit-def: $vgpr2
	s_nop 1
	v_cndmask_b32_e64 v37, 0, 1, vcc
	v_cmp_gt_u32_e32 vcc, s3, v38
	v_mov_b64_e32 v[38:39], 0
	v_mov_b64_e32 v[40:41], v[38:39]
	;; [unrolled: 1-line block ×8, first 2 shown]
	s_and_saveexec_b64 s[36:37], vcc
	s_cbranch_execz .LBB1913_127
; %bb.110:
	v_mov_b32_e32 v38, s76
	v_cmp_eq_u32_e32 vcc, v57, v54
	v_add_u32_e32 v2, 15, v71
	v_mov_b64_e32 v[40:41], 0
	v_cndmask_b32_e32 v38, v38, v3, vcc
	v_cmp_ne_u32_e32 vcc, v57, v54
	s_mov_b64 s[42:43], 0
	v_mov_b64_e32 v[42:43], v[40:41]
	v_cndmask_b32_e64 v39, 0, 1, vcc
	v_cmp_gt_u32_e32 vcc, s3, v2
	v_mov_b64_e32 v[44:45], v[40:41]
	v_mov_b64_e32 v[46:47], v[40:41]
	;; [unrolled: 1-line block ×5, first 2 shown]
                                        ; implicit-def: $sgpr44_sgpr45
                                        ; implicit-def: $vgpr2
	s_and_saveexec_b64 s[38:39], vcc
	s_cbranch_execz .LBB1913_126
; %bb.111:
	ds_read2_b32 v[2:3], v70 offset0:15 offset1:16
	v_mov_b32_e32 v40, s76
	v_cmp_eq_u32_e32 vcc, v54, v55
	v_add_u32_e32 v42, 16, v71
	s_mov_b64 s[44:45], 0
	s_waitcnt lgkmcnt(0)
	v_cndmask_b32_e32 v40, v40, v2, vcc
	v_cmp_ne_u32_e32 vcc, v54, v55
                                        ; implicit-def: $sgpr46_sgpr47
                                        ; implicit-def: $vgpr2
	s_nop 1
	v_cndmask_b32_e64 v41, 0, 1, vcc
	v_cmp_gt_u32_e32 vcc, s3, v42
	v_mov_b64_e32 v[42:43], 0
	v_mov_b64_e32 v[44:45], v[42:43]
	;; [unrolled: 1-line block ×6, first 2 shown]
	s_and_saveexec_b64 s[40:41], vcc
	s_cbranch_execz .LBB1913_125
; %bb.112:
	v_mov_b32_e32 v42, s76
	v_cmp_eq_u32_e32 vcc, v55, v8
	v_add_u32_e32 v2, 17, v71
	v_mov_b64_e32 v[44:45], 0
	v_cndmask_b32_e32 v42, v42, v3, vcc
	v_cmp_ne_u32_e32 vcc, v55, v8
	s_mov_b64 s[46:47], 0
	v_mov_b64_e32 v[46:47], v[44:45]
	v_cndmask_b32_e64 v43, 0, 1, vcc
	v_cmp_gt_u32_e32 vcc, s3, v2
	v_mov_b64_e32 v[48:49], v[44:45]
	v_mov_b64_e32 v[50:51], v[44:45]
	;; [unrolled: 1-line block ×3, first 2 shown]
                                        ; implicit-def: $sgpr48_sgpr49
                                        ; implicit-def: $vgpr2
	s_and_saveexec_b64 s[42:43], vcc
	s_cbranch_execz .LBB1913_124
; %bb.113:
	ds_read2_b32 v[2:3], v70 offset0:17 offset1:18
	v_mov_b32_e32 v44, s76
	v_cmp_eq_u32_e32 vcc, v8, v9
	v_add_u32_e32 v46, 18, v71
	s_mov_b64 s[48:49], 0
	s_waitcnt lgkmcnt(0)
	v_cndmask_b32_e32 v44, v44, v2, vcc
	v_cmp_ne_u32_e32 vcc, v8, v9
                                        ; implicit-def: $sgpr50_sgpr51
                                        ; implicit-def: $vgpr2
	s_nop 1
	v_cndmask_b32_e64 v45, 0, 1, vcc
	v_cmp_gt_u32_e32 vcc, s3, v46
	v_mov_b64_e32 v[46:47], 0
	v_mov_b64_e32 v[48:49], v[46:47]
	;; [unrolled: 1-line block ×4, first 2 shown]
	s_and_saveexec_b64 s[44:45], vcc
	s_cbranch_execz .LBB1913_123
; %bb.114:
	v_mov_b32_e32 v8, s76
	v_cmp_eq_u32_e32 vcc, v9, v6
	v_add_u32_e32 v2, 19, v71
	v_mov_b64_e32 v[48:49], 0
	v_cndmask_b32_e32 v46, v8, v3, vcc
	v_cmp_ne_u32_e32 vcc, v9, v6
	s_mov_b64 s[50:51], 0
	v_mov_b64_e32 v[50:51], v[48:49]
	v_cndmask_b32_e64 v47, 0, 1, vcc
	v_cmp_gt_u32_e32 vcc, s3, v2
	v_mov_b64_e32 v[52:53], v[48:49]
                                        ; implicit-def: $sgpr60_sgpr61
                                        ; implicit-def: $vgpr2
	s_and_saveexec_b64 s[46:47], vcc
	s_cbranch_execz .LBB1913_122
; %bb.115:
	ds_read2_b32 v[2:3], v70 offset0:19 offset1:20
	v_mov_b32_e32 v9, s76
	v_cmp_eq_u32_e32 vcc, v6, v7
	v_add_u32_e32 v8, 20, v71
	v_mov_b64_e32 v[50:51], 0
	s_waitcnt lgkmcnt(0)
	v_cndmask_b32_e32 v48, v9, v2, vcc
	v_cmp_ne_u32_e32 vcc, v6, v7
	s_mov_b64 s[60:61], 0
	v_mov_b64_e32 v[52:53], v[50:51]
	v_cndmask_b32_e64 v49, 0, 1, vcc
	v_cmp_gt_u32_e32 vcc, s3, v8
                                        ; implicit-def: $sgpr72_sgpr73
                                        ; implicit-def: $vgpr2
	s_and_saveexec_b64 s[48:49], vcc
	s_cbranch_execz .LBB1913_121
; %bb.116:
	v_mov_b32_e32 v6, s76
	v_cmp_eq_u32_e32 vcc, v7, v4
	v_add_u32_e32 v2, 21, v71
	v_mov_b64_e32 v[52:53], 0
	v_cndmask_b32_e32 v50, v6, v3, vcc
	v_cmp_ne_u32_e32 vcc, v7, v4
                                        ; implicit-def: $sgpr72_sgpr73
	s_nop 1
	v_cndmask_b32_e64 v51, 0, 1, vcc
	v_cmp_gt_u32_e32 vcc, s3, v2
                                        ; implicit-def: $vgpr2
	s_and_saveexec_b64 s[50:51], vcc
	s_cbranch_execz .LBB1913_120
; %bb.117:
	ds_read2_b32 v[2:3], v70 offset0:21 offset1:22
	v_mov_b32_e32 v7, s76
	v_cmp_eq_u32_e32 vcc, v4, v5
	v_add_u32_e32 v6, 22, v71
                                        ; implicit-def: $sgpr72_sgpr73
	s_waitcnt lgkmcnt(0)
	v_cndmask_b32_e32 v52, v7, v2, vcc
	v_cmp_ne_u32_e32 vcc, v4, v5
                                        ; implicit-def: $vgpr2
	s_nop 1
	v_cndmask_b32_e64 v53, 0, 1, vcc
	v_cmp_gt_u32_e32 vcc, s3, v6
	s_and_saveexec_b64 s[74:75], vcc
	s_xor_b64 s[74:75], exec, s[74:75]
; %bb.118:
	v_mov_b32_e32 v2, s76
	v_cmp_ne_u32_e32 vcc, v5, v1
	s_mov_b64 s[60:61], exec
	s_and_b64 s[72:73], vcc, exec
	v_cndmask_b32_e32 v2, v3, v2, vcc
; %bb.119:
	s_or_b64 exec, exec, s[74:75]
	s_and_b64 s[72:73], s[72:73], exec
	s_and_b64 s[60:61], s[60:61], exec
.LBB1913_120:
	s_or_b64 exec, exec, s[50:51]
	s_and_b64 s[72:73], s[72:73], exec
	s_and_b64 s[50:51], s[60:61], exec
.LBB1913_121:
	s_or_b64 exec, exec, s[48:49]
	s_and_b64 s[60:61], s[72:73], exec
	s_and_b64 s[48:49], s[50:51], exec
.LBB1913_122:
	s_or_b64 exec, exec, s[46:47]
	s_and_b64 s[50:51], s[60:61], exec
	s_and_b64 s[46:47], s[48:49], exec
.LBB1913_123:
	s_or_b64 exec, exec, s[44:45]
	s_and_b64 s[48:49], s[50:51], exec
	s_and_b64 s[44:45], s[46:47], exec
.LBB1913_124:
	s_or_b64 exec, exec, s[42:43]
	s_and_b64 s[46:47], s[48:49], exec
	s_and_b64 s[42:43], s[44:45], exec
.LBB1913_125:
	s_or_b64 exec, exec, s[40:41]
	s_and_b64 s[44:45], s[46:47], exec
	s_and_b64 s[40:41], s[42:43], exec
.LBB1913_126:
	s_or_b64 exec, exec, s[38:39]
	s_and_b64 s[42:43], s[44:45], exec
	s_and_b64 s[38:39], s[40:41], exec
.LBB1913_127:
	s_or_b64 exec, exec, s[36:37]
	s_and_b64 s[40:41], s[42:43], exec
	s_and_b64 s[36:37], s[38:39], exec
.LBB1913_128:
	s_or_b64 exec, exec, s[34:35]
	s_and_b64 s[38:39], s[40:41], exec
	s_and_b64 s[34:35], s[36:37], exec
.LBB1913_129:
	s_or_b64 exec, exec, s[30:31]
	s_and_b64 s[36:37], s[38:39], exec
	s_and_b64 s[30:31], s[34:35], exec
.LBB1913_130:
	s_or_b64 exec, exec, s[28:29]
	s_and_b64 s[34:35], s[36:37], exec
	s_and_b64 s[28:29], s[30:31], exec
.LBB1913_131:
	s_or_b64 exec, exec, s[26:27]
	s_and_b64 s[30:31], s[34:35], exec
	s_and_b64 s[26:27], s[28:29], exec
.LBB1913_132:
	s_or_b64 exec, exec, s[24:25]
	s_and_b64 s[28:29], s[30:31], exec
	s_and_b64 s[24:25], s[26:27], exec
.LBB1913_133:
	s_or_b64 exec, exec, s[22:23]
	s_and_b64 s[26:27], s[28:29], exec
	s_and_b64 s[22:23], s[24:25], exec
.LBB1913_134:
	s_or_b64 exec, exec, s[20:21]
	s_and_b64 s[24:25], s[26:27], exec
	s_and_b64 s[20:21], s[22:23], exec
.LBB1913_135:
	s_or_b64 exec, exec, s[18:19]
	s_and_b64 s[22:23], s[24:25], exec
	s_and_b64 s[18:19], s[20:21], exec
.LBB1913_136:
	s_or_b64 exec, exec, s[16:17]
	s_and_b64 s[20:21], s[22:23], exec
	s_and_b64 s[16:17], s[18:19], exec
.LBB1913_137:
	s_or_b64 exec, exec, s[14:15]
	s_and_b64 s[18:19], s[20:21], exec
	s_and_b64 s[14:15], s[16:17], exec
.LBB1913_138:
	s_or_b64 exec, exec, s[12:13]
	s_and_b64 s[16:17], s[18:19], exec
	s_and_b64 s[12:13], s[14:15], exec
.LBB1913_139:
	s_or_b64 exec, exec, s[10:11]
	s_and_b64 s[14:15], s[16:17], exec
	s_and_b64 s[10:11], s[12:13], exec
.LBB1913_140:
	s_or_b64 exec, exec, s[8:9]
	s_and_b64 s[8:9], s[14:15], exec
	s_and_b64 s[10:11], s[10:11], exec
.LBB1913_141:
	s_or_b64 exec, exec, s[6:7]
	s_mov_b64 s[6:7], 0
	s_and_b64 vcc, exec, s[4:5]
	v_lshlrev_b32_e32 v54, 2, v0
	s_cbranch_vccnz .LBB1913_143
	s_branch .LBB1913_148
.LBB1913_142:
	s_mov_b64 s[10:11], 0
                                        ; implicit-def: $sgpr8_sgpr9
                                        ; implicit-def: $vgpr10_vgpr11
                                        ; implicit-def: $vgpr12_vgpr13
                                        ; implicit-def: $vgpr14_vgpr15
                                        ; implicit-def: $vgpr16_vgpr17
                                        ; implicit-def: $vgpr18_vgpr19
                                        ; implicit-def: $vgpr20_vgpr21
                                        ; implicit-def: $vgpr22_vgpr23
                                        ; implicit-def: $vgpr24_vgpr25
                                        ; implicit-def: $vgpr26_vgpr27
                                        ; implicit-def: $vgpr28_vgpr29
                                        ; implicit-def: $vgpr30_vgpr31
                                        ; implicit-def: $vgpr32_vgpr33
                                        ; implicit-def: $vgpr34_vgpr35
                                        ; implicit-def: $vgpr36_vgpr37
                                        ; implicit-def: $vgpr38_vgpr39
                                        ; implicit-def: $vgpr40_vgpr41
                                        ; implicit-def: $vgpr42_vgpr43
                                        ; implicit-def: $vgpr44_vgpr45
                                        ; implicit-def: $vgpr46_vgpr47
                                        ; implicit-def: $vgpr48_vgpr49
                                        ; implicit-def: $vgpr50_vgpr51
                                        ; implicit-def: $vgpr52_vgpr53
                                        ; implicit-def: $vgpr2
                                        ; implicit-def: $sgpr6_sgpr7
	s_and_b64 vcc, exec, s[4:5]
	v_lshlrev_b32_e32 v54, 2, v0
	s_cbranch_vccz .LBB1913_148
.LBB1913_143:
	v_mov_b32_e32 v55, 0
	v_lshl_add_u64 v[2:3], s[70:71], 0, v[54:55]
	v_add_co_u32_e32 v4, vcc, 0x1000, v2
	s_movk_i32 s6, 0x58
	s_nop 0
	v_addc_co_u32_e32 v5, vcc, 0, v3, vcc
	flat_load_dword v1, v[2:3]
	flat_load_dword v8, v[2:3] offset:1024
	flat_load_dword v9, v[2:3] offset:2048
	;; [unrolled: 1-line block ×3, first 2 shown]
	flat_load_dword v11, v[4:5]
	flat_load_dword v12, v[4:5] offset:1024
	flat_load_dword v13, v[4:5] offset:2048
	flat_load_dword v14, v[4:5] offset:3072
	v_add_co_u32_e32 v4, vcc, 0x2000, v2
	s_movk_i32 s10, 0x1000
	s_nop 0
	v_addc_co_u32_e32 v5, vcc, 0, v3, vcc
	v_add_co_u32_e32 v6, vcc, 0x3000, v2
	s_mov_b32 s4, 0
	s_nop 0
	v_addc_co_u32_e32 v7, vcc, 0, v3, vcc
	flat_load_dword v15, v[4:5]
	flat_load_dword v16, v[4:5] offset:1024
	flat_load_dword v17, v[4:5] offset:2048
	;; [unrolled: 1-line block ×3, first 2 shown]
	flat_load_dword v19, v[6:7]
	flat_load_dword v20, v[6:7] offset:1024
	flat_load_dword v21, v[6:7] offset:2048
	;; [unrolled: 1-line block ×3, first 2 shown]
	v_add_co_u32_e32 v4, vcc, 0x4000, v2
	s_movk_i32 s9, 0x2000
	s_nop 0
	v_addc_co_u32_e32 v5, vcc, 0, v3, vcc
	v_add_co_u32_e32 v2, vcc, 0x5000, v2
	s_movk_i32 s8, 0x3000
	s_nop 0
	v_addc_co_u32_e32 v3, vcc, 0, v3, vcc
	flat_load_dword v6, v[4:5]
	flat_load_dword v7, v[4:5] offset:1024
	flat_load_dword v23, v[4:5] offset:2048
	;; [unrolled: 1-line block ×3, first 2 shown]
	flat_load_dword v25, v[2:3]
	flat_load_dword v26, v[2:3] offset:1024
	flat_load_dword v27, v[2:3] offset:2048
	v_mov_b32_e32 v2, s70
	v_mov_b32_e32 v3, s71
	v_add_co_u32_e32 v2, vcc, 0x5000, v2
	s_movk_i32 s5, 0x4000
	s_nop 0
	v_addc_co_u32_e32 v3, vcc, 0, v3, vcc
	s_movk_i32 s3, 0x5000
	s_waitcnt vmcnt(0) lgkmcnt(0)
	ds_write2st64_b32 v54, v1, v8 offset1:4
	ds_write2st64_b32 v54, v9, v10 offset0:8 offset1:12
	ds_write2st64_b32 v54, v11, v12 offset0:16 offset1:20
	;; [unrolled: 1-line block ×10, first 2 shown]
	ds_write_b32 v54, v27 offset:22528
	s_waitcnt lgkmcnt(0)
	s_barrier
	flat_load_dword v1, v[2:3] offset:3072
	v_mad_u32_u24 v12, v0, s6, v54
	s_movk_i32 s6, 0xffa8
	v_mad_i32_i24 v11, v0, s6, v12
	s_movk_i32 s6, 0xff
	v_cmp_ne_u32_e32 vcc, s6, v0
	ds_read_b32 v10, v12
	ds_read2_b32 v[14:15], v12 offset0:1 offset1:2
	ds_read2_b32 v[18:19], v12 offset0:3 offset1:4
	ds_read2_b32 v[22:23], v12 offset0:5 offset1:6
	ds_read2_b32 v[26:27], v12 offset0:7 offset1:8
	ds_read2_b32 v[30:31], v12 offset0:9 offset1:10
	ds_read2_b32 v[34:35], v12 offset0:11 offset1:12
	ds_read2_b32 v[38:39], v12 offset0:13 offset1:14
	ds_read2_b32 v[8:9], v12 offset0:15 offset1:16
	ds_read2_b32 v[6:7], v12 offset0:17 offset1:18
	ds_read2_b32 v[4:5], v12 offset0:19 offset1:20
	ds_read2_b32 v[2:3], v12 offset0:21 offset1:22
	s_waitcnt lgkmcnt(0)
	ds_write_b32 v11, v10 offset:24576
	s_waitcnt lgkmcnt(0)
	s_barrier
	s_and_saveexec_b64 s[6:7], vcc
	s_cbranch_execz .LBB1913_145
; %bb.144:
	s_waitcnt vmcnt(0)
	ds_read_b32 v1, v54 offset:24580
.LBB1913_145:
	s_or_b64 exec, exec, s[6:7]
	v_lshl_add_u64 v[16:17], s[52:53], 0, v[54:55]
	v_add_co_u32_e32 v20, vcc, s10, v16
	s_waitcnt lgkmcnt(0)
	s_nop 0
	v_addc_co_u32_e32 v21, vcc, 0, v17, vcc
	s_barrier
	flat_load_dword v11, v[16:17]
	flat_load_dword v13, v[16:17] offset:1024
	flat_load_dword v28, v[16:17] offset:2048
	;; [unrolled: 1-line block ×3, first 2 shown]
	flat_load_dword v32, v[20:21]
	flat_load_dword v33, v[20:21] offset:1024
	flat_load_dword v36, v[20:21] offset:2048
	;; [unrolled: 1-line block ×3, first 2 shown]
	v_add_co_u32_e32 v20, vcc, s9, v16
	s_nop 1
	v_addc_co_u32_e32 v21, vcc, 0, v17, vcc
	v_add_co_u32_e32 v24, vcc, s8, v16
	s_nop 1
	v_addc_co_u32_e32 v25, vcc, 0, v17, vcc
	flat_load_dword v40, v[20:21]
	flat_load_dword v41, v[20:21] offset:1024
	flat_load_dword v42, v[20:21] offset:2048
	;; [unrolled: 1-line block ×3, first 2 shown]
	flat_load_dword v44, v[24:25]
	flat_load_dword v45, v[24:25] offset:1024
	flat_load_dword v46, v[24:25] offset:2048
	;; [unrolled: 1-line block ×3, first 2 shown]
	v_add_co_u32_e32 v20, vcc, s5, v16
	s_mov_b32 s5, 1
	s_nop 0
	v_addc_co_u32_e32 v21, vcc, 0, v17, vcc
	v_add_co_u32_e32 v16, vcc, s3, v16
	s_nop 1
	v_addc_co_u32_e32 v17, vcc, 0, v17, vcc
	flat_load_dword v24, v[20:21]
	flat_load_dword v25, v[20:21] offset:1024
	flat_load_dword v48, v[20:21] offset:2048
	;; [unrolled: 1-line block ×3, first 2 shown]
	flat_load_dword v50, v[16:17]
	flat_load_dword v51, v[16:17] offset:1024
	flat_load_dword v52, v[16:17] offset:2048
	v_cmp_eq_u32_e32 vcc, v10, v14
	s_waitcnt vmcnt(0) lgkmcnt(0)
	ds_write2st64_b32 v54, v11, v13 offset1:4
	ds_write2st64_b32 v54, v28, v29 offset0:8 offset1:12
	ds_write2st64_b32 v54, v32, v33 offset0:16 offset1:20
	ds_write2st64_b32 v54, v36, v37 offset0:24 offset1:28
	ds_write2st64_b32 v54, v40, v41 offset0:32 offset1:36
	ds_write2st64_b32 v54, v42, v43 offset0:40 offset1:44
	ds_write2st64_b32 v54, v44, v45 offset0:48 offset1:52
	ds_write2st64_b32 v54, v46, v47 offset0:56 offset1:60
	ds_write2st64_b32 v54, v24, v25 offset0:64 offset1:68
	ds_write2st64_b32 v54, v48, v49 offset0:72 offset1:76
	ds_write2st64_b32 v54, v50, v51 offset0:80 offset1:84
	ds_write_b32 v54, v52 offset:22528
	s_waitcnt lgkmcnt(0)
	s_barrier
	ds_read2_b32 v[16:17], v12 offset0:1 offset1:2
	ds_read2_b32 v[20:21], v12 offset0:3 offset1:4
	;; [unrolled: 1-line block ×11, first 2 shown]
	v_mov_b64_e32 v[10:11], s[4:5]
	v_mov_b32_e32 v13, s76
	s_and_saveexec_b64 s[4:5], vcc
	s_cbranch_execz .LBB1913_147
; %bb.146:
	ds_read_b32 v13, v12
	v_mov_b64_e32 v[10:11], 0
.LBB1913_147:
	s_or_b64 exec, exec, s[4:5]
	v_mov_b32_e32 v55, s76
	v_cmp_eq_u32_e32 vcc, v14, v15
	s_waitcnt lgkmcnt(0)
	v_or_b32_e32 v10, v10, v13
	v_cmp_ne_u32_e64 s[8:9], v3, v1
	v_cndmask_b32_e32 v12, v55, v16, vcc
	v_cmp_ne_u32_e32 vcc, v14, v15
	s_mov_b64 s[10:11], -1
                                        ; implicit-def: $sgpr6_sgpr7
	s_nop 0
	v_cndmask_b32_e64 v13, 0, 1, vcc
	v_cmp_eq_u32_e32 vcc, v15, v18
	s_nop 1
	v_cndmask_b32_e32 v14, v55, v17, vcc
	v_cmp_ne_u32_e32 vcc, v15, v18
	s_nop 1
	v_cndmask_b32_e64 v15, 0, 1, vcc
	v_cmp_eq_u32_e32 vcc, v18, v19
	s_nop 1
	v_cndmask_b32_e32 v16, v55, v20, vcc
	v_cmp_ne_u32_e32 vcc, v18, v19
	;; [unrolled: 6-line block ×20, first 2 shown]
	v_cndmask_b32_e64 v2, v57, v55, s[8:9]
	s_nop 0
	v_cndmask_b32_e64 v53, 0, 1, vcc
.LBB1913_148:
	v_mov_b64_e32 v[56:57], s[6:7]
	s_and_saveexec_b64 s[4:5], s[10:11]
; %bb.149:
	v_cndmask_b32_e64 v3, 0, 1, s[8:9]
	v_mov_b64_e32 v[56:57], v[2:3]
; %bb.150:
	s_or_b64 exec, exec, s[4:5]
	s_mov_b32 s46, 0
	s_cmp_lg_u32 s2, 0
	v_or_b32_e32 v55, v57, v53
	v_lshrrev_b32_e32 v1, 5, v0
	v_cmp_gt_u32_e32 vcc, 64, v0
	s_barrier
	s_cbranch_scc0 .LBB1913_185
; %bb.151:
	s_mov_b32 s47, 1
	v_cmp_gt_u64_e64 s[50:51], s[46:47], v[12:13]
	v_cmp_gt_u64_e64 s[4:5], s[46:47], v[14:15]
	v_cmp_gt_u64_e64 s[6:7], s[46:47], v[16:17]
	v_cndmask_b32_e64 v2, 0, v10, s[50:51]
	v_add_u32_e32 v2, v2, v12
	v_cndmask_b32_e64 v2, 0, v2, s[4:5]
	v_add_u32_e32 v2, v2, v14
	v_cndmask_b32_e64 v2, 0, v2, s[6:7]
	v_add_u32_e32 v2, v2, v16
	v_cmp_gt_u64_e64 s[8:9], s[46:47], v[18:19]
	v_cmp_gt_u64_e64 s[10:11], s[46:47], v[20:21]
	v_cmp_gt_u64_e64 s[12:13], s[46:47], v[22:23]
	v_cndmask_b32_e64 v2, 0, v2, s[8:9]
	v_add_u32_e32 v2, v2, v18
	v_cndmask_b32_e64 v2, 0, v2, s[10:11]
	v_add_u32_e32 v2, v2, v20
	v_cndmask_b32_e64 v2, 0, v2, s[12:13]
	v_add_u32_e32 v2, v2, v22
	;; [unrolled: 9-line block ×7, first 2 shown]
	v_cmp_gt_u64_e64 s[46:47], s[46:47], v[56:57]
	s_nop 1
	v_cndmask_b32_e64 v2, 0, v2, s[46:47]
	v_add_u32_e32 v62, v2, v56
	v_or3_b32 v2, v55, v51, v49
	v_or3_b32 v2, v2, v47, v45
	;; [unrolled: 1-line block ×10, first 2 shown]
	v_and_b32_e32 v2, 1, v2
	v_cmp_eq_u32_e64 s[46:47], 1, v2
	v_add_lshl_u32 v2, v1, v0, 3
	s_nop 0
	v_cndmask_b32_e64 v63, v11, 1, s[46:47]
	ds_write_b32 v2, v62
	ds_write_b8 v2, v63 offset:4
	s_waitcnt lgkmcnt(0)
	s_barrier
	s_and_saveexec_b64 s[48:49], vcc
	s_cbranch_execz .LBB1913_163
; %bb.152:
	v_lshrrev_b32_e32 v2, 3, v0
	v_add_lshl_u32 v4, v2, v54, 3
	ds_read2_b32 v[6:7], v4 offset0:2 offset1:4
	ds_read_b64 v[2:3], v4
	ds_read_u8 v8, v4 offset:12
	ds_read_u8 v9, v4 offset:20
	ds_read_b32 v58, v4 offset:24
	ds_read_u8 v59, v4 offset:28
	v_mov_b32_e32 v60, 0
	s_waitcnt lgkmcnt(3)
	v_cmp_eq_u16_sdwa s[46:47], v8, v60 src0_sel:BYTE_0 src1_sel:DWORD
	v_and_b32_e32 v5, 1, v3
	s_nop 0
	v_cndmask_b32_e64 v61, 0, v2, s[46:47]
	v_add_u32_e32 v6, v61, v6
	s_waitcnt lgkmcnt(2)
	v_cmp_eq_u16_sdwa s[46:47], v9, v60 src0_sel:BYTE_0 src1_sel:DWORD
	s_nop 1
	v_cndmask_b32_e64 v6, 0, v6, s[46:47]
	v_add_u32_e32 v6, v6, v7
	s_waitcnt lgkmcnt(0)
	v_cmp_eq_u16_e64 s[46:47], 0, v59
	s_nop 1
	v_cndmask_b32_e64 v6, 0, v6, s[46:47]
	v_add_u32_e32 v7, v6, v58
	v_or_b32_e32 v6, v59, v9
	v_or_b32_e32 v6, v6, v8
	v_and_b32_e32 v6, 1, v6
	v_cmp_eq_u32_e64 s[46:47], 1, v6
	v_mbcnt_lo_u32_b32 v8, -1, 0
	v_and_b32_e32 v6, 0xffffff00, v3
	v_cndmask_b32_e64 v9, v5, 1, s[46:47]
	v_mbcnt_hi_u32_b32 v8, -1, v8
	v_and_b32_e32 v59, 15, v8
	v_or_b32_sdwa v58, v6, v9 dst_sel:DWORD dst_unused:UNUSED_PAD src0_sel:DWORD src1_sel:WORD_0
	v_mov_b32_dpp v60, v7 row_shr:1 row_mask:0xf bank_mask:0xf
	v_cmp_ne_u32_e64 s[46:47], 0, v59
	v_mov_b32_dpp v61, v58 row_shr:1 row_mask:0xf bank_mask:0xf
	s_and_saveexec_b64 s[52:53], s[46:47]
; %bb.153:
	v_and_b32_e32 v58, 1, v9
	v_and_b32_e32 v61, 1, v61
	v_cmp_eq_u32_e64 s[46:47], 1, v58
	s_nop 1
	v_cndmask_b32_e64 v61, v61, 1, s[46:47]
	v_cmp_eq_u16_e64 s[46:47], 0, v9
	v_or_b32_sdwa v58, v6, v61 dst_sel:DWORD dst_unused:UNUSED_PAD src0_sel:DWORD src1_sel:WORD_0
	s_nop 0
	v_cndmask_b32_e64 v9, 0, v60, s[46:47]
	v_add_u32_e32 v7, v9, v7
	v_mov_b32_e32 v9, v61
; %bb.154:
	s_or_b64 exec, exec, s[52:53]
	v_mov_b32_dpp v60, v7 row_shr:2 row_mask:0xf bank_mask:0xf
	v_mov_b32_dpp v61, v58 row_shr:2 row_mask:0xf bank_mask:0xf
	v_cmp_lt_u32_e64 s[46:47], 1, v59
	s_and_saveexec_b64 s[52:53], s[46:47]
; %bb.155:
	v_and_b32_e32 v58, 1, v9
	v_and_b32_e32 v61, 1, v61
	v_cmp_eq_u32_e64 s[46:47], 1, v58
	s_nop 1
	v_cndmask_b32_e64 v61, v61, 1, s[46:47]
	v_cmp_eq_u16_e64 s[46:47], 0, v9
	v_or_b32_sdwa v58, v6, v61 dst_sel:DWORD dst_unused:UNUSED_PAD src0_sel:DWORD src1_sel:WORD_0
	s_nop 0
	v_cndmask_b32_e64 v9, 0, v60, s[46:47]
	v_add_u32_e32 v7, v9, v7
	v_mov_b32_e32 v9, v61
; %bb.156:
	s_or_b64 exec, exec, s[52:53]
	v_mov_b32_dpp v60, v7 row_shr:4 row_mask:0xf bank_mask:0xf
	v_mov_b32_dpp v61, v58 row_shr:4 row_mask:0xf bank_mask:0xf
	v_cmp_lt_u32_e64 s[46:47], 3, v59
	;; [unrolled: 18-line block ×3, first 2 shown]
	s_and_saveexec_b64 s[52:53], s[46:47]
; %bb.159:
	v_and_b32_e32 v58, 1, v9
	v_and_b32_e32 v59, 1, v61
	v_cmp_eq_u32_e64 s[46:47], 1, v58
	s_nop 1
	v_cndmask_b32_e64 v59, v59, 1, s[46:47]
	v_cmp_eq_u16_e64 s[46:47], 0, v9
	v_or_b32_sdwa v58, v6, v59 dst_sel:DWORD dst_unused:UNUSED_PAD src0_sel:DWORD src1_sel:WORD_0
	s_nop 0
	v_cndmask_b32_e64 v9, 0, v60, s[46:47]
	v_add_u32_e32 v7, v9, v7
	v_mov_b32_e32 v9, v59
; %bb.160:
	s_or_b64 exec, exec, s[52:53]
	v_and_b32_e32 v61, 16, v8
	v_mov_b32_dpp v59, v7 row_bcast:15 row_mask:0xf bank_mask:0xf
	v_mov_b32_dpp v60, v58 row_bcast:15 row_mask:0xf bank_mask:0xf
	v_cmp_ne_u32_e64 s[46:47], 0, v61
	s_and_saveexec_b64 s[52:53], s[46:47]
; %bb.161:
	v_and_b32_e32 v58, 1, v9
	v_and_b32_e32 v60, 1, v60
	v_cmp_eq_u32_e64 s[46:47], 1, v58
	s_nop 1
	v_cndmask_b32_e64 v60, v60, 1, s[46:47]
	v_cmp_eq_u16_e64 s[46:47], 0, v9
	v_or_b32_sdwa v58, v6, v60 dst_sel:DWORD dst_unused:UNUSED_PAD src0_sel:DWORD src1_sel:WORD_0
	s_nop 0
	v_cndmask_b32_e64 v9, 0, v59, s[46:47]
	v_add_u32_e32 v7, v9, v7
	v_mov_b32_e32 v9, v60
; %bb.162:
	s_or_b64 exec, exec, s[52:53]
	v_mov_b32_dpp v58, v58 row_bcast:31 row_mask:0xf bank_mask:0xf
	v_and_b32_e32 v60, 1, v9
	v_and_b32_e32 v58, 1, v58
	v_cmp_eq_u32_e64 s[46:47], 1, v60
	v_mov_b32_e32 v60, 0
	v_cmp_eq_u16_sdwa s[52:53], v9, v60 src0_sel:BYTE_0 src1_sel:DWORD
	v_cndmask_b32_e64 v58, v58, 1, s[46:47]
	v_cmp_lt_u32_e64 s[46:47], 31, v8
	v_mov_b32_dpp v59, v7 row_bcast:31 row_mask:0xf bank_mask:0xf
	s_movk_i32 s3, 0xff
	v_cndmask_b32_e64 v9, v9, v58, s[46:47]
	s_and_b64 s[46:47], s[46:47], s[52:53]
	v_cndmask_b32_e64 v58, 0, v59, s[46:47]
	v_add_u32_e32 v7, v58, v7
	v_add_u32_e32 v58, -1, v8
	v_and_b32_e32 v59, 64, v8
	v_cmp_lt_i32_e64 s[46:47], v58, v59
	v_and_or_b32 v6, v9, s3, v6
	s_nop 0
	v_cndmask_b32_e64 v8, v58, v8, s[46:47]
	v_lshlrev_b32_e32 v8, 2, v8
	ds_bpermute_b32 v7, v8, v7
	ds_bpermute_b32 v6, v8, v6
	v_cmp_eq_u16_sdwa s[46:47], v3, v60 src0_sel:BYTE_0 src1_sel:DWORD
	; wave barrier
	s_waitcnt lgkmcnt(1)
	s_nop 0
	v_cndmask_b32_e64 v3, 0, v7, s[46:47]
	v_add_u32_e32 v2, v3, v2
	s_waitcnt lgkmcnt(0)
	v_and_b32_e32 v3, 1, v6
	v_cmp_eq_u32_e64 s[46:47], 1, v5
	s_nop 1
	v_cndmask_b32_e64 v3, v3, 1, s[46:47]
	v_cmp_eq_u32_e64 s[46:47], 0, v0
	s_nop 1
	v_cndmask_b32_e64 v5, v2, v62, s[46:47]
	v_cndmask_b32_e64 v6, v3, v63, s[46:47]
	ds_write_b32 v4, v5
	ds_write_b8 v4, v6 offset:4
	; wave barrier
	ds_read_u8 v7, v4 offset:12
	ds_read2_b32 v[2:3], v4 offset0:2 offset1:4
	ds_read_u8 v8, v4 offset:20
	ds_read_b32 v9, v4 offset:24
	ds_read_u8 v58, v4 offset:28
	s_waitcnt lgkmcnt(4)
	v_cmp_eq_u16_e64 s[46:47], 0, v7
	s_nop 1
	v_cndmask_b32_e64 v5, 0, v5, s[46:47]
	s_waitcnt lgkmcnt(3)
	v_add_u32_e32 v2, v5, v2
	v_and_b32_e32 v5, 1, v7
	v_cmp_eq_u32_e64 s[46:47], 1, v5
	s_nop 1
	v_cndmask_b32_e64 v5, v6, 1, s[46:47]
	s_waitcnt lgkmcnt(2)
	v_cmp_eq_u16_e64 s[46:47], 0, v8
	ds_write_b8 v4, v5 offset:12
	s_nop 0
	v_cndmask_b32_e64 v6, 0, v2, s[46:47]
	v_add_u32_e32 v3, v6, v3
	v_and_b32_e32 v6, 1, v8
	v_cmp_eq_u32_e64 s[46:47], 1, v6
	s_nop 1
	v_cndmask_b32_e64 v5, v5, 1, s[46:47]
	s_waitcnt lgkmcnt(1)
	v_cmp_eq_u16_e64 s[46:47], 0, v58
	ds_write2_b32 v4, v2, v3 offset0:2 offset1:4
	ds_write_b8 v4, v5 offset:20
	v_cndmask_b32_e64 v2, 0, v3, s[46:47]
	v_and_b32_e32 v3, 1, v58
	v_add_u32_e32 v2, v2, v9
	v_cmp_eq_u32_e64 s[46:47], 1, v3
	s_nop 1
	v_cndmask_b32_e64 v3, v5, 1, s[46:47]
	ds_write_b32 v4, v2 offset:24
	ds_write_b8 v4, v3 offset:28
.LBB1913_163:
	s_or_b64 exec, exec, s[48:49]
	v_cmp_eq_u32_e64 s[46:47], 0, v0
	v_cmp_ne_u32_e64 s[48:49], 0, v0
	s_waitcnt lgkmcnt(0)
	s_barrier
	s_and_saveexec_b64 s[52:53], s[48:49]
	s_cbranch_execz .LBB1913_165
; %bb.164:
	v_add_u32_e32 v2, -1, v0
	v_lshrrev_b32_e32 v3, 5, v2
	v_add_lshl_u32 v2, v3, v2, 3
	ds_read_b32 v62, v2
	ds_read_u8 v63, v2 offset:4
.LBB1913_165:
	s_or_b64 exec, exec, s[52:53]
	s_and_saveexec_b64 s[60:61], vcc
	s_cbranch_execz .LBB1913_184
; %bb.166:
	v_mov_b32_e32 v5, 0
	ds_read_b64 v[2:3], v5 offset:2096
	v_mbcnt_lo_u32_b32 v4, -1, 0
	v_mbcnt_hi_u32_b32 v73, -1, v4
	s_mov_b32 s71, 0
	v_cmp_eq_u32_e64 s[48:49], 0, v73
	s_waitcnt lgkmcnt(0)
	v_readfirstlane_b32 s3, v3
	s_and_saveexec_b64 s[52:53], s[48:49]
	s_cbranch_execz .LBB1913_168
; %bb.167:
	s_add_i32 s70, s2, 64
	s_lshl_b64 s[72:73], s[70:71], 4
	s_add_u32 s72, s56, s72
	s_addc_u32 s73, s57, s73
	s_and_b32 s75, s3, 0xff000000
	s_mov_b32 s74, s71
	s_and_b32 s79, s3, 0xff0000
	s_mov_b32 s78, s71
	s_or_b64 s[74:75], s[78:79], s[74:75]
	s_and_b32 s79, s3, 0xff00
	s_or_b64 s[74:75], s[74:75], s[78:79]
	s_and_b32 s79, s3, 0xff
	s_or_b64 s[70:71], s[74:75], s[78:79]
	v_mov_b32_e32 v3, s71
	v_mov_b32_e32 v4, 1
	v_mov_b64_e32 v[6:7], s[72:73]
	;;#ASMSTART
	global_store_dwordx4 v[6:7], v[2:5] off sc1	
s_waitcnt vmcnt(0)
	;;#ASMEND
.LBB1913_168:
	s_or_b64 exec, exec, s[52:53]
	v_xad_u32 v58, v73, -1, s2
	v_add_u32_e32 v4, 64, v58
	v_lshl_add_u64 v[60:61], v[4:5], 4, s[56:57]
	;;#ASMSTART
	global_load_dwordx4 v[6:9], v[60:61] off sc1	
s_waitcnt vmcnt(0)
	;;#ASMEND
	s_nop 0
	v_and_b32_e32 v3, 0xff0000, v6
	v_and_b32_e32 v4, 0xff000000, v6
	;; [unrolled: 1-line block ×3, first 2 shown]
	v_or_b32_sdwa v3, v6, v3 dst_sel:DWORD dst_unused:UNUSED_PAD src0_sel:WORD_0 src1_sel:DWORD
	v_or3_b32 v7, 0, 0, v7
	v_or3_b32 v6, v3, v4, 0
	v_cmp_eq_u16_sdwa s[70:71], v8, v5 src0_sel:BYTE_0 src1_sel:DWORD
	s_and_saveexec_b64 s[52:53], s[70:71]
	s_cbranch_execz .LBB1913_172
; %bb.169:
	s_mov_b64 s[70:71], 0
	v_mov_b32_e32 v3, 0
.LBB1913_170:                           ; =>This Inner Loop Header: Depth=1
	;;#ASMSTART
	global_load_dwordx4 v[6:9], v[60:61] off sc1	
s_waitcnt vmcnt(0)
	;;#ASMEND
	s_nop 0
	v_cmp_ne_u16_sdwa s[72:73], v8, v3 src0_sel:BYTE_0 src1_sel:DWORD
	s_or_b64 s[70:71], s[72:73], s[70:71]
	s_andn2_b64 exec, exec, s[70:71]
	s_cbranch_execnz .LBB1913_170
; %bb.171:
	s_or_b64 exec, exec, s[70:71]
	v_and_b32_e32 v7, 0xff, v7
.LBB1913_172:
	s_or_b64 exec, exec, s[52:53]
	v_mov_b32_e32 v3, 2
	v_cmp_eq_u16_sdwa s[52:53], v8, v3 src0_sel:BYTE_0 src1_sel:DWORD
	v_lshlrev_b64 v[4:5], v73, -1
	v_and_b32_e32 v64, 63, v73
	v_and_b32_e32 v9, s53, v5
	v_or_b32_e32 v9, 0x80000000, v9
	v_and_b32_e32 v59, s52, v4
	v_ffbl_b32_e32 v9, v9
	v_add_u32_e32 v9, 32, v9
	v_ffbl_b32_e32 v59, v59
	v_cmp_ne_u32_e32 vcc, 63, v64
	v_min_u32_e32 v9, v59, v9
	s_mov_b32 s70, 0
	v_addc_co_u32_e32 v59, vcc, 0, v73, vcc
	v_lshlrev_b32_e32 v65, 2, v59
	ds_bpermute_b32 v59, v65, v7
	ds_bpermute_b32 v60, v65, v6
	v_and_b32_e32 v61, 1, v7
	s_mov_b32 s71, 1
	v_cmp_eq_u32_e32 vcc, 1, v61
	s_waitcnt lgkmcnt(1)
	v_and_b32_e32 v59, 1, v59
	v_cmp_lt_u32_e64 s[52:53], v64, v9
	v_cndmask_b32_e64 v59, v59, 1, vcc
	v_cmp_gt_u64_e32 vcc, s[70:71], v[6:7]
	s_and_b64 vcc, s[52:53], vcc
	v_and_b32_e32 v61, 0xffff, v59
	v_cndmask_b32_e64 v68, v7, v59, s[52:53]
	s_waitcnt lgkmcnt(0)
	v_cndmask_b32_e32 v59, 0, v60, vcc
	v_cmp_gt_u32_e32 vcc, 62, v64
	v_cndmask_b32_e64 v7, v7, v61, s[52:53]
	v_add_u32_e32 v6, v59, v6
	v_cndmask_b32_e64 v60, 0, 1, vcc
	v_lshlrev_b32_e32 v60, 1, v60
	v_add_lshl_u32 v66, v60, v73, 2
	ds_bpermute_b32 v60, v66, v7
	ds_bpermute_b32 v61, v66, v6
	v_and_b32_e32 v59, 1, v68
	v_cmp_eq_u32_e32 vcc, 1, v59
	v_mov_b32_e32 v59, 0
	s_waitcnt lgkmcnt(1)
	v_and_b32_e32 v60, 1, v60
	v_add_u32_e32 v67, 2, v64
	v_cndmask_b32_e64 v60, v60, 1, vcc
	v_cmp_eq_u16_sdwa vcc, v68, v59 src0_sel:BYTE_0 src1_sel:DWORD
	v_and_b32_e32 v69, 0xffff, v60
	v_add_u32_e32 v77, 32, v64
	s_waitcnt lgkmcnt(0)
	v_cndmask_b32_e32 v61, 0, v61, vcc
	v_cmp_gt_u32_e32 vcc, v67, v9
	s_nop 1
	v_cndmask_b32_e32 v60, v60, v68, vcc
	v_cndmask_b32_e64 v61, v61, 0, vcc
	v_cndmask_b32_e32 v7, v69, v7, vcc
	v_cmp_gt_u32_e32 vcc, 60, v64
	v_add_u32_e32 v6, v61, v6
	v_and_b32_e32 v71, 1, v60
	v_cndmask_b32_e64 v68, 0, 1, vcc
	v_lshlrev_b32_e32 v68, 2, v68
	v_add_lshl_u32 v68, v68, v73, 2
	ds_bpermute_b32 v70, v68, v7
	ds_bpermute_b32 v61, v68, v6
	v_cmp_eq_u32_e32 vcc, 1, v71
	v_add_u32_e32 v69, 4, v64
	s_waitcnt lgkmcnt(1)
	v_and_b32_e32 v70, 1, v70
	v_cndmask_b32_e64 v70, v70, 1, vcc
	v_cmp_eq_u16_sdwa vcc, v60, v59 src0_sel:BYTE_0 src1_sel:DWORD
	v_and_b32_e32 v71, 0xffff, v70
	s_waitcnt lgkmcnt(0)
	v_cndmask_b32_e32 v61, 0, v61, vcc
	v_cmp_gt_u32_e32 vcc, v69, v9
	s_nop 1
	v_cndmask_b32_e32 v60, v70, v60, vcc
	v_cndmask_b32_e64 v61, v61, 0, vcc
	v_cndmask_b32_e32 v7, v71, v7, vcc
	v_cmp_gt_u32_e32 vcc, 56, v64
	v_add_u32_e32 v6, v61, v6
	v_and_b32_e32 v74, 1, v60
	v_cndmask_b32_e64 v70, 0, 1, vcc
	v_lshlrev_b32_e32 v70, 3, v70
	v_add_lshl_u32 v70, v70, v73, 2
	ds_bpermute_b32 v72, v70, v7
	ds_bpermute_b32 v61, v70, v6
	v_cmp_eq_u32_e32 vcc, 1, v74
	v_add_u32_e32 v71, 8, v64
	s_waitcnt lgkmcnt(1)
	v_and_b32_e32 v72, 1, v72
	v_cndmask_b32_e64 v72, v72, 1, vcc
	v_cmp_eq_u16_sdwa vcc, v60, v59 src0_sel:BYTE_0 src1_sel:DWORD
	v_and_b32_e32 v74, 0xffff, v72
	;; [unrolled: 22-line block ×3, first 2 shown]
	s_waitcnt lgkmcnt(0)
	v_cndmask_b32_e32 v61, 0, v61, vcc
	v_cmp_gt_u32_e32 vcc, v74, v9
	s_nop 1
	v_cndmask_b32_e32 v60, v75, v60, vcc
	v_cndmask_b32_e64 v61, v61, 0, vcc
	v_cndmask_b32_e32 v7, v76, v7, vcc
	v_cmp_gt_u32_e32 vcc, 32, v64
	v_add_u32_e32 v6, v61, v6
	s_nop 0
	v_cndmask_b32_e64 v75, 0, 1, vcc
	v_lshlrev_b32_e32 v75, 5, v75
	v_add_lshl_u32 v76, v75, v73, 2
	ds_bpermute_b32 v7, v76, v7
	ds_bpermute_b32 v61, v76, v6
	v_and_b32_e32 v73, 1, v60
	v_cmp_eq_u32_e32 vcc, 1, v73
	s_waitcnt lgkmcnt(1)
	v_and_b32_e32 v7, 1, v7
	v_cndmask_b32_e64 v7, v7, 1, vcc
	v_cmp_eq_u16_sdwa vcc, v60, v59 src0_sel:BYTE_0 src1_sel:DWORD
	s_waitcnt lgkmcnt(0)
	s_nop 0
	v_cndmask_b32_e32 v61, 0, v61, vcc
	v_cmp_gt_u32_e32 vcc, v77, v9
	s_nop 1
	v_cndmask_b32_e64 v9, v61, 0, vcc
	v_cndmask_b32_e32 v7, v7, v60, vcc
	v_add_u32_e32 v6, v9, v6
	s_branch .LBB1913_174
.LBB1913_173:                           ;   in Loop: Header=BB1913_174 Depth=1
	s_or_b64 exec, exec, s[52:53]
	v_cmp_eq_u16_sdwa s[52:53], v8, v3 src0_sel:BYTE_0 src1_sel:DWORD
	ds_bpermute_b32 v61, v65, v7
	v_and_b32_e32 v78, 1, v7
	v_and_b32_e32 v9, s53, v5
	v_or_b32_e32 v9, 0x80000000, v9
	v_and_b32_e32 v60, s52, v4
	v_ffbl_b32_e32 v9, v9
	v_add_u32_e32 v9, 32, v9
	v_ffbl_b32_e32 v60, v60
	v_min_u32_e32 v9, v60, v9
	ds_bpermute_b32 v60, v65, v6
	s_waitcnt lgkmcnt(1)
	v_and_b32_e32 v61, 1, v61
	v_cmp_eq_u32_e32 vcc, 1, v78
	v_cmp_lt_u32_e64 s[52:53], v64, v9
	v_subrev_u32_e32 v58, 64, v58
	v_cndmask_b32_e64 v61, v61, 1, vcc
	v_cmp_gt_u64_e32 vcc, s[70:71], v[6:7]
	v_and_b32_e32 v78, 0xffff, v61
	v_cndmask_b32_e64 v61, v7, v61, s[52:53]
	v_cndmask_b32_e64 v7, v7, v78, s[52:53]
	s_and_b64 vcc, s[52:53], vcc
	ds_bpermute_b32 v78, v66, v7
	s_waitcnt lgkmcnt(1)
	v_cndmask_b32_e32 v60, 0, v60, vcc
	v_add_u32_e32 v6, v60, v6
	ds_bpermute_b32 v60, v66, v6
	v_and_b32_e32 v79, 1, v61
	s_waitcnt lgkmcnt(1)
	v_and_b32_e32 v78, 1, v78
	v_cmp_eq_u32_e32 vcc, 1, v79
	s_nop 1
	v_cndmask_b32_e64 v78, v78, 1, vcc
	v_cmp_eq_u16_sdwa vcc, v61, v59 src0_sel:BYTE_0 src1_sel:DWORD
	v_and_b32_e32 v79, 0xffff, v78
	s_waitcnt lgkmcnt(0)
	v_cndmask_b32_e32 v60, 0, v60, vcc
	v_cmp_gt_u32_e32 vcc, v67, v9
	s_nop 1
	v_cndmask_b32_e32 v7, v79, v7, vcc
	v_cndmask_b32_e32 v61, v78, v61, vcc
	ds_bpermute_b32 v78, v68, v7
	v_cndmask_b32_e64 v60, v60, 0, vcc
	v_add_u32_e32 v6, v60, v6
	ds_bpermute_b32 v60, v68, v6
	v_and_b32_e32 v79, 1, v61
	s_waitcnt lgkmcnt(1)
	v_and_b32_e32 v78, 1, v78
	v_cmp_eq_u32_e32 vcc, 1, v79
	s_nop 1
	v_cndmask_b32_e64 v78, v78, 1, vcc
	v_cmp_eq_u16_sdwa vcc, v61, v59 src0_sel:BYTE_0 src1_sel:DWORD
	v_and_b32_e32 v79, 0xffff, v78
	s_waitcnt lgkmcnt(0)
	v_cndmask_b32_e32 v60, 0, v60, vcc
	v_cmp_gt_u32_e32 vcc, v69, v9
	s_nop 1
	v_cndmask_b32_e32 v7, v79, v7, vcc
	v_cndmask_b32_e32 v61, v78, v61, vcc
	ds_bpermute_b32 v78, v70, v7
	v_cndmask_b32_e64 v60, v60, 0, vcc
	;; [unrolled: 18-line block ×3, first 2 shown]
	v_add_u32_e32 v6, v60, v6
	ds_bpermute_b32 v60, v72, v6
	v_and_b32_e32 v79, 1, v61
	s_waitcnt lgkmcnt(1)
	v_and_b32_e32 v78, 1, v78
	v_cmp_eq_u32_e32 vcc, 1, v79
	s_nop 1
	v_cndmask_b32_e64 v78, v78, 1, vcc
	v_cmp_eq_u16_sdwa vcc, v61, v59 src0_sel:BYTE_0 src1_sel:DWORD
	v_and_b32_e32 v79, 0xffff, v78
	s_waitcnt lgkmcnt(0)
	v_cndmask_b32_e32 v60, 0, v60, vcc
	v_cmp_gt_u32_e32 vcc, v74, v9
	s_nop 1
	v_cndmask_b32_e64 v60, v60, 0, vcc
	v_cndmask_b32_e32 v7, v79, v7, vcc
	ds_bpermute_b32 v7, v76, v7
	v_add_u32_e32 v6, v60, v6
	ds_bpermute_b32 v60, v76, v6
	v_cndmask_b32_e32 v61, v78, v61, vcc
	v_and_b32_e32 v78, 1, v61
	v_cmp_eq_u32_e32 vcc, 1, v78
	s_waitcnt lgkmcnt(1)
	s_nop 0
	v_cndmask_b32_e64 v7, v7, 1, vcc
	v_cmp_eq_u16_sdwa vcc, v61, v59 src0_sel:BYTE_0 src1_sel:DWORD
	s_waitcnt lgkmcnt(0)
	s_nop 0
	v_cndmask_b32_e32 v60, 0, v60, vcc
	v_cmp_gt_u32_e32 vcc, v77, v9
	s_nop 1
	v_cndmask_b32_e64 v9, v60, 0, vcc
	v_cndmask_b32_e32 v7, v7, v61, vcc
	v_add_u32_e32 v6, v9, v6
	v_cmp_eq_u16_sdwa vcc, v73, v59 src0_sel:BYTE_0 src1_sel:DWORD
	v_and_b32_e32 v9, 1, v73
	v_and_b32_e32 v7, 1, v7
	v_cndmask_b32_e32 v6, 0, v6, vcc
	v_cmp_eq_u32_e32 vcc, 1, v9
	v_add_u32_e32 v6, v6, v75
	s_nop 0
	v_cndmask_b32_e64 v7, v7, 1, vcc
.LBB1913_174:                           ; =>This Loop Header: Depth=1
                                        ;     Child Loop BB1913_177 Depth 2
	v_cmp_ne_u16_sdwa s[52:53], v8, v3 src0_sel:BYTE_0 src1_sel:DWORD
	v_mov_b32_e32 v73, v7
	v_mov_b32_e32 v75, v6
	v_cndmask_b32_e64 v7, 0, 1, s[52:53]
	;;#ASMSTART
	;;#ASMEND
	s_nop 0
	v_cmp_ne_u32_e32 vcc, 0, v7
	s_cmp_lg_u64 vcc, exec
	s_cbranch_scc1 .LBB1913_179
; %bb.175:                              ;   in Loop: Header=BB1913_174 Depth=1
	v_lshl_add_u64 v[60:61], v[58:59], 4, s[56:57]
	;;#ASMSTART
	global_load_dwordx4 v[6:9], v[60:61] off sc1	
s_waitcnt vmcnt(0)
	;;#ASMEND
	s_nop 0
	v_and_b32_e32 v9, 0xff0000, v6
	v_and_b32_e32 v78, 0xff000000, v6
	;; [unrolled: 1-line block ×3, first 2 shown]
	v_or_b32_sdwa v6, v6, v9 dst_sel:DWORD dst_unused:UNUSED_PAD src0_sel:WORD_0 src1_sel:DWORD
	v_or3_b32 v7, 0, 0, v7
	v_or3_b32 v6, v6, v78, 0
	v_cmp_eq_u16_sdwa s[72:73], v8, v59 src0_sel:BYTE_0 src1_sel:DWORD
	s_and_saveexec_b64 s[52:53], s[72:73]
	s_cbranch_execz .LBB1913_173
; %bb.176:                              ;   in Loop: Header=BB1913_174 Depth=1
	s_mov_b64 s[72:73], 0
.LBB1913_177:                           ;   Parent Loop BB1913_174 Depth=1
                                        ; =>  This Inner Loop Header: Depth=2
	;;#ASMSTART
	global_load_dwordx4 v[6:9], v[60:61] off sc1	
s_waitcnt vmcnt(0)
	;;#ASMEND
	s_nop 0
	v_cmp_ne_u16_sdwa s[74:75], v8, v59 src0_sel:BYTE_0 src1_sel:DWORD
	s_or_b64 s[72:73], s[74:75], s[72:73]
	s_andn2_b64 exec, exec, s[72:73]
	s_cbranch_execnz .LBB1913_177
; %bb.178:                              ;   in Loop: Header=BB1913_174 Depth=1
	s_or_b64 exec, exec, s[72:73]
	v_and_b32_e32 v7, 0xff, v7
	s_branch .LBB1913_173
.LBB1913_179:                           ;   in Loop: Header=BB1913_174 Depth=1
                                        ; implicit-def: $vgpr7
                                        ; implicit-def: $vgpr6
                                        ; implicit-def: $vgpr8
	s_cbranch_execz .LBB1913_174
; %bb.180:
	s_and_saveexec_b64 s[52:53], s[48:49]
	s_cbranch_execz .LBB1913_182
; %bb.181:
	s_and_b32 s48, s3, 0xff
	s_cmp_eq_u32 s48, 0
	s_cselect_b64 vcc, -1, 0
	s_bitcmp1_b32 s3, 0
	s_mov_b32 s49, 0
	s_cselect_b64 s[70:71], -1, 0
	s_add_i32 s48, s2, 64
	s_lshl_b64 s[2:3], s[48:49], 4
	v_cndmask_b32_e32 v3, 0, v75, vcc
	s_add_u32 s2, s56, s2
	v_add_u32_e32 v2, v3, v2
	v_and_b32_e32 v3, 1, v73
	s_addc_u32 s3, s57, s3
	v_mov_b32_e32 v5, 0
	v_cndmask_b32_e64 v3, v3, 1, s[70:71]
	v_mov_b32_e32 v4, 2
	v_mov_b64_e32 v[6:7], s[2:3]
	;;#ASMSTART
	global_store_dwordx4 v[6:7], v[2:5] off sc1	
s_waitcnt vmcnt(0)
	;;#ASMEND
.LBB1913_182:
	s_or_b64 exec, exec, s[52:53]
	s_and_b64 exec, exec, s[46:47]
	s_cbranch_execz .LBB1913_184
; %bb.183:
	v_mov_b32_e32 v2, 0
	ds_write_b32 v2, v75
	ds_write_b8 v2, v73 offset:4
.LBB1913_184:
	s_or_b64 exec, exec, s[60:61]
	v_mov_b32_e32 v2, 0
	s_waitcnt lgkmcnt(0)
	s_barrier
	ds_read_b32 v3, v2
	v_cmp_eq_u16_sdwa vcc, v63, v2 src0_sel:BYTE_0 src1_sel:DWORD
	s_waitcnt lgkmcnt(0)
	s_nop 0
	v_cndmask_b32_e32 v4, 0, v3, vcc
	v_add_u32_e32 v4, v4, v62
	v_cndmask_b32_e64 v58, v4, v3, s[46:47]
	v_and_b32_e32 v3, 0xff, v11
	v_cmp_eq_u64_e32 vcc, 0, v[2:3]
	s_nop 1
	v_cndmask_b32_e32 v2, 0, v58, vcc
	v_add_u32_e32 v59, v2, v10
	v_cndmask_b32_e64 v2, 0, v59, s[50:51]
	v_add_u32_e32 v60, v2, v12
	v_cndmask_b32_e64 v2, 0, v60, s[4:5]
	;; [unrolled: 2-line block ×21, first 2 shown]
	v_add_u32_e32 v80, v2, v52
	s_branch .LBB1913_205
.LBB1913_185:
                                        ; implicit-def: $vgpr79
                                        ; implicit-def: $vgpr78
                                        ; implicit-def: $vgpr77
                                        ; implicit-def: $vgpr76
                                        ; implicit-def: $vgpr75
                                        ; implicit-def: $vgpr74
                                        ; implicit-def: $vgpr73
                                        ; implicit-def: $vgpr72
                                        ; implicit-def: $vgpr71
                                        ; implicit-def: $vgpr70
                                        ; implicit-def: $vgpr69
                                        ; implicit-def: $vgpr68
                                        ; implicit-def: $vgpr67
                                        ; implicit-def: $vgpr66
                                        ; implicit-def: $vgpr65
                                        ; implicit-def: $vgpr64
                                        ; implicit-def: $vgpr63
                                        ; implicit-def: $vgpr62
                                        ; implicit-def: $vgpr61
                                        ; implicit-def: $vgpr60
                                        ; implicit-def: $vgpr59
                                        ; implicit-def: $vgpr58
                                        ; implicit-def: $vgpr80
	s_cbranch_execz .LBB1913_205
; %bb.186:
	s_cmp_lg_u64 s[68:69], 0
	s_cselect_b32 s3, s63, 0
	s_cselect_b32 s2, s62, 0
	s_mov_b32 s44, 0
	s_cmp_eq_u64 s[2:3], 0
	v_mov_b32_e32 v4, s76
	s_cbranch_scc1 .LBB1913_188
; %bb.187:
	v_mov_b32_e32 v2, 0
	global_load_dword v4, v2, s[2:3]
.LBB1913_188:
	s_mov_b32 s45, 1
	v_cmp_gt_u64_e32 vcc, s[44:45], v[12:13]
	v_cmp_gt_u64_e64 s[2:3], s[44:45], v[14:15]
	v_cmp_gt_u64_e64 s[4:5], s[44:45], v[16:17]
	v_cndmask_b32_e32 v2, 0, v10, vcc
	v_add_u32_e32 v2, v2, v12
	v_cndmask_b32_e64 v2, 0, v2, s[2:3]
	v_add_u32_e32 v2, v2, v14
	v_cndmask_b32_e64 v2, 0, v2, s[4:5]
	v_add_u32_e32 v2, v2, v16
	v_cmp_gt_u64_e64 s[6:7], s[44:45], v[18:19]
	v_cmp_gt_u64_e64 s[8:9], s[44:45], v[20:21]
	v_cmp_gt_u64_e64 s[10:11], s[44:45], v[22:23]
	v_cndmask_b32_e64 v2, 0, v2, s[6:7]
	v_add_u32_e32 v2, v2, v18
	v_cndmask_b32_e64 v2, 0, v2, s[8:9]
	v_add_u32_e32 v2, v2, v20
	v_cndmask_b32_e64 v2, 0, v2, s[10:11]
	v_add_u32_e32 v2, v2, v22
	v_cmp_gt_u64_e64 s[12:13], s[44:45], v[24:25]
	v_cmp_gt_u64_e64 s[14:15], s[44:45], v[26:27]
	v_cmp_gt_u64_e64 s[16:17], s[44:45], v[28:29]
	v_cndmask_b32_e64 v2, 0, v2, s[12:13]
	;; [unrolled: 9-line block ×6, first 2 shown]
	v_add_u32_e32 v2, v2, v48
	v_cndmask_b32_e64 v2, 0, v2, s[40:41]
	v_add_u32_e32 v2, v2, v50
	v_cndmask_b32_e64 v2, 0, v2, s[42:43]
	v_add_u32_e32 v2, v2, v52
	v_cmp_gt_u64_e64 s[44:45], s[44:45], v[56:57]
	v_add_lshl_u32 v1, v1, v0, 3
	s_nop 0
	v_cndmask_b32_e64 v2, 0, v2, s[44:45]
	v_add_u32_e32 v5, v2, v56
	v_or3_b32 v2, v55, v51, v49
	v_or3_b32 v2, v2, v47, v45
	v_or3_b32 v2, v2, v43, v41
	v_or3_b32 v2, v2, v39, v37
	v_or3_b32 v2, v2, v35, v33
	v_or3_b32 v2, v2, v31, v29
	v_or3_b32 v2, v2, v27, v25
	v_or3_b32 v2, v2, v23, v21
	v_or3_b32 v2, v2, v19, v17
	v_or3_b32 v2, v2, v15, v13
	v_and_b32_e32 v2, 1, v2
	v_cmp_eq_u32_e64 s[44:45], 1, v2
	s_nop 1
	v_cndmask_b32_e64 v6, v11, 1, s[44:45]
	v_cmp_gt_u32_e64 s[44:45], 64, v0
	ds_write_b32 v1, v5
	ds_write_b8 v1, v6 offset:4
	s_waitcnt lgkmcnt(0)
	s_barrier
	s_and_saveexec_b64 s[46:47], s[44:45]
	s_cbranch_execz .LBB1913_200
; %bb.189:
	v_lshrrev_b32_e32 v1, 3, v0
	v_add_lshl_u32 v1, v1, v54, 3
	ds_read2_b32 v[8:9], v1 offset0:2 offset1:4
	ds_read_b64 v[2:3], v1
	ds_read_u8 v13, v1 offset:12
	ds_read_u8 v15, v1 offset:20
	ds_read_b32 v17, v1 offset:24
	ds_read_u8 v19, v1 offset:28
	v_mov_b32_e32 v21, 0
	s_waitcnt lgkmcnt(3)
	v_cmp_eq_u16_sdwa s[44:45], v13, v21 src0_sel:BYTE_0 src1_sel:DWORD
	v_and_b32_e32 v7, 1, v3
	s_nop 0
	v_cndmask_b32_e64 v23, 0, v2, s[44:45]
	v_add_u32_e32 v8, v23, v8
	s_waitcnt lgkmcnt(2)
	v_cmp_eq_u16_sdwa s[44:45], v15, v21 src0_sel:BYTE_0 src1_sel:DWORD
	s_nop 1
	v_cndmask_b32_e64 v8, 0, v8, s[44:45]
	v_add_u32_e32 v8, v8, v9
	s_waitcnt lgkmcnt(0)
	v_cmp_eq_u16_e64 s[44:45], 0, v19
	s_nop 1
	v_cndmask_b32_e64 v8, 0, v8, s[44:45]
	v_add_u32_e32 v9, v8, v17
	v_or_b32_e32 v8, v19, v15
	v_or_b32_e32 v8, v8, v13
	v_and_b32_e32 v8, 1, v8
	v_cmp_eq_u32_e64 s[44:45], 1, v8
	v_mbcnt_lo_u32_b32 v13, -1, 0
	v_and_b32_e32 v8, 0xffffff00, v3
	v_cndmask_b32_e64 v15, v7, 1, s[44:45]
	v_mbcnt_hi_u32_b32 v13, -1, v13
	v_and_b32_e32 v19, 15, v13
	v_or_b32_sdwa v17, v8, v15 dst_sel:DWORD dst_unused:UNUSED_PAD src0_sel:DWORD src1_sel:WORD_0
	v_mov_b32_dpp v21, v9 row_shr:1 row_mask:0xf bank_mask:0xf
	v_cmp_ne_u32_e64 s[44:45], 0, v19
	v_mov_b32_dpp v23, v17 row_shr:1 row_mask:0xf bank_mask:0xf
	s_and_saveexec_b64 s[48:49], s[44:45]
; %bb.190:
	v_and_b32_e32 v17, 1, v15
	v_and_b32_e32 v23, 1, v23
	v_cmp_eq_u32_e64 s[44:45], 1, v17
	s_nop 1
	v_cndmask_b32_e64 v23, v23, 1, s[44:45]
	v_cmp_eq_u16_e64 s[44:45], 0, v15
	v_or_b32_sdwa v17, v8, v23 dst_sel:DWORD dst_unused:UNUSED_PAD src0_sel:DWORD src1_sel:WORD_0
	s_nop 0
	v_cndmask_b32_e64 v15, 0, v21, s[44:45]
	v_add_u32_e32 v9, v15, v9
	v_mov_b32_e32 v15, v23
; %bb.191:
	s_or_b64 exec, exec, s[48:49]
	v_mov_b32_dpp v21, v9 row_shr:2 row_mask:0xf bank_mask:0xf
	v_mov_b32_dpp v23, v17 row_shr:2 row_mask:0xf bank_mask:0xf
	v_cmp_lt_u32_e64 s[44:45], 1, v19
	s_and_saveexec_b64 s[48:49], s[44:45]
; %bb.192:
	v_and_b32_e32 v17, 1, v15
	v_and_b32_e32 v23, 1, v23
	v_cmp_eq_u32_e64 s[44:45], 1, v17
	s_nop 1
	v_cndmask_b32_e64 v23, v23, 1, s[44:45]
	v_cmp_eq_u16_e64 s[44:45], 0, v15
	v_or_b32_sdwa v17, v8, v23 dst_sel:DWORD dst_unused:UNUSED_PAD src0_sel:DWORD src1_sel:WORD_0
	s_nop 0
	v_cndmask_b32_e64 v15, 0, v21, s[44:45]
	v_add_u32_e32 v9, v15, v9
	v_mov_b32_e32 v15, v23
; %bb.193:
	s_or_b64 exec, exec, s[48:49]
	v_mov_b32_dpp v21, v9 row_shr:4 row_mask:0xf bank_mask:0xf
	v_mov_b32_dpp v23, v17 row_shr:4 row_mask:0xf bank_mask:0xf
	v_cmp_lt_u32_e64 s[44:45], 3, v19
	;; [unrolled: 18-line block ×3, first 2 shown]
	s_and_saveexec_b64 s[48:49], s[44:45]
; %bb.196:
	v_and_b32_e32 v17, 1, v15
	v_and_b32_e32 v19, 1, v23
	v_cmp_eq_u32_e64 s[44:45], 1, v17
	s_nop 1
	v_cndmask_b32_e64 v19, v19, 1, s[44:45]
	v_cmp_eq_u16_e64 s[44:45], 0, v15
	v_or_b32_sdwa v17, v8, v19 dst_sel:DWORD dst_unused:UNUSED_PAD src0_sel:DWORD src1_sel:WORD_0
	s_nop 0
	v_cndmask_b32_e64 v15, 0, v21, s[44:45]
	v_add_u32_e32 v9, v15, v9
	v_mov_b32_e32 v15, v19
; %bb.197:
	s_or_b64 exec, exec, s[48:49]
	v_and_b32_e32 v23, 16, v13
	v_mov_b32_dpp v19, v9 row_bcast:15 row_mask:0xf bank_mask:0xf
	v_mov_b32_dpp v21, v17 row_bcast:15 row_mask:0xf bank_mask:0xf
	v_cmp_ne_u32_e64 s[44:45], 0, v23
	s_and_saveexec_b64 s[48:49], s[44:45]
; %bb.198:
	v_and_b32_e32 v17, 1, v15
	v_and_b32_e32 v21, 1, v21
	v_cmp_eq_u32_e64 s[44:45], 1, v17
	s_nop 1
	v_cndmask_b32_e64 v21, v21, 1, s[44:45]
	v_cmp_eq_u16_e64 s[44:45], 0, v15
	v_or_b32_sdwa v17, v8, v21 dst_sel:DWORD dst_unused:UNUSED_PAD src0_sel:DWORD src1_sel:WORD_0
	s_nop 0
	v_cndmask_b32_e64 v15, 0, v19, s[44:45]
	v_add_u32_e32 v9, v15, v9
	v_mov_b32_e32 v15, v21
; %bb.199:
	s_or_b64 exec, exec, s[48:49]
	v_mov_b32_dpp v17, v17 row_bcast:31 row_mask:0xf bank_mask:0xf
	v_and_b32_e32 v21, 1, v15
	v_and_b32_e32 v17, 1, v17
	v_cmp_eq_u32_e64 s[44:45], 1, v21
	v_mov_b32_e32 v21, 0
	v_cmp_eq_u16_sdwa s[48:49], v15, v21 src0_sel:BYTE_0 src1_sel:DWORD
	v_cndmask_b32_e64 v17, v17, 1, s[44:45]
	v_cmp_lt_u32_e64 s[44:45], 31, v13
	v_mov_b32_dpp v19, v9 row_bcast:31 row_mask:0xf bank_mask:0xf
	s_movk_i32 s50, 0xff
	v_cndmask_b32_e64 v15, v15, v17, s[44:45]
	s_and_b64 s[44:45], s[44:45], s[48:49]
	v_cndmask_b32_e64 v17, 0, v19, s[44:45]
	v_add_u32_e32 v9, v17, v9
	v_add_u32_e32 v17, -1, v13
	v_and_b32_e32 v19, 64, v13
	v_cmp_lt_i32_e64 s[44:45], v17, v19
	v_and_or_b32 v8, v15, s50, v8
	s_nop 0
	v_cndmask_b32_e64 v13, v17, v13, s[44:45]
	v_lshlrev_b32_e32 v13, 2, v13
	ds_bpermute_b32 v9, v13, v9
	ds_bpermute_b32 v8, v13, v8
	v_cmp_eq_u16_sdwa s[44:45], v3, v21 src0_sel:BYTE_0 src1_sel:DWORD
	; wave barrier
	s_waitcnt lgkmcnt(1)
	s_nop 0
	v_cndmask_b32_e64 v3, 0, v9, s[44:45]
	v_add_u32_e32 v2, v3, v2
	s_waitcnt lgkmcnt(0)
	v_and_b32_e32 v3, 1, v8
	v_cmp_eq_u32_e64 s[44:45], 1, v7
	s_nop 1
	v_cndmask_b32_e64 v3, v3, 1, s[44:45]
	v_cmp_eq_u32_e64 s[44:45], 0, v0
	s_nop 1
	v_cndmask_b32_e64 v5, v2, v5, s[44:45]
	v_cndmask_b32_e64 v6, v3, v6, s[44:45]
	ds_write_b32 v1, v5
	ds_write_b8 v1, v6 offset:4
	; wave barrier
	ds_read_u8 v7, v1 offset:12
	ds_read2_b32 v[2:3], v1 offset0:2 offset1:4
	ds_read_u8 v8, v1 offset:20
	ds_read_b32 v9, v1 offset:24
	ds_read_u8 v13, v1 offset:28
	s_waitcnt lgkmcnt(4)
	v_cmp_eq_u16_e64 s[44:45], 0, v7
	s_nop 1
	v_cndmask_b32_e64 v5, 0, v5, s[44:45]
	s_waitcnt lgkmcnt(3)
	v_add_u32_e32 v2, v5, v2
	v_and_b32_e32 v5, 1, v7
	v_cmp_eq_u32_e64 s[44:45], 1, v5
	s_nop 1
	v_cndmask_b32_e64 v5, v6, 1, s[44:45]
	s_waitcnt lgkmcnt(2)
	v_cmp_eq_u16_e64 s[44:45], 0, v8
	ds_write_b8 v1, v5 offset:12
	s_nop 0
	v_cndmask_b32_e64 v6, 0, v2, s[44:45]
	v_add_u32_e32 v3, v6, v3
	v_and_b32_e32 v6, 1, v8
	v_cmp_eq_u32_e64 s[44:45], 1, v6
	s_nop 1
	v_cndmask_b32_e64 v5, v5, 1, s[44:45]
	s_waitcnt lgkmcnt(1)
	v_cmp_eq_u16_e64 s[44:45], 0, v13
	ds_write2_b32 v1, v2, v3 offset0:2 offset1:4
	ds_write_b8 v1, v5 offset:20
	v_cndmask_b32_e64 v2, 0, v3, s[44:45]
	v_and_b32_e32 v3, 1, v13
	v_add_u32_e32 v2, v2, v9
	v_cmp_eq_u32_e64 s[44:45], 1, v3
	s_nop 1
	v_cndmask_b32_e64 v3, v5, 1, s[44:45]
	ds_write_b32 v1, v2 offset:24
	ds_write_b8 v1, v3 offset:28
.LBB1913_200:
	s_or_b64 exec, exec, s[46:47]
	v_cmp_eq_u32_e64 s[44:45], 0, v0
	v_cmp_ne_u32_e64 s[46:47], 0, v0
	s_waitcnt vmcnt(0)
	v_mov_b32_e32 v58, v4
	s_waitcnt lgkmcnt(0)
	s_barrier
	s_and_saveexec_b64 s[48:49], s[46:47]
	s_cbranch_execz .LBB1913_202
; %bb.201:
	v_add_u32_e32 v1, -1, v0
	v_lshrrev_b32_e32 v2, 5, v1
	v_add_lshl_u32 v1, v2, v1, 3
	ds_read_u8 v2, v1 offset:4
	ds_read_b32 v1, v1
	s_waitcnt lgkmcnt(1)
	v_cmp_eq_u16_e64 s[46:47], 0, v2
	s_nop 1
	v_cndmask_b32_e64 v2, 0, v4, s[46:47]
	s_waitcnt lgkmcnt(0)
	v_add_u32_e32 v58, v2, v1
.LBB1913_202:
	s_or_b64 exec, exec, s[48:49]
	v_and_b32_e32 v3, 0xff, v11
	v_mov_b32_e32 v2, 0
	v_cmp_eq_u64_e64 s[46:47], 0, v[2:3]
	s_nop 1
	v_cndmask_b32_e64 v1, 0, v58, s[46:47]
	v_add_u32_e32 v59, v1, v10
	v_cndmask_b32_e32 v1, 0, v59, vcc
	v_add_u32_e32 v60, v1, v12
	v_cndmask_b32_e64 v1, 0, v60, s[2:3]
	v_add_u32_e32 v61, v1, v14
	v_cndmask_b32_e64 v1, 0, v61, s[4:5]
	;; [unrolled: 2-line block ×20, first 2 shown]
	s_and_saveexec_b64 s[2:3], s[44:45]
	s_cbranch_execz .LBB1913_204
; %bb.203:
	ds_read_u8 v3, v2 offset:2100
	ds_read_b32 v5, v2 offset:2096
	s_add_u32 s4, s56, 0x400
	s_addc_u32 s5, s57, 0
	v_mov_b32_e32 v6, 2
	s_waitcnt lgkmcnt(1)
	v_cmp_eq_u16_e32 vcc, 0, v3
	v_mov_b32_e32 v7, v2
	s_nop 0
	v_cndmask_b32_e32 v4, 0, v4, vcc
	s_waitcnt lgkmcnt(0)
	v_add_u32_e32 v4, v4, v5
	v_and_b32_e32 v5, 0xffff, v3
	v_mov_b64_e32 v[2:3], s[4:5]
	;;#ASMSTART
	global_store_dwordx4 v[2:3], v[4:7] off sc1	
s_waitcnt vmcnt(0)
	;;#ASMEND
.LBB1913_204:
	s_or_b64 exec, exec, s[2:3]
	v_add_u32_e32 v80, v1, v52
.LBB1913_205:
	s_add_u32 s2, s54, s64
	s_addc_u32 s3, s55, s65
	s_add_u32 s2, s2, s66
	s_addc_u32 s3, s3, s67
	s_and_b64 vcc, exec, s[0:1]
	s_cbranch_vccz .LBB1913_293
; %bb.206:
	s_add_i32 s33, s33, s58
	v_mul_u32_u24_e32 v1, 23, v0
	v_cmp_gt_u32_e32 vcc, s33, v1
	v_mov_b32_e32 v55, 0
	v_mov_b32_e32 v9, 0
	;; [unrolled: 1-line block ×24, first 2 shown]
	s_and_saveexec_b64 s[4:5], vcc
	s_cbranch_execz .LBB1913_248
; %bb.207:
	v_add_u32_e32 v2, 1, v1
	v_cmp_gt_u32_e32 vcc, s33, v2
	v_mov_b32_e32 v2, 0
	v_mov_b32_e32 v3, 0
	;; [unrolled: 1-line block ×22, first 2 shown]
	s_and_saveexec_b64 s[6:7], vcc
	s_cbranch_execz .LBB1913_247
; %bb.208:
	v_add_u32_e32 v2, 2, v1
	v_cmp_gt_u32_e32 vcc, s33, v2
	v_mov_b32_e32 v2, 0
	v_mov_b32_e32 v3, 0
	;; [unrolled: 1-line block ×21, first 2 shown]
	s_and_saveexec_b64 s[8:9], vcc
	s_cbranch_execz .LBB1913_246
; %bb.209:
	v_add_u32_e32 v2, 3, v1
	v_cmp_gt_u32_e32 vcc, s33, v2
	v_mov_b32_e32 v2, 0
	v_mov_b32_e32 v3, 0
	;; [unrolled: 1-line block ×20, first 2 shown]
	s_and_saveexec_b64 s[10:11], vcc
	s_cbranch_execz .LBB1913_245
; %bb.210:
	v_add_u32_e32 v2, 4, v1
	v_cmp_gt_u32_e32 vcc, s33, v2
	v_mov_b32_e32 v2, 0
	v_mov_b32_e32 v3, 0
	;; [unrolled: 1-line block ×19, first 2 shown]
	s_and_saveexec_b64 s[12:13], vcc
	s_cbranch_execz .LBB1913_244
; %bb.211:
	v_add_u32_e32 v2, 5, v1
	v_cmp_gt_u32_e32 vcc, s33, v2
	v_mov_b32_e32 v2, 0
	v_mov_b32_e32 v3, 0
	;; [unrolled: 1-line block ×18, first 2 shown]
	s_and_saveexec_b64 s[14:15], vcc
	s_cbranch_execz .LBB1913_243
; %bb.212:
	v_add_u32_e32 v2, 6, v1
	v_cmp_gt_u32_e32 vcc, s33, v2
	v_mov_b32_e32 v2, 0
	v_mov_b32_e32 v3, 0
	;; [unrolled: 1-line block ×17, first 2 shown]
	s_and_saveexec_b64 s[16:17], vcc
	s_cbranch_execz .LBB1913_242
; %bb.213:
	v_add_u32_e32 v2, 7, v1
	v_cmp_gt_u32_e32 vcc, s33, v2
	v_mov_b32_e32 v2, 0
	v_mov_b32_e32 v3, 0
	;; [unrolled: 1-line block ×16, first 2 shown]
	s_and_saveexec_b64 s[18:19], vcc
	s_cbranch_execz .LBB1913_241
; %bb.214:
	v_add_u32_e32 v2, 8, v1
	v_cmp_gt_u32_e32 vcc, s33, v2
	v_mov_b32_e32 v2, 0
	v_mov_b32_e32 v3, 0
	;; [unrolled: 1-line block ×15, first 2 shown]
	s_and_saveexec_b64 s[20:21], vcc
	s_cbranch_execz .LBB1913_240
; %bb.215:
	v_add_u32_e32 v2, 9, v1
	v_cmp_gt_u32_e32 vcc, s33, v2
	v_mov_b32_e32 v2, 0
	v_mov_b32_e32 v3, 0
	;; [unrolled: 1-line block ×14, first 2 shown]
	s_and_saveexec_b64 s[22:23], vcc
	s_cbranch_execz .LBB1913_239
; %bb.216:
	v_add_u32_e32 v2, 10, v1
	v_cmp_gt_u32_e32 vcc, s33, v2
	v_mov_b32_e32 v2, 0
	v_mov_b32_e32 v3, 0
	;; [unrolled: 1-line block ×13, first 2 shown]
	s_and_saveexec_b64 s[24:25], vcc
	s_cbranch_execz .LBB1913_238
; %bb.217:
	v_add_u32_e32 v2, 11, v1
	v_cmp_gt_u32_e32 vcc, s33, v2
	v_mov_b32_e32 v2, 0
	v_mov_b32_e32 v3, 0
	;; [unrolled: 1-line block ×12, first 2 shown]
	s_and_saveexec_b64 s[26:27], vcc
	s_cbranch_execz .LBB1913_237
; %bb.218:
	v_add_u32_e32 v2, 12, v1
	v_cmp_gt_u32_e32 vcc, s33, v2
	v_mov_b32_e32 v2, 0
	v_mov_b32_e32 v3, 0
	;; [unrolled: 1-line block ×11, first 2 shown]
	s_and_saveexec_b64 s[28:29], vcc
	s_cbranch_execz .LBB1913_236
; %bb.219:
	v_add_u32_e32 v2, 13, v1
	v_cmp_gt_u32_e32 vcc, s33, v2
	v_mov_b32_e32 v2, 0
	v_mov_b32_e32 v3, 0
	v_mov_b32_e32 v4, 0
	v_mov_b32_e32 v5, 0
	v_mov_b32_e32 v6, 0
	v_mov_b32_e32 v7, 0
	v_mov_b32_e32 v8, 0
	v_mov_b32_e32 v10, 0
	v_mov_b32_e32 v11, 0
	v_mov_b32_e32 v9, 0
	s_and_saveexec_b64 s[30:31], vcc
	s_cbranch_execz .LBB1913_235
; %bb.220:
	v_add_u32_e32 v2, 14, v1
	v_cmp_gt_u32_e32 vcc, s33, v2
	v_mov_b32_e32 v2, 0
	v_mov_b32_e32 v3, 0
	;; [unrolled: 1-line block ×9, first 2 shown]
	s_and_saveexec_b64 s[34:35], vcc
	s_cbranch_execz .LBB1913_234
; %bb.221:
	v_add_u32_e32 v2, 15, v1
	v_cmp_gt_u32_e32 vcc, s33, v2
	v_mov_b32_e32 v2, 0
	v_mov_b32_e32 v3, 0
	v_mov_b32_e32 v4, 0
	v_mov_b32_e32 v5, 0
	v_mov_b32_e32 v6, 0
	v_mov_b32_e32 v7, 0
	v_mov_b32_e32 v8, 0
	v_mov_b32_e32 v9, 0
	s_and_saveexec_b64 s[36:37], vcc
	s_cbranch_execz .LBB1913_233
; %bb.222:
	v_add_u32_e32 v2, 16, v1
	v_cmp_gt_u32_e32 vcc, s33, v2
	v_mov_b32_e32 v2, 0
	v_mov_b32_e32 v3, 0
	;; [unrolled: 1-line block ×7, first 2 shown]
	s_and_saveexec_b64 s[38:39], vcc
	s_cbranch_execz .LBB1913_232
; %bb.223:
	v_add_u32_e32 v2, 17, v1
	v_cmp_gt_u32_e32 vcc, s33, v2
	v_mov_b32_e32 v2, 0
	v_mov_b32_e32 v3, 0
	;; [unrolled: 1-line block ×6, first 2 shown]
	s_and_saveexec_b64 s[40:41], vcc
	s_cbranch_execz .LBB1913_231
; %bb.224:
	v_add_u32_e32 v2, 18, v1
	v_cmp_gt_u32_e32 vcc, s33, v2
	v_mov_b32_e32 v2, 0
	v_mov_b32_e32 v3, 0
	;; [unrolled: 1-line block ×5, first 2 shown]
	s_and_saveexec_b64 s[42:43], vcc
	s_cbranch_execz .LBB1913_230
; %bb.225:
	v_add_u32_e32 v2, 19, v1
	v_cmp_gt_u32_e32 vcc, s33, v2
	v_mov_b32_e32 v2, 0
	v_mov_b32_e32 v3, 0
	;; [unrolled: 1-line block ×4, first 2 shown]
	s_and_saveexec_b64 s[44:45], vcc
	s_cbranch_execz .LBB1913_229
; %bb.226:
	v_add_u32_e32 v2, 20, v1
	v_cmp_gt_u32_e32 vcc, s33, v2
	v_mov_b32_e32 v2, 0
	v_mov_b32_e32 v3, 0
	;; [unrolled: 1-line block ×3, first 2 shown]
	s_and_saveexec_b64 s[46:47], vcc
; %bb.227:
	v_add_u32_e32 v2, 21, v1
	v_add_u32_e32 v3, 22, v1
	v_cmp_gt_u32_e32 vcc, s33, v2
	v_cmp_gt_u32_e64 s[0:1], s33, v3
	v_mov_b32_e32 v3, v78
	v_cndmask_b32_e32 v2, 0, v79, vcc
	s_and_b64 vcc, vcc, s[0:1]
	v_cndmask_b32_e32 v9, 0, v80, vcc
; %bb.228:
	s_or_b64 exec, exec, s[46:47]
	v_mov_b32_e32 v4, v77
.LBB1913_229:
	s_or_b64 exec, exec, s[44:45]
	v_mov_b32_e32 v5, v76
.LBB1913_230:
	s_or_b64 exec, exec, s[42:43]
	v_mov_b32_e32 v6, v75
.LBB1913_231:
	s_or_b64 exec, exec, s[40:41]
	v_mov_b32_e32 v7, v74
.LBB1913_232:
	s_or_b64 exec, exec, s[38:39]
	v_mov_b32_e32 v8, v73
.LBB1913_233:
	s_or_b64 exec, exec, s[36:37]
	v_mov_b32_e32 v10, v72
.LBB1913_234:
	s_or_b64 exec, exec, s[34:35]
	v_mov_b32_e32 v11, v71
.LBB1913_235:
	s_or_b64 exec, exec, s[30:31]
	v_mov_b32_e32 v12, v70
.LBB1913_236:
	s_or_b64 exec, exec, s[28:29]
	v_mov_b32_e32 v13, v69
.LBB1913_237:
	s_or_b64 exec, exec, s[26:27]
	v_mov_b32_e32 v14, v68
.LBB1913_238:
	s_or_b64 exec, exec, s[24:25]
	v_mov_b32_e32 v15, v67
.LBB1913_239:
	s_or_b64 exec, exec, s[22:23]
	v_mov_b32_e32 v16, v66
.LBB1913_240:
	s_or_b64 exec, exec, s[20:21]
	v_mov_b32_e32 v17, v65
.LBB1913_241:
	s_or_b64 exec, exec, s[18:19]
	v_mov_b32_e32 v18, v64
.LBB1913_242:
	s_or_b64 exec, exec, s[16:17]
	v_mov_b32_e32 v19, v63
.LBB1913_243:
	s_or_b64 exec, exec, s[14:15]
	v_mov_b32_e32 v20, v62
.LBB1913_244:
	s_or_b64 exec, exec, s[12:13]
	v_mov_b32_e32 v21, v61
.LBB1913_245:
	s_or_b64 exec, exec, s[10:11]
	v_mov_b32_e32 v22, v60
.LBB1913_246:
	s_or_b64 exec, exec, s[8:9]
	v_mov_b32_e32 v23, v59
.LBB1913_247:
	s_or_b64 exec, exec, s[6:7]
	v_mov_b32_e32 v24, v58
.LBB1913_248:
	s_or_b64 exec, exec, s[4:5]
	v_lshlrev_b32_e32 v1, 2, v1
	s_movk_i32 s0, 0xffa8
	s_barrier
	ds_write2_b32 v1, v24, v23 offset1:1
	ds_write2_b32 v1, v22, v21 offset0:2 offset1:3
	ds_write2_b32 v1, v20, v19 offset0:4 offset1:5
	;; [unrolled: 1-line block ×10, first 2 shown]
	ds_write_b32 v1, v9 offset:88
	v_mad_i32_i24 v2, v0, s0, v1
	s_waitcnt lgkmcnt(0)
	s_barrier
	ds_read2st64_b32 v[24:25], v2 offset0:4 offset1:8
	ds_read2st64_b32 v[22:23], v2 offset0:12 offset1:16
	ds_read2st64_b32 v[20:21], v2 offset0:20 offset1:24
	ds_read2st64_b32 v[18:19], v2 offset0:28 offset1:32
	ds_read2st64_b32 v[16:17], v2 offset0:36 offset1:40
	ds_read2st64_b32 v[14:15], v2 offset0:44 offset1:48
	ds_read2st64_b32 v[12:13], v2 offset0:52 offset1:56
	ds_read2st64_b32 v[10:11], v2 offset0:60 offset1:64
	ds_read2st64_b32 v[8:9], v2 offset0:68 offset1:72
	ds_read2st64_b32 v[6:7], v2 offset0:76 offset1:80
	ds_read2st64_b32 v[2:3], v2 offset0:84 offset1:88
	v_lshl_add_u64 v[4:5], s[2:3], 0, v[54:55]
	v_cmp_gt_u32_e32 vcc, s33, v0
	s_and_saveexec_b64 s[0:1], vcc
	s_cbranch_execz .LBB1913_250
; %bb.249:
	v_mul_i32_i24_e32 v26, 0xffffffa8, v0
	v_add_u32_e32 v1, v1, v26
	ds_read_b32 v1, v1
	s_waitcnt lgkmcnt(0)
	flat_store_dword v[4:5], v1
.LBB1913_250:
	s_or_b64 exec, exec, s[0:1]
	v_or_b32_e32 v1, 0x100, v0
	v_cmp_gt_u32_e32 vcc, s33, v1
	s_and_saveexec_b64 s[0:1], vcc
	s_cbranch_execz .LBB1913_252
; %bb.251:
	s_waitcnt lgkmcnt(0)
	flat_store_dword v[4:5], v24 offset:1024
.LBB1913_252:
	s_or_b64 exec, exec, s[0:1]
	v_or_b32_e32 v1, 0x200, v0
	v_cmp_gt_u32_e32 vcc, s33, v1
	s_and_saveexec_b64 s[0:1], vcc
	s_cbranch_execz .LBB1913_254
; %bb.253:
	s_waitcnt lgkmcnt(0)
	flat_store_dword v[4:5], v25 offset:2048
.LBB1913_254:
	;; [unrolled: 9-line block ×3, first 2 shown]
	s_or_b64 exec, exec, s[0:1]
	v_or_b32_e32 v1, 0x400, v0
	v_cmp_gt_u32_e32 vcc, s33, v1
	s_and_saveexec_b64 s[0:1], vcc
	s_cbranch_execz .LBB1913_258
; %bb.257:
	s_waitcnt lgkmcnt(0)
	v_add_co_u32_e32 v24, vcc, 0x1000, v4
	s_nop 1
	v_addc_co_u32_e32 v25, vcc, 0, v5, vcc
	flat_store_dword v[24:25], v23
.LBB1913_258:
	s_or_b64 exec, exec, s[0:1]
	v_or_b32_e32 v1, 0x500, v0
	v_cmp_gt_u32_e32 vcc, s33, v1
	s_and_saveexec_b64 s[0:1], vcc
	s_cbranch_execz .LBB1913_260
; %bb.259:
	s_waitcnt lgkmcnt(0)
	v_add_co_u32_e32 v22, vcc, 0x1000, v4
	s_nop 1
	v_addc_co_u32_e32 v23, vcc, 0, v5, vcc
	flat_store_dword v[22:23], v20 offset:1024
.LBB1913_260:
	s_or_b64 exec, exec, s[0:1]
	v_or_b32_e32 v1, 0x600, v0
	v_cmp_gt_u32_e32 vcc, s33, v1
	s_and_saveexec_b64 s[0:1], vcc
	s_cbranch_execz .LBB1913_262
; %bb.261:
	s_waitcnt lgkmcnt(0)
	v_add_co_u32_e32 v22, vcc, 0x1000, v4
	s_nop 1
	v_addc_co_u32_e32 v23, vcc, 0, v5, vcc
	flat_store_dword v[22:23], v21 offset:2048
.LBB1913_262:
	s_or_b64 exec, exec, s[0:1]
	v_or_b32_e32 v1, 0x700, v0
	v_cmp_gt_u32_e32 vcc, s33, v1
	s_and_saveexec_b64 s[0:1], vcc
	s_cbranch_execz .LBB1913_264
; %bb.263:
	s_waitcnt lgkmcnt(0)
	v_add_co_u32_e32 v20, vcc, 0x1000, v4
	s_nop 1
	v_addc_co_u32_e32 v21, vcc, 0, v5, vcc
	flat_store_dword v[20:21], v18 offset:3072
.LBB1913_264:
	s_or_b64 exec, exec, s[0:1]
	v_or_b32_e32 v1, 0x800, v0
	v_cmp_gt_u32_e32 vcc, s33, v1
	s_and_saveexec_b64 s[0:1], vcc
	s_cbranch_execz .LBB1913_266
; %bb.265:
	s_waitcnt lgkmcnt(0)
	v_add_co_u32_e32 v20, vcc, 0x2000, v4
	s_nop 1
	v_addc_co_u32_e32 v21, vcc, 0, v5, vcc
	flat_store_dword v[20:21], v19
.LBB1913_266:
	s_or_b64 exec, exec, s[0:1]
	v_or_b32_e32 v1, 0x900, v0
	v_cmp_gt_u32_e32 vcc, s33, v1
	s_and_saveexec_b64 s[0:1], vcc
	s_cbranch_execz .LBB1913_268
; %bb.267:
	s_waitcnt lgkmcnt(0)
	v_add_co_u32_e32 v18, vcc, 0x2000, v4
	s_nop 1
	v_addc_co_u32_e32 v19, vcc, 0, v5, vcc
	flat_store_dword v[18:19], v16 offset:1024
.LBB1913_268:
	s_or_b64 exec, exec, s[0:1]
	v_or_b32_e32 v1, 0xa00, v0
	v_cmp_gt_u32_e32 vcc, s33, v1
	s_and_saveexec_b64 s[0:1], vcc
	s_cbranch_execz .LBB1913_270
; %bb.269:
	s_waitcnt lgkmcnt(0)
	v_add_co_u32_e32 v18, vcc, 0x2000, v4
	s_nop 1
	v_addc_co_u32_e32 v19, vcc, 0, v5, vcc
	flat_store_dword v[18:19], v17 offset:2048
.LBB1913_270:
	s_or_b64 exec, exec, s[0:1]
	v_or_b32_e32 v1, 0xb00, v0
	v_cmp_gt_u32_e32 vcc, s33, v1
	s_and_saveexec_b64 s[0:1], vcc
	s_cbranch_execz .LBB1913_272
; %bb.271:
	s_waitcnt lgkmcnt(0)
	v_add_co_u32_e32 v16, vcc, 0x2000, v4
	s_nop 1
	v_addc_co_u32_e32 v17, vcc, 0, v5, vcc
	flat_store_dword v[16:17], v14 offset:3072
.LBB1913_272:
	;; [unrolled: 48-line block ×4, first 2 shown]
	s_or_b64 exec, exec, s[0:1]
	v_or_b32_e32 v1, 0x1400, v0
	v_cmp_gt_u32_e32 vcc, s33, v1
	s_and_saveexec_b64 s[0:1], vcc
	s_cbranch_execz .LBB1913_290
; %bb.289:
	s_waitcnt lgkmcnt(0)
	v_add_co_u32_e32 v8, vcc, 0x5000, v4
	s_nop 1
	v_addc_co_u32_e32 v9, vcc, 0, v5, vcc
	flat_store_dword v[8:9], v7
.LBB1913_290:
	s_or_b64 exec, exec, s[0:1]
	v_or_b32_e32 v1, 0x1500, v0
	v_cmp_gt_u32_e32 vcc, s33, v1
	s_and_saveexec_b64 s[0:1], vcc
	s_cbranch_execz .LBB1913_292
; %bb.291:
	v_add_co_u32_e32 v4, vcc, 0x5000, v4
	s_nop 1
	v_addc_co_u32_e32 v5, vcc, 0, v5, vcc
	s_waitcnt lgkmcnt(0)
	flat_store_dword v[4:5], v2 offset:1024
.LBB1913_292:
	s_or_b64 exec, exec, s[0:1]
	s_waitcnt lgkmcnt(0)
	v_or_b32_e32 v2, 0x1600, v0
	v_mov_b32_e32 v1, v55
	v_cmp_gt_u32_e64 s[0:1], s33, v2
	s_branch .LBB1913_295
.LBB1913_293:
	s_mov_b64 s[0:1], 0
                                        ; implicit-def: $vgpr3
	s_cbranch_execz .LBB1913_295
; %bb.294:
	v_mul_u32_u24_e32 v1, 0x5c, v0
	s_barrier
	s_movk_i32 s4, 0x5c
	ds_write2_b32 v1, v58, v59 offset1:1
	ds_write2_b32 v1, v60, v61 offset0:2 offset1:3
	ds_write2_b32 v1, v62, v63 offset0:4 offset1:5
	;; [unrolled: 1-line block ×10, first 2 shown]
	ds_write_b32 v1, v80 offset:88
	v_mov_b32_e32 v1, 0
	v_mul_i32_i24_e32 v2, 0xffffffa8, v0
	v_mad_u32_u24 v2, v0, s4, v2
	v_mov_b32_e32 v55, v1
	s_waitcnt lgkmcnt(0)
	s_barrier
	ds_read2st64_b32 v[4:5], v2 offset1:4
	ds_read2st64_b32 v[6:7], v2 offset0:8 offset1:12
	ds_read2st64_b32 v[8:9], v2 offset0:16 offset1:20
	;; [unrolled: 1-line block ×10, first 2 shown]
	ds_read_b32 v3, v2 offset:22528
	v_lshl_add_u64 v[26:27], s[2:3], 0, v[54:55]
	s_movk_i32 s4, 0x1000
	s_waitcnt lgkmcnt(0)
	flat_store_dword v[26:27], v4
	flat_store_dword v[26:27], v5 offset:1024
	flat_store_dword v[26:27], v6 offset:2048
	flat_store_dword v[26:27], v7 offset:3072
	v_add_co_u32_e32 v4, vcc, s4, v26
	s_movk_i32 s4, 0x2000
	s_nop 0
	v_addc_co_u32_e32 v5, vcc, 0, v27, vcc
	flat_store_dword v[4:5], v8
	flat_store_dword v[4:5], v9 offset:1024
	flat_store_dword v[4:5], v10 offset:2048
	;; [unrolled: 1-line block ×3, first 2 shown]
	v_add_co_u32_e32 v4, vcc, s4, v26
	s_movk_i32 s4, 0x3000
	s_nop 0
	v_addc_co_u32_e32 v5, vcc, 0, v27, vcc
	flat_store_dword v[4:5], v12
	flat_store_dword v[4:5], v13 offset:1024
	flat_store_dword v[4:5], v14 offset:2048
	;; [unrolled: 1-line block ×3, first 2 shown]
	v_add_co_u32_e32 v4, vcc, s4, v26
	s_or_b64 s[0:1], s[0:1], exec
	s_nop 0
	v_addc_co_u32_e32 v5, vcc, 0, v27, vcc
	flat_store_dword v[4:5], v16
	flat_store_dword v[4:5], v17 offset:1024
	flat_store_dword v[4:5], v18 offset:2048
	;; [unrolled: 1-line block ×3, first 2 shown]
	v_add_co_u32_e32 v4, vcc, 0x4000, v26
	s_nop 1
	v_addc_co_u32_e32 v5, vcc, 0, v27, vcc
	flat_store_dword v[4:5], v20
	flat_store_dword v[4:5], v21 offset:1024
	flat_store_dword v[4:5], v22 offset:2048
	;; [unrolled: 1-line block ×3, first 2 shown]
	v_add_co_u32_e32 v4, vcc, 0x5000, v26
	s_nop 1
	v_addc_co_u32_e32 v5, vcc, 0, v27, vcc
	flat_store_dword v[4:5], v24
	flat_store_dword v[4:5], v25 offset:1024
.LBB1913_295:
	s_and_saveexec_b64 s[4:5], s[0:1]
	s_cbranch_execnz .LBB1913_297
; %bb.296:
	s_endpgm
.LBB1913_297:
	v_lshl_add_u64 v[0:1], v[0:1], 2, s[2:3]
	v_add_co_u32_e32 v0, vcc, 0x5000, v0
	s_nop 1
	v_addc_co_u32_e32 v1, vcc, 0, v1, vcc
	flat_store_dword v[0:1], v3 offset:2048
	s_endpgm
	.section	.rodata,"a",@progbits
	.p2align	6, 0x0
	.amdhsa_kernel _ZN7rocprim17ROCPRIM_400000_NS6detail17trampoline_kernelINS0_14default_configENS1_27scan_by_key_config_selectorIj11FixedVectorIiLj1EEEEZZNS1_16scan_by_key_implILNS1_25lookback_scan_determinismE0ELb1ES3_N6thrust23THRUST_200600_302600_NS6detail15normal_iteratorINSB_10device_ptrIjEEEENSD_INSE_IS6_EEEESI_S6_NSB_4plusIvEENSB_8equal_toIvEES6_EE10hipError_tPvRmT2_T3_T4_T5_mT6_T7_P12ihipStream_tbENKUlT_T0_E_clISt17integral_constantIbLb0EES13_EEDaSY_SZ_EUlSY_E_NS1_11comp_targetILNS1_3genE5ELNS1_11target_archE942ELNS1_3gpuE9ELNS1_3repE0EEENS1_30default_config_static_selectorELNS0_4arch9wavefront6targetE1EEEvT1_
		.amdhsa_group_segment_fixed_size 25600
		.amdhsa_private_segment_fixed_size 0
		.amdhsa_kernarg_size 112
		.amdhsa_user_sgpr_count 2
		.amdhsa_user_sgpr_dispatch_ptr 0
		.amdhsa_user_sgpr_queue_ptr 0
		.amdhsa_user_sgpr_kernarg_segment_ptr 1
		.amdhsa_user_sgpr_dispatch_id 0
		.amdhsa_user_sgpr_kernarg_preload_length 0
		.amdhsa_user_sgpr_kernarg_preload_offset 0
		.amdhsa_user_sgpr_private_segment_size 0
		.amdhsa_uses_dynamic_stack 0
		.amdhsa_enable_private_segment 0
		.amdhsa_system_sgpr_workgroup_id_x 1
		.amdhsa_system_sgpr_workgroup_id_y 0
		.amdhsa_system_sgpr_workgroup_id_z 0
		.amdhsa_system_sgpr_workgroup_info 0
		.amdhsa_system_vgpr_workitem_id 0
		.amdhsa_next_free_vgpr 81
		.amdhsa_next_free_sgpr 80
		.amdhsa_accum_offset 84
		.amdhsa_reserve_vcc 1
		.amdhsa_float_round_mode_32 0
		.amdhsa_float_round_mode_16_64 0
		.amdhsa_float_denorm_mode_32 3
		.amdhsa_float_denorm_mode_16_64 3
		.amdhsa_dx10_clamp 1
		.amdhsa_ieee_mode 1
		.amdhsa_fp16_overflow 0
		.amdhsa_tg_split 0
		.amdhsa_exception_fp_ieee_invalid_op 0
		.amdhsa_exception_fp_denorm_src 0
		.amdhsa_exception_fp_ieee_div_zero 0
		.amdhsa_exception_fp_ieee_overflow 0
		.amdhsa_exception_fp_ieee_underflow 0
		.amdhsa_exception_fp_ieee_inexact 0
		.amdhsa_exception_int_div_zero 0
	.end_amdhsa_kernel
	.section	.text._ZN7rocprim17ROCPRIM_400000_NS6detail17trampoline_kernelINS0_14default_configENS1_27scan_by_key_config_selectorIj11FixedVectorIiLj1EEEEZZNS1_16scan_by_key_implILNS1_25lookback_scan_determinismE0ELb1ES3_N6thrust23THRUST_200600_302600_NS6detail15normal_iteratorINSB_10device_ptrIjEEEENSD_INSE_IS6_EEEESI_S6_NSB_4plusIvEENSB_8equal_toIvEES6_EE10hipError_tPvRmT2_T3_T4_T5_mT6_T7_P12ihipStream_tbENKUlT_T0_E_clISt17integral_constantIbLb0EES13_EEDaSY_SZ_EUlSY_E_NS1_11comp_targetILNS1_3genE5ELNS1_11target_archE942ELNS1_3gpuE9ELNS1_3repE0EEENS1_30default_config_static_selectorELNS0_4arch9wavefront6targetE1EEEvT1_,"axG",@progbits,_ZN7rocprim17ROCPRIM_400000_NS6detail17trampoline_kernelINS0_14default_configENS1_27scan_by_key_config_selectorIj11FixedVectorIiLj1EEEEZZNS1_16scan_by_key_implILNS1_25lookback_scan_determinismE0ELb1ES3_N6thrust23THRUST_200600_302600_NS6detail15normal_iteratorINSB_10device_ptrIjEEEENSD_INSE_IS6_EEEESI_S6_NSB_4plusIvEENSB_8equal_toIvEES6_EE10hipError_tPvRmT2_T3_T4_T5_mT6_T7_P12ihipStream_tbENKUlT_T0_E_clISt17integral_constantIbLb0EES13_EEDaSY_SZ_EUlSY_E_NS1_11comp_targetILNS1_3genE5ELNS1_11target_archE942ELNS1_3gpuE9ELNS1_3repE0EEENS1_30default_config_static_selectorELNS0_4arch9wavefront6targetE1EEEvT1_,comdat
.Lfunc_end1913:
	.size	_ZN7rocprim17ROCPRIM_400000_NS6detail17trampoline_kernelINS0_14default_configENS1_27scan_by_key_config_selectorIj11FixedVectorIiLj1EEEEZZNS1_16scan_by_key_implILNS1_25lookback_scan_determinismE0ELb1ES3_N6thrust23THRUST_200600_302600_NS6detail15normal_iteratorINSB_10device_ptrIjEEEENSD_INSE_IS6_EEEESI_S6_NSB_4plusIvEENSB_8equal_toIvEES6_EE10hipError_tPvRmT2_T3_T4_T5_mT6_T7_P12ihipStream_tbENKUlT_T0_E_clISt17integral_constantIbLb0EES13_EEDaSY_SZ_EUlSY_E_NS1_11comp_targetILNS1_3genE5ELNS1_11target_archE942ELNS1_3gpuE9ELNS1_3repE0EEENS1_30default_config_static_selectorELNS0_4arch9wavefront6targetE1EEEvT1_, .Lfunc_end1913-_ZN7rocprim17ROCPRIM_400000_NS6detail17trampoline_kernelINS0_14default_configENS1_27scan_by_key_config_selectorIj11FixedVectorIiLj1EEEEZZNS1_16scan_by_key_implILNS1_25lookback_scan_determinismE0ELb1ES3_N6thrust23THRUST_200600_302600_NS6detail15normal_iteratorINSB_10device_ptrIjEEEENSD_INSE_IS6_EEEESI_S6_NSB_4plusIvEENSB_8equal_toIvEES6_EE10hipError_tPvRmT2_T3_T4_T5_mT6_T7_P12ihipStream_tbENKUlT_T0_E_clISt17integral_constantIbLb0EES13_EEDaSY_SZ_EUlSY_E_NS1_11comp_targetILNS1_3genE5ELNS1_11target_archE942ELNS1_3gpuE9ELNS1_3repE0EEENS1_30default_config_static_selectorELNS0_4arch9wavefront6targetE1EEEvT1_
                                        ; -- End function
	.section	.AMDGPU.csdata,"",@progbits
; Kernel info:
; codeLenInByte = 17132
; NumSgprs: 86
; NumVgprs: 81
; NumAgprs: 0
; TotalNumVgprs: 81
; ScratchSize: 0
; MemoryBound: 0
; FloatMode: 240
; IeeeMode: 1
; LDSByteSize: 25600 bytes/workgroup (compile time only)
; SGPRBlocks: 10
; VGPRBlocks: 10
; NumSGPRsForWavesPerEU: 86
; NumVGPRsForWavesPerEU: 81
; AccumOffset: 84
; Occupancy: 2
; WaveLimiterHint : 1
; COMPUTE_PGM_RSRC2:SCRATCH_EN: 0
; COMPUTE_PGM_RSRC2:USER_SGPR: 2
; COMPUTE_PGM_RSRC2:TRAP_HANDLER: 0
; COMPUTE_PGM_RSRC2:TGID_X_EN: 1
; COMPUTE_PGM_RSRC2:TGID_Y_EN: 0
; COMPUTE_PGM_RSRC2:TGID_Z_EN: 0
; COMPUTE_PGM_RSRC2:TIDIG_COMP_CNT: 0
; COMPUTE_PGM_RSRC3_GFX90A:ACCUM_OFFSET: 20
; COMPUTE_PGM_RSRC3_GFX90A:TG_SPLIT: 0
	.section	.text._ZN7rocprim17ROCPRIM_400000_NS6detail17trampoline_kernelINS0_14default_configENS1_27scan_by_key_config_selectorIj11FixedVectorIiLj1EEEEZZNS1_16scan_by_key_implILNS1_25lookback_scan_determinismE0ELb1ES3_N6thrust23THRUST_200600_302600_NS6detail15normal_iteratorINSB_10device_ptrIjEEEENSD_INSE_IS6_EEEESI_S6_NSB_4plusIvEENSB_8equal_toIvEES6_EE10hipError_tPvRmT2_T3_T4_T5_mT6_T7_P12ihipStream_tbENKUlT_T0_E_clISt17integral_constantIbLb0EES13_EEDaSY_SZ_EUlSY_E_NS1_11comp_targetILNS1_3genE4ELNS1_11target_archE910ELNS1_3gpuE8ELNS1_3repE0EEENS1_30default_config_static_selectorELNS0_4arch9wavefront6targetE1EEEvT1_,"axG",@progbits,_ZN7rocprim17ROCPRIM_400000_NS6detail17trampoline_kernelINS0_14default_configENS1_27scan_by_key_config_selectorIj11FixedVectorIiLj1EEEEZZNS1_16scan_by_key_implILNS1_25lookback_scan_determinismE0ELb1ES3_N6thrust23THRUST_200600_302600_NS6detail15normal_iteratorINSB_10device_ptrIjEEEENSD_INSE_IS6_EEEESI_S6_NSB_4plusIvEENSB_8equal_toIvEES6_EE10hipError_tPvRmT2_T3_T4_T5_mT6_T7_P12ihipStream_tbENKUlT_T0_E_clISt17integral_constantIbLb0EES13_EEDaSY_SZ_EUlSY_E_NS1_11comp_targetILNS1_3genE4ELNS1_11target_archE910ELNS1_3gpuE8ELNS1_3repE0EEENS1_30default_config_static_selectorELNS0_4arch9wavefront6targetE1EEEvT1_,comdat
	.protected	_ZN7rocprim17ROCPRIM_400000_NS6detail17trampoline_kernelINS0_14default_configENS1_27scan_by_key_config_selectorIj11FixedVectorIiLj1EEEEZZNS1_16scan_by_key_implILNS1_25lookback_scan_determinismE0ELb1ES3_N6thrust23THRUST_200600_302600_NS6detail15normal_iteratorINSB_10device_ptrIjEEEENSD_INSE_IS6_EEEESI_S6_NSB_4plusIvEENSB_8equal_toIvEES6_EE10hipError_tPvRmT2_T3_T4_T5_mT6_T7_P12ihipStream_tbENKUlT_T0_E_clISt17integral_constantIbLb0EES13_EEDaSY_SZ_EUlSY_E_NS1_11comp_targetILNS1_3genE4ELNS1_11target_archE910ELNS1_3gpuE8ELNS1_3repE0EEENS1_30default_config_static_selectorELNS0_4arch9wavefront6targetE1EEEvT1_ ; -- Begin function _ZN7rocprim17ROCPRIM_400000_NS6detail17trampoline_kernelINS0_14default_configENS1_27scan_by_key_config_selectorIj11FixedVectorIiLj1EEEEZZNS1_16scan_by_key_implILNS1_25lookback_scan_determinismE0ELb1ES3_N6thrust23THRUST_200600_302600_NS6detail15normal_iteratorINSB_10device_ptrIjEEEENSD_INSE_IS6_EEEESI_S6_NSB_4plusIvEENSB_8equal_toIvEES6_EE10hipError_tPvRmT2_T3_T4_T5_mT6_T7_P12ihipStream_tbENKUlT_T0_E_clISt17integral_constantIbLb0EES13_EEDaSY_SZ_EUlSY_E_NS1_11comp_targetILNS1_3genE4ELNS1_11target_archE910ELNS1_3gpuE8ELNS1_3repE0EEENS1_30default_config_static_selectorELNS0_4arch9wavefront6targetE1EEEvT1_
	.globl	_ZN7rocprim17ROCPRIM_400000_NS6detail17trampoline_kernelINS0_14default_configENS1_27scan_by_key_config_selectorIj11FixedVectorIiLj1EEEEZZNS1_16scan_by_key_implILNS1_25lookback_scan_determinismE0ELb1ES3_N6thrust23THRUST_200600_302600_NS6detail15normal_iteratorINSB_10device_ptrIjEEEENSD_INSE_IS6_EEEESI_S6_NSB_4plusIvEENSB_8equal_toIvEES6_EE10hipError_tPvRmT2_T3_T4_T5_mT6_T7_P12ihipStream_tbENKUlT_T0_E_clISt17integral_constantIbLb0EES13_EEDaSY_SZ_EUlSY_E_NS1_11comp_targetILNS1_3genE4ELNS1_11target_archE910ELNS1_3gpuE8ELNS1_3repE0EEENS1_30default_config_static_selectorELNS0_4arch9wavefront6targetE1EEEvT1_
	.p2align	8
	.type	_ZN7rocprim17ROCPRIM_400000_NS6detail17trampoline_kernelINS0_14default_configENS1_27scan_by_key_config_selectorIj11FixedVectorIiLj1EEEEZZNS1_16scan_by_key_implILNS1_25lookback_scan_determinismE0ELb1ES3_N6thrust23THRUST_200600_302600_NS6detail15normal_iteratorINSB_10device_ptrIjEEEENSD_INSE_IS6_EEEESI_S6_NSB_4plusIvEENSB_8equal_toIvEES6_EE10hipError_tPvRmT2_T3_T4_T5_mT6_T7_P12ihipStream_tbENKUlT_T0_E_clISt17integral_constantIbLb0EES13_EEDaSY_SZ_EUlSY_E_NS1_11comp_targetILNS1_3genE4ELNS1_11target_archE910ELNS1_3gpuE8ELNS1_3repE0EEENS1_30default_config_static_selectorELNS0_4arch9wavefront6targetE1EEEvT1_,@function
_ZN7rocprim17ROCPRIM_400000_NS6detail17trampoline_kernelINS0_14default_configENS1_27scan_by_key_config_selectorIj11FixedVectorIiLj1EEEEZZNS1_16scan_by_key_implILNS1_25lookback_scan_determinismE0ELb1ES3_N6thrust23THRUST_200600_302600_NS6detail15normal_iteratorINSB_10device_ptrIjEEEENSD_INSE_IS6_EEEESI_S6_NSB_4plusIvEENSB_8equal_toIvEES6_EE10hipError_tPvRmT2_T3_T4_T5_mT6_T7_P12ihipStream_tbENKUlT_T0_E_clISt17integral_constantIbLb0EES13_EEDaSY_SZ_EUlSY_E_NS1_11comp_targetILNS1_3genE4ELNS1_11target_archE910ELNS1_3gpuE8ELNS1_3repE0EEENS1_30default_config_static_selectorELNS0_4arch9wavefront6targetE1EEEvT1_: ; @_ZN7rocprim17ROCPRIM_400000_NS6detail17trampoline_kernelINS0_14default_configENS1_27scan_by_key_config_selectorIj11FixedVectorIiLj1EEEEZZNS1_16scan_by_key_implILNS1_25lookback_scan_determinismE0ELb1ES3_N6thrust23THRUST_200600_302600_NS6detail15normal_iteratorINSB_10device_ptrIjEEEENSD_INSE_IS6_EEEESI_S6_NSB_4plusIvEENSB_8equal_toIvEES6_EE10hipError_tPvRmT2_T3_T4_T5_mT6_T7_P12ihipStream_tbENKUlT_T0_E_clISt17integral_constantIbLb0EES13_EEDaSY_SZ_EUlSY_E_NS1_11comp_targetILNS1_3genE4ELNS1_11target_archE910ELNS1_3gpuE8ELNS1_3repE0EEENS1_30default_config_static_selectorELNS0_4arch9wavefront6targetE1EEEvT1_
; %bb.0:
	.section	.rodata,"a",@progbits
	.p2align	6, 0x0
	.amdhsa_kernel _ZN7rocprim17ROCPRIM_400000_NS6detail17trampoline_kernelINS0_14default_configENS1_27scan_by_key_config_selectorIj11FixedVectorIiLj1EEEEZZNS1_16scan_by_key_implILNS1_25lookback_scan_determinismE0ELb1ES3_N6thrust23THRUST_200600_302600_NS6detail15normal_iteratorINSB_10device_ptrIjEEEENSD_INSE_IS6_EEEESI_S6_NSB_4plusIvEENSB_8equal_toIvEES6_EE10hipError_tPvRmT2_T3_T4_T5_mT6_T7_P12ihipStream_tbENKUlT_T0_E_clISt17integral_constantIbLb0EES13_EEDaSY_SZ_EUlSY_E_NS1_11comp_targetILNS1_3genE4ELNS1_11target_archE910ELNS1_3gpuE8ELNS1_3repE0EEENS1_30default_config_static_selectorELNS0_4arch9wavefront6targetE1EEEvT1_
		.amdhsa_group_segment_fixed_size 0
		.amdhsa_private_segment_fixed_size 0
		.amdhsa_kernarg_size 112
		.amdhsa_user_sgpr_count 2
		.amdhsa_user_sgpr_dispatch_ptr 0
		.amdhsa_user_sgpr_queue_ptr 0
		.amdhsa_user_sgpr_kernarg_segment_ptr 1
		.amdhsa_user_sgpr_dispatch_id 0
		.amdhsa_user_sgpr_kernarg_preload_length 0
		.amdhsa_user_sgpr_kernarg_preload_offset 0
		.amdhsa_user_sgpr_private_segment_size 0
		.amdhsa_uses_dynamic_stack 0
		.amdhsa_enable_private_segment 0
		.amdhsa_system_sgpr_workgroup_id_x 1
		.amdhsa_system_sgpr_workgroup_id_y 0
		.amdhsa_system_sgpr_workgroup_id_z 0
		.amdhsa_system_sgpr_workgroup_info 0
		.amdhsa_system_vgpr_workitem_id 0
		.amdhsa_next_free_vgpr 1
		.amdhsa_next_free_sgpr 0
		.amdhsa_accum_offset 4
		.amdhsa_reserve_vcc 0
		.amdhsa_float_round_mode_32 0
		.amdhsa_float_round_mode_16_64 0
		.amdhsa_float_denorm_mode_32 3
		.amdhsa_float_denorm_mode_16_64 3
		.amdhsa_dx10_clamp 1
		.amdhsa_ieee_mode 1
		.amdhsa_fp16_overflow 0
		.amdhsa_tg_split 0
		.amdhsa_exception_fp_ieee_invalid_op 0
		.amdhsa_exception_fp_denorm_src 0
		.amdhsa_exception_fp_ieee_div_zero 0
		.amdhsa_exception_fp_ieee_overflow 0
		.amdhsa_exception_fp_ieee_underflow 0
		.amdhsa_exception_fp_ieee_inexact 0
		.amdhsa_exception_int_div_zero 0
	.end_amdhsa_kernel
	.section	.text._ZN7rocprim17ROCPRIM_400000_NS6detail17trampoline_kernelINS0_14default_configENS1_27scan_by_key_config_selectorIj11FixedVectorIiLj1EEEEZZNS1_16scan_by_key_implILNS1_25lookback_scan_determinismE0ELb1ES3_N6thrust23THRUST_200600_302600_NS6detail15normal_iteratorINSB_10device_ptrIjEEEENSD_INSE_IS6_EEEESI_S6_NSB_4plusIvEENSB_8equal_toIvEES6_EE10hipError_tPvRmT2_T3_T4_T5_mT6_T7_P12ihipStream_tbENKUlT_T0_E_clISt17integral_constantIbLb0EES13_EEDaSY_SZ_EUlSY_E_NS1_11comp_targetILNS1_3genE4ELNS1_11target_archE910ELNS1_3gpuE8ELNS1_3repE0EEENS1_30default_config_static_selectorELNS0_4arch9wavefront6targetE1EEEvT1_,"axG",@progbits,_ZN7rocprim17ROCPRIM_400000_NS6detail17trampoline_kernelINS0_14default_configENS1_27scan_by_key_config_selectorIj11FixedVectorIiLj1EEEEZZNS1_16scan_by_key_implILNS1_25lookback_scan_determinismE0ELb1ES3_N6thrust23THRUST_200600_302600_NS6detail15normal_iteratorINSB_10device_ptrIjEEEENSD_INSE_IS6_EEEESI_S6_NSB_4plusIvEENSB_8equal_toIvEES6_EE10hipError_tPvRmT2_T3_T4_T5_mT6_T7_P12ihipStream_tbENKUlT_T0_E_clISt17integral_constantIbLb0EES13_EEDaSY_SZ_EUlSY_E_NS1_11comp_targetILNS1_3genE4ELNS1_11target_archE910ELNS1_3gpuE8ELNS1_3repE0EEENS1_30default_config_static_selectorELNS0_4arch9wavefront6targetE1EEEvT1_,comdat
.Lfunc_end1914:
	.size	_ZN7rocprim17ROCPRIM_400000_NS6detail17trampoline_kernelINS0_14default_configENS1_27scan_by_key_config_selectorIj11FixedVectorIiLj1EEEEZZNS1_16scan_by_key_implILNS1_25lookback_scan_determinismE0ELb1ES3_N6thrust23THRUST_200600_302600_NS6detail15normal_iteratorINSB_10device_ptrIjEEEENSD_INSE_IS6_EEEESI_S6_NSB_4plusIvEENSB_8equal_toIvEES6_EE10hipError_tPvRmT2_T3_T4_T5_mT6_T7_P12ihipStream_tbENKUlT_T0_E_clISt17integral_constantIbLb0EES13_EEDaSY_SZ_EUlSY_E_NS1_11comp_targetILNS1_3genE4ELNS1_11target_archE910ELNS1_3gpuE8ELNS1_3repE0EEENS1_30default_config_static_selectorELNS0_4arch9wavefront6targetE1EEEvT1_, .Lfunc_end1914-_ZN7rocprim17ROCPRIM_400000_NS6detail17trampoline_kernelINS0_14default_configENS1_27scan_by_key_config_selectorIj11FixedVectorIiLj1EEEEZZNS1_16scan_by_key_implILNS1_25lookback_scan_determinismE0ELb1ES3_N6thrust23THRUST_200600_302600_NS6detail15normal_iteratorINSB_10device_ptrIjEEEENSD_INSE_IS6_EEEESI_S6_NSB_4plusIvEENSB_8equal_toIvEES6_EE10hipError_tPvRmT2_T3_T4_T5_mT6_T7_P12ihipStream_tbENKUlT_T0_E_clISt17integral_constantIbLb0EES13_EEDaSY_SZ_EUlSY_E_NS1_11comp_targetILNS1_3genE4ELNS1_11target_archE910ELNS1_3gpuE8ELNS1_3repE0EEENS1_30default_config_static_selectorELNS0_4arch9wavefront6targetE1EEEvT1_
                                        ; -- End function
	.section	.AMDGPU.csdata,"",@progbits
; Kernel info:
; codeLenInByte = 0
; NumSgprs: 6
; NumVgprs: 0
; NumAgprs: 0
; TotalNumVgprs: 0
; ScratchSize: 0
; MemoryBound: 0
; FloatMode: 240
; IeeeMode: 1
; LDSByteSize: 0 bytes/workgroup (compile time only)
; SGPRBlocks: 0
; VGPRBlocks: 0
; NumSGPRsForWavesPerEU: 6
; NumVGPRsForWavesPerEU: 1
; AccumOffset: 4
; Occupancy: 8
; WaveLimiterHint : 0
; COMPUTE_PGM_RSRC2:SCRATCH_EN: 0
; COMPUTE_PGM_RSRC2:USER_SGPR: 2
; COMPUTE_PGM_RSRC2:TRAP_HANDLER: 0
; COMPUTE_PGM_RSRC2:TGID_X_EN: 1
; COMPUTE_PGM_RSRC2:TGID_Y_EN: 0
; COMPUTE_PGM_RSRC2:TGID_Z_EN: 0
; COMPUTE_PGM_RSRC2:TIDIG_COMP_CNT: 0
; COMPUTE_PGM_RSRC3_GFX90A:ACCUM_OFFSET: 0
; COMPUTE_PGM_RSRC3_GFX90A:TG_SPLIT: 0
	.section	.text._ZN7rocprim17ROCPRIM_400000_NS6detail17trampoline_kernelINS0_14default_configENS1_27scan_by_key_config_selectorIj11FixedVectorIiLj1EEEEZZNS1_16scan_by_key_implILNS1_25lookback_scan_determinismE0ELb1ES3_N6thrust23THRUST_200600_302600_NS6detail15normal_iteratorINSB_10device_ptrIjEEEENSD_INSE_IS6_EEEESI_S6_NSB_4plusIvEENSB_8equal_toIvEES6_EE10hipError_tPvRmT2_T3_T4_T5_mT6_T7_P12ihipStream_tbENKUlT_T0_E_clISt17integral_constantIbLb0EES13_EEDaSY_SZ_EUlSY_E_NS1_11comp_targetILNS1_3genE3ELNS1_11target_archE908ELNS1_3gpuE7ELNS1_3repE0EEENS1_30default_config_static_selectorELNS0_4arch9wavefront6targetE1EEEvT1_,"axG",@progbits,_ZN7rocprim17ROCPRIM_400000_NS6detail17trampoline_kernelINS0_14default_configENS1_27scan_by_key_config_selectorIj11FixedVectorIiLj1EEEEZZNS1_16scan_by_key_implILNS1_25lookback_scan_determinismE0ELb1ES3_N6thrust23THRUST_200600_302600_NS6detail15normal_iteratorINSB_10device_ptrIjEEEENSD_INSE_IS6_EEEESI_S6_NSB_4plusIvEENSB_8equal_toIvEES6_EE10hipError_tPvRmT2_T3_T4_T5_mT6_T7_P12ihipStream_tbENKUlT_T0_E_clISt17integral_constantIbLb0EES13_EEDaSY_SZ_EUlSY_E_NS1_11comp_targetILNS1_3genE3ELNS1_11target_archE908ELNS1_3gpuE7ELNS1_3repE0EEENS1_30default_config_static_selectorELNS0_4arch9wavefront6targetE1EEEvT1_,comdat
	.protected	_ZN7rocprim17ROCPRIM_400000_NS6detail17trampoline_kernelINS0_14default_configENS1_27scan_by_key_config_selectorIj11FixedVectorIiLj1EEEEZZNS1_16scan_by_key_implILNS1_25lookback_scan_determinismE0ELb1ES3_N6thrust23THRUST_200600_302600_NS6detail15normal_iteratorINSB_10device_ptrIjEEEENSD_INSE_IS6_EEEESI_S6_NSB_4plusIvEENSB_8equal_toIvEES6_EE10hipError_tPvRmT2_T3_T4_T5_mT6_T7_P12ihipStream_tbENKUlT_T0_E_clISt17integral_constantIbLb0EES13_EEDaSY_SZ_EUlSY_E_NS1_11comp_targetILNS1_3genE3ELNS1_11target_archE908ELNS1_3gpuE7ELNS1_3repE0EEENS1_30default_config_static_selectorELNS0_4arch9wavefront6targetE1EEEvT1_ ; -- Begin function _ZN7rocprim17ROCPRIM_400000_NS6detail17trampoline_kernelINS0_14default_configENS1_27scan_by_key_config_selectorIj11FixedVectorIiLj1EEEEZZNS1_16scan_by_key_implILNS1_25lookback_scan_determinismE0ELb1ES3_N6thrust23THRUST_200600_302600_NS6detail15normal_iteratorINSB_10device_ptrIjEEEENSD_INSE_IS6_EEEESI_S6_NSB_4plusIvEENSB_8equal_toIvEES6_EE10hipError_tPvRmT2_T3_T4_T5_mT6_T7_P12ihipStream_tbENKUlT_T0_E_clISt17integral_constantIbLb0EES13_EEDaSY_SZ_EUlSY_E_NS1_11comp_targetILNS1_3genE3ELNS1_11target_archE908ELNS1_3gpuE7ELNS1_3repE0EEENS1_30default_config_static_selectorELNS0_4arch9wavefront6targetE1EEEvT1_
	.globl	_ZN7rocprim17ROCPRIM_400000_NS6detail17trampoline_kernelINS0_14default_configENS1_27scan_by_key_config_selectorIj11FixedVectorIiLj1EEEEZZNS1_16scan_by_key_implILNS1_25lookback_scan_determinismE0ELb1ES3_N6thrust23THRUST_200600_302600_NS6detail15normal_iteratorINSB_10device_ptrIjEEEENSD_INSE_IS6_EEEESI_S6_NSB_4plusIvEENSB_8equal_toIvEES6_EE10hipError_tPvRmT2_T3_T4_T5_mT6_T7_P12ihipStream_tbENKUlT_T0_E_clISt17integral_constantIbLb0EES13_EEDaSY_SZ_EUlSY_E_NS1_11comp_targetILNS1_3genE3ELNS1_11target_archE908ELNS1_3gpuE7ELNS1_3repE0EEENS1_30default_config_static_selectorELNS0_4arch9wavefront6targetE1EEEvT1_
	.p2align	8
	.type	_ZN7rocprim17ROCPRIM_400000_NS6detail17trampoline_kernelINS0_14default_configENS1_27scan_by_key_config_selectorIj11FixedVectorIiLj1EEEEZZNS1_16scan_by_key_implILNS1_25lookback_scan_determinismE0ELb1ES3_N6thrust23THRUST_200600_302600_NS6detail15normal_iteratorINSB_10device_ptrIjEEEENSD_INSE_IS6_EEEESI_S6_NSB_4plusIvEENSB_8equal_toIvEES6_EE10hipError_tPvRmT2_T3_T4_T5_mT6_T7_P12ihipStream_tbENKUlT_T0_E_clISt17integral_constantIbLb0EES13_EEDaSY_SZ_EUlSY_E_NS1_11comp_targetILNS1_3genE3ELNS1_11target_archE908ELNS1_3gpuE7ELNS1_3repE0EEENS1_30default_config_static_selectorELNS0_4arch9wavefront6targetE1EEEvT1_,@function
_ZN7rocprim17ROCPRIM_400000_NS6detail17trampoline_kernelINS0_14default_configENS1_27scan_by_key_config_selectorIj11FixedVectorIiLj1EEEEZZNS1_16scan_by_key_implILNS1_25lookback_scan_determinismE0ELb1ES3_N6thrust23THRUST_200600_302600_NS6detail15normal_iteratorINSB_10device_ptrIjEEEENSD_INSE_IS6_EEEESI_S6_NSB_4plusIvEENSB_8equal_toIvEES6_EE10hipError_tPvRmT2_T3_T4_T5_mT6_T7_P12ihipStream_tbENKUlT_T0_E_clISt17integral_constantIbLb0EES13_EEDaSY_SZ_EUlSY_E_NS1_11comp_targetILNS1_3genE3ELNS1_11target_archE908ELNS1_3gpuE7ELNS1_3repE0EEENS1_30default_config_static_selectorELNS0_4arch9wavefront6targetE1EEEvT1_: ; @_ZN7rocprim17ROCPRIM_400000_NS6detail17trampoline_kernelINS0_14default_configENS1_27scan_by_key_config_selectorIj11FixedVectorIiLj1EEEEZZNS1_16scan_by_key_implILNS1_25lookback_scan_determinismE0ELb1ES3_N6thrust23THRUST_200600_302600_NS6detail15normal_iteratorINSB_10device_ptrIjEEEENSD_INSE_IS6_EEEESI_S6_NSB_4plusIvEENSB_8equal_toIvEES6_EE10hipError_tPvRmT2_T3_T4_T5_mT6_T7_P12ihipStream_tbENKUlT_T0_E_clISt17integral_constantIbLb0EES13_EEDaSY_SZ_EUlSY_E_NS1_11comp_targetILNS1_3genE3ELNS1_11target_archE908ELNS1_3gpuE7ELNS1_3repE0EEENS1_30default_config_static_selectorELNS0_4arch9wavefront6targetE1EEEvT1_
; %bb.0:
	.section	.rodata,"a",@progbits
	.p2align	6, 0x0
	.amdhsa_kernel _ZN7rocprim17ROCPRIM_400000_NS6detail17trampoline_kernelINS0_14default_configENS1_27scan_by_key_config_selectorIj11FixedVectorIiLj1EEEEZZNS1_16scan_by_key_implILNS1_25lookback_scan_determinismE0ELb1ES3_N6thrust23THRUST_200600_302600_NS6detail15normal_iteratorINSB_10device_ptrIjEEEENSD_INSE_IS6_EEEESI_S6_NSB_4plusIvEENSB_8equal_toIvEES6_EE10hipError_tPvRmT2_T3_T4_T5_mT6_T7_P12ihipStream_tbENKUlT_T0_E_clISt17integral_constantIbLb0EES13_EEDaSY_SZ_EUlSY_E_NS1_11comp_targetILNS1_3genE3ELNS1_11target_archE908ELNS1_3gpuE7ELNS1_3repE0EEENS1_30default_config_static_selectorELNS0_4arch9wavefront6targetE1EEEvT1_
		.amdhsa_group_segment_fixed_size 0
		.amdhsa_private_segment_fixed_size 0
		.amdhsa_kernarg_size 112
		.amdhsa_user_sgpr_count 2
		.amdhsa_user_sgpr_dispatch_ptr 0
		.amdhsa_user_sgpr_queue_ptr 0
		.amdhsa_user_sgpr_kernarg_segment_ptr 1
		.amdhsa_user_sgpr_dispatch_id 0
		.amdhsa_user_sgpr_kernarg_preload_length 0
		.amdhsa_user_sgpr_kernarg_preload_offset 0
		.amdhsa_user_sgpr_private_segment_size 0
		.amdhsa_uses_dynamic_stack 0
		.amdhsa_enable_private_segment 0
		.amdhsa_system_sgpr_workgroup_id_x 1
		.amdhsa_system_sgpr_workgroup_id_y 0
		.amdhsa_system_sgpr_workgroup_id_z 0
		.amdhsa_system_sgpr_workgroup_info 0
		.amdhsa_system_vgpr_workitem_id 0
		.amdhsa_next_free_vgpr 1
		.amdhsa_next_free_sgpr 0
		.amdhsa_accum_offset 4
		.amdhsa_reserve_vcc 0
		.amdhsa_float_round_mode_32 0
		.amdhsa_float_round_mode_16_64 0
		.amdhsa_float_denorm_mode_32 3
		.amdhsa_float_denorm_mode_16_64 3
		.amdhsa_dx10_clamp 1
		.amdhsa_ieee_mode 1
		.amdhsa_fp16_overflow 0
		.amdhsa_tg_split 0
		.amdhsa_exception_fp_ieee_invalid_op 0
		.amdhsa_exception_fp_denorm_src 0
		.amdhsa_exception_fp_ieee_div_zero 0
		.amdhsa_exception_fp_ieee_overflow 0
		.amdhsa_exception_fp_ieee_underflow 0
		.amdhsa_exception_fp_ieee_inexact 0
		.amdhsa_exception_int_div_zero 0
	.end_amdhsa_kernel
	.section	.text._ZN7rocprim17ROCPRIM_400000_NS6detail17trampoline_kernelINS0_14default_configENS1_27scan_by_key_config_selectorIj11FixedVectorIiLj1EEEEZZNS1_16scan_by_key_implILNS1_25lookback_scan_determinismE0ELb1ES3_N6thrust23THRUST_200600_302600_NS6detail15normal_iteratorINSB_10device_ptrIjEEEENSD_INSE_IS6_EEEESI_S6_NSB_4plusIvEENSB_8equal_toIvEES6_EE10hipError_tPvRmT2_T3_T4_T5_mT6_T7_P12ihipStream_tbENKUlT_T0_E_clISt17integral_constantIbLb0EES13_EEDaSY_SZ_EUlSY_E_NS1_11comp_targetILNS1_3genE3ELNS1_11target_archE908ELNS1_3gpuE7ELNS1_3repE0EEENS1_30default_config_static_selectorELNS0_4arch9wavefront6targetE1EEEvT1_,"axG",@progbits,_ZN7rocprim17ROCPRIM_400000_NS6detail17trampoline_kernelINS0_14default_configENS1_27scan_by_key_config_selectorIj11FixedVectorIiLj1EEEEZZNS1_16scan_by_key_implILNS1_25lookback_scan_determinismE0ELb1ES3_N6thrust23THRUST_200600_302600_NS6detail15normal_iteratorINSB_10device_ptrIjEEEENSD_INSE_IS6_EEEESI_S6_NSB_4plusIvEENSB_8equal_toIvEES6_EE10hipError_tPvRmT2_T3_T4_T5_mT6_T7_P12ihipStream_tbENKUlT_T0_E_clISt17integral_constantIbLb0EES13_EEDaSY_SZ_EUlSY_E_NS1_11comp_targetILNS1_3genE3ELNS1_11target_archE908ELNS1_3gpuE7ELNS1_3repE0EEENS1_30default_config_static_selectorELNS0_4arch9wavefront6targetE1EEEvT1_,comdat
.Lfunc_end1915:
	.size	_ZN7rocprim17ROCPRIM_400000_NS6detail17trampoline_kernelINS0_14default_configENS1_27scan_by_key_config_selectorIj11FixedVectorIiLj1EEEEZZNS1_16scan_by_key_implILNS1_25lookback_scan_determinismE0ELb1ES3_N6thrust23THRUST_200600_302600_NS6detail15normal_iteratorINSB_10device_ptrIjEEEENSD_INSE_IS6_EEEESI_S6_NSB_4plusIvEENSB_8equal_toIvEES6_EE10hipError_tPvRmT2_T3_T4_T5_mT6_T7_P12ihipStream_tbENKUlT_T0_E_clISt17integral_constantIbLb0EES13_EEDaSY_SZ_EUlSY_E_NS1_11comp_targetILNS1_3genE3ELNS1_11target_archE908ELNS1_3gpuE7ELNS1_3repE0EEENS1_30default_config_static_selectorELNS0_4arch9wavefront6targetE1EEEvT1_, .Lfunc_end1915-_ZN7rocprim17ROCPRIM_400000_NS6detail17trampoline_kernelINS0_14default_configENS1_27scan_by_key_config_selectorIj11FixedVectorIiLj1EEEEZZNS1_16scan_by_key_implILNS1_25lookback_scan_determinismE0ELb1ES3_N6thrust23THRUST_200600_302600_NS6detail15normal_iteratorINSB_10device_ptrIjEEEENSD_INSE_IS6_EEEESI_S6_NSB_4plusIvEENSB_8equal_toIvEES6_EE10hipError_tPvRmT2_T3_T4_T5_mT6_T7_P12ihipStream_tbENKUlT_T0_E_clISt17integral_constantIbLb0EES13_EEDaSY_SZ_EUlSY_E_NS1_11comp_targetILNS1_3genE3ELNS1_11target_archE908ELNS1_3gpuE7ELNS1_3repE0EEENS1_30default_config_static_selectorELNS0_4arch9wavefront6targetE1EEEvT1_
                                        ; -- End function
	.section	.AMDGPU.csdata,"",@progbits
; Kernel info:
; codeLenInByte = 0
; NumSgprs: 6
; NumVgprs: 0
; NumAgprs: 0
; TotalNumVgprs: 0
; ScratchSize: 0
; MemoryBound: 0
; FloatMode: 240
; IeeeMode: 1
; LDSByteSize: 0 bytes/workgroup (compile time only)
; SGPRBlocks: 0
; VGPRBlocks: 0
; NumSGPRsForWavesPerEU: 6
; NumVGPRsForWavesPerEU: 1
; AccumOffset: 4
; Occupancy: 8
; WaveLimiterHint : 0
; COMPUTE_PGM_RSRC2:SCRATCH_EN: 0
; COMPUTE_PGM_RSRC2:USER_SGPR: 2
; COMPUTE_PGM_RSRC2:TRAP_HANDLER: 0
; COMPUTE_PGM_RSRC2:TGID_X_EN: 1
; COMPUTE_PGM_RSRC2:TGID_Y_EN: 0
; COMPUTE_PGM_RSRC2:TGID_Z_EN: 0
; COMPUTE_PGM_RSRC2:TIDIG_COMP_CNT: 0
; COMPUTE_PGM_RSRC3_GFX90A:ACCUM_OFFSET: 0
; COMPUTE_PGM_RSRC3_GFX90A:TG_SPLIT: 0
	.section	.text._ZN7rocprim17ROCPRIM_400000_NS6detail17trampoline_kernelINS0_14default_configENS1_27scan_by_key_config_selectorIj11FixedVectorIiLj1EEEEZZNS1_16scan_by_key_implILNS1_25lookback_scan_determinismE0ELb1ES3_N6thrust23THRUST_200600_302600_NS6detail15normal_iteratorINSB_10device_ptrIjEEEENSD_INSE_IS6_EEEESI_S6_NSB_4plusIvEENSB_8equal_toIvEES6_EE10hipError_tPvRmT2_T3_T4_T5_mT6_T7_P12ihipStream_tbENKUlT_T0_E_clISt17integral_constantIbLb0EES13_EEDaSY_SZ_EUlSY_E_NS1_11comp_targetILNS1_3genE2ELNS1_11target_archE906ELNS1_3gpuE6ELNS1_3repE0EEENS1_30default_config_static_selectorELNS0_4arch9wavefront6targetE1EEEvT1_,"axG",@progbits,_ZN7rocprim17ROCPRIM_400000_NS6detail17trampoline_kernelINS0_14default_configENS1_27scan_by_key_config_selectorIj11FixedVectorIiLj1EEEEZZNS1_16scan_by_key_implILNS1_25lookback_scan_determinismE0ELb1ES3_N6thrust23THRUST_200600_302600_NS6detail15normal_iteratorINSB_10device_ptrIjEEEENSD_INSE_IS6_EEEESI_S6_NSB_4plusIvEENSB_8equal_toIvEES6_EE10hipError_tPvRmT2_T3_T4_T5_mT6_T7_P12ihipStream_tbENKUlT_T0_E_clISt17integral_constantIbLb0EES13_EEDaSY_SZ_EUlSY_E_NS1_11comp_targetILNS1_3genE2ELNS1_11target_archE906ELNS1_3gpuE6ELNS1_3repE0EEENS1_30default_config_static_selectorELNS0_4arch9wavefront6targetE1EEEvT1_,comdat
	.protected	_ZN7rocprim17ROCPRIM_400000_NS6detail17trampoline_kernelINS0_14default_configENS1_27scan_by_key_config_selectorIj11FixedVectorIiLj1EEEEZZNS1_16scan_by_key_implILNS1_25lookback_scan_determinismE0ELb1ES3_N6thrust23THRUST_200600_302600_NS6detail15normal_iteratorINSB_10device_ptrIjEEEENSD_INSE_IS6_EEEESI_S6_NSB_4plusIvEENSB_8equal_toIvEES6_EE10hipError_tPvRmT2_T3_T4_T5_mT6_T7_P12ihipStream_tbENKUlT_T0_E_clISt17integral_constantIbLb0EES13_EEDaSY_SZ_EUlSY_E_NS1_11comp_targetILNS1_3genE2ELNS1_11target_archE906ELNS1_3gpuE6ELNS1_3repE0EEENS1_30default_config_static_selectorELNS0_4arch9wavefront6targetE1EEEvT1_ ; -- Begin function _ZN7rocprim17ROCPRIM_400000_NS6detail17trampoline_kernelINS0_14default_configENS1_27scan_by_key_config_selectorIj11FixedVectorIiLj1EEEEZZNS1_16scan_by_key_implILNS1_25lookback_scan_determinismE0ELb1ES3_N6thrust23THRUST_200600_302600_NS6detail15normal_iteratorINSB_10device_ptrIjEEEENSD_INSE_IS6_EEEESI_S6_NSB_4plusIvEENSB_8equal_toIvEES6_EE10hipError_tPvRmT2_T3_T4_T5_mT6_T7_P12ihipStream_tbENKUlT_T0_E_clISt17integral_constantIbLb0EES13_EEDaSY_SZ_EUlSY_E_NS1_11comp_targetILNS1_3genE2ELNS1_11target_archE906ELNS1_3gpuE6ELNS1_3repE0EEENS1_30default_config_static_selectorELNS0_4arch9wavefront6targetE1EEEvT1_
	.globl	_ZN7rocprim17ROCPRIM_400000_NS6detail17trampoline_kernelINS0_14default_configENS1_27scan_by_key_config_selectorIj11FixedVectorIiLj1EEEEZZNS1_16scan_by_key_implILNS1_25lookback_scan_determinismE0ELb1ES3_N6thrust23THRUST_200600_302600_NS6detail15normal_iteratorINSB_10device_ptrIjEEEENSD_INSE_IS6_EEEESI_S6_NSB_4plusIvEENSB_8equal_toIvEES6_EE10hipError_tPvRmT2_T3_T4_T5_mT6_T7_P12ihipStream_tbENKUlT_T0_E_clISt17integral_constantIbLb0EES13_EEDaSY_SZ_EUlSY_E_NS1_11comp_targetILNS1_3genE2ELNS1_11target_archE906ELNS1_3gpuE6ELNS1_3repE0EEENS1_30default_config_static_selectorELNS0_4arch9wavefront6targetE1EEEvT1_
	.p2align	8
	.type	_ZN7rocprim17ROCPRIM_400000_NS6detail17trampoline_kernelINS0_14default_configENS1_27scan_by_key_config_selectorIj11FixedVectorIiLj1EEEEZZNS1_16scan_by_key_implILNS1_25lookback_scan_determinismE0ELb1ES3_N6thrust23THRUST_200600_302600_NS6detail15normal_iteratorINSB_10device_ptrIjEEEENSD_INSE_IS6_EEEESI_S6_NSB_4plusIvEENSB_8equal_toIvEES6_EE10hipError_tPvRmT2_T3_T4_T5_mT6_T7_P12ihipStream_tbENKUlT_T0_E_clISt17integral_constantIbLb0EES13_EEDaSY_SZ_EUlSY_E_NS1_11comp_targetILNS1_3genE2ELNS1_11target_archE906ELNS1_3gpuE6ELNS1_3repE0EEENS1_30default_config_static_selectorELNS0_4arch9wavefront6targetE1EEEvT1_,@function
_ZN7rocprim17ROCPRIM_400000_NS6detail17trampoline_kernelINS0_14default_configENS1_27scan_by_key_config_selectorIj11FixedVectorIiLj1EEEEZZNS1_16scan_by_key_implILNS1_25lookback_scan_determinismE0ELb1ES3_N6thrust23THRUST_200600_302600_NS6detail15normal_iteratorINSB_10device_ptrIjEEEENSD_INSE_IS6_EEEESI_S6_NSB_4plusIvEENSB_8equal_toIvEES6_EE10hipError_tPvRmT2_T3_T4_T5_mT6_T7_P12ihipStream_tbENKUlT_T0_E_clISt17integral_constantIbLb0EES13_EEDaSY_SZ_EUlSY_E_NS1_11comp_targetILNS1_3genE2ELNS1_11target_archE906ELNS1_3gpuE6ELNS1_3repE0EEENS1_30default_config_static_selectorELNS0_4arch9wavefront6targetE1EEEvT1_: ; @_ZN7rocprim17ROCPRIM_400000_NS6detail17trampoline_kernelINS0_14default_configENS1_27scan_by_key_config_selectorIj11FixedVectorIiLj1EEEEZZNS1_16scan_by_key_implILNS1_25lookback_scan_determinismE0ELb1ES3_N6thrust23THRUST_200600_302600_NS6detail15normal_iteratorINSB_10device_ptrIjEEEENSD_INSE_IS6_EEEESI_S6_NSB_4plusIvEENSB_8equal_toIvEES6_EE10hipError_tPvRmT2_T3_T4_T5_mT6_T7_P12ihipStream_tbENKUlT_T0_E_clISt17integral_constantIbLb0EES13_EEDaSY_SZ_EUlSY_E_NS1_11comp_targetILNS1_3genE2ELNS1_11target_archE906ELNS1_3gpuE6ELNS1_3repE0EEENS1_30default_config_static_selectorELNS0_4arch9wavefront6targetE1EEEvT1_
; %bb.0:
	.section	.rodata,"a",@progbits
	.p2align	6, 0x0
	.amdhsa_kernel _ZN7rocprim17ROCPRIM_400000_NS6detail17trampoline_kernelINS0_14default_configENS1_27scan_by_key_config_selectorIj11FixedVectorIiLj1EEEEZZNS1_16scan_by_key_implILNS1_25lookback_scan_determinismE0ELb1ES3_N6thrust23THRUST_200600_302600_NS6detail15normal_iteratorINSB_10device_ptrIjEEEENSD_INSE_IS6_EEEESI_S6_NSB_4plusIvEENSB_8equal_toIvEES6_EE10hipError_tPvRmT2_T3_T4_T5_mT6_T7_P12ihipStream_tbENKUlT_T0_E_clISt17integral_constantIbLb0EES13_EEDaSY_SZ_EUlSY_E_NS1_11comp_targetILNS1_3genE2ELNS1_11target_archE906ELNS1_3gpuE6ELNS1_3repE0EEENS1_30default_config_static_selectorELNS0_4arch9wavefront6targetE1EEEvT1_
		.amdhsa_group_segment_fixed_size 0
		.amdhsa_private_segment_fixed_size 0
		.amdhsa_kernarg_size 112
		.amdhsa_user_sgpr_count 2
		.amdhsa_user_sgpr_dispatch_ptr 0
		.amdhsa_user_sgpr_queue_ptr 0
		.amdhsa_user_sgpr_kernarg_segment_ptr 1
		.amdhsa_user_sgpr_dispatch_id 0
		.amdhsa_user_sgpr_kernarg_preload_length 0
		.amdhsa_user_sgpr_kernarg_preload_offset 0
		.amdhsa_user_sgpr_private_segment_size 0
		.amdhsa_uses_dynamic_stack 0
		.amdhsa_enable_private_segment 0
		.amdhsa_system_sgpr_workgroup_id_x 1
		.amdhsa_system_sgpr_workgroup_id_y 0
		.amdhsa_system_sgpr_workgroup_id_z 0
		.amdhsa_system_sgpr_workgroup_info 0
		.amdhsa_system_vgpr_workitem_id 0
		.amdhsa_next_free_vgpr 1
		.amdhsa_next_free_sgpr 0
		.amdhsa_accum_offset 4
		.amdhsa_reserve_vcc 0
		.amdhsa_float_round_mode_32 0
		.amdhsa_float_round_mode_16_64 0
		.amdhsa_float_denorm_mode_32 3
		.amdhsa_float_denorm_mode_16_64 3
		.amdhsa_dx10_clamp 1
		.amdhsa_ieee_mode 1
		.amdhsa_fp16_overflow 0
		.amdhsa_tg_split 0
		.amdhsa_exception_fp_ieee_invalid_op 0
		.amdhsa_exception_fp_denorm_src 0
		.amdhsa_exception_fp_ieee_div_zero 0
		.amdhsa_exception_fp_ieee_overflow 0
		.amdhsa_exception_fp_ieee_underflow 0
		.amdhsa_exception_fp_ieee_inexact 0
		.amdhsa_exception_int_div_zero 0
	.end_amdhsa_kernel
	.section	.text._ZN7rocprim17ROCPRIM_400000_NS6detail17trampoline_kernelINS0_14default_configENS1_27scan_by_key_config_selectorIj11FixedVectorIiLj1EEEEZZNS1_16scan_by_key_implILNS1_25lookback_scan_determinismE0ELb1ES3_N6thrust23THRUST_200600_302600_NS6detail15normal_iteratorINSB_10device_ptrIjEEEENSD_INSE_IS6_EEEESI_S6_NSB_4plusIvEENSB_8equal_toIvEES6_EE10hipError_tPvRmT2_T3_T4_T5_mT6_T7_P12ihipStream_tbENKUlT_T0_E_clISt17integral_constantIbLb0EES13_EEDaSY_SZ_EUlSY_E_NS1_11comp_targetILNS1_3genE2ELNS1_11target_archE906ELNS1_3gpuE6ELNS1_3repE0EEENS1_30default_config_static_selectorELNS0_4arch9wavefront6targetE1EEEvT1_,"axG",@progbits,_ZN7rocprim17ROCPRIM_400000_NS6detail17trampoline_kernelINS0_14default_configENS1_27scan_by_key_config_selectorIj11FixedVectorIiLj1EEEEZZNS1_16scan_by_key_implILNS1_25lookback_scan_determinismE0ELb1ES3_N6thrust23THRUST_200600_302600_NS6detail15normal_iteratorINSB_10device_ptrIjEEEENSD_INSE_IS6_EEEESI_S6_NSB_4plusIvEENSB_8equal_toIvEES6_EE10hipError_tPvRmT2_T3_T4_T5_mT6_T7_P12ihipStream_tbENKUlT_T0_E_clISt17integral_constantIbLb0EES13_EEDaSY_SZ_EUlSY_E_NS1_11comp_targetILNS1_3genE2ELNS1_11target_archE906ELNS1_3gpuE6ELNS1_3repE0EEENS1_30default_config_static_selectorELNS0_4arch9wavefront6targetE1EEEvT1_,comdat
.Lfunc_end1916:
	.size	_ZN7rocprim17ROCPRIM_400000_NS6detail17trampoline_kernelINS0_14default_configENS1_27scan_by_key_config_selectorIj11FixedVectorIiLj1EEEEZZNS1_16scan_by_key_implILNS1_25lookback_scan_determinismE0ELb1ES3_N6thrust23THRUST_200600_302600_NS6detail15normal_iteratorINSB_10device_ptrIjEEEENSD_INSE_IS6_EEEESI_S6_NSB_4plusIvEENSB_8equal_toIvEES6_EE10hipError_tPvRmT2_T3_T4_T5_mT6_T7_P12ihipStream_tbENKUlT_T0_E_clISt17integral_constantIbLb0EES13_EEDaSY_SZ_EUlSY_E_NS1_11comp_targetILNS1_3genE2ELNS1_11target_archE906ELNS1_3gpuE6ELNS1_3repE0EEENS1_30default_config_static_selectorELNS0_4arch9wavefront6targetE1EEEvT1_, .Lfunc_end1916-_ZN7rocprim17ROCPRIM_400000_NS6detail17trampoline_kernelINS0_14default_configENS1_27scan_by_key_config_selectorIj11FixedVectorIiLj1EEEEZZNS1_16scan_by_key_implILNS1_25lookback_scan_determinismE0ELb1ES3_N6thrust23THRUST_200600_302600_NS6detail15normal_iteratorINSB_10device_ptrIjEEEENSD_INSE_IS6_EEEESI_S6_NSB_4plusIvEENSB_8equal_toIvEES6_EE10hipError_tPvRmT2_T3_T4_T5_mT6_T7_P12ihipStream_tbENKUlT_T0_E_clISt17integral_constantIbLb0EES13_EEDaSY_SZ_EUlSY_E_NS1_11comp_targetILNS1_3genE2ELNS1_11target_archE906ELNS1_3gpuE6ELNS1_3repE0EEENS1_30default_config_static_selectorELNS0_4arch9wavefront6targetE1EEEvT1_
                                        ; -- End function
	.section	.AMDGPU.csdata,"",@progbits
; Kernel info:
; codeLenInByte = 0
; NumSgprs: 6
; NumVgprs: 0
; NumAgprs: 0
; TotalNumVgprs: 0
; ScratchSize: 0
; MemoryBound: 0
; FloatMode: 240
; IeeeMode: 1
; LDSByteSize: 0 bytes/workgroup (compile time only)
; SGPRBlocks: 0
; VGPRBlocks: 0
; NumSGPRsForWavesPerEU: 6
; NumVGPRsForWavesPerEU: 1
; AccumOffset: 4
; Occupancy: 8
; WaveLimiterHint : 0
; COMPUTE_PGM_RSRC2:SCRATCH_EN: 0
; COMPUTE_PGM_RSRC2:USER_SGPR: 2
; COMPUTE_PGM_RSRC2:TRAP_HANDLER: 0
; COMPUTE_PGM_RSRC2:TGID_X_EN: 1
; COMPUTE_PGM_RSRC2:TGID_Y_EN: 0
; COMPUTE_PGM_RSRC2:TGID_Z_EN: 0
; COMPUTE_PGM_RSRC2:TIDIG_COMP_CNT: 0
; COMPUTE_PGM_RSRC3_GFX90A:ACCUM_OFFSET: 0
; COMPUTE_PGM_RSRC3_GFX90A:TG_SPLIT: 0
	.section	.text._ZN7rocprim17ROCPRIM_400000_NS6detail17trampoline_kernelINS0_14default_configENS1_27scan_by_key_config_selectorIj11FixedVectorIiLj1EEEEZZNS1_16scan_by_key_implILNS1_25lookback_scan_determinismE0ELb1ES3_N6thrust23THRUST_200600_302600_NS6detail15normal_iteratorINSB_10device_ptrIjEEEENSD_INSE_IS6_EEEESI_S6_NSB_4plusIvEENSB_8equal_toIvEES6_EE10hipError_tPvRmT2_T3_T4_T5_mT6_T7_P12ihipStream_tbENKUlT_T0_E_clISt17integral_constantIbLb0EES13_EEDaSY_SZ_EUlSY_E_NS1_11comp_targetILNS1_3genE10ELNS1_11target_archE1200ELNS1_3gpuE4ELNS1_3repE0EEENS1_30default_config_static_selectorELNS0_4arch9wavefront6targetE1EEEvT1_,"axG",@progbits,_ZN7rocprim17ROCPRIM_400000_NS6detail17trampoline_kernelINS0_14default_configENS1_27scan_by_key_config_selectorIj11FixedVectorIiLj1EEEEZZNS1_16scan_by_key_implILNS1_25lookback_scan_determinismE0ELb1ES3_N6thrust23THRUST_200600_302600_NS6detail15normal_iteratorINSB_10device_ptrIjEEEENSD_INSE_IS6_EEEESI_S6_NSB_4plusIvEENSB_8equal_toIvEES6_EE10hipError_tPvRmT2_T3_T4_T5_mT6_T7_P12ihipStream_tbENKUlT_T0_E_clISt17integral_constantIbLb0EES13_EEDaSY_SZ_EUlSY_E_NS1_11comp_targetILNS1_3genE10ELNS1_11target_archE1200ELNS1_3gpuE4ELNS1_3repE0EEENS1_30default_config_static_selectorELNS0_4arch9wavefront6targetE1EEEvT1_,comdat
	.protected	_ZN7rocprim17ROCPRIM_400000_NS6detail17trampoline_kernelINS0_14default_configENS1_27scan_by_key_config_selectorIj11FixedVectorIiLj1EEEEZZNS1_16scan_by_key_implILNS1_25lookback_scan_determinismE0ELb1ES3_N6thrust23THRUST_200600_302600_NS6detail15normal_iteratorINSB_10device_ptrIjEEEENSD_INSE_IS6_EEEESI_S6_NSB_4plusIvEENSB_8equal_toIvEES6_EE10hipError_tPvRmT2_T3_T4_T5_mT6_T7_P12ihipStream_tbENKUlT_T0_E_clISt17integral_constantIbLb0EES13_EEDaSY_SZ_EUlSY_E_NS1_11comp_targetILNS1_3genE10ELNS1_11target_archE1200ELNS1_3gpuE4ELNS1_3repE0EEENS1_30default_config_static_selectorELNS0_4arch9wavefront6targetE1EEEvT1_ ; -- Begin function _ZN7rocprim17ROCPRIM_400000_NS6detail17trampoline_kernelINS0_14default_configENS1_27scan_by_key_config_selectorIj11FixedVectorIiLj1EEEEZZNS1_16scan_by_key_implILNS1_25lookback_scan_determinismE0ELb1ES3_N6thrust23THRUST_200600_302600_NS6detail15normal_iteratorINSB_10device_ptrIjEEEENSD_INSE_IS6_EEEESI_S6_NSB_4plusIvEENSB_8equal_toIvEES6_EE10hipError_tPvRmT2_T3_T4_T5_mT6_T7_P12ihipStream_tbENKUlT_T0_E_clISt17integral_constantIbLb0EES13_EEDaSY_SZ_EUlSY_E_NS1_11comp_targetILNS1_3genE10ELNS1_11target_archE1200ELNS1_3gpuE4ELNS1_3repE0EEENS1_30default_config_static_selectorELNS0_4arch9wavefront6targetE1EEEvT1_
	.globl	_ZN7rocprim17ROCPRIM_400000_NS6detail17trampoline_kernelINS0_14default_configENS1_27scan_by_key_config_selectorIj11FixedVectorIiLj1EEEEZZNS1_16scan_by_key_implILNS1_25lookback_scan_determinismE0ELb1ES3_N6thrust23THRUST_200600_302600_NS6detail15normal_iteratorINSB_10device_ptrIjEEEENSD_INSE_IS6_EEEESI_S6_NSB_4plusIvEENSB_8equal_toIvEES6_EE10hipError_tPvRmT2_T3_T4_T5_mT6_T7_P12ihipStream_tbENKUlT_T0_E_clISt17integral_constantIbLb0EES13_EEDaSY_SZ_EUlSY_E_NS1_11comp_targetILNS1_3genE10ELNS1_11target_archE1200ELNS1_3gpuE4ELNS1_3repE0EEENS1_30default_config_static_selectorELNS0_4arch9wavefront6targetE1EEEvT1_
	.p2align	8
	.type	_ZN7rocprim17ROCPRIM_400000_NS6detail17trampoline_kernelINS0_14default_configENS1_27scan_by_key_config_selectorIj11FixedVectorIiLj1EEEEZZNS1_16scan_by_key_implILNS1_25lookback_scan_determinismE0ELb1ES3_N6thrust23THRUST_200600_302600_NS6detail15normal_iteratorINSB_10device_ptrIjEEEENSD_INSE_IS6_EEEESI_S6_NSB_4plusIvEENSB_8equal_toIvEES6_EE10hipError_tPvRmT2_T3_T4_T5_mT6_T7_P12ihipStream_tbENKUlT_T0_E_clISt17integral_constantIbLb0EES13_EEDaSY_SZ_EUlSY_E_NS1_11comp_targetILNS1_3genE10ELNS1_11target_archE1200ELNS1_3gpuE4ELNS1_3repE0EEENS1_30default_config_static_selectorELNS0_4arch9wavefront6targetE1EEEvT1_,@function
_ZN7rocprim17ROCPRIM_400000_NS6detail17trampoline_kernelINS0_14default_configENS1_27scan_by_key_config_selectorIj11FixedVectorIiLj1EEEEZZNS1_16scan_by_key_implILNS1_25lookback_scan_determinismE0ELb1ES3_N6thrust23THRUST_200600_302600_NS6detail15normal_iteratorINSB_10device_ptrIjEEEENSD_INSE_IS6_EEEESI_S6_NSB_4plusIvEENSB_8equal_toIvEES6_EE10hipError_tPvRmT2_T3_T4_T5_mT6_T7_P12ihipStream_tbENKUlT_T0_E_clISt17integral_constantIbLb0EES13_EEDaSY_SZ_EUlSY_E_NS1_11comp_targetILNS1_3genE10ELNS1_11target_archE1200ELNS1_3gpuE4ELNS1_3repE0EEENS1_30default_config_static_selectorELNS0_4arch9wavefront6targetE1EEEvT1_: ; @_ZN7rocprim17ROCPRIM_400000_NS6detail17trampoline_kernelINS0_14default_configENS1_27scan_by_key_config_selectorIj11FixedVectorIiLj1EEEEZZNS1_16scan_by_key_implILNS1_25lookback_scan_determinismE0ELb1ES3_N6thrust23THRUST_200600_302600_NS6detail15normal_iteratorINSB_10device_ptrIjEEEENSD_INSE_IS6_EEEESI_S6_NSB_4plusIvEENSB_8equal_toIvEES6_EE10hipError_tPvRmT2_T3_T4_T5_mT6_T7_P12ihipStream_tbENKUlT_T0_E_clISt17integral_constantIbLb0EES13_EEDaSY_SZ_EUlSY_E_NS1_11comp_targetILNS1_3genE10ELNS1_11target_archE1200ELNS1_3gpuE4ELNS1_3repE0EEENS1_30default_config_static_selectorELNS0_4arch9wavefront6targetE1EEEvT1_
; %bb.0:
	.section	.rodata,"a",@progbits
	.p2align	6, 0x0
	.amdhsa_kernel _ZN7rocprim17ROCPRIM_400000_NS6detail17trampoline_kernelINS0_14default_configENS1_27scan_by_key_config_selectorIj11FixedVectorIiLj1EEEEZZNS1_16scan_by_key_implILNS1_25lookback_scan_determinismE0ELb1ES3_N6thrust23THRUST_200600_302600_NS6detail15normal_iteratorINSB_10device_ptrIjEEEENSD_INSE_IS6_EEEESI_S6_NSB_4plusIvEENSB_8equal_toIvEES6_EE10hipError_tPvRmT2_T3_T4_T5_mT6_T7_P12ihipStream_tbENKUlT_T0_E_clISt17integral_constantIbLb0EES13_EEDaSY_SZ_EUlSY_E_NS1_11comp_targetILNS1_3genE10ELNS1_11target_archE1200ELNS1_3gpuE4ELNS1_3repE0EEENS1_30default_config_static_selectorELNS0_4arch9wavefront6targetE1EEEvT1_
		.amdhsa_group_segment_fixed_size 0
		.amdhsa_private_segment_fixed_size 0
		.amdhsa_kernarg_size 112
		.amdhsa_user_sgpr_count 2
		.amdhsa_user_sgpr_dispatch_ptr 0
		.amdhsa_user_sgpr_queue_ptr 0
		.amdhsa_user_sgpr_kernarg_segment_ptr 1
		.amdhsa_user_sgpr_dispatch_id 0
		.amdhsa_user_sgpr_kernarg_preload_length 0
		.amdhsa_user_sgpr_kernarg_preload_offset 0
		.amdhsa_user_sgpr_private_segment_size 0
		.amdhsa_uses_dynamic_stack 0
		.amdhsa_enable_private_segment 0
		.amdhsa_system_sgpr_workgroup_id_x 1
		.amdhsa_system_sgpr_workgroup_id_y 0
		.amdhsa_system_sgpr_workgroup_id_z 0
		.amdhsa_system_sgpr_workgroup_info 0
		.amdhsa_system_vgpr_workitem_id 0
		.amdhsa_next_free_vgpr 1
		.amdhsa_next_free_sgpr 0
		.amdhsa_accum_offset 4
		.amdhsa_reserve_vcc 0
		.amdhsa_float_round_mode_32 0
		.amdhsa_float_round_mode_16_64 0
		.amdhsa_float_denorm_mode_32 3
		.amdhsa_float_denorm_mode_16_64 3
		.amdhsa_dx10_clamp 1
		.amdhsa_ieee_mode 1
		.amdhsa_fp16_overflow 0
		.amdhsa_tg_split 0
		.amdhsa_exception_fp_ieee_invalid_op 0
		.amdhsa_exception_fp_denorm_src 0
		.amdhsa_exception_fp_ieee_div_zero 0
		.amdhsa_exception_fp_ieee_overflow 0
		.amdhsa_exception_fp_ieee_underflow 0
		.amdhsa_exception_fp_ieee_inexact 0
		.amdhsa_exception_int_div_zero 0
	.end_amdhsa_kernel
	.section	.text._ZN7rocprim17ROCPRIM_400000_NS6detail17trampoline_kernelINS0_14default_configENS1_27scan_by_key_config_selectorIj11FixedVectorIiLj1EEEEZZNS1_16scan_by_key_implILNS1_25lookback_scan_determinismE0ELb1ES3_N6thrust23THRUST_200600_302600_NS6detail15normal_iteratorINSB_10device_ptrIjEEEENSD_INSE_IS6_EEEESI_S6_NSB_4plusIvEENSB_8equal_toIvEES6_EE10hipError_tPvRmT2_T3_T4_T5_mT6_T7_P12ihipStream_tbENKUlT_T0_E_clISt17integral_constantIbLb0EES13_EEDaSY_SZ_EUlSY_E_NS1_11comp_targetILNS1_3genE10ELNS1_11target_archE1200ELNS1_3gpuE4ELNS1_3repE0EEENS1_30default_config_static_selectorELNS0_4arch9wavefront6targetE1EEEvT1_,"axG",@progbits,_ZN7rocprim17ROCPRIM_400000_NS6detail17trampoline_kernelINS0_14default_configENS1_27scan_by_key_config_selectorIj11FixedVectorIiLj1EEEEZZNS1_16scan_by_key_implILNS1_25lookback_scan_determinismE0ELb1ES3_N6thrust23THRUST_200600_302600_NS6detail15normal_iteratorINSB_10device_ptrIjEEEENSD_INSE_IS6_EEEESI_S6_NSB_4plusIvEENSB_8equal_toIvEES6_EE10hipError_tPvRmT2_T3_T4_T5_mT6_T7_P12ihipStream_tbENKUlT_T0_E_clISt17integral_constantIbLb0EES13_EEDaSY_SZ_EUlSY_E_NS1_11comp_targetILNS1_3genE10ELNS1_11target_archE1200ELNS1_3gpuE4ELNS1_3repE0EEENS1_30default_config_static_selectorELNS0_4arch9wavefront6targetE1EEEvT1_,comdat
.Lfunc_end1917:
	.size	_ZN7rocprim17ROCPRIM_400000_NS6detail17trampoline_kernelINS0_14default_configENS1_27scan_by_key_config_selectorIj11FixedVectorIiLj1EEEEZZNS1_16scan_by_key_implILNS1_25lookback_scan_determinismE0ELb1ES3_N6thrust23THRUST_200600_302600_NS6detail15normal_iteratorINSB_10device_ptrIjEEEENSD_INSE_IS6_EEEESI_S6_NSB_4plusIvEENSB_8equal_toIvEES6_EE10hipError_tPvRmT2_T3_T4_T5_mT6_T7_P12ihipStream_tbENKUlT_T0_E_clISt17integral_constantIbLb0EES13_EEDaSY_SZ_EUlSY_E_NS1_11comp_targetILNS1_3genE10ELNS1_11target_archE1200ELNS1_3gpuE4ELNS1_3repE0EEENS1_30default_config_static_selectorELNS0_4arch9wavefront6targetE1EEEvT1_, .Lfunc_end1917-_ZN7rocprim17ROCPRIM_400000_NS6detail17trampoline_kernelINS0_14default_configENS1_27scan_by_key_config_selectorIj11FixedVectorIiLj1EEEEZZNS1_16scan_by_key_implILNS1_25lookback_scan_determinismE0ELb1ES3_N6thrust23THRUST_200600_302600_NS6detail15normal_iteratorINSB_10device_ptrIjEEEENSD_INSE_IS6_EEEESI_S6_NSB_4plusIvEENSB_8equal_toIvEES6_EE10hipError_tPvRmT2_T3_T4_T5_mT6_T7_P12ihipStream_tbENKUlT_T0_E_clISt17integral_constantIbLb0EES13_EEDaSY_SZ_EUlSY_E_NS1_11comp_targetILNS1_3genE10ELNS1_11target_archE1200ELNS1_3gpuE4ELNS1_3repE0EEENS1_30default_config_static_selectorELNS0_4arch9wavefront6targetE1EEEvT1_
                                        ; -- End function
	.section	.AMDGPU.csdata,"",@progbits
; Kernel info:
; codeLenInByte = 0
; NumSgprs: 6
; NumVgprs: 0
; NumAgprs: 0
; TotalNumVgprs: 0
; ScratchSize: 0
; MemoryBound: 0
; FloatMode: 240
; IeeeMode: 1
; LDSByteSize: 0 bytes/workgroup (compile time only)
; SGPRBlocks: 0
; VGPRBlocks: 0
; NumSGPRsForWavesPerEU: 6
; NumVGPRsForWavesPerEU: 1
; AccumOffset: 4
; Occupancy: 8
; WaveLimiterHint : 0
; COMPUTE_PGM_RSRC2:SCRATCH_EN: 0
; COMPUTE_PGM_RSRC2:USER_SGPR: 2
; COMPUTE_PGM_RSRC2:TRAP_HANDLER: 0
; COMPUTE_PGM_RSRC2:TGID_X_EN: 1
; COMPUTE_PGM_RSRC2:TGID_Y_EN: 0
; COMPUTE_PGM_RSRC2:TGID_Z_EN: 0
; COMPUTE_PGM_RSRC2:TIDIG_COMP_CNT: 0
; COMPUTE_PGM_RSRC3_GFX90A:ACCUM_OFFSET: 0
; COMPUTE_PGM_RSRC3_GFX90A:TG_SPLIT: 0
	.section	.text._ZN7rocprim17ROCPRIM_400000_NS6detail17trampoline_kernelINS0_14default_configENS1_27scan_by_key_config_selectorIj11FixedVectorIiLj1EEEEZZNS1_16scan_by_key_implILNS1_25lookback_scan_determinismE0ELb1ES3_N6thrust23THRUST_200600_302600_NS6detail15normal_iteratorINSB_10device_ptrIjEEEENSD_INSE_IS6_EEEESI_S6_NSB_4plusIvEENSB_8equal_toIvEES6_EE10hipError_tPvRmT2_T3_T4_T5_mT6_T7_P12ihipStream_tbENKUlT_T0_E_clISt17integral_constantIbLb0EES13_EEDaSY_SZ_EUlSY_E_NS1_11comp_targetILNS1_3genE9ELNS1_11target_archE1100ELNS1_3gpuE3ELNS1_3repE0EEENS1_30default_config_static_selectorELNS0_4arch9wavefront6targetE1EEEvT1_,"axG",@progbits,_ZN7rocprim17ROCPRIM_400000_NS6detail17trampoline_kernelINS0_14default_configENS1_27scan_by_key_config_selectorIj11FixedVectorIiLj1EEEEZZNS1_16scan_by_key_implILNS1_25lookback_scan_determinismE0ELb1ES3_N6thrust23THRUST_200600_302600_NS6detail15normal_iteratorINSB_10device_ptrIjEEEENSD_INSE_IS6_EEEESI_S6_NSB_4plusIvEENSB_8equal_toIvEES6_EE10hipError_tPvRmT2_T3_T4_T5_mT6_T7_P12ihipStream_tbENKUlT_T0_E_clISt17integral_constantIbLb0EES13_EEDaSY_SZ_EUlSY_E_NS1_11comp_targetILNS1_3genE9ELNS1_11target_archE1100ELNS1_3gpuE3ELNS1_3repE0EEENS1_30default_config_static_selectorELNS0_4arch9wavefront6targetE1EEEvT1_,comdat
	.protected	_ZN7rocprim17ROCPRIM_400000_NS6detail17trampoline_kernelINS0_14default_configENS1_27scan_by_key_config_selectorIj11FixedVectorIiLj1EEEEZZNS1_16scan_by_key_implILNS1_25lookback_scan_determinismE0ELb1ES3_N6thrust23THRUST_200600_302600_NS6detail15normal_iteratorINSB_10device_ptrIjEEEENSD_INSE_IS6_EEEESI_S6_NSB_4plusIvEENSB_8equal_toIvEES6_EE10hipError_tPvRmT2_T3_T4_T5_mT6_T7_P12ihipStream_tbENKUlT_T0_E_clISt17integral_constantIbLb0EES13_EEDaSY_SZ_EUlSY_E_NS1_11comp_targetILNS1_3genE9ELNS1_11target_archE1100ELNS1_3gpuE3ELNS1_3repE0EEENS1_30default_config_static_selectorELNS0_4arch9wavefront6targetE1EEEvT1_ ; -- Begin function _ZN7rocprim17ROCPRIM_400000_NS6detail17trampoline_kernelINS0_14default_configENS1_27scan_by_key_config_selectorIj11FixedVectorIiLj1EEEEZZNS1_16scan_by_key_implILNS1_25lookback_scan_determinismE0ELb1ES3_N6thrust23THRUST_200600_302600_NS6detail15normal_iteratorINSB_10device_ptrIjEEEENSD_INSE_IS6_EEEESI_S6_NSB_4plusIvEENSB_8equal_toIvEES6_EE10hipError_tPvRmT2_T3_T4_T5_mT6_T7_P12ihipStream_tbENKUlT_T0_E_clISt17integral_constantIbLb0EES13_EEDaSY_SZ_EUlSY_E_NS1_11comp_targetILNS1_3genE9ELNS1_11target_archE1100ELNS1_3gpuE3ELNS1_3repE0EEENS1_30default_config_static_selectorELNS0_4arch9wavefront6targetE1EEEvT1_
	.globl	_ZN7rocprim17ROCPRIM_400000_NS6detail17trampoline_kernelINS0_14default_configENS1_27scan_by_key_config_selectorIj11FixedVectorIiLj1EEEEZZNS1_16scan_by_key_implILNS1_25lookback_scan_determinismE0ELb1ES3_N6thrust23THRUST_200600_302600_NS6detail15normal_iteratorINSB_10device_ptrIjEEEENSD_INSE_IS6_EEEESI_S6_NSB_4plusIvEENSB_8equal_toIvEES6_EE10hipError_tPvRmT2_T3_T4_T5_mT6_T7_P12ihipStream_tbENKUlT_T0_E_clISt17integral_constantIbLb0EES13_EEDaSY_SZ_EUlSY_E_NS1_11comp_targetILNS1_3genE9ELNS1_11target_archE1100ELNS1_3gpuE3ELNS1_3repE0EEENS1_30default_config_static_selectorELNS0_4arch9wavefront6targetE1EEEvT1_
	.p2align	8
	.type	_ZN7rocprim17ROCPRIM_400000_NS6detail17trampoline_kernelINS0_14default_configENS1_27scan_by_key_config_selectorIj11FixedVectorIiLj1EEEEZZNS1_16scan_by_key_implILNS1_25lookback_scan_determinismE0ELb1ES3_N6thrust23THRUST_200600_302600_NS6detail15normal_iteratorINSB_10device_ptrIjEEEENSD_INSE_IS6_EEEESI_S6_NSB_4plusIvEENSB_8equal_toIvEES6_EE10hipError_tPvRmT2_T3_T4_T5_mT6_T7_P12ihipStream_tbENKUlT_T0_E_clISt17integral_constantIbLb0EES13_EEDaSY_SZ_EUlSY_E_NS1_11comp_targetILNS1_3genE9ELNS1_11target_archE1100ELNS1_3gpuE3ELNS1_3repE0EEENS1_30default_config_static_selectorELNS0_4arch9wavefront6targetE1EEEvT1_,@function
_ZN7rocprim17ROCPRIM_400000_NS6detail17trampoline_kernelINS0_14default_configENS1_27scan_by_key_config_selectorIj11FixedVectorIiLj1EEEEZZNS1_16scan_by_key_implILNS1_25lookback_scan_determinismE0ELb1ES3_N6thrust23THRUST_200600_302600_NS6detail15normal_iteratorINSB_10device_ptrIjEEEENSD_INSE_IS6_EEEESI_S6_NSB_4plusIvEENSB_8equal_toIvEES6_EE10hipError_tPvRmT2_T3_T4_T5_mT6_T7_P12ihipStream_tbENKUlT_T0_E_clISt17integral_constantIbLb0EES13_EEDaSY_SZ_EUlSY_E_NS1_11comp_targetILNS1_3genE9ELNS1_11target_archE1100ELNS1_3gpuE3ELNS1_3repE0EEENS1_30default_config_static_selectorELNS0_4arch9wavefront6targetE1EEEvT1_: ; @_ZN7rocprim17ROCPRIM_400000_NS6detail17trampoline_kernelINS0_14default_configENS1_27scan_by_key_config_selectorIj11FixedVectorIiLj1EEEEZZNS1_16scan_by_key_implILNS1_25lookback_scan_determinismE0ELb1ES3_N6thrust23THRUST_200600_302600_NS6detail15normal_iteratorINSB_10device_ptrIjEEEENSD_INSE_IS6_EEEESI_S6_NSB_4plusIvEENSB_8equal_toIvEES6_EE10hipError_tPvRmT2_T3_T4_T5_mT6_T7_P12ihipStream_tbENKUlT_T0_E_clISt17integral_constantIbLb0EES13_EEDaSY_SZ_EUlSY_E_NS1_11comp_targetILNS1_3genE9ELNS1_11target_archE1100ELNS1_3gpuE3ELNS1_3repE0EEENS1_30default_config_static_selectorELNS0_4arch9wavefront6targetE1EEEvT1_
; %bb.0:
	.section	.rodata,"a",@progbits
	.p2align	6, 0x0
	.amdhsa_kernel _ZN7rocprim17ROCPRIM_400000_NS6detail17trampoline_kernelINS0_14default_configENS1_27scan_by_key_config_selectorIj11FixedVectorIiLj1EEEEZZNS1_16scan_by_key_implILNS1_25lookback_scan_determinismE0ELb1ES3_N6thrust23THRUST_200600_302600_NS6detail15normal_iteratorINSB_10device_ptrIjEEEENSD_INSE_IS6_EEEESI_S6_NSB_4plusIvEENSB_8equal_toIvEES6_EE10hipError_tPvRmT2_T3_T4_T5_mT6_T7_P12ihipStream_tbENKUlT_T0_E_clISt17integral_constantIbLb0EES13_EEDaSY_SZ_EUlSY_E_NS1_11comp_targetILNS1_3genE9ELNS1_11target_archE1100ELNS1_3gpuE3ELNS1_3repE0EEENS1_30default_config_static_selectorELNS0_4arch9wavefront6targetE1EEEvT1_
		.amdhsa_group_segment_fixed_size 0
		.amdhsa_private_segment_fixed_size 0
		.amdhsa_kernarg_size 112
		.amdhsa_user_sgpr_count 2
		.amdhsa_user_sgpr_dispatch_ptr 0
		.amdhsa_user_sgpr_queue_ptr 0
		.amdhsa_user_sgpr_kernarg_segment_ptr 1
		.amdhsa_user_sgpr_dispatch_id 0
		.amdhsa_user_sgpr_kernarg_preload_length 0
		.amdhsa_user_sgpr_kernarg_preload_offset 0
		.amdhsa_user_sgpr_private_segment_size 0
		.amdhsa_uses_dynamic_stack 0
		.amdhsa_enable_private_segment 0
		.amdhsa_system_sgpr_workgroup_id_x 1
		.amdhsa_system_sgpr_workgroup_id_y 0
		.amdhsa_system_sgpr_workgroup_id_z 0
		.amdhsa_system_sgpr_workgroup_info 0
		.amdhsa_system_vgpr_workitem_id 0
		.amdhsa_next_free_vgpr 1
		.amdhsa_next_free_sgpr 0
		.amdhsa_accum_offset 4
		.amdhsa_reserve_vcc 0
		.amdhsa_float_round_mode_32 0
		.amdhsa_float_round_mode_16_64 0
		.amdhsa_float_denorm_mode_32 3
		.amdhsa_float_denorm_mode_16_64 3
		.amdhsa_dx10_clamp 1
		.amdhsa_ieee_mode 1
		.amdhsa_fp16_overflow 0
		.amdhsa_tg_split 0
		.amdhsa_exception_fp_ieee_invalid_op 0
		.amdhsa_exception_fp_denorm_src 0
		.amdhsa_exception_fp_ieee_div_zero 0
		.amdhsa_exception_fp_ieee_overflow 0
		.amdhsa_exception_fp_ieee_underflow 0
		.amdhsa_exception_fp_ieee_inexact 0
		.amdhsa_exception_int_div_zero 0
	.end_amdhsa_kernel
	.section	.text._ZN7rocprim17ROCPRIM_400000_NS6detail17trampoline_kernelINS0_14default_configENS1_27scan_by_key_config_selectorIj11FixedVectorIiLj1EEEEZZNS1_16scan_by_key_implILNS1_25lookback_scan_determinismE0ELb1ES3_N6thrust23THRUST_200600_302600_NS6detail15normal_iteratorINSB_10device_ptrIjEEEENSD_INSE_IS6_EEEESI_S6_NSB_4plusIvEENSB_8equal_toIvEES6_EE10hipError_tPvRmT2_T3_T4_T5_mT6_T7_P12ihipStream_tbENKUlT_T0_E_clISt17integral_constantIbLb0EES13_EEDaSY_SZ_EUlSY_E_NS1_11comp_targetILNS1_3genE9ELNS1_11target_archE1100ELNS1_3gpuE3ELNS1_3repE0EEENS1_30default_config_static_selectorELNS0_4arch9wavefront6targetE1EEEvT1_,"axG",@progbits,_ZN7rocprim17ROCPRIM_400000_NS6detail17trampoline_kernelINS0_14default_configENS1_27scan_by_key_config_selectorIj11FixedVectorIiLj1EEEEZZNS1_16scan_by_key_implILNS1_25lookback_scan_determinismE0ELb1ES3_N6thrust23THRUST_200600_302600_NS6detail15normal_iteratorINSB_10device_ptrIjEEEENSD_INSE_IS6_EEEESI_S6_NSB_4plusIvEENSB_8equal_toIvEES6_EE10hipError_tPvRmT2_T3_T4_T5_mT6_T7_P12ihipStream_tbENKUlT_T0_E_clISt17integral_constantIbLb0EES13_EEDaSY_SZ_EUlSY_E_NS1_11comp_targetILNS1_3genE9ELNS1_11target_archE1100ELNS1_3gpuE3ELNS1_3repE0EEENS1_30default_config_static_selectorELNS0_4arch9wavefront6targetE1EEEvT1_,comdat
.Lfunc_end1918:
	.size	_ZN7rocprim17ROCPRIM_400000_NS6detail17trampoline_kernelINS0_14default_configENS1_27scan_by_key_config_selectorIj11FixedVectorIiLj1EEEEZZNS1_16scan_by_key_implILNS1_25lookback_scan_determinismE0ELb1ES3_N6thrust23THRUST_200600_302600_NS6detail15normal_iteratorINSB_10device_ptrIjEEEENSD_INSE_IS6_EEEESI_S6_NSB_4plusIvEENSB_8equal_toIvEES6_EE10hipError_tPvRmT2_T3_T4_T5_mT6_T7_P12ihipStream_tbENKUlT_T0_E_clISt17integral_constantIbLb0EES13_EEDaSY_SZ_EUlSY_E_NS1_11comp_targetILNS1_3genE9ELNS1_11target_archE1100ELNS1_3gpuE3ELNS1_3repE0EEENS1_30default_config_static_selectorELNS0_4arch9wavefront6targetE1EEEvT1_, .Lfunc_end1918-_ZN7rocprim17ROCPRIM_400000_NS6detail17trampoline_kernelINS0_14default_configENS1_27scan_by_key_config_selectorIj11FixedVectorIiLj1EEEEZZNS1_16scan_by_key_implILNS1_25lookback_scan_determinismE0ELb1ES3_N6thrust23THRUST_200600_302600_NS6detail15normal_iteratorINSB_10device_ptrIjEEEENSD_INSE_IS6_EEEESI_S6_NSB_4plusIvEENSB_8equal_toIvEES6_EE10hipError_tPvRmT2_T3_T4_T5_mT6_T7_P12ihipStream_tbENKUlT_T0_E_clISt17integral_constantIbLb0EES13_EEDaSY_SZ_EUlSY_E_NS1_11comp_targetILNS1_3genE9ELNS1_11target_archE1100ELNS1_3gpuE3ELNS1_3repE0EEENS1_30default_config_static_selectorELNS0_4arch9wavefront6targetE1EEEvT1_
                                        ; -- End function
	.section	.AMDGPU.csdata,"",@progbits
; Kernel info:
; codeLenInByte = 0
; NumSgprs: 6
; NumVgprs: 0
; NumAgprs: 0
; TotalNumVgprs: 0
; ScratchSize: 0
; MemoryBound: 0
; FloatMode: 240
; IeeeMode: 1
; LDSByteSize: 0 bytes/workgroup (compile time only)
; SGPRBlocks: 0
; VGPRBlocks: 0
; NumSGPRsForWavesPerEU: 6
; NumVGPRsForWavesPerEU: 1
; AccumOffset: 4
; Occupancy: 8
; WaveLimiterHint : 0
; COMPUTE_PGM_RSRC2:SCRATCH_EN: 0
; COMPUTE_PGM_RSRC2:USER_SGPR: 2
; COMPUTE_PGM_RSRC2:TRAP_HANDLER: 0
; COMPUTE_PGM_RSRC2:TGID_X_EN: 1
; COMPUTE_PGM_RSRC2:TGID_Y_EN: 0
; COMPUTE_PGM_RSRC2:TGID_Z_EN: 0
; COMPUTE_PGM_RSRC2:TIDIG_COMP_CNT: 0
; COMPUTE_PGM_RSRC3_GFX90A:ACCUM_OFFSET: 0
; COMPUTE_PGM_RSRC3_GFX90A:TG_SPLIT: 0
	.section	.text._ZN7rocprim17ROCPRIM_400000_NS6detail17trampoline_kernelINS0_14default_configENS1_27scan_by_key_config_selectorIj11FixedVectorIiLj1EEEEZZNS1_16scan_by_key_implILNS1_25lookback_scan_determinismE0ELb1ES3_N6thrust23THRUST_200600_302600_NS6detail15normal_iteratorINSB_10device_ptrIjEEEENSD_INSE_IS6_EEEESI_S6_NSB_4plusIvEENSB_8equal_toIvEES6_EE10hipError_tPvRmT2_T3_T4_T5_mT6_T7_P12ihipStream_tbENKUlT_T0_E_clISt17integral_constantIbLb0EES13_EEDaSY_SZ_EUlSY_E_NS1_11comp_targetILNS1_3genE8ELNS1_11target_archE1030ELNS1_3gpuE2ELNS1_3repE0EEENS1_30default_config_static_selectorELNS0_4arch9wavefront6targetE1EEEvT1_,"axG",@progbits,_ZN7rocprim17ROCPRIM_400000_NS6detail17trampoline_kernelINS0_14default_configENS1_27scan_by_key_config_selectorIj11FixedVectorIiLj1EEEEZZNS1_16scan_by_key_implILNS1_25lookback_scan_determinismE0ELb1ES3_N6thrust23THRUST_200600_302600_NS6detail15normal_iteratorINSB_10device_ptrIjEEEENSD_INSE_IS6_EEEESI_S6_NSB_4plusIvEENSB_8equal_toIvEES6_EE10hipError_tPvRmT2_T3_T4_T5_mT6_T7_P12ihipStream_tbENKUlT_T0_E_clISt17integral_constantIbLb0EES13_EEDaSY_SZ_EUlSY_E_NS1_11comp_targetILNS1_3genE8ELNS1_11target_archE1030ELNS1_3gpuE2ELNS1_3repE0EEENS1_30default_config_static_selectorELNS0_4arch9wavefront6targetE1EEEvT1_,comdat
	.protected	_ZN7rocprim17ROCPRIM_400000_NS6detail17trampoline_kernelINS0_14default_configENS1_27scan_by_key_config_selectorIj11FixedVectorIiLj1EEEEZZNS1_16scan_by_key_implILNS1_25lookback_scan_determinismE0ELb1ES3_N6thrust23THRUST_200600_302600_NS6detail15normal_iteratorINSB_10device_ptrIjEEEENSD_INSE_IS6_EEEESI_S6_NSB_4plusIvEENSB_8equal_toIvEES6_EE10hipError_tPvRmT2_T3_T4_T5_mT6_T7_P12ihipStream_tbENKUlT_T0_E_clISt17integral_constantIbLb0EES13_EEDaSY_SZ_EUlSY_E_NS1_11comp_targetILNS1_3genE8ELNS1_11target_archE1030ELNS1_3gpuE2ELNS1_3repE0EEENS1_30default_config_static_selectorELNS0_4arch9wavefront6targetE1EEEvT1_ ; -- Begin function _ZN7rocprim17ROCPRIM_400000_NS6detail17trampoline_kernelINS0_14default_configENS1_27scan_by_key_config_selectorIj11FixedVectorIiLj1EEEEZZNS1_16scan_by_key_implILNS1_25lookback_scan_determinismE0ELb1ES3_N6thrust23THRUST_200600_302600_NS6detail15normal_iteratorINSB_10device_ptrIjEEEENSD_INSE_IS6_EEEESI_S6_NSB_4plusIvEENSB_8equal_toIvEES6_EE10hipError_tPvRmT2_T3_T4_T5_mT6_T7_P12ihipStream_tbENKUlT_T0_E_clISt17integral_constantIbLb0EES13_EEDaSY_SZ_EUlSY_E_NS1_11comp_targetILNS1_3genE8ELNS1_11target_archE1030ELNS1_3gpuE2ELNS1_3repE0EEENS1_30default_config_static_selectorELNS0_4arch9wavefront6targetE1EEEvT1_
	.globl	_ZN7rocprim17ROCPRIM_400000_NS6detail17trampoline_kernelINS0_14default_configENS1_27scan_by_key_config_selectorIj11FixedVectorIiLj1EEEEZZNS1_16scan_by_key_implILNS1_25lookback_scan_determinismE0ELb1ES3_N6thrust23THRUST_200600_302600_NS6detail15normal_iteratorINSB_10device_ptrIjEEEENSD_INSE_IS6_EEEESI_S6_NSB_4plusIvEENSB_8equal_toIvEES6_EE10hipError_tPvRmT2_T3_T4_T5_mT6_T7_P12ihipStream_tbENKUlT_T0_E_clISt17integral_constantIbLb0EES13_EEDaSY_SZ_EUlSY_E_NS1_11comp_targetILNS1_3genE8ELNS1_11target_archE1030ELNS1_3gpuE2ELNS1_3repE0EEENS1_30default_config_static_selectorELNS0_4arch9wavefront6targetE1EEEvT1_
	.p2align	8
	.type	_ZN7rocprim17ROCPRIM_400000_NS6detail17trampoline_kernelINS0_14default_configENS1_27scan_by_key_config_selectorIj11FixedVectorIiLj1EEEEZZNS1_16scan_by_key_implILNS1_25lookback_scan_determinismE0ELb1ES3_N6thrust23THRUST_200600_302600_NS6detail15normal_iteratorINSB_10device_ptrIjEEEENSD_INSE_IS6_EEEESI_S6_NSB_4plusIvEENSB_8equal_toIvEES6_EE10hipError_tPvRmT2_T3_T4_T5_mT6_T7_P12ihipStream_tbENKUlT_T0_E_clISt17integral_constantIbLb0EES13_EEDaSY_SZ_EUlSY_E_NS1_11comp_targetILNS1_3genE8ELNS1_11target_archE1030ELNS1_3gpuE2ELNS1_3repE0EEENS1_30default_config_static_selectorELNS0_4arch9wavefront6targetE1EEEvT1_,@function
_ZN7rocprim17ROCPRIM_400000_NS6detail17trampoline_kernelINS0_14default_configENS1_27scan_by_key_config_selectorIj11FixedVectorIiLj1EEEEZZNS1_16scan_by_key_implILNS1_25lookback_scan_determinismE0ELb1ES3_N6thrust23THRUST_200600_302600_NS6detail15normal_iteratorINSB_10device_ptrIjEEEENSD_INSE_IS6_EEEESI_S6_NSB_4plusIvEENSB_8equal_toIvEES6_EE10hipError_tPvRmT2_T3_T4_T5_mT6_T7_P12ihipStream_tbENKUlT_T0_E_clISt17integral_constantIbLb0EES13_EEDaSY_SZ_EUlSY_E_NS1_11comp_targetILNS1_3genE8ELNS1_11target_archE1030ELNS1_3gpuE2ELNS1_3repE0EEENS1_30default_config_static_selectorELNS0_4arch9wavefront6targetE1EEEvT1_: ; @_ZN7rocprim17ROCPRIM_400000_NS6detail17trampoline_kernelINS0_14default_configENS1_27scan_by_key_config_selectorIj11FixedVectorIiLj1EEEEZZNS1_16scan_by_key_implILNS1_25lookback_scan_determinismE0ELb1ES3_N6thrust23THRUST_200600_302600_NS6detail15normal_iteratorINSB_10device_ptrIjEEEENSD_INSE_IS6_EEEESI_S6_NSB_4plusIvEENSB_8equal_toIvEES6_EE10hipError_tPvRmT2_T3_T4_T5_mT6_T7_P12ihipStream_tbENKUlT_T0_E_clISt17integral_constantIbLb0EES13_EEDaSY_SZ_EUlSY_E_NS1_11comp_targetILNS1_3genE8ELNS1_11target_archE1030ELNS1_3gpuE2ELNS1_3repE0EEENS1_30default_config_static_selectorELNS0_4arch9wavefront6targetE1EEEvT1_
; %bb.0:
	.section	.rodata,"a",@progbits
	.p2align	6, 0x0
	.amdhsa_kernel _ZN7rocprim17ROCPRIM_400000_NS6detail17trampoline_kernelINS0_14default_configENS1_27scan_by_key_config_selectorIj11FixedVectorIiLj1EEEEZZNS1_16scan_by_key_implILNS1_25lookback_scan_determinismE0ELb1ES3_N6thrust23THRUST_200600_302600_NS6detail15normal_iteratorINSB_10device_ptrIjEEEENSD_INSE_IS6_EEEESI_S6_NSB_4plusIvEENSB_8equal_toIvEES6_EE10hipError_tPvRmT2_T3_T4_T5_mT6_T7_P12ihipStream_tbENKUlT_T0_E_clISt17integral_constantIbLb0EES13_EEDaSY_SZ_EUlSY_E_NS1_11comp_targetILNS1_3genE8ELNS1_11target_archE1030ELNS1_3gpuE2ELNS1_3repE0EEENS1_30default_config_static_selectorELNS0_4arch9wavefront6targetE1EEEvT1_
		.amdhsa_group_segment_fixed_size 0
		.amdhsa_private_segment_fixed_size 0
		.amdhsa_kernarg_size 112
		.amdhsa_user_sgpr_count 2
		.amdhsa_user_sgpr_dispatch_ptr 0
		.amdhsa_user_sgpr_queue_ptr 0
		.amdhsa_user_sgpr_kernarg_segment_ptr 1
		.amdhsa_user_sgpr_dispatch_id 0
		.amdhsa_user_sgpr_kernarg_preload_length 0
		.amdhsa_user_sgpr_kernarg_preload_offset 0
		.amdhsa_user_sgpr_private_segment_size 0
		.amdhsa_uses_dynamic_stack 0
		.amdhsa_enable_private_segment 0
		.amdhsa_system_sgpr_workgroup_id_x 1
		.amdhsa_system_sgpr_workgroup_id_y 0
		.amdhsa_system_sgpr_workgroup_id_z 0
		.amdhsa_system_sgpr_workgroup_info 0
		.amdhsa_system_vgpr_workitem_id 0
		.amdhsa_next_free_vgpr 1
		.amdhsa_next_free_sgpr 0
		.amdhsa_accum_offset 4
		.amdhsa_reserve_vcc 0
		.amdhsa_float_round_mode_32 0
		.amdhsa_float_round_mode_16_64 0
		.amdhsa_float_denorm_mode_32 3
		.amdhsa_float_denorm_mode_16_64 3
		.amdhsa_dx10_clamp 1
		.amdhsa_ieee_mode 1
		.amdhsa_fp16_overflow 0
		.amdhsa_tg_split 0
		.amdhsa_exception_fp_ieee_invalid_op 0
		.amdhsa_exception_fp_denorm_src 0
		.amdhsa_exception_fp_ieee_div_zero 0
		.amdhsa_exception_fp_ieee_overflow 0
		.amdhsa_exception_fp_ieee_underflow 0
		.amdhsa_exception_fp_ieee_inexact 0
		.amdhsa_exception_int_div_zero 0
	.end_amdhsa_kernel
	.section	.text._ZN7rocprim17ROCPRIM_400000_NS6detail17trampoline_kernelINS0_14default_configENS1_27scan_by_key_config_selectorIj11FixedVectorIiLj1EEEEZZNS1_16scan_by_key_implILNS1_25lookback_scan_determinismE0ELb1ES3_N6thrust23THRUST_200600_302600_NS6detail15normal_iteratorINSB_10device_ptrIjEEEENSD_INSE_IS6_EEEESI_S6_NSB_4plusIvEENSB_8equal_toIvEES6_EE10hipError_tPvRmT2_T3_T4_T5_mT6_T7_P12ihipStream_tbENKUlT_T0_E_clISt17integral_constantIbLb0EES13_EEDaSY_SZ_EUlSY_E_NS1_11comp_targetILNS1_3genE8ELNS1_11target_archE1030ELNS1_3gpuE2ELNS1_3repE0EEENS1_30default_config_static_selectorELNS0_4arch9wavefront6targetE1EEEvT1_,"axG",@progbits,_ZN7rocprim17ROCPRIM_400000_NS6detail17trampoline_kernelINS0_14default_configENS1_27scan_by_key_config_selectorIj11FixedVectorIiLj1EEEEZZNS1_16scan_by_key_implILNS1_25lookback_scan_determinismE0ELb1ES3_N6thrust23THRUST_200600_302600_NS6detail15normal_iteratorINSB_10device_ptrIjEEEENSD_INSE_IS6_EEEESI_S6_NSB_4plusIvEENSB_8equal_toIvEES6_EE10hipError_tPvRmT2_T3_T4_T5_mT6_T7_P12ihipStream_tbENKUlT_T0_E_clISt17integral_constantIbLb0EES13_EEDaSY_SZ_EUlSY_E_NS1_11comp_targetILNS1_3genE8ELNS1_11target_archE1030ELNS1_3gpuE2ELNS1_3repE0EEENS1_30default_config_static_selectorELNS0_4arch9wavefront6targetE1EEEvT1_,comdat
.Lfunc_end1919:
	.size	_ZN7rocprim17ROCPRIM_400000_NS6detail17trampoline_kernelINS0_14default_configENS1_27scan_by_key_config_selectorIj11FixedVectorIiLj1EEEEZZNS1_16scan_by_key_implILNS1_25lookback_scan_determinismE0ELb1ES3_N6thrust23THRUST_200600_302600_NS6detail15normal_iteratorINSB_10device_ptrIjEEEENSD_INSE_IS6_EEEESI_S6_NSB_4plusIvEENSB_8equal_toIvEES6_EE10hipError_tPvRmT2_T3_T4_T5_mT6_T7_P12ihipStream_tbENKUlT_T0_E_clISt17integral_constantIbLb0EES13_EEDaSY_SZ_EUlSY_E_NS1_11comp_targetILNS1_3genE8ELNS1_11target_archE1030ELNS1_3gpuE2ELNS1_3repE0EEENS1_30default_config_static_selectorELNS0_4arch9wavefront6targetE1EEEvT1_, .Lfunc_end1919-_ZN7rocprim17ROCPRIM_400000_NS6detail17trampoline_kernelINS0_14default_configENS1_27scan_by_key_config_selectorIj11FixedVectorIiLj1EEEEZZNS1_16scan_by_key_implILNS1_25lookback_scan_determinismE0ELb1ES3_N6thrust23THRUST_200600_302600_NS6detail15normal_iteratorINSB_10device_ptrIjEEEENSD_INSE_IS6_EEEESI_S6_NSB_4plusIvEENSB_8equal_toIvEES6_EE10hipError_tPvRmT2_T3_T4_T5_mT6_T7_P12ihipStream_tbENKUlT_T0_E_clISt17integral_constantIbLb0EES13_EEDaSY_SZ_EUlSY_E_NS1_11comp_targetILNS1_3genE8ELNS1_11target_archE1030ELNS1_3gpuE2ELNS1_3repE0EEENS1_30default_config_static_selectorELNS0_4arch9wavefront6targetE1EEEvT1_
                                        ; -- End function
	.section	.AMDGPU.csdata,"",@progbits
; Kernel info:
; codeLenInByte = 0
; NumSgprs: 6
; NumVgprs: 0
; NumAgprs: 0
; TotalNumVgprs: 0
; ScratchSize: 0
; MemoryBound: 0
; FloatMode: 240
; IeeeMode: 1
; LDSByteSize: 0 bytes/workgroup (compile time only)
; SGPRBlocks: 0
; VGPRBlocks: 0
; NumSGPRsForWavesPerEU: 6
; NumVGPRsForWavesPerEU: 1
; AccumOffset: 4
; Occupancy: 8
; WaveLimiterHint : 0
; COMPUTE_PGM_RSRC2:SCRATCH_EN: 0
; COMPUTE_PGM_RSRC2:USER_SGPR: 2
; COMPUTE_PGM_RSRC2:TRAP_HANDLER: 0
; COMPUTE_PGM_RSRC2:TGID_X_EN: 1
; COMPUTE_PGM_RSRC2:TGID_Y_EN: 0
; COMPUTE_PGM_RSRC2:TGID_Z_EN: 0
; COMPUTE_PGM_RSRC2:TIDIG_COMP_CNT: 0
; COMPUTE_PGM_RSRC3_GFX90A:ACCUM_OFFSET: 0
; COMPUTE_PGM_RSRC3_GFX90A:TG_SPLIT: 0
	.section	.text._ZN7rocprim17ROCPRIM_400000_NS6detail17trampoline_kernelINS0_14default_configENS1_27scan_by_key_config_selectorIj11FixedVectorIiLj1EEEEZZNS1_16scan_by_key_implILNS1_25lookback_scan_determinismE0ELb1ES3_N6thrust23THRUST_200600_302600_NS6detail15normal_iteratorINSB_10device_ptrIjEEEENSD_INSE_IS6_EEEESI_S6_NSB_4plusIvEENSB_8equal_toIvEES6_EE10hipError_tPvRmT2_T3_T4_T5_mT6_T7_P12ihipStream_tbENKUlT_T0_E_clISt17integral_constantIbLb1EES13_EEDaSY_SZ_EUlSY_E_NS1_11comp_targetILNS1_3genE0ELNS1_11target_archE4294967295ELNS1_3gpuE0ELNS1_3repE0EEENS1_30default_config_static_selectorELNS0_4arch9wavefront6targetE1EEEvT1_,"axG",@progbits,_ZN7rocprim17ROCPRIM_400000_NS6detail17trampoline_kernelINS0_14default_configENS1_27scan_by_key_config_selectorIj11FixedVectorIiLj1EEEEZZNS1_16scan_by_key_implILNS1_25lookback_scan_determinismE0ELb1ES3_N6thrust23THRUST_200600_302600_NS6detail15normal_iteratorINSB_10device_ptrIjEEEENSD_INSE_IS6_EEEESI_S6_NSB_4plusIvEENSB_8equal_toIvEES6_EE10hipError_tPvRmT2_T3_T4_T5_mT6_T7_P12ihipStream_tbENKUlT_T0_E_clISt17integral_constantIbLb1EES13_EEDaSY_SZ_EUlSY_E_NS1_11comp_targetILNS1_3genE0ELNS1_11target_archE4294967295ELNS1_3gpuE0ELNS1_3repE0EEENS1_30default_config_static_selectorELNS0_4arch9wavefront6targetE1EEEvT1_,comdat
	.protected	_ZN7rocprim17ROCPRIM_400000_NS6detail17trampoline_kernelINS0_14default_configENS1_27scan_by_key_config_selectorIj11FixedVectorIiLj1EEEEZZNS1_16scan_by_key_implILNS1_25lookback_scan_determinismE0ELb1ES3_N6thrust23THRUST_200600_302600_NS6detail15normal_iteratorINSB_10device_ptrIjEEEENSD_INSE_IS6_EEEESI_S6_NSB_4plusIvEENSB_8equal_toIvEES6_EE10hipError_tPvRmT2_T3_T4_T5_mT6_T7_P12ihipStream_tbENKUlT_T0_E_clISt17integral_constantIbLb1EES13_EEDaSY_SZ_EUlSY_E_NS1_11comp_targetILNS1_3genE0ELNS1_11target_archE4294967295ELNS1_3gpuE0ELNS1_3repE0EEENS1_30default_config_static_selectorELNS0_4arch9wavefront6targetE1EEEvT1_ ; -- Begin function _ZN7rocprim17ROCPRIM_400000_NS6detail17trampoline_kernelINS0_14default_configENS1_27scan_by_key_config_selectorIj11FixedVectorIiLj1EEEEZZNS1_16scan_by_key_implILNS1_25lookback_scan_determinismE0ELb1ES3_N6thrust23THRUST_200600_302600_NS6detail15normal_iteratorINSB_10device_ptrIjEEEENSD_INSE_IS6_EEEESI_S6_NSB_4plusIvEENSB_8equal_toIvEES6_EE10hipError_tPvRmT2_T3_T4_T5_mT6_T7_P12ihipStream_tbENKUlT_T0_E_clISt17integral_constantIbLb1EES13_EEDaSY_SZ_EUlSY_E_NS1_11comp_targetILNS1_3genE0ELNS1_11target_archE4294967295ELNS1_3gpuE0ELNS1_3repE0EEENS1_30default_config_static_selectorELNS0_4arch9wavefront6targetE1EEEvT1_
	.globl	_ZN7rocprim17ROCPRIM_400000_NS6detail17trampoline_kernelINS0_14default_configENS1_27scan_by_key_config_selectorIj11FixedVectorIiLj1EEEEZZNS1_16scan_by_key_implILNS1_25lookback_scan_determinismE0ELb1ES3_N6thrust23THRUST_200600_302600_NS6detail15normal_iteratorINSB_10device_ptrIjEEEENSD_INSE_IS6_EEEESI_S6_NSB_4plusIvEENSB_8equal_toIvEES6_EE10hipError_tPvRmT2_T3_T4_T5_mT6_T7_P12ihipStream_tbENKUlT_T0_E_clISt17integral_constantIbLb1EES13_EEDaSY_SZ_EUlSY_E_NS1_11comp_targetILNS1_3genE0ELNS1_11target_archE4294967295ELNS1_3gpuE0ELNS1_3repE0EEENS1_30default_config_static_selectorELNS0_4arch9wavefront6targetE1EEEvT1_
	.p2align	8
	.type	_ZN7rocprim17ROCPRIM_400000_NS6detail17trampoline_kernelINS0_14default_configENS1_27scan_by_key_config_selectorIj11FixedVectorIiLj1EEEEZZNS1_16scan_by_key_implILNS1_25lookback_scan_determinismE0ELb1ES3_N6thrust23THRUST_200600_302600_NS6detail15normal_iteratorINSB_10device_ptrIjEEEENSD_INSE_IS6_EEEESI_S6_NSB_4plusIvEENSB_8equal_toIvEES6_EE10hipError_tPvRmT2_T3_T4_T5_mT6_T7_P12ihipStream_tbENKUlT_T0_E_clISt17integral_constantIbLb1EES13_EEDaSY_SZ_EUlSY_E_NS1_11comp_targetILNS1_3genE0ELNS1_11target_archE4294967295ELNS1_3gpuE0ELNS1_3repE0EEENS1_30default_config_static_selectorELNS0_4arch9wavefront6targetE1EEEvT1_,@function
_ZN7rocprim17ROCPRIM_400000_NS6detail17trampoline_kernelINS0_14default_configENS1_27scan_by_key_config_selectorIj11FixedVectorIiLj1EEEEZZNS1_16scan_by_key_implILNS1_25lookback_scan_determinismE0ELb1ES3_N6thrust23THRUST_200600_302600_NS6detail15normal_iteratorINSB_10device_ptrIjEEEENSD_INSE_IS6_EEEESI_S6_NSB_4plusIvEENSB_8equal_toIvEES6_EE10hipError_tPvRmT2_T3_T4_T5_mT6_T7_P12ihipStream_tbENKUlT_T0_E_clISt17integral_constantIbLb1EES13_EEDaSY_SZ_EUlSY_E_NS1_11comp_targetILNS1_3genE0ELNS1_11target_archE4294967295ELNS1_3gpuE0ELNS1_3repE0EEENS1_30default_config_static_selectorELNS0_4arch9wavefront6targetE1EEEvT1_: ; @_ZN7rocprim17ROCPRIM_400000_NS6detail17trampoline_kernelINS0_14default_configENS1_27scan_by_key_config_selectorIj11FixedVectorIiLj1EEEEZZNS1_16scan_by_key_implILNS1_25lookback_scan_determinismE0ELb1ES3_N6thrust23THRUST_200600_302600_NS6detail15normal_iteratorINSB_10device_ptrIjEEEENSD_INSE_IS6_EEEESI_S6_NSB_4plusIvEENSB_8equal_toIvEES6_EE10hipError_tPvRmT2_T3_T4_T5_mT6_T7_P12ihipStream_tbENKUlT_T0_E_clISt17integral_constantIbLb1EES13_EEDaSY_SZ_EUlSY_E_NS1_11comp_targetILNS1_3genE0ELNS1_11target_archE4294967295ELNS1_3gpuE0ELNS1_3repE0EEENS1_30default_config_static_selectorELNS0_4arch9wavefront6targetE1EEEvT1_
; %bb.0:
	.section	.rodata,"a",@progbits
	.p2align	6, 0x0
	.amdhsa_kernel _ZN7rocprim17ROCPRIM_400000_NS6detail17trampoline_kernelINS0_14default_configENS1_27scan_by_key_config_selectorIj11FixedVectorIiLj1EEEEZZNS1_16scan_by_key_implILNS1_25lookback_scan_determinismE0ELb1ES3_N6thrust23THRUST_200600_302600_NS6detail15normal_iteratorINSB_10device_ptrIjEEEENSD_INSE_IS6_EEEESI_S6_NSB_4plusIvEENSB_8equal_toIvEES6_EE10hipError_tPvRmT2_T3_T4_T5_mT6_T7_P12ihipStream_tbENKUlT_T0_E_clISt17integral_constantIbLb1EES13_EEDaSY_SZ_EUlSY_E_NS1_11comp_targetILNS1_3genE0ELNS1_11target_archE4294967295ELNS1_3gpuE0ELNS1_3repE0EEENS1_30default_config_static_selectorELNS0_4arch9wavefront6targetE1EEEvT1_
		.amdhsa_group_segment_fixed_size 0
		.amdhsa_private_segment_fixed_size 0
		.amdhsa_kernarg_size 112
		.amdhsa_user_sgpr_count 2
		.amdhsa_user_sgpr_dispatch_ptr 0
		.amdhsa_user_sgpr_queue_ptr 0
		.amdhsa_user_sgpr_kernarg_segment_ptr 1
		.amdhsa_user_sgpr_dispatch_id 0
		.amdhsa_user_sgpr_kernarg_preload_length 0
		.amdhsa_user_sgpr_kernarg_preload_offset 0
		.amdhsa_user_sgpr_private_segment_size 0
		.amdhsa_uses_dynamic_stack 0
		.amdhsa_enable_private_segment 0
		.amdhsa_system_sgpr_workgroup_id_x 1
		.amdhsa_system_sgpr_workgroup_id_y 0
		.amdhsa_system_sgpr_workgroup_id_z 0
		.amdhsa_system_sgpr_workgroup_info 0
		.amdhsa_system_vgpr_workitem_id 0
		.amdhsa_next_free_vgpr 1
		.amdhsa_next_free_sgpr 0
		.amdhsa_accum_offset 4
		.amdhsa_reserve_vcc 0
		.amdhsa_float_round_mode_32 0
		.amdhsa_float_round_mode_16_64 0
		.amdhsa_float_denorm_mode_32 3
		.amdhsa_float_denorm_mode_16_64 3
		.amdhsa_dx10_clamp 1
		.amdhsa_ieee_mode 1
		.amdhsa_fp16_overflow 0
		.amdhsa_tg_split 0
		.amdhsa_exception_fp_ieee_invalid_op 0
		.amdhsa_exception_fp_denorm_src 0
		.amdhsa_exception_fp_ieee_div_zero 0
		.amdhsa_exception_fp_ieee_overflow 0
		.amdhsa_exception_fp_ieee_underflow 0
		.amdhsa_exception_fp_ieee_inexact 0
		.amdhsa_exception_int_div_zero 0
	.end_amdhsa_kernel
	.section	.text._ZN7rocprim17ROCPRIM_400000_NS6detail17trampoline_kernelINS0_14default_configENS1_27scan_by_key_config_selectorIj11FixedVectorIiLj1EEEEZZNS1_16scan_by_key_implILNS1_25lookback_scan_determinismE0ELb1ES3_N6thrust23THRUST_200600_302600_NS6detail15normal_iteratorINSB_10device_ptrIjEEEENSD_INSE_IS6_EEEESI_S6_NSB_4plusIvEENSB_8equal_toIvEES6_EE10hipError_tPvRmT2_T3_T4_T5_mT6_T7_P12ihipStream_tbENKUlT_T0_E_clISt17integral_constantIbLb1EES13_EEDaSY_SZ_EUlSY_E_NS1_11comp_targetILNS1_3genE0ELNS1_11target_archE4294967295ELNS1_3gpuE0ELNS1_3repE0EEENS1_30default_config_static_selectorELNS0_4arch9wavefront6targetE1EEEvT1_,"axG",@progbits,_ZN7rocprim17ROCPRIM_400000_NS6detail17trampoline_kernelINS0_14default_configENS1_27scan_by_key_config_selectorIj11FixedVectorIiLj1EEEEZZNS1_16scan_by_key_implILNS1_25lookback_scan_determinismE0ELb1ES3_N6thrust23THRUST_200600_302600_NS6detail15normal_iteratorINSB_10device_ptrIjEEEENSD_INSE_IS6_EEEESI_S6_NSB_4plusIvEENSB_8equal_toIvEES6_EE10hipError_tPvRmT2_T3_T4_T5_mT6_T7_P12ihipStream_tbENKUlT_T0_E_clISt17integral_constantIbLb1EES13_EEDaSY_SZ_EUlSY_E_NS1_11comp_targetILNS1_3genE0ELNS1_11target_archE4294967295ELNS1_3gpuE0ELNS1_3repE0EEENS1_30default_config_static_selectorELNS0_4arch9wavefront6targetE1EEEvT1_,comdat
.Lfunc_end1920:
	.size	_ZN7rocprim17ROCPRIM_400000_NS6detail17trampoline_kernelINS0_14default_configENS1_27scan_by_key_config_selectorIj11FixedVectorIiLj1EEEEZZNS1_16scan_by_key_implILNS1_25lookback_scan_determinismE0ELb1ES3_N6thrust23THRUST_200600_302600_NS6detail15normal_iteratorINSB_10device_ptrIjEEEENSD_INSE_IS6_EEEESI_S6_NSB_4plusIvEENSB_8equal_toIvEES6_EE10hipError_tPvRmT2_T3_T4_T5_mT6_T7_P12ihipStream_tbENKUlT_T0_E_clISt17integral_constantIbLb1EES13_EEDaSY_SZ_EUlSY_E_NS1_11comp_targetILNS1_3genE0ELNS1_11target_archE4294967295ELNS1_3gpuE0ELNS1_3repE0EEENS1_30default_config_static_selectorELNS0_4arch9wavefront6targetE1EEEvT1_, .Lfunc_end1920-_ZN7rocprim17ROCPRIM_400000_NS6detail17trampoline_kernelINS0_14default_configENS1_27scan_by_key_config_selectorIj11FixedVectorIiLj1EEEEZZNS1_16scan_by_key_implILNS1_25lookback_scan_determinismE0ELb1ES3_N6thrust23THRUST_200600_302600_NS6detail15normal_iteratorINSB_10device_ptrIjEEEENSD_INSE_IS6_EEEESI_S6_NSB_4plusIvEENSB_8equal_toIvEES6_EE10hipError_tPvRmT2_T3_T4_T5_mT6_T7_P12ihipStream_tbENKUlT_T0_E_clISt17integral_constantIbLb1EES13_EEDaSY_SZ_EUlSY_E_NS1_11comp_targetILNS1_3genE0ELNS1_11target_archE4294967295ELNS1_3gpuE0ELNS1_3repE0EEENS1_30default_config_static_selectorELNS0_4arch9wavefront6targetE1EEEvT1_
                                        ; -- End function
	.section	.AMDGPU.csdata,"",@progbits
; Kernel info:
; codeLenInByte = 0
; NumSgprs: 6
; NumVgprs: 0
; NumAgprs: 0
; TotalNumVgprs: 0
; ScratchSize: 0
; MemoryBound: 0
; FloatMode: 240
; IeeeMode: 1
; LDSByteSize: 0 bytes/workgroup (compile time only)
; SGPRBlocks: 0
; VGPRBlocks: 0
; NumSGPRsForWavesPerEU: 6
; NumVGPRsForWavesPerEU: 1
; AccumOffset: 4
; Occupancy: 8
; WaveLimiterHint : 0
; COMPUTE_PGM_RSRC2:SCRATCH_EN: 0
; COMPUTE_PGM_RSRC2:USER_SGPR: 2
; COMPUTE_PGM_RSRC2:TRAP_HANDLER: 0
; COMPUTE_PGM_RSRC2:TGID_X_EN: 1
; COMPUTE_PGM_RSRC2:TGID_Y_EN: 0
; COMPUTE_PGM_RSRC2:TGID_Z_EN: 0
; COMPUTE_PGM_RSRC2:TIDIG_COMP_CNT: 0
; COMPUTE_PGM_RSRC3_GFX90A:ACCUM_OFFSET: 0
; COMPUTE_PGM_RSRC3_GFX90A:TG_SPLIT: 0
	.section	.text._ZN7rocprim17ROCPRIM_400000_NS6detail17trampoline_kernelINS0_14default_configENS1_27scan_by_key_config_selectorIj11FixedVectorIiLj1EEEEZZNS1_16scan_by_key_implILNS1_25lookback_scan_determinismE0ELb1ES3_N6thrust23THRUST_200600_302600_NS6detail15normal_iteratorINSB_10device_ptrIjEEEENSD_INSE_IS6_EEEESI_S6_NSB_4plusIvEENSB_8equal_toIvEES6_EE10hipError_tPvRmT2_T3_T4_T5_mT6_T7_P12ihipStream_tbENKUlT_T0_E_clISt17integral_constantIbLb1EES13_EEDaSY_SZ_EUlSY_E_NS1_11comp_targetILNS1_3genE10ELNS1_11target_archE1201ELNS1_3gpuE5ELNS1_3repE0EEENS1_30default_config_static_selectorELNS0_4arch9wavefront6targetE1EEEvT1_,"axG",@progbits,_ZN7rocprim17ROCPRIM_400000_NS6detail17trampoline_kernelINS0_14default_configENS1_27scan_by_key_config_selectorIj11FixedVectorIiLj1EEEEZZNS1_16scan_by_key_implILNS1_25lookback_scan_determinismE0ELb1ES3_N6thrust23THRUST_200600_302600_NS6detail15normal_iteratorINSB_10device_ptrIjEEEENSD_INSE_IS6_EEEESI_S6_NSB_4plusIvEENSB_8equal_toIvEES6_EE10hipError_tPvRmT2_T3_T4_T5_mT6_T7_P12ihipStream_tbENKUlT_T0_E_clISt17integral_constantIbLb1EES13_EEDaSY_SZ_EUlSY_E_NS1_11comp_targetILNS1_3genE10ELNS1_11target_archE1201ELNS1_3gpuE5ELNS1_3repE0EEENS1_30default_config_static_selectorELNS0_4arch9wavefront6targetE1EEEvT1_,comdat
	.protected	_ZN7rocprim17ROCPRIM_400000_NS6detail17trampoline_kernelINS0_14default_configENS1_27scan_by_key_config_selectorIj11FixedVectorIiLj1EEEEZZNS1_16scan_by_key_implILNS1_25lookback_scan_determinismE0ELb1ES3_N6thrust23THRUST_200600_302600_NS6detail15normal_iteratorINSB_10device_ptrIjEEEENSD_INSE_IS6_EEEESI_S6_NSB_4plusIvEENSB_8equal_toIvEES6_EE10hipError_tPvRmT2_T3_T4_T5_mT6_T7_P12ihipStream_tbENKUlT_T0_E_clISt17integral_constantIbLb1EES13_EEDaSY_SZ_EUlSY_E_NS1_11comp_targetILNS1_3genE10ELNS1_11target_archE1201ELNS1_3gpuE5ELNS1_3repE0EEENS1_30default_config_static_selectorELNS0_4arch9wavefront6targetE1EEEvT1_ ; -- Begin function _ZN7rocprim17ROCPRIM_400000_NS6detail17trampoline_kernelINS0_14default_configENS1_27scan_by_key_config_selectorIj11FixedVectorIiLj1EEEEZZNS1_16scan_by_key_implILNS1_25lookback_scan_determinismE0ELb1ES3_N6thrust23THRUST_200600_302600_NS6detail15normal_iteratorINSB_10device_ptrIjEEEENSD_INSE_IS6_EEEESI_S6_NSB_4plusIvEENSB_8equal_toIvEES6_EE10hipError_tPvRmT2_T3_T4_T5_mT6_T7_P12ihipStream_tbENKUlT_T0_E_clISt17integral_constantIbLb1EES13_EEDaSY_SZ_EUlSY_E_NS1_11comp_targetILNS1_3genE10ELNS1_11target_archE1201ELNS1_3gpuE5ELNS1_3repE0EEENS1_30default_config_static_selectorELNS0_4arch9wavefront6targetE1EEEvT1_
	.globl	_ZN7rocprim17ROCPRIM_400000_NS6detail17trampoline_kernelINS0_14default_configENS1_27scan_by_key_config_selectorIj11FixedVectorIiLj1EEEEZZNS1_16scan_by_key_implILNS1_25lookback_scan_determinismE0ELb1ES3_N6thrust23THRUST_200600_302600_NS6detail15normal_iteratorINSB_10device_ptrIjEEEENSD_INSE_IS6_EEEESI_S6_NSB_4plusIvEENSB_8equal_toIvEES6_EE10hipError_tPvRmT2_T3_T4_T5_mT6_T7_P12ihipStream_tbENKUlT_T0_E_clISt17integral_constantIbLb1EES13_EEDaSY_SZ_EUlSY_E_NS1_11comp_targetILNS1_3genE10ELNS1_11target_archE1201ELNS1_3gpuE5ELNS1_3repE0EEENS1_30default_config_static_selectorELNS0_4arch9wavefront6targetE1EEEvT1_
	.p2align	8
	.type	_ZN7rocprim17ROCPRIM_400000_NS6detail17trampoline_kernelINS0_14default_configENS1_27scan_by_key_config_selectorIj11FixedVectorIiLj1EEEEZZNS1_16scan_by_key_implILNS1_25lookback_scan_determinismE0ELb1ES3_N6thrust23THRUST_200600_302600_NS6detail15normal_iteratorINSB_10device_ptrIjEEEENSD_INSE_IS6_EEEESI_S6_NSB_4plusIvEENSB_8equal_toIvEES6_EE10hipError_tPvRmT2_T3_T4_T5_mT6_T7_P12ihipStream_tbENKUlT_T0_E_clISt17integral_constantIbLb1EES13_EEDaSY_SZ_EUlSY_E_NS1_11comp_targetILNS1_3genE10ELNS1_11target_archE1201ELNS1_3gpuE5ELNS1_3repE0EEENS1_30default_config_static_selectorELNS0_4arch9wavefront6targetE1EEEvT1_,@function
_ZN7rocprim17ROCPRIM_400000_NS6detail17trampoline_kernelINS0_14default_configENS1_27scan_by_key_config_selectorIj11FixedVectorIiLj1EEEEZZNS1_16scan_by_key_implILNS1_25lookback_scan_determinismE0ELb1ES3_N6thrust23THRUST_200600_302600_NS6detail15normal_iteratorINSB_10device_ptrIjEEEENSD_INSE_IS6_EEEESI_S6_NSB_4plusIvEENSB_8equal_toIvEES6_EE10hipError_tPvRmT2_T3_T4_T5_mT6_T7_P12ihipStream_tbENKUlT_T0_E_clISt17integral_constantIbLb1EES13_EEDaSY_SZ_EUlSY_E_NS1_11comp_targetILNS1_3genE10ELNS1_11target_archE1201ELNS1_3gpuE5ELNS1_3repE0EEENS1_30default_config_static_selectorELNS0_4arch9wavefront6targetE1EEEvT1_: ; @_ZN7rocprim17ROCPRIM_400000_NS6detail17trampoline_kernelINS0_14default_configENS1_27scan_by_key_config_selectorIj11FixedVectorIiLj1EEEEZZNS1_16scan_by_key_implILNS1_25lookback_scan_determinismE0ELb1ES3_N6thrust23THRUST_200600_302600_NS6detail15normal_iteratorINSB_10device_ptrIjEEEENSD_INSE_IS6_EEEESI_S6_NSB_4plusIvEENSB_8equal_toIvEES6_EE10hipError_tPvRmT2_T3_T4_T5_mT6_T7_P12ihipStream_tbENKUlT_T0_E_clISt17integral_constantIbLb1EES13_EEDaSY_SZ_EUlSY_E_NS1_11comp_targetILNS1_3genE10ELNS1_11target_archE1201ELNS1_3gpuE5ELNS1_3repE0EEENS1_30default_config_static_selectorELNS0_4arch9wavefront6targetE1EEEvT1_
; %bb.0:
	.section	.rodata,"a",@progbits
	.p2align	6, 0x0
	.amdhsa_kernel _ZN7rocprim17ROCPRIM_400000_NS6detail17trampoline_kernelINS0_14default_configENS1_27scan_by_key_config_selectorIj11FixedVectorIiLj1EEEEZZNS1_16scan_by_key_implILNS1_25lookback_scan_determinismE0ELb1ES3_N6thrust23THRUST_200600_302600_NS6detail15normal_iteratorINSB_10device_ptrIjEEEENSD_INSE_IS6_EEEESI_S6_NSB_4plusIvEENSB_8equal_toIvEES6_EE10hipError_tPvRmT2_T3_T4_T5_mT6_T7_P12ihipStream_tbENKUlT_T0_E_clISt17integral_constantIbLb1EES13_EEDaSY_SZ_EUlSY_E_NS1_11comp_targetILNS1_3genE10ELNS1_11target_archE1201ELNS1_3gpuE5ELNS1_3repE0EEENS1_30default_config_static_selectorELNS0_4arch9wavefront6targetE1EEEvT1_
		.amdhsa_group_segment_fixed_size 0
		.amdhsa_private_segment_fixed_size 0
		.amdhsa_kernarg_size 112
		.amdhsa_user_sgpr_count 2
		.amdhsa_user_sgpr_dispatch_ptr 0
		.amdhsa_user_sgpr_queue_ptr 0
		.amdhsa_user_sgpr_kernarg_segment_ptr 1
		.amdhsa_user_sgpr_dispatch_id 0
		.amdhsa_user_sgpr_kernarg_preload_length 0
		.amdhsa_user_sgpr_kernarg_preload_offset 0
		.amdhsa_user_sgpr_private_segment_size 0
		.amdhsa_uses_dynamic_stack 0
		.amdhsa_enable_private_segment 0
		.amdhsa_system_sgpr_workgroup_id_x 1
		.amdhsa_system_sgpr_workgroup_id_y 0
		.amdhsa_system_sgpr_workgroup_id_z 0
		.amdhsa_system_sgpr_workgroup_info 0
		.amdhsa_system_vgpr_workitem_id 0
		.amdhsa_next_free_vgpr 1
		.amdhsa_next_free_sgpr 0
		.amdhsa_accum_offset 4
		.amdhsa_reserve_vcc 0
		.amdhsa_float_round_mode_32 0
		.amdhsa_float_round_mode_16_64 0
		.amdhsa_float_denorm_mode_32 3
		.amdhsa_float_denorm_mode_16_64 3
		.amdhsa_dx10_clamp 1
		.amdhsa_ieee_mode 1
		.amdhsa_fp16_overflow 0
		.amdhsa_tg_split 0
		.amdhsa_exception_fp_ieee_invalid_op 0
		.amdhsa_exception_fp_denorm_src 0
		.amdhsa_exception_fp_ieee_div_zero 0
		.amdhsa_exception_fp_ieee_overflow 0
		.amdhsa_exception_fp_ieee_underflow 0
		.amdhsa_exception_fp_ieee_inexact 0
		.amdhsa_exception_int_div_zero 0
	.end_amdhsa_kernel
	.section	.text._ZN7rocprim17ROCPRIM_400000_NS6detail17trampoline_kernelINS0_14default_configENS1_27scan_by_key_config_selectorIj11FixedVectorIiLj1EEEEZZNS1_16scan_by_key_implILNS1_25lookback_scan_determinismE0ELb1ES3_N6thrust23THRUST_200600_302600_NS6detail15normal_iteratorINSB_10device_ptrIjEEEENSD_INSE_IS6_EEEESI_S6_NSB_4plusIvEENSB_8equal_toIvEES6_EE10hipError_tPvRmT2_T3_T4_T5_mT6_T7_P12ihipStream_tbENKUlT_T0_E_clISt17integral_constantIbLb1EES13_EEDaSY_SZ_EUlSY_E_NS1_11comp_targetILNS1_3genE10ELNS1_11target_archE1201ELNS1_3gpuE5ELNS1_3repE0EEENS1_30default_config_static_selectorELNS0_4arch9wavefront6targetE1EEEvT1_,"axG",@progbits,_ZN7rocprim17ROCPRIM_400000_NS6detail17trampoline_kernelINS0_14default_configENS1_27scan_by_key_config_selectorIj11FixedVectorIiLj1EEEEZZNS1_16scan_by_key_implILNS1_25lookback_scan_determinismE0ELb1ES3_N6thrust23THRUST_200600_302600_NS6detail15normal_iteratorINSB_10device_ptrIjEEEENSD_INSE_IS6_EEEESI_S6_NSB_4plusIvEENSB_8equal_toIvEES6_EE10hipError_tPvRmT2_T3_T4_T5_mT6_T7_P12ihipStream_tbENKUlT_T0_E_clISt17integral_constantIbLb1EES13_EEDaSY_SZ_EUlSY_E_NS1_11comp_targetILNS1_3genE10ELNS1_11target_archE1201ELNS1_3gpuE5ELNS1_3repE0EEENS1_30default_config_static_selectorELNS0_4arch9wavefront6targetE1EEEvT1_,comdat
.Lfunc_end1921:
	.size	_ZN7rocprim17ROCPRIM_400000_NS6detail17trampoline_kernelINS0_14default_configENS1_27scan_by_key_config_selectorIj11FixedVectorIiLj1EEEEZZNS1_16scan_by_key_implILNS1_25lookback_scan_determinismE0ELb1ES3_N6thrust23THRUST_200600_302600_NS6detail15normal_iteratorINSB_10device_ptrIjEEEENSD_INSE_IS6_EEEESI_S6_NSB_4plusIvEENSB_8equal_toIvEES6_EE10hipError_tPvRmT2_T3_T4_T5_mT6_T7_P12ihipStream_tbENKUlT_T0_E_clISt17integral_constantIbLb1EES13_EEDaSY_SZ_EUlSY_E_NS1_11comp_targetILNS1_3genE10ELNS1_11target_archE1201ELNS1_3gpuE5ELNS1_3repE0EEENS1_30default_config_static_selectorELNS0_4arch9wavefront6targetE1EEEvT1_, .Lfunc_end1921-_ZN7rocprim17ROCPRIM_400000_NS6detail17trampoline_kernelINS0_14default_configENS1_27scan_by_key_config_selectorIj11FixedVectorIiLj1EEEEZZNS1_16scan_by_key_implILNS1_25lookback_scan_determinismE0ELb1ES3_N6thrust23THRUST_200600_302600_NS6detail15normal_iteratorINSB_10device_ptrIjEEEENSD_INSE_IS6_EEEESI_S6_NSB_4plusIvEENSB_8equal_toIvEES6_EE10hipError_tPvRmT2_T3_T4_T5_mT6_T7_P12ihipStream_tbENKUlT_T0_E_clISt17integral_constantIbLb1EES13_EEDaSY_SZ_EUlSY_E_NS1_11comp_targetILNS1_3genE10ELNS1_11target_archE1201ELNS1_3gpuE5ELNS1_3repE0EEENS1_30default_config_static_selectorELNS0_4arch9wavefront6targetE1EEEvT1_
                                        ; -- End function
	.section	.AMDGPU.csdata,"",@progbits
; Kernel info:
; codeLenInByte = 0
; NumSgprs: 6
; NumVgprs: 0
; NumAgprs: 0
; TotalNumVgprs: 0
; ScratchSize: 0
; MemoryBound: 0
; FloatMode: 240
; IeeeMode: 1
; LDSByteSize: 0 bytes/workgroup (compile time only)
; SGPRBlocks: 0
; VGPRBlocks: 0
; NumSGPRsForWavesPerEU: 6
; NumVGPRsForWavesPerEU: 1
; AccumOffset: 4
; Occupancy: 8
; WaveLimiterHint : 0
; COMPUTE_PGM_RSRC2:SCRATCH_EN: 0
; COMPUTE_PGM_RSRC2:USER_SGPR: 2
; COMPUTE_PGM_RSRC2:TRAP_HANDLER: 0
; COMPUTE_PGM_RSRC2:TGID_X_EN: 1
; COMPUTE_PGM_RSRC2:TGID_Y_EN: 0
; COMPUTE_PGM_RSRC2:TGID_Z_EN: 0
; COMPUTE_PGM_RSRC2:TIDIG_COMP_CNT: 0
; COMPUTE_PGM_RSRC3_GFX90A:ACCUM_OFFSET: 0
; COMPUTE_PGM_RSRC3_GFX90A:TG_SPLIT: 0
	.section	.text._ZN7rocprim17ROCPRIM_400000_NS6detail17trampoline_kernelINS0_14default_configENS1_27scan_by_key_config_selectorIj11FixedVectorIiLj1EEEEZZNS1_16scan_by_key_implILNS1_25lookback_scan_determinismE0ELb1ES3_N6thrust23THRUST_200600_302600_NS6detail15normal_iteratorINSB_10device_ptrIjEEEENSD_INSE_IS6_EEEESI_S6_NSB_4plusIvEENSB_8equal_toIvEES6_EE10hipError_tPvRmT2_T3_T4_T5_mT6_T7_P12ihipStream_tbENKUlT_T0_E_clISt17integral_constantIbLb1EES13_EEDaSY_SZ_EUlSY_E_NS1_11comp_targetILNS1_3genE5ELNS1_11target_archE942ELNS1_3gpuE9ELNS1_3repE0EEENS1_30default_config_static_selectorELNS0_4arch9wavefront6targetE1EEEvT1_,"axG",@progbits,_ZN7rocprim17ROCPRIM_400000_NS6detail17trampoline_kernelINS0_14default_configENS1_27scan_by_key_config_selectorIj11FixedVectorIiLj1EEEEZZNS1_16scan_by_key_implILNS1_25lookback_scan_determinismE0ELb1ES3_N6thrust23THRUST_200600_302600_NS6detail15normal_iteratorINSB_10device_ptrIjEEEENSD_INSE_IS6_EEEESI_S6_NSB_4plusIvEENSB_8equal_toIvEES6_EE10hipError_tPvRmT2_T3_T4_T5_mT6_T7_P12ihipStream_tbENKUlT_T0_E_clISt17integral_constantIbLb1EES13_EEDaSY_SZ_EUlSY_E_NS1_11comp_targetILNS1_3genE5ELNS1_11target_archE942ELNS1_3gpuE9ELNS1_3repE0EEENS1_30default_config_static_selectorELNS0_4arch9wavefront6targetE1EEEvT1_,comdat
	.protected	_ZN7rocprim17ROCPRIM_400000_NS6detail17trampoline_kernelINS0_14default_configENS1_27scan_by_key_config_selectorIj11FixedVectorIiLj1EEEEZZNS1_16scan_by_key_implILNS1_25lookback_scan_determinismE0ELb1ES3_N6thrust23THRUST_200600_302600_NS6detail15normal_iteratorINSB_10device_ptrIjEEEENSD_INSE_IS6_EEEESI_S6_NSB_4plusIvEENSB_8equal_toIvEES6_EE10hipError_tPvRmT2_T3_T4_T5_mT6_T7_P12ihipStream_tbENKUlT_T0_E_clISt17integral_constantIbLb1EES13_EEDaSY_SZ_EUlSY_E_NS1_11comp_targetILNS1_3genE5ELNS1_11target_archE942ELNS1_3gpuE9ELNS1_3repE0EEENS1_30default_config_static_selectorELNS0_4arch9wavefront6targetE1EEEvT1_ ; -- Begin function _ZN7rocprim17ROCPRIM_400000_NS6detail17trampoline_kernelINS0_14default_configENS1_27scan_by_key_config_selectorIj11FixedVectorIiLj1EEEEZZNS1_16scan_by_key_implILNS1_25lookback_scan_determinismE0ELb1ES3_N6thrust23THRUST_200600_302600_NS6detail15normal_iteratorINSB_10device_ptrIjEEEENSD_INSE_IS6_EEEESI_S6_NSB_4plusIvEENSB_8equal_toIvEES6_EE10hipError_tPvRmT2_T3_T4_T5_mT6_T7_P12ihipStream_tbENKUlT_T0_E_clISt17integral_constantIbLb1EES13_EEDaSY_SZ_EUlSY_E_NS1_11comp_targetILNS1_3genE5ELNS1_11target_archE942ELNS1_3gpuE9ELNS1_3repE0EEENS1_30default_config_static_selectorELNS0_4arch9wavefront6targetE1EEEvT1_
	.globl	_ZN7rocprim17ROCPRIM_400000_NS6detail17trampoline_kernelINS0_14default_configENS1_27scan_by_key_config_selectorIj11FixedVectorIiLj1EEEEZZNS1_16scan_by_key_implILNS1_25lookback_scan_determinismE0ELb1ES3_N6thrust23THRUST_200600_302600_NS6detail15normal_iteratorINSB_10device_ptrIjEEEENSD_INSE_IS6_EEEESI_S6_NSB_4plusIvEENSB_8equal_toIvEES6_EE10hipError_tPvRmT2_T3_T4_T5_mT6_T7_P12ihipStream_tbENKUlT_T0_E_clISt17integral_constantIbLb1EES13_EEDaSY_SZ_EUlSY_E_NS1_11comp_targetILNS1_3genE5ELNS1_11target_archE942ELNS1_3gpuE9ELNS1_3repE0EEENS1_30default_config_static_selectorELNS0_4arch9wavefront6targetE1EEEvT1_
	.p2align	8
	.type	_ZN7rocprim17ROCPRIM_400000_NS6detail17trampoline_kernelINS0_14default_configENS1_27scan_by_key_config_selectorIj11FixedVectorIiLj1EEEEZZNS1_16scan_by_key_implILNS1_25lookback_scan_determinismE0ELb1ES3_N6thrust23THRUST_200600_302600_NS6detail15normal_iteratorINSB_10device_ptrIjEEEENSD_INSE_IS6_EEEESI_S6_NSB_4plusIvEENSB_8equal_toIvEES6_EE10hipError_tPvRmT2_T3_T4_T5_mT6_T7_P12ihipStream_tbENKUlT_T0_E_clISt17integral_constantIbLb1EES13_EEDaSY_SZ_EUlSY_E_NS1_11comp_targetILNS1_3genE5ELNS1_11target_archE942ELNS1_3gpuE9ELNS1_3repE0EEENS1_30default_config_static_selectorELNS0_4arch9wavefront6targetE1EEEvT1_,@function
_ZN7rocprim17ROCPRIM_400000_NS6detail17trampoline_kernelINS0_14default_configENS1_27scan_by_key_config_selectorIj11FixedVectorIiLj1EEEEZZNS1_16scan_by_key_implILNS1_25lookback_scan_determinismE0ELb1ES3_N6thrust23THRUST_200600_302600_NS6detail15normal_iteratorINSB_10device_ptrIjEEEENSD_INSE_IS6_EEEESI_S6_NSB_4plusIvEENSB_8equal_toIvEES6_EE10hipError_tPvRmT2_T3_T4_T5_mT6_T7_P12ihipStream_tbENKUlT_T0_E_clISt17integral_constantIbLb1EES13_EEDaSY_SZ_EUlSY_E_NS1_11comp_targetILNS1_3genE5ELNS1_11target_archE942ELNS1_3gpuE9ELNS1_3repE0EEENS1_30default_config_static_selectorELNS0_4arch9wavefront6targetE1EEEvT1_: ; @_ZN7rocprim17ROCPRIM_400000_NS6detail17trampoline_kernelINS0_14default_configENS1_27scan_by_key_config_selectorIj11FixedVectorIiLj1EEEEZZNS1_16scan_by_key_implILNS1_25lookback_scan_determinismE0ELb1ES3_N6thrust23THRUST_200600_302600_NS6detail15normal_iteratorINSB_10device_ptrIjEEEENSD_INSE_IS6_EEEESI_S6_NSB_4plusIvEENSB_8equal_toIvEES6_EE10hipError_tPvRmT2_T3_T4_T5_mT6_T7_P12ihipStream_tbENKUlT_T0_E_clISt17integral_constantIbLb1EES13_EEDaSY_SZ_EUlSY_E_NS1_11comp_targetILNS1_3genE5ELNS1_11target_archE942ELNS1_3gpuE9ELNS1_3repE0EEENS1_30default_config_static_selectorELNS0_4arch9wavefront6targetE1EEEvT1_
; %bb.0:
	s_load_dword s74, s[0:1], 0x20
	s_load_dwordx4 s[64:67], s[0:1], 0x28
	s_load_dwordx2 s[72:73], s[0:1], 0x38
	v_cmp_ne_u32_e64 s[4:5], 0, v0
	v_cmp_eq_u32_e64 s[52:53], 0, v0
	s_and_saveexec_b64 s[2:3], s[52:53]
	s_cbranch_execz .LBB1922_4
; %bb.1:
	s_mov_b64 s[8:9], exec
	v_mbcnt_lo_u32_b32 v1, s8, 0
	v_mbcnt_hi_u32_b32 v1, s9, v1
	v_cmp_eq_u32_e32 vcc, 0, v1
                                        ; implicit-def: $vgpr2
	s_and_saveexec_b64 s[6:7], vcc
	s_cbranch_execz .LBB1922_3
; %bb.2:
	s_load_dwordx2 s[10:11], s[0:1], 0x68
	s_bcnt1_i32_b64 s8, s[8:9]
	v_mov_b32_e32 v2, 0
	v_mov_b32_e32 v3, s8
	s_waitcnt lgkmcnt(0)
	global_atomic_add v2, v2, v3, s[10:11] sc0
.LBB1922_3:
	s_or_b64 exec, exec, s[6:7]
	s_waitcnt vmcnt(0)
	v_readfirstlane_b32 s6, v2
	v_mov_b32_e32 v2, 0
	s_nop 0
	v_add_u32_e32 v1, s6, v1
	ds_write_b32 v2, v1
.LBB1922_4:
	s_or_b64 exec, exec, s[2:3]
	s_load_dwordx8 s[56:63], s[0:1], 0x0
	s_load_dword s2, s[0:1], 0x40
	s_load_dwordx4 s[68:71], s[0:1], 0x48
	v_mov_b32_e32 v7, 0
	s_waitcnt lgkmcnt(0)
	s_lshl_b64 s[54:55], s[58:59], 2
	s_barrier
	ds_read_b32 v6, v7
	s_add_u32 s0, s56, s54
	s_addc_u32 s1, s57, s55
	s_add_u32 s6, s60, s54
	s_mul_i32 s3, s73, s2
	s_mul_hi_u32 s8, s72, s2
	s_addc_u32 s7, s61, s55
	s_add_i32 s3, s8, s3
	s_movk_i32 s8, 0x1700
	s_waitcnt lgkmcnt(0)
	v_mul_lo_u32 v2, v6, s8
	v_mov_b32_e32 v3, v7
	v_lshlrev_b64 v[10:11], 2, v[2:3]
	s_mul_i32 s2, s72, s2
	v_lshl_add_u64 v[2:3], s[6:7], 0, v[10:11]
	s_add_u32 s6, s68, -1
	v_readfirstlane_b32 s67, v6
	v_lshl_add_u64 v[6:7], s[2:3], 0, v[6:7]
	s_addc_u32 s7, s69, -1
	v_cmp_le_u64_e64 s[2:3], s[6:7], v[6:7]
	v_lshl_add_u64 v[4:5], s[0:1], 0, v[10:11]
	s_mov_b64 s[0:1], -1
	s_and_b64 vcc, exec, s[2:3]
	s_mul_i32 s33, s6, 0xffffe900
	s_barrier
	s_barrier
	s_cbranch_vccz .LBB1922_146
; %bb.5:
	flat_load_dword v1, v[4:5]
	s_add_i32 s60, s33, s66
	v_cmp_gt_u32_e32 vcc, s60, v0
	s_waitcnt vmcnt(0) lgkmcnt(0)
	v_mov_b32_e32 v7, v1
	s_and_saveexec_b64 s[0:1], vcc
	s_cbranch_execz .LBB1922_7
; %bb.6:
	v_lshlrev_b32_e32 v6, 2, v0
	v_mov_b32_e32 v7, 0
	v_lshl_add_u64 v[6:7], v[4:5], 0, v[6:7]
	flat_load_dword v7, v[6:7]
.LBB1922_7:
	s_or_b64 exec, exec, s[0:1]
	v_or_b32_e32 v6, 0x100, v0
	v_cmp_gt_u32_e64 s[6:7], s60, v6
	v_mov_b32_e32 v8, v1
	s_and_saveexec_b64 s[0:1], s[6:7]
	s_cbranch_execz .LBB1922_9
; %bb.8:
	v_lshlrev_b32_e32 v8, 2, v0
	v_mov_b32_e32 v9, 0
	v_lshl_add_u64 v[8:9], v[4:5], 0, v[8:9]
	flat_load_dword v8, v[8:9] offset:1024
.LBB1922_9:
	s_or_b64 exec, exec, s[0:1]
	v_or_b32_e32 v6, 0x200, v0
	v_cmp_gt_u32_e64 s[8:9], s60, v6
	v_mov_b32_e32 v9, v1
	s_and_saveexec_b64 s[0:1], s[8:9]
	s_cbranch_execz .LBB1922_11
; %bb.10:
	v_lshlrev_b32_e32 v12, 2, v0
	v_mov_b32_e32 v13, 0
	v_lshl_add_u64 v[12:13], v[4:5], 0, v[12:13]
	flat_load_dword v9, v[12:13] offset:2048
.LBB1922_11:
	;; [unrolled: 12-line block ×3, first 2 shown]
	s_or_b64 exec, exec, s[0:1]
	v_or_b32_e32 v12, 0x400, v0
	v_cmp_gt_u32_e64 s[12:13], s60, v12
	v_mov_b32_e32 v32, v1
	s_and_saveexec_b64 s[0:1], s[12:13]
	s_cbranch_execz .LBB1922_15
; %bb.14:
	v_lshlrev_b32_e32 v14, 2, v12
	v_mov_b32_e32 v15, 0
	v_lshl_add_u64 v[14:15], v[4:5], 0, v[14:15]
	flat_load_dword v32, v[14:15]
.LBB1922_15:
	s_or_b64 exec, exec, s[0:1]
	v_or_b32_e32 v13, 0x500, v0
	v_cmp_gt_u32_e64 s[14:15], s60, v13
	v_mov_b32_e32 v33, v1
	s_and_saveexec_b64 s[0:1], s[14:15]
	s_cbranch_execz .LBB1922_17
; %bb.16:
	v_lshlrev_b32_e32 v14, 2, v13
	v_mov_b32_e32 v15, 0
	v_lshl_add_u64 v[14:15], v[4:5], 0, v[14:15]
	flat_load_dword v33, v[14:15]
.LBB1922_17:
	;; [unrolled: 12-line block ×18, first 2 shown]
	s_or_b64 exec, exec, s[0:1]
	v_or_b32_e32 v30, 0x1600, v0
	v_cmp_gt_u32_e64 s[50:51], s60, v30
	s_and_saveexec_b64 s[0:1], s[50:51]
	s_cbranch_execz .LBB1922_51
; %bb.50:
	v_lshlrev_b32_e32 v50, 2, v30
	v_mov_b32_e32 v51, 0
	v_lshl_add_u64 v[50:51], v[4:5], 0, v[50:51]
	flat_load_dword v1, v[50:51]
.LBB1922_51:
	s_or_b64 exec, exec, s[0:1]
	v_lshlrev_b32_e32 v6, 2, v0
	s_waitcnt vmcnt(0) lgkmcnt(0)
	ds_write2st64_b32 v6, v7, v8 offset1:4
	ds_write2st64_b32 v6, v9, v31 offset0:8 offset1:12
	ds_write2st64_b32 v6, v32, v33 offset0:16 offset1:20
	;; [unrolled: 1-line block ×10, first 2 shown]
	ds_write_b32 v6, v1 offset:22528
	s_waitcnt lgkmcnt(0)
	s_barrier
	flat_load_dword v1, v[4:5]
	s_movk_i32 s0, 0x58
	v_mad_u32_u24 v76, v0, s0, v6
	s_movk_i32 s0, 0xffa8
	v_mad_i32_i24 v7, v0, s0, v76
	s_movk_i32 s0, 0xff
	v_cmp_ne_u32_e64 s[0:1], s0, v0
	ds_read_b32 v78, v76
	ds_read2_b32 v[74:75], v76 offset0:1 offset1:2
	ds_read2_b32 v[72:73], v76 offset0:3 offset1:4
	;; [unrolled: 1-line block ×11, first 2 shown]
	s_waitcnt lgkmcnt(0)
	ds_write_b32 v7, v78 offset:24576
	s_waitcnt lgkmcnt(0)
	s_barrier
	s_and_saveexec_b64 s[56:57], s[0:1]
	s_cbranch_execz .LBB1922_53
; %bb.52:
	s_waitcnt vmcnt(0)
	ds_read_b32 v1, v6 offset:24580
.LBB1922_53:
	s_or_b64 exec, exec, s[56:57]
	v_mov_b32_e32 v31, 0
	v_mov_b32_e32 v32, 0
	s_waitcnt lgkmcnt(0)
	s_barrier
	s_and_saveexec_b64 s[0:1], vcc
	s_cbranch_execz .LBB1922_55
; %bb.54:
	v_mov_b32_e32 v7, 0
	v_lshl_add_u64 v[32:33], v[2:3], 0, v[6:7]
	flat_load_dword v32, v[32:33]
.LBB1922_55:
	s_or_b64 exec, exec, s[0:1]
	s_and_saveexec_b64 s[0:1], s[6:7]
	s_cbranch_execz .LBB1922_57
; %bb.56:
	v_mov_b32_e32 v7, 0
	v_lshl_add_u64 v[34:35], v[2:3], 0, v[6:7]
	flat_load_dword v31, v[34:35] offset:1024
.LBB1922_57:
	s_or_b64 exec, exec, s[0:1]
	v_mov_b32_e32 v33, 0
	v_mov_b32_e32 v34, 0
	s_and_saveexec_b64 s[0:1], s[8:9]
	s_cbranch_execz .LBB1922_59
; %bb.58:
	v_mov_b32_e32 v7, 0
	v_lshl_add_u64 v[34:35], v[2:3], 0, v[6:7]
	flat_load_dword v34, v[34:35] offset:2048
.LBB1922_59:
	s_or_b64 exec, exec, s[0:1]
	s_and_saveexec_b64 s[0:1], s[10:11]
	s_cbranch_execz .LBB1922_61
; %bb.60:
	v_mov_b32_e32 v7, 0
	v_lshl_add_u64 v[36:37], v[2:3], 0, v[6:7]
	flat_load_dword v33, v[36:37] offset:3072
.LBB1922_61:
	s_or_b64 exec, exec, s[0:1]
	v_mov_b32_e32 v7, 0
	v_mov_b32_e32 v35, 0
	s_and_saveexec_b64 s[0:1], s[12:13]
	s_cbranch_execz .LBB1922_63
; %bb.62:
	v_lshlrev_b32_e32 v36, 2, v12
	v_mov_b32_e32 v37, 0
	v_lshl_add_u64 v[36:37], v[2:3], 0, v[36:37]
	flat_load_dword v35, v[36:37]
.LBB1922_63:
	s_or_b64 exec, exec, s[0:1]
	s_and_saveexec_b64 s[0:1], s[14:15]
	s_cbranch_execz .LBB1922_65
; %bb.64:
	v_lshlrev_b32_e32 v12, 2, v13
	v_mov_b32_e32 v13, 0
	v_lshl_add_u64 v[12:13], v[2:3], 0, v[12:13]
	flat_load_dword v7, v[12:13]
.LBB1922_65:
	s_or_b64 exec, exec, s[0:1]
	v_mov_b32_e32 v12, 0
	v_mov_b32_e32 v13, 0
	s_and_saveexec_b64 s[0:1], s[16:17]
	s_cbranch_execz .LBB1922_67
; %bb.66:
	v_lshlrev_b32_e32 v36, 2, v14
	v_mov_b32_e32 v37, 0
	v_lshl_add_u64 v[36:37], v[2:3], 0, v[36:37]
	flat_load_dword v13, v[36:37]
.LBB1922_67:
	s_or_b64 exec, exec, s[0:1]
	s_and_saveexec_b64 s[0:1], s[18:19]
	s_cbranch_execz .LBB1922_69
; %bb.68:
	v_lshlrev_b32_e32 v14, 2, v15
	v_mov_b32_e32 v15, 0
	v_lshl_add_u64 v[14:15], v[2:3], 0, v[14:15]
	flat_load_dword v12, v[14:15]
.LBB1922_69:
	;; [unrolled: 20-line block ×9, first 2 shown]
	s_or_b64 exec, exec, s[0:1]
	v_mul_u32_u24_e32 v77, 23, v0
	v_mov_b32_e32 v28, 0
	s_and_saveexec_b64 s[0:1], s[50:51]
	s_cbranch_execz .LBB1922_99
; %bb.98:
	v_lshlrev_b32_e32 v28, 2, v30
	v_mov_b32_e32 v29, 0
	v_lshl_add_u64 v[28:29], v[2:3], 0, v[28:29]
	flat_load_dword v28, v[28:29]
.LBB1922_99:
	s_or_b64 exec, exec, s[0:1]
	s_waitcnt vmcnt(0) lgkmcnt(0)
	ds_write2st64_b32 v6, v32, v31 offset1:4
	ds_write2st64_b32 v6, v34, v33 offset0:8 offset1:12
	ds_write2st64_b32 v6, v35, v7 offset0:16 offset1:20
	;; [unrolled: 1-line block ×10, first 2 shown]
	ds_write_b32 v6, v28 offset:22528
	v_mov_b64_e32 v[12:13], 0
	v_cmp_gt_u32_e32 vcc, s60, v77
	s_mov_b64 s[10:11], 0
	s_mov_b64 s[0:1], 0
	v_mov_b64_e32 v[14:15], v[12:13]
	v_mov_b64_e32 v[16:17], v[12:13]
	;; [unrolled: 1-line block ×21, first 2 shown]
	s_waitcnt lgkmcnt(0)
	s_barrier
	s_waitcnt lgkmcnt(0)
                                        ; implicit-def: $sgpr8_sgpr9
                                        ; implicit-def: $vgpr6
	s_and_saveexec_b64 s[6:7], vcc
	s_cbranch_execz .LBB1922_145
; %bb.100:
	ds_read_b32 v6, v76
	v_mov_b32_e32 v12, s74
	v_cmp_eq_u32_e32 vcc, v78, v74
	v_add_u32_e32 v7, 1, v77
	v_mov_b64_e32 v[14:15], 0
	s_waitcnt lgkmcnt(0)
	v_cndmask_b32_e32 v12, v12, v6, vcc
	v_cmp_ne_u32_e32 vcc, v78, v74
	s_mov_b64 s[12:13], 0
	v_mov_b64_e32 v[16:17], v[14:15]
	v_cndmask_b32_e64 v13, 0, 1, vcc
	v_cmp_gt_u32_e32 vcc, s60, v7
	v_mov_b64_e32 v[18:19], v[14:15]
	v_mov_b64_e32 v[20:21], v[14:15]
	;; [unrolled: 1-line block ×19, first 2 shown]
                                        ; implicit-def: $sgpr14_sgpr15
                                        ; implicit-def: $vgpr6
	s_and_saveexec_b64 s[8:9], vcc
	s_cbranch_execz .LBB1922_144
; %bb.101:
	ds_read2_b32 v[6:7], v76 offset0:1 offset1:2
	v_mov_b32_e32 v14, s74
	v_cmp_eq_u32_e32 vcc, v74, v75
	v_add_u32_e32 v16, 2, v77
	s_mov_b64 s[14:15], 0
	s_waitcnt lgkmcnt(0)
	v_cndmask_b32_e32 v14, v14, v6, vcc
	v_cmp_ne_u32_e32 vcc, v74, v75
                                        ; implicit-def: $sgpr16_sgpr17
                                        ; implicit-def: $vgpr6
	s_nop 1
	v_cndmask_b32_e64 v15, 0, 1, vcc
	v_cmp_gt_u32_e32 vcc, s60, v16
	v_mov_b64_e32 v[16:17], 0
	v_mov_b64_e32 v[18:19], v[16:17]
	;; [unrolled: 1-line block ×20, first 2 shown]
	s_and_saveexec_b64 s[10:11], vcc
	s_cbranch_execz .LBB1922_143
; %bb.102:
	v_mov_b32_e32 v16, s74
	v_cmp_eq_u32_e32 vcc, v75, v72
	v_add_u32_e32 v6, 3, v77
	v_mov_b64_e32 v[18:19], 0
	v_cndmask_b32_e32 v16, v16, v7, vcc
	v_cmp_ne_u32_e32 vcc, v75, v72
	s_mov_b64 s[16:17], 0
	v_mov_b64_e32 v[20:21], v[18:19]
	v_cndmask_b32_e64 v17, 0, 1, vcc
	v_cmp_gt_u32_e32 vcc, s60, v6
	v_mov_b64_e32 v[22:23], v[18:19]
	v_mov_b64_e32 v[24:25], v[18:19]
	;; [unrolled: 1-line block ×17, first 2 shown]
                                        ; implicit-def: $sgpr18_sgpr19
                                        ; implicit-def: $vgpr6
	s_and_saveexec_b64 s[12:13], vcc
	s_cbranch_execz .LBB1922_142
; %bb.103:
	ds_read2_b32 v[6:7], v76 offset0:3 offset1:4
	v_mov_b32_e32 v18, s74
	v_cmp_eq_u32_e32 vcc, v72, v73
	v_add_u32_e32 v20, 4, v77
	s_mov_b64 s[18:19], 0
	s_waitcnt lgkmcnt(0)
	v_cndmask_b32_e32 v18, v18, v6, vcc
	v_cmp_ne_u32_e32 vcc, v72, v73
                                        ; implicit-def: $sgpr20_sgpr21
                                        ; implicit-def: $vgpr6
	s_nop 1
	v_cndmask_b32_e64 v19, 0, 1, vcc
	v_cmp_gt_u32_e32 vcc, s60, v20
	v_mov_b64_e32 v[20:21], 0
	v_mov_b64_e32 v[22:23], v[20:21]
	;; [unrolled: 1-line block ×18, first 2 shown]
	s_and_saveexec_b64 s[14:15], vcc
	s_cbranch_execz .LBB1922_141
; %bb.104:
	v_mov_b32_e32 v20, s74
	v_cmp_eq_u32_e32 vcc, v73, v70
	v_add_u32_e32 v6, 5, v77
	v_mov_b64_e32 v[22:23], 0
	v_cndmask_b32_e32 v20, v20, v7, vcc
	v_cmp_ne_u32_e32 vcc, v73, v70
	s_mov_b64 s[20:21], 0
	v_mov_b64_e32 v[24:25], v[22:23]
	v_cndmask_b32_e64 v21, 0, 1, vcc
	v_cmp_gt_u32_e32 vcc, s60, v6
	v_mov_b64_e32 v[26:27], v[22:23]
	v_mov_b64_e32 v[28:29], v[22:23]
	;; [unrolled: 1-line block ×15, first 2 shown]
                                        ; implicit-def: $sgpr22_sgpr23
                                        ; implicit-def: $vgpr6
	s_and_saveexec_b64 s[16:17], vcc
	s_cbranch_execz .LBB1922_140
; %bb.105:
	ds_read2_b32 v[6:7], v76 offset0:5 offset1:6
	v_mov_b32_e32 v22, s74
	v_cmp_eq_u32_e32 vcc, v70, v71
	v_add_u32_e32 v24, 6, v77
	s_mov_b64 s[22:23], 0
	s_waitcnt lgkmcnt(0)
	v_cndmask_b32_e32 v22, v22, v6, vcc
	v_cmp_ne_u32_e32 vcc, v70, v71
                                        ; implicit-def: $sgpr24_sgpr25
                                        ; implicit-def: $vgpr6
	s_nop 1
	v_cndmask_b32_e64 v23, 0, 1, vcc
	v_cmp_gt_u32_e32 vcc, s60, v24
	v_mov_b64_e32 v[24:25], 0
	v_mov_b64_e32 v[26:27], v[24:25]
	;; [unrolled: 1-line block ×16, first 2 shown]
	s_and_saveexec_b64 s[18:19], vcc
	s_cbranch_execz .LBB1922_139
; %bb.106:
	v_mov_b32_e32 v24, s74
	v_cmp_eq_u32_e32 vcc, v71, v68
	v_add_u32_e32 v6, 7, v77
	v_mov_b64_e32 v[26:27], 0
	v_cndmask_b32_e32 v24, v24, v7, vcc
	v_cmp_ne_u32_e32 vcc, v71, v68
	s_mov_b64 s[24:25], 0
	v_mov_b64_e32 v[28:29], v[26:27]
	v_cndmask_b32_e64 v25, 0, 1, vcc
	v_cmp_gt_u32_e32 vcc, s60, v6
	v_mov_b64_e32 v[30:31], v[26:27]
	v_mov_b64_e32 v[32:33], v[26:27]
	;; [unrolled: 1-line block ×13, first 2 shown]
                                        ; implicit-def: $sgpr26_sgpr27
                                        ; implicit-def: $vgpr6
	s_and_saveexec_b64 s[20:21], vcc
	s_cbranch_execz .LBB1922_138
; %bb.107:
	ds_read2_b32 v[6:7], v76 offset0:7 offset1:8
	v_mov_b32_e32 v26, s74
	v_cmp_eq_u32_e32 vcc, v68, v69
	v_add_u32_e32 v28, 8, v77
	s_mov_b64 s[26:27], 0
	s_waitcnt lgkmcnt(0)
	v_cndmask_b32_e32 v26, v26, v6, vcc
	v_cmp_ne_u32_e32 vcc, v68, v69
                                        ; implicit-def: $sgpr28_sgpr29
                                        ; implicit-def: $vgpr6
	s_nop 1
	v_cndmask_b32_e64 v27, 0, 1, vcc
	v_cmp_gt_u32_e32 vcc, s60, v28
	v_mov_b64_e32 v[28:29], 0
	v_mov_b64_e32 v[30:31], v[28:29]
	;; [unrolled: 1-line block ×14, first 2 shown]
	s_and_saveexec_b64 s[22:23], vcc
	s_cbranch_execz .LBB1922_137
; %bb.108:
	v_mov_b32_e32 v28, s74
	v_cmp_eq_u32_e32 vcc, v69, v66
	v_add_u32_e32 v6, 9, v77
	v_mov_b64_e32 v[30:31], 0
	v_cndmask_b32_e32 v28, v28, v7, vcc
	v_cmp_ne_u32_e32 vcc, v69, v66
	s_mov_b64 s[28:29], 0
	v_mov_b64_e32 v[32:33], v[30:31]
	v_cndmask_b32_e64 v29, 0, 1, vcc
	v_cmp_gt_u32_e32 vcc, s60, v6
	v_mov_b64_e32 v[34:35], v[30:31]
	v_mov_b64_e32 v[36:37], v[30:31]
	;; [unrolled: 1-line block ×11, first 2 shown]
                                        ; implicit-def: $sgpr30_sgpr31
                                        ; implicit-def: $vgpr6
	s_and_saveexec_b64 s[24:25], vcc
	s_cbranch_execz .LBB1922_136
; %bb.109:
	ds_read2_b32 v[6:7], v76 offset0:9 offset1:10
	v_mov_b32_e32 v30, s74
	v_cmp_eq_u32_e32 vcc, v66, v67
	v_add_u32_e32 v32, 10, v77
	s_mov_b64 s[30:31], 0
	s_waitcnt lgkmcnt(0)
	v_cndmask_b32_e32 v30, v30, v6, vcc
	v_cmp_ne_u32_e32 vcc, v66, v67
                                        ; implicit-def: $sgpr34_sgpr35
                                        ; implicit-def: $vgpr6
	s_nop 1
	v_cndmask_b32_e64 v31, 0, 1, vcc
	v_cmp_gt_u32_e32 vcc, s60, v32
	v_mov_b64_e32 v[32:33], 0
	v_mov_b64_e32 v[34:35], v[32:33]
	;; [unrolled: 1-line block ×12, first 2 shown]
	s_and_saveexec_b64 s[26:27], vcc
	s_cbranch_execz .LBB1922_135
; %bb.110:
	v_mov_b32_e32 v32, s74
	v_cmp_eq_u32_e32 vcc, v67, v64
	v_add_u32_e32 v6, 11, v77
	v_mov_b64_e32 v[34:35], 0
	v_cndmask_b32_e32 v32, v32, v7, vcc
	v_cmp_ne_u32_e32 vcc, v67, v64
	s_mov_b64 s[34:35], 0
	v_mov_b64_e32 v[36:37], v[34:35]
	v_cndmask_b32_e64 v33, 0, 1, vcc
	v_cmp_gt_u32_e32 vcc, s60, v6
	v_mov_b64_e32 v[38:39], v[34:35]
	v_mov_b64_e32 v[40:41], v[34:35]
	;; [unrolled: 1-line block ×9, first 2 shown]
                                        ; implicit-def: $sgpr36_sgpr37
                                        ; implicit-def: $vgpr6
	s_and_saveexec_b64 s[28:29], vcc
	s_cbranch_execz .LBB1922_134
; %bb.111:
	ds_read2_b32 v[6:7], v76 offset0:11 offset1:12
	v_mov_b32_e32 v34, s74
	v_cmp_eq_u32_e32 vcc, v64, v65
	v_add_u32_e32 v36, 12, v77
	s_mov_b64 s[36:37], 0
	s_waitcnt lgkmcnt(0)
	v_cndmask_b32_e32 v34, v34, v6, vcc
	v_cmp_ne_u32_e32 vcc, v64, v65
                                        ; implicit-def: $sgpr38_sgpr39
                                        ; implicit-def: $vgpr6
	s_nop 1
	v_cndmask_b32_e64 v35, 0, 1, vcc
	v_cmp_gt_u32_e32 vcc, s60, v36
	v_mov_b64_e32 v[36:37], 0
	v_mov_b64_e32 v[38:39], v[36:37]
	v_mov_b64_e32 v[40:41], v[36:37]
	v_mov_b64_e32 v[42:43], v[36:37]
	v_mov_b64_e32 v[44:45], v[36:37]
	v_mov_b64_e32 v[46:47], v[36:37]
	v_mov_b64_e32 v[48:49], v[36:37]
	v_mov_b64_e32 v[50:51], v[36:37]
	v_mov_b64_e32 v[52:53], v[36:37]
	v_mov_b64_e32 v[54:55], v[36:37]
	s_and_saveexec_b64 s[30:31], vcc
	s_cbranch_execz .LBB1922_133
; %bb.112:
	v_mov_b32_e32 v36, s74
	v_cmp_eq_u32_e32 vcc, v65, v62
	v_add_u32_e32 v6, 13, v77
	v_mov_b64_e32 v[38:39], 0
	v_cndmask_b32_e32 v36, v36, v7, vcc
	v_cmp_ne_u32_e32 vcc, v65, v62
	s_mov_b64 s[38:39], 0
	v_mov_b64_e32 v[40:41], v[38:39]
	v_cndmask_b32_e64 v37, 0, 1, vcc
	v_cmp_gt_u32_e32 vcc, s60, v6
	v_mov_b64_e32 v[42:43], v[38:39]
	v_mov_b64_e32 v[44:45], v[38:39]
	;; [unrolled: 1-line block ×7, first 2 shown]
                                        ; implicit-def: $sgpr40_sgpr41
                                        ; implicit-def: $vgpr6
	s_and_saveexec_b64 s[34:35], vcc
	s_cbranch_execz .LBB1922_132
; %bb.113:
	ds_read2_b32 v[6:7], v76 offset0:13 offset1:14
	v_mov_b32_e32 v38, s74
	v_cmp_eq_u32_e32 vcc, v62, v63
	v_add_u32_e32 v40, 14, v77
	s_mov_b64 s[40:41], 0
	s_waitcnt lgkmcnt(0)
	v_cndmask_b32_e32 v38, v38, v6, vcc
	v_cmp_ne_u32_e32 vcc, v62, v63
                                        ; implicit-def: $sgpr42_sgpr43
                                        ; implicit-def: $vgpr6
	s_nop 1
	v_cndmask_b32_e64 v39, 0, 1, vcc
	v_cmp_gt_u32_e32 vcc, s60, v40
	v_mov_b64_e32 v[40:41], 0
	v_mov_b64_e32 v[42:43], v[40:41]
	;; [unrolled: 1-line block ×8, first 2 shown]
	s_and_saveexec_b64 s[36:37], vcc
	s_cbranch_execz .LBB1922_131
; %bb.114:
	v_mov_b32_e32 v40, s74
	v_cmp_eq_u32_e32 vcc, v63, v60
	v_add_u32_e32 v6, 15, v77
	v_mov_b64_e32 v[42:43], 0
	v_cndmask_b32_e32 v40, v40, v7, vcc
	v_cmp_ne_u32_e32 vcc, v63, v60
	s_mov_b64 s[42:43], 0
	v_mov_b64_e32 v[44:45], v[42:43]
	v_cndmask_b32_e64 v41, 0, 1, vcc
	v_cmp_gt_u32_e32 vcc, s60, v6
	v_mov_b64_e32 v[46:47], v[42:43]
	v_mov_b64_e32 v[48:49], v[42:43]
	;; [unrolled: 1-line block ×5, first 2 shown]
                                        ; implicit-def: $sgpr44_sgpr45
                                        ; implicit-def: $vgpr6
	s_and_saveexec_b64 s[38:39], vcc
	s_cbranch_execz .LBB1922_130
; %bb.115:
	ds_read2_b32 v[6:7], v76 offset0:15 offset1:16
	v_mov_b32_e32 v42, s74
	v_cmp_eq_u32_e32 vcc, v60, v61
	v_add_u32_e32 v44, 16, v77
	s_mov_b64 s[44:45], 0
	s_waitcnt lgkmcnt(0)
	v_cndmask_b32_e32 v42, v42, v6, vcc
	v_cmp_ne_u32_e32 vcc, v60, v61
                                        ; implicit-def: $sgpr46_sgpr47
                                        ; implicit-def: $vgpr6
	s_nop 1
	v_cndmask_b32_e64 v43, 0, 1, vcc
	v_cmp_gt_u32_e32 vcc, s60, v44
	v_mov_b64_e32 v[44:45], 0
	v_mov_b64_e32 v[46:47], v[44:45]
	;; [unrolled: 1-line block ×6, first 2 shown]
	s_and_saveexec_b64 s[40:41], vcc
	s_cbranch_execz .LBB1922_129
; %bb.116:
	v_mov_b32_e32 v44, s74
	v_cmp_eq_u32_e32 vcc, v61, v58
	v_add_u32_e32 v6, 17, v77
	v_mov_b64_e32 v[46:47], 0
	v_cndmask_b32_e32 v44, v44, v7, vcc
	v_cmp_ne_u32_e32 vcc, v61, v58
	s_mov_b64 s[46:47], 0
	v_mov_b64_e32 v[48:49], v[46:47]
	v_cndmask_b32_e64 v45, 0, 1, vcc
	v_cmp_gt_u32_e32 vcc, s60, v6
	v_mov_b64_e32 v[50:51], v[46:47]
	v_mov_b64_e32 v[52:53], v[46:47]
	v_mov_b64_e32 v[54:55], v[46:47]
                                        ; implicit-def: $sgpr48_sgpr49
                                        ; implicit-def: $vgpr6
	s_and_saveexec_b64 s[42:43], vcc
	s_cbranch_execz .LBB1922_128
; %bb.117:
	ds_read2_b32 v[6:7], v76 offset0:17 offset1:18
	v_mov_b32_e32 v46, s74
	v_cmp_eq_u32_e32 vcc, v58, v59
	v_add_u32_e32 v48, 18, v77
	s_mov_b64 s[48:49], 0
	s_waitcnt lgkmcnt(0)
	v_cndmask_b32_e32 v46, v46, v6, vcc
	v_cmp_ne_u32_e32 vcc, v58, v59
                                        ; implicit-def: $sgpr50_sgpr51
                                        ; implicit-def: $vgpr6
	s_nop 1
	v_cndmask_b32_e64 v47, 0, 1, vcc
	v_cmp_gt_u32_e32 vcc, s60, v48
	v_mov_b64_e32 v[48:49], 0
	v_mov_b64_e32 v[50:51], v[48:49]
	;; [unrolled: 1-line block ×4, first 2 shown]
	s_and_saveexec_b64 s[44:45], vcc
	s_cbranch_execz .LBB1922_127
; %bb.118:
	v_mov_b32_e32 v48, s74
	v_cmp_eq_u32_e32 vcc, v59, v56
	v_add_u32_e32 v6, 19, v77
	v_mov_b64_e32 v[50:51], 0
	v_cndmask_b32_e32 v48, v48, v7, vcc
	v_cmp_ne_u32_e32 vcc, v59, v56
	s_mov_b64 s[50:51], 0
	v_mov_b64_e32 v[52:53], v[50:51]
	v_cndmask_b32_e64 v49, 0, 1, vcc
	v_cmp_gt_u32_e32 vcc, s60, v6
	v_mov_b64_e32 v[54:55], v[50:51]
                                        ; implicit-def: $sgpr56_sgpr57
                                        ; implicit-def: $vgpr6
	s_and_saveexec_b64 s[46:47], vcc
	s_cbranch_execz .LBB1922_126
; %bb.119:
	ds_read2_b32 v[6:7], v76 offset0:19 offset1:20
	v_mov_b32_e32 v50, s74
	v_cmp_eq_u32_e32 vcc, v56, v57
	v_add_u32_e32 v52, 20, v77
	s_mov_b64 s[56:57], 0
	s_waitcnt lgkmcnt(0)
	v_cndmask_b32_e32 v50, v50, v6, vcc
	v_cmp_ne_u32_e32 vcc, v56, v57
                                        ; implicit-def: $sgpr58_sgpr59
                                        ; implicit-def: $vgpr6
	s_nop 1
	v_cndmask_b32_e64 v51, 0, 1, vcc
	v_cmp_gt_u32_e32 vcc, s60, v52
	v_mov_b64_e32 v[52:53], 0
	v_mov_b64_e32 v[54:55], v[52:53]
	s_and_saveexec_b64 s[48:49], vcc
	s_cbranch_execz .LBB1922_125
; %bb.120:
	v_mov_b32_e32 v52, s74
	v_cmp_eq_u32_e32 vcc, v57, v8
	v_add_u32_e32 v6, 21, v77
	v_mov_b64_e32 v[54:55], 0
	v_cndmask_b32_e32 v52, v52, v7, vcc
	v_cmp_ne_u32_e32 vcc, v57, v8
                                        ; implicit-def: $sgpr58_sgpr59
	s_nop 1
	v_cndmask_b32_e64 v53, 0, 1, vcc
	v_cmp_gt_u32_e32 vcc, s60, v6
                                        ; implicit-def: $vgpr6
	s_and_saveexec_b64 s[50:51], vcc
	s_cbranch_execz .LBB1922_124
; %bb.121:
	ds_read2_b32 v[6:7], v76 offset0:21 offset1:22
	v_mov_b32_e32 v54, s74
	v_cmp_eq_u32_e32 vcc, v8, v9
	v_add_u32_e32 v56, 22, v77
                                        ; implicit-def: $sgpr58_sgpr59
	s_waitcnt lgkmcnt(0)
	v_cndmask_b32_e32 v54, v54, v6, vcc
	v_cmp_ne_u32_e32 vcc, v8, v9
                                        ; implicit-def: $vgpr6
	s_nop 1
	v_cndmask_b32_e64 v55, 0, 1, vcc
	v_cmp_gt_u32_e32 vcc, s60, v56
	s_and_saveexec_b64 s[60:61], vcc
	s_xor_b64 s[60:61], exec, s[60:61]
; %bb.122:
	v_mov_b32_e32 v6, s74
	v_cmp_ne_u32_e32 vcc, v9, v1
	s_mov_b64 s[56:57], exec
	s_and_b64 s[58:59], vcc, exec
	v_cndmask_b32_e32 v6, v7, v6, vcc
; %bb.123:
	s_or_b64 exec, exec, s[60:61]
	s_and_b64 s[58:59], s[58:59], exec
	s_and_b64 s[56:57], s[56:57], exec
.LBB1922_124:
	s_or_b64 exec, exec, s[50:51]
	s_and_b64 s[58:59], s[58:59], exec
	s_and_b64 s[50:51], s[56:57], exec
.LBB1922_125:
	s_or_b64 exec, exec, s[48:49]
	s_and_b64 s[56:57], s[58:59], exec
	s_and_b64 s[48:49], s[50:51], exec
.LBB1922_126:
	s_or_b64 exec, exec, s[46:47]
	s_and_b64 s[50:51], s[56:57], exec
	s_and_b64 s[46:47], s[48:49], exec
.LBB1922_127:
	s_or_b64 exec, exec, s[44:45]
	s_and_b64 s[48:49], s[50:51], exec
	s_and_b64 s[44:45], s[46:47], exec
.LBB1922_128:
	s_or_b64 exec, exec, s[42:43]
	s_and_b64 s[46:47], s[48:49], exec
	s_and_b64 s[42:43], s[44:45], exec
.LBB1922_129:
	s_or_b64 exec, exec, s[40:41]
	s_and_b64 s[44:45], s[46:47], exec
	s_and_b64 s[40:41], s[42:43], exec
.LBB1922_130:
	s_or_b64 exec, exec, s[38:39]
	s_and_b64 s[42:43], s[44:45], exec
	s_and_b64 s[38:39], s[40:41], exec
.LBB1922_131:
	s_or_b64 exec, exec, s[36:37]
	s_and_b64 s[40:41], s[42:43], exec
	s_and_b64 s[36:37], s[38:39], exec
.LBB1922_132:
	s_or_b64 exec, exec, s[34:35]
	s_and_b64 s[38:39], s[40:41], exec
	s_and_b64 s[34:35], s[36:37], exec
.LBB1922_133:
	s_or_b64 exec, exec, s[30:31]
	s_and_b64 s[36:37], s[38:39], exec
	s_and_b64 s[30:31], s[34:35], exec
.LBB1922_134:
	s_or_b64 exec, exec, s[28:29]
	s_and_b64 s[34:35], s[36:37], exec
	s_and_b64 s[28:29], s[30:31], exec
.LBB1922_135:
	s_or_b64 exec, exec, s[26:27]
	s_and_b64 s[30:31], s[34:35], exec
	s_and_b64 s[26:27], s[28:29], exec
.LBB1922_136:
	s_or_b64 exec, exec, s[24:25]
	s_and_b64 s[28:29], s[30:31], exec
	s_and_b64 s[24:25], s[26:27], exec
.LBB1922_137:
	s_or_b64 exec, exec, s[22:23]
	s_and_b64 s[26:27], s[28:29], exec
	s_and_b64 s[22:23], s[24:25], exec
.LBB1922_138:
	s_or_b64 exec, exec, s[20:21]
	s_and_b64 s[24:25], s[26:27], exec
	s_and_b64 s[20:21], s[22:23], exec
.LBB1922_139:
	s_or_b64 exec, exec, s[18:19]
	s_and_b64 s[22:23], s[24:25], exec
	s_and_b64 s[18:19], s[20:21], exec
.LBB1922_140:
	s_or_b64 exec, exec, s[16:17]
	s_and_b64 s[20:21], s[22:23], exec
	s_and_b64 s[16:17], s[18:19], exec
.LBB1922_141:
	s_or_b64 exec, exec, s[14:15]
	s_and_b64 s[18:19], s[20:21], exec
	s_and_b64 s[14:15], s[16:17], exec
.LBB1922_142:
	s_or_b64 exec, exec, s[12:13]
	s_and_b64 s[16:17], s[18:19], exec
	s_and_b64 s[12:13], s[14:15], exec
.LBB1922_143:
	s_or_b64 exec, exec, s[10:11]
	s_and_b64 s[14:15], s[16:17], exec
	s_and_b64 s[10:11], s[12:13], exec
.LBB1922_144:
	s_or_b64 exec, exec, s[8:9]
	s_and_b64 s[8:9], s[14:15], exec
	s_and_b64 s[10:11], s[10:11], exec
.LBB1922_145:
	s_or_b64 exec, exec, s[6:7]
	s_mov_b64 s[6:7], 0
	s_and_b64 vcc, exec, s[0:1]
	v_lshlrev_b32_e32 v56, 2, v0
	s_cbranch_vccnz .LBB1922_147
	s_branch .LBB1922_152
.LBB1922_146:
	s_mov_b64 s[10:11], 0
                                        ; implicit-def: $sgpr8_sgpr9
                                        ; implicit-def: $vgpr12_vgpr13
                                        ; implicit-def: $vgpr14_vgpr15
                                        ; implicit-def: $vgpr16_vgpr17
                                        ; implicit-def: $vgpr18_vgpr19
                                        ; implicit-def: $vgpr20_vgpr21
                                        ; implicit-def: $vgpr22_vgpr23
                                        ; implicit-def: $vgpr24_vgpr25
                                        ; implicit-def: $vgpr26_vgpr27
                                        ; implicit-def: $vgpr28_vgpr29
                                        ; implicit-def: $vgpr30_vgpr31
                                        ; implicit-def: $vgpr32_vgpr33
                                        ; implicit-def: $vgpr34_vgpr35
                                        ; implicit-def: $vgpr36_vgpr37
                                        ; implicit-def: $vgpr38_vgpr39
                                        ; implicit-def: $vgpr40_vgpr41
                                        ; implicit-def: $vgpr42_vgpr43
                                        ; implicit-def: $vgpr44_vgpr45
                                        ; implicit-def: $vgpr46_vgpr47
                                        ; implicit-def: $vgpr48_vgpr49
                                        ; implicit-def: $vgpr50_vgpr51
                                        ; implicit-def: $vgpr52_vgpr53
                                        ; implicit-def: $vgpr54_vgpr55
                                        ; implicit-def: $vgpr6
                                        ; implicit-def: $sgpr6_sgpr7
	s_and_b64 vcc, exec, s[0:1]
	v_lshlrev_b32_e32 v56, 2, v0
	s_cbranch_vccz .LBB1922_152
.LBB1922_147:
	v_mov_b32_e32 v57, 0
	v_lshl_add_u64 v[6:7], v[4:5], 0, v[56:57]
	v_add_co_u32_e32 v8, vcc, 0x1000, v6
	s_movk_i32 s6, 0x58
	s_nop 0
	v_addc_co_u32_e32 v9, vcc, 0, v7, vcc
	flat_load_dword v1, v[6:7]
	flat_load_dword v14, v[6:7] offset:1024
	flat_load_dword v15, v[6:7] offset:2048
	;; [unrolled: 1-line block ×3, first 2 shown]
	flat_load_dword v17, v[8:9]
	flat_load_dword v18, v[8:9] offset:1024
	flat_load_dword v19, v[8:9] offset:2048
	;; [unrolled: 1-line block ×3, first 2 shown]
	v_add_co_u32_e32 v8, vcc, 0x2000, v6
	s_movk_i32 s11, 0x1000
	s_nop 0
	v_addc_co_u32_e32 v9, vcc, 0, v7, vcc
	v_add_co_u32_e32 v12, vcc, 0x3000, v6
	s_mov_b32 s0, 0
	s_nop 0
	v_addc_co_u32_e32 v13, vcc, 0, v7, vcc
	flat_load_dword v21, v[8:9]
	flat_load_dword v22, v[8:9] offset:1024
	flat_load_dword v23, v[8:9] offset:2048
	flat_load_dword v24, v[8:9] offset:3072
	flat_load_dword v25, v[12:13]
	flat_load_dword v26, v[12:13] offset:1024
	flat_load_dword v27, v[12:13] offset:2048
	;; [unrolled: 1-line block ×3, first 2 shown]
	v_add_co_u32_e32 v8, vcc, 0x4000, v6
	s_movk_i32 s10, 0x2000
	s_nop 0
	v_addc_co_u32_e32 v9, vcc, 0, v7, vcc
	v_add_co_u32_e32 v6, vcc, 0x5000, v6
	s_movk_i32 s9, 0x3000
	s_nop 0
	v_addc_co_u32_e32 v7, vcc, 0, v7, vcc
	flat_load_dword v12, v[8:9]
	flat_load_dword v13, v[8:9] offset:1024
	flat_load_dword v29, v[8:9] offset:2048
	;; [unrolled: 1-line block ×3, first 2 shown]
	flat_load_dword v31, v[6:7]
	flat_load_dword v32, v[6:7] offset:1024
	flat_load_dword v33, v[6:7] offset:2048
	v_add_co_u32_e32 v4, vcc, 0x5000, v4
	s_movk_i32 s8, 0x4000
	s_nop 0
	v_addc_co_u32_e32 v5, vcc, 0, v5, vcc
	s_movk_i32 s1, 0x5000
	s_waitcnt vmcnt(0) lgkmcnt(0)
	ds_write2st64_b32 v56, v1, v14 offset1:4
	ds_write2st64_b32 v56, v15, v16 offset0:8 offset1:12
	ds_write2st64_b32 v56, v17, v18 offset0:16 offset1:20
	;; [unrolled: 1-line block ×10, first 2 shown]
	ds_write_b32 v56, v33 offset:22528
	s_waitcnt lgkmcnt(0)
	s_barrier
	flat_load_dword v1, v[4:5] offset:3072
	v_mad_u32_u24 v14, v0, s6, v56
	s_movk_i32 s6, 0xffa8
	v_mad_i32_i24 v13, v0, s6, v14
	s_movk_i32 s6, 0xff
	v_cmp_ne_u32_e32 vcc, s6, v0
	ds_read_b32 v12, v14
	ds_read2_b32 v[16:17], v14 offset0:1 offset1:2
	ds_read2_b32 v[20:21], v14 offset0:3 offset1:4
	;; [unrolled: 1-line block ×11, first 2 shown]
	s_waitcnt lgkmcnt(0)
	ds_write_b32 v13, v12 offset:24576
	s_waitcnt lgkmcnt(0)
	s_barrier
	s_and_saveexec_b64 s[6:7], vcc
	s_cbranch_execz .LBB1922_149
; %bb.148:
	s_waitcnt vmcnt(0)
	ds_read_b32 v1, v56 offset:24580
.LBB1922_149:
	s_or_b64 exec, exec, s[6:7]
	v_lshl_add_u64 v[2:3], v[2:3], 0, v[56:57]
	v_add_co_u32_e32 v18, vcc, s11, v2
	s_waitcnt lgkmcnt(0)
	s_nop 0
	v_addc_co_u32_e32 v19, vcc, 0, v3, vcc
	s_barrier
	flat_load_dword v13, v[2:3]
	flat_load_dword v15, v[2:3] offset:1024
	flat_load_dword v26, v[2:3] offset:2048
	;; [unrolled: 1-line block ×3, first 2 shown]
	flat_load_dword v30, v[18:19]
	flat_load_dword v31, v[18:19] offset:1024
	flat_load_dword v34, v[18:19] offset:2048
	;; [unrolled: 1-line block ×3, first 2 shown]
	v_add_co_u32_e32 v18, vcc, s10, v2
	s_nop 1
	v_addc_co_u32_e32 v19, vcc, 0, v3, vcc
	v_add_co_u32_e32 v22, vcc, s9, v2
	s_nop 1
	v_addc_co_u32_e32 v23, vcc, 0, v3, vcc
	flat_load_dword v38, v[18:19]
	flat_load_dword v39, v[18:19] offset:1024
	flat_load_dword v42, v[18:19] offset:2048
	;; [unrolled: 1-line block ×3, first 2 shown]
	flat_load_dword v46, v[22:23]
	flat_load_dword v47, v[22:23] offset:1024
	flat_load_dword v48, v[22:23] offset:2048
	;; [unrolled: 1-line block ×3, first 2 shown]
	v_add_co_u32_e32 v18, vcc, s8, v2
	s_nop 1
	v_addc_co_u32_e32 v19, vcc, 0, v3, vcc
	v_add_co_u32_e32 v2, vcc, s1, v2
	s_mov_b32 s1, 1
	s_nop 0
	v_addc_co_u32_e32 v3, vcc, 0, v3, vcc
	flat_load_dword v22, v[18:19]
	flat_load_dword v23, v[18:19] offset:1024
	flat_load_dword v50, v[18:19] offset:2048
	;; [unrolled: 1-line block ×3, first 2 shown]
	flat_load_dword v52, v[2:3]
	flat_load_dword v53, v[2:3] offset:1024
	flat_load_dword v54, v[2:3] offset:2048
	v_cmp_eq_u32_e32 vcc, v12, v16
	s_waitcnt vmcnt(0) lgkmcnt(0)
	ds_write2st64_b32 v56, v13, v15 offset1:4
	ds_write2st64_b32 v56, v26, v27 offset0:8 offset1:12
	ds_write2st64_b32 v56, v30, v31 offset0:16 offset1:20
	;; [unrolled: 1-line block ×10, first 2 shown]
	ds_write_b32 v56, v54 offset:22528
	s_waitcnt lgkmcnt(0)
	s_barrier
	ds_read2_b32 v[18:19], v14 offset0:1 offset1:2
	ds_read2_b32 v[22:23], v14 offset0:3 offset1:4
	;; [unrolled: 1-line block ×11, first 2 shown]
	v_mov_b64_e32 v[12:13], s[0:1]
	v_mov_b32_e32 v15, s74
	s_and_saveexec_b64 s[0:1], vcc
	s_cbranch_execz .LBB1922_151
; %bb.150:
	ds_read_b32 v15, v14
	v_mov_b64_e32 v[12:13], 0
.LBB1922_151:
	s_or_b64 exec, exec, s[0:1]
	v_mov_b32_e32 v57, s74
	v_cmp_eq_u32_e32 vcc, v16, v17
	s_waitcnt lgkmcnt(0)
	v_or_b32_e32 v12, v12, v15
	v_cmp_ne_u32_e64 s[8:9], v5, v1
	v_cndmask_b32_e32 v14, v57, v18, vcc
	v_cmp_ne_u32_e32 vcc, v16, v17
	s_mov_b64 s[10:11], -1
                                        ; implicit-def: $sgpr6_sgpr7
	s_nop 0
	v_cndmask_b32_e64 v15, 0, 1, vcc
	v_cmp_eq_u32_e32 vcc, v17, v20
	s_nop 1
	v_cndmask_b32_e32 v16, v57, v19, vcc
	v_cmp_ne_u32_e32 vcc, v17, v20
	s_nop 1
	v_cndmask_b32_e64 v17, 0, 1, vcc
	v_cmp_eq_u32_e32 vcc, v20, v21
	s_nop 1
	v_cndmask_b32_e32 v18, v57, v22, vcc
	v_cmp_ne_u32_e32 vcc, v20, v21
	;; [unrolled: 6-line block ×18, first 2 shown]
	v_cndmask_b32_e64 v6, v3, v57, s[8:9]
	s_nop 0
	v_cndmask_b32_e64 v51, 0, 1, vcc
	v_cmp_eq_u32_e32 vcc, v7, v4
	s_nop 1
	v_cndmask_b32_e32 v52, v57, v53, vcc
	v_cmp_ne_u32_e32 vcc, v7, v4
	s_nop 1
	v_cndmask_b32_e64 v53, 0, 1, vcc
	v_cmp_eq_u32_e32 vcc, v4, v5
	s_nop 1
	v_cndmask_b32_e32 v54, v57, v2, vcc
	v_cmp_ne_u32_e32 vcc, v4, v5
	s_nop 1
	v_cndmask_b32_e64 v55, 0, 1, vcc
.LBB1922_152:
	v_mov_b64_e32 v[58:59], s[6:7]
	s_and_saveexec_b64 s[0:1], s[10:11]
; %bb.153:
	v_cndmask_b32_e64 v7, 0, 1, s[8:9]
	v_mov_b64_e32 v[58:59], v[6:7]
; %bb.154:
	s_or_b64 exec, exec, s[0:1]
	s_mov_b32 s0, 0
	s_cmp_lg_u32 s67, 0
	v_or_b32_e32 v57, v59, v55
	v_lshrrev_b32_e32 v1, 5, v0
	v_cmp_gt_u32_e32 vcc, 64, v0
	s_barrier
	s_cbranch_scc0 .LBB1922_193
; %bb.155:
	s_mov_b32 s1, 1
	v_cmp_gt_u64_e64 s[6:7], s[0:1], v[14:15]
	v_cmp_gt_u64_e64 s[8:9], s[0:1], v[16:17]
	v_cmp_gt_u64_e64 s[10:11], s[0:1], v[18:19]
	v_cndmask_b32_e64 v2, 0, v12, s[6:7]
	v_add_u32_e32 v2, v2, v14
	v_cndmask_b32_e64 v2, 0, v2, s[8:9]
	v_add_u32_e32 v2, v2, v16
	v_cndmask_b32_e64 v2, 0, v2, s[10:11]
	v_add_u32_e32 v2, v2, v18
	v_cmp_gt_u64_e64 s[12:13], s[0:1], v[20:21]
	v_cmp_gt_u64_e64 s[14:15], s[0:1], v[22:23]
	v_cmp_gt_u64_e64 s[16:17], s[0:1], v[24:25]
	v_cndmask_b32_e64 v2, 0, v2, s[12:13]
	v_add_u32_e32 v2, v2, v20
	v_cndmask_b32_e64 v2, 0, v2, s[14:15]
	v_add_u32_e32 v2, v2, v22
	v_cndmask_b32_e64 v2, 0, v2, s[16:17]
	v_add_u32_e32 v2, v2, v24
	;; [unrolled: 9-line block ×7, first 2 shown]
	v_cmp_gt_u64_e64 s[0:1], s[0:1], v[58:59]
	s_nop 1
	v_cndmask_b32_e64 v2, 0, v2, s[0:1]
	v_add_u32_e32 v64, v2, v58
	v_or3_b32 v2, v57, v53, v51
	v_or3_b32 v2, v2, v49, v47
	;; [unrolled: 1-line block ×10, first 2 shown]
	v_and_b32_e32 v2, 1, v2
	v_cmp_eq_u32_e64 s[0:1], 1, v2
	v_add_lshl_u32 v2, v1, v0, 3
	s_nop 0
	v_cndmask_b32_e64 v65, v13, 1, s[0:1]
	ds_write_b32 v2, v64
	ds_write_b8 v2, v65 offset:4
	s_waitcnt lgkmcnt(0)
	s_barrier
	s_and_saveexec_b64 s[50:51], vcc
	s_cbranch_execz .LBB1922_167
; %bb.156:
	v_lshrrev_b32_e32 v2, 3, v0
	v_add_lshl_u32 v4, v2, v56, 3
	ds_read2_b32 v[6:7], v4 offset0:2 offset1:4
	ds_read_b64 v[2:3], v4
	ds_read_u8 v8, v4 offset:12
	ds_read_u8 v9, v4 offset:20
	ds_read_b32 v60, v4 offset:24
	ds_read_u8 v61, v4 offset:28
	v_mov_b32_e32 v62, 0
	s_waitcnt lgkmcnt(3)
	v_cmp_eq_u16_sdwa s[0:1], v8, v62 src0_sel:BYTE_0 src1_sel:DWORD
	v_and_b32_e32 v5, 1, v3
	s_nop 0
	v_cndmask_b32_e64 v63, 0, v2, s[0:1]
	v_add_u32_e32 v6, v63, v6
	s_waitcnt lgkmcnt(2)
	v_cmp_eq_u16_sdwa s[0:1], v9, v62 src0_sel:BYTE_0 src1_sel:DWORD
	s_nop 1
	v_cndmask_b32_e64 v6, 0, v6, s[0:1]
	v_add_u32_e32 v6, v6, v7
	s_waitcnt lgkmcnt(0)
	v_cmp_eq_u16_e64 s[0:1], 0, v61
	s_nop 1
	v_cndmask_b32_e64 v6, 0, v6, s[0:1]
	v_add_u32_e32 v7, v6, v60
	v_or_b32_e32 v6, v61, v9
	v_or_b32_e32 v6, v6, v8
	v_and_b32_e32 v6, 1, v6
	v_cmp_eq_u32_e64 s[0:1], 1, v6
	v_mbcnt_lo_u32_b32 v8, -1, 0
	v_and_b32_e32 v6, 0xffffff00, v3
	v_cndmask_b32_e64 v9, v5, 1, s[0:1]
	v_mbcnt_hi_u32_b32 v8, -1, v8
	v_and_b32_e32 v61, 15, v8
	v_or_b32_sdwa v60, v6, v9 dst_sel:DWORD dst_unused:UNUSED_PAD src0_sel:DWORD src1_sel:WORD_0
	v_mov_b32_dpp v62, v7 row_shr:1 row_mask:0xf bank_mask:0xf
	v_cmp_ne_u32_e64 s[0:1], 0, v61
	v_mov_b32_dpp v63, v60 row_shr:1 row_mask:0xf bank_mask:0xf
	s_and_saveexec_b64 s[56:57], s[0:1]
; %bb.157:
	v_and_b32_e32 v60, 1, v9
	v_and_b32_e32 v63, 1, v63
	v_cmp_eq_u32_e64 s[0:1], 1, v60
	s_nop 1
	v_cndmask_b32_e64 v63, v63, 1, s[0:1]
	v_cmp_eq_u16_e64 s[0:1], 0, v9
	v_or_b32_sdwa v60, v6, v63 dst_sel:DWORD dst_unused:UNUSED_PAD src0_sel:DWORD src1_sel:WORD_0
	s_nop 0
	v_cndmask_b32_e64 v9, 0, v62, s[0:1]
	v_add_u32_e32 v7, v9, v7
	v_mov_b32_e32 v9, v63
; %bb.158:
	s_or_b64 exec, exec, s[56:57]
	v_mov_b32_dpp v62, v7 row_shr:2 row_mask:0xf bank_mask:0xf
	v_mov_b32_dpp v63, v60 row_shr:2 row_mask:0xf bank_mask:0xf
	v_cmp_lt_u32_e64 s[0:1], 1, v61
	s_and_saveexec_b64 s[56:57], s[0:1]
; %bb.159:
	v_and_b32_e32 v60, 1, v9
	v_and_b32_e32 v63, 1, v63
	v_cmp_eq_u32_e64 s[0:1], 1, v60
	s_nop 1
	v_cndmask_b32_e64 v63, v63, 1, s[0:1]
	v_cmp_eq_u16_e64 s[0:1], 0, v9
	v_or_b32_sdwa v60, v6, v63 dst_sel:DWORD dst_unused:UNUSED_PAD src0_sel:DWORD src1_sel:WORD_0
	s_nop 0
	v_cndmask_b32_e64 v9, 0, v62, s[0:1]
	v_add_u32_e32 v7, v9, v7
	v_mov_b32_e32 v9, v63
; %bb.160:
	s_or_b64 exec, exec, s[56:57]
	v_mov_b32_dpp v62, v7 row_shr:4 row_mask:0xf bank_mask:0xf
	v_mov_b32_dpp v63, v60 row_shr:4 row_mask:0xf bank_mask:0xf
	v_cmp_lt_u32_e64 s[0:1], 3, v61
	;; [unrolled: 18-line block ×3, first 2 shown]
	s_and_saveexec_b64 s[56:57], s[0:1]
; %bb.163:
	v_and_b32_e32 v60, 1, v9
	v_and_b32_e32 v61, 1, v63
	v_cmp_eq_u32_e64 s[0:1], 1, v60
	s_nop 1
	v_cndmask_b32_e64 v61, v61, 1, s[0:1]
	v_cmp_eq_u16_e64 s[0:1], 0, v9
	v_or_b32_sdwa v60, v6, v61 dst_sel:DWORD dst_unused:UNUSED_PAD src0_sel:DWORD src1_sel:WORD_0
	s_nop 0
	v_cndmask_b32_e64 v9, 0, v62, s[0:1]
	v_add_u32_e32 v7, v9, v7
	v_mov_b32_e32 v9, v61
; %bb.164:
	s_or_b64 exec, exec, s[56:57]
	v_and_b32_e32 v63, 16, v8
	v_mov_b32_dpp v61, v7 row_bcast:15 row_mask:0xf bank_mask:0xf
	v_mov_b32_dpp v62, v60 row_bcast:15 row_mask:0xf bank_mask:0xf
	v_cmp_ne_u32_e64 s[0:1], 0, v63
	s_and_saveexec_b64 s[56:57], s[0:1]
; %bb.165:
	v_and_b32_e32 v60, 1, v9
	v_and_b32_e32 v62, 1, v62
	v_cmp_eq_u32_e64 s[0:1], 1, v60
	s_nop 1
	v_cndmask_b32_e64 v62, v62, 1, s[0:1]
	v_cmp_eq_u16_e64 s[0:1], 0, v9
	v_or_b32_sdwa v60, v6, v62 dst_sel:DWORD dst_unused:UNUSED_PAD src0_sel:DWORD src1_sel:WORD_0
	s_nop 0
	v_cndmask_b32_e64 v9, 0, v61, s[0:1]
	v_add_u32_e32 v7, v9, v7
	v_mov_b32_e32 v9, v62
; %bb.166:
	s_or_b64 exec, exec, s[56:57]
	v_mov_b32_dpp v60, v60 row_bcast:31 row_mask:0xf bank_mask:0xf
	v_and_b32_e32 v62, 1, v9
	v_and_b32_e32 v60, 1, v60
	v_cmp_eq_u32_e64 s[0:1], 1, v62
	v_mov_b32_e32 v62, 0
	v_cmp_eq_u16_sdwa s[56:57], v9, v62 src0_sel:BYTE_0 src1_sel:DWORD
	v_cndmask_b32_e64 v60, v60, 1, s[0:1]
	v_cmp_lt_u32_e64 s[0:1], 31, v8
	v_mov_b32_dpp v61, v7 row_bcast:31 row_mask:0xf bank_mask:0xf
	s_movk_i32 s58, 0xff
	v_cndmask_b32_e64 v9, v9, v60, s[0:1]
	s_and_b64 s[0:1], s[0:1], s[56:57]
	v_cndmask_b32_e64 v60, 0, v61, s[0:1]
	v_add_u32_e32 v7, v60, v7
	v_add_u32_e32 v60, -1, v8
	v_and_b32_e32 v61, 64, v8
	v_cmp_lt_i32_e64 s[0:1], v60, v61
	v_and_or_b32 v6, v9, s58, v6
	s_nop 0
	v_cndmask_b32_e64 v8, v60, v8, s[0:1]
	v_lshlrev_b32_e32 v8, 2, v8
	ds_bpermute_b32 v7, v8, v7
	ds_bpermute_b32 v6, v8, v6
	v_cmp_eq_u16_sdwa s[0:1], v3, v62 src0_sel:BYTE_0 src1_sel:DWORD
	; wave barrier
	s_waitcnt lgkmcnt(1)
	s_nop 0
	v_cndmask_b32_e64 v3, 0, v7, s[0:1]
	v_add_u32_e32 v2, v3, v2
	s_waitcnt lgkmcnt(0)
	v_and_b32_e32 v3, 1, v6
	v_cmp_eq_u32_e64 s[0:1], 1, v5
	v_cndmask_b32_e64 v5, v2, v64, s[52:53]
	s_nop 0
	v_cndmask_b32_e64 v3, v3, 1, s[0:1]
	v_cndmask_b32_e64 v6, v3, v65, s[52:53]
	ds_write_b32 v4, v5
	ds_write_b8 v4, v6 offset:4
	; wave barrier
	ds_read_u8 v7, v4 offset:12
	ds_read2_b32 v[2:3], v4 offset0:2 offset1:4
	ds_read_u8 v8, v4 offset:20
	ds_read_b32 v9, v4 offset:24
	ds_read_u8 v60, v4 offset:28
	s_waitcnt lgkmcnt(4)
	v_cmp_eq_u16_e64 s[0:1], 0, v7
	s_nop 1
	v_cndmask_b32_e64 v5, 0, v5, s[0:1]
	s_waitcnt lgkmcnt(3)
	v_add_u32_e32 v2, v5, v2
	v_and_b32_e32 v5, 1, v7
	v_cmp_eq_u32_e64 s[0:1], 1, v5
	s_nop 1
	v_cndmask_b32_e64 v5, v6, 1, s[0:1]
	s_waitcnt lgkmcnt(2)
	v_cmp_eq_u16_e64 s[0:1], 0, v8
	ds_write_b8 v4, v5 offset:12
	s_nop 0
	v_cndmask_b32_e64 v6, 0, v2, s[0:1]
	v_add_u32_e32 v3, v6, v3
	v_and_b32_e32 v6, 1, v8
	v_cmp_eq_u32_e64 s[0:1], 1, v6
	s_nop 1
	v_cndmask_b32_e64 v5, v5, 1, s[0:1]
	s_waitcnt lgkmcnt(1)
	v_cmp_eq_u16_e64 s[0:1], 0, v60
	ds_write2_b32 v4, v2, v3 offset0:2 offset1:4
	ds_write_b8 v4, v5 offset:20
	v_cndmask_b32_e64 v2, 0, v3, s[0:1]
	v_and_b32_e32 v3, 1, v60
	v_add_u32_e32 v2, v2, v9
	v_cmp_eq_u32_e64 s[0:1], 1, v3
	s_nop 1
	v_cndmask_b32_e64 v3, v5, 1, s[0:1]
	ds_write_b32 v4, v2 offset:24
	ds_write_b8 v4, v3 offset:28
.LBB1922_167:
	s_or_b64 exec, exec, s[50:51]
	s_waitcnt lgkmcnt(0)
	s_barrier
	s_and_saveexec_b64 s[0:1], s[4:5]
	s_cbranch_execz .LBB1922_169
; %bb.168:
	v_add_u32_e32 v2, -1, v0
	v_lshrrev_b32_e32 v3, 5, v2
	v_add_lshl_u32 v2, v3, v2, 3
	ds_read_b32 v64, v2
	ds_read_u8 v65, v2 offset:4
.LBB1922_169:
	s_or_b64 exec, exec, s[0:1]
	s_and_saveexec_b64 s[56:57], vcc
	s_cbranch_execz .LBB1922_192
; %bb.170:
	v_mov_b32_e32 v5, 0
	ds_read_b64 v[2:3], v5 offset:2096
	v_mbcnt_lo_u32_b32 v4, -1, 0
	v_mbcnt_hi_u32_b32 v75, -1, v4
	s_mov_b32 s59, 0
	v_cmp_eq_u32_e64 s[50:51], 0, v75
	s_waitcnt lgkmcnt(0)
	v_readfirstlane_b32 s68, v3
	s_and_saveexec_b64 s[0:1], s[50:51]
	s_cbranch_execz .LBB1922_172
; %bb.171:
	s_add_i32 s58, s67, 64
	s_lshl_b64 s[60:61], s[58:59], 4
	s_add_u32 s60, s64, s60
	s_addc_u32 s61, s65, s61
	s_and_b32 s77, s68, 0xff000000
	s_mov_b32 s76, s59
	s_and_b32 s79, s68, 0xff0000
	s_mov_b32 s78, s59
	s_or_b64 s[76:77], s[78:79], s[76:77]
	s_and_b32 s79, s68, 0xff00
	s_or_b64 s[76:77], s[76:77], s[78:79]
	s_and_b32 s79, s68, 0xff
	s_or_b64 s[58:59], s[76:77], s[78:79]
	v_mov_b32_e32 v3, s59
	v_mov_b32_e32 v4, 1
	v_mov_b64_e32 v[6:7], s[60:61]
	;;#ASMSTART
	global_store_dwordx4 v[6:7], v[2:5] off sc1	
s_waitcnt vmcnt(0)
	;;#ASMEND
.LBB1922_172:
	s_or_b64 exec, exec, s[0:1]
	v_xad_u32 v60, v75, -1, s67
	v_add_u32_e32 v4, 64, v60
	v_lshl_add_u64 v[62:63], v[4:5], 4, s[64:65]
	;;#ASMSTART
	global_load_dwordx4 v[6:9], v[62:63] off sc1	
s_waitcnt vmcnt(0)
	;;#ASMEND
	s_nop 0
	v_and_b32_e32 v3, 0xff0000, v6
	v_and_b32_e32 v4, 0xff000000, v6
	;; [unrolled: 1-line block ×3, first 2 shown]
	v_or_b32_sdwa v3, v6, v3 dst_sel:DWORD dst_unused:UNUSED_PAD src0_sel:WORD_0 src1_sel:DWORD
	v_or3_b32 v7, 0, 0, v7
	v_or3_b32 v6, v3, v4, 0
	v_cmp_eq_u16_sdwa s[58:59], v8, v5 src0_sel:BYTE_0 src1_sel:DWORD
	s_and_saveexec_b64 s[0:1], s[58:59]
	s_cbranch_execz .LBB1922_178
; %bb.173:
	s_mov_b32 s60, 1
	s_mov_b64 s[58:59], 0
	v_mov_b32_e32 v3, 0
.LBB1922_174:                           ; =>This Loop Header: Depth=1
                                        ;     Child Loop BB1922_175 Depth 2
	s_max_u32 s61, s60, 1
.LBB1922_175:                           ;   Parent Loop BB1922_174 Depth=1
                                        ; =>  This Inner Loop Header: Depth=2
	s_add_i32 s61, s61, -1
	s_cmp_eq_u32 s61, 0
	s_sleep 1
	s_cbranch_scc0 .LBB1922_175
; %bb.176:                              ;   in Loop: Header=BB1922_174 Depth=1
	s_cmp_lt_u32 s60, 32
	s_cselect_b64 s[76:77], -1, 0
	s_cmp_lg_u64 s[76:77], 0
	s_addc_u32 s60, s60, 0
	;;#ASMSTART
	global_load_dwordx4 v[6:9], v[62:63] off sc1	
s_waitcnt vmcnt(0)
	;;#ASMEND
	s_nop 0
	v_cmp_ne_u16_sdwa s[76:77], v8, v3 src0_sel:BYTE_0 src1_sel:DWORD
	s_or_b64 s[58:59], s[76:77], s[58:59]
	s_andn2_b64 exec, exec, s[58:59]
	s_cbranch_execnz .LBB1922_174
; %bb.177:
	s_or_b64 exec, exec, s[58:59]
	v_and_b32_e32 v7, 0xff, v7
.LBB1922_178:
	s_or_b64 exec, exec, s[0:1]
	v_mov_b32_e32 v3, 2
	v_cmp_eq_u16_sdwa s[0:1], v8, v3 src0_sel:BYTE_0 src1_sel:DWORD
	v_lshlrev_b64 v[4:5], v75, -1
	v_and_b32_e32 v66, 63, v75
	v_and_b32_e32 v9, s1, v5
	v_or_b32_e32 v9, 0x80000000, v9
	v_and_b32_e32 v61, s0, v4
	v_ffbl_b32_e32 v9, v9
	v_add_u32_e32 v9, 32, v9
	v_ffbl_b32_e32 v61, v61
	v_cmp_ne_u32_e32 vcc, 63, v66
	v_min_u32_e32 v9, v61, v9
	s_mov_b32 s58, 0
	v_addc_co_u32_e32 v61, vcc, 0, v75, vcc
	v_lshlrev_b32_e32 v67, 2, v61
	ds_bpermute_b32 v61, v67, v7
	ds_bpermute_b32 v62, v67, v6
	v_and_b32_e32 v63, 1, v7
	s_mov_b32 s59, 1
	v_cmp_eq_u32_e32 vcc, 1, v63
	s_waitcnt lgkmcnt(1)
	v_and_b32_e32 v61, 1, v61
	v_cmp_lt_u32_e64 s[0:1], v66, v9
	v_cndmask_b32_e64 v61, v61, 1, vcc
	v_cmp_gt_u64_e32 vcc, s[58:59], v[6:7]
	s_and_b64 vcc, s[0:1], vcc
	v_and_b32_e32 v63, 0xffff, v61
	v_cndmask_b32_e64 v70, v7, v61, s[0:1]
	s_waitcnt lgkmcnt(0)
	v_cndmask_b32_e32 v61, 0, v62, vcc
	v_cmp_gt_u32_e32 vcc, 62, v66
	v_cndmask_b32_e64 v7, v7, v63, s[0:1]
	v_add_u32_e32 v6, v61, v6
	v_cndmask_b32_e64 v62, 0, 1, vcc
	v_lshlrev_b32_e32 v62, 1, v62
	v_add_lshl_u32 v68, v62, v75, 2
	ds_bpermute_b32 v62, v68, v7
	ds_bpermute_b32 v63, v68, v6
	v_and_b32_e32 v61, 1, v70
	v_cmp_eq_u32_e32 vcc, 1, v61
	v_mov_b32_e32 v61, 0
	s_waitcnt lgkmcnt(1)
	v_and_b32_e32 v62, 1, v62
	v_add_u32_e32 v69, 2, v66
	v_cndmask_b32_e64 v62, v62, 1, vcc
	v_cmp_eq_u16_sdwa vcc, v70, v61 src0_sel:BYTE_0 src1_sel:DWORD
	v_and_b32_e32 v71, 0xffff, v62
	v_add_u32_e32 v79, 32, v66
	s_waitcnt lgkmcnt(0)
	v_cndmask_b32_e32 v63, 0, v63, vcc
	v_cmp_gt_u32_e32 vcc, v69, v9
	s_nop 1
	v_cndmask_b32_e32 v62, v62, v70, vcc
	v_cndmask_b32_e64 v63, v63, 0, vcc
	v_cndmask_b32_e32 v7, v71, v7, vcc
	v_cmp_gt_u32_e32 vcc, 60, v66
	v_add_u32_e32 v6, v63, v6
	v_and_b32_e32 v73, 1, v62
	v_cndmask_b32_e64 v70, 0, 1, vcc
	v_lshlrev_b32_e32 v70, 2, v70
	v_add_lshl_u32 v70, v70, v75, 2
	ds_bpermute_b32 v72, v70, v7
	ds_bpermute_b32 v63, v70, v6
	v_cmp_eq_u32_e32 vcc, 1, v73
	v_add_u32_e32 v71, 4, v66
	s_waitcnt lgkmcnt(1)
	v_and_b32_e32 v72, 1, v72
	v_cndmask_b32_e64 v72, v72, 1, vcc
	v_cmp_eq_u16_sdwa vcc, v62, v61 src0_sel:BYTE_0 src1_sel:DWORD
	v_and_b32_e32 v73, 0xffff, v72
	s_waitcnt lgkmcnt(0)
	v_cndmask_b32_e32 v63, 0, v63, vcc
	v_cmp_gt_u32_e32 vcc, v71, v9
	s_nop 1
	v_cndmask_b32_e32 v62, v72, v62, vcc
	v_cndmask_b32_e64 v63, v63, 0, vcc
	v_cndmask_b32_e32 v7, v73, v7, vcc
	v_cmp_gt_u32_e32 vcc, 56, v66
	v_add_u32_e32 v6, v63, v6
	v_and_b32_e32 v76, 1, v62
	v_cndmask_b32_e64 v72, 0, 1, vcc
	v_lshlrev_b32_e32 v72, 3, v72
	v_add_lshl_u32 v72, v72, v75, 2
	ds_bpermute_b32 v74, v72, v7
	ds_bpermute_b32 v63, v72, v6
	v_cmp_eq_u32_e32 vcc, 1, v76
	v_add_u32_e32 v73, 8, v66
	s_waitcnt lgkmcnt(1)
	v_and_b32_e32 v74, 1, v74
	v_cndmask_b32_e64 v74, v74, 1, vcc
	v_cmp_eq_u16_sdwa vcc, v62, v61 src0_sel:BYTE_0 src1_sel:DWORD
	v_and_b32_e32 v76, 0xffff, v74
	;; [unrolled: 22-line block ×3, first 2 shown]
	s_waitcnt lgkmcnt(0)
	v_cndmask_b32_e32 v63, 0, v63, vcc
	v_cmp_gt_u32_e32 vcc, v76, v9
	s_nop 1
	v_cndmask_b32_e32 v62, v77, v62, vcc
	v_cndmask_b32_e64 v63, v63, 0, vcc
	v_cndmask_b32_e32 v7, v78, v7, vcc
	v_cmp_gt_u32_e32 vcc, 32, v66
	v_add_u32_e32 v6, v63, v6
	s_nop 0
	v_cndmask_b32_e64 v77, 0, 1, vcc
	v_lshlrev_b32_e32 v77, 5, v77
	v_add_lshl_u32 v78, v77, v75, 2
	ds_bpermute_b32 v7, v78, v7
	ds_bpermute_b32 v63, v78, v6
	v_and_b32_e32 v75, 1, v62
	v_cmp_eq_u32_e32 vcc, 1, v75
	s_waitcnt lgkmcnt(1)
	v_and_b32_e32 v7, 1, v7
	v_cndmask_b32_e64 v7, v7, 1, vcc
	v_cmp_eq_u16_sdwa vcc, v62, v61 src0_sel:BYTE_0 src1_sel:DWORD
	s_waitcnt lgkmcnt(0)
	s_nop 0
	v_cndmask_b32_e32 v63, 0, v63, vcc
	v_cmp_gt_u32_e32 vcc, v79, v9
	s_nop 1
	v_cndmask_b32_e64 v9, v63, 0, vcc
	v_cndmask_b32_e32 v7, v7, v62, vcc
	v_add_u32_e32 v6, v9, v6
	s_branch .LBB1922_180
.LBB1922_179:                           ;   in Loop: Header=BB1922_180 Depth=1
	s_or_b64 exec, exec, s[0:1]
	v_cmp_eq_u16_sdwa s[0:1], v8, v3 src0_sel:BYTE_0 src1_sel:DWORD
	ds_bpermute_b32 v63, v67, v7
	v_and_b32_e32 v80, 1, v7
	v_and_b32_e32 v9, s1, v5
	v_or_b32_e32 v9, 0x80000000, v9
	v_and_b32_e32 v62, s0, v4
	v_ffbl_b32_e32 v9, v9
	v_add_u32_e32 v9, 32, v9
	v_ffbl_b32_e32 v62, v62
	v_min_u32_e32 v9, v62, v9
	ds_bpermute_b32 v62, v67, v6
	s_waitcnt lgkmcnt(1)
	v_and_b32_e32 v63, 1, v63
	v_cmp_eq_u32_e32 vcc, 1, v80
	v_cmp_lt_u32_e64 s[0:1], v66, v9
	v_subrev_u32_e32 v60, 64, v60
	v_cndmask_b32_e64 v63, v63, 1, vcc
	v_cmp_gt_u64_e32 vcc, s[58:59], v[6:7]
	v_and_b32_e32 v80, 0xffff, v63
	v_cndmask_b32_e64 v63, v7, v63, s[0:1]
	v_cndmask_b32_e64 v7, v7, v80, s[0:1]
	s_and_b64 vcc, s[0:1], vcc
	ds_bpermute_b32 v80, v68, v7
	s_waitcnt lgkmcnt(1)
	v_cndmask_b32_e32 v62, 0, v62, vcc
	v_add_u32_e32 v6, v62, v6
	ds_bpermute_b32 v62, v68, v6
	v_and_b32_e32 v81, 1, v63
	s_waitcnt lgkmcnt(1)
	v_and_b32_e32 v80, 1, v80
	v_cmp_eq_u32_e32 vcc, 1, v81
	s_nop 1
	v_cndmask_b32_e64 v80, v80, 1, vcc
	v_cmp_eq_u16_sdwa vcc, v63, v61 src0_sel:BYTE_0 src1_sel:DWORD
	v_and_b32_e32 v81, 0xffff, v80
	s_waitcnt lgkmcnt(0)
	v_cndmask_b32_e32 v62, 0, v62, vcc
	v_cmp_gt_u32_e32 vcc, v69, v9
	s_nop 1
	v_cndmask_b32_e32 v7, v81, v7, vcc
	v_cndmask_b32_e32 v63, v80, v63, vcc
	ds_bpermute_b32 v80, v70, v7
	v_cndmask_b32_e64 v62, v62, 0, vcc
	v_add_u32_e32 v6, v62, v6
	ds_bpermute_b32 v62, v70, v6
	v_and_b32_e32 v81, 1, v63
	s_waitcnt lgkmcnt(1)
	v_and_b32_e32 v80, 1, v80
	v_cmp_eq_u32_e32 vcc, 1, v81
	s_nop 1
	v_cndmask_b32_e64 v80, v80, 1, vcc
	v_cmp_eq_u16_sdwa vcc, v63, v61 src0_sel:BYTE_0 src1_sel:DWORD
	v_and_b32_e32 v81, 0xffff, v80
	s_waitcnt lgkmcnt(0)
	v_cndmask_b32_e32 v62, 0, v62, vcc
	v_cmp_gt_u32_e32 vcc, v71, v9
	s_nop 1
	v_cndmask_b32_e32 v7, v81, v7, vcc
	v_cndmask_b32_e32 v63, v80, v63, vcc
	ds_bpermute_b32 v80, v72, v7
	v_cndmask_b32_e64 v62, v62, 0, vcc
	v_add_u32_e32 v6, v62, v6
	ds_bpermute_b32 v62, v72, v6
	v_and_b32_e32 v81, 1, v63
	s_waitcnt lgkmcnt(1)
	v_and_b32_e32 v80, 1, v80
	v_cmp_eq_u32_e32 vcc, 1, v81
	s_nop 1
	v_cndmask_b32_e64 v80, v80, 1, vcc
	v_cmp_eq_u16_sdwa vcc, v63, v61 src0_sel:BYTE_0 src1_sel:DWORD
	v_and_b32_e32 v81, 0xffff, v80
	s_waitcnt lgkmcnt(0)
	v_cndmask_b32_e32 v62, 0, v62, vcc
	v_cmp_gt_u32_e32 vcc, v73, v9
	s_nop 1
	v_cndmask_b32_e32 v7, v81, v7, vcc
	v_cndmask_b32_e32 v63, v80, v63, vcc
	ds_bpermute_b32 v80, v74, v7
	v_cndmask_b32_e64 v62, v62, 0, vcc
	v_add_u32_e32 v6, v62, v6
	ds_bpermute_b32 v62, v74, v6
	v_and_b32_e32 v81, 1, v63
	s_waitcnt lgkmcnt(1)
	v_and_b32_e32 v80, 1, v80
	v_cmp_eq_u32_e32 vcc, 1, v81
	s_nop 1
	v_cndmask_b32_e64 v80, v80, 1, vcc
	v_cmp_eq_u16_sdwa vcc, v63, v61 src0_sel:BYTE_0 src1_sel:DWORD
	v_and_b32_e32 v81, 0xffff, v80
	s_waitcnt lgkmcnt(0)
	v_cndmask_b32_e32 v62, 0, v62, vcc
	v_cmp_gt_u32_e32 vcc, v76, v9
	s_nop 1
	v_cndmask_b32_e64 v62, v62, 0, vcc
	v_cndmask_b32_e32 v7, v81, v7, vcc
	ds_bpermute_b32 v7, v78, v7
	v_add_u32_e32 v6, v62, v6
	ds_bpermute_b32 v62, v78, v6
	v_cndmask_b32_e32 v63, v80, v63, vcc
	v_and_b32_e32 v80, 1, v63
	v_cmp_eq_u32_e32 vcc, 1, v80
	s_waitcnt lgkmcnt(1)
	s_nop 0
	v_cndmask_b32_e64 v7, v7, 1, vcc
	v_cmp_eq_u16_sdwa vcc, v63, v61 src0_sel:BYTE_0 src1_sel:DWORD
	s_waitcnt lgkmcnt(0)
	s_nop 0
	v_cndmask_b32_e32 v62, 0, v62, vcc
	v_cmp_gt_u32_e32 vcc, v79, v9
	s_nop 1
	v_cndmask_b32_e64 v9, v62, 0, vcc
	v_cndmask_b32_e32 v7, v7, v63, vcc
	v_add_u32_e32 v6, v9, v6
	v_cmp_eq_u16_sdwa vcc, v75, v61 src0_sel:BYTE_0 src1_sel:DWORD
	v_and_b32_e32 v9, 1, v75
	v_and_b32_e32 v7, 1, v7
	v_cndmask_b32_e32 v6, 0, v6, vcc
	v_cmp_eq_u32_e32 vcc, 1, v9
	v_add_u32_e32 v6, v6, v77
	s_nop 0
	v_cndmask_b32_e64 v7, v7, 1, vcc
.LBB1922_180:                           ; =>This Loop Header: Depth=1
                                        ;     Child Loop BB1922_183 Depth 2
                                        ;       Child Loop BB1922_184 Depth 3
	v_cmp_ne_u16_sdwa s[0:1], v8, v3 src0_sel:BYTE_0 src1_sel:DWORD
	v_mov_b32_e32 v75, v7
	v_mov_b32_e32 v77, v6
	v_cndmask_b32_e64 v7, 0, 1, s[0:1]
	;;#ASMSTART
	;;#ASMEND
	s_nop 0
	v_cmp_ne_u32_e32 vcc, 0, v7
	s_cmp_lg_u64 vcc, exec
	s_cbranch_scc1 .LBB1922_187
; %bb.181:                              ;   in Loop: Header=BB1922_180 Depth=1
	v_lshl_add_u64 v[62:63], v[60:61], 4, s[64:65]
	;;#ASMSTART
	global_load_dwordx4 v[6:9], v[62:63] off sc1	
s_waitcnt vmcnt(0)
	;;#ASMEND
	s_nop 0
	v_and_b32_e32 v9, 0xff0000, v6
	v_and_b32_e32 v80, 0xff000000, v6
	;; [unrolled: 1-line block ×3, first 2 shown]
	v_or_b32_sdwa v6, v6, v9 dst_sel:DWORD dst_unused:UNUSED_PAD src0_sel:WORD_0 src1_sel:DWORD
	v_or3_b32 v7, 0, 0, v7
	v_or3_b32 v6, v6, v80, 0
	v_cmp_eq_u16_sdwa s[60:61], v8, v61 src0_sel:BYTE_0 src1_sel:DWORD
	s_and_saveexec_b64 s[0:1], s[60:61]
	s_cbranch_execz .LBB1922_179
; %bb.182:                              ;   in Loop: Header=BB1922_180 Depth=1
	s_mov_b32 s69, 1
	s_mov_b64 s[60:61], 0
.LBB1922_183:                           ;   Parent Loop BB1922_180 Depth=1
                                        ; =>  This Loop Header: Depth=2
                                        ;       Child Loop BB1922_184 Depth 3
	s_max_u32 s75, s69, 1
.LBB1922_184:                           ;   Parent Loop BB1922_180 Depth=1
                                        ;     Parent Loop BB1922_183 Depth=2
                                        ; =>    This Inner Loop Header: Depth=3
	s_add_i32 s75, s75, -1
	s_cmp_eq_u32 s75, 0
	s_sleep 1
	s_cbranch_scc0 .LBB1922_184
; %bb.185:                              ;   in Loop: Header=BB1922_183 Depth=2
	s_cmp_lt_u32 s69, 32
	s_cselect_b64 s[76:77], -1, 0
	s_cmp_lg_u64 s[76:77], 0
	s_addc_u32 s69, s69, 0
	;;#ASMSTART
	global_load_dwordx4 v[6:9], v[62:63] off sc1	
s_waitcnt vmcnt(0)
	;;#ASMEND
	s_nop 0
	v_cmp_ne_u16_sdwa s[76:77], v8, v61 src0_sel:BYTE_0 src1_sel:DWORD
	s_or_b64 s[60:61], s[76:77], s[60:61]
	s_andn2_b64 exec, exec, s[60:61]
	s_cbranch_execnz .LBB1922_183
; %bb.186:                              ;   in Loop: Header=BB1922_180 Depth=1
	s_or_b64 exec, exec, s[60:61]
	v_and_b32_e32 v7, 0xff, v7
	s_branch .LBB1922_179
.LBB1922_187:                           ;   in Loop: Header=BB1922_180 Depth=1
                                        ; implicit-def: $vgpr7
                                        ; implicit-def: $vgpr6
                                        ; implicit-def: $vgpr8
	s_cbranch_execz .LBB1922_180
; %bb.188:
	s_and_saveexec_b64 s[0:1], s[50:51]
	s_cbranch_execz .LBB1922_190
; %bb.189:
	s_and_b32 s50, s68, 0xff
	s_cmp_eq_u32 s50, 0
	s_cselect_b64 vcc, -1, 0
	s_bitcmp1_b32 s68, 0
	s_mov_b32 s51, 0
	s_cselect_b64 s[58:59], -1, 0
	s_add_i32 s50, s67, 64
	s_lshl_b64 s[50:51], s[50:51], 4
	v_cndmask_b32_e32 v3, 0, v77, vcc
	s_add_u32 s50, s64, s50
	v_add_u32_e32 v2, v3, v2
	v_and_b32_e32 v3, 1, v75
	s_addc_u32 s51, s65, s51
	v_mov_b32_e32 v5, 0
	v_cndmask_b32_e64 v3, v3, 1, s[58:59]
	v_mov_b32_e32 v4, 2
	v_mov_b64_e32 v[6:7], s[50:51]
	;;#ASMSTART
	global_store_dwordx4 v[6:7], v[2:5] off sc1	
s_waitcnt vmcnt(0)
	;;#ASMEND
.LBB1922_190:
	s_or_b64 exec, exec, s[0:1]
	s_and_b64 exec, exec, s[52:53]
	s_cbranch_execz .LBB1922_192
; %bb.191:
	v_mov_b32_e32 v2, 0
	ds_write_b32 v2, v77
	ds_write_b8 v2, v75 offset:4
.LBB1922_192:
	s_or_b64 exec, exec, s[56:57]
	v_mov_b32_e32 v2, 0
	s_waitcnt lgkmcnt(0)
	s_barrier
	ds_read_b32 v3, v2
	v_cmp_eq_u16_sdwa vcc, v65, v2 src0_sel:BYTE_0 src1_sel:DWORD
	s_waitcnt lgkmcnt(0)
	s_nop 0
	v_cndmask_b32_e32 v4, 0, v3, vcc
	v_add_u32_e32 v4, v4, v64
	v_cndmask_b32_e64 v60, v4, v3, s[52:53]
	v_and_b32_e32 v3, 0xff, v13
	v_cmp_eq_u64_e32 vcc, 0, v[2:3]
	s_nop 1
	v_cndmask_b32_e32 v2, 0, v60, vcc
	v_add_u32_e32 v61, v2, v12
	v_cndmask_b32_e64 v2, 0, v61, s[6:7]
	v_add_u32_e32 v62, v2, v14
	v_cndmask_b32_e64 v2, 0, v62, s[8:9]
	;; [unrolled: 2-line block ×21, first 2 shown]
	v_add_u32_e32 v82, v2, v54
	s_branch .LBB1922_213
.LBB1922_193:
                                        ; implicit-def: $vgpr81
                                        ; implicit-def: $vgpr80
                                        ; implicit-def: $vgpr79
                                        ; implicit-def: $vgpr78
                                        ; implicit-def: $vgpr77
                                        ; implicit-def: $vgpr76
                                        ; implicit-def: $vgpr75
                                        ; implicit-def: $vgpr74
                                        ; implicit-def: $vgpr73
                                        ; implicit-def: $vgpr72
                                        ; implicit-def: $vgpr71
                                        ; implicit-def: $vgpr70
                                        ; implicit-def: $vgpr69
                                        ; implicit-def: $vgpr68
                                        ; implicit-def: $vgpr67
                                        ; implicit-def: $vgpr66
                                        ; implicit-def: $vgpr65
                                        ; implicit-def: $vgpr64
                                        ; implicit-def: $vgpr63
                                        ; implicit-def: $vgpr62
                                        ; implicit-def: $vgpr61
                                        ; implicit-def: $vgpr60
                                        ; implicit-def: $vgpr82
	s_cbranch_execz .LBB1922_213
; %bb.194:
	s_cmp_lg_u64 s[72:73], 0
	s_cselect_b32 s7, s71, 0
	s_cselect_b32 s6, s70, 0
	s_mov_b32 s0, 0
	s_cmp_eq_u64 s[6:7], 0
	v_mov_b32_e32 v4, s74
	s_cbranch_scc1 .LBB1922_196
; %bb.195:
	v_mov_b32_e32 v2, 0
	global_load_dword v4, v2, s[6:7]
.LBB1922_196:
	s_mov_b32 s1, 1
	v_cmp_gt_u64_e32 vcc, s[0:1], v[14:15]
	v_cmp_gt_u64_e64 s[6:7], s[0:1], v[16:17]
	v_cmp_gt_u64_e64 s[8:9], s[0:1], v[18:19]
	v_cndmask_b32_e32 v2, 0, v12, vcc
	v_add_u32_e32 v2, v2, v14
	v_cndmask_b32_e64 v2, 0, v2, s[6:7]
	v_add_u32_e32 v2, v2, v16
	v_cndmask_b32_e64 v2, 0, v2, s[8:9]
	v_add_u32_e32 v2, v2, v18
	v_cmp_gt_u64_e64 s[10:11], s[0:1], v[20:21]
	v_cmp_gt_u64_e64 s[12:13], s[0:1], v[22:23]
	v_cmp_gt_u64_e64 s[14:15], s[0:1], v[24:25]
	v_cndmask_b32_e64 v2, 0, v2, s[10:11]
	v_add_u32_e32 v2, v2, v20
	v_cndmask_b32_e64 v2, 0, v2, s[12:13]
	v_add_u32_e32 v2, v2, v22
	v_cndmask_b32_e64 v2, 0, v2, s[14:15]
	v_add_u32_e32 v2, v2, v24
	v_cmp_gt_u64_e64 s[16:17], s[0:1], v[26:27]
	v_cmp_gt_u64_e64 s[18:19], s[0:1], v[28:29]
	v_cmp_gt_u64_e64 s[20:21], s[0:1], v[30:31]
	v_cndmask_b32_e64 v2, 0, v2, s[16:17]
	;; [unrolled: 9-line block ×6, first 2 shown]
	v_add_u32_e32 v2, v2, v50
	v_cndmask_b32_e64 v2, 0, v2, s[44:45]
	v_add_u32_e32 v2, v2, v52
	v_cndmask_b32_e64 v2, 0, v2, s[46:47]
	v_add_u32_e32 v2, v2, v54
	v_cmp_gt_u64_e64 s[0:1], s[0:1], v[58:59]
	v_add_lshl_u32 v1, v1, v0, 3
	s_nop 0
	v_cndmask_b32_e64 v2, 0, v2, s[0:1]
	v_add_u32_e32 v5, v2, v58
	v_or3_b32 v2, v57, v53, v51
	v_or3_b32 v2, v2, v49, v47
	;; [unrolled: 1-line block ×10, first 2 shown]
	v_and_b32_e32 v2, 1, v2
	v_cmp_eq_u32_e64 s[0:1], 1, v2
	s_nop 1
	v_cndmask_b32_e64 v6, v13, 1, s[0:1]
	v_cmp_gt_u32_e64 s[0:1], 64, v0
	ds_write_b32 v1, v5
	ds_write_b8 v1, v6 offset:4
	s_waitcnt lgkmcnt(0)
	s_barrier
	s_and_saveexec_b64 s[48:49], s[0:1]
	s_cbranch_execz .LBB1922_208
; %bb.197:
	v_lshrrev_b32_e32 v1, 3, v0
	v_add_lshl_u32 v1, v1, v56, 3
	ds_read2_b32 v[8:9], v1 offset0:2 offset1:4
	ds_read_b64 v[2:3], v1
	ds_read_u8 v15, v1 offset:12
	ds_read_u8 v17, v1 offset:20
	ds_read_b32 v19, v1 offset:24
	ds_read_u8 v21, v1 offset:28
	v_mov_b32_e32 v23, 0
	s_waitcnt lgkmcnt(3)
	v_cmp_eq_u16_sdwa s[0:1], v15, v23 src0_sel:BYTE_0 src1_sel:DWORD
	v_and_b32_e32 v7, 1, v3
	s_nop 0
	v_cndmask_b32_e64 v25, 0, v2, s[0:1]
	v_add_u32_e32 v8, v25, v8
	s_waitcnt lgkmcnt(2)
	v_cmp_eq_u16_sdwa s[0:1], v17, v23 src0_sel:BYTE_0 src1_sel:DWORD
	s_nop 1
	v_cndmask_b32_e64 v8, 0, v8, s[0:1]
	v_add_u32_e32 v8, v8, v9
	s_waitcnt lgkmcnt(0)
	v_cmp_eq_u16_e64 s[0:1], 0, v21
	s_nop 1
	v_cndmask_b32_e64 v8, 0, v8, s[0:1]
	v_add_u32_e32 v9, v8, v19
	v_or_b32_e32 v8, v21, v17
	v_or_b32_e32 v8, v8, v15
	v_and_b32_e32 v8, 1, v8
	v_cmp_eq_u32_e64 s[0:1], 1, v8
	v_mbcnt_lo_u32_b32 v15, -1, 0
	v_and_b32_e32 v8, 0xffffff00, v3
	v_cndmask_b32_e64 v17, v7, 1, s[0:1]
	v_mbcnt_hi_u32_b32 v15, -1, v15
	v_and_b32_e32 v21, 15, v15
	v_or_b32_sdwa v19, v8, v17 dst_sel:DWORD dst_unused:UNUSED_PAD src0_sel:DWORD src1_sel:WORD_0
	v_mov_b32_dpp v23, v9 row_shr:1 row_mask:0xf bank_mask:0xf
	v_cmp_ne_u32_e64 s[0:1], 0, v21
	v_mov_b32_dpp v25, v19 row_shr:1 row_mask:0xf bank_mask:0xf
	s_and_saveexec_b64 s[50:51], s[0:1]
; %bb.198:
	v_and_b32_e32 v19, 1, v17
	v_and_b32_e32 v25, 1, v25
	v_cmp_eq_u32_e64 s[0:1], 1, v19
	s_nop 1
	v_cndmask_b32_e64 v25, v25, 1, s[0:1]
	v_cmp_eq_u16_e64 s[0:1], 0, v17
	v_or_b32_sdwa v19, v8, v25 dst_sel:DWORD dst_unused:UNUSED_PAD src0_sel:DWORD src1_sel:WORD_0
	s_nop 0
	v_cndmask_b32_e64 v17, 0, v23, s[0:1]
	v_add_u32_e32 v9, v17, v9
	v_mov_b32_e32 v17, v25
; %bb.199:
	s_or_b64 exec, exec, s[50:51]
	v_mov_b32_dpp v23, v9 row_shr:2 row_mask:0xf bank_mask:0xf
	v_mov_b32_dpp v25, v19 row_shr:2 row_mask:0xf bank_mask:0xf
	v_cmp_lt_u32_e64 s[0:1], 1, v21
	s_and_saveexec_b64 s[50:51], s[0:1]
; %bb.200:
	v_and_b32_e32 v19, 1, v17
	v_and_b32_e32 v25, 1, v25
	v_cmp_eq_u32_e64 s[0:1], 1, v19
	s_nop 1
	v_cndmask_b32_e64 v25, v25, 1, s[0:1]
	v_cmp_eq_u16_e64 s[0:1], 0, v17
	v_or_b32_sdwa v19, v8, v25 dst_sel:DWORD dst_unused:UNUSED_PAD src0_sel:DWORD src1_sel:WORD_0
	s_nop 0
	v_cndmask_b32_e64 v17, 0, v23, s[0:1]
	v_add_u32_e32 v9, v17, v9
	v_mov_b32_e32 v17, v25
; %bb.201:
	s_or_b64 exec, exec, s[50:51]
	v_mov_b32_dpp v23, v9 row_shr:4 row_mask:0xf bank_mask:0xf
	v_mov_b32_dpp v25, v19 row_shr:4 row_mask:0xf bank_mask:0xf
	v_cmp_lt_u32_e64 s[0:1], 3, v21
	;; [unrolled: 18-line block ×3, first 2 shown]
	s_and_saveexec_b64 s[50:51], s[0:1]
; %bb.204:
	v_and_b32_e32 v19, 1, v17
	v_and_b32_e32 v21, 1, v25
	v_cmp_eq_u32_e64 s[0:1], 1, v19
	s_nop 1
	v_cndmask_b32_e64 v21, v21, 1, s[0:1]
	v_cmp_eq_u16_e64 s[0:1], 0, v17
	v_or_b32_sdwa v19, v8, v21 dst_sel:DWORD dst_unused:UNUSED_PAD src0_sel:DWORD src1_sel:WORD_0
	s_nop 0
	v_cndmask_b32_e64 v17, 0, v23, s[0:1]
	v_add_u32_e32 v9, v17, v9
	v_mov_b32_e32 v17, v21
; %bb.205:
	s_or_b64 exec, exec, s[50:51]
	v_and_b32_e32 v25, 16, v15
	v_mov_b32_dpp v21, v9 row_bcast:15 row_mask:0xf bank_mask:0xf
	v_mov_b32_dpp v23, v19 row_bcast:15 row_mask:0xf bank_mask:0xf
	v_cmp_ne_u32_e64 s[0:1], 0, v25
	s_and_saveexec_b64 s[50:51], s[0:1]
; %bb.206:
	v_and_b32_e32 v19, 1, v17
	v_and_b32_e32 v23, 1, v23
	v_cmp_eq_u32_e64 s[0:1], 1, v19
	s_nop 1
	v_cndmask_b32_e64 v23, v23, 1, s[0:1]
	v_cmp_eq_u16_e64 s[0:1], 0, v17
	v_or_b32_sdwa v19, v8, v23 dst_sel:DWORD dst_unused:UNUSED_PAD src0_sel:DWORD src1_sel:WORD_0
	s_nop 0
	v_cndmask_b32_e64 v17, 0, v21, s[0:1]
	v_add_u32_e32 v9, v17, v9
	v_mov_b32_e32 v17, v23
; %bb.207:
	s_or_b64 exec, exec, s[50:51]
	v_mov_b32_dpp v19, v19 row_bcast:31 row_mask:0xf bank_mask:0xf
	v_and_b32_e32 v23, 1, v17
	v_and_b32_e32 v19, 1, v19
	v_cmp_eq_u32_e64 s[0:1], 1, v23
	v_mov_b32_e32 v23, 0
	v_cmp_eq_u16_sdwa s[50:51], v17, v23 src0_sel:BYTE_0 src1_sel:DWORD
	v_cndmask_b32_e64 v19, v19, 1, s[0:1]
	v_cmp_lt_u32_e64 s[0:1], 31, v15
	v_mov_b32_dpp v21, v9 row_bcast:31 row_mask:0xf bank_mask:0xf
	s_movk_i32 s56, 0xff
	v_cndmask_b32_e64 v17, v17, v19, s[0:1]
	s_and_b64 s[0:1], s[0:1], s[50:51]
	v_cndmask_b32_e64 v19, 0, v21, s[0:1]
	v_add_u32_e32 v9, v19, v9
	v_add_u32_e32 v19, -1, v15
	v_and_b32_e32 v21, 64, v15
	v_cmp_lt_i32_e64 s[0:1], v19, v21
	v_and_or_b32 v8, v17, s56, v8
	s_nop 0
	v_cndmask_b32_e64 v15, v19, v15, s[0:1]
	v_lshlrev_b32_e32 v15, 2, v15
	ds_bpermute_b32 v9, v15, v9
	ds_bpermute_b32 v8, v15, v8
	v_cmp_eq_u16_sdwa s[0:1], v3, v23 src0_sel:BYTE_0 src1_sel:DWORD
	; wave barrier
	s_waitcnt lgkmcnt(1)
	s_nop 0
	v_cndmask_b32_e64 v3, 0, v9, s[0:1]
	v_add_u32_e32 v2, v3, v2
	s_waitcnt lgkmcnt(0)
	v_and_b32_e32 v3, 1, v8
	v_cmp_eq_u32_e64 s[0:1], 1, v7
	v_cndmask_b32_e64 v5, v2, v5, s[52:53]
	s_nop 0
	v_cndmask_b32_e64 v3, v3, 1, s[0:1]
	v_cndmask_b32_e64 v6, v3, v6, s[52:53]
	ds_write_b32 v1, v5
	ds_write_b8 v1, v6 offset:4
	; wave barrier
	ds_read_u8 v7, v1 offset:12
	ds_read2_b32 v[2:3], v1 offset0:2 offset1:4
	ds_read_u8 v8, v1 offset:20
	ds_read_b32 v9, v1 offset:24
	ds_read_u8 v15, v1 offset:28
	s_waitcnt lgkmcnt(4)
	v_cmp_eq_u16_e64 s[0:1], 0, v7
	s_nop 1
	v_cndmask_b32_e64 v5, 0, v5, s[0:1]
	s_waitcnt lgkmcnt(3)
	v_add_u32_e32 v2, v5, v2
	v_and_b32_e32 v5, 1, v7
	v_cmp_eq_u32_e64 s[0:1], 1, v5
	s_nop 1
	v_cndmask_b32_e64 v5, v6, 1, s[0:1]
	s_waitcnt lgkmcnt(2)
	v_cmp_eq_u16_e64 s[0:1], 0, v8
	ds_write_b8 v1, v5 offset:12
	s_nop 0
	v_cndmask_b32_e64 v6, 0, v2, s[0:1]
	v_add_u32_e32 v3, v6, v3
	v_and_b32_e32 v6, 1, v8
	v_cmp_eq_u32_e64 s[0:1], 1, v6
	s_nop 1
	v_cndmask_b32_e64 v5, v5, 1, s[0:1]
	s_waitcnt lgkmcnt(1)
	v_cmp_eq_u16_e64 s[0:1], 0, v15
	ds_write2_b32 v1, v2, v3 offset0:2 offset1:4
	ds_write_b8 v1, v5 offset:20
	v_cndmask_b32_e64 v2, 0, v3, s[0:1]
	v_and_b32_e32 v3, 1, v15
	v_add_u32_e32 v2, v2, v9
	v_cmp_eq_u32_e64 s[0:1], 1, v3
	s_nop 1
	v_cndmask_b32_e64 v3, v5, 1, s[0:1]
	ds_write_b32 v1, v2 offset:24
	ds_write_b8 v1, v3 offset:28
.LBB1922_208:
	s_or_b64 exec, exec, s[48:49]
	s_waitcnt vmcnt(0)
	v_mov_b32_e32 v60, v4
	s_waitcnt lgkmcnt(0)
	s_barrier
	s_and_saveexec_b64 s[48:49], s[4:5]
	s_cbranch_execz .LBB1922_210
; %bb.209:
	v_add_u32_e32 v1, -1, v0
	v_lshrrev_b32_e32 v2, 5, v1
	v_add_lshl_u32 v1, v2, v1, 3
	ds_read_u8 v2, v1 offset:4
	ds_read_b32 v1, v1
	s_waitcnt lgkmcnt(1)
	v_cmp_eq_u16_e64 s[0:1], 0, v2
	s_nop 1
	v_cndmask_b32_e64 v2, 0, v4, s[0:1]
	s_waitcnt lgkmcnt(0)
	v_add_u32_e32 v60, v2, v1
.LBB1922_210:
	s_or_b64 exec, exec, s[48:49]
	v_and_b32_e32 v3, 0xff, v13
	v_mov_b32_e32 v2, 0
	v_cmp_eq_u64_e64 s[0:1], 0, v[2:3]
	s_nop 1
	v_cndmask_b32_e64 v1, 0, v60, s[0:1]
	v_add_u32_e32 v61, v1, v12
	v_cndmask_b32_e32 v1, 0, v61, vcc
	v_add_u32_e32 v62, v1, v14
	v_cndmask_b32_e64 v1, 0, v62, s[6:7]
	v_add_u32_e32 v63, v1, v16
	v_cndmask_b32_e64 v1, 0, v63, s[8:9]
	;; [unrolled: 2-line block ×20, first 2 shown]
	s_and_saveexec_b64 s[0:1], s[52:53]
	s_cbranch_execz .LBB1922_212
; %bb.211:
	ds_read_u8 v3, v2 offset:2100
	ds_read_b32 v5, v2 offset:2096
	s_add_u32 s4, s64, 0x400
	s_addc_u32 s5, s65, 0
	v_mov_b32_e32 v6, 2
	s_waitcnt lgkmcnt(1)
	v_cmp_eq_u16_e32 vcc, 0, v3
	v_mov_b32_e32 v7, v2
	s_nop 0
	v_cndmask_b32_e32 v4, 0, v4, vcc
	s_waitcnt lgkmcnt(0)
	v_add_u32_e32 v4, v4, v5
	v_and_b32_e32 v5, 0xffff, v3
	v_mov_b64_e32 v[2:3], s[4:5]
	;;#ASMSTART
	global_store_dwordx4 v[2:3], v[4:7] off sc1	
s_waitcnt vmcnt(0)
	;;#ASMEND
.LBB1922_212:
	s_or_b64 exec, exec, s[0:1]
	v_add_u32_e32 v82, v1, v54
.LBB1922_213:
	s_add_u32 s0, s62, s54
	s_addc_u32 s1, s63, s55
	v_lshl_add_u64 v[2:3], s[0:1], 0, v[10:11]
	s_and_b64 vcc, exec, s[2:3]
	s_cbranch_vccz .LBB1922_301
; %bb.214:
	s_add_i32 s33, s33, s66
	v_mul_u32_u24_e32 v1, 23, v0
	v_cmp_gt_u32_e32 vcc, s33, v1
	v_mov_b32_e32 v57, 0
	v_mov_b32_e32 v11, 0
	;; [unrolled: 1-line block ×24, first 2 shown]
	s_and_saveexec_b64 s[2:3], vcc
	s_cbranch_execz .LBB1922_256
; %bb.215:
	v_add_u32_e32 v4, 1, v1
	v_cmp_gt_u32_e32 vcc, s33, v4
	v_mov_b32_e32 v4, 0
	v_mov_b32_e32 v5, 0
	;; [unrolled: 1-line block ×22, first 2 shown]
	s_and_saveexec_b64 s[4:5], vcc
	s_cbranch_execz .LBB1922_255
; %bb.216:
	v_add_u32_e32 v4, 2, v1
	v_cmp_gt_u32_e32 vcc, s33, v4
	v_mov_b32_e32 v4, 0
	v_mov_b32_e32 v5, 0
	;; [unrolled: 1-line block ×21, first 2 shown]
	s_and_saveexec_b64 s[6:7], vcc
	s_cbranch_execz .LBB1922_254
; %bb.217:
	v_add_u32_e32 v4, 3, v1
	v_cmp_gt_u32_e32 vcc, s33, v4
	v_mov_b32_e32 v4, 0
	v_mov_b32_e32 v5, 0
	;; [unrolled: 1-line block ×20, first 2 shown]
	s_and_saveexec_b64 s[8:9], vcc
	s_cbranch_execz .LBB1922_253
; %bb.218:
	v_add_u32_e32 v4, 4, v1
	v_cmp_gt_u32_e32 vcc, s33, v4
	v_mov_b32_e32 v4, 0
	v_mov_b32_e32 v5, 0
	;; [unrolled: 1-line block ×19, first 2 shown]
	s_and_saveexec_b64 s[10:11], vcc
	s_cbranch_execz .LBB1922_252
; %bb.219:
	v_add_u32_e32 v4, 5, v1
	v_cmp_gt_u32_e32 vcc, s33, v4
	v_mov_b32_e32 v4, 0
	v_mov_b32_e32 v5, 0
	;; [unrolled: 1-line block ×18, first 2 shown]
	s_and_saveexec_b64 s[12:13], vcc
	s_cbranch_execz .LBB1922_251
; %bb.220:
	v_add_u32_e32 v4, 6, v1
	v_cmp_gt_u32_e32 vcc, s33, v4
	v_mov_b32_e32 v4, 0
	v_mov_b32_e32 v5, 0
	;; [unrolled: 1-line block ×17, first 2 shown]
	s_and_saveexec_b64 s[14:15], vcc
	s_cbranch_execz .LBB1922_250
; %bb.221:
	v_add_u32_e32 v4, 7, v1
	v_cmp_gt_u32_e32 vcc, s33, v4
	v_mov_b32_e32 v4, 0
	v_mov_b32_e32 v5, 0
	;; [unrolled: 1-line block ×16, first 2 shown]
	s_and_saveexec_b64 s[16:17], vcc
	s_cbranch_execz .LBB1922_249
; %bb.222:
	v_add_u32_e32 v4, 8, v1
	v_cmp_gt_u32_e32 vcc, s33, v4
	v_mov_b32_e32 v4, 0
	v_mov_b32_e32 v5, 0
	;; [unrolled: 1-line block ×15, first 2 shown]
	s_and_saveexec_b64 s[18:19], vcc
	s_cbranch_execz .LBB1922_248
; %bb.223:
	v_add_u32_e32 v4, 9, v1
	v_cmp_gt_u32_e32 vcc, s33, v4
	v_mov_b32_e32 v4, 0
	v_mov_b32_e32 v5, 0
	;; [unrolled: 1-line block ×14, first 2 shown]
	s_and_saveexec_b64 s[20:21], vcc
	s_cbranch_execz .LBB1922_247
; %bb.224:
	v_add_u32_e32 v4, 10, v1
	v_cmp_gt_u32_e32 vcc, s33, v4
	v_mov_b32_e32 v4, 0
	v_mov_b32_e32 v5, 0
	;; [unrolled: 1-line block ×13, first 2 shown]
	s_and_saveexec_b64 s[22:23], vcc
	s_cbranch_execz .LBB1922_246
; %bb.225:
	v_add_u32_e32 v4, 11, v1
	v_cmp_gt_u32_e32 vcc, s33, v4
	v_mov_b32_e32 v4, 0
	v_mov_b32_e32 v5, 0
	;; [unrolled: 1-line block ×12, first 2 shown]
	s_and_saveexec_b64 s[24:25], vcc
	s_cbranch_execz .LBB1922_245
; %bb.226:
	v_add_u32_e32 v4, 12, v1
	v_cmp_gt_u32_e32 vcc, s33, v4
	v_mov_b32_e32 v4, 0
	v_mov_b32_e32 v5, 0
	;; [unrolled: 1-line block ×11, first 2 shown]
	s_and_saveexec_b64 s[26:27], vcc
	s_cbranch_execz .LBB1922_244
; %bb.227:
	v_add_u32_e32 v4, 13, v1
	v_cmp_gt_u32_e32 vcc, s33, v4
	v_mov_b32_e32 v4, 0
	v_mov_b32_e32 v5, 0
	;; [unrolled: 1-line block ×10, first 2 shown]
	s_and_saveexec_b64 s[28:29], vcc
	s_cbranch_execz .LBB1922_243
; %bb.228:
	v_add_u32_e32 v4, 14, v1
	v_cmp_gt_u32_e32 vcc, s33, v4
	v_mov_b32_e32 v4, 0
	v_mov_b32_e32 v5, 0
	v_mov_b32_e32 v6, 0
	v_mov_b32_e32 v7, 0
	v_mov_b32_e32 v8, 0
	v_mov_b32_e32 v9, 0
	v_mov_b32_e32 v10, 0
	v_mov_b32_e32 v12, 0
	v_mov_b32_e32 v11, 0
	s_and_saveexec_b64 s[30:31], vcc
	s_cbranch_execz .LBB1922_242
; %bb.229:
	v_add_u32_e32 v4, 15, v1
	v_cmp_gt_u32_e32 vcc, s33, v4
	v_mov_b32_e32 v4, 0
	v_mov_b32_e32 v5, 0
	;; [unrolled: 1-line block ×8, first 2 shown]
	s_and_saveexec_b64 s[34:35], vcc
	s_cbranch_execz .LBB1922_241
; %bb.230:
	v_add_u32_e32 v4, 16, v1
	v_cmp_gt_u32_e32 vcc, s33, v4
	v_mov_b32_e32 v4, 0
	v_mov_b32_e32 v5, 0
	;; [unrolled: 1-line block ×7, first 2 shown]
	s_and_saveexec_b64 s[36:37], vcc
	s_cbranch_execz .LBB1922_240
; %bb.231:
	v_add_u32_e32 v4, 17, v1
	v_cmp_gt_u32_e32 vcc, s33, v4
	v_mov_b32_e32 v4, 0
	v_mov_b32_e32 v5, 0
	;; [unrolled: 1-line block ×6, first 2 shown]
	s_and_saveexec_b64 s[38:39], vcc
	s_cbranch_execz .LBB1922_239
; %bb.232:
	v_add_u32_e32 v4, 18, v1
	v_cmp_gt_u32_e32 vcc, s33, v4
	v_mov_b32_e32 v4, 0
	v_mov_b32_e32 v5, 0
	;; [unrolled: 1-line block ×5, first 2 shown]
	s_and_saveexec_b64 s[40:41], vcc
	s_cbranch_execz .LBB1922_238
; %bb.233:
	v_add_u32_e32 v4, 19, v1
	v_cmp_gt_u32_e32 vcc, s33, v4
	v_mov_b32_e32 v4, 0
	v_mov_b32_e32 v5, 0
	;; [unrolled: 1-line block ×4, first 2 shown]
	s_and_saveexec_b64 s[42:43], vcc
	s_cbranch_execz .LBB1922_237
; %bb.234:
	v_add_u32_e32 v4, 20, v1
	v_cmp_gt_u32_e32 vcc, s33, v4
	v_mov_b32_e32 v4, 0
	v_mov_b32_e32 v5, 0
	;; [unrolled: 1-line block ×3, first 2 shown]
	s_and_saveexec_b64 s[44:45], vcc
; %bb.235:
	v_add_u32_e32 v4, 21, v1
	v_add_u32_e32 v5, 22, v1
	v_cmp_gt_u32_e32 vcc, s33, v4
	v_cmp_gt_u32_e64 s[0:1], s33, v5
	v_mov_b32_e32 v5, v80
	v_cndmask_b32_e32 v4, 0, v81, vcc
	s_and_b64 vcc, vcc, s[0:1]
	v_cndmask_b32_e32 v11, 0, v82, vcc
; %bb.236:
	s_or_b64 exec, exec, s[44:45]
	v_mov_b32_e32 v6, v79
.LBB1922_237:
	s_or_b64 exec, exec, s[42:43]
	v_mov_b32_e32 v7, v78
.LBB1922_238:
	s_or_b64 exec, exec, s[40:41]
	v_mov_b32_e32 v8, v77
.LBB1922_239:
	s_or_b64 exec, exec, s[38:39]
	v_mov_b32_e32 v9, v76
.LBB1922_240:
	s_or_b64 exec, exec, s[36:37]
	v_mov_b32_e32 v10, v75
.LBB1922_241:
	s_or_b64 exec, exec, s[34:35]
	v_mov_b32_e32 v12, v74
.LBB1922_242:
	s_or_b64 exec, exec, s[30:31]
	v_mov_b32_e32 v13, v73
.LBB1922_243:
	s_or_b64 exec, exec, s[28:29]
	v_mov_b32_e32 v14, v72
.LBB1922_244:
	s_or_b64 exec, exec, s[26:27]
	v_mov_b32_e32 v15, v71
.LBB1922_245:
	s_or_b64 exec, exec, s[24:25]
	v_mov_b32_e32 v16, v70
.LBB1922_246:
	s_or_b64 exec, exec, s[22:23]
	v_mov_b32_e32 v17, v69
.LBB1922_247:
	s_or_b64 exec, exec, s[20:21]
	v_mov_b32_e32 v18, v68
.LBB1922_248:
	s_or_b64 exec, exec, s[18:19]
	v_mov_b32_e32 v19, v67
.LBB1922_249:
	s_or_b64 exec, exec, s[16:17]
	v_mov_b32_e32 v20, v66
.LBB1922_250:
	s_or_b64 exec, exec, s[14:15]
	v_mov_b32_e32 v21, v65
.LBB1922_251:
	s_or_b64 exec, exec, s[12:13]
	v_mov_b32_e32 v22, v64
.LBB1922_252:
	s_or_b64 exec, exec, s[10:11]
	v_mov_b32_e32 v23, v63
.LBB1922_253:
	s_or_b64 exec, exec, s[8:9]
	v_mov_b32_e32 v24, v62
.LBB1922_254:
	s_or_b64 exec, exec, s[6:7]
	v_mov_b32_e32 v25, v61
.LBB1922_255:
	s_or_b64 exec, exec, s[4:5]
	v_mov_b32_e32 v26, v60
.LBB1922_256:
	s_or_b64 exec, exec, s[2:3]
	v_lshlrev_b32_e32 v1, 2, v1
	s_movk_i32 s0, 0xffa8
	s_barrier
	ds_write2_b32 v1, v26, v25 offset1:1
	ds_write2_b32 v1, v24, v23 offset0:2 offset1:3
	ds_write2_b32 v1, v22, v21 offset0:4 offset1:5
	;; [unrolled: 1-line block ×10, first 2 shown]
	ds_write_b32 v1, v11 offset:88
	v_mad_i32_i24 v4, v0, s0, v1
	s_waitcnt lgkmcnt(0)
	s_barrier
	ds_read2st64_b32 v[26:27], v4 offset0:4 offset1:8
	ds_read2st64_b32 v[24:25], v4 offset0:12 offset1:16
	;; [unrolled: 1-line block ×11, first 2 shown]
	v_lshl_add_u64 v[6:7], v[2:3], 0, v[56:57]
	v_cmp_gt_u32_e32 vcc, s33, v0
	s_and_saveexec_b64 s[0:1], vcc
	s_cbranch_execz .LBB1922_258
; %bb.257:
	v_mul_i32_i24_e32 v28, 0xffffffa8, v0
	v_add_u32_e32 v1, v1, v28
	ds_read_b32 v1, v1
	s_waitcnt lgkmcnt(0)
	flat_store_dword v[6:7], v1
.LBB1922_258:
	s_or_b64 exec, exec, s[0:1]
	v_or_b32_e32 v1, 0x100, v0
	v_cmp_gt_u32_e32 vcc, s33, v1
	s_and_saveexec_b64 s[0:1], vcc
	s_cbranch_execz .LBB1922_260
; %bb.259:
	s_waitcnt lgkmcnt(0)
	flat_store_dword v[6:7], v26 offset:1024
.LBB1922_260:
	s_or_b64 exec, exec, s[0:1]
	v_or_b32_e32 v1, 0x200, v0
	v_cmp_gt_u32_e32 vcc, s33, v1
	s_and_saveexec_b64 s[0:1], vcc
	s_cbranch_execz .LBB1922_262
; %bb.261:
	s_waitcnt lgkmcnt(0)
	flat_store_dword v[6:7], v27 offset:2048
.LBB1922_262:
	;; [unrolled: 9-line block ×3, first 2 shown]
	s_or_b64 exec, exec, s[0:1]
	v_or_b32_e32 v1, 0x400, v0
	v_cmp_gt_u32_e32 vcc, s33, v1
	s_and_saveexec_b64 s[0:1], vcc
	s_cbranch_execz .LBB1922_266
; %bb.265:
	s_waitcnt lgkmcnt(0)
	v_add_co_u32_e32 v26, vcc, 0x1000, v6
	s_nop 1
	v_addc_co_u32_e32 v27, vcc, 0, v7, vcc
	flat_store_dword v[26:27], v25
.LBB1922_266:
	s_or_b64 exec, exec, s[0:1]
	v_or_b32_e32 v1, 0x500, v0
	v_cmp_gt_u32_e32 vcc, s33, v1
	s_and_saveexec_b64 s[0:1], vcc
	s_cbranch_execz .LBB1922_268
; %bb.267:
	s_waitcnt lgkmcnt(0)
	v_add_co_u32_e32 v24, vcc, 0x1000, v6
	s_nop 1
	v_addc_co_u32_e32 v25, vcc, 0, v7, vcc
	flat_store_dword v[24:25], v22 offset:1024
.LBB1922_268:
	s_or_b64 exec, exec, s[0:1]
	v_or_b32_e32 v1, 0x600, v0
	v_cmp_gt_u32_e32 vcc, s33, v1
	s_and_saveexec_b64 s[0:1], vcc
	s_cbranch_execz .LBB1922_270
; %bb.269:
	s_waitcnt lgkmcnt(0)
	v_add_co_u32_e32 v24, vcc, 0x1000, v6
	s_nop 1
	v_addc_co_u32_e32 v25, vcc, 0, v7, vcc
	flat_store_dword v[24:25], v23 offset:2048
.LBB1922_270:
	s_or_b64 exec, exec, s[0:1]
	v_or_b32_e32 v1, 0x700, v0
	v_cmp_gt_u32_e32 vcc, s33, v1
	s_and_saveexec_b64 s[0:1], vcc
	s_cbranch_execz .LBB1922_272
; %bb.271:
	s_waitcnt lgkmcnt(0)
	v_add_co_u32_e32 v22, vcc, 0x1000, v6
	s_nop 1
	v_addc_co_u32_e32 v23, vcc, 0, v7, vcc
	flat_store_dword v[22:23], v20 offset:3072
.LBB1922_272:
	s_or_b64 exec, exec, s[0:1]
	v_or_b32_e32 v1, 0x800, v0
	v_cmp_gt_u32_e32 vcc, s33, v1
	s_and_saveexec_b64 s[0:1], vcc
	s_cbranch_execz .LBB1922_274
; %bb.273:
	s_waitcnt lgkmcnt(0)
	v_add_co_u32_e32 v22, vcc, 0x2000, v6
	s_nop 1
	v_addc_co_u32_e32 v23, vcc, 0, v7, vcc
	flat_store_dword v[22:23], v21
.LBB1922_274:
	s_or_b64 exec, exec, s[0:1]
	v_or_b32_e32 v1, 0x900, v0
	v_cmp_gt_u32_e32 vcc, s33, v1
	s_and_saveexec_b64 s[0:1], vcc
	s_cbranch_execz .LBB1922_276
; %bb.275:
	s_waitcnt lgkmcnt(0)
	v_add_co_u32_e32 v20, vcc, 0x2000, v6
	s_nop 1
	v_addc_co_u32_e32 v21, vcc, 0, v7, vcc
	flat_store_dword v[20:21], v18 offset:1024
.LBB1922_276:
	s_or_b64 exec, exec, s[0:1]
	v_or_b32_e32 v1, 0xa00, v0
	v_cmp_gt_u32_e32 vcc, s33, v1
	s_and_saveexec_b64 s[0:1], vcc
	s_cbranch_execz .LBB1922_278
; %bb.277:
	s_waitcnt lgkmcnt(0)
	v_add_co_u32_e32 v20, vcc, 0x2000, v6
	s_nop 1
	v_addc_co_u32_e32 v21, vcc, 0, v7, vcc
	flat_store_dword v[20:21], v19 offset:2048
.LBB1922_278:
	s_or_b64 exec, exec, s[0:1]
	v_or_b32_e32 v1, 0xb00, v0
	v_cmp_gt_u32_e32 vcc, s33, v1
	s_and_saveexec_b64 s[0:1], vcc
	s_cbranch_execz .LBB1922_280
; %bb.279:
	s_waitcnt lgkmcnt(0)
	v_add_co_u32_e32 v18, vcc, 0x2000, v6
	s_nop 1
	v_addc_co_u32_e32 v19, vcc, 0, v7, vcc
	flat_store_dword v[18:19], v16 offset:3072
.LBB1922_280:
	;; [unrolled: 48-line block ×4, first 2 shown]
	s_or_b64 exec, exec, s[0:1]
	v_or_b32_e32 v1, 0x1400, v0
	v_cmp_gt_u32_e32 vcc, s33, v1
	s_and_saveexec_b64 s[0:1], vcc
	s_cbranch_execz .LBB1922_298
; %bb.297:
	s_waitcnt lgkmcnt(0)
	v_add_co_u32_e32 v10, vcc, 0x5000, v6
	s_nop 1
	v_addc_co_u32_e32 v11, vcc, 0, v7, vcc
	flat_store_dword v[10:11], v9
.LBB1922_298:
	s_or_b64 exec, exec, s[0:1]
	v_or_b32_e32 v1, 0x1500, v0
	v_cmp_gt_u32_e32 vcc, s33, v1
	s_and_saveexec_b64 s[0:1], vcc
	s_cbranch_execz .LBB1922_300
; %bb.299:
	v_add_co_u32_e32 v6, vcc, 0x5000, v6
	s_nop 1
	v_addc_co_u32_e32 v7, vcc, 0, v7, vcc
	s_waitcnt lgkmcnt(0)
	flat_store_dword v[6:7], v4 offset:1024
.LBB1922_300:
	s_or_b64 exec, exec, s[0:1]
	s_waitcnt lgkmcnt(0)
	v_or_b32_e32 v4, 0x1600, v0
	v_mov_b32_e32 v1, v57
	v_cmp_gt_u32_e64 s[0:1], s33, v4
	s_branch .LBB1922_303
.LBB1922_301:
	s_mov_b64 s[0:1], 0
                                        ; implicit-def: $vgpr5
	s_cbranch_execz .LBB1922_303
; %bb.302:
	v_mul_u32_u24_e32 v1, 0x5c, v0
	s_barrier
	s_movk_i32 s2, 0x5c
	ds_write2_b32 v1, v60, v61 offset1:1
	ds_write2_b32 v1, v62, v63 offset0:2 offset1:3
	ds_write2_b32 v1, v64, v65 offset0:4 offset1:5
	;; [unrolled: 1-line block ×10, first 2 shown]
	ds_write_b32 v1, v82 offset:88
	v_mov_b32_e32 v1, 0
	v_mul_i32_i24_e32 v4, 0xffffffa8, v0
	v_mad_u32_u24 v4, v0, s2, v4
	v_mov_b32_e32 v57, v1
	s_waitcnt lgkmcnt(0)
	s_barrier
	ds_read2st64_b32 v[6:7], v4 offset1:4
	ds_read2st64_b32 v[8:9], v4 offset0:8 offset1:12
	ds_read2st64_b32 v[10:11], v4 offset0:16 offset1:20
	;; [unrolled: 1-line block ×10, first 2 shown]
	ds_read_b32 v5, v4 offset:22528
	v_lshl_add_u64 v[28:29], v[2:3], 0, v[56:57]
	s_movk_i32 s2, 0x1000
	s_waitcnt lgkmcnt(0)
	flat_store_dword v[28:29], v6
	flat_store_dword v[28:29], v7 offset:1024
	flat_store_dword v[28:29], v8 offset:2048
	;; [unrolled: 1-line block ×3, first 2 shown]
	v_add_co_u32_e32 v6, vcc, s2, v28
	s_movk_i32 s2, 0x2000
	s_nop 0
	v_addc_co_u32_e32 v7, vcc, 0, v29, vcc
	flat_store_dword v[6:7], v10
	flat_store_dword v[6:7], v11 offset:1024
	flat_store_dword v[6:7], v12 offset:2048
	flat_store_dword v[6:7], v13 offset:3072
	v_add_co_u32_e32 v6, vcc, s2, v28
	s_movk_i32 s2, 0x3000
	s_nop 0
	v_addc_co_u32_e32 v7, vcc, 0, v29, vcc
	flat_store_dword v[6:7], v14
	flat_store_dword v[6:7], v15 offset:1024
	flat_store_dword v[6:7], v16 offset:2048
	flat_store_dword v[6:7], v17 offset:3072
	v_add_co_u32_e32 v6, vcc, s2, v28
	s_or_b64 s[0:1], s[0:1], exec
	s_nop 0
	v_addc_co_u32_e32 v7, vcc, 0, v29, vcc
	flat_store_dword v[6:7], v18
	flat_store_dword v[6:7], v19 offset:1024
	flat_store_dword v[6:7], v20 offset:2048
	;; [unrolled: 1-line block ×3, first 2 shown]
	v_add_co_u32_e32 v6, vcc, 0x4000, v28
	s_nop 1
	v_addc_co_u32_e32 v7, vcc, 0, v29, vcc
	flat_store_dword v[6:7], v22
	flat_store_dword v[6:7], v23 offset:1024
	flat_store_dword v[6:7], v24 offset:2048
	;; [unrolled: 1-line block ×3, first 2 shown]
	v_add_co_u32_e32 v6, vcc, 0x5000, v28
	s_nop 1
	v_addc_co_u32_e32 v7, vcc, 0, v29, vcc
	flat_store_dword v[6:7], v26
	flat_store_dword v[6:7], v27 offset:1024
.LBB1922_303:
	s_and_saveexec_b64 s[2:3], s[0:1]
	s_cbranch_execnz .LBB1922_305
; %bb.304:
	s_endpgm
.LBB1922_305:
	v_lshl_add_u64 v[0:1], v[0:1], 2, v[2:3]
	v_add_co_u32_e32 v0, vcc, 0x5000, v0
	s_nop 1
	v_addc_co_u32_e32 v1, vcc, 0, v1, vcc
	flat_store_dword v[0:1], v5 offset:2048
	s_endpgm
	.section	.rodata,"a",@progbits
	.p2align	6, 0x0
	.amdhsa_kernel _ZN7rocprim17ROCPRIM_400000_NS6detail17trampoline_kernelINS0_14default_configENS1_27scan_by_key_config_selectorIj11FixedVectorIiLj1EEEEZZNS1_16scan_by_key_implILNS1_25lookback_scan_determinismE0ELb1ES3_N6thrust23THRUST_200600_302600_NS6detail15normal_iteratorINSB_10device_ptrIjEEEENSD_INSE_IS6_EEEESI_S6_NSB_4plusIvEENSB_8equal_toIvEES6_EE10hipError_tPvRmT2_T3_T4_T5_mT6_T7_P12ihipStream_tbENKUlT_T0_E_clISt17integral_constantIbLb1EES13_EEDaSY_SZ_EUlSY_E_NS1_11comp_targetILNS1_3genE5ELNS1_11target_archE942ELNS1_3gpuE9ELNS1_3repE0EEENS1_30default_config_static_selectorELNS0_4arch9wavefront6targetE1EEEvT1_
		.amdhsa_group_segment_fixed_size 25600
		.amdhsa_private_segment_fixed_size 0
		.amdhsa_kernarg_size 112
		.amdhsa_user_sgpr_count 2
		.amdhsa_user_sgpr_dispatch_ptr 0
		.amdhsa_user_sgpr_queue_ptr 0
		.amdhsa_user_sgpr_kernarg_segment_ptr 1
		.amdhsa_user_sgpr_dispatch_id 0
		.amdhsa_user_sgpr_kernarg_preload_length 0
		.amdhsa_user_sgpr_kernarg_preload_offset 0
		.amdhsa_user_sgpr_private_segment_size 0
		.amdhsa_uses_dynamic_stack 0
		.amdhsa_enable_private_segment 0
		.amdhsa_system_sgpr_workgroup_id_x 1
		.amdhsa_system_sgpr_workgroup_id_y 0
		.amdhsa_system_sgpr_workgroup_id_z 0
		.amdhsa_system_sgpr_workgroup_info 0
		.amdhsa_system_vgpr_workitem_id 0
		.amdhsa_next_free_vgpr 83
		.amdhsa_next_free_sgpr 80
		.amdhsa_accum_offset 84
		.amdhsa_reserve_vcc 1
		.amdhsa_float_round_mode_32 0
		.amdhsa_float_round_mode_16_64 0
		.amdhsa_float_denorm_mode_32 3
		.amdhsa_float_denorm_mode_16_64 3
		.amdhsa_dx10_clamp 1
		.amdhsa_ieee_mode 1
		.amdhsa_fp16_overflow 0
		.amdhsa_tg_split 0
		.amdhsa_exception_fp_ieee_invalid_op 0
		.amdhsa_exception_fp_denorm_src 0
		.amdhsa_exception_fp_ieee_div_zero 0
		.amdhsa_exception_fp_ieee_overflow 0
		.amdhsa_exception_fp_ieee_underflow 0
		.amdhsa_exception_fp_ieee_inexact 0
		.amdhsa_exception_int_div_zero 0
	.end_amdhsa_kernel
	.section	.text._ZN7rocprim17ROCPRIM_400000_NS6detail17trampoline_kernelINS0_14default_configENS1_27scan_by_key_config_selectorIj11FixedVectorIiLj1EEEEZZNS1_16scan_by_key_implILNS1_25lookback_scan_determinismE0ELb1ES3_N6thrust23THRUST_200600_302600_NS6detail15normal_iteratorINSB_10device_ptrIjEEEENSD_INSE_IS6_EEEESI_S6_NSB_4plusIvEENSB_8equal_toIvEES6_EE10hipError_tPvRmT2_T3_T4_T5_mT6_T7_P12ihipStream_tbENKUlT_T0_E_clISt17integral_constantIbLb1EES13_EEDaSY_SZ_EUlSY_E_NS1_11comp_targetILNS1_3genE5ELNS1_11target_archE942ELNS1_3gpuE9ELNS1_3repE0EEENS1_30default_config_static_selectorELNS0_4arch9wavefront6targetE1EEEvT1_,"axG",@progbits,_ZN7rocprim17ROCPRIM_400000_NS6detail17trampoline_kernelINS0_14default_configENS1_27scan_by_key_config_selectorIj11FixedVectorIiLj1EEEEZZNS1_16scan_by_key_implILNS1_25lookback_scan_determinismE0ELb1ES3_N6thrust23THRUST_200600_302600_NS6detail15normal_iteratorINSB_10device_ptrIjEEEENSD_INSE_IS6_EEEESI_S6_NSB_4plusIvEENSB_8equal_toIvEES6_EE10hipError_tPvRmT2_T3_T4_T5_mT6_T7_P12ihipStream_tbENKUlT_T0_E_clISt17integral_constantIbLb1EES13_EEDaSY_SZ_EUlSY_E_NS1_11comp_targetILNS1_3genE5ELNS1_11target_archE942ELNS1_3gpuE9ELNS1_3repE0EEENS1_30default_config_static_selectorELNS0_4arch9wavefront6targetE1EEEvT1_,comdat
.Lfunc_end1922:
	.size	_ZN7rocprim17ROCPRIM_400000_NS6detail17trampoline_kernelINS0_14default_configENS1_27scan_by_key_config_selectorIj11FixedVectorIiLj1EEEEZZNS1_16scan_by_key_implILNS1_25lookback_scan_determinismE0ELb1ES3_N6thrust23THRUST_200600_302600_NS6detail15normal_iteratorINSB_10device_ptrIjEEEENSD_INSE_IS6_EEEESI_S6_NSB_4plusIvEENSB_8equal_toIvEES6_EE10hipError_tPvRmT2_T3_T4_T5_mT6_T7_P12ihipStream_tbENKUlT_T0_E_clISt17integral_constantIbLb1EES13_EEDaSY_SZ_EUlSY_E_NS1_11comp_targetILNS1_3genE5ELNS1_11target_archE942ELNS1_3gpuE9ELNS1_3repE0EEENS1_30default_config_static_selectorELNS0_4arch9wavefront6targetE1EEEvT1_, .Lfunc_end1922-_ZN7rocprim17ROCPRIM_400000_NS6detail17trampoline_kernelINS0_14default_configENS1_27scan_by_key_config_selectorIj11FixedVectorIiLj1EEEEZZNS1_16scan_by_key_implILNS1_25lookback_scan_determinismE0ELb1ES3_N6thrust23THRUST_200600_302600_NS6detail15normal_iteratorINSB_10device_ptrIjEEEENSD_INSE_IS6_EEEESI_S6_NSB_4plusIvEENSB_8equal_toIvEES6_EE10hipError_tPvRmT2_T3_T4_T5_mT6_T7_P12ihipStream_tbENKUlT_T0_E_clISt17integral_constantIbLb1EES13_EEDaSY_SZ_EUlSY_E_NS1_11comp_targetILNS1_3genE5ELNS1_11target_archE942ELNS1_3gpuE9ELNS1_3repE0EEENS1_30default_config_static_selectorELNS0_4arch9wavefront6targetE1EEEvT1_
                                        ; -- End function
	.section	.AMDGPU.csdata,"",@progbits
; Kernel info:
; codeLenInByte = 17376
; NumSgprs: 86
; NumVgprs: 83
; NumAgprs: 0
; TotalNumVgprs: 83
; ScratchSize: 0
; MemoryBound: 0
; FloatMode: 240
; IeeeMode: 1
; LDSByteSize: 25600 bytes/workgroup (compile time only)
; SGPRBlocks: 10
; VGPRBlocks: 10
; NumSGPRsForWavesPerEU: 86
; NumVGPRsForWavesPerEU: 83
; AccumOffset: 84
; Occupancy: 2
; WaveLimiterHint : 1
; COMPUTE_PGM_RSRC2:SCRATCH_EN: 0
; COMPUTE_PGM_RSRC2:USER_SGPR: 2
; COMPUTE_PGM_RSRC2:TRAP_HANDLER: 0
; COMPUTE_PGM_RSRC2:TGID_X_EN: 1
; COMPUTE_PGM_RSRC2:TGID_Y_EN: 0
; COMPUTE_PGM_RSRC2:TGID_Z_EN: 0
; COMPUTE_PGM_RSRC2:TIDIG_COMP_CNT: 0
; COMPUTE_PGM_RSRC3_GFX90A:ACCUM_OFFSET: 20
; COMPUTE_PGM_RSRC3_GFX90A:TG_SPLIT: 0
	.section	.text._ZN7rocprim17ROCPRIM_400000_NS6detail17trampoline_kernelINS0_14default_configENS1_27scan_by_key_config_selectorIj11FixedVectorIiLj1EEEEZZNS1_16scan_by_key_implILNS1_25lookback_scan_determinismE0ELb1ES3_N6thrust23THRUST_200600_302600_NS6detail15normal_iteratorINSB_10device_ptrIjEEEENSD_INSE_IS6_EEEESI_S6_NSB_4plusIvEENSB_8equal_toIvEES6_EE10hipError_tPvRmT2_T3_T4_T5_mT6_T7_P12ihipStream_tbENKUlT_T0_E_clISt17integral_constantIbLb1EES13_EEDaSY_SZ_EUlSY_E_NS1_11comp_targetILNS1_3genE4ELNS1_11target_archE910ELNS1_3gpuE8ELNS1_3repE0EEENS1_30default_config_static_selectorELNS0_4arch9wavefront6targetE1EEEvT1_,"axG",@progbits,_ZN7rocprim17ROCPRIM_400000_NS6detail17trampoline_kernelINS0_14default_configENS1_27scan_by_key_config_selectorIj11FixedVectorIiLj1EEEEZZNS1_16scan_by_key_implILNS1_25lookback_scan_determinismE0ELb1ES3_N6thrust23THRUST_200600_302600_NS6detail15normal_iteratorINSB_10device_ptrIjEEEENSD_INSE_IS6_EEEESI_S6_NSB_4plusIvEENSB_8equal_toIvEES6_EE10hipError_tPvRmT2_T3_T4_T5_mT6_T7_P12ihipStream_tbENKUlT_T0_E_clISt17integral_constantIbLb1EES13_EEDaSY_SZ_EUlSY_E_NS1_11comp_targetILNS1_3genE4ELNS1_11target_archE910ELNS1_3gpuE8ELNS1_3repE0EEENS1_30default_config_static_selectorELNS0_4arch9wavefront6targetE1EEEvT1_,comdat
	.protected	_ZN7rocprim17ROCPRIM_400000_NS6detail17trampoline_kernelINS0_14default_configENS1_27scan_by_key_config_selectorIj11FixedVectorIiLj1EEEEZZNS1_16scan_by_key_implILNS1_25lookback_scan_determinismE0ELb1ES3_N6thrust23THRUST_200600_302600_NS6detail15normal_iteratorINSB_10device_ptrIjEEEENSD_INSE_IS6_EEEESI_S6_NSB_4plusIvEENSB_8equal_toIvEES6_EE10hipError_tPvRmT2_T3_T4_T5_mT6_T7_P12ihipStream_tbENKUlT_T0_E_clISt17integral_constantIbLb1EES13_EEDaSY_SZ_EUlSY_E_NS1_11comp_targetILNS1_3genE4ELNS1_11target_archE910ELNS1_3gpuE8ELNS1_3repE0EEENS1_30default_config_static_selectorELNS0_4arch9wavefront6targetE1EEEvT1_ ; -- Begin function _ZN7rocprim17ROCPRIM_400000_NS6detail17trampoline_kernelINS0_14default_configENS1_27scan_by_key_config_selectorIj11FixedVectorIiLj1EEEEZZNS1_16scan_by_key_implILNS1_25lookback_scan_determinismE0ELb1ES3_N6thrust23THRUST_200600_302600_NS6detail15normal_iteratorINSB_10device_ptrIjEEEENSD_INSE_IS6_EEEESI_S6_NSB_4plusIvEENSB_8equal_toIvEES6_EE10hipError_tPvRmT2_T3_T4_T5_mT6_T7_P12ihipStream_tbENKUlT_T0_E_clISt17integral_constantIbLb1EES13_EEDaSY_SZ_EUlSY_E_NS1_11comp_targetILNS1_3genE4ELNS1_11target_archE910ELNS1_3gpuE8ELNS1_3repE0EEENS1_30default_config_static_selectorELNS0_4arch9wavefront6targetE1EEEvT1_
	.globl	_ZN7rocprim17ROCPRIM_400000_NS6detail17trampoline_kernelINS0_14default_configENS1_27scan_by_key_config_selectorIj11FixedVectorIiLj1EEEEZZNS1_16scan_by_key_implILNS1_25lookback_scan_determinismE0ELb1ES3_N6thrust23THRUST_200600_302600_NS6detail15normal_iteratorINSB_10device_ptrIjEEEENSD_INSE_IS6_EEEESI_S6_NSB_4plusIvEENSB_8equal_toIvEES6_EE10hipError_tPvRmT2_T3_T4_T5_mT6_T7_P12ihipStream_tbENKUlT_T0_E_clISt17integral_constantIbLb1EES13_EEDaSY_SZ_EUlSY_E_NS1_11comp_targetILNS1_3genE4ELNS1_11target_archE910ELNS1_3gpuE8ELNS1_3repE0EEENS1_30default_config_static_selectorELNS0_4arch9wavefront6targetE1EEEvT1_
	.p2align	8
	.type	_ZN7rocprim17ROCPRIM_400000_NS6detail17trampoline_kernelINS0_14default_configENS1_27scan_by_key_config_selectorIj11FixedVectorIiLj1EEEEZZNS1_16scan_by_key_implILNS1_25lookback_scan_determinismE0ELb1ES3_N6thrust23THRUST_200600_302600_NS6detail15normal_iteratorINSB_10device_ptrIjEEEENSD_INSE_IS6_EEEESI_S6_NSB_4plusIvEENSB_8equal_toIvEES6_EE10hipError_tPvRmT2_T3_T4_T5_mT6_T7_P12ihipStream_tbENKUlT_T0_E_clISt17integral_constantIbLb1EES13_EEDaSY_SZ_EUlSY_E_NS1_11comp_targetILNS1_3genE4ELNS1_11target_archE910ELNS1_3gpuE8ELNS1_3repE0EEENS1_30default_config_static_selectorELNS0_4arch9wavefront6targetE1EEEvT1_,@function
_ZN7rocprim17ROCPRIM_400000_NS6detail17trampoline_kernelINS0_14default_configENS1_27scan_by_key_config_selectorIj11FixedVectorIiLj1EEEEZZNS1_16scan_by_key_implILNS1_25lookback_scan_determinismE0ELb1ES3_N6thrust23THRUST_200600_302600_NS6detail15normal_iteratorINSB_10device_ptrIjEEEENSD_INSE_IS6_EEEESI_S6_NSB_4plusIvEENSB_8equal_toIvEES6_EE10hipError_tPvRmT2_T3_T4_T5_mT6_T7_P12ihipStream_tbENKUlT_T0_E_clISt17integral_constantIbLb1EES13_EEDaSY_SZ_EUlSY_E_NS1_11comp_targetILNS1_3genE4ELNS1_11target_archE910ELNS1_3gpuE8ELNS1_3repE0EEENS1_30default_config_static_selectorELNS0_4arch9wavefront6targetE1EEEvT1_: ; @_ZN7rocprim17ROCPRIM_400000_NS6detail17trampoline_kernelINS0_14default_configENS1_27scan_by_key_config_selectorIj11FixedVectorIiLj1EEEEZZNS1_16scan_by_key_implILNS1_25lookback_scan_determinismE0ELb1ES3_N6thrust23THRUST_200600_302600_NS6detail15normal_iteratorINSB_10device_ptrIjEEEENSD_INSE_IS6_EEEESI_S6_NSB_4plusIvEENSB_8equal_toIvEES6_EE10hipError_tPvRmT2_T3_T4_T5_mT6_T7_P12ihipStream_tbENKUlT_T0_E_clISt17integral_constantIbLb1EES13_EEDaSY_SZ_EUlSY_E_NS1_11comp_targetILNS1_3genE4ELNS1_11target_archE910ELNS1_3gpuE8ELNS1_3repE0EEENS1_30default_config_static_selectorELNS0_4arch9wavefront6targetE1EEEvT1_
; %bb.0:
	.section	.rodata,"a",@progbits
	.p2align	6, 0x0
	.amdhsa_kernel _ZN7rocprim17ROCPRIM_400000_NS6detail17trampoline_kernelINS0_14default_configENS1_27scan_by_key_config_selectorIj11FixedVectorIiLj1EEEEZZNS1_16scan_by_key_implILNS1_25lookback_scan_determinismE0ELb1ES3_N6thrust23THRUST_200600_302600_NS6detail15normal_iteratorINSB_10device_ptrIjEEEENSD_INSE_IS6_EEEESI_S6_NSB_4plusIvEENSB_8equal_toIvEES6_EE10hipError_tPvRmT2_T3_T4_T5_mT6_T7_P12ihipStream_tbENKUlT_T0_E_clISt17integral_constantIbLb1EES13_EEDaSY_SZ_EUlSY_E_NS1_11comp_targetILNS1_3genE4ELNS1_11target_archE910ELNS1_3gpuE8ELNS1_3repE0EEENS1_30default_config_static_selectorELNS0_4arch9wavefront6targetE1EEEvT1_
		.amdhsa_group_segment_fixed_size 0
		.amdhsa_private_segment_fixed_size 0
		.amdhsa_kernarg_size 112
		.amdhsa_user_sgpr_count 2
		.amdhsa_user_sgpr_dispatch_ptr 0
		.amdhsa_user_sgpr_queue_ptr 0
		.amdhsa_user_sgpr_kernarg_segment_ptr 1
		.amdhsa_user_sgpr_dispatch_id 0
		.amdhsa_user_sgpr_kernarg_preload_length 0
		.amdhsa_user_sgpr_kernarg_preload_offset 0
		.amdhsa_user_sgpr_private_segment_size 0
		.amdhsa_uses_dynamic_stack 0
		.amdhsa_enable_private_segment 0
		.amdhsa_system_sgpr_workgroup_id_x 1
		.amdhsa_system_sgpr_workgroup_id_y 0
		.amdhsa_system_sgpr_workgroup_id_z 0
		.amdhsa_system_sgpr_workgroup_info 0
		.amdhsa_system_vgpr_workitem_id 0
		.amdhsa_next_free_vgpr 1
		.amdhsa_next_free_sgpr 0
		.amdhsa_accum_offset 4
		.amdhsa_reserve_vcc 0
		.amdhsa_float_round_mode_32 0
		.amdhsa_float_round_mode_16_64 0
		.amdhsa_float_denorm_mode_32 3
		.amdhsa_float_denorm_mode_16_64 3
		.amdhsa_dx10_clamp 1
		.amdhsa_ieee_mode 1
		.amdhsa_fp16_overflow 0
		.amdhsa_tg_split 0
		.amdhsa_exception_fp_ieee_invalid_op 0
		.amdhsa_exception_fp_denorm_src 0
		.amdhsa_exception_fp_ieee_div_zero 0
		.amdhsa_exception_fp_ieee_overflow 0
		.amdhsa_exception_fp_ieee_underflow 0
		.amdhsa_exception_fp_ieee_inexact 0
		.amdhsa_exception_int_div_zero 0
	.end_amdhsa_kernel
	.section	.text._ZN7rocprim17ROCPRIM_400000_NS6detail17trampoline_kernelINS0_14default_configENS1_27scan_by_key_config_selectorIj11FixedVectorIiLj1EEEEZZNS1_16scan_by_key_implILNS1_25lookback_scan_determinismE0ELb1ES3_N6thrust23THRUST_200600_302600_NS6detail15normal_iteratorINSB_10device_ptrIjEEEENSD_INSE_IS6_EEEESI_S6_NSB_4plusIvEENSB_8equal_toIvEES6_EE10hipError_tPvRmT2_T3_T4_T5_mT6_T7_P12ihipStream_tbENKUlT_T0_E_clISt17integral_constantIbLb1EES13_EEDaSY_SZ_EUlSY_E_NS1_11comp_targetILNS1_3genE4ELNS1_11target_archE910ELNS1_3gpuE8ELNS1_3repE0EEENS1_30default_config_static_selectorELNS0_4arch9wavefront6targetE1EEEvT1_,"axG",@progbits,_ZN7rocprim17ROCPRIM_400000_NS6detail17trampoline_kernelINS0_14default_configENS1_27scan_by_key_config_selectorIj11FixedVectorIiLj1EEEEZZNS1_16scan_by_key_implILNS1_25lookback_scan_determinismE0ELb1ES3_N6thrust23THRUST_200600_302600_NS6detail15normal_iteratorINSB_10device_ptrIjEEEENSD_INSE_IS6_EEEESI_S6_NSB_4plusIvEENSB_8equal_toIvEES6_EE10hipError_tPvRmT2_T3_T4_T5_mT6_T7_P12ihipStream_tbENKUlT_T0_E_clISt17integral_constantIbLb1EES13_EEDaSY_SZ_EUlSY_E_NS1_11comp_targetILNS1_3genE4ELNS1_11target_archE910ELNS1_3gpuE8ELNS1_3repE0EEENS1_30default_config_static_selectorELNS0_4arch9wavefront6targetE1EEEvT1_,comdat
.Lfunc_end1923:
	.size	_ZN7rocprim17ROCPRIM_400000_NS6detail17trampoline_kernelINS0_14default_configENS1_27scan_by_key_config_selectorIj11FixedVectorIiLj1EEEEZZNS1_16scan_by_key_implILNS1_25lookback_scan_determinismE0ELb1ES3_N6thrust23THRUST_200600_302600_NS6detail15normal_iteratorINSB_10device_ptrIjEEEENSD_INSE_IS6_EEEESI_S6_NSB_4plusIvEENSB_8equal_toIvEES6_EE10hipError_tPvRmT2_T3_T4_T5_mT6_T7_P12ihipStream_tbENKUlT_T0_E_clISt17integral_constantIbLb1EES13_EEDaSY_SZ_EUlSY_E_NS1_11comp_targetILNS1_3genE4ELNS1_11target_archE910ELNS1_3gpuE8ELNS1_3repE0EEENS1_30default_config_static_selectorELNS0_4arch9wavefront6targetE1EEEvT1_, .Lfunc_end1923-_ZN7rocprim17ROCPRIM_400000_NS6detail17trampoline_kernelINS0_14default_configENS1_27scan_by_key_config_selectorIj11FixedVectorIiLj1EEEEZZNS1_16scan_by_key_implILNS1_25lookback_scan_determinismE0ELb1ES3_N6thrust23THRUST_200600_302600_NS6detail15normal_iteratorINSB_10device_ptrIjEEEENSD_INSE_IS6_EEEESI_S6_NSB_4plusIvEENSB_8equal_toIvEES6_EE10hipError_tPvRmT2_T3_T4_T5_mT6_T7_P12ihipStream_tbENKUlT_T0_E_clISt17integral_constantIbLb1EES13_EEDaSY_SZ_EUlSY_E_NS1_11comp_targetILNS1_3genE4ELNS1_11target_archE910ELNS1_3gpuE8ELNS1_3repE0EEENS1_30default_config_static_selectorELNS0_4arch9wavefront6targetE1EEEvT1_
                                        ; -- End function
	.section	.AMDGPU.csdata,"",@progbits
; Kernel info:
; codeLenInByte = 0
; NumSgprs: 6
; NumVgprs: 0
; NumAgprs: 0
; TotalNumVgprs: 0
; ScratchSize: 0
; MemoryBound: 0
; FloatMode: 240
; IeeeMode: 1
; LDSByteSize: 0 bytes/workgroup (compile time only)
; SGPRBlocks: 0
; VGPRBlocks: 0
; NumSGPRsForWavesPerEU: 6
; NumVGPRsForWavesPerEU: 1
; AccumOffset: 4
; Occupancy: 8
; WaveLimiterHint : 0
; COMPUTE_PGM_RSRC2:SCRATCH_EN: 0
; COMPUTE_PGM_RSRC2:USER_SGPR: 2
; COMPUTE_PGM_RSRC2:TRAP_HANDLER: 0
; COMPUTE_PGM_RSRC2:TGID_X_EN: 1
; COMPUTE_PGM_RSRC2:TGID_Y_EN: 0
; COMPUTE_PGM_RSRC2:TGID_Z_EN: 0
; COMPUTE_PGM_RSRC2:TIDIG_COMP_CNT: 0
; COMPUTE_PGM_RSRC3_GFX90A:ACCUM_OFFSET: 0
; COMPUTE_PGM_RSRC3_GFX90A:TG_SPLIT: 0
	.section	.text._ZN7rocprim17ROCPRIM_400000_NS6detail17trampoline_kernelINS0_14default_configENS1_27scan_by_key_config_selectorIj11FixedVectorIiLj1EEEEZZNS1_16scan_by_key_implILNS1_25lookback_scan_determinismE0ELb1ES3_N6thrust23THRUST_200600_302600_NS6detail15normal_iteratorINSB_10device_ptrIjEEEENSD_INSE_IS6_EEEESI_S6_NSB_4plusIvEENSB_8equal_toIvEES6_EE10hipError_tPvRmT2_T3_T4_T5_mT6_T7_P12ihipStream_tbENKUlT_T0_E_clISt17integral_constantIbLb1EES13_EEDaSY_SZ_EUlSY_E_NS1_11comp_targetILNS1_3genE3ELNS1_11target_archE908ELNS1_3gpuE7ELNS1_3repE0EEENS1_30default_config_static_selectorELNS0_4arch9wavefront6targetE1EEEvT1_,"axG",@progbits,_ZN7rocprim17ROCPRIM_400000_NS6detail17trampoline_kernelINS0_14default_configENS1_27scan_by_key_config_selectorIj11FixedVectorIiLj1EEEEZZNS1_16scan_by_key_implILNS1_25lookback_scan_determinismE0ELb1ES3_N6thrust23THRUST_200600_302600_NS6detail15normal_iteratorINSB_10device_ptrIjEEEENSD_INSE_IS6_EEEESI_S6_NSB_4plusIvEENSB_8equal_toIvEES6_EE10hipError_tPvRmT2_T3_T4_T5_mT6_T7_P12ihipStream_tbENKUlT_T0_E_clISt17integral_constantIbLb1EES13_EEDaSY_SZ_EUlSY_E_NS1_11comp_targetILNS1_3genE3ELNS1_11target_archE908ELNS1_3gpuE7ELNS1_3repE0EEENS1_30default_config_static_selectorELNS0_4arch9wavefront6targetE1EEEvT1_,comdat
	.protected	_ZN7rocprim17ROCPRIM_400000_NS6detail17trampoline_kernelINS0_14default_configENS1_27scan_by_key_config_selectorIj11FixedVectorIiLj1EEEEZZNS1_16scan_by_key_implILNS1_25lookback_scan_determinismE0ELb1ES3_N6thrust23THRUST_200600_302600_NS6detail15normal_iteratorINSB_10device_ptrIjEEEENSD_INSE_IS6_EEEESI_S6_NSB_4plusIvEENSB_8equal_toIvEES6_EE10hipError_tPvRmT2_T3_T4_T5_mT6_T7_P12ihipStream_tbENKUlT_T0_E_clISt17integral_constantIbLb1EES13_EEDaSY_SZ_EUlSY_E_NS1_11comp_targetILNS1_3genE3ELNS1_11target_archE908ELNS1_3gpuE7ELNS1_3repE0EEENS1_30default_config_static_selectorELNS0_4arch9wavefront6targetE1EEEvT1_ ; -- Begin function _ZN7rocprim17ROCPRIM_400000_NS6detail17trampoline_kernelINS0_14default_configENS1_27scan_by_key_config_selectorIj11FixedVectorIiLj1EEEEZZNS1_16scan_by_key_implILNS1_25lookback_scan_determinismE0ELb1ES3_N6thrust23THRUST_200600_302600_NS6detail15normal_iteratorINSB_10device_ptrIjEEEENSD_INSE_IS6_EEEESI_S6_NSB_4plusIvEENSB_8equal_toIvEES6_EE10hipError_tPvRmT2_T3_T4_T5_mT6_T7_P12ihipStream_tbENKUlT_T0_E_clISt17integral_constantIbLb1EES13_EEDaSY_SZ_EUlSY_E_NS1_11comp_targetILNS1_3genE3ELNS1_11target_archE908ELNS1_3gpuE7ELNS1_3repE0EEENS1_30default_config_static_selectorELNS0_4arch9wavefront6targetE1EEEvT1_
	.globl	_ZN7rocprim17ROCPRIM_400000_NS6detail17trampoline_kernelINS0_14default_configENS1_27scan_by_key_config_selectorIj11FixedVectorIiLj1EEEEZZNS1_16scan_by_key_implILNS1_25lookback_scan_determinismE0ELb1ES3_N6thrust23THRUST_200600_302600_NS6detail15normal_iteratorINSB_10device_ptrIjEEEENSD_INSE_IS6_EEEESI_S6_NSB_4plusIvEENSB_8equal_toIvEES6_EE10hipError_tPvRmT2_T3_T4_T5_mT6_T7_P12ihipStream_tbENKUlT_T0_E_clISt17integral_constantIbLb1EES13_EEDaSY_SZ_EUlSY_E_NS1_11comp_targetILNS1_3genE3ELNS1_11target_archE908ELNS1_3gpuE7ELNS1_3repE0EEENS1_30default_config_static_selectorELNS0_4arch9wavefront6targetE1EEEvT1_
	.p2align	8
	.type	_ZN7rocprim17ROCPRIM_400000_NS6detail17trampoline_kernelINS0_14default_configENS1_27scan_by_key_config_selectorIj11FixedVectorIiLj1EEEEZZNS1_16scan_by_key_implILNS1_25lookback_scan_determinismE0ELb1ES3_N6thrust23THRUST_200600_302600_NS6detail15normal_iteratorINSB_10device_ptrIjEEEENSD_INSE_IS6_EEEESI_S6_NSB_4plusIvEENSB_8equal_toIvEES6_EE10hipError_tPvRmT2_T3_T4_T5_mT6_T7_P12ihipStream_tbENKUlT_T0_E_clISt17integral_constantIbLb1EES13_EEDaSY_SZ_EUlSY_E_NS1_11comp_targetILNS1_3genE3ELNS1_11target_archE908ELNS1_3gpuE7ELNS1_3repE0EEENS1_30default_config_static_selectorELNS0_4arch9wavefront6targetE1EEEvT1_,@function
_ZN7rocprim17ROCPRIM_400000_NS6detail17trampoline_kernelINS0_14default_configENS1_27scan_by_key_config_selectorIj11FixedVectorIiLj1EEEEZZNS1_16scan_by_key_implILNS1_25lookback_scan_determinismE0ELb1ES3_N6thrust23THRUST_200600_302600_NS6detail15normal_iteratorINSB_10device_ptrIjEEEENSD_INSE_IS6_EEEESI_S6_NSB_4plusIvEENSB_8equal_toIvEES6_EE10hipError_tPvRmT2_T3_T4_T5_mT6_T7_P12ihipStream_tbENKUlT_T0_E_clISt17integral_constantIbLb1EES13_EEDaSY_SZ_EUlSY_E_NS1_11comp_targetILNS1_3genE3ELNS1_11target_archE908ELNS1_3gpuE7ELNS1_3repE0EEENS1_30default_config_static_selectorELNS0_4arch9wavefront6targetE1EEEvT1_: ; @_ZN7rocprim17ROCPRIM_400000_NS6detail17trampoline_kernelINS0_14default_configENS1_27scan_by_key_config_selectorIj11FixedVectorIiLj1EEEEZZNS1_16scan_by_key_implILNS1_25lookback_scan_determinismE0ELb1ES3_N6thrust23THRUST_200600_302600_NS6detail15normal_iteratorINSB_10device_ptrIjEEEENSD_INSE_IS6_EEEESI_S6_NSB_4plusIvEENSB_8equal_toIvEES6_EE10hipError_tPvRmT2_T3_T4_T5_mT6_T7_P12ihipStream_tbENKUlT_T0_E_clISt17integral_constantIbLb1EES13_EEDaSY_SZ_EUlSY_E_NS1_11comp_targetILNS1_3genE3ELNS1_11target_archE908ELNS1_3gpuE7ELNS1_3repE0EEENS1_30default_config_static_selectorELNS0_4arch9wavefront6targetE1EEEvT1_
; %bb.0:
	.section	.rodata,"a",@progbits
	.p2align	6, 0x0
	.amdhsa_kernel _ZN7rocprim17ROCPRIM_400000_NS6detail17trampoline_kernelINS0_14default_configENS1_27scan_by_key_config_selectorIj11FixedVectorIiLj1EEEEZZNS1_16scan_by_key_implILNS1_25lookback_scan_determinismE0ELb1ES3_N6thrust23THRUST_200600_302600_NS6detail15normal_iteratorINSB_10device_ptrIjEEEENSD_INSE_IS6_EEEESI_S6_NSB_4plusIvEENSB_8equal_toIvEES6_EE10hipError_tPvRmT2_T3_T4_T5_mT6_T7_P12ihipStream_tbENKUlT_T0_E_clISt17integral_constantIbLb1EES13_EEDaSY_SZ_EUlSY_E_NS1_11comp_targetILNS1_3genE3ELNS1_11target_archE908ELNS1_3gpuE7ELNS1_3repE0EEENS1_30default_config_static_selectorELNS0_4arch9wavefront6targetE1EEEvT1_
		.amdhsa_group_segment_fixed_size 0
		.amdhsa_private_segment_fixed_size 0
		.amdhsa_kernarg_size 112
		.amdhsa_user_sgpr_count 2
		.amdhsa_user_sgpr_dispatch_ptr 0
		.amdhsa_user_sgpr_queue_ptr 0
		.amdhsa_user_sgpr_kernarg_segment_ptr 1
		.amdhsa_user_sgpr_dispatch_id 0
		.amdhsa_user_sgpr_kernarg_preload_length 0
		.amdhsa_user_sgpr_kernarg_preload_offset 0
		.amdhsa_user_sgpr_private_segment_size 0
		.amdhsa_uses_dynamic_stack 0
		.amdhsa_enable_private_segment 0
		.amdhsa_system_sgpr_workgroup_id_x 1
		.amdhsa_system_sgpr_workgroup_id_y 0
		.amdhsa_system_sgpr_workgroup_id_z 0
		.amdhsa_system_sgpr_workgroup_info 0
		.amdhsa_system_vgpr_workitem_id 0
		.amdhsa_next_free_vgpr 1
		.amdhsa_next_free_sgpr 0
		.amdhsa_accum_offset 4
		.amdhsa_reserve_vcc 0
		.amdhsa_float_round_mode_32 0
		.amdhsa_float_round_mode_16_64 0
		.amdhsa_float_denorm_mode_32 3
		.amdhsa_float_denorm_mode_16_64 3
		.amdhsa_dx10_clamp 1
		.amdhsa_ieee_mode 1
		.amdhsa_fp16_overflow 0
		.amdhsa_tg_split 0
		.amdhsa_exception_fp_ieee_invalid_op 0
		.amdhsa_exception_fp_denorm_src 0
		.amdhsa_exception_fp_ieee_div_zero 0
		.amdhsa_exception_fp_ieee_overflow 0
		.amdhsa_exception_fp_ieee_underflow 0
		.amdhsa_exception_fp_ieee_inexact 0
		.amdhsa_exception_int_div_zero 0
	.end_amdhsa_kernel
	.section	.text._ZN7rocprim17ROCPRIM_400000_NS6detail17trampoline_kernelINS0_14default_configENS1_27scan_by_key_config_selectorIj11FixedVectorIiLj1EEEEZZNS1_16scan_by_key_implILNS1_25lookback_scan_determinismE0ELb1ES3_N6thrust23THRUST_200600_302600_NS6detail15normal_iteratorINSB_10device_ptrIjEEEENSD_INSE_IS6_EEEESI_S6_NSB_4plusIvEENSB_8equal_toIvEES6_EE10hipError_tPvRmT2_T3_T4_T5_mT6_T7_P12ihipStream_tbENKUlT_T0_E_clISt17integral_constantIbLb1EES13_EEDaSY_SZ_EUlSY_E_NS1_11comp_targetILNS1_3genE3ELNS1_11target_archE908ELNS1_3gpuE7ELNS1_3repE0EEENS1_30default_config_static_selectorELNS0_4arch9wavefront6targetE1EEEvT1_,"axG",@progbits,_ZN7rocprim17ROCPRIM_400000_NS6detail17trampoline_kernelINS0_14default_configENS1_27scan_by_key_config_selectorIj11FixedVectorIiLj1EEEEZZNS1_16scan_by_key_implILNS1_25lookback_scan_determinismE0ELb1ES3_N6thrust23THRUST_200600_302600_NS6detail15normal_iteratorINSB_10device_ptrIjEEEENSD_INSE_IS6_EEEESI_S6_NSB_4plusIvEENSB_8equal_toIvEES6_EE10hipError_tPvRmT2_T3_T4_T5_mT6_T7_P12ihipStream_tbENKUlT_T0_E_clISt17integral_constantIbLb1EES13_EEDaSY_SZ_EUlSY_E_NS1_11comp_targetILNS1_3genE3ELNS1_11target_archE908ELNS1_3gpuE7ELNS1_3repE0EEENS1_30default_config_static_selectorELNS0_4arch9wavefront6targetE1EEEvT1_,comdat
.Lfunc_end1924:
	.size	_ZN7rocprim17ROCPRIM_400000_NS6detail17trampoline_kernelINS0_14default_configENS1_27scan_by_key_config_selectorIj11FixedVectorIiLj1EEEEZZNS1_16scan_by_key_implILNS1_25lookback_scan_determinismE0ELb1ES3_N6thrust23THRUST_200600_302600_NS6detail15normal_iteratorINSB_10device_ptrIjEEEENSD_INSE_IS6_EEEESI_S6_NSB_4plusIvEENSB_8equal_toIvEES6_EE10hipError_tPvRmT2_T3_T4_T5_mT6_T7_P12ihipStream_tbENKUlT_T0_E_clISt17integral_constantIbLb1EES13_EEDaSY_SZ_EUlSY_E_NS1_11comp_targetILNS1_3genE3ELNS1_11target_archE908ELNS1_3gpuE7ELNS1_3repE0EEENS1_30default_config_static_selectorELNS0_4arch9wavefront6targetE1EEEvT1_, .Lfunc_end1924-_ZN7rocprim17ROCPRIM_400000_NS6detail17trampoline_kernelINS0_14default_configENS1_27scan_by_key_config_selectorIj11FixedVectorIiLj1EEEEZZNS1_16scan_by_key_implILNS1_25lookback_scan_determinismE0ELb1ES3_N6thrust23THRUST_200600_302600_NS6detail15normal_iteratorINSB_10device_ptrIjEEEENSD_INSE_IS6_EEEESI_S6_NSB_4plusIvEENSB_8equal_toIvEES6_EE10hipError_tPvRmT2_T3_T4_T5_mT6_T7_P12ihipStream_tbENKUlT_T0_E_clISt17integral_constantIbLb1EES13_EEDaSY_SZ_EUlSY_E_NS1_11comp_targetILNS1_3genE3ELNS1_11target_archE908ELNS1_3gpuE7ELNS1_3repE0EEENS1_30default_config_static_selectorELNS0_4arch9wavefront6targetE1EEEvT1_
                                        ; -- End function
	.section	.AMDGPU.csdata,"",@progbits
; Kernel info:
; codeLenInByte = 0
; NumSgprs: 6
; NumVgprs: 0
; NumAgprs: 0
; TotalNumVgprs: 0
; ScratchSize: 0
; MemoryBound: 0
; FloatMode: 240
; IeeeMode: 1
; LDSByteSize: 0 bytes/workgroup (compile time only)
; SGPRBlocks: 0
; VGPRBlocks: 0
; NumSGPRsForWavesPerEU: 6
; NumVGPRsForWavesPerEU: 1
; AccumOffset: 4
; Occupancy: 8
; WaveLimiterHint : 0
; COMPUTE_PGM_RSRC2:SCRATCH_EN: 0
; COMPUTE_PGM_RSRC2:USER_SGPR: 2
; COMPUTE_PGM_RSRC2:TRAP_HANDLER: 0
; COMPUTE_PGM_RSRC2:TGID_X_EN: 1
; COMPUTE_PGM_RSRC2:TGID_Y_EN: 0
; COMPUTE_PGM_RSRC2:TGID_Z_EN: 0
; COMPUTE_PGM_RSRC2:TIDIG_COMP_CNT: 0
; COMPUTE_PGM_RSRC3_GFX90A:ACCUM_OFFSET: 0
; COMPUTE_PGM_RSRC3_GFX90A:TG_SPLIT: 0
	.section	.text._ZN7rocprim17ROCPRIM_400000_NS6detail17trampoline_kernelINS0_14default_configENS1_27scan_by_key_config_selectorIj11FixedVectorIiLj1EEEEZZNS1_16scan_by_key_implILNS1_25lookback_scan_determinismE0ELb1ES3_N6thrust23THRUST_200600_302600_NS6detail15normal_iteratorINSB_10device_ptrIjEEEENSD_INSE_IS6_EEEESI_S6_NSB_4plusIvEENSB_8equal_toIvEES6_EE10hipError_tPvRmT2_T3_T4_T5_mT6_T7_P12ihipStream_tbENKUlT_T0_E_clISt17integral_constantIbLb1EES13_EEDaSY_SZ_EUlSY_E_NS1_11comp_targetILNS1_3genE2ELNS1_11target_archE906ELNS1_3gpuE6ELNS1_3repE0EEENS1_30default_config_static_selectorELNS0_4arch9wavefront6targetE1EEEvT1_,"axG",@progbits,_ZN7rocprim17ROCPRIM_400000_NS6detail17trampoline_kernelINS0_14default_configENS1_27scan_by_key_config_selectorIj11FixedVectorIiLj1EEEEZZNS1_16scan_by_key_implILNS1_25lookback_scan_determinismE0ELb1ES3_N6thrust23THRUST_200600_302600_NS6detail15normal_iteratorINSB_10device_ptrIjEEEENSD_INSE_IS6_EEEESI_S6_NSB_4plusIvEENSB_8equal_toIvEES6_EE10hipError_tPvRmT2_T3_T4_T5_mT6_T7_P12ihipStream_tbENKUlT_T0_E_clISt17integral_constantIbLb1EES13_EEDaSY_SZ_EUlSY_E_NS1_11comp_targetILNS1_3genE2ELNS1_11target_archE906ELNS1_3gpuE6ELNS1_3repE0EEENS1_30default_config_static_selectorELNS0_4arch9wavefront6targetE1EEEvT1_,comdat
	.protected	_ZN7rocprim17ROCPRIM_400000_NS6detail17trampoline_kernelINS0_14default_configENS1_27scan_by_key_config_selectorIj11FixedVectorIiLj1EEEEZZNS1_16scan_by_key_implILNS1_25lookback_scan_determinismE0ELb1ES3_N6thrust23THRUST_200600_302600_NS6detail15normal_iteratorINSB_10device_ptrIjEEEENSD_INSE_IS6_EEEESI_S6_NSB_4plusIvEENSB_8equal_toIvEES6_EE10hipError_tPvRmT2_T3_T4_T5_mT6_T7_P12ihipStream_tbENKUlT_T0_E_clISt17integral_constantIbLb1EES13_EEDaSY_SZ_EUlSY_E_NS1_11comp_targetILNS1_3genE2ELNS1_11target_archE906ELNS1_3gpuE6ELNS1_3repE0EEENS1_30default_config_static_selectorELNS0_4arch9wavefront6targetE1EEEvT1_ ; -- Begin function _ZN7rocprim17ROCPRIM_400000_NS6detail17trampoline_kernelINS0_14default_configENS1_27scan_by_key_config_selectorIj11FixedVectorIiLj1EEEEZZNS1_16scan_by_key_implILNS1_25lookback_scan_determinismE0ELb1ES3_N6thrust23THRUST_200600_302600_NS6detail15normal_iteratorINSB_10device_ptrIjEEEENSD_INSE_IS6_EEEESI_S6_NSB_4plusIvEENSB_8equal_toIvEES6_EE10hipError_tPvRmT2_T3_T4_T5_mT6_T7_P12ihipStream_tbENKUlT_T0_E_clISt17integral_constantIbLb1EES13_EEDaSY_SZ_EUlSY_E_NS1_11comp_targetILNS1_3genE2ELNS1_11target_archE906ELNS1_3gpuE6ELNS1_3repE0EEENS1_30default_config_static_selectorELNS0_4arch9wavefront6targetE1EEEvT1_
	.globl	_ZN7rocprim17ROCPRIM_400000_NS6detail17trampoline_kernelINS0_14default_configENS1_27scan_by_key_config_selectorIj11FixedVectorIiLj1EEEEZZNS1_16scan_by_key_implILNS1_25lookback_scan_determinismE0ELb1ES3_N6thrust23THRUST_200600_302600_NS6detail15normal_iteratorINSB_10device_ptrIjEEEENSD_INSE_IS6_EEEESI_S6_NSB_4plusIvEENSB_8equal_toIvEES6_EE10hipError_tPvRmT2_T3_T4_T5_mT6_T7_P12ihipStream_tbENKUlT_T0_E_clISt17integral_constantIbLb1EES13_EEDaSY_SZ_EUlSY_E_NS1_11comp_targetILNS1_3genE2ELNS1_11target_archE906ELNS1_3gpuE6ELNS1_3repE0EEENS1_30default_config_static_selectorELNS0_4arch9wavefront6targetE1EEEvT1_
	.p2align	8
	.type	_ZN7rocprim17ROCPRIM_400000_NS6detail17trampoline_kernelINS0_14default_configENS1_27scan_by_key_config_selectorIj11FixedVectorIiLj1EEEEZZNS1_16scan_by_key_implILNS1_25lookback_scan_determinismE0ELb1ES3_N6thrust23THRUST_200600_302600_NS6detail15normal_iteratorINSB_10device_ptrIjEEEENSD_INSE_IS6_EEEESI_S6_NSB_4plusIvEENSB_8equal_toIvEES6_EE10hipError_tPvRmT2_T3_T4_T5_mT6_T7_P12ihipStream_tbENKUlT_T0_E_clISt17integral_constantIbLb1EES13_EEDaSY_SZ_EUlSY_E_NS1_11comp_targetILNS1_3genE2ELNS1_11target_archE906ELNS1_3gpuE6ELNS1_3repE0EEENS1_30default_config_static_selectorELNS0_4arch9wavefront6targetE1EEEvT1_,@function
_ZN7rocprim17ROCPRIM_400000_NS6detail17trampoline_kernelINS0_14default_configENS1_27scan_by_key_config_selectorIj11FixedVectorIiLj1EEEEZZNS1_16scan_by_key_implILNS1_25lookback_scan_determinismE0ELb1ES3_N6thrust23THRUST_200600_302600_NS6detail15normal_iteratorINSB_10device_ptrIjEEEENSD_INSE_IS6_EEEESI_S6_NSB_4plusIvEENSB_8equal_toIvEES6_EE10hipError_tPvRmT2_T3_T4_T5_mT6_T7_P12ihipStream_tbENKUlT_T0_E_clISt17integral_constantIbLb1EES13_EEDaSY_SZ_EUlSY_E_NS1_11comp_targetILNS1_3genE2ELNS1_11target_archE906ELNS1_3gpuE6ELNS1_3repE0EEENS1_30default_config_static_selectorELNS0_4arch9wavefront6targetE1EEEvT1_: ; @_ZN7rocprim17ROCPRIM_400000_NS6detail17trampoline_kernelINS0_14default_configENS1_27scan_by_key_config_selectorIj11FixedVectorIiLj1EEEEZZNS1_16scan_by_key_implILNS1_25lookback_scan_determinismE0ELb1ES3_N6thrust23THRUST_200600_302600_NS6detail15normal_iteratorINSB_10device_ptrIjEEEENSD_INSE_IS6_EEEESI_S6_NSB_4plusIvEENSB_8equal_toIvEES6_EE10hipError_tPvRmT2_T3_T4_T5_mT6_T7_P12ihipStream_tbENKUlT_T0_E_clISt17integral_constantIbLb1EES13_EEDaSY_SZ_EUlSY_E_NS1_11comp_targetILNS1_3genE2ELNS1_11target_archE906ELNS1_3gpuE6ELNS1_3repE0EEENS1_30default_config_static_selectorELNS0_4arch9wavefront6targetE1EEEvT1_
; %bb.0:
	.section	.rodata,"a",@progbits
	.p2align	6, 0x0
	.amdhsa_kernel _ZN7rocprim17ROCPRIM_400000_NS6detail17trampoline_kernelINS0_14default_configENS1_27scan_by_key_config_selectorIj11FixedVectorIiLj1EEEEZZNS1_16scan_by_key_implILNS1_25lookback_scan_determinismE0ELb1ES3_N6thrust23THRUST_200600_302600_NS6detail15normal_iteratorINSB_10device_ptrIjEEEENSD_INSE_IS6_EEEESI_S6_NSB_4plusIvEENSB_8equal_toIvEES6_EE10hipError_tPvRmT2_T3_T4_T5_mT6_T7_P12ihipStream_tbENKUlT_T0_E_clISt17integral_constantIbLb1EES13_EEDaSY_SZ_EUlSY_E_NS1_11comp_targetILNS1_3genE2ELNS1_11target_archE906ELNS1_3gpuE6ELNS1_3repE0EEENS1_30default_config_static_selectorELNS0_4arch9wavefront6targetE1EEEvT1_
		.amdhsa_group_segment_fixed_size 0
		.amdhsa_private_segment_fixed_size 0
		.amdhsa_kernarg_size 112
		.amdhsa_user_sgpr_count 2
		.amdhsa_user_sgpr_dispatch_ptr 0
		.amdhsa_user_sgpr_queue_ptr 0
		.amdhsa_user_sgpr_kernarg_segment_ptr 1
		.amdhsa_user_sgpr_dispatch_id 0
		.amdhsa_user_sgpr_kernarg_preload_length 0
		.amdhsa_user_sgpr_kernarg_preload_offset 0
		.amdhsa_user_sgpr_private_segment_size 0
		.amdhsa_uses_dynamic_stack 0
		.amdhsa_enable_private_segment 0
		.amdhsa_system_sgpr_workgroup_id_x 1
		.amdhsa_system_sgpr_workgroup_id_y 0
		.amdhsa_system_sgpr_workgroup_id_z 0
		.amdhsa_system_sgpr_workgroup_info 0
		.amdhsa_system_vgpr_workitem_id 0
		.amdhsa_next_free_vgpr 1
		.amdhsa_next_free_sgpr 0
		.amdhsa_accum_offset 4
		.amdhsa_reserve_vcc 0
		.amdhsa_float_round_mode_32 0
		.amdhsa_float_round_mode_16_64 0
		.amdhsa_float_denorm_mode_32 3
		.amdhsa_float_denorm_mode_16_64 3
		.amdhsa_dx10_clamp 1
		.amdhsa_ieee_mode 1
		.amdhsa_fp16_overflow 0
		.amdhsa_tg_split 0
		.amdhsa_exception_fp_ieee_invalid_op 0
		.amdhsa_exception_fp_denorm_src 0
		.amdhsa_exception_fp_ieee_div_zero 0
		.amdhsa_exception_fp_ieee_overflow 0
		.amdhsa_exception_fp_ieee_underflow 0
		.amdhsa_exception_fp_ieee_inexact 0
		.amdhsa_exception_int_div_zero 0
	.end_amdhsa_kernel
	.section	.text._ZN7rocprim17ROCPRIM_400000_NS6detail17trampoline_kernelINS0_14default_configENS1_27scan_by_key_config_selectorIj11FixedVectorIiLj1EEEEZZNS1_16scan_by_key_implILNS1_25lookback_scan_determinismE0ELb1ES3_N6thrust23THRUST_200600_302600_NS6detail15normal_iteratorINSB_10device_ptrIjEEEENSD_INSE_IS6_EEEESI_S6_NSB_4plusIvEENSB_8equal_toIvEES6_EE10hipError_tPvRmT2_T3_T4_T5_mT6_T7_P12ihipStream_tbENKUlT_T0_E_clISt17integral_constantIbLb1EES13_EEDaSY_SZ_EUlSY_E_NS1_11comp_targetILNS1_3genE2ELNS1_11target_archE906ELNS1_3gpuE6ELNS1_3repE0EEENS1_30default_config_static_selectorELNS0_4arch9wavefront6targetE1EEEvT1_,"axG",@progbits,_ZN7rocprim17ROCPRIM_400000_NS6detail17trampoline_kernelINS0_14default_configENS1_27scan_by_key_config_selectorIj11FixedVectorIiLj1EEEEZZNS1_16scan_by_key_implILNS1_25lookback_scan_determinismE0ELb1ES3_N6thrust23THRUST_200600_302600_NS6detail15normal_iteratorINSB_10device_ptrIjEEEENSD_INSE_IS6_EEEESI_S6_NSB_4plusIvEENSB_8equal_toIvEES6_EE10hipError_tPvRmT2_T3_T4_T5_mT6_T7_P12ihipStream_tbENKUlT_T0_E_clISt17integral_constantIbLb1EES13_EEDaSY_SZ_EUlSY_E_NS1_11comp_targetILNS1_3genE2ELNS1_11target_archE906ELNS1_3gpuE6ELNS1_3repE0EEENS1_30default_config_static_selectorELNS0_4arch9wavefront6targetE1EEEvT1_,comdat
.Lfunc_end1925:
	.size	_ZN7rocprim17ROCPRIM_400000_NS6detail17trampoline_kernelINS0_14default_configENS1_27scan_by_key_config_selectorIj11FixedVectorIiLj1EEEEZZNS1_16scan_by_key_implILNS1_25lookback_scan_determinismE0ELb1ES3_N6thrust23THRUST_200600_302600_NS6detail15normal_iteratorINSB_10device_ptrIjEEEENSD_INSE_IS6_EEEESI_S6_NSB_4plusIvEENSB_8equal_toIvEES6_EE10hipError_tPvRmT2_T3_T4_T5_mT6_T7_P12ihipStream_tbENKUlT_T0_E_clISt17integral_constantIbLb1EES13_EEDaSY_SZ_EUlSY_E_NS1_11comp_targetILNS1_3genE2ELNS1_11target_archE906ELNS1_3gpuE6ELNS1_3repE0EEENS1_30default_config_static_selectorELNS0_4arch9wavefront6targetE1EEEvT1_, .Lfunc_end1925-_ZN7rocprim17ROCPRIM_400000_NS6detail17trampoline_kernelINS0_14default_configENS1_27scan_by_key_config_selectorIj11FixedVectorIiLj1EEEEZZNS1_16scan_by_key_implILNS1_25lookback_scan_determinismE0ELb1ES3_N6thrust23THRUST_200600_302600_NS6detail15normal_iteratorINSB_10device_ptrIjEEEENSD_INSE_IS6_EEEESI_S6_NSB_4plusIvEENSB_8equal_toIvEES6_EE10hipError_tPvRmT2_T3_T4_T5_mT6_T7_P12ihipStream_tbENKUlT_T0_E_clISt17integral_constantIbLb1EES13_EEDaSY_SZ_EUlSY_E_NS1_11comp_targetILNS1_3genE2ELNS1_11target_archE906ELNS1_3gpuE6ELNS1_3repE0EEENS1_30default_config_static_selectorELNS0_4arch9wavefront6targetE1EEEvT1_
                                        ; -- End function
	.section	.AMDGPU.csdata,"",@progbits
; Kernel info:
; codeLenInByte = 0
; NumSgprs: 6
; NumVgprs: 0
; NumAgprs: 0
; TotalNumVgprs: 0
; ScratchSize: 0
; MemoryBound: 0
; FloatMode: 240
; IeeeMode: 1
; LDSByteSize: 0 bytes/workgroup (compile time only)
; SGPRBlocks: 0
; VGPRBlocks: 0
; NumSGPRsForWavesPerEU: 6
; NumVGPRsForWavesPerEU: 1
; AccumOffset: 4
; Occupancy: 8
; WaveLimiterHint : 0
; COMPUTE_PGM_RSRC2:SCRATCH_EN: 0
; COMPUTE_PGM_RSRC2:USER_SGPR: 2
; COMPUTE_PGM_RSRC2:TRAP_HANDLER: 0
; COMPUTE_PGM_RSRC2:TGID_X_EN: 1
; COMPUTE_PGM_RSRC2:TGID_Y_EN: 0
; COMPUTE_PGM_RSRC2:TGID_Z_EN: 0
; COMPUTE_PGM_RSRC2:TIDIG_COMP_CNT: 0
; COMPUTE_PGM_RSRC3_GFX90A:ACCUM_OFFSET: 0
; COMPUTE_PGM_RSRC3_GFX90A:TG_SPLIT: 0
	.section	.text._ZN7rocprim17ROCPRIM_400000_NS6detail17trampoline_kernelINS0_14default_configENS1_27scan_by_key_config_selectorIj11FixedVectorIiLj1EEEEZZNS1_16scan_by_key_implILNS1_25lookback_scan_determinismE0ELb1ES3_N6thrust23THRUST_200600_302600_NS6detail15normal_iteratorINSB_10device_ptrIjEEEENSD_INSE_IS6_EEEESI_S6_NSB_4plusIvEENSB_8equal_toIvEES6_EE10hipError_tPvRmT2_T3_T4_T5_mT6_T7_P12ihipStream_tbENKUlT_T0_E_clISt17integral_constantIbLb1EES13_EEDaSY_SZ_EUlSY_E_NS1_11comp_targetILNS1_3genE10ELNS1_11target_archE1200ELNS1_3gpuE4ELNS1_3repE0EEENS1_30default_config_static_selectorELNS0_4arch9wavefront6targetE1EEEvT1_,"axG",@progbits,_ZN7rocprim17ROCPRIM_400000_NS6detail17trampoline_kernelINS0_14default_configENS1_27scan_by_key_config_selectorIj11FixedVectorIiLj1EEEEZZNS1_16scan_by_key_implILNS1_25lookback_scan_determinismE0ELb1ES3_N6thrust23THRUST_200600_302600_NS6detail15normal_iteratorINSB_10device_ptrIjEEEENSD_INSE_IS6_EEEESI_S6_NSB_4plusIvEENSB_8equal_toIvEES6_EE10hipError_tPvRmT2_T3_T4_T5_mT6_T7_P12ihipStream_tbENKUlT_T0_E_clISt17integral_constantIbLb1EES13_EEDaSY_SZ_EUlSY_E_NS1_11comp_targetILNS1_3genE10ELNS1_11target_archE1200ELNS1_3gpuE4ELNS1_3repE0EEENS1_30default_config_static_selectorELNS0_4arch9wavefront6targetE1EEEvT1_,comdat
	.protected	_ZN7rocprim17ROCPRIM_400000_NS6detail17trampoline_kernelINS0_14default_configENS1_27scan_by_key_config_selectorIj11FixedVectorIiLj1EEEEZZNS1_16scan_by_key_implILNS1_25lookback_scan_determinismE0ELb1ES3_N6thrust23THRUST_200600_302600_NS6detail15normal_iteratorINSB_10device_ptrIjEEEENSD_INSE_IS6_EEEESI_S6_NSB_4plusIvEENSB_8equal_toIvEES6_EE10hipError_tPvRmT2_T3_T4_T5_mT6_T7_P12ihipStream_tbENKUlT_T0_E_clISt17integral_constantIbLb1EES13_EEDaSY_SZ_EUlSY_E_NS1_11comp_targetILNS1_3genE10ELNS1_11target_archE1200ELNS1_3gpuE4ELNS1_3repE0EEENS1_30default_config_static_selectorELNS0_4arch9wavefront6targetE1EEEvT1_ ; -- Begin function _ZN7rocprim17ROCPRIM_400000_NS6detail17trampoline_kernelINS0_14default_configENS1_27scan_by_key_config_selectorIj11FixedVectorIiLj1EEEEZZNS1_16scan_by_key_implILNS1_25lookback_scan_determinismE0ELb1ES3_N6thrust23THRUST_200600_302600_NS6detail15normal_iteratorINSB_10device_ptrIjEEEENSD_INSE_IS6_EEEESI_S6_NSB_4plusIvEENSB_8equal_toIvEES6_EE10hipError_tPvRmT2_T3_T4_T5_mT6_T7_P12ihipStream_tbENKUlT_T0_E_clISt17integral_constantIbLb1EES13_EEDaSY_SZ_EUlSY_E_NS1_11comp_targetILNS1_3genE10ELNS1_11target_archE1200ELNS1_3gpuE4ELNS1_3repE0EEENS1_30default_config_static_selectorELNS0_4arch9wavefront6targetE1EEEvT1_
	.globl	_ZN7rocprim17ROCPRIM_400000_NS6detail17trampoline_kernelINS0_14default_configENS1_27scan_by_key_config_selectorIj11FixedVectorIiLj1EEEEZZNS1_16scan_by_key_implILNS1_25lookback_scan_determinismE0ELb1ES3_N6thrust23THRUST_200600_302600_NS6detail15normal_iteratorINSB_10device_ptrIjEEEENSD_INSE_IS6_EEEESI_S6_NSB_4plusIvEENSB_8equal_toIvEES6_EE10hipError_tPvRmT2_T3_T4_T5_mT6_T7_P12ihipStream_tbENKUlT_T0_E_clISt17integral_constantIbLb1EES13_EEDaSY_SZ_EUlSY_E_NS1_11comp_targetILNS1_3genE10ELNS1_11target_archE1200ELNS1_3gpuE4ELNS1_3repE0EEENS1_30default_config_static_selectorELNS0_4arch9wavefront6targetE1EEEvT1_
	.p2align	8
	.type	_ZN7rocprim17ROCPRIM_400000_NS6detail17trampoline_kernelINS0_14default_configENS1_27scan_by_key_config_selectorIj11FixedVectorIiLj1EEEEZZNS1_16scan_by_key_implILNS1_25lookback_scan_determinismE0ELb1ES3_N6thrust23THRUST_200600_302600_NS6detail15normal_iteratorINSB_10device_ptrIjEEEENSD_INSE_IS6_EEEESI_S6_NSB_4plusIvEENSB_8equal_toIvEES6_EE10hipError_tPvRmT2_T3_T4_T5_mT6_T7_P12ihipStream_tbENKUlT_T0_E_clISt17integral_constantIbLb1EES13_EEDaSY_SZ_EUlSY_E_NS1_11comp_targetILNS1_3genE10ELNS1_11target_archE1200ELNS1_3gpuE4ELNS1_3repE0EEENS1_30default_config_static_selectorELNS0_4arch9wavefront6targetE1EEEvT1_,@function
_ZN7rocprim17ROCPRIM_400000_NS6detail17trampoline_kernelINS0_14default_configENS1_27scan_by_key_config_selectorIj11FixedVectorIiLj1EEEEZZNS1_16scan_by_key_implILNS1_25lookback_scan_determinismE0ELb1ES3_N6thrust23THRUST_200600_302600_NS6detail15normal_iteratorINSB_10device_ptrIjEEEENSD_INSE_IS6_EEEESI_S6_NSB_4plusIvEENSB_8equal_toIvEES6_EE10hipError_tPvRmT2_T3_T4_T5_mT6_T7_P12ihipStream_tbENKUlT_T0_E_clISt17integral_constantIbLb1EES13_EEDaSY_SZ_EUlSY_E_NS1_11comp_targetILNS1_3genE10ELNS1_11target_archE1200ELNS1_3gpuE4ELNS1_3repE0EEENS1_30default_config_static_selectorELNS0_4arch9wavefront6targetE1EEEvT1_: ; @_ZN7rocprim17ROCPRIM_400000_NS6detail17trampoline_kernelINS0_14default_configENS1_27scan_by_key_config_selectorIj11FixedVectorIiLj1EEEEZZNS1_16scan_by_key_implILNS1_25lookback_scan_determinismE0ELb1ES3_N6thrust23THRUST_200600_302600_NS6detail15normal_iteratorINSB_10device_ptrIjEEEENSD_INSE_IS6_EEEESI_S6_NSB_4plusIvEENSB_8equal_toIvEES6_EE10hipError_tPvRmT2_T3_T4_T5_mT6_T7_P12ihipStream_tbENKUlT_T0_E_clISt17integral_constantIbLb1EES13_EEDaSY_SZ_EUlSY_E_NS1_11comp_targetILNS1_3genE10ELNS1_11target_archE1200ELNS1_3gpuE4ELNS1_3repE0EEENS1_30default_config_static_selectorELNS0_4arch9wavefront6targetE1EEEvT1_
; %bb.0:
	.section	.rodata,"a",@progbits
	.p2align	6, 0x0
	.amdhsa_kernel _ZN7rocprim17ROCPRIM_400000_NS6detail17trampoline_kernelINS0_14default_configENS1_27scan_by_key_config_selectorIj11FixedVectorIiLj1EEEEZZNS1_16scan_by_key_implILNS1_25lookback_scan_determinismE0ELb1ES3_N6thrust23THRUST_200600_302600_NS6detail15normal_iteratorINSB_10device_ptrIjEEEENSD_INSE_IS6_EEEESI_S6_NSB_4plusIvEENSB_8equal_toIvEES6_EE10hipError_tPvRmT2_T3_T4_T5_mT6_T7_P12ihipStream_tbENKUlT_T0_E_clISt17integral_constantIbLb1EES13_EEDaSY_SZ_EUlSY_E_NS1_11comp_targetILNS1_3genE10ELNS1_11target_archE1200ELNS1_3gpuE4ELNS1_3repE0EEENS1_30default_config_static_selectorELNS0_4arch9wavefront6targetE1EEEvT1_
		.amdhsa_group_segment_fixed_size 0
		.amdhsa_private_segment_fixed_size 0
		.amdhsa_kernarg_size 112
		.amdhsa_user_sgpr_count 2
		.amdhsa_user_sgpr_dispatch_ptr 0
		.amdhsa_user_sgpr_queue_ptr 0
		.amdhsa_user_sgpr_kernarg_segment_ptr 1
		.amdhsa_user_sgpr_dispatch_id 0
		.amdhsa_user_sgpr_kernarg_preload_length 0
		.amdhsa_user_sgpr_kernarg_preload_offset 0
		.amdhsa_user_sgpr_private_segment_size 0
		.amdhsa_uses_dynamic_stack 0
		.amdhsa_enable_private_segment 0
		.amdhsa_system_sgpr_workgroup_id_x 1
		.amdhsa_system_sgpr_workgroup_id_y 0
		.amdhsa_system_sgpr_workgroup_id_z 0
		.amdhsa_system_sgpr_workgroup_info 0
		.amdhsa_system_vgpr_workitem_id 0
		.amdhsa_next_free_vgpr 1
		.amdhsa_next_free_sgpr 0
		.amdhsa_accum_offset 4
		.amdhsa_reserve_vcc 0
		.amdhsa_float_round_mode_32 0
		.amdhsa_float_round_mode_16_64 0
		.amdhsa_float_denorm_mode_32 3
		.amdhsa_float_denorm_mode_16_64 3
		.amdhsa_dx10_clamp 1
		.amdhsa_ieee_mode 1
		.amdhsa_fp16_overflow 0
		.amdhsa_tg_split 0
		.amdhsa_exception_fp_ieee_invalid_op 0
		.amdhsa_exception_fp_denorm_src 0
		.amdhsa_exception_fp_ieee_div_zero 0
		.amdhsa_exception_fp_ieee_overflow 0
		.amdhsa_exception_fp_ieee_underflow 0
		.amdhsa_exception_fp_ieee_inexact 0
		.amdhsa_exception_int_div_zero 0
	.end_amdhsa_kernel
	.section	.text._ZN7rocprim17ROCPRIM_400000_NS6detail17trampoline_kernelINS0_14default_configENS1_27scan_by_key_config_selectorIj11FixedVectorIiLj1EEEEZZNS1_16scan_by_key_implILNS1_25lookback_scan_determinismE0ELb1ES3_N6thrust23THRUST_200600_302600_NS6detail15normal_iteratorINSB_10device_ptrIjEEEENSD_INSE_IS6_EEEESI_S6_NSB_4plusIvEENSB_8equal_toIvEES6_EE10hipError_tPvRmT2_T3_T4_T5_mT6_T7_P12ihipStream_tbENKUlT_T0_E_clISt17integral_constantIbLb1EES13_EEDaSY_SZ_EUlSY_E_NS1_11comp_targetILNS1_3genE10ELNS1_11target_archE1200ELNS1_3gpuE4ELNS1_3repE0EEENS1_30default_config_static_selectorELNS0_4arch9wavefront6targetE1EEEvT1_,"axG",@progbits,_ZN7rocprim17ROCPRIM_400000_NS6detail17trampoline_kernelINS0_14default_configENS1_27scan_by_key_config_selectorIj11FixedVectorIiLj1EEEEZZNS1_16scan_by_key_implILNS1_25lookback_scan_determinismE0ELb1ES3_N6thrust23THRUST_200600_302600_NS6detail15normal_iteratorINSB_10device_ptrIjEEEENSD_INSE_IS6_EEEESI_S6_NSB_4plusIvEENSB_8equal_toIvEES6_EE10hipError_tPvRmT2_T3_T4_T5_mT6_T7_P12ihipStream_tbENKUlT_T0_E_clISt17integral_constantIbLb1EES13_EEDaSY_SZ_EUlSY_E_NS1_11comp_targetILNS1_3genE10ELNS1_11target_archE1200ELNS1_3gpuE4ELNS1_3repE0EEENS1_30default_config_static_selectorELNS0_4arch9wavefront6targetE1EEEvT1_,comdat
.Lfunc_end1926:
	.size	_ZN7rocprim17ROCPRIM_400000_NS6detail17trampoline_kernelINS0_14default_configENS1_27scan_by_key_config_selectorIj11FixedVectorIiLj1EEEEZZNS1_16scan_by_key_implILNS1_25lookback_scan_determinismE0ELb1ES3_N6thrust23THRUST_200600_302600_NS6detail15normal_iteratorINSB_10device_ptrIjEEEENSD_INSE_IS6_EEEESI_S6_NSB_4plusIvEENSB_8equal_toIvEES6_EE10hipError_tPvRmT2_T3_T4_T5_mT6_T7_P12ihipStream_tbENKUlT_T0_E_clISt17integral_constantIbLb1EES13_EEDaSY_SZ_EUlSY_E_NS1_11comp_targetILNS1_3genE10ELNS1_11target_archE1200ELNS1_3gpuE4ELNS1_3repE0EEENS1_30default_config_static_selectorELNS0_4arch9wavefront6targetE1EEEvT1_, .Lfunc_end1926-_ZN7rocprim17ROCPRIM_400000_NS6detail17trampoline_kernelINS0_14default_configENS1_27scan_by_key_config_selectorIj11FixedVectorIiLj1EEEEZZNS1_16scan_by_key_implILNS1_25lookback_scan_determinismE0ELb1ES3_N6thrust23THRUST_200600_302600_NS6detail15normal_iteratorINSB_10device_ptrIjEEEENSD_INSE_IS6_EEEESI_S6_NSB_4plusIvEENSB_8equal_toIvEES6_EE10hipError_tPvRmT2_T3_T4_T5_mT6_T7_P12ihipStream_tbENKUlT_T0_E_clISt17integral_constantIbLb1EES13_EEDaSY_SZ_EUlSY_E_NS1_11comp_targetILNS1_3genE10ELNS1_11target_archE1200ELNS1_3gpuE4ELNS1_3repE0EEENS1_30default_config_static_selectorELNS0_4arch9wavefront6targetE1EEEvT1_
                                        ; -- End function
	.section	.AMDGPU.csdata,"",@progbits
; Kernel info:
; codeLenInByte = 0
; NumSgprs: 6
; NumVgprs: 0
; NumAgprs: 0
; TotalNumVgprs: 0
; ScratchSize: 0
; MemoryBound: 0
; FloatMode: 240
; IeeeMode: 1
; LDSByteSize: 0 bytes/workgroup (compile time only)
; SGPRBlocks: 0
; VGPRBlocks: 0
; NumSGPRsForWavesPerEU: 6
; NumVGPRsForWavesPerEU: 1
; AccumOffset: 4
; Occupancy: 8
; WaveLimiterHint : 0
; COMPUTE_PGM_RSRC2:SCRATCH_EN: 0
; COMPUTE_PGM_RSRC2:USER_SGPR: 2
; COMPUTE_PGM_RSRC2:TRAP_HANDLER: 0
; COMPUTE_PGM_RSRC2:TGID_X_EN: 1
; COMPUTE_PGM_RSRC2:TGID_Y_EN: 0
; COMPUTE_PGM_RSRC2:TGID_Z_EN: 0
; COMPUTE_PGM_RSRC2:TIDIG_COMP_CNT: 0
; COMPUTE_PGM_RSRC3_GFX90A:ACCUM_OFFSET: 0
; COMPUTE_PGM_RSRC3_GFX90A:TG_SPLIT: 0
	.section	.text._ZN7rocprim17ROCPRIM_400000_NS6detail17trampoline_kernelINS0_14default_configENS1_27scan_by_key_config_selectorIj11FixedVectorIiLj1EEEEZZNS1_16scan_by_key_implILNS1_25lookback_scan_determinismE0ELb1ES3_N6thrust23THRUST_200600_302600_NS6detail15normal_iteratorINSB_10device_ptrIjEEEENSD_INSE_IS6_EEEESI_S6_NSB_4plusIvEENSB_8equal_toIvEES6_EE10hipError_tPvRmT2_T3_T4_T5_mT6_T7_P12ihipStream_tbENKUlT_T0_E_clISt17integral_constantIbLb1EES13_EEDaSY_SZ_EUlSY_E_NS1_11comp_targetILNS1_3genE9ELNS1_11target_archE1100ELNS1_3gpuE3ELNS1_3repE0EEENS1_30default_config_static_selectorELNS0_4arch9wavefront6targetE1EEEvT1_,"axG",@progbits,_ZN7rocprim17ROCPRIM_400000_NS6detail17trampoline_kernelINS0_14default_configENS1_27scan_by_key_config_selectorIj11FixedVectorIiLj1EEEEZZNS1_16scan_by_key_implILNS1_25lookback_scan_determinismE0ELb1ES3_N6thrust23THRUST_200600_302600_NS6detail15normal_iteratorINSB_10device_ptrIjEEEENSD_INSE_IS6_EEEESI_S6_NSB_4plusIvEENSB_8equal_toIvEES6_EE10hipError_tPvRmT2_T3_T4_T5_mT6_T7_P12ihipStream_tbENKUlT_T0_E_clISt17integral_constantIbLb1EES13_EEDaSY_SZ_EUlSY_E_NS1_11comp_targetILNS1_3genE9ELNS1_11target_archE1100ELNS1_3gpuE3ELNS1_3repE0EEENS1_30default_config_static_selectorELNS0_4arch9wavefront6targetE1EEEvT1_,comdat
	.protected	_ZN7rocprim17ROCPRIM_400000_NS6detail17trampoline_kernelINS0_14default_configENS1_27scan_by_key_config_selectorIj11FixedVectorIiLj1EEEEZZNS1_16scan_by_key_implILNS1_25lookback_scan_determinismE0ELb1ES3_N6thrust23THRUST_200600_302600_NS6detail15normal_iteratorINSB_10device_ptrIjEEEENSD_INSE_IS6_EEEESI_S6_NSB_4plusIvEENSB_8equal_toIvEES6_EE10hipError_tPvRmT2_T3_T4_T5_mT6_T7_P12ihipStream_tbENKUlT_T0_E_clISt17integral_constantIbLb1EES13_EEDaSY_SZ_EUlSY_E_NS1_11comp_targetILNS1_3genE9ELNS1_11target_archE1100ELNS1_3gpuE3ELNS1_3repE0EEENS1_30default_config_static_selectorELNS0_4arch9wavefront6targetE1EEEvT1_ ; -- Begin function _ZN7rocprim17ROCPRIM_400000_NS6detail17trampoline_kernelINS0_14default_configENS1_27scan_by_key_config_selectorIj11FixedVectorIiLj1EEEEZZNS1_16scan_by_key_implILNS1_25lookback_scan_determinismE0ELb1ES3_N6thrust23THRUST_200600_302600_NS6detail15normal_iteratorINSB_10device_ptrIjEEEENSD_INSE_IS6_EEEESI_S6_NSB_4plusIvEENSB_8equal_toIvEES6_EE10hipError_tPvRmT2_T3_T4_T5_mT6_T7_P12ihipStream_tbENKUlT_T0_E_clISt17integral_constantIbLb1EES13_EEDaSY_SZ_EUlSY_E_NS1_11comp_targetILNS1_3genE9ELNS1_11target_archE1100ELNS1_3gpuE3ELNS1_3repE0EEENS1_30default_config_static_selectorELNS0_4arch9wavefront6targetE1EEEvT1_
	.globl	_ZN7rocprim17ROCPRIM_400000_NS6detail17trampoline_kernelINS0_14default_configENS1_27scan_by_key_config_selectorIj11FixedVectorIiLj1EEEEZZNS1_16scan_by_key_implILNS1_25lookback_scan_determinismE0ELb1ES3_N6thrust23THRUST_200600_302600_NS6detail15normal_iteratorINSB_10device_ptrIjEEEENSD_INSE_IS6_EEEESI_S6_NSB_4plusIvEENSB_8equal_toIvEES6_EE10hipError_tPvRmT2_T3_T4_T5_mT6_T7_P12ihipStream_tbENKUlT_T0_E_clISt17integral_constantIbLb1EES13_EEDaSY_SZ_EUlSY_E_NS1_11comp_targetILNS1_3genE9ELNS1_11target_archE1100ELNS1_3gpuE3ELNS1_3repE0EEENS1_30default_config_static_selectorELNS0_4arch9wavefront6targetE1EEEvT1_
	.p2align	8
	.type	_ZN7rocprim17ROCPRIM_400000_NS6detail17trampoline_kernelINS0_14default_configENS1_27scan_by_key_config_selectorIj11FixedVectorIiLj1EEEEZZNS1_16scan_by_key_implILNS1_25lookback_scan_determinismE0ELb1ES3_N6thrust23THRUST_200600_302600_NS6detail15normal_iteratorINSB_10device_ptrIjEEEENSD_INSE_IS6_EEEESI_S6_NSB_4plusIvEENSB_8equal_toIvEES6_EE10hipError_tPvRmT2_T3_T4_T5_mT6_T7_P12ihipStream_tbENKUlT_T0_E_clISt17integral_constantIbLb1EES13_EEDaSY_SZ_EUlSY_E_NS1_11comp_targetILNS1_3genE9ELNS1_11target_archE1100ELNS1_3gpuE3ELNS1_3repE0EEENS1_30default_config_static_selectorELNS0_4arch9wavefront6targetE1EEEvT1_,@function
_ZN7rocprim17ROCPRIM_400000_NS6detail17trampoline_kernelINS0_14default_configENS1_27scan_by_key_config_selectorIj11FixedVectorIiLj1EEEEZZNS1_16scan_by_key_implILNS1_25lookback_scan_determinismE0ELb1ES3_N6thrust23THRUST_200600_302600_NS6detail15normal_iteratorINSB_10device_ptrIjEEEENSD_INSE_IS6_EEEESI_S6_NSB_4plusIvEENSB_8equal_toIvEES6_EE10hipError_tPvRmT2_T3_T4_T5_mT6_T7_P12ihipStream_tbENKUlT_T0_E_clISt17integral_constantIbLb1EES13_EEDaSY_SZ_EUlSY_E_NS1_11comp_targetILNS1_3genE9ELNS1_11target_archE1100ELNS1_3gpuE3ELNS1_3repE0EEENS1_30default_config_static_selectorELNS0_4arch9wavefront6targetE1EEEvT1_: ; @_ZN7rocprim17ROCPRIM_400000_NS6detail17trampoline_kernelINS0_14default_configENS1_27scan_by_key_config_selectorIj11FixedVectorIiLj1EEEEZZNS1_16scan_by_key_implILNS1_25lookback_scan_determinismE0ELb1ES3_N6thrust23THRUST_200600_302600_NS6detail15normal_iteratorINSB_10device_ptrIjEEEENSD_INSE_IS6_EEEESI_S6_NSB_4plusIvEENSB_8equal_toIvEES6_EE10hipError_tPvRmT2_T3_T4_T5_mT6_T7_P12ihipStream_tbENKUlT_T0_E_clISt17integral_constantIbLb1EES13_EEDaSY_SZ_EUlSY_E_NS1_11comp_targetILNS1_3genE9ELNS1_11target_archE1100ELNS1_3gpuE3ELNS1_3repE0EEENS1_30default_config_static_selectorELNS0_4arch9wavefront6targetE1EEEvT1_
; %bb.0:
	.section	.rodata,"a",@progbits
	.p2align	6, 0x0
	.amdhsa_kernel _ZN7rocprim17ROCPRIM_400000_NS6detail17trampoline_kernelINS0_14default_configENS1_27scan_by_key_config_selectorIj11FixedVectorIiLj1EEEEZZNS1_16scan_by_key_implILNS1_25lookback_scan_determinismE0ELb1ES3_N6thrust23THRUST_200600_302600_NS6detail15normal_iteratorINSB_10device_ptrIjEEEENSD_INSE_IS6_EEEESI_S6_NSB_4plusIvEENSB_8equal_toIvEES6_EE10hipError_tPvRmT2_T3_T4_T5_mT6_T7_P12ihipStream_tbENKUlT_T0_E_clISt17integral_constantIbLb1EES13_EEDaSY_SZ_EUlSY_E_NS1_11comp_targetILNS1_3genE9ELNS1_11target_archE1100ELNS1_3gpuE3ELNS1_3repE0EEENS1_30default_config_static_selectorELNS0_4arch9wavefront6targetE1EEEvT1_
		.amdhsa_group_segment_fixed_size 0
		.amdhsa_private_segment_fixed_size 0
		.amdhsa_kernarg_size 112
		.amdhsa_user_sgpr_count 2
		.amdhsa_user_sgpr_dispatch_ptr 0
		.amdhsa_user_sgpr_queue_ptr 0
		.amdhsa_user_sgpr_kernarg_segment_ptr 1
		.amdhsa_user_sgpr_dispatch_id 0
		.amdhsa_user_sgpr_kernarg_preload_length 0
		.amdhsa_user_sgpr_kernarg_preload_offset 0
		.amdhsa_user_sgpr_private_segment_size 0
		.amdhsa_uses_dynamic_stack 0
		.amdhsa_enable_private_segment 0
		.amdhsa_system_sgpr_workgroup_id_x 1
		.amdhsa_system_sgpr_workgroup_id_y 0
		.amdhsa_system_sgpr_workgroup_id_z 0
		.amdhsa_system_sgpr_workgroup_info 0
		.amdhsa_system_vgpr_workitem_id 0
		.amdhsa_next_free_vgpr 1
		.amdhsa_next_free_sgpr 0
		.amdhsa_accum_offset 4
		.amdhsa_reserve_vcc 0
		.amdhsa_float_round_mode_32 0
		.amdhsa_float_round_mode_16_64 0
		.amdhsa_float_denorm_mode_32 3
		.amdhsa_float_denorm_mode_16_64 3
		.amdhsa_dx10_clamp 1
		.amdhsa_ieee_mode 1
		.amdhsa_fp16_overflow 0
		.amdhsa_tg_split 0
		.amdhsa_exception_fp_ieee_invalid_op 0
		.amdhsa_exception_fp_denorm_src 0
		.amdhsa_exception_fp_ieee_div_zero 0
		.amdhsa_exception_fp_ieee_overflow 0
		.amdhsa_exception_fp_ieee_underflow 0
		.amdhsa_exception_fp_ieee_inexact 0
		.amdhsa_exception_int_div_zero 0
	.end_amdhsa_kernel
	.section	.text._ZN7rocprim17ROCPRIM_400000_NS6detail17trampoline_kernelINS0_14default_configENS1_27scan_by_key_config_selectorIj11FixedVectorIiLj1EEEEZZNS1_16scan_by_key_implILNS1_25lookback_scan_determinismE0ELb1ES3_N6thrust23THRUST_200600_302600_NS6detail15normal_iteratorINSB_10device_ptrIjEEEENSD_INSE_IS6_EEEESI_S6_NSB_4plusIvEENSB_8equal_toIvEES6_EE10hipError_tPvRmT2_T3_T4_T5_mT6_T7_P12ihipStream_tbENKUlT_T0_E_clISt17integral_constantIbLb1EES13_EEDaSY_SZ_EUlSY_E_NS1_11comp_targetILNS1_3genE9ELNS1_11target_archE1100ELNS1_3gpuE3ELNS1_3repE0EEENS1_30default_config_static_selectorELNS0_4arch9wavefront6targetE1EEEvT1_,"axG",@progbits,_ZN7rocprim17ROCPRIM_400000_NS6detail17trampoline_kernelINS0_14default_configENS1_27scan_by_key_config_selectorIj11FixedVectorIiLj1EEEEZZNS1_16scan_by_key_implILNS1_25lookback_scan_determinismE0ELb1ES3_N6thrust23THRUST_200600_302600_NS6detail15normal_iteratorINSB_10device_ptrIjEEEENSD_INSE_IS6_EEEESI_S6_NSB_4plusIvEENSB_8equal_toIvEES6_EE10hipError_tPvRmT2_T3_T4_T5_mT6_T7_P12ihipStream_tbENKUlT_T0_E_clISt17integral_constantIbLb1EES13_EEDaSY_SZ_EUlSY_E_NS1_11comp_targetILNS1_3genE9ELNS1_11target_archE1100ELNS1_3gpuE3ELNS1_3repE0EEENS1_30default_config_static_selectorELNS0_4arch9wavefront6targetE1EEEvT1_,comdat
.Lfunc_end1927:
	.size	_ZN7rocprim17ROCPRIM_400000_NS6detail17trampoline_kernelINS0_14default_configENS1_27scan_by_key_config_selectorIj11FixedVectorIiLj1EEEEZZNS1_16scan_by_key_implILNS1_25lookback_scan_determinismE0ELb1ES3_N6thrust23THRUST_200600_302600_NS6detail15normal_iteratorINSB_10device_ptrIjEEEENSD_INSE_IS6_EEEESI_S6_NSB_4plusIvEENSB_8equal_toIvEES6_EE10hipError_tPvRmT2_T3_T4_T5_mT6_T7_P12ihipStream_tbENKUlT_T0_E_clISt17integral_constantIbLb1EES13_EEDaSY_SZ_EUlSY_E_NS1_11comp_targetILNS1_3genE9ELNS1_11target_archE1100ELNS1_3gpuE3ELNS1_3repE0EEENS1_30default_config_static_selectorELNS0_4arch9wavefront6targetE1EEEvT1_, .Lfunc_end1927-_ZN7rocprim17ROCPRIM_400000_NS6detail17trampoline_kernelINS0_14default_configENS1_27scan_by_key_config_selectorIj11FixedVectorIiLj1EEEEZZNS1_16scan_by_key_implILNS1_25lookback_scan_determinismE0ELb1ES3_N6thrust23THRUST_200600_302600_NS6detail15normal_iteratorINSB_10device_ptrIjEEEENSD_INSE_IS6_EEEESI_S6_NSB_4plusIvEENSB_8equal_toIvEES6_EE10hipError_tPvRmT2_T3_T4_T5_mT6_T7_P12ihipStream_tbENKUlT_T0_E_clISt17integral_constantIbLb1EES13_EEDaSY_SZ_EUlSY_E_NS1_11comp_targetILNS1_3genE9ELNS1_11target_archE1100ELNS1_3gpuE3ELNS1_3repE0EEENS1_30default_config_static_selectorELNS0_4arch9wavefront6targetE1EEEvT1_
                                        ; -- End function
	.section	.AMDGPU.csdata,"",@progbits
; Kernel info:
; codeLenInByte = 0
; NumSgprs: 6
; NumVgprs: 0
; NumAgprs: 0
; TotalNumVgprs: 0
; ScratchSize: 0
; MemoryBound: 0
; FloatMode: 240
; IeeeMode: 1
; LDSByteSize: 0 bytes/workgroup (compile time only)
; SGPRBlocks: 0
; VGPRBlocks: 0
; NumSGPRsForWavesPerEU: 6
; NumVGPRsForWavesPerEU: 1
; AccumOffset: 4
; Occupancy: 8
; WaveLimiterHint : 0
; COMPUTE_PGM_RSRC2:SCRATCH_EN: 0
; COMPUTE_PGM_RSRC2:USER_SGPR: 2
; COMPUTE_PGM_RSRC2:TRAP_HANDLER: 0
; COMPUTE_PGM_RSRC2:TGID_X_EN: 1
; COMPUTE_PGM_RSRC2:TGID_Y_EN: 0
; COMPUTE_PGM_RSRC2:TGID_Z_EN: 0
; COMPUTE_PGM_RSRC2:TIDIG_COMP_CNT: 0
; COMPUTE_PGM_RSRC3_GFX90A:ACCUM_OFFSET: 0
; COMPUTE_PGM_RSRC3_GFX90A:TG_SPLIT: 0
	.section	.text._ZN7rocprim17ROCPRIM_400000_NS6detail17trampoline_kernelINS0_14default_configENS1_27scan_by_key_config_selectorIj11FixedVectorIiLj1EEEEZZNS1_16scan_by_key_implILNS1_25lookback_scan_determinismE0ELb1ES3_N6thrust23THRUST_200600_302600_NS6detail15normal_iteratorINSB_10device_ptrIjEEEENSD_INSE_IS6_EEEESI_S6_NSB_4plusIvEENSB_8equal_toIvEES6_EE10hipError_tPvRmT2_T3_T4_T5_mT6_T7_P12ihipStream_tbENKUlT_T0_E_clISt17integral_constantIbLb1EES13_EEDaSY_SZ_EUlSY_E_NS1_11comp_targetILNS1_3genE8ELNS1_11target_archE1030ELNS1_3gpuE2ELNS1_3repE0EEENS1_30default_config_static_selectorELNS0_4arch9wavefront6targetE1EEEvT1_,"axG",@progbits,_ZN7rocprim17ROCPRIM_400000_NS6detail17trampoline_kernelINS0_14default_configENS1_27scan_by_key_config_selectorIj11FixedVectorIiLj1EEEEZZNS1_16scan_by_key_implILNS1_25lookback_scan_determinismE0ELb1ES3_N6thrust23THRUST_200600_302600_NS6detail15normal_iteratorINSB_10device_ptrIjEEEENSD_INSE_IS6_EEEESI_S6_NSB_4plusIvEENSB_8equal_toIvEES6_EE10hipError_tPvRmT2_T3_T4_T5_mT6_T7_P12ihipStream_tbENKUlT_T0_E_clISt17integral_constantIbLb1EES13_EEDaSY_SZ_EUlSY_E_NS1_11comp_targetILNS1_3genE8ELNS1_11target_archE1030ELNS1_3gpuE2ELNS1_3repE0EEENS1_30default_config_static_selectorELNS0_4arch9wavefront6targetE1EEEvT1_,comdat
	.protected	_ZN7rocprim17ROCPRIM_400000_NS6detail17trampoline_kernelINS0_14default_configENS1_27scan_by_key_config_selectorIj11FixedVectorIiLj1EEEEZZNS1_16scan_by_key_implILNS1_25lookback_scan_determinismE0ELb1ES3_N6thrust23THRUST_200600_302600_NS6detail15normal_iteratorINSB_10device_ptrIjEEEENSD_INSE_IS6_EEEESI_S6_NSB_4plusIvEENSB_8equal_toIvEES6_EE10hipError_tPvRmT2_T3_T4_T5_mT6_T7_P12ihipStream_tbENKUlT_T0_E_clISt17integral_constantIbLb1EES13_EEDaSY_SZ_EUlSY_E_NS1_11comp_targetILNS1_3genE8ELNS1_11target_archE1030ELNS1_3gpuE2ELNS1_3repE0EEENS1_30default_config_static_selectorELNS0_4arch9wavefront6targetE1EEEvT1_ ; -- Begin function _ZN7rocprim17ROCPRIM_400000_NS6detail17trampoline_kernelINS0_14default_configENS1_27scan_by_key_config_selectorIj11FixedVectorIiLj1EEEEZZNS1_16scan_by_key_implILNS1_25lookback_scan_determinismE0ELb1ES3_N6thrust23THRUST_200600_302600_NS6detail15normal_iteratorINSB_10device_ptrIjEEEENSD_INSE_IS6_EEEESI_S6_NSB_4plusIvEENSB_8equal_toIvEES6_EE10hipError_tPvRmT2_T3_T4_T5_mT6_T7_P12ihipStream_tbENKUlT_T0_E_clISt17integral_constantIbLb1EES13_EEDaSY_SZ_EUlSY_E_NS1_11comp_targetILNS1_3genE8ELNS1_11target_archE1030ELNS1_3gpuE2ELNS1_3repE0EEENS1_30default_config_static_selectorELNS0_4arch9wavefront6targetE1EEEvT1_
	.globl	_ZN7rocprim17ROCPRIM_400000_NS6detail17trampoline_kernelINS0_14default_configENS1_27scan_by_key_config_selectorIj11FixedVectorIiLj1EEEEZZNS1_16scan_by_key_implILNS1_25lookback_scan_determinismE0ELb1ES3_N6thrust23THRUST_200600_302600_NS6detail15normal_iteratorINSB_10device_ptrIjEEEENSD_INSE_IS6_EEEESI_S6_NSB_4plusIvEENSB_8equal_toIvEES6_EE10hipError_tPvRmT2_T3_T4_T5_mT6_T7_P12ihipStream_tbENKUlT_T0_E_clISt17integral_constantIbLb1EES13_EEDaSY_SZ_EUlSY_E_NS1_11comp_targetILNS1_3genE8ELNS1_11target_archE1030ELNS1_3gpuE2ELNS1_3repE0EEENS1_30default_config_static_selectorELNS0_4arch9wavefront6targetE1EEEvT1_
	.p2align	8
	.type	_ZN7rocprim17ROCPRIM_400000_NS6detail17trampoline_kernelINS0_14default_configENS1_27scan_by_key_config_selectorIj11FixedVectorIiLj1EEEEZZNS1_16scan_by_key_implILNS1_25lookback_scan_determinismE0ELb1ES3_N6thrust23THRUST_200600_302600_NS6detail15normal_iteratorINSB_10device_ptrIjEEEENSD_INSE_IS6_EEEESI_S6_NSB_4plusIvEENSB_8equal_toIvEES6_EE10hipError_tPvRmT2_T3_T4_T5_mT6_T7_P12ihipStream_tbENKUlT_T0_E_clISt17integral_constantIbLb1EES13_EEDaSY_SZ_EUlSY_E_NS1_11comp_targetILNS1_3genE8ELNS1_11target_archE1030ELNS1_3gpuE2ELNS1_3repE0EEENS1_30default_config_static_selectorELNS0_4arch9wavefront6targetE1EEEvT1_,@function
_ZN7rocprim17ROCPRIM_400000_NS6detail17trampoline_kernelINS0_14default_configENS1_27scan_by_key_config_selectorIj11FixedVectorIiLj1EEEEZZNS1_16scan_by_key_implILNS1_25lookback_scan_determinismE0ELb1ES3_N6thrust23THRUST_200600_302600_NS6detail15normal_iteratorINSB_10device_ptrIjEEEENSD_INSE_IS6_EEEESI_S6_NSB_4plusIvEENSB_8equal_toIvEES6_EE10hipError_tPvRmT2_T3_T4_T5_mT6_T7_P12ihipStream_tbENKUlT_T0_E_clISt17integral_constantIbLb1EES13_EEDaSY_SZ_EUlSY_E_NS1_11comp_targetILNS1_3genE8ELNS1_11target_archE1030ELNS1_3gpuE2ELNS1_3repE0EEENS1_30default_config_static_selectorELNS0_4arch9wavefront6targetE1EEEvT1_: ; @_ZN7rocprim17ROCPRIM_400000_NS6detail17trampoline_kernelINS0_14default_configENS1_27scan_by_key_config_selectorIj11FixedVectorIiLj1EEEEZZNS1_16scan_by_key_implILNS1_25lookback_scan_determinismE0ELb1ES3_N6thrust23THRUST_200600_302600_NS6detail15normal_iteratorINSB_10device_ptrIjEEEENSD_INSE_IS6_EEEESI_S6_NSB_4plusIvEENSB_8equal_toIvEES6_EE10hipError_tPvRmT2_T3_T4_T5_mT6_T7_P12ihipStream_tbENKUlT_T0_E_clISt17integral_constantIbLb1EES13_EEDaSY_SZ_EUlSY_E_NS1_11comp_targetILNS1_3genE8ELNS1_11target_archE1030ELNS1_3gpuE2ELNS1_3repE0EEENS1_30default_config_static_selectorELNS0_4arch9wavefront6targetE1EEEvT1_
; %bb.0:
	.section	.rodata,"a",@progbits
	.p2align	6, 0x0
	.amdhsa_kernel _ZN7rocprim17ROCPRIM_400000_NS6detail17trampoline_kernelINS0_14default_configENS1_27scan_by_key_config_selectorIj11FixedVectorIiLj1EEEEZZNS1_16scan_by_key_implILNS1_25lookback_scan_determinismE0ELb1ES3_N6thrust23THRUST_200600_302600_NS6detail15normal_iteratorINSB_10device_ptrIjEEEENSD_INSE_IS6_EEEESI_S6_NSB_4plusIvEENSB_8equal_toIvEES6_EE10hipError_tPvRmT2_T3_T4_T5_mT6_T7_P12ihipStream_tbENKUlT_T0_E_clISt17integral_constantIbLb1EES13_EEDaSY_SZ_EUlSY_E_NS1_11comp_targetILNS1_3genE8ELNS1_11target_archE1030ELNS1_3gpuE2ELNS1_3repE0EEENS1_30default_config_static_selectorELNS0_4arch9wavefront6targetE1EEEvT1_
		.amdhsa_group_segment_fixed_size 0
		.amdhsa_private_segment_fixed_size 0
		.amdhsa_kernarg_size 112
		.amdhsa_user_sgpr_count 2
		.amdhsa_user_sgpr_dispatch_ptr 0
		.amdhsa_user_sgpr_queue_ptr 0
		.amdhsa_user_sgpr_kernarg_segment_ptr 1
		.amdhsa_user_sgpr_dispatch_id 0
		.amdhsa_user_sgpr_kernarg_preload_length 0
		.amdhsa_user_sgpr_kernarg_preload_offset 0
		.amdhsa_user_sgpr_private_segment_size 0
		.amdhsa_uses_dynamic_stack 0
		.amdhsa_enable_private_segment 0
		.amdhsa_system_sgpr_workgroup_id_x 1
		.amdhsa_system_sgpr_workgroup_id_y 0
		.amdhsa_system_sgpr_workgroup_id_z 0
		.amdhsa_system_sgpr_workgroup_info 0
		.amdhsa_system_vgpr_workitem_id 0
		.amdhsa_next_free_vgpr 1
		.amdhsa_next_free_sgpr 0
		.amdhsa_accum_offset 4
		.amdhsa_reserve_vcc 0
		.amdhsa_float_round_mode_32 0
		.amdhsa_float_round_mode_16_64 0
		.amdhsa_float_denorm_mode_32 3
		.amdhsa_float_denorm_mode_16_64 3
		.amdhsa_dx10_clamp 1
		.amdhsa_ieee_mode 1
		.amdhsa_fp16_overflow 0
		.amdhsa_tg_split 0
		.amdhsa_exception_fp_ieee_invalid_op 0
		.amdhsa_exception_fp_denorm_src 0
		.amdhsa_exception_fp_ieee_div_zero 0
		.amdhsa_exception_fp_ieee_overflow 0
		.amdhsa_exception_fp_ieee_underflow 0
		.amdhsa_exception_fp_ieee_inexact 0
		.amdhsa_exception_int_div_zero 0
	.end_amdhsa_kernel
	.section	.text._ZN7rocprim17ROCPRIM_400000_NS6detail17trampoline_kernelINS0_14default_configENS1_27scan_by_key_config_selectorIj11FixedVectorIiLj1EEEEZZNS1_16scan_by_key_implILNS1_25lookback_scan_determinismE0ELb1ES3_N6thrust23THRUST_200600_302600_NS6detail15normal_iteratorINSB_10device_ptrIjEEEENSD_INSE_IS6_EEEESI_S6_NSB_4plusIvEENSB_8equal_toIvEES6_EE10hipError_tPvRmT2_T3_T4_T5_mT6_T7_P12ihipStream_tbENKUlT_T0_E_clISt17integral_constantIbLb1EES13_EEDaSY_SZ_EUlSY_E_NS1_11comp_targetILNS1_3genE8ELNS1_11target_archE1030ELNS1_3gpuE2ELNS1_3repE0EEENS1_30default_config_static_selectorELNS0_4arch9wavefront6targetE1EEEvT1_,"axG",@progbits,_ZN7rocprim17ROCPRIM_400000_NS6detail17trampoline_kernelINS0_14default_configENS1_27scan_by_key_config_selectorIj11FixedVectorIiLj1EEEEZZNS1_16scan_by_key_implILNS1_25lookback_scan_determinismE0ELb1ES3_N6thrust23THRUST_200600_302600_NS6detail15normal_iteratorINSB_10device_ptrIjEEEENSD_INSE_IS6_EEEESI_S6_NSB_4plusIvEENSB_8equal_toIvEES6_EE10hipError_tPvRmT2_T3_T4_T5_mT6_T7_P12ihipStream_tbENKUlT_T0_E_clISt17integral_constantIbLb1EES13_EEDaSY_SZ_EUlSY_E_NS1_11comp_targetILNS1_3genE8ELNS1_11target_archE1030ELNS1_3gpuE2ELNS1_3repE0EEENS1_30default_config_static_selectorELNS0_4arch9wavefront6targetE1EEEvT1_,comdat
.Lfunc_end1928:
	.size	_ZN7rocprim17ROCPRIM_400000_NS6detail17trampoline_kernelINS0_14default_configENS1_27scan_by_key_config_selectorIj11FixedVectorIiLj1EEEEZZNS1_16scan_by_key_implILNS1_25lookback_scan_determinismE0ELb1ES3_N6thrust23THRUST_200600_302600_NS6detail15normal_iteratorINSB_10device_ptrIjEEEENSD_INSE_IS6_EEEESI_S6_NSB_4plusIvEENSB_8equal_toIvEES6_EE10hipError_tPvRmT2_T3_T4_T5_mT6_T7_P12ihipStream_tbENKUlT_T0_E_clISt17integral_constantIbLb1EES13_EEDaSY_SZ_EUlSY_E_NS1_11comp_targetILNS1_3genE8ELNS1_11target_archE1030ELNS1_3gpuE2ELNS1_3repE0EEENS1_30default_config_static_selectorELNS0_4arch9wavefront6targetE1EEEvT1_, .Lfunc_end1928-_ZN7rocprim17ROCPRIM_400000_NS6detail17trampoline_kernelINS0_14default_configENS1_27scan_by_key_config_selectorIj11FixedVectorIiLj1EEEEZZNS1_16scan_by_key_implILNS1_25lookback_scan_determinismE0ELb1ES3_N6thrust23THRUST_200600_302600_NS6detail15normal_iteratorINSB_10device_ptrIjEEEENSD_INSE_IS6_EEEESI_S6_NSB_4plusIvEENSB_8equal_toIvEES6_EE10hipError_tPvRmT2_T3_T4_T5_mT6_T7_P12ihipStream_tbENKUlT_T0_E_clISt17integral_constantIbLb1EES13_EEDaSY_SZ_EUlSY_E_NS1_11comp_targetILNS1_3genE8ELNS1_11target_archE1030ELNS1_3gpuE2ELNS1_3repE0EEENS1_30default_config_static_selectorELNS0_4arch9wavefront6targetE1EEEvT1_
                                        ; -- End function
	.section	.AMDGPU.csdata,"",@progbits
; Kernel info:
; codeLenInByte = 0
; NumSgprs: 6
; NumVgprs: 0
; NumAgprs: 0
; TotalNumVgprs: 0
; ScratchSize: 0
; MemoryBound: 0
; FloatMode: 240
; IeeeMode: 1
; LDSByteSize: 0 bytes/workgroup (compile time only)
; SGPRBlocks: 0
; VGPRBlocks: 0
; NumSGPRsForWavesPerEU: 6
; NumVGPRsForWavesPerEU: 1
; AccumOffset: 4
; Occupancy: 8
; WaveLimiterHint : 0
; COMPUTE_PGM_RSRC2:SCRATCH_EN: 0
; COMPUTE_PGM_RSRC2:USER_SGPR: 2
; COMPUTE_PGM_RSRC2:TRAP_HANDLER: 0
; COMPUTE_PGM_RSRC2:TGID_X_EN: 1
; COMPUTE_PGM_RSRC2:TGID_Y_EN: 0
; COMPUTE_PGM_RSRC2:TGID_Z_EN: 0
; COMPUTE_PGM_RSRC2:TIDIG_COMP_CNT: 0
; COMPUTE_PGM_RSRC3_GFX90A:ACCUM_OFFSET: 0
; COMPUTE_PGM_RSRC3_GFX90A:TG_SPLIT: 0
	.section	.text._ZN7rocprim17ROCPRIM_400000_NS6detail17trampoline_kernelINS0_14default_configENS1_27scan_by_key_config_selectorIj11FixedVectorIiLj1EEEEZZNS1_16scan_by_key_implILNS1_25lookback_scan_determinismE0ELb1ES3_N6thrust23THRUST_200600_302600_NS6detail15normal_iteratorINSB_10device_ptrIjEEEENSD_INSE_IS6_EEEESI_S6_NSB_4plusIvEENSB_8equal_toIvEES6_EE10hipError_tPvRmT2_T3_T4_T5_mT6_T7_P12ihipStream_tbENKUlT_T0_E_clISt17integral_constantIbLb1EES12_IbLb0EEEEDaSY_SZ_EUlSY_E_NS1_11comp_targetILNS1_3genE0ELNS1_11target_archE4294967295ELNS1_3gpuE0ELNS1_3repE0EEENS1_30default_config_static_selectorELNS0_4arch9wavefront6targetE1EEEvT1_,"axG",@progbits,_ZN7rocprim17ROCPRIM_400000_NS6detail17trampoline_kernelINS0_14default_configENS1_27scan_by_key_config_selectorIj11FixedVectorIiLj1EEEEZZNS1_16scan_by_key_implILNS1_25lookback_scan_determinismE0ELb1ES3_N6thrust23THRUST_200600_302600_NS6detail15normal_iteratorINSB_10device_ptrIjEEEENSD_INSE_IS6_EEEESI_S6_NSB_4plusIvEENSB_8equal_toIvEES6_EE10hipError_tPvRmT2_T3_T4_T5_mT6_T7_P12ihipStream_tbENKUlT_T0_E_clISt17integral_constantIbLb1EES12_IbLb0EEEEDaSY_SZ_EUlSY_E_NS1_11comp_targetILNS1_3genE0ELNS1_11target_archE4294967295ELNS1_3gpuE0ELNS1_3repE0EEENS1_30default_config_static_selectorELNS0_4arch9wavefront6targetE1EEEvT1_,comdat
	.protected	_ZN7rocprim17ROCPRIM_400000_NS6detail17trampoline_kernelINS0_14default_configENS1_27scan_by_key_config_selectorIj11FixedVectorIiLj1EEEEZZNS1_16scan_by_key_implILNS1_25lookback_scan_determinismE0ELb1ES3_N6thrust23THRUST_200600_302600_NS6detail15normal_iteratorINSB_10device_ptrIjEEEENSD_INSE_IS6_EEEESI_S6_NSB_4plusIvEENSB_8equal_toIvEES6_EE10hipError_tPvRmT2_T3_T4_T5_mT6_T7_P12ihipStream_tbENKUlT_T0_E_clISt17integral_constantIbLb1EES12_IbLb0EEEEDaSY_SZ_EUlSY_E_NS1_11comp_targetILNS1_3genE0ELNS1_11target_archE4294967295ELNS1_3gpuE0ELNS1_3repE0EEENS1_30default_config_static_selectorELNS0_4arch9wavefront6targetE1EEEvT1_ ; -- Begin function _ZN7rocprim17ROCPRIM_400000_NS6detail17trampoline_kernelINS0_14default_configENS1_27scan_by_key_config_selectorIj11FixedVectorIiLj1EEEEZZNS1_16scan_by_key_implILNS1_25lookback_scan_determinismE0ELb1ES3_N6thrust23THRUST_200600_302600_NS6detail15normal_iteratorINSB_10device_ptrIjEEEENSD_INSE_IS6_EEEESI_S6_NSB_4plusIvEENSB_8equal_toIvEES6_EE10hipError_tPvRmT2_T3_T4_T5_mT6_T7_P12ihipStream_tbENKUlT_T0_E_clISt17integral_constantIbLb1EES12_IbLb0EEEEDaSY_SZ_EUlSY_E_NS1_11comp_targetILNS1_3genE0ELNS1_11target_archE4294967295ELNS1_3gpuE0ELNS1_3repE0EEENS1_30default_config_static_selectorELNS0_4arch9wavefront6targetE1EEEvT1_
	.globl	_ZN7rocprim17ROCPRIM_400000_NS6detail17trampoline_kernelINS0_14default_configENS1_27scan_by_key_config_selectorIj11FixedVectorIiLj1EEEEZZNS1_16scan_by_key_implILNS1_25lookback_scan_determinismE0ELb1ES3_N6thrust23THRUST_200600_302600_NS6detail15normal_iteratorINSB_10device_ptrIjEEEENSD_INSE_IS6_EEEESI_S6_NSB_4plusIvEENSB_8equal_toIvEES6_EE10hipError_tPvRmT2_T3_T4_T5_mT6_T7_P12ihipStream_tbENKUlT_T0_E_clISt17integral_constantIbLb1EES12_IbLb0EEEEDaSY_SZ_EUlSY_E_NS1_11comp_targetILNS1_3genE0ELNS1_11target_archE4294967295ELNS1_3gpuE0ELNS1_3repE0EEENS1_30default_config_static_selectorELNS0_4arch9wavefront6targetE1EEEvT1_
	.p2align	8
	.type	_ZN7rocprim17ROCPRIM_400000_NS6detail17trampoline_kernelINS0_14default_configENS1_27scan_by_key_config_selectorIj11FixedVectorIiLj1EEEEZZNS1_16scan_by_key_implILNS1_25lookback_scan_determinismE0ELb1ES3_N6thrust23THRUST_200600_302600_NS6detail15normal_iteratorINSB_10device_ptrIjEEEENSD_INSE_IS6_EEEESI_S6_NSB_4plusIvEENSB_8equal_toIvEES6_EE10hipError_tPvRmT2_T3_T4_T5_mT6_T7_P12ihipStream_tbENKUlT_T0_E_clISt17integral_constantIbLb1EES12_IbLb0EEEEDaSY_SZ_EUlSY_E_NS1_11comp_targetILNS1_3genE0ELNS1_11target_archE4294967295ELNS1_3gpuE0ELNS1_3repE0EEENS1_30default_config_static_selectorELNS0_4arch9wavefront6targetE1EEEvT1_,@function
_ZN7rocprim17ROCPRIM_400000_NS6detail17trampoline_kernelINS0_14default_configENS1_27scan_by_key_config_selectorIj11FixedVectorIiLj1EEEEZZNS1_16scan_by_key_implILNS1_25lookback_scan_determinismE0ELb1ES3_N6thrust23THRUST_200600_302600_NS6detail15normal_iteratorINSB_10device_ptrIjEEEENSD_INSE_IS6_EEEESI_S6_NSB_4plusIvEENSB_8equal_toIvEES6_EE10hipError_tPvRmT2_T3_T4_T5_mT6_T7_P12ihipStream_tbENKUlT_T0_E_clISt17integral_constantIbLb1EES12_IbLb0EEEEDaSY_SZ_EUlSY_E_NS1_11comp_targetILNS1_3genE0ELNS1_11target_archE4294967295ELNS1_3gpuE0ELNS1_3repE0EEENS1_30default_config_static_selectorELNS0_4arch9wavefront6targetE1EEEvT1_: ; @_ZN7rocprim17ROCPRIM_400000_NS6detail17trampoline_kernelINS0_14default_configENS1_27scan_by_key_config_selectorIj11FixedVectorIiLj1EEEEZZNS1_16scan_by_key_implILNS1_25lookback_scan_determinismE0ELb1ES3_N6thrust23THRUST_200600_302600_NS6detail15normal_iteratorINSB_10device_ptrIjEEEENSD_INSE_IS6_EEEESI_S6_NSB_4plusIvEENSB_8equal_toIvEES6_EE10hipError_tPvRmT2_T3_T4_T5_mT6_T7_P12ihipStream_tbENKUlT_T0_E_clISt17integral_constantIbLb1EES12_IbLb0EEEEDaSY_SZ_EUlSY_E_NS1_11comp_targetILNS1_3genE0ELNS1_11target_archE4294967295ELNS1_3gpuE0ELNS1_3repE0EEENS1_30default_config_static_selectorELNS0_4arch9wavefront6targetE1EEEvT1_
; %bb.0:
	.section	.rodata,"a",@progbits
	.p2align	6, 0x0
	.amdhsa_kernel _ZN7rocprim17ROCPRIM_400000_NS6detail17trampoline_kernelINS0_14default_configENS1_27scan_by_key_config_selectorIj11FixedVectorIiLj1EEEEZZNS1_16scan_by_key_implILNS1_25lookback_scan_determinismE0ELb1ES3_N6thrust23THRUST_200600_302600_NS6detail15normal_iteratorINSB_10device_ptrIjEEEENSD_INSE_IS6_EEEESI_S6_NSB_4plusIvEENSB_8equal_toIvEES6_EE10hipError_tPvRmT2_T3_T4_T5_mT6_T7_P12ihipStream_tbENKUlT_T0_E_clISt17integral_constantIbLb1EES12_IbLb0EEEEDaSY_SZ_EUlSY_E_NS1_11comp_targetILNS1_3genE0ELNS1_11target_archE4294967295ELNS1_3gpuE0ELNS1_3repE0EEENS1_30default_config_static_selectorELNS0_4arch9wavefront6targetE1EEEvT1_
		.amdhsa_group_segment_fixed_size 0
		.amdhsa_private_segment_fixed_size 0
		.amdhsa_kernarg_size 112
		.amdhsa_user_sgpr_count 2
		.amdhsa_user_sgpr_dispatch_ptr 0
		.amdhsa_user_sgpr_queue_ptr 0
		.amdhsa_user_sgpr_kernarg_segment_ptr 1
		.amdhsa_user_sgpr_dispatch_id 0
		.amdhsa_user_sgpr_kernarg_preload_length 0
		.amdhsa_user_sgpr_kernarg_preload_offset 0
		.amdhsa_user_sgpr_private_segment_size 0
		.amdhsa_uses_dynamic_stack 0
		.amdhsa_enable_private_segment 0
		.amdhsa_system_sgpr_workgroup_id_x 1
		.amdhsa_system_sgpr_workgroup_id_y 0
		.amdhsa_system_sgpr_workgroup_id_z 0
		.amdhsa_system_sgpr_workgroup_info 0
		.amdhsa_system_vgpr_workitem_id 0
		.amdhsa_next_free_vgpr 1
		.amdhsa_next_free_sgpr 0
		.amdhsa_accum_offset 4
		.amdhsa_reserve_vcc 0
		.amdhsa_float_round_mode_32 0
		.amdhsa_float_round_mode_16_64 0
		.amdhsa_float_denorm_mode_32 3
		.amdhsa_float_denorm_mode_16_64 3
		.amdhsa_dx10_clamp 1
		.amdhsa_ieee_mode 1
		.amdhsa_fp16_overflow 0
		.amdhsa_tg_split 0
		.amdhsa_exception_fp_ieee_invalid_op 0
		.amdhsa_exception_fp_denorm_src 0
		.amdhsa_exception_fp_ieee_div_zero 0
		.amdhsa_exception_fp_ieee_overflow 0
		.amdhsa_exception_fp_ieee_underflow 0
		.amdhsa_exception_fp_ieee_inexact 0
		.amdhsa_exception_int_div_zero 0
	.end_amdhsa_kernel
	.section	.text._ZN7rocprim17ROCPRIM_400000_NS6detail17trampoline_kernelINS0_14default_configENS1_27scan_by_key_config_selectorIj11FixedVectorIiLj1EEEEZZNS1_16scan_by_key_implILNS1_25lookback_scan_determinismE0ELb1ES3_N6thrust23THRUST_200600_302600_NS6detail15normal_iteratorINSB_10device_ptrIjEEEENSD_INSE_IS6_EEEESI_S6_NSB_4plusIvEENSB_8equal_toIvEES6_EE10hipError_tPvRmT2_T3_T4_T5_mT6_T7_P12ihipStream_tbENKUlT_T0_E_clISt17integral_constantIbLb1EES12_IbLb0EEEEDaSY_SZ_EUlSY_E_NS1_11comp_targetILNS1_3genE0ELNS1_11target_archE4294967295ELNS1_3gpuE0ELNS1_3repE0EEENS1_30default_config_static_selectorELNS0_4arch9wavefront6targetE1EEEvT1_,"axG",@progbits,_ZN7rocprim17ROCPRIM_400000_NS6detail17trampoline_kernelINS0_14default_configENS1_27scan_by_key_config_selectorIj11FixedVectorIiLj1EEEEZZNS1_16scan_by_key_implILNS1_25lookback_scan_determinismE0ELb1ES3_N6thrust23THRUST_200600_302600_NS6detail15normal_iteratorINSB_10device_ptrIjEEEENSD_INSE_IS6_EEEESI_S6_NSB_4plusIvEENSB_8equal_toIvEES6_EE10hipError_tPvRmT2_T3_T4_T5_mT6_T7_P12ihipStream_tbENKUlT_T0_E_clISt17integral_constantIbLb1EES12_IbLb0EEEEDaSY_SZ_EUlSY_E_NS1_11comp_targetILNS1_3genE0ELNS1_11target_archE4294967295ELNS1_3gpuE0ELNS1_3repE0EEENS1_30default_config_static_selectorELNS0_4arch9wavefront6targetE1EEEvT1_,comdat
.Lfunc_end1929:
	.size	_ZN7rocprim17ROCPRIM_400000_NS6detail17trampoline_kernelINS0_14default_configENS1_27scan_by_key_config_selectorIj11FixedVectorIiLj1EEEEZZNS1_16scan_by_key_implILNS1_25lookback_scan_determinismE0ELb1ES3_N6thrust23THRUST_200600_302600_NS6detail15normal_iteratorINSB_10device_ptrIjEEEENSD_INSE_IS6_EEEESI_S6_NSB_4plusIvEENSB_8equal_toIvEES6_EE10hipError_tPvRmT2_T3_T4_T5_mT6_T7_P12ihipStream_tbENKUlT_T0_E_clISt17integral_constantIbLb1EES12_IbLb0EEEEDaSY_SZ_EUlSY_E_NS1_11comp_targetILNS1_3genE0ELNS1_11target_archE4294967295ELNS1_3gpuE0ELNS1_3repE0EEENS1_30default_config_static_selectorELNS0_4arch9wavefront6targetE1EEEvT1_, .Lfunc_end1929-_ZN7rocprim17ROCPRIM_400000_NS6detail17trampoline_kernelINS0_14default_configENS1_27scan_by_key_config_selectorIj11FixedVectorIiLj1EEEEZZNS1_16scan_by_key_implILNS1_25lookback_scan_determinismE0ELb1ES3_N6thrust23THRUST_200600_302600_NS6detail15normal_iteratorINSB_10device_ptrIjEEEENSD_INSE_IS6_EEEESI_S6_NSB_4plusIvEENSB_8equal_toIvEES6_EE10hipError_tPvRmT2_T3_T4_T5_mT6_T7_P12ihipStream_tbENKUlT_T0_E_clISt17integral_constantIbLb1EES12_IbLb0EEEEDaSY_SZ_EUlSY_E_NS1_11comp_targetILNS1_3genE0ELNS1_11target_archE4294967295ELNS1_3gpuE0ELNS1_3repE0EEENS1_30default_config_static_selectorELNS0_4arch9wavefront6targetE1EEEvT1_
                                        ; -- End function
	.section	.AMDGPU.csdata,"",@progbits
; Kernel info:
; codeLenInByte = 0
; NumSgprs: 6
; NumVgprs: 0
; NumAgprs: 0
; TotalNumVgprs: 0
; ScratchSize: 0
; MemoryBound: 0
; FloatMode: 240
; IeeeMode: 1
; LDSByteSize: 0 bytes/workgroup (compile time only)
; SGPRBlocks: 0
; VGPRBlocks: 0
; NumSGPRsForWavesPerEU: 6
; NumVGPRsForWavesPerEU: 1
; AccumOffset: 4
; Occupancy: 8
; WaveLimiterHint : 0
; COMPUTE_PGM_RSRC2:SCRATCH_EN: 0
; COMPUTE_PGM_RSRC2:USER_SGPR: 2
; COMPUTE_PGM_RSRC2:TRAP_HANDLER: 0
; COMPUTE_PGM_RSRC2:TGID_X_EN: 1
; COMPUTE_PGM_RSRC2:TGID_Y_EN: 0
; COMPUTE_PGM_RSRC2:TGID_Z_EN: 0
; COMPUTE_PGM_RSRC2:TIDIG_COMP_CNT: 0
; COMPUTE_PGM_RSRC3_GFX90A:ACCUM_OFFSET: 0
; COMPUTE_PGM_RSRC3_GFX90A:TG_SPLIT: 0
	.section	.text._ZN7rocprim17ROCPRIM_400000_NS6detail17trampoline_kernelINS0_14default_configENS1_27scan_by_key_config_selectorIj11FixedVectorIiLj1EEEEZZNS1_16scan_by_key_implILNS1_25lookback_scan_determinismE0ELb1ES3_N6thrust23THRUST_200600_302600_NS6detail15normal_iteratorINSB_10device_ptrIjEEEENSD_INSE_IS6_EEEESI_S6_NSB_4plusIvEENSB_8equal_toIvEES6_EE10hipError_tPvRmT2_T3_T4_T5_mT6_T7_P12ihipStream_tbENKUlT_T0_E_clISt17integral_constantIbLb1EES12_IbLb0EEEEDaSY_SZ_EUlSY_E_NS1_11comp_targetILNS1_3genE10ELNS1_11target_archE1201ELNS1_3gpuE5ELNS1_3repE0EEENS1_30default_config_static_selectorELNS0_4arch9wavefront6targetE1EEEvT1_,"axG",@progbits,_ZN7rocprim17ROCPRIM_400000_NS6detail17trampoline_kernelINS0_14default_configENS1_27scan_by_key_config_selectorIj11FixedVectorIiLj1EEEEZZNS1_16scan_by_key_implILNS1_25lookback_scan_determinismE0ELb1ES3_N6thrust23THRUST_200600_302600_NS6detail15normal_iteratorINSB_10device_ptrIjEEEENSD_INSE_IS6_EEEESI_S6_NSB_4plusIvEENSB_8equal_toIvEES6_EE10hipError_tPvRmT2_T3_T4_T5_mT6_T7_P12ihipStream_tbENKUlT_T0_E_clISt17integral_constantIbLb1EES12_IbLb0EEEEDaSY_SZ_EUlSY_E_NS1_11comp_targetILNS1_3genE10ELNS1_11target_archE1201ELNS1_3gpuE5ELNS1_3repE0EEENS1_30default_config_static_selectorELNS0_4arch9wavefront6targetE1EEEvT1_,comdat
	.protected	_ZN7rocprim17ROCPRIM_400000_NS6detail17trampoline_kernelINS0_14default_configENS1_27scan_by_key_config_selectorIj11FixedVectorIiLj1EEEEZZNS1_16scan_by_key_implILNS1_25lookback_scan_determinismE0ELb1ES3_N6thrust23THRUST_200600_302600_NS6detail15normal_iteratorINSB_10device_ptrIjEEEENSD_INSE_IS6_EEEESI_S6_NSB_4plusIvEENSB_8equal_toIvEES6_EE10hipError_tPvRmT2_T3_T4_T5_mT6_T7_P12ihipStream_tbENKUlT_T0_E_clISt17integral_constantIbLb1EES12_IbLb0EEEEDaSY_SZ_EUlSY_E_NS1_11comp_targetILNS1_3genE10ELNS1_11target_archE1201ELNS1_3gpuE5ELNS1_3repE0EEENS1_30default_config_static_selectorELNS0_4arch9wavefront6targetE1EEEvT1_ ; -- Begin function _ZN7rocprim17ROCPRIM_400000_NS6detail17trampoline_kernelINS0_14default_configENS1_27scan_by_key_config_selectorIj11FixedVectorIiLj1EEEEZZNS1_16scan_by_key_implILNS1_25lookback_scan_determinismE0ELb1ES3_N6thrust23THRUST_200600_302600_NS6detail15normal_iteratorINSB_10device_ptrIjEEEENSD_INSE_IS6_EEEESI_S6_NSB_4plusIvEENSB_8equal_toIvEES6_EE10hipError_tPvRmT2_T3_T4_T5_mT6_T7_P12ihipStream_tbENKUlT_T0_E_clISt17integral_constantIbLb1EES12_IbLb0EEEEDaSY_SZ_EUlSY_E_NS1_11comp_targetILNS1_3genE10ELNS1_11target_archE1201ELNS1_3gpuE5ELNS1_3repE0EEENS1_30default_config_static_selectorELNS0_4arch9wavefront6targetE1EEEvT1_
	.globl	_ZN7rocprim17ROCPRIM_400000_NS6detail17trampoline_kernelINS0_14default_configENS1_27scan_by_key_config_selectorIj11FixedVectorIiLj1EEEEZZNS1_16scan_by_key_implILNS1_25lookback_scan_determinismE0ELb1ES3_N6thrust23THRUST_200600_302600_NS6detail15normal_iteratorINSB_10device_ptrIjEEEENSD_INSE_IS6_EEEESI_S6_NSB_4plusIvEENSB_8equal_toIvEES6_EE10hipError_tPvRmT2_T3_T4_T5_mT6_T7_P12ihipStream_tbENKUlT_T0_E_clISt17integral_constantIbLb1EES12_IbLb0EEEEDaSY_SZ_EUlSY_E_NS1_11comp_targetILNS1_3genE10ELNS1_11target_archE1201ELNS1_3gpuE5ELNS1_3repE0EEENS1_30default_config_static_selectorELNS0_4arch9wavefront6targetE1EEEvT1_
	.p2align	8
	.type	_ZN7rocprim17ROCPRIM_400000_NS6detail17trampoline_kernelINS0_14default_configENS1_27scan_by_key_config_selectorIj11FixedVectorIiLj1EEEEZZNS1_16scan_by_key_implILNS1_25lookback_scan_determinismE0ELb1ES3_N6thrust23THRUST_200600_302600_NS6detail15normal_iteratorINSB_10device_ptrIjEEEENSD_INSE_IS6_EEEESI_S6_NSB_4plusIvEENSB_8equal_toIvEES6_EE10hipError_tPvRmT2_T3_T4_T5_mT6_T7_P12ihipStream_tbENKUlT_T0_E_clISt17integral_constantIbLb1EES12_IbLb0EEEEDaSY_SZ_EUlSY_E_NS1_11comp_targetILNS1_3genE10ELNS1_11target_archE1201ELNS1_3gpuE5ELNS1_3repE0EEENS1_30default_config_static_selectorELNS0_4arch9wavefront6targetE1EEEvT1_,@function
_ZN7rocprim17ROCPRIM_400000_NS6detail17trampoline_kernelINS0_14default_configENS1_27scan_by_key_config_selectorIj11FixedVectorIiLj1EEEEZZNS1_16scan_by_key_implILNS1_25lookback_scan_determinismE0ELb1ES3_N6thrust23THRUST_200600_302600_NS6detail15normal_iteratorINSB_10device_ptrIjEEEENSD_INSE_IS6_EEEESI_S6_NSB_4plusIvEENSB_8equal_toIvEES6_EE10hipError_tPvRmT2_T3_T4_T5_mT6_T7_P12ihipStream_tbENKUlT_T0_E_clISt17integral_constantIbLb1EES12_IbLb0EEEEDaSY_SZ_EUlSY_E_NS1_11comp_targetILNS1_3genE10ELNS1_11target_archE1201ELNS1_3gpuE5ELNS1_3repE0EEENS1_30default_config_static_selectorELNS0_4arch9wavefront6targetE1EEEvT1_: ; @_ZN7rocprim17ROCPRIM_400000_NS6detail17trampoline_kernelINS0_14default_configENS1_27scan_by_key_config_selectorIj11FixedVectorIiLj1EEEEZZNS1_16scan_by_key_implILNS1_25lookback_scan_determinismE0ELb1ES3_N6thrust23THRUST_200600_302600_NS6detail15normal_iteratorINSB_10device_ptrIjEEEENSD_INSE_IS6_EEEESI_S6_NSB_4plusIvEENSB_8equal_toIvEES6_EE10hipError_tPvRmT2_T3_T4_T5_mT6_T7_P12ihipStream_tbENKUlT_T0_E_clISt17integral_constantIbLb1EES12_IbLb0EEEEDaSY_SZ_EUlSY_E_NS1_11comp_targetILNS1_3genE10ELNS1_11target_archE1201ELNS1_3gpuE5ELNS1_3repE0EEENS1_30default_config_static_selectorELNS0_4arch9wavefront6targetE1EEEvT1_
; %bb.0:
	.section	.rodata,"a",@progbits
	.p2align	6, 0x0
	.amdhsa_kernel _ZN7rocprim17ROCPRIM_400000_NS6detail17trampoline_kernelINS0_14default_configENS1_27scan_by_key_config_selectorIj11FixedVectorIiLj1EEEEZZNS1_16scan_by_key_implILNS1_25lookback_scan_determinismE0ELb1ES3_N6thrust23THRUST_200600_302600_NS6detail15normal_iteratorINSB_10device_ptrIjEEEENSD_INSE_IS6_EEEESI_S6_NSB_4plusIvEENSB_8equal_toIvEES6_EE10hipError_tPvRmT2_T3_T4_T5_mT6_T7_P12ihipStream_tbENKUlT_T0_E_clISt17integral_constantIbLb1EES12_IbLb0EEEEDaSY_SZ_EUlSY_E_NS1_11comp_targetILNS1_3genE10ELNS1_11target_archE1201ELNS1_3gpuE5ELNS1_3repE0EEENS1_30default_config_static_selectorELNS0_4arch9wavefront6targetE1EEEvT1_
		.amdhsa_group_segment_fixed_size 0
		.amdhsa_private_segment_fixed_size 0
		.amdhsa_kernarg_size 112
		.amdhsa_user_sgpr_count 2
		.amdhsa_user_sgpr_dispatch_ptr 0
		.amdhsa_user_sgpr_queue_ptr 0
		.amdhsa_user_sgpr_kernarg_segment_ptr 1
		.amdhsa_user_sgpr_dispatch_id 0
		.amdhsa_user_sgpr_kernarg_preload_length 0
		.amdhsa_user_sgpr_kernarg_preload_offset 0
		.amdhsa_user_sgpr_private_segment_size 0
		.amdhsa_uses_dynamic_stack 0
		.amdhsa_enable_private_segment 0
		.amdhsa_system_sgpr_workgroup_id_x 1
		.amdhsa_system_sgpr_workgroup_id_y 0
		.amdhsa_system_sgpr_workgroup_id_z 0
		.amdhsa_system_sgpr_workgroup_info 0
		.amdhsa_system_vgpr_workitem_id 0
		.amdhsa_next_free_vgpr 1
		.amdhsa_next_free_sgpr 0
		.amdhsa_accum_offset 4
		.amdhsa_reserve_vcc 0
		.amdhsa_float_round_mode_32 0
		.amdhsa_float_round_mode_16_64 0
		.amdhsa_float_denorm_mode_32 3
		.amdhsa_float_denorm_mode_16_64 3
		.amdhsa_dx10_clamp 1
		.amdhsa_ieee_mode 1
		.amdhsa_fp16_overflow 0
		.amdhsa_tg_split 0
		.amdhsa_exception_fp_ieee_invalid_op 0
		.amdhsa_exception_fp_denorm_src 0
		.amdhsa_exception_fp_ieee_div_zero 0
		.amdhsa_exception_fp_ieee_overflow 0
		.amdhsa_exception_fp_ieee_underflow 0
		.amdhsa_exception_fp_ieee_inexact 0
		.amdhsa_exception_int_div_zero 0
	.end_amdhsa_kernel
	.section	.text._ZN7rocprim17ROCPRIM_400000_NS6detail17trampoline_kernelINS0_14default_configENS1_27scan_by_key_config_selectorIj11FixedVectorIiLj1EEEEZZNS1_16scan_by_key_implILNS1_25lookback_scan_determinismE0ELb1ES3_N6thrust23THRUST_200600_302600_NS6detail15normal_iteratorINSB_10device_ptrIjEEEENSD_INSE_IS6_EEEESI_S6_NSB_4plusIvEENSB_8equal_toIvEES6_EE10hipError_tPvRmT2_T3_T4_T5_mT6_T7_P12ihipStream_tbENKUlT_T0_E_clISt17integral_constantIbLb1EES12_IbLb0EEEEDaSY_SZ_EUlSY_E_NS1_11comp_targetILNS1_3genE10ELNS1_11target_archE1201ELNS1_3gpuE5ELNS1_3repE0EEENS1_30default_config_static_selectorELNS0_4arch9wavefront6targetE1EEEvT1_,"axG",@progbits,_ZN7rocprim17ROCPRIM_400000_NS6detail17trampoline_kernelINS0_14default_configENS1_27scan_by_key_config_selectorIj11FixedVectorIiLj1EEEEZZNS1_16scan_by_key_implILNS1_25lookback_scan_determinismE0ELb1ES3_N6thrust23THRUST_200600_302600_NS6detail15normal_iteratorINSB_10device_ptrIjEEEENSD_INSE_IS6_EEEESI_S6_NSB_4plusIvEENSB_8equal_toIvEES6_EE10hipError_tPvRmT2_T3_T4_T5_mT6_T7_P12ihipStream_tbENKUlT_T0_E_clISt17integral_constantIbLb1EES12_IbLb0EEEEDaSY_SZ_EUlSY_E_NS1_11comp_targetILNS1_3genE10ELNS1_11target_archE1201ELNS1_3gpuE5ELNS1_3repE0EEENS1_30default_config_static_selectorELNS0_4arch9wavefront6targetE1EEEvT1_,comdat
.Lfunc_end1930:
	.size	_ZN7rocprim17ROCPRIM_400000_NS6detail17trampoline_kernelINS0_14default_configENS1_27scan_by_key_config_selectorIj11FixedVectorIiLj1EEEEZZNS1_16scan_by_key_implILNS1_25lookback_scan_determinismE0ELb1ES3_N6thrust23THRUST_200600_302600_NS6detail15normal_iteratorINSB_10device_ptrIjEEEENSD_INSE_IS6_EEEESI_S6_NSB_4plusIvEENSB_8equal_toIvEES6_EE10hipError_tPvRmT2_T3_T4_T5_mT6_T7_P12ihipStream_tbENKUlT_T0_E_clISt17integral_constantIbLb1EES12_IbLb0EEEEDaSY_SZ_EUlSY_E_NS1_11comp_targetILNS1_3genE10ELNS1_11target_archE1201ELNS1_3gpuE5ELNS1_3repE0EEENS1_30default_config_static_selectorELNS0_4arch9wavefront6targetE1EEEvT1_, .Lfunc_end1930-_ZN7rocprim17ROCPRIM_400000_NS6detail17trampoline_kernelINS0_14default_configENS1_27scan_by_key_config_selectorIj11FixedVectorIiLj1EEEEZZNS1_16scan_by_key_implILNS1_25lookback_scan_determinismE0ELb1ES3_N6thrust23THRUST_200600_302600_NS6detail15normal_iteratorINSB_10device_ptrIjEEEENSD_INSE_IS6_EEEESI_S6_NSB_4plusIvEENSB_8equal_toIvEES6_EE10hipError_tPvRmT2_T3_T4_T5_mT6_T7_P12ihipStream_tbENKUlT_T0_E_clISt17integral_constantIbLb1EES12_IbLb0EEEEDaSY_SZ_EUlSY_E_NS1_11comp_targetILNS1_3genE10ELNS1_11target_archE1201ELNS1_3gpuE5ELNS1_3repE0EEENS1_30default_config_static_selectorELNS0_4arch9wavefront6targetE1EEEvT1_
                                        ; -- End function
	.section	.AMDGPU.csdata,"",@progbits
; Kernel info:
; codeLenInByte = 0
; NumSgprs: 6
; NumVgprs: 0
; NumAgprs: 0
; TotalNumVgprs: 0
; ScratchSize: 0
; MemoryBound: 0
; FloatMode: 240
; IeeeMode: 1
; LDSByteSize: 0 bytes/workgroup (compile time only)
; SGPRBlocks: 0
; VGPRBlocks: 0
; NumSGPRsForWavesPerEU: 6
; NumVGPRsForWavesPerEU: 1
; AccumOffset: 4
; Occupancy: 8
; WaveLimiterHint : 0
; COMPUTE_PGM_RSRC2:SCRATCH_EN: 0
; COMPUTE_PGM_RSRC2:USER_SGPR: 2
; COMPUTE_PGM_RSRC2:TRAP_HANDLER: 0
; COMPUTE_PGM_RSRC2:TGID_X_EN: 1
; COMPUTE_PGM_RSRC2:TGID_Y_EN: 0
; COMPUTE_PGM_RSRC2:TGID_Z_EN: 0
; COMPUTE_PGM_RSRC2:TIDIG_COMP_CNT: 0
; COMPUTE_PGM_RSRC3_GFX90A:ACCUM_OFFSET: 0
; COMPUTE_PGM_RSRC3_GFX90A:TG_SPLIT: 0
	.section	.text._ZN7rocprim17ROCPRIM_400000_NS6detail17trampoline_kernelINS0_14default_configENS1_27scan_by_key_config_selectorIj11FixedVectorIiLj1EEEEZZNS1_16scan_by_key_implILNS1_25lookback_scan_determinismE0ELb1ES3_N6thrust23THRUST_200600_302600_NS6detail15normal_iteratorINSB_10device_ptrIjEEEENSD_INSE_IS6_EEEESI_S6_NSB_4plusIvEENSB_8equal_toIvEES6_EE10hipError_tPvRmT2_T3_T4_T5_mT6_T7_P12ihipStream_tbENKUlT_T0_E_clISt17integral_constantIbLb1EES12_IbLb0EEEEDaSY_SZ_EUlSY_E_NS1_11comp_targetILNS1_3genE5ELNS1_11target_archE942ELNS1_3gpuE9ELNS1_3repE0EEENS1_30default_config_static_selectorELNS0_4arch9wavefront6targetE1EEEvT1_,"axG",@progbits,_ZN7rocprim17ROCPRIM_400000_NS6detail17trampoline_kernelINS0_14default_configENS1_27scan_by_key_config_selectorIj11FixedVectorIiLj1EEEEZZNS1_16scan_by_key_implILNS1_25lookback_scan_determinismE0ELb1ES3_N6thrust23THRUST_200600_302600_NS6detail15normal_iteratorINSB_10device_ptrIjEEEENSD_INSE_IS6_EEEESI_S6_NSB_4plusIvEENSB_8equal_toIvEES6_EE10hipError_tPvRmT2_T3_T4_T5_mT6_T7_P12ihipStream_tbENKUlT_T0_E_clISt17integral_constantIbLb1EES12_IbLb0EEEEDaSY_SZ_EUlSY_E_NS1_11comp_targetILNS1_3genE5ELNS1_11target_archE942ELNS1_3gpuE9ELNS1_3repE0EEENS1_30default_config_static_selectorELNS0_4arch9wavefront6targetE1EEEvT1_,comdat
	.protected	_ZN7rocprim17ROCPRIM_400000_NS6detail17trampoline_kernelINS0_14default_configENS1_27scan_by_key_config_selectorIj11FixedVectorIiLj1EEEEZZNS1_16scan_by_key_implILNS1_25lookback_scan_determinismE0ELb1ES3_N6thrust23THRUST_200600_302600_NS6detail15normal_iteratorINSB_10device_ptrIjEEEENSD_INSE_IS6_EEEESI_S6_NSB_4plusIvEENSB_8equal_toIvEES6_EE10hipError_tPvRmT2_T3_T4_T5_mT6_T7_P12ihipStream_tbENKUlT_T0_E_clISt17integral_constantIbLb1EES12_IbLb0EEEEDaSY_SZ_EUlSY_E_NS1_11comp_targetILNS1_3genE5ELNS1_11target_archE942ELNS1_3gpuE9ELNS1_3repE0EEENS1_30default_config_static_selectorELNS0_4arch9wavefront6targetE1EEEvT1_ ; -- Begin function _ZN7rocprim17ROCPRIM_400000_NS6detail17trampoline_kernelINS0_14default_configENS1_27scan_by_key_config_selectorIj11FixedVectorIiLj1EEEEZZNS1_16scan_by_key_implILNS1_25lookback_scan_determinismE0ELb1ES3_N6thrust23THRUST_200600_302600_NS6detail15normal_iteratorINSB_10device_ptrIjEEEENSD_INSE_IS6_EEEESI_S6_NSB_4plusIvEENSB_8equal_toIvEES6_EE10hipError_tPvRmT2_T3_T4_T5_mT6_T7_P12ihipStream_tbENKUlT_T0_E_clISt17integral_constantIbLb1EES12_IbLb0EEEEDaSY_SZ_EUlSY_E_NS1_11comp_targetILNS1_3genE5ELNS1_11target_archE942ELNS1_3gpuE9ELNS1_3repE0EEENS1_30default_config_static_selectorELNS0_4arch9wavefront6targetE1EEEvT1_
	.globl	_ZN7rocprim17ROCPRIM_400000_NS6detail17trampoline_kernelINS0_14default_configENS1_27scan_by_key_config_selectorIj11FixedVectorIiLj1EEEEZZNS1_16scan_by_key_implILNS1_25lookback_scan_determinismE0ELb1ES3_N6thrust23THRUST_200600_302600_NS6detail15normal_iteratorINSB_10device_ptrIjEEEENSD_INSE_IS6_EEEESI_S6_NSB_4plusIvEENSB_8equal_toIvEES6_EE10hipError_tPvRmT2_T3_T4_T5_mT6_T7_P12ihipStream_tbENKUlT_T0_E_clISt17integral_constantIbLb1EES12_IbLb0EEEEDaSY_SZ_EUlSY_E_NS1_11comp_targetILNS1_3genE5ELNS1_11target_archE942ELNS1_3gpuE9ELNS1_3repE0EEENS1_30default_config_static_selectorELNS0_4arch9wavefront6targetE1EEEvT1_
	.p2align	8
	.type	_ZN7rocprim17ROCPRIM_400000_NS6detail17trampoline_kernelINS0_14default_configENS1_27scan_by_key_config_selectorIj11FixedVectorIiLj1EEEEZZNS1_16scan_by_key_implILNS1_25lookback_scan_determinismE0ELb1ES3_N6thrust23THRUST_200600_302600_NS6detail15normal_iteratorINSB_10device_ptrIjEEEENSD_INSE_IS6_EEEESI_S6_NSB_4plusIvEENSB_8equal_toIvEES6_EE10hipError_tPvRmT2_T3_T4_T5_mT6_T7_P12ihipStream_tbENKUlT_T0_E_clISt17integral_constantIbLb1EES12_IbLb0EEEEDaSY_SZ_EUlSY_E_NS1_11comp_targetILNS1_3genE5ELNS1_11target_archE942ELNS1_3gpuE9ELNS1_3repE0EEENS1_30default_config_static_selectorELNS0_4arch9wavefront6targetE1EEEvT1_,@function
_ZN7rocprim17ROCPRIM_400000_NS6detail17trampoline_kernelINS0_14default_configENS1_27scan_by_key_config_selectorIj11FixedVectorIiLj1EEEEZZNS1_16scan_by_key_implILNS1_25lookback_scan_determinismE0ELb1ES3_N6thrust23THRUST_200600_302600_NS6detail15normal_iteratorINSB_10device_ptrIjEEEENSD_INSE_IS6_EEEESI_S6_NSB_4plusIvEENSB_8equal_toIvEES6_EE10hipError_tPvRmT2_T3_T4_T5_mT6_T7_P12ihipStream_tbENKUlT_T0_E_clISt17integral_constantIbLb1EES12_IbLb0EEEEDaSY_SZ_EUlSY_E_NS1_11comp_targetILNS1_3genE5ELNS1_11target_archE942ELNS1_3gpuE9ELNS1_3repE0EEENS1_30default_config_static_selectorELNS0_4arch9wavefront6targetE1EEEvT1_: ; @_ZN7rocprim17ROCPRIM_400000_NS6detail17trampoline_kernelINS0_14default_configENS1_27scan_by_key_config_selectorIj11FixedVectorIiLj1EEEEZZNS1_16scan_by_key_implILNS1_25lookback_scan_determinismE0ELb1ES3_N6thrust23THRUST_200600_302600_NS6detail15normal_iteratorINSB_10device_ptrIjEEEENSD_INSE_IS6_EEEESI_S6_NSB_4plusIvEENSB_8equal_toIvEES6_EE10hipError_tPvRmT2_T3_T4_T5_mT6_T7_P12ihipStream_tbENKUlT_T0_E_clISt17integral_constantIbLb1EES12_IbLb0EEEEDaSY_SZ_EUlSY_E_NS1_11comp_targetILNS1_3genE5ELNS1_11target_archE942ELNS1_3gpuE9ELNS1_3repE0EEENS1_30default_config_static_selectorELNS0_4arch9wavefront6targetE1EEEvT1_
; %bb.0:
	s_load_dwordx8 s[48:55], s[0:1], 0x0
	s_load_dword s76, s[0:1], 0x20
	s_load_dwordx4 s[56:59], s[0:1], 0x28
	s_load_dwordx2 s[68:69], s[0:1], 0x38
	s_load_dword s3, s[0:1], 0x40
	s_load_dwordx4 s[60:63], s[0:1], 0x48
	s_waitcnt lgkmcnt(0)
	s_lshl_b64 s[64:65], s[50:51], 2
	s_add_u32 s4, s48, s64
	s_addc_u32 s5, s49, s65
	s_add_u32 s6, s52, s64
	s_mul_i32 s0, s69, s3
	s_mul_hi_u32 s1, s68, s3
	s_addc_u32 s7, s53, s65
	s_add_i32 s8, s1, s0
	s_mul_i32 s0, s2, 0x1700
	s_mov_b32 s1, 0
	s_lshl_b64 s[66:67], s[0:1], 2
	s_add_u32 s70, s4, s66
	s_addc_u32 s71, s5, s67
	s_add_u32 s52, s6, s66
	s_mul_i32 s3, s68, s3
	s_addc_u32 s53, s7, s67
	s_add_u32 s0, s3, s2
	s_addc_u32 s1, s8, 0
	s_add_u32 s6, s60, -1
	s_addc_u32 s7, s61, -1
	v_mov_b64_e32 v[2:3], s[6:7]
	v_cmp_ge_u64_e64 s[0:1], s[0:1], v[2:3]
	s_mov_b64 s[4:5], -1
	s_and_b64 vcc, exec, s[0:1]
	s_mul_i32 s33, s6, 0xffffe900
	s_barrier
	s_cbranch_vccz .LBB1931_142
; %bb.1:
	v_mov_b64_e32 v[2:3], s[70:71]
	flat_load_dword v1, v[2:3]
	s_add_i32 s3, s33, s58
	v_cmp_gt_u32_e32 vcc, s3, v0
	s_waitcnt vmcnt(0) lgkmcnt(0)
	v_mov_b32_e32 v3, v1
	s_and_saveexec_b64 s[4:5], vcc
	s_cbranch_execz .LBB1931_3
; %bb.2:
	v_lshlrev_b32_e32 v2, 2, v0
	v_mov_b32_e32 v3, 0
	v_lshl_add_u64 v[2:3], s[70:71], 0, v[2:3]
	flat_load_dword v3, v[2:3]
.LBB1931_3:
	s_or_b64 exec, exec, s[4:5]
	v_or_b32_e32 v2, 0x100, v0
	v_cmp_gt_u32_e64 s[48:49], s3, v2
	v_mov_b32_e32 v4, v1
	s_and_saveexec_b64 s[4:5], s[48:49]
	s_cbranch_execz .LBB1931_5
; %bb.4:
	v_lshlrev_b32_e32 v4, 2, v0
	v_mov_b32_e32 v5, 0
	v_lshl_add_u64 v[4:5], s[70:71], 0, v[4:5]
	flat_load_dword v4, v[4:5] offset:1024
.LBB1931_5:
	s_or_b64 exec, exec, s[4:5]
	v_or_b32_e32 v2, 0x200, v0
	v_cmp_gt_u32_e64 s[4:5], s3, v2
	v_mov_b32_e32 v5, v1
	s_and_saveexec_b64 s[6:7], s[4:5]
	s_cbranch_execz .LBB1931_7
; %bb.6:
	v_lshlrev_b32_e32 v6, 2, v0
	v_mov_b32_e32 v7, 0
	v_lshl_add_u64 v[6:7], s[70:71], 0, v[6:7]
	flat_load_dword v5, v[6:7] offset:2048
.LBB1931_7:
	;; [unrolled: 12-line block ×3, first 2 shown]
	s_or_b64 exec, exec, s[8:9]
	v_or_b32_e32 v10, 0x400, v0
	v_cmp_gt_u32_e64 s[8:9], s3, v10
	v_mov_b32_e32 v7, v1
	s_and_saveexec_b64 s[10:11], s[8:9]
	s_cbranch_execz .LBB1931_11
; %bb.10:
	v_lshlrev_b32_e32 v8, 2, v10
	v_mov_b32_e32 v9, 0
	v_lshl_add_u64 v[8:9], s[70:71], 0, v[8:9]
	flat_load_dword v7, v[8:9]
.LBB1931_11:
	s_or_b64 exec, exec, s[10:11]
	v_or_b32_e32 v11, 0x500, v0
	v_cmp_gt_u32_e64 s[10:11], s3, v11
	v_mov_b32_e32 v8, v1
	s_and_saveexec_b64 s[12:13], s[10:11]
	s_cbranch_execz .LBB1931_13
; %bb.12:
	v_lshlrev_b32_e32 v8, 2, v11
	v_mov_b32_e32 v9, 0
	v_lshl_add_u64 v[8:9], s[70:71], 0, v[8:9]
	flat_load_dword v8, v[8:9]
.LBB1931_13:
	;; [unrolled: 12-line block ×18, first 2 shown]
	s_or_b64 exec, exec, s[46:47]
	v_or_b32_e32 v28, 0x1600, v0
	v_cmp_gt_u32_e64 s[46:47], s3, v28
	s_and_saveexec_b64 s[50:51], s[46:47]
	s_cbranch_execz .LBB1931_47
; %bb.46:
	v_lshlrev_b32_e32 v44, 2, v28
	v_mov_b32_e32 v45, 0
	v_lshl_add_u64 v[44:45], s[70:71], 0, v[44:45]
	flat_load_dword v1, v[44:45]
.LBB1931_47:
	s_or_b64 exec, exec, s[50:51]
	v_lshlrev_b32_e32 v2, 2, v0
	s_waitcnt vmcnt(0) lgkmcnt(0)
	ds_write2st64_b32 v2, v3, v4 offset1:4
	ds_write2st64_b32 v2, v5, v6 offset0:8 offset1:12
	ds_write2st64_b32 v2, v7, v8 offset0:16 offset1:20
	;; [unrolled: 1-line block ×10, first 2 shown]
	ds_write_b32 v2, v1 offset:22528
	v_mov_b64_e32 v[4:5], s[70:71]
	s_waitcnt lgkmcnt(0)
	s_barrier
	flat_load_dword v1, v[4:5]
	s_movk_i32 s50, 0x58
	v_mad_u32_u24 v70, v0, s50, v2
	s_movk_i32 s50, 0xffa8
	v_mad_i32_i24 v3, v0, s50, v70
	s_movk_i32 s50, 0xff
	v_cmp_ne_u32_e64 s[50:51], s50, v0
	ds_read_b32 v72, v70
	ds_read2_b32 v[68:69], v70 offset0:1 offset1:2
	ds_read2_b32 v[66:67], v70 offset0:3 offset1:4
	;; [unrolled: 1-line block ×11, first 2 shown]
	s_waitcnt lgkmcnt(0)
	ds_write_b32 v3, v72 offset:24576
	s_waitcnt lgkmcnt(0)
	s_barrier
	s_and_saveexec_b64 s[60:61], s[50:51]
	s_cbranch_execz .LBB1931_49
; %bb.48:
	s_waitcnt vmcnt(0)
	ds_read_b32 v1, v2 offset:24580
.LBB1931_49:
	s_or_b64 exec, exec, s[60:61]
	v_mov_b32_e32 v29, 0
	v_mov_b32_e32 v30, 0
	s_waitcnt lgkmcnt(0)
	s_barrier
	s_and_saveexec_b64 s[50:51], vcc
	s_cbranch_execz .LBB1931_51
; %bb.50:
	v_mov_b32_e32 v3, 0
	v_lshl_add_u64 v[30:31], s[52:53], 0, v[2:3]
	flat_load_dword v30, v[30:31]
.LBB1931_51:
	s_or_b64 exec, exec, s[50:51]
	s_and_saveexec_b64 s[50:51], s[48:49]
	s_cbranch_execz .LBB1931_53
; %bb.52:
	v_mov_b32_e32 v3, 0
	v_lshl_add_u64 v[32:33], s[52:53], 0, v[2:3]
	flat_load_dword v29, v[32:33] offset:1024
.LBB1931_53:
	s_or_b64 exec, exec, s[50:51]
	v_mov_b32_e32 v31, 0
	v_mov_b32_e32 v32, 0
	s_and_saveexec_b64 s[48:49], s[4:5]
	s_cbranch_execz .LBB1931_55
; %bb.54:
	v_mov_b32_e32 v3, 0
	v_lshl_add_u64 v[32:33], s[52:53], 0, v[2:3]
	flat_load_dword v32, v[32:33] offset:2048
.LBB1931_55:
	s_or_b64 exec, exec, s[48:49]
	s_and_saveexec_b64 s[4:5], s[6:7]
	s_cbranch_execz .LBB1931_57
; %bb.56:
	v_mov_b32_e32 v3, 0
	v_lshl_add_u64 v[34:35], s[52:53], 0, v[2:3]
	flat_load_dword v31, v[34:35] offset:3072
.LBB1931_57:
	s_or_b64 exec, exec, s[4:5]
	v_mov_b32_e32 v3, 0
	v_mov_b32_e32 v33, 0
	s_and_saveexec_b64 s[4:5], s[8:9]
	s_cbranch_execz .LBB1931_59
; %bb.58:
	v_lshlrev_b32_e32 v34, 2, v10
	v_mov_b32_e32 v35, 0
	v_lshl_add_u64 v[34:35], s[52:53], 0, v[34:35]
	flat_load_dword v33, v[34:35]
.LBB1931_59:
	s_or_b64 exec, exec, s[4:5]
	s_and_saveexec_b64 s[4:5], s[10:11]
	s_cbranch_execz .LBB1931_61
; %bb.60:
	v_lshlrev_b32_e32 v10, 2, v11
	v_mov_b32_e32 v11, 0
	v_lshl_add_u64 v[10:11], s[52:53], 0, v[10:11]
	flat_load_dword v3, v[10:11]
.LBB1931_61:
	s_or_b64 exec, exec, s[4:5]
	v_mov_b32_e32 v10, 0
	v_mov_b32_e32 v11, 0
	s_and_saveexec_b64 s[4:5], s[12:13]
	s_cbranch_execz .LBB1931_63
; %bb.62:
	v_lshlrev_b32_e32 v34, 2, v12
	v_mov_b32_e32 v35, 0
	v_lshl_add_u64 v[34:35], s[52:53], 0, v[34:35]
	flat_load_dword v11, v[34:35]
.LBB1931_63:
	s_or_b64 exec, exec, s[4:5]
	s_and_saveexec_b64 s[4:5], s[14:15]
	s_cbranch_execz .LBB1931_65
; %bb.64:
	v_lshlrev_b32_e32 v12, 2, v13
	v_mov_b32_e32 v13, 0
	v_lshl_add_u64 v[12:13], s[52:53], 0, v[12:13]
	flat_load_dword v10, v[12:13]
.LBB1931_65:
	;; [unrolled: 20-line block ×9, first 2 shown]
	s_or_b64 exec, exec, s[4:5]
	v_mul_u32_u24_e32 v71, 23, v0
	v_mov_b32_e32 v26, 0
	s_and_saveexec_b64 s[4:5], s[46:47]
	s_cbranch_execz .LBB1931_95
; %bb.94:
	v_lshlrev_b32_e32 v26, 2, v28
	v_mov_b32_e32 v27, 0
	v_lshl_add_u64 v[26:27], s[52:53], 0, v[26:27]
	flat_load_dword v26, v[26:27]
.LBB1931_95:
	s_or_b64 exec, exec, s[4:5]
	s_waitcnt vmcnt(0) lgkmcnt(0)
	ds_write2st64_b32 v2, v30, v29 offset1:4
	ds_write2st64_b32 v2, v32, v31 offset0:8 offset1:12
	ds_write2st64_b32 v2, v33, v3 offset0:16 offset1:20
	;; [unrolled: 1-line block ×10, first 2 shown]
	ds_write_b32 v2, v26 offset:22528
	v_mov_b64_e32 v[10:11], 0
	v_cmp_gt_u32_e32 vcc, s3, v71
	s_mov_b64 s[10:11], 0
	s_mov_b64 s[4:5], 0
	v_mov_b64_e32 v[12:13], v[10:11]
	v_mov_b64_e32 v[14:15], v[10:11]
	;; [unrolled: 1-line block ×21, first 2 shown]
	s_waitcnt lgkmcnt(0)
	s_barrier
	s_waitcnt lgkmcnt(0)
                                        ; implicit-def: $sgpr8_sgpr9
                                        ; implicit-def: $vgpr2
	s_and_saveexec_b64 s[6:7], vcc
	s_cbranch_execz .LBB1931_141
; %bb.96:
	ds_read_b32 v2, v70
	v_mov_b32_e32 v10, s76
	v_cmp_eq_u32_e32 vcc, v72, v68
	v_add_u32_e32 v3, 1, v71
	v_mov_b64_e32 v[12:13], 0
	s_waitcnt lgkmcnt(0)
	v_cndmask_b32_e32 v10, v10, v2, vcc
	v_cmp_ne_u32_e32 vcc, v72, v68
	s_mov_b64 s[12:13], 0
	v_mov_b64_e32 v[14:15], v[12:13]
	v_cndmask_b32_e64 v11, 0, 1, vcc
	v_cmp_gt_u32_e32 vcc, s3, v3
	v_mov_b64_e32 v[16:17], v[12:13]
	v_mov_b64_e32 v[18:19], v[12:13]
	;; [unrolled: 1-line block ×19, first 2 shown]
                                        ; implicit-def: $sgpr14_sgpr15
                                        ; implicit-def: $vgpr2
	s_and_saveexec_b64 s[8:9], vcc
	s_cbranch_execz .LBB1931_140
; %bb.97:
	ds_read2_b32 v[2:3], v70 offset0:1 offset1:2
	v_mov_b32_e32 v12, s76
	v_cmp_eq_u32_e32 vcc, v68, v69
	v_add_u32_e32 v14, 2, v71
	s_mov_b64 s[14:15], 0
	s_waitcnt lgkmcnt(0)
	v_cndmask_b32_e32 v12, v12, v2, vcc
	v_cmp_ne_u32_e32 vcc, v68, v69
                                        ; implicit-def: $sgpr16_sgpr17
                                        ; implicit-def: $vgpr2
	s_nop 1
	v_cndmask_b32_e64 v13, 0, 1, vcc
	v_cmp_gt_u32_e32 vcc, s3, v14
	v_mov_b64_e32 v[14:15], 0
	v_mov_b64_e32 v[16:17], v[14:15]
	;; [unrolled: 1-line block ×20, first 2 shown]
	s_and_saveexec_b64 s[10:11], vcc
	s_cbranch_execz .LBB1931_139
; %bb.98:
	v_mov_b32_e32 v14, s76
	v_cmp_eq_u32_e32 vcc, v69, v66
	v_add_u32_e32 v2, 3, v71
	v_mov_b64_e32 v[16:17], 0
	v_cndmask_b32_e32 v14, v14, v3, vcc
	v_cmp_ne_u32_e32 vcc, v69, v66
	s_mov_b64 s[16:17], 0
	v_mov_b64_e32 v[18:19], v[16:17]
	v_cndmask_b32_e64 v15, 0, 1, vcc
	v_cmp_gt_u32_e32 vcc, s3, v2
	v_mov_b64_e32 v[20:21], v[16:17]
	v_mov_b64_e32 v[22:23], v[16:17]
	;; [unrolled: 1-line block ×17, first 2 shown]
                                        ; implicit-def: $sgpr18_sgpr19
                                        ; implicit-def: $vgpr2
	s_and_saveexec_b64 s[12:13], vcc
	s_cbranch_execz .LBB1931_138
; %bb.99:
	ds_read2_b32 v[2:3], v70 offset0:3 offset1:4
	v_mov_b32_e32 v16, s76
	v_cmp_eq_u32_e32 vcc, v66, v67
	v_add_u32_e32 v18, 4, v71
	s_mov_b64 s[18:19], 0
	s_waitcnt lgkmcnt(0)
	v_cndmask_b32_e32 v16, v16, v2, vcc
	v_cmp_ne_u32_e32 vcc, v66, v67
                                        ; implicit-def: $sgpr20_sgpr21
                                        ; implicit-def: $vgpr2
	s_nop 1
	v_cndmask_b32_e64 v17, 0, 1, vcc
	v_cmp_gt_u32_e32 vcc, s3, v18
	v_mov_b64_e32 v[18:19], 0
	v_mov_b64_e32 v[20:21], v[18:19]
	;; [unrolled: 1-line block ×18, first 2 shown]
	s_and_saveexec_b64 s[14:15], vcc
	s_cbranch_execz .LBB1931_137
; %bb.100:
	v_mov_b32_e32 v18, s76
	v_cmp_eq_u32_e32 vcc, v67, v64
	v_add_u32_e32 v2, 5, v71
	v_mov_b64_e32 v[20:21], 0
	v_cndmask_b32_e32 v18, v18, v3, vcc
	v_cmp_ne_u32_e32 vcc, v67, v64
	s_mov_b64 s[20:21], 0
	v_mov_b64_e32 v[22:23], v[20:21]
	v_cndmask_b32_e64 v19, 0, 1, vcc
	v_cmp_gt_u32_e32 vcc, s3, v2
	v_mov_b64_e32 v[24:25], v[20:21]
	v_mov_b64_e32 v[26:27], v[20:21]
	;; [unrolled: 1-line block ×15, first 2 shown]
                                        ; implicit-def: $sgpr22_sgpr23
                                        ; implicit-def: $vgpr2
	s_and_saveexec_b64 s[16:17], vcc
	s_cbranch_execz .LBB1931_136
; %bb.101:
	ds_read2_b32 v[2:3], v70 offset0:5 offset1:6
	v_mov_b32_e32 v20, s76
	v_cmp_eq_u32_e32 vcc, v64, v65
	v_add_u32_e32 v22, 6, v71
	s_mov_b64 s[22:23], 0
	s_waitcnt lgkmcnt(0)
	v_cndmask_b32_e32 v20, v20, v2, vcc
	v_cmp_ne_u32_e32 vcc, v64, v65
                                        ; implicit-def: $sgpr24_sgpr25
                                        ; implicit-def: $vgpr2
	s_nop 1
	v_cndmask_b32_e64 v21, 0, 1, vcc
	v_cmp_gt_u32_e32 vcc, s3, v22
	v_mov_b64_e32 v[22:23], 0
	v_mov_b64_e32 v[24:25], v[22:23]
	;; [unrolled: 1-line block ×16, first 2 shown]
	s_and_saveexec_b64 s[18:19], vcc
	s_cbranch_execz .LBB1931_135
; %bb.102:
	v_mov_b32_e32 v22, s76
	v_cmp_eq_u32_e32 vcc, v65, v62
	v_add_u32_e32 v2, 7, v71
	v_mov_b64_e32 v[24:25], 0
	v_cndmask_b32_e32 v22, v22, v3, vcc
	v_cmp_ne_u32_e32 vcc, v65, v62
	s_mov_b64 s[24:25], 0
	v_mov_b64_e32 v[26:27], v[24:25]
	v_cndmask_b32_e64 v23, 0, 1, vcc
	v_cmp_gt_u32_e32 vcc, s3, v2
	v_mov_b64_e32 v[28:29], v[24:25]
	v_mov_b64_e32 v[30:31], v[24:25]
	;; [unrolled: 1-line block ×13, first 2 shown]
                                        ; implicit-def: $sgpr26_sgpr27
                                        ; implicit-def: $vgpr2
	s_and_saveexec_b64 s[20:21], vcc
	s_cbranch_execz .LBB1931_134
; %bb.103:
	ds_read2_b32 v[2:3], v70 offset0:7 offset1:8
	v_mov_b32_e32 v24, s76
	v_cmp_eq_u32_e32 vcc, v62, v63
	v_add_u32_e32 v26, 8, v71
	s_mov_b64 s[26:27], 0
	s_waitcnt lgkmcnt(0)
	v_cndmask_b32_e32 v24, v24, v2, vcc
	v_cmp_ne_u32_e32 vcc, v62, v63
                                        ; implicit-def: $sgpr28_sgpr29
                                        ; implicit-def: $vgpr2
	s_nop 1
	v_cndmask_b32_e64 v25, 0, 1, vcc
	v_cmp_gt_u32_e32 vcc, s3, v26
	v_mov_b64_e32 v[26:27], 0
	v_mov_b64_e32 v[28:29], v[26:27]
	;; [unrolled: 1-line block ×14, first 2 shown]
	s_and_saveexec_b64 s[22:23], vcc
	s_cbranch_execz .LBB1931_133
; %bb.104:
	v_mov_b32_e32 v26, s76
	v_cmp_eq_u32_e32 vcc, v63, v60
	v_add_u32_e32 v2, 9, v71
	v_mov_b64_e32 v[28:29], 0
	v_cndmask_b32_e32 v26, v26, v3, vcc
	v_cmp_ne_u32_e32 vcc, v63, v60
	s_mov_b64 s[28:29], 0
	v_mov_b64_e32 v[30:31], v[28:29]
	v_cndmask_b32_e64 v27, 0, 1, vcc
	v_cmp_gt_u32_e32 vcc, s3, v2
	v_mov_b64_e32 v[32:33], v[28:29]
	v_mov_b64_e32 v[34:35], v[28:29]
	;; [unrolled: 1-line block ×11, first 2 shown]
                                        ; implicit-def: $sgpr30_sgpr31
                                        ; implicit-def: $vgpr2
	s_and_saveexec_b64 s[24:25], vcc
	s_cbranch_execz .LBB1931_132
; %bb.105:
	ds_read2_b32 v[2:3], v70 offset0:9 offset1:10
	v_mov_b32_e32 v28, s76
	v_cmp_eq_u32_e32 vcc, v60, v61
	v_add_u32_e32 v30, 10, v71
	s_mov_b64 s[30:31], 0
	s_waitcnt lgkmcnt(0)
	v_cndmask_b32_e32 v28, v28, v2, vcc
	v_cmp_ne_u32_e32 vcc, v60, v61
                                        ; implicit-def: $sgpr34_sgpr35
                                        ; implicit-def: $vgpr2
	s_nop 1
	v_cndmask_b32_e64 v29, 0, 1, vcc
	v_cmp_gt_u32_e32 vcc, s3, v30
	v_mov_b64_e32 v[30:31], 0
	v_mov_b64_e32 v[32:33], v[30:31]
	;; [unrolled: 1-line block ×12, first 2 shown]
	s_and_saveexec_b64 s[26:27], vcc
	s_cbranch_execz .LBB1931_131
; %bb.106:
	v_mov_b32_e32 v30, s76
	v_cmp_eq_u32_e32 vcc, v61, v58
	v_add_u32_e32 v2, 11, v71
	v_mov_b64_e32 v[32:33], 0
	v_cndmask_b32_e32 v30, v30, v3, vcc
	v_cmp_ne_u32_e32 vcc, v61, v58
	s_mov_b64 s[34:35], 0
	v_mov_b64_e32 v[34:35], v[32:33]
	v_cndmask_b32_e64 v31, 0, 1, vcc
	v_cmp_gt_u32_e32 vcc, s3, v2
	v_mov_b64_e32 v[36:37], v[32:33]
	v_mov_b64_e32 v[38:39], v[32:33]
	;; [unrolled: 1-line block ×9, first 2 shown]
                                        ; implicit-def: $sgpr36_sgpr37
                                        ; implicit-def: $vgpr2
	s_and_saveexec_b64 s[28:29], vcc
	s_cbranch_execz .LBB1931_130
; %bb.107:
	ds_read2_b32 v[2:3], v70 offset0:11 offset1:12
	v_mov_b32_e32 v32, s76
	v_cmp_eq_u32_e32 vcc, v58, v59
	v_add_u32_e32 v34, 12, v71
	s_mov_b64 s[36:37], 0
	s_waitcnt lgkmcnt(0)
	v_cndmask_b32_e32 v32, v32, v2, vcc
	v_cmp_ne_u32_e32 vcc, v58, v59
                                        ; implicit-def: $sgpr38_sgpr39
                                        ; implicit-def: $vgpr2
	s_nop 1
	v_cndmask_b32_e64 v33, 0, 1, vcc
	v_cmp_gt_u32_e32 vcc, s3, v34
	v_mov_b64_e32 v[34:35], 0
	v_mov_b64_e32 v[36:37], v[34:35]
	v_mov_b64_e32 v[38:39], v[34:35]
	v_mov_b64_e32 v[40:41], v[34:35]
	v_mov_b64_e32 v[42:43], v[34:35]
	v_mov_b64_e32 v[44:45], v[34:35]
	v_mov_b64_e32 v[46:47], v[34:35]
	v_mov_b64_e32 v[48:49], v[34:35]
	v_mov_b64_e32 v[50:51], v[34:35]
	v_mov_b64_e32 v[52:53], v[34:35]
	s_and_saveexec_b64 s[30:31], vcc
	s_cbranch_execz .LBB1931_129
; %bb.108:
	v_mov_b32_e32 v34, s76
	v_cmp_eq_u32_e32 vcc, v59, v56
	v_add_u32_e32 v2, 13, v71
	v_mov_b64_e32 v[36:37], 0
	v_cndmask_b32_e32 v34, v34, v3, vcc
	v_cmp_ne_u32_e32 vcc, v59, v56
	s_mov_b64 s[38:39], 0
	v_mov_b64_e32 v[38:39], v[36:37]
	v_cndmask_b32_e64 v35, 0, 1, vcc
	v_cmp_gt_u32_e32 vcc, s3, v2
	v_mov_b64_e32 v[40:41], v[36:37]
	v_mov_b64_e32 v[42:43], v[36:37]
	;; [unrolled: 1-line block ×7, first 2 shown]
                                        ; implicit-def: $sgpr40_sgpr41
                                        ; implicit-def: $vgpr2
	s_and_saveexec_b64 s[34:35], vcc
	s_cbranch_execz .LBB1931_128
; %bb.109:
	ds_read2_b32 v[2:3], v70 offset0:13 offset1:14
	v_mov_b32_e32 v36, s76
	v_cmp_eq_u32_e32 vcc, v56, v57
	v_add_u32_e32 v38, 14, v71
	s_mov_b64 s[40:41], 0
	s_waitcnt lgkmcnt(0)
	v_cndmask_b32_e32 v36, v36, v2, vcc
	v_cmp_ne_u32_e32 vcc, v56, v57
                                        ; implicit-def: $sgpr42_sgpr43
                                        ; implicit-def: $vgpr2
	s_nop 1
	v_cndmask_b32_e64 v37, 0, 1, vcc
	v_cmp_gt_u32_e32 vcc, s3, v38
	v_mov_b64_e32 v[38:39], 0
	v_mov_b64_e32 v[40:41], v[38:39]
	;; [unrolled: 1-line block ×8, first 2 shown]
	s_and_saveexec_b64 s[36:37], vcc
	s_cbranch_execz .LBB1931_127
; %bb.110:
	v_mov_b32_e32 v38, s76
	v_cmp_eq_u32_e32 vcc, v57, v54
	v_add_u32_e32 v2, 15, v71
	v_mov_b64_e32 v[40:41], 0
	v_cndmask_b32_e32 v38, v38, v3, vcc
	v_cmp_ne_u32_e32 vcc, v57, v54
	s_mov_b64 s[42:43], 0
	v_mov_b64_e32 v[42:43], v[40:41]
	v_cndmask_b32_e64 v39, 0, 1, vcc
	v_cmp_gt_u32_e32 vcc, s3, v2
	v_mov_b64_e32 v[44:45], v[40:41]
	v_mov_b64_e32 v[46:47], v[40:41]
	;; [unrolled: 1-line block ×5, first 2 shown]
                                        ; implicit-def: $sgpr44_sgpr45
                                        ; implicit-def: $vgpr2
	s_and_saveexec_b64 s[38:39], vcc
	s_cbranch_execz .LBB1931_126
; %bb.111:
	ds_read2_b32 v[2:3], v70 offset0:15 offset1:16
	v_mov_b32_e32 v40, s76
	v_cmp_eq_u32_e32 vcc, v54, v55
	v_add_u32_e32 v42, 16, v71
	s_mov_b64 s[44:45], 0
	s_waitcnt lgkmcnt(0)
	v_cndmask_b32_e32 v40, v40, v2, vcc
	v_cmp_ne_u32_e32 vcc, v54, v55
                                        ; implicit-def: $sgpr46_sgpr47
                                        ; implicit-def: $vgpr2
	s_nop 1
	v_cndmask_b32_e64 v41, 0, 1, vcc
	v_cmp_gt_u32_e32 vcc, s3, v42
	v_mov_b64_e32 v[42:43], 0
	v_mov_b64_e32 v[44:45], v[42:43]
	;; [unrolled: 1-line block ×6, first 2 shown]
	s_and_saveexec_b64 s[40:41], vcc
	s_cbranch_execz .LBB1931_125
; %bb.112:
	v_mov_b32_e32 v42, s76
	v_cmp_eq_u32_e32 vcc, v55, v8
	v_add_u32_e32 v2, 17, v71
	v_mov_b64_e32 v[44:45], 0
	v_cndmask_b32_e32 v42, v42, v3, vcc
	v_cmp_ne_u32_e32 vcc, v55, v8
	s_mov_b64 s[46:47], 0
	v_mov_b64_e32 v[46:47], v[44:45]
	v_cndmask_b32_e64 v43, 0, 1, vcc
	v_cmp_gt_u32_e32 vcc, s3, v2
	v_mov_b64_e32 v[48:49], v[44:45]
	v_mov_b64_e32 v[50:51], v[44:45]
	;; [unrolled: 1-line block ×3, first 2 shown]
                                        ; implicit-def: $sgpr48_sgpr49
                                        ; implicit-def: $vgpr2
	s_and_saveexec_b64 s[42:43], vcc
	s_cbranch_execz .LBB1931_124
; %bb.113:
	ds_read2_b32 v[2:3], v70 offset0:17 offset1:18
	v_mov_b32_e32 v44, s76
	v_cmp_eq_u32_e32 vcc, v8, v9
	v_add_u32_e32 v46, 18, v71
	s_mov_b64 s[48:49], 0
	s_waitcnt lgkmcnt(0)
	v_cndmask_b32_e32 v44, v44, v2, vcc
	v_cmp_ne_u32_e32 vcc, v8, v9
                                        ; implicit-def: $sgpr50_sgpr51
                                        ; implicit-def: $vgpr2
	s_nop 1
	v_cndmask_b32_e64 v45, 0, 1, vcc
	v_cmp_gt_u32_e32 vcc, s3, v46
	v_mov_b64_e32 v[46:47], 0
	v_mov_b64_e32 v[48:49], v[46:47]
	;; [unrolled: 1-line block ×4, first 2 shown]
	s_and_saveexec_b64 s[44:45], vcc
	s_cbranch_execz .LBB1931_123
; %bb.114:
	v_mov_b32_e32 v8, s76
	v_cmp_eq_u32_e32 vcc, v9, v6
	v_add_u32_e32 v2, 19, v71
	v_mov_b64_e32 v[48:49], 0
	v_cndmask_b32_e32 v46, v8, v3, vcc
	v_cmp_ne_u32_e32 vcc, v9, v6
	s_mov_b64 s[50:51], 0
	v_mov_b64_e32 v[50:51], v[48:49]
	v_cndmask_b32_e64 v47, 0, 1, vcc
	v_cmp_gt_u32_e32 vcc, s3, v2
	v_mov_b64_e32 v[52:53], v[48:49]
                                        ; implicit-def: $sgpr60_sgpr61
                                        ; implicit-def: $vgpr2
	s_and_saveexec_b64 s[46:47], vcc
	s_cbranch_execz .LBB1931_122
; %bb.115:
	ds_read2_b32 v[2:3], v70 offset0:19 offset1:20
	v_mov_b32_e32 v9, s76
	v_cmp_eq_u32_e32 vcc, v6, v7
	v_add_u32_e32 v8, 20, v71
	v_mov_b64_e32 v[50:51], 0
	s_waitcnt lgkmcnt(0)
	v_cndmask_b32_e32 v48, v9, v2, vcc
	v_cmp_ne_u32_e32 vcc, v6, v7
	s_mov_b64 s[60:61], 0
	v_mov_b64_e32 v[52:53], v[50:51]
	v_cndmask_b32_e64 v49, 0, 1, vcc
	v_cmp_gt_u32_e32 vcc, s3, v8
                                        ; implicit-def: $sgpr72_sgpr73
                                        ; implicit-def: $vgpr2
	s_and_saveexec_b64 s[48:49], vcc
	s_cbranch_execz .LBB1931_121
; %bb.116:
	v_mov_b32_e32 v6, s76
	v_cmp_eq_u32_e32 vcc, v7, v4
	v_add_u32_e32 v2, 21, v71
	v_mov_b64_e32 v[52:53], 0
	v_cndmask_b32_e32 v50, v6, v3, vcc
	v_cmp_ne_u32_e32 vcc, v7, v4
                                        ; implicit-def: $sgpr72_sgpr73
	s_nop 1
	v_cndmask_b32_e64 v51, 0, 1, vcc
	v_cmp_gt_u32_e32 vcc, s3, v2
                                        ; implicit-def: $vgpr2
	s_and_saveexec_b64 s[50:51], vcc
	s_cbranch_execz .LBB1931_120
; %bb.117:
	ds_read2_b32 v[2:3], v70 offset0:21 offset1:22
	v_mov_b32_e32 v7, s76
	v_cmp_eq_u32_e32 vcc, v4, v5
	v_add_u32_e32 v6, 22, v71
                                        ; implicit-def: $sgpr72_sgpr73
	s_waitcnt lgkmcnt(0)
	v_cndmask_b32_e32 v52, v7, v2, vcc
	v_cmp_ne_u32_e32 vcc, v4, v5
                                        ; implicit-def: $vgpr2
	s_nop 1
	v_cndmask_b32_e64 v53, 0, 1, vcc
	v_cmp_gt_u32_e32 vcc, s3, v6
	s_and_saveexec_b64 s[74:75], vcc
	s_xor_b64 s[74:75], exec, s[74:75]
; %bb.118:
	v_mov_b32_e32 v2, s76
	v_cmp_ne_u32_e32 vcc, v5, v1
	s_mov_b64 s[60:61], exec
	s_and_b64 s[72:73], vcc, exec
	v_cndmask_b32_e32 v2, v3, v2, vcc
; %bb.119:
	s_or_b64 exec, exec, s[74:75]
	s_and_b64 s[72:73], s[72:73], exec
	s_and_b64 s[60:61], s[60:61], exec
.LBB1931_120:
	s_or_b64 exec, exec, s[50:51]
	s_and_b64 s[72:73], s[72:73], exec
	s_and_b64 s[50:51], s[60:61], exec
.LBB1931_121:
	s_or_b64 exec, exec, s[48:49]
	s_and_b64 s[60:61], s[72:73], exec
	s_and_b64 s[48:49], s[50:51], exec
.LBB1931_122:
	s_or_b64 exec, exec, s[46:47]
	s_and_b64 s[50:51], s[60:61], exec
	s_and_b64 s[46:47], s[48:49], exec
.LBB1931_123:
	s_or_b64 exec, exec, s[44:45]
	s_and_b64 s[48:49], s[50:51], exec
	s_and_b64 s[44:45], s[46:47], exec
.LBB1931_124:
	s_or_b64 exec, exec, s[42:43]
	s_and_b64 s[46:47], s[48:49], exec
	s_and_b64 s[42:43], s[44:45], exec
.LBB1931_125:
	s_or_b64 exec, exec, s[40:41]
	s_and_b64 s[44:45], s[46:47], exec
	s_and_b64 s[40:41], s[42:43], exec
.LBB1931_126:
	s_or_b64 exec, exec, s[38:39]
	s_and_b64 s[42:43], s[44:45], exec
	s_and_b64 s[38:39], s[40:41], exec
.LBB1931_127:
	s_or_b64 exec, exec, s[36:37]
	s_and_b64 s[40:41], s[42:43], exec
	s_and_b64 s[36:37], s[38:39], exec
.LBB1931_128:
	s_or_b64 exec, exec, s[34:35]
	s_and_b64 s[38:39], s[40:41], exec
	s_and_b64 s[34:35], s[36:37], exec
.LBB1931_129:
	s_or_b64 exec, exec, s[30:31]
	s_and_b64 s[36:37], s[38:39], exec
	s_and_b64 s[30:31], s[34:35], exec
.LBB1931_130:
	s_or_b64 exec, exec, s[28:29]
	s_and_b64 s[34:35], s[36:37], exec
	s_and_b64 s[28:29], s[30:31], exec
.LBB1931_131:
	s_or_b64 exec, exec, s[26:27]
	s_and_b64 s[30:31], s[34:35], exec
	s_and_b64 s[26:27], s[28:29], exec
.LBB1931_132:
	s_or_b64 exec, exec, s[24:25]
	s_and_b64 s[28:29], s[30:31], exec
	s_and_b64 s[24:25], s[26:27], exec
.LBB1931_133:
	s_or_b64 exec, exec, s[22:23]
	s_and_b64 s[26:27], s[28:29], exec
	s_and_b64 s[22:23], s[24:25], exec
.LBB1931_134:
	s_or_b64 exec, exec, s[20:21]
	s_and_b64 s[24:25], s[26:27], exec
	s_and_b64 s[20:21], s[22:23], exec
.LBB1931_135:
	s_or_b64 exec, exec, s[18:19]
	s_and_b64 s[22:23], s[24:25], exec
	s_and_b64 s[18:19], s[20:21], exec
.LBB1931_136:
	s_or_b64 exec, exec, s[16:17]
	s_and_b64 s[20:21], s[22:23], exec
	s_and_b64 s[16:17], s[18:19], exec
.LBB1931_137:
	s_or_b64 exec, exec, s[14:15]
	s_and_b64 s[18:19], s[20:21], exec
	s_and_b64 s[14:15], s[16:17], exec
.LBB1931_138:
	s_or_b64 exec, exec, s[12:13]
	s_and_b64 s[16:17], s[18:19], exec
	s_and_b64 s[12:13], s[14:15], exec
.LBB1931_139:
	s_or_b64 exec, exec, s[10:11]
	s_and_b64 s[14:15], s[16:17], exec
	s_and_b64 s[10:11], s[12:13], exec
.LBB1931_140:
	s_or_b64 exec, exec, s[8:9]
	s_and_b64 s[8:9], s[14:15], exec
	s_and_b64 s[10:11], s[10:11], exec
.LBB1931_141:
	s_or_b64 exec, exec, s[6:7]
	s_mov_b64 s[6:7], 0
	s_and_b64 vcc, exec, s[4:5]
	v_lshlrev_b32_e32 v54, 2, v0
	s_cbranch_vccnz .LBB1931_143
	s_branch .LBB1931_148
.LBB1931_142:
	s_mov_b64 s[10:11], 0
                                        ; implicit-def: $sgpr8_sgpr9
                                        ; implicit-def: $vgpr10_vgpr11
                                        ; implicit-def: $vgpr12_vgpr13
                                        ; implicit-def: $vgpr14_vgpr15
                                        ; implicit-def: $vgpr16_vgpr17
                                        ; implicit-def: $vgpr18_vgpr19
                                        ; implicit-def: $vgpr20_vgpr21
                                        ; implicit-def: $vgpr22_vgpr23
                                        ; implicit-def: $vgpr24_vgpr25
                                        ; implicit-def: $vgpr26_vgpr27
                                        ; implicit-def: $vgpr28_vgpr29
                                        ; implicit-def: $vgpr30_vgpr31
                                        ; implicit-def: $vgpr32_vgpr33
                                        ; implicit-def: $vgpr34_vgpr35
                                        ; implicit-def: $vgpr36_vgpr37
                                        ; implicit-def: $vgpr38_vgpr39
                                        ; implicit-def: $vgpr40_vgpr41
                                        ; implicit-def: $vgpr42_vgpr43
                                        ; implicit-def: $vgpr44_vgpr45
                                        ; implicit-def: $vgpr46_vgpr47
                                        ; implicit-def: $vgpr48_vgpr49
                                        ; implicit-def: $vgpr50_vgpr51
                                        ; implicit-def: $vgpr52_vgpr53
                                        ; implicit-def: $vgpr2
                                        ; implicit-def: $sgpr6_sgpr7
	s_and_b64 vcc, exec, s[4:5]
	v_lshlrev_b32_e32 v54, 2, v0
	s_cbranch_vccz .LBB1931_148
.LBB1931_143:
	v_mov_b32_e32 v55, 0
	v_lshl_add_u64 v[2:3], s[70:71], 0, v[54:55]
	v_add_co_u32_e32 v4, vcc, 0x1000, v2
	s_movk_i32 s6, 0x58
	s_nop 0
	v_addc_co_u32_e32 v5, vcc, 0, v3, vcc
	flat_load_dword v1, v[2:3]
	flat_load_dword v8, v[2:3] offset:1024
	flat_load_dword v9, v[2:3] offset:2048
	;; [unrolled: 1-line block ×3, first 2 shown]
	flat_load_dword v11, v[4:5]
	flat_load_dword v12, v[4:5] offset:1024
	flat_load_dword v13, v[4:5] offset:2048
	;; [unrolled: 1-line block ×3, first 2 shown]
	v_add_co_u32_e32 v4, vcc, 0x2000, v2
	s_movk_i32 s10, 0x1000
	s_nop 0
	v_addc_co_u32_e32 v5, vcc, 0, v3, vcc
	v_add_co_u32_e32 v6, vcc, 0x3000, v2
	s_mov_b32 s4, 0
	s_nop 0
	v_addc_co_u32_e32 v7, vcc, 0, v3, vcc
	flat_load_dword v15, v[4:5]
	flat_load_dword v16, v[4:5] offset:1024
	flat_load_dword v17, v[4:5] offset:2048
	;; [unrolled: 1-line block ×3, first 2 shown]
	flat_load_dword v19, v[6:7]
	flat_load_dword v20, v[6:7] offset:1024
	flat_load_dword v21, v[6:7] offset:2048
	;; [unrolled: 1-line block ×3, first 2 shown]
	v_add_co_u32_e32 v4, vcc, 0x4000, v2
	s_movk_i32 s9, 0x2000
	s_nop 0
	v_addc_co_u32_e32 v5, vcc, 0, v3, vcc
	v_add_co_u32_e32 v2, vcc, 0x5000, v2
	s_movk_i32 s8, 0x3000
	s_nop 0
	v_addc_co_u32_e32 v3, vcc, 0, v3, vcc
	flat_load_dword v6, v[4:5]
	flat_load_dword v7, v[4:5] offset:1024
	flat_load_dword v23, v[4:5] offset:2048
	;; [unrolled: 1-line block ×3, first 2 shown]
	flat_load_dword v25, v[2:3]
	flat_load_dword v26, v[2:3] offset:1024
	flat_load_dword v27, v[2:3] offset:2048
	v_mov_b32_e32 v2, s70
	v_mov_b32_e32 v3, s71
	v_add_co_u32_e32 v2, vcc, 0x5000, v2
	s_movk_i32 s5, 0x4000
	s_nop 0
	v_addc_co_u32_e32 v3, vcc, 0, v3, vcc
	s_movk_i32 s3, 0x5000
	s_waitcnt vmcnt(0) lgkmcnt(0)
	ds_write2st64_b32 v54, v1, v8 offset1:4
	ds_write2st64_b32 v54, v9, v10 offset0:8 offset1:12
	ds_write2st64_b32 v54, v11, v12 offset0:16 offset1:20
	;; [unrolled: 1-line block ×10, first 2 shown]
	ds_write_b32 v54, v27 offset:22528
	s_waitcnt lgkmcnt(0)
	s_barrier
	flat_load_dword v1, v[2:3] offset:3072
	v_mad_u32_u24 v12, v0, s6, v54
	s_movk_i32 s6, 0xffa8
	v_mad_i32_i24 v11, v0, s6, v12
	s_movk_i32 s6, 0xff
	v_cmp_ne_u32_e32 vcc, s6, v0
	ds_read_b32 v10, v12
	ds_read2_b32 v[14:15], v12 offset0:1 offset1:2
	ds_read2_b32 v[18:19], v12 offset0:3 offset1:4
	;; [unrolled: 1-line block ×11, first 2 shown]
	s_waitcnt lgkmcnt(0)
	ds_write_b32 v11, v10 offset:24576
	s_waitcnt lgkmcnt(0)
	s_barrier
	s_and_saveexec_b64 s[6:7], vcc
	s_cbranch_execz .LBB1931_145
; %bb.144:
	s_waitcnt vmcnt(0)
	ds_read_b32 v1, v54 offset:24580
.LBB1931_145:
	s_or_b64 exec, exec, s[6:7]
	v_lshl_add_u64 v[16:17], s[52:53], 0, v[54:55]
	v_add_co_u32_e32 v20, vcc, s10, v16
	s_waitcnt lgkmcnt(0)
	s_nop 0
	v_addc_co_u32_e32 v21, vcc, 0, v17, vcc
	s_barrier
	flat_load_dword v11, v[16:17]
	flat_load_dword v13, v[16:17] offset:1024
	flat_load_dword v28, v[16:17] offset:2048
	;; [unrolled: 1-line block ×3, first 2 shown]
	flat_load_dword v32, v[20:21]
	flat_load_dword v33, v[20:21] offset:1024
	flat_load_dword v36, v[20:21] offset:2048
	flat_load_dword v37, v[20:21] offset:3072
	v_add_co_u32_e32 v20, vcc, s9, v16
	s_nop 1
	v_addc_co_u32_e32 v21, vcc, 0, v17, vcc
	v_add_co_u32_e32 v24, vcc, s8, v16
	s_nop 1
	v_addc_co_u32_e32 v25, vcc, 0, v17, vcc
	flat_load_dword v40, v[20:21]
	flat_load_dword v41, v[20:21] offset:1024
	flat_load_dword v42, v[20:21] offset:2048
	;; [unrolled: 1-line block ×3, first 2 shown]
	flat_load_dword v44, v[24:25]
	flat_load_dword v45, v[24:25] offset:1024
	flat_load_dword v46, v[24:25] offset:2048
	;; [unrolled: 1-line block ×3, first 2 shown]
	v_add_co_u32_e32 v20, vcc, s5, v16
	s_mov_b32 s5, 1
	s_nop 0
	v_addc_co_u32_e32 v21, vcc, 0, v17, vcc
	v_add_co_u32_e32 v16, vcc, s3, v16
	s_nop 1
	v_addc_co_u32_e32 v17, vcc, 0, v17, vcc
	flat_load_dword v24, v[20:21]
	flat_load_dword v25, v[20:21] offset:1024
	flat_load_dword v48, v[20:21] offset:2048
	;; [unrolled: 1-line block ×3, first 2 shown]
	flat_load_dword v50, v[16:17]
	flat_load_dword v51, v[16:17] offset:1024
	flat_load_dword v52, v[16:17] offset:2048
	v_cmp_eq_u32_e32 vcc, v10, v14
	s_waitcnt vmcnt(0) lgkmcnt(0)
	ds_write2st64_b32 v54, v11, v13 offset1:4
	ds_write2st64_b32 v54, v28, v29 offset0:8 offset1:12
	ds_write2st64_b32 v54, v32, v33 offset0:16 offset1:20
	;; [unrolled: 1-line block ×10, first 2 shown]
	ds_write_b32 v54, v52 offset:22528
	s_waitcnt lgkmcnt(0)
	s_barrier
	ds_read2_b32 v[16:17], v12 offset0:1 offset1:2
	ds_read2_b32 v[20:21], v12 offset0:3 offset1:4
	;; [unrolled: 1-line block ×11, first 2 shown]
	v_mov_b64_e32 v[10:11], s[4:5]
	v_mov_b32_e32 v13, s76
	s_and_saveexec_b64 s[4:5], vcc
	s_cbranch_execz .LBB1931_147
; %bb.146:
	ds_read_b32 v13, v12
	v_mov_b64_e32 v[10:11], 0
.LBB1931_147:
	s_or_b64 exec, exec, s[4:5]
	v_mov_b32_e32 v55, s76
	v_cmp_eq_u32_e32 vcc, v14, v15
	s_waitcnt lgkmcnt(0)
	v_or_b32_e32 v10, v10, v13
	v_cmp_ne_u32_e64 s[8:9], v3, v1
	v_cndmask_b32_e32 v12, v55, v16, vcc
	v_cmp_ne_u32_e32 vcc, v14, v15
	s_mov_b64 s[10:11], -1
                                        ; implicit-def: $sgpr6_sgpr7
	s_nop 0
	v_cndmask_b32_e64 v13, 0, 1, vcc
	v_cmp_eq_u32_e32 vcc, v15, v18
	s_nop 1
	v_cndmask_b32_e32 v14, v55, v17, vcc
	v_cmp_ne_u32_e32 vcc, v15, v18
	s_nop 1
	v_cndmask_b32_e64 v15, 0, 1, vcc
	v_cmp_eq_u32_e32 vcc, v18, v19
	s_nop 1
	v_cndmask_b32_e32 v16, v55, v20, vcc
	v_cmp_ne_u32_e32 vcc, v18, v19
	s_nop 1
	v_cndmask_b32_e64 v17, 0, 1, vcc
	v_cmp_eq_u32_e32 vcc, v19, v22
	s_nop 1
	v_cndmask_b32_e32 v18, v55, v21, vcc
	v_cmp_ne_u32_e32 vcc, v19, v22
	s_nop 1
	v_cndmask_b32_e64 v19, 0, 1, vcc
	v_cmp_eq_u32_e32 vcc, v22, v23
	s_nop 1
	v_cndmask_b32_e32 v20, v55, v24, vcc
	v_cmp_ne_u32_e32 vcc, v22, v23
	s_nop 1
	v_cndmask_b32_e64 v21, 0, 1, vcc
	v_cmp_eq_u32_e32 vcc, v23, v26
	s_nop 1
	v_cndmask_b32_e32 v22, v55, v25, vcc
	v_cmp_ne_u32_e32 vcc, v23, v26
	s_nop 1
	v_cndmask_b32_e64 v23, 0, 1, vcc
	v_cmp_eq_u32_e32 vcc, v26, v27
	s_nop 1
	v_cndmask_b32_e32 v24, v55, v28, vcc
	v_cmp_ne_u32_e32 vcc, v26, v27
	s_nop 1
	v_cndmask_b32_e64 v25, 0, 1, vcc
	v_cmp_eq_u32_e32 vcc, v27, v30
	s_nop 1
	v_cndmask_b32_e32 v26, v55, v29, vcc
	v_cmp_ne_u32_e32 vcc, v27, v30
	s_nop 1
	v_cndmask_b32_e64 v27, 0, 1, vcc
	v_cmp_eq_u32_e32 vcc, v30, v31
	s_nop 1
	v_cndmask_b32_e32 v28, v55, v32, vcc
	v_cmp_ne_u32_e32 vcc, v30, v31
	s_nop 1
	v_cndmask_b32_e64 v29, 0, 1, vcc
	v_cmp_eq_u32_e32 vcc, v31, v34
	s_nop 1
	v_cndmask_b32_e32 v30, v55, v33, vcc
	v_cmp_ne_u32_e32 vcc, v31, v34
	s_nop 1
	v_cndmask_b32_e64 v31, 0, 1, vcc
	v_cmp_eq_u32_e32 vcc, v34, v35
	s_nop 1
	v_cndmask_b32_e32 v32, v55, v36, vcc
	v_cmp_ne_u32_e32 vcc, v34, v35
	s_nop 1
	v_cndmask_b32_e64 v33, 0, 1, vcc
	v_cmp_eq_u32_e32 vcc, v35, v38
	s_nop 1
	v_cndmask_b32_e32 v34, v55, v37, vcc
	v_cmp_ne_u32_e32 vcc, v35, v38
	s_nop 1
	v_cndmask_b32_e64 v35, 0, 1, vcc
	v_cmp_eq_u32_e32 vcc, v38, v39
	s_nop 1
	v_cndmask_b32_e32 v36, v55, v40, vcc
	v_cmp_ne_u32_e32 vcc, v38, v39
	s_nop 1
	v_cndmask_b32_e64 v37, 0, 1, vcc
	v_cmp_eq_u32_e32 vcc, v39, v8
	s_nop 1
	v_cndmask_b32_e32 v38, v55, v41, vcc
	v_cmp_ne_u32_e32 vcc, v39, v8
	s_nop 1
	v_cndmask_b32_e64 v39, 0, 1, vcc
	v_cmp_eq_u32_e32 vcc, v8, v9
	s_nop 1
	v_cndmask_b32_e32 v40, v55, v42, vcc
	v_cmp_ne_u32_e32 vcc, v8, v9
	s_nop 1
	v_cndmask_b32_e64 v41, 0, 1, vcc
	v_cmp_eq_u32_e32 vcc, v9, v6
	s_nop 1
	v_cndmask_b32_e32 v42, v55, v43, vcc
	v_cmp_ne_u32_e32 vcc, v9, v6
	s_nop 1
	v_cndmask_b32_e64 v43, 0, 1, vcc
	v_cmp_eq_u32_e32 vcc, v6, v7
	s_nop 1
	v_cndmask_b32_e32 v44, v55, v46, vcc
	v_cmp_ne_u32_e32 vcc, v6, v7
	s_nop 1
	v_cndmask_b32_e64 v45, 0, 1, vcc
	v_cmp_eq_u32_e32 vcc, v7, v4
	s_nop 1
	v_cndmask_b32_e32 v46, v55, v47, vcc
	v_cmp_ne_u32_e32 vcc, v7, v4
	s_nop 1
	v_cndmask_b32_e64 v47, 0, 1, vcc
	v_cmp_eq_u32_e32 vcc, v4, v5
	s_nop 1
	v_cndmask_b32_e32 v48, v55, v50, vcc
	v_cmp_ne_u32_e32 vcc, v4, v5
	s_nop 1
	v_cndmask_b32_e64 v49, 0, 1, vcc
	v_cmp_eq_u32_e32 vcc, v5, v2
	s_nop 1
	v_cndmask_b32_e32 v50, v55, v51, vcc
	v_cmp_ne_u32_e32 vcc, v5, v2
	s_nop 1
	v_cndmask_b32_e64 v51, 0, 1, vcc
	v_cmp_eq_u32_e32 vcc, v2, v3
	s_nop 1
	v_cndmask_b32_e32 v52, v55, v56, vcc
	v_cmp_ne_u32_e32 vcc, v2, v3
	v_cndmask_b32_e64 v2, v57, v55, s[8:9]
	s_nop 0
	v_cndmask_b32_e64 v53, 0, 1, vcc
.LBB1931_148:
	v_mov_b64_e32 v[56:57], s[6:7]
	s_and_saveexec_b64 s[4:5], s[10:11]
; %bb.149:
	v_cndmask_b32_e64 v3, 0, 1, s[8:9]
	v_mov_b64_e32 v[56:57], v[2:3]
; %bb.150:
	s_or_b64 exec, exec, s[4:5]
	s_mov_b32 s46, 0
	s_cmp_lg_u32 s2, 0
	v_or_b32_e32 v55, v57, v53
	v_lshrrev_b32_e32 v1, 5, v0
	v_cmp_gt_u32_e32 vcc, 64, v0
	s_barrier
	s_cbranch_scc0 .LBB1931_189
; %bb.151:
	s_mov_b32 s47, 1
	v_cmp_gt_u64_e64 s[50:51], s[46:47], v[12:13]
	v_cmp_gt_u64_e64 s[4:5], s[46:47], v[14:15]
	v_cmp_gt_u64_e64 s[6:7], s[46:47], v[16:17]
	v_cndmask_b32_e64 v2, 0, v10, s[50:51]
	v_add_u32_e32 v2, v2, v12
	v_cndmask_b32_e64 v2, 0, v2, s[4:5]
	v_add_u32_e32 v2, v2, v14
	v_cndmask_b32_e64 v2, 0, v2, s[6:7]
	v_add_u32_e32 v2, v2, v16
	v_cmp_gt_u64_e64 s[8:9], s[46:47], v[18:19]
	v_cmp_gt_u64_e64 s[10:11], s[46:47], v[20:21]
	v_cmp_gt_u64_e64 s[12:13], s[46:47], v[22:23]
	v_cndmask_b32_e64 v2, 0, v2, s[8:9]
	v_add_u32_e32 v2, v2, v18
	v_cndmask_b32_e64 v2, 0, v2, s[10:11]
	v_add_u32_e32 v2, v2, v20
	v_cndmask_b32_e64 v2, 0, v2, s[12:13]
	v_add_u32_e32 v2, v2, v22
	v_cmp_gt_u64_e64 s[14:15], s[46:47], v[24:25]
	v_cmp_gt_u64_e64 s[16:17], s[46:47], v[26:27]
	v_cmp_gt_u64_e64 s[18:19], s[46:47], v[28:29]
	v_cndmask_b32_e64 v2, 0, v2, s[14:15]
	v_add_u32_e32 v2, v2, v24
	v_cndmask_b32_e64 v2, 0, v2, s[16:17]
	v_add_u32_e32 v2, v2, v26
	v_cndmask_b32_e64 v2, 0, v2, s[18:19]
	v_add_u32_e32 v2, v2, v28
	v_cmp_gt_u64_e64 s[20:21], s[46:47], v[30:31]
	v_cmp_gt_u64_e64 s[22:23], s[46:47], v[32:33]
	v_cmp_gt_u64_e64 s[24:25], s[46:47], v[34:35]
	v_cndmask_b32_e64 v2, 0, v2, s[20:21]
	v_add_u32_e32 v2, v2, v30
	v_cndmask_b32_e64 v2, 0, v2, s[22:23]
	v_add_u32_e32 v2, v2, v32
	v_cndmask_b32_e64 v2, 0, v2, s[24:25]
	v_add_u32_e32 v2, v2, v34
	v_cmp_gt_u64_e64 s[26:27], s[46:47], v[36:37]
	v_cmp_gt_u64_e64 s[28:29], s[46:47], v[38:39]
	v_cmp_gt_u64_e64 s[30:31], s[46:47], v[40:41]
	v_cndmask_b32_e64 v2, 0, v2, s[26:27]
	v_add_u32_e32 v2, v2, v36
	v_cndmask_b32_e64 v2, 0, v2, s[28:29]
	v_add_u32_e32 v2, v2, v38
	v_cndmask_b32_e64 v2, 0, v2, s[30:31]
	v_add_u32_e32 v2, v2, v40
	v_cmp_gt_u64_e64 s[34:35], s[46:47], v[42:43]
	v_cmp_gt_u64_e64 s[36:37], s[46:47], v[44:45]
	v_cmp_gt_u64_e64 s[38:39], s[46:47], v[46:47]
	v_cndmask_b32_e64 v2, 0, v2, s[34:35]
	v_add_u32_e32 v2, v2, v42
	v_cndmask_b32_e64 v2, 0, v2, s[36:37]
	v_add_u32_e32 v2, v2, v44
	v_cndmask_b32_e64 v2, 0, v2, s[38:39]
	v_add_u32_e32 v2, v2, v46
	v_cmp_gt_u64_e64 s[40:41], s[46:47], v[48:49]
	v_cmp_gt_u64_e64 s[42:43], s[46:47], v[50:51]
	v_cmp_gt_u64_e64 s[44:45], s[46:47], v[52:53]
	v_cndmask_b32_e64 v2, 0, v2, s[40:41]
	v_add_u32_e32 v2, v2, v48
	v_cndmask_b32_e64 v2, 0, v2, s[42:43]
	v_add_u32_e32 v2, v2, v50
	v_cndmask_b32_e64 v2, 0, v2, s[44:45]
	v_add_u32_e32 v2, v2, v52
	v_cmp_gt_u64_e64 s[46:47], s[46:47], v[56:57]
	s_nop 1
	v_cndmask_b32_e64 v2, 0, v2, s[46:47]
	v_add_u32_e32 v62, v2, v56
	v_or3_b32 v2, v55, v51, v49
	v_or3_b32 v2, v2, v47, v45
	;; [unrolled: 1-line block ×10, first 2 shown]
	v_and_b32_e32 v2, 1, v2
	v_cmp_eq_u32_e64 s[46:47], 1, v2
	v_add_lshl_u32 v2, v1, v0, 3
	s_nop 0
	v_cndmask_b32_e64 v63, v11, 1, s[46:47]
	ds_write_b32 v2, v62
	ds_write_b8 v2, v63 offset:4
	s_waitcnt lgkmcnt(0)
	s_barrier
	s_and_saveexec_b64 s[48:49], vcc
	s_cbranch_execz .LBB1931_163
; %bb.152:
	v_lshrrev_b32_e32 v2, 3, v0
	v_add_lshl_u32 v4, v2, v54, 3
	ds_read2_b32 v[6:7], v4 offset0:2 offset1:4
	ds_read_b64 v[2:3], v4
	ds_read_u8 v8, v4 offset:12
	ds_read_u8 v9, v4 offset:20
	ds_read_b32 v58, v4 offset:24
	ds_read_u8 v59, v4 offset:28
	v_mov_b32_e32 v60, 0
	s_waitcnt lgkmcnt(3)
	v_cmp_eq_u16_sdwa s[46:47], v8, v60 src0_sel:BYTE_0 src1_sel:DWORD
	v_and_b32_e32 v5, 1, v3
	s_nop 0
	v_cndmask_b32_e64 v61, 0, v2, s[46:47]
	v_add_u32_e32 v6, v61, v6
	s_waitcnt lgkmcnt(2)
	v_cmp_eq_u16_sdwa s[46:47], v9, v60 src0_sel:BYTE_0 src1_sel:DWORD
	s_nop 1
	v_cndmask_b32_e64 v6, 0, v6, s[46:47]
	v_add_u32_e32 v6, v6, v7
	s_waitcnt lgkmcnt(0)
	v_cmp_eq_u16_e64 s[46:47], 0, v59
	s_nop 1
	v_cndmask_b32_e64 v6, 0, v6, s[46:47]
	v_add_u32_e32 v7, v6, v58
	v_or_b32_e32 v6, v59, v9
	v_or_b32_e32 v6, v6, v8
	v_and_b32_e32 v6, 1, v6
	v_cmp_eq_u32_e64 s[46:47], 1, v6
	v_mbcnt_lo_u32_b32 v8, -1, 0
	v_and_b32_e32 v6, 0xffffff00, v3
	v_cndmask_b32_e64 v9, v5, 1, s[46:47]
	v_mbcnt_hi_u32_b32 v8, -1, v8
	v_and_b32_e32 v59, 15, v8
	v_or_b32_sdwa v58, v6, v9 dst_sel:DWORD dst_unused:UNUSED_PAD src0_sel:DWORD src1_sel:WORD_0
	v_mov_b32_dpp v60, v7 row_shr:1 row_mask:0xf bank_mask:0xf
	v_cmp_ne_u32_e64 s[46:47], 0, v59
	v_mov_b32_dpp v61, v58 row_shr:1 row_mask:0xf bank_mask:0xf
	s_and_saveexec_b64 s[52:53], s[46:47]
; %bb.153:
	v_and_b32_e32 v58, 1, v9
	v_and_b32_e32 v61, 1, v61
	v_cmp_eq_u32_e64 s[46:47], 1, v58
	s_nop 1
	v_cndmask_b32_e64 v61, v61, 1, s[46:47]
	v_cmp_eq_u16_e64 s[46:47], 0, v9
	v_or_b32_sdwa v58, v6, v61 dst_sel:DWORD dst_unused:UNUSED_PAD src0_sel:DWORD src1_sel:WORD_0
	s_nop 0
	v_cndmask_b32_e64 v9, 0, v60, s[46:47]
	v_add_u32_e32 v7, v9, v7
	v_mov_b32_e32 v9, v61
; %bb.154:
	s_or_b64 exec, exec, s[52:53]
	v_mov_b32_dpp v60, v7 row_shr:2 row_mask:0xf bank_mask:0xf
	v_mov_b32_dpp v61, v58 row_shr:2 row_mask:0xf bank_mask:0xf
	v_cmp_lt_u32_e64 s[46:47], 1, v59
	s_and_saveexec_b64 s[52:53], s[46:47]
; %bb.155:
	v_and_b32_e32 v58, 1, v9
	v_and_b32_e32 v61, 1, v61
	v_cmp_eq_u32_e64 s[46:47], 1, v58
	s_nop 1
	v_cndmask_b32_e64 v61, v61, 1, s[46:47]
	v_cmp_eq_u16_e64 s[46:47], 0, v9
	v_or_b32_sdwa v58, v6, v61 dst_sel:DWORD dst_unused:UNUSED_PAD src0_sel:DWORD src1_sel:WORD_0
	s_nop 0
	v_cndmask_b32_e64 v9, 0, v60, s[46:47]
	v_add_u32_e32 v7, v9, v7
	v_mov_b32_e32 v9, v61
; %bb.156:
	s_or_b64 exec, exec, s[52:53]
	v_mov_b32_dpp v60, v7 row_shr:4 row_mask:0xf bank_mask:0xf
	v_mov_b32_dpp v61, v58 row_shr:4 row_mask:0xf bank_mask:0xf
	v_cmp_lt_u32_e64 s[46:47], 3, v59
	;; [unrolled: 18-line block ×3, first 2 shown]
	s_and_saveexec_b64 s[52:53], s[46:47]
; %bb.159:
	v_and_b32_e32 v58, 1, v9
	v_and_b32_e32 v59, 1, v61
	v_cmp_eq_u32_e64 s[46:47], 1, v58
	s_nop 1
	v_cndmask_b32_e64 v59, v59, 1, s[46:47]
	v_cmp_eq_u16_e64 s[46:47], 0, v9
	v_or_b32_sdwa v58, v6, v59 dst_sel:DWORD dst_unused:UNUSED_PAD src0_sel:DWORD src1_sel:WORD_0
	s_nop 0
	v_cndmask_b32_e64 v9, 0, v60, s[46:47]
	v_add_u32_e32 v7, v9, v7
	v_mov_b32_e32 v9, v59
; %bb.160:
	s_or_b64 exec, exec, s[52:53]
	v_and_b32_e32 v61, 16, v8
	v_mov_b32_dpp v59, v7 row_bcast:15 row_mask:0xf bank_mask:0xf
	v_mov_b32_dpp v60, v58 row_bcast:15 row_mask:0xf bank_mask:0xf
	v_cmp_ne_u32_e64 s[46:47], 0, v61
	s_and_saveexec_b64 s[52:53], s[46:47]
; %bb.161:
	v_and_b32_e32 v58, 1, v9
	v_and_b32_e32 v60, 1, v60
	v_cmp_eq_u32_e64 s[46:47], 1, v58
	s_nop 1
	v_cndmask_b32_e64 v60, v60, 1, s[46:47]
	v_cmp_eq_u16_e64 s[46:47], 0, v9
	v_or_b32_sdwa v58, v6, v60 dst_sel:DWORD dst_unused:UNUSED_PAD src0_sel:DWORD src1_sel:WORD_0
	s_nop 0
	v_cndmask_b32_e64 v9, 0, v59, s[46:47]
	v_add_u32_e32 v7, v9, v7
	v_mov_b32_e32 v9, v60
; %bb.162:
	s_or_b64 exec, exec, s[52:53]
	v_mov_b32_dpp v58, v58 row_bcast:31 row_mask:0xf bank_mask:0xf
	v_and_b32_e32 v60, 1, v9
	v_and_b32_e32 v58, 1, v58
	v_cmp_eq_u32_e64 s[46:47], 1, v60
	v_mov_b32_e32 v60, 0
	v_cmp_eq_u16_sdwa s[52:53], v9, v60 src0_sel:BYTE_0 src1_sel:DWORD
	v_cndmask_b32_e64 v58, v58, 1, s[46:47]
	v_cmp_lt_u32_e64 s[46:47], 31, v8
	v_mov_b32_dpp v59, v7 row_bcast:31 row_mask:0xf bank_mask:0xf
	s_movk_i32 s3, 0xff
	v_cndmask_b32_e64 v9, v9, v58, s[46:47]
	s_and_b64 s[46:47], s[46:47], s[52:53]
	v_cndmask_b32_e64 v58, 0, v59, s[46:47]
	v_add_u32_e32 v7, v58, v7
	v_add_u32_e32 v58, -1, v8
	v_and_b32_e32 v59, 64, v8
	v_cmp_lt_i32_e64 s[46:47], v58, v59
	v_and_or_b32 v6, v9, s3, v6
	s_nop 0
	v_cndmask_b32_e64 v8, v58, v8, s[46:47]
	v_lshlrev_b32_e32 v8, 2, v8
	ds_bpermute_b32 v7, v8, v7
	ds_bpermute_b32 v6, v8, v6
	v_cmp_eq_u16_sdwa s[46:47], v3, v60 src0_sel:BYTE_0 src1_sel:DWORD
	; wave barrier
	s_waitcnt lgkmcnt(1)
	s_nop 0
	v_cndmask_b32_e64 v3, 0, v7, s[46:47]
	v_add_u32_e32 v2, v3, v2
	s_waitcnt lgkmcnt(0)
	v_and_b32_e32 v3, 1, v6
	v_cmp_eq_u32_e64 s[46:47], 1, v5
	s_nop 1
	v_cndmask_b32_e64 v3, v3, 1, s[46:47]
	v_cmp_eq_u32_e64 s[46:47], 0, v0
	s_nop 1
	v_cndmask_b32_e64 v5, v2, v62, s[46:47]
	v_cndmask_b32_e64 v6, v3, v63, s[46:47]
	ds_write_b32 v4, v5
	ds_write_b8 v4, v6 offset:4
	; wave barrier
	ds_read_u8 v7, v4 offset:12
	ds_read2_b32 v[2:3], v4 offset0:2 offset1:4
	ds_read_u8 v8, v4 offset:20
	ds_read_b32 v9, v4 offset:24
	ds_read_u8 v58, v4 offset:28
	s_waitcnt lgkmcnt(4)
	v_cmp_eq_u16_e64 s[46:47], 0, v7
	s_nop 1
	v_cndmask_b32_e64 v5, 0, v5, s[46:47]
	s_waitcnt lgkmcnt(3)
	v_add_u32_e32 v2, v5, v2
	v_and_b32_e32 v5, 1, v7
	v_cmp_eq_u32_e64 s[46:47], 1, v5
	s_nop 1
	v_cndmask_b32_e64 v5, v6, 1, s[46:47]
	s_waitcnt lgkmcnt(2)
	v_cmp_eq_u16_e64 s[46:47], 0, v8
	ds_write_b8 v4, v5 offset:12
	s_nop 0
	v_cndmask_b32_e64 v6, 0, v2, s[46:47]
	v_add_u32_e32 v3, v6, v3
	v_and_b32_e32 v6, 1, v8
	v_cmp_eq_u32_e64 s[46:47], 1, v6
	s_nop 1
	v_cndmask_b32_e64 v5, v5, 1, s[46:47]
	s_waitcnt lgkmcnt(1)
	v_cmp_eq_u16_e64 s[46:47], 0, v58
	ds_write2_b32 v4, v2, v3 offset0:2 offset1:4
	ds_write_b8 v4, v5 offset:20
	v_cndmask_b32_e64 v2, 0, v3, s[46:47]
	v_and_b32_e32 v3, 1, v58
	v_add_u32_e32 v2, v2, v9
	v_cmp_eq_u32_e64 s[46:47], 1, v3
	s_nop 1
	v_cndmask_b32_e64 v3, v5, 1, s[46:47]
	ds_write_b32 v4, v2 offset:24
	ds_write_b8 v4, v3 offset:28
.LBB1931_163:
	s_or_b64 exec, exec, s[48:49]
	v_cmp_eq_u32_e64 s[46:47], 0, v0
	v_cmp_ne_u32_e64 s[48:49], 0, v0
	s_waitcnt lgkmcnt(0)
	s_barrier
	s_and_saveexec_b64 s[52:53], s[48:49]
	s_cbranch_execz .LBB1931_165
; %bb.164:
	v_add_u32_e32 v2, -1, v0
	v_lshrrev_b32_e32 v3, 5, v2
	v_add_lshl_u32 v2, v3, v2, 3
	ds_read_b32 v62, v2
	ds_read_u8 v63, v2 offset:4
.LBB1931_165:
	s_or_b64 exec, exec, s[52:53]
	s_and_saveexec_b64 s[60:61], vcc
	s_cbranch_execz .LBB1931_188
; %bb.166:
	v_mov_b32_e32 v5, 0
	ds_read_b64 v[2:3], v5 offset:2096
	v_mbcnt_lo_u32_b32 v4, -1, 0
	v_mbcnt_hi_u32_b32 v73, -1, v4
	s_mov_b32 s71, 0
	v_cmp_eq_u32_e64 s[48:49], 0, v73
	s_waitcnt lgkmcnt(0)
	v_readfirstlane_b32 s3, v3
	s_and_saveexec_b64 s[52:53], s[48:49]
	s_cbranch_execz .LBB1931_168
; %bb.167:
	s_add_i32 s70, s2, 64
	s_lshl_b64 s[72:73], s[70:71], 4
	s_add_u32 s72, s56, s72
	s_addc_u32 s73, s57, s73
	s_and_b32 s75, s3, 0xff000000
	s_mov_b32 s74, s71
	s_and_b32 s79, s3, 0xff0000
	s_mov_b32 s78, s71
	s_or_b64 s[74:75], s[78:79], s[74:75]
	s_and_b32 s79, s3, 0xff00
	s_or_b64 s[74:75], s[74:75], s[78:79]
	s_and_b32 s79, s3, 0xff
	s_or_b64 s[70:71], s[74:75], s[78:79]
	v_mov_b32_e32 v3, s71
	v_mov_b32_e32 v4, 1
	v_mov_b64_e32 v[6:7], s[72:73]
	;;#ASMSTART
	global_store_dwordx4 v[6:7], v[2:5] off sc1	
s_waitcnt vmcnt(0)
	;;#ASMEND
.LBB1931_168:
	s_or_b64 exec, exec, s[52:53]
	v_xad_u32 v58, v73, -1, s2
	v_add_u32_e32 v4, 64, v58
	v_lshl_add_u64 v[60:61], v[4:5], 4, s[56:57]
	;;#ASMSTART
	global_load_dwordx4 v[6:9], v[60:61] off sc1	
s_waitcnt vmcnt(0)
	;;#ASMEND
	s_nop 0
	v_and_b32_e32 v3, 0xff0000, v6
	v_and_b32_e32 v4, 0xff000000, v6
	;; [unrolled: 1-line block ×3, first 2 shown]
	v_or_b32_sdwa v3, v6, v3 dst_sel:DWORD dst_unused:UNUSED_PAD src0_sel:WORD_0 src1_sel:DWORD
	v_or3_b32 v7, 0, 0, v7
	v_or3_b32 v6, v3, v4, 0
	v_cmp_eq_u16_sdwa s[70:71], v8, v5 src0_sel:BYTE_0 src1_sel:DWORD
	s_and_saveexec_b64 s[52:53], s[70:71]
	s_cbranch_execz .LBB1931_174
; %bb.169:
	s_mov_b32 s59, 1
	s_mov_b64 s[70:71], 0
	v_mov_b32_e32 v3, 0
.LBB1931_170:                           ; =>This Loop Header: Depth=1
                                        ;     Child Loop BB1931_171 Depth 2
	s_max_u32 s72, s59, 1
.LBB1931_171:                           ;   Parent Loop BB1931_170 Depth=1
                                        ; =>  This Inner Loop Header: Depth=2
	s_add_i32 s72, s72, -1
	s_cmp_eq_u32 s72, 0
	s_sleep 1
	s_cbranch_scc0 .LBB1931_171
; %bb.172:                              ;   in Loop: Header=BB1931_170 Depth=1
	s_cmp_lt_u32 s59, 32
	s_cselect_b64 s[72:73], -1, 0
	s_cmp_lg_u64 s[72:73], 0
	s_addc_u32 s59, s59, 0
	;;#ASMSTART
	global_load_dwordx4 v[6:9], v[60:61] off sc1	
s_waitcnt vmcnt(0)
	;;#ASMEND
	s_nop 0
	v_cmp_ne_u16_sdwa s[72:73], v8, v3 src0_sel:BYTE_0 src1_sel:DWORD
	s_or_b64 s[70:71], s[72:73], s[70:71]
	s_andn2_b64 exec, exec, s[70:71]
	s_cbranch_execnz .LBB1931_170
; %bb.173:
	s_or_b64 exec, exec, s[70:71]
	v_and_b32_e32 v7, 0xff, v7
.LBB1931_174:
	s_or_b64 exec, exec, s[52:53]
	v_mov_b32_e32 v3, 2
	v_cmp_eq_u16_sdwa s[52:53], v8, v3 src0_sel:BYTE_0 src1_sel:DWORD
	v_lshlrev_b64 v[4:5], v73, -1
	v_and_b32_e32 v64, 63, v73
	v_and_b32_e32 v9, s53, v5
	v_or_b32_e32 v9, 0x80000000, v9
	v_and_b32_e32 v59, s52, v4
	v_ffbl_b32_e32 v9, v9
	v_add_u32_e32 v9, 32, v9
	v_ffbl_b32_e32 v59, v59
	v_cmp_ne_u32_e32 vcc, 63, v64
	v_min_u32_e32 v9, v59, v9
	s_mov_b32 s70, 0
	v_addc_co_u32_e32 v59, vcc, 0, v73, vcc
	v_lshlrev_b32_e32 v65, 2, v59
	ds_bpermute_b32 v59, v65, v7
	ds_bpermute_b32 v60, v65, v6
	v_and_b32_e32 v61, 1, v7
	s_mov_b32 s71, 1
	v_cmp_eq_u32_e32 vcc, 1, v61
	s_waitcnt lgkmcnt(1)
	v_and_b32_e32 v59, 1, v59
	v_cmp_lt_u32_e64 s[52:53], v64, v9
	v_cndmask_b32_e64 v59, v59, 1, vcc
	v_cmp_gt_u64_e32 vcc, s[70:71], v[6:7]
	s_and_b64 vcc, s[52:53], vcc
	v_and_b32_e32 v61, 0xffff, v59
	v_cndmask_b32_e64 v68, v7, v59, s[52:53]
	s_waitcnt lgkmcnt(0)
	v_cndmask_b32_e32 v59, 0, v60, vcc
	v_cmp_gt_u32_e32 vcc, 62, v64
	v_cndmask_b32_e64 v7, v7, v61, s[52:53]
	v_add_u32_e32 v6, v59, v6
	v_cndmask_b32_e64 v60, 0, 1, vcc
	v_lshlrev_b32_e32 v60, 1, v60
	v_add_lshl_u32 v66, v60, v73, 2
	ds_bpermute_b32 v60, v66, v7
	ds_bpermute_b32 v61, v66, v6
	v_and_b32_e32 v59, 1, v68
	v_cmp_eq_u32_e32 vcc, 1, v59
	v_mov_b32_e32 v59, 0
	s_waitcnt lgkmcnt(1)
	v_and_b32_e32 v60, 1, v60
	v_add_u32_e32 v67, 2, v64
	v_cndmask_b32_e64 v60, v60, 1, vcc
	v_cmp_eq_u16_sdwa vcc, v68, v59 src0_sel:BYTE_0 src1_sel:DWORD
	v_and_b32_e32 v69, 0xffff, v60
	v_add_u32_e32 v77, 32, v64
	s_waitcnt lgkmcnt(0)
	v_cndmask_b32_e32 v61, 0, v61, vcc
	v_cmp_gt_u32_e32 vcc, v67, v9
	s_nop 1
	v_cndmask_b32_e32 v60, v60, v68, vcc
	v_cndmask_b32_e64 v61, v61, 0, vcc
	v_cndmask_b32_e32 v7, v69, v7, vcc
	v_cmp_gt_u32_e32 vcc, 60, v64
	v_add_u32_e32 v6, v61, v6
	v_and_b32_e32 v71, 1, v60
	v_cndmask_b32_e64 v68, 0, 1, vcc
	v_lshlrev_b32_e32 v68, 2, v68
	v_add_lshl_u32 v68, v68, v73, 2
	ds_bpermute_b32 v70, v68, v7
	ds_bpermute_b32 v61, v68, v6
	v_cmp_eq_u32_e32 vcc, 1, v71
	v_add_u32_e32 v69, 4, v64
	s_waitcnt lgkmcnt(1)
	v_and_b32_e32 v70, 1, v70
	v_cndmask_b32_e64 v70, v70, 1, vcc
	v_cmp_eq_u16_sdwa vcc, v60, v59 src0_sel:BYTE_0 src1_sel:DWORD
	v_and_b32_e32 v71, 0xffff, v70
	s_waitcnt lgkmcnt(0)
	v_cndmask_b32_e32 v61, 0, v61, vcc
	v_cmp_gt_u32_e32 vcc, v69, v9
	s_nop 1
	v_cndmask_b32_e32 v60, v70, v60, vcc
	v_cndmask_b32_e64 v61, v61, 0, vcc
	v_cndmask_b32_e32 v7, v71, v7, vcc
	v_cmp_gt_u32_e32 vcc, 56, v64
	v_add_u32_e32 v6, v61, v6
	v_and_b32_e32 v74, 1, v60
	v_cndmask_b32_e64 v70, 0, 1, vcc
	v_lshlrev_b32_e32 v70, 3, v70
	v_add_lshl_u32 v70, v70, v73, 2
	ds_bpermute_b32 v72, v70, v7
	ds_bpermute_b32 v61, v70, v6
	v_cmp_eq_u32_e32 vcc, 1, v74
	v_add_u32_e32 v71, 8, v64
	s_waitcnt lgkmcnt(1)
	v_and_b32_e32 v72, 1, v72
	v_cndmask_b32_e64 v72, v72, 1, vcc
	v_cmp_eq_u16_sdwa vcc, v60, v59 src0_sel:BYTE_0 src1_sel:DWORD
	v_and_b32_e32 v74, 0xffff, v72
	;; [unrolled: 22-line block ×3, first 2 shown]
	s_waitcnt lgkmcnt(0)
	v_cndmask_b32_e32 v61, 0, v61, vcc
	v_cmp_gt_u32_e32 vcc, v74, v9
	s_nop 1
	v_cndmask_b32_e32 v60, v75, v60, vcc
	v_cndmask_b32_e64 v61, v61, 0, vcc
	v_cndmask_b32_e32 v7, v76, v7, vcc
	v_cmp_gt_u32_e32 vcc, 32, v64
	v_add_u32_e32 v6, v61, v6
	s_nop 0
	v_cndmask_b32_e64 v75, 0, 1, vcc
	v_lshlrev_b32_e32 v75, 5, v75
	v_add_lshl_u32 v76, v75, v73, 2
	ds_bpermute_b32 v7, v76, v7
	ds_bpermute_b32 v61, v76, v6
	v_and_b32_e32 v73, 1, v60
	v_cmp_eq_u32_e32 vcc, 1, v73
	s_waitcnt lgkmcnt(1)
	v_and_b32_e32 v7, 1, v7
	v_cndmask_b32_e64 v7, v7, 1, vcc
	v_cmp_eq_u16_sdwa vcc, v60, v59 src0_sel:BYTE_0 src1_sel:DWORD
	s_waitcnt lgkmcnt(0)
	s_nop 0
	v_cndmask_b32_e32 v61, 0, v61, vcc
	v_cmp_gt_u32_e32 vcc, v77, v9
	s_nop 1
	v_cndmask_b32_e64 v9, v61, 0, vcc
	v_cndmask_b32_e32 v7, v7, v60, vcc
	v_add_u32_e32 v6, v9, v6
	s_branch .LBB1931_176
.LBB1931_175:                           ;   in Loop: Header=BB1931_176 Depth=1
	s_or_b64 exec, exec, s[52:53]
	v_cmp_eq_u16_sdwa s[52:53], v8, v3 src0_sel:BYTE_0 src1_sel:DWORD
	ds_bpermute_b32 v61, v65, v7
	v_and_b32_e32 v78, 1, v7
	v_and_b32_e32 v9, s53, v5
	v_or_b32_e32 v9, 0x80000000, v9
	v_and_b32_e32 v60, s52, v4
	v_ffbl_b32_e32 v9, v9
	v_add_u32_e32 v9, 32, v9
	v_ffbl_b32_e32 v60, v60
	v_min_u32_e32 v9, v60, v9
	ds_bpermute_b32 v60, v65, v6
	s_waitcnt lgkmcnt(1)
	v_and_b32_e32 v61, 1, v61
	v_cmp_eq_u32_e32 vcc, 1, v78
	v_cmp_lt_u32_e64 s[52:53], v64, v9
	v_subrev_u32_e32 v58, 64, v58
	v_cndmask_b32_e64 v61, v61, 1, vcc
	v_cmp_gt_u64_e32 vcc, s[70:71], v[6:7]
	v_and_b32_e32 v78, 0xffff, v61
	v_cndmask_b32_e64 v61, v7, v61, s[52:53]
	v_cndmask_b32_e64 v7, v7, v78, s[52:53]
	s_and_b64 vcc, s[52:53], vcc
	ds_bpermute_b32 v78, v66, v7
	s_waitcnt lgkmcnt(1)
	v_cndmask_b32_e32 v60, 0, v60, vcc
	v_add_u32_e32 v6, v60, v6
	ds_bpermute_b32 v60, v66, v6
	v_and_b32_e32 v79, 1, v61
	s_waitcnt lgkmcnt(1)
	v_and_b32_e32 v78, 1, v78
	v_cmp_eq_u32_e32 vcc, 1, v79
	s_nop 1
	v_cndmask_b32_e64 v78, v78, 1, vcc
	v_cmp_eq_u16_sdwa vcc, v61, v59 src0_sel:BYTE_0 src1_sel:DWORD
	v_and_b32_e32 v79, 0xffff, v78
	s_waitcnt lgkmcnt(0)
	v_cndmask_b32_e32 v60, 0, v60, vcc
	v_cmp_gt_u32_e32 vcc, v67, v9
	s_nop 1
	v_cndmask_b32_e32 v7, v79, v7, vcc
	v_cndmask_b32_e32 v61, v78, v61, vcc
	ds_bpermute_b32 v78, v68, v7
	v_cndmask_b32_e64 v60, v60, 0, vcc
	v_add_u32_e32 v6, v60, v6
	ds_bpermute_b32 v60, v68, v6
	v_and_b32_e32 v79, 1, v61
	s_waitcnt lgkmcnt(1)
	v_and_b32_e32 v78, 1, v78
	v_cmp_eq_u32_e32 vcc, 1, v79
	s_nop 1
	v_cndmask_b32_e64 v78, v78, 1, vcc
	v_cmp_eq_u16_sdwa vcc, v61, v59 src0_sel:BYTE_0 src1_sel:DWORD
	v_and_b32_e32 v79, 0xffff, v78
	s_waitcnt lgkmcnt(0)
	v_cndmask_b32_e32 v60, 0, v60, vcc
	v_cmp_gt_u32_e32 vcc, v69, v9
	s_nop 1
	v_cndmask_b32_e32 v7, v79, v7, vcc
	v_cndmask_b32_e32 v61, v78, v61, vcc
	ds_bpermute_b32 v78, v70, v7
	v_cndmask_b32_e64 v60, v60, 0, vcc
	;; [unrolled: 18-line block ×3, first 2 shown]
	v_add_u32_e32 v6, v60, v6
	ds_bpermute_b32 v60, v72, v6
	v_and_b32_e32 v79, 1, v61
	s_waitcnt lgkmcnt(1)
	v_and_b32_e32 v78, 1, v78
	v_cmp_eq_u32_e32 vcc, 1, v79
	s_nop 1
	v_cndmask_b32_e64 v78, v78, 1, vcc
	v_cmp_eq_u16_sdwa vcc, v61, v59 src0_sel:BYTE_0 src1_sel:DWORD
	v_and_b32_e32 v79, 0xffff, v78
	s_waitcnt lgkmcnt(0)
	v_cndmask_b32_e32 v60, 0, v60, vcc
	v_cmp_gt_u32_e32 vcc, v74, v9
	s_nop 1
	v_cndmask_b32_e64 v60, v60, 0, vcc
	v_cndmask_b32_e32 v7, v79, v7, vcc
	ds_bpermute_b32 v7, v76, v7
	v_add_u32_e32 v6, v60, v6
	ds_bpermute_b32 v60, v76, v6
	v_cndmask_b32_e32 v61, v78, v61, vcc
	v_and_b32_e32 v78, 1, v61
	v_cmp_eq_u32_e32 vcc, 1, v78
	s_waitcnt lgkmcnt(1)
	s_nop 0
	v_cndmask_b32_e64 v7, v7, 1, vcc
	v_cmp_eq_u16_sdwa vcc, v61, v59 src0_sel:BYTE_0 src1_sel:DWORD
	s_waitcnt lgkmcnt(0)
	s_nop 0
	v_cndmask_b32_e32 v60, 0, v60, vcc
	v_cmp_gt_u32_e32 vcc, v77, v9
	s_nop 1
	v_cndmask_b32_e64 v9, v60, 0, vcc
	v_cndmask_b32_e32 v7, v7, v61, vcc
	v_add_u32_e32 v6, v9, v6
	v_cmp_eq_u16_sdwa vcc, v73, v59 src0_sel:BYTE_0 src1_sel:DWORD
	v_and_b32_e32 v9, 1, v73
	v_and_b32_e32 v7, 1, v7
	v_cndmask_b32_e32 v6, 0, v6, vcc
	v_cmp_eq_u32_e32 vcc, 1, v9
	v_add_u32_e32 v6, v6, v75
	s_nop 0
	v_cndmask_b32_e64 v7, v7, 1, vcc
.LBB1931_176:                           ; =>This Loop Header: Depth=1
                                        ;     Child Loop BB1931_179 Depth 2
                                        ;       Child Loop BB1931_180 Depth 3
	v_cmp_ne_u16_sdwa s[52:53], v8, v3 src0_sel:BYTE_0 src1_sel:DWORD
	v_mov_b32_e32 v73, v7
	v_mov_b32_e32 v75, v6
	v_cndmask_b32_e64 v7, 0, 1, s[52:53]
	;;#ASMSTART
	;;#ASMEND
	s_nop 0
	v_cmp_ne_u32_e32 vcc, 0, v7
	s_cmp_lg_u64 vcc, exec
	s_cbranch_scc1 .LBB1931_183
; %bb.177:                              ;   in Loop: Header=BB1931_176 Depth=1
	v_lshl_add_u64 v[60:61], v[58:59], 4, s[56:57]
	;;#ASMSTART
	global_load_dwordx4 v[6:9], v[60:61] off sc1	
s_waitcnt vmcnt(0)
	;;#ASMEND
	s_nop 0
	v_and_b32_e32 v9, 0xff0000, v6
	v_and_b32_e32 v78, 0xff000000, v6
	;; [unrolled: 1-line block ×3, first 2 shown]
	v_or_b32_sdwa v6, v6, v9 dst_sel:DWORD dst_unused:UNUSED_PAD src0_sel:WORD_0 src1_sel:DWORD
	v_or3_b32 v7, 0, 0, v7
	v_or3_b32 v6, v6, v78, 0
	v_cmp_eq_u16_sdwa s[72:73], v8, v59 src0_sel:BYTE_0 src1_sel:DWORD
	s_and_saveexec_b64 s[52:53], s[72:73]
	s_cbranch_execz .LBB1931_175
; %bb.178:                              ;   in Loop: Header=BB1931_176 Depth=1
	s_mov_b32 s59, 1
	s_mov_b64 s[72:73], 0
.LBB1931_179:                           ;   Parent Loop BB1931_176 Depth=1
                                        ; =>  This Loop Header: Depth=2
                                        ;       Child Loop BB1931_180 Depth 3
	s_max_u32 s74, s59, 1
.LBB1931_180:                           ;   Parent Loop BB1931_176 Depth=1
                                        ;     Parent Loop BB1931_179 Depth=2
                                        ; =>    This Inner Loop Header: Depth=3
	s_add_i32 s74, s74, -1
	s_cmp_eq_u32 s74, 0
	s_sleep 1
	s_cbranch_scc0 .LBB1931_180
; %bb.181:                              ;   in Loop: Header=BB1931_179 Depth=2
	s_cmp_lt_u32 s59, 32
	s_cselect_b64 s[74:75], -1, 0
	s_cmp_lg_u64 s[74:75], 0
	s_addc_u32 s59, s59, 0
	;;#ASMSTART
	global_load_dwordx4 v[6:9], v[60:61] off sc1	
s_waitcnt vmcnt(0)
	;;#ASMEND
	s_nop 0
	v_cmp_ne_u16_sdwa s[74:75], v8, v59 src0_sel:BYTE_0 src1_sel:DWORD
	s_or_b64 s[72:73], s[74:75], s[72:73]
	s_andn2_b64 exec, exec, s[72:73]
	s_cbranch_execnz .LBB1931_179
; %bb.182:                              ;   in Loop: Header=BB1931_176 Depth=1
	s_or_b64 exec, exec, s[72:73]
	v_and_b32_e32 v7, 0xff, v7
	s_branch .LBB1931_175
.LBB1931_183:                           ;   in Loop: Header=BB1931_176 Depth=1
                                        ; implicit-def: $vgpr7
                                        ; implicit-def: $vgpr6
                                        ; implicit-def: $vgpr8
	s_cbranch_execz .LBB1931_176
; %bb.184:
	s_and_saveexec_b64 s[52:53], s[48:49]
	s_cbranch_execz .LBB1931_186
; %bb.185:
	s_and_b32 s48, s3, 0xff
	s_cmp_eq_u32 s48, 0
	s_cselect_b64 vcc, -1, 0
	s_bitcmp1_b32 s3, 0
	s_mov_b32 s49, 0
	s_cselect_b64 s[70:71], -1, 0
	s_add_i32 s48, s2, 64
	s_lshl_b64 s[2:3], s[48:49], 4
	v_cndmask_b32_e32 v3, 0, v75, vcc
	s_add_u32 s2, s56, s2
	v_add_u32_e32 v2, v3, v2
	v_and_b32_e32 v3, 1, v73
	s_addc_u32 s3, s57, s3
	v_mov_b32_e32 v5, 0
	v_cndmask_b32_e64 v3, v3, 1, s[70:71]
	v_mov_b32_e32 v4, 2
	v_mov_b64_e32 v[6:7], s[2:3]
	;;#ASMSTART
	global_store_dwordx4 v[6:7], v[2:5] off sc1	
s_waitcnt vmcnt(0)
	;;#ASMEND
.LBB1931_186:
	s_or_b64 exec, exec, s[52:53]
	s_and_b64 exec, exec, s[46:47]
	s_cbranch_execz .LBB1931_188
; %bb.187:
	v_mov_b32_e32 v2, 0
	ds_write_b32 v2, v75
	ds_write_b8 v2, v73 offset:4
.LBB1931_188:
	s_or_b64 exec, exec, s[60:61]
	v_mov_b32_e32 v2, 0
	s_waitcnt lgkmcnt(0)
	s_barrier
	ds_read_b32 v3, v2
	v_cmp_eq_u16_sdwa vcc, v63, v2 src0_sel:BYTE_0 src1_sel:DWORD
	s_waitcnt lgkmcnt(0)
	s_nop 0
	v_cndmask_b32_e32 v4, 0, v3, vcc
	v_add_u32_e32 v4, v4, v62
	v_cndmask_b32_e64 v58, v4, v3, s[46:47]
	v_and_b32_e32 v3, 0xff, v11
	v_cmp_eq_u64_e32 vcc, 0, v[2:3]
	s_nop 1
	v_cndmask_b32_e32 v2, 0, v58, vcc
	v_add_u32_e32 v59, v2, v10
	v_cndmask_b32_e64 v2, 0, v59, s[50:51]
	v_add_u32_e32 v60, v2, v12
	v_cndmask_b32_e64 v2, 0, v60, s[4:5]
	;; [unrolled: 2-line block ×21, first 2 shown]
	v_add_u32_e32 v80, v2, v52
	s_branch .LBB1931_209
.LBB1931_189:
                                        ; implicit-def: $vgpr79
                                        ; implicit-def: $vgpr78
                                        ; implicit-def: $vgpr77
                                        ; implicit-def: $vgpr76
                                        ; implicit-def: $vgpr75
                                        ; implicit-def: $vgpr74
                                        ; implicit-def: $vgpr73
                                        ; implicit-def: $vgpr72
                                        ; implicit-def: $vgpr71
                                        ; implicit-def: $vgpr70
                                        ; implicit-def: $vgpr69
                                        ; implicit-def: $vgpr68
                                        ; implicit-def: $vgpr67
                                        ; implicit-def: $vgpr66
                                        ; implicit-def: $vgpr65
                                        ; implicit-def: $vgpr64
                                        ; implicit-def: $vgpr63
                                        ; implicit-def: $vgpr62
                                        ; implicit-def: $vgpr61
                                        ; implicit-def: $vgpr60
                                        ; implicit-def: $vgpr59
                                        ; implicit-def: $vgpr58
                                        ; implicit-def: $vgpr80
	s_cbranch_execz .LBB1931_209
; %bb.190:
	s_cmp_lg_u64 s[68:69], 0
	s_cselect_b32 s3, s63, 0
	s_cselect_b32 s2, s62, 0
	s_mov_b32 s44, 0
	s_cmp_eq_u64 s[2:3], 0
	v_mov_b32_e32 v4, s76
	s_cbranch_scc1 .LBB1931_192
; %bb.191:
	v_mov_b32_e32 v2, 0
	global_load_dword v4, v2, s[2:3]
.LBB1931_192:
	s_mov_b32 s45, 1
	v_cmp_gt_u64_e32 vcc, s[44:45], v[12:13]
	v_cmp_gt_u64_e64 s[2:3], s[44:45], v[14:15]
	v_cmp_gt_u64_e64 s[4:5], s[44:45], v[16:17]
	v_cndmask_b32_e32 v2, 0, v10, vcc
	v_add_u32_e32 v2, v2, v12
	v_cndmask_b32_e64 v2, 0, v2, s[2:3]
	v_add_u32_e32 v2, v2, v14
	v_cndmask_b32_e64 v2, 0, v2, s[4:5]
	v_add_u32_e32 v2, v2, v16
	v_cmp_gt_u64_e64 s[6:7], s[44:45], v[18:19]
	v_cmp_gt_u64_e64 s[8:9], s[44:45], v[20:21]
	v_cmp_gt_u64_e64 s[10:11], s[44:45], v[22:23]
	v_cndmask_b32_e64 v2, 0, v2, s[6:7]
	v_add_u32_e32 v2, v2, v18
	v_cndmask_b32_e64 v2, 0, v2, s[8:9]
	v_add_u32_e32 v2, v2, v20
	v_cndmask_b32_e64 v2, 0, v2, s[10:11]
	v_add_u32_e32 v2, v2, v22
	v_cmp_gt_u64_e64 s[12:13], s[44:45], v[24:25]
	v_cmp_gt_u64_e64 s[14:15], s[44:45], v[26:27]
	v_cmp_gt_u64_e64 s[16:17], s[44:45], v[28:29]
	v_cndmask_b32_e64 v2, 0, v2, s[12:13]
	;; [unrolled: 9-line block ×6, first 2 shown]
	v_add_u32_e32 v2, v2, v48
	v_cndmask_b32_e64 v2, 0, v2, s[40:41]
	v_add_u32_e32 v2, v2, v50
	v_cndmask_b32_e64 v2, 0, v2, s[42:43]
	v_add_u32_e32 v2, v2, v52
	v_cmp_gt_u64_e64 s[44:45], s[44:45], v[56:57]
	v_add_lshl_u32 v1, v1, v0, 3
	s_nop 0
	v_cndmask_b32_e64 v2, 0, v2, s[44:45]
	v_add_u32_e32 v5, v2, v56
	v_or3_b32 v2, v55, v51, v49
	v_or3_b32 v2, v2, v47, v45
	;; [unrolled: 1-line block ×10, first 2 shown]
	v_and_b32_e32 v2, 1, v2
	v_cmp_eq_u32_e64 s[44:45], 1, v2
	s_nop 1
	v_cndmask_b32_e64 v6, v11, 1, s[44:45]
	v_cmp_gt_u32_e64 s[44:45], 64, v0
	ds_write_b32 v1, v5
	ds_write_b8 v1, v6 offset:4
	s_waitcnt lgkmcnt(0)
	s_barrier
	s_and_saveexec_b64 s[46:47], s[44:45]
	s_cbranch_execz .LBB1931_204
; %bb.193:
	v_lshrrev_b32_e32 v1, 3, v0
	v_add_lshl_u32 v1, v1, v54, 3
	ds_read2_b32 v[8:9], v1 offset0:2 offset1:4
	ds_read_b64 v[2:3], v1
	ds_read_u8 v13, v1 offset:12
	ds_read_u8 v15, v1 offset:20
	ds_read_b32 v17, v1 offset:24
	ds_read_u8 v19, v1 offset:28
	v_mov_b32_e32 v21, 0
	s_waitcnt lgkmcnt(3)
	v_cmp_eq_u16_sdwa s[44:45], v13, v21 src0_sel:BYTE_0 src1_sel:DWORD
	v_and_b32_e32 v7, 1, v3
	s_nop 0
	v_cndmask_b32_e64 v23, 0, v2, s[44:45]
	v_add_u32_e32 v8, v23, v8
	s_waitcnt lgkmcnt(2)
	v_cmp_eq_u16_sdwa s[44:45], v15, v21 src0_sel:BYTE_0 src1_sel:DWORD
	s_nop 1
	v_cndmask_b32_e64 v8, 0, v8, s[44:45]
	v_add_u32_e32 v8, v8, v9
	s_waitcnt lgkmcnt(0)
	v_cmp_eq_u16_e64 s[44:45], 0, v19
	s_nop 1
	v_cndmask_b32_e64 v8, 0, v8, s[44:45]
	v_add_u32_e32 v9, v8, v17
	v_or_b32_e32 v8, v19, v15
	v_or_b32_e32 v8, v8, v13
	v_and_b32_e32 v8, 1, v8
	v_cmp_eq_u32_e64 s[44:45], 1, v8
	v_mbcnt_lo_u32_b32 v13, -1, 0
	v_and_b32_e32 v8, 0xffffff00, v3
	v_cndmask_b32_e64 v15, v7, 1, s[44:45]
	v_mbcnt_hi_u32_b32 v13, -1, v13
	v_and_b32_e32 v19, 15, v13
	v_or_b32_sdwa v17, v8, v15 dst_sel:DWORD dst_unused:UNUSED_PAD src0_sel:DWORD src1_sel:WORD_0
	v_mov_b32_dpp v21, v9 row_shr:1 row_mask:0xf bank_mask:0xf
	v_cmp_ne_u32_e64 s[44:45], 0, v19
	v_mov_b32_dpp v23, v17 row_shr:1 row_mask:0xf bank_mask:0xf
	s_and_saveexec_b64 s[48:49], s[44:45]
; %bb.194:
	v_and_b32_e32 v17, 1, v15
	v_and_b32_e32 v23, 1, v23
	v_cmp_eq_u32_e64 s[44:45], 1, v17
	s_nop 1
	v_cndmask_b32_e64 v23, v23, 1, s[44:45]
	v_cmp_eq_u16_e64 s[44:45], 0, v15
	v_or_b32_sdwa v17, v8, v23 dst_sel:DWORD dst_unused:UNUSED_PAD src0_sel:DWORD src1_sel:WORD_0
	s_nop 0
	v_cndmask_b32_e64 v15, 0, v21, s[44:45]
	v_add_u32_e32 v9, v15, v9
	v_mov_b32_e32 v15, v23
; %bb.195:
	s_or_b64 exec, exec, s[48:49]
	v_mov_b32_dpp v21, v9 row_shr:2 row_mask:0xf bank_mask:0xf
	v_mov_b32_dpp v23, v17 row_shr:2 row_mask:0xf bank_mask:0xf
	v_cmp_lt_u32_e64 s[44:45], 1, v19
	s_and_saveexec_b64 s[48:49], s[44:45]
; %bb.196:
	v_and_b32_e32 v17, 1, v15
	v_and_b32_e32 v23, 1, v23
	v_cmp_eq_u32_e64 s[44:45], 1, v17
	s_nop 1
	v_cndmask_b32_e64 v23, v23, 1, s[44:45]
	v_cmp_eq_u16_e64 s[44:45], 0, v15
	v_or_b32_sdwa v17, v8, v23 dst_sel:DWORD dst_unused:UNUSED_PAD src0_sel:DWORD src1_sel:WORD_0
	s_nop 0
	v_cndmask_b32_e64 v15, 0, v21, s[44:45]
	v_add_u32_e32 v9, v15, v9
	v_mov_b32_e32 v15, v23
; %bb.197:
	s_or_b64 exec, exec, s[48:49]
	v_mov_b32_dpp v21, v9 row_shr:4 row_mask:0xf bank_mask:0xf
	v_mov_b32_dpp v23, v17 row_shr:4 row_mask:0xf bank_mask:0xf
	v_cmp_lt_u32_e64 s[44:45], 3, v19
	s_and_saveexec_b64 s[48:49], s[44:45]
; %bb.198:
	v_and_b32_e32 v17, 1, v15
	v_and_b32_e32 v23, 1, v23
	v_cmp_eq_u32_e64 s[44:45], 1, v17
	s_nop 1
	v_cndmask_b32_e64 v23, v23, 1, s[44:45]
	v_cmp_eq_u16_e64 s[44:45], 0, v15
	v_or_b32_sdwa v17, v8, v23 dst_sel:DWORD dst_unused:UNUSED_PAD src0_sel:DWORD src1_sel:WORD_0
	s_nop 0
	v_cndmask_b32_e64 v15, 0, v21, s[44:45]
	v_add_u32_e32 v9, v15, v9
	v_mov_b32_e32 v15, v23
; %bb.199:
	s_or_b64 exec, exec, s[48:49]
	v_mov_b32_dpp v21, v9 row_shr:8 row_mask:0xf bank_mask:0xf
	v_mov_b32_dpp v23, v17 row_shr:8 row_mask:0xf bank_mask:0xf
	v_cmp_lt_u32_e64 s[44:45], 7, v19
	s_and_saveexec_b64 s[48:49], s[44:45]
; %bb.200:
	v_and_b32_e32 v17, 1, v15
	v_and_b32_e32 v19, 1, v23
	v_cmp_eq_u32_e64 s[44:45], 1, v17
	s_nop 1
	v_cndmask_b32_e64 v19, v19, 1, s[44:45]
	v_cmp_eq_u16_e64 s[44:45], 0, v15
	v_or_b32_sdwa v17, v8, v19 dst_sel:DWORD dst_unused:UNUSED_PAD src0_sel:DWORD src1_sel:WORD_0
	s_nop 0
	v_cndmask_b32_e64 v15, 0, v21, s[44:45]
	v_add_u32_e32 v9, v15, v9
	v_mov_b32_e32 v15, v19
; %bb.201:
	s_or_b64 exec, exec, s[48:49]
	v_and_b32_e32 v23, 16, v13
	v_mov_b32_dpp v19, v9 row_bcast:15 row_mask:0xf bank_mask:0xf
	v_mov_b32_dpp v21, v17 row_bcast:15 row_mask:0xf bank_mask:0xf
	v_cmp_ne_u32_e64 s[44:45], 0, v23
	s_and_saveexec_b64 s[48:49], s[44:45]
; %bb.202:
	v_and_b32_e32 v17, 1, v15
	v_and_b32_e32 v21, 1, v21
	v_cmp_eq_u32_e64 s[44:45], 1, v17
	s_nop 1
	v_cndmask_b32_e64 v21, v21, 1, s[44:45]
	v_cmp_eq_u16_e64 s[44:45], 0, v15
	v_or_b32_sdwa v17, v8, v21 dst_sel:DWORD dst_unused:UNUSED_PAD src0_sel:DWORD src1_sel:WORD_0
	s_nop 0
	v_cndmask_b32_e64 v15, 0, v19, s[44:45]
	v_add_u32_e32 v9, v15, v9
	v_mov_b32_e32 v15, v21
; %bb.203:
	s_or_b64 exec, exec, s[48:49]
	v_mov_b32_dpp v17, v17 row_bcast:31 row_mask:0xf bank_mask:0xf
	v_and_b32_e32 v21, 1, v15
	v_and_b32_e32 v17, 1, v17
	v_cmp_eq_u32_e64 s[44:45], 1, v21
	v_mov_b32_e32 v21, 0
	v_cmp_eq_u16_sdwa s[48:49], v15, v21 src0_sel:BYTE_0 src1_sel:DWORD
	v_cndmask_b32_e64 v17, v17, 1, s[44:45]
	v_cmp_lt_u32_e64 s[44:45], 31, v13
	v_mov_b32_dpp v19, v9 row_bcast:31 row_mask:0xf bank_mask:0xf
	s_movk_i32 s50, 0xff
	v_cndmask_b32_e64 v15, v15, v17, s[44:45]
	s_and_b64 s[44:45], s[44:45], s[48:49]
	v_cndmask_b32_e64 v17, 0, v19, s[44:45]
	v_add_u32_e32 v9, v17, v9
	v_add_u32_e32 v17, -1, v13
	v_and_b32_e32 v19, 64, v13
	v_cmp_lt_i32_e64 s[44:45], v17, v19
	v_and_or_b32 v8, v15, s50, v8
	s_nop 0
	v_cndmask_b32_e64 v13, v17, v13, s[44:45]
	v_lshlrev_b32_e32 v13, 2, v13
	ds_bpermute_b32 v9, v13, v9
	ds_bpermute_b32 v8, v13, v8
	v_cmp_eq_u16_sdwa s[44:45], v3, v21 src0_sel:BYTE_0 src1_sel:DWORD
	; wave barrier
	s_waitcnt lgkmcnt(1)
	s_nop 0
	v_cndmask_b32_e64 v3, 0, v9, s[44:45]
	v_add_u32_e32 v2, v3, v2
	s_waitcnt lgkmcnt(0)
	v_and_b32_e32 v3, 1, v8
	v_cmp_eq_u32_e64 s[44:45], 1, v7
	s_nop 1
	v_cndmask_b32_e64 v3, v3, 1, s[44:45]
	v_cmp_eq_u32_e64 s[44:45], 0, v0
	s_nop 1
	v_cndmask_b32_e64 v5, v2, v5, s[44:45]
	v_cndmask_b32_e64 v6, v3, v6, s[44:45]
	ds_write_b32 v1, v5
	ds_write_b8 v1, v6 offset:4
	; wave barrier
	ds_read_u8 v7, v1 offset:12
	ds_read2_b32 v[2:3], v1 offset0:2 offset1:4
	ds_read_u8 v8, v1 offset:20
	ds_read_b32 v9, v1 offset:24
	ds_read_u8 v13, v1 offset:28
	s_waitcnt lgkmcnt(4)
	v_cmp_eq_u16_e64 s[44:45], 0, v7
	s_nop 1
	v_cndmask_b32_e64 v5, 0, v5, s[44:45]
	s_waitcnt lgkmcnt(3)
	v_add_u32_e32 v2, v5, v2
	v_and_b32_e32 v5, 1, v7
	v_cmp_eq_u32_e64 s[44:45], 1, v5
	s_nop 1
	v_cndmask_b32_e64 v5, v6, 1, s[44:45]
	s_waitcnt lgkmcnt(2)
	v_cmp_eq_u16_e64 s[44:45], 0, v8
	ds_write_b8 v1, v5 offset:12
	s_nop 0
	v_cndmask_b32_e64 v6, 0, v2, s[44:45]
	v_add_u32_e32 v3, v6, v3
	v_and_b32_e32 v6, 1, v8
	v_cmp_eq_u32_e64 s[44:45], 1, v6
	s_nop 1
	v_cndmask_b32_e64 v5, v5, 1, s[44:45]
	s_waitcnt lgkmcnt(1)
	v_cmp_eq_u16_e64 s[44:45], 0, v13
	ds_write2_b32 v1, v2, v3 offset0:2 offset1:4
	ds_write_b8 v1, v5 offset:20
	v_cndmask_b32_e64 v2, 0, v3, s[44:45]
	v_and_b32_e32 v3, 1, v13
	v_add_u32_e32 v2, v2, v9
	v_cmp_eq_u32_e64 s[44:45], 1, v3
	s_nop 1
	v_cndmask_b32_e64 v3, v5, 1, s[44:45]
	ds_write_b32 v1, v2 offset:24
	ds_write_b8 v1, v3 offset:28
.LBB1931_204:
	s_or_b64 exec, exec, s[46:47]
	v_cmp_eq_u32_e64 s[44:45], 0, v0
	v_cmp_ne_u32_e64 s[46:47], 0, v0
	s_waitcnt vmcnt(0)
	v_mov_b32_e32 v58, v4
	s_waitcnt lgkmcnt(0)
	s_barrier
	s_and_saveexec_b64 s[48:49], s[46:47]
	s_cbranch_execz .LBB1931_206
; %bb.205:
	v_add_u32_e32 v1, -1, v0
	v_lshrrev_b32_e32 v2, 5, v1
	v_add_lshl_u32 v1, v2, v1, 3
	ds_read_u8 v2, v1 offset:4
	ds_read_b32 v1, v1
	s_waitcnt lgkmcnt(1)
	v_cmp_eq_u16_e64 s[46:47], 0, v2
	s_nop 1
	v_cndmask_b32_e64 v2, 0, v4, s[46:47]
	s_waitcnt lgkmcnt(0)
	v_add_u32_e32 v58, v2, v1
.LBB1931_206:
	s_or_b64 exec, exec, s[48:49]
	v_and_b32_e32 v3, 0xff, v11
	v_mov_b32_e32 v2, 0
	v_cmp_eq_u64_e64 s[46:47], 0, v[2:3]
	s_nop 1
	v_cndmask_b32_e64 v1, 0, v58, s[46:47]
	v_add_u32_e32 v59, v1, v10
	v_cndmask_b32_e32 v1, 0, v59, vcc
	v_add_u32_e32 v60, v1, v12
	v_cndmask_b32_e64 v1, 0, v60, s[2:3]
	v_add_u32_e32 v61, v1, v14
	v_cndmask_b32_e64 v1, 0, v61, s[4:5]
	;; [unrolled: 2-line block ×20, first 2 shown]
	s_and_saveexec_b64 s[2:3], s[44:45]
	s_cbranch_execz .LBB1931_208
; %bb.207:
	ds_read_u8 v3, v2 offset:2100
	ds_read_b32 v5, v2 offset:2096
	s_add_u32 s4, s56, 0x400
	s_addc_u32 s5, s57, 0
	v_mov_b32_e32 v6, 2
	s_waitcnt lgkmcnt(1)
	v_cmp_eq_u16_e32 vcc, 0, v3
	v_mov_b32_e32 v7, v2
	s_nop 0
	v_cndmask_b32_e32 v4, 0, v4, vcc
	s_waitcnt lgkmcnt(0)
	v_add_u32_e32 v4, v4, v5
	v_and_b32_e32 v5, 0xffff, v3
	v_mov_b64_e32 v[2:3], s[4:5]
	;;#ASMSTART
	global_store_dwordx4 v[2:3], v[4:7] off sc1	
s_waitcnt vmcnt(0)
	;;#ASMEND
.LBB1931_208:
	s_or_b64 exec, exec, s[2:3]
	v_add_u32_e32 v80, v1, v52
.LBB1931_209:
	s_add_u32 s2, s54, s64
	s_addc_u32 s3, s55, s65
	s_add_u32 s2, s2, s66
	s_addc_u32 s3, s3, s67
	s_and_b64 vcc, exec, s[0:1]
	s_cbranch_vccz .LBB1931_297
; %bb.210:
	s_add_i32 s33, s33, s58
	v_mul_u32_u24_e32 v1, 23, v0
	v_cmp_gt_u32_e32 vcc, s33, v1
	v_mov_b32_e32 v55, 0
	v_mov_b32_e32 v9, 0
	;; [unrolled: 1-line block ×24, first 2 shown]
	s_and_saveexec_b64 s[4:5], vcc
	s_cbranch_execz .LBB1931_252
; %bb.211:
	v_add_u32_e32 v2, 1, v1
	v_cmp_gt_u32_e32 vcc, s33, v2
	v_mov_b32_e32 v2, 0
	v_mov_b32_e32 v3, 0
	;; [unrolled: 1-line block ×22, first 2 shown]
	s_and_saveexec_b64 s[6:7], vcc
	s_cbranch_execz .LBB1931_251
; %bb.212:
	v_add_u32_e32 v2, 2, v1
	v_cmp_gt_u32_e32 vcc, s33, v2
	v_mov_b32_e32 v2, 0
	v_mov_b32_e32 v3, 0
	;; [unrolled: 1-line block ×21, first 2 shown]
	s_and_saveexec_b64 s[8:9], vcc
	s_cbranch_execz .LBB1931_250
; %bb.213:
	v_add_u32_e32 v2, 3, v1
	v_cmp_gt_u32_e32 vcc, s33, v2
	v_mov_b32_e32 v2, 0
	v_mov_b32_e32 v3, 0
	;; [unrolled: 1-line block ×20, first 2 shown]
	s_and_saveexec_b64 s[10:11], vcc
	s_cbranch_execz .LBB1931_249
; %bb.214:
	v_add_u32_e32 v2, 4, v1
	v_cmp_gt_u32_e32 vcc, s33, v2
	v_mov_b32_e32 v2, 0
	v_mov_b32_e32 v3, 0
	;; [unrolled: 1-line block ×19, first 2 shown]
	s_and_saveexec_b64 s[12:13], vcc
	s_cbranch_execz .LBB1931_248
; %bb.215:
	v_add_u32_e32 v2, 5, v1
	v_cmp_gt_u32_e32 vcc, s33, v2
	v_mov_b32_e32 v2, 0
	v_mov_b32_e32 v3, 0
	;; [unrolled: 1-line block ×18, first 2 shown]
	s_and_saveexec_b64 s[14:15], vcc
	s_cbranch_execz .LBB1931_247
; %bb.216:
	v_add_u32_e32 v2, 6, v1
	v_cmp_gt_u32_e32 vcc, s33, v2
	v_mov_b32_e32 v2, 0
	v_mov_b32_e32 v3, 0
	;; [unrolled: 1-line block ×17, first 2 shown]
	s_and_saveexec_b64 s[16:17], vcc
	s_cbranch_execz .LBB1931_246
; %bb.217:
	v_add_u32_e32 v2, 7, v1
	v_cmp_gt_u32_e32 vcc, s33, v2
	v_mov_b32_e32 v2, 0
	v_mov_b32_e32 v3, 0
	;; [unrolled: 1-line block ×16, first 2 shown]
	s_and_saveexec_b64 s[18:19], vcc
	s_cbranch_execz .LBB1931_245
; %bb.218:
	v_add_u32_e32 v2, 8, v1
	v_cmp_gt_u32_e32 vcc, s33, v2
	v_mov_b32_e32 v2, 0
	v_mov_b32_e32 v3, 0
	;; [unrolled: 1-line block ×15, first 2 shown]
	s_and_saveexec_b64 s[20:21], vcc
	s_cbranch_execz .LBB1931_244
; %bb.219:
	v_add_u32_e32 v2, 9, v1
	v_cmp_gt_u32_e32 vcc, s33, v2
	v_mov_b32_e32 v2, 0
	v_mov_b32_e32 v3, 0
	;; [unrolled: 1-line block ×14, first 2 shown]
	s_and_saveexec_b64 s[22:23], vcc
	s_cbranch_execz .LBB1931_243
; %bb.220:
	v_add_u32_e32 v2, 10, v1
	v_cmp_gt_u32_e32 vcc, s33, v2
	v_mov_b32_e32 v2, 0
	v_mov_b32_e32 v3, 0
	;; [unrolled: 1-line block ×13, first 2 shown]
	s_and_saveexec_b64 s[24:25], vcc
	s_cbranch_execz .LBB1931_242
; %bb.221:
	v_add_u32_e32 v2, 11, v1
	v_cmp_gt_u32_e32 vcc, s33, v2
	v_mov_b32_e32 v2, 0
	v_mov_b32_e32 v3, 0
	;; [unrolled: 1-line block ×12, first 2 shown]
	s_and_saveexec_b64 s[26:27], vcc
	s_cbranch_execz .LBB1931_241
; %bb.222:
	v_add_u32_e32 v2, 12, v1
	v_cmp_gt_u32_e32 vcc, s33, v2
	v_mov_b32_e32 v2, 0
	v_mov_b32_e32 v3, 0
	v_mov_b32_e32 v4, 0
	v_mov_b32_e32 v5, 0
	v_mov_b32_e32 v6, 0
	v_mov_b32_e32 v7, 0
	v_mov_b32_e32 v8, 0
	v_mov_b32_e32 v10, 0
	v_mov_b32_e32 v11, 0
	v_mov_b32_e32 v12, 0
	v_mov_b32_e32 v9, 0
	s_and_saveexec_b64 s[28:29], vcc
	s_cbranch_execz .LBB1931_240
; %bb.223:
	v_add_u32_e32 v2, 13, v1
	v_cmp_gt_u32_e32 vcc, s33, v2
	v_mov_b32_e32 v2, 0
	v_mov_b32_e32 v3, 0
	;; [unrolled: 1-line block ×10, first 2 shown]
	s_and_saveexec_b64 s[30:31], vcc
	s_cbranch_execz .LBB1931_239
; %bb.224:
	v_add_u32_e32 v2, 14, v1
	v_cmp_gt_u32_e32 vcc, s33, v2
	v_mov_b32_e32 v2, 0
	v_mov_b32_e32 v3, 0
	;; [unrolled: 1-line block ×9, first 2 shown]
	s_and_saveexec_b64 s[34:35], vcc
	s_cbranch_execz .LBB1931_238
; %bb.225:
	v_add_u32_e32 v2, 15, v1
	v_cmp_gt_u32_e32 vcc, s33, v2
	v_mov_b32_e32 v2, 0
	v_mov_b32_e32 v3, 0
	;; [unrolled: 1-line block ×8, first 2 shown]
	s_and_saveexec_b64 s[36:37], vcc
	s_cbranch_execz .LBB1931_237
; %bb.226:
	v_add_u32_e32 v2, 16, v1
	v_cmp_gt_u32_e32 vcc, s33, v2
	v_mov_b32_e32 v2, 0
	v_mov_b32_e32 v3, 0
	;; [unrolled: 1-line block ×7, first 2 shown]
	s_and_saveexec_b64 s[38:39], vcc
	s_cbranch_execz .LBB1931_236
; %bb.227:
	v_add_u32_e32 v2, 17, v1
	v_cmp_gt_u32_e32 vcc, s33, v2
	v_mov_b32_e32 v2, 0
	v_mov_b32_e32 v3, 0
	;; [unrolled: 1-line block ×6, first 2 shown]
	s_and_saveexec_b64 s[40:41], vcc
	s_cbranch_execz .LBB1931_235
; %bb.228:
	v_add_u32_e32 v2, 18, v1
	v_cmp_gt_u32_e32 vcc, s33, v2
	v_mov_b32_e32 v2, 0
	v_mov_b32_e32 v3, 0
	;; [unrolled: 1-line block ×5, first 2 shown]
	s_and_saveexec_b64 s[42:43], vcc
	s_cbranch_execz .LBB1931_234
; %bb.229:
	v_add_u32_e32 v2, 19, v1
	v_cmp_gt_u32_e32 vcc, s33, v2
	v_mov_b32_e32 v2, 0
	v_mov_b32_e32 v3, 0
	;; [unrolled: 1-line block ×4, first 2 shown]
	s_and_saveexec_b64 s[44:45], vcc
	s_cbranch_execz .LBB1931_233
; %bb.230:
	v_add_u32_e32 v2, 20, v1
	v_cmp_gt_u32_e32 vcc, s33, v2
	v_mov_b32_e32 v2, 0
	v_mov_b32_e32 v3, 0
	;; [unrolled: 1-line block ×3, first 2 shown]
	s_and_saveexec_b64 s[46:47], vcc
; %bb.231:
	v_add_u32_e32 v2, 21, v1
	v_add_u32_e32 v3, 22, v1
	v_cmp_gt_u32_e32 vcc, s33, v2
	v_cmp_gt_u32_e64 s[0:1], s33, v3
	v_mov_b32_e32 v3, v78
	v_cndmask_b32_e32 v2, 0, v79, vcc
	s_and_b64 vcc, vcc, s[0:1]
	v_cndmask_b32_e32 v9, 0, v80, vcc
; %bb.232:
	s_or_b64 exec, exec, s[46:47]
	v_mov_b32_e32 v4, v77
.LBB1931_233:
	s_or_b64 exec, exec, s[44:45]
	v_mov_b32_e32 v5, v76
.LBB1931_234:
	s_or_b64 exec, exec, s[42:43]
	v_mov_b32_e32 v6, v75
.LBB1931_235:
	s_or_b64 exec, exec, s[40:41]
	v_mov_b32_e32 v7, v74
.LBB1931_236:
	s_or_b64 exec, exec, s[38:39]
	v_mov_b32_e32 v8, v73
.LBB1931_237:
	s_or_b64 exec, exec, s[36:37]
	v_mov_b32_e32 v10, v72
.LBB1931_238:
	s_or_b64 exec, exec, s[34:35]
	v_mov_b32_e32 v11, v71
.LBB1931_239:
	s_or_b64 exec, exec, s[30:31]
	v_mov_b32_e32 v12, v70
.LBB1931_240:
	s_or_b64 exec, exec, s[28:29]
	v_mov_b32_e32 v13, v69
.LBB1931_241:
	s_or_b64 exec, exec, s[26:27]
	v_mov_b32_e32 v14, v68
.LBB1931_242:
	s_or_b64 exec, exec, s[24:25]
	v_mov_b32_e32 v15, v67
.LBB1931_243:
	s_or_b64 exec, exec, s[22:23]
	v_mov_b32_e32 v16, v66
.LBB1931_244:
	s_or_b64 exec, exec, s[20:21]
	v_mov_b32_e32 v17, v65
.LBB1931_245:
	s_or_b64 exec, exec, s[18:19]
	v_mov_b32_e32 v18, v64
.LBB1931_246:
	s_or_b64 exec, exec, s[16:17]
	v_mov_b32_e32 v19, v63
.LBB1931_247:
	s_or_b64 exec, exec, s[14:15]
	v_mov_b32_e32 v20, v62
.LBB1931_248:
	s_or_b64 exec, exec, s[12:13]
	v_mov_b32_e32 v21, v61
.LBB1931_249:
	s_or_b64 exec, exec, s[10:11]
	v_mov_b32_e32 v22, v60
.LBB1931_250:
	s_or_b64 exec, exec, s[8:9]
	v_mov_b32_e32 v23, v59
.LBB1931_251:
	s_or_b64 exec, exec, s[6:7]
	v_mov_b32_e32 v24, v58
.LBB1931_252:
	s_or_b64 exec, exec, s[4:5]
	v_lshlrev_b32_e32 v1, 2, v1
	s_movk_i32 s0, 0xffa8
	s_barrier
	ds_write2_b32 v1, v24, v23 offset1:1
	ds_write2_b32 v1, v22, v21 offset0:2 offset1:3
	ds_write2_b32 v1, v20, v19 offset0:4 offset1:5
	;; [unrolled: 1-line block ×10, first 2 shown]
	ds_write_b32 v1, v9 offset:88
	v_mad_i32_i24 v2, v0, s0, v1
	s_waitcnt lgkmcnt(0)
	s_barrier
	ds_read2st64_b32 v[24:25], v2 offset0:4 offset1:8
	ds_read2st64_b32 v[22:23], v2 offset0:12 offset1:16
	;; [unrolled: 1-line block ×11, first 2 shown]
	v_lshl_add_u64 v[4:5], s[2:3], 0, v[54:55]
	v_cmp_gt_u32_e32 vcc, s33, v0
	s_and_saveexec_b64 s[0:1], vcc
	s_cbranch_execz .LBB1931_254
; %bb.253:
	v_mul_i32_i24_e32 v26, 0xffffffa8, v0
	v_add_u32_e32 v1, v1, v26
	ds_read_b32 v1, v1
	s_waitcnt lgkmcnt(0)
	flat_store_dword v[4:5], v1
.LBB1931_254:
	s_or_b64 exec, exec, s[0:1]
	v_or_b32_e32 v1, 0x100, v0
	v_cmp_gt_u32_e32 vcc, s33, v1
	s_and_saveexec_b64 s[0:1], vcc
	s_cbranch_execz .LBB1931_256
; %bb.255:
	s_waitcnt lgkmcnt(0)
	flat_store_dword v[4:5], v24 offset:1024
.LBB1931_256:
	s_or_b64 exec, exec, s[0:1]
	v_or_b32_e32 v1, 0x200, v0
	v_cmp_gt_u32_e32 vcc, s33, v1
	s_and_saveexec_b64 s[0:1], vcc
	s_cbranch_execz .LBB1931_258
; %bb.257:
	s_waitcnt lgkmcnt(0)
	flat_store_dword v[4:5], v25 offset:2048
.LBB1931_258:
	;; [unrolled: 9-line block ×3, first 2 shown]
	s_or_b64 exec, exec, s[0:1]
	v_or_b32_e32 v1, 0x400, v0
	v_cmp_gt_u32_e32 vcc, s33, v1
	s_and_saveexec_b64 s[0:1], vcc
	s_cbranch_execz .LBB1931_262
; %bb.261:
	s_waitcnt lgkmcnt(0)
	v_add_co_u32_e32 v24, vcc, 0x1000, v4
	s_nop 1
	v_addc_co_u32_e32 v25, vcc, 0, v5, vcc
	flat_store_dword v[24:25], v23
.LBB1931_262:
	s_or_b64 exec, exec, s[0:1]
	v_or_b32_e32 v1, 0x500, v0
	v_cmp_gt_u32_e32 vcc, s33, v1
	s_and_saveexec_b64 s[0:1], vcc
	s_cbranch_execz .LBB1931_264
; %bb.263:
	s_waitcnt lgkmcnt(0)
	v_add_co_u32_e32 v22, vcc, 0x1000, v4
	s_nop 1
	v_addc_co_u32_e32 v23, vcc, 0, v5, vcc
	flat_store_dword v[22:23], v20 offset:1024
.LBB1931_264:
	s_or_b64 exec, exec, s[0:1]
	v_or_b32_e32 v1, 0x600, v0
	v_cmp_gt_u32_e32 vcc, s33, v1
	s_and_saveexec_b64 s[0:1], vcc
	s_cbranch_execz .LBB1931_266
; %bb.265:
	s_waitcnt lgkmcnt(0)
	v_add_co_u32_e32 v22, vcc, 0x1000, v4
	s_nop 1
	v_addc_co_u32_e32 v23, vcc, 0, v5, vcc
	flat_store_dword v[22:23], v21 offset:2048
.LBB1931_266:
	s_or_b64 exec, exec, s[0:1]
	v_or_b32_e32 v1, 0x700, v0
	v_cmp_gt_u32_e32 vcc, s33, v1
	s_and_saveexec_b64 s[0:1], vcc
	s_cbranch_execz .LBB1931_268
; %bb.267:
	s_waitcnt lgkmcnt(0)
	v_add_co_u32_e32 v20, vcc, 0x1000, v4
	s_nop 1
	v_addc_co_u32_e32 v21, vcc, 0, v5, vcc
	flat_store_dword v[20:21], v18 offset:3072
.LBB1931_268:
	s_or_b64 exec, exec, s[0:1]
	v_or_b32_e32 v1, 0x800, v0
	v_cmp_gt_u32_e32 vcc, s33, v1
	s_and_saveexec_b64 s[0:1], vcc
	s_cbranch_execz .LBB1931_270
; %bb.269:
	s_waitcnt lgkmcnt(0)
	v_add_co_u32_e32 v20, vcc, 0x2000, v4
	s_nop 1
	v_addc_co_u32_e32 v21, vcc, 0, v5, vcc
	flat_store_dword v[20:21], v19
.LBB1931_270:
	s_or_b64 exec, exec, s[0:1]
	v_or_b32_e32 v1, 0x900, v0
	v_cmp_gt_u32_e32 vcc, s33, v1
	s_and_saveexec_b64 s[0:1], vcc
	s_cbranch_execz .LBB1931_272
; %bb.271:
	s_waitcnt lgkmcnt(0)
	v_add_co_u32_e32 v18, vcc, 0x2000, v4
	s_nop 1
	v_addc_co_u32_e32 v19, vcc, 0, v5, vcc
	flat_store_dword v[18:19], v16 offset:1024
.LBB1931_272:
	s_or_b64 exec, exec, s[0:1]
	v_or_b32_e32 v1, 0xa00, v0
	v_cmp_gt_u32_e32 vcc, s33, v1
	s_and_saveexec_b64 s[0:1], vcc
	s_cbranch_execz .LBB1931_274
; %bb.273:
	s_waitcnt lgkmcnt(0)
	v_add_co_u32_e32 v18, vcc, 0x2000, v4
	s_nop 1
	v_addc_co_u32_e32 v19, vcc, 0, v5, vcc
	flat_store_dword v[18:19], v17 offset:2048
.LBB1931_274:
	s_or_b64 exec, exec, s[0:1]
	v_or_b32_e32 v1, 0xb00, v0
	v_cmp_gt_u32_e32 vcc, s33, v1
	s_and_saveexec_b64 s[0:1], vcc
	s_cbranch_execz .LBB1931_276
; %bb.275:
	s_waitcnt lgkmcnt(0)
	v_add_co_u32_e32 v16, vcc, 0x2000, v4
	s_nop 1
	v_addc_co_u32_e32 v17, vcc, 0, v5, vcc
	flat_store_dword v[16:17], v14 offset:3072
.LBB1931_276:
	;; [unrolled: 48-line block ×4, first 2 shown]
	s_or_b64 exec, exec, s[0:1]
	v_or_b32_e32 v1, 0x1400, v0
	v_cmp_gt_u32_e32 vcc, s33, v1
	s_and_saveexec_b64 s[0:1], vcc
	s_cbranch_execz .LBB1931_294
; %bb.293:
	s_waitcnt lgkmcnt(0)
	v_add_co_u32_e32 v8, vcc, 0x5000, v4
	s_nop 1
	v_addc_co_u32_e32 v9, vcc, 0, v5, vcc
	flat_store_dword v[8:9], v7
.LBB1931_294:
	s_or_b64 exec, exec, s[0:1]
	v_or_b32_e32 v1, 0x1500, v0
	v_cmp_gt_u32_e32 vcc, s33, v1
	s_and_saveexec_b64 s[0:1], vcc
	s_cbranch_execz .LBB1931_296
; %bb.295:
	v_add_co_u32_e32 v4, vcc, 0x5000, v4
	s_nop 1
	v_addc_co_u32_e32 v5, vcc, 0, v5, vcc
	s_waitcnt lgkmcnt(0)
	flat_store_dword v[4:5], v2 offset:1024
.LBB1931_296:
	s_or_b64 exec, exec, s[0:1]
	s_waitcnt lgkmcnt(0)
	v_or_b32_e32 v2, 0x1600, v0
	v_mov_b32_e32 v1, v55
	v_cmp_gt_u32_e64 s[0:1], s33, v2
	s_branch .LBB1931_299
.LBB1931_297:
	s_mov_b64 s[0:1], 0
                                        ; implicit-def: $vgpr3
	s_cbranch_execz .LBB1931_299
; %bb.298:
	v_mul_u32_u24_e32 v1, 0x5c, v0
	s_barrier
	s_movk_i32 s4, 0x5c
	ds_write2_b32 v1, v58, v59 offset1:1
	ds_write2_b32 v1, v60, v61 offset0:2 offset1:3
	ds_write2_b32 v1, v62, v63 offset0:4 offset1:5
	;; [unrolled: 1-line block ×10, first 2 shown]
	ds_write_b32 v1, v80 offset:88
	v_mov_b32_e32 v1, 0
	v_mul_i32_i24_e32 v2, 0xffffffa8, v0
	v_mad_u32_u24 v2, v0, s4, v2
	v_mov_b32_e32 v55, v1
	s_waitcnt lgkmcnt(0)
	s_barrier
	ds_read2st64_b32 v[4:5], v2 offset1:4
	ds_read2st64_b32 v[6:7], v2 offset0:8 offset1:12
	ds_read2st64_b32 v[8:9], v2 offset0:16 offset1:20
	;; [unrolled: 1-line block ×10, first 2 shown]
	ds_read_b32 v3, v2 offset:22528
	v_lshl_add_u64 v[26:27], s[2:3], 0, v[54:55]
	s_movk_i32 s4, 0x1000
	s_waitcnt lgkmcnt(0)
	flat_store_dword v[26:27], v4
	flat_store_dword v[26:27], v5 offset:1024
	flat_store_dword v[26:27], v6 offset:2048
	;; [unrolled: 1-line block ×3, first 2 shown]
	v_add_co_u32_e32 v4, vcc, s4, v26
	s_movk_i32 s4, 0x2000
	s_nop 0
	v_addc_co_u32_e32 v5, vcc, 0, v27, vcc
	flat_store_dword v[4:5], v8
	flat_store_dword v[4:5], v9 offset:1024
	flat_store_dword v[4:5], v10 offset:2048
	;; [unrolled: 1-line block ×3, first 2 shown]
	v_add_co_u32_e32 v4, vcc, s4, v26
	s_movk_i32 s4, 0x3000
	s_nop 0
	v_addc_co_u32_e32 v5, vcc, 0, v27, vcc
	flat_store_dword v[4:5], v12
	flat_store_dword v[4:5], v13 offset:1024
	flat_store_dword v[4:5], v14 offset:2048
	;; [unrolled: 1-line block ×3, first 2 shown]
	v_add_co_u32_e32 v4, vcc, s4, v26
	s_or_b64 s[0:1], s[0:1], exec
	s_nop 0
	v_addc_co_u32_e32 v5, vcc, 0, v27, vcc
	flat_store_dword v[4:5], v16
	flat_store_dword v[4:5], v17 offset:1024
	flat_store_dword v[4:5], v18 offset:2048
	;; [unrolled: 1-line block ×3, first 2 shown]
	v_add_co_u32_e32 v4, vcc, 0x4000, v26
	s_nop 1
	v_addc_co_u32_e32 v5, vcc, 0, v27, vcc
	flat_store_dword v[4:5], v20
	flat_store_dword v[4:5], v21 offset:1024
	flat_store_dword v[4:5], v22 offset:2048
	;; [unrolled: 1-line block ×3, first 2 shown]
	v_add_co_u32_e32 v4, vcc, 0x5000, v26
	s_nop 1
	v_addc_co_u32_e32 v5, vcc, 0, v27, vcc
	flat_store_dword v[4:5], v24
	flat_store_dword v[4:5], v25 offset:1024
.LBB1931_299:
	s_and_saveexec_b64 s[4:5], s[0:1]
	s_cbranch_execnz .LBB1931_301
; %bb.300:
	s_endpgm
.LBB1931_301:
	v_lshl_add_u64 v[0:1], v[0:1], 2, s[2:3]
	v_add_co_u32_e32 v0, vcc, 0x5000, v0
	s_nop 1
	v_addc_co_u32_e32 v1, vcc, 0, v1, vcc
	flat_store_dword v[0:1], v3 offset:2048
	s_endpgm
	.section	.rodata,"a",@progbits
	.p2align	6, 0x0
	.amdhsa_kernel _ZN7rocprim17ROCPRIM_400000_NS6detail17trampoline_kernelINS0_14default_configENS1_27scan_by_key_config_selectorIj11FixedVectorIiLj1EEEEZZNS1_16scan_by_key_implILNS1_25lookback_scan_determinismE0ELb1ES3_N6thrust23THRUST_200600_302600_NS6detail15normal_iteratorINSB_10device_ptrIjEEEENSD_INSE_IS6_EEEESI_S6_NSB_4plusIvEENSB_8equal_toIvEES6_EE10hipError_tPvRmT2_T3_T4_T5_mT6_T7_P12ihipStream_tbENKUlT_T0_E_clISt17integral_constantIbLb1EES12_IbLb0EEEEDaSY_SZ_EUlSY_E_NS1_11comp_targetILNS1_3genE5ELNS1_11target_archE942ELNS1_3gpuE9ELNS1_3repE0EEENS1_30default_config_static_selectorELNS0_4arch9wavefront6targetE1EEEvT1_
		.amdhsa_group_segment_fixed_size 25600
		.amdhsa_private_segment_fixed_size 0
		.amdhsa_kernarg_size 112
		.amdhsa_user_sgpr_count 2
		.amdhsa_user_sgpr_dispatch_ptr 0
		.amdhsa_user_sgpr_queue_ptr 0
		.amdhsa_user_sgpr_kernarg_segment_ptr 1
		.amdhsa_user_sgpr_dispatch_id 0
		.amdhsa_user_sgpr_kernarg_preload_length 0
		.amdhsa_user_sgpr_kernarg_preload_offset 0
		.amdhsa_user_sgpr_private_segment_size 0
		.amdhsa_uses_dynamic_stack 0
		.amdhsa_enable_private_segment 0
		.amdhsa_system_sgpr_workgroup_id_x 1
		.amdhsa_system_sgpr_workgroup_id_y 0
		.amdhsa_system_sgpr_workgroup_id_z 0
		.amdhsa_system_sgpr_workgroup_info 0
		.amdhsa_system_vgpr_workitem_id 0
		.amdhsa_next_free_vgpr 81
		.amdhsa_next_free_sgpr 80
		.amdhsa_accum_offset 84
		.amdhsa_reserve_vcc 1
		.amdhsa_float_round_mode_32 0
		.amdhsa_float_round_mode_16_64 0
		.amdhsa_float_denorm_mode_32 3
		.amdhsa_float_denorm_mode_16_64 3
		.amdhsa_dx10_clamp 1
		.amdhsa_ieee_mode 1
		.amdhsa_fp16_overflow 0
		.amdhsa_tg_split 0
		.amdhsa_exception_fp_ieee_invalid_op 0
		.amdhsa_exception_fp_denorm_src 0
		.amdhsa_exception_fp_ieee_div_zero 0
		.amdhsa_exception_fp_ieee_overflow 0
		.amdhsa_exception_fp_ieee_underflow 0
		.amdhsa_exception_fp_ieee_inexact 0
		.amdhsa_exception_int_div_zero 0
	.end_amdhsa_kernel
	.section	.text._ZN7rocprim17ROCPRIM_400000_NS6detail17trampoline_kernelINS0_14default_configENS1_27scan_by_key_config_selectorIj11FixedVectorIiLj1EEEEZZNS1_16scan_by_key_implILNS1_25lookback_scan_determinismE0ELb1ES3_N6thrust23THRUST_200600_302600_NS6detail15normal_iteratorINSB_10device_ptrIjEEEENSD_INSE_IS6_EEEESI_S6_NSB_4plusIvEENSB_8equal_toIvEES6_EE10hipError_tPvRmT2_T3_T4_T5_mT6_T7_P12ihipStream_tbENKUlT_T0_E_clISt17integral_constantIbLb1EES12_IbLb0EEEEDaSY_SZ_EUlSY_E_NS1_11comp_targetILNS1_3genE5ELNS1_11target_archE942ELNS1_3gpuE9ELNS1_3repE0EEENS1_30default_config_static_selectorELNS0_4arch9wavefront6targetE1EEEvT1_,"axG",@progbits,_ZN7rocprim17ROCPRIM_400000_NS6detail17trampoline_kernelINS0_14default_configENS1_27scan_by_key_config_selectorIj11FixedVectorIiLj1EEEEZZNS1_16scan_by_key_implILNS1_25lookback_scan_determinismE0ELb1ES3_N6thrust23THRUST_200600_302600_NS6detail15normal_iteratorINSB_10device_ptrIjEEEENSD_INSE_IS6_EEEESI_S6_NSB_4plusIvEENSB_8equal_toIvEES6_EE10hipError_tPvRmT2_T3_T4_T5_mT6_T7_P12ihipStream_tbENKUlT_T0_E_clISt17integral_constantIbLb1EES12_IbLb0EEEEDaSY_SZ_EUlSY_E_NS1_11comp_targetILNS1_3genE5ELNS1_11target_archE942ELNS1_3gpuE9ELNS1_3repE0EEENS1_30default_config_static_selectorELNS0_4arch9wavefront6targetE1EEEvT1_,comdat
.Lfunc_end1931:
	.size	_ZN7rocprim17ROCPRIM_400000_NS6detail17trampoline_kernelINS0_14default_configENS1_27scan_by_key_config_selectorIj11FixedVectorIiLj1EEEEZZNS1_16scan_by_key_implILNS1_25lookback_scan_determinismE0ELb1ES3_N6thrust23THRUST_200600_302600_NS6detail15normal_iteratorINSB_10device_ptrIjEEEENSD_INSE_IS6_EEEESI_S6_NSB_4plusIvEENSB_8equal_toIvEES6_EE10hipError_tPvRmT2_T3_T4_T5_mT6_T7_P12ihipStream_tbENKUlT_T0_E_clISt17integral_constantIbLb1EES12_IbLb0EEEEDaSY_SZ_EUlSY_E_NS1_11comp_targetILNS1_3genE5ELNS1_11target_archE942ELNS1_3gpuE9ELNS1_3repE0EEENS1_30default_config_static_selectorELNS0_4arch9wavefront6targetE1EEEvT1_, .Lfunc_end1931-_ZN7rocprim17ROCPRIM_400000_NS6detail17trampoline_kernelINS0_14default_configENS1_27scan_by_key_config_selectorIj11FixedVectorIiLj1EEEEZZNS1_16scan_by_key_implILNS1_25lookback_scan_determinismE0ELb1ES3_N6thrust23THRUST_200600_302600_NS6detail15normal_iteratorINSB_10device_ptrIjEEEENSD_INSE_IS6_EEEESI_S6_NSB_4plusIvEENSB_8equal_toIvEES6_EE10hipError_tPvRmT2_T3_T4_T5_mT6_T7_P12ihipStream_tbENKUlT_T0_E_clISt17integral_constantIbLb1EES12_IbLb0EEEEDaSY_SZ_EUlSY_E_NS1_11comp_targetILNS1_3genE5ELNS1_11target_archE942ELNS1_3gpuE9ELNS1_3repE0EEENS1_30default_config_static_selectorELNS0_4arch9wavefront6targetE1EEEvT1_
                                        ; -- End function
	.section	.AMDGPU.csdata,"",@progbits
; Kernel info:
; codeLenInByte = 17288
; NumSgprs: 86
; NumVgprs: 81
; NumAgprs: 0
; TotalNumVgprs: 81
; ScratchSize: 0
; MemoryBound: 0
; FloatMode: 240
; IeeeMode: 1
; LDSByteSize: 25600 bytes/workgroup (compile time only)
; SGPRBlocks: 10
; VGPRBlocks: 10
; NumSGPRsForWavesPerEU: 86
; NumVGPRsForWavesPerEU: 81
; AccumOffset: 84
; Occupancy: 2
; WaveLimiterHint : 1
; COMPUTE_PGM_RSRC2:SCRATCH_EN: 0
; COMPUTE_PGM_RSRC2:USER_SGPR: 2
; COMPUTE_PGM_RSRC2:TRAP_HANDLER: 0
; COMPUTE_PGM_RSRC2:TGID_X_EN: 1
; COMPUTE_PGM_RSRC2:TGID_Y_EN: 0
; COMPUTE_PGM_RSRC2:TGID_Z_EN: 0
; COMPUTE_PGM_RSRC2:TIDIG_COMP_CNT: 0
; COMPUTE_PGM_RSRC3_GFX90A:ACCUM_OFFSET: 20
; COMPUTE_PGM_RSRC3_GFX90A:TG_SPLIT: 0
	.section	.text._ZN7rocprim17ROCPRIM_400000_NS6detail17trampoline_kernelINS0_14default_configENS1_27scan_by_key_config_selectorIj11FixedVectorIiLj1EEEEZZNS1_16scan_by_key_implILNS1_25lookback_scan_determinismE0ELb1ES3_N6thrust23THRUST_200600_302600_NS6detail15normal_iteratorINSB_10device_ptrIjEEEENSD_INSE_IS6_EEEESI_S6_NSB_4plusIvEENSB_8equal_toIvEES6_EE10hipError_tPvRmT2_T3_T4_T5_mT6_T7_P12ihipStream_tbENKUlT_T0_E_clISt17integral_constantIbLb1EES12_IbLb0EEEEDaSY_SZ_EUlSY_E_NS1_11comp_targetILNS1_3genE4ELNS1_11target_archE910ELNS1_3gpuE8ELNS1_3repE0EEENS1_30default_config_static_selectorELNS0_4arch9wavefront6targetE1EEEvT1_,"axG",@progbits,_ZN7rocprim17ROCPRIM_400000_NS6detail17trampoline_kernelINS0_14default_configENS1_27scan_by_key_config_selectorIj11FixedVectorIiLj1EEEEZZNS1_16scan_by_key_implILNS1_25lookback_scan_determinismE0ELb1ES3_N6thrust23THRUST_200600_302600_NS6detail15normal_iteratorINSB_10device_ptrIjEEEENSD_INSE_IS6_EEEESI_S6_NSB_4plusIvEENSB_8equal_toIvEES6_EE10hipError_tPvRmT2_T3_T4_T5_mT6_T7_P12ihipStream_tbENKUlT_T0_E_clISt17integral_constantIbLb1EES12_IbLb0EEEEDaSY_SZ_EUlSY_E_NS1_11comp_targetILNS1_3genE4ELNS1_11target_archE910ELNS1_3gpuE8ELNS1_3repE0EEENS1_30default_config_static_selectorELNS0_4arch9wavefront6targetE1EEEvT1_,comdat
	.protected	_ZN7rocprim17ROCPRIM_400000_NS6detail17trampoline_kernelINS0_14default_configENS1_27scan_by_key_config_selectorIj11FixedVectorIiLj1EEEEZZNS1_16scan_by_key_implILNS1_25lookback_scan_determinismE0ELb1ES3_N6thrust23THRUST_200600_302600_NS6detail15normal_iteratorINSB_10device_ptrIjEEEENSD_INSE_IS6_EEEESI_S6_NSB_4plusIvEENSB_8equal_toIvEES6_EE10hipError_tPvRmT2_T3_T4_T5_mT6_T7_P12ihipStream_tbENKUlT_T0_E_clISt17integral_constantIbLb1EES12_IbLb0EEEEDaSY_SZ_EUlSY_E_NS1_11comp_targetILNS1_3genE4ELNS1_11target_archE910ELNS1_3gpuE8ELNS1_3repE0EEENS1_30default_config_static_selectorELNS0_4arch9wavefront6targetE1EEEvT1_ ; -- Begin function _ZN7rocprim17ROCPRIM_400000_NS6detail17trampoline_kernelINS0_14default_configENS1_27scan_by_key_config_selectorIj11FixedVectorIiLj1EEEEZZNS1_16scan_by_key_implILNS1_25lookback_scan_determinismE0ELb1ES3_N6thrust23THRUST_200600_302600_NS6detail15normal_iteratorINSB_10device_ptrIjEEEENSD_INSE_IS6_EEEESI_S6_NSB_4plusIvEENSB_8equal_toIvEES6_EE10hipError_tPvRmT2_T3_T4_T5_mT6_T7_P12ihipStream_tbENKUlT_T0_E_clISt17integral_constantIbLb1EES12_IbLb0EEEEDaSY_SZ_EUlSY_E_NS1_11comp_targetILNS1_3genE4ELNS1_11target_archE910ELNS1_3gpuE8ELNS1_3repE0EEENS1_30default_config_static_selectorELNS0_4arch9wavefront6targetE1EEEvT1_
	.globl	_ZN7rocprim17ROCPRIM_400000_NS6detail17trampoline_kernelINS0_14default_configENS1_27scan_by_key_config_selectorIj11FixedVectorIiLj1EEEEZZNS1_16scan_by_key_implILNS1_25lookback_scan_determinismE0ELb1ES3_N6thrust23THRUST_200600_302600_NS6detail15normal_iteratorINSB_10device_ptrIjEEEENSD_INSE_IS6_EEEESI_S6_NSB_4plusIvEENSB_8equal_toIvEES6_EE10hipError_tPvRmT2_T3_T4_T5_mT6_T7_P12ihipStream_tbENKUlT_T0_E_clISt17integral_constantIbLb1EES12_IbLb0EEEEDaSY_SZ_EUlSY_E_NS1_11comp_targetILNS1_3genE4ELNS1_11target_archE910ELNS1_3gpuE8ELNS1_3repE0EEENS1_30default_config_static_selectorELNS0_4arch9wavefront6targetE1EEEvT1_
	.p2align	8
	.type	_ZN7rocprim17ROCPRIM_400000_NS6detail17trampoline_kernelINS0_14default_configENS1_27scan_by_key_config_selectorIj11FixedVectorIiLj1EEEEZZNS1_16scan_by_key_implILNS1_25lookback_scan_determinismE0ELb1ES3_N6thrust23THRUST_200600_302600_NS6detail15normal_iteratorINSB_10device_ptrIjEEEENSD_INSE_IS6_EEEESI_S6_NSB_4plusIvEENSB_8equal_toIvEES6_EE10hipError_tPvRmT2_T3_T4_T5_mT6_T7_P12ihipStream_tbENKUlT_T0_E_clISt17integral_constantIbLb1EES12_IbLb0EEEEDaSY_SZ_EUlSY_E_NS1_11comp_targetILNS1_3genE4ELNS1_11target_archE910ELNS1_3gpuE8ELNS1_3repE0EEENS1_30default_config_static_selectorELNS0_4arch9wavefront6targetE1EEEvT1_,@function
_ZN7rocprim17ROCPRIM_400000_NS6detail17trampoline_kernelINS0_14default_configENS1_27scan_by_key_config_selectorIj11FixedVectorIiLj1EEEEZZNS1_16scan_by_key_implILNS1_25lookback_scan_determinismE0ELb1ES3_N6thrust23THRUST_200600_302600_NS6detail15normal_iteratorINSB_10device_ptrIjEEEENSD_INSE_IS6_EEEESI_S6_NSB_4plusIvEENSB_8equal_toIvEES6_EE10hipError_tPvRmT2_T3_T4_T5_mT6_T7_P12ihipStream_tbENKUlT_T0_E_clISt17integral_constantIbLb1EES12_IbLb0EEEEDaSY_SZ_EUlSY_E_NS1_11comp_targetILNS1_3genE4ELNS1_11target_archE910ELNS1_3gpuE8ELNS1_3repE0EEENS1_30default_config_static_selectorELNS0_4arch9wavefront6targetE1EEEvT1_: ; @_ZN7rocprim17ROCPRIM_400000_NS6detail17trampoline_kernelINS0_14default_configENS1_27scan_by_key_config_selectorIj11FixedVectorIiLj1EEEEZZNS1_16scan_by_key_implILNS1_25lookback_scan_determinismE0ELb1ES3_N6thrust23THRUST_200600_302600_NS6detail15normal_iteratorINSB_10device_ptrIjEEEENSD_INSE_IS6_EEEESI_S6_NSB_4plusIvEENSB_8equal_toIvEES6_EE10hipError_tPvRmT2_T3_T4_T5_mT6_T7_P12ihipStream_tbENKUlT_T0_E_clISt17integral_constantIbLb1EES12_IbLb0EEEEDaSY_SZ_EUlSY_E_NS1_11comp_targetILNS1_3genE4ELNS1_11target_archE910ELNS1_3gpuE8ELNS1_3repE0EEENS1_30default_config_static_selectorELNS0_4arch9wavefront6targetE1EEEvT1_
; %bb.0:
	.section	.rodata,"a",@progbits
	.p2align	6, 0x0
	.amdhsa_kernel _ZN7rocprim17ROCPRIM_400000_NS6detail17trampoline_kernelINS0_14default_configENS1_27scan_by_key_config_selectorIj11FixedVectorIiLj1EEEEZZNS1_16scan_by_key_implILNS1_25lookback_scan_determinismE0ELb1ES3_N6thrust23THRUST_200600_302600_NS6detail15normal_iteratorINSB_10device_ptrIjEEEENSD_INSE_IS6_EEEESI_S6_NSB_4plusIvEENSB_8equal_toIvEES6_EE10hipError_tPvRmT2_T3_T4_T5_mT6_T7_P12ihipStream_tbENKUlT_T0_E_clISt17integral_constantIbLb1EES12_IbLb0EEEEDaSY_SZ_EUlSY_E_NS1_11comp_targetILNS1_3genE4ELNS1_11target_archE910ELNS1_3gpuE8ELNS1_3repE0EEENS1_30default_config_static_selectorELNS0_4arch9wavefront6targetE1EEEvT1_
		.amdhsa_group_segment_fixed_size 0
		.amdhsa_private_segment_fixed_size 0
		.amdhsa_kernarg_size 112
		.amdhsa_user_sgpr_count 2
		.amdhsa_user_sgpr_dispatch_ptr 0
		.amdhsa_user_sgpr_queue_ptr 0
		.amdhsa_user_sgpr_kernarg_segment_ptr 1
		.amdhsa_user_sgpr_dispatch_id 0
		.amdhsa_user_sgpr_kernarg_preload_length 0
		.amdhsa_user_sgpr_kernarg_preload_offset 0
		.amdhsa_user_sgpr_private_segment_size 0
		.amdhsa_uses_dynamic_stack 0
		.amdhsa_enable_private_segment 0
		.amdhsa_system_sgpr_workgroup_id_x 1
		.amdhsa_system_sgpr_workgroup_id_y 0
		.amdhsa_system_sgpr_workgroup_id_z 0
		.amdhsa_system_sgpr_workgroup_info 0
		.amdhsa_system_vgpr_workitem_id 0
		.amdhsa_next_free_vgpr 1
		.amdhsa_next_free_sgpr 0
		.amdhsa_accum_offset 4
		.amdhsa_reserve_vcc 0
		.amdhsa_float_round_mode_32 0
		.amdhsa_float_round_mode_16_64 0
		.amdhsa_float_denorm_mode_32 3
		.amdhsa_float_denorm_mode_16_64 3
		.amdhsa_dx10_clamp 1
		.amdhsa_ieee_mode 1
		.amdhsa_fp16_overflow 0
		.amdhsa_tg_split 0
		.amdhsa_exception_fp_ieee_invalid_op 0
		.amdhsa_exception_fp_denorm_src 0
		.amdhsa_exception_fp_ieee_div_zero 0
		.amdhsa_exception_fp_ieee_overflow 0
		.amdhsa_exception_fp_ieee_underflow 0
		.amdhsa_exception_fp_ieee_inexact 0
		.amdhsa_exception_int_div_zero 0
	.end_amdhsa_kernel
	.section	.text._ZN7rocprim17ROCPRIM_400000_NS6detail17trampoline_kernelINS0_14default_configENS1_27scan_by_key_config_selectorIj11FixedVectorIiLj1EEEEZZNS1_16scan_by_key_implILNS1_25lookback_scan_determinismE0ELb1ES3_N6thrust23THRUST_200600_302600_NS6detail15normal_iteratorINSB_10device_ptrIjEEEENSD_INSE_IS6_EEEESI_S6_NSB_4plusIvEENSB_8equal_toIvEES6_EE10hipError_tPvRmT2_T3_T4_T5_mT6_T7_P12ihipStream_tbENKUlT_T0_E_clISt17integral_constantIbLb1EES12_IbLb0EEEEDaSY_SZ_EUlSY_E_NS1_11comp_targetILNS1_3genE4ELNS1_11target_archE910ELNS1_3gpuE8ELNS1_3repE0EEENS1_30default_config_static_selectorELNS0_4arch9wavefront6targetE1EEEvT1_,"axG",@progbits,_ZN7rocprim17ROCPRIM_400000_NS6detail17trampoline_kernelINS0_14default_configENS1_27scan_by_key_config_selectorIj11FixedVectorIiLj1EEEEZZNS1_16scan_by_key_implILNS1_25lookback_scan_determinismE0ELb1ES3_N6thrust23THRUST_200600_302600_NS6detail15normal_iteratorINSB_10device_ptrIjEEEENSD_INSE_IS6_EEEESI_S6_NSB_4plusIvEENSB_8equal_toIvEES6_EE10hipError_tPvRmT2_T3_T4_T5_mT6_T7_P12ihipStream_tbENKUlT_T0_E_clISt17integral_constantIbLb1EES12_IbLb0EEEEDaSY_SZ_EUlSY_E_NS1_11comp_targetILNS1_3genE4ELNS1_11target_archE910ELNS1_3gpuE8ELNS1_3repE0EEENS1_30default_config_static_selectorELNS0_4arch9wavefront6targetE1EEEvT1_,comdat
.Lfunc_end1932:
	.size	_ZN7rocprim17ROCPRIM_400000_NS6detail17trampoline_kernelINS0_14default_configENS1_27scan_by_key_config_selectorIj11FixedVectorIiLj1EEEEZZNS1_16scan_by_key_implILNS1_25lookback_scan_determinismE0ELb1ES3_N6thrust23THRUST_200600_302600_NS6detail15normal_iteratorINSB_10device_ptrIjEEEENSD_INSE_IS6_EEEESI_S6_NSB_4plusIvEENSB_8equal_toIvEES6_EE10hipError_tPvRmT2_T3_T4_T5_mT6_T7_P12ihipStream_tbENKUlT_T0_E_clISt17integral_constantIbLb1EES12_IbLb0EEEEDaSY_SZ_EUlSY_E_NS1_11comp_targetILNS1_3genE4ELNS1_11target_archE910ELNS1_3gpuE8ELNS1_3repE0EEENS1_30default_config_static_selectorELNS0_4arch9wavefront6targetE1EEEvT1_, .Lfunc_end1932-_ZN7rocprim17ROCPRIM_400000_NS6detail17trampoline_kernelINS0_14default_configENS1_27scan_by_key_config_selectorIj11FixedVectorIiLj1EEEEZZNS1_16scan_by_key_implILNS1_25lookback_scan_determinismE0ELb1ES3_N6thrust23THRUST_200600_302600_NS6detail15normal_iteratorINSB_10device_ptrIjEEEENSD_INSE_IS6_EEEESI_S6_NSB_4plusIvEENSB_8equal_toIvEES6_EE10hipError_tPvRmT2_T3_T4_T5_mT6_T7_P12ihipStream_tbENKUlT_T0_E_clISt17integral_constantIbLb1EES12_IbLb0EEEEDaSY_SZ_EUlSY_E_NS1_11comp_targetILNS1_3genE4ELNS1_11target_archE910ELNS1_3gpuE8ELNS1_3repE0EEENS1_30default_config_static_selectorELNS0_4arch9wavefront6targetE1EEEvT1_
                                        ; -- End function
	.section	.AMDGPU.csdata,"",@progbits
; Kernel info:
; codeLenInByte = 0
; NumSgprs: 6
; NumVgprs: 0
; NumAgprs: 0
; TotalNumVgprs: 0
; ScratchSize: 0
; MemoryBound: 0
; FloatMode: 240
; IeeeMode: 1
; LDSByteSize: 0 bytes/workgroup (compile time only)
; SGPRBlocks: 0
; VGPRBlocks: 0
; NumSGPRsForWavesPerEU: 6
; NumVGPRsForWavesPerEU: 1
; AccumOffset: 4
; Occupancy: 8
; WaveLimiterHint : 0
; COMPUTE_PGM_RSRC2:SCRATCH_EN: 0
; COMPUTE_PGM_RSRC2:USER_SGPR: 2
; COMPUTE_PGM_RSRC2:TRAP_HANDLER: 0
; COMPUTE_PGM_RSRC2:TGID_X_EN: 1
; COMPUTE_PGM_RSRC2:TGID_Y_EN: 0
; COMPUTE_PGM_RSRC2:TGID_Z_EN: 0
; COMPUTE_PGM_RSRC2:TIDIG_COMP_CNT: 0
; COMPUTE_PGM_RSRC3_GFX90A:ACCUM_OFFSET: 0
; COMPUTE_PGM_RSRC3_GFX90A:TG_SPLIT: 0
	.section	.text._ZN7rocprim17ROCPRIM_400000_NS6detail17trampoline_kernelINS0_14default_configENS1_27scan_by_key_config_selectorIj11FixedVectorIiLj1EEEEZZNS1_16scan_by_key_implILNS1_25lookback_scan_determinismE0ELb1ES3_N6thrust23THRUST_200600_302600_NS6detail15normal_iteratorINSB_10device_ptrIjEEEENSD_INSE_IS6_EEEESI_S6_NSB_4plusIvEENSB_8equal_toIvEES6_EE10hipError_tPvRmT2_T3_T4_T5_mT6_T7_P12ihipStream_tbENKUlT_T0_E_clISt17integral_constantIbLb1EES12_IbLb0EEEEDaSY_SZ_EUlSY_E_NS1_11comp_targetILNS1_3genE3ELNS1_11target_archE908ELNS1_3gpuE7ELNS1_3repE0EEENS1_30default_config_static_selectorELNS0_4arch9wavefront6targetE1EEEvT1_,"axG",@progbits,_ZN7rocprim17ROCPRIM_400000_NS6detail17trampoline_kernelINS0_14default_configENS1_27scan_by_key_config_selectorIj11FixedVectorIiLj1EEEEZZNS1_16scan_by_key_implILNS1_25lookback_scan_determinismE0ELb1ES3_N6thrust23THRUST_200600_302600_NS6detail15normal_iteratorINSB_10device_ptrIjEEEENSD_INSE_IS6_EEEESI_S6_NSB_4plusIvEENSB_8equal_toIvEES6_EE10hipError_tPvRmT2_T3_T4_T5_mT6_T7_P12ihipStream_tbENKUlT_T0_E_clISt17integral_constantIbLb1EES12_IbLb0EEEEDaSY_SZ_EUlSY_E_NS1_11comp_targetILNS1_3genE3ELNS1_11target_archE908ELNS1_3gpuE7ELNS1_3repE0EEENS1_30default_config_static_selectorELNS0_4arch9wavefront6targetE1EEEvT1_,comdat
	.protected	_ZN7rocprim17ROCPRIM_400000_NS6detail17trampoline_kernelINS0_14default_configENS1_27scan_by_key_config_selectorIj11FixedVectorIiLj1EEEEZZNS1_16scan_by_key_implILNS1_25lookback_scan_determinismE0ELb1ES3_N6thrust23THRUST_200600_302600_NS6detail15normal_iteratorINSB_10device_ptrIjEEEENSD_INSE_IS6_EEEESI_S6_NSB_4plusIvEENSB_8equal_toIvEES6_EE10hipError_tPvRmT2_T3_T4_T5_mT6_T7_P12ihipStream_tbENKUlT_T0_E_clISt17integral_constantIbLb1EES12_IbLb0EEEEDaSY_SZ_EUlSY_E_NS1_11comp_targetILNS1_3genE3ELNS1_11target_archE908ELNS1_3gpuE7ELNS1_3repE0EEENS1_30default_config_static_selectorELNS0_4arch9wavefront6targetE1EEEvT1_ ; -- Begin function _ZN7rocprim17ROCPRIM_400000_NS6detail17trampoline_kernelINS0_14default_configENS1_27scan_by_key_config_selectorIj11FixedVectorIiLj1EEEEZZNS1_16scan_by_key_implILNS1_25lookback_scan_determinismE0ELb1ES3_N6thrust23THRUST_200600_302600_NS6detail15normal_iteratorINSB_10device_ptrIjEEEENSD_INSE_IS6_EEEESI_S6_NSB_4plusIvEENSB_8equal_toIvEES6_EE10hipError_tPvRmT2_T3_T4_T5_mT6_T7_P12ihipStream_tbENKUlT_T0_E_clISt17integral_constantIbLb1EES12_IbLb0EEEEDaSY_SZ_EUlSY_E_NS1_11comp_targetILNS1_3genE3ELNS1_11target_archE908ELNS1_3gpuE7ELNS1_3repE0EEENS1_30default_config_static_selectorELNS0_4arch9wavefront6targetE1EEEvT1_
	.globl	_ZN7rocprim17ROCPRIM_400000_NS6detail17trampoline_kernelINS0_14default_configENS1_27scan_by_key_config_selectorIj11FixedVectorIiLj1EEEEZZNS1_16scan_by_key_implILNS1_25lookback_scan_determinismE0ELb1ES3_N6thrust23THRUST_200600_302600_NS6detail15normal_iteratorINSB_10device_ptrIjEEEENSD_INSE_IS6_EEEESI_S6_NSB_4plusIvEENSB_8equal_toIvEES6_EE10hipError_tPvRmT2_T3_T4_T5_mT6_T7_P12ihipStream_tbENKUlT_T0_E_clISt17integral_constantIbLb1EES12_IbLb0EEEEDaSY_SZ_EUlSY_E_NS1_11comp_targetILNS1_3genE3ELNS1_11target_archE908ELNS1_3gpuE7ELNS1_3repE0EEENS1_30default_config_static_selectorELNS0_4arch9wavefront6targetE1EEEvT1_
	.p2align	8
	.type	_ZN7rocprim17ROCPRIM_400000_NS6detail17trampoline_kernelINS0_14default_configENS1_27scan_by_key_config_selectorIj11FixedVectorIiLj1EEEEZZNS1_16scan_by_key_implILNS1_25lookback_scan_determinismE0ELb1ES3_N6thrust23THRUST_200600_302600_NS6detail15normal_iteratorINSB_10device_ptrIjEEEENSD_INSE_IS6_EEEESI_S6_NSB_4plusIvEENSB_8equal_toIvEES6_EE10hipError_tPvRmT2_T3_T4_T5_mT6_T7_P12ihipStream_tbENKUlT_T0_E_clISt17integral_constantIbLb1EES12_IbLb0EEEEDaSY_SZ_EUlSY_E_NS1_11comp_targetILNS1_3genE3ELNS1_11target_archE908ELNS1_3gpuE7ELNS1_3repE0EEENS1_30default_config_static_selectorELNS0_4arch9wavefront6targetE1EEEvT1_,@function
_ZN7rocprim17ROCPRIM_400000_NS6detail17trampoline_kernelINS0_14default_configENS1_27scan_by_key_config_selectorIj11FixedVectorIiLj1EEEEZZNS1_16scan_by_key_implILNS1_25lookback_scan_determinismE0ELb1ES3_N6thrust23THRUST_200600_302600_NS6detail15normal_iteratorINSB_10device_ptrIjEEEENSD_INSE_IS6_EEEESI_S6_NSB_4plusIvEENSB_8equal_toIvEES6_EE10hipError_tPvRmT2_T3_T4_T5_mT6_T7_P12ihipStream_tbENKUlT_T0_E_clISt17integral_constantIbLb1EES12_IbLb0EEEEDaSY_SZ_EUlSY_E_NS1_11comp_targetILNS1_3genE3ELNS1_11target_archE908ELNS1_3gpuE7ELNS1_3repE0EEENS1_30default_config_static_selectorELNS0_4arch9wavefront6targetE1EEEvT1_: ; @_ZN7rocprim17ROCPRIM_400000_NS6detail17trampoline_kernelINS0_14default_configENS1_27scan_by_key_config_selectorIj11FixedVectorIiLj1EEEEZZNS1_16scan_by_key_implILNS1_25lookback_scan_determinismE0ELb1ES3_N6thrust23THRUST_200600_302600_NS6detail15normal_iteratorINSB_10device_ptrIjEEEENSD_INSE_IS6_EEEESI_S6_NSB_4plusIvEENSB_8equal_toIvEES6_EE10hipError_tPvRmT2_T3_T4_T5_mT6_T7_P12ihipStream_tbENKUlT_T0_E_clISt17integral_constantIbLb1EES12_IbLb0EEEEDaSY_SZ_EUlSY_E_NS1_11comp_targetILNS1_3genE3ELNS1_11target_archE908ELNS1_3gpuE7ELNS1_3repE0EEENS1_30default_config_static_selectorELNS0_4arch9wavefront6targetE1EEEvT1_
; %bb.0:
	.section	.rodata,"a",@progbits
	.p2align	6, 0x0
	.amdhsa_kernel _ZN7rocprim17ROCPRIM_400000_NS6detail17trampoline_kernelINS0_14default_configENS1_27scan_by_key_config_selectorIj11FixedVectorIiLj1EEEEZZNS1_16scan_by_key_implILNS1_25lookback_scan_determinismE0ELb1ES3_N6thrust23THRUST_200600_302600_NS6detail15normal_iteratorINSB_10device_ptrIjEEEENSD_INSE_IS6_EEEESI_S6_NSB_4plusIvEENSB_8equal_toIvEES6_EE10hipError_tPvRmT2_T3_T4_T5_mT6_T7_P12ihipStream_tbENKUlT_T0_E_clISt17integral_constantIbLb1EES12_IbLb0EEEEDaSY_SZ_EUlSY_E_NS1_11comp_targetILNS1_3genE3ELNS1_11target_archE908ELNS1_3gpuE7ELNS1_3repE0EEENS1_30default_config_static_selectorELNS0_4arch9wavefront6targetE1EEEvT1_
		.amdhsa_group_segment_fixed_size 0
		.amdhsa_private_segment_fixed_size 0
		.amdhsa_kernarg_size 112
		.amdhsa_user_sgpr_count 2
		.amdhsa_user_sgpr_dispatch_ptr 0
		.amdhsa_user_sgpr_queue_ptr 0
		.amdhsa_user_sgpr_kernarg_segment_ptr 1
		.amdhsa_user_sgpr_dispatch_id 0
		.amdhsa_user_sgpr_kernarg_preload_length 0
		.amdhsa_user_sgpr_kernarg_preload_offset 0
		.amdhsa_user_sgpr_private_segment_size 0
		.amdhsa_uses_dynamic_stack 0
		.amdhsa_enable_private_segment 0
		.amdhsa_system_sgpr_workgroup_id_x 1
		.amdhsa_system_sgpr_workgroup_id_y 0
		.amdhsa_system_sgpr_workgroup_id_z 0
		.amdhsa_system_sgpr_workgroup_info 0
		.amdhsa_system_vgpr_workitem_id 0
		.amdhsa_next_free_vgpr 1
		.amdhsa_next_free_sgpr 0
		.amdhsa_accum_offset 4
		.amdhsa_reserve_vcc 0
		.amdhsa_float_round_mode_32 0
		.amdhsa_float_round_mode_16_64 0
		.amdhsa_float_denorm_mode_32 3
		.amdhsa_float_denorm_mode_16_64 3
		.amdhsa_dx10_clamp 1
		.amdhsa_ieee_mode 1
		.amdhsa_fp16_overflow 0
		.amdhsa_tg_split 0
		.amdhsa_exception_fp_ieee_invalid_op 0
		.amdhsa_exception_fp_denorm_src 0
		.amdhsa_exception_fp_ieee_div_zero 0
		.amdhsa_exception_fp_ieee_overflow 0
		.amdhsa_exception_fp_ieee_underflow 0
		.amdhsa_exception_fp_ieee_inexact 0
		.amdhsa_exception_int_div_zero 0
	.end_amdhsa_kernel
	.section	.text._ZN7rocprim17ROCPRIM_400000_NS6detail17trampoline_kernelINS0_14default_configENS1_27scan_by_key_config_selectorIj11FixedVectorIiLj1EEEEZZNS1_16scan_by_key_implILNS1_25lookback_scan_determinismE0ELb1ES3_N6thrust23THRUST_200600_302600_NS6detail15normal_iteratorINSB_10device_ptrIjEEEENSD_INSE_IS6_EEEESI_S6_NSB_4plusIvEENSB_8equal_toIvEES6_EE10hipError_tPvRmT2_T3_T4_T5_mT6_T7_P12ihipStream_tbENKUlT_T0_E_clISt17integral_constantIbLb1EES12_IbLb0EEEEDaSY_SZ_EUlSY_E_NS1_11comp_targetILNS1_3genE3ELNS1_11target_archE908ELNS1_3gpuE7ELNS1_3repE0EEENS1_30default_config_static_selectorELNS0_4arch9wavefront6targetE1EEEvT1_,"axG",@progbits,_ZN7rocprim17ROCPRIM_400000_NS6detail17trampoline_kernelINS0_14default_configENS1_27scan_by_key_config_selectorIj11FixedVectorIiLj1EEEEZZNS1_16scan_by_key_implILNS1_25lookback_scan_determinismE0ELb1ES3_N6thrust23THRUST_200600_302600_NS6detail15normal_iteratorINSB_10device_ptrIjEEEENSD_INSE_IS6_EEEESI_S6_NSB_4plusIvEENSB_8equal_toIvEES6_EE10hipError_tPvRmT2_T3_T4_T5_mT6_T7_P12ihipStream_tbENKUlT_T0_E_clISt17integral_constantIbLb1EES12_IbLb0EEEEDaSY_SZ_EUlSY_E_NS1_11comp_targetILNS1_3genE3ELNS1_11target_archE908ELNS1_3gpuE7ELNS1_3repE0EEENS1_30default_config_static_selectorELNS0_4arch9wavefront6targetE1EEEvT1_,comdat
.Lfunc_end1933:
	.size	_ZN7rocprim17ROCPRIM_400000_NS6detail17trampoline_kernelINS0_14default_configENS1_27scan_by_key_config_selectorIj11FixedVectorIiLj1EEEEZZNS1_16scan_by_key_implILNS1_25lookback_scan_determinismE0ELb1ES3_N6thrust23THRUST_200600_302600_NS6detail15normal_iteratorINSB_10device_ptrIjEEEENSD_INSE_IS6_EEEESI_S6_NSB_4plusIvEENSB_8equal_toIvEES6_EE10hipError_tPvRmT2_T3_T4_T5_mT6_T7_P12ihipStream_tbENKUlT_T0_E_clISt17integral_constantIbLb1EES12_IbLb0EEEEDaSY_SZ_EUlSY_E_NS1_11comp_targetILNS1_3genE3ELNS1_11target_archE908ELNS1_3gpuE7ELNS1_3repE0EEENS1_30default_config_static_selectorELNS0_4arch9wavefront6targetE1EEEvT1_, .Lfunc_end1933-_ZN7rocprim17ROCPRIM_400000_NS6detail17trampoline_kernelINS0_14default_configENS1_27scan_by_key_config_selectorIj11FixedVectorIiLj1EEEEZZNS1_16scan_by_key_implILNS1_25lookback_scan_determinismE0ELb1ES3_N6thrust23THRUST_200600_302600_NS6detail15normal_iteratorINSB_10device_ptrIjEEEENSD_INSE_IS6_EEEESI_S6_NSB_4plusIvEENSB_8equal_toIvEES6_EE10hipError_tPvRmT2_T3_T4_T5_mT6_T7_P12ihipStream_tbENKUlT_T0_E_clISt17integral_constantIbLb1EES12_IbLb0EEEEDaSY_SZ_EUlSY_E_NS1_11comp_targetILNS1_3genE3ELNS1_11target_archE908ELNS1_3gpuE7ELNS1_3repE0EEENS1_30default_config_static_selectorELNS0_4arch9wavefront6targetE1EEEvT1_
                                        ; -- End function
	.section	.AMDGPU.csdata,"",@progbits
; Kernel info:
; codeLenInByte = 0
; NumSgprs: 6
; NumVgprs: 0
; NumAgprs: 0
; TotalNumVgprs: 0
; ScratchSize: 0
; MemoryBound: 0
; FloatMode: 240
; IeeeMode: 1
; LDSByteSize: 0 bytes/workgroup (compile time only)
; SGPRBlocks: 0
; VGPRBlocks: 0
; NumSGPRsForWavesPerEU: 6
; NumVGPRsForWavesPerEU: 1
; AccumOffset: 4
; Occupancy: 8
; WaveLimiterHint : 0
; COMPUTE_PGM_RSRC2:SCRATCH_EN: 0
; COMPUTE_PGM_RSRC2:USER_SGPR: 2
; COMPUTE_PGM_RSRC2:TRAP_HANDLER: 0
; COMPUTE_PGM_RSRC2:TGID_X_EN: 1
; COMPUTE_PGM_RSRC2:TGID_Y_EN: 0
; COMPUTE_PGM_RSRC2:TGID_Z_EN: 0
; COMPUTE_PGM_RSRC2:TIDIG_COMP_CNT: 0
; COMPUTE_PGM_RSRC3_GFX90A:ACCUM_OFFSET: 0
; COMPUTE_PGM_RSRC3_GFX90A:TG_SPLIT: 0
	.section	.text._ZN7rocprim17ROCPRIM_400000_NS6detail17trampoline_kernelINS0_14default_configENS1_27scan_by_key_config_selectorIj11FixedVectorIiLj1EEEEZZNS1_16scan_by_key_implILNS1_25lookback_scan_determinismE0ELb1ES3_N6thrust23THRUST_200600_302600_NS6detail15normal_iteratorINSB_10device_ptrIjEEEENSD_INSE_IS6_EEEESI_S6_NSB_4plusIvEENSB_8equal_toIvEES6_EE10hipError_tPvRmT2_T3_T4_T5_mT6_T7_P12ihipStream_tbENKUlT_T0_E_clISt17integral_constantIbLb1EES12_IbLb0EEEEDaSY_SZ_EUlSY_E_NS1_11comp_targetILNS1_3genE2ELNS1_11target_archE906ELNS1_3gpuE6ELNS1_3repE0EEENS1_30default_config_static_selectorELNS0_4arch9wavefront6targetE1EEEvT1_,"axG",@progbits,_ZN7rocprim17ROCPRIM_400000_NS6detail17trampoline_kernelINS0_14default_configENS1_27scan_by_key_config_selectorIj11FixedVectorIiLj1EEEEZZNS1_16scan_by_key_implILNS1_25lookback_scan_determinismE0ELb1ES3_N6thrust23THRUST_200600_302600_NS6detail15normal_iteratorINSB_10device_ptrIjEEEENSD_INSE_IS6_EEEESI_S6_NSB_4plusIvEENSB_8equal_toIvEES6_EE10hipError_tPvRmT2_T3_T4_T5_mT6_T7_P12ihipStream_tbENKUlT_T0_E_clISt17integral_constantIbLb1EES12_IbLb0EEEEDaSY_SZ_EUlSY_E_NS1_11comp_targetILNS1_3genE2ELNS1_11target_archE906ELNS1_3gpuE6ELNS1_3repE0EEENS1_30default_config_static_selectorELNS0_4arch9wavefront6targetE1EEEvT1_,comdat
	.protected	_ZN7rocprim17ROCPRIM_400000_NS6detail17trampoline_kernelINS0_14default_configENS1_27scan_by_key_config_selectorIj11FixedVectorIiLj1EEEEZZNS1_16scan_by_key_implILNS1_25lookback_scan_determinismE0ELb1ES3_N6thrust23THRUST_200600_302600_NS6detail15normal_iteratorINSB_10device_ptrIjEEEENSD_INSE_IS6_EEEESI_S6_NSB_4plusIvEENSB_8equal_toIvEES6_EE10hipError_tPvRmT2_T3_T4_T5_mT6_T7_P12ihipStream_tbENKUlT_T0_E_clISt17integral_constantIbLb1EES12_IbLb0EEEEDaSY_SZ_EUlSY_E_NS1_11comp_targetILNS1_3genE2ELNS1_11target_archE906ELNS1_3gpuE6ELNS1_3repE0EEENS1_30default_config_static_selectorELNS0_4arch9wavefront6targetE1EEEvT1_ ; -- Begin function _ZN7rocprim17ROCPRIM_400000_NS6detail17trampoline_kernelINS0_14default_configENS1_27scan_by_key_config_selectorIj11FixedVectorIiLj1EEEEZZNS1_16scan_by_key_implILNS1_25lookback_scan_determinismE0ELb1ES3_N6thrust23THRUST_200600_302600_NS6detail15normal_iteratorINSB_10device_ptrIjEEEENSD_INSE_IS6_EEEESI_S6_NSB_4plusIvEENSB_8equal_toIvEES6_EE10hipError_tPvRmT2_T3_T4_T5_mT6_T7_P12ihipStream_tbENKUlT_T0_E_clISt17integral_constantIbLb1EES12_IbLb0EEEEDaSY_SZ_EUlSY_E_NS1_11comp_targetILNS1_3genE2ELNS1_11target_archE906ELNS1_3gpuE6ELNS1_3repE0EEENS1_30default_config_static_selectorELNS0_4arch9wavefront6targetE1EEEvT1_
	.globl	_ZN7rocprim17ROCPRIM_400000_NS6detail17trampoline_kernelINS0_14default_configENS1_27scan_by_key_config_selectorIj11FixedVectorIiLj1EEEEZZNS1_16scan_by_key_implILNS1_25lookback_scan_determinismE0ELb1ES3_N6thrust23THRUST_200600_302600_NS6detail15normal_iteratorINSB_10device_ptrIjEEEENSD_INSE_IS6_EEEESI_S6_NSB_4plusIvEENSB_8equal_toIvEES6_EE10hipError_tPvRmT2_T3_T4_T5_mT6_T7_P12ihipStream_tbENKUlT_T0_E_clISt17integral_constantIbLb1EES12_IbLb0EEEEDaSY_SZ_EUlSY_E_NS1_11comp_targetILNS1_3genE2ELNS1_11target_archE906ELNS1_3gpuE6ELNS1_3repE0EEENS1_30default_config_static_selectorELNS0_4arch9wavefront6targetE1EEEvT1_
	.p2align	8
	.type	_ZN7rocprim17ROCPRIM_400000_NS6detail17trampoline_kernelINS0_14default_configENS1_27scan_by_key_config_selectorIj11FixedVectorIiLj1EEEEZZNS1_16scan_by_key_implILNS1_25lookback_scan_determinismE0ELb1ES3_N6thrust23THRUST_200600_302600_NS6detail15normal_iteratorINSB_10device_ptrIjEEEENSD_INSE_IS6_EEEESI_S6_NSB_4plusIvEENSB_8equal_toIvEES6_EE10hipError_tPvRmT2_T3_T4_T5_mT6_T7_P12ihipStream_tbENKUlT_T0_E_clISt17integral_constantIbLb1EES12_IbLb0EEEEDaSY_SZ_EUlSY_E_NS1_11comp_targetILNS1_3genE2ELNS1_11target_archE906ELNS1_3gpuE6ELNS1_3repE0EEENS1_30default_config_static_selectorELNS0_4arch9wavefront6targetE1EEEvT1_,@function
_ZN7rocprim17ROCPRIM_400000_NS6detail17trampoline_kernelINS0_14default_configENS1_27scan_by_key_config_selectorIj11FixedVectorIiLj1EEEEZZNS1_16scan_by_key_implILNS1_25lookback_scan_determinismE0ELb1ES3_N6thrust23THRUST_200600_302600_NS6detail15normal_iteratorINSB_10device_ptrIjEEEENSD_INSE_IS6_EEEESI_S6_NSB_4plusIvEENSB_8equal_toIvEES6_EE10hipError_tPvRmT2_T3_T4_T5_mT6_T7_P12ihipStream_tbENKUlT_T0_E_clISt17integral_constantIbLb1EES12_IbLb0EEEEDaSY_SZ_EUlSY_E_NS1_11comp_targetILNS1_3genE2ELNS1_11target_archE906ELNS1_3gpuE6ELNS1_3repE0EEENS1_30default_config_static_selectorELNS0_4arch9wavefront6targetE1EEEvT1_: ; @_ZN7rocprim17ROCPRIM_400000_NS6detail17trampoline_kernelINS0_14default_configENS1_27scan_by_key_config_selectorIj11FixedVectorIiLj1EEEEZZNS1_16scan_by_key_implILNS1_25lookback_scan_determinismE0ELb1ES3_N6thrust23THRUST_200600_302600_NS6detail15normal_iteratorINSB_10device_ptrIjEEEENSD_INSE_IS6_EEEESI_S6_NSB_4plusIvEENSB_8equal_toIvEES6_EE10hipError_tPvRmT2_T3_T4_T5_mT6_T7_P12ihipStream_tbENKUlT_T0_E_clISt17integral_constantIbLb1EES12_IbLb0EEEEDaSY_SZ_EUlSY_E_NS1_11comp_targetILNS1_3genE2ELNS1_11target_archE906ELNS1_3gpuE6ELNS1_3repE0EEENS1_30default_config_static_selectorELNS0_4arch9wavefront6targetE1EEEvT1_
; %bb.0:
	.section	.rodata,"a",@progbits
	.p2align	6, 0x0
	.amdhsa_kernel _ZN7rocprim17ROCPRIM_400000_NS6detail17trampoline_kernelINS0_14default_configENS1_27scan_by_key_config_selectorIj11FixedVectorIiLj1EEEEZZNS1_16scan_by_key_implILNS1_25lookback_scan_determinismE0ELb1ES3_N6thrust23THRUST_200600_302600_NS6detail15normal_iteratorINSB_10device_ptrIjEEEENSD_INSE_IS6_EEEESI_S6_NSB_4plusIvEENSB_8equal_toIvEES6_EE10hipError_tPvRmT2_T3_T4_T5_mT6_T7_P12ihipStream_tbENKUlT_T0_E_clISt17integral_constantIbLb1EES12_IbLb0EEEEDaSY_SZ_EUlSY_E_NS1_11comp_targetILNS1_3genE2ELNS1_11target_archE906ELNS1_3gpuE6ELNS1_3repE0EEENS1_30default_config_static_selectorELNS0_4arch9wavefront6targetE1EEEvT1_
		.amdhsa_group_segment_fixed_size 0
		.amdhsa_private_segment_fixed_size 0
		.amdhsa_kernarg_size 112
		.amdhsa_user_sgpr_count 2
		.amdhsa_user_sgpr_dispatch_ptr 0
		.amdhsa_user_sgpr_queue_ptr 0
		.amdhsa_user_sgpr_kernarg_segment_ptr 1
		.amdhsa_user_sgpr_dispatch_id 0
		.amdhsa_user_sgpr_kernarg_preload_length 0
		.amdhsa_user_sgpr_kernarg_preload_offset 0
		.amdhsa_user_sgpr_private_segment_size 0
		.amdhsa_uses_dynamic_stack 0
		.amdhsa_enable_private_segment 0
		.amdhsa_system_sgpr_workgroup_id_x 1
		.amdhsa_system_sgpr_workgroup_id_y 0
		.amdhsa_system_sgpr_workgroup_id_z 0
		.amdhsa_system_sgpr_workgroup_info 0
		.amdhsa_system_vgpr_workitem_id 0
		.amdhsa_next_free_vgpr 1
		.amdhsa_next_free_sgpr 0
		.amdhsa_accum_offset 4
		.amdhsa_reserve_vcc 0
		.amdhsa_float_round_mode_32 0
		.amdhsa_float_round_mode_16_64 0
		.amdhsa_float_denorm_mode_32 3
		.amdhsa_float_denorm_mode_16_64 3
		.amdhsa_dx10_clamp 1
		.amdhsa_ieee_mode 1
		.amdhsa_fp16_overflow 0
		.amdhsa_tg_split 0
		.amdhsa_exception_fp_ieee_invalid_op 0
		.amdhsa_exception_fp_denorm_src 0
		.amdhsa_exception_fp_ieee_div_zero 0
		.amdhsa_exception_fp_ieee_overflow 0
		.amdhsa_exception_fp_ieee_underflow 0
		.amdhsa_exception_fp_ieee_inexact 0
		.amdhsa_exception_int_div_zero 0
	.end_amdhsa_kernel
	.section	.text._ZN7rocprim17ROCPRIM_400000_NS6detail17trampoline_kernelINS0_14default_configENS1_27scan_by_key_config_selectorIj11FixedVectorIiLj1EEEEZZNS1_16scan_by_key_implILNS1_25lookback_scan_determinismE0ELb1ES3_N6thrust23THRUST_200600_302600_NS6detail15normal_iteratorINSB_10device_ptrIjEEEENSD_INSE_IS6_EEEESI_S6_NSB_4plusIvEENSB_8equal_toIvEES6_EE10hipError_tPvRmT2_T3_T4_T5_mT6_T7_P12ihipStream_tbENKUlT_T0_E_clISt17integral_constantIbLb1EES12_IbLb0EEEEDaSY_SZ_EUlSY_E_NS1_11comp_targetILNS1_3genE2ELNS1_11target_archE906ELNS1_3gpuE6ELNS1_3repE0EEENS1_30default_config_static_selectorELNS0_4arch9wavefront6targetE1EEEvT1_,"axG",@progbits,_ZN7rocprim17ROCPRIM_400000_NS6detail17trampoline_kernelINS0_14default_configENS1_27scan_by_key_config_selectorIj11FixedVectorIiLj1EEEEZZNS1_16scan_by_key_implILNS1_25lookback_scan_determinismE0ELb1ES3_N6thrust23THRUST_200600_302600_NS6detail15normal_iteratorINSB_10device_ptrIjEEEENSD_INSE_IS6_EEEESI_S6_NSB_4plusIvEENSB_8equal_toIvEES6_EE10hipError_tPvRmT2_T3_T4_T5_mT6_T7_P12ihipStream_tbENKUlT_T0_E_clISt17integral_constantIbLb1EES12_IbLb0EEEEDaSY_SZ_EUlSY_E_NS1_11comp_targetILNS1_3genE2ELNS1_11target_archE906ELNS1_3gpuE6ELNS1_3repE0EEENS1_30default_config_static_selectorELNS0_4arch9wavefront6targetE1EEEvT1_,comdat
.Lfunc_end1934:
	.size	_ZN7rocprim17ROCPRIM_400000_NS6detail17trampoline_kernelINS0_14default_configENS1_27scan_by_key_config_selectorIj11FixedVectorIiLj1EEEEZZNS1_16scan_by_key_implILNS1_25lookback_scan_determinismE0ELb1ES3_N6thrust23THRUST_200600_302600_NS6detail15normal_iteratorINSB_10device_ptrIjEEEENSD_INSE_IS6_EEEESI_S6_NSB_4plusIvEENSB_8equal_toIvEES6_EE10hipError_tPvRmT2_T3_T4_T5_mT6_T7_P12ihipStream_tbENKUlT_T0_E_clISt17integral_constantIbLb1EES12_IbLb0EEEEDaSY_SZ_EUlSY_E_NS1_11comp_targetILNS1_3genE2ELNS1_11target_archE906ELNS1_3gpuE6ELNS1_3repE0EEENS1_30default_config_static_selectorELNS0_4arch9wavefront6targetE1EEEvT1_, .Lfunc_end1934-_ZN7rocprim17ROCPRIM_400000_NS6detail17trampoline_kernelINS0_14default_configENS1_27scan_by_key_config_selectorIj11FixedVectorIiLj1EEEEZZNS1_16scan_by_key_implILNS1_25lookback_scan_determinismE0ELb1ES3_N6thrust23THRUST_200600_302600_NS6detail15normal_iteratorINSB_10device_ptrIjEEEENSD_INSE_IS6_EEEESI_S6_NSB_4plusIvEENSB_8equal_toIvEES6_EE10hipError_tPvRmT2_T3_T4_T5_mT6_T7_P12ihipStream_tbENKUlT_T0_E_clISt17integral_constantIbLb1EES12_IbLb0EEEEDaSY_SZ_EUlSY_E_NS1_11comp_targetILNS1_3genE2ELNS1_11target_archE906ELNS1_3gpuE6ELNS1_3repE0EEENS1_30default_config_static_selectorELNS0_4arch9wavefront6targetE1EEEvT1_
                                        ; -- End function
	.section	.AMDGPU.csdata,"",@progbits
; Kernel info:
; codeLenInByte = 0
; NumSgprs: 6
; NumVgprs: 0
; NumAgprs: 0
; TotalNumVgprs: 0
; ScratchSize: 0
; MemoryBound: 0
; FloatMode: 240
; IeeeMode: 1
; LDSByteSize: 0 bytes/workgroup (compile time only)
; SGPRBlocks: 0
; VGPRBlocks: 0
; NumSGPRsForWavesPerEU: 6
; NumVGPRsForWavesPerEU: 1
; AccumOffset: 4
; Occupancy: 8
; WaveLimiterHint : 0
; COMPUTE_PGM_RSRC2:SCRATCH_EN: 0
; COMPUTE_PGM_RSRC2:USER_SGPR: 2
; COMPUTE_PGM_RSRC2:TRAP_HANDLER: 0
; COMPUTE_PGM_RSRC2:TGID_X_EN: 1
; COMPUTE_PGM_RSRC2:TGID_Y_EN: 0
; COMPUTE_PGM_RSRC2:TGID_Z_EN: 0
; COMPUTE_PGM_RSRC2:TIDIG_COMP_CNT: 0
; COMPUTE_PGM_RSRC3_GFX90A:ACCUM_OFFSET: 0
; COMPUTE_PGM_RSRC3_GFX90A:TG_SPLIT: 0
	.section	.text._ZN7rocprim17ROCPRIM_400000_NS6detail17trampoline_kernelINS0_14default_configENS1_27scan_by_key_config_selectorIj11FixedVectorIiLj1EEEEZZNS1_16scan_by_key_implILNS1_25lookback_scan_determinismE0ELb1ES3_N6thrust23THRUST_200600_302600_NS6detail15normal_iteratorINSB_10device_ptrIjEEEENSD_INSE_IS6_EEEESI_S6_NSB_4plusIvEENSB_8equal_toIvEES6_EE10hipError_tPvRmT2_T3_T4_T5_mT6_T7_P12ihipStream_tbENKUlT_T0_E_clISt17integral_constantIbLb1EES12_IbLb0EEEEDaSY_SZ_EUlSY_E_NS1_11comp_targetILNS1_3genE10ELNS1_11target_archE1200ELNS1_3gpuE4ELNS1_3repE0EEENS1_30default_config_static_selectorELNS0_4arch9wavefront6targetE1EEEvT1_,"axG",@progbits,_ZN7rocprim17ROCPRIM_400000_NS6detail17trampoline_kernelINS0_14default_configENS1_27scan_by_key_config_selectorIj11FixedVectorIiLj1EEEEZZNS1_16scan_by_key_implILNS1_25lookback_scan_determinismE0ELb1ES3_N6thrust23THRUST_200600_302600_NS6detail15normal_iteratorINSB_10device_ptrIjEEEENSD_INSE_IS6_EEEESI_S6_NSB_4plusIvEENSB_8equal_toIvEES6_EE10hipError_tPvRmT2_T3_T4_T5_mT6_T7_P12ihipStream_tbENKUlT_T0_E_clISt17integral_constantIbLb1EES12_IbLb0EEEEDaSY_SZ_EUlSY_E_NS1_11comp_targetILNS1_3genE10ELNS1_11target_archE1200ELNS1_3gpuE4ELNS1_3repE0EEENS1_30default_config_static_selectorELNS0_4arch9wavefront6targetE1EEEvT1_,comdat
	.protected	_ZN7rocprim17ROCPRIM_400000_NS6detail17trampoline_kernelINS0_14default_configENS1_27scan_by_key_config_selectorIj11FixedVectorIiLj1EEEEZZNS1_16scan_by_key_implILNS1_25lookback_scan_determinismE0ELb1ES3_N6thrust23THRUST_200600_302600_NS6detail15normal_iteratorINSB_10device_ptrIjEEEENSD_INSE_IS6_EEEESI_S6_NSB_4plusIvEENSB_8equal_toIvEES6_EE10hipError_tPvRmT2_T3_T4_T5_mT6_T7_P12ihipStream_tbENKUlT_T0_E_clISt17integral_constantIbLb1EES12_IbLb0EEEEDaSY_SZ_EUlSY_E_NS1_11comp_targetILNS1_3genE10ELNS1_11target_archE1200ELNS1_3gpuE4ELNS1_3repE0EEENS1_30default_config_static_selectorELNS0_4arch9wavefront6targetE1EEEvT1_ ; -- Begin function _ZN7rocprim17ROCPRIM_400000_NS6detail17trampoline_kernelINS0_14default_configENS1_27scan_by_key_config_selectorIj11FixedVectorIiLj1EEEEZZNS1_16scan_by_key_implILNS1_25lookback_scan_determinismE0ELb1ES3_N6thrust23THRUST_200600_302600_NS6detail15normal_iteratorINSB_10device_ptrIjEEEENSD_INSE_IS6_EEEESI_S6_NSB_4plusIvEENSB_8equal_toIvEES6_EE10hipError_tPvRmT2_T3_T4_T5_mT6_T7_P12ihipStream_tbENKUlT_T0_E_clISt17integral_constantIbLb1EES12_IbLb0EEEEDaSY_SZ_EUlSY_E_NS1_11comp_targetILNS1_3genE10ELNS1_11target_archE1200ELNS1_3gpuE4ELNS1_3repE0EEENS1_30default_config_static_selectorELNS0_4arch9wavefront6targetE1EEEvT1_
	.globl	_ZN7rocprim17ROCPRIM_400000_NS6detail17trampoline_kernelINS0_14default_configENS1_27scan_by_key_config_selectorIj11FixedVectorIiLj1EEEEZZNS1_16scan_by_key_implILNS1_25lookback_scan_determinismE0ELb1ES3_N6thrust23THRUST_200600_302600_NS6detail15normal_iteratorINSB_10device_ptrIjEEEENSD_INSE_IS6_EEEESI_S6_NSB_4plusIvEENSB_8equal_toIvEES6_EE10hipError_tPvRmT2_T3_T4_T5_mT6_T7_P12ihipStream_tbENKUlT_T0_E_clISt17integral_constantIbLb1EES12_IbLb0EEEEDaSY_SZ_EUlSY_E_NS1_11comp_targetILNS1_3genE10ELNS1_11target_archE1200ELNS1_3gpuE4ELNS1_3repE0EEENS1_30default_config_static_selectorELNS0_4arch9wavefront6targetE1EEEvT1_
	.p2align	8
	.type	_ZN7rocprim17ROCPRIM_400000_NS6detail17trampoline_kernelINS0_14default_configENS1_27scan_by_key_config_selectorIj11FixedVectorIiLj1EEEEZZNS1_16scan_by_key_implILNS1_25lookback_scan_determinismE0ELb1ES3_N6thrust23THRUST_200600_302600_NS6detail15normal_iteratorINSB_10device_ptrIjEEEENSD_INSE_IS6_EEEESI_S6_NSB_4plusIvEENSB_8equal_toIvEES6_EE10hipError_tPvRmT2_T3_T4_T5_mT6_T7_P12ihipStream_tbENKUlT_T0_E_clISt17integral_constantIbLb1EES12_IbLb0EEEEDaSY_SZ_EUlSY_E_NS1_11comp_targetILNS1_3genE10ELNS1_11target_archE1200ELNS1_3gpuE4ELNS1_3repE0EEENS1_30default_config_static_selectorELNS0_4arch9wavefront6targetE1EEEvT1_,@function
_ZN7rocprim17ROCPRIM_400000_NS6detail17trampoline_kernelINS0_14default_configENS1_27scan_by_key_config_selectorIj11FixedVectorIiLj1EEEEZZNS1_16scan_by_key_implILNS1_25lookback_scan_determinismE0ELb1ES3_N6thrust23THRUST_200600_302600_NS6detail15normal_iteratorINSB_10device_ptrIjEEEENSD_INSE_IS6_EEEESI_S6_NSB_4plusIvEENSB_8equal_toIvEES6_EE10hipError_tPvRmT2_T3_T4_T5_mT6_T7_P12ihipStream_tbENKUlT_T0_E_clISt17integral_constantIbLb1EES12_IbLb0EEEEDaSY_SZ_EUlSY_E_NS1_11comp_targetILNS1_3genE10ELNS1_11target_archE1200ELNS1_3gpuE4ELNS1_3repE0EEENS1_30default_config_static_selectorELNS0_4arch9wavefront6targetE1EEEvT1_: ; @_ZN7rocprim17ROCPRIM_400000_NS6detail17trampoline_kernelINS0_14default_configENS1_27scan_by_key_config_selectorIj11FixedVectorIiLj1EEEEZZNS1_16scan_by_key_implILNS1_25lookback_scan_determinismE0ELb1ES3_N6thrust23THRUST_200600_302600_NS6detail15normal_iteratorINSB_10device_ptrIjEEEENSD_INSE_IS6_EEEESI_S6_NSB_4plusIvEENSB_8equal_toIvEES6_EE10hipError_tPvRmT2_T3_T4_T5_mT6_T7_P12ihipStream_tbENKUlT_T0_E_clISt17integral_constantIbLb1EES12_IbLb0EEEEDaSY_SZ_EUlSY_E_NS1_11comp_targetILNS1_3genE10ELNS1_11target_archE1200ELNS1_3gpuE4ELNS1_3repE0EEENS1_30default_config_static_selectorELNS0_4arch9wavefront6targetE1EEEvT1_
; %bb.0:
	.section	.rodata,"a",@progbits
	.p2align	6, 0x0
	.amdhsa_kernel _ZN7rocprim17ROCPRIM_400000_NS6detail17trampoline_kernelINS0_14default_configENS1_27scan_by_key_config_selectorIj11FixedVectorIiLj1EEEEZZNS1_16scan_by_key_implILNS1_25lookback_scan_determinismE0ELb1ES3_N6thrust23THRUST_200600_302600_NS6detail15normal_iteratorINSB_10device_ptrIjEEEENSD_INSE_IS6_EEEESI_S6_NSB_4plusIvEENSB_8equal_toIvEES6_EE10hipError_tPvRmT2_T3_T4_T5_mT6_T7_P12ihipStream_tbENKUlT_T0_E_clISt17integral_constantIbLb1EES12_IbLb0EEEEDaSY_SZ_EUlSY_E_NS1_11comp_targetILNS1_3genE10ELNS1_11target_archE1200ELNS1_3gpuE4ELNS1_3repE0EEENS1_30default_config_static_selectorELNS0_4arch9wavefront6targetE1EEEvT1_
		.amdhsa_group_segment_fixed_size 0
		.amdhsa_private_segment_fixed_size 0
		.amdhsa_kernarg_size 112
		.amdhsa_user_sgpr_count 2
		.amdhsa_user_sgpr_dispatch_ptr 0
		.amdhsa_user_sgpr_queue_ptr 0
		.amdhsa_user_sgpr_kernarg_segment_ptr 1
		.amdhsa_user_sgpr_dispatch_id 0
		.amdhsa_user_sgpr_kernarg_preload_length 0
		.amdhsa_user_sgpr_kernarg_preload_offset 0
		.amdhsa_user_sgpr_private_segment_size 0
		.amdhsa_uses_dynamic_stack 0
		.amdhsa_enable_private_segment 0
		.amdhsa_system_sgpr_workgroup_id_x 1
		.amdhsa_system_sgpr_workgroup_id_y 0
		.amdhsa_system_sgpr_workgroup_id_z 0
		.amdhsa_system_sgpr_workgroup_info 0
		.amdhsa_system_vgpr_workitem_id 0
		.amdhsa_next_free_vgpr 1
		.amdhsa_next_free_sgpr 0
		.amdhsa_accum_offset 4
		.amdhsa_reserve_vcc 0
		.amdhsa_float_round_mode_32 0
		.amdhsa_float_round_mode_16_64 0
		.amdhsa_float_denorm_mode_32 3
		.amdhsa_float_denorm_mode_16_64 3
		.amdhsa_dx10_clamp 1
		.amdhsa_ieee_mode 1
		.amdhsa_fp16_overflow 0
		.amdhsa_tg_split 0
		.amdhsa_exception_fp_ieee_invalid_op 0
		.amdhsa_exception_fp_denorm_src 0
		.amdhsa_exception_fp_ieee_div_zero 0
		.amdhsa_exception_fp_ieee_overflow 0
		.amdhsa_exception_fp_ieee_underflow 0
		.amdhsa_exception_fp_ieee_inexact 0
		.amdhsa_exception_int_div_zero 0
	.end_amdhsa_kernel
	.section	.text._ZN7rocprim17ROCPRIM_400000_NS6detail17trampoline_kernelINS0_14default_configENS1_27scan_by_key_config_selectorIj11FixedVectorIiLj1EEEEZZNS1_16scan_by_key_implILNS1_25lookback_scan_determinismE0ELb1ES3_N6thrust23THRUST_200600_302600_NS6detail15normal_iteratorINSB_10device_ptrIjEEEENSD_INSE_IS6_EEEESI_S6_NSB_4plusIvEENSB_8equal_toIvEES6_EE10hipError_tPvRmT2_T3_T4_T5_mT6_T7_P12ihipStream_tbENKUlT_T0_E_clISt17integral_constantIbLb1EES12_IbLb0EEEEDaSY_SZ_EUlSY_E_NS1_11comp_targetILNS1_3genE10ELNS1_11target_archE1200ELNS1_3gpuE4ELNS1_3repE0EEENS1_30default_config_static_selectorELNS0_4arch9wavefront6targetE1EEEvT1_,"axG",@progbits,_ZN7rocprim17ROCPRIM_400000_NS6detail17trampoline_kernelINS0_14default_configENS1_27scan_by_key_config_selectorIj11FixedVectorIiLj1EEEEZZNS1_16scan_by_key_implILNS1_25lookback_scan_determinismE0ELb1ES3_N6thrust23THRUST_200600_302600_NS6detail15normal_iteratorINSB_10device_ptrIjEEEENSD_INSE_IS6_EEEESI_S6_NSB_4plusIvEENSB_8equal_toIvEES6_EE10hipError_tPvRmT2_T3_T4_T5_mT6_T7_P12ihipStream_tbENKUlT_T0_E_clISt17integral_constantIbLb1EES12_IbLb0EEEEDaSY_SZ_EUlSY_E_NS1_11comp_targetILNS1_3genE10ELNS1_11target_archE1200ELNS1_3gpuE4ELNS1_3repE0EEENS1_30default_config_static_selectorELNS0_4arch9wavefront6targetE1EEEvT1_,comdat
.Lfunc_end1935:
	.size	_ZN7rocprim17ROCPRIM_400000_NS6detail17trampoline_kernelINS0_14default_configENS1_27scan_by_key_config_selectorIj11FixedVectorIiLj1EEEEZZNS1_16scan_by_key_implILNS1_25lookback_scan_determinismE0ELb1ES3_N6thrust23THRUST_200600_302600_NS6detail15normal_iteratorINSB_10device_ptrIjEEEENSD_INSE_IS6_EEEESI_S6_NSB_4plusIvEENSB_8equal_toIvEES6_EE10hipError_tPvRmT2_T3_T4_T5_mT6_T7_P12ihipStream_tbENKUlT_T0_E_clISt17integral_constantIbLb1EES12_IbLb0EEEEDaSY_SZ_EUlSY_E_NS1_11comp_targetILNS1_3genE10ELNS1_11target_archE1200ELNS1_3gpuE4ELNS1_3repE0EEENS1_30default_config_static_selectorELNS0_4arch9wavefront6targetE1EEEvT1_, .Lfunc_end1935-_ZN7rocprim17ROCPRIM_400000_NS6detail17trampoline_kernelINS0_14default_configENS1_27scan_by_key_config_selectorIj11FixedVectorIiLj1EEEEZZNS1_16scan_by_key_implILNS1_25lookback_scan_determinismE0ELb1ES3_N6thrust23THRUST_200600_302600_NS6detail15normal_iteratorINSB_10device_ptrIjEEEENSD_INSE_IS6_EEEESI_S6_NSB_4plusIvEENSB_8equal_toIvEES6_EE10hipError_tPvRmT2_T3_T4_T5_mT6_T7_P12ihipStream_tbENKUlT_T0_E_clISt17integral_constantIbLb1EES12_IbLb0EEEEDaSY_SZ_EUlSY_E_NS1_11comp_targetILNS1_3genE10ELNS1_11target_archE1200ELNS1_3gpuE4ELNS1_3repE0EEENS1_30default_config_static_selectorELNS0_4arch9wavefront6targetE1EEEvT1_
                                        ; -- End function
	.section	.AMDGPU.csdata,"",@progbits
; Kernel info:
; codeLenInByte = 0
; NumSgprs: 6
; NumVgprs: 0
; NumAgprs: 0
; TotalNumVgprs: 0
; ScratchSize: 0
; MemoryBound: 0
; FloatMode: 240
; IeeeMode: 1
; LDSByteSize: 0 bytes/workgroup (compile time only)
; SGPRBlocks: 0
; VGPRBlocks: 0
; NumSGPRsForWavesPerEU: 6
; NumVGPRsForWavesPerEU: 1
; AccumOffset: 4
; Occupancy: 8
; WaveLimiterHint : 0
; COMPUTE_PGM_RSRC2:SCRATCH_EN: 0
; COMPUTE_PGM_RSRC2:USER_SGPR: 2
; COMPUTE_PGM_RSRC2:TRAP_HANDLER: 0
; COMPUTE_PGM_RSRC2:TGID_X_EN: 1
; COMPUTE_PGM_RSRC2:TGID_Y_EN: 0
; COMPUTE_PGM_RSRC2:TGID_Z_EN: 0
; COMPUTE_PGM_RSRC2:TIDIG_COMP_CNT: 0
; COMPUTE_PGM_RSRC3_GFX90A:ACCUM_OFFSET: 0
; COMPUTE_PGM_RSRC3_GFX90A:TG_SPLIT: 0
	.section	.text._ZN7rocprim17ROCPRIM_400000_NS6detail17trampoline_kernelINS0_14default_configENS1_27scan_by_key_config_selectorIj11FixedVectorIiLj1EEEEZZNS1_16scan_by_key_implILNS1_25lookback_scan_determinismE0ELb1ES3_N6thrust23THRUST_200600_302600_NS6detail15normal_iteratorINSB_10device_ptrIjEEEENSD_INSE_IS6_EEEESI_S6_NSB_4plusIvEENSB_8equal_toIvEES6_EE10hipError_tPvRmT2_T3_T4_T5_mT6_T7_P12ihipStream_tbENKUlT_T0_E_clISt17integral_constantIbLb1EES12_IbLb0EEEEDaSY_SZ_EUlSY_E_NS1_11comp_targetILNS1_3genE9ELNS1_11target_archE1100ELNS1_3gpuE3ELNS1_3repE0EEENS1_30default_config_static_selectorELNS0_4arch9wavefront6targetE1EEEvT1_,"axG",@progbits,_ZN7rocprim17ROCPRIM_400000_NS6detail17trampoline_kernelINS0_14default_configENS1_27scan_by_key_config_selectorIj11FixedVectorIiLj1EEEEZZNS1_16scan_by_key_implILNS1_25lookback_scan_determinismE0ELb1ES3_N6thrust23THRUST_200600_302600_NS6detail15normal_iteratorINSB_10device_ptrIjEEEENSD_INSE_IS6_EEEESI_S6_NSB_4plusIvEENSB_8equal_toIvEES6_EE10hipError_tPvRmT2_T3_T4_T5_mT6_T7_P12ihipStream_tbENKUlT_T0_E_clISt17integral_constantIbLb1EES12_IbLb0EEEEDaSY_SZ_EUlSY_E_NS1_11comp_targetILNS1_3genE9ELNS1_11target_archE1100ELNS1_3gpuE3ELNS1_3repE0EEENS1_30default_config_static_selectorELNS0_4arch9wavefront6targetE1EEEvT1_,comdat
	.protected	_ZN7rocprim17ROCPRIM_400000_NS6detail17trampoline_kernelINS0_14default_configENS1_27scan_by_key_config_selectorIj11FixedVectorIiLj1EEEEZZNS1_16scan_by_key_implILNS1_25lookback_scan_determinismE0ELb1ES3_N6thrust23THRUST_200600_302600_NS6detail15normal_iteratorINSB_10device_ptrIjEEEENSD_INSE_IS6_EEEESI_S6_NSB_4plusIvEENSB_8equal_toIvEES6_EE10hipError_tPvRmT2_T3_T4_T5_mT6_T7_P12ihipStream_tbENKUlT_T0_E_clISt17integral_constantIbLb1EES12_IbLb0EEEEDaSY_SZ_EUlSY_E_NS1_11comp_targetILNS1_3genE9ELNS1_11target_archE1100ELNS1_3gpuE3ELNS1_3repE0EEENS1_30default_config_static_selectorELNS0_4arch9wavefront6targetE1EEEvT1_ ; -- Begin function _ZN7rocprim17ROCPRIM_400000_NS6detail17trampoline_kernelINS0_14default_configENS1_27scan_by_key_config_selectorIj11FixedVectorIiLj1EEEEZZNS1_16scan_by_key_implILNS1_25lookback_scan_determinismE0ELb1ES3_N6thrust23THRUST_200600_302600_NS6detail15normal_iteratorINSB_10device_ptrIjEEEENSD_INSE_IS6_EEEESI_S6_NSB_4plusIvEENSB_8equal_toIvEES6_EE10hipError_tPvRmT2_T3_T4_T5_mT6_T7_P12ihipStream_tbENKUlT_T0_E_clISt17integral_constantIbLb1EES12_IbLb0EEEEDaSY_SZ_EUlSY_E_NS1_11comp_targetILNS1_3genE9ELNS1_11target_archE1100ELNS1_3gpuE3ELNS1_3repE0EEENS1_30default_config_static_selectorELNS0_4arch9wavefront6targetE1EEEvT1_
	.globl	_ZN7rocprim17ROCPRIM_400000_NS6detail17trampoline_kernelINS0_14default_configENS1_27scan_by_key_config_selectorIj11FixedVectorIiLj1EEEEZZNS1_16scan_by_key_implILNS1_25lookback_scan_determinismE0ELb1ES3_N6thrust23THRUST_200600_302600_NS6detail15normal_iteratorINSB_10device_ptrIjEEEENSD_INSE_IS6_EEEESI_S6_NSB_4plusIvEENSB_8equal_toIvEES6_EE10hipError_tPvRmT2_T3_T4_T5_mT6_T7_P12ihipStream_tbENKUlT_T0_E_clISt17integral_constantIbLb1EES12_IbLb0EEEEDaSY_SZ_EUlSY_E_NS1_11comp_targetILNS1_3genE9ELNS1_11target_archE1100ELNS1_3gpuE3ELNS1_3repE0EEENS1_30default_config_static_selectorELNS0_4arch9wavefront6targetE1EEEvT1_
	.p2align	8
	.type	_ZN7rocprim17ROCPRIM_400000_NS6detail17trampoline_kernelINS0_14default_configENS1_27scan_by_key_config_selectorIj11FixedVectorIiLj1EEEEZZNS1_16scan_by_key_implILNS1_25lookback_scan_determinismE0ELb1ES3_N6thrust23THRUST_200600_302600_NS6detail15normal_iteratorINSB_10device_ptrIjEEEENSD_INSE_IS6_EEEESI_S6_NSB_4plusIvEENSB_8equal_toIvEES6_EE10hipError_tPvRmT2_T3_T4_T5_mT6_T7_P12ihipStream_tbENKUlT_T0_E_clISt17integral_constantIbLb1EES12_IbLb0EEEEDaSY_SZ_EUlSY_E_NS1_11comp_targetILNS1_3genE9ELNS1_11target_archE1100ELNS1_3gpuE3ELNS1_3repE0EEENS1_30default_config_static_selectorELNS0_4arch9wavefront6targetE1EEEvT1_,@function
_ZN7rocprim17ROCPRIM_400000_NS6detail17trampoline_kernelINS0_14default_configENS1_27scan_by_key_config_selectorIj11FixedVectorIiLj1EEEEZZNS1_16scan_by_key_implILNS1_25lookback_scan_determinismE0ELb1ES3_N6thrust23THRUST_200600_302600_NS6detail15normal_iteratorINSB_10device_ptrIjEEEENSD_INSE_IS6_EEEESI_S6_NSB_4plusIvEENSB_8equal_toIvEES6_EE10hipError_tPvRmT2_T3_T4_T5_mT6_T7_P12ihipStream_tbENKUlT_T0_E_clISt17integral_constantIbLb1EES12_IbLb0EEEEDaSY_SZ_EUlSY_E_NS1_11comp_targetILNS1_3genE9ELNS1_11target_archE1100ELNS1_3gpuE3ELNS1_3repE0EEENS1_30default_config_static_selectorELNS0_4arch9wavefront6targetE1EEEvT1_: ; @_ZN7rocprim17ROCPRIM_400000_NS6detail17trampoline_kernelINS0_14default_configENS1_27scan_by_key_config_selectorIj11FixedVectorIiLj1EEEEZZNS1_16scan_by_key_implILNS1_25lookback_scan_determinismE0ELb1ES3_N6thrust23THRUST_200600_302600_NS6detail15normal_iteratorINSB_10device_ptrIjEEEENSD_INSE_IS6_EEEESI_S6_NSB_4plusIvEENSB_8equal_toIvEES6_EE10hipError_tPvRmT2_T3_T4_T5_mT6_T7_P12ihipStream_tbENKUlT_T0_E_clISt17integral_constantIbLb1EES12_IbLb0EEEEDaSY_SZ_EUlSY_E_NS1_11comp_targetILNS1_3genE9ELNS1_11target_archE1100ELNS1_3gpuE3ELNS1_3repE0EEENS1_30default_config_static_selectorELNS0_4arch9wavefront6targetE1EEEvT1_
; %bb.0:
	.section	.rodata,"a",@progbits
	.p2align	6, 0x0
	.amdhsa_kernel _ZN7rocprim17ROCPRIM_400000_NS6detail17trampoline_kernelINS0_14default_configENS1_27scan_by_key_config_selectorIj11FixedVectorIiLj1EEEEZZNS1_16scan_by_key_implILNS1_25lookback_scan_determinismE0ELb1ES3_N6thrust23THRUST_200600_302600_NS6detail15normal_iteratorINSB_10device_ptrIjEEEENSD_INSE_IS6_EEEESI_S6_NSB_4plusIvEENSB_8equal_toIvEES6_EE10hipError_tPvRmT2_T3_T4_T5_mT6_T7_P12ihipStream_tbENKUlT_T0_E_clISt17integral_constantIbLb1EES12_IbLb0EEEEDaSY_SZ_EUlSY_E_NS1_11comp_targetILNS1_3genE9ELNS1_11target_archE1100ELNS1_3gpuE3ELNS1_3repE0EEENS1_30default_config_static_selectorELNS0_4arch9wavefront6targetE1EEEvT1_
		.amdhsa_group_segment_fixed_size 0
		.amdhsa_private_segment_fixed_size 0
		.amdhsa_kernarg_size 112
		.amdhsa_user_sgpr_count 2
		.amdhsa_user_sgpr_dispatch_ptr 0
		.amdhsa_user_sgpr_queue_ptr 0
		.amdhsa_user_sgpr_kernarg_segment_ptr 1
		.amdhsa_user_sgpr_dispatch_id 0
		.amdhsa_user_sgpr_kernarg_preload_length 0
		.amdhsa_user_sgpr_kernarg_preload_offset 0
		.amdhsa_user_sgpr_private_segment_size 0
		.amdhsa_uses_dynamic_stack 0
		.amdhsa_enable_private_segment 0
		.amdhsa_system_sgpr_workgroup_id_x 1
		.amdhsa_system_sgpr_workgroup_id_y 0
		.amdhsa_system_sgpr_workgroup_id_z 0
		.amdhsa_system_sgpr_workgroup_info 0
		.amdhsa_system_vgpr_workitem_id 0
		.amdhsa_next_free_vgpr 1
		.amdhsa_next_free_sgpr 0
		.amdhsa_accum_offset 4
		.amdhsa_reserve_vcc 0
		.amdhsa_float_round_mode_32 0
		.amdhsa_float_round_mode_16_64 0
		.amdhsa_float_denorm_mode_32 3
		.amdhsa_float_denorm_mode_16_64 3
		.amdhsa_dx10_clamp 1
		.amdhsa_ieee_mode 1
		.amdhsa_fp16_overflow 0
		.amdhsa_tg_split 0
		.amdhsa_exception_fp_ieee_invalid_op 0
		.amdhsa_exception_fp_denorm_src 0
		.amdhsa_exception_fp_ieee_div_zero 0
		.amdhsa_exception_fp_ieee_overflow 0
		.amdhsa_exception_fp_ieee_underflow 0
		.amdhsa_exception_fp_ieee_inexact 0
		.amdhsa_exception_int_div_zero 0
	.end_amdhsa_kernel
	.section	.text._ZN7rocprim17ROCPRIM_400000_NS6detail17trampoline_kernelINS0_14default_configENS1_27scan_by_key_config_selectorIj11FixedVectorIiLj1EEEEZZNS1_16scan_by_key_implILNS1_25lookback_scan_determinismE0ELb1ES3_N6thrust23THRUST_200600_302600_NS6detail15normal_iteratorINSB_10device_ptrIjEEEENSD_INSE_IS6_EEEESI_S6_NSB_4plusIvEENSB_8equal_toIvEES6_EE10hipError_tPvRmT2_T3_T4_T5_mT6_T7_P12ihipStream_tbENKUlT_T0_E_clISt17integral_constantIbLb1EES12_IbLb0EEEEDaSY_SZ_EUlSY_E_NS1_11comp_targetILNS1_3genE9ELNS1_11target_archE1100ELNS1_3gpuE3ELNS1_3repE0EEENS1_30default_config_static_selectorELNS0_4arch9wavefront6targetE1EEEvT1_,"axG",@progbits,_ZN7rocprim17ROCPRIM_400000_NS6detail17trampoline_kernelINS0_14default_configENS1_27scan_by_key_config_selectorIj11FixedVectorIiLj1EEEEZZNS1_16scan_by_key_implILNS1_25lookback_scan_determinismE0ELb1ES3_N6thrust23THRUST_200600_302600_NS6detail15normal_iteratorINSB_10device_ptrIjEEEENSD_INSE_IS6_EEEESI_S6_NSB_4plusIvEENSB_8equal_toIvEES6_EE10hipError_tPvRmT2_T3_T4_T5_mT6_T7_P12ihipStream_tbENKUlT_T0_E_clISt17integral_constantIbLb1EES12_IbLb0EEEEDaSY_SZ_EUlSY_E_NS1_11comp_targetILNS1_3genE9ELNS1_11target_archE1100ELNS1_3gpuE3ELNS1_3repE0EEENS1_30default_config_static_selectorELNS0_4arch9wavefront6targetE1EEEvT1_,comdat
.Lfunc_end1936:
	.size	_ZN7rocprim17ROCPRIM_400000_NS6detail17trampoline_kernelINS0_14default_configENS1_27scan_by_key_config_selectorIj11FixedVectorIiLj1EEEEZZNS1_16scan_by_key_implILNS1_25lookback_scan_determinismE0ELb1ES3_N6thrust23THRUST_200600_302600_NS6detail15normal_iteratorINSB_10device_ptrIjEEEENSD_INSE_IS6_EEEESI_S6_NSB_4plusIvEENSB_8equal_toIvEES6_EE10hipError_tPvRmT2_T3_T4_T5_mT6_T7_P12ihipStream_tbENKUlT_T0_E_clISt17integral_constantIbLb1EES12_IbLb0EEEEDaSY_SZ_EUlSY_E_NS1_11comp_targetILNS1_3genE9ELNS1_11target_archE1100ELNS1_3gpuE3ELNS1_3repE0EEENS1_30default_config_static_selectorELNS0_4arch9wavefront6targetE1EEEvT1_, .Lfunc_end1936-_ZN7rocprim17ROCPRIM_400000_NS6detail17trampoline_kernelINS0_14default_configENS1_27scan_by_key_config_selectorIj11FixedVectorIiLj1EEEEZZNS1_16scan_by_key_implILNS1_25lookback_scan_determinismE0ELb1ES3_N6thrust23THRUST_200600_302600_NS6detail15normal_iteratorINSB_10device_ptrIjEEEENSD_INSE_IS6_EEEESI_S6_NSB_4plusIvEENSB_8equal_toIvEES6_EE10hipError_tPvRmT2_T3_T4_T5_mT6_T7_P12ihipStream_tbENKUlT_T0_E_clISt17integral_constantIbLb1EES12_IbLb0EEEEDaSY_SZ_EUlSY_E_NS1_11comp_targetILNS1_3genE9ELNS1_11target_archE1100ELNS1_3gpuE3ELNS1_3repE0EEENS1_30default_config_static_selectorELNS0_4arch9wavefront6targetE1EEEvT1_
                                        ; -- End function
	.section	.AMDGPU.csdata,"",@progbits
; Kernel info:
; codeLenInByte = 0
; NumSgprs: 6
; NumVgprs: 0
; NumAgprs: 0
; TotalNumVgprs: 0
; ScratchSize: 0
; MemoryBound: 0
; FloatMode: 240
; IeeeMode: 1
; LDSByteSize: 0 bytes/workgroup (compile time only)
; SGPRBlocks: 0
; VGPRBlocks: 0
; NumSGPRsForWavesPerEU: 6
; NumVGPRsForWavesPerEU: 1
; AccumOffset: 4
; Occupancy: 8
; WaveLimiterHint : 0
; COMPUTE_PGM_RSRC2:SCRATCH_EN: 0
; COMPUTE_PGM_RSRC2:USER_SGPR: 2
; COMPUTE_PGM_RSRC2:TRAP_HANDLER: 0
; COMPUTE_PGM_RSRC2:TGID_X_EN: 1
; COMPUTE_PGM_RSRC2:TGID_Y_EN: 0
; COMPUTE_PGM_RSRC2:TGID_Z_EN: 0
; COMPUTE_PGM_RSRC2:TIDIG_COMP_CNT: 0
; COMPUTE_PGM_RSRC3_GFX90A:ACCUM_OFFSET: 0
; COMPUTE_PGM_RSRC3_GFX90A:TG_SPLIT: 0
	.section	.text._ZN7rocprim17ROCPRIM_400000_NS6detail17trampoline_kernelINS0_14default_configENS1_27scan_by_key_config_selectorIj11FixedVectorIiLj1EEEEZZNS1_16scan_by_key_implILNS1_25lookback_scan_determinismE0ELb1ES3_N6thrust23THRUST_200600_302600_NS6detail15normal_iteratorINSB_10device_ptrIjEEEENSD_INSE_IS6_EEEESI_S6_NSB_4plusIvEENSB_8equal_toIvEES6_EE10hipError_tPvRmT2_T3_T4_T5_mT6_T7_P12ihipStream_tbENKUlT_T0_E_clISt17integral_constantIbLb1EES12_IbLb0EEEEDaSY_SZ_EUlSY_E_NS1_11comp_targetILNS1_3genE8ELNS1_11target_archE1030ELNS1_3gpuE2ELNS1_3repE0EEENS1_30default_config_static_selectorELNS0_4arch9wavefront6targetE1EEEvT1_,"axG",@progbits,_ZN7rocprim17ROCPRIM_400000_NS6detail17trampoline_kernelINS0_14default_configENS1_27scan_by_key_config_selectorIj11FixedVectorIiLj1EEEEZZNS1_16scan_by_key_implILNS1_25lookback_scan_determinismE0ELb1ES3_N6thrust23THRUST_200600_302600_NS6detail15normal_iteratorINSB_10device_ptrIjEEEENSD_INSE_IS6_EEEESI_S6_NSB_4plusIvEENSB_8equal_toIvEES6_EE10hipError_tPvRmT2_T3_T4_T5_mT6_T7_P12ihipStream_tbENKUlT_T0_E_clISt17integral_constantIbLb1EES12_IbLb0EEEEDaSY_SZ_EUlSY_E_NS1_11comp_targetILNS1_3genE8ELNS1_11target_archE1030ELNS1_3gpuE2ELNS1_3repE0EEENS1_30default_config_static_selectorELNS0_4arch9wavefront6targetE1EEEvT1_,comdat
	.protected	_ZN7rocprim17ROCPRIM_400000_NS6detail17trampoline_kernelINS0_14default_configENS1_27scan_by_key_config_selectorIj11FixedVectorIiLj1EEEEZZNS1_16scan_by_key_implILNS1_25lookback_scan_determinismE0ELb1ES3_N6thrust23THRUST_200600_302600_NS6detail15normal_iteratorINSB_10device_ptrIjEEEENSD_INSE_IS6_EEEESI_S6_NSB_4plusIvEENSB_8equal_toIvEES6_EE10hipError_tPvRmT2_T3_T4_T5_mT6_T7_P12ihipStream_tbENKUlT_T0_E_clISt17integral_constantIbLb1EES12_IbLb0EEEEDaSY_SZ_EUlSY_E_NS1_11comp_targetILNS1_3genE8ELNS1_11target_archE1030ELNS1_3gpuE2ELNS1_3repE0EEENS1_30default_config_static_selectorELNS0_4arch9wavefront6targetE1EEEvT1_ ; -- Begin function _ZN7rocprim17ROCPRIM_400000_NS6detail17trampoline_kernelINS0_14default_configENS1_27scan_by_key_config_selectorIj11FixedVectorIiLj1EEEEZZNS1_16scan_by_key_implILNS1_25lookback_scan_determinismE0ELb1ES3_N6thrust23THRUST_200600_302600_NS6detail15normal_iteratorINSB_10device_ptrIjEEEENSD_INSE_IS6_EEEESI_S6_NSB_4plusIvEENSB_8equal_toIvEES6_EE10hipError_tPvRmT2_T3_T4_T5_mT6_T7_P12ihipStream_tbENKUlT_T0_E_clISt17integral_constantIbLb1EES12_IbLb0EEEEDaSY_SZ_EUlSY_E_NS1_11comp_targetILNS1_3genE8ELNS1_11target_archE1030ELNS1_3gpuE2ELNS1_3repE0EEENS1_30default_config_static_selectorELNS0_4arch9wavefront6targetE1EEEvT1_
	.globl	_ZN7rocprim17ROCPRIM_400000_NS6detail17trampoline_kernelINS0_14default_configENS1_27scan_by_key_config_selectorIj11FixedVectorIiLj1EEEEZZNS1_16scan_by_key_implILNS1_25lookback_scan_determinismE0ELb1ES3_N6thrust23THRUST_200600_302600_NS6detail15normal_iteratorINSB_10device_ptrIjEEEENSD_INSE_IS6_EEEESI_S6_NSB_4plusIvEENSB_8equal_toIvEES6_EE10hipError_tPvRmT2_T3_T4_T5_mT6_T7_P12ihipStream_tbENKUlT_T0_E_clISt17integral_constantIbLb1EES12_IbLb0EEEEDaSY_SZ_EUlSY_E_NS1_11comp_targetILNS1_3genE8ELNS1_11target_archE1030ELNS1_3gpuE2ELNS1_3repE0EEENS1_30default_config_static_selectorELNS0_4arch9wavefront6targetE1EEEvT1_
	.p2align	8
	.type	_ZN7rocprim17ROCPRIM_400000_NS6detail17trampoline_kernelINS0_14default_configENS1_27scan_by_key_config_selectorIj11FixedVectorIiLj1EEEEZZNS1_16scan_by_key_implILNS1_25lookback_scan_determinismE0ELb1ES3_N6thrust23THRUST_200600_302600_NS6detail15normal_iteratorINSB_10device_ptrIjEEEENSD_INSE_IS6_EEEESI_S6_NSB_4plusIvEENSB_8equal_toIvEES6_EE10hipError_tPvRmT2_T3_T4_T5_mT6_T7_P12ihipStream_tbENKUlT_T0_E_clISt17integral_constantIbLb1EES12_IbLb0EEEEDaSY_SZ_EUlSY_E_NS1_11comp_targetILNS1_3genE8ELNS1_11target_archE1030ELNS1_3gpuE2ELNS1_3repE0EEENS1_30default_config_static_selectorELNS0_4arch9wavefront6targetE1EEEvT1_,@function
_ZN7rocprim17ROCPRIM_400000_NS6detail17trampoline_kernelINS0_14default_configENS1_27scan_by_key_config_selectorIj11FixedVectorIiLj1EEEEZZNS1_16scan_by_key_implILNS1_25lookback_scan_determinismE0ELb1ES3_N6thrust23THRUST_200600_302600_NS6detail15normal_iteratorINSB_10device_ptrIjEEEENSD_INSE_IS6_EEEESI_S6_NSB_4plusIvEENSB_8equal_toIvEES6_EE10hipError_tPvRmT2_T3_T4_T5_mT6_T7_P12ihipStream_tbENKUlT_T0_E_clISt17integral_constantIbLb1EES12_IbLb0EEEEDaSY_SZ_EUlSY_E_NS1_11comp_targetILNS1_3genE8ELNS1_11target_archE1030ELNS1_3gpuE2ELNS1_3repE0EEENS1_30default_config_static_selectorELNS0_4arch9wavefront6targetE1EEEvT1_: ; @_ZN7rocprim17ROCPRIM_400000_NS6detail17trampoline_kernelINS0_14default_configENS1_27scan_by_key_config_selectorIj11FixedVectorIiLj1EEEEZZNS1_16scan_by_key_implILNS1_25lookback_scan_determinismE0ELb1ES3_N6thrust23THRUST_200600_302600_NS6detail15normal_iteratorINSB_10device_ptrIjEEEENSD_INSE_IS6_EEEESI_S6_NSB_4plusIvEENSB_8equal_toIvEES6_EE10hipError_tPvRmT2_T3_T4_T5_mT6_T7_P12ihipStream_tbENKUlT_T0_E_clISt17integral_constantIbLb1EES12_IbLb0EEEEDaSY_SZ_EUlSY_E_NS1_11comp_targetILNS1_3genE8ELNS1_11target_archE1030ELNS1_3gpuE2ELNS1_3repE0EEENS1_30default_config_static_selectorELNS0_4arch9wavefront6targetE1EEEvT1_
; %bb.0:
	.section	.rodata,"a",@progbits
	.p2align	6, 0x0
	.amdhsa_kernel _ZN7rocprim17ROCPRIM_400000_NS6detail17trampoline_kernelINS0_14default_configENS1_27scan_by_key_config_selectorIj11FixedVectorIiLj1EEEEZZNS1_16scan_by_key_implILNS1_25lookback_scan_determinismE0ELb1ES3_N6thrust23THRUST_200600_302600_NS6detail15normal_iteratorINSB_10device_ptrIjEEEENSD_INSE_IS6_EEEESI_S6_NSB_4plusIvEENSB_8equal_toIvEES6_EE10hipError_tPvRmT2_T3_T4_T5_mT6_T7_P12ihipStream_tbENKUlT_T0_E_clISt17integral_constantIbLb1EES12_IbLb0EEEEDaSY_SZ_EUlSY_E_NS1_11comp_targetILNS1_3genE8ELNS1_11target_archE1030ELNS1_3gpuE2ELNS1_3repE0EEENS1_30default_config_static_selectorELNS0_4arch9wavefront6targetE1EEEvT1_
		.amdhsa_group_segment_fixed_size 0
		.amdhsa_private_segment_fixed_size 0
		.amdhsa_kernarg_size 112
		.amdhsa_user_sgpr_count 2
		.amdhsa_user_sgpr_dispatch_ptr 0
		.amdhsa_user_sgpr_queue_ptr 0
		.amdhsa_user_sgpr_kernarg_segment_ptr 1
		.amdhsa_user_sgpr_dispatch_id 0
		.amdhsa_user_sgpr_kernarg_preload_length 0
		.amdhsa_user_sgpr_kernarg_preload_offset 0
		.amdhsa_user_sgpr_private_segment_size 0
		.amdhsa_uses_dynamic_stack 0
		.amdhsa_enable_private_segment 0
		.amdhsa_system_sgpr_workgroup_id_x 1
		.amdhsa_system_sgpr_workgroup_id_y 0
		.amdhsa_system_sgpr_workgroup_id_z 0
		.amdhsa_system_sgpr_workgroup_info 0
		.amdhsa_system_vgpr_workitem_id 0
		.amdhsa_next_free_vgpr 1
		.amdhsa_next_free_sgpr 0
		.amdhsa_accum_offset 4
		.amdhsa_reserve_vcc 0
		.amdhsa_float_round_mode_32 0
		.amdhsa_float_round_mode_16_64 0
		.amdhsa_float_denorm_mode_32 3
		.amdhsa_float_denorm_mode_16_64 3
		.amdhsa_dx10_clamp 1
		.amdhsa_ieee_mode 1
		.amdhsa_fp16_overflow 0
		.amdhsa_tg_split 0
		.amdhsa_exception_fp_ieee_invalid_op 0
		.amdhsa_exception_fp_denorm_src 0
		.amdhsa_exception_fp_ieee_div_zero 0
		.amdhsa_exception_fp_ieee_overflow 0
		.amdhsa_exception_fp_ieee_underflow 0
		.amdhsa_exception_fp_ieee_inexact 0
		.amdhsa_exception_int_div_zero 0
	.end_amdhsa_kernel
	.section	.text._ZN7rocprim17ROCPRIM_400000_NS6detail17trampoline_kernelINS0_14default_configENS1_27scan_by_key_config_selectorIj11FixedVectorIiLj1EEEEZZNS1_16scan_by_key_implILNS1_25lookback_scan_determinismE0ELb1ES3_N6thrust23THRUST_200600_302600_NS6detail15normal_iteratorINSB_10device_ptrIjEEEENSD_INSE_IS6_EEEESI_S6_NSB_4plusIvEENSB_8equal_toIvEES6_EE10hipError_tPvRmT2_T3_T4_T5_mT6_T7_P12ihipStream_tbENKUlT_T0_E_clISt17integral_constantIbLb1EES12_IbLb0EEEEDaSY_SZ_EUlSY_E_NS1_11comp_targetILNS1_3genE8ELNS1_11target_archE1030ELNS1_3gpuE2ELNS1_3repE0EEENS1_30default_config_static_selectorELNS0_4arch9wavefront6targetE1EEEvT1_,"axG",@progbits,_ZN7rocprim17ROCPRIM_400000_NS6detail17trampoline_kernelINS0_14default_configENS1_27scan_by_key_config_selectorIj11FixedVectorIiLj1EEEEZZNS1_16scan_by_key_implILNS1_25lookback_scan_determinismE0ELb1ES3_N6thrust23THRUST_200600_302600_NS6detail15normal_iteratorINSB_10device_ptrIjEEEENSD_INSE_IS6_EEEESI_S6_NSB_4plusIvEENSB_8equal_toIvEES6_EE10hipError_tPvRmT2_T3_T4_T5_mT6_T7_P12ihipStream_tbENKUlT_T0_E_clISt17integral_constantIbLb1EES12_IbLb0EEEEDaSY_SZ_EUlSY_E_NS1_11comp_targetILNS1_3genE8ELNS1_11target_archE1030ELNS1_3gpuE2ELNS1_3repE0EEENS1_30default_config_static_selectorELNS0_4arch9wavefront6targetE1EEEvT1_,comdat
.Lfunc_end1937:
	.size	_ZN7rocprim17ROCPRIM_400000_NS6detail17trampoline_kernelINS0_14default_configENS1_27scan_by_key_config_selectorIj11FixedVectorIiLj1EEEEZZNS1_16scan_by_key_implILNS1_25lookback_scan_determinismE0ELb1ES3_N6thrust23THRUST_200600_302600_NS6detail15normal_iteratorINSB_10device_ptrIjEEEENSD_INSE_IS6_EEEESI_S6_NSB_4plusIvEENSB_8equal_toIvEES6_EE10hipError_tPvRmT2_T3_T4_T5_mT6_T7_P12ihipStream_tbENKUlT_T0_E_clISt17integral_constantIbLb1EES12_IbLb0EEEEDaSY_SZ_EUlSY_E_NS1_11comp_targetILNS1_3genE8ELNS1_11target_archE1030ELNS1_3gpuE2ELNS1_3repE0EEENS1_30default_config_static_selectorELNS0_4arch9wavefront6targetE1EEEvT1_, .Lfunc_end1937-_ZN7rocprim17ROCPRIM_400000_NS6detail17trampoline_kernelINS0_14default_configENS1_27scan_by_key_config_selectorIj11FixedVectorIiLj1EEEEZZNS1_16scan_by_key_implILNS1_25lookback_scan_determinismE0ELb1ES3_N6thrust23THRUST_200600_302600_NS6detail15normal_iteratorINSB_10device_ptrIjEEEENSD_INSE_IS6_EEEESI_S6_NSB_4plusIvEENSB_8equal_toIvEES6_EE10hipError_tPvRmT2_T3_T4_T5_mT6_T7_P12ihipStream_tbENKUlT_T0_E_clISt17integral_constantIbLb1EES12_IbLb0EEEEDaSY_SZ_EUlSY_E_NS1_11comp_targetILNS1_3genE8ELNS1_11target_archE1030ELNS1_3gpuE2ELNS1_3repE0EEENS1_30default_config_static_selectorELNS0_4arch9wavefront6targetE1EEEvT1_
                                        ; -- End function
	.section	.AMDGPU.csdata,"",@progbits
; Kernel info:
; codeLenInByte = 0
; NumSgprs: 6
; NumVgprs: 0
; NumAgprs: 0
; TotalNumVgprs: 0
; ScratchSize: 0
; MemoryBound: 0
; FloatMode: 240
; IeeeMode: 1
; LDSByteSize: 0 bytes/workgroup (compile time only)
; SGPRBlocks: 0
; VGPRBlocks: 0
; NumSGPRsForWavesPerEU: 6
; NumVGPRsForWavesPerEU: 1
; AccumOffset: 4
; Occupancy: 8
; WaveLimiterHint : 0
; COMPUTE_PGM_RSRC2:SCRATCH_EN: 0
; COMPUTE_PGM_RSRC2:USER_SGPR: 2
; COMPUTE_PGM_RSRC2:TRAP_HANDLER: 0
; COMPUTE_PGM_RSRC2:TGID_X_EN: 1
; COMPUTE_PGM_RSRC2:TGID_Y_EN: 0
; COMPUTE_PGM_RSRC2:TGID_Z_EN: 0
; COMPUTE_PGM_RSRC2:TIDIG_COMP_CNT: 0
; COMPUTE_PGM_RSRC3_GFX90A:ACCUM_OFFSET: 0
; COMPUTE_PGM_RSRC3_GFX90A:TG_SPLIT: 0
	.section	.text._ZN7rocprim17ROCPRIM_400000_NS6detail17trampoline_kernelINS0_14default_configENS1_27scan_by_key_config_selectorIj11FixedVectorIiLj1EEEEZZNS1_16scan_by_key_implILNS1_25lookback_scan_determinismE0ELb1ES3_N6thrust23THRUST_200600_302600_NS6detail15normal_iteratorINSB_10device_ptrIjEEEENSD_INSE_IS6_EEEESI_S6_NSB_4plusIvEENSB_8equal_toIvEES6_EE10hipError_tPvRmT2_T3_T4_T5_mT6_T7_P12ihipStream_tbENKUlT_T0_E_clISt17integral_constantIbLb0EES12_IbLb1EEEEDaSY_SZ_EUlSY_E_NS1_11comp_targetILNS1_3genE0ELNS1_11target_archE4294967295ELNS1_3gpuE0ELNS1_3repE0EEENS1_30default_config_static_selectorELNS0_4arch9wavefront6targetE1EEEvT1_,"axG",@progbits,_ZN7rocprim17ROCPRIM_400000_NS6detail17trampoline_kernelINS0_14default_configENS1_27scan_by_key_config_selectorIj11FixedVectorIiLj1EEEEZZNS1_16scan_by_key_implILNS1_25lookback_scan_determinismE0ELb1ES3_N6thrust23THRUST_200600_302600_NS6detail15normal_iteratorINSB_10device_ptrIjEEEENSD_INSE_IS6_EEEESI_S6_NSB_4plusIvEENSB_8equal_toIvEES6_EE10hipError_tPvRmT2_T3_T4_T5_mT6_T7_P12ihipStream_tbENKUlT_T0_E_clISt17integral_constantIbLb0EES12_IbLb1EEEEDaSY_SZ_EUlSY_E_NS1_11comp_targetILNS1_3genE0ELNS1_11target_archE4294967295ELNS1_3gpuE0ELNS1_3repE0EEENS1_30default_config_static_selectorELNS0_4arch9wavefront6targetE1EEEvT1_,comdat
	.protected	_ZN7rocprim17ROCPRIM_400000_NS6detail17trampoline_kernelINS0_14default_configENS1_27scan_by_key_config_selectorIj11FixedVectorIiLj1EEEEZZNS1_16scan_by_key_implILNS1_25lookback_scan_determinismE0ELb1ES3_N6thrust23THRUST_200600_302600_NS6detail15normal_iteratorINSB_10device_ptrIjEEEENSD_INSE_IS6_EEEESI_S6_NSB_4plusIvEENSB_8equal_toIvEES6_EE10hipError_tPvRmT2_T3_T4_T5_mT6_T7_P12ihipStream_tbENKUlT_T0_E_clISt17integral_constantIbLb0EES12_IbLb1EEEEDaSY_SZ_EUlSY_E_NS1_11comp_targetILNS1_3genE0ELNS1_11target_archE4294967295ELNS1_3gpuE0ELNS1_3repE0EEENS1_30default_config_static_selectorELNS0_4arch9wavefront6targetE1EEEvT1_ ; -- Begin function _ZN7rocprim17ROCPRIM_400000_NS6detail17trampoline_kernelINS0_14default_configENS1_27scan_by_key_config_selectorIj11FixedVectorIiLj1EEEEZZNS1_16scan_by_key_implILNS1_25lookback_scan_determinismE0ELb1ES3_N6thrust23THRUST_200600_302600_NS6detail15normal_iteratorINSB_10device_ptrIjEEEENSD_INSE_IS6_EEEESI_S6_NSB_4plusIvEENSB_8equal_toIvEES6_EE10hipError_tPvRmT2_T3_T4_T5_mT6_T7_P12ihipStream_tbENKUlT_T0_E_clISt17integral_constantIbLb0EES12_IbLb1EEEEDaSY_SZ_EUlSY_E_NS1_11comp_targetILNS1_3genE0ELNS1_11target_archE4294967295ELNS1_3gpuE0ELNS1_3repE0EEENS1_30default_config_static_selectorELNS0_4arch9wavefront6targetE1EEEvT1_
	.globl	_ZN7rocprim17ROCPRIM_400000_NS6detail17trampoline_kernelINS0_14default_configENS1_27scan_by_key_config_selectorIj11FixedVectorIiLj1EEEEZZNS1_16scan_by_key_implILNS1_25lookback_scan_determinismE0ELb1ES3_N6thrust23THRUST_200600_302600_NS6detail15normal_iteratorINSB_10device_ptrIjEEEENSD_INSE_IS6_EEEESI_S6_NSB_4plusIvEENSB_8equal_toIvEES6_EE10hipError_tPvRmT2_T3_T4_T5_mT6_T7_P12ihipStream_tbENKUlT_T0_E_clISt17integral_constantIbLb0EES12_IbLb1EEEEDaSY_SZ_EUlSY_E_NS1_11comp_targetILNS1_3genE0ELNS1_11target_archE4294967295ELNS1_3gpuE0ELNS1_3repE0EEENS1_30default_config_static_selectorELNS0_4arch9wavefront6targetE1EEEvT1_
	.p2align	8
	.type	_ZN7rocprim17ROCPRIM_400000_NS6detail17trampoline_kernelINS0_14default_configENS1_27scan_by_key_config_selectorIj11FixedVectorIiLj1EEEEZZNS1_16scan_by_key_implILNS1_25lookback_scan_determinismE0ELb1ES3_N6thrust23THRUST_200600_302600_NS6detail15normal_iteratorINSB_10device_ptrIjEEEENSD_INSE_IS6_EEEESI_S6_NSB_4plusIvEENSB_8equal_toIvEES6_EE10hipError_tPvRmT2_T3_T4_T5_mT6_T7_P12ihipStream_tbENKUlT_T0_E_clISt17integral_constantIbLb0EES12_IbLb1EEEEDaSY_SZ_EUlSY_E_NS1_11comp_targetILNS1_3genE0ELNS1_11target_archE4294967295ELNS1_3gpuE0ELNS1_3repE0EEENS1_30default_config_static_selectorELNS0_4arch9wavefront6targetE1EEEvT1_,@function
_ZN7rocprim17ROCPRIM_400000_NS6detail17trampoline_kernelINS0_14default_configENS1_27scan_by_key_config_selectorIj11FixedVectorIiLj1EEEEZZNS1_16scan_by_key_implILNS1_25lookback_scan_determinismE0ELb1ES3_N6thrust23THRUST_200600_302600_NS6detail15normal_iteratorINSB_10device_ptrIjEEEENSD_INSE_IS6_EEEESI_S6_NSB_4plusIvEENSB_8equal_toIvEES6_EE10hipError_tPvRmT2_T3_T4_T5_mT6_T7_P12ihipStream_tbENKUlT_T0_E_clISt17integral_constantIbLb0EES12_IbLb1EEEEDaSY_SZ_EUlSY_E_NS1_11comp_targetILNS1_3genE0ELNS1_11target_archE4294967295ELNS1_3gpuE0ELNS1_3repE0EEENS1_30default_config_static_selectorELNS0_4arch9wavefront6targetE1EEEvT1_: ; @_ZN7rocprim17ROCPRIM_400000_NS6detail17trampoline_kernelINS0_14default_configENS1_27scan_by_key_config_selectorIj11FixedVectorIiLj1EEEEZZNS1_16scan_by_key_implILNS1_25lookback_scan_determinismE0ELb1ES3_N6thrust23THRUST_200600_302600_NS6detail15normal_iteratorINSB_10device_ptrIjEEEENSD_INSE_IS6_EEEESI_S6_NSB_4plusIvEENSB_8equal_toIvEES6_EE10hipError_tPvRmT2_T3_T4_T5_mT6_T7_P12ihipStream_tbENKUlT_T0_E_clISt17integral_constantIbLb0EES12_IbLb1EEEEDaSY_SZ_EUlSY_E_NS1_11comp_targetILNS1_3genE0ELNS1_11target_archE4294967295ELNS1_3gpuE0ELNS1_3repE0EEENS1_30default_config_static_selectorELNS0_4arch9wavefront6targetE1EEEvT1_
; %bb.0:
	.section	.rodata,"a",@progbits
	.p2align	6, 0x0
	.amdhsa_kernel _ZN7rocprim17ROCPRIM_400000_NS6detail17trampoline_kernelINS0_14default_configENS1_27scan_by_key_config_selectorIj11FixedVectorIiLj1EEEEZZNS1_16scan_by_key_implILNS1_25lookback_scan_determinismE0ELb1ES3_N6thrust23THRUST_200600_302600_NS6detail15normal_iteratorINSB_10device_ptrIjEEEENSD_INSE_IS6_EEEESI_S6_NSB_4plusIvEENSB_8equal_toIvEES6_EE10hipError_tPvRmT2_T3_T4_T5_mT6_T7_P12ihipStream_tbENKUlT_T0_E_clISt17integral_constantIbLb0EES12_IbLb1EEEEDaSY_SZ_EUlSY_E_NS1_11comp_targetILNS1_3genE0ELNS1_11target_archE4294967295ELNS1_3gpuE0ELNS1_3repE0EEENS1_30default_config_static_selectorELNS0_4arch9wavefront6targetE1EEEvT1_
		.amdhsa_group_segment_fixed_size 0
		.amdhsa_private_segment_fixed_size 0
		.amdhsa_kernarg_size 112
		.amdhsa_user_sgpr_count 2
		.amdhsa_user_sgpr_dispatch_ptr 0
		.amdhsa_user_sgpr_queue_ptr 0
		.amdhsa_user_sgpr_kernarg_segment_ptr 1
		.amdhsa_user_sgpr_dispatch_id 0
		.amdhsa_user_sgpr_kernarg_preload_length 0
		.amdhsa_user_sgpr_kernarg_preload_offset 0
		.amdhsa_user_sgpr_private_segment_size 0
		.amdhsa_uses_dynamic_stack 0
		.amdhsa_enable_private_segment 0
		.amdhsa_system_sgpr_workgroup_id_x 1
		.amdhsa_system_sgpr_workgroup_id_y 0
		.amdhsa_system_sgpr_workgroup_id_z 0
		.amdhsa_system_sgpr_workgroup_info 0
		.amdhsa_system_vgpr_workitem_id 0
		.amdhsa_next_free_vgpr 1
		.amdhsa_next_free_sgpr 0
		.amdhsa_accum_offset 4
		.amdhsa_reserve_vcc 0
		.amdhsa_float_round_mode_32 0
		.amdhsa_float_round_mode_16_64 0
		.amdhsa_float_denorm_mode_32 3
		.amdhsa_float_denorm_mode_16_64 3
		.amdhsa_dx10_clamp 1
		.amdhsa_ieee_mode 1
		.amdhsa_fp16_overflow 0
		.amdhsa_tg_split 0
		.amdhsa_exception_fp_ieee_invalid_op 0
		.amdhsa_exception_fp_denorm_src 0
		.amdhsa_exception_fp_ieee_div_zero 0
		.amdhsa_exception_fp_ieee_overflow 0
		.amdhsa_exception_fp_ieee_underflow 0
		.amdhsa_exception_fp_ieee_inexact 0
		.amdhsa_exception_int_div_zero 0
	.end_amdhsa_kernel
	.section	.text._ZN7rocprim17ROCPRIM_400000_NS6detail17trampoline_kernelINS0_14default_configENS1_27scan_by_key_config_selectorIj11FixedVectorIiLj1EEEEZZNS1_16scan_by_key_implILNS1_25lookback_scan_determinismE0ELb1ES3_N6thrust23THRUST_200600_302600_NS6detail15normal_iteratorINSB_10device_ptrIjEEEENSD_INSE_IS6_EEEESI_S6_NSB_4plusIvEENSB_8equal_toIvEES6_EE10hipError_tPvRmT2_T3_T4_T5_mT6_T7_P12ihipStream_tbENKUlT_T0_E_clISt17integral_constantIbLb0EES12_IbLb1EEEEDaSY_SZ_EUlSY_E_NS1_11comp_targetILNS1_3genE0ELNS1_11target_archE4294967295ELNS1_3gpuE0ELNS1_3repE0EEENS1_30default_config_static_selectorELNS0_4arch9wavefront6targetE1EEEvT1_,"axG",@progbits,_ZN7rocprim17ROCPRIM_400000_NS6detail17trampoline_kernelINS0_14default_configENS1_27scan_by_key_config_selectorIj11FixedVectorIiLj1EEEEZZNS1_16scan_by_key_implILNS1_25lookback_scan_determinismE0ELb1ES3_N6thrust23THRUST_200600_302600_NS6detail15normal_iteratorINSB_10device_ptrIjEEEENSD_INSE_IS6_EEEESI_S6_NSB_4plusIvEENSB_8equal_toIvEES6_EE10hipError_tPvRmT2_T3_T4_T5_mT6_T7_P12ihipStream_tbENKUlT_T0_E_clISt17integral_constantIbLb0EES12_IbLb1EEEEDaSY_SZ_EUlSY_E_NS1_11comp_targetILNS1_3genE0ELNS1_11target_archE4294967295ELNS1_3gpuE0ELNS1_3repE0EEENS1_30default_config_static_selectorELNS0_4arch9wavefront6targetE1EEEvT1_,comdat
.Lfunc_end1938:
	.size	_ZN7rocprim17ROCPRIM_400000_NS6detail17trampoline_kernelINS0_14default_configENS1_27scan_by_key_config_selectorIj11FixedVectorIiLj1EEEEZZNS1_16scan_by_key_implILNS1_25lookback_scan_determinismE0ELb1ES3_N6thrust23THRUST_200600_302600_NS6detail15normal_iteratorINSB_10device_ptrIjEEEENSD_INSE_IS6_EEEESI_S6_NSB_4plusIvEENSB_8equal_toIvEES6_EE10hipError_tPvRmT2_T3_T4_T5_mT6_T7_P12ihipStream_tbENKUlT_T0_E_clISt17integral_constantIbLb0EES12_IbLb1EEEEDaSY_SZ_EUlSY_E_NS1_11comp_targetILNS1_3genE0ELNS1_11target_archE4294967295ELNS1_3gpuE0ELNS1_3repE0EEENS1_30default_config_static_selectorELNS0_4arch9wavefront6targetE1EEEvT1_, .Lfunc_end1938-_ZN7rocprim17ROCPRIM_400000_NS6detail17trampoline_kernelINS0_14default_configENS1_27scan_by_key_config_selectorIj11FixedVectorIiLj1EEEEZZNS1_16scan_by_key_implILNS1_25lookback_scan_determinismE0ELb1ES3_N6thrust23THRUST_200600_302600_NS6detail15normal_iteratorINSB_10device_ptrIjEEEENSD_INSE_IS6_EEEESI_S6_NSB_4plusIvEENSB_8equal_toIvEES6_EE10hipError_tPvRmT2_T3_T4_T5_mT6_T7_P12ihipStream_tbENKUlT_T0_E_clISt17integral_constantIbLb0EES12_IbLb1EEEEDaSY_SZ_EUlSY_E_NS1_11comp_targetILNS1_3genE0ELNS1_11target_archE4294967295ELNS1_3gpuE0ELNS1_3repE0EEENS1_30default_config_static_selectorELNS0_4arch9wavefront6targetE1EEEvT1_
                                        ; -- End function
	.section	.AMDGPU.csdata,"",@progbits
; Kernel info:
; codeLenInByte = 0
; NumSgprs: 6
; NumVgprs: 0
; NumAgprs: 0
; TotalNumVgprs: 0
; ScratchSize: 0
; MemoryBound: 0
; FloatMode: 240
; IeeeMode: 1
; LDSByteSize: 0 bytes/workgroup (compile time only)
; SGPRBlocks: 0
; VGPRBlocks: 0
; NumSGPRsForWavesPerEU: 6
; NumVGPRsForWavesPerEU: 1
; AccumOffset: 4
; Occupancy: 8
; WaveLimiterHint : 0
; COMPUTE_PGM_RSRC2:SCRATCH_EN: 0
; COMPUTE_PGM_RSRC2:USER_SGPR: 2
; COMPUTE_PGM_RSRC2:TRAP_HANDLER: 0
; COMPUTE_PGM_RSRC2:TGID_X_EN: 1
; COMPUTE_PGM_RSRC2:TGID_Y_EN: 0
; COMPUTE_PGM_RSRC2:TGID_Z_EN: 0
; COMPUTE_PGM_RSRC2:TIDIG_COMP_CNT: 0
; COMPUTE_PGM_RSRC3_GFX90A:ACCUM_OFFSET: 0
; COMPUTE_PGM_RSRC3_GFX90A:TG_SPLIT: 0
	.section	.text._ZN7rocprim17ROCPRIM_400000_NS6detail17trampoline_kernelINS0_14default_configENS1_27scan_by_key_config_selectorIj11FixedVectorIiLj1EEEEZZNS1_16scan_by_key_implILNS1_25lookback_scan_determinismE0ELb1ES3_N6thrust23THRUST_200600_302600_NS6detail15normal_iteratorINSB_10device_ptrIjEEEENSD_INSE_IS6_EEEESI_S6_NSB_4plusIvEENSB_8equal_toIvEES6_EE10hipError_tPvRmT2_T3_T4_T5_mT6_T7_P12ihipStream_tbENKUlT_T0_E_clISt17integral_constantIbLb0EES12_IbLb1EEEEDaSY_SZ_EUlSY_E_NS1_11comp_targetILNS1_3genE10ELNS1_11target_archE1201ELNS1_3gpuE5ELNS1_3repE0EEENS1_30default_config_static_selectorELNS0_4arch9wavefront6targetE1EEEvT1_,"axG",@progbits,_ZN7rocprim17ROCPRIM_400000_NS6detail17trampoline_kernelINS0_14default_configENS1_27scan_by_key_config_selectorIj11FixedVectorIiLj1EEEEZZNS1_16scan_by_key_implILNS1_25lookback_scan_determinismE0ELb1ES3_N6thrust23THRUST_200600_302600_NS6detail15normal_iteratorINSB_10device_ptrIjEEEENSD_INSE_IS6_EEEESI_S6_NSB_4plusIvEENSB_8equal_toIvEES6_EE10hipError_tPvRmT2_T3_T4_T5_mT6_T7_P12ihipStream_tbENKUlT_T0_E_clISt17integral_constantIbLb0EES12_IbLb1EEEEDaSY_SZ_EUlSY_E_NS1_11comp_targetILNS1_3genE10ELNS1_11target_archE1201ELNS1_3gpuE5ELNS1_3repE0EEENS1_30default_config_static_selectorELNS0_4arch9wavefront6targetE1EEEvT1_,comdat
	.protected	_ZN7rocprim17ROCPRIM_400000_NS6detail17trampoline_kernelINS0_14default_configENS1_27scan_by_key_config_selectorIj11FixedVectorIiLj1EEEEZZNS1_16scan_by_key_implILNS1_25lookback_scan_determinismE0ELb1ES3_N6thrust23THRUST_200600_302600_NS6detail15normal_iteratorINSB_10device_ptrIjEEEENSD_INSE_IS6_EEEESI_S6_NSB_4plusIvEENSB_8equal_toIvEES6_EE10hipError_tPvRmT2_T3_T4_T5_mT6_T7_P12ihipStream_tbENKUlT_T0_E_clISt17integral_constantIbLb0EES12_IbLb1EEEEDaSY_SZ_EUlSY_E_NS1_11comp_targetILNS1_3genE10ELNS1_11target_archE1201ELNS1_3gpuE5ELNS1_3repE0EEENS1_30default_config_static_selectorELNS0_4arch9wavefront6targetE1EEEvT1_ ; -- Begin function _ZN7rocprim17ROCPRIM_400000_NS6detail17trampoline_kernelINS0_14default_configENS1_27scan_by_key_config_selectorIj11FixedVectorIiLj1EEEEZZNS1_16scan_by_key_implILNS1_25lookback_scan_determinismE0ELb1ES3_N6thrust23THRUST_200600_302600_NS6detail15normal_iteratorINSB_10device_ptrIjEEEENSD_INSE_IS6_EEEESI_S6_NSB_4plusIvEENSB_8equal_toIvEES6_EE10hipError_tPvRmT2_T3_T4_T5_mT6_T7_P12ihipStream_tbENKUlT_T0_E_clISt17integral_constantIbLb0EES12_IbLb1EEEEDaSY_SZ_EUlSY_E_NS1_11comp_targetILNS1_3genE10ELNS1_11target_archE1201ELNS1_3gpuE5ELNS1_3repE0EEENS1_30default_config_static_selectorELNS0_4arch9wavefront6targetE1EEEvT1_
	.globl	_ZN7rocprim17ROCPRIM_400000_NS6detail17trampoline_kernelINS0_14default_configENS1_27scan_by_key_config_selectorIj11FixedVectorIiLj1EEEEZZNS1_16scan_by_key_implILNS1_25lookback_scan_determinismE0ELb1ES3_N6thrust23THRUST_200600_302600_NS6detail15normal_iteratorINSB_10device_ptrIjEEEENSD_INSE_IS6_EEEESI_S6_NSB_4plusIvEENSB_8equal_toIvEES6_EE10hipError_tPvRmT2_T3_T4_T5_mT6_T7_P12ihipStream_tbENKUlT_T0_E_clISt17integral_constantIbLb0EES12_IbLb1EEEEDaSY_SZ_EUlSY_E_NS1_11comp_targetILNS1_3genE10ELNS1_11target_archE1201ELNS1_3gpuE5ELNS1_3repE0EEENS1_30default_config_static_selectorELNS0_4arch9wavefront6targetE1EEEvT1_
	.p2align	8
	.type	_ZN7rocprim17ROCPRIM_400000_NS6detail17trampoline_kernelINS0_14default_configENS1_27scan_by_key_config_selectorIj11FixedVectorIiLj1EEEEZZNS1_16scan_by_key_implILNS1_25lookback_scan_determinismE0ELb1ES3_N6thrust23THRUST_200600_302600_NS6detail15normal_iteratorINSB_10device_ptrIjEEEENSD_INSE_IS6_EEEESI_S6_NSB_4plusIvEENSB_8equal_toIvEES6_EE10hipError_tPvRmT2_T3_T4_T5_mT6_T7_P12ihipStream_tbENKUlT_T0_E_clISt17integral_constantIbLb0EES12_IbLb1EEEEDaSY_SZ_EUlSY_E_NS1_11comp_targetILNS1_3genE10ELNS1_11target_archE1201ELNS1_3gpuE5ELNS1_3repE0EEENS1_30default_config_static_selectorELNS0_4arch9wavefront6targetE1EEEvT1_,@function
_ZN7rocprim17ROCPRIM_400000_NS6detail17trampoline_kernelINS0_14default_configENS1_27scan_by_key_config_selectorIj11FixedVectorIiLj1EEEEZZNS1_16scan_by_key_implILNS1_25lookback_scan_determinismE0ELb1ES3_N6thrust23THRUST_200600_302600_NS6detail15normal_iteratorINSB_10device_ptrIjEEEENSD_INSE_IS6_EEEESI_S6_NSB_4plusIvEENSB_8equal_toIvEES6_EE10hipError_tPvRmT2_T3_T4_T5_mT6_T7_P12ihipStream_tbENKUlT_T0_E_clISt17integral_constantIbLb0EES12_IbLb1EEEEDaSY_SZ_EUlSY_E_NS1_11comp_targetILNS1_3genE10ELNS1_11target_archE1201ELNS1_3gpuE5ELNS1_3repE0EEENS1_30default_config_static_selectorELNS0_4arch9wavefront6targetE1EEEvT1_: ; @_ZN7rocprim17ROCPRIM_400000_NS6detail17trampoline_kernelINS0_14default_configENS1_27scan_by_key_config_selectorIj11FixedVectorIiLj1EEEEZZNS1_16scan_by_key_implILNS1_25lookback_scan_determinismE0ELb1ES3_N6thrust23THRUST_200600_302600_NS6detail15normal_iteratorINSB_10device_ptrIjEEEENSD_INSE_IS6_EEEESI_S6_NSB_4plusIvEENSB_8equal_toIvEES6_EE10hipError_tPvRmT2_T3_T4_T5_mT6_T7_P12ihipStream_tbENKUlT_T0_E_clISt17integral_constantIbLb0EES12_IbLb1EEEEDaSY_SZ_EUlSY_E_NS1_11comp_targetILNS1_3genE10ELNS1_11target_archE1201ELNS1_3gpuE5ELNS1_3repE0EEENS1_30default_config_static_selectorELNS0_4arch9wavefront6targetE1EEEvT1_
; %bb.0:
	.section	.rodata,"a",@progbits
	.p2align	6, 0x0
	.amdhsa_kernel _ZN7rocprim17ROCPRIM_400000_NS6detail17trampoline_kernelINS0_14default_configENS1_27scan_by_key_config_selectorIj11FixedVectorIiLj1EEEEZZNS1_16scan_by_key_implILNS1_25lookback_scan_determinismE0ELb1ES3_N6thrust23THRUST_200600_302600_NS6detail15normal_iteratorINSB_10device_ptrIjEEEENSD_INSE_IS6_EEEESI_S6_NSB_4plusIvEENSB_8equal_toIvEES6_EE10hipError_tPvRmT2_T3_T4_T5_mT6_T7_P12ihipStream_tbENKUlT_T0_E_clISt17integral_constantIbLb0EES12_IbLb1EEEEDaSY_SZ_EUlSY_E_NS1_11comp_targetILNS1_3genE10ELNS1_11target_archE1201ELNS1_3gpuE5ELNS1_3repE0EEENS1_30default_config_static_selectorELNS0_4arch9wavefront6targetE1EEEvT1_
		.amdhsa_group_segment_fixed_size 0
		.amdhsa_private_segment_fixed_size 0
		.amdhsa_kernarg_size 112
		.amdhsa_user_sgpr_count 2
		.amdhsa_user_sgpr_dispatch_ptr 0
		.amdhsa_user_sgpr_queue_ptr 0
		.amdhsa_user_sgpr_kernarg_segment_ptr 1
		.amdhsa_user_sgpr_dispatch_id 0
		.amdhsa_user_sgpr_kernarg_preload_length 0
		.amdhsa_user_sgpr_kernarg_preload_offset 0
		.amdhsa_user_sgpr_private_segment_size 0
		.amdhsa_uses_dynamic_stack 0
		.amdhsa_enable_private_segment 0
		.amdhsa_system_sgpr_workgroup_id_x 1
		.amdhsa_system_sgpr_workgroup_id_y 0
		.amdhsa_system_sgpr_workgroup_id_z 0
		.amdhsa_system_sgpr_workgroup_info 0
		.amdhsa_system_vgpr_workitem_id 0
		.amdhsa_next_free_vgpr 1
		.amdhsa_next_free_sgpr 0
		.amdhsa_accum_offset 4
		.amdhsa_reserve_vcc 0
		.amdhsa_float_round_mode_32 0
		.amdhsa_float_round_mode_16_64 0
		.amdhsa_float_denorm_mode_32 3
		.amdhsa_float_denorm_mode_16_64 3
		.amdhsa_dx10_clamp 1
		.amdhsa_ieee_mode 1
		.amdhsa_fp16_overflow 0
		.amdhsa_tg_split 0
		.amdhsa_exception_fp_ieee_invalid_op 0
		.amdhsa_exception_fp_denorm_src 0
		.amdhsa_exception_fp_ieee_div_zero 0
		.amdhsa_exception_fp_ieee_overflow 0
		.amdhsa_exception_fp_ieee_underflow 0
		.amdhsa_exception_fp_ieee_inexact 0
		.amdhsa_exception_int_div_zero 0
	.end_amdhsa_kernel
	.section	.text._ZN7rocprim17ROCPRIM_400000_NS6detail17trampoline_kernelINS0_14default_configENS1_27scan_by_key_config_selectorIj11FixedVectorIiLj1EEEEZZNS1_16scan_by_key_implILNS1_25lookback_scan_determinismE0ELb1ES3_N6thrust23THRUST_200600_302600_NS6detail15normal_iteratorINSB_10device_ptrIjEEEENSD_INSE_IS6_EEEESI_S6_NSB_4plusIvEENSB_8equal_toIvEES6_EE10hipError_tPvRmT2_T3_T4_T5_mT6_T7_P12ihipStream_tbENKUlT_T0_E_clISt17integral_constantIbLb0EES12_IbLb1EEEEDaSY_SZ_EUlSY_E_NS1_11comp_targetILNS1_3genE10ELNS1_11target_archE1201ELNS1_3gpuE5ELNS1_3repE0EEENS1_30default_config_static_selectorELNS0_4arch9wavefront6targetE1EEEvT1_,"axG",@progbits,_ZN7rocprim17ROCPRIM_400000_NS6detail17trampoline_kernelINS0_14default_configENS1_27scan_by_key_config_selectorIj11FixedVectorIiLj1EEEEZZNS1_16scan_by_key_implILNS1_25lookback_scan_determinismE0ELb1ES3_N6thrust23THRUST_200600_302600_NS6detail15normal_iteratorINSB_10device_ptrIjEEEENSD_INSE_IS6_EEEESI_S6_NSB_4plusIvEENSB_8equal_toIvEES6_EE10hipError_tPvRmT2_T3_T4_T5_mT6_T7_P12ihipStream_tbENKUlT_T0_E_clISt17integral_constantIbLb0EES12_IbLb1EEEEDaSY_SZ_EUlSY_E_NS1_11comp_targetILNS1_3genE10ELNS1_11target_archE1201ELNS1_3gpuE5ELNS1_3repE0EEENS1_30default_config_static_selectorELNS0_4arch9wavefront6targetE1EEEvT1_,comdat
.Lfunc_end1939:
	.size	_ZN7rocprim17ROCPRIM_400000_NS6detail17trampoline_kernelINS0_14default_configENS1_27scan_by_key_config_selectorIj11FixedVectorIiLj1EEEEZZNS1_16scan_by_key_implILNS1_25lookback_scan_determinismE0ELb1ES3_N6thrust23THRUST_200600_302600_NS6detail15normal_iteratorINSB_10device_ptrIjEEEENSD_INSE_IS6_EEEESI_S6_NSB_4plusIvEENSB_8equal_toIvEES6_EE10hipError_tPvRmT2_T3_T4_T5_mT6_T7_P12ihipStream_tbENKUlT_T0_E_clISt17integral_constantIbLb0EES12_IbLb1EEEEDaSY_SZ_EUlSY_E_NS1_11comp_targetILNS1_3genE10ELNS1_11target_archE1201ELNS1_3gpuE5ELNS1_3repE0EEENS1_30default_config_static_selectorELNS0_4arch9wavefront6targetE1EEEvT1_, .Lfunc_end1939-_ZN7rocprim17ROCPRIM_400000_NS6detail17trampoline_kernelINS0_14default_configENS1_27scan_by_key_config_selectorIj11FixedVectorIiLj1EEEEZZNS1_16scan_by_key_implILNS1_25lookback_scan_determinismE0ELb1ES3_N6thrust23THRUST_200600_302600_NS6detail15normal_iteratorINSB_10device_ptrIjEEEENSD_INSE_IS6_EEEESI_S6_NSB_4plusIvEENSB_8equal_toIvEES6_EE10hipError_tPvRmT2_T3_T4_T5_mT6_T7_P12ihipStream_tbENKUlT_T0_E_clISt17integral_constantIbLb0EES12_IbLb1EEEEDaSY_SZ_EUlSY_E_NS1_11comp_targetILNS1_3genE10ELNS1_11target_archE1201ELNS1_3gpuE5ELNS1_3repE0EEENS1_30default_config_static_selectorELNS0_4arch9wavefront6targetE1EEEvT1_
                                        ; -- End function
	.section	.AMDGPU.csdata,"",@progbits
; Kernel info:
; codeLenInByte = 0
; NumSgprs: 6
; NumVgprs: 0
; NumAgprs: 0
; TotalNumVgprs: 0
; ScratchSize: 0
; MemoryBound: 0
; FloatMode: 240
; IeeeMode: 1
; LDSByteSize: 0 bytes/workgroup (compile time only)
; SGPRBlocks: 0
; VGPRBlocks: 0
; NumSGPRsForWavesPerEU: 6
; NumVGPRsForWavesPerEU: 1
; AccumOffset: 4
; Occupancy: 8
; WaveLimiterHint : 0
; COMPUTE_PGM_RSRC2:SCRATCH_EN: 0
; COMPUTE_PGM_RSRC2:USER_SGPR: 2
; COMPUTE_PGM_RSRC2:TRAP_HANDLER: 0
; COMPUTE_PGM_RSRC2:TGID_X_EN: 1
; COMPUTE_PGM_RSRC2:TGID_Y_EN: 0
; COMPUTE_PGM_RSRC2:TGID_Z_EN: 0
; COMPUTE_PGM_RSRC2:TIDIG_COMP_CNT: 0
; COMPUTE_PGM_RSRC3_GFX90A:ACCUM_OFFSET: 0
; COMPUTE_PGM_RSRC3_GFX90A:TG_SPLIT: 0
	.section	.text._ZN7rocprim17ROCPRIM_400000_NS6detail17trampoline_kernelINS0_14default_configENS1_27scan_by_key_config_selectorIj11FixedVectorIiLj1EEEEZZNS1_16scan_by_key_implILNS1_25lookback_scan_determinismE0ELb1ES3_N6thrust23THRUST_200600_302600_NS6detail15normal_iteratorINSB_10device_ptrIjEEEENSD_INSE_IS6_EEEESI_S6_NSB_4plusIvEENSB_8equal_toIvEES6_EE10hipError_tPvRmT2_T3_T4_T5_mT6_T7_P12ihipStream_tbENKUlT_T0_E_clISt17integral_constantIbLb0EES12_IbLb1EEEEDaSY_SZ_EUlSY_E_NS1_11comp_targetILNS1_3genE5ELNS1_11target_archE942ELNS1_3gpuE9ELNS1_3repE0EEENS1_30default_config_static_selectorELNS0_4arch9wavefront6targetE1EEEvT1_,"axG",@progbits,_ZN7rocprim17ROCPRIM_400000_NS6detail17trampoline_kernelINS0_14default_configENS1_27scan_by_key_config_selectorIj11FixedVectorIiLj1EEEEZZNS1_16scan_by_key_implILNS1_25lookback_scan_determinismE0ELb1ES3_N6thrust23THRUST_200600_302600_NS6detail15normal_iteratorINSB_10device_ptrIjEEEENSD_INSE_IS6_EEEESI_S6_NSB_4plusIvEENSB_8equal_toIvEES6_EE10hipError_tPvRmT2_T3_T4_T5_mT6_T7_P12ihipStream_tbENKUlT_T0_E_clISt17integral_constantIbLb0EES12_IbLb1EEEEDaSY_SZ_EUlSY_E_NS1_11comp_targetILNS1_3genE5ELNS1_11target_archE942ELNS1_3gpuE9ELNS1_3repE0EEENS1_30default_config_static_selectorELNS0_4arch9wavefront6targetE1EEEvT1_,comdat
	.protected	_ZN7rocprim17ROCPRIM_400000_NS6detail17trampoline_kernelINS0_14default_configENS1_27scan_by_key_config_selectorIj11FixedVectorIiLj1EEEEZZNS1_16scan_by_key_implILNS1_25lookback_scan_determinismE0ELb1ES3_N6thrust23THRUST_200600_302600_NS6detail15normal_iteratorINSB_10device_ptrIjEEEENSD_INSE_IS6_EEEESI_S6_NSB_4plusIvEENSB_8equal_toIvEES6_EE10hipError_tPvRmT2_T3_T4_T5_mT6_T7_P12ihipStream_tbENKUlT_T0_E_clISt17integral_constantIbLb0EES12_IbLb1EEEEDaSY_SZ_EUlSY_E_NS1_11comp_targetILNS1_3genE5ELNS1_11target_archE942ELNS1_3gpuE9ELNS1_3repE0EEENS1_30default_config_static_selectorELNS0_4arch9wavefront6targetE1EEEvT1_ ; -- Begin function _ZN7rocprim17ROCPRIM_400000_NS6detail17trampoline_kernelINS0_14default_configENS1_27scan_by_key_config_selectorIj11FixedVectorIiLj1EEEEZZNS1_16scan_by_key_implILNS1_25lookback_scan_determinismE0ELb1ES3_N6thrust23THRUST_200600_302600_NS6detail15normal_iteratorINSB_10device_ptrIjEEEENSD_INSE_IS6_EEEESI_S6_NSB_4plusIvEENSB_8equal_toIvEES6_EE10hipError_tPvRmT2_T3_T4_T5_mT6_T7_P12ihipStream_tbENKUlT_T0_E_clISt17integral_constantIbLb0EES12_IbLb1EEEEDaSY_SZ_EUlSY_E_NS1_11comp_targetILNS1_3genE5ELNS1_11target_archE942ELNS1_3gpuE9ELNS1_3repE0EEENS1_30default_config_static_selectorELNS0_4arch9wavefront6targetE1EEEvT1_
	.globl	_ZN7rocprim17ROCPRIM_400000_NS6detail17trampoline_kernelINS0_14default_configENS1_27scan_by_key_config_selectorIj11FixedVectorIiLj1EEEEZZNS1_16scan_by_key_implILNS1_25lookback_scan_determinismE0ELb1ES3_N6thrust23THRUST_200600_302600_NS6detail15normal_iteratorINSB_10device_ptrIjEEEENSD_INSE_IS6_EEEESI_S6_NSB_4plusIvEENSB_8equal_toIvEES6_EE10hipError_tPvRmT2_T3_T4_T5_mT6_T7_P12ihipStream_tbENKUlT_T0_E_clISt17integral_constantIbLb0EES12_IbLb1EEEEDaSY_SZ_EUlSY_E_NS1_11comp_targetILNS1_3genE5ELNS1_11target_archE942ELNS1_3gpuE9ELNS1_3repE0EEENS1_30default_config_static_selectorELNS0_4arch9wavefront6targetE1EEEvT1_
	.p2align	8
	.type	_ZN7rocprim17ROCPRIM_400000_NS6detail17trampoline_kernelINS0_14default_configENS1_27scan_by_key_config_selectorIj11FixedVectorIiLj1EEEEZZNS1_16scan_by_key_implILNS1_25lookback_scan_determinismE0ELb1ES3_N6thrust23THRUST_200600_302600_NS6detail15normal_iteratorINSB_10device_ptrIjEEEENSD_INSE_IS6_EEEESI_S6_NSB_4plusIvEENSB_8equal_toIvEES6_EE10hipError_tPvRmT2_T3_T4_T5_mT6_T7_P12ihipStream_tbENKUlT_T0_E_clISt17integral_constantIbLb0EES12_IbLb1EEEEDaSY_SZ_EUlSY_E_NS1_11comp_targetILNS1_3genE5ELNS1_11target_archE942ELNS1_3gpuE9ELNS1_3repE0EEENS1_30default_config_static_selectorELNS0_4arch9wavefront6targetE1EEEvT1_,@function
_ZN7rocprim17ROCPRIM_400000_NS6detail17trampoline_kernelINS0_14default_configENS1_27scan_by_key_config_selectorIj11FixedVectorIiLj1EEEEZZNS1_16scan_by_key_implILNS1_25lookback_scan_determinismE0ELb1ES3_N6thrust23THRUST_200600_302600_NS6detail15normal_iteratorINSB_10device_ptrIjEEEENSD_INSE_IS6_EEEESI_S6_NSB_4plusIvEENSB_8equal_toIvEES6_EE10hipError_tPvRmT2_T3_T4_T5_mT6_T7_P12ihipStream_tbENKUlT_T0_E_clISt17integral_constantIbLb0EES12_IbLb1EEEEDaSY_SZ_EUlSY_E_NS1_11comp_targetILNS1_3genE5ELNS1_11target_archE942ELNS1_3gpuE9ELNS1_3repE0EEENS1_30default_config_static_selectorELNS0_4arch9wavefront6targetE1EEEvT1_: ; @_ZN7rocprim17ROCPRIM_400000_NS6detail17trampoline_kernelINS0_14default_configENS1_27scan_by_key_config_selectorIj11FixedVectorIiLj1EEEEZZNS1_16scan_by_key_implILNS1_25lookback_scan_determinismE0ELb1ES3_N6thrust23THRUST_200600_302600_NS6detail15normal_iteratorINSB_10device_ptrIjEEEENSD_INSE_IS6_EEEESI_S6_NSB_4plusIvEENSB_8equal_toIvEES6_EE10hipError_tPvRmT2_T3_T4_T5_mT6_T7_P12ihipStream_tbENKUlT_T0_E_clISt17integral_constantIbLb0EES12_IbLb1EEEEDaSY_SZ_EUlSY_E_NS1_11comp_targetILNS1_3genE5ELNS1_11target_archE942ELNS1_3gpuE9ELNS1_3repE0EEENS1_30default_config_static_selectorELNS0_4arch9wavefront6targetE1EEEvT1_
; %bb.0:
	s_load_dword s74, s[0:1], 0x20
	s_load_dwordx4 s[64:67], s[0:1], 0x28
	s_load_dwordx2 s[72:73], s[0:1], 0x38
	v_cmp_ne_u32_e64 s[4:5], 0, v0
	v_cmp_eq_u32_e64 s[52:53], 0, v0
	s_and_saveexec_b64 s[2:3], s[52:53]
	s_cbranch_execz .LBB1940_4
; %bb.1:
	s_mov_b64 s[8:9], exec
	v_mbcnt_lo_u32_b32 v1, s8, 0
	v_mbcnt_hi_u32_b32 v1, s9, v1
	v_cmp_eq_u32_e32 vcc, 0, v1
                                        ; implicit-def: $vgpr2
	s_and_saveexec_b64 s[6:7], vcc
	s_cbranch_execz .LBB1940_3
; %bb.2:
	s_load_dwordx2 s[10:11], s[0:1], 0x68
	s_bcnt1_i32_b64 s8, s[8:9]
	v_mov_b32_e32 v2, 0
	v_mov_b32_e32 v3, s8
	s_waitcnt lgkmcnt(0)
	global_atomic_add v2, v2, v3, s[10:11] sc0
.LBB1940_3:
	s_or_b64 exec, exec, s[6:7]
	s_waitcnt vmcnt(0)
	v_readfirstlane_b32 s6, v2
	v_mov_b32_e32 v2, 0
	s_nop 0
	v_add_u32_e32 v1, s6, v1
	ds_write_b32 v2, v1
.LBB1940_4:
	s_or_b64 exec, exec, s[2:3]
	s_load_dwordx8 s[56:63], s[0:1], 0x0
	s_load_dword s2, s[0:1], 0x40
	s_load_dwordx4 s[68:71], s[0:1], 0x48
	v_mov_b32_e32 v7, 0
	s_waitcnt lgkmcnt(0)
	s_lshl_b64 s[54:55], s[58:59], 2
	s_barrier
	ds_read_b32 v6, v7
	s_add_u32 s0, s56, s54
	s_addc_u32 s1, s57, s55
	s_add_u32 s6, s60, s54
	s_mul_i32 s3, s73, s2
	s_mul_hi_u32 s8, s72, s2
	s_addc_u32 s7, s61, s55
	s_add_i32 s3, s8, s3
	s_movk_i32 s8, 0x1700
	s_waitcnt lgkmcnt(0)
	v_mul_lo_u32 v2, v6, s8
	v_mov_b32_e32 v3, v7
	v_lshlrev_b64 v[10:11], 2, v[2:3]
	s_mul_i32 s2, s72, s2
	v_lshl_add_u64 v[2:3], s[6:7], 0, v[10:11]
	s_add_u32 s6, s68, -1
	v_readfirstlane_b32 s67, v6
	v_lshl_add_u64 v[6:7], s[2:3], 0, v[6:7]
	s_addc_u32 s7, s69, -1
	v_cmp_le_u64_e64 s[2:3], s[6:7], v[6:7]
	v_lshl_add_u64 v[4:5], s[0:1], 0, v[10:11]
	s_mov_b64 s[0:1], -1
	s_and_b64 vcc, exec, s[2:3]
	s_mul_i32 s33, s6, 0xffffe900
	s_barrier
	s_barrier
	s_cbranch_vccz .LBB1940_146
; %bb.5:
	flat_load_dword v1, v[4:5]
	s_add_i32 s60, s33, s66
	v_cmp_gt_u32_e32 vcc, s60, v0
	s_waitcnt vmcnt(0) lgkmcnt(0)
	v_mov_b32_e32 v8, v1
	s_and_saveexec_b64 s[0:1], vcc
	s_cbranch_execz .LBB1940_7
; %bb.6:
	v_lshlrev_b32_e32 v6, 2, v0
	v_mov_b32_e32 v7, 0
	v_lshl_add_u64 v[6:7], v[4:5], 0, v[6:7]
	flat_load_dword v8, v[6:7]
.LBB1940_7:
	s_or_b64 exec, exec, s[0:1]
	v_or_b32_e32 v6, 0x100, v0
	v_cmp_gt_u32_e64 s[6:7], s60, v6
	v_mov_b32_e32 v9, v1
	s_and_saveexec_b64 s[0:1], s[6:7]
	s_cbranch_execz .LBB1940_9
; %bb.8:
	v_lshlrev_b32_e32 v6, 2, v0
	v_mov_b32_e32 v7, 0
	v_lshl_add_u64 v[6:7], v[4:5], 0, v[6:7]
	flat_load_dword v9, v[6:7] offset:1024
.LBB1940_9:
	s_or_b64 exec, exec, s[0:1]
	v_or_b32_e32 v6, 0x200, v0
	v_cmp_gt_u32_e64 s[8:9], s60, v6
	v_mov_b32_e32 v49, v1
	s_and_saveexec_b64 s[0:1], s[8:9]
	s_cbranch_execz .LBB1940_11
; %bb.10:
	v_lshlrev_b32_e32 v6, 2, v0
	v_mov_b32_e32 v7, 0
	v_lshl_add_u64 v[6:7], v[4:5], 0, v[6:7]
	flat_load_dword v49, v[6:7] offset:2048
.LBB1940_11:
	;; [unrolled: 12-line block ×3, first 2 shown]
	s_or_b64 exec, exec, s[0:1]
	v_or_b32_e32 v6, 0x400, v0
	v_cmp_gt_u32_e64 s[12:13], s60, v6
	v_lshlrev_b32_e32 v6, 2, v6
	v_mov_b32_e32 v7, v1
	s_and_saveexec_b64 s[0:1], s[12:13]
	s_cbranch_execz .LBB1940_15
; %bb.14:
	v_mov_b32_e32 v7, 0
	v_lshl_add_u64 v[12:13], v[4:5], 0, v[6:7]
	flat_load_dword v7, v[12:13]
.LBB1940_15:
	s_or_b64 exec, exec, s[0:1]
	v_or_b32_e32 v12, 0x500, v0
	v_cmp_gt_u32_e64 s[14:15], s60, v12
	v_lshlrev_b32_e32 v12, 2, v12
	v_mov_b32_e32 v13, v1
	s_and_saveexec_b64 s[0:1], s[14:15]
	s_cbranch_execz .LBB1940_17
; %bb.16:
	v_mov_b32_e32 v13, 0
	v_lshl_add_u64 v[14:15], v[4:5], 0, v[12:13]
	flat_load_dword v13, v[14:15]
.LBB1940_17:
	;; [unrolled: 12-line block ×18, first 2 shown]
	s_or_b64 exec, exec, s[0:1]
	v_or_b32_e32 v46, 0x1600, v0
	v_cmp_gt_u32_e64 s[50:51], s60, v46
	v_lshlrev_b32_e32 v46, 2, v46
	s_and_saveexec_b64 s[0:1], s[50:51]
	s_cbranch_execz .LBB1940_51
; %bb.50:
	v_mov_b32_e32 v47, 0
	v_lshl_add_u64 v[52:53], v[4:5], 0, v[46:47]
	flat_load_dword v1, v[52:53]
.LBB1940_51:
	s_or_b64 exec, exec, s[0:1]
	v_lshlrev_b32_e32 v48, 2, v0
	s_waitcnt vmcnt(0) lgkmcnt(0)
	ds_write2st64_b32 v48, v8, v9 offset1:4
	ds_write2st64_b32 v48, v49, v50 offset0:8 offset1:12
	ds_write2st64_b32 v48, v7, v13 offset0:16 offset1:20
	;; [unrolled: 1-line block ×10, first 2 shown]
	ds_write_b32 v48, v1 offset:22528
	s_waitcnt lgkmcnt(0)
	s_barrier
	flat_load_dword v1, v[4:5]
	s_movk_i32 s0, 0x58
	v_mad_u32_u24 v76, v0, s0, v48
	s_movk_i32 s0, 0xffa8
	v_mad_i32_i24 v7, v0, s0, v76
	s_movk_i32 s0, 0xff
	v_cmp_ne_u32_e64 s[0:1], s0, v0
	ds_read_b32 v78, v76
	ds_read2_b32 v[74:75], v76 offset0:1 offset1:2
	ds_read2_b32 v[72:73], v76 offset0:3 offset1:4
	;; [unrolled: 1-line block ×11, first 2 shown]
	s_waitcnt lgkmcnt(0)
	ds_write_b32 v7, v78 offset:24576
	s_waitcnt lgkmcnt(0)
	s_barrier
	s_and_saveexec_b64 s[56:57], s[0:1]
	s_cbranch_execz .LBB1940_53
; %bb.52:
	s_waitcnt vmcnt(0)
	ds_read_b32 v1, v48 offset:24580
.LBB1940_53:
	s_or_b64 exec, exec, s[56:57]
	v_mov_b32_e32 v50, 0
	v_mov_b32_e32 v51, 0
	s_waitcnt lgkmcnt(0)
	s_barrier
	s_and_saveexec_b64 s[0:1], vcc
	s_cbranch_execz .LBB1940_55
; %bb.54:
	v_mov_b32_e32 v49, 0
	v_lshl_add_u64 v[52:53], v[2:3], 0, v[48:49]
	flat_load_dword v51, v[52:53]
.LBB1940_55:
	s_or_b64 exec, exec, s[0:1]
	s_and_saveexec_b64 s[0:1], s[6:7]
	s_cbranch_execz .LBB1940_57
; %bb.56:
	v_mov_b32_e32 v49, 0
	v_lshl_add_u64 v[52:53], v[2:3], 0, v[48:49]
	flat_load_dword v50, v[52:53] offset:1024
.LBB1940_57:
	s_or_b64 exec, exec, s[0:1]
	v_mov_b32_e32 v52, 0
	v_mov_b32_e32 v53, 0
	s_and_saveexec_b64 s[0:1], s[8:9]
	s_cbranch_execz .LBB1940_59
; %bb.58:
	v_mov_b32_e32 v49, 0
	v_lshl_add_u64 v[54:55], v[2:3], 0, v[48:49]
	flat_load_dword v53, v[54:55] offset:2048
.LBB1940_59:
	s_or_b64 exec, exec, s[0:1]
	s_and_saveexec_b64 s[0:1], s[10:11]
	s_cbranch_execz .LBB1940_61
; %bb.60:
	v_mov_b32_e32 v49, 0
	v_lshl_add_u64 v[54:55], v[2:3], 0, v[48:49]
	flat_load_dword v52, v[54:55] offset:3072
.LBB1940_61:
	s_or_b64 exec, exec, s[0:1]
	v_mov_b32_e32 v13, 0
	v_mov_b32_e32 v7, 0
	s_and_saveexec_b64 s[0:1], s[12:13]
	s_cbranch_execz .LBB1940_63
; %bb.62:
	v_mov_b32_e32 v7, 0
	v_lshl_add_u64 v[6:7], v[2:3], 0, v[6:7]
	flat_load_dword v7, v[6:7]
.LBB1940_63:
	s_or_b64 exec, exec, s[0:1]
	s_and_saveexec_b64 s[0:1], s[14:15]
	s_cbranch_execz .LBB1940_65
; %bb.64:
	v_mov_b32_e32 v13, 0
	v_lshl_add_u64 v[12:13], v[2:3], 0, v[12:13]
	flat_load_dword v13, v[12:13]
.LBB1940_65:
	s_or_b64 exec, exec, s[0:1]
	v_mov_b32_e32 v6, 0
	v_mov_b32_e32 v12, 0
	s_and_saveexec_b64 s[0:1], s[16:17]
	s_cbranch_execz .LBB1940_67
; %bb.66:
	v_mov_b32_e32 v15, 0
	v_lshl_add_u64 v[14:15], v[2:3], 0, v[14:15]
	flat_load_dword v12, v[14:15]
.LBB1940_67:
	s_or_b64 exec, exec, s[0:1]
	s_and_saveexec_b64 s[0:1], s[18:19]
	s_cbranch_execz .LBB1940_69
; %bb.68:
	v_mov_b32_e32 v17, 0
	v_lshl_add_u64 v[14:15], v[2:3], 0, v[16:17]
	flat_load_dword v6, v[14:15]
.LBB1940_69:
	s_or_b64 exec, exec, s[0:1]
	v_mov_b32_e32 v14, 0
	v_mov_b32_e32 v15, 0
	s_and_saveexec_b64 s[0:1], s[20:21]
	s_cbranch_execz .LBB1940_71
; %bb.70:
	v_mov_b32_e32 v19, 0
	v_lshl_add_u64 v[16:17], v[2:3], 0, v[18:19]
	flat_load_dword v15, v[16:17]
.LBB1940_71:
	s_or_b64 exec, exec, s[0:1]
	s_and_saveexec_b64 s[0:1], s[22:23]
	s_cbranch_execz .LBB1940_73
; %bb.72:
	v_mov_b32_e32 v21, 0
	v_lshl_add_u64 v[16:17], v[2:3], 0, v[20:21]
	flat_load_dword v14, v[16:17]
.LBB1940_73:
	s_or_b64 exec, exec, s[0:1]
	v_mov_b32_e32 v16, 0
	v_mov_b32_e32 v17, 0
	s_and_saveexec_b64 s[0:1], s[24:25]
	s_cbranch_execz .LBB1940_75
; %bb.74:
	v_mov_b32_e32 v23, 0
	v_lshl_add_u64 v[18:19], v[2:3], 0, v[22:23]
	flat_load_dword v17, v[18:19]
.LBB1940_75:
	s_or_b64 exec, exec, s[0:1]
	s_and_saveexec_b64 s[0:1], s[26:27]
	s_cbranch_execz .LBB1940_77
; %bb.76:
	v_mov_b32_e32 v25, 0
	v_lshl_add_u64 v[18:19], v[2:3], 0, v[24:25]
	flat_load_dword v16, v[18:19]
.LBB1940_77:
	s_or_b64 exec, exec, s[0:1]
	v_mov_b32_e32 v18, 0
	v_mov_b32_e32 v19, 0
	s_and_saveexec_b64 s[0:1], s[28:29]
	s_cbranch_execz .LBB1940_79
; %bb.78:
	v_mov_b32_e32 v27, 0
	v_lshl_add_u64 v[20:21], v[2:3], 0, v[26:27]
	flat_load_dword v19, v[20:21]
.LBB1940_79:
	s_or_b64 exec, exec, s[0:1]
	s_and_saveexec_b64 s[0:1], s[30:31]
	s_cbranch_execz .LBB1940_81
; %bb.80:
	v_mov_b32_e32 v29, 0
	v_lshl_add_u64 v[20:21], v[2:3], 0, v[28:29]
	flat_load_dword v18, v[20:21]
.LBB1940_81:
	s_or_b64 exec, exec, s[0:1]
	v_mov_b32_e32 v20, 0
	v_mov_b32_e32 v21, 0
	s_and_saveexec_b64 s[0:1], s[34:35]
	s_cbranch_execz .LBB1940_83
; %bb.82:
	v_mov_b32_e32 v31, 0
	v_lshl_add_u64 v[22:23], v[2:3], 0, v[30:31]
	flat_load_dword v21, v[22:23]
.LBB1940_83:
	s_or_b64 exec, exec, s[0:1]
	s_and_saveexec_b64 s[0:1], s[36:37]
	s_cbranch_execz .LBB1940_85
; %bb.84:
	v_mov_b32_e32 v33, 0
	v_lshl_add_u64 v[22:23], v[2:3], 0, v[32:33]
	flat_load_dword v20, v[22:23]
.LBB1940_85:
	s_or_b64 exec, exec, s[0:1]
	v_mov_b32_e32 v22, 0
	v_mov_b32_e32 v23, 0
	s_and_saveexec_b64 s[0:1], s[38:39]
	s_cbranch_execz .LBB1940_87
; %bb.86:
	v_mov_b32_e32 v35, 0
	v_lshl_add_u64 v[24:25], v[2:3], 0, v[34:35]
	flat_load_dword v23, v[24:25]
.LBB1940_87:
	s_or_b64 exec, exec, s[0:1]
	s_and_saveexec_b64 s[0:1], s[40:41]
	s_cbranch_execz .LBB1940_89
; %bb.88:
	v_mov_b32_e32 v37, 0
	v_lshl_add_u64 v[24:25], v[2:3], 0, v[36:37]
	flat_load_dword v22, v[24:25]
.LBB1940_89:
	s_or_b64 exec, exec, s[0:1]
	v_mov_b32_e32 v24, 0
	v_mov_b32_e32 v25, 0
	s_and_saveexec_b64 s[0:1], s[42:43]
	s_cbranch_execz .LBB1940_91
; %bb.90:
	v_mov_b32_e32 v39, 0
	v_lshl_add_u64 v[26:27], v[2:3], 0, v[38:39]
	flat_load_dword v25, v[26:27]
.LBB1940_91:
	s_or_b64 exec, exec, s[0:1]
	s_and_saveexec_b64 s[0:1], s[44:45]
	s_cbranch_execz .LBB1940_93
; %bb.92:
	v_mov_b32_e32 v41, 0
	v_lshl_add_u64 v[26:27], v[2:3], 0, v[40:41]
	flat_load_dword v24, v[26:27]
.LBB1940_93:
	s_or_b64 exec, exec, s[0:1]
	v_mov_b32_e32 v26, 0
	v_mov_b32_e32 v27, 0
	s_and_saveexec_b64 s[0:1], s[46:47]
	s_cbranch_execz .LBB1940_95
; %bb.94:
	v_mov_b32_e32 v43, 0
	v_lshl_add_u64 v[28:29], v[2:3], 0, v[42:43]
	flat_load_dword v27, v[28:29]
.LBB1940_95:
	s_or_b64 exec, exec, s[0:1]
	s_and_saveexec_b64 s[0:1], s[48:49]
	s_cbranch_execz .LBB1940_97
; %bb.96:
	v_mov_b32_e32 v45, 0
	v_lshl_add_u64 v[28:29], v[2:3], 0, v[44:45]
	flat_load_dword v26, v[28:29]
.LBB1940_97:
	s_or_b64 exec, exec, s[0:1]
	v_mul_u32_u24_e32 v77, 23, v0
	v_mov_b32_e32 v28, 0
	s_and_saveexec_b64 s[0:1], s[50:51]
	s_cbranch_execz .LBB1940_99
; %bb.98:
	v_mov_b32_e32 v47, 0
	v_lshl_add_u64 v[28:29], v[2:3], 0, v[46:47]
	flat_load_dword v28, v[28:29]
.LBB1940_99:
	s_or_b64 exec, exec, s[0:1]
	s_waitcnt vmcnt(0) lgkmcnt(0)
	ds_write2st64_b32 v48, v51, v50 offset1:4
	ds_write2st64_b32 v48, v53, v52 offset0:8 offset1:12
	ds_write2st64_b32 v48, v7, v13 offset0:16 offset1:20
	;; [unrolled: 1-line block ×10, first 2 shown]
	ds_write_b32 v48, v28 offset:22528
	v_mov_b64_e32 v[12:13], 0
	v_cmp_gt_u32_e32 vcc, s60, v77
	s_mov_b64 s[10:11], 0
	s_mov_b64 s[0:1], 0
	v_mov_b64_e32 v[14:15], v[12:13]
	v_mov_b64_e32 v[16:17], v[12:13]
	v_mov_b64_e32 v[18:19], v[12:13]
	v_mov_b64_e32 v[20:21], v[12:13]
	v_mov_b64_e32 v[22:23], v[12:13]
	v_mov_b64_e32 v[24:25], v[12:13]
	v_mov_b64_e32 v[26:27], v[12:13]
	v_mov_b64_e32 v[28:29], v[12:13]
	v_mov_b64_e32 v[30:31], v[12:13]
	v_mov_b64_e32 v[32:33], v[12:13]
	v_mov_b64_e32 v[34:35], v[12:13]
	v_mov_b64_e32 v[36:37], v[12:13]
	v_mov_b64_e32 v[38:39], v[12:13]
	v_mov_b64_e32 v[40:41], v[12:13]
	v_mov_b64_e32 v[42:43], v[12:13]
	v_mov_b64_e32 v[44:45], v[12:13]
	v_mov_b64_e32 v[46:47], v[12:13]
	v_mov_b64_e32 v[48:49], v[12:13]
	v_mov_b64_e32 v[50:51], v[12:13]
	v_mov_b64_e32 v[52:53], v[12:13]
	v_mov_b64_e32 v[54:55], v[12:13]
	s_waitcnt lgkmcnt(0)
	s_barrier
	s_waitcnt lgkmcnt(0)
                                        ; implicit-def: $sgpr8_sgpr9
                                        ; implicit-def: $vgpr6
	s_and_saveexec_b64 s[6:7], vcc
	s_cbranch_execz .LBB1940_145
; %bb.100:
	ds_read_b32 v6, v76
	v_mov_b32_e32 v12, s74
	v_cmp_eq_u32_e32 vcc, v78, v74
	v_add_u32_e32 v7, 1, v77
	v_mov_b64_e32 v[14:15], 0
	s_waitcnt lgkmcnt(0)
	v_cndmask_b32_e32 v12, v12, v6, vcc
	v_cmp_ne_u32_e32 vcc, v78, v74
	s_mov_b64 s[12:13], 0
	v_mov_b64_e32 v[16:17], v[14:15]
	v_cndmask_b32_e64 v13, 0, 1, vcc
	v_cmp_gt_u32_e32 vcc, s60, v7
	v_mov_b64_e32 v[18:19], v[14:15]
	v_mov_b64_e32 v[20:21], v[14:15]
	;; [unrolled: 1-line block ×19, first 2 shown]
                                        ; implicit-def: $sgpr14_sgpr15
                                        ; implicit-def: $vgpr6
	s_and_saveexec_b64 s[8:9], vcc
	s_cbranch_execz .LBB1940_144
; %bb.101:
	ds_read2_b32 v[6:7], v76 offset0:1 offset1:2
	v_mov_b32_e32 v14, s74
	v_cmp_eq_u32_e32 vcc, v74, v75
	v_add_u32_e32 v16, 2, v77
	s_mov_b64 s[14:15], 0
	s_waitcnt lgkmcnt(0)
	v_cndmask_b32_e32 v14, v14, v6, vcc
	v_cmp_ne_u32_e32 vcc, v74, v75
                                        ; implicit-def: $sgpr16_sgpr17
                                        ; implicit-def: $vgpr6
	s_nop 1
	v_cndmask_b32_e64 v15, 0, 1, vcc
	v_cmp_gt_u32_e32 vcc, s60, v16
	v_mov_b64_e32 v[16:17], 0
	v_mov_b64_e32 v[18:19], v[16:17]
	;; [unrolled: 1-line block ×20, first 2 shown]
	s_and_saveexec_b64 s[10:11], vcc
	s_cbranch_execz .LBB1940_143
; %bb.102:
	v_mov_b32_e32 v16, s74
	v_cmp_eq_u32_e32 vcc, v75, v72
	v_add_u32_e32 v6, 3, v77
	v_mov_b64_e32 v[18:19], 0
	v_cndmask_b32_e32 v16, v16, v7, vcc
	v_cmp_ne_u32_e32 vcc, v75, v72
	s_mov_b64 s[16:17], 0
	v_mov_b64_e32 v[20:21], v[18:19]
	v_cndmask_b32_e64 v17, 0, 1, vcc
	v_cmp_gt_u32_e32 vcc, s60, v6
	v_mov_b64_e32 v[22:23], v[18:19]
	v_mov_b64_e32 v[24:25], v[18:19]
	;; [unrolled: 1-line block ×17, first 2 shown]
                                        ; implicit-def: $sgpr18_sgpr19
                                        ; implicit-def: $vgpr6
	s_and_saveexec_b64 s[12:13], vcc
	s_cbranch_execz .LBB1940_142
; %bb.103:
	ds_read2_b32 v[6:7], v76 offset0:3 offset1:4
	v_mov_b32_e32 v18, s74
	v_cmp_eq_u32_e32 vcc, v72, v73
	v_add_u32_e32 v20, 4, v77
	s_mov_b64 s[18:19], 0
	s_waitcnt lgkmcnt(0)
	v_cndmask_b32_e32 v18, v18, v6, vcc
	v_cmp_ne_u32_e32 vcc, v72, v73
                                        ; implicit-def: $sgpr20_sgpr21
                                        ; implicit-def: $vgpr6
	s_nop 1
	v_cndmask_b32_e64 v19, 0, 1, vcc
	v_cmp_gt_u32_e32 vcc, s60, v20
	v_mov_b64_e32 v[20:21], 0
	v_mov_b64_e32 v[22:23], v[20:21]
	;; [unrolled: 1-line block ×18, first 2 shown]
	s_and_saveexec_b64 s[14:15], vcc
	s_cbranch_execz .LBB1940_141
; %bb.104:
	v_mov_b32_e32 v20, s74
	v_cmp_eq_u32_e32 vcc, v73, v70
	v_add_u32_e32 v6, 5, v77
	v_mov_b64_e32 v[22:23], 0
	v_cndmask_b32_e32 v20, v20, v7, vcc
	v_cmp_ne_u32_e32 vcc, v73, v70
	s_mov_b64 s[20:21], 0
	v_mov_b64_e32 v[24:25], v[22:23]
	v_cndmask_b32_e64 v21, 0, 1, vcc
	v_cmp_gt_u32_e32 vcc, s60, v6
	v_mov_b64_e32 v[26:27], v[22:23]
	v_mov_b64_e32 v[28:29], v[22:23]
	;; [unrolled: 1-line block ×15, first 2 shown]
                                        ; implicit-def: $sgpr22_sgpr23
                                        ; implicit-def: $vgpr6
	s_and_saveexec_b64 s[16:17], vcc
	s_cbranch_execz .LBB1940_140
; %bb.105:
	ds_read2_b32 v[6:7], v76 offset0:5 offset1:6
	v_mov_b32_e32 v22, s74
	v_cmp_eq_u32_e32 vcc, v70, v71
	v_add_u32_e32 v24, 6, v77
	s_mov_b64 s[22:23], 0
	s_waitcnt lgkmcnt(0)
	v_cndmask_b32_e32 v22, v22, v6, vcc
	v_cmp_ne_u32_e32 vcc, v70, v71
                                        ; implicit-def: $sgpr24_sgpr25
                                        ; implicit-def: $vgpr6
	s_nop 1
	v_cndmask_b32_e64 v23, 0, 1, vcc
	v_cmp_gt_u32_e32 vcc, s60, v24
	v_mov_b64_e32 v[24:25], 0
	v_mov_b64_e32 v[26:27], v[24:25]
	;; [unrolled: 1-line block ×16, first 2 shown]
	s_and_saveexec_b64 s[18:19], vcc
	s_cbranch_execz .LBB1940_139
; %bb.106:
	v_mov_b32_e32 v24, s74
	v_cmp_eq_u32_e32 vcc, v71, v68
	v_add_u32_e32 v6, 7, v77
	v_mov_b64_e32 v[26:27], 0
	v_cndmask_b32_e32 v24, v24, v7, vcc
	v_cmp_ne_u32_e32 vcc, v71, v68
	s_mov_b64 s[24:25], 0
	v_mov_b64_e32 v[28:29], v[26:27]
	v_cndmask_b32_e64 v25, 0, 1, vcc
	v_cmp_gt_u32_e32 vcc, s60, v6
	v_mov_b64_e32 v[30:31], v[26:27]
	v_mov_b64_e32 v[32:33], v[26:27]
	;; [unrolled: 1-line block ×13, first 2 shown]
                                        ; implicit-def: $sgpr26_sgpr27
                                        ; implicit-def: $vgpr6
	s_and_saveexec_b64 s[20:21], vcc
	s_cbranch_execz .LBB1940_138
; %bb.107:
	ds_read2_b32 v[6:7], v76 offset0:7 offset1:8
	v_mov_b32_e32 v26, s74
	v_cmp_eq_u32_e32 vcc, v68, v69
	v_add_u32_e32 v28, 8, v77
	s_mov_b64 s[26:27], 0
	s_waitcnt lgkmcnt(0)
	v_cndmask_b32_e32 v26, v26, v6, vcc
	v_cmp_ne_u32_e32 vcc, v68, v69
                                        ; implicit-def: $sgpr28_sgpr29
                                        ; implicit-def: $vgpr6
	s_nop 1
	v_cndmask_b32_e64 v27, 0, 1, vcc
	v_cmp_gt_u32_e32 vcc, s60, v28
	v_mov_b64_e32 v[28:29], 0
	v_mov_b64_e32 v[30:31], v[28:29]
	;; [unrolled: 1-line block ×14, first 2 shown]
	s_and_saveexec_b64 s[22:23], vcc
	s_cbranch_execz .LBB1940_137
; %bb.108:
	v_mov_b32_e32 v28, s74
	v_cmp_eq_u32_e32 vcc, v69, v66
	v_add_u32_e32 v6, 9, v77
	v_mov_b64_e32 v[30:31], 0
	v_cndmask_b32_e32 v28, v28, v7, vcc
	v_cmp_ne_u32_e32 vcc, v69, v66
	s_mov_b64 s[28:29], 0
	v_mov_b64_e32 v[32:33], v[30:31]
	v_cndmask_b32_e64 v29, 0, 1, vcc
	v_cmp_gt_u32_e32 vcc, s60, v6
	v_mov_b64_e32 v[34:35], v[30:31]
	v_mov_b64_e32 v[36:37], v[30:31]
	;; [unrolled: 1-line block ×11, first 2 shown]
                                        ; implicit-def: $sgpr30_sgpr31
                                        ; implicit-def: $vgpr6
	s_and_saveexec_b64 s[24:25], vcc
	s_cbranch_execz .LBB1940_136
; %bb.109:
	ds_read2_b32 v[6:7], v76 offset0:9 offset1:10
	v_mov_b32_e32 v30, s74
	v_cmp_eq_u32_e32 vcc, v66, v67
	v_add_u32_e32 v32, 10, v77
	s_mov_b64 s[30:31], 0
	s_waitcnt lgkmcnt(0)
	v_cndmask_b32_e32 v30, v30, v6, vcc
	v_cmp_ne_u32_e32 vcc, v66, v67
                                        ; implicit-def: $sgpr34_sgpr35
                                        ; implicit-def: $vgpr6
	s_nop 1
	v_cndmask_b32_e64 v31, 0, 1, vcc
	v_cmp_gt_u32_e32 vcc, s60, v32
	v_mov_b64_e32 v[32:33], 0
	v_mov_b64_e32 v[34:35], v[32:33]
	;; [unrolled: 1-line block ×12, first 2 shown]
	s_and_saveexec_b64 s[26:27], vcc
	s_cbranch_execz .LBB1940_135
; %bb.110:
	v_mov_b32_e32 v32, s74
	v_cmp_eq_u32_e32 vcc, v67, v64
	v_add_u32_e32 v6, 11, v77
	v_mov_b64_e32 v[34:35], 0
	v_cndmask_b32_e32 v32, v32, v7, vcc
	v_cmp_ne_u32_e32 vcc, v67, v64
	s_mov_b64 s[34:35], 0
	v_mov_b64_e32 v[36:37], v[34:35]
	v_cndmask_b32_e64 v33, 0, 1, vcc
	v_cmp_gt_u32_e32 vcc, s60, v6
	v_mov_b64_e32 v[38:39], v[34:35]
	v_mov_b64_e32 v[40:41], v[34:35]
	;; [unrolled: 1-line block ×9, first 2 shown]
                                        ; implicit-def: $sgpr36_sgpr37
                                        ; implicit-def: $vgpr6
	s_and_saveexec_b64 s[28:29], vcc
	s_cbranch_execz .LBB1940_134
; %bb.111:
	ds_read2_b32 v[6:7], v76 offset0:11 offset1:12
	v_mov_b32_e32 v34, s74
	v_cmp_eq_u32_e32 vcc, v64, v65
	v_add_u32_e32 v36, 12, v77
	s_mov_b64 s[36:37], 0
	s_waitcnt lgkmcnt(0)
	v_cndmask_b32_e32 v34, v34, v6, vcc
	v_cmp_ne_u32_e32 vcc, v64, v65
                                        ; implicit-def: $sgpr38_sgpr39
                                        ; implicit-def: $vgpr6
	s_nop 1
	v_cndmask_b32_e64 v35, 0, 1, vcc
	v_cmp_gt_u32_e32 vcc, s60, v36
	v_mov_b64_e32 v[36:37], 0
	v_mov_b64_e32 v[38:39], v[36:37]
	;; [unrolled: 1-line block ×10, first 2 shown]
	s_and_saveexec_b64 s[30:31], vcc
	s_cbranch_execz .LBB1940_133
; %bb.112:
	v_mov_b32_e32 v36, s74
	v_cmp_eq_u32_e32 vcc, v65, v62
	v_add_u32_e32 v6, 13, v77
	v_mov_b64_e32 v[38:39], 0
	v_cndmask_b32_e32 v36, v36, v7, vcc
	v_cmp_ne_u32_e32 vcc, v65, v62
	s_mov_b64 s[38:39], 0
	v_mov_b64_e32 v[40:41], v[38:39]
	v_cndmask_b32_e64 v37, 0, 1, vcc
	v_cmp_gt_u32_e32 vcc, s60, v6
	v_mov_b64_e32 v[42:43], v[38:39]
	v_mov_b64_e32 v[44:45], v[38:39]
	;; [unrolled: 1-line block ×7, first 2 shown]
                                        ; implicit-def: $sgpr40_sgpr41
                                        ; implicit-def: $vgpr6
	s_and_saveexec_b64 s[34:35], vcc
	s_cbranch_execz .LBB1940_132
; %bb.113:
	ds_read2_b32 v[6:7], v76 offset0:13 offset1:14
	v_mov_b32_e32 v38, s74
	v_cmp_eq_u32_e32 vcc, v62, v63
	v_add_u32_e32 v40, 14, v77
	s_mov_b64 s[40:41], 0
	s_waitcnt lgkmcnt(0)
	v_cndmask_b32_e32 v38, v38, v6, vcc
	v_cmp_ne_u32_e32 vcc, v62, v63
                                        ; implicit-def: $sgpr42_sgpr43
                                        ; implicit-def: $vgpr6
	s_nop 1
	v_cndmask_b32_e64 v39, 0, 1, vcc
	v_cmp_gt_u32_e32 vcc, s60, v40
	v_mov_b64_e32 v[40:41], 0
	v_mov_b64_e32 v[42:43], v[40:41]
	;; [unrolled: 1-line block ×8, first 2 shown]
	s_and_saveexec_b64 s[36:37], vcc
	s_cbranch_execz .LBB1940_131
; %bb.114:
	v_mov_b32_e32 v40, s74
	v_cmp_eq_u32_e32 vcc, v63, v60
	v_add_u32_e32 v6, 15, v77
	v_mov_b64_e32 v[42:43], 0
	v_cndmask_b32_e32 v40, v40, v7, vcc
	v_cmp_ne_u32_e32 vcc, v63, v60
	s_mov_b64 s[42:43], 0
	v_mov_b64_e32 v[44:45], v[42:43]
	v_cndmask_b32_e64 v41, 0, 1, vcc
	v_cmp_gt_u32_e32 vcc, s60, v6
	v_mov_b64_e32 v[46:47], v[42:43]
	v_mov_b64_e32 v[48:49], v[42:43]
	;; [unrolled: 1-line block ×5, first 2 shown]
                                        ; implicit-def: $sgpr44_sgpr45
                                        ; implicit-def: $vgpr6
	s_and_saveexec_b64 s[38:39], vcc
	s_cbranch_execz .LBB1940_130
; %bb.115:
	ds_read2_b32 v[6:7], v76 offset0:15 offset1:16
	v_mov_b32_e32 v42, s74
	v_cmp_eq_u32_e32 vcc, v60, v61
	v_add_u32_e32 v44, 16, v77
	s_mov_b64 s[44:45], 0
	s_waitcnt lgkmcnt(0)
	v_cndmask_b32_e32 v42, v42, v6, vcc
	v_cmp_ne_u32_e32 vcc, v60, v61
                                        ; implicit-def: $sgpr46_sgpr47
                                        ; implicit-def: $vgpr6
	s_nop 1
	v_cndmask_b32_e64 v43, 0, 1, vcc
	v_cmp_gt_u32_e32 vcc, s60, v44
	v_mov_b64_e32 v[44:45], 0
	v_mov_b64_e32 v[46:47], v[44:45]
	;; [unrolled: 1-line block ×6, first 2 shown]
	s_and_saveexec_b64 s[40:41], vcc
	s_cbranch_execz .LBB1940_129
; %bb.116:
	v_mov_b32_e32 v44, s74
	v_cmp_eq_u32_e32 vcc, v61, v58
	v_add_u32_e32 v6, 17, v77
	v_mov_b64_e32 v[46:47], 0
	v_cndmask_b32_e32 v44, v44, v7, vcc
	v_cmp_ne_u32_e32 vcc, v61, v58
	s_mov_b64 s[46:47], 0
	v_mov_b64_e32 v[48:49], v[46:47]
	v_cndmask_b32_e64 v45, 0, 1, vcc
	v_cmp_gt_u32_e32 vcc, s60, v6
	v_mov_b64_e32 v[50:51], v[46:47]
	v_mov_b64_e32 v[52:53], v[46:47]
	;; [unrolled: 1-line block ×3, first 2 shown]
                                        ; implicit-def: $sgpr48_sgpr49
                                        ; implicit-def: $vgpr6
	s_and_saveexec_b64 s[42:43], vcc
	s_cbranch_execz .LBB1940_128
; %bb.117:
	ds_read2_b32 v[6:7], v76 offset0:17 offset1:18
	v_mov_b32_e32 v46, s74
	v_cmp_eq_u32_e32 vcc, v58, v59
	v_add_u32_e32 v48, 18, v77
	s_mov_b64 s[48:49], 0
	s_waitcnt lgkmcnt(0)
	v_cndmask_b32_e32 v46, v46, v6, vcc
	v_cmp_ne_u32_e32 vcc, v58, v59
                                        ; implicit-def: $sgpr50_sgpr51
                                        ; implicit-def: $vgpr6
	s_nop 1
	v_cndmask_b32_e64 v47, 0, 1, vcc
	v_cmp_gt_u32_e32 vcc, s60, v48
	v_mov_b64_e32 v[48:49], 0
	v_mov_b64_e32 v[50:51], v[48:49]
	;; [unrolled: 1-line block ×4, first 2 shown]
	s_and_saveexec_b64 s[44:45], vcc
	s_cbranch_execz .LBB1940_127
; %bb.118:
	v_mov_b32_e32 v48, s74
	v_cmp_eq_u32_e32 vcc, v59, v56
	v_add_u32_e32 v6, 19, v77
	v_mov_b64_e32 v[50:51], 0
	v_cndmask_b32_e32 v48, v48, v7, vcc
	v_cmp_ne_u32_e32 vcc, v59, v56
	s_mov_b64 s[50:51], 0
	v_mov_b64_e32 v[52:53], v[50:51]
	v_cndmask_b32_e64 v49, 0, 1, vcc
	v_cmp_gt_u32_e32 vcc, s60, v6
	v_mov_b64_e32 v[54:55], v[50:51]
                                        ; implicit-def: $sgpr56_sgpr57
                                        ; implicit-def: $vgpr6
	s_and_saveexec_b64 s[46:47], vcc
	s_cbranch_execz .LBB1940_126
; %bb.119:
	ds_read2_b32 v[6:7], v76 offset0:19 offset1:20
	v_mov_b32_e32 v50, s74
	v_cmp_eq_u32_e32 vcc, v56, v57
	v_add_u32_e32 v52, 20, v77
	s_mov_b64 s[56:57], 0
	s_waitcnt lgkmcnt(0)
	v_cndmask_b32_e32 v50, v50, v6, vcc
	v_cmp_ne_u32_e32 vcc, v56, v57
                                        ; implicit-def: $sgpr58_sgpr59
                                        ; implicit-def: $vgpr6
	s_nop 1
	v_cndmask_b32_e64 v51, 0, 1, vcc
	v_cmp_gt_u32_e32 vcc, s60, v52
	v_mov_b64_e32 v[52:53], 0
	v_mov_b64_e32 v[54:55], v[52:53]
	s_and_saveexec_b64 s[48:49], vcc
	s_cbranch_execz .LBB1940_125
; %bb.120:
	v_mov_b32_e32 v52, s74
	v_cmp_eq_u32_e32 vcc, v57, v8
	v_add_u32_e32 v6, 21, v77
	v_mov_b64_e32 v[54:55], 0
	v_cndmask_b32_e32 v52, v52, v7, vcc
	v_cmp_ne_u32_e32 vcc, v57, v8
                                        ; implicit-def: $sgpr58_sgpr59
	s_nop 1
	v_cndmask_b32_e64 v53, 0, 1, vcc
	v_cmp_gt_u32_e32 vcc, s60, v6
                                        ; implicit-def: $vgpr6
	s_and_saveexec_b64 s[50:51], vcc
	s_cbranch_execz .LBB1940_124
; %bb.121:
	ds_read2_b32 v[6:7], v76 offset0:21 offset1:22
	v_mov_b32_e32 v54, s74
	v_cmp_eq_u32_e32 vcc, v8, v9
	v_add_u32_e32 v56, 22, v77
                                        ; implicit-def: $sgpr58_sgpr59
	s_waitcnt lgkmcnt(0)
	v_cndmask_b32_e32 v54, v54, v6, vcc
	v_cmp_ne_u32_e32 vcc, v8, v9
                                        ; implicit-def: $vgpr6
	s_nop 1
	v_cndmask_b32_e64 v55, 0, 1, vcc
	v_cmp_gt_u32_e32 vcc, s60, v56
	s_and_saveexec_b64 s[60:61], vcc
	s_xor_b64 s[60:61], exec, s[60:61]
; %bb.122:
	v_mov_b32_e32 v6, s74
	v_cmp_ne_u32_e32 vcc, v9, v1
	s_mov_b64 s[56:57], exec
	s_and_b64 s[58:59], vcc, exec
	v_cndmask_b32_e32 v6, v7, v6, vcc
; %bb.123:
	s_or_b64 exec, exec, s[60:61]
	s_and_b64 s[58:59], s[58:59], exec
	s_and_b64 s[56:57], s[56:57], exec
.LBB1940_124:
	s_or_b64 exec, exec, s[50:51]
	s_and_b64 s[58:59], s[58:59], exec
	s_and_b64 s[50:51], s[56:57], exec
.LBB1940_125:
	s_or_b64 exec, exec, s[48:49]
	s_and_b64 s[56:57], s[58:59], exec
	s_and_b64 s[48:49], s[50:51], exec
.LBB1940_126:
	s_or_b64 exec, exec, s[46:47]
	s_and_b64 s[50:51], s[56:57], exec
	s_and_b64 s[46:47], s[48:49], exec
.LBB1940_127:
	s_or_b64 exec, exec, s[44:45]
	s_and_b64 s[48:49], s[50:51], exec
	s_and_b64 s[44:45], s[46:47], exec
.LBB1940_128:
	s_or_b64 exec, exec, s[42:43]
	s_and_b64 s[46:47], s[48:49], exec
	s_and_b64 s[42:43], s[44:45], exec
.LBB1940_129:
	s_or_b64 exec, exec, s[40:41]
	s_and_b64 s[44:45], s[46:47], exec
	s_and_b64 s[40:41], s[42:43], exec
.LBB1940_130:
	s_or_b64 exec, exec, s[38:39]
	s_and_b64 s[42:43], s[44:45], exec
	s_and_b64 s[38:39], s[40:41], exec
.LBB1940_131:
	s_or_b64 exec, exec, s[36:37]
	s_and_b64 s[40:41], s[42:43], exec
	s_and_b64 s[36:37], s[38:39], exec
.LBB1940_132:
	s_or_b64 exec, exec, s[34:35]
	s_and_b64 s[38:39], s[40:41], exec
	s_and_b64 s[34:35], s[36:37], exec
.LBB1940_133:
	s_or_b64 exec, exec, s[30:31]
	s_and_b64 s[36:37], s[38:39], exec
	s_and_b64 s[30:31], s[34:35], exec
.LBB1940_134:
	s_or_b64 exec, exec, s[28:29]
	s_and_b64 s[34:35], s[36:37], exec
	s_and_b64 s[28:29], s[30:31], exec
.LBB1940_135:
	s_or_b64 exec, exec, s[26:27]
	s_and_b64 s[30:31], s[34:35], exec
	s_and_b64 s[26:27], s[28:29], exec
.LBB1940_136:
	s_or_b64 exec, exec, s[24:25]
	s_and_b64 s[28:29], s[30:31], exec
	s_and_b64 s[24:25], s[26:27], exec
.LBB1940_137:
	s_or_b64 exec, exec, s[22:23]
	s_and_b64 s[26:27], s[28:29], exec
	s_and_b64 s[22:23], s[24:25], exec
.LBB1940_138:
	s_or_b64 exec, exec, s[20:21]
	s_and_b64 s[24:25], s[26:27], exec
	s_and_b64 s[20:21], s[22:23], exec
.LBB1940_139:
	s_or_b64 exec, exec, s[18:19]
	s_and_b64 s[22:23], s[24:25], exec
	s_and_b64 s[18:19], s[20:21], exec
.LBB1940_140:
	s_or_b64 exec, exec, s[16:17]
	s_and_b64 s[20:21], s[22:23], exec
	s_and_b64 s[16:17], s[18:19], exec
.LBB1940_141:
	s_or_b64 exec, exec, s[14:15]
	s_and_b64 s[18:19], s[20:21], exec
	s_and_b64 s[14:15], s[16:17], exec
.LBB1940_142:
	s_or_b64 exec, exec, s[12:13]
	s_and_b64 s[16:17], s[18:19], exec
	s_and_b64 s[12:13], s[14:15], exec
.LBB1940_143:
	s_or_b64 exec, exec, s[10:11]
	s_and_b64 s[14:15], s[16:17], exec
	s_and_b64 s[10:11], s[12:13], exec
.LBB1940_144:
	s_or_b64 exec, exec, s[8:9]
	s_and_b64 s[8:9], s[14:15], exec
	s_and_b64 s[10:11], s[10:11], exec
.LBB1940_145:
	s_or_b64 exec, exec, s[6:7]
	s_mov_b64 s[6:7], 0
	s_and_b64 vcc, exec, s[0:1]
	v_lshlrev_b32_e32 v56, 2, v0
	s_cbranch_vccnz .LBB1940_147
	s_branch .LBB1940_152
.LBB1940_146:
	s_mov_b64 s[10:11], 0
                                        ; implicit-def: $sgpr8_sgpr9
                                        ; implicit-def: $vgpr12_vgpr13
                                        ; implicit-def: $vgpr14_vgpr15
                                        ; implicit-def: $vgpr16_vgpr17
                                        ; implicit-def: $vgpr18_vgpr19
                                        ; implicit-def: $vgpr20_vgpr21
                                        ; implicit-def: $vgpr22_vgpr23
                                        ; implicit-def: $vgpr24_vgpr25
                                        ; implicit-def: $vgpr26_vgpr27
                                        ; implicit-def: $vgpr28_vgpr29
                                        ; implicit-def: $vgpr30_vgpr31
                                        ; implicit-def: $vgpr32_vgpr33
                                        ; implicit-def: $vgpr34_vgpr35
                                        ; implicit-def: $vgpr36_vgpr37
                                        ; implicit-def: $vgpr38_vgpr39
                                        ; implicit-def: $vgpr40_vgpr41
                                        ; implicit-def: $vgpr42_vgpr43
                                        ; implicit-def: $vgpr44_vgpr45
                                        ; implicit-def: $vgpr46_vgpr47
                                        ; implicit-def: $vgpr48_vgpr49
                                        ; implicit-def: $vgpr50_vgpr51
                                        ; implicit-def: $vgpr52_vgpr53
                                        ; implicit-def: $vgpr54_vgpr55
                                        ; implicit-def: $vgpr6
                                        ; implicit-def: $sgpr6_sgpr7
	s_and_b64 vcc, exec, s[0:1]
	v_lshlrev_b32_e32 v56, 2, v0
	s_cbranch_vccz .LBB1940_152
.LBB1940_147:
	v_mov_b32_e32 v57, 0
	v_lshl_add_u64 v[6:7], v[4:5], 0, v[56:57]
	v_add_co_u32_e32 v8, vcc, 0x1000, v6
	s_movk_i32 s6, 0x58
	s_nop 0
	v_addc_co_u32_e32 v9, vcc, 0, v7, vcc
	flat_load_dword v1, v[6:7]
	flat_load_dword v14, v[6:7] offset:1024
	flat_load_dword v15, v[6:7] offset:2048
	;; [unrolled: 1-line block ×3, first 2 shown]
	flat_load_dword v17, v[8:9]
	flat_load_dword v18, v[8:9] offset:1024
	flat_load_dword v19, v[8:9] offset:2048
	;; [unrolled: 1-line block ×3, first 2 shown]
	v_add_co_u32_e32 v8, vcc, 0x2000, v6
	s_movk_i32 s11, 0x1000
	s_nop 0
	v_addc_co_u32_e32 v9, vcc, 0, v7, vcc
	v_add_co_u32_e32 v12, vcc, 0x3000, v6
	s_mov_b32 s0, 0
	s_nop 0
	v_addc_co_u32_e32 v13, vcc, 0, v7, vcc
	flat_load_dword v21, v[8:9]
	flat_load_dword v22, v[8:9] offset:1024
	flat_load_dword v23, v[8:9] offset:2048
	;; [unrolled: 1-line block ×3, first 2 shown]
	flat_load_dword v25, v[12:13]
	flat_load_dword v26, v[12:13] offset:1024
	flat_load_dword v27, v[12:13] offset:2048
	;; [unrolled: 1-line block ×3, first 2 shown]
	v_add_co_u32_e32 v8, vcc, 0x4000, v6
	s_movk_i32 s10, 0x2000
	s_nop 0
	v_addc_co_u32_e32 v9, vcc, 0, v7, vcc
	v_add_co_u32_e32 v6, vcc, 0x5000, v6
	s_movk_i32 s9, 0x3000
	s_nop 0
	v_addc_co_u32_e32 v7, vcc, 0, v7, vcc
	flat_load_dword v12, v[8:9]
	flat_load_dword v13, v[8:9] offset:1024
	flat_load_dword v29, v[8:9] offset:2048
	;; [unrolled: 1-line block ×3, first 2 shown]
	flat_load_dword v31, v[6:7]
	flat_load_dword v32, v[6:7] offset:1024
	flat_load_dword v33, v[6:7] offset:2048
	v_add_co_u32_e32 v4, vcc, 0x5000, v4
	s_movk_i32 s8, 0x4000
	s_nop 0
	v_addc_co_u32_e32 v5, vcc, 0, v5, vcc
	s_movk_i32 s1, 0x5000
	s_waitcnt vmcnt(0) lgkmcnt(0)
	ds_write2st64_b32 v56, v1, v14 offset1:4
	ds_write2st64_b32 v56, v15, v16 offset0:8 offset1:12
	ds_write2st64_b32 v56, v17, v18 offset0:16 offset1:20
	;; [unrolled: 1-line block ×10, first 2 shown]
	ds_write_b32 v56, v33 offset:22528
	s_waitcnt lgkmcnt(0)
	s_barrier
	flat_load_dword v1, v[4:5] offset:3072
	v_mad_u32_u24 v14, v0, s6, v56
	s_movk_i32 s6, 0xffa8
	v_mad_i32_i24 v13, v0, s6, v14
	s_movk_i32 s6, 0xff
	v_cmp_ne_u32_e32 vcc, s6, v0
	ds_read_b32 v12, v14
	ds_read2_b32 v[16:17], v14 offset0:1 offset1:2
	ds_read2_b32 v[20:21], v14 offset0:3 offset1:4
	;; [unrolled: 1-line block ×11, first 2 shown]
	s_waitcnt lgkmcnt(0)
	ds_write_b32 v13, v12 offset:24576
	s_waitcnt lgkmcnt(0)
	s_barrier
	s_and_saveexec_b64 s[6:7], vcc
	s_cbranch_execz .LBB1940_149
; %bb.148:
	s_waitcnt vmcnt(0)
	ds_read_b32 v1, v56 offset:24580
.LBB1940_149:
	s_or_b64 exec, exec, s[6:7]
	v_lshl_add_u64 v[2:3], v[2:3], 0, v[56:57]
	v_add_co_u32_e32 v18, vcc, s11, v2
	s_waitcnt lgkmcnt(0)
	s_nop 0
	v_addc_co_u32_e32 v19, vcc, 0, v3, vcc
	s_barrier
	flat_load_dword v13, v[2:3]
	flat_load_dword v15, v[2:3] offset:1024
	flat_load_dword v26, v[2:3] offset:2048
	;; [unrolled: 1-line block ×3, first 2 shown]
	flat_load_dword v30, v[18:19]
	flat_load_dword v31, v[18:19] offset:1024
	flat_load_dword v34, v[18:19] offset:2048
	;; [unrolled: 1-line block ×3, first 2 shown]
	v_add_co_u32_e32 v18, vcc, s10, v2
	s_nop 1
	v_addc_co_u32_e32 v19, vcc, 0, v3, vcc
	v_add_co_u32_e32 v22, vcc, s9, v2
	s_nop 1
	v_addc_co_u32_e32 v23, vcc, 0, v3, vcc
	flat_load_dword v38, v[18:19]
	flat_load_dword v39, v[18:19] offset:1024
	flat_load_dword v42, v[18:19] offset:2048
	flat_load_dword v43, v[18:19] offset:3072
	flat_load_dword v46, v[22:23]
	flat_load_dword v47, v[22:23] offset:1024
	flat_load_dword v48, v[22:23] offset:2048
	;; [unrolled: 1-line block ×3, first 2 shown]
	v_add_co_u32_e32 v18, vcc, s8, v2
	s_nop 1
	v_addc_co_u32_e32 v19, vcc, 0, v3, vcc
	v_add_co_u32_e32 v2, vcc, s1, v2
	s_mov_b32 s1, 1
	s_nop 0
	v_addc_co_u32_e32 v3, vcc, 0, v3, vcc
	flat_load_dword v22, v[18:19]
	flat_load_dword v23, v[18:19] offset:1024
	flat_load_dword v50, v[18:19] offset:2048
	;; [unrolled: 1-line block ×3, first 2 shown]
	flat_load_dword v52, v[2:3]
	flat_load_dword v53, v[2:3] offset:1024
	flat_load_dword v54, v[2:3] offset:2048
	v_cmp_eq_u32_e32 vcc, v12, v16
	s_waitcnt vmcnt(0) lgkmcnt(0)
	ds_write2st64_b32 v56, v13, v15 offset1:4
	ds_write2st64_b32 v56, v26, v27 offset0:8 offset1:12
	ds_write2st64_b32 v56, v30, v31 offset0:16 offset1:20
	;; [unrolled: 1-line block ×10, first 2 shown]
	ds_write_b32 v56, v54 offset:22528
	s_waitcnt lgkmcnt(0)
	s_barrier
	ds_read2_b32 v[18:19], v14 offset0:1 offset1:2
	ds_read2_b32 v[22:23], v14 offset0:3 offset1:4
	;; [unrolled: 1-line block ×11, first 2 shown]
	v_mov_b64_e32 v[12:13], s[0:1]
	v_mov_b32_e32 v15, s74
	s_and_saveexec_b64 s[0:1], vcc
	s_cbranch_execz .LBB1940_151
; %bb.150:
	ds_read_b32 v15, v14
	v_mov_b64_e32 v[12:13], 0
.LBB1940_151:
	s_or_b64 exec, exec, s[0:1]
	v_mov_b32_e32 v57, s74
	v_cmp_eq_u32_e32 vcc, v16, v17
	s_waitcnt lgkmcnt(0)
	v_or_b32_e32 v12, v12, v15
	v_cmp_ne_u32_e64 s[8:9], v5, v1
	v_cndmask_b32_e32 v14, v57, v18, vcc
	v_cmp_ne_u32_e32 vcc, v16, v17
	s_mov_b64 s[10:11], -1
                                        ; implicit-def: $sgpr6_sgpr7
	s_nop 0
	v_cndmask_b32_e64 v15, 0, 1, vcc
	v_cmp_eq_u32_e32 vcc, v17, v20
	s_nop 1
	v_cndmask_b32_e32 v16, v57, v19, vcc
	v_cmp_ne_u32_e32 vcc, v17, v20
	s_nop 1
	v_cndmask_b32_e64 v17, 0, 1, vcc
	v_cmp_eq_u32_e32 vcc, v20, v21
	s_nop 1
	v_cndmask_b32_e32 v18, v57, v22, vcc
	v_cmp_ne_u32_e32 vcc, v20, v21
	;; [unrolled: 6-line block ×18, first 2 shown]
	v_cndmask_b32_e64 v6, v3, v57, s[8:9]
	s_nop 0
	v_cndmask_b32_e64 v51, 0, 1, vcc
	v_cmp_eq_u32_e32 vcc, v7, v4
	s_nop 1
	v_cndmask_b32_e32 v52, v57, v53, vcc
	v_cmp_ne_u32_e32 vcc, v7, v4
	s_nop 1
	v_cndmask_b32_e64 v53, 0, 1, vcc
	v_cmp_eq_u32_e32 vcc, v4, v5
	s_nop 1
	v_cndmask_b32_e32 v54, v57, v2, vcc
	v_cmp_ne_u32_e32 vcc, v4, v5
	s_nop 1
	v_cndmask_b32_e64 v55, 0, 1, vcc
.LBB1940_152:
	v_mov_b64_e32 v[58:59], s[6:7]
	s_and_saveexec_b64 s[0:1], s[10:11]
; %bb.153:
	v_cndmask_b32_e64 v7, 0, 1, s[8:9]
	v_mov_b64_e32 v[58:59], v[6:7]
; %bb.154:
	s_or_b64 exec, exec, s[0:1]
	s_mov_b32 s0, 0
	s_cmp_lg_u32 s67, 0
	v_or_b32_e32 v57, v59, v55
	v_lshrrev_b32_e32 v1, 5, v0
	v_cmp_gt_u32_e32 vcc, 64, v0
	s_barrier
	s_cbranch_scc0 .LBB1940_189
; %bb.155:
	s_mov_b32 s1, 1
	v_cmp_gt_u64_e64 s[6:7], s[0:1], v[14:15]
	v_cmp_gt_u64_e64 s[8:9], s[0:1], v[16:17]
	v_cmp_gt_u64_e64 s[10:11], s[0:1], v[18:19]
	v_cndmask_b32_e64 v2, 0, v12, s[6:7]
	v_add_u32_e32 v2, v2, v14
	v_cndmask_b32_e64 v2, 0, v2, s[8:9]
	v_add_u32_e32 v2, v2, v16
	v_cndmask_b32_e64 v2, 0, v2, s[10:11]
	v_add_u32_e32 v2, v2, v18
	v_cmp_gt_u64_e64 s[12:13], s[0:1], v[20:21]
	v_cmp_gt_u64_e64 s[14:15], s[0:1], v[22:23]
	v_cmp_gt_u64_e64 s[16:17], s[0:1], v[24:25]
	v_cndmask_b32_e64 v2, 0, v2, s[12:13]
	v_add_u32_e32 v2, v2, v20
	v_cndmask_b32_e64 v2, 0, v2, s[14:15]
	v_add_u32_e32 v2, v2, v22
	v_cndmask_b32_e64 v2, 0, v2, s[16:17]
	v_add_u32_e32 v2, v2, v24
	;; [unrolled: 9-line block ×7, first 2 shown]
	v_cmp_gt_u64_e64 s[0:1], s[0:1], v[58:59]
	s_nop 1
	v_cndmask_b32_e64 v2, 0, v2, s[0:1]
	v_add_u32_e32 v64, v2, v58
	v_or3_b32 v2, v57, v53, v51
	v_or3_b32 v2, v2, v49, v47
	v_or3_b32 v2, v2, v45, v43
	v_or3_b32 v2, v2, v41, v39
	v_or3_b32 v2, v2, v37, v35
	v_or3_b32 v2, v2, v33, v31
	v_or3_b32 v2, v2, v29, v27
	v_or3_b32 v2, v2, v25, v23
	v_or3_b32 v2, v2, v21, v19
	v_or3_b32 v2, v2, v17, v15
	v_and_b32_e32 v2, 1, v2
	v_cmp_eq_u32_e64 s[0:1], 1, v2
	v_add_lshl_u32 v2, v1, v0, 3
	s_nop 0
	v_cndmask_b32_e64 v65, v13, 1, s[0:1]
	ds_write_b32 v2, v64
	ds_write_b8 v2, v65 offset:4
	s_waitcnt lgkmcnt(0)
	s_barrier
	s_and_saveexec_b64 s[50:51], vcc
	s_cbranch_execz .LBB1940_167
; %bb.156:
	v_lshrrev_b32_e32 v2, 3, v0
	v_add_lshl_u32 v4, v2, v56, 3
	ds_read2_b32 v[6:7], v4 offset0:2 offset1:4
	ds_read_b64 v[2:3], v4
	ds_read_u8 v8, v4 offset:12
	ds_read_u8 v9, v4 offset:20
	ds_read_b32 v60, v4 offset:24
	ds_read_u8 v61, v4 offset:28
	v_mov_b32_e32 v62, 0
	s_waitcnt lgkmcnt(3)
	v_cmp_eq_u16_sdwa s[0:1], v8, v62 src0_sel:BYTE_0 src1_sel:DWORD
	v_and_b32_e32 v5, 1, v3
	s_nop 0
	v_cndmask_b32_e64 v63, 0, v2, s[0:1]
	v_add_u32_e32 v6, v63, v6
	s_waitcnt lgkmcnt(2)
	v_cmp_eq_u16_sdwa s[0:1], v9, v62 src0_sel:BYTE_0 src1_sel:DWORD
	s_nop 1
	v_cndmask_b32_e64 v6, 0, v6, s[0:1]
	v_add_u32_e32 v6, v6, v7
	s_waitcnt lgkmcnt(0)
	v_cmp_eq_u16_e64 s[0:1], 0, v61
	s_nop 1
	v_cndmask_b32_e64 v6, 0, v6, s[0:1]
	v_add_u32_e32 v7, v6, v60
	v_or_b32_e32 v6, v61, v9
	v_or_b32_e32 v6, v6, v8
	v_and_b32_e32 v6, 1, v6
	v_cmp_eq_u32_e64 s[0:1], 1, v6
	v_mbcnt_lo_u32_b32 v8, -1, 0
	v_and_b32_e32 v6, 0xffffff00, v3
	v_cndmask_b32_e64 v9, v5, 1, s[0:1]
	v_mbcnt_hi_u32_b32 v8, -1, v8
	v_and_b32_e32 v61, 15, v8
	v_or_b32_sdwa v60, v6, v9 dst_sel:DWORD dst_unused:UNUSED_PAD src0_sel:DWORD src1_sel:WORD_0
	v_mov_b32_dpp v62, v7 row_shr:1 row_mask:0xf bank_mask:0xf
	v_cmp_ne_u32_e64 s[0:1], 0, v61
	v_mov_b32_dpp v63, v60 row_shr:1 row_mask:0xf bank_mask:0xf
	s_and_saveexec_b64 s[56:57], s[0:1]
; %bb.157:
	v_and_b32_e32 v60, 1, v9
	v_and_b32_e32 v63, 1, v63
	v_cmp_eq_u32_e64 s[0:1], 1, v60
	s_nop 1
	v_cndmask_b32_e64 v63, v63, 1, s[0:1]
	v_cmp_eq_u16_e64 s[0:1], 0, v9
	v_or_b32_sdwa v60, v6, v63 dst_sel:DWORD dst_unused:UNUSED_PAD src0_sel:DWORD src1_sel:WORD_0
	s_nop 0
	v_cndmask_b32_e64 v9, 0, v62, s[0:1]
	v_add_u32_e32 v7, v9, v7
	v_mov_b32_e32 v9, v63
; %bb.158:
	s_or_b64 exec, exec, s[56:57]
	v_mov_b32_dpp v62, v7 row_shr:2 row_mask:0xf bank_mask:0xf
	v_mov_b32_dpp v63, v60 row_shr:2 row_mask:0xf bank_mask:0xf
	v_cmp_lt_u32_e64 s[0:1], 1, v61
	s_and_saveexec_b64 s[56:57], s[0:1]
; %bb.159:
	v_and_b32_e32 v60, 1, v9
	v_and_b32_e32 v63, 1, v63
	v_cmp_eq_u32_e64 s[0:1], 1, v60
	s_nop 1
	v_cndmask_b32_e64 v63, v63, 1, s[0:1]
	v_cmp_eq_u16_e64 s[0:1], 0, v9
	v_or_b32_sdwa v60, v6, v63 dst_sel:DWORD dst_unused:UNUSED_PAD src0_sel:DWORD src1_sel:WORD_0
	s_nop 0
	v_cndmask_b32_e64 v9, 0, v62, s[0:1]
	v_add_u32_e32 v7, v9, v7
	v_mov_b32_e32 v9, v63
; %bb.160:
	s_or_b64 exec, exec, s[56:57]
	v_mov_b32_dpp v62, v7 row_shr:4 row_mask:0xf bank_mask:0xf
	v_mov_b32_dpp v63, v60 row_shr:4 row_mask:0xf bank_mask:0xf
	v_cmp_lt_u32_e64 s[0:1], 3, v61
	;; [unrolled: 18-line block ×3, first 2 shown]
	s_and_saveexec_b64 s[56:57], s[0:1]
; %bb.163:
	v_and_b32_e32 v60, 1, v9
	v_and_b32_e32 v61, 1, v63
	v_cmp_eq_u32_e64 s[0:1], 1, v60
	s_nop 1
	v_cndmask_b32_e64 v61, v61, 1, s[0:1]
	v_cmp_eq_u16_e64 s[0:1], 0, v9
	v_or_b32_sdwa v60, v6, v61 dst_sel:DWORD dst_unused:UNUSED_PAD src0_sel:DWORD src1_sel:WORD_0
	s_nop 0
	v_cndmask_b32_e64 v9, 0, v62, s[0:1]
	v_add_u32_e32 v7, v9, v7
	v_mov_b32_e32 v9, v61
; %bb.164:
	s_or_b64 exec, exec, s[56:57]
	v_and_b32_e32 v63, 16, v8
	v_mov_b32_dpp v61, v7 row_bcast:15 row_mask:0xf bank_mask:0xf
	v_mov_b32_dpp v62, v60 row_bcast:15 row_mask:0xf bank_mask:0xf
	v_cmp_ne_u32_e64 s[0:1], 0, v63
	s_and_saveexec_b64 s[56:57], s[0:1]
; %bb.165:
	v_and_b32_e32 v60, 1, v9
	v_and_b32_e32 v62, 1, v62
	v_cmp_eq_u32_e64 s[0:1], 1, v60
	s_nop 1
	v_cndmask_b32_e64 v62, v62, 1, s[0:1]
	v_cmp_eq_u16_e64 s[0:1], 0, v9
	v_or_b32_sdwa v60, v6, v62 dst_sel:DWORD dst_unused:UNUSED_PAD src0_sel:DWORD src1_sel:WORD_0
	s_nop 0
	v_cndmask_b32_e64 v9, 0, v61, s[0:1]
	v_add_u32_e32 v7, v9, v7
	v_mov_b32_e32 v9, v62
; %bb.166:
	s_or_b64 exec, exec, s[56:57]
	v_mov_b32_dpp v60, v60 row_bcast:31 row_mask:0xf bank_mask:0xf
	v_and_b32_e32 v62, 1, v9
	v_and_b32_e32 v60, 1, v60
	v_cmp_eq_u32_e64 s[0:1], 1, v62
	v_mov_b32_e32 v62, 0
	v_cmp_eq_u16_sdwa s[56:57], v9, v62 src0_sel:BYTE_0 src1_sel:DWORD
	v_cndmask_b32_e64 v60, v60, 1, s[0:1]
	v_cmp_lt_u32_e64 s[0:1], 31, v8
	v_mov_b32_dpp v61, v7 row_bcast:31 row_mask:0xf bank_mask:0xf
	s_movk_i32 s58, 0xff
	v_cndmask_b32_e64 v9, v9, v60, s[0:1]
	s_and_b64 s[0:1], s[0:1], s[56:57]
	v_cndmask_b32_e64 v60, 0, v61, s[0:1]
	v_add_u32_e32 v7, v60, v7
	v_add_u32_e32 v60, -1, v8
	v_and_b32_e32 v61, 64, v8
	v_cmp_lt_i32_e64 s[0:1], v60, v61
	v_and_or_b32 v6, v9, s58, v6
	s_nop 0
	v_cndmask_b32_e64 v8, v60, v8, s[0:1]
	v_lshlrev_b32_e32 v8, 2, v8
	ds_bpermute_b32 v7, v8, v7
	ds_bpermute_b32 v6, v8, v6
	v_cmp_eq_u16_sdwa s[0:1], v3, v62 src0_sel:BYTE_0 src1_sel:DWORD
	; wave barrier
	s_waitcnt lgkmcnt(1)
	s_nop 0
	v_cndmask_b32_e64 v3, 0, v7, s[0:1]
	v_add_u32_e32 v2, v3, v2
	s_waitcnt lgkmcnt(0)
	v_and_b32_e32 v3, 1, v6
	v_cmp_eq_u32_e64 s[0:1], 1, v5
	v_cndmask_b32_e64 v5, v2, v64, s[52:53]
	s_nop 0
	v_cndmask_b32_e64 v3, v3, 1, s[0:1]
	v_cndmask_b32_e64 v6, v3, v65, s[52:53]
	ds_write_b32 v4, v5
	ds_write_b8 v4, v6 offset:4
	; wave barrier
	ds_read_u8 v7, v4 offset:12
	ds_read2_b32 v[2:3], v4 offset0:2 offset1:4
	ds_read_u8 v8, v4 offset:20
	ds_read_b32 v9, v4 offset:24
	ds_read_u8 v60, v4 offset:28
	s_waitcnt lgkmcnt(4)
	v_cmp_eq_u16_e64 s[0:1], 0, v7
	s_nop 1
	v_cndmask_b32_e64 v5, 0, v5, s[0:1]
	s_waitcnt lgkmcnt(3)
	v_add_u32_e32 v2, v5, v2
	v_and_b32_e32 v5, 1, v7
	v_cmp_eq_u32_e64 s[0:1], 1, v5
	s_nop 1
	v_cndmask_b32_e64 v5, v6, 1, s[0:1]
	s_waitcnt lgkmcnt(2)
	v_cmp_eq_u16_e64 s[0:1], 0, v8
	ds_write_b8 v4, v5 offset:12
	s_nop 0
	v_cndmask_b32_e64 v6, 0, v2, s[0:1]
	v_add_u32_e32 v3, v6, v3
	v_and_b32_e32 v6, 1, v8
	v_cmp_eq_u32_e64 s[0:1], 1, v6
	s_nop 1
	v_cndmask_b32_e64 v5, v5, 1, s[0:1]
	s_waitcnt lgkmcnt(1)
	v_cmp_eq_u16_e64 s[0:1], 0, v60
	ds_write2_b32 v4, v2, v3 offset0:2 offset1:4
	ds_write_b8 v4, v5 offset:20
	v_cndmask_b32_e64 v2, 0, v3, s[0:1]
	v_and_b32_e32 v3, 1, v60
	v_add_u32_e32 v2, v2, v9
	v_cmp_eq_u32_e64 s[0:1], 1, v3
	s_nop 1
	v_cndmask_b32_e64 v3, v5, 1, s[0:1]
	ds_write_b32 v4, v2 offset:24
	ds_write_b8 v4, v3 offset:28
.LBB1940_167:
	s_or_b64 exec, exec, s[50:51]
	s_waitcnt lgkmcnt(0)
	s_barrier
	s_and_saveexec_b64 s[0:1], s[4:5]
	s_cbranch_execz .LBB1940_169
; %bb.168:
	v_add_u32_e32 v2, -1, v0
	v_lshrrev_b32_e32 v3, 5, v2
	v_add_lshl_u32 v2, v3, v2, 3
	ds_read_b32 v64, v2
	ds_read_u8 v65, v2 offset:4
.LBB1940_169:
	s_or_b64 exec, exec, s[0:1]
	s_and_saveexec_b64 s[56:57], vcc
	s_cbranch_execz .LBB1940_188
; %bb.170:
	v_mov_b32_e32 v5, 0
	ds_read_b64 v[2:3], v5 offset:2096
	v_mbcnt_lo_u32_b32 v4, -1, 0
	v_mbcnt_hi_u32_b32 v75, -1, v4
	s_mov_b32 s59, 0
	v_cmp_eq_u32_e64 s[50:51], 0, v75
	s_waitcnt lgkmcnt(0)
	v_readfirstlane_b32 s68, v3
	s_and_saveexec_b64 s[0:1], s[50:51]
	s_cbranch_execz .LBB1940_172
; %bb.171:
	s_add_i32 s58, s67, 64
	s_lshl_b64 s[60:61], s[58:59], 4
	s_add_u32 s60, s64, s60
	s_addc_u32 s61, s65, s61
	s_and_b32 s77, s68, 0xff000000
	s_mov_b32 s76, s59
	s_and_b32 s79, s68, 0xff0000
	s_mov_b32 s78, s59
	s_or_b64 s[76:77], s[78:79], s[76:77]
	s_and_b32 s79, s68, 0xff00
	s_or_b64 s[76:77], s[76:77], s[78:79]
	s_and_b32 s79, s68, 0xff
	s_or_b64 s[58:59], s[76:77], s[78:79]
	v_mov_b32_e32 v3, s59
	v_mov_b32_e32 v4, 1
	v_mov_b64_e32 v[6:7], s[60:61]
	;;#ASMSTART
	global_store_dwordx4 v[6:7], v[2:5] off sc1	
s_waitcnt vmcnt(0)
	;;#ASMEND
.LBB1940_172:
	s_or_b64 exec, exec, s[0:1]
	v_xad_u32 v60, v75, -1, s67
	v_add_u32_e32 v4, 64, v60
	v_lshl_add_u64 v[62:63], v[4:5], 4, s[64:65]
	;;#ASMSTART
	global_load_dwordx4 v[6:9], v[62:63] off sc1	
s_waitcnt vmcnt(0)
	;;#ASMEND
	s_nop 0
	v_and_b32_e32 v3, 0xff0000, v6
	v_and_b32_e32 v4, 0xff000000, v6
	;; [unrolled: 1-line block ×3, first 2 shown]
	v_or_b32_sdwa v3, v6, v3 dst_sel:DWORD dst_unused:UNUSED_PAD src0_sel:WORD_0 src1_sel:DWORD
	v_or3_b32 v7, 0, 0, v7
	v_or3_b32 v6, v3, v4, 0
	v_cmp_eq_u16_sdwa s[58:59], v8, v5 src0_sel:BYTE_0 src1_sel:DWORD
	s_and_saveexec_b64 s[0:1], s[58:59]
	s_cbranch_execz .LBB1940_176
; %bb.173:
	s_mov_b64 s[58:59], 0
	v_mov_b32_e32 v3, 0
.LBB1940_174:                           ; =>This Inner Loop Header: Depth=1
	;;#ASMSTART
	global_load_dwordx4 v[6:9], v[62:63] off sc1	
s_waitcnt vmcnt(0)
	;;#ASMEND
	s_nop 0
	v_cmp_ne_u16_sdwa s[60:61], v8, v3 src0_sel:BYTE_0 src1_sel:DWORD
	s_or_b64 s[58:59], s[60:61], s[58:59]
	s_andn2_b64 exec, exec, s[58:59]
	s_cbranch_execnz .LBB1940_174
; %bb.175:
	s_or_b64 exec, exec, s[58:59]
	v_and_b32_e32 v7, 0xff, v7
.LBB1940_176:
	s_or_b64 exec, exec, s[0:1]
	v_mov_b32_e32 v3, 2
	v_cmp_eq_u16_sdwa s[0:1], v8, v3 src0_sel:BYTE_0 src1_sel:DWORD
	v_lshlrev_b64 v[4:5], v75, -1
	v_and_b32_e32 v66, 63, v75
	v_and_b32_e32 v9, s1, v5
	v_or_b32_e32 v9, 0x80000000, v9
	v_and_b32_e32 v61, s0, v4
	v_ffbl_b32_e32 v9, v9
	v_add_u32_e32 v9, 32, v9
	v_ffbl_b32_e32 v61, v61
	v_cmp_ne_u32_e32 vcc, 63, v66
	v_min_u32_e32 v9, v61, v9
	s_mov_b32 s58, 0
	v_addc_co_u32_e32 v61, vcc, 0, v75, vcc
	v_lshlrev_b32_e32 v67, 2, v61
	ds_bpermute_b32 v61, v67, v7
	ds_bpermute_b32 v62, v67, v6
	v_and_b32_e32 v63, 1, v7
	s_mov_b32 s59, 1
	v_cmp_eq_u32_e32 vcc, 1, v63
	s_waitcnt lgkmcnt(1)
	v_and_b32_e32 v61, 1, v61
	v_cmp_lt_u32_e64 s[0:1], v66, v9
	v_cndmask_b32_e64 v61, v61, 1, vcc
	v_cmp_gt_u64_e32 vcc, s[58:59], v[6:7]
	s_and_b64 vcc, s[0:1], vcc
	v_and_b32_e32 v63, 0xffff, v61
	v_cndmask_b32_e64 v70, v7, v61, s[0:1]
	s_waitcnt lgkmcnt(0)
	v_cndmask_b32_e32 v61, 0, v62, vcc
	v_cmp_gt_u32_e32 vcc, 62, v66
	v_cndmask_b32_e64 v7, v7, v63, s[0:1]
	v_add_u32_e32 v6, v61, v6
	v_cndmask_b32_e64 v62, 0, 1, vcc
	v_lshlrev_b32_e32 v62, 1, v62
	v_add_lshl_u32 v68, v62, v75, 2
	ds_bpermute_b32 v62, v68, v7
	ds_bpermute_b32 v63, v68, v6
	v_and_b32_e32 v61, 1, v70
	v_cmp_eq_u32_e32 vcc, 1, v61
	v_mov_b32_e32 v61, 0
	s_waitcnt lgkmcnt(1)
	v_and_b32_e32 v62, 1, v62
	v_add_u32_e32 v69, 2, v66
	v_cndmask_b32_e64 v62, v62, 1, vcc
	v_cmp_eq_u16_sdwa vcc, v70, v61 src0_sel:BYTE_0 src1_sel:DWORD
	v_and_b32_e32 v71, 0xffff, v62
	v_add_u32_e32 v79, 32, v66
	s_waitcnt lgkmcnt(0)
	v_cndmask_b32_e32 v63, 0, v63, vcc
	v_cmp_gt_u32_e32 vcc, v69, v9
	s_nop 1
	v_cndmask_b32_e32 v62, v62, v70, vcc
	v_cndmask_b32_e64 v63, v63, 0, vcc
	v_cndmask_b32_e32 v7, v71, v7, vcc
	v_cmp_gt_u32_e32 vcc, 60, v66
	v_add_u32_e32 v6, v63, v6
	v_and_b32_e32 v73, 1, v62
	v_cndmask_b32_e64 v70, 0, 1, vcc
	v_lshlrev_b32_e32 v70, 2, v70
	v_add_lshl_u32 v70, v70, v75, 2
	ds_bpermute_b32 v72, v70, v7
	ds_bpermute_b32 v63, v70, v6
	v_cmp_eq_u32_e32 vcc, 1, v73
	v_add_u32_e32 v71, 4, v66
	s_waitcnt lgkmcnt(1)
	v_and_b32_e32 v72, 1, v72
	v_cndmask_b32_e64 v72, v72, 1, vcc
	v_cmp_eq_u16_sdwa vcc, v62, v61 src0_sel:BYTE_0 src1_sel:DWORD
	v_and_b32_e32 v73, 0xffff, v72
	s_waitcnt lgkmcnt(0)
	v_cndmask_b32_e32 v63, 0, v63, vcc
	v_cmp_gt_u32_e32 vcc, v71, v9
	s_nop 1
	v_cndmask_b32_e32 v62, v72, v62, vcc
	v_cndmask_b32_e64 v63, v63, 0, vcc
	v_cndmask_b32_e32 v7, v73, v7, vcc
	v_cmp_gt_u32_e32 vcc, 56, v66
	v_add_u32_e32 v6, v63, v6
	v_and_b32_e32 v76, 1, v62
	v_cndmask_b32_e64 v72, 0, 1, vcc
	v_lshlrev_b32_e32 v72, 3, v72
	v_add_lshl_u32 v72, v72, v75, 2
	ds_bpermute_b32 v74, v72, v7
	ds_bpermute_b32 v63, v72, v6
	v_cmp_eq_u32_e32 vcc, 1, v76
	v_add_u32_e32 v73, 8, v66
	s_waitcnt lgkmcnt(1)
	v_and_b32_e32 v74, 1, v74
	v_cndmask_b32_e64 v74, v74, 1, vcc
	v_cmp_eq_u16_sdwa vcc, v62, v61 src0_sel:BYTE_0 src1_sel:DWORD
	v_and_b32_e32 v76, 0xffff, v74
	;; [unrolled: 22-line block ×3, first 2 shown]
	s_waitcnt lgkmcnt(0)
	v_cndmask_b32_e32 v63, 0, v63, vcc
	v_cmp_gt_u32_e32 vcc, v76, v9
	s_nop 1
	v_cndmask_b32_e32 v62, v77, v62, vcc
	v_cndmask_b32_e64 v63, v63, 0, vcc
	v_cndmask_b32_e32 v7, v78, v7, vcc
	v_cmp_gt_u32_e32 vcc, 32, v66
	v_add_u32_e32 v6, v63, v6
	s_nop 0
	v_cndmask_b32_e64 v77, 0, 1, vcc
	v_lshlrev_b32_e32 v77, 5, v77
	v_add_lshl_u32 v78, v77, v75, 2
	ds_bpermute_b32 v7, v78, v7
	ds_bpermute_b32 v63, v78, v6
	v_and_b32_e32 v75, 1, v62
	v_cmp_eq_u32_e32 vcc, 1, v75
	s_waitcnt lgkmcnt(1)
	v_and_b32_e32 v7, 1, v7
	v_cndmask_b32_e64 v7, v7, 1, vcc
	v_cmp_eq_u16_sdwa vcc, v62, v61 src0_sel:BYTE_0 src1_sel:DWORD
	s_waitcnt lgkmcnt(0)
	s_nop 0
	v_cndmask_b32_e32 v63, 0, v63, vcc
	v_cmp_gt_u32_e32 vcc, v79, v9
	s_nop 1
	v_cndmask_b32_e64 v9, v63, 0, vcc
	v_cndmask_b32_e32 v7, v7, v62, vcc
	v_add_u32_e32 v6, v9, v6
	s_branch .LBB1940_178
.LBB1940_177:                           ;   in Loop: Header=BB1940_178 Depth=1
	s_or_b64 exec, exec, s[0:1]
	v_cmp_eq_u16_sdwa s[0:1], v8, v3 src0_sel:BYTE_0 src1_sel:DWORD
	ds_bpermute_b32 v63, v67, v7
	v_and_b32_e32 v80, 1, v7
	v_and_b32_e32 v9, s1, v5
	v_or_b32_e32 v9, 0x80000000, v9
	v_and_b32_e32 v62, s0, v4
	v_ffbl_b32_e32 v9, v9
	v_add_u32_e32 v9, 32, v9
	v_ffbl_b32_e32 v62, v62
	v_min_u32_e32 v9, v62, v9
	ds_bpermute_b32 v62, v67, v6
	s_waitcnt lgkmcnt(1)
	v_and_b32_e32 v63, 1, v63
	v_cmp_eq_u32_e32 vcc, 1, v80
	v_cmp_lt_u32_e64 s[0:1], v66, v9
	v_subrev_u32_e32 v60, 64, v60
	v_cndmask_b32_e64 v63, v63, 1, vcc
	v_cmp_gt_u64_e32 vcc, s[58:59], v[6:7]
	v_and_b32_e32 v80, 0xffff, v63
	v_cndmask_b32_e64 v63, v7, v63, s[0:1]
	v_cndmask_b32_e64 v7, v7, v80, s[0:1]
	s_and_b64 vcc, s[0:1], vcc
	ds_bpermute_b32 v80, v68, v7
	s_waitcnt lgkmcnt(1)
	v_cndmask_b32_e32 v62, 0, v62, vcc
	v_add_u32_e32 v6, v62, v6
	ds_bpermute_b32 v62, v68, v6
	v_and_b32_e32 v81, 1, v63
	s_waitcnt lgkmcnt(1)
	v_and_b32_e32 v80, 1, v80
	v_cmp_eq_u32_e32 vcc, 1, v81
	s_nop 1
	v_cndmask_b32_e64 v80, v80, 1, vcc
	v_cmp_eq_u16_sdwa vcc, v63, v61 src0_sel:BYTE_0 src1_sel:DWORD
	v_and_b32_e32 v81, 0xffff, v80
	s_waitcnt lgkmcnt(0)
	v_cndmask_b32_e32 v62, 0, v62, vcc
	v_cmp_gt_u32_e32 vcc, v69, v9
	s_nop 1
	v_cndmask_b32_e32 v7, v81, v7, vcc
	v_cndmask_b32_e32 v63, v80, v63, vcc
	ds_bpermute_b32 v80, v70, v7
	v_cndmask_b32_e64 v62, v62, 0, vcc
	v_add_u32_e32 v6, v62, v6
	ds_bpermute_b32 v62, v70, v6
	v_and_b32_e32 v81, 1, v63
	s_waitcnt lgkmcnt(1)
	v_and_b32_e32 v80, 1, v80
	v_cmp_eq_u32_e32 vcc, 1, v81
	s_nop 1
	v_cndmask_b32_e64 v80, v80, 1, vcc
	v_cmp_eq_u16_sdwa vcc, v63, v61 src0_sel:BYTE_0 src1_sel:DWORD
	v_and_b32_e32 v81, 0xffff, v80
	s_waitcnt lgkmcnt(0)
	v_cndmask_b32_e32 v62, 0, v62, vcc
	v_cmp_gt_u32_e32 vcc, v71, v9
	s_nop 1
	v_cndmask_b32_e32 v7, v81, v7, vcc
	v_cndmask_b32_e32 v63, v80, v63, vcc
	ds_bpermute_b32 v80, v72, v7
	v_cndmask_b32_e64 v62, v62, 0, vcc
	;; [unrolled: 18-line block ×3, first 2 shown]
	v_add_u32_e32 v6, v62, v6
	ds_bpermute_b32 v62, v74, v6
	v_and_b32_e32 v81, 1, v63
	s_waitcnt lgkmcnt(1)
	v_and_b32_e32 v80, 1, v80
	v_cmp_eq_u32_e32 vcc, 1, v81
	s_nop 1
	v_cndmask_b32_e64 v80, v80, 1, vcc
	v_cmp_eq_u16_sdwa vcc, v63, v61 src0_sel:BYTE_0 src1_sel:DWORD
	v_and_b32_e32 v81, 0xffff, v80
	s_waitcnt lgkmcnt(0)
	v_cndmask_b32_e32 v62, 0, v62, vcc
	v_cmp_gt_u32_e32 vcc, v76, v9
	s_nop 1
	v_cndmask_b32_e64 v62, v62, 0, vcc
	v_cndmask_b32_e32 v7, v81, v7, vcc
	ds_bpermute_b32 v7, v78, v7
	v_add_u32_e32 v6, v62, v6
	ds_bpermute_b32 v62, v78, v6
	v_cndmask_b32_e32 v63, v80, v63, vcc
	v_and_b32_e32 v80, 1, v63
	v_cmp_eq_u32_e32 vcc, 1, v80
	s_waitcnt lgkmcnt(1)
	s_nop 0
	v_cndmask_b32_e64 v7, v7, 1, vcc
	v_cmp_eq_u16_sdwa vcc, v63, v61 src0_sel:BYTE_0 src1_sel:DWORD
	s_waitcnt lgkmcnt(0)
	s_nop 0
	v_cndmask_b32_e32 v62, 0, v62, vcc
	v_cmp_gt_u32_e32 vcc, v79, v9
	s_nop 1
	v_cndmask_b32_e64 v9, v62, 0, vcc
	v_cndmask_b32_e32 v7, v7, v63, vcc
	v_add_u32_e32 v6, v9, v6
	v_cmp_eq_u16_sdwa vcc, v75, v61 src0_sel:BYTE_0 src1_sel:DWORD
	v_and_b32_e32 v9, 1, v75
	v_and_b32_e32 v7, 1, v7
	v_cndmask_b32_e32 v6, 0, v6, vcc
	v_cmp_eq_u32_e32 vcc, 1, v9
	v_add_u32_e32 v6, v6, v77
	s_nop 0
	v_cndmask_b32_e64 v7, v7, 1, vcc
.LBB1940_178:                           ; =>This Loop Header: Depth=1
                                        ;     Child Loop BB1940_181 Depth 2
	v_cmp_ne_u16_sdwa s[0:1], v8, v3 src0_sel:BYTE_0 src1_sel:DWORD
	v_mov_b32_e32 v75, v7
	v_mov_b32_e32 v77, v6
	v_cndmask_b32_e64 v7, 0, 1, s[0:1]
	;;#ASMSTART
	;;#ASMEND
	s_nop 0
	v_cmp_ne_u32_e32 vcc, 0, v7
	s_cmp_lg_u64 vcc, exec
	s_cbranch_scc1 .LBB1940_183
; %bb.179:                              ;   in Loop: Header=BB1940_178 Depth=1
	v_lshl_add_u64 v[62:63], v[60:61], 4, s[64:65]
	;;#ASMSTART
	global_load_dwordx4 v[6:9], v[62:63] off sc1	
s_waitcnt vmcnt(0)
	;;#ASMEND
	s_nop 0
	v_and_b32_e32 v9, 0xff0000, v6
	v_and_b32_e32 v80, 0xff000000, v6
	;; [unrolled: 1-line block ×3, first 2 shown]
	v_or_b32_sdwa v6, v6, v9 dst_sel:DWORD dst_unused:UNUSED_PAD src0_sel:WORD_0 src1_sel:DWORD
	v_or3_b32 v7, 0, 0, v7
	v_or3_b32 v6, v6, v80, 0
	v_cmp_eq_u16_sdwa s[60:61], v8, v61 src0_sel:BYTE_0 src1_sel:DWORD
	s_and_saveexec_b64 s[0:1], s[60:61]
	s_cbranch_execz .LBB1940_177
; %bb.180:                              ;   in Loop: Header=BB1940_178 Depth=1
	s_mov_b64 s[60:61], 0
.LBB1940_181:                           ;   Parent Loop BB1940_178 Depth=1
                                        ; =>  This Inner Loop Header: Depth=2
	;;#ASMSTART
	global_load_dwordx4 v[6:9], v[62:63] off sc1	
s_waitcnt vmcnt(0)
	;;#ASMEND
	s_nop 0
	v_cmp_ne_u16_sdwa s[76:77], v8, v61 src0_sel:BYTE_0 src1_sel:DWORD
	s_or_b64 s[60:61], s[76:77], s[60:61]
	s_andn2_b64 exec, exec, s[60:61]
	s_cbranch_execnz .LBB1940_181
; %bb.182:                              ;   in Loop: Header=BB1940_178 Depth=1
	s_or_b64 exec, exec, s[60:61]
	v_and_b32_e32 v7, 0xff, v7
	s_branch .LBB1940_177
.LBB1940_183:                           ;   in Loop: Header=BB1940_178 Depth=1
                                        ; implicit-def: $vgpr7
                                        ; implicit-def: $vgpr6
                                        ; implicit-def: $vgpr8
	s_cbranch_execz .LBB1940_178
; %bb.184:
	s_and_saveexec_b64 s[0:1], s[50:51]
	s_cbranch_execz .LBB1940_186
; %bb.185:
	s_and_b32 s50, s68, 0xff
	s_cmp_eq_u32 s50, 0
	s_cselect_b64 vcc, -1, 0
	s_bitcmp1_b32 s68, 0
	s_mov_b32 s51, 0
	s_cselect_b64 s[58:59], -1, 0
	s_add_i32 s50, s67, 64
	s_lshl_b64 s[50:51], s[50:51], 4
	v_cndmask_b32_e32 v3, 0, v77, vcc
	s_add_u32 s50, s64, s50
	v_add_u32_e32 v2, v3, v2
	v_and_b32_e32 v3, 1, v75
	s_addc_u32 s51, s65, s51
	v_mov_b32_e32 v5, 0
	v_cndmask_b32_e64 v3, v3, 1, s[58:59]
	v_mov_b32_e32 v4, 2
	v_mov_b64_e32 v[6:7], s[50:51]
	;;#ASMSTART
	global_store_dwordx4 v[6:7], v[2:5] off sc1	
s_waitcnt vmcnt(0)
	;;#ASMEND
.LBB1940_186:
	s_or_b64 exec, exec, s[0:1]
	s_and_b64 exec, exec, s[52:53]
	s_cbranch_execz .LBB1940_188
; %bb.187:
	v_mov_b32_e32 v2, 0
	ds_write_b32 v2, v77
	ds_write_b8 v2, v75 offset:4
.LBB1940_188:
	s_or_b64 exec, exec, s[56:57]
	v_mov_b32_e32 v2, 0
	s_waitcnt lgkmcnt(0)
	s_barrier
	ds_read_b32 v3, v2
	v_cmp_eq_u16_sdwa vcc, v65, v2 src0_sel:BYTE_0 src1_sel:DWORD
	s_waitcnt lgkmcnt(0)
	s_nop 0
	v_cndmask_b32_e32 v4, 0, v3, vcc
	v_add_u32_e32 v4, v4, v64
	v_cndmask_b32_e64 v60, v4, v3, s[52:53]
	v_and_b32_e32 v3, 0xff, v13
	v_cmp_eq_u64_e32 vcc, 0, v[2:3]
	s_nop 1
	v_cndmask_b32_e32 v2, 0, v60, vcc
	v_add_u32_e32 v61, v2, v12
	v_cndmask_b32_e64 v2, 0, v61, s[6:7]
	v_add_u32_e32 v62, v2, v14
	v_cndmask_b32_e64 v2, 0, v62, s[8:9]
	;; [unrolled: 2-line block ×21, first 2 shown]
	v_add_u32_e32 v82, v2, v54
	s_branch .LBB1940_209
.LBB1940_189:
                                        ; implicit-def: $vgpr81
                                        ; implicit-def: $vgpr80
                                        ; implicit-def: $vgpr79
                                        ; implicit-def: $vgpr78
                                        ; implicit-def: $vgpr77
                                        ; implicit-def: $vgpr76
                                        ; implicit-def: $vgpr75
                                        ; implicit-def: $vgpr74
                                        ; implicit-def: $vgpr73
                                        ; implicit-def: $vgpr72
                                        ; implicit-def: $vgpr71
                                        ; implicit-def: $vgpr70
                                        ; implicit-def: $vgpr69
                                        ; implicit-def: $vgpr68
                                        ; implicit-def: $vgpr67
                                        ; implicit-def: $vgpr66
                                        ; implicit-def: $vgpr65
                                        ; implicit-def: $vgpr64
                                        ; implicit-def: $vgpr63
                                        ; implicit-def: $vgpr62
                                        ; implicit-def: $vgpr61
                                        ; implicit-def: $vgpr60
                                        ; implicit-def: $vgpr82
	s_cbranch_execz .LBB1940_209
; %bb.190:
	s_cmp_lg_u64 s[72:73], 0
	s_cselect_b32 s7, s71, 0
	s_cselect_b32 s6, s70, 0
	s_mov_b32 s0, 0
	s_cmp_eq_u64 s[6:7], 0
	v_mov_b32_e32 v4, s74
	s_cbranch_scc1 .LBB1940_192
; %bb.191:
	v_mov_b32_e32 v2, 0
	global_load_dword v4, v2, s[6:7]
.LBB1940_192:
	s_mov_b32 s1, 1
	v_cmp_gt_u64_e32 vcc, s[0:1], v[14:15]
	v_cmp_gt_u64_e64 s[6:7], s[0:1], v[16:17]
	v_cmp_gt_u64_e64 s[8:9], s[0:1], v[18:19]
	v_cndmask_b32_e32 v2, 0, v12, vcc
	v_add_u32_e32 v2, v2, v14
	v_cndmask_b32_e64 v2, 0, v2, s[6:7]
	v_add_u32_e32 v2, v2, v16
	v_cndmask_b32_e64 v2, 0, v2, s[8:9]
	v_add_u32_e32 v2, v2, v18
	v_cmp_gt_u64_e64 s[10:11], s[0:1], v[20:21]
	v_cmp_gt_u64_e64 s[12:13], s[0:1], v[22:23]
	v_cmp_gt_u64_e64 s[14:15], s[0:1], v[24:25]
	v_cndmask_b32_e64 v2, 0, v2, s[10:11]
	v_add_u32_e32 v2, v2, v20
	v_cndmask_b32_e64 v2, 0, v2, s[12:13]
	v_add_u32_e32 v2, v2, v22
	v_cndmask_b32_e64 v2, 0, v2, s[14:15]
	v_add_u32_e32 v2, v2, v24
	v_cmp_gt_u64_e64 s[16:17], s[0:1], v[26:27]
	v_cmp_gt_u64_e64 s[18:19], s[0:1], v[28:29]
	v_cmp_gt_u64_e64 s[20:21], s[0:1], v[30:31]
	v_cndmask_b32_e64 v2, 0, v2, s[16:17]
	;; [unrolled: 9-line block ×6, first 2 shown]
	v_add_u32_e32 v2, v2, v50
	v_cndmask_b32_e64 v2, 0, v2, s[44:45]
	v_add_u32_e32 v2, v2, v52
	v_cndmask_b32_e64 v2, 0, v2, s[46:47]
	v_add_u32_e32 v2, v2, v54
	v_cmp_gt_u64_e64 s[0:1], s[0:1], v[58:59]
	v_add_lshl_u32 v1, v1, v0, 3
	s_nop 0
	v_cndmask_b32_e64 v2, 0, v2, s[0:1]
	v_add_u32_e32 v5, v2, v58
	v_or3_b32 v2, v57, v53, v51
	v_or3_b32 v2, v2, v49, v47
	v_or3_b32 v2, v2, v45, v43
	v_or3_b32 v2, v2, v41, v39
	v_or3_b32 v2, v2, v37, v35
	v_or3_b32 v2, v2, v33, v31
	v_or3_b32 v2, v2, v29, v27
	v_or3_b32 v2, v2, v25, v23
	v_or3_b32 v2, v2, v21, v19
	v_or3_b32 v2, v2, v17, v15
	v_and_b32_e32 v2, 1, v2
	v_cmp_eq_u32_e64 s[0:1], 1, v2
	s_nop 1
	v_cndmask_b32_e64 v6, v13, 1, s[0:1]
	v_cmp_gt_u32_e64 s[0:1], 64, v0
	ds_write_b32 v1, v5
	ds_write_b8 v1, v6 offset:4
	s_waitcnt lgkmcnt(0)
	s_barrier
	s_and_saveexec_b64 s[48:49], s[0:1]
	s_cbranch_execz .LBB1940_204
; %bb.193:
	v_lshrrev_b32_e32 v1, 3, v0
	v_add_lshl_u32 v1, v1, v56, 3
	ds_read2_b32 v[8:9], v1 offset0:2 offset1:4
	ds_read_b64 v[2:3], v1
	ds_read_u8 v15, v1 offset:12
	ds_read_u8 v17, v1 offset:20
	ds_read_b32 v19, v1 offset:24
	ds_read_u8 v21, v1 offset:28
	v_mov_b32_e32 v23, 0
	s_waitcnt lgkmcnt(3)
	v_cmp_eq_u16_sdwa s[0:1], v15, v23 src0_sel:BYTE_0 src1_sel:DWORD
	v_and_b32_e32 v7, 1, v3
	s_nop 0
	v_cndmask_b32_e64 v25, 0, v2, s[0:1]
	v_add_u32_e32 v8, v25, v8
	s_waitcnt lgkmcnt(2)
	v_cmp_eq_u16_sdwa s[0:1], v17, v23 src0_sel:BYTE_0 src1_sel:DWORD
	s_nop 1
	v_cndmask_b32_e64 v8, 0, v8, s[0:1]
	v_add_u32_e32 v8, v8, v9
	s_waitcnt lgkmcnt(0)
	v_cmp_eq_u16_e64 s[0:1], 0, v21
	s_nop 1
	v_cndmask_b32_e64 v8, 0, v8, s[0:1]
	v_add_u32_e32 v9, v8, v19
	v_or_b32_e32 v8, v21, v17
	v_or_b32_e32 v8, v8, v15
	v_and_b32_e32 v8, 1, v8
	v_cmp_eq_u32_e64 s[0:1], 1, v8
	v_mbcnt_lo_u32_b32 v15, -1, 0
	v_and_b32_e32 v8, 0xffffff00, v3
	v_cndmask_b32_e64 v17, v7, 1, s[0:1]
	v_mbcnt_hi_u32_b32 v15, -1, v15
	v_and_b32_e32 v21, 15, v15
	v_or_b32_sdwa v19, v8, v17 dst_sel:DWORD dst_unused:UNUSED_PAD src0_sel:DWORD src1_sel:WORD_0
	v_mov_b32_dpp v23, v9 row_shr:1 row_mask:0xf bank_mask:0xf
	v_cmp_ne_u32_e64 s[0:1], 0, v21
	v_mov_b32_dpp v25, v19 row_shr:1 row_mask:0xf bank_mask:0xf
	s_and_saveexec_b64 s[50:51], s[0:1]
; %bb.194:
	v_and_b32_e32 v19, 1, v17
	v_and_b32_e32 v25, 1, v25
	v_cmp_eq_u32_e64 s[0:1], 1, v19
	s_nop 1
	v_cndmask_b32_e64 v25, v25, 1, s[0:1]
	v_cmp_eq_u16_e64 s[0:1], 0, v17
	v_or_b32_sdwa v19, v8, v25 dst_sel:DWORD dst_unused:UNUSED_PAD src0_sel:DWORD src1_sel:WORD_0
	s_nop 0
	v_cndmask_b32_e64 v17, 0, v23, s[0:1]
	v_add_u32_e32 v9, v17, v9
	v_mov_b32_e32 v17, v25
; %bb.195:
	s_or_b64 exec, exec, s[50:51]
	v_mov_b32_dpp v23, v9 row_shr:2 row_mask:0xf bank_mask:0xf
	v_mov_b32_dpp v25, v19 row_shr:2 row_mask:0xf bank_mask:0xf
	v_cmp_lt_u32_e64 s[0:1], 1, v21
	s_and_saveexec_b64 s[50:51], s[0:1]
; %bb.196:
	v_and_b32_e32 v19, 1, v17
	v_and_b32_e32 v25, 1, v25
	v_cmp_eq_u32_e64 s[0:1], 1, v19
	s_nop 1
	v_cndmask_b32_e64 v25, v25, 1, s[0:1]
	v_cmp_eq_u16_e64 s[0:1], 0, v17
	v_or_b32_sdwa v19, v8, v25 dst_sel:DWORD dst_unused:UNUSED_PAD src0_sel:DWORD src1_sel:WORD_0
	s_nop 0
	v_cndmask_b32_e64 v17, 0, v23, s[0:1]
	v_add_u32_e32 v9, v17, v9
	v_mov_b32_e32 v17, v25
; %bb.197:
	s_or_b64 exec, exec, s[50:51]
	v_mov_b32_dpp v23, v9 row_shr:4 row_mask:0xf bank_mask:0xf
	v_mov_b32_dpp v25, v19 row_shr:4 row_mask:0xf bank_mask:0xf
	v_cmp_lt_u32_e64 s[0:1], 3, v21
	;; [unrolled: 18-line block ×3, first 2 shown]
	s_and_saveexec_b64 s[50:51], s[0:1]
; %bb.200:
	v_and_b32_e32 v19, 1, v17
	v_and_b32_e32 v21, 1, v25
	v_cmp_eq_u32_e64 s[0:1], 1, v19
	s_nop 1
	v_cndmask_b32_e64 v21, v21, 1, s[0:1]
	v_cmp_eq_u16_e64 s[0:1], 0, v17
	v_or_b32_sdwa v19, v8, v21 dst_sel:DWORD dst_unused:UNUSED_PAD src0_sel:DWORD src1_sel:WORD_0
	s_nop 0
	v_cndmask_b32_e64 v17, 0, v23, s[0:1]
	v_add_u32_e32 v9, v17, v9
	v_mov_b32_e32 v17, v21
; %bb.201:
	s_or_b64 exec, exec, s[50:51]
	v_and_b32_e32 v25, 16, v15
	v_mov_b32_dpp v21, v9 row_bcast:15 row_mask:0xf bank_mask:0xf
	v_mov_b32_dpp v23, v19 row_bcast:15 row_mask:0xf bank_mask:0xf
	v_cmp_ne_u32_e64 s[0:1], 0, v25
	s_and_saveexec_b64 s[50:51], s[0:1]
; %bb.202:
	v_and_b32_e32 v19, 1, v17
	v_and_b32_e32 v23, 1, v23
	v_cmp_eq_u32_e64 s[0:1], 1, v19
	s_nop 1
	v_cndmask_b32_e64 v23, v23, 1, s[0:1]
	v_cmp_eq_u16_e64 s[0:1], 0, v17
	v_or_b32_sdwa v19, v8, v23 dst_sel:DWORD dst_unused:UNUSED_PAD src0_sel:DWORD src1_sel:WORD_0
	s_nop 0
	v_cndmask_b32_e64 v17, 0, v21, s[0:1]
	v_add_u32_e32 v9, v17, v9
	v_mov_b32_e32 v17, v23
; %bb.203:
	s_or_b64 exec, exec, s[50:51]
	v_mov_b32_dpp v19, v19 row_bcast:31 row_mask:0xf bank_mask:0xf
	v_and_b32_e32 v23, 1, v17
	v_and_b32_e32 v19, 1, v19
	v_cmp_eq_u32_e64 s[0:1], 1, v23
	v_mov_b32_e32 v23, 0
	v_cmp_eq_u16_sdwa s[50:51], v17, v23 src0_sel:BYTE_0 src1_sel:DWORD
	v_cndmask_b32_e64 v19, v19, 1, s[0:1]
	v_cmp_lt_u32_e64 s[0:1], 31, v15
	v_mov_b32_dpp v21, v9 row_bcast:31 row_mask:0xf bank_mask:0xf
	s_movk_i32 s56, 0xff
	v_cndmask_b32_e64 v17, v17, v19, s[0:1]
	s_and_b64 s[0:1], s[0:1], s[50:51]
	v_cndmask_b32_e64 v19, 0, v21, s[0:1]
	v_add_u32_e32 v9, v19, v9
	v_add_u32_e32 v19, -1, v15
	v_and_b32_e32 v21, 64, v15
	v_cmp_lt_i32_e64 s[0:1], v19, v21
	v_and_or_b32 v8, v17, s56, v8
	s_nop 0
	v_cndmask_b32_e64 v15, v19, v15, s[0:1]
	v_lshlrev_b32_e32 v15, 2, v15
	ds_bpermute_b32 v9, v15, v9
	ds_bpermute_b32 v8, v15, v8
	v_cmp_eq_u16_sdwa s[0:1], v3, v23 src0_sel:BYTE_0 src1_sel:DWORD
	; wave barrier
	s_waitcnt lgkmcnt(1)
	s_nop 0
	v_cndmask_b32_e64 v3, 0, v9, s[0:1]
	v_add_u32_e32 v2, v3, v2
	s_waitcnt lgkmcnt(0)
	v_and_b32_e32 v3, 1, v8
	v_cmp_eq_u32_e64 s[0:1], 1, v7
	v_cndmask_b32_e64 v5, v2, v5, s[52:53]
	s_nop 0
	v_cndmask_b32_e64 v3, v3, 1, s[0:1]
	v_cndmask_b32_e64 v6, v3, v6, s[52:53]
	ds_write_b32 v1, v5
	ds_write_b8 v1, v6 offset:4
	; wave barrier
	ds_read_u8 v7, v1 offset:12
	ds_read2_b32 v[2:3], v1 offset0:2 offset1:4
	ds_read_u8 v8, v1 offset:20
	ds_read_b32 v9, v1 offset:24
	ds_read_u8 v15, v1 offset:28
	s_waitcnt lgkmcnt(4)
	v_cmp_eq_u16_e64 s[0:1], 0, v7
	s_nop 1
	v_cndmask_b32_e64 v5, 0, v5, s[0:1]
	s_waitcnt lgkmcnt(3)
	v_add_u32_e32 v2, v5, v2
	v_and_b32_e32 v5, 1, v7
	v_cmp_eq_u32_e64 s[0:1], 1, v5
	s_nop 1
	v_cndmask_b32_e64 v5, v6, 1, s[0:1]
	s_waitcnt lgkmcnt(2)
	v_cmp_eq_u16_e64 s[0:1], 0, v8
	ds_write_b8 v1, v5 offset:12
	s_nop 0
	v_cndmask_b32_e64 v6, 0, v2, s[0:1]
	v_add_u32_e32 v3, v6, v3
	v_and_b32_e32 v6, 1, v8
	v_cmp_eq_u32_e64 s[0:1], 1, v6
	s_nop 1
	v_cndmask_b32_e64 v5, v5, 1, s[0:1]
	s_waitcnt lgkmcnt(1)
	v_cmp_eq_u16_e64 s[0:1], 0, v15
	ds_write2_b32 v1, v2, v3 offset0:2 offset1:4
	ds_write_b8 v1, v5 offset:20
	v_cndmask_b32_e64 v2, 0, v3, s[0:1]
	v_and_b32_e32 v3, 1, v15
	v_add_u32_e32 v2, v2, v9
	v_cmp_eq_u32_e64 s[0:1], 1, v3
	s_nop 1
	v_cndmask_b32_e64 v3, v5, 1, s[0:1]
	ds_write_b32 v1, v2 offset:24
	ds_write_b8 v1, v3 offset:28
.LBB1940_204:
	s_or_b64 exec, exec, s[48:49]
	s_waitcnt vmcnt(0)
	v_mov_b32_e32 v60, v4
	s_waitcnt lgkmcnt(0)
	s_barrier
	s_and_saveexec_b64 s[48:49], s[4:5]
	s_cbranch_execz .LBB1940_206
; %bb.205:
	v_add_u32_e32 v1, -1, v0
	v_lshrrev_b32_e32 v2, 5, v1
	v_add_lshl_u32 v1, v2, v1, 3
	ds_read_u8 v2, v1 offset:4
	ds_read_b32 v1, v1
	s_waitcnt lgkmcnt(1)
	v_cmp_eq_u16_e64 s[0:1], 0, v2
	s_nop 1
	v_cndmask_b32_e64 v2, 0, v4, s[0:1]
	s_waitcnt lgkmcnt(0)
	v_add_u32_e32 v60, v2, v1
.LBB1940_206:
	s_or_b64 exec, exec, s[48:49]
	v_and_b32_e32 v3, 0xff, v13
	v_mov_b32_e32 v2, 0
	v_cmp_eq_u64_e64 s[0:1], 0, v[2:3]
	s_nop 1
	v_cndmask_b32_e64 v1, 0, v60, s[0:1]
	v_add_u32_e32 v61, v1, v12
	v_cndmask_b32_e32 v1, 0, v61, vcc
	v_add_u32_e32 v62, v1, v14
	v_cndmask_b32_e64 v1, 0, v62, s[6:7]
	v_add_u32_e32 v63, v1, v16
	v_cndmask_b32_e64 v1, 0, v63, s[8:9]
	;; [unrolled: 2-line block ×20, first 2 shown]
	s_and_saveexec_b64 s[0:1], s[52:53]
	s_cbranch_execz .LBB1940_208
; %bb.207:
	ds_read_u8 v3, v2 offset:2100
	ds_read_b32 v5, v2 offset:2096
	s_add_u32 s4, s64, 0x400
	s_addc_u32 s5, s65, 0
	v_mov_b32_e32 v6, 2
	s_waitcnt lgkmcnt(1)
	v_cmp_eq_u16_e32 vcc, 0, v3
	v_mov_b32_e32 v7, v2
	s_nop 0
	v_cndmask_b32_e32 v4, 0, v4, vcc
	s_waitcnt lgkmcnt(0)
	v_add_u32_e32 v4, v4, v5
	v_and_b32_e32 v5, 0xffff, v3
	v_mov_b64_e32 v[2:3], s[4:5]
	;;#ASMSTART
	global_store_dwordx4 v[2:3], v[4:7] off sc1	
s_waitcnt vmcnt(0)
	;;#ASMEND
.LBB1940_208:
	s_or_b64 exec, exec, s[0:1]
	v_add_u32_e32 v82, v1, v54
.LBB1940_209:
	s_add_u32 s0, s62, s54
	s_addc_u32 s1, s63, s55
	v_lshl_add_u64 v[2:3], s[0:1], 0, v[10:11]
	s_and_b64 vcc, exec, s[2:3]
	s_cbranch_vccz .LBB1940_297
; %bb.210:
	s_add_i32 s33, s33, s66
	v_mul_u32_u24_e32 v1, 23, v0
	v_cmp_gt_u32_e32 vcc, s33, v1
	v_mov_b32_e32 v57, 0
	v_mov_b32_e32 v11, 0
	v_mov_b32_e32 v26, 0
	v_mov_b32_e32 v25, 0
	v_mov_b32_e32 v24, 0
	v_mov_b32_e32 v23, 0
	v_mov_b32_e32 v22, 0
	v_mov_b32_e32 v21, 0
	v_mov_b32_e32 v20, 0
	v_mov_b32_e32 v19, 0
	v_mov_b32_e32 v18, 0
	v_mov_b32_e32 v17, 0
	v_mov_b32_e32 v16, 0
	v_mov_b32_e32 v15, 0
	v_mov_b32_e32 v14, 0
	v_mov_b32_e32 v13, 0
	v_mov_b32_e32 v12, 0
	v_mov_b32_e32 v10, 0
	v_mov_b32_e32 v9, 0
	v_mov_b32_e32 v8, 0
	v_mov_b32_e32 v7, 0
	v_mov_b32_e32 v6, 0
	v_mov_b32_e32 v5, 0
	v_mov_b32_e32 v4, 0
	s_and_saveexec_b64 s[2:3], vcc
	s_cbranch_execz .LBB1940_252
; %bb.211:
	v_add_u32_e32 v4, 1, v1
	v_cmp_gt_u32_e32 vcc, s33, v4
	v_mov_b32_e32 v4, 0
	v_mov_b32_e32 v5, 0
	;; [unrolled: 1-line block ×22, first 2 shown]
	s_and_saveexec_b64 s[4:5], vcc
	s_cbranch_execz .LBB1940_251
; %bb.212:
	v_add_u32_e32 v4, 2, v1
	v_cmp_gt_u32_e32 vcc, s33, v4
	v_mov_b32_e32 v4, 0
	v_mov_b32_e32 v5, 0
	;; [unrolled: 1-line block ×21, first 2 shown]
	s_and_saveexec_b64 s[6:7], vcc
	s_cbranch_execz .LBB1940_250
; %bb.213:
	v_add_u32_e32 v4, 3, v1
	v_cmp_gt_u32_e32 vcc, s33, v4
	v_mov_b32_e32 v4, 0
	v_mov_b32_e32 v5, 0
	;; [unrolled: 1-line block ×20, first 2 shown]
	s_and_saveexec_b64 s[8:9], vcc
	s_cbranch_execz .LBB1940_249
; %bb.214:
	v_add_u32_e32 v4, 4, v1
	v_cmp_gt_u32_e32 vcc, s33, v4
	v_mov_b32_e32 v4, 0
	v_mov_b32_e32 v5, 0
	;; [unrolled: 1-line block ×19, first 2 shown]
	s_and_saveexec_b64 s[10:11], vcc
	s_cbranch_execz .LBB1940_248
; %bb.215:
	v_add_u32_e32 v4, 5, v1
	v_cmp_gt_u32_e32 vcc, s33, v4
	v_mov_b32_e32 v4, 0
	v_mov_b32_e32 v5, 0
	;; [unrolled: 1-line block ×18, first 2 shown]
	s_and_saveexec_b64 s[12:13], vcc
	s_cbranch_execz .LBB1940_247
; %bb.216:
	v_add_u32_e32 v4, 6, v1
	v_cmp_gt_u32_e32 vcc, s33, v4
	v_mov_b32_e32 v4, 0
	v_mov_b32_e32 v5, 0
	;; [unrolled: 1-line block ×17, first 2 shown]
	s_and_saveexec_b64 s[14:15], vcc
	s_cbranch_execz .LBB1940_246
; %bb.217:
	v_add_u32_e32 v4, 7, v1
	v_cmp_gt_u32_e32 vcc, s33, v4
	v_mov_b32_e32 v4, 0
	v_mov_b32_e32 v5, 0
	;; [unrolled: 1-line block ×16, first 2 shown]
	s_and_saveexec_b64 s[16:17], vcc
	s_cbranch_execz .LBB1940_245
; %bb.218:
	v_add_u32_e32 v4, 8, v1
	v_cmp_gt_u32_e32 vcc, s33, v4
	v_mov_b32_e32 v4, 0
	v_mov_b32_e32 v5, 0
	;; [unrolled: 1-line block ×15, first 2 shown]
	s_and_saveexec_b64 s[18:19], vcc
	s_cbranch_execz .LBB1940_244
; %bb.219:
	v_add_u32_e32 v4, 9, v1
	v_cmp_gt_u32_e32 vcc, s33, v4
	v_mov_b32_e32 v4, 0
	v_mov_b32_e32 v5, 0
	;; [unrolled: 1-line block ×14, first 2 shown]
	s_and_saveexec_b64 s[20:21], vcc
	s_cbranch_execz .LBB1940_243
; %bb.220:
	v_add_u32_e32 v4, 10, v1
	v_cmp_gt_u32_e32 vcc, s33, v4
	v_mov_b32_e32 v4, 0
	v_mov_b32_e32 v5, 0
	;; [unrolled: 1-line block ×13, first 2 shown]
	s_and_saveexec_b64 s[22:23], vcc
	s_cbranch_execz .LBB1940_242
; %bb.221:
	v_add_u32_e32 v4, 11, v1
	v_cmp_gt_u32_e32 vcc, s33, v4
	v_mov_b32_e32 v4, 0
	v_mov_b32_e32 v5, 0
	;; [unrolled: 1-line block ×12, first 2 shown]
	s_and_saveexec_b64 s[24:25], vcc
	s_cbranch_execz .LBB1940_241
; %bb.222:
	v_add_u32_e32 v4, 12, v1
	v_cmp_gt_u32_e32 vcc, s33, v4
	v_mov_b32_e32 v4, 0
	v_mov_b32_e32 v5, 0
	;; [unrolled: 1-line block ×11, first 2 shown]
	s_and_saveexec_b64 s[26:27], vcc
	s_cbranch_execz .LBB1940_240
; %bb.223:
	v_add_u32_e32 v4, 13, v1
	v_cmp_gt_u32_e32 vcc, s33, v4
	v_mov_b32_e32 v4, 0
	v_mov_b32_e32 v5, 0
	v_mov_b32_e32 v6, 0
	v_mov_b32_e32 v7, 0
	v_mov_b32_e32 v8, 0
	v_mov_b32_e32 v9, 0
	v_mov_b32_e32 v10, 0
	v_mov_b32_e32 v12, 0
	v_mov_b32_e32 v13, 0
	v_mov_b32_e32 v11, 0
	s_and_saveexec_b64 s[28:29], vcc
	s_cbranch_execz .LBB1940_239
; %bb.224:
	v_add_u32_e32 v4, 14, v1
	v_cmp_gt_u32_e32 vcc, s33, v4
	v_mov_b32_e32 v4, 0
	v_mov_b32_e32 v5, 0
	;; [unrolled: 1-line block ×9, first 2 shown]
	s_and_saveexec_b64 s[30:31], vcc
	s_cbranch_execz .LBB1940_238
; %bb.225:
	v_add_u32_e32 v4, 15, v1
	v_cmp_gt_u32_e32 vcc, s33, v4
	v_mov_b32_e32 v4, 0
	v_mov_b32_e32 v5, 0
	v_mov_b32_e32 v6, 0
	v_mov_b32_e32 v7, 0
	v_mov_b32_e32 v8, 0
	v_mov_b32_e32 v9, 0
	v_mov_b32_e32 v10, 0
	v_mov_b32_e32 v11, 0
	s_and_saveexec_b64 s[34:35], vcc
	s_cbranch_execz .LBB1940_237
; %bb.226:
	v_add_u32_e32 v4, 16, v1
	v_cmp_gt_u32_e32 vcc, s33, v4
	v_mov_b32_e32 v4, 0
	v_mov_b32_e32 v5, 0
	;; [unrolled: 1-line block ×7, first 2 shown]
	s_and_saveexec_b64 s[36:37], vcc
	s_cbranch_execz .LBB1940_236
; %bb.227:
	v_add_u32_e32 v4, 17, v1
	v_cmp_gt_u32_e32 vcc, s33, v4
	v_mov_b32_e32 v4, 0
	v_mov_b32_e32 v5, 0
	;; [unrolled: 1-line block ×6, first 2 shown]
	s_and_saveexec_b64 s[38:39], vcc
	s_cbranch_execz .LBB1940_235
; %bb.228:
	v_add_u32_e32 v4, 18, v1
	v_cmp_gt_u32_e32 vcc, s33, v4
	v_mov_b32_e32 v4, 0
	v_mov_b32_e32 v5, 0
	;; [unrolled: 1-line block ×5, first 2 shown]
	s_and_saveexec_b64 s[40:41], vcc
	s_cbranch_execz .LBB1940_234
; %bb.229:
	v_add_u32_e32 v4, 19, v1
	v_cmp_gt_u32_e32 vcc, s33, v4
	v_mov_b32_e32 v4, 0
	v_mov_b32_e32 v5, 0
	;; [unrolled: 1-line block ×4, first 2 shown]
	s_and_saveexec_b64 s[42:43], vcc
	s_cbranch_execz .LBB1940_233
; %bb.230:
	v_add_u32_e32 v4, 20, v1
	v_cmp_gt_u32_e32 vcc, s33, v4
	v_mov_b32_e32 v4, 0
	v_mov_b32_e32 v5, 0
	;; [unrolled: 1-line block ×3, first 2 shown]
	s_and_saveexec_b64 s[44:45], vcc
; %bb.231:
	v_add_u32_e32 v4, 21, v1
	v_add_u32_e32 v5, 22, v1
	v_cmp_gt_u32_e32 vcc, s33, v4
	v_cmp_gt_u32_e64 s[0:1], s33, v5
	v_mov_b32_e32 v5, v80
	v_cndmask_b32_e32 v4, 0, v81, vcc
	s_and_b64 vcc, vcc, s[0:1]
	v_cndmask_b32_e32 v11, 0, v82, vcc
; %bb.232:
	s_or_b64 exec, exec, s[44:45]
	v_mov_b32_e32 v6, v79
.LBB1940_233:
	s_or_b64 exec, exec, s[42:43]
	v_mov_b32_e32 v7, v78
.LBB1940_234:
	s_or_b64 exec, exec, s[40:41]
	v_mov_b32_e32 v8, v77
.LBB1940_235:
	s_or_b64 exec, exec, s[38:39]
	v_mov_b32_e32 v9, v76
.LBB1940_236:
	s_or_b64 exec, exec, s[36:37]
	v_mov_b32_e32 v10, v75
.LBB1940_237:
	s_or_b64 exec, exec, s[34:35]
	v_mov_b32_e32 v12, v74
.LBB1940_238:
	s_or_b64 exec, exec, s[30:31]
	v_mov_b32_e32 v13, v73
.LBB1940_239:
	s_or_b64 exec, exec, s[28:29]
	v_mov_b32_e32 v14, v72
.LBB1940_240:
	s_or_b64 exec, exec, s[26:27]
	v_mov_b32_e32 v15, v71
.LBB1940_241:
	s_or_b64 exec, exec, s[24:25]
	v_mov_b32_e32 v16, v70
.LBB1940_242:
	s_or_b64 exec, exec, s[22:23]
	v_mov_b32_e32 v17, v69
.LBB1940_243:
	s_or_b64 exec, exec, s[20:21]
	v_mov_b32_e32 v18, v68
.LBB1940_244:
	s_or_b64 exec, exec, s[18:19]
	v_mov_b32_e32 v19, v67
.LBB1940_245:
	s_or_b64 exec, exec, s[16:17]
	v_mov_b32_e32 v20, v66
.LBB1940_246:
	s_or_b64 exec, exec, s[14:15]
	v_mov_b32_e32 v21, v65
.LBB1940_247:
	s_or_b64 exec, exec, s[12:13]
	v_mov_b32_e32 v22, v64
.LBB1940_248:
	s_or_b64 exec, exec, s[10:11]
	v_mov_b32_e32 v23, v63
.LBB1940_249:
	s_or_b64 exec, exec, s[8:9]
	v_mov_b32_e32 v24, v62
.LBB1940_250:
	s_or_b64 exec, exec, s[6:7]
	v_mov_b32_e32 v25, v61
.LBB1940_251:
	s_or_b64 exec, exec, s[4:5]
	v_mov_b32_e32 v26, v60
.LBB1940_252:
	s_or_b64 exec, exec, s[2:3]
	v_lshlrev_b32_e32 v1, 2, v1
	s_movk_i32 s0, 0xffa8
	s_barrier
	ds_write2_b32 v1, v26, v25 offset1:1
	ds_write2_b32 v1, v24, v23 offset0:2 offset1:3
	ds_write2_b32 v1, v22, v21 offset0:4 offset1:5
	;; [unrolled: 1-line block ×10, first 2 shown]
	ds_write_b32 v1, v11 offset:88
	v_mad_i32_i24 v4, v0, s0, v1
	s_waitcnt lgkmcnt(0)
	s_barrier
	ds_read2st64_b32 v[26:27], v4 offset0:4 offset1:8
	ds_read2st64_b32 v[24:25], v4 offset0:12 offset1:16
	;; [unrolled: 1-line block ×11, first 2 shown]
	v_lshl_add_u64 v[6:7], v[2:3], 0, v[56:57]
	v_cmp_gt_u32_e32 vcc, s33, v0
	s_and_saveexec_b64 s[0:1], vcc
	s_cbranch_execz .LBB1940_254
; %bb.253:
	v_mul_i32_i24_e32 v28, 0xffffffa8, v0
	v_add_u32_e32 v1, v1, v28
	ds_read_b32 v1, v1
	s_waitcnt lgkmcnt(0)
	flat_store_dword v[6:7], v1
.LBB1940_254:
	s_or_b64 exec, exec, s[0:1]
	v_or_b32_e32 v1, 0x100, v0
	v_cmp_gt_u32_e32 vcc, s33, v1
	s_and_saveexec_b64 s[0:1], vcc
	s_cbranch_execz .LBB1940_256
; %bb.255:
	s_waitcnt lgkmcnt(0)
	flat_store_dword v[6:7], v26 offset:1024
.LBB1940_256:
	s_or_b64 exec, exec, s[0:1]
	v_or_b32_e32 v1, 0x200, v0
	v_cmp_gt_u32_e32 vcc, s33, v1
	s_and_saveexec_b64 s[0:1], vcc
	s_cbranch_execz .LBB1940_258
; %bb.257:
	s_waitcnt lgkmcnt(0)
	flat_store_dword v[6:7], v27 offset:2048
.LBB1940_258:
	;; [unrolled: 9-line block ×3, first 2 shown]
	s_or_b64 exec, exec, s[0:1]
	v_or_b32_e32 v1, 0x400, v0
	v_cmp_gt_u32_e32 vcc, s33, v1
	s_and_saveexec_b64 s[0:1], vcc
	s_cbranch_execz .LBB1940_262
; %bb.261:
	s_waitcnt lgkmcnt(0)
	v_add_co_u32_e32 v26, vcc, 0x1000, v6
	s_nop 1
	v_addc_co_u32_e32 v27, vcc, 0, v7, vcc
	flat_store_dword v[26:27], v25
.LBB1940_262:
	s_or_b64 exec, exec, s[0:1]
	v_or_b32_e32 v1, 0x500, v0
	v_cmp_gt_u32_e32 vcc, s33, v1
	s_and_saveexec_b64 s[0:1], vcc
	s_cbranch_execz .LBB1940_264
; %bb.263:
	s_waitcnt lgkmcnt(0)
	v_add_co_u32_e32 v24, vcc, 0x1000, v6
	s_nop 1
	v_addc_co_u32_e32 v25, vcc, 0, v7, vcc
	flat_store_dword v[24:25], v22 offset:1024
.LBB1940_264:
	s_or_b64 exec, exec, s[0:1]
	v_or_b32_e32 v1, 0x600, v0
	v_cmp_gt_u32_e32 vcc, s33, v1
	s_and_saveexec_b64 s[0:1], vcc
	s_cbranch_execz .LBB1940_266
; %bb.265:
	s_waitcnt lgkmcnt(0)
	v_add_co_u32_e32 v24, vcc, 0x1000, v6
	s_nop 1
	v_addc_co_u32_e32 v25, vcc, 0, v7, vcc
	flat_store_dword v[24:25], v23 offset:2048
.LBB1940_266:
	s_or_b64 exec, exec, s[0:1]
	v_or_b32_e32 v1, 0x700, v0
	v_cmp_gt_u32_e32 vcc, s33, v1
	s_and_saveexec_b64 s[0:1], vcc
	s_cbranch_execz .LBB1940_268
; %bb.267:
	s_waitcnt lgkmcnt(0)
	v_add_co_u32_e32 v22, vcc, 0x1000, v6
	s_nop 1
	v_addc_co_u32_e32 v23, vcc, 0, v7, vcc
	flat_store_dword v[22:23], v20 offset:3072
.LBB1940_268:
	s_or_b64 exec, exec, s[0:1]
	v_or_b32_e32 v1, 0x800, v0
	v_cmp_gt_u32_e32 vcc, s33, v1
	s_and_saveexec_b64 s[0:1], vcc
	s_cbranch_execz .LBB1940_270
; %bb.269:
	s_waitcnt lgkmcnt(0)
	v_add_co_u32_e32 v22, vcc, 0x2000, v6
	s_nop 1
	v_addc_co_u32_e32 v23, vcc, 0, v7, vcc
	flat_store_dword v[22:23], v21
.LBB1940_270:
	s_or_b64 exec, exec, s[0:1]
	v_or_b32_e32 v1, 0x900, v0
	v_cmp_gt_u32_e32 vcc, s33, v1
	s_and_saveexec_b64 s[0:1], vcc
	s_cbranch_execz .LBB1940_272
; %bb.271:
	s_waitcnt lgkmcnt(0)
	v_add_co_u32_e32 v20, vcc, 0x2000, v6
	s_nop 1
	v_addc_co_u32_e32 v21, vcc, 0, v7, vcc
	flat_store_dword v[20:21], v18 offset:1024
.LBB1940_272:
	s_or_b64 exec, exec, s[0:1]
	v_or_b32_e32 v1, 0xa00, v0
	v_cmp_gt_u32_e32 vcc, s33, v1
	s_and_saveexec_b64 s[0:1], vcc
	s_cbranch_execz .LBB1940_274
; %bb.273:
	s_waitcnt lgkmcnt(0)
	v_add_co_u32_e32 v20, vcc, 0x2000, v6
	s_nop 1
	v_addc_co_u32_e32 v21, vcc, 0, v7, vcc
	flat_store_dword v[20:21], v19 offset:2048
.LBB1940_274:
	s_or_b64 exec, exec, s[0:1]
	v_or_b32_e32 v1, 0xb00, v0
	v_cmp_gt_u32_e32 vcc, s33, v1
	s_and_saveexec_b64 s[0:1], vcc
	s_cbranch_execz .LBB1940_276
; %bb.275:
	s_waitcnt lgkmcnt(0)
	v_add_co_u32_e32 v18, vcc, 0x2000, v6
	s_nop 1
	v_addc_co_u32_e32 v19, vcc, 0, v7, vcc
	flat_store_dword v[18:19], v16 offset:3072
.LBB1940_276:
	;; [unrolled: 48-line block ×4, first 2 shown]
	s_or_b64 exec, exec, s[0:1]
	v_or_b32_e32 v1, 0x1400, v0
	v_cmp_gt_u32_e32 vcc, s33, v1
	s_and_saveexec_b64 s[0:1], vcc
	s_cbranch_execz .LBB1940_294
; %bb.293:
	s_waitcnt lgkmcnt(0)
	v_add_co_u32_e32 v10, vcc, 0x5000, v6
	s_nop 1
	v_addc_co_u32_e32 v11, vcc, 0, v7, vcc
	flat_store_dword v[10:11], v9
.LBB1940_294:
	s_or_b64 exec, exec, s[0:1]
	v_or_b32_e32 v1, 0x1500, v0
	v_cmp_gt_u32_e32 vcc, s33, v1
	s_and_saveexec_b64 s[0:1], vcc
	s_cbranch_execz .LBB1940_296
; %bb.295:
	v_add_co_u32_e32 v6, vcc, 0x5000, v6
	s_nop 1
	v_addc_co_u32_e32 v7, vcc, 0, v7, vcc
	s_waitcnt lgkmcnt(0)
	flat_store_dword v[6:7], v4 offset:1024
.LBB1940_296:
	s_or_b64 exec, exec, s[0:1]
	s_waitcnt lgkmcnt(0)
	v_or_b32_e32 v4, 0x1600, v0
	v_mov_b32_e32 v1, v57
	v_cmp_gt_u32_e64 s[0:1], s33, v4
	s_branch .LBB1940_299
.LBB1940_297:
	s_mov_b64 s[0:1], 0
                                        ; implicit-def: $vgpr5
	s_cbranch_execz .LBB1940_299
; %bb.298:
	v_mul_u32_u24_e32 v1, 0x5c, v0
	s_barrier
	s_movk_i32 s2, 0x5c
	ds_write2_b32 v1, v60, v61 offset1:1
	ds_write2_b32 v1, v62, v63 offset0:2 offset1:3
	ds_write2_b32 v1, v64, v65 offset0:4 offset1:5
	;; [unrolled: 1-line block ×10, first 2 shown]
	ds_write_b32 v1, v82 offset:88
	v_mov_b32_e32 v1, 0
	v_mul_i32_i24_e32 v4, 0xffffffa8, v0
	v_mad_u32_u24 v4, v0, s2, v4
	v_mov_b32_e32 v57, v1
	s_waitcnt lgkmcnt(0)
	s_barrier
	ds_read2st64_b32 v[6:7], v4 offset1:4
	ds_read2st64_b32 v[8:9], v4 offset0:8 offset1:12
	ds_read2st64_b32 v[10:11], v4 offset0:16 offset1:20
	;; [unrolled: 1-line block ×10, first 2 shown]
	ds_read_b32 v5, v4 offset:22528
	v_lshl_add_u64 v[28:29], v[2:3], 0, v[56:57]
	s_movk_i32 s2, 0x1000
	s_waitcnt lgkmcnt(0)
	flat_store_dword v[28:29], v6
	flat_store_dword v[28:29], v7 offset:1024
	flat_store_dword v[28:29], v8 offset:2048
	;; [unrolled: 1-line block ×3, first 2 shown]
	v_add_co_u32_e32 v6, vcc, s2, v28
	s_movk_i32 s2, 0x2000
	s_nop 0
	v_addc_co_u32_e32 v7, vcc, 0, v29, vcc
	flat_store_dword v[6:7], v10
	flat_store_dword v[6:7], v11 offset:1024
	flat_store_dword v[6:7], v12 offset:2048
	;; [unrolled: 1-line block ×3, first 2 shown]
	v_add_co_u32_e32 v6, vcc, s2, v28
	s_movk_i32 s2, 0x3000
	s_nop 0
	v_addc_co_u32_e32 v7, vcc, 0, v29, vcc
	flat_store_dword v[6:7], v14
	flat_store_dword v[6:7], v15 offset:1024
	flat_store_dword v[6:7], v16 offset:2048
	;; [unrolled: 1-line block ×3, first 2 shown]
	v_add_co_u32_e32 v6, vcc, s2, v28
	s_or_b64 s[0:1], s[0:1], exec
	s_nop 0
	v_addc_co_u32_e32 v7, vcc, 0, v29, vcc
	flat_store_dword v[6:7], v18
	flat_store_dword v[6:7], v19 offset:1024
	flat_store_dword v[6:7], v20 offset:2048
	flat_store_dword v[6:7], v21 offset:3072
	v_add_co_u32_e32 v6, vcc, 0x4000, v28
	s_nop 1
	v_addc_co_u32_e32 v7, vcc, 0, v29, vcc
	flat_store_dword v[6:7], v22
	flat_store_dword v[6:7], v23 offset:1024
	flat_store_dword v[6:7], v24 offset:2048
	;; [unrolled: 1-line block ×3, first 2 shown]
	v_add_co_u32_e32 v6, vcc, 0x5000, v28
	s_nop 1
	v_addc_co_u32_e32 v7, vcc, 0, v29, vcc
	flat_store_dword v[6:7], v26
	flat_store_dword v[6:7], v27 offset:1024
.LBB1940_299:
	s_and_saveexec_b64 s[2:3], s[0:1]
	s_cbranch_execnz .LBB1940_301
; %bb.300:
	s_endpgm
.LBB1940_301:
	v_lshl_add_u64 v[0:1], v[0:1], 2, v[2:3]
	v_add_co_u32_e32 v0, vcc, 0x5000, v0
	s_nop 1
	v_addc_co_u32_e32 v1, vcc, 0, v1, vcc
	flat_store_dword v[0:1], v5 offset:2048
	s_endpgm
	.section	.rodata,"a",@progbits
	.p2align	6, 0x0
	.amdhsa_kernel _ZN7rocprim17ROCPRIM_400000_NS6detail17trampoline_kernelINS0_14default_configENS1_27scan_by_key_config_selectorIj11FixedVectorIiLj1EEEEZZNS1_16scan_by_key_implILNS1_25lookback_scan_determinismE0ELb1ES3_N6thrust23THRUST_200600_302600_NS6detail15normal_iteratorINSB_10device_ptrIjEEEENSD_INSE_IS6_EEEESI_S6_NSB_4plusIvEENSB_8equal_toIvEES6_EE10hipError_tPvRmT2_T3_T4_T5_mT6_T7_P12ihipStream_tbENKUlT_T0_E_clISt17integral_constantIbLb0EES12_IbLb1EEEEDaSY_SZ_EUlSY_E_NS1_11comp_targetILNS1_3genE5ELNS1_11target_archE942ELNS1_3gpuE9ELNS1_3repE0EEENS1_30default_config_static_selectorELNS0_4arch9wavefront6targetE1EEEvT1_
		.amdhsa_group_segment_fixed_size 25600
		.amdhsa_private_segment_fixed_size 0
		.amdhsa_kernarg_size 112
		.amdhsa_user_sgpr_count 2
		.amdhsa_user_sgpr_dispatch_ptr 0
		.amdhsa_user_sgpr_queue_ptr 0
		.amdhsa_user_sgpr_kernarg_segment_ptr 1
		.amdhsa_user_sgpr_dispatch_id 0
		.amdhsa_user_sgpr_kernarg_preload_length 0
		.amdhsa_user_sgpr_kernarg_preload_offset 0
		.amdhsa_user_sgpr_private_segment_size 0
		.amdhsa_uses_dynamic_stack 0
		.amdhsa_enable_private_segment 0
		.amdhsa_system_sgpr_workgroup_id_x 1
		.amdhsa_system_sgpr_workgroup_id_y 0
		.amdhsa_system_sgpr_workgroup_id_z 0
		.amdhsa_system_sgpr_workgroup_info 0
		.amdhsa_system_vgpr_workitem_id 0
		.amdhsa_next_free_vgpr 83
		.amdhsa_next_free_sgpr 80
		.amdhsa_accum_offset 84
		.amdhsa_reserve_vcc 1
		.amdhsa_float_round_mode_32 0
		.amdhsa_float_round_mode_16_64 0
		.amdhsa_float_denorm_mode_32 3
		.amdhsa_float_denorm_mode_16_64 3
		.amdhsa_dx10_clamp 1
		.amdhsa_ieee_mode 1
		.amdhsa_fp16_overflow 0
		.amdhsa_tg_split 0
		.amdhsa_exception_fp_ieee_invalid_op 0
		.amdhsa_exception_fp_denorm_src 0
		.amdhsa_exception_fp_ieee_div_zero 0
		.amdhsa_exception_fp_ieee_overflow 0
		.amdhsa_exception_fp_ieee_underflow 0
		.amdhsa_exception_fp_ieee_inexact 0
		.amdhsa_exception_int_div_zero 0
	.end_amdhsa_kernel
	.section	.text._ZN7rocprim17ROCPRIM_400000_NS6detail17trampoline_kernelINS0_14default_configENS1_27scan_by_key_config_selectorIj11FixedVectorIiLj1EEEEZZNS1_16scan_by_key_implILNS1_25lookback_scan_determinismE0ELb1ES3_N6thrust23THRUST_200600_302600_NS6detail15normal_iteratorINSB_10device_ptrIjEEEENSD_INSE_IS6_EEEESI_S6_NSB_4plusIvEENSB_8equal_toIvEES6_EE10hipError_tPvRmT2_T3_T4_T5_mT6_T7_P12ihipStream_tbENKUlT_T0_E_clISt17integral_constantIbLb0EES12_IbLb1EEEEDaSY_SZ_EUlSY_E_NS1_11comp_targetILNS1_3genE5ELNS1_11target_archE942ELNS1_3gpuE9ELNS1_3repE0EEENS1_30default_config_static_selectorELNS0_4arch9wavefront6targetE1EEEvT1_,"axG",@progbits,_ZN7rocprim17ROCPRIM_400000_NS6detail17trampoline_kernelINS0_14default_configENS1_27scan_by_key_config_selectorIj11FixedVectorIiLj1EEEEZZNS1_16scan_by_key_implILNS1_25lookback_scan_determinismE0ELb1ES3_N6thrust23THRUST_200600_302600_NS6detail15normal_iteratorINSB_10device_ptrIjEEEENSD_INSE_IS6_EEEESI_S6_NSB_4plusIvEENSB_8equal_toIvEES6_EE10hipError_tPvRmT2_T3_T4_T5_mT6_T7_P12ihipStream_tbENKUlT_T0_E_clISt17integral_constantIbLb0EES12_IbLb1EEEEDaSY_SZ_EUlSY_E_NS1_11comp_targetILNS1_3genE5ELNS1_11target_archE942ELNS1_3gpuE9ELNS1_3repE0EEENS1_30default_config_static_selectorELNS0_4arch9wavefront6targetE1EEEvT1_,comdat
.Lfunc_end1940:
	.size	_ZN7rocprim17ROCPRIM_400000_NS6detail17trampoline_kernelINS0_14default_configENS1_27scan_by_key_config_selectorIj11FixedVectorIiLj1EEEEZZNS1_16scan_by_key_implILNS1_25lookback_scan_determinismE0ELb1ES3_N6thrust23THRUST_200600_302600_NS6detail15normal_iteratorINSB_10device_ptrIjEEEENSD_INSE_IS6_EEEESI_S6_NSB_4plusIvEENSB_8equal_toIvEES6_EE10hipError_tPvRmT2_T3_T4_T5_mT6_T7_P12ihipStream_tbENKUlT_T0_E_clISt17integral_constantIbLb0EES12_IbLb1EEEEDaSY_SZ_EUlSY_E_NS1_11comp_targetILNS1_3genE5ELNS1_11target_archE942ELNS1_3gpuE9ELNS1_3repE0EEENS1_30default_config_static_selectorELNS0_4arch9wavefront6targetE1EEEvT1_, .Lfunc_end1940-_ZN7rocprim17ROCPRIM_400000_NS6detail17trampoline_kernelINS0_14default_configENS1_27scan_by_key_config_selectorIj11FixedVectorIiLj1EEEEZZNS1_16scan_by_key_implILNS1_25lookback_scan_determinismE0ELb1ES3_N6thrust23THRUST_200600_302600_NS6detail15normal_iteratorINSB_10device_ptrIjEEEENSD_INSE_IS6_EEEESI_S6_NSB_4plusIvEENSB_8equal_toIvEES6_EE10hipError_tPvRmT2_T3_T4_T5_mT6_T7_P12ihipStream_tbENKUlT_T0_E_clISt17integral_constantIbLb0EES12_IbLb1EEEEDaSY_SZ_EUlSY_E_NS1_11comp_targetILNS1_3genE5ELNS1_11target_archE942ELNS1_3gpuE9ELNS1_3repE0EEENS1_30default_config_static_selectorELNS0_4arch9wavefront6targetE1EEEvT1_
                                        ; -- End function
	.section	.AMDGPU.csdata,"",@progbits
; Kernel info:
; codeLenInByte = 17220
; NumSgprs: 86
; NumVgprs: 83
; NumAgprs: 0
; TotalNumVgprs: 83
; ScratchSize: 0
; MemoryBound: 0
; FloatMode: 240
; IeeeMode: 1
; LDSByteSize: 25600 bytes/workgroup (compile time only)
; SGPRBlocks: 10
; VGPRBlocks: 10
; NumSGPRsForWavesPerEU: 86
; NumVGPRsForWavesPerEU: 83
; AccumOffset: 84
; Occupancy: 2
; WaveLimiterHint : 1
; COMPUTE_PGM_RSRC2:SCRATCH_EN: 0
; COMPUTE_PGM_RSRC2:USER_SGPR: 2
; COMPUTE_PGM_RSRC2:TRAP_HANDLER: 0
; COMPUTE_PGM_RSRC2:TGID_X_EN: 1
; COMPUTE_PGM_RSRC2:TGID_Y_EN: 0
; COMPUTE_PGM_RSRC2:TGID_Z_EN: 0
; COMPUTE_PGM_RSRC2:TIDIG_COMP_CNT: 0
; COMPUTE_PGM_RSRC3_GFX90A:ACCUM_OFFSET: 20
; COMPUTE_PGM_RSRC3_GFX90A:TG_SPLIT: 0
	.section	.text._ZN7rocprim17ROCPRIM_400000_NS6detail17trampoline_kernelINS0_14default_configENS1_27scan_by_key_config_selectorIj11FixedVectorIiLj1EEEEZZNS1_16scan_by_key_implILNS1_25lookback_scan_determinismE0ELb1ES3_N6thrust23THRUST_200600_302600_NS6detail15normal_iteratorINSB_10device_ptrIjEEEENSD_INSE_IS6_EEEESI_S6_NSB_4plusIvEENSB_8equal_toIvEES6_EE10hipError_tPvRmT2_T3_T4_T5_mT6_T7_P12ihipStream_tbENKUlT_T0_E_clISt17integral_constantIbLb0EES12_IbLb1EEEEDaSY_SZ_EUlSY_E_NS1_11comp_targetILNS1_3genE4ELNS1_11target_archE910ELNS1_3gpuE8ELNS1_3repE0EEENS1_30default_config_static_selectorELNS0_4arch9wavefront6targetE1EEEvT1_,"axG",@progbits,_ZN7rocprim17ROCPRIM_400000_NS6detail17trampoline_kernelINS0_14default_configENS1_27scan_by_key_config_selectorIj11FixedVectorIiLj1EEEEZZNS1_16scan_by_key_implILNS1_25lookback_scan_determinismE0ELb1ES3_N6thrust23THRUST_200600_302600_NS6detail15normal_iteratorINSB_10device_ptrIjEEEENSD_INSE_IS6_EEEESI_S6_NSB_4plusIvEENSB_8equal_toIvEES6_EE10hipError_tPvRmT2_T3_T4_T5_mT6_T7_P12ihipStream_tbENKUlT_T0_E_clISt17integral_constantIbLb0EES12_IbLb1EEEEDaSY_SZ_EUlSY_E_NS1_11comp_targetILNS1_3genE4ELNS1_11target_archE910ELNS1_3gpuE8ELNS1_3repE0EEENS1_30default_config_static_selectorELNS0_4arch9wavefront6targetE1EEEvT1_,comdat
	.protected	_ZN7rocprim17ROCPRIM_400000_NS6detail17trampoline_kernelINS0_14default_configENS1_27scan_by_key_config_selectorIj11FixedVectorIiLj1EEEEZZNS1_16scan_by_key_implILNS1_25lookback_scan_determinismE0ELb1ES3_N6thrust23THRUST_200600_302600_NS6detail15normal_iteratorINSB_10device_ptrIjEEEENSD_INSE_IS6_EEEESI_S6_NSB_4plusIvEENSB_8equal_toIvEES6_EE10hipError_tPvRmT2_T3_T4_T5_mT6_T7_P12ihipStream_tbENKUlT_T0_E_clISt17integral_constantIbLb0EES12_IbLb1EEEEDaSY_SZ_EUlSY_E_NS1_11comp_targetILNS1_3genE4ELNS1_11target_archE910ELNS1_3gpuE8ELNS1_3repE0EEENS1_30default_config_static_selectorELNS0_4arch9wavefront6targetE1EEEvT1_ ; -- Begin function _ZN7rocprim17ROCPRIM_400000_NS6detail17trampoline_kernelINS0_14default_configENS1_27scan_by_key_config_selectorIj11FixedVectorIiLj1EEEEZZNS1_16scan_by_key_implILNS1_25lookback_scan_determinismE0ELb1ES3_N6thrust23THRUST_200600_302600_NS6detail15normal_iteratorINSB_10device_ptrIjEEEENSD_INSE_IS6_EEEESI_S6_NSB_4plusIvEENSB_8equal_toIvEES6_EE10hipError_tPvRmT2_T3_T4_T5_mT6_T7_P12ihipStream_tbENKUlT_T0_E_clISt17integral_constantIbLb0EES12_IbLb1EEEEDaSY_SZ_EUlSY_E_NS1_11comp_targetILNS1_3genE4ELNS1_11target_archE910ELNS1_3gpuE8ELNS1_3repE0EEENS1_30default_config_static_selectorELNS0_4arch9wavefront6targetE1EEEvT1_
	.globl	_ZN7rocprim17ROCPRIM_400000_NS6detail17trampoline_kernelINS0_14default_configENS1_27scan_by_key_config_selectorIj11FixedVectorIiLj1EEEEZZNS1_16scan_by_key_implILNS1_25lookback_scan_determinismE0ELb1ES3_N6thrust23THRUST_200600_302600_NS6detail15normal_iteratorINSB_10device_ptrIjEEEENSD_INSE_IS6_EEEESI_S6_NSB_4plusIvEENSB_8equal_toIvEES6_EE10hipError_tPvRmT2_T3_T4_T5_mT6_T7_P12ihipStream_tbENKUlT_T0_E_clISt17integral_constantIbLb0EES12_IbLb1EEEEDaSY_SZ_EUlSY_E_NS1_11comp_targetILNS1_3genE4ELNS1_11target_archE910ELNS1_3gpuE8ELNS1_3repE0EEENS1_30default_config_static_selectorELNS0_4arch9wavefront6targetE1EEEvT1_
	.p2align	8
	.type	_ZN7rocprim17ROCPRIM_400000_NS6detail17trampoline_kernelINS0_14default_configENS1_27scan_by_key_config_selectorIj11FixedVectorIiLj1EEEEZZNS1_16scan_by_key_implILNS1_25lookback_scan_determinismE0ELb1ES3_N6thrust23THRUST_200600_302600_NS6detail15normal_iteratorINSB_10device_ptrIjEEEENSD_INSE_IS6_EEEESI_S6_NSB_4plusIvEENSB_8equal_toIvEES6_EE10hipError_tPvRmT2_T3_T4_T5_mT6_T7_P12ihipStream_tbENKUlT_T0_E_clISt17integral_constantIbLb0EES12_IbLb1EEEEDaSY_SZ_EUlSY_E_NS1_11comp_targetILNS1_3genE4ELNS1_11target_archE910ELNS1_3gpuE8ELNS1_3repE0EEENS1_30default_config_static_selectorELNS0_4arch9wavefront6targetE1EEEvT1_,@function
_ZN7rocprim17ROCPRIM_400000_NS6detail17trampoline_kernelINS0_14default_configENS1_27scan_by_key_config_selectorIj11FixedVectorIiLj1EEEEZZNS1_16scan_by_key_implILNS1_25lookback_scan_determinismE0ELb1ES3_N6thrust23THRUST_200600_302600_NS6detail15normal_iteratorINSB_10device_ptrIjEEEENSD_INSE_IS6_EEEESI_S6_NSB_4plusIvEENSB_8equal_toIvEES6_EE10hipError_tPvRmT2_T3_T4_T5_mT6_T7_P12ihipStream_tbENKUlT_T0_E_clISt17integral_constantIbLb0EES12_IbLb1EEEEDaSY_SZ_EUlSY_E_NS1_11comp_targetILNS1_3genE4ELNS1_11target_archE910ELNS1_3gpuE8ELNS1_3repE0EEENS1_30default_config_static_selectorELNS0_4arch9wavefront6targetE1EEEvT1_: ; @_ZN7rocprim17ROCPRIM_400000_NS6detail17trampoline_kernelINS0_14default_configENS1_27scan_by_key_config_selectorIj11FixedVectorIiLj1EEEEZZNS1_16scan_by_key_implILNS1_25lookback_scan_determinismE0ELb1ES3_N6thrust23THRUST_200600_302600_NS6detail15normal_iteratorINSB_10device_ptrIjEEEENSD_INSE_IS6_EEEESI_S6_NSB_4plusIvEENSB_8equal_toIvEES6_EE10hipError_tPvRmT2_T3_T4_T5_mT6_T7_P12ihipStream_tbENKUlT_T0_E_clISt17integral_constantIbLb0EES12_IbLb1EEEEDaSY_SZ_EUlSY_E_NS1_11comp_targetILNS1_3genE4ELNS1_11target_archE910ELNS1_3gpuE8ELNS1_3repE0EEENS1_30default_config_static_selectorELNS0_4arch9wavefront6targetE1EEEvT1_
; %bb.0:
	.section	.rodata,"a",@progbits
	.p2align	6, 0x0
	.amdhsa_kernel _ZN7rocprim17ROCPRIM_400000_NS6detail17trampoline_kernelINS0_14default_configENS1_27scan_by_key_config_selectorIj11FixedVectorIiLj1EEEEZZNS1_16scan_by_key_implILNS1_25lookback_scan_determinismE0ELb1ES3_N6thrust23THRUST_200600_302600_NS6detail15normal_iteratorINSB_10device_ptrIjEEEENSD_INSE_IS6_EEEESI_S6_NSB_4plusIvEENSB_8equal_toIvEES6_EE10hipError_tPvRmT2_T3_T4_T5_mT6_T7_P12ihipStream_tbENKUlT_T0_E_clISt17integral_constantIbLb0EES12_IbLb1EEEEDaSY_SZ_EUlSY_E_NS1_11comp_targetILNS1_3genE4ELNS1_11target_archE910ELNS1_3gpuE8ELNS1_3repE0EEENS1_30default_config_static_selectorELNS0_4arch9wavefront6targetE1EEEvT1_
		.amdhsa_group_segment_fixed_size 0
		.amdhsa_private_segment_fixed_size 0
		.amdhsa_kernarg_size 112
		.amdhsa_user_sgpr_count 2
		.amdhsa_user_sgpr_dispatch_ptr 0
		.amdhsa_user_sgpr_queue_ptr 0
		.amdhsa_user_sgpr_kernarg_segment_ptr 1
		.amdhsa_user_sgpr_dispatch_id 0
		.amdhsa_user_sgpr_kernarg_preload_length 0
		.amdhsa_user_sgpr_kernarg_preload_offset 0
		.amdhsa_user_sgpr_private_segment_size 0
		.amdhsa_uses_dynamic_stack 0
		.amdhsa_enable_private_segment 0
		.amdhsa_system_sgpr_workgroup_id_x 1
		.amdhsa_system_sgpr_workgroup_id_y 0
		.amdhsa_system_sgpr_workgroup_id_z 0
		.amdhsa_system_sgpr_workgroup_info 0
		.amdhsa_system_vgpr_workitem_id 0
		.amdhsa_next_free_vgpr 1
		.amdhsa_next_free_sgpr 0
		.amdhsa_accum_offset 4
		.amdhsa_reserve_vcc 0
		.amdhsa_float_round_mode_32 0
		.amdhsa_float_round_mode_16_64 0
		.amdhsa_float_denorm_mode_32 3
		.amdhsa_float_denorm_mode_16_64 3
		.amdhsa_dx10_clamp 1
		.amdhsa_ieee_mode 1
		.amdhsa_fp16_overflow 0
		.amdhsa_tg_split 0
		.amdhsa_exception_fp_ieee_invalid_op 0
		.amdhsa_exception_fp_denorm_src 0
		.amdhsa_exception_fp_ieee_div_zero 0
		.amdhsa_exception_fp_ieee_overflow 0
		.amdhsa_exception_fp_ieee_underflow 0
		.amdhsa_exception_fp_ieee_inexact 0
		.amdhsa_exception_int_div_zero 0
	.end_amdhsa_kernel
	.section	.text._ZN7rocprim17ROCPRIM_400000_NS6detail17trampoline_kernelINS0_14default_configENS1_27scan_by_key_config_selectorIj11FixedVectorIiLj1EEEEZZNS1_16scan_by_key_implILNS1_25lookback_scan_determinismE0ELb1ES3_N6thrust23THRUST_200600_302600_NS6detail15normal_iteratorINSB_10device_ptrIjEEEENSD_INSE_IS6_EEEESI_S6_NSB_4plusIvEENSB_8equal_toIvEES6_EE10hipError_tPvRmT2_T3_T4_T5_mT6_T7_P12ihipStream_tbENKUlT_T0_E_clISt17integral_constantIbLb0EES12_IbLb1EEEEDaSY_SZ_EUlSY_E_NS1_11comp_targetILNS1_3genE4ELNS1_11target_archE910ELNS1_3gpuE8ELNS1_3repE0EEENS1_30default_config_static_selectorELNS0_4arch9wavefront6targetE1EEEvT1_,"axG",@progbits,_ZN7rocprim17ROCPRIM_400000_NS6detail17trampoline_kernelINS0_14default_configENS1_27scan_by_key_config_selectorIj11FixedVectorIiLj1EEEEZZNS1_16scan_by_key_implILNS1_25lookback_scan_determinismE0ELb1ES3_N6thrust23THRUST_200600_302600_NS6detail15normal_iteratorINSB_10device_ptrIjEEEENSD_INSE_IS6_EEEESI_S6_NSB_4plusIvEENSB_8equal_toIvEES6_EE10hipError_tPvRmT2_T3_T4_T5_mT6_T7_P12ihipStream_tbENKUlT_T0_E_clISt17integral_constantIbLb0EES12_IbLb1EEEEDaSY_SZ_EUlSY_E_NS1_11comp_targetILNS1_3genE4ELNS1_11target_archE910ELNS1_3gpuE8ELNS1_3repE0EEENS1_30default_config_static_selectorELNS0_4arch9wavefront6targetE1EEEvT1_,comdat
.Lfunc_end1941:
	.size	_ZN7rocprim17ROCPRIM_400000_NS6detail17trampoline_kernelINS0_14default_configENS1_27scan_by_key_config_selectorIj11FixedVectorIiLj1EEEEZZNS1_16scan_by_key_implILNS1_25lookback_scan_determinismE0ELb1ES3_N6thrust23THRUST_200600_302600_NS6detail15normal_iteratorINSB_10device_ptrIjEEEENSD_INSE_IS6_EEEESI_S6_NSB_4plusIvEENSB_8equal_toIvEES6_EE10hipError_tPvRmT2_T3_T4_T5_mT6_T7_P12ihipStream_tbENKUlT_T0_E_clISt17integral_constantIbLb0EES12_IbLb1EEEEDaSY_SZ_EUlSY_E_NS1_11comp_targetILNS1_3genE4ELNS1_11target_archE910ELNS1_3gpuE8ELNS1_3repE0EEENS1_30default_config_static_selectorELNS0_4arch9wavefront6targetE1EEEvT1_, .Lfunc_end1941-_ZN7rocprim17ROCPRIM_400000_NS6detail17trampoline_kernelINS0_14default_configENS1_27scan_by_key_config_selectorIj11FixedVectorIiLj1EEEEZZNS1_16scan_by_key_implILNS1_25lookback_scan_determinismE0ELb1ES3_N6thrust23THRUST_200600_302600_NS6detail15normal_iteratorINSB_10device_ptrIjEEEENSD_INSE_IS6_EEEESI_S6_NSB_4plusIvEENSB_8equal_toIvEES6_EE10hipError_tPvRmT2_T3_T4_T5_mT6_T7_P12ihipStream_tbENKUlT_T0_E_clISt17integral_constantIbLb0EES12_IbLb1EEEEDaSY_SZ_EUlSY_E_NS1_11comp_targetILNS1_3genE4ELNS1_11target_archE910ELNS1_3gpuE8ELNS1_3repE0EEENS1_30default_config_static_selectorELNS0_4arch9wavefront6targetE1EEEvT1_
                                        ; -- End function
	.section	.AMDGPU.csdata,"",@progbits
; Kernel info:
; codeLenInByte = 0
; NumSgprs: 6
; NumVgprs: 0
; NumAgprs: 0
; TotalNumVgprs: 0
; ScratchSize: 0
; MemoryBound: 0
; FloatMode: 240
; IeeeMode: 1
; LDSByteSize: 0 bytes/workgroup (compile time only)
; SGPRBlocks: 0
; VGPRBlocks: 0
; NumSGPRsForWavesPerEU: 6
; NumVGPRsForWavesPerEU: 1
; AccumOffset: 4
; Occupancy: 8
; WaveLimiterHint : 0
; COMPUTE_PGM_RSRC2:SCRATCH_EN: 0
; COMPUTE_PGM_RSRC2:USER_SGPR: 2
; COMPUTE_PGM_RSRC2:TRAP_HANDLER: 0
; COMPUTE_PGM_RSRC2:TGID_X_EN: 1
; COMPUTE_PGM_RSRC2:TGID_Y_EN: 0
; COMPUTE_PGM_RSRC2:TGID_Z_EN: 0
; COMPUTE_PGM_RSRC2:TIDIG_COMP_CNT: 0
; COMPUTE_PGM_RSRC3_GFX90A:ACCUM_OFFSET: 0
; COMPUTE_PGM_RSRC3_GFX90A:TG_SPLIT: 0
	.section	.text._ZN7rocprim17ROCPRIM_400000_NS6detail17trampoline_kernelINS0_14default_configENS1_27scan_by_key_config_selectorIj11FixedVectorIiLj1EEEEZZNS1_16scan_by_key_implILNS1_25lookback_scan_determinismE0ELb1ES3_N6thrust23THRUST_200600_302600_NS6detail15normal_iteratorINSB_10device_ptrIjEEEENSD_INSE_IS6_EEEESI_S6_NSB_4plusIvEENSB_8equal_toIvEES6_EE10hipError_tPvRmT2_T3_T4_T5_mT6_T7_P12ihipStream_tbENKUlT_T0_E_clISt17integral_constantIbLb0EES12_IbLb1EEEEDaSY_SZ_EUlSY_E_NS1_11comp_targetILNS1_3genE3ELNS1_11target_archE908ELNS1_3gpuE7ELNS1_3repE0EEENS1_30default_config_static_selectorELNS0_4arch9wavefront6targetE1EEEvT1_,"axG",@progbits,_ZN7rocprim17ROCPRIM_400000_NS6detail17trampoline_kernelINS0_14default_configENS1_27scan_by_key_config_selectorIj11FixedVectorIiLj1EEEEZZNS1_16scan_by_key_implILNS1_25lookback_scan_determinismE0ELb1ES3_N6thrust23THRUST_200600_302600_NS6detail15normal_iteratorINSB_10device_ptrIjEEEENSD_INSE_IS6_EEEESI_S6_NSB_4plusIvEENSB_8equal_toIvEES6_EE10hipError_tPvRmT2_T3_T4_T5_mT6_T7_P12ihipStream_tbENKUlT_T0_E_clISt17integral_constantIbLb0EES12_IbLb1EEEEDaSY_SZ_EUlSY_E_NS1_11comp_targetILNS1_3genE3ELNS1_11target_archE908ELNS1_3gpuE7ELNS1_3repE0EEENS1_30default_config_static_selectorELNS0_4arch9wavefront6targetE1EEEvT1_,comdat
	.protected	_ZN7rocprim17ROCPRIM_400000_NS6detail17trampoline_kernelINS0_14default_configENS1_27scan_by_key_config_selectorIj11FixedVectorIiLj1EEEEZZNS1_16scan_by_key_implILNS1_25lookback_scan_determinismE0ELb1ES3_N6thrust23THRUST_200600_302600_NS6detail15normal_iteratorINSB_10device_ptrIjEEEENSD_INSE_IS6_EEEESI_S6_NSB_4plusIvEENSB_8equal_toIvEES6_EE10hipError_tPvRmT2_T3_T4_T5_mT6_T7_P12ihipStream_tbENKUlT_T0_E_clISt17integral_constantIbLb0EES12_IbLb1EEEEDaSY_SZ_EUlSY_E_NS1_11comp_targetILNS1_3genE3ELNS1_11target_archE908ELNS1_3gpuE7ELNS1_3repE0EEENS1_30default_config_static_selectorELNS0_4arch9wavefront6targetE1EEEvT1_ ; -- Begin function _ZN7rocprim17ROCPRIM_400000_NS6detail17trampoline_kernelINS0_14default_configENS1_27scan_by_key_config_selectorIj11FixedVectorIiLj1EEEEZZNS1_16scan_by_key_implILNS1_25lookback_scan_determinismE0ELb1ES3_N6thrust23THRUST_200600_302600_NS6detail15normal_iteratorINSB_10device_ptrIjEEEENSD_INSE_IS6_EEEESI_S6_NSB_4plusIvEENSB_8equal_toIvEES6_EE10hipError_tPvRmT2_T3_T4_T5_mT6_T7_P12ihipStream_tbENKUlT_T0_E_clISt17integral_constantIbLb0EES12_IbLb1EEEEDaSY_SZ_EUlSY_E_NS1_11comp_targetILNS1_3genE3ELNS1_11target_archE908ELNS1_3gpuE7ELNS1_3repE0EEENS1_30default_config_static_selectorELNS0_4arch9wavefront6targetE1EEEvT1_
	.globl	_ZN7rocprim17ROCPRIM_400000_NS6detail17trampoline_kernelINS0_14default_configENS1_27scan_by_key_config_selectorIj11FixedVectorIiLj1EEEEZZNS1_16scan_by_key_implILNS1_25lookback_scan_determinismE0ELb1ES3_N6thrust23THRUST_200600_302600_NS6detail15normal_iteratorINSB_10device_ptrIjEEEENSD_INSE_IS6_EEEESI_S6_NSB_4plusIvEENSB_8equal_toIvEES6_EE10hipError_tPvRmT2_T3_T4_T5_mT6_T7_P12ihipStream_tbENKUlT_T0_E_clISt17integral_constantIbLb0EES12_IbLb1EEEEDaSY_SZ_EUlSY_E_NS1_11comp_targetILNS1_3genE3ELNS1_11target_archE908ELNS1_3gpuE7ELNS1_3repE0EEENS1_30default_config_static_selectorELNS0_4arch9wavefront6targetE1EEEvT1_
	.p2align	8
	.type	_ZN7rocprim17ROCPRIM_400000_NS6detail17trampoline_kernelINS0_14default_configENS1_27scan_by_key_config_selectorIj11FixedVectorIiLj1EEEEZZNS1_16scan_by_key_implILNS1_25lookback_scan_determinismE0ELb1ES3_N6thrust23THRUST_200600_302600_NS6detail15normal_iteratorINSB_10device_ptrIjEEEENSD_INSE_IS6_EEEESI_S6_NSB_4plusIvEENSB_8equal_toIvEES6_EE10hipError_tPvRmT2_T3_T4_T5_mT6_T7_P12ihipStream_tbENKUlT_T0_E_clISt17integral_constantIbLb0EES12_IbLb1EEEEDaSY_SZ_EUlSY_E_NS1_11comp_targetILNS1_3genE3ELNS1_11target_archE908ELNS1_3gpuE7ELNS1_3repE0EEENS1_30default_config_static_selectorELNS0_4arch9wavefront6targetE1EEEvT1_,@function
_ZN7rocprim17ROCPRIM_400000_NS6detail17trampoline_kernelINS0_14default_configENS1_27scan_by_key_config_selectorIj11FixedVectorIiLj1EEEEZZNS1_16scan_by_key_implILNS1_25lookback_scan_determinismE0ELb1ES3_N6thrust23THRUST_200600_302600_NS6detail15normal_iteratorINSB_10device_ptrIjEEEENSD_INSE_IS6_EEEESI_S6_NSB_4plusIvEENSB_8equal_toIvEES6_EE10hipError_tPvRmT2_T3_T4_T5_mT6_T7_P12ihipStream_tbENKUlT_T0_E_clISt17integral_constantIbLb0EES12_IbLb1EEEEDaSY_SZ_EUlSY_E_NS1_11comp_targetILNS1_3genE3ELNS1_11target_archE908ELNS1_3gpuE7ELNS1_3repE0EEENS1_30default_config_static_selectorELNS0_4arch9wavefront6targetE1EEEvT1_: ; @_ZN7rocprim17ROCPRIM_400000_NS6detail17trampoline_kernelINS0_14default_configENS1_27scan_by_key_config_selectorIj11FixedVectorIiLj1EEEEZZNS1_16scan_by_key_implILNS1_25lookback_scan_determinismE0ELb1ES3_N6thrust23THRUST_200600_302600_NS6detail15normal_iteratorINSB_10device_ptrIjEEEENSD_INSE_IS6_EEEESI_S6_NSB_4plusIvEENSB_8equal_toIvEES6_EE10hipError_tPvRmT2_T3_T4_T5_mT6_T7_P12ihipStream_tbENKUlT_T0_E_clISt17integral_constantIbLb0EES12_IbLb1EEEEDaSY_SZ_EUlSY_E_NS1_11comp_targetILNS1_3genE3ELNS1_11target_archE908ELNS1_3gpuE7ELNS1_3repE0EEENS1_30default_config_static_selectorELNS0_4arch9wavefront6targetE1EEEvT1_
; %bb.0:
	.section	.rodata,"a",@progbits
	.p2align	6, 0x0
	.amdhsa_kernel _ZN7rocprim17ROCPRIM_400000_NS6detail17trampoline_kernelINS0_14default_configENS1_27scan_by_key_config_selectorIj11FixedVectorIiLj1EEEEZZNS1_16scan_by_key_implILNS1_25lookback_scan_determinismE0ELb1ES3_N6thrust23THRUST_200600_302600_NS6detail15normal_iteratorINSB_10device_ptrIjEEEENSD_INSE_IS6_EEEESI_S6_NSB_4plusIvEENSB_8equal_toIvEES6_EE10hipError_tPvRmT2_T3_T4_T5_mT6_T7_P12ihipStream_tbENKUlT_T0_E_clISt17integral_constantIbLb0EES12_IbLb1EEEEDaSY_SZ_EUlSY_E_NS1_11comp_targetILNS1_3genE3ELNS1_11target_archE908ELNS1_3gpuE7ELNS1_3repE0EEENS1_30default_config_static_selectorELNS0_4arch9wavefront6targetE1EEEvT1_
		.amdhsa_group_segment_fixed_size 0
		.amdhsa_private_segment_fixed_size 0
		.amdhsa_kernarg_size 112
		.amdhsa_user_sgpr_count 2
		.amdhsa_user_sgpr_dispatch_ptr 0
		.amdhsa_user_sgpr_queue_ptr 0
		.amdhsa_user_sgpr_kernarg_segment_ptr 1
		.amdhsa_user_sgpr_dispatch_id 0
		.amdhsa_user_sgpr_kernarg_preload_length 0
		.amdhsa_user_sgpr_kernarg_preload_offset 0
		.amdhsa_user_sgpr_private_segment_size 0
		.amdhsa_uses_dynamic_stack 0
		.amdhsa_enable_private_segment 0
		.amdhsa_system_sgpr_workgroup_id_x 1
		.amdhsa_system_sgpr_workgroup_id_y 0
		.amdhsa_system_sgpr_workgroup_id_z 0
		.amdhsa_system_sgpr_workgroup_info 0
		.amdhsa_system_vgpr_workitem_id 0
		.amdhsa_next_free_vgpr 1
		.amdhsa_next_free_sgpr 0
		.amdhsa_accum_offset 4
		.amdhsa_reserve_vcc 0
		.amdhsa_float_round_mode_32 0
		.amdhsa_float_round_mode_16_64 0
		.amdhsa_float_denorm_mode_32 3
		.amdhsa_float_denorm_mode_16_64 3
		.amdhsa_dx10_clamp 1
		.amdhsa_ieee_mode 1
		.amdhsa_fp16_overflow 0
		.amdhsa_tg_split 0
		.amdhsa_exception_fp_ieee_invalid_op 0
		.amdhsa_exception_fp_denorm_src 0
		.amdhsa_exception_fp_ieee_div_zero 0
		.amdhsa_exception_fp_ieee_overflow 0
		.amdhsa_exception_fp_ieee_underflow 0
		.amdhsa_exception_fp_ieee_inexact 0
		.amdhsa_exception_int_div_zero 0
	.end_amdhsa_kernel
	.section	.text._ZN7rocprim17ROCPRIM_400000_NS6detail17trampoline_kernelINS0_14default_configENS1_27scan_by_key_config_selectorIj11FixedVectorIiLj1EEEEZZNS1_16scan_by_key_implILNS1_25lookback_scan_determinismE0ELb1ES3_N6thrust23THRUST_200600_302600_NS6detail15normal_iteratorINSB_10device_ptrIjEEEENSD_INSE_IS6_EEEESI_S6_NSB_4plusIvEENSB_8equal_toIvEES6_EE10hipError_tPvRmT2_T3_T4_T5_mT6_T7_P12ihipStream_tbENKUlT_T0_E_clISt17integral_constantIbLb0EES12_IbLb1EEEEDaSY_SZ_EUlSY_E_NS1_11comp_targetILNS1_3genE3ELNS1_11target_archE908ELNS1_3gpuE7ELNS1_3repE0EEENS1_30default_config_static_selectorELNS0_4arch9wavefront6targetE1EEEvT1_,"axG",@progbits,_ZN7rocprim17ROCPRIM_400000_NS6detail17trampoline_kernelINS0_14default_configENS1_27scan_by_key_config_selectorIj11FixedVectorIiLj1EEEEZZNS1_16scan_by_key_implILNS1_25lookback_scan_determinismE0ELb1ES3_N6thrust23THRUST_200600_302600_NS6detail15normal_iteratorINSB_10device_ptrIjEEEENSD_INSE_IS6_EEEESI_S6_NSB_4plusIvEENSB_8equal_toIvEES6_EE10hipError_tPvRmT2_T3_T4_T5_mT6_T7_P12ihipStream_tbENKUlT_T0_E_clISt17integral_constantIbLb0EES12_IbLb1EEEEDaSY_SZ_EUlSY_E_NS1_11comp_targetILNS1_3genE3ELNS1_11target_archE908ELNS1_3gpuE7ELNS1_3repE0EEENS1_30default_config_static_selectorELNS0_4arch9wavefront6targetE1EEEvT1_,comdat
.Lfunc_end1942:
	.size	_ZN7rocprim17ROCPRIM_400000_NS6detail17trampoline_kernelINS0_14default_configENS1_27scan_by_key_config_selectorIj11FixedVectorIiLj1EEEEZZNS1_16scan_by_key_implILNS1_25lookback_scan_determinismE0ELb1ES3_N6thrust23THRUST_200600_302600_NS6detail15normal_iteratorINSB_10device_ptrIjEEEENSD_INSE_IS6_EEEESI_S6_NSB_4plusIvEENSB_8equal_toIvEES6_EE10hipError_tPvRmT2_T3_T4_T5_mT6_T7_P12ihipStream_tbENKUlT_T0_E_clISt17integral_constantIbLb0EES12_IbLb1EEEEDaSY_SZ_EUlSY_E_NS1_11comp_targetILNS1_3genE3ELNS1_11target_archE908ELNS1_3gpuE7ELNS1_3repE0EEENS1_30default_config_static_selectorELNS0_4arch9wavefront6targetE1EEEvT1_, .Lfunc_end1942-_ZN7rocprim17ROCPRIM_400000_NS6detail17trampoline_kernelINS0_14default_configENS1_27scan_by_key_config_selectorIj11FixedVectorIiLj1EEEEZZNS1_16scan_by_key_implILNS1_25lookback_scan_determinismE0ELb1ES3_N6thrust23THRUST_200600_302600_NS6detail15normal_iteratorINSB_10device_ptrIjEEEENSD_INSE_IS6_EEEESI_S6_NSB_4plusIvEENSB_8equal_toIvEES6_EE10hipError_tPvRmT2_T3_T4_T5_mT6_T7_P12ihipStream_tbENKUlT_T0_E_clISt17integral_constantIbLb0EES12_IbLb1EEEEDaSY_SZ_EUlSY_E_NS1_11comp_targetILNS1_3genE3ELNS1_11target_archE908ELNS1_3gpuE7ELNS1_3repE0EEENS1_30default_config_static_selectorELNS0_4arch9wavefront6targetE1EEEvT1_
                                        ; -- End function
	.section	.AMDGPU.csdata,"",@progbits
; Kernel info:
; codeLenInByte = 0
; NumSgprs: 6
; NumVgprs: 0
; NumAgprs: 0
; TotalNumVgprs: 0
; ScratchSize: 0
; MemoryBound: 0
; FloatMode: 240
; IeeeMode: 1
; LDSByteSize: 0 bytes/workgroup (compile time only)
; SGPRBlocks: 0
; VGPRBlocks: 0
; NumSGPRsForWavesPerEU: 6
; NumVGPRsForWavesPerEU: 1
; AccumOffset: 4
; Occupancy: 8
; WaveLimiterHint : 0
; COMPUTE_PGM_RSRC2:SCRATCH_EN: 0
; COMPUTE_PGM_RSRC2:USER_SGPR: 2
; COMPUTE_PGM_RSRC2:TRAP_HANDLER: 0
; COMPUTE_PGM_RSRC2:TGID_X_EN: 1
; COMPUTE_PGM_RSRC2:TGID_Y_EN: 0
; COMPUTE_PGM_RSRC2:TGID_Z_EN: 0
; COMPUTE_PGM_RSRC2:TIDIG_COMP_CNT: 0
; COMPUTE_PGM_RSRC3_GFX90A:ACCUM_OFFSET: 0
; COMPUTE_PGM_RSRC3_GFX90A:TG_SPLIT: 0
	.section	.text._ZN7rocprim17ROCPRIM_400000_NS6detail17trampoline_kernelINS0_14default_configENS1_27scan_by_key_config_selectorIj11FixedVectorIiLj1EEEEZZNS1_16scan_by_key_implILNS1_25lookback_scan_determinismE0ELb1ES3_N6thrust23THRUST_200600_302600_NS6detail15normal_iteratorINSB_10device_ptrIjEEEENSD_INSE_IS6_EEEESI_S6_NSB_4plusIvEENSB_8equal_toIvEES6_EE10hipError_tPvRmT2_T3_T4_T5_mT6_T7_P12ihipStream_tbENKUlT_T0_E_clISt17integral_constantIbLb0EES12_IbLb1EEEEDaSY_SZ_EUlSY_E_NS1_11comp_targetILNS1_3genE2ELNS1_11target_archE906ELNS1_3gpuE6ELNS1_3repE0EEENS1_30default_config_static_selectorELNS0_4arch9wavefront6targetE1EEEvT1_,"axG",@progbits,_ZN7rocprim17ROCPRIM_400000_NS6detail17trampoline_kernelINS0_14default_configENS1_27scan_by_key_config_selectorIj11FixedVectorIiLj1EEEEZZNS1_16scan_by_key_implILNS1_25lookback_scan_determinismE0ELb1ES3_N6thrust23THRUST_200600_302600_NS6detail15normal_iteratorINSB_10device_ptrIjEEEENSD_INSE_IS6_EEEESI_S6_NSB_4plusIvEENSB_8equal_toIvEES6_EE10hipError_tPvRmT2_T3_T4_T5_mT6_T7_P12ihipStream_tbENKUlT_T0_E_clISt17integral_constantIbLb0EES12_IbLb1EEEEDaSY_SZ_EUlSY_E_NS1_11comp_targetILNS1_3genE2ELNS1_11target_archE906ELNS1_3gpuE6ELNS1_3repE0EEENS1_30default_config_static_selectorELNS0_4arch9wavefront6targetE1EEEvT1_,comdat
	.protected	_ZN7rocprim17ROCPRIM_400000_NS6detail17trampoline_kernelINS0_14default_configENS1_27scan_by_key_config_selectorIj11FixedVectorIiLj1EEEEZZNS1_16scan_by_key_implILNS1_25lookback_scan_determinismE0ELb1ES3_N6thrust23THRUST_200600_302600_NS6detail15normal_iteratorINSB_10device_ptrIjEEEENSD_INSE_IS6_EEEESI_S6_NSB_4plusIvEENSB_8equal_toIvEES6_EE10hipError_tPvRmT2_T3_T4_T5_mT6_T7_P12ihipStream_tbENKUlT_T0_E_clISt17integral_constantIbLb0EES12_IbLb1EEEEDaSY_SZ_EUlSY_E_NS1_11comp_targetILNS1_3genE2ELNS1_11target_archE906ELNS1_3gpuE6ELNS1_3repE0EEENS1_30default_config_static_selectorELNS0_4arch9wavefront6targetE1EEEvT1_ ; -- Begin function _ZN7rocprim17ROCPRIM_400000_NS6detail17trampoline_kernelINS0_14default_configENS1_27scan_by_key_config_selectorIj11FixedVectorIiLj1EEEEZZNS1_16scan_by_key_implILNS1_25lookback_scan_determinismE0ELb1ES3_N6thrust23THRUST_200600_302600_NS6detail15normal_iteratorINSB_10device_ptrIjEEEENSD_INSE_IS6_EEEESI_S6_NSB_4plusIvEENSB_8equal_toIvEES6_EE10hipError_tPvRmT2_T3_T4_T5_mT6_T7_P12ihipStream_tbENKUlT_T0_E_clISt17integral_constantIbLb0EES12_IbLb1EEEEDaSY_SZ_EUlSY_E_NS1_11comp_targetILNS1_3genE2ELNS1_11target_archE906ELNS1_3gpuE6ELNS1_3repE0EEENS1_30default_config_static_selectorELNS0_4arch9wavefront6targetE1EEEvT1_
	.globl	_ZN7rocprim17ROCPRIM_400000_NS6detail17trampoline_kernelINS0_14default_configENS1_27scan_by_key_config_selectorIj11FixedVectorIiLj1EEEEZZNS1_16scan_by_key_implILNS1_25lookback_scan_determinismE0ELb1ES3_N6thrust23THRUST_200600_302600_NS6detail15normal_iteratorINSB_10device_ptrIjEEEENSD_INSE_IS6_EEEESI_S6_NSB_4plusIvEENSB_8equal_toIvEES6_EE10hipError_tPvRmT2_T3_T4_T5_mT6_T7_P12ihipStream_tbENKUlT_T0_E_clISt17integral_constantIbLb0EES12_IbLb1EEEEDaSY_SZ_EUlSY_E_NS1_11comp_targetILNS1_3genE2ELNS1_11target_archE906ELNS1_3gpuE6ELNS1_3repE0EEENS1_30default_config_static_selectorELNS0_4arch9wavefront6targetE1EEEvT1_
	.p2align	8
	.type	_ZN7rocprim17ROCPRIM_400000_NS6detail17trampoline_kernelINS0_14default_configENS1_27scan_by_key_config_selectorIj11FixedVectorIiLj1EEEEZZNS1_16scan_by_key_implILNS1_25lookback_scan_determinismE0ELb1ES3_N6thrust23THRUST_200600_302600_NS6detail15normal_iteratorINSB_10device_ptrIjEEEENSD_INSE_IS6_EEEESI_S6_NSB_4plusIvEENSB_8equal_toIvEES6_EE10hipError_tPvRmT2_T3_T4_T5_mT6_T7_P12ihipStream_tbENKUlT_T0_E_clISt17integral_constantIbLb0EES12_IbLb1EEEEDaSY_SZ_EUlSY_E_NS1_11comp_targetILNS1_3genE2ELNS1_11target_archE906ELNS1_3gpuE6ELNS1_3repE0EEENS1_30default_config_static_selectorELNS0_4arch9wavefront6targetE1EEEvT1_,@function
_ZN7rocprim17ROCPRIM_400000_NS6detail17trampoline_kernelINS0_14default_configENS1_27scan_by_key_config_selectorIj11FixedVectorIiLj1EEEEZZNS1_16scan_by_key_implILNS1_25lookback_scan_determinismE0ELb1ES3_N6thrust23THRUST_200600_302600_NS6detail15normal_iteratorINSB_10device_ptrIjEEEENSD_INSE_IS6_EEEESI_S6_NSB_4plusIvEENSB_8equal_toIvEES6_EE10hipError_tPvRmT2_T3_T4_T5_mT6_T7_P12ihipStream_tbENKUlT_T0_E_clISt17integral_constantIbLb0EES12_IbLb1EEEEDaSY_SZ_EUlSY_E_NS1_11comp_targetILNS1_3genE2ELNS1_11target_archE906ELNS1_3gpuE6ELNS1_3repE0EEENS1_30default_config_static_selectorELNS0_4arch9wavefront6targetE1EEEvT1_: ; @_ZN7rocprim17ROCPRIM_400000_NS6detail17trampoline_kernelINS0_14default_configENS1_27scan_by_key_config_selectorIj11FixedVectorIiLj1EEEEZZNS1_16scan_by_key_implILNS1_25lookback_scan_determinismE0ELb1ES3_N6thrust23THRUST_200600_302600_NS6detail15normal_iteratorINSB_10device_ptrIjEEEENSD_INSE_IS6_EEEESI_S6_NSB_4plusIvEENSB_8equal_toIvEES6_EE10hipError_tPvRmT2_T3_T4_T5_mT6_T7_P12ihipStream_tbENKUlT_T0_E_clISt17integral_constantIbLb0EES12_IbLb1EEEEDaSY_SZ_EUlSY_E_NS1_11comp_targetILNS1_3genE2ELNS1_11target_archE906ELNS1_3gpuE6ELNS1_3repE0EEENS1_30default_config_static_selectorELNS0_4arch9wavefront6targetE1EEEvT1_
; %bb.0:
	.section	.rodata,"a",@progbits
	.p2align	6, 0x0
	.amdhsa_kernel _ZN7rocprim17ROCPRIM_400000_NS6detail17trampoline_kernelINS0_14default_configENS1_27scan_by_key_config_selectorIj11FixedVectorIiLj1EEEEZZNS1_16scan_by_key_implILNS1_25lookback_scan_determinismE0ELb1ES3_N6thrust23THRUST_200600_302600_NS6detail15normal_iteratorINSB_10device_ptrIjEEEENSD_INSE_IS6_EEEESI_S6_NSB_4plusIvEENSB_8equal_toIvEES6_EE10hipError_tPvRmT2_T3_T4_T5_mT6_T7_P12ihipStream_tbENKUlT_T0_E_clISt17integral_constantIbLb0EES12_IbLb1EEEEDaSY_SZ_EUlSY_E_NS1_11comp_targetILNS1_3genE2ELNS1_11target_archE906ELNS1_3gpuE6ELNS1_3repE0EEENS1_30default_config_static_selectorELNS0_4arch9wavefront6targetE1EEEvT1_
		.amdhsa_group_segment_fixed_size 0
		.amdhsa_private_segment_fixed_size 0
		.amdhsa_kernarg_size 112
		.amdhsa_user_sgpr_count 2
		.amdhsa_user_sgpr_dispatch_ptr 0
		.amdhsa_user_sgpr_queue_ptr 0
		.amdhsa_user_sgpr_kernarg_segment_ptr 1
		.amdhsa_user_sgpr_dispatch_id 0
		.amdhsa_user_sgpr_kernarg_preload_length 0
		.amdhsa_user_sgpr_kernarg_preload_offset 0
		.amdhsa_user_sgpr_private_segment_size 0
		.amdhsa_uses_dynamic_stack 0
		.amdhsa_enable_private_segment 0
		.amdhsa_system_sgpr_workgroup_id_x 1
		.amdhsa_system_sgpr_workgroup_id_y 0
		.amdhsa_system_sgpr_workgroup_id_z 0
		.amdhsa_system_sgpr_workgroup_info 0
		.amdhsa_system_vgpr_workitem_id 0
		.amdhsa_next_free_vgpr 1
		.amdhsa_next_free_sgpr 0
		.amdhsa_accum_offset 4
		.amdhsa_reserve_vcc 0
		.amdhsa_float_round_mode_32 0
		.amdhsa_float_round_mode_16_64 0
		.amdhsa_float_denorm_mode_32 3
		.amdhsa_float_denorm_mode_16_64 3
		.amdhsa_dx10_clamp 1
		.amdhsa_ieee_mode 1
		.amdhsa_fp16_overflow 0
		.amdhsa_tg_split 0
		.amdhsa_exception_fp_ieee_invalid_op 0
		.amdhsa_exception_fp_denorm_src 0
		.amdhsa_exception_fp_ieee_div_zero 0
		.amdhsa_exception_fp_ieee_overflow 0
		.amdhsa_exception_fp_ieee_underflow 0
		.amdhsa_exception_fp_ieee_inexact 0
		.amdhsa_exception_int_div_zero 0
	.end_amdhsa_kernel
	.section	.text._ZN7rocprim17ROCPRIM_400000_NS6detail17trampoline_kernelINS0_14default_configENS1_27scan_by_key_config_selectorIj11FixedVectorIiLj1EEEEZZNS1_16scan_by_key_implILNS1_25lookback_scan_determinismE0ELb1ES3_N6thrust23THRUST_200600_302600_NS6detail15normal_iteratorINSB_10device_ptrIjEEEENSD_INSE_IS6_EEEESI_S6_NSB_4plusIvEENSB_8equal_toIvEES6_EE10hipError_tPvRmT2_T3_T4_T5_mT6_T7_P12ihipStream_tbENKUlT_T0_E_clISt17integral_constantIbLb0EES12_IbLb1EEEEDaSY_SZ_EUlSY_E_NS1_11comp_targetILNS1_3genE2ELNS1_11target_archE906ELNS1_3gpuE6ELNS1_3repE0EEENS1_30default_config_static_selectorELNS0_4arch9wavefront6targetE1EEEvT1_,"axG",@progbits,_ZN7rocprim17ROCPRIM_400000_NS6detail17trampoline_kernelINS0_14default_configENS1_27scan_by_key_config_selectorIj11FixedVectorIiLj1EEEEZZNS1_16scan_by_key_implILNS1_25lookback_scan_determinismE0ELb1ES3_N6thrust23THRUST_200600_302600_NS6detail15normal_iteratorINSB_10device_ptrIjEEEENSD_INSE_IS6_EEEESI_S6_NSB_4plusIvEENSB_8equal_toIvEES6_EE10hipError_tPvRmT2_T3_T4_T5_mT6_T7_P12ihipStream_tbENKUlT_T0_E_clISt17integral_constantIbLb0EES12_IbLb1EEEEDaSY_SZ_EUlSY_E_NS1_11comp_targetILNS1_3genE2ELNS1_11target_archE906ELNS1_3gpuE6ELNS1_3repE0EEENS1_30default_config_static_selectorELNS0_4arch9wavefront6targetE1EEEvT1_,comdat
.Lfunc_end1943:
	.size	_ZN7rocprim17ROCPRIM_400000_NS6detail17trampoline_kernelINS0_14default_configENS1_27scan_by_key_config_selectorIj11FixedVectorIiLj1EEEEZZNS1_16scan_by_key_implILNS1_25lookback_scan_determinismE0ELb1ES3_N6thrust23THRUST_200600_302600_NS6detail15normal_iteratorINSB_10device_ptrIjEEEENSD_INSE_IS6_EEEESI_S6_NSB_4plusIvEENSB_8equal_toIvEES6_EE10hipError_tPvRmT2_T3_T4_T5_mT6_T7_P12ihipStream_tbENKUlT_T0_E_clISt17integral_constantIbLb0EES12_IbLb1EEEEDaSY_SZ_EUlSY_E_NS1_11comp_targetILNS1_3genE2ELNS1_11target_archE906ELNS1_3gpuE6ELNS1_3repE0EEENS1_30default_config_static_selectorELNS0_4arch9wavefront6targetE1EEEvT1_, .Lfunc_end1943-_ZN7rocprim17ROCPRIM_400000_NS6detail17trampoline_kernelINS0_14default_configENS1_27scan_by_key_config_selectorIj11FixedVectorIiLj1EEEEZZNS1_16scan_by_key_implILNS1_25lookback_scan_determinismE0ELb1ES3_N6thrust23THRUST_200600_302600_NS6detail15normal_iteratorINSB_10device_ptrIjEEEENSD_INSE_IS6_EEEESI_S6_NSB_4plusIvEENSB_8equal_toIvEES6_EE10hipError_tPvRmT2_T3_T4_T5_mT6_T7_P12ihipStream_tbENKUlT_T0_E_clISt17integral_constantIbLb0EES12_IbLb1EEEEDaSY_SZ_EUlSY_E_NS1_11comp_targetILNS1_3genE2ELNS1_11target_archE906ELNS1_3gpuE6ELNS1_3repE0EEENS1_30default_config_static_selectorELNS0_4arch9wavefront6targetE1EEEvT1_
                                        ; -- End function
	.section	.AMDGPU.csdata,"",@progbits
; Kernel info:
; codeLenInByte = 0
; NumSgprs: 6
; NumVgprs: 0
; NumAgprs: 0
; TotalNumVgprs: 0
; ScratchSize: 0
; MemoryBound: 0
; FloatMode: 240
; IeeeMode: 1
; LDSByteSize: 0 bytes/workgroup (compile time only)
; SGPRBlocks: 0
; VGPRBlocks: 0
; NumSGPRsForWavesPerEU: 6
; NumVGPRsForWavesPerEU: 1
; AccumOffset: 4
; Occupancy: 8
; WaveLimiterHint : 0
; COMPUTE_PGM_RSRC2:SCRATCH_EN: 0
; COMPUTE_PGM_RSRC2:USER_SGPR: 2
; COMPUTE_PGM_RSRC2:TRAP_HANDLER: 0
; COMPUTE_PGM_RSRC2:TGID_X_EN: 1
; COMPUTE_PGM_RSRC2:TGID_Y_EN: 0
; COMPUTE_PGM_RSRC2:TGID_Z_EN: 0
; COMPUTE_PGM_RSRC2:TIDIG_COMP_CNT: 0
; COMPUTE_PGM_RSRC3_GFX90A:ACCUM_OFFSET: 0
; COMPUTE_PGM_RSRC3_GFX90A:TG_SPLIT: 0
	.section	.text._ZN7rocprim17ROCPRIM_400000_NS6detail17trampoline_kernelINS0_14default_configENS1_27scan_by_key_config_selectorIj11FixedVectorIiLj1EEEEZZNS1_16scan_by_key_implILNS1_25lookback_scan_determinismE0ELb1ES3_N6thrust23THRUST_200600_302600_NS6detail15normal_iteratorINSB_10device_ptrIjEEEENSD_INSE_IS6_EEEESI_S6_NSB_4plusIvEENSB_8equal_toIvEES6_EE10hipError_tPvRmT2_T3_T4_T5_mT6_T7_P12ihipStream_tbENKUlT_T0_E_clISt17integral_constantIbLb0EES12_IbLb1EEEEDaSY_SZ_EUlSY_E_NS1_11comp_targetILNS1_3genE10ELNS1_11target_archE1200ELNS1_3gpuE4ELNS1_3repE0EEENS1_30default_config_static_selectorELNS0_4arch9wavefront6targetE1EEEvT1_,"axG",@progbits,_ZN7rocprim17ROCPRIM_400000_NS6detail17trampoline_kernelINS0_14default_configENS1_27scan_by_key_config_selectorIj11FixedVectorIiLj1EEEEZZNS1_16scan_by_key_implILNS1_25lookback_scan_determinismE0ELb1ES3_N6thrust23THRUST_200600_302600_NS6detail15normal_iteratorINSB_10device_ptrIjEEEENSD_INSE_IS6_EEEESI_S6_NSB_4plusIvEENSB_8equal_toIvEES6_EE10hipError_tPvRmT2_T3_T4_T5_mT6_T7_P12ihipStream_tbENKUlT_T0_E_clISt17integral_constantIbLb0EES12_IbLb1EEEEDaSY_SZ_EUlSY_E_NS1_11comp_targetILNS1_3genE10ELNS1_11target_archE1200ELNS1_3gpuE4ELNS1_3repE0EEENS1_30default_config_static_selectorELNS0_4arch9wavefront6targetE1EEEvT1_,comdat
	.protected	_ZN7rocprim17ROCPRIM_400000_NS6detail17trampoline_kernelINS0_14default_configENS1_27scan_by_key_config_selectorIj11FixedVectorIiLj1EEEEZZNS1_16scan_by_key_implILNS1_25lookback_scan_determinismE0ELb1ES3_N6thrust23THRUST_200600_302600_NS6detail15normal_iteratorINSB_10device_ptrIjEEEENSD_INSE_IS6_EEEESI_S6_NSB_4plusIvEENSB_8equal_toIvEES6_EE10hipError_tPvRmT2_T3_T4_T5_mT6_T7_P12ihipStream_tbENKUlT_T0_E_clISt17integral_constantIbLb0EES12_IbLb1EEEEDaSY_SZ_EUlSY_E_NS1_11comp_targetILNS1_3genE10ELNS1_11target_archE1200ELNS1_3gpuE4ELNS1_3repE0EEENS1_30default_config_static_selectorELNS0_4arch9wavefront6targetE1EEEvT1_ ; -- Begin function _ZN7rocprim17ROCPRIM_400000_NS6detail17trampoline_kernelINS0_14default_configENS1_27scan_by_key_config_selectorIj11FixedVectorIiLj1EEEEZZNS1_16scan_by_key_implILNS1_25lookback_scan_determinismE0ELb1ES3_N6thrust23THRUST_200600_302600_NS6detail15normal_iteratorINSB_10device_ptrIjEEEENSD_INSE_IS6_EEEESI_S6_NSB_4plusIvEENSB_8equal_toIvEES6_EE10hipError_tPvRmT2_T3_T4_T5_mT6_T7_P12ihipStream_tbENKUlT_T0_E_clISt17integral_constantIbLb0EES12_IbLb1EEEEDaSY_SZ_EUlSY_E_NS1_11comp_targetILNS1_3genE10ELNS1_11target_archE1200ELNS1_3gpuE4ELNS1_3repE0EEENS1_30default_config_static_selectorELNS0_4arch9wavefront6targetE1EEEvT1_
	.globl	_ZN7rocprim17ROCPRIM_400000_NS6detail17trampoline_kernelINS0_14default_configENS1_27scan_by_key_config_selectorIj11FixedVectorIiLj1EEEEZZNS1_16scan_by_key_implILNS1_25lookback_scan_determinismE0ELb1ES3_N6thrust23THRUST_200600_302600_NS6detail15normal_iteratorINSB_10device_ptrIjEEEENSD_INSE_IS6_EEEESI_S6_NSB_4plusIvEENSB_8equal_toIvEES6_EE10hipError_tPvRmT2_T3_T4_T5_mT6_T7_P12ihipStream_tbENKUlT_T0_E_clISt17integral_constantIbLb0EES12_IbLb1EEEEDaSY_SZ_EUlSY_E_NS1_11comp_targetILNS1_3genE10ELNS1_11target_archE1200ELNS1_3gpuE4ELNS1_3repE0EEENS1_30default_config_static_selectorELNS0_4arch9wavefront6targetE1EEEvT1_
	.p2align	8
	.type	_ZN7rocprim17ROCPRIM_400000_NS6detail17trampoline_kernelINS0_14default_configENS1_27scan_by_key_config_selectorIj11FixedVectorIiLj1EEEEZZNS1_16scan_by_key_implILNS1_25lookback_scan_determinismE0ELb1ES3_N6thrust23THRUST_200600_302600_NS6detail15normal_iteratorINSB_10device_ptrIjEEEENSD_INSE_IS6_EEEESI_S6_NSB_4plusIvEENSB_8equal_toIvEES6_EE10hipError_tPvRmT2_T3_T4_T5_mT6_T7_P12ihipStream_tbENKUlT_T0_E_clISt17integral_constantIbLb0EES12_IbLb1EEEEDaSY_SZ_EUlSY_E_NS1_11comp_targetILNS1_3genE10ELNS1_11target_archE1200ELNS1_3gpuE4ELNS1_3repE0EEENS1_30default_config_static_selectorELNS0_4arch9wavefront6targetE1EEEvT1_,@function
_ZN7rocprim17ROCPRIM_400000_NS6detail17trampoline_kernelINS0_14default_configENS1_27scan_by_key_config_selectorIj11FixedVectorIiLj1EEEEZZNS1_16scan_by_key_implILNS1_25lookback_scan_determinismE0ELb1ES3_N6thrust23THRUST_200600_302600_NS6detail15normal_iteratorINSB_10device_ptrIjEEEENSD_INSE_IS6_EEEESI_S6_NSB_4plusIvEENSB_8equal_toIvEES6_EE10hipError_tPvRmT2_T3_T4_T5_mT6_T7_P12ihipStream_tbENKUlT_T0_E_clISt17integral_constantIbLb0EES12_IbLb1EEEEDaSY_SZ_EUlSY_E_NS1_11comp_targetILNS1_3genE10ELNS1_11target_archE1200ELNS1_3gpuE4ELNS1_3repE0EEENS1_30default_config_static_selectorELNS0_4arch9wavefront6targetE1EEEvT1_: ; @_ZN7rocprim17ROCPRIM_400000_NS6detail17trampoline_kernelINS0_14default_configENS1_27scan_by_key_config_selectorIj11FixedVectorIiLj1EEEEZZNS1_16scan_by_key_implILNS1_25lookback_scan_determinismE0ELb1ES3_N6thrust23THRUST_200600_302600_NS6detail15normal_iteratorINSB_10device_ptrIjEEEENSD_INSE_IS6_EEEESI_S6_NSB_4plusIvEENSB_8equal_toIvEES6_EE10hipError_tPvRmT2_T3_T4_T5_mT6_T7_P12ihipStream_tbENKUlT_T0_E_clISt17integral_constantIbLb0EES12_IbLb1EEEEDaSY_SZ_EUlSY_E_NS1_11comp_targetILNS1_3genE10ELNS1_11target_archE1200ELNS1_3gpuE4ELNS1_3repE0EEENS1_30default_config_static_selectorELNS0_4arch9wavefront6targetE1EEEvT1_
; %bb.0:
	.section	.rodata,"a",@progbits
	.p2align	6, 0x0
	.amdhsa_kernel _ZN7rocprim17ROCPRIM_400000_NS6detail17trampoline_kernelINS0_14default_configENS1_27scan_by_key_config_selectorIj11FixedVectorIiLj1EEEEZZNS1_16scan_by_key_implILNS1_25lookback_scan_determinismE0ELb1ES3_N6thrust23THRUST_200600_302600_NS6detail15normal_iteratorINSB_10device_ptrIjEEEENSD_INSE_IS6_EEEESI_S6_NSB_4plusIvEENSB_8equal_toIvEES6_EE10hipError_tPvRmT2_T3_T4_T5_mT6_T7_P12ihipStream_tbENKUlT_T0_E_clISt17integral_constantIbLb0EES12_IbLb1EEEEDaSY_SZ_EUlSY_E_NS1_11comp_targetILNS1_3genE10ELNS1_11target_archE1200ELNS1_3gpuE4ELNS1_3repE0EEENS1_30default_config_static_selectorELNS0_4arch9wavefront6targetE1EEEvT1_
		.amdhsa_group_segment_fixed_size 0
		.amdhsa_private_segment_fixed_size 0
		.amdhsa_kernarg_size 112
		.amdhsa_user_sgpr_count 2
		.amdhsa_user_sgpr_dispatch_ptr 0
		.amdhsa_user_sgpr_queue_ptr 0
		.amdhsa_user_sgpr_kernarg_segment_ptr 1
		.amdhsa_user_sgpr_dispatch_id 0
		.amdhsa_user_sgpr_kernarg_preload_length 0
		.amdhsa_user_sgpr_kernarg_preload_offset 0
		.amdhsa_user_sgpr_private_segment_size 0
		.amdhsa_uses_dynamic_stack 0
		.amdhsa_enable_private_segment 0
		.amdhsa_system_sgpr_workgroup_id_x 1
		.amdhsa_system_sgpr_workgroup_id_y 0
		.amdhsa_system_sgpr_workgroup_id_z 0
		.amdhsa_system_sgpr_workgroup_info 0
		.amdhsa_system_vgpr_workitem_id 0
		.amdhsa_next_free_vgpr 1
		.amdhsa_next_free_sgpr 0
		.amdhsa_accum_offset 4
		.amdhsa_reserve_vcc 0
		.amdhsa_float_round_mode_32 0
		.amdhsa_float_round_mode_16_64 0
		.amdhsa_float_denorm_mode_32 3
		.amdhsa_float_denorm_mode_16_64 3
		.amdhsa_dx10_clamp 1
		.amdhsa_ieee_mode 1
		.amdhsa_fp16_overflow 0
		.amdhsa_tg_split 0
		.amdhsa_exception_fp_ieee_invalid_op 0
		.amdhsa_exception_fp_denorm_src 0
		.amdhsa_exception_fp_ieee_div_zero 0
		.amdhsa_exception_fp_ieee_overflow 0
		.amdhsa_exception_fp_ieee_underflow 0
		.amdhsa_exception_fp_ieee_inexact 0
		.amdhsa_exception_int_div_zero 0
	.end_amdhsa_kernel
	.section	.text._ZN7rocprim17ROCPRIM_400000_NS6detail17trampoline_kernelINS0_14default_configENS1_27scan_by_key_config_selectorIj11FixedVectorIiLj1EEEEZZNS1_16scan_by_key_implILNS1_25lookback_scan_determinismE0ELb1ES3_N6thrust23THRUST_200600_302600_NS6detail15normal_iteratorINSB_10device_ptrIjEEEENSD_INSE_IS6_EEEESI_S6_NSB_4plusIvEENSB_8equal_toIvEES6_EE10hipError_tPvRmT2_T3_T4_T5_mT6_T7_P12ihipStream_tbENKUlT_T0_E_clISt17integral_constantIbLb0EES12_IbLb1EEEEDaSY_SZ_EUlSY_E_NS1_11comp_targetILNS1_3genE10ELNS1_11target_archE1200ELNS1_3gpuE4ELNS1_3repE0EEENS1_30default_config_static_selectorELNS0_4arch9wavefront6targetE1EEEvT1_,"axG",@progbits,_ZN7rocprim17ROCPRIM_400000_NS6detail17trampoline_kernelINS0_14default_configENS1_27scan_by_key_config_selectorIj11FixedVectorIiLj1EEEEZZNS1_16scan_by_key_implILNS1_25lookback_scan_determinismE0ELb1ES3_N6thrust23THRUST_200600_302600_NS6detail15normal_iteratorINSB_10device_ptrIjEEEENSD_INSE_IS6_EEEESI_S6_NSB_4plusIvEENSB_8equal_toIvEES6_EE10hipError_tPvRmT2_T3_T4_T5_mT6_T7_P12ihipStream_tbENKUlT_T0_E_clISt17integral_constantIbLb0EES12_IbLb1EEEEDaSY_SZ_EUlSY_E_NS1_11comp_targetILNS1_3genE10ELNS1_11target_archE1200ELNS1_3gpuE4ELNS1_3repE0EEENS1_30default_config_static_selectorELNS0_4arch9wavefront6targetE1EEEvT1_,comdat
.Lfunc_end1944:
	.size	_ZN7rocprim17ROCPRIM_400000_NS6detail17trampoline_kernelINS0_14default_configENS1_27scan_by_key_config_selectorIj11FixedVectorIiLj1EEEEZZNS1_16scan_by_key_implILNS1_25lookback_scan_determinismE0ELb1ES3_N6thrust23THRUST_200600_302600_NS6detail15normal_iteratorINSB_10device_ptrIjEEEENSD_INSE_IS6_EEEESI_S6_NSB_4plusIvEENSB_8equal_toIvEES6_EE10hipError_tPvRmT2_T3_T4_T5_mT6_T7_P12ihipStream_tbENKUlT_T0_E_clISt17integral_constantIbLb0EES12_IbLb1EEEEDaSY_SZ_EUlSY_E_NS1_11comp_targetILNS1_3genE10ELNS1_11target_archE1200ELNS1_3gpuE4ELNS1_3repE0EEENS1_30default_config_static_selectorELNS0_4arch9wavefront6targetE1EEEvT1_, .Lfunc_end1944-_ZN7rocprim17ROCPRIM_400000_NS6detail17trampoline_kernelINS0_14default_configENS1_27scan_by_key_config_selectorIj11FixedVectorIiLj1EEEEZZNS1_16scan_by_key_implILNS1_25lookback_scan_determinismE0ELb1ES3_N6thrust23THRUST_200600_302600_NS6detail15normal_iteratorINSB_10device_ptrIjEEEENSD_INSE_IS6_EEEESI_S6_NSB_4plusIvEENSB_8equal_toIvEES6_EE10hipError_tPvRmT2_T3_T4_T5_mT6_T7_P12ihipStream_tbENKUlT_T0_E_clISt17integral_constantIbLb0EES12_IbLb1EEEEDaSY_SZ_EUlSY_E_NS1_11comp_targetILNS1_3genE10ELNS1_11target_archE1200ELNS1_3gpuE4ELNS1_3repE0EEENS1_30default_config_static_selectorELNS0_4arch9wavefront6targetE1EEEvT1_
                                        ; -- End function
	.section	.AMDGPU.csdata,"",@progbits
; Kernel info:
; codeLenInByte = 0
; NumSgprs: 6
; NumVgprs: 0
; NumAgprs: 0
; TotalNumVgprs: 0
; ScratchSize: 0
; MemoryBound: 0
; FloatMode: 240
; IeeeMode: 1
; LDSByteSize: 0 bytes/workgroup (compile time only)
; SGPRBlocks: 0
; VGPRBlocks: 0
; NumSGPRsForWavesPerEU: 6
; NumVGPRsForWavesPerEU: 1
; AccumOffset: 4
; Occupancy: 8
; WaveLimiterHint : 0
; COMPUTE_PGM_RSRC2:SCRATCH_EN: 0
; COMPUTE_PGM_RSRC2:USER_SGPR: 2
; COMPUTE_PGM_RSRC2:TRAP_HANDLER: 0
; COMPUTE_PGM_RSRC2:TGID_X_EN: 1
; COMPUTE_PGM_RSRC2:TGID_Y_EN: 0
; COMPUTE_PGM_RSRC2:TGID_Z_EN: 0
; COMPUTE_PGM_RSRC2:TIDIG_COMP_CNT: 0
; COMPUTE_PGM_RSRC3_GFX90A:ACCUM_OFFSET: 0
; COMPUTE_PGM_RSRC3_GFX90A:TG_SPLIT: 0
	.section	.text._ZN7rocprim17ROCPRIM_400000_NS6detail17trampoline_kernelINS0_14default_configENS1_27scan_by_key_config_selectorIj11FixedVectorIiLj1EEEEZZNS1_16scan_by_key_implILNS1_25lookback_scan_determinismE0ELb1ES3_N6thrust23THRUST_200600_302600_NS6detail15normal_iteratorINSB_10device_ptrIjEEEENSD_INSE_IS6_EEEESI_S6_NSB_4plusIvEENSB_8equal_toIvEES6_EE10hipError_tPvRmT2_T3_T4_T5_mT6_T7_P12ihipStream_tbENKUlT_T0_E_clISt17integral_constantIbLb0EES12_IbLb1EEEEDaSY_SZ_EUlSY_E_NS1_11comp_targetILNS1_3genE9ELNS1_11target_archE1100ELNS1_3gpuE3ELNS1_3repE0EEENS1_30default_config_static_selectorELNS0_4arch9wavefront6targetE1EEEvT1_,"axG",@progbits,_ZN7rocprim17ROCPRIM_400000_NS6detail17trampoline_kernelINS0_14default_configENS1_27scan_by_key_config_selectorIj11FixedVectorIiLj1EEEEZZNS1_16scan_by_key_implILNS1_25lookback_scan_determinismE0ELb1ES3_N6thrust23THRUST_200600_302600_NS6detail15normal_iteratorINSB_10device_ptrIjEEEENSD_INSE_IS6_EEEESI_S6_NSB_4plusIvEENSB_8equal_toIvEES6_EE10hipError_tPvRmT2_T3_T4_T5_mT6_T7_P12ihipStream_tbENKUlT_T0_E_clISt17integral_constantIbLb0EES12_IbLb1EEEEDaSY_SZ_EUlSY_E_NS1_11comp_targetILNS1_3genE9ELNS1_11target_archE1100ELNS1_3gpuE3ELNS1_3repE0EEENS1_30default_config_static_selectorELNS0_4arch9wavefront6targetE1EEEvT1_,comdat
	.protected	_ZN7rocprim17ROCPRIM_400000_NS6detail17trampoline_kernelINS0_14default_configENS1_27scan_by_key_config_selectorIj11FixedVectorIiLj1EEEEZZNS1_16scan_by_key_implILNS1_25lookback_scan_determinismE0ELb1ES3_N6thrust23THRUST_200600_302600_NS6detail15normal_iteratorINSB_10device_ptrIjEEEENSD_INSE_IS6_EEEESI_S6_NSB_4plusIvEENSB_8equal_toIvEES6_EE10hipError_tPvRmT2_T3_T4_T5_mT6_T7_P12ihipStream_tbENKUlT_T0_E_clISt17integral_constantIbLb0EES12_IbLb1EEEEDaSY_SZ_EUlSY_E_NS1_11comp_targetILNS1_3genE9ELNS1_11target_archE1100ELNS1_3gpuE3ELNS1_3repE0EEENS1_30default_config_static_selectorELNS0_4arch9wavefront6targetE1EEEvT1_ ; -- Begin function _ZN7rocprim17ROCPRIM_400000_NS6detail17trampoline_kernelINS0_14default_configENS1_27scan_by_key_config_selectorIj11FixedVectorIiLj1EEEEZZNS1_16scan_by_key_implILNS1_25lookback_scan_determinismE0ELb1ES3_N6thrust23THRUST_200600_302600_NS6detail15normal_iteratorINSB_10device_ptrIjEEEENSD_INSE_IS6_EEEESI_S6_NSB_4plusIvEENSB_8equal_toIvEES6_EE10hipError_tPvRmT2_T3_T4_T5_mT6_T7_P12ihipStream_tbENKUlT_T0_E_clISt17integral_constantIbLb0EES12_IbLb1EEEEDaSY_SZ_EUlSY_E_NS1_11comp_targetILNS1_3genE9ELNS1_11target_archE1100ELNS1_3gpuE3ELNS1_3repE0EEENS1_30default_config_static_selectorELNS0_4arch9wavefront6targetE1EEEvT1_
	.globl	_ZN7rocprim17ROCPRIM_400000_NS6detail17trampoline_kernelINS0_14default_configENS1_27scan_by_key_config_selectorIj11FixedVectorIiLj1EEEEZZNS1_16scan_by_key_implILNS1_25lookback_scan_determinismE0ELb1ES3_N6thrust23THRUST_200600_302600_NS6detail15normal_iteratorINSB_10device_ptrIjEEEENSD_INSE_IS6_EEEESI_S6_NSB_4plusIvEENSB_8equal_toIvEES6_EE10hipError_tPvRmT2_T3_T4_T5_mT6_T7_P12ihipStream_tbENKUlT_T0_E_clISt17integral_constantIbLb0EES12_IbLb1EEEEDaSY_SZ_EUlSY_E_NS1_11comp_targetILNS1_3genE9ELNS1_11target_archE1100ELNS1_3gpuE3ELNS1_3repE0EEENS1_30default_config_static_selectorELNS0_4arch9wavefront6targetE1EEEvT1_
	.p2align	8
	.type	_ZN7rocprim17ROCPRIM_400000_NS6detail17trampoline_kernelINS0_14default_configENS1_27scan_by_key_config_selectorIj11FixedVectorIiLj1EEEEZZNS1_16scan_by_key_implILNS1_25lookback_scan_determinismE0ELb1ES3_N6thrust23THRUST_200600_302600_NS6detail15normal_iteratorINSB_10device_ptrIjEEEENSD_INSE_IS6_EEEESI_S6_NSB_4plusIvEENSB_8equal_toIvEES6_EE10hipError_tPvRmT2_T3_T4_T5_mT6_T7_P12ihipStream_tbENKUlT_T0_E_clISt17integral_constantIbLb0EES12_IbLb1EEEEDaSY_SZ_EUlSY_E_NS1_11comp_targetILNS1_3genE9ELNS1_11target_archE1100ELNS1_3gpuE3ELNS1_3repE0EEENS1_30default_config_static_selectorELNS0_4arch9wavefront6targetE1EEEvT1_,@function
_ZN7rocprim17ROCPRIM_400000_NS6detail17trampoline_kernelINS0_14default_configENS1_27scan_by_key_config_selectorIj11FixedVectorIiLj1EEEEZZNS1_16scan_by_key_implILNS1_25lookback_scan_determinismE0ELb1ES3_N6thrust23THRUST_200600_302600_NS6detail15normal_iteratorINSB_10device_ptrIjEEEENSD_INSE_IS6_EEEESI_S6_NSB_4plusIvEENSB_8equal_toIvEES6_EE10hipError_tPvRmT2_T3_T4_T5_mT6_T7_P12ihipStream_tbENKUlT_T0_E_clISt17integral_constantIbLb0EES12_IbLb1EEEEDaSY_SZ_EUlSY_E_NS1_11comp_targetILNS1_3genE9ELNS1_11target_archE1100ELNS1_3gpuE3ELNS1_3repE0EEENS1_30default_config_static_selectorELNS0_4arch9wavefront6targetE1EEEvT1_: ; @_ZN7rocprim17ROCPRIM_400000_NS6detail17trampoline_kernelINS0_14default_configENS1_27scan_by_key_config_selectorIj11FixedVectorIiLj1EEEEZZNS1_16scan_by_key_implILNS1_25lookback_scan_determinismE0ELb1ES3_N6thrust23THRUST_200600_302600_NS6detail15normal_iteratorINSB_10device_ptrIjEEEENSD_INSE_IS6_EEEESI_S6_NSB_4plusIvEENSB_8equal_toIvEES6_EE10hipError_tPvRmT2_T3_T4_T5_mT6_T7_P12ihipStream_tbENKUlT_T0_E_clISt17integral_constantIbLb0EES12_IbLb1EEEEDaSY_SZ_EUlSY_E_NS1_11comp_targetILNS1_3genE9ELNS1_11target_archE1100ELNS1_3gpuE3ELNS1_3repE0EEENS1_30default_config_static_selectorELNS0_4arch9wavefront6targetE1EEEvT1_
; %bb.0:
	.section	.rodata,"a",@progbits
	.p2align	6, 0x0
	.amdhsa_kernel _ZN7rocprim17ROCPRIM_400000_NS6detail17trampoline_kernelINS0_14default_configENS1_27scan_by_key_config_selectorIj11FixedVectorIiLj1EEEEZZNS1_16scan_by_key_implILNS1_25lookback_scan_determinismE0ELb1ES3_N6thrust23THRUST_200600_302600_NS6detail15normal_iteratorINSB_10device_ptrIjEEEENSD_INSE_IS6_EEEESI_S6_NSB_4plusIvEENSB_8equal_toIvEES6_EE10hipError_tPvRmT2_T3_T4_T5_mT6_T7_P12ihipStream_tbENKUlT_T0_E_clISt17integral_constantIbLb0EES12_IbLb1EEEEDaSY_SZ_EUlSY_E_NS1_11comp_targetILNS1_3genE9ELNS1_11target_archE1100ELNS1_3gpuE3ELNS1_3repE0EEENS1_30default_config_static_selectorELNS0_4arch9wavefront6targetE1EEEvT1_
		.amdhsa_group_segment_fixed_size 0
		.amdhsa_private_segment_fixed_size 0
		.amdhsa_kernarg_size 112
		.amdhsa_user_sgpr_count 2
		.amdhsa_user_sgpr_dispatch_ptr 0
		.amdhsa_user_sgpr_queue_ptr 0
		.amdhsa_user_sgpr_kernarg_segment_ptr 1
		.amdhsa_user_sgpr_dispatch_id 0
		.amdhsa_user_sgpr_kernarg_preload_length 0
		.amdhsa_user_sgpr_kernarg_preload_offset 0
		.amdhsa_user_sgpr_private_segment_size 0
		.amdhsa_uses_dynamic_stack 0
		.amdhsa_enable_private_segment 0
		.amdhsa_system_sgpr_workgroup_id_x 1
		.amdhsa_system_sgpr_workgroup_id_y 0
		.amdhsa_system_sgpr_workgroup_id_z 0
		.amdhsa_system_sgpr_workgroup_info 0
		.amdhsa_system_vgpr_workitem_id 0
		.amdhsa_next_free_vgpr 1
		.amdhsa_next_free_sgpr 0
		.amdhsa_accum_offset 4
		.amdhsa_reserve_vcc 0
		.amdhsa_float_round_mode_32 0
		.amdhsa_float_round_mode_16_64 0
		.amdhsa_float_denorm_mode_32 3
		.amdhsa_float_denorm_mode_16_64 3
		.amdhsa_dx10_clamp 1
		.amdhsa_ieee_mode 1
		.amdhsa_fp16_overflow 0
		.amdhsa_tg_split 0
		.amdhsa_exception_fp_ieee_invalid_op 0
		.amdhsa_exception_fp_denorm_src 0
		.amdhsa_exception_fp_ieee_div_zero 0
		.amdhsa_exception_fp_ieee_overflow 0
		.amdhsa_exception_fp_ieee_underflow 0
		.amdhsa_exception_fp_ieee_inexact 0
		.amdhsa_exception_int_div_zero 0
	.end_amdhsa_kernel
	.section	.text._ZN7rocprim17ROCPRIM_400000_NS6detail17trampoline_kernelINS0_14default_configENS1_27scan_by_key_config_selectorIj11FixedVectorIiLj1EEEEZZNS1_16scan_by_key_implILNS1_25lookback_scan_determinismE0ELb1ES3_N6thrust23THRUST_200600_302600_NS6detail15normal_iteratorINSB_10device_ptrIjEEEENSD_INSE_IS6_EEEESI_S6_NSB_4plusIvEENSB_8equal_toIvEES6_EE10hipError_tPvRmT2_T3_T4_T5_mT6_T7_P12ihipStream_tbENKUlT_T0_E_clISt17integral_constantIbLb0EES12_IbLb1EEEEDaSY_SZ_EUlSY_E_NS1_11comp_targetILNS1_3genE9ELNS1_11target_archE1100ELNS1_3gpuE3ELNS1_3repE0EEENS1_30default_config_static_selectorELNS0_4arch9wavefront6targetE1EEEvT1_,"axG",@progbits,_ZN7rocprim17ROCPRIM_400000_NS6detail17trampoline_kernelINS0_14default_configENS1_27scan_by_key_config_selectorIj11FixedVectorIiLj1EEEEZZNS1_16scan_by_key_implILNS1_25lookback_scan_determinismE0ELb1ES3_N6thrust23THRUST_200600_302600_NS6detail15normal_iteratorINSB_10device_ptrIjEEEENSD_INSE_IS6_EEEESI_S6_NSB_4plusIvEENSB_8equal_toIvEES6_EE10hipError_tPvRmT2_T3_T4_T5_mT6_T7_P12ihipStream_tbENKUlT_T0_E_clISt17integral_constantIbLb0EES12_IbLb1EEEEDaSY_SZ_EUlSY_E_NS1_11comp_targetILNS1_3genE9ELNS1_11target_archE1100ELNS1_3gpuE3ELNS1_3repE0EEENS1_30default_config_static_selectorELNS0_4arch9wavefront6targetE1EEEvT1_,comdat
.Lfunc_end1945:
	.size	_ZN7rocprim17ROCPRIM_400000_NS6detail17trampoline_kernelINS0_14default_configENS1_27scan_by_key_config_selectorIj11FixedVectorIiLj1EEEEZZNS1_16scan_by_key_implILNS1_25lookback_scan_determinismE0ELb1ES3_N6thrust23THRUST_200600_302600_NS6detail15normal_iteratorINSB_10device_ptrIjEEEENSD_INSE_IS6_EEEESI_S6_NSB_4plusIvEENSB_8equal_toIvEES6_EE10hipError_tPvRmT2_T3_T4_T5_mT6_T7_P12ihipStream_tbENKUlT_T0_E_clISt17integral_constantIbLb0EES12_IbLb1EEEEDaSY_SZ_EUlSY_E_NS1_11comp_targetILNS1_3genE9ELNS1_11target_archE1100ELNS1_3gpuE3ELNS1_3repE0EEENS1_30default_config_static_selectorELNS0_4arch9wavefront6targetE1EEEvT1_, .Lfunc_end1945-_ZN7rocprim17ROCPRIM_400000_NS6detail17trampoline_kernelINS0_14default_configENS1_27scan_by_key_config_selectorIj11FixedVectorIiLj1EEEEZZNS1_16scan_by_key_implILNS1_25lookback_scan_determinismE0ELb1ES3_N6thrust23THRUST_200600_302600_NS6detail15normal_iteratorINSB_10device_ptrIjEEEENSD_INSE_IS6_EEEESI_S6_NSB_4plusIvEENSB_8equal_toIvEES6_EE10hipError_tPvRmT2_T3_T4_T5_mT6_T7_P12ihipStream_tbENKUlT_T0_E_clISt17integral_constantIbLb0EES12_IbLb1EEEEDaSY_SZ_EUlSY_E_NS1_11comp_targetILNS1_3genE9ELNS1_11target_archE1100ELNS1_3gpuE3ELNS1_3repE0EEENS1_30default_config_static_selectorELNS0_4arch9wavefront6targetE1EEEvT1_
                                        ; -- End function
	.section	.AMDGPU.csdata,"",@progbits
; Kernel info:
; codeLenInByte = 0
; NumSgprs: 6
; NumVgprs: 0
; NumAgprs: 0
; TotalNumVgprs: 0
; ScratchSize: 0
; MemoryBound: 0
; FloatMode: 240
; IeeeMode: 1
; LDSByteSize: 0 bytes/workgroup (compile time only)
; SGPRBlocks: 0
; VGPRBlocks: 0
; NumSGPRsForWavesPerEU: 6
; NumVGPRsForWavesPerEU: 1
; AccumOffset: 4
; Occupancy: 8
; WaveLimiterHint : 0
; COMPUTE_PGM_RSRC2:SCRATCH_EN: 0
; COMPUTE_PGM_RSRC2:USER_SGPR: 2
; COMPUTE_PGM_RSRC2:TRAP_HANDLER: 0
; COMPUTE_PGM_RSRC2:TGID_X_EN: 1
; COMPUTE_PGM_RSRC2:TGID_Y_EN: 0
; COMPUTE_PGM_RSRC2:TGID_Z_EN: 0
; COMPUTE_PGM_RSRC2:TIDIG_COMP_CNT: 0
; COMPUTE_PGM_RSRC3_GFX90A:ACCUM_OFFSET: 0
; COMPUTE_PGM_RSRC3_GFX90A:TG_SPLIT: 0
	.section	.text._ZN7rocprim17ROCPRIM_400000_NS6detail17trampoline_kernelINS0_14default_configENS1_27scan_by_key_config_selectorIj11FixedVectorIiLj1EEEEZZNS1_16scan_by_key_implILNS1_25lookback_scan_determinismE0ELb1ES3_N6thrust23THRUST_200600_302600_NS6detail15normal_iteratorINSB_10device_ptrIjEEEENSD_INSE_IS6_EEEESI_S6_NSB_4plusIvEENSB_8equal_toIvEES6_EE10hipError_tPvRmT2_T3_T4_T5_mT6_T7_P12ihipStream_tbENKUlT_T0_E_clISt17integral_constantIbLb0EES12_IbLb1EEEEDaSY_SZ_EUlSY_E_NS1_11comp_targetILNS1_3genE8ELNS1_11target_archE1030ELNS1_3gpuE2ELNS1_3repE0EEENS1_30default_config_static_selectorELNS0_4arch9wavefront6targetE1EEEvT1_,"axG",@progbits,_ZN7rocprim17ROCPRIM_400000_NS6detail17trampoline_kernelINS0_14default_configENS1_27scan_by_key_config_selectorIj11FixedVectorIiLj1EEEEZZNS1_16scan_by_key_implILNS1_25lookback_scan_determinismE0ELb1ES3_N6thrust23THRUST_200600_302600_NS6detail15normal_iteratorINSB_10device_ptrIjEEEENSD_INSE_IS6_EEEESI_S6_NSB_4plusIvEENSB_8equal_toIvEES6_EE10hipError_tPvRmT2_T3_T4_T5_mT6_T7_P12ihipStream_tbENKUlT_T0_E_clISt17integral_constantIbLb0EES12_IbLb1EEEEDaSY_SZ_EUlSY_E_NS1_11comp_targetILNS1_3genE8ELNS1_11target_archE1030ELNS1_3gpuE2ELNS1_3repE0EEENS1_30default_config_static_selectorELNS0_4arch9wavefront6targetE1EEEvT1_,comdat
	.protected	_ZN7rocprim17ROCPRIM_400000_NS6detail17trampoline_kernelINS0_14default_configENS1_27scan_by_key_config_selectorIj11FixedVectorIiLj1EEEEZZNS1_16scan_by_key_implILNS1_25lookback_scan_determinismE0ELb1ES3_N6thrust23THRUST_200600_302600_NS6detail15normal_iteratorINSB_10device_ptrIjEEEENSD_INSE_IS6_EEEESI_S6_NSB_4plusIvEENSB_8equal_toIvEES6_EE10hipError_tPvRmT2_T3_T4_T5_mT6_T7_P12ihipStream_tbENKUlT_T0_E_clISt17integral_constantIbLb0EES12_IbLb1EEEEDaSY_SZ_EUlSY_E_NS1_11comp_targetILNS1_3genE8ELNS1_11target_archE1030ELNS1_3gpuE2ELNS1_3repE0EEENS1_30default_config_static_selectorELNS0_4arch9wavefront6targetE1EEEvT1_ ; -- Begin function _ZN7rocprim17ROCPRIM_400000_NS6detail17trampoline_kernelINS0_14default_configENS1_27scan_by_key_config_selectorIj11FixedVectorIiLj1EEEEZZNS1_16scan_by_key_implILNS1_25lookback_scan_determinismE0ELb1ES3_N6thrust23THRUST_200600_302600_NS6detail15normal_iteratorINSB_10device_ptrIjEEEENSD_INSE_IS6_EEEESI_S6_NSB_4plusIvEENSB_8equal_toIvEES6_EE10hipError_tPvRmT2_T3_T4_T5_mT6_T7_P12ihipStream_tbENKUlT_T0_E_clISt17integral_constantIbLb0EES12_IbLb1EEEEDaSY_SZ_EUlSY_E_NS1_11comp_targetILNS1_3genE8ELNS1_11target_archE1030ELNS1_3gpuE2ELNS1_3repE0EEENS1_30default_config_static_selectorELNS0_4arch9wavefront6targetE1EEEvT1_
	.globl	_ZN7rocprim17ROCPRIM_400000_NS6detail17trampoline_kernelINS0_14default_configENS1_27scan_by_key_config_selectorIj11FixedVectorIiLj1EEEEZZNS1_16scan_by_key_implILNS1_25lookback_scan_determinismE0ELb1ES3_N6thrust23THRUST_200600_302600_NS6detail15normal_iteratorINSB_10device_ptrIjEEEENSD_INSE_IS6_EEEESI_S6_NSB_4plusIvEENSB_8equal_toIvEES6_EE10hipError_tPvRmT2_T3_T4_T5_mT6_T7_P12ihipStream_tbENKUlT_T0_E_clISt17integral_constantIbLb0EES12_IbLb1EEEEDaSY_SZ_EUlSY_E_NS1_11comp_targetILNS1_3genE8ELNS1_11target_archE1030ELNS1_3gpuE2ELNS1_3repE0EEENS1_30default_config_static_selectorELNS0_4arch9wavefront6targetE1EEEvT1_
	.p2align	8
	.type	_ZN7rocprim17ROCPRIM_400000_NS6detail17trampoline_kernelINS0_14default_configENS1_27scan_by_key_config_selectorIj11FixedVectorIiLj1EEEEZZNS1_16scan_by_key_implILNS1_25lookback_scan_determinismE0ELb1ES3_N6thrust23THRUST_200600_302600_NS6detail15normal_iteratorINSB_10device_ptrIjEEEENSD_INSE_IS6_EEEESI_S6_NSB_4plusIvEENSB_8equal_toIvEES6_EE10hipError_tPvRmT2_T3_T4_T5_mT6_T7_P12ihipStream_tbENKUlT_T0_E_clISt17integral_constantIbLb0EES12_IbLb1EEEEDaSY_SZ_EUlSY_E_NS1_11comp_targetILNS1_3genE8ELNS1_11target_archE1030ELNS1_3gpuE2ELNS1_3repE0EEENS1_30default_config_static_selectorELNS0_4arch9wavefront6targetE1EEEvT1_,@function
_ZN7rocprim17ROCPRIM_400000_NS6detail17trampoline_kernelINS0_14default_configENS1_27scan_by_key_config_selectorIj11FixedVectorIiLj1EEEEZZNS1_16scan_by_key_implILNS1_25lookback_scan_determinismE0ELb1ES3_N6thrust23THRUST_200600_302600_NS6detail15normal_iteratorINSB_10device_ptrIjEEEENSD_INSE_IS6_EEEESI_S6_NSB_4plusIvEENSB_8equal_toIvEES6_EE10hipError_tPvRmT2_T3_T4_T5_mT6_T7_P12ihipStream_tbENKUlT_T0_E_clISt17integral_constantIbLb0EES12_IbLb1EEEEDaSY_SZ_EUlSY_E_NS1_11comp_targetILNS1_3genE8ELNS1_11target_archE1030ELNS1_3gpuE2ELNS1_3repE0EEENS1_30default_config_static_selectorELNS0_4arch9wavefront6targetE1EEEvT1_: ; @_ZN7rocprim17ROCPRIM_400000_NS6detail17trampoline_kernelINS0_14default_configENS1_27scan_by_key_config_selectorIj11FixedVectorIiLj1EEEEZZNS1_16scan_by_key_implILNS1_25lookback_scan_determinismE0ELb1ES3_N6thrust23THRUST_200600_302600_NS6detail15normal_iteratorINSB_10device_ptrIjEEEENSD_INSE_IS6_EEEESI_S6_NSB_4plusIvEENSB_8equal_toIvEES6_EE10hipError_tPvRmT2_T3_T4_T5_mT6_T7_P12ihipStream_tbENKUlT_T0_E_clISt17integral_constantIbLb0EES12_IbLb1EEEEDaSY_SZ_EUlSY_E_NS1_11comp_targetILNS1_3genE8ELNS1_11target_archE1030ELNS1_3gpuE2ELNS1_3repE0EEENS1_30default_config_static_selectorELNS0_4arch9wavefront6targetE1EEEvT1_
; %bb.0:
	.section	.rodata,"a",@progbits
	.p2align	6, 0x0
	.amdhsa_kernel _ZN7rocprim17ROCPRIM_400000_NS6detail17trampoline_kernelINS0_14default_configENS1_27scan_by_key_config_selectorIj11FixedVectorIiLj1EEEEZZNS1_16scan_by_key_implILNS1_25lookback_scan_determinismE0ELb1ES3_N6thrust23THRUST_200600_302600_NS6detail15normal_iteratorINSB_10device_ptrIjEEEENSD_INSE_IS6_EEEESI_S6_NSB_4plusIvEENSB_8equal_toIvEES6_EE10hipError_tPvRmT2_T3_T4_T5_mT6_T7_P12ihipStream_tbENKUlT_T0_E_clISt17integral_constantIbLb0EES12_IbLb1EEEEDaSY_SZ_EUlSY_E_NS1_11comp_targetILNS1_3genE8ELNS1_11target_archE1030ELNS1_3gpuE2ELNS1_3repE0EEENS1_30default_config_static_selectorELNS0_4arch9wavefront6targetE1EEEvT1_
		.amdhsa_group_segment_fixed_size 0
		.amdhsa_private_segment_fixed_size 0
		.amdhsa_kernarg_size 112
		.amdhsa_user_sgpr_count 2
		.amdhsa_user_sgpr_dispatch_ptr 0
		.amdhsa_user_sgpr_queue_ptr 0
		.amdhsa_user_sgpr_kernarg_segment_ptr 1
		.amdhsa_user_sgpr_dispatch_id 0
		.amdhsa_user_sgpr_kernarg_preload_length 0
		.amdhsa_user_sgpr_kernarg_preload_offset 0
		.amdhsa_user_sgpr_private_segment_size 0
		.amdhsa_uses_dynamic_stack 0
		.amdhsa_enable_private_segment 0
		.amdhsa_system_sgpr_workgroup_id_x 1
		.amdhsa_system_sgpr_workgroup_id_y 0
		.amdhsa_system_sgpr_workgroup_id_z 0
		.amdhsa_system_sgpr_workgroup_info 0
		.amdhsa_system_vgpr_workitem_id 0
		.amdhsa_next_free_vgpr 1
		.amdhsa_next_free_sgpr 0
		.amdhsa_accum_offset 4
		.amdhsa_reserve_vcc 0
		.amdhsa_float_round_mode_32 0
		.amdhsa_float_round_mode_16_64 0
		.amdhsa_float_denorm_mode_32 3
		.amdhsa_float_denorm_mode_16_64 3
		.amdhsa_dx10_clamp 1
		.amdhsa_ieee_mode 1
		.amdhsa_fp16_overflow 0
		.amdhsa_tg_split 0
		.amdhsa_exception_fp_ieee_invalid_op 0
		.amdhsa_exception_fp_denorm_src 0
		.amdhsa_exception_fp_ieee_div_zero 0
		.amdhsa_exception_fp_ieee_overflow 0
		.amdhsa_exception_fp_ieee_underflow 0
		.amdhsa_exception_fp_ieee_inexact 0
		.amdhsa_exception_int_div_zero 0
	.end_amdhsa_kernel
	.section	.text._ZN7rocprim17ROCPRIM_400000_NS6detail17trampoline_kernelINS0_14default_configENS1_27scan_by_key_config_selectorIj11FixedVectorIiLj1EEEEZZNS1_16scan_by_key_implILNS1_25lookback_scan_determinismE0ELb1ES3_N6thrust23THRUST_200600_302600_NS6detail15normal_iteratorINSB_10device_ptrIjEEEENSD_INSE_IS6_EEEESI_S6_NSB_4plusIvEENSB_8equal_toIvEES6_EE10hipError_tPvRmT2_T3_T4_T5_mT6_T7_P12ihipStream_tbENKUlT_T0_E_clISt17integral_constantIbLb0EES12_IbLb1EEEEDaSY_SZ_EUlSY_E_NS1_11comp_targetILNS1_3genE8ELNS1_11target_archE1030ELNS1_3gpuE2ELNS1_3repE0EEENS1_30default_config_static_selectorELNS0_4arch9wavefront6targetE1EEEvT1_,"axG",@progbits,_ZN7rocprim17ROCPRIM_400000_NS6detail17trampoline_kernelINS0_14default_configENS1_27scan_by_key_config_selectorIj11FixedVectorIiLj1EEEEZZNS1_16scan_by_key_implILNS1_25lookback_scan_determinismE0ELb1ES3_N6thrust23THRUST_200600_302600_NS6detail15normal_iteratorINSB_10device_ptrIjEEEENSD_INSE_IS6_EEEESI_S6_NSB_4plusIvEENSB_8equal_toIvEES6_EE10hipError_tPvRmT2_T3_T4_T5_mT6_T7_P12ihipStream_tbENKUlT_T0_E_clISt17integral_constantIbLb0EES12_IbLb1EEEEDaSY_SZ_EUlSY_E_NS1_11comp_targetILNS1_3genE8ELNS1_11target_archE1030ELNS1_3gpuE2ELNS1_3repE0EEENS1_30default_config_static_selectorELNS0_4arch9wavefront6targetE1EEEvT1_,comdat
.Lfunc_end1946:
	.size	_ZN7rocprim17ROCPRIM_400000_NS6detail17trampoline_kernelINS0_14default_configENS1_27scan_by_key_config_selectorIj11FixedVectorIiLj1EEEEZZNS1_16scan_by_key_implILNS1_25lookback_scan_determinismE0ELb1ES3_N6thrust23THRUST_200600_302600_NS6detail15normal_iteratorINSB_10device_ptrIjEEEENSD_INSE_IS6_EEEESI_S6_NSB_4plusIvEENSB_8equal_toIvEES6_EE10hipError_tPvRmT2_T3_T4_T5_mT6_T7_P12ihipStream_tbENKUlT_T0_E_clISt17integral_constantIbLb0EES12_IbLb1EEEEDaSY_SZ_EUlSY_E_NS1_11comp_targetILNS1_3genE8ELNS1_11target_archE1030ELNS1_3gpuE2ELNS1_3repE0EEENS1_30default_config_static_selectorELNS0_4arch9wavefront6targetE1EEEvT1_, .Lfunc_end1946-_ZN7rocprim17ROCPRIM_400000_NS6detail17trampoline_kernelINS0_14default_configENS1_27scan_by_key_config_selectorIj11FixedVectorIiLj1EEEEZZNS1_16scan_by_key_implILNS1_25lookback_scan_determinismE0ELb1ES3_N6thrust23THRUST_200600_302600_NS6detail15normal_iteratorINSB_10device_ptrIjEEEENSD_INSE_IS6_EEEESI_S6_NSB_4plusIvEENSB_8equal_toIvEES6_EE10hipError_tPvRmT2_T3_T4_T5_mT6_T7_P12ihipStream_tbENKUlT_T0_E_clISt17integral_constantIbLb0EES12_IbLb1EEEEDaSY_SZ_EUlSY_E_NS1_11comp_targetILNS1_3genE8ELNS1_11target_archE1030ELNS1_3gpuE2ELNS1_3repE0EEENS1_30default_config_static_selectorELNS0_4arch9wavefront6targetE1EEEvT1_
                                        ; -- End function
	.section	.AMDGPU.csdata,"",@progbits
; Kernel info:
; codeLenInByte = 0
; NumSgprs: 6
; NumVgprs: 0
; NumAgprs: 0
; TotalNumVgprs: 0
; ScratchSize: 0
; MemoryBound: 0
; FloatMode: 240
; IeeeMode: 1
; LDSByteSize: 0 bytes/workgroup (compile time only)
; SGPRBlocks: 0
; VGPRBlocks: 0
; NumSGPRsForWavesPerEU: 6
; NumVGPRsForWavesPerEU: 1
; AccumOffset: 4
; Occupancy: 8
; WaveLimiterHint : 0
; COMPUTE_PGM_RSRC2:SCRATCH_EN: 0
; COMPUTE_PGM_RSRC2:USER_SGPR: 2
; COMPUTE_PGM_RSRC2:TRAP_HANDLER: 0
; COMPUTE_PGM_RSRC2:TGID_X_EN: 1
; COMPUTE_PGM_RSRC2:TGID_Y_EN: 0
; COMPUTE_PGM_RSRC2:TGID_Z_EN: 0
; COMPUTE_PGM_RSRC2:TIDIG_COMP_CNT: 0
; COMPUTE_PGM_RSRC3_GFX90A:ACCUM_OFFSET: 0
; COMPUTE_PGM_RSRC3_GFX90A:TG_SPLIT: 0
	.section	.text._ZN6thrust23THRUST_200600_302600_NS11hip_rocprim14__parallel_for6kernelILj256ENS1_10for_each_fINS0_10device_ptrI11FixedVectorIiLj2EEEENS0_6detail16wrapped_functionINS9_23allocator_traits_detail5gozerEvEEEElLj1EEEvT0_T1_SG_,"axG",@progbits,_ZN6thrust23THRUST_200600_302600_NS11hip_rocprim14__parallel_for6kernelILj256ENS1_10for_each_fINS0_10device_ptrI11FixedVectorIiLj2EEEENS0_6detail16wrapped_functionINS9_23allocator_traits_detail5gozerEvEEEElLj1EEEvT0_T1_SG_,comdat
	.protected	_ZN6thrust23THRUST_200600_302600_NS11hip_rocprim14__parallel_for6kernelILj256ENS1_10for_each_fINS0_10device_ptrI11FixedVectorIiLj2EEEENS0_6detail16wrapped_functionINS9_23allocator_traits_detail5gozerEvEEEElLj1EEEvT0_T1_SG_ ; -- Begin function _ZN6thrust23THRUST_200600_302600_NS11hip_rocprim14__parallel_for6kernelILj256ENS1_10for_each_fINS0_10device_ptrI11FixedVectorIiLj2EEEENS0_6detail16wrapped_functionINS9_23allocator_traits_detail5gozerEvEEEElLj1EEEvT0_T1_SG_
	.globl	_ZN6thrust23THRUST_200600_302600_NS11hip_rocprim14__parallel_for6kernelILj256ENS1_10for_each_fINS0_10device_ptrI11FixedVectorIiLj2EEEENS0_6detail16wrapped_functionINS9_23allocator_traits_detail5gozerEvEEEElLj1EEEvT0_T1_SG_
	.p2align	8
	.type	_ZN6thrust23THRUST_200600_302600_NS11hip_rocprim14__parallel_for6kernelILj256ENS1_10for_each_fINS0_10device_ptrI11FixedVectorIiLj2EEEENS0_6detail16wrapped_functionINS9_23allocator_traits_detail5gozerEvEEEElLj1EEEvT0_T1_SG_,@function
_ZN6thrust23THRUST_200600_302600_NS11hip_rocprim14__parallel_for6kernelILj256ENS1_10for_each_fINS0_10device_ptrI11FixedVectorIiLj2EEEENS0_6detail16wrapped_functionINS9_23allocator_traits_detail5gozerEvEEEElLj1EEEvT0_T1_SG_: ; @_ZN6thrust23THRUST_200600_302600_NS11hip_rocprim14__parallel_for6kernelILj256ENS1_10for_each_fINS0_10device_ptrI11FixedVectorIiLj2EEEENS0_6detail16wrapped_functionINS9_23allocator_traits_detail5gozerEvEEEElLj1EEEvT0_T1_SG_
; %bb.0:
	s_endpgm
	.section	.rodata,"a",@progbits
	.p2align	6, 0x0
	.amdhsa_kernel _ZN6thrust23THRUST_200600_302600_NS11hip_rocprim14__parallel_for6kernelILj256ENS1_10for_each_fINS0_10device_ptrI11FixedVectorIiLj2EEEENS0_6detail16wrapped_functionINS9_23allocator_traits_detail5gozerEvEEEElLj1EEEvT0_T1_SG_
		.amdhsa_group_segment_fixed_size 0
		.amdhsa_private_segment_fixed_size 0
		.amdhsa_kernarg_size 32
		.amdhsa_user_sgpr_count 2
		.amdhsa_user_sgpr_dispatch_ptr 0
		.amdhsa_user_sgpr_queue_ptr 0
		.amdhsa_user_sgpr_kernarg_segment_ptr 1
		.amdhsa_user_sgpr_dispatch_id 0
		.amdhsa_user_sgpr_kernarg_preload_length 0
		.amdhsa_user_sgpr_kernarg_preload_offset 0
		.amdhsa_user_sgpr_private_segment_size 0
		.amdhsa_uses_dynamic_stack 0
		.amdhsa_enable_private_segment 0
		.amdhsa_system_sgpr_workgroup_id_x 1
		.amdhsa_system_sgpr_workgroup_id_y 0
		.amdhsa_system_sgpr_workgroup_id_z 0
		.amdhsa_system_sgpr_workgroup_info 0
		.amdhsa_system_vgpr_workitem_id 0
		.amdhsa_next_free_vgpr 1
		.amdhsa_next_free_sgpr 0
		.amdhsa_accum_offset 4
		.amdhsa_reserve_vcc 0
		.amdhsa_float_round_mode_32 0
		.amdhsa_float_round_mode_16_64 0
		.amdhsa_float_denorm_mode_32 3
		.amdhsa_float_denorm_mode_16_64 3
		.amdhsa_dx10_clamp 1
		.amdhsa_ieee_mode 1
		.amdhsa_fp16_overflow 0
		.amdhsa_tg_split 0
		.amdhsa_exception_fp_ieee_invalid_op 0
		.amdhsa_exception_fp_denorm_src 0
		.amdhsa_exception_fp_ieee_div_zero 0
		.amdhsa_exception_fp_ieee_overflow 0
		.amdhsa_exception_fp_ieee_underflow 0
		.amdhsa_exception_fp_ieee_inexact 0
		.amdhsa_exception_int_div_zero 0
	.end_amdhsa_kernel
	.section	.text._ZN6thrust23THRUST_200600_302600_NS11hip_rocprim14__parallel_for6kernelILj256ENS1_10for_each_fINS0_10device_ptrI11FixedVectorIiLj2EEEENS0_6detail16wrapped_functionINS9_23allocator_traits_detail5gozerEvEEEElLj1EEEvT0_T1_SG_,"axG",@progbits,_ZN6thrust23THRUST_200600_302600_NS11hip_rocprim14__parallel_for6kernelILj256ENS1_10for_each_fINS0_10device_ptrI11FixedVectorIiLj2EEEENS0_6detail16wrapped_functionINS9_23allocator_traits_detail5gozerEvEEEElLj1EEEvT0_T1_SG_,comdat
.Lfunc_end1947:
	.size	_ZN6thrust23THRUST_200600_302600_NS11hip_rocprim14__parallel_for6kernelILj256ENS1_10for_each_fINS0_10device_ptrI11FixedVectorIiLj2EEEENS0_6detail16wrapped_functionINS9_23allocator_traits_detail5gozerEvEEEElLj1EEEvT0_T1_SG_, .Lfunc_end1947-_ZN6thrust23THRUST_200600_302600_NS11hip_rocprim14__parallel_for6kernelILj256ENS1_10for_each_fINS0_10device_ptrI11FixedVectorIiLj2EEEENS0_6detail16wrapped_functionINS9_23allocator_traits_detail5gozerEvEEEElLj1EEEvT0_T1_SG_
                                        ; -- End function
	.section	.AMDGPU.csdata,"",@progbits
; Kernel info:
; codeLenInByte = 4
; NumSgprs: 6
; NumVgprs: 0
; NumAgprs: 0
; TotalNumVgprs: 0
; ScratchSize: 0
; MemoryBound: 0
; FloatMode: 240
; IeeeMode: 1
; LDSByteSize: 0 bytes/workgroup (compile time only)
; SGPRBlocks: 0
; VGPRBlocks: 0
; NumSGPRsForWavesPerEU: 6
; NumVGPRsForWavesPerEU: 1
; AccumOffset: 4
; Occupancy: 8
; WaveLimiterHint : 0
; COMPUTE_PGM_RSRC2:SCRATCH_EN: 0
; COMPUTE_PGM_RSRC2:USER_SGPR: 2
; COMPUTE_PGM_RSRC2:TRAP_HANDLER: 0
; COMPUTE_PGM_RSRC2:TGID_X_EN: 1
; COMPUTE_PGM_RSRC2:TGID_Y_EN: 0
; COMPUTE_PGM_RSRC2:TGID_Z_EN: 0
; COMPUTE_PGM_RSRC2:TIDIG_COMP_CNT: 0
; COMPUTE_PGM_RSRC3_GFX90A:ACCUM_OFFSET: 0
; COMPUTE_PGM_RSRC3_GFX90A:TG_SPLIT: 0
	.section	.text._ZN6thrust23THRUST_200600_302600_NS11hip_rocprim14__parallel_for6kernelILj256ENS1_10for_each_fINS0_10device_ptrI11FixedVectorIiLj2EEEENS0_6detail16wrapped_functionINS9_23allocator_traits_detail24construct1_via_allocatorINS0_16device_allocatorIS7_EEEEvEEEEmLj1EEEvT0_T1_SJ_,"axG",@progbits,_ZN6thrust23THRUST_200600_302600_NS11hip_rocprim14__parallel_for6kernelILj256ENS1_10for_each_fINS0_10device_ptrI11FixedVectorIiLj2EEEENS0_6detail16wrapped_functionINS9_23allocator_traits_detail24construct1_via_allocatorINS0_16device_allocatorIS7_EEEEvEEEEmLj1EEEvT0_T1_SJ_,comdat
	.protected	_ZN6thrust23THRUST_200600_302600_NS11hip_rocprim14__parallel_for6kernelILj256ENS1_10for_each_fINS0_10device_ptrI11FixedVectorIiLj2EEEENS0_6detail16wrapped_functionINS9_23allocator_traits_detail24construct1_via_allocatorINS0_16device_allocatorIS7_EEEEvEEEEmLj1EEEvT0_T1_SJ_ ; -- Begin function _ZN6thrust23THRUST_200600_302600_NS11hip_rocprim14__parallel_for6kernelILj256ENS1_10for_each_fINS0_10device_ptrI11FixedVectorIiLj2EEEENS0_6detail16wrapped_functionINS9_23allocator_traits_detail24construct1_via_allocatorINS0_16device_allocatorIS7_EEEEvEEEEmLj1EEEvT0_T1_SJ_
	.globl	_ZN6thrust23THRUST_200600_302600_NS11hip_rocprim14__parallel_for6kernelILj256ENS1_10for_each_fINS0_10device_ptrI11FixedVectorIiLj2EEEENS0_6detail16wrapped_functionINS9_23allocator_traits_detail24construct1_via_allocatorINS0_16device_allocatorIS7_EEEEvEEEEmLj1EEEvT0_T1_SJ_
	.p2align	8
	.type	_ZN6thrust23THRUST_200600_302600_NS11hip_rocprim14__parallel_for6kernelILj256ENS1_10for_each_fINS0_10device_ptrI11FixedVectorIiLj2EEEENS0_6detail16wrapped_functionINS9_23allocator_traits_detail24construct1_via_allocatorINS0_16device_allocatorIS7_EEEEvEEEEmLj1EEEvT0_T1_SJ_,@function
_ZN6thrust23THRUST_200600_302600_NS11hip_rocprim14__parallel_for6kernelILj256ENS1_10for_each_fINS0_10device_ptrI11FixedVectorIiLj2EEEENS0_6detail16wrapped_functionINS9_23allocator_traits_detail24construct1_via_allocatorINS0_16device_allocatorIS7_EEEEvEEEEmLj1EEEvT0_T1_SJ_: ; @_ZN6thrust23THRUST_200600_302600_NS11hip_rocprim14__parallel_for6kernelILj256ENS1_10for_each_fINS0_10device_ptrI11FixedVectorIiLj2EEEENS0_6detail16wrapped_functionINS9_23allocator_traits_detail24construct1_via_allocatorINS0_16device_allocatorIS7_EEEEvEEEEmLj1EEEvT0_T1_SJ_
; %bb.0:
	s_load_dwordx4 s[8:11], s[0:1], 0x10
	s_load_dwordx2 s[4:5], s[0:1], 0x0
	s_lshl_b32 s0, s2, 8
	v_mov_b64_e32 v[2:3], 0x100
	s_waitcnt lgkmcnt(0)
	s_add_u32 s2, s0, s10
	s_addc_u32 s3, 0, s11
	s_sub_u32 s0, s8, s2
	s_subb_u32 s1, s9, s3
	v_cmp_lt_u64_e32 vcc, s[0:1], v[2:3]
	s_cbranch_vccz .LBB1948_4
; %bb.1:
	v_cmp_gt_u32_e32 vcc, s0, v0
	s_mov_b64 s[6:7], 0
	s_mov_b64 s[0:1], 0
                                        ; implicit-def: $vgpr2_vgpr3
	s_and_saveexec_b64 s[8:9], vcc
	s_xor_b64 s[8:9], exec, s[8:9]
; %bb.2:
	s_lshl_b64 s[10:11], s[2:3], 3
	s_add_u32 s10, s4, s10
	s_addc_u32 s11, s5, s11
	v_lshlrev_b32_e32 v2, 3, v0
	v_mov_b32_e32 v3, 0
	s_mov_b64 s[0:1], exec
	v_lshl_add_u64 v[2:3], s[10:11], 0, v[2:3]
; %bb.3:
	s_or_b64 exec, exec, s[8:9]
	s_and_b64 vcc, exec, s[6:7]
	s_cbranch_vccnz .LBB1948_5
	s_branch .LBB1948_6
.LBB1948_4:
	s_mov_b64 s[0:1], 0
                                        ; implicit-def: $vgpr2_vgpr3
	s_cbranch_execz .LBB1948_6
.LBB1948_5:
	s_lshl_b64 s[2:3], s[2:3], 3
	s_add_u32 s2, s4, s2
	s_addc_u32 s3, s5, s3
	v_lshlrev_b32_e32 v0, 3, v0
	v_mov_b32_e32 v1, 0
	v_lshl_add_u64 v[2:3], s[2:3], 0, v[0:1]
	s_or_b64 s[0:1], s[0:1], exec
.LBB1948_6:
	s_and_saveexec_b64 s[2:3], s[0:1]
	s_cbranch_execnz .LBB1948_8
; %bb.7:
	s_endpgm
.LBB1948_8:
	v_mov_b32_e32 v0, 0
	v_mov_b32_e32 v1, v0
	flat_store_dwordx2 v[2:3], v[0:1]
	s_endpgm
	.section	.rodata,"a",@progbits
	.p2align	6, 0x0
	.amdhsa_kernel _ZN6thrust23THRUST_200600_302600_NS11hip_rocprim14__parallel_for6kernelILj256ENS1_10for_each_fINS0_10device_ptrI11FixedVectorIiLj2EEEENS0_6detail16wrapped_functionINS9_23allocator_traits_detail24construct1_via_allocatorINS0_16device_allocatorIS7_EEEEvEEEEmLj1EEEvT0_T1_SJ_
		.amdhsa_group_segment_fixed_size 0
		.amdhsa_private_segment_fixed_size 0
		.amdhsa_kernarg_size 32
		.amdhsa_user_sgpr_count 2
		.amdhsa_user_sgpr_dispatch_ptr 0
		.amdhsa_user_sgpr_queue_ptr 0
		.amdhsa_user_sgpr_kernarg_segment_ptr 1
		.amdhsa_user_sgpr_dispatch_id 0
		.amdhsa_user_sgpr_kernarg_preload_length 0
		.amdhsa_user_sgpr_kernarg_preload_offset 0
		.amdhsa_user_sgpr_private_segment_size 0
		.amdhsa_uses_dynamic_stack 0
		.amdhsa_enable_private_segment 0
		.amdhsa_system_sgpr_workgroup_id_x 1
		.amdhsa_system_sgpr_workgroup_id_y 0
		.amdhsa_system_sgpr_workgroup_id_z 0
		.amdhsa_system_sgpr_workgroup_info 0
		.amdhsa_system_vgpr_workitem_id 0
		.amdhsa_next_free_vgpr 4
		.amdhsa_next_free_sgpr 12
		.amdhsa_accum_offset 4
		.amdhsa_reserve_vcc 1
		.amdhsa_float_round_mode_32 0
		.amdhsa_float_round_mode_16_64 0
		.amdhsa_float_denorm_mode_32 3
		.amdhsa_float_denorm_mode_16_64 3
		.amdhsa_dx10_clamp 1
		.amdhsa_ieee_mode 1
		.amdhsa_fp16_overflow 0
		.amdhsa_tg_split 0
		.amdhsa_exception_fp_ieee_invalid_op 0
		.amdhsa_exception_fp_denorm_src 0
		.amdhsa_exception_fp_ieee_div_zero 0
		.amdhsa_exception_fp_ieee_overflow 0
		.amdhsa_exception_fp_ieee_underflow 0
		.amdhsa_exception_fp_ieee_inexact 0
		.amdhsa_exception_int_div_zero 0
	.end_amdhsa_kernel
	.section	.text._ZN6thrust23THRUST_200600_302600_NS11hip_rocprim14__parallel_for6kernelILj256ENS1_10for_each_fINS0_10device_ptrI11FixedVectorIiLj2EEEENS0_6detail16wrapped_functionINS9_23allocator_traits_detail24construct1_via_allocatorINS0_16device_allocatorIS7_EEEEvEEEEmLj1EEEvT0_T1_SJ_,"axG",@progbits,_ZN6thrust23THRUST_200600_302600_NS11hip_rocprim14__parallel_for6kernelILj256ENS1_10for_each_fINS0_10device_ptrI11FixedVectorIiLj2EEEENS0_6detail16wrapped_functionINS9_23allocator_traits_detail24construct1_via_allocatorINS0_16device_allocatorIS7_EEEEvEEEEmLj1EEEvT0_T1_SJ_,comdat
.Lfunc_end1948:
	.size	_ZN6thrust23THRUST_200600_302600_NS11hip_rocprim14__parallel_for6kernelILj256ENS1_10for_each_fINS0_10device_ptrI11FixedVectorIiLj2EEEENS0_6detail16wrapped_functionINS9_23allocator_traits_detail24construct1_via_allocatorINS0_16device_allocatorIS7_EEEEvEEEEmLj1EEEvT0_T1_SJ_, .Lfunc_end1948-_ZN6thrust23THRUST_200600_302600_NS11hip_rocprim14__parallel_for6kernelILj256ENS1_10for_each_fINS0_10device_ptrI11FixedVectorIiLj2EEEENS0_6detail16wrapped_functionINS9_23allocator_traits_detail24construct1_via_allocatorINS0_16device_allocatorIS7_EEEEvEEEEmLj1EEEvT0_T1_SJ_
                                        ; -- End function
	.section	.AMDGPU.csdata,"",@progbits
; Kernel info:
; codeLenInByte = 196
; NumSgprs: 18
; NumVgprs: 4
; NumAgprs: 0
; TotalNumVgprs: 4
; ScratchSize: 0
; MemoryBound: 0
; FloatMode: 240
; IeeeMode: 1
; LDSByteSize: 0 bytes/workgroup (compile time only)
; SGPRBlocks: 2
; VGPRBlocks: 0
; NumSGPRsForWavesPerEU: 18
; NumVGPRsForWavesPerEU: 4
; AccumOffset: 4
; Occupancy: 8
; WaveLimiterHint : 0
; COMPUTE_PGM_RSRC2:SCRATCH_EN: 0
; COMPUTE_PGM_RSRC2:USER_SGPR: 2
; COMPUTE_PGM_RSRC2:TRAP_HANDLER: 0
; COMPUTE_PGM_RSRC2:TGID_X_EN: 1
; COMPUTE_PGM_RSRC2:TGID_Y_EN: 0
; COMPUTE_PGM_RSRC2:TGID_Z_EN: 0
; COMPUTE_PGM_RSRC2:TIDIG_COMP_CNT: 0
; COMPUTE_PGM_RSRC3_GFX90A:ACCUM_OFFSET: 0
; COMPUTE_PGM_RSRC3_GFX90A:TG_SPLIT: 0
	.section	.text._ZN7rocprim17ROCPRIM_400000_NS6detail30init_device_scan_by_key_kernelINS1_19lookback_scan_stateINS0_5tupleIJ11FixedVectorIiLj2EEbEEELb0ELb1EEEN6thrust23THRUST_200600_302600_NS6detail15normal_iteratorINSA_10device_ptrIjEEEEjNS1_16block_id_wrapperIjLb0EEEEEvT_jjPNSI_10value_typeET0_PNSt15iterator_traitsISL_E10value_typeEmT1_T2_,"axG",@progbits,_ZN7rocprim17ROCPRIM_400000_NS6detail30init_device_scan_by_key_kernelINS1_19lookback_scan_stateINS0_5tupleIJ11FixedVectorIiLj2EEbEEELb0ELb1EEEN6thrust23THRUST_200600_302600_NS6detail15normal_iteratorINSA_10device_ptrIjEEEEjNS1_16block_id_wrapperIjLb0EEEEEvT_jjPNSI_10value_typeET0_PNSt15iterator_traitsISL_E10value_typeEmT1_T2_,comdat
	.protected	_ZN7rocprim17ROCPRIM_400000_NS6detail30init_device_scan_by_key_kernelINS1_19lookback_scan_stateINS0_5tupleIJ11FixedVectorIiLj2EEbEEELb0ELb1EEEN6thrust23THRUST_200600_302600_NS6detail15normal_iteratorINSA_10device_ptrIjEEEEjNS1_16block_id_wrapperIjLb0EEEEEvT_jjPNSI_10value_typeET0_PNSt15iterator_traitsISL_E10value_typeEmT1_T2_ ; -- Begin function _ZN7rocprim17ROCPRIM_400000_NS6detail30init_device_scan_by_key_kernelINS1_19lookback_scan_stateINS0_5tupleIJ11FixedVectorIiLj2EEbEEELb0ELb1EEEN6thrust23THRUST_200600_302600_NS6detail15normal_iteratorINSA_10device_ptrIjEEEEjNS1_16block_id_wrapperIjLb0EEEEEvT_jjPNSI_10value_typeET0_PNSt15iterator_traitsISL_E10value_typeEmT1_T2_
	.globl	_ZN7rocprim17ROCPRIM_400000_NS6detail30init_device_scan_by_key_kernelINS1_19lookback_scan_stateINS0_5tupleIJ11FixedVectorIiLj2EEbEEELb0ELb1EEEN6thrust23THRUST_200600_302600_NS6detail15normal_iteratorINSA_10device_ptrIjEEEEjNS1_16block_id_wrapperIjLb0EEEEEvT_jjPNSI_10value_typeET0_PNSt15iterator_traitsISL_E10value_typeEmT1_T2_
	.p2align	8
	.type	_ZN7rocprim17ROCPRIM_400000_NS6detail30init_device_scan_by_key_kernelINS1_19lookback_scan_stateINS0_5tupleIJ11FixedVectorIiLj2EEbEEELb0ELb1EEEN6thrust23THRUST_200600_302600_NS6detail15normal_iteratorINSA_10device_ptrIjEEEEjNS1_16block_id_wrapperIjLb0EEEEEvT_jjPNSI_10value_typeET0_PNSt15iterator_traitsISL_E10value_typeEmT1_T2_,@function
_ZN7rocprim17ROCPRIM_400000_NS6detail30init_device_scan_by_key_kernelINS1_19lookback_scan_stateINS0_5tupleIJ11FixedVectorIiLj2EEbEEELb0ELb1EEEN6thrust23THRUST_200600_302600_NS6detail15normal_iteratorINSA_10device_ptrIjEEEEjNS1_16block_id_wrapperIjLb0EEEEEvT_jjPNSI_10value_typeET0_PNSt15iterator_traitsISL_E10value_typeEmT1_T2_: ; @_ZN7rocprim17ROCPRIM_400000_NS6detail30init_device_scan_by_key_kernelINS1_19lookback_scan_stateINS0_5tupleIJ11FixedVectorIiLj2EEbEEELb0ELb1EEEN6thrust23THRUST_200600_302600_NS6detail15normal_iteratorINSA_10device_ptrIjEEEEjNS1_16block_id_wrapperIjLb0EEEEEvT_jjPNSI_10value_typeET0_PNSt15iterator_traitsISL_E10value_typeEmT1_T2_
; %bb.0:
	s_load_dword s3, s[0:1], 0x44
	s_load_dwordx8 s[4:11], s[0:1], 0x0
	s_load_dword s18, s[0:1], 0x38
	s_waitcnt lgkmcnt(0)
	s_and_b32 s19, s3, 0xffff
	s_mul_i32 s2, s2, s19
	s_cmp_eq_u64 s[8:9], 0
	v_add_u32_e32 v4, s2, v0
	s_cbranch_scc1 .LBB1949_8
; %bb.1:
	s_cmp_lt_u32 s7, s6
	s_cselect_b32 s2, s7, 0
	s_mov_b32 s13, 0
	v_cmp_eq_u32_e32 vcc, s2, v4
	s_and_saveexec_b64 s[2:3], vcc
	s_cbranch_execz .LBB1949_7
; %bb.2:
	s_add_i32 s12, s7, 64
	s_lshl_b64 s[12:13], s[12:13], 4
	s_add_u32 s14, s4, s12
	s_addc_u32 s15, s5, s13
	v_mov_b64_e32 v[0:1], s[14:15]
	v_mov_b32_e32 v16, 0
	;;#ASMSTART
	global_load_dwordx4 v[0:3], v[0:1] off sc1	
s_waitcnt vmcnt(0)
	;;#ASMEND
	s_mov_b64 s[16:17], 0
	v_lshlrev_b64 v[14:15], 24, v[2:3]
	v_lshrrev_b32_e32 v5, 8, v1
	v_lshlrev_b64 v[18:19], 16, v[2:3]
	v_lshlrev_b64 v[20:21], 8, v[2:3]
	v_and_b32_e32 v17, 0xff, v3
	v_lshrrev_b64 v[6:7], 8, v[0:1]
	v_lshrrev_b64 v[10:11], 16, v[0:1]
	;; [unrolled: 1-line block ×3, first 2 shown]
	v_mov_b32_e32 v12, v1
	v_or_b32_e32 v14, v5, v14
	v_or_b32_sdwa v18, v1, v18 dst_sel:DWORD dst_unused:UNUSED_PAD src0_sel:WORD_1 src1_sel:DWORD
	v_or_b32_sdwa v20, v1, v20 dst_sel:DWORD dst_unused:UNUSED_PAD src0_sel:BYTE_3 src1_sel:DWORD
	v_cmp_eq_u64_e32 vcc, 0, v[16:17]
	s_and_saveexec_b64 s[12:13], vcc
	s_cbranch_execz .LBB1949_6
; %bb.3:
	v_mov_b64_e32 v[6:7], s[14:15]
.LBB1949_4:                             ; =>This Inner Loop Header: Depth=1
	;;#ASMSTART
	global_load_dwordx4 v[0:3], v[6:7] off sc1	
s_waitcnt vmcnt(0)
	;;#ASMEND
	s_nop 0
	v_and_b32_e32 v17, 0xff, v3
	v_cmp_ne_u64_e32 vcc, 0, v[16:17]
	s_or_b64 s[16:17], vcc, s[16:17]
	s_andn2_b64 exec, exec, s[16:17]
	s_cbranch_execnz .LBB1949_4
; %bb.5:
	s_or_b64 exec, exec, s[16:17]
	v_lshlrev_b64 v[16:17], 16, v[2:3]
	v_lshlrev_b64 v[14:15], 24, v[2:3]
	v_lshrrev_b32_e32 v5, 8, v1
	v_or_b32_sdwa v18, v1, v16 dst_sel:DWORD dst_unused:UNUSED_PAD src0_sel:WORD_1 src1_sel:DWORD
	v_lshlrev_b64 v[16:17], 8, v[2:3]
	v_lshrrev_b64 v[6:7], 8, v[0:1]
	v_lshrrev_b64 v[10:11], 16, v[0:1]
	;; [unrolled: 1-line block ×3, first 2 shown]
	v_mov_b32_e32 v12, v1
	v_or_b32_e32 v14, v5, v14
	v_or_b32_sdwa v20, v1, v16 dst_sel:DWORD dst_unused:UNUSED_PAD src0_sel:BYTE_3 src1_sel:DWORD
.LBB1949_6:
	s_or_b64 exec, exec, s[12:13]
	v_lshlrev_b32_e32 v3, 16, v18
	v_lshlrev_b32_e32 v1, 24, v20
	v_and_b32_e32 v3, 0xff0000, v3
	v_lshlrev_b32_e32 v5, 8, v14
	v_lshlrev_b32_e32 v10, 16, v10
	s_mov_b32 s7, 0x4020c0c
	v_and_b32_e32 v5, 0xff00, v5
	v_and_b32_e32 v9, 0xff, v12
	v_lshlrev_b32_e32 v6, 8, v6
	v_or_b32_e32 v1, v3, v1
	v_perm_b32 v3, v8, v10, s7
	v_and_b32_e32 v6, 0xff00, v6
	v_mov_b32_e32 v7, 0
	v_or3_b32 v1, v1, v5, v9
	v_or_b32_sdwa v0, v3, v0 dst_sel:DWORD dst_unused:UNUSED_PAD src0_sel:DWORD src1_sel:BYTE_0
	v_lshl_add_u64 v[0:1], v[0:1], 0, v[6:7]
	global_store_dwordx2 v7, v[0:1], s[8:9]
	global_store_byte v7, v2, s[8:9] offset:8
.LBB1949_7:
	s_or_b64 exec, exec, s[2:3]
.LBB1949_8:
	v_cmp_gt_u32_e32 vcc, s6, v4
	s_and_saveexec_b64 s[2:3], vcc
	s_cbranch_execz .LBB1949_10
; %bb.9:
	v_add_u32_e32 v0, 64, v4
	v_mov_b32_e32 v1, 0
	v_lshl_add_u64 v[6:7], v[0:1], 4, s[4:5]
	v_mov_b32_e32 v0, v1
	v_mov_b32_e32 v2, v1
	;; [unrolled: 1-line block ×3, first 2 shown]
	global_store_dwordx4 v[6:7], v[0:3], off
.LBB1949_10:
	s_or_b64 exec, exec, s[2:3]
	v_cmp_gt_u32_e32 vcc, 64, v4
	v_mov_b32_e32 v5, 0
	s_and_saveexec_b64 s[2:3], vcc
	s_cbranch_execz .LBB1949_12
; %bb.11:
	v_lshl_add_u64 v[6:7], v[4:5], 4, s[4:5]
	v_mov_b32_e32 v3, 0xff
	v_mov_b32_e32 v0, v5
	;; [unrolled: 1-line block ×4, first 2 shown]
	global_store_dwordx4 v[6:7], v[0:3], off
.LBB1949_12:
	s_or_b64 exec, exec, s[2:3]
	s_load_dwordx2 s[2:3], s[0:1], 0x28
	s_waitcnt lgkmcnt(0)
	v_cmp_gt_u64_e32 vcc, s[2:3], v[4:5]
	s_and_saveexec_b64 s[4:5], vcc
	s_cbranch_execz .LBB1949_15
; %bb.13:
	s_load_dword s12, s[0:1], 0x30
	s_load_dwordx2 s[6:7], s[0:1], 0x20
	s_mov_b32 s5, 0
	s_mov_b32 s1, s5
	s_mul_i32 s0, s18, s19
	s_waitcnt lgkmcnt(0)
	s_add_i32 s4, s12, -1
	s_lshl_b64 s[4:5], s[4:5], 2
	s_add_u32 s4, s10, s4
	v_mad_u64_u32 v[0:1], s[8:9], s12, v4, 0
	s_addc_u32 s5, s11, s5
	v_lshl_add_u64 v[0:1], v[0:1], 2, s[4:5]
	s_mul_hi_u32 s5, s12, s0
	s_mul_i32 s4, s12, s0
	s_lshl_b64 s[4:5], s[4:5], 2
	v_lshl_add_u64 v[2:3], v[4:5], 2, s[6:7]
	s_lshl_b64 s[6:7], s[0:1], 2
	s_mov_b64 s[8:9], 0
.LBB1949_14:                            ; =>This Inner Loop Header: Depth=1
	global_load_dword v6, v[0:1], off
	v_lshl_add_u64 v[4:5], v[4:5], 0, s[0:1]
	v_cmp_le_u64_e32 vcc, s[2:3], v[4:5]
	v_lshl_add_u64 v[0:1], v[0:1], 0, s[4:5]
	s_or_b64 s[8:9], vcc, s[8:9]
	s_waitcnt vmcnt(0)
	global_store_dword v[2:3], v6, off
	v_lshl_add_u64 v[2:3], v[2:3], 0, s[6:7]
	s_andn2_b64 exec, exec, s[8:9]
	s_cbranch_execnz .LBB1949_14
.LBB1949_15:
	s_endpgm
	.section	.rodata,"a",@progbits
	.p2align	6, 0x0
	.amdhsa_kernel _ZN7rocprim17ROCPRIM_400000_NS6detail30init_device_scan_by_key_kernelINS1_19lookback_scan_stateINS0_5tupleIJ11FixedVectorIiLj2EEbEEELb0ELb1EEEN6thrust23THRUST_200600_302600_NS6detail15normal_iteratorINSA_10device_ptrIjEEEEjNS1_16block_id_wrapperIjLb0EEEEEvT_jjPNSI_10value_typeET0_PNSt15iterator_traitsISL_E10value_typeEmT1_T2_
		.amdhsa_group_segment_fixed_size 0
		.amdhsa_private_segment_fixed_size 0
		.amdhsa_kernarg_size 312
		.amdhsa_user_sgpr_count 2
		.amdhsa_user_sgpr_dispatch_ptr 0
		.amdhsa_user_sgpr_queue_ptr 0
		.amdhsa_user_sgpr_kernarg_segment_ptr 1
		.amdhsa_user_sgpr_dispatch_id 0
		.amdhsa_user_sgpr_kernarg_preload_length 0
		.amdhsa_user_sgpr_kernarg_preload_offset 0
		.amdhsa_user_sgpr_private_segment_size 0
		.amdhsa_uses_dynamic_stack 0
		.amdhsa_enable_private_segment 0
		.amdhsa_system_sgpr_workgroup_id_x 1
		.amdhsa_system_sgpr_workgroup_id_y 0
		.amdhsa_system_sgpr_workgroup_id_z 0
		.amdhsa_system_sgpr_workgroup_info 0
		.amdhsa_system_vgpr_workitem_id 0
		.amdhsa_next_free_vgpr 22
		.amdhsa_next_free_sgpr 20
		.amdhsa_accum_offset 24
		.amdhsa_reserve_vcc 1
		.amdhsa_float_round_mode_32 0
		.amdhsa_float_round_mode_16_64 0
		.amdhsa_float_denorm_mode_32 3
		.amdhsa_float_denorm_mode_16_64 3
		.amdhsa_dx10_clamp 1
		.amdhsa_ieee_mode 1
		.amdhsa_fp16_overflow 0
		.amdhsa_tg_split 0
		.amdhsa_exception_fp_ieee_invalid_op 0
		.amdhsa_exception_fp_denorm_src 0
		.amdhsa_exception_fp_ieee_div_zero 0
		.amdhsa_exception_fp_ieee_overflow 0
		.amdhsa_exception_fp_ieee_underflow 0
		.amdhsa_exception_fp_ieee_inexact 0
		.amdhsa_exception_int_div_zero 0
	.end_amdhsa_kernel
	.section	.text._ZN7rocprim17ROCPRIM_400000_NS6detail30init_device_scan_by_key_kernelINS1_19lookback_scan_stateINS0_5tupleIJ11FixedVectorIiLj2EEbEEELb0ELb1EEEN6thrust23THRUST_200600_302600_NS6detail15normal_iteratorINSA_10device_ptrIjEEEEjNS1_16block_id_wrapperIjLb0EEEEEvT_jjPNSI_10value_typeET0_PNSt15iterator_traitsISL_E10value_typeEmT1_T2_,"axG",@progbits,_ZN7rocprim17ROCPRIM_400000_NS6detail30init_device_scan_by_key_kernelINS1_19lookback_scan_stateINS0_5tupleIJ11FixedVectorIiLj2EEbEEELb0ELb1EEEN6thrust23THRUST_200600_302600_NS6detail15normal_iteratorINSA_10device_ptrIjEEEEjNS1_16block_id_wrapperIjLb0EEEEEvT_jjPNSI_10value_typeET0_PNSt15iterator_traitsISL_E10value_typeEmT1_T2_,comdat
.Lfunc_end1949:
	.size	_ZN7rocprim17ROCPRIM_400000_NS6detail30init_device_scan_by_key_kernelINS1_19lookback_scan_stateINS0_5tupleIJ11FixedVectorIiLj2EEbEEELb0ELb1EEEN6thrust23THRUST_200600_302600_NS6detail15normal_iteratorINSA_10device_ptrIjEEEEjNS1_16block_id_wrapperIjLb0EEEEEvT_jjPNSI_10value_typeET0_PNSt15iterator_traitsISL_E10value_typeEmT1_T2_, .Lfunc_end1949-_ZN7rocprim17ROCPRIM_400000_NS6detail30init_device_scan_by_key_kernelINS1_19lookback_scan_stateINS0_5tupleIJ11FixedVectorIiLj2EEbEEELb0ELb1EEEN6thrust23THRUST_200600_302600_NS6detail15normal_iteratorINSA_10device_ptrIjEEEEjNS1_16block_id_wrapperIjLb0EEEEEvT_jjPNSI_10value_typeET0_PNSt15iterator_traitsISL_E10value_typeEmT1_T2_
                                        ; -- End function
	.section	.AMDGPU.csdata,"",@progbits
; Kernel info:
; codeLenInByte = 756
; NumSgprs: 26
; NumVgprs: 22
; NumAgprs: 0
; TotalNumVgprs: 22
; ScratchSize: 0
; MemoryBound: 0
; FloatMode: 240
; IeeeMode: 1
; LDSByteSize: 0 bytes/workgroup (compile time only)
; SGPRBlocks: 3
; VGPRBlocks: 2
; NumSGPRsForWavesPerEU: 26
; NumVGPRsForWavesPerEU: 22
; AccumOffset: 24
; Occupancy: 8
; WaveLimiterHint : 0
; COMPUTE_PGM_RSRC2:SCRATCH_EN: 0
; COMPUTE_PGM_RSRC2:USER_SGPR: 2
; COMPUTE_PGM_RSRC2:TRAP_HANDLER: 0
; COMPUTE_PGM_RSRC2:TGID_X_EN: 1
; COMPUTE_PGM_RSRC2:TGID_Y_EN: 0
; COMPUTE_PGM_RSRC2:TGID_Z_EN: 0
; COMPUTE_PGM_RSRC2:TIDIG_COMP_CNT: 0
; COMPUTE_PGM_RSRC3_GFX90A:ACCUM_OFFSET: 5
; COMPUTE_PGM_RSRC3_GFX90A:TG_SPLIT: 0
	.section	.text._ZN7rocprim17ROCPRIM_400000_NS6detail30init_device_scan_by_key_kernelINS1_19lookback_scan_stateINS0_5tupleIJ11FixedVectorIiLj2EEbEEELb0ELb1EEENS1_16block_id_wrapperIjLb0EEEEEvT_jjPNSB_10value_typeET0_,"axG",@progbits,_ZN7rocprim17ROCPRIM_400000_NS6detail30init_device_scan_by_key_kernelINS1_19lookback_scan_stateINS0_5tupleIJ11FixedVectorIiLj2EEbEEELb0ELb1EEENS1_16block_id_wrapperIjLb0EEEEEvT_jjPNSB_10value_typeET0_,comdat
	.protected	_ZN7rocprim17ROCPRIM_400000_NS6detail30init_device_scan_by_key_kernelINS1_19lookback_scan_stateINS0_5tupleIJ11FixedVectorIiLj2EEbEEELb0ELb1EEENS1_16block_id_wrapperIjLb0EEEEEvT_jjPNSB_10value_typeET0_ ; -- Begin function _ZN7rocprim17ROCPRIM_400000_NS6detail30init_device_scan_by_key_kernelINS1_19lookback_scan_stateINS0_5tupleIJ11FixedVectorIiLj2EEbEEELb0ELb1EEENS1_16block_id_wrapperIjLb0EEEEEvT_jjPNSB_10value_typeET0_
	.globl	_ZN7rocprim17ROCPRIM_400000_NS6detail30init_device_scan_by_key_kernelINS1_19lookback_scan_stateINS0_5tupleIJ11FixedVectorIiLj2EEbEEELb0ELb1EEENS1_16block_id_wrapperIjLb0EEEEEvT_jjPNSB_10value_typeET0_
	.p2align	8
	.type	_ZN7rocprim17ROCPRIM_400000_NS6detail30init_device_scan_by_key_kernelINS1_19lookback_scan_stateINS0_5tupleIJ11FixedVectorIiLj2EEbEEELb0ELb1EEENS1_16block_id_wrapperIjLb0EEEEEvT_jjPNSB_10value_typeET0_,@function
_ZN7rocprim17ROCPRIM_400000_NS6detail30init_device_scan_by_key_kernelINS1_19lookback_scan_stateINS0_5tupleIJ11FixedVectorIiLj2EEbEEELb0ELb1EEENS1_16block_id_wrapperIjLb0EEEEEvT_jjPNSB_10value_typeET0_: ; @_ZN7rocprim17ROCPRIM_400000_NS6detail30init_device_scan_by_key_kernelINS1_19lookback_scan_stateINS0_5tupleIJ11FixedVectorIiLj2EEbEEELb0ELb1EEENS1_16block_id_wrapperIjLb0EEEEEvT_jjPNSB_10value_typeET0_
; %bb.0:
	s_load_dword s3, s[0:1], 0x2c
	s_load_dwordx2 s[8:9], s[0:1], 0x10
	s_load_dwordx4 s[4:7], s[0:1], 0x0
	s_waitcnt lgkmcnt(0)
	s_and_b32 s0, s3, 0xffff
	s_mul_i32 s2, s2, s0
	s_cmp_eq_u64 s[8:9], 0
	v_add_u32_e32 v0, s2, v0
	s_cbranch_scc1 .LBB1950_8
; %bb.1:
	s_cmp_lt_u32 s7, s6
	s_cselect_b32 s0, s7, 0
	s_mov_b32 s3, 0
	v_cmp_eq_u32_e32 vcc, s0, v0
	s_and_saveexec_b64 s[0:1], vcc
	s_cbranch_execz .LBB1950_7
; %bb.2:
	s_add_i32 s2, s7, 64
	s_lshl_b64 s[2:3], s[2:3], 4
	s_add_u32 s10, s4, s2
	s_addc_u32 s11, s5, s3
	v_mov_b64_e32 v[2:3], s[10:11]
	v_mov_b32_e32 v16, 0
	;;#ASMSTART
	global_load_dwordx4 v[2:5], v[2:3] off sc1	
s_waitcnt vmcnt(0)
	;;#ASMEND
	s_mov_b64 s[12:13], 0
	v_lshlrev_b64 v[14:15], 24, v[4:5]
	v_lshrrev_b32_e32 v1, 8, v3
	v_lshlrev_b64 v[18:19], 16, v[4:5]
	v_lshlrev_b64 v[20:21], 8, v[4:5]
	v_and_b32_e32 v17, 0xff, v5
	v_lshrrev_b64 v[6:7], 8, v[2:3]
	v_lshrrev_b64 v[10:11], 16, v[2:3]
	;; [unrolled: 1-line block ×3, first 2 shown]
	v_mov_b32_e32 v12, v3
	v_or_b32_e32 v14, v1, v14
	v_or_b32_sdwa v18, v3, v18 dst_sel:DWORD dst_unused:UNUSED_PAD src0_sel:WORD_1 src1_sel:DWORD
	v_or_b32_sdwa v20, v3, v20 dst_sel:DWORD dst_unused:UNUSED_PAD src0_sel:BYTE_3 src1_sel:DWORD
	v_cmp_eq_u64_e32 vcc, 0, v[16:17]
	s_and_saveexec_b64 s[2:3], vcc
	s_cbranch_execz .LBB1950_6
; %bb.3:
	v_mov_b64_e32 v[6:7], s[10:11]
.LBB1950_4:                             ; =>This Inner Loop Header: Depth=1
	;;#ASMSTART
	global_load_dwordx4 v[2:5], v[6:7] off sc1	
s_waitcnt vmcnt(0)
	;;#ASMEND
	s_nop 0
	v_and_b32_e32 v17, 0xff, v5
	v_cmp_ne_u64_e32 vcc, 0, v[16:17]
	s_or_b64 s[12:13], vcc, s[12:13]
	s_andn2_b64 exec, exec, s[12:13]
	s_cbranch_execnz .LBB1950_4
; %bb.5:
	s_or_b64 exec, exec, s[12:13]
	v_lshlrev_b64 v[16:17], 16, v[4:5]
	v_lshlrev_b64 v[14:15], 24, v[4:5]
	v_lshrrev_b32_e32 v1, 8, v3
	v_or_b32_sdwa v18, v3, v16 dst_sel:DWORD dst_unused:UNUSED_PAD src0_sel:WORD_1 src1_sel:DWORD
	v_lshlrev_b64 v[16:17], 8, v[4:5]
	v_lshrrev_b64 v[6:7], 8, v[2:3]
	v_lshrrev_b64 v[10:11], 16, v[2:3]
	;; [unrolled: 1-line block ×3, first 2 shown]
	v_mov_b32_e32 v12, v3
	v_or_b32_e32 v14, v1, v14
	v_or_b32_sdwa v20, v3, v16 dst_sel:DWORD dst_unused:UNUSED_PAD src0_sel:BYTE_3 src1_sel:DWORD
.LBB1950_6:
	s_or_b64 exec, exec, s[2:3]
	v_lshlrev_b32_e32 v3, 16, v18
	v_lshlrev_b32_e32 v1, 24, v20
	v_and_b32_e32 v3, 0xff0000, v3
	v_lshlrev_b32_e32 v5, 8, v14
	v_and_b32_e32 v5, 0xff00, v5
	v_and_b32_e32 v9, 0xff, v12
	v_lshlrev_b32_e32 v10, 16, v10
	v_or_b32_e32 v1, v3, v1
	s_mov_b32 s2, 0x4020c0c
	v_lshlrev_b32_e32 v6, 8, v6
	v_or3_b32 v3, v1, v5, v9
	v_perm_b32 v1, v8, v10, s2
	v_and_b32_e32 v6, 0xff00, v6
	v_mov_b32_e32 v7, 0
	v_or_b32_sdwa v2, v1, v2 dst_sel:DWORD dst_unused:UNUSED_PAD src0_sel:DWORD src1_sel:BYTE_0
	v_lshl_add_u64 v[2:3], v[2:3], 0, v[6:7]
	global_store_dwordx2 v7, v[2:3], s[8:9]
	global_store_byte v7, v4, s[8:9] offset:8
.LBB1950_7:
	s_or_b64 exec, exec, s[0:1]
.LBB1950_8:
	v_cmp_gt_u32_e32 vcc, s6, v0
	s_and_saveexec_b64 s[0:1], vcc
	s_cbranch_execnz .LBB1950_11
; %bb.9:
	s_or_b64 exec, exec, s[0:1]
	v_cmp_gt_u32_e32 vcc, 64, v0
	s_and_saveexec_b64 s[0:1], vcc
	s_cbranch_execnz .LBB1950_12
.LBB1950_10:
	s_endpgm
.LBB1950_11:
	v_add_u32_e32 v2, 64, v0
	v_mov_b32_e32 v3, 0
	v_lshl_add_u64 v[6:7], v[2:3], 4, s[4:5]
	v_mov_b32_e32 v2, v3
	v_mov_b32_e32 v4, v3
	;; [unrolled: 1-line block ×3, first 2 shown]
	global_store_dwordx4 v[6:7], v[2:5], off
	s_or_b64 exec, exec, s[0:1]
	v_cmp_gt_u32_e32 vcc, 64, v0
	s_and_saveexec_b64 s[0:1], vcc
	s_cbranch_execz .LBB1950_10
.LBB1950_12:
	v_mov_b32_e32 v1, 0
	v_lshl_add_u64 v[4:5], v[0:1], 4, s[4:5]
	v_mov_b32_e32 v3, 0xff
	v_mov_b32_e32 v0, v1
	;; [unrolled: 1-line block ×3, first 2 shown]
	global_store_dwordx4 v[4:5], v[0:3], off
	s_endpgm
	.section	.rodata,"a",@progbits
	.p2align	6, 0x0
	.amdhsa_kernel _ZN7rocprim17ROCPRIM_400000_NS6detail30init_device_scan_by_key_kernelINS1_19lookback_scan_stateINS0_5tupleIJ11FixedVectorIiLj2EEbEEELb0ELb1EEENS1_16block_id_wrapperIjLb0EEEEEvT_jjPNSB_10value_typeET0_
		.amdhsa_group_segment_fixed_size 0
		.amdhsa_private_segment_fixed_size 0
		.amdhsa_kernarg_size 288
		.amdhsa_user_sgpr_count 2
		.amdhsa_user_sgpr_dispatch_ptr 0
		.amdhsa_user_sgpr_queue_ptr 0
		.amdhsa_user_sgpr_kernarg_segment_ptr 1
		.amdhsa_user_sgpr_dispatch_id 0
		.amdhsa_user_sgpr_kernarg_preload_length 0
		.amdhsa_user_sgpr_kernarg_preload_offset 0
		.amdhsa_user_sgpr_private_segment_size 0
		.amdhsa_uses_dynamic_stack 0
		.amdhsa_enable_private_segment 0
		.amdhsa_system_sgpr_workgroup_id_x 1
		.amdhsa_system_sgpr_workgroup_id_y 0
		.amdhsa_system_sgpr_workgroup_id_z 0
		.amdhsa_system_sgpr_workgroup_info 0
		.amdhsa_system_vgpr_workitem_id 0
		.amdhsa_next_free_vgpr 22
		.amdhsa_next_free_sgpr 14
		.amdhsa_accum_offset 24
		.amdhsa_reserve_vcc 1
		.amdhsa_float_round_mode_32 0
		.amdhsa_float_round_mode_16_64 0
		.amdhsa_float_denorm_mode_32 3
		.amdhsa_float_denorm_mode_16_64 3
		.amdhsa_dx10_clamp 1
		.amdhsa_ieee_mode 1
		.amdhsa_fp16_overflow 0
		.amdhsa_tg_split 0
		.amdhsa_exception_fp_ieee_invalid_op 0
		.amdhsa_exception_fp_denorm_src 0
		.amdhsa_exception_fp_ieee_div_zero 0
		.amdhsa_exception_fp_ieee_overflow 0
		.amdhsa_exception_fp_ieee_underflow 0
		.amdhsa_exception_fp_ieee_inexact 0
		.amdhsa_exception_int_div_zero 0
	.end_amdhsa_kernel
	.section	.text._ZN7rocprim17ROCPRIM_400000_NS6detail30init_device_scan_by_key_kernelINS1_19lookback_scan_stateINS0_5tupleIJ11FixedVectorIiLj2EEbEEELb0ELb1EEENS1_16block_id_wrapperIjLb0EEEEEvT_jjPNSB_10value_typeET0_,"axG",@progbits,_ZN7rocprim17ROCPRIM_400000_NS6detail30init_device_scan_by_key_kernelINS1_19lookback_scan_stateINS0_5tupleIJ11FixedVectorIiLj2EEbEEELb0ELb1EEENS1_16block_id_wrapperIjLb0EEEEEvT_jjPNSB_10value_typeET0_,comdat
.Lfunc_end1950:
	.size	_ZN7rocprim17ROCPRIM_400000_NS6detail30init_device_scan_by_key_kernelINS1_19lookback_scan_stateINS0_5tupleIJ11FixedVectorIiLj2EEbEEELb0ELb1EEENS1_16block_id_wrapperIjLb0EEEEEvT_jjPNSB_10value_typeET0_, .Lfunc_end1950-_ZN7rocprim17ROCPRIM_400000_NS6detail30init_device_scan_by_key_kernelINS1_19lookback_scan_stateINS0_5tupleIJ11FixedVectorIiLj2EEbEEELb0ELb1EEENS1_16block_id_wrapperIjLb0EEEEEvT_jjPNSB_10value_typeET0_
                                        ; -- End function
	.section	.AMDGPU.csdata,"",@progbits
; Kernel info:
; codeLenInByte = 592
; NumSgprs: 20
; NumVgprs: 22
; NumAgprs: 0
; TotalNumVgprs: 22
; ScratchSize: 0
; MemoryBound: 0
; FloatMode: 240
; IeeeMode: 1
; LDSByteSize: 0 bytes/workgroup (compile time only)
; SGPRBlocks: 2
; VGPRBlocks: 2
; NumSGPRsForWavesPerEU: 20
; NumVGPRsForWavesPerEU: 22
; AccumOffset: 24
; Occupancy: 8
; WaveLimiterHint : 0
; COMPUTE_PGM_RSRC2:SCRATCH_EN: 0
; COMPUTE_PGM_RSRC2:USER_SGPR: 2
; COMPUTE_PGM_RSRC2:TRAP_HANDLER: 0
; COMPUTE_PGM_RSRC2:TGID_X_EN: 1
; COMPUTE_PGM_RSRC2:TGID_Y_EN: 0
; COMPUTE_PGM_RSRC2:TGID_Z_EN: 0
; COMPUTE_PGM_RSRC2:TIDIG_COMP_CNT: 0
; COMPUTE_PGM_RSRC3_GFX90A:ACCUM_OFFSET: 5
; COMPUTE_PGM_RSRC3_GFX90A:TG_SPLIT: 0
	.section	.text._ZN7rocprim17ROCPRIM_400000_NS6detail17trampoline_kernelINS0_14default_configENS1_27scan_by_key_config_selectorIj11FixedVectorIiLj2EEEEZZNS1_16scan_by_key_implILNS1_25lookback_scan_determinismE0ELb0ES3_N6thrust23THRUST_200600_302600_NS6detail15normal_iteratorINSB_10device_ptrIjEEEENSD_INSE_IS6_EEEESI_S6_NSB_4plusIvEENSB_8equal_toIvEES6_EE10hipError_tPvRmT2_T3_T4_T5_mT6_T7_P12ihipStream_tbENKUlT_T0_E_clISt17integral_constantIbLb0EES13_EEDaSY_SZ_EUlSY_E_NS1_11comp_targetILNS1_3genE0ELNS1_11target_archE4294967295ELNS1_3gpuE0ELNS1_3repE0EEENS1_30default_config_static_selectorELNS0_4arch9wavefront6targetE1EEEvT1_,"axG",@progbits,_ZN7rocprim17ROCPRIM_400000_NS6detail17trampoline_kernelINS0_14default_configENS1_27scan_by_key_config_selectorIj11FixedVectorIiLj2EEEEZZNS1_16scan_by_key_implILNS1_25lookback_scan_determinismE0ELb0ES3_N6thrust23THRUST_200600_302600_NS6detail15normal_iteratorINSB_10device_ptrIjEEEENSD_INSE_IS6_EEEESI_S6_NSB_4plusIvEENSB_8equal_toIvEES6_EE10hipError_tPvRmT2_T3_T4_T5_mT6_T7_P12ihipStream_tbENKUlT_T0_E_clISt17integral_constantIbLb0EES13_EEDaSY_SZ_EUlSY_E_NS1_11comp_targetILNS1_3genE0ELNS1_11target_archE4294967295ELNS1_3gpuE0ELNS1_3repE0EEENS1_30default_config_static_selectorELNS0_4arch9wavefront6targetE1EEEvT1_,comdat
	.protected	_ZN7rocprim17ROCPRIM_400000_NS6detail17trampoline_kernelINS0_14default_configENS1_27scan_by_key_config_selectorIj11FixedVectorIiLj2EEEEZZNS1_16scan_by_key_implILNS1_25lookback_scan_determinismE0ELb0ES3_N6thrust23THRUST_200600_302600_NS6detail15normal_iteratorINSB_10device_ptrIjEEEENSD_INSE_IS6_EEEESI_S6_NSB_4plusIvEENSB_8equal_toIvEES6_EE10hipError_tPvRmT2_T3_T4_T5_mT6_T7_P12ihipStream_tbENKUlT_T0_E_clISt17integral_constantIbLb0EES13_EEDaSY_SZ_EUlSY_E_NS1_11comp_targetILNS1_3genE0ELNS1_11target_archE4294967295ELNS1_3gpuE0ELNS1_3repE0EEENS1_30default_config_static_selectorELNS0_4arch9wavefront6targetE1EEEvT1_ ; -- Begin function _ZN7rocprim17ROCPRIM_400000_NS6detail17trampoline_kernelINS0_14default_configENS1_27scan_by_key_config_selectorIj11FixedVectorIiLj2EEEEZZNS1_16scan_by_key_implILNS1_25lookback_scan_determinismE0ELb0ES3_N6thrust23THRUST_200600_302600_NS6detail15normal_iteratorINSB_10device_ptrIjEEEENSD_INSE_IS6_EEEESI_S6_NSB_4plusIvEENSB_8equal_toIvEES6_EE10hipError_tPvRmT2_T3_T4_T5_mT6_T7_P12ihipStream_tbENKUlT_T0_E_clISt17integral_constantIbLb0EES13_EEDaSY_SZ_EUlSY_E_NS1_11comp_targetILNS1_3genE0ELNS1_11target_archE4294967295ELNS1_3gpuE0ELNS1_3repE0EEENS1_30default_config_static_selectorELNS0_4arch9wavefront6targetE1EEEvT1_
	.globl	_ZN7rocprim17ROCPRIM_400000_NS6detail17trampoline_kernelINS0_14default_configENS1_27scan_by_key_config_selectorIj11FixedVectorIiLj2EEEEZZNS1_16scan_by_key_implILNS1_25lookback_scan_determinismE0ELb0ES3_N6thrust23THRUST_200600_302600_NS6detail15normal_iteratorINSB_10device_ptrIjEEEENSD_INSE_IS6_EEEESI_S6_NSB_4plusIvEENSB_8equal_toIvEES6_EE10hipError_tPvRmT2_T3_T4_T5_mT6_T7_P12ihipStream_tbENKUlT_T0_E_clISt17integral_constantIbLb0EES13_EEDaSY_SZ_EUlSY_E_NS1_11comp_targetILNS1_3genE0ELNS1_11target_archE4294967295ELNS1_3gpuE0ELNS1_3repE0EEENS1_30default_config_static_selectorELNS0_4arch9wavefront6targetE1EEEvT1_
	.p2align	8
	.type	_ZN7rocprim17ROCPRIM_400000_NS6detail17trampoline_kernelINS0_14default_configENS1_27scan_by_key_config_selectorIj11FixedVectorIiLj2EEEEZZNS1_16scan_by_key_implILNS1_25lookback_scan_determinismE0ELb0ES3_N6thrust23THRUST_200600_302600_NS6detail15normal_iteratorINSB_10device_ptrIjEEEENSD_INSE_IS6_EEEESI_S6_NSB_4plusIvEENSB_8equal_toIvEES6_EE10hipError_tPvRmT2_T3_T4_T5_mT6_T7_P12ihipStream_tbENKUlT_T0_E_clISt17integral_constantIbLb0EES13_EEDaSY_SZ_EUlSY_E_NS1_11comp_targetILNS1_3genE0ELNS1_11target_archE4294967295ELNS1_3gpuE0ELNS1_3repE0EEENS1_30default_config_static_selectorELNS0_4arch9wavefront6targetE1EEEvT1_,@function
_ZN7rocprim17ROCPRIM_400000_NS6detail17trampoline_kernelINS0_14default_configENS1_27scan_by_key_config_selectorIj11FixedVectorIiLj2EEEEZZNS1_16scan_by_key_implILNS1_25lookback_scan_determinismE0ELb0ES3_N6thrust23THRUST_200600_302600_NS6detail15normal_iteratorINSB_10device_ptrIjEEEENSD_INSE_IS6_EEEESI_S6_NSB_4plusIvEENSB_8equal_toIvEES6_EE10hipError_tPvRmT2_T3_T4_T5_mT6_T7_P12ihipStream_tbENKUlT_T0_E_clISt17integral_constantIbLb0EES13_EEDaSY_SZ_EUlSY_E_NS1_11comp_targetILNS1_3genE0ELNS1_11target_archE4294967295ELNS1_3gpuE0ELNS1_3repE0EEENS1_30default_config_static_selectorELNS0_4arch9wavefront6targetE1EEEvT1_: ; @_ZN7rocprim17ROCPRIM_400000_NS6detail17trampoline_kernelINS0_14default_configENS1_27scan_by_key_config_selectorIj11FixedVectorIiLj2EEEEZZNS1_16scan_by_key_implILNS1_25lookback_scan_determinismE0ELb0ES3_N6thrust23THRUST_200600_302600_NS6detail15normal_iteratorINSB_10device_ptrIjEEEENSD_INSE_IS6_EEEESI_S6_NSB_4plusIvEENSB_8equal_toIvEES6_EE10hipError_tPvRmT2_T3_T4_T5_mT6_T7_P12ihipStream_tbENKUlT_T0_E_clISt17integral_constantIbLb0EES13_EEDaSY_SZ_EUlSY_E_NS1_11comp_targetILNS1_3genE0ELNS1_11target_archE4294967295ELNS1_3gpuE0ELNS1_3repE0EEENS1_30default_config_static_selectorELNS0_4arch9wavefront6targetE1EEEvT1_
; %bb.0:
	.section	.rodata,"a",@progbits
	.p2align	6, 0x0
	.amdhsa_kernel _ZN7rocprim17ROCPRIM_400000_NS6detail17trampoline_kernelINS0_14default_configENS1_27scan_by_key_config_selectorIj11FixedVectorIiLj2EEEEZZNS1_16scan_by_key_implILNS1_25lookback_scan_determinismE0ELb0ES3_N6thrust23THRUST_200600_302600_NS6detail15normal_iteratorINSB_10device_ptrIjEEEENSD_INSE_IS6_EEEESI_S6_NSB_4plusIvEENSB_8equal_toIvEES6_EE10hipError_tPvRmT2_T3_T4_T5_mT6_T7_P12ihipStream_tbENKUlT_T0_E_clISt17integral_constantIbLb0EES13_EEDaSY_SZ_EUlSY_E_NS1_11comp_targetILNS1_3genE0ELNS1_11target_archE4294967295ELNS1_3gpuE0ELNS1_3repE0EEENS1_30default_config_static_selectorELNS0_4arch9wavefront6targetE1EEEvT1_
		.amdhsa_group_segment_fixed_size 0
		.amdhsa_private_segment_fixed_size 0
		.amdhsa_kernarg_size 120
		.amdhsa_user_sgpr_count 2
		.amdhsa_user_sgpr_dispatch_ptr 0
		.amdhsa_user_sgpr_queue_ptr 0
		.amdhsa_user_sgpr_kernarg_segment_ptr 1
		.amdhsa_user_sgpr_dispatch_id 0
		.amdhsa_user_sgpr_kernarg_preload_length 0
		.amdhsa_user_sgpr_kernarg_preload_offset 0
		.amdhsa_user_sgpr_private_segment_size 0
		.amdhsa_uses_dynamic_stack 0
		.amdhsa_enable_private_segment 0
		.amdhsa_system_sgpr_workgroup_id_x 1
		.amdhsa_system_sgpr_workgroup_id_y 0
		.amdhsa_system_sgpr_workgroup_id_z 0
		.amdhsa_system_sgpr_workgroup_info 0
		.amdhsa_system_vgpr_workitem_id 0
		.amdhsa_next_free_vgpr 1
		.amdhsa_next_free_sgpr 0
		.amdhsa_accum_offset 4
		.amdhsa_reserve_vcc 0
		.amdhsa_float_round_mode_32 0
		.amdhsa_float_round_mode_16_64 0
		.amdhsa_float_denorm_mode_32 3
		.amdhsa_float_denorm_mode_16_64 3
		.amdhsa_dx10_clamp 1
		.amdhsa_ieee_mode 1
		.amdhsa_fp16_overflow 0
		.amdhsa_tg_split 0
		.amdhsa_exception_fp_ieee_invalid_op 0
		.amdhsa_exception_fp_denorm_src 0
		.amdhsa_exception_fp_ieee_div_zero 0
		.amdhsa_exception_fp_ieee_overflow 0
		.amdhsa_exception_fp_ieee_underflow 0
		.amdhsa_exception_fp_ieee_inexact 0
		.amdhsa_exception_int_div_zero 0
	.end_amdhsa_kernel
	.section	.text._ZN7rocprim17ROCPRIM_400000_NS6detail17trampoline_kernelINS0_14default_configENS1_27scan_by_key_config_selectorIj11FixedVectorIiLj2EEEEZZNS1_16scan_by_key_implILNS1_25lookback_scan_determinismE0ELb0ES3_N6thrust23THRUST_200600_302600_NS6detail15normal_iteratorINSB_10device_ptrIjEEEENSD_INSE_IS6_EEEESI_S6_NSB_4plusIvEENSB_8equal_toIvEES6_EE10hipError_tPvRmT2_T3_T4_T5_mT6_T7_P12ihipStream_tbENKUlT_T0_E_clISt17integral_constantIbLb0EES13_EEDaSY_SZ_EUlSY_E_NS1_11comp_targetILNS1_3genE0ELNS1_11target_archE4294967295ELNS1_3gpuE0ELNS1_3repE0EEENS1_30default_config_static_selectorELNS0_4arch9wavefront6targetE1EEEvT1_,"axG",@progbits,_ZN7rocprim17ROCPRIM_400000_NS6detail17trampoline_kernelINS0_14default_configENS1_27scan_by_key_config_selectorIj11FixedVectorIiLj2EEEEZZNS1_16scan_by_key_implILNS1_25lookback_scan_determinismE0ELb0ES3_N6thrust23THRUST_200600_302600_NS6detail15normal_iteratorINSB_10device_ptrIjEEEENSD_INSE_IS6_EEEESI_S6_NSB_4plusIvEENSB_8equal_toIvEES6_EE10hipError_tPvRmT2_T3_T4_T5_mT6_T7_P12ihipStream_tbENKUlT_T0_E_clISt17integral_constantIbLb0EES13_EEDaSY_SZ_EUlSY_E_NS1_11comp_targetILNS1_3genE0ELNS1_11target_archE4294967295ELNS1_3gpuE0ELNS1_3repE0EEENS1_30default_config_static_selectorELNS0_4arch9wavefront6targetE1EEEvT1_,comdat
.Lfunc_end1951:
	.size	_ZN7rocprim17ROCPRIM_400000_NS6detail17trampoline_kernelINS0_14default_configENS1_27scan_by_key_config_selectorIj11FixedVectorIiLj2EEEEZZNS1_16scan_by_key_implILNS1_25lookback_scan_determinismE0ELb0ES3_N6thrust23THRUST_200600_302600_NS6detail15normal_iteratorINSB_10device_ptrIjEEEENSD_INSE_IS6_EEEESI_S6_NSB_4plusIvEENSB_8equal_toIvEES6_EE10hipError_tPvRmT2_T3_T4_T5_mT6_T7_P12ihipStream_tbENKUlT_T0_E_clISt17integral_constantIbLb0EES13_EEDaSY_SZ_EUlSY_E_NS1_11comp_targetILNS1_3genE0ELNS1_11target_archE4294967295ELNS1_3gpuE0ELNS1_3repE0EEENS1_30default_config_static_selectorELNS0_4arch9wavefront6targetE1EEEvT1_, .Lfunc_end1951-_ZN7rocprim17ROCPRIM_400000_NS6detail17trampoline_kernelINS0_14default_configENS1_27scan_by_key_config_selectorIj11FixedVectorIiLj2EEEEZZNS1_16scan_by_key_implILNS1_25lookback_scan_determinismE0ELb0ES3_N6thrust23THRUST_200600_302600_NS6detail15normal_iteratorINSB_10device_ptrIjEEEENSD_INSE_IS6_EEEESI_S6_NSB_4plusIvEENSB_8equal_toIvEES6_EE10hipError_tPvRmT2_T3_T4_T5_mT6_T7_P12ihipStream_tbENKUlT_T0_E_clISt17integral_constantIbLb0EES13_EEDaSY_SZ_EUlSY_E_NS1_11comp_targetILNS1_3genE0ELNS1_11target_archE4294967295ELNS1_3gpuE0ELNS1_3repE0EEENS1_30default_config_static_selectorELNS0_4arch9wavefront6targetE1EEEvT1_
                                        ; -- End function
	.section	.AMDGPU.csdata,"",@progbits
; Kernel info:
; codeLenInByte = 0
; NumSgprs: 6
; NumVgprs: 0
; NumAgprs: 0
; TotalNumVgprs: 0
; ScratchSize: 0
; MemoryBound: 0
; FloatMode: 240
; IeeeMode: 1
; LDSByteSize: 0 bytes/workgroup (compile time only)
; SGPRBlocks: 0
; VGPRBlocks: 0
; NumSGPRsForWavesPerEU: 6
; NumVGPRsForWavesPerEU: 1
; AccumOffset: 4
; Occupancy: 8
; WaveLimiterHint : 0
; COMPUTE_PGM_RSRC2:SCRATCH_EN: 0
; COMPUTE_PGM_RSRC2:USER_SGPR: 2
; COMPUTE_PGM_RSRC2:TRAP_HANDLER: 0
; COMPUTE_PGM_RSRC2:TGID_X_EN: 1
; COMPUTE_PGM_RSRC2:TGID_Y_EN: 0
; COMPUTE_PGM_RSRC2:TGID_Z_EN: 0
; COMPUTE_PGM_RSRC2:TIDIG_COMP_CNT: 0
; COMPUTE_PGM_RSRC3_GFX90A:ACCUM_OFFSET: 0
; COMPUTE_PGM_RSRC3_GFX90A:TG_SPLIT: 0
	.section	.text._ZN7rocprim17ROCPRIM_400000_NS6detail17trampoline_kernelINS0_14default_configENS1_27scan_by_key_config_selectorIj11FixedVectorIiLj2EEEEZZNS1_16scan_by_key_implILNS1_25lookback_scan_determinismE0ELb0ES3_N6thrust23THRUST_200600_302600_NS6detail15normal_iteratorINSB_10device_ptrIjEEEENSD_INSE_IS6_EEEESI_S6_NSB_4plusIvEENSB_8equal_toIvEES6_EE10hipError_tPvRmT2_T3_T4_T5_mT6_T7_P12ihipStream_tbENKUlT_T0_E_clISt17integral_constantIbLb0EES13_EEDaSY_SZ_EUlSY_E_NS1_11comp_targetILNS1_3genE10ELNS1_11target_archE1201ELNS1_3gpuE5ELNS1_3repE0EEENS1_30default_config_static_selectorELNS0_4arch9wavefront6targetE1EEEvT1_,"axG",@progbits,_ZN7rocprim17ROCPRIM_400000_NS6detail17trampoline_kernelINS0_14default_configENS1_27scan_by_key_config_selectorIj11FixedVectorIiLj2EEEEZZNS1_16scan_by_key_implILNS1_25lookback_scan_determinismE0ELb0ES3_N6thrust23THRUST_200600_302600_NS6detail15normal_iteratorINSB_10device_ptrIjEEEENSD_INSE_IS6_EEEESI_S6_NSB_4plusIvEENSB_8equal_toIvEES6_EE10hipError_tPvRmT2_T3_T4_T5_mT6_T7_P12ihipStream_tbENKUlT_T0_E_clISt17integral_constantIbLb0EES13_EEDaSY_SZ_EUlSY_E_NS1_11comp_targetILNS1_3genE10ELNS1_11target_archE1201ELNS1_3gpuE5ELNS1_3repE0EEENS1_30default_config_static_selectorELNS0_4arch9wavefront6targetE1EEEvT1_,comdat
	.protected	_ZN7rocprim17ROCPRIM_400000_NS6detail17trampoline_kernelINS0_14default_configENS1_27scan_by_key_config_selectorIj11FixedVectorIiLj2EEEEZZNS1_16scan_by_key_implILNS1_25lookback_scan_determinismE0ELb0ES3_N6thrust23THRUST_200600_302600_NS6detail15normal_iteratorINSB_10device_ptrIjEEEENSD_INSE_IS6_EEEESI_S6_NSB_4plusIvEENSB_8equal_toIvEES6_EE10hipError_tPvRmT2_T3_T4_T5_mT6_T7_P12ihipStream_tbENKUlT_T0_E_clISt17integral_constantIbLb0EES13_EEDaSY_SZ_EUlSY_E_NS1_11comp_targetILNS1_3genE10ELNS1_11target_archE1201ELNS1_3gpuE5ELNS1_3repE0EEENS1_30default_config_static_selectorELNS0_4arch9wavefront6targetE1EEEvT1_ ; -- Begin function _ZN7rocprim17ROCPRIM_400000_NS6detail17trampoline_kernelINS0_14default_configENS1_27scan_by_key_config_selectorIj11FixedVectorIiLj2EEEEZZNS1_16scan_by_key_implILNS1_25lookback_scan_determinismE0ELb0ES3_N6thrust23THRUST_200600_302600_NS6detail15normal_iteratorINSB_10device_ptrIjEEEENSD_INSE_IS6_EEEESI_S6_NSB_4plusIvEENSB_8equal_toIvEES6_EE10hipError_tPvRmT2_T3_T4_T5_mT6_T7_P12ihipStream_tbENKUlT_T0_E_clISt17integral_constantIbLb0EES13_EEDaSY_SZ_EUlSY_E_NS1_11comp_targetILNS1_3genE10ELNS1_11target_archE1201ELNS1_3gpuE5ELNS1_3repE0EEENS1_30default_config_static_selectorELNS0_4arch9wavefront6targetE1EEEvT1_
	.globl	_ZN7rocprim17ROCPRIM_400000_NS6detail17trampoline_kernelINS0_14default_configENS1_27scan_by_key_config_selectorIj11FixedVectorIiLj2EEEEZZNS1_16scan_by_key_implILNS1_25lookback_scan_determinismE0ELb0ES3_N6thrust23THRUST_200600_302600_NS6detail15normal_iteratorINSB_10device_ptrIjEEEENSD_INSE_IS6_EEEESI_S6_NSB_4plusIvEENSB_8equal_toIvEES6_EE10hipError_tPvRmT2_T3_T4_T5_mT6_T7_P12ihipStream_tbENKUlT_T0_E_clISt17integral_constantIbLb0EES13_EEDaSY_SZ_EUlSY_E_NS1_11comp_targetILNS1_3genE10ELNS1_11target_archE1201ELNS1_3gpuE5ELNS1_3repE0EEENS1_30default_config_static_selectorELNS0_4arch9wavefront6targetE1EEEvT1_
	.p2align	8
	.type	_ZN7rocprim17ROCPRIM_400000_NS6detail17trampoline_kernelINS0_14default_configENS1_27scan_by_key_config_selectorIj11FixedVectorIiLj2EEEEZZNS1_16scan_by_key_implILNS1_25lookback_scan_determinismE0ELb0ES3_N6thrust23THRUST_200600_302600_NS6detail15normal_iteratorINSB_10device_ptrIjEEEENSD_INSE_IS6_EEEESI_S6_NSB_4plusIvEENSB_8equal_toIvEES6_EE10hipError_tPvRmT2_T3_T4_T5_mT6_T7_P12ihipStream_tbENKUlT_T0_E_clISt17integral_constantIbLb0EES13_EEDaSY_SZ_EUlSY_E_NS1_11comp_targetILNS1_3genE10ELNS1_11target_archE1201ELNS1_3gpuE5ELNS1_3repE0EEENS1_30default_config_static_selectorELNS0_4arch9wavefront6targetE1EEEvT1_,@function
_ZN7rocprim17ROCPRIM_400000_NS6detail17trampoline_kernelINS0_14default_configENS1_27scan_by_key_config_selectorIj11FixedVectorIiLj2EEEEZZNS1_16scan_by_key_implILNS1_25lookback_scan_determinismE0ELb0ES3_N6thrust23THRUST_200600_302600_NS6detail15normal_iteratorINSB_10device_ptrIjEEEENSD_INSE_IS6_EEEESI_S6_NSB_4plusIvEENSB_8equal_toIvEES6_EE10hipError_tPvRmT2_T3_T4_T5_mT6_T7_P12ihipStream_tbENKUlT_T0_E_clISt17integral_constantIbLb0EES13_EEDaSY_SZ_EUlSY_E_NS1_11comp_targetILNS1_3genE10ELNS1_11target_archE1201ELNS1_3gpuE5ELNS1_3repE0EEENS1_30default_config_static_selectorELNS0_4arch9wavefront6targetE1EEEvT1_: ; @_ZN7rocprim17ROCPRIM_400000_NS6detail17trampoline_kernelINS0_14default_configENS1_27scan_by_key_config_selectorIj11FixedVectorIiLj2EEEEZZNS1_16scan_by_key_implILNS1_25lookback_scan_determinismE0ELb0ES3_N6thrust23THRUST_200600_302600_NS6detail15normal_iteratorINSB_10device_ptrIjEEEENSD_INSE_IS6_EEEESI_S6_NSB_4plusIvEENSB_8equal_toIvEES6_EE10hipError_tPvRmT2_T3_T4_T5_mT6_T7_P12ihipStream_tbENKUlT_T0_E_clISt17integral_constantIbLb0EES13_EEDaSY_SZ_EUlSY_E_NS1_11comp_targetILNS1_3genE10ELNS1_11target_archE1201ELNS1_3gpuE5ELNS1_3repE0EEENS1_30default_config_static_selectorELNS0_4arch9wavefront6targetE1EEEvT1_
; %bb.0:
	.section	.rodata,"a",@progbits
	.p2align	6, 0x0
	.amdhsa_kernel _ZN7rocprim17ROCPRIM_400000_NS6detail17trampoline_kernelINS0_14default_configENS1_27scan_by_key_config_selectorIj11FixedVectorIiLj2EEEEZZNS1_16scan_by_key_implILNS1_25lookback_scan_determinismE0ELb0ES3_N6thrust23THRUST_200600_302600_NS6detail15normal_iteratorINSB_10device_ptrIjEEEENSD_INSE_IS6_EEEESI_S6_NSB_4plusIvEENSB_8equal_toIvEES6_EE10hipError_tPvRmT2_T3_T4_T5_mT6_T7_P12ihipStream_tbENKUlT_T0_E_clISt17integral_constantIbLb0EES13_EEDaSY_SZ_EUlSY_E_NS1_11comp_targetILNS1_3genE10ELNS1_11target_archE1201ELNS1_3gpuE5ELNS1_3repE0EEENS1_30default_config_static_selectorELNS0_4arch9wavefront6targetE1EEEvT1_
		.amdhsa_group_segment_fixed_size 0
		.amdhsa_private_segment_fixed_size 0
		.amdhsa_kernarg_size 120
		.amdhsa_user_sgpr_count 2
		.amdhsa_user_sgpr_dispatch_ptr 0
		.amdhsa_user_sgpr_queue_ptr 0
		.amdhsa_user_sgpr_kernarg_segment_ptr 1
		.amdhsa_user_sgpr_dispatch_id 0
		.amdhsa_user_sgpr_kernarg_preload_length 0
		.amdhsa_user_sgpr_kernarg_preload_offset 0
		.amdhsa_user_sgpr_private_segment_size 0
		.amdhsa_uses_dynamic_stack 0
		.amdhsa_enable_private_segment 0
		.amdhsa_system_sgpr_workgroup_id_x 1
		.amdhsa_system_sgpr_workgroup_id_y 0
		.amdhsa_system_sgpr_workgroup_id_z 0
		.amdhsa_system_sgpr_workgroup_info 0
		.amdhsa_system_vgpr_workitem_id 0
		.amdhsa_next_free_vgpr 1
		.amdhsa_next_free_sgpr 0
		.amdhsa_accum_offset 4
		.amdhsa_reserve_vcc 0
		.amdhsa_float_round_mode_32 0
		.amdhsa_float_round_mode_16_64 0
		.amdhsa_float_denorm_mode_32 3
		.amdhsa_float_denorm_mode_16_64 3
		.amdhsa_dx10_clamp 1
		.amdhsa_ieee_mode 1
		.amdhsa_fp16_overflow 0
		.amdhsa_tg_split 0
		.amdhsa_exception_fp_ieee_invalid_op 0
		.amdhsa_exception_fp_denorm_src 0
		.amdhsa_exception_fp_ieee_div_zero 0
		.amdhsa_exception_fp_ieee_overflow 0
		.amdhsa_exception_fp_ieee_underflow 0
		.amdhsa_exception_fp_ieee_inexact 0
		.amdhsa_exception_int_div_zero 0
	.end_amdhsa_kernel
	.section	.text._ZN7rocprim17ROCPRIM_400000_NS6detail17trampoline_kernelINS0_14default_configENS1_27scan_by_key_config_selectorIj11FixedVectorIiLj2EEEEZZNS1_16scan_by_key_implILNS1_25lookback_scan_determinismE0ELb0ES3_N6thrust23THRUST_200600_302600_NS6detail15normal_iteratorINSB_10device_ptrIjEEEENSD_INSE_IS6_EEEESI_S6_NSB_4plusIvEENSB_8equal_toIvEES6_EE10hipError_tPvRmT2_T3_T4_T5_mT6_T7_P12ihipStream_tbENKUlT_T0_E_clISt17integral_constantIbLb0EES13_EEDaSY_SZ_EUlSY_E_NS1_11comp_targetILNS1_3genE10ELNS1_11target_archE1201ELNS1_3gpuE5ELNS1_3repE0EEENS1_30default_config_static_selectorELNS0_4arch9wavefront6targetE1EEEvT1_,"axG",@progbits,_ZN7rocprim17ROCPRIM_400000_NS6detail17trampoline_kernelINS0_14default_configENS1_27scan_by_key_config_selectorIj11FixedVectorIiLj2EEEEZZNS1_16scan_by_key_implILNS1_25lookback_scan_determinismE0ELb0ES3_N6thrust23THRUST_200600_302600_NS6detail15normal_iteratorINSB_10device_ptrIjEEEENSD_INSE_IS6_EEEESI_S6_NSB_4plusIvEENSB_8equal_toIvEES6_EE10hipError_tPvRmT2_T3_T4_T5_mT6_T7_P12ihipStream_tbENKUlT_T0_E_clISt17integral_constantIbLb0EES13_EEDaSY_SZ_EUlSY_E_NS1_11comp_targetILNS1_3genE10ELNS1_11target_archE1201ELNS1_3gpuE5ELNS1_3repE0EEENS1_30default_config_static_selectorELNS0_4arch9wavefront6targetE1EEEvT1_,comdat
.Lfunc_end1952:
	.size	_ZN7rocprim17ROCPRIM_400000_NS6detail17trampoline_kernelINS0_14default_configENS1_27scan_by_key_config_selectorIj11FixedVectorIiLj2EEEEZZNS1_16scan_by_key_implILNS1_25lookback_scan_determinismE0ELb0ES3_N6thrust23THRUST_200600_302600_NS6detail15normal_iteratorINSB_10device_ptrIjEEEENSD_INSE_IS6_EEEESI_S6_NSB_4plusIvEENSB_8equal_toIvEES6_EE10hipError_tPvRmT2_T3_T4_T5_mT6_T7_P12ihipStream_tbENKUlT_T0_E_clISt17integral_constantIbLb0EES13_EEDaSY_SZ_EUlSY_E_NS1_11comp_targetILNS1_3genE10ELNS1_11target_archE1201ELNS1_3gpuE5ELNS1_3repE0EEENS1_30default_config_static_selectorELNS0_4arch9wavefront6targetE1EEEvT1_, .Lfunc_end1952-_ZN7rocprim17ROCPRIM_400000_NS6detail17trampoline_kernelINS0_14default_configENS1_27scan_by_key_config_selectorIj11FixedVectorIiLj2EEEEZZNS1_16scan_by_key_implILNS1_25lookback_scan_determinismE0ELb0ES3_N6thrust23THRUST_200600_302600_NS6detail15normal_iteratorINSB_10device_ptrIjEEEENSD_INSE_IS6_EEEESI_S6_NSB_4plusIvEENSB_8equal_toIvEES6_EE10hipError_tPvRmT2_T3_T4_T5_mT6_T7_P12ihipStream_tbENKUlT_T0_E_clISt17integral_constantIbLb0EES13_EEDaSY_SZ_EUlSY_E_NS1_11comp_targetILNS1_3genE10ELNS1_11target_archE1201ELNS1_3gpuE5ELNS1_3repE0EEENS1_30default_config_static_selectorELNS0_4arch9wavefront6targetE1EEEvT1_
                                        ; -- End function
	.section	.AMDGPU.csdata,"",@progbits
; Kernel info:
; codeLenInByte = 0
; NumSgprs: 6
; NumVgprs: 0
; NumAgprs: 0
; TotalNumVgprs: 0
; ScratchSize: 0
; MemoryBound: 0
; FloatMode: 240
; IeeeMode: 1
; LDSByteSize: 0 bytes/workgroup (compile time only)
; SGPRBlocks: 0
; VGPRBlocks: 0
; NumSGPRsForWavesPerEU: 6
; NumVGPRsForWavesPerEU: 1
; AccumOffset: 4
; Occupancy: 8
; WaveLimiterHint : 0
; COMPUTE_PGM_RSRC2:SCRATCH_EN: 0
; COMPUTE_PGM_RSRC2:USER_SGPR: 2
; COMPUTE_PGM_RSRC2:TRAP_HANDLER: 0
; COMPUTE_PGM_RSRC2:TGID_X_EN: 1
; COMPUTE_PGM_RSRC2:TGID_Y_EN: 0
; COMPUTE_PGM_RSRC2:TGID_Z_EN: 0
; COMPUTE_PGM_RSRC2:TIDIG_COMP_CNT: 0
; COMPUTE_PGM_RSRC3_GFX90A:ACCUM_OFFSET: 0
; COMPUTE_PGM_RSRC3_GFX90A:TG_SPLIT: 0
	.section	.text._ZN7rocprim17ROCPRIM_400000_NS6detail17trampoline_kernelINS0_14default_configENS1_27scan_by_key_config_selectorIj11FixedVectorIiLj2EEEEZZNS1_16scan_by_key_implILNS1_25lookback_scan_determinismE0ELb0ES3_N6thrust23THRUST_200600_302600_NS6detail15normal_iteratorINSB_10device_ptrIjEEEENSD_INSE_IS6_EEEESI_S6_NSB_4plusIvEENSB_8equal_toIvEES6_EE10hipError_tPvRmT2_T3_T4_T5_mT6_T7_P12ihipStream_tbENKUlT_T0_E_clISt17integral_constantIbLb0EES13_EEDaSY_SZ_EUlSY_E_NS1_11comp_targetILNS1_3genE5ELNS1_11target_archE942ELNS1_3gpuE9ELNS1_3repE0EEENS1_30default_config_static_selectorELNS0_4arch9wavefront6targetE1EEEvT1_,"axG",@progbits,_ZN7rocprim17ROCPRIM_400000_NS6detail17trampoline_kernelINS0_14default_configENS1_27scan_by_key_config_selectorIj11FixedVectorIiLj2EEEEZZNS1_16scan_by_key_implILNS1_25lookback_scan_determinismE0ELb0ES3_N6thrust23THRUST_200600_302600_NS6detail15normal_iteratorINSB_10device_ptrIjEEEENSD_INSE_IS6_EEEESI_S6_NSB_4plusIvEENSB_8equal_toIvEES6_EE10hipError_tPvRmT2_T3_T4_T5_mT6_T7_P12ihipStream_tbENKUlT_T0_E_clISt17integral_constantIbLb0EES13_EEDaSY_SZ_EUlSY_E_NS1_11comp_targetILNS1_3genE5ELNS1_11target_archE942ELNS1_3gpuE9ELNS1_3repE0EEENS1_30default_config_static_selectorELNS0_4arch9wavefront6targetE1EEEvT1_,comdat
	.protected	_ZN7rocprim17ROCPRIM_400000_NS6detail17trampoline_kernelINS0_14default_configENS1_27scan_by_key_config_selectorIj11FixedVectorIiLj2EEEEZZNS1_16scan_by_key_implILNS1_25lookback_scan_determinismE0ELb0ES3_N6thrust23THRUST_200600_302600_NS6detail15normal_iteratorINSB_10device_ptrIjEEEENSD_INSE_IS6_EEEESI_S6_NSB_4plusIvEENSB_8equal_toIvEES6_EE10hipError_tPvRmT2_T3_T4_T5_mT6_T7_P12ihipStream_tbENKUlT_T0_E_clISt17integral_constantIbLb0EES13_EEDaSY_SZ_EUlSY_E_NS1_11comp_targetILNS1_3genE5ELNS1_11target_archE942ELNS1_3gpuE9ELNS1_3repE0EEENS1_30default_config_static_selectorELNS0_4arch9wavefront6targetE1EEEvT1_ ; -- Begin function _ZN7rocprim17ROCPRIM_400000_NS6detail17trampoline_kernelINS0_14default_configENS1_27scan_by_key_config_selectorIj11FixedVectorIiLj2EEEEZZNS1_16scan_by_key_implILNS1_25lookback_scan_determinismE0ELb0ES3_N6thrust23THRUST_200600_302600_NS6detail15normal_iteratorINSB_10device_ptrIjEEEENSD_INSE_IS6_EEEESI_S6_NSB_4plusIvEENSB_8equal_toIvEES6_EE10hipError_tPvRmT2_T3_T4_T5_mT6_T7_P12ihipStream_tbENKUlT_T0_E_clISt17integral_constantIbLb0EES13_EEDaSY_SZ_EUlSY_E_NS1_11comp_targetILNS1_3genE5ELNS1_11target_archE942ELNS1_3gpuE9ELNS1_3repE0EEENS1_30default_config_static_selectorELNS0_4arch9wavefront6targetE1EEEvT1_
	.globl	_ZN7rocprim17ROCPRIM_400000_NS6detail17trampoline_kernelINS0_14default_configENS1_27scan_by_key_config_selectorIj11FixedVectorIiLj2EEEEZZNS1_16scan_by_key_implILNS1_25lookback_scan_determinismE0ELb0ES3_N6thrust23THRUST_200600_302600_NS6detail15normal_iteratorINSB_10device_ptrIjEEEENSD_INSE_IS6_EEEESI_S6_NSB_4plusIvEENSB_8equal_toIvEES6_EE10hipError_tPvRmT2_T3_T4_T5_mT6_T7_P12ihipStream_tbENKUlT_T0_E_clISt17integral_constantIbLb0EES13_EEDaSY_SZ_EUlSY_E_NS1_11comp_targetILNS1_3genE5ELNS1_11target_archE942ELNS1_3gpuE9ELNS1_3repE0EEENS1_30default_config_static_selectorELNS0_4arch9wavefront6targetE1EEEvT1_
	.p2align	8
	.type	_ZN7rocprim17ROCPRIM_400000_NS6detail17trampoline_kernelINS0_14default_configENS1_27scan_by_key_config_selectorIj11FixedVectorIiLj2EEEEZZNS1_16scan_by_key_implILNS1_25lookback_scan_determinismE0ELb0ES3_N6thrust23THRUST_200600_302600_NS6detail15normal_iteratorINSB_10device_ptrIjEEEENSD_INSE_IS6_EEEESI_S6_NSB_4plusIvEENSB_8equal_toIvEES6_EE10hipError_tPvRmT2_T3_T4_T5_mT6_T7_P12ihipStream_tbENKUlT_T0_E_clISt17integral_constantIbLb0EES13_EEDaSY_SZ_EUlSY_E_NS1_11comp_targetILNS1_3genE5ELNS1_11target_archE942ELNS1_3gpuE9ELNS1_3repE0EEENS1_30default_config_static_selectorELNS0_4arch9wavefront6targetE1EEEvT1_,@function
_ZN7rocprim17ROCPRIM_400000_NS6detail17trampoline_kernelINS0_14default_configENS1_27scan_by_key_config_selectorIj11FixedVectorIiLj2EEEEZZNS1_16scan_by_key_implILNS1_25lookback_scan_determinismE0ELb0ES3_N6thrust23THRUST_200600_302600_NS6detail15normal_iteratorINSB_10device_ptrIjEEEENSD_INSE_IS6_EEEESI_S6_NSB_4plusIvEENSB_8equal_toIvEES6_EE10hipError_tPvRmT2_T3_T4_T5_mT6_T7_P12ihipStream_tbENKUlT_T0_E_clISt17integral_constantIbLb0EES13_EEDaSY_SZ_EUlSY_E_NS1_11comp_targetILNS1_3genE5ELNS1_11target_archE942ELNS1_3gpuE9ELNS1_3repE0EEENS1_30default_config_static_selectorELNS0_4arch9wavefront6targetE1EEEvT1_: ; @_ZN7rocprim17ROCPRIM_400000_NS6detail17trampoline_kernelINS0_14default_configENS1_27scan_by_key_config_selectorIj11FixedVectorIiLj2EEEEZZNS1_16scan_by_key_implILNS1_25lookback_scan_determinismE0ELb0ES3_N6thrust23THRUST_200600_302600_NS6detail15normal_iteratorINSB_10device_ptrIjEEEENSD_INSE_IS6_EEEESI_S6_NSB_4plusIvEENSB_8equal_toIvEES6_EE10hipError_tPvRmT2_T3_T4_T5_mT6_T7_P12ihipStream_tbENKUlT_T0_E_clISt17integral_constantIbLb0EES13_EEDaSY_SZ_EUlSY_E_NS1_11comp_targetILNS1_3genE5ELNS1_11target_archE942ELNS1_3gpuE9ELNS1_3repE0EEENS1_30default_config_static_selectorELNS0_4arch9wavefront6targetE1EEEvT1_
; %bb.0:
	s_load_dwordx8 s[80:87], s[0:1], 0x0
	s_load_dwordx4 s[96:99], s[0:1], 0x30
	s_load_dwordx2 s[6:7], s[0:1], 0x40
	s_load_dword s3, s[0:1], 0x48
	s_load_dwordx8 s[88:95], s[0:1], 0x50
	s_waitcnt lgkmcnt(0)
	s_lshl_b64 s[0:1], s[82:83], 2
	s_add_u32 s10, s80, s0
	s_addc_u32 s11, s81, s1
	s_lshl_b64 s[0:1], s[82:83], 3
	s_add_u32 s12, s84, s0
	s_mul_i32 s4, s7, s3
	s_mul_hi_u32 s5, s6, s3
	s_addc_u32 s13, s85, s1
	s_add_i32 s14, s5, s4
	s_cmp_lg_u64 s[92:93], 0
	s_mul_i32 s4, s2, 0x1500
	s_mov_b32 s5, 0
	s_cselect_b64 s[52:53], -1, 0
	s_lshl_b64 s[8:9], s[4:5], 2
	s_add_u32 s50, s10, s8
	s_addc_u32 s51, s11, s9
	s_lshl_b64 s[92:93], s[4:5], 3
                                        ; implicit-def: $vgpr136 : SGPR spill to VGPR lane
	s_add_u32 s48, s12, s92
	v_writelane_b32 v136, s6, 0
	s_mul_i32 s3, s6, s3
	s_addc_u32 s49, s13, s93
	s_add_u32 s54, s3, s2
	s_addc_u32 s55, s14, 0
	s_add_u32 s4, s88, -1
	s_addc_u32 s5, s89, -1
	v_mov_b64_e32 v[2:3], s[4:5]
	v_cmp_ge_u64_e64 s[84:85], s[54:55], v[2:3]
	v_writelane_b32 v136, s7, 1
	s_mov_b64 s[6:7], 0
	s_mov_b64 s[10:11], -1
	s_and_b64 vcc, exec, s[84:85]
	s_mul_i32 s33, s4, 0xffffeb00
	s_barrier
	s_cbranch_vccz .LBB1953_130
; %bb.1:
	v_mov_b64_e32 v[2:3], s[50:51]
	flat_load_dword v2, v[2:3]
	s_add_i32 s62, s33, s98
	v_cmp_gt_u32_e64 s[46:47], s62, v0
	s_waitcnt vmcnt(0) lgkmcnt(0)
	v_mov_b32_e32 v4, v2
	s_and_saveexec_b64 s[4:5], s[46:47]
	s_cbranch_execz .LBB1953_3
; %bb.2:
	v_lshlrev_b32_e32 v4, 2, v0
	v_mov_b32_e32 v5, 0
	v_lshl_add_u64 v[4:5], s[50:51], 0, v[4:5]
	flat_load_dword v4, v[4:5]
.LBB1953_3:
	s_or_b64 exec, exec, s[4:5]
	v_or_b32_e32 v1, 0x100, v0
	v_cmp_gt_u32_e64 s[4:5], s62, v1
	v_mov_b32_e32 v5, v2
	s_and_saveexec_b64 s[6:7], s[4:5]
	s_cbranch_execz .LBB1953_5
; %bb.4:
	v_lshlrev_b32_e32 v6, 2, v0
	v_mov_b32_e32 v7, 0
	v_lshl_add_u64 v[6:7], s[50:51], 0, v[6:7]
	flat_load_dword v5, v[6:7] offset:1024
.LBB1953_5:
	s_or_b64 exec, exec, s[6:7]
	v_or_b32_e32 v1, 0x200, v0
	v_cmp_gt_u32_e64 s[6:7], s62, v1
	v_mov_b32_e32 v6, v2
	s_and_saveexec_b64 s[8:9], s[6:7]
	s_cbranch_execz .LBB1953_7
; %bb.6:
	v_lshlrev_b32_e32 v6, 2, v0
	v_mov_b32_e32 v7, 0
	v_lshl_add_u64 v[6:7], s[50:51], 0, v[6:7]
	flat_load_dword v6, v[6:7] offset:2048
.LBB1953_7:
	;; [unrolled: 12-line block ×3, first 2 shown]
	s_or_b64 exec, exec, s[10:11]
	v_or_b32_e32 v22, 0x400, v0
	v_cmp_gt_u32_e64 s[10:11], s62, v22
	v_mov_b32_e32 v8, v2
	s_and_saveexec_b64 s[12:13], s[10:11]
	s_cbranch_execz .LBB1953_11
; %bb.10:
	v_lshlrev_b32_e32 v8, 2, v22
	v_mov_b32_e32 v9, 0
	v_lshl_add_u64 v[8:9], s[50:51], 0, v[8:9]
	flat_load_dword v8, v[8:9]
.LBB1953_11:
	s_or_b64 exec, exec, s[12:13]
	v_or_b32_e32 v23, 0x500, v0
	v_cmp_gt_u32_e64 s[12:13], s62, v23
	v_mov_b32_e32 v9, v2
	s_and_saveexec_b64 s[14:15], s[12:13]
	s_cbranch_execz .LBB1953_13
; %bb.12:
	v_lshlrev_b32_e32 v10, 2, v23
	v_mov_b32_e32 v11, 0
	v_lshl_add_u64 v[10:11], s[50:51], 0, v[10:11]
	flat_load_dword v9, v[10:11]
.LBB1953_13:
	;; [unrolled: 12-line block ×16, first 2 shown]
	s_or_b64 exec, exec, s[44:45]
	v_or_b32_e32 v65, 0x1400, v0
	v_cmp_gt_u32_e64 s[44:45], s62, v65
	v_mov_b32_e32 v3, 0
	s_and_saveexec_b64 s[56:57], s[44:45]
	s_cbranch_execz .LBB1953_43
; %bb.42:
	v_lshlrev_b32_e32 v2, 2, v65
	v_lshl_add_u64 v[2:3], s[50:51], 0, v[2:3]
	flat_load_dword v2, v[2:3]
.LBB1953_43:
	s_or_b64 exec, exec, s[56:57]
	v_lshlrev_b32_e32 v3, 2, v0
	s_movk_i32 s3, 0x50
	s_waitcnt vmcnt(0) lgkmcnt(0)
	ds_write2st64_b32 v3, v4, v5 offset1:4
	ds_write2st64_b32 v3, v6, v7 offset0:8 offset1:12
	ds_write2st64_b32 v3, v8, v9 offset0:16 offset1:20
	ds_write2st64_b32 v3, v10, v11 offset0:24 offset1:28
	ds_write2st64_b32 v3, v12, v13 offset0:32 offset1:36
	ds_write2st64_b32 v3, v15, v16 offset0:40 offset1:44
	ds_write2st64_b32 v3, v17, v18 offset0:48 offset1:52
	ds_write2st64_b32 v3, v19, v20 offset0:56 offset1:60
	ds_write2st64_b32 v3, v21, v24 offset0:64 offset1:68
	ds_write2st64_b32 v3, v25, v26 offset0:72 offset1:76
	ds_write_b32 v3, v2 offset:20480
	v_mad_u32_u24 v2, v0, s3, v3
	s_waitcnt lgkmcnt(0)
	s_barrier
	ds_read2_b32 v[20:21], v2 offset0:7 offset1:8
	ds_read2_b32 v[24:25], v2 offset0:5 offset1:6
	;; [unrolled: 1-line block ×3, first 2 shown]
	ds_read2_b32 v[16:17], v2 offset1:1
	ds_read2_b32 v[32:33], v2 offset0:4 offset1:9
	ds_read2_b32 v[28:29], v2 offset0:15 offset1:16
	ds_read_b32 v64, v2 offset:56
	ds_read2_b32 v[40:41], v2 offset0:12 offset1:13
	ds_read2_b32 v[44:45], v2 offset0:10 offset1:11
	;; [unrolled: 1-line block ×4, first 2 shown]
	s_cmp_eq_u64 s[54:55], 0
	s_mov_b64 s[56:57], s[50:51]
	s_cbranch_scc1 .LBB1953_47
; %bb.44:
	s_andn2_b64 vcc, exec, s[52:53]
	s_cbranch_vccnz .LBB1953_337
; %bb.45:
	s_lshl_b64 s[56:57], s[54:55], 2
	s_add_u32 s3, s94, s56
	s_addc_u32 s57, s95, s57
	s_add_u32 s56, s3, -4
	s_addc_u32 s57, s57, -1
	s_cbranch_execnz .LBB1953_47
.LBB1953_46:
	s_add_u32 s56, s50, -4
	s_addc_u32 s57, s51, -1
.LBB1953_47:
	v_mov_b64_e32 v[6:7], s[56:57]
	flat_load_dword v66, v[6:7]
	s_movk_i32 s3, 0xffb0
	v_mad_i32_i24 v67, v0, s3, v2
	v_cmp_ne_u32_e32 vcc, 0, v0
	s_waitcnt lgkmcnt(0)
	ds_write_b32 v67, v5 offset:21504
	s_waitcnt lgkmcnt(0)
	s_barrier
	s_and_saveexec_b64 s[56:57], vcc
	s_cbranch_execz .LBB1953_49
; %bb.48:
	s_waitcnt vmcnt(0)
	ds_read_b32 v66, v67 offset:21500
.LBB1953_49:
	s_or_b64 exec, exec, s[56:57]
	v_mov_b64_e32 v[6:7], 0
	v_mov_b32_e32 v9, 0
	v_mov_b64_e32 v[2:3], v[6:7]
	s_waitcnt lgkmcnt(0)
	s_barrier
	s_and_saveexec_b64 s[56:57], s[46:47]
	s_cbranch_execz .LBB1953_51
; %bb.50:
	v_lshlrev_b32_e32 v8, 3, v0
	v_lshl_add_u64 v[2:3], s[48:49], 0, v[8:9]
	flat_load_dwordx2 v[2:3], v[2:3]
.LBB1953_51:
	s_or_b64 exec, exec, s[56:57]
	s_and_saveexec_b64 s[46:47], s[4:5]
	s_cbranch_execz .LBB1953_53
; %bb.52:
	v_lshlrev_b32_e32 v6, 3, v0
	v_mov_b32_e32 v7, 0
	v_lshl_add_u64 v[6:7], s[48:49], 0, v[6:7]
	flat_load_dwordx2 v[6:7], v[6:7] offset:2048
.LBB1953_53:
	s_or_b64 exec, exec, s[46:47]
	v_mov_b64_e32 v[8:9], 0
	v_mov_b64_e32 v[10:11], v[8:9]
	s_and_saveexec_b64 s[4:5], s[6:7]
	s_cbranch_execz .LBB1953_55
; %bb.54:
	v_lshlrev_b32_e32 v10, 3, v1
	v_mov_b32_e32 v11, 0
	v_lshl_add_u64 v[10:11], s[48:49], 0, v[10:11]
	flat_load_dwordx2 v[10:11], v[10:11]
.LBB1953_55:
	s_or_b64 exec, exec, s[4:5]
	s_and_saveexec_b64 s[4:5], s[8:9]
	s_cbranch_execz .LBB1953_57
; %bb.56:
	v_lshlrev_b32_e32 v8, 3, v14
	v_mov_b32_e32 v9, 0
	v_lshl_add_u64 v[8:9], s[48:49], 0, v[8:9]
	flat_load_dwordx2 v[8:9], v[8:9]
.LBB1953_57:
	s_or_b64 exec, exec, s[4:5]
	v_mov_b64_e32 v[14:15], 0
	v_mov_b64_e32 v[18:19], v[14:15]
	s_and_saveexec_b64 s[4:5], s[10:11]
	s_cbranch_execz .LBB1953_59
; %bb.58:
	v_lshlrev_b32_e32 v18, 3, v22
	v_mov_b32_e32 v19, 0
	v_lshl_add_u64 v[18:19], s[48:49], 0, v[18:19]
	flat_load_dwordx2 v[18:19], v[18:19]
.LBB1953_59:
	s_or_b64 exec, exec, s[4:5]
	s_and_saveexec_b64 s[4:5], s[12:13]
	s_cbranch_execz .LBB1953_61
; %bb.60:
	v_lshlrev_b32_e32 v14, 3, v23
	v_mov_b32_e32 v15, 0
	v_lshl_add_u64 v[14:15], s[48:49], 0, v[14:15]
	flat_load_dwordx2 v[14:15], v[14:15]
.LBB1953_61:
	;; [unrolled: 20-line block ×8, first 2 shown]
	s_or_b64 exec, exec, s[4:5]
	v_mov_b64_e32 v[58:59], 0
	v_mov_b64_e32 v[60:61], v[58:59]
	s_and_saveexec_b64 s[4:5], s[40:41]
	s_cbranch_execnz .LBB1953_335
; %bb.86:
	s_or_b64 exec, exec, s[4:5]
	s_and_saveexec_b64 s[4:5], s[42:43]
	s_cbranch_execnz .LBB1953_336
.LBB1953_87:
	s_or_b64 exec, exec, s[4:5]
	v_mov_b64_e32 v[62:63], 0
	s_and_saveexec_b64 s[4:5], s[44:45]
	s_cbranch_execz .LBB1953_89
.LBB1953_88:
	v_lshlrev_b32_e32 v62, 3, v65
	v_mov_b32_e32 v63, 0
	v_lshl_add_u64 v[62:63], s[48:49], 0, v[62:63]
	flat_load_dwordx2 v[62:63], v[62:63]
.LBB1953_89:
	s_or_b64 exec, exec, s[4:5]
	v_mul_u32_u24_e32 v65, 21, v0
	v_lshl_add_u32 v68, v0, 2, v67
	s_waitcnt vmcnt(0) lgkmcnt(0)
	ds_write2st64_b64 v68, v[2:3], v[6:7] offset1:4
	ds_write2st64_b64 v68, v[10:11], v[8:9] offset0:8 offset1:12
	ds_write2st64_b64 v68, v[18:19], v[14:15] offset0:16 offset1:20
	;; [unrolled: 1-line block ×9, first 2 shown]
	ds_write_b64 v68, v[62:63] offset:40960
	v_cmp_gt_u32_e32 vcc, s62, v65
	s_mov_b64 s[10:11], 0
	s_mov_b32 s3, 0
	v_mov_b32_e32 v123, 0
	v_mov_b32_e32 v105, 0
	s_mov_b64 s[6:7], 0
	v_mov_b32_e32 v116, 0
	v_mov_b32_e32 v111, 0
	v_mov_b32_e32 v108, 0
	v_mov_b32_e32 v27, 0
	v_mov_b32_e32 v26, 0
	v_mov_b32_e32 v35, 0
	v_mov_b32_e32 v34, 0
	v_mov_b32_e32 v47, 0
	v_mov_b32_e32 v46, 0
	v_mov_b32_e32 v109, 0
	v_mov_b32_e32 v110, 0
	v_mov_b32_e32 v43, 0
	v_mov_b32_e32 v42, 0
	v_mov_b32_e32 v112, 0
	v_mov_b32_e32 v113, 0
	v_mov_b32_e32 v39, 0
	v_mov_b32_e32 v38, 0
	v_mov_b32_e32 v114, 0
	v_mov_b32_e32 v115, 0
	v_mov_b32_e32 v31, 0
	v_mov_b32_e32 v30, 0
	v_mov_b32_e32 v107, 0
	v_mov_b32_e32 v117, 0
	v_mov_b32_e32 v118, 0
	v_mov_b32_e32 v23, 0
	v_mov_b32_e32 v22, 0
	v_mov_b32_e32 v119, 0
	v_mov_b32_e32 v120, 0
	v_mov_b32_e32 v19, 0
	v_mov_b32_e32 v18, 0
	v_mov_b32_e32 v121, 0
	v_mov_b32_e32 v122, 0
	v_mov_b32_e32 v106, 0
	v_mov_b32_e32 v15, 0
	v_mov_b32_e32 v14, 0
	v_mov_b32_e32 v124, 0
	v_mov_b32_e32 v125, 0
	v_mov_b32_e32 v11, 0
	v_mov_b32_e32 v10, 0
	v_mov_b32_e32 v126, 0
	v_mov_b32_e32 v127, 0
	v_mov_b32_e32 v7, 0
	v_mov_b32_e32 v6, 0
	v_mov_b32_e32 v104, 0
	v_mov_b32_e32 v3, 0
	v_mov_b32_e32 v2, 0
	s_waitcnt lgkmcnt(0)
	s_barrier
	s_waitcnt lgkmcnt(0)
                                        ; implicit-def: $sgpr4_sgpr5
                                        ; implicit-def: $vgpr1
                                        ; implicit-def: $vgpr80
                                        ; implicit-def: $vgpr81
                                        ; implicit-def: $vgpr82
                                        ; implicit-def: $vgpr51
                                        ; implicit-def: $vgpr55
                                        ; implicit-def: $vgpr59
                                        ; implicit-def: $vgpr63
                                        ; implicit-def: $vgpr67
                                        ; implicit-def: $vgpr71
                                        ; implicit-def: $vgpr75
                                        ; implicit-def: $vgpr79
	s_and_saveexec_b64 s[12:13], vcc
	s_cbranch_execz .LBB1953_129
; %bb.90:
	s_movk_i32 s4, 0xa0
	v_mad_u32_u24 v2, v0, s4, v68
	ds_read_b64 v[2:3], v2
	v_cmp_ne_u32_e32 vcc, v66, v16
	v_add_u32_e32 v1, 1, v65
	v_mov_b32_e32 v123, 0
	v_cndmask_b32_e64 v104, 0, 1, vcc
	v_cmp_gt_u32_e32 vcc, s62, v1
	v_mov_b32_e32 v105, 0
	v_mov_b32_e32 v116, 0
	;; [unrolled: 1-line block ×44, first 2 shown]
                                        ; implicit-def: $sgpr4_sgpr5
                                        ; implicit-def: $vgpr1
                                        ; implicit-def: $vgpr80
                                        ; implicit-def: $vgpr81
                                        ; implicit-def: $vgpr82
                                        ; implicit-def: $vgpr51
                                        ; implicit-def: $vgpr55
                                        ; implicit-def: $vgpr59
                                        ; implicit-def: $vgpr63
                                        ; implicit-def: $vgpr67
                                        ; implicit-def: $vgpr71
                                        ; implicit-def: $vgpr75
                                        ; implicit-def: $vgpr79
	s_and_saveexec_b64 s[14:15], vcc
	s_cbranch_execz .LBB1953_128
; %bb.91:
	v_mul_u32_u24_e32 v1, 0xa0, v0
	v_add_u32_e32 v50, v68, v1
	ds_read2_b64 v[6:9], v50 offset0:1 offset1:2
	v_cmp_ne_u32_e64 s[6:7], v16, v17
	v_add_u32_e32 v1, 2, v65
	v_cmp_ne_u32_e32 vcc, v12, v13
	v_cmp_ne_u32_e64 s[8:9], v13, v32
	v_cmp_ne_u32_e64 s[4:5], v17, v12
	v_cndmask_b32_e64 v123, 0, 1, s[6:7]
	v_cmp_gt_u32_e64 s[6:7], s62, v1
	s_mov_b64 s[18:19], 0
	v_mov_b32_e32 v116, 0
	v_mov_b32_e32 v105, 0
	v_mov_b32_e32 v111, 0
	v_mov_b32_e32 v108, 0
	v_mov_b32_e32 v27, 0
	v_mov_b32_e32 v26, 0
	v_mov_b32_e32 v35, 0
	v_mov_b32_e32 v34, 0
	v_mov_b32_e32 v47, 0
	v_mov_b32_e32 v46, 0
	v_mov_b32_e32 v109, 0
	v_mov_b32_e32 v110, 0
	v_mov_b32_e32 v43, 0
	v_mov_b32_e32 v42, 0
	v_mov_b32_e32 v112, 0
	v_mov_b32_e32 v113, 0
	v_mov_b32_e32 v39, 0
	v_mov_b32_e32 v38, 0
	v_mov_b32_e32 v114, 0
	v_mov_b32_e32 v115, 0
	v_mov_b32_e32 v31, 0
	v_mov_b32_e32 v30, 0
	v_mov_b32_e32 v107, 0
	v_mov_b32_e32 v117, 0
	v_mov_b32_e32 v118, 0
	v_mov_b32_e32 v23, 0
	v_mov_b32_e32 v22, 0
	v_mov_b32_e32 v119, 0
	v_mov_b32_e32 v120, 0
	v_mov_b32_e32 v19, 0
	v_mov_b32_e32 v18, 0
	v_mov_b32_e32 v121, 0
	v_mov_b32_e32 v122, 0
	v_mov_b32_e32 v106, 0
	v_mov_b32_e32 v15, 0
	v_mov_b32_e32 v14, 0
	v_mov_b32_e32 v124, 0
	v_mov_b32_e32 v125, 0
	v_mov_b32_e32 v11, 0
	v_mov_b32_e32 v10, 0
	v_mov_b32_e32 v126, 0
	v_mov_b32_e32 v127, 0
                                        ; implicit-def: $sgpr20_sgpr21
                                        ; implicit-def: $vgpr1
                                        ; implicit-def: $vgpr80
                                        ; implicit-def: $vgpr81
                                        ; implicit-def: $vgpr82
                                        ; implicit-def: $vgpr51
                                        ; implicit-def: $vgpr55
                                        ; implicit-def: $vgpr59
                                        ; implicit-def: $vgpr63
                                        ; implicit-def: $vgpr67
                                        ; implicit-def: $vgpr71
                                        ; implicit-def: $vgpr75
                                        ; implicit-def: $vgpr79
	s_and_saveexec_b64 s[16:17], s[6:7]
	s_cbranch_execz .LBB1953_127
; %bb.92:
	v_cndmask_b32_e64 v1, 0, 1, s[4:5]
	v_cndmask_b32_e64 v10, 0, 1, s[8:9]
	v_lshlrev_b16_e32 v1, 8, v1
	v_lshlrev_b16_e32 v10, 8, v10
	v_cndmask_b32_e64 v11, 0, 1, vcc
	v_or_b32_e32 v1, v123, v1
	v_or_b32_sdwa v10, v11, v10 dst_sel:WORD_1 dst_unused:UNUSED_PAD src0_sel:DWORD src1_sel:DWORD
	v_mov_b32_e32 v116, 0
	v_or_b32_sdwa v1, v1, v10 dst_sel:DWORD dst_unused:UNUSED_PAD src0_sel:WORD_0 src1_sel:DWORD
	v_add_u32_e32 v10, 3, v65
	v_and_b32_e32 v123, 0xffff, v1
	v_cmp_gt_u32_e32 vcc, s62, v10
	s_mov_b64 s[4:5], 0
	v_mov_b32_e32 v105, 0
	v_mov_b32_e32 v111, 0
	;; [unrolled: 1-line block ×39, first 2 shown]
                                        ; implicit-def: $sgpr6_sgpr7
                                        ; implicit-def: $vgpr80
                                        ; implicit-def: $vgpr81
                                        ; implicit-def: $vgpr82
                                        ; implicit-def: $vgpr51
                                        ; implicit-def: $vgpr55
                                        ; implicit-def: $vgpr59
                                        ; implicit-def: $vgpr63
                                        ; implicit-def: $vgpr67
                                        ; implicit-def: $vgpr71
                                        ; implicit-def: $vgpr75
                                        ; implicit-def: $vgpr79
	s_and_saveexec_b64 s[18:19], vcc
	s_cbranch_execz .LBB1953_126
; %bb.93:
	ds_read2_b64 v[10:13], v50 offset0:3 offset1:4
	v_add_u32_e32 v14, 4, v65
	v_cmp_gt_u32_e32 vcc, s62, v14
	v_and_b32_e32 v123, 0xffffff, v1
	v_mov_b32_e32 v116, 0
	v_mov_b32_e32 v105, 0
	;; [unrolled: 1-line block ×38, first 2 shown]
                                        ; implicit-def: $sgpr6_sgpr7
                                        ; implicit-def: $vgpr80
                                        ; implicit-def: $vgpr81
                                        ; implicit-def: $vgpr82
                                        ; implicit-def: $vgpr51
                                        ; implicit-def: $vgpr55
                                        ; implicit-def: $vgpr59
                                        ; implicit-def: $vgpr63
                                        ; implicit-def: $vgpr67
                                        ; implicit-def: $vgpr71
                                        ; implicit-def: $vgpr75
                                        ; implicit-def: $vgpr79
	s_and_saveexec_b64 s[20:21], vcc
	s_cbranch_execz .LBB1953_125
; %bb.94:
	v_add_u32_e32 v14, 5, v65
	v_mov_b32_e32 v116, 0
	v_cmp_gt_u32_e32 vcc, s62, v14
	v_mov_b32_e32 v105, 0
	v_mov_b32_e32 v111, 0
	;; [unrolled: 1-line block ×35, first 2 shown]
                                        ; implicit-def: $sgpr6_sgpr7
                                        ; implicit-def: $vgpr80
                                        ; implicit-def: $vgpr81
                                        ; implicit-def: $vgpr82
                                        ; implicit-def: $vgpr51
                                        ; implicit-def: $vgpr55
                                        ; implicit-def: $vgpr59
                                        ; implicit-def: $vgpr63
                                        ; implicit-def: $vgpr67
                                        ; implicit-def: $vgpr71
                                        ; implicit-def: $vgpr75
                                        ; implicit-def: $vgpr79
	s_and_saveexec_b64 s[22:23], vcc
	s_cbranch_execz .LBB1953_124
; %bb.95:
	ds_read2_b64 v[14:17], v50 offset0:5 offset1:6
	v_cmp_ne_u32_e32 vcc, v32, v24
	v_add_u32_e32 v18, 6, v65
	v_mov_b32_e32 v116, 0
	v_cndmask_b32_e64 v106, 0, 1, vcc
	v_cmp_gt_u32_e32 vcc, s62, v18
	v_mov_b32_e32 v105, 0
	v_mov_b32_e32 v111, 0
	;; [unrolled: 1-line block ×32, first 2 shown]
                                        ; implicit-def: $sgpr6_sgpr7
                                        ; implicit-def: $vgpr80
                                        ; implicit-def: $vgpr81
                                        ; implicit-def: $vgpr82
                                        ; implicit-def: $vgpr51
                                        ; implicit-def: $vgpr55
                                        ; implicit-def: $vgpr59
                                        ; implicit-def: $vgpr63
                                        ; implicit-def: $vgpr67
                                        ; implicit-def: $vgpr71
                                        ; implicit-def: $vgpr75
                                        ; implicit-def: $vgpr79
	s_and_saveexec_b64 s[24:25], vcc
	s_cbranch_execz .LBB1953_123
; %bb.96:
	v_cmp_ne_u32_e64 s[8:9], v24, v25
	v_add_u32_e32 v18, 7, v65
	v_mov_b32_e32 v111, 0
	v_cmp_ne_u32_e32 vcc, v20, v21
	v_cmp_ne_u32_e64 s[6:7], v21, v33
	v_cmp_ne_u32_e64 s[4:5], v25, v20
	v_cndmask_b32_e64 v116, 0, 1, s[8:9]
	v_cmp_gt_u32_e64 s[8:9], s62, v18
	s_mov_b64 s[28:29], 0
	v_mov_b32_e32 v105, 0
	v_mov_b32_e32 v108, 0
	;; [unrolled: 1-line block ×29, first 2 shown]
                                        ; implicit-def: $sgpr30_sgpr31
                                        ; implicit-def: $vgpr80
                                        ; implicit-def: $vgpr81
                                        ; implicit-def: $vgpr82
                                        ; implicit-def: $vgpr51
                                        ; implicit-def: $vgpr55
                                        ; implicit-def: $vgpr59
                                        ; implicit-def: $vgpr63
                                        ; implicit-def: $vgpr67
                                        ; implicit-def: $vgpr71
                                        ; implicit-def: $vgpr75
                                        ; implicit-def: $vgpr79
	s_and_saveexec_b64 s[26:27], s[8:9]
	s_cbranch_execz .LBB1953_122
; %bb.97:
	v_cndmask_b32_e64 v18, 0, 1, s[4:5]
	v_cndmask_b32_e64 v19, 0, 1, s[6:7]
	v_lshlrev_b16_e32 v18, 8, v18
	v_lshlrev_b16_e32 v19, 8, v19
	v_cndmask_b32_e64 v20, 0, 1, vcc
	v_or_b32_e32 v18, v116, v18
	v_or_b32_sdwa v19, v20, v19 dst_sel:WORD_1 dst_unused:UNUSED_PAD src0_sel:DWORD src1_sel:DWORD
	v_add_u32_e32 v22, 8, v65
	v_or_b32_sdwa v80, v18, v19 dst_sel:DWORD dst_unused:UNUSED_PAD src0_sel:WORD_0 src1_sel:DWORD
	ds_read2_b64 v[18:21], v50 offset0:7 offset1:8
	v_and_b32_e32 v116, 0xffff, v80
	v_cmp_gt_u32_e32 vcc, s62, v22
	s_mov_b64 s[4:5], 0
	v_mov_b32_e32 v111, 0
	v_mov_b32_e32 v105, 0
	;; [unrolled: 1-line block ×28, first 2 shown]
                                        ; implicit-def: $sgpr6_sgpr7
                                        ; implicit-def: $vgpr81
                                        ; implicit-def: $vgpr82
                                        ; implicit-def: $vgpr51
                                        ; implicit-def: $vgpr55
                                        ; implicit-def: $vgpr59
                                        ; implicit-def: $vgpr63
                                        ; implicit-def: $vgpr67
                                        ; implicit-def: $vgpr71
                                        ; implicit-def: $vgpr75
                                        ; implicit-def: $vgpr79
	s_and_saveexec_b64 s[28:29], vcc
	s_cbranch_execz .LBB1953_121
; %bb.98:
	v_add_u32_e32 v22, 9, v65
	v_mov_b32_e32 v111, 0
	v_cmp_gt_u32_e32 vcc, s62, v22
	v_and_b32_e32 v116, 0xffffff, v80
	v_mov_b32_e32 v105, 0
	v_mov_b32_e32 v108, 0
	v_mov_b32_e32 v27, 0
	v_mov_b32_e32 v26, 0
	v_mov_b32_e32 v35, 0
	v_mov_b32_e32 v34, 0
	v_mov_b32_e32 v47, 0
	v_mov_b32_e32 v46, 0
	v_mov_b32_e32 v109, 0
	v_mov_b32_e32 v110, 0
	v_mov_b32_e32 v43, 0
	v_mov_b32_e32 v42, 0
	v_mov_b32_e32 v112, 0
	v_mov_b32_e32 v113, 0
	v_mov_b32_e32 v39, 0
	v_mov_b32_e32 v38, 0
	v_mov_b32_e32 v114, 0
	v_mov_b32_e32 v115, 0
	v_mov_b32_e32 v31, 0
	v_mov_b32_e32 v30, 0
	v_mov_b32_e32 v107, 0
	v_mov_b32_e32 v117, 0
	v_mov_b32_e32 v118, 0
	v_mov_b32_e32 v23, 0
	v_mov_b32_e32 v22, v111
                                        ; implicit-def: $sgpr6_sgpr7
                                        ; implicit-def: $vgpr81
                                        ; implicit-def: $vgpr82
                                        ; implicit-def: $vgpr51
                                        ; implicit-def: $vgpr55
                                        ; implicit-def: $vgpr59
                                        ; implicit-def: $vgpr63
                                        ; implicit-def: $vgpr67
                                        ; implicit-def: $vgpr71
                                        ; implicit-def: $vgpr75
                                        ; implicit-def: $vgpr79
	s_and_saveexec_b64 s[30:31], vcc
	s_cbranch_execz .LBB1953_120
; %bb.99:
	ds_read2_b64 v[22:25], v50 offset0:9 offset1:10
	v_add_u32_e32 v26, 10, v65
	v_cmp_gt_u32_e32 vcc, s62, v26
	v_mov_b32_e32 v111, 0
	v_mov_b32_e32 v105, 0
	;; [unrolled: 1-line block ×24, first 2 shown]
                                        ; implicit-def: $sgpr6_sgpr7
                                        ; implicit-def: $vgpr81
                                        ; implicit-def: $vgpr82
                                        ; implicit-def: $vgpr51
                                        ; implicit-def: $vgpr55
                                        ; implicit-def: $vgpr59
                                        ; implicit-def: $vgpr63
                                        ; implicit-def: $vgpr67
                                        ; implicit-def: $vgpr71
                                        ; implicit-def: $vgpr75
                                        ; implicit-def: $vgpr79
	s_and_saveexec_b64 s[34:35], vcc
	s_cbranch_execz .LBB1953_119
; %bb.100:
	v_cmp_ne_u32_e32 vcc, v33, v44
	v_add_u32_e32 v26, 11, v65
	v_mov_b32_e32 v111, 0
	v_cndmask_b32_e64 v107, 0, 1, vcc
	v_cmp_gt_u32_e32 vcc, s62, v26
	v_mov_b32_e32 v105, 0
	v_mov_b32_e32 v108, 0
	;; [unrolled: 1-line block ×20, first 2 shown]
                                        ; implicit-def: $sgpr6_sgpr7
                                        ; implicit-def: $vgpr81
                                        ; implicit-def: $vgpr82
                                        ; implicit-def: $vgpr51
                                        ; implicit-def: $vgpr55
                                        ; implicit-def: $vgpr59
                                        ; implicit-def: $vgpr63
                                        ; implicit-def: $vgpr67
                                        ; implicit-def: $vgpr71
                                        ; implicit-def: $vgpr75
                                        ; implicit-def: $vgpr79
	s_and_saveexec_b64 s[36:37], vcc
	s_cbranch_execz .LBB1953_118
; %bb.101:
	ds_read2_b64 v[30:33], v50 offset0:11 offset1:12
	v_cmp_ne_u32_e64 s[8:9], v44, v45
	v_add_u32_e32 v26, 12, v65
	v_cmp_ne_u32_e32 vcc, v40, v41
	v_cmp_ne_u32_e64 s[6:7], v41, v64
	v_cmp_ne_u32_e64 s[4:5], v45, v40
	v_cndmask_b32_e64 v111, 0, 1, s[8:9]
	v_cmp_gt_u32_e64 s[8:9], s62, v26
	s_mov_b64 s[40:41], 0
	v_mov_b32_e32 v108, 0
	v_mov_b32_e32 v105, 0
	;; [unrolled: 1-line block ×18, first 2 shown]
                                        ; implicit-def: $sgpr42_sgpr43
                                        ; implicit-def: $vgpr81
                                        ; implicit-def: $vgpr82
                                        ; implicit-def: $vgpr51
                                        ; implicit-def: $vgpr55
                                        ; implicit-def: $vgpr59
                                        ; implicit-def: $vgpr63
                                        ; implicit-def: $vgpr67
                                        ; implicit-def: $vgpr71
                                        ; implicit-def: $vgpr75
                                        ; implicit-def: $vgpr79
	s_and_saveexec_b64 s[38:39], s[8:9]
	s_cbranch_execz .LBB1953_117
; %bb.102:
	v_cndmask_b32_e64 v26, 0, 1, s[4:5]
	v_cndmask_b32_e64 v27, 0, 1, s[6:7]
	v_lshlrev_b16_e32 v26, 8, v26
	v_lshlrev_b16_e32 v27, 8, v27
	v_cndmask_b32_e64 v34, 0, 1, vcc
	v_or_b32_e32 v26, v111, v26
	v_or_b32_sdwa v27, v34, v27 dst_sel:WORD_1 dst_unused:UNUSED_PAD src0_sel:DWORD src1_sel:DWORD
	v_mov_b32_e32 v108, 0
	v_or_b32_sdwa v81, v26, v27 dst_sel:DWORD dst_unused:UNUSED_PAD src0_sel:WORD_0 src1_sel:DWORD
	v_add_u32_e32 v26, 13, v65
	v_and_b32_e32 v111, 0xffff, v81
	v_cmp_gt_u32_e32 vcc, s62, v26
	s_mov_b64 s[4:5], 0
	v_mov_b32_e32 v105, 0
	v_mov_b32_e32 v27, 0
	;; [unrolled: 1-line block ×15, first 2 shown]
                                        ; implicit-def: $sgpr6_sgpr7
                                        ; implicit-def: $vgpr82
                                        ; implicit-def: $vgpr51
                                        ; implicit-def: $vgpr55
                                        ; implicit-def: $vgpr59
                                        ; implicit-def: $vgpr63
                                        ; implicit-def: $vgpr67
                                        ; implicit-def: $vgpr71
                                        ; implicit-def: $vgpr75
                                        ; implicit-def: $vgpr79
	s_and_saveexec_b64 s[40:41], vcc
	s_cbranch_execz .LBB1953_116
; %bb.103:
	ds_read2_b64 v[38:41], v50 offset0:13 offset1:14
	v_add_u32_e32 v26, 14, v65
	v_cmp_gt_u32_e32 vcc, s62, v26
	v_and_b32_e32 v111, 0xffffff, v81
	v_mov_b32_e32 v108, 0
	v_mov_b32_e32 v105, 0
	;; [unrolled: 1-line block ×14, first 2 shown]
                                        ; implicit-def: $sgpr6_sgpr7
                                        ; implicit-def: $vgpr82
                                        ; implicit-def: $vgpr51
                                        ; implicit-def: $vgpr55
                                        ; implicit-def: $vgpr59
                                        ; implicit-def: $vgpr63
                                        ; implicit-def: $vgpr67
                                        ; implicit-def: $vgpr71
                                        ; implicit-def: $vgpr75
                                        ; implicit-def: $vgpr79
	s_and_saveexec_b64 s[42:43], vcc
	s_cbranch_execz .LBB1953_115
; %bb.104:
	v_add_u32_e32 v26, 15, v65
	v_mov_b32_e32 v108, 0
	v_cmp_gt_u32_e32 vcc, s62, v26
	v_mov_b32_e32 v105, 0
	v_mov_b32_e32 v27, 0
	;; [unrolled: 1-line block ×11, first 2 shown]
                                        ; implicit-def: $sgpr6_sgpr7
                                        ; implicit-def: $vgpr82
                                        ; implicit-def: $vgpr51
                                        ; implicit-def: $vgpr55
                                        ; implicit-def: $vgpr59
                                        ; implicit-def: $vgpr63
                                        ; implicit-def: $vgpr67
                                        ; implicit-def: $vgpr71
                                        ; implicit-def: $vgpr75
                                        ; implicit-def: $vgpr79
	s_and_saveexec_b64 s[44:45], vcc
	s_cbranch_execz .LBB1953_114
; %bb.105:
	ds_read2_b64 v[42:45], v50 offset0:15 offset1:16
	v_cmp_ne_u32_e32 vcc, v64, v28
	v_add_u32_e32 v26, 16, v65
	v_mov_b32_e32 v108, 0
	v_cndmask_b32_e64 v105, 0, 1, vcc
	v_cmp_gt_u32_e32 vcc, s62, v26
	v_mov_b32_e32 v27, 0
	v_mov_b32_e32 v26, 0
	;; [unrolled: 1-line block ×8, first 2 shown]
                                        ; implicit-def: $sgpr6_sgpr7
                                        ; implicit-def: $vgpr82
                                        ; implicit-def: $vgpr51
                                        ; implicit-def: $vgpr55
                                        ; implicit-def: $vgpr59
                                        ; implicit-def: $vgpr63
                                        ; implicit-def: $vgpr67
                                        ; implicit-def: $vgpr71
                                        ; implicit-def: $vgpr75
                                        ; implicit-def: $vgpr79
	s_and_saveexec_b64 s[46:47], vcc
	s_cbranch_execz .LBB1953_113
; %bb.106:
	v_cmp_ne_u32_e64 s[8:9], v28, v29
	v_add_u32_e32 v26, 17, v65
	v_mov_b32_e32 v27, 0
	v_cmp_ne_u32_e32 vcc, v36, v37
	v_cmp_ne_u32_e64 s[6:7], v37, v4
	v_cmp_ne_u32_e64 s[4:5], v29, v36
	v_cndmask_b32_e64 v108, 0, 1, s[8:9]
	v_cmp_gt_u32_e64 s[8:9], s62, v26
	s_mov_b64 s[58:59], 0
	v_mov_b32_e32 v26, 0
	v_mov_b32_e32 v35, 0
	;; [unrolled: 1-line block ×5, first 2 shown]
                                        ; implicit-def: $sgpr60_sgpr61
                                        ; implicit-def: $vgpr82
                                        ; implicit-def: $vgpr51
                                        ; implicit-def: $vgpr55
                                        ; implicit-def: $vgpr59
                                        ; implicit-def: $vgpr63
                                        ; implicit-def: $vgpr67
                                        ; implicit-def: $vgpr71
                                        ; implicit-def: $vgpr75
                                        ; implicit-def: $vgpr79
	s_and_saveexec_b64 s[56:57], s[8:9]
	s_cbranch_execz .LBB1953_112
; %bb.107:
	v_cndmask_b32_e64 v26, 0, 1, s[4:5]
	v_cndmask_b32_e64 v27, 0, 1, s[6:7]
	ds_read2_b64 v[46:49], v50 offset0:17 offset1:18
	v_lshlrev_b16_e32 v26, 8, v26
	v_lshlrev_b16_e32 v27, 8, v27
	v_cndmask_b32_e64 v28, 0, 1, vcc
	v_or_b32_e32 v26, v108, v26
	v_or_b32_sdwa v27, v28, v27 dst_sel:WORD_1 dst_unused:UNUSED_PAD src0_sel:DWORD src1_sel:DWORD
	s_mov_b64 s[4:5], 0
	v_or_b32_sdwa v82, v26, v27 dst_sel:DWORD dst_unused:UNUSED_PAD src0_sel:WORD_0 src1_sel:DWORD
	v_add_u32_e32 v26, 18, v65
	v_and_b32_e32 v108, 0xffff, v82
	v_cmp_gt_u32_e32 vcc, s62, v26
	v_mov_b32_e32 v27, 0
	v_mov_b32_e32 v26, 0
	;; [unrolled: 1-line block ×4, first 2 shown]
                                        ; implicit-def: $sgpr8_sgpr9
	s_and_saveexec_b64 s[6:7], vcc
	s_cbranch_execz .LBB1953_111
; %bb.108:
	v_add_u32_e32 v26, 19, v65
	s_waitcnt lgkmcnt(0)
	v_mov_b32_e32 v34, v48
	v_mov_b32_e32 v35, v49
	v_cmp_gt_u32_e32 vcc, s62, v26
	v_and_b32_e32 v108, 0xffffff, v82
	v_mov_b32_e32 v27, 0
	v_mov_b32_e32 v26, 0
                                        ; implicit-def: $sgpr8_sgpr9
	s_and_saveexec_b64 s[58:59], vcc
	s_xor_b64 s[58:59], exec, s[58:59]
	s_cbranch_execz .LBB1953_110
; %bb.109:
	ds_read2_b64 v[26:29], v50 offset0:19 offset1:20
	v_cmp_ne_u32_e32 vcc, v4, v5
	v_add_u32_e32 v4, 20, v65
	v_cmp_gt_u32_e64 s[4:5], s62, v4
	s_and_b64 s[8:9], vcc, exec
	s_and_b64 s[4:5], s[4:5], exec
	s_waitcnt lgkmcnt(0)
	v_mov_b32_e32 v37, v27
	v_mov_b32_e32 v36, v26
	;; [unrolled: 1-line block ×3, first 2 shown]
.LBB1953_110:
	s_or_b64 exec, exec, s[58:59]
	s_and_b64 s[8:9], s[8:9], exec
	s_and_b64 s[4:5], s[4:5], exec
.LBB1953_111:
	s_or_b64 exec, exec, s[6:7]
	s_and_b64 s[60:61], s[8:9], exec
	s_and_b64 s[58:59], s[4:5], exec
	s_waitcnt lgkmcnt(0)
	v_mov_b32_e32 v51, v47
	v_mov_b32_e32 v50, v46
	;; [unrolled: 1-line block ×34, first 2 shown]
.LBB1953_112:
	s_or_b64 exec, exec, s[56:57]
	s_and_b64 s[6:7], s[60:61], exec
	s_and_b64 s[4:5], s[58:59], exec
	s_waitcnt lgkmcnt(0)
	v_mov_b32_e32 v109, v45
	v_mov_b32_e32 v110, v44
.LBB1953_113:
	s_or_b64 exec, exec, s[46:47]
	s_and_b64 s[6:7], s[6:7], exec
	s_and_b64 s[4:5], s[4:5], exec
.LBB1953_114:
	s_or_b64 exec, exec, s[44:45]
	s_and_b64 s[6:7], s[6:7], exec
	s_and_b64 s[4:5], s[4:5], exec
	v_mov_b32_e32 v111, v81
	s_waitcnt lgkmcnt(0)
	v_mov_b32_e32 v112, v41
	v_mov_b32_e32 v113, v40
.LBB1953_115:
	s_or_b64 exec, exec, s[42:43]
	s_and_b64 s[6:7], s[6:7], exec
	s_and_b64 s[4:5], s[4:5], exec
.LBB1953_116:
	s_or_b64 exec, exec, s[40:41]
	s_and_b64 s[42:43], s[6:7], exec
	s_and_b64 s[40:41], s[4:5], exec
	s_waitcnt lgkmcnt(0)
	v_mov_b32_e32 v114, v33
	v_mov_b32_e32 v115, v32
.LBB1953_117:
	s_or_b64 exec, exec, s[38:39]
	s_and_b64 s[6:7], s[42:43], exec
	s_and_b64 s[4:5], s[40:41], exec
.LBB1953_118:
	s_or_b64 exec, exec, s[36:37]
	s_and_b64 s[6:7], s[6:7], exec
	s_and_b64 s[4:5], s[4:5], exec
	s_waitcnt lgkmcnt(0)
	v_mov_b32_e32 v117, v25
	v_mov_b32_e32 v118, v24
.LBB1953_119:
	s_or_b64 exec, exec, s[34:35]
	s_and_b64 s[6:7], s[6:7], exec
	s_and_b64 s[4:5], s[4:5], exec
	v_mov_b32_e32 v116, v80
.LBB1953_120:
	s_or_b64 exec, exec, s[30:31]
	s_and_b64 s[6:7], s[6:7], exec
	s_and_b64 s[4:5], s[4:5], exec
	s_waitcnt lgkmcnt(0)
	v_mov_b32_e32 v119, v21
	v_mov_b32_e32 v120, v20
.LBB1953_121:
	s_or_b64 exec, exec, s[28:29]
	s_and_b64 s[30:31], s[6:7], exec
	s_and_b64 s[28:29], s[4:5], exec
.LBB1953_122:
	s_or_b64 exec, exec, s[26:27]
	s_and_b64 s[6:7], s[30:31], exec
	s_and_b64 s[4:5], s[28:29], exec
	s_waitcnt lgkmcnt(0)
	v_mov_b32_e32 v121, v17
	v_mov_b32_e32 v122, v16
.LBB1953_123:
	s_or_b64 exec, exec, s[24:25]
	s_and_b64 s[6:7], s[6:7], exec
	s_and_b64 s[4:5], s[4:5], exec
.LBB1953_124:
	s_or_b64 exec, exec, s[22:23]
	s_and_b64 s[6:7], s[6:7], exec
	s_and_b64 s[4:5], s[4:5], exec
	v_mov_b32_e32 v123, v1
	s_waitcnt lgkmcnt(0)
	v_mov_b32_e32 v124, v13
	v_mov_b32_e32 v125, v12
.LBB1953_125:
	s_or_b64 exec, exec, s[20:21]
	s_and_b64 s[6:7], s[6:7], exec
	s_and_b64 s[4:5], s[4:5], exec
.LBB1953_126:
	s_or_b64 exec, exec, s[18:19]
	s_and_b64 s[20:21], s[6:7], exec
	s_and_b64 s[18:19], s[4:5], exec
	s_waitcnt lgkmcnt(0)
	v_mov_b32_e32 v126, v9
	v_mov_b32_e32 v127, v8
.LBB1953_127:
	s_or_b64 exec, exec, s[16:17]
	s_and_b64 s[4:5], s[20:21], exec
	s_and_b64 s[6:7], s[18:19], exec
.LBB1953_128:
	s_or_b64 exec, exec, s[14:15]
	s_and_b64 s[4:5], s[4:5], exec
	s_and_b64 s[6:7], s[6:7], exec
.LBB1953_129:
	s_or_b64 exec, exec, s[12:13]
	s_mov_b32 s8, 0
	s_and_b64 vcc, exec, s[10:11]
	s_cbranch_vccnz .LBB1953_131
	s_branch .LBB1953_139
.LBB1953_130:
                                        ; kill: def $vgpr2_vgpr3 killed $sgpr0_sgpr1 killed $exec
                                        ; implicit-def: $sgpr4_sgpr5
                                        ; implicit-def: $vgpr1
                                        ; implicit-def: $vgpr80
                                        ; implicit-def: $vgpr81
                                        ; implicit-def: $vgpr82
                                        ; implicit-def: $vgpr28_vgpr29
                                        ; implicit-def: $vgpr37
                                        ; implicit-def: $vgpr51
                                        ; implicit-def: $vgpr105
                                        ; implicit-def: $vgpr55
                                        ; implicit-def: $vgpr59
                                        ; implicit-def: $vgpr63
                                        ; implicit-def: $vgpr107
                                        ; implicit-def: $vgpr67
                                        ; implicit-def: $vgpr71
                                        ; implicit-def: $vgpr106
                                        ; implicit-def: $vgpr75
                                        ; implicit-def: $vgpr79
                                        ; implicit-def: $vgpr5
                                        ; implicit-def: $vgpr104
                                        ; implicit-def: $vgpr123
                                        ; implicit-def: $vgpr116
                                        ; implicit-def: $vgpr111
                                        ; implicit-def: $vgpr108
                                        ; implicit-def: $sgpr8
                                        ; implicit-def: $sgpr3
                                        ; implicit-def: $vgpr47
                                        ; implicit-def: $vgpr109
                                        ; implicit-def: $vgpr110
                                        ; implicit-def: $vgpr43
                                        ; implicit-def: $vgpr112
                                        ; implicit-def: $vgpr113
                                        ; implicit-def: $vgpr39
                                        ; implicit-def: $vgpr114
                                        ; implicit-def: $vgpr115
                                        ; implicit-def: $vgpr31
                                        ; implicit-def: $vgpr117
                                        ; implicit-def: $vgpr118
                                        ; implicit-def: $vgpr23
                                        ; implicit-def: $vgpr119
                                        ; implicit-def: $vgpr120
                                        ; implicit-def: $vgpr19
                                        ; implicit-def: $vgpr121
                                        ; implicit-def: $vgpr122
                                        ; implicit-def: $vgpr15
                                        ; implicit-def: $vgpr124
                                        ; implicit-def: $vgpr125
                                        ; implicit-def: $vgpr11
                                        ; implicit-def: $vgpr126
                                        ; implicit-def: $vgpr127
                                        ; implicit-def: $vgpr7
	s_and_b64 vcc, exec, s[10:11]
	s_cbranch_vccz .LBB1953_139
.LBB1953_131:
	s_waitcnt lgkmcnt(0)
	v_mov_b32_e32 v3, 0
	v_lshlrev_b32_e32 v2, 2, v0
	v_lshl_add_u64 v[4:5], s[50:51], 0, v[2:3]
	v_add_co_u32_e32 v6, vcc, 0x1000, v4
	s_movk_i32 s3, 0x50
	s_nop 0
	v_addc_co_u32_e32 v7, vcc, 0, v5, vcc
	flat_load_dword v1, v[4:5]
	flat_load_dword v3, v[4:5] offset:1024
	flat_load_dword v10, v[4:5] offset:2048
	;; [unrolled: 1-line block ×3, first 2 shown]
	flat_load_dword v12, v[6:7]
	flat_load_dword v13, v[6:7] offset:1024
	flat_load_dword v14, v[6:7] offset:2048
	;; [unrolled: 1-line block ×3, first 2 shown]
	v_add_co_u32_e32 v6, vcc, 0x2000, v4
	v_mad_u32_u24 v23, v0, s3, v2
	s_nop 0
	v_addc_co_u32_e32 v7, vcc, 0, v5, vcc
	v_add_co_u32_e32 v8, vcc, 0x3000, v4
	s_cmp_eq_u64 s[54:55], 0
	s_nop 0
	v_addc_co_u32_e32 v9, vcc, 0, v5, vcc
	flat_load_dword v16, v[6:7]
	flat_load_dword v17, v[6:7] offset:1024
	flat_load_dword v18, v[6:7] offset:2048
	;; [unrolled: 1-line block ×3, first 2 shown]
	flat_load_dword v20, v[8:9]
	flat_load_dword v21, v[8:9] offset:1024
	flat_load_dword v22, v[8:9] offset:2048
	;; [unrolled: 1-line block ×3, first 2 shown]
	v_add_co_u32_e32 v6, vcc, 0x4000, v4
	s_nop 1
	v_addc_co_u32_e32 v7, vcc, 0, v5, vcc
	v_add_co_u32_e32 v4, vcc, 0x5000, v4
	s_nop 1
	v_addc_co_u32_e32 v5, vcc, 0, v5, vcc
	flat_load_dword v8, v[6:7]
	flat_load_dword v9, v[6:7] offset:1024
	flat_load_dword v25, v[6:7] offset:2048
	;; [unrolled: 1-line block ×3, first 2 shown]
	flat_load_dword v27, v[4:5]
	s_waitcnt vmcnt(0) lgkmcnt(0)
	ds_write2st64_b32 v2, v1, v3 offset1:4
	ds_write2st64_b32 v2, v10, v11 offset0:8 offset1:12
	ds_write2st64_b32 v2, v12, v13 offset0:16 offset1:20
	;; [unrolled: 1-line block ×9, first 2 shown]
	ds_write_b32 v2, v27 offset:20480
	s_waitcnt lgkmcnt(0)
	s_barrier
	ds_read2_b32 v[10:11], v23 offset0:7 offset1:8
	ds_read2_b32 v[8:9], v23 offset0:5 offset1:6
	;; [unrolled: 1-line block ×3, first 2 shown]
	ds_read2_b32 v[6:7], v23 offset1:1
	ds_read2_b32 v[4:5], v23 offset0:4 offset1:9
	ds_read2_b32 v[16:17], v23 offset0:15 offset1:16
	ds_read_b32 v1, v23 offset:56
	ds_read2_b32 v[14:15], v23 offset0:12 offset1:13
	ds_read2_b32 v[12:13], v23 offset0:10 offset1:11
	;; [unrolled: 1-line block ×4, first 2 shown]
	s_cbranch_scc1 .LBB1953_136
; %bb.132:
	s_andn2_b64 vcc, exec, s[52:53]
	s_cbranch_vccnz .LBB1953_338
; %bb.133:
	s_lshl_b64 s[4:5], s[54:55], 2
	s_add_u32 s3, s94, s4
	s_addc_u32 s5, s95, s5
	s_add_u32 s4, s3, -4
	s_addc_u32 s5, s5, -1
	s_cbranch_execnz .LBB1953_135
.LBB1953_134:
	s_add_u32 s4, s50, -4
	s_addc_u32 s5, s51, -1
.LBB1953_135:
	s_mov_b64 s[50:51], s[4:5]
.LBB1953_136:
	v_mov_b64_e32 v[24:25], s[50:51]
	flat_load_dword v22, v[24:25]
	s_movk_i32 s3, 0xffb0
	v_mad_i32_i24 v23, v0, s3, v23
	v_cmp_ne_u32_e32 vcc, 0, v0
	s_waitcnt lgkmcnt(0)
	ds_write_b32 v23, v21 offset:21504
	s_waitcnt lgkmcnt(0)
	s_barrier
	s_and_saveexec_b64 s[4:5], vcc
	s_cbranch_execz .LBB1953_138
; %bb.137:
	s_waitcnt vmcnt(0)
	ds_read_b32 v22, v23 offset:21500
.LBB1953_138:
	s_or_b64 exec, exec, s[4:5]
	v_lshlrev_b32_e32 v24, 3, v0
	v_mov_b32_e32 v25, 0
	v_lshl_add_u64 v[24:25], s[48:49], 0, v[24:25]
	s_movk_i32 s3, 0x1000
	v_add_co_u32_e32 v26, vcc, s3, v24
	s_movk_i32 s3, 0x2000
	s_nop 0
	v_addc_co_u32_e32 v27, vcc, 0, v25, vcc
	s_waitcnt lgkmcnt(0)
	s_barrier
	flat_load_dwordx2 v[28:29], v[24:25]
	flat_load_dwordx2 v[30:31], v[24:25] offset:2048
	flat_load_dwordx2 v[32:33], v[26:27]
	flat_load_dwordx2 v[34:35], v[26:27] offset:2048
	v_add_co_u32_e32 v26, vcc, s3, v24
	s_movk_i32 s3, 0x3000
	s_nop 0
	v_addc_co_u32_e32 v27, vcc, 0, v25, vcc
	v_add_co_u32_e32 v36, vcc, s3, v24
	s_movk_i32 s3, 0x4000
	s_nop 0
	v_addc_co_u32_e32 v37, vcc, 0, v25, vcc
	flat_load_dwordx2 v[38:39], v[26:27]
	flat_load_dwordx2 v[40:41], v[26:27] offset:2048
	flat_load_dwordx2 v[42:43], v[36:37]
	flat_load_dwordx2 v[44:45], v[36:37] offset:2048
	v_add_co_u32_e32 v26, vcc, s3, v24
	s_movk_i32 s3, 0x5000
	s_nop 0
	v_addc_co_u32_e32 v27, vcc, 0, v25, vcc
	v_add_co_u32_e32 v36, vcc, s3, v24
	s_movk_i32 s3, 0x6000
	s_nop 0
	v_addc_co_u32_e32 v37, vcc, 0, v25, vcc
	flat_load_dwordx2 v[46:47], v[26:27]
	flat_load_dwordx2 v[48:49], v[26:27] offset:2048
	flat_load_dwordx2 v[50:51], v[36:37]
	flat_load_dwordx2 v[52:53], v[36:37] offset:2048
	v_add_co_u32_e32 v26, vcc, s3, v24
	s_movk_i32 s3, 0x7000
	s_nop 0
	v_addc_co_u32_e32 v27, vcc, 0, v25, vcc
	v_add_co_u32_e32 v36, vcc, s3, v24
	s_mov_b32 s3, 0x8000
	s_nop 0
	v_addc_co_u32_e32 v37, vcc, 0, v25, vcc
	flat_load_dwordx2 v[54:55], v[26:27]
	flat_load_dwordx2 v[56:57], v[26:27] offset:2048
	flat_load_dwordx2 v[58:59], v[36:37]
	flat_load_dwordx2 v[60:61], v[36:37] offset:2048
	v_add_co_u32_e32 v26, vcc, s3, v24
	s_mov_b32 s3, 0x9000
	s_nop 0
	v_addc_co_u32_e32 v27, vcc, 0, v25, vcc
	v_add_co_u32_e32 v36, vcc, s3, v24
	s_mov_b32 s3, 0xa000
	s_nop 0
	v_addc_co_u32_e32 v37, vcc, 0, v25, vcc
	flat_load_dwordx2 v[62:63], v[26:27]
	flat_load_dwordx2 v[64:65], v[26:27] offset:2048
	flat_load_dwordx2 v[66:67], v[36:37]
	flat_load_dwordx2 v[68:69], v[36:37] offset:2048
	v_add_co_u32_e32 v24, vcc, s3, v24
	v_cmp_ne_u32_e64 s[4:5], v20, v21
	s_nop 0
	v_addc_co_u32_e32 v25, vcc, 0, v25, vcc
	flat_load_dwordx2 v[24:25], v[24:25]
	v_cmp_ne_u32_e32 vcc, v17, v18
	s_movk_i32 s3, 0xa0
	s_mov_b64 s[6:7], -1
	v_cndmask_b32_e64 v21, 0, 1, vcc
	v_cmp_ne_u32_e32 vcc, v16, v17
	v_lshlrev_b16_e32 v21, 8, v21
                                        ; implicit-def: $vgpr123
                                        ; implicit-def: $vgpr116
                                        ; implicit-def: $vgpr111
                                        ; implicit-def: $vgpr108
                                        ; implicit-def: $sgpr8
                                        ; implicit-def: $vgpr109
                                        ; implicit-def: $vgpr110
                                        ; implicit-def: $vgpr112
                                        ; implicit-def: $vgpr113
                                        ; implicit-def: $vgpr114
                                        ; implicit-def: $vgpr115
                                        ; implicit-def: $vgpr117
                                        ; implicit-def: $vgpr118
                                        ; implicit-def: $vgpr119
                                        ; implicit-def: $vgpr120
                                        ; implicit-def: $vgpr121
                                        ; implicit-def: $vgpr122
                                        ; implicit-def: $vgpr124
                                        ; implicit-def: $vgpr125
                                        ; implicit-def: $vgpr126
                                        ; implicit-def: $vgpr127
	s_nop 0
	v_cndmask_b32_e64 v17, 0, 1, vcc
	v_cmp_ne_u32_e32 vcc, v19, v20
	v_or_b32_e32 v17, v17, v21
	s_nop 0
	v_cndmask_b32_e64 v20, 0, 1, vcc
	v_cmp_ne_u32_e32 vcc, v18, v19
	v_lshlrev_b16_e32 v20, 8, v20
                                        ; implicit-def: $vgpr19
	s_nop 0
	v_cndmask_b32_e64 v18, 0, 1, vcc
	v_cmp_ne_u32_e32 vcc, v1, v16
	v_or_b32_sdwa v18, v18, v20 dst_sel:WORD_1 dst_unused:UNUSED_PAD src0_sel:DWORD src1_sel:DWORD
	s_nop 0
	v_cndmask_b32_e64 v105, 0, 1, vcc
	v_cmp_ne_u32_e32 vcc, v13, v14
	v_or_b32_sdwa v82, v17, v18 dst_sel:DWORD dst_unused:UNUSED_PAD src0_sel:WORD_0 src1_sel:DWORD
	s_nop 0
	v_cndmask_b32_e64 v16, 0, 1, vcc
	v_cmp_ne_u32_e32 vcc, v12, v13
	v_lshlrev_b16_e32 v16, 8, v16
	s_nop 0
	v_cndmask_b32_e64 v13, 0, 1, vcc
	v_cmp_ne_u32_e32 vcc, v15, v1
	v_or_b32_e32 v13, v13, v16
	s_nop 0
	v_cndmask_b32_e64 v1, 0, 1, vcc
	v_cmp_ne_u32_e32 vcc, v14, v15
	v_lshlrev_b16_e32 v1, 8, v1
                                        ; implicit-def: $vgpr15
	s_nop 0
	v_cndmask_b32_e64 v14, 0, 1, vcc
	v_cmp_ne_u32_e32 vcc, v5, v12
	v_or_b32_sdwa v1, v14, v1 dst_sel:WORD_1 dst_unused:UNUSED_PAD src0_sel:DWORD src1_sel:DWORD
	s_nop 0
	v_cndmask_b32_e64 v107, 0, 1, vcc
	v_cmp_ne_u32_e32 vcc, v9, v10
	v_or_b32_sdwa v81, v13, v1 dst_sel:DWORD dst_unused:UNUSED_PAD src0_sel:WORD_0 src1_sel:DWORD
	s_nop 0
	v_cndmask_b32_e64 v1, 0, 1, vcc
	v_cmp_ne_u32_e32 vcc, v8, v9
	v_lshlrev_b16_e32 v1, 8, v1
	s_nop 0
	v_cndmask_b32_e64 v9, 0, 1, vcc
	v_cmp_ne_u32_e32 vcc, v11, v5
	v_or_b32_e32 v1, v9, v1
	s_nop 0
	v_cndmask_b32_e64 v5, 0, 1, vcc
	v_cmp_ne_u32_e32 vcc, v10, v11
	v_lshlrev_b16_e32 v5, 8, v5
                                        ; implicit-def: $vgpr11
	s_nop 0
	v_cndmask_b32_e64 v9, 0, 1, vcc
	v_cmp_ne_u32_e32 vcc, v4, v8
	v_or_b32_sdwa v5, v9, v5 dst_sel:WORD_1 dst_unused:UNUSED_PAD src0_sel:DWORD src1_sel:DWORD
	s_nop 0
	v_cndmask_b32_e64 v106, 0, 1, vcc
	v_cmp_ne_u32_e32 vcc, v7, v2
	v_or_b32_sdwa v80, v1, v5 dst_sel:DWORD dst_unused:UNUSED_PAD src0_sel:WORD_0 src1_sel:DWORD
	s_nop 0
	v_cndmask_b32_e64 v1, 0, 1, vcc
	v_cmp_ne_u32_e32 vcc, v6, v7
	v_lshlrev_b16_e32 v1, 8, v1
	s_nop 0
	v_cndmask_b32_e64 v5, 0, 1, vcc
	v_cmp_ne_u32_e32 vcc, v3, v4
	v_or_b32_e32 v1, v5, v1
	s_nop 0
	v_cndmask_b32_e64 v4, 0, 1, vcc
	v_cmp_ne_u32_e32 vcc, v2, v3
	v_lshlrev_b16_e32 v4, 8, v4
	s_nop 0
	v_cndmask_b32_e64 v2, 0, 1, vcc
	v_or_b32_sdwa v2, v2, v4 dst_sel:WORD_1 dst_unused:UNUSED_PAD src0_sel:DWORD src1_sel:DWORD
	s_waitcnt vmcnt(0)
	v_cmp_ne_u32_e32 vcc, v22, v6
	v_or_b32_sdwa v1, v1, v2 dst_sel:DWORD dst_unused:UNUSED_PAD src0_sel:WORD_0 src1_sel:DWORD
	v_lshl_add_u32 v2, v0, 2, v23
	v_mad_u32_u24 v7, v0, s3, v2
	s_waitcnt lgkmcnt(0)
	ds_write2st64_b64 v2, v[28:29], v[30:31] offset1:4
	ds_write2st64_b64 v2, v[32:33], v[34:35] offset0:8 offset1:12
	ds_write2st64_b64 v2, v[38:39], v[40:41] offset0:16 offset1:20
	;; [unrolled: 1-line block ×9, first 2 shown]
	ds_write_b64 v2, v[24:25] offset:40960
	s_waitcnt lgkmcnt(0)
	s_barrier
	ds_read2_b64 v[2:5], v7 offset1:1
	ds_read2_b64 v[76:79], v7 offset0:2 offset1:3
	ds_read2_b64 v[72:75], v7 offset0:4 offset1:5
	;; [unrolled: 1-line block ×9, first 2 shown]
	ds_read_b64 v[28:29], v7 offset:160
	v_cndmask_b32_e64 v104, 0, 1, vcc
                                        ; kill: def $vgpr6 killed $sgpr0 killed $exec
                                        ; implicit-def: $sgpr3
                                        ; implicit-def: $vgpr47
                                        ; implicit-def: $vgpr43
                                        ; implicit-def: $vgpr39
                                        ; implicit-def: $vgpr31
                                        ; implicit-def: $vgpr23
                                        ; implicit-def: $vgpr7
.LBB1953_139:
	v_mov_b32_e32 v33, s3
	v_mov_b32_e32 v40, s3
	;; [unrolled: 1-line block ×3, first 2 shown]
	s_and_saveexec_b64 s[8:9], s[6:7]
	s_cbranch_execz .LBB1953_141
; %bb.140:
	v_cndmask_b32_e64 v41, 0, 1, s[4:5]
	s_waitcnt lgkmcnt(0)
	v_mov_b32_e32 v6, v4
	v_mov_b32_e32 v7, v5
	;; [unrolled: 1-line block ×42, first 2 shown]
.LBB1953_141:
	s_or_b64 exec, exec, s[8:9]
	v_and_b32_e32 v128, 1, v106
	v_and_b32_e32 v129, 1, v107
	;; [unrolled: 1-line block ×4, first 2 shown]
	s_cmp_lg_u32 s2, 0
	v_lshrrev_b32_e32 v135, 8, v123
	v_lshrrev_b32_e32 v134, 8, v116
	;; [unrolled: 1-line block ×4, first 2 shown]
	v_cmp_eq_u32_e32 vcc, 1, v128
	v_cmp_eq_u32_e64 s[44:45], 1, v129
	v_cmp_eq_u32_e64 s[46:47], 1, v130
	;; [unrolled: 1-line block ×3, first 2 shown]
	s_waitcnt lgkmcnt(1)
	v_mbcnt_lo_u32_b32 v37, -1, 0
	s_waitcnt lgkmcnt(0)
	s_barrier
	s_cbranch_scc0 .LBB1953_212
; %bb.142:
	v_mov_b32_e32 v1, 0
	v_cmp_eq_u16_sdwa s[50:51], v123, v1 src0_sel:BYTE_0 src1_sel:DWORD
	s_movk_i32 s3, 0xff
	v_cmp_eq_u16_sdwa s[4:5], v135, v1 src0_sel:BYTE_0 src1_sel:DWORD
	v_cndmask_b32_e64 v4, 0, v2, s[50:51]
	v_add_u32_e32 v4, v4, v6
	v_cndmask_b32_e64 v5, 0, v3, s[50:51]
	v_add_u32_e32 v5, v5, v7
	v_cndmask_b32_e64 v4, 0, v4, s[4:5]
	v_and_b32_sdwa v8, v123, s3 dst_sel:DWORD dst_unused:UNUSED_PAD src0_sel:WORD_1 src1_sel:DWORD
	v_add_u32_e32 v4, v4, v127
	v_cndmask_b32_e64 v5, 0, v5, s[4:5]
	v_cmp_eq_u16_e64 s[6:7], 0, v8
	v_add_u32_e32 v5, v5, v126
	v_cmp_eq_u16_sdwa s[8:9], v123, v1 src0_sel:BYTE_3 src1_sel:DWORD
	v_cndmask_b32_e64 v4, 0, v4, s[6:7]
	v_add_u32_e32 v4, v4, v10
	v_cndmask_b32_e64 v5, 0, v5, s[6:7]
	v_add_u32_e32 v5, v5, v11
	v_cndmask_b32_e64 v4, 0, v4, s[8:9]
	v_add_u32_e32 v4, v4, v125
	v_cndmask_b32_e64 v5, 0, v5, s[8:9]
	v_cmp_eq_u16_sdwa s[10:11], v106, v1 src0_sel:BYTE_0 src1_sel:DWORD
	v_add_u32_e32 v5, v5, v124
	v_cmp_eq_u16_sdwa s[12:13], v116, v1 src0_sel:BYTE_0 src1_sel:DWORD
	v_cndmask_b32_e64 v4, 0, v4, s[10:11]
	v_add_u32_e32 v4, v4, v14
	v_cndmask_b32_e64 v5, 0, v5, s[10:11]
	v_add_u32_e32 v5, v5, v15
	v_cndmask_b32_e64 v4, 0, v4, s[12:13]
	v_add_u32_e32 v4, v4, v122
	v_cndmask_b32_e64 v5, 0, v5, s[12:13]
	v_cmp_eq_u16_sdwa s[14:15], v134, v1 src0_sel:BYTE_0 src1_sel:DWORD
	v_add_u32_e32 v5, v5, v121
	v_and_b32_sdwa v8, v116, s3 dst_sel:DWORD dst_unused:UNUSED_PAD src0_sel:WORD_1 src1_sel:DWORD
	v_cndmask_b32_e64 v4, 0, v4, s[14:15]
	v_add_u32_e32 v4, v4, v18
	v_cndmask_b32_e64 v5, 0, v5, s[14:15]
	v_cmp_eq_u16_e64 s[16:17], 0, v8
	v_add_u32_e32 v5, v5, v19
	v_cmp_eq_u16_sdwa s[18:19], v116, v1 src0_sel:BYTE_3 src1_sel:DWORD
	v_cndmask_b32_e64 v4, 0, v4, s[16:17]
	v_add_u32_e32 v4, v4, v120
	v_cndmask_b32_e64 v5, 0, v5, s[16:17]
	v_add_u32_e32 v5, v5, v119
	v_cndmask_b32_e64 v4, 0, v4, s[18:19]
	v_add_u32_e32 v4, v4, v22
	v_cndmask_b32_e64 v5, 0, v5, s[18:19]
	v_cmp_eq_u16_sdwa s[20:21], v107, v1 src0_sel:BYTE_0 src1_sel:DWORD
	v_add_u32_e32 v5, v5, v23
	v_cmp_eq_u16_sdwa s[22:23], v111, v1 src0_sel:BYTE_0 src1_sel:DWORD
	v_cndmask_b32_e64 v4, 0, v4, s[20:21]
	v_add_u32_e32 v4, v4, v118
	v_cndmask_b32_e64 v5, 0, v5, s[20:21]
	v_add_u32_e32 v5, v5, v117
	v_cndmask_b32_e64 v4, 0, v4, s[22:23]
	v_add_u32_e32 v4, v4, v30
	v_cndmask_b32_e64 v5, 0, v5, s[22:23]
	v_cmp_eq_u16_sdwa s[24:25], v133, v1 src0_sel:BYTE_0 src1_sel:DWORD
	v_add_u32_e32 v5, v5, v31
	v_and_b32_sdwa v8, v111, s3 dst_sel:DWORD dst_unused:UNUSED_PAD src0_sel:WORD_1 src1_sel:DWORD
	v_cndmask_b32_e64 v4, 0, v4, s[24:25]
	;; [unrolled: 26-line block ×3, first 2 shown]
	v_add_u32_e32 v4, v4, v46
	v_cndmask_b32_e64 v5, 0, v5, s[36:37]
	v_cmp_eq_u16_e64 s[38:39], 0, v8
	v_add_u32_e32 v5, v5, v47
	v_cmp_eq_u16_sdwa s[40:41], v108, v1 src0_sel:BYTE_3 src1_sel:DWORD
	v_cndmask_b32_e64 v4, 0, v4, s[38:39]
	v_add_u32_e32 v4, v4, v34
	v_cndmask_b32_e64 v5, 0, v5, s[38:39]
	v_add_u32_e32 v5, v5, v35
	v_cndmask_b32_e64 v4, 0, v4, s[40:41]
	v_add_u32_e32 v4, v4, v26
	v_cndmask_b32_e64 v5, 0, v5, s[40:41]
	v_cmp_eq_u16_sdwa s[42:43], v41, v1 src0_sel:BYTE_0 src1_sel:DWORD
	v_add_u32_e32 v5, v5, v27
	v_mbcnt_hi_u32_b32 v13, -1, v37
	v_cndmask_b32_e64 v1, 0, v4, s[42:43]
	v_add_u32_e32 v8, v1, v33
	v_cndmask_b32_e64 v1, 0, v5, s[42:43]
	v_and_b32_e32 v5, 1, v123
	v_cmp_eq_u32_e64 s[54:55], 1, v5
	v_and_b32_e32 v5, 0x100, v123
	v_cmp_ne_u32_e64 s[56:57], 0, v5
	v_and_b32_e32 v5, 0x10000, v123
	v_cmp_ne_u32_e64 s[58:59], 0, v5
	v_and_b32_e32 v5, 0x1000000, v123
	v_cmp_ne_u32_e64 s[60:61], 0, v5
	v_and_b32_e32 v5, 1, v116
	v_cmp_eq_u32_e64 s[62:63], 1, v5
	v_and_b32_e32 v5, 0x100, v116
	v_cmp_ne_u32_e64 s[64:65], 0, v5
	v_and_b32_e32 v5, 0x10000, v116
	v_cmp_ne_u32_e64 s[66:67], 0, v5
	v_and_b32_e32 v5, 0x1000000, v116
	v_cmp_ne_u32_e64 s[68:69], 0, v5
	v_and_b32_e32 v5, 1, v111
	v_cmp_eq_u32_e64 s[70:71], 1, v5
	v_and_b32_e32 v5, 0x100, v111
	v_cmp_ne_u32_e64 s[72:73], 0, v5
	v_and_b32_e32 v5, 0x10000, v111
	v_cmp_ne_u32_e64 s[74:75], 0, v5
	v_and_b32_e32 v5, 0x1000000, v111
	v_cmp_ne_u32_e64 s[76:77], 0, v5
	v_and_b32_e32 v5, 1, v108
	v_and_b32_e32 v4, 0x1000000, v108
	v_cmp_eq_u32_e64 s[78:79], 1, v5
	v_and_b32_e32 v5, 0x100, v108
	v_cmp_ne_u32_e64 s[52:53], 0, v4
	v_cmp_ne_u32_e64 s[80:81], 0, v5
	v_and_b32_e32 v5, 0x10000, v108
	v_cmp_ne_u32_e64 s[82:83], 0, v5
	s_or_b64 s[48:49], s[48:49], s[52:53]
	s_or_b64 s[48:49], s[48:49], s[82:83]
	;; [unrolled: 1-line block ×14, first 2 shown]
	s_or_b64 s[44:45], s[44:45], vcc
	s_or_b64 s[44:45], s[44:45], s[60:61]
	s_or_b64 s[44:45], s[44:45], s[58:59]
	;; [unrolled: 1-line block ×3, first 2 shown]
	v_and_b32_e32 v4, 0xff, v104
	s_or_b64 s[44:45], s[44:45], s[54:55]
	v_add_u32_e32 v1, v1, v40
	v_cndmask_b32_e64 v9, v4, 1, s[44:45]
	v_and_b32_e32 v4, 15, v13
	v_mov_b32_dpp v5, v8 row_shr:1 row_mask:0xf bank_mask:0xf
	v_mov_b32_dpp v12, v1 row_shr:1 row_mask:0xf bank_mask:0xf
	v_mov_b32_dpp v16, v9 row_shr:1 row_mask:0xf bank_mask:0xf
	v_cmp_ne_u32_e32 vcc, 0, v4
	s_and_saveexec_b64 s[44:45], vcc
; %bb.143:
	v_cmp_eq_u32_e32 vcc, 0, v9
	v_and_or_b32 v9, v16, 1, v9
	s_nop 0
	v_cndmask_b32_e32 v5, 0, v5, vcc
	v_add_u32_e32 v8, v5, v8
	v_cndmask_b32_e32 v5, 0, v12, vcc
	v_add_u32_e32 v1, v5, v1
; %bb.144:
	s_or_b64 exec, exec, s[44:45]
	v_mov_b32_dpp v12, v8 row_shr:2 row_mask:0xf bank_mask:0xf
	v_mov_b32_dpp v16, v1 row_shr:2 row_mask:0xf bank_mask:0xf
	;; [unrolled: 1-line block ×3, first 2 shown]
	v_cmp_lt_u32_e32 vcc, 1, v4
	s_and_saveexec_b64 s[44:45], vcc
; %bb.145:
	v_add_u32_e32 v12, v12, v8
	v_add_u32_e32 v16, v16, v1
	v_cmp_eq_u32_e32 vcc, 0, v9
	v_or_b32_e32 v5, v5, v9
	v_and_b32_e32 v9, 1, v5
	v_cndmask_b32_e32 v8, v8, v12, vcc
	v_cndmask_b32_e32 v1, v1, v16, vcc
; %bb.146:
	s_or_b64 exec, exec, s[44:45]
	v_mov_b32_dpp v12, v8 row_shr:4 row_mask:0xf bank_mask:0xf
	v_mov_b32_dpp v16, v1 row_shr:4 row_mask:0xf bank_mask:0xf
	;; [unrolled: 1-line block ×3, first 2 shown]
	v_cmp_lt_u32_e32 vcc, 3, v4
	s_and_saveexec_b64 s[44:45], vcc
; %bb.147:
	v_add_u32_e32 v12, v12, v8
	v_add_u32_e32 v16, v16, v1
	v_cmp_eq_u32_e32 vcc, 0, v9
	v_or_b32_e32 v5, v5, v9
	v_and_b32_e32 v9, 1, v5
	v_cndmask_b32_e32 v8, v8, v12, vcc
	v_cndmask_b32_e32 v1, v1, v16, vcc
; %bb.148:
	s_or_b64 exec, exec, s[44:45]
	v_mov_b32_dpp v12, v8 row_shr:8 row_mask:0xf bank_mask:0xf
	v_mov_b32_dpp v16, v1 row_shr:8 row_mask:0xf bank_mask:0xf
	;; [unrolled: 1-line block ×3, first 2 shown]
	v_cmp_lt_u32_e32 vcc, 7, v4
	s_and_saveexec_b64 s[44:45], vcc
; %bb.149:
	v_add_u32_e32 v4, v12, v8
	v_cmp_eq_u32_e32 vcc, 0, v9
	v_add_u32_e32 v12, v16, v1
	s_nop 0
	v_cndmask_b32_e32 v8, v8, v4, vcc
	v_or_b32_e32 v4, v5, v9
	v_cndmask_b32_e32 v1, v1, v12, vcc
	v_and_b32_e32 v9, 1, v4
; %bb.150:
	s_or_b64 exec, exec, s[44:45]
	v_and_b32_e32 v16, 16, v13
	v_mov_b32_dpp v5, v8 row_bcast:15 row_mask:0xf bank_mask:0xf
	v_mov_b32_dpp v12, v1 row_bcast:15 row_mask:0xf bank_mask:0xf
	;; [unrolled: 1-line block ×3, first 2 shown]
	v_cmp_ne_u32_e32 vcc, 0, v16
	s_and_saveexec_b64 s[44:45], vcc
; %bb.151:
	v_add_u32_e32 v5, v5, v8
	v_add_u32_e32 v12, v12, v1
	v_cmp_eq_u32_e32 vcc, 0, v9
	v_or_b32_e32 v4, v4, v9
	v_and_b32_e32 v9, 1, v4
	v_cndmask_b32_e32 v8, v8, v5, vcc
	v_cndmask_b32_e32 v1, v1, v12, vcc
; %bb.152:
	s_or_b64 exec, exec, s[44:45]
	v_mov_b32_dpp v12, v8 row_bcast:31 row_mask:0xf bank_mask:0xf
	v_mov_b32_dpp v16, v1 row_bcast:31 row_mask:0xf bank_mask:0xf
	;; [unrolled: 1-line block ×3, first 2 shown]
	v_cmp_lt_u32_e32 vcc, 31, v13
	v_mov_b32_e32 v4, v9
	s_and_saveexec_b64 s[44:45], vcc
; %bb.153:
	v_add_u32_e32 v4, v12, v8
	v_add_u32_e32 v12, v16, v1
	v_cmp_eq_u32_e32 vcc, 0, v9
	v_or_b32_e32 v5, v5, v9
	v_and_b32_e32 v9, 1, v5
	v_cndmask_b32_e32 v8, v8, v4, vcc
	v_cndmask_b32_e32 v1, v1, v12, vcc
	v_and_b32_e32 v4, 1, v5
; %bb.154:
	s_or_b64 exec, exec, s[44:45]
	v_or_b32_e32 v5, 63, v0
	v_lshrrev_b32_e32 v12, 6, v0
	v_cmp_eq_u32_e32 vcc, v5, v0
	s_and_saveexec_b64 s[44:45], vcc
	s_cbranch_execz .LBB1953_156
; %bb.155:
	v_mul_u32_u24_e32 v5, 12, v12
	ds_write2_b32 v5, v8, v1 offset1:1
	ds_write_b8 v5, v4 offset:8
.LBB1953_156:
	s_or_b64 exec, exec, s[44:45]
	v_cmp_gt_u32_e32 vcc, 4, v0
	s_waitcnt lgkmcnt(0)
	s_barrier
	s_and_saveexec_b64 s[44:45], vcc
	s_cbranch_execz .LBB1953_162
; %bb.157:
	v_mul_u32_u24_e32 v16, 12, v0
	ds_read2_b32 v[4:5], v16 offset1:1
	ds_read_b32 v17, v16 offset:8
	v_and_b32_e32 v20, 3, v13
	v_cmp_ne_u32_e32 vcc, 0, v20
	s_waitcnt lgkmcnt(1)
	v_mov_b32_dpp v28, v4 row_shr:1 row_mask:0xf bank_mask:0xf
	v_mov_b32_dpp v24, v5 row_shr:1 row_mask:0xf bank_mask:0xf
	s_waitcnt lgkmcnt(0)
	v_mov_b32_dpp v25, v17 row_shr:1 row_mask:0xf bank_mask:0xf
	v_mov_b32_e32 v21, v17
	s_and_saveexec_b64 s[46:47], vcc
; %bb.158:
	v_mov_b32_e32 v21, 0
	v_cmp_eq_u16_sdwa vcc, v17, v21 src0_sel:BYTE_0 src1_sel:DWORD
	s_movk_i32 s3, 0xff00
	s_nop 0
	v_cndmask_b32_e32 v21, 0, v28, vcc
	v_add_u32_e32 v4, v21, v4
	v_cndmask_b32_e32 v21, 0, v24, vcc
	v_add_u32_e32 v5, v21, v5
	v_or_b32_e32 v21, v25, v17
	v_and_b32_e32 v21, 1, v21
	v_and_or_b32 v17, v17, s3, v21
; %bb.159:
	s_or_b64 exec, exec, s[46:47]
	v_mov_b32_dpp v25, v4 row_shr:2 row_mask:0xf bank_mask:0xf
	v_mov_b32_dpp v28, v5 row_shr:2 row_mask:0xf bank_mask:0xf
	;; [unrolled: 1-line block ×3, first 2 shown]
	v_cmp_lt_u32_e32 vcc, 1, v20
	s_and_saveexec_b64 s[46:47], vcc
; %bb.160:
	v_mov_b32_e32 v17, 0
	v_add_u32_e32 v20, v25, v4
	v_add_u32_e32 v25, v28, v5
	v_cmp_eq_u16_sdwa vcc, v21, v17 src0_sel:BYTE_0 src1_sel:DWORD
	v_or_b32_e32 v17, v24, v21
	v_and_b32_e32 v17, 1, v17
	v_cndmask_b32_e32 v4, v4, v20, vcc
	v_cndmask_b32_e32 v5, v5, v25, vcc
; %bb.161:
	s_or_b64 exec, exec, s[46:47]
	ds_write2_b32 v16, v4, v5 offset1:1
	ds_write_b8 v16, v17 offset:8
.LBB1953_162:
	s_or_b64 exec, exec, s[44:45]
	v_cmp_gt_u32_e32 vcc, 64, v0
	v_cmp_lt_u32_e64 s[44:45], 63, v0
	s_waitcnt lgkmcnt(0)
	s_barrier
	s_waitcnt lgkmcnt(0)
                                        ; implicit-def: $vgpr4_vgpr5
                                        ; implicit-def: $vgpr44
	s_and_saveexec_b64 s[46:47], s[44:45]
	s_xor_b64 s[46:47], exec, s[46:47]
	s_cbranch_execz .LBB1953_166
; %bb.163:
	v_mad_u32_u24 v12, v12, 12, -12
	ds_read2_b32 v[4:5], v12 offset1:1
	ds_read_u8 v44, v12 offset:8
	v_cmp_ne_u32_e64 s[44:45], 0, v9
                                        ; kill: def $vgpr12 killed $sgpr0 killed $exec
	s_and_saveexec_b64 s[48:49], s[44:45]
	s_xor_b64 s[44:45], exec, s[48:49]
	s_andn2_saveexec_b64 s[44:45], s[44:45]
	s_cbranch_execz .LBB1953_165
; %bb.164:
	s_waitcnt lgkmcnt(1)
	v_add_u32_e32 v8, v4, v8
	v_add_u32_e32 v1, v5, v1
.LBB1953_165:
	s_or_b64 exec, exec, s[44:45]
	v_and_b32_e32 v9, 1, v9
	s_waitcnt lgkmcnt(0)
	v_and_b32_e32 v12, 0xff, v44
	v_cmp_eq_u32_e64 s[44:45], 1, v9
	s_nop 1
	v_cndmask_b32_e64 v9, v12, 1, s[44:45]
.LBB1953_166:
	s_andn2_saveexec_b64 s[44:45], s[46:47]
; %bb.167:
	v_mov_b32_e32 v44, 0
	v_mov_b64_e32 v[4:5], 0
; %bb.168:
	s_or_b64 exec, exec, s[44:45]
	v_add_u32_e32 v12, -1, v13
	v_and_b32_e32 v16, 64, v13
	v_cmp_lt_i32_e64 s[44:45], v12, v16
	s_nop 1
	v_cndmask_b32_e64 v12, v12, v13, s[44:45]
	v_lshlrev_b32_e32 v12, 2, v12
	ds_bpermute_b32 v45, v12, v8
	ds_bpermute_b32 v53, v12, v1
	ds_bpermute_b32 v52, v12, v9
	v_cmp_eq_u32_e64 s[44:45], 0, v13
	s_and_saveexec_b64 s[48:49], vcc
	s_cbranch_execz .LBB1953_209
; %bb.169:
	v_mov_b32_e32 v17, 0
	ds_read2_b32 v[8:9], v17 offset0:9 offset1:10
	ds_read_b32 v54, v17 offset:44
	s_waitcnt lgkmcnt(1)
	v_readfirstlane_b32 s3, v9
	s_and_saveexec_b64 s[46:47], s[44:45]
	s_cbranch_execz .LBB1953_171
; %bb.170:
	s_add_i32 s52, s2, 64
	s_mov_b32 s53, 0
	s_lshl_b64 s[54:55], s[52:53], 4
	s_add_u32 s54, s96, s54
	s_waitcnt lgkmcnt(0)
	v_and_b32_e32 v12, 0xff00, v54
	s_addc_u32 s55, s97, s55
	v_and_b32_e32 v9, 0xff0000, v54
	v_or_b32_sdwa v12, v12, v54 dst_sel:DWORD dst_unused:UNUSED_PAD src0_sel:DWORD src1_sel:BYTE_0
	s_and_b32 s57, s3, 0xff000000
	s_mov_b32 s56, s53
	s_and_b32 s59, s3, 0xff0000
	s_mov_b32 s58, s53
	v_and_b32_e32 v1, 0xff000000, v54
	v_or_b32_e32 v9, v12, v9
	s_and_b32 s61, s3, 0xff00
	s_mov_b32 s60, s53
	s_and_b32 s62, s3, 0xff
	s_or_b64 s[52:53], s[56:57], s[58:59]
	v_or_b32_e32 v50, v9, v1
	s_or_b64 s[52:53], s[52:53], s[60:61]
	v_mov_b32_e32 v1, s62
	v_or_b32_e32 v48, s52, v8
	v_or_b32_e32 v49, s53, v1
	v_mov_b32_e32 v51, 1
	v_mov_b64_e32 v[20:21], s[54:55]
	;;#ASMSTART
	global_store_dwordx4 v[20:21], v[48:51] off sc1	
s_waitcnt vmcnt(0)
	;;#ASMEND
.LBB1953_171:
	s_or_b64 exec, exec, s[46:47]
	v_xad_u32 v12, v13, -1, s2
	v_add_u32_e32 v16, 64, v12
	v_lshl_add_u64 v[24:25], v[16:17], 4, s[96:97]
	;;#ASMSTART
	global_load_dwordx4 v[48:51], v[24:25] off sc1	
s_waitcnt vmcnt(0)
	;;#ASMEND
	s_nop 0
	v_lshlrev_b64 v[56:57], 24, v[50:51]
	v_lshrrev_b32_e32 v1, 8, v49
	v_or_b32_e32 v20, v1, v56
	v_lshlrev_b64 v[56:57], 16, v[50:51]
	v_or_b32_sdwa v28, v49, v56 dst_sel:DWORD dst_unused:UNUSED_PAD src0_sel:WORD_1 src1_sel:DWORD
	v_lshlrev_b64 v[56:57], 8, v[50:51]
	v_alignbit_b32 v9, v49, v48, 8
	v_alignbit_b32 v29, v49, v48, 16
	;; [unrolled: 1-line block ×3, first 2 shown]
	v_mov_b32_e32 v16, v49
	v_or_b32_sdwa v32, v49, v56 dst_sel:DWORD dst_unused:UNUSED_PAD src0_sel:BYTE_3 src1_sel:DWORD
	v_cmp_eq_u16_sdwa s[52:53], v51, v17 src0_sel:BYTE_0 src1_sel:DWORD
	s_and_saveexec_b64 s[46:47], s[52:53]
	s_cbranch_execz .LBB1953_175
; %bb.172:
	s_mov_b64 s[52:53], 0
	v_mov_b32_e32 v1, 0
.LBB1953_173:                           ; =>This Inner Loop Header: Depth=1
	;;#ASMSTART
	global_load_dwordx4 v[48:51], v[24:25] off sc1	
s_waitcnt vmcnt(0)
	;;#ASMEND
	s_nop 0
	v_cmp_ne_u16_sdwa s[54:55], v51, v1 src0_sel:BYTE_0 src1_sel:DWORD
	s_or_b64 s[52:53], s[54:55], s[52:53]
	s_andn2_b64 exec, exec, s[52:53]
	s_cbranch_execnz .LBB1953_173
; %bb.174:
	s_or_b64 exec, exec, s[52:53]
	v_lshlrev_b64 v[24:25], 24, v[50:51]
	v_lshrrev_b32_e32 v1, 8, v49
	v_or_b32_e32 v20, v1, v24
	v_lshlrev_b64 v[24:25], 16, v[50:51]
	v_or_b32_sdwa v28, v49, v24 dst_sel:DWORD dst_unused:UNUSED_PAD src0_sel:WORD_1 src1_sel:DWORD
	v_lshlrev_b64 v[24:25], 8, v[50:51]
	v_alignbit_b32 v9, v49, v48, 8
	v_alignbit_b32 v29, v49, v48, 16
	;; [unrolled: 1-line block ×3, first 2 shown]
	v_mov_b32_e32 v16, v49
	v_or_b32_sdwa v32, v49, v24 dst_sel:DWORD dst_unused:UNUSED_PAD src0_sel:BYTE_3 src1_sel:DWORD
.LBB1953_175:
	s_or_b64 exec, exec, s[46:47]
	v_lshlrev_b32_e32 v17, 16, v28
	v_lshlrev_b32_e32 v1, 24, v32
	v_and_b32_e32 v17, 0xff0000, v17
	v_or_b32_e32 v1, v17, v1
	v_lshlrev_b32_e32 v17, 8, v20
	v_and_b32_e32 v17, 0xff00, v17
	v_and_b32_e32 v16, 0xff, v16
	v_or3_b32 v1, v1, v17, v16
	v_lshlrev_b32_e32 v16, 16, v29
	s_mov_b32 s46, 0x4020c0c
	v_lshlrev_b32_e32 v9, 8, v9
	v_perm_b32 v16, v21, v16, s46
	s_mov_b32 s46, 0xc0c0500
	v_perm_b32 v9, v9, v48, s46
	v_or_b32_e32 v20, v9, v16
	v_mov_b32_e32 v9, 2
	v_cmp_eq_u16_sdwa s[46:47], v51, v9 src0_sel:BYTE_0 src1_sel:DWORD
	v_lshlrev_b64 v[16:17], v13, -1
	v_and_b32_e32 v24, 0xff, v50
	v_and_b32_e32 v9, s47, v17
	v_or_b32_e32 v9, 0x80000000, v9
	v_ffbl_b32_e32 v36, v9
	v_and_b32_e32 v9, 63, v13
	v_cmp_ne_u32_e32 vcc, 63, v9
	v_and_b32_e32 v21, s46, v16
	v_add_u32_e32 v36, 32, v36
	v_addc_co_u32_e32 v25, vcc, 0, v13, vcc
	v_lshlrev_b32_e32 v25, 2, v25
	ds_bpermute_b32 v32, v25, v20
	ds_bpermute_b32 v29, v25, v1
	;; [unrolled: 1-line block ×3, first 2 shown]
	v_ffbl_b32_e32 v21, v21
	v_min_u32_e32 v21, v21, v36
	v_cmp_lt_u32_e32 vcc, v9, v21
	s_and_saveexec_b64 s[46:47], vcc
	s_cbranch_execz .LBB1953_177
; %bb.176:
	v_mov_b32_e32 v24, 0
	v_cmp_eq_u16_sdwa vcc, v50, v24 src0_sel:BYTE_0 src1_sel:DWORD
	s_waitcnt lgkmcnt(2)
	s_nop 0
	v_cndmask_b32_e32 v24, 0, v32, vcc
	v_add_u32_e32 v20, v24, v20
	s_waitcnt lgkmcnt(1)
	v_cndmask_b32_e32 v24, 0, v29, vcc
	v_add_u32_e32 v1, v24, v1
	s_waitcnt lgkmcnt(0)
	v_or_b32_e32 v24, v50, v28
	v_and_b32_e32 v50, 1, v24
	v_and_b32_e32 v24, 0xffff, v50
.LBB1953_177:
	s_or_b64 exec, exec, s[46:47]
	v_cmp_gt_u32_e32 vcc, 62, v9
	v_add_u32_e32 v56, 2, v9
	s_waitcnt lgkmcnt(0)
	v_cndmask_b32_e64 v28, 0, 1, vcc
	v_lshlrev_b32_e32 v28, 1, v28
	v_add_lshl_u32 v55, v28, v13, 2
	ds_bpermute_b32 v29, v55, v20
	ds_bpermute_b32 v32, v55, v1
	ds_bpermute_b32 v28, v55, v24
	v_cmp_le_u32_e32 vcc, v56, v21
	s_and_saveexec_b64 s[46:47], vcc
	s_cbranch_execz .LBB1953_179
; %bb.178:
	v_mov_b32_e32 v24, 0
	v_cmp_eq_u16_sdwa vcc, v50, v24 src0_sel:BYTE_0 src1_sel:DWORD
	s_waitcnt lgkmcnt(0)
	v_or_b32_e32 v24, v28, v50
	v_add_u32_e32 v29, v29, v20
	v_add_u32_e32 v32, v32, v1
	v_and_b32_e32 v24, 1, v24
	v_cndmask_b32_e32 v20, v20, v29, vcc
	v_cndmask_b32_e32 v1, v1, v32, vcc
	v_mov_b32_e32 v50, v24
.LBB1953_179:
	s_or_b64 exec, exec, s[46:47]
	v_cmp_gt_u32_e32 vcc, 60, v9
	v_add_u32_e32 v58, 4, v9
	s_waitcnt lgkmcnt(0)
	v_cndmask_b32_e64 v28, 0, 1, vcc
	v_lshlrev_b32_e32 v28, 2, v28
	v_add_lshl_u32 v57, v28, v13, 2
	ds_bpermute_b32 v29, v57, v20
	ds_bpermute_b32 v32, v57, v1
	ds_bpermute_b32 v28, v57, v24
	v_cmp_le_u32_e32 vcc, v58, v21
	s_and_saveexec_b64 s[46:47], vcc
	s_cbranch_execz .LBB1953_181
; %bb.180:
	v_mov_b32_e32 v24, 0
	v_cmp_eq_u16_sdwa vcc, v50, v24 src0_sel:BYTE_0 src1_sel:DWORD
	s_waitcnt lgkmcnt(0)
	v_or_b32_e32 v24, v28, v50
	v_add_u32_e32 v29, v29, v20
	v_add_u32_e32 v32, v32, v1
	v_and_b32_e32 v24, 1, v24
	v_cndmask_b32_e32 v20, v20, v29, vcc
	v_cndmask_b32_e32 v1, v1, v32, vcc
	v_mov_b32_e32 v50, v24
.LBB1953_181:
	;; [unrolled: 25-line block ×4, first 2 shown]
	s_or_b64 exec, exec, s[46:47]
	v_cmp_gt_u32_e32 vcc, 32, v9
	v_add_u32_e32 v67, 32, v9
	s_waitcnt lgkmcnt(0)
	v_cndmask_b32_e64 v28, 0, 1, vcc
	v_lshlrev_b32_e32 v28, 5, v28
	v_add_lshl_u32 v65, v28, v13, 2
	ds_bpermute_b32 v28, v65, v20
	ds_bpermute_b32 v29, v65, v1
	;; [unrolled: 1-line block ×3, first 2 shown]
	v_cmp_le_u32_e32 vcc, v67, v21
	s_and_saveexec_b64 s[46:47], vcc
	s_cbranch_execz .LBB1953_187
; %bb.186:
	v_mov_b32_e32 v21, 0
	s_waitcnt lgkmcnt(2)
	v_add_u32_e32 v24, v28, v20
	s_waitcnt lgkmcnt(1)
	v_add_u32_e32 v28, v29, v1
	v_cmp_eq_u16_sdwa vcc, v50, v21 src0_sel:BYTE_0 src1_sel:DWORD
	s_waitcnt lgkmcnt(0)
	v_or_b32_e32 v13, v13, v50
	v_cndmask_b32_e32 v20, v20, v24, vcc
	v_cndmask_b32_e32 v1, v1, v28, vcc
	v_and_b32_e32 v24, 1, v13
.LBB1953_187:
	s_or_b64 exec, exec, s[46:47]
	s_movk_i32 s54, 0xff
	s_waitcnt lgkmcnt(0)
	v_mov_b32_e32 v13, 0
	s_mov_b32 s55, 0x4020c0c
	s_mov_b32 s56, 0xc0c0500
	v_mov_b32_e32 v68, 2
	s_branch .LBB1953_189
.LBB1953_188:                           ;   in Loop: Header=BB1953_189 Depth=1
	s_or_b64 exec, exec, s[46:47]
	s_waitcnt lgkmcnt(0)
	ds_bpermute_b32 v28, v65, v20
	ds_bpermute_b32 v29, v65, v1
	ds_bpermute_b32 v32, v65, v24
	v_cmp_eq_u16_sdwa vcc, v50, v13 src0_sel:BYTE_0 src1_sel:DWORD
	v_subrev_u32_e32 v12, 64, v12
	s_waitcnt lgkmcnt(2)
	v_add_u32_e32 v28, v28, v20
	s_waitcnt lgkmcnt(1)
	v_add_u32_e32 v29, v29, v1
	v_cndmask_b32_e32 v28, v20, v28, vcc
	v_cndmask_b32_e32 v29, v1, v29, vcc
	s_waitcnt lgkmcnt(0)
	v_and_or_b32 v32, v50, s54, v32
	v_cmp_gt_u32_e32 vcc, v67, v21
	s_nop 1
	v_cndmask_b32_e32 v21, v32, v24, vcc
	v_cndmask_b32_e32 v20, v28, v20, vcc
	;; [unrolled: 1-line block ×3, first 2 shown]
	v_cmp_eq_u16_sdwa vcc, v63, v13 src0_sel:BYTE_0 src1_sel:DWORD
	v_and_b32_e32 v24, 1, v63
	v_and_b32_e32 v21, 1, v21
	v_cndmask_b32_e32 v20, 0, v20, vcc
	v_cndmask_b32_e32 v1, 0, v1, vcc
	v_cmp_eq_u32_e32 vcc, 1, v24
	v_cmp_eq_u32_e64 s[46:47], 1, v21
	s_or_b64 s[46:47], vcc, s[46:47]
	v_add_u32_e32 v20, v20, v66
	v_add_u32_e32 v1, v1, v64
	v_cndmask_b32_e64 v24, 0, 1, s[46:47]
.LBB1953_189:                           ; =>This Loop Header: Depth=1
                                        ;     Child Loop BB1953_192 Depth 2
	v_cmp_ne_u16_sdwa s[46:47], v51, v68 src0_sel:BYTE_0 src1_sel:DWORD
	v_mov_b32_e32 v64, v1
	v_mov_b32_e32 v63, v24
	v_cndmask_b32_e64 v1, 0, 1, s[46:47]
	;;#ASMSTART
	;;#ASMEND
	v_mov_b32_e32 v66, v20
	v_cmp_ne_u32_e32 vcc, 0, v1
	s_cmp_lg_u64 vcc, exec
	s_cbranch_scc1 .LBB1953_204
; %bb.190:                              ;   in Loop: Header=BB1953_189 Depth=1
	v_lshl_add_u64 v[28:29], v[12:13], 4, s[96:97]
	;;#ASMSTART
	global_load_dwordx4 v[48:51], v[28:29] off sc1	
s_waitcnt vmcnt(0)
	;;#ASMEND
	s_nop 0
	v_lshlrev_b64 v[72:73], 24, v[50:51]
	v_lshrrev_b32_e32 v1, 8, v49
	v_or_b32_e32 v24, v1, v72
	v_lshlrev_b64 v[72:73], 16, v[50:51]
	v_or_b32_sdwa v32, v49, v72 dst_sel:DWORD dst_unused:UNUSED_PAD src0_sel:WORD_1 src1_sel:DWORD
	v_lshlrev_b64 v[72:73], 8, v[50:51]
	v_alignbit_b32 v21, v49, v48, 8
	v_alignbit_b32 v69, v49, v48, 16
	;; [unrolled: 1-line block ×3, first 2 shown]
	v_mov_b32_e32 v20, v49
	v_or_b32_sdwa v36, v49, v72 dst_sel:DWORD dst_unused:UNUSED_PAD src0_sel:BYTE_3 src1_sel:DWORD
	v_cmp_eq_u16_sdwa s[52:53], v51, v13 src0_sel:BYTE_0 src1_sel:DWORD
	s_and_saveexec_b64 s[46:47], s[52:53]
	s_cbranch_execz .LBB1953_194
; %bb.191:                              ;   in Loop: Header=BB1953_189 Depth=1
	s_mov_b64 s[52:53], 0
.LBB1953_192:                           ;   Parent Loop BB1953_189 Depth=1
                                        ; =>  This Inner Loop Header: Depth=2
	;;#ASMSTART
	global_load_dwordx4 v[48:51], v[28:29] off sc1	
s_waitcnt vmcnt(0)
	;;#ASMEND
	s_nop 0
	v_cmp_ne_u16_sdwa s[58:59], v51, v13 src0_sel:BYTE_0 src1_sel:DWORD
	s_or_b64 s[52:53], s[58:59], s[52:53]
	s_andn2_b64 exec, exec, s[52:53]
	s_cbranch_execnz .LBB1953_192
; %bb.193:                              ;   in Loop: Header=BB1953_189 Depth=1
	s_or_b64 exec, exec, s[52:53]
	v_lshlrev_b64 v[28:29], 24, v[50:51]
	v_lshrrev_b32_e32 v1, 8, v49
	v_or_b32_e32 v24, v1, v28
	v_lshlrev_b64 v[28:29], 16, v[50:51]
	v_or_b32_sdwa v32, v49, v28 dst_sel:DWORD dst_unused:UNUSED_PAD src0_sel:WORD_1 src1_sel:DWORD
	v_lshlrev_b64 v[28:29], 8, v[50:51]
	v_alignbit_b32 v21, v49, v48, 8
	v_alignbit_b32 v69, v49, v48, 16
	;; [unrolled: 1-line block ×3, first 2 shown]
	v_mov_b32_e32 v20, v49
	v_or_b32_sdwa v36, v49, v28 dst_sel:DWORD dst_unused:UNUSED_PAD src0_sel:BYTE_3 src1_sel:DWORD
.LBB1953_194:                           ;   in Loop: Header=BB1953_189 Depth=1
	s_or_b64 exec, exec, s[46:47]
	v_lshlrev_b32_e32 v28, 16, v32
	v_lshlrev_b32_e32 v1, 24, v36
	v_and_b32_e32 v28, 0xff0000, v28
	v_lshlrev_b32_e32 v24, 8, v24
	v_or_b32_e32 v1, v28, v1
	v_and_b32_e32 v24, 0xff00, v24
	v_and_b32_e32 v20, 0xff, v20
	v_or3_b32 v1, v1, v24, v20
	v_lshlrev_b32_e32 v20, 16, v69
	v_lshlrev_b32_e32 v21, 8, v21
	v_perm_b32 v20, v70, v20, s55
	v_perm_b32 v21, v21, v48, s56
	v_cmp_eq_u16_sdwa s[46:47], v51, v68 src0_sel:BYTE_0 src1_sel:DWORD
	v_or_b32_e32 v20, v21, v20
	v_and_b32_e32 v24, 0xff, v50
	v_and_b32_e32 v21, s47, v17
	v_or_b32_e32 v21, 0x80000000, v21
	ds_bpermute_b32 v32, v25, v20
	ds_bpermute_b32 v29, v25, v1
	;; [unrolled: 1-line block ×3, first 2 shown]
	v_and_b32_e32 v36, s46, v16
	v_ffbl_b32_e32 v21, v21
	v_add_u32_e32 v21, 32, v21
	v_ffbl_b32_e32 v36, v36
	v_min_u32_e32 v21, v36, v21
	v_cmp_lt_u32_e32 vcc, v9, v21
	s_and_saveexec_b64 s[46:47], vcc
	s_cbranch_execz .LBB1953_196
; %bb.195:                              ;   in Loop: Header=BB1953_189 Depth=1
	v_cmp_eq_u16_sdwa vcc, v50, v13 src0_sel:BYTE_0 src1_sel:DWORD
	s_waitcnt lgkmcnt(2)
	s_nop 0
	v_cndmask_b32_e32 v24, 0, v32, vcc
	v_add_u32_e32 v20, v24, v20
	s_waitcnt lgkmcnt(1)
	v_cndmask_b32_e32 v24, 0, v29, vcc
	v_add_u32_e32 v1, v24, v1
	s_waitcnt lgkmcnt(0)
	v_or_b32_e32 v24, v28, v50
	v_and_b32_e32 v24, 1, v24
	v_mov_b32_e32 v50, v24
.LBB1953_196:                           ;   in Loop: Header=BB1953_189 Depth=1
	s_or_b64 exec, exec, s[46:47]
	s_waitcnt lgkmcnt(1)
	ds_bpermute_b32 v29, v55, v20
	ds_bpermute_b32 v32, v55, v1
	s_waitcnt lgkmcnt(2)
	ds_bpermute_b32 v28, v55, v24
	v_cmp_le_u32_e32 vcc, v56, v21
	s_and_saveexec_b64 s[46:47], vcc
	s_cbranch_execz .LBB1953_198
; %bb.197:                              ;   in Loop: Header=BB1953_189 Depth=1
	s_waitcnt lgkmcnt(2)
	v_add_u32_e32 v24, v29, v20
	v_cmp_eq_u16_sdwa vcc, v50, v13 src0_sel:BYTE_0 src1_sel:DWORD
	s_waitcnt lgkmcnt(1)
	v_add_u32_e32 v29, v32, v1
	v_cndmask_b32_e32 v20, v20, v24, vcc
	s_waitcnt lgkmcnt(0)
	v_or_b32_e32 v24, v28, v50
	v_and_b32_e32 v24, 1, v24
	v_cndmask_b32_e32 v1, v1, v29, vcc
	v_mov_b32_e32 v50, v24
.LBB1953_198:                           ;   in Loop: Header=BB1953_189 Depth=1
	s_or_b64 exec, exec, s[46:47]
	s_waitcnt lgkmcnt(2)
	ds_bpermute_b32 v29, v57, v20
	s_waitcnt lgkmcnt(2)
	ds_bpermute_b32 v32, v57, v1
	s_waitcnt lgkmcnt(2)
	ds_bpermute_b32 v28, v57, v24
	v_cmp_le_u32_e32 vcc, v58, v21
	s_and_saveexec_b64 s[46:47], vcc
	s_cbranch_execz .LBB1953_200
; %bb.199:                              ;   in Loop: Header=BB1953_189 Depth=1
	s_waitcnt lgkmcnt(2)
	v_add_u32_e32 v24, v29, v20
	v_cmp_eq_u16_sdwa vcc, v50, v13 src0_sel:BYTE_0 src1_sel:DWORD
	s_waitcnt lgkmcnt(1)
	v_add_u32_e32 v29, v32, v1
	v_cndmask_b32_e32 v20, v20, v24, vcc
	s_waitcnt lgkmcnt(0)
	v_or_b32_e32 v24, v28, v50
	v_and_b32_e32 v24, 1, v24
	v_cndmask_b32_e32 v1, v1, v29, vcc
	v_mov_b32_e32 v50, v24
.LBB1953_200:                           ;   in Loop: Header=BB1953_189 Depth=1
	s_or_b64 exec, exec, s[46:47]
	s_waitcnt lgkmcnt(2)
	ds_bpermute_b32 v29, v59, v20
	s_waitcnt lgkmcnt(2)
	;; [unrolled: 23-line block ×3, first 2 shown]
	ds_bpermute_b32 v32, v61, v1
	s_waitcnt lgkmcnt(2)
	ds_bpermute_b32 v28, v61, v24
	v_cmp_le_u32_e32 vcc, v62, v21
	s_and_saveexec_b64 s[46:47], vcc
	s_cbranch_execz .LBB1953_188
; %bb.203:                              ;   in Loop: Header=BB1953_189 Depth=1
	s_waitcnt lgkmcnt(2)
	v_add_u32_e32 v24, v29, v20
	v_cmp_eq_u16_sdwa vcc, v50, v13 src0_sel:BYTE_0 src1_sel:DWORD
	s_waitcnt lgkmcnt(1)
	v_add_u32_e32 v29, v32, v1
	v_cndmask_b32_e32 v20, v20, v24, vcc
	s_waitcnt lgkmcnt(0)
	v_or_b32_e32 v24, v28, v50
	v_and_b32_e32 v24, 1, v24
	v_cndmask_b32_e32 v1, v1, v29, vcc
	v_mov_b32_e32 v50, v24
	s_branch .LBB1953_188
.LBB1953_204:                           ;   in Loop: Header=BB1953_189 Depth=1
                                        ; implicit-def: $vgpr24
                                        ; implicit-def: $vgpr1
                                        ; implicit-def: $vgpr51
                                        ; implicit-def: $vgpr20_vgpr21
	s_cbranch_execz .LBB1953_189
; %bb.205:
	s_and_saveexec_b64 s[46:47], s[44:45]
	s_cbranch_execz .LBB1953_207
; %bb.206:
	v_mov_b32_e32 v1, 0
	v_cmp_eq_u16_sdwa vcc, v54, v1 src0_sel:BYTE_0 src1_sel:DWORD
	s_mov_b32 s53, 0
	v_or_b32_e32 v9, v54, v63
	v_cndmask_b32_e32 v1, 0, v66, vcc
	v_add_u32_e32 v1, v1, v8
	v_cndmask_b32_e32 v8, 0, v64, vcc
	s_add_i32 s52, s2, 64
	v_add_u32_e32 v8, s3, v8
	v_and_b32_e32 v9, 1, v9
	s_lshl_b64 s[2:3], s[52:53], 4
	s_add_u32 s2, s96, s2
	v_cmp_eq_u32_e32 vcc, 1, v9
	v_and_b32_e32 v9, 0xff000000, v8
	v_and_b32_e32 v12, 0xff0000, v8
	s_addc_u32 s3, s97, s3
	v_and_b32_e32 v13, 0xff00, v8
	v_and_b32_e32 v8, 0xff, v8
	v_or_b32_e32 v9, v9, v12
	v_cndmask_b32_e64 v50, 0, 1, vcc
	v_or3_b32 v49, v9, v13, v8
	v_or3_b32 v48, 0, 0, v1
	v_mov_b32_e32 v51, 2
	v_mov_b64_e32 v[8:9], s[2:3]
	;;#ASMSTART
	global_store_dwordx4 v[8:9], v[48:51] off sc1	
s_waitcnt vmcnt(0)
	;;#ASMEND
.LBB1953_207:
	s_or_b64 exec, exec, s[46:47]
	v_cmp_eq_u32_e32 vcc, 0, v0
	s_and_b64 exec, exec, vcc
	s_cbranch_execz .LBB1953_209
; %bb.208:
	v_mov_b32_e32 v1, 0
	ds_write2_b32 v1, v66, v64 offset0:9 offset1:10
	ds_write_b8 v1, v63 offset:44
.LBB1953_209:
	s_or_b64 exec, exec, s[48:49]
	v_mov_b32_e32 v1, 0
	s_waitcnt lgkmcnt(0)
	s_barrier
	ds_read2_b32 v[8:9], v1 offset0:9 offset1:10
	v_cmp_ne_u32_e32 vcc, 0, v0
	v_mov_b32_e32 v12, v3
	v_mov_b32_e32 v13, v2
	;; [unrolled: 1-line block ×3, first 2 shown]
	s_and_saveexec_b64 s[46:47], vcc
	s_cbranch_execz .LBB1953_211
; %bb.210:
	v_cndmask_b32_e64 v4, v45, v4, s[44:45]
	v_cmp_eq_u16_sdwa vcc, v104, v1 src0_sel:BYTE_0 src1_sel:DWORD
	v_cndmask_b32_e64 v5, v53, v5, s[44:45]
	v_and_b32_e32 v12, 0xff, v44
	v_cndmask_b32_e32 v4, 0, v4, vcc
	v_add_u32_e32 v13, v4, v2
	v_cndmask_b32_e32 v4, 0, v5, vcc
	v_cndmask_b32_e64 v16, v52, v12, s[44:45]
	v_add_u32_e32 v12, v4, v3
	v_and_b32_e32 v4, 1, v104
	v_cmp_eq_u32_e32 vcc, 1, v4
	v_and_b32_e32 v4, 1, v16
	v_cmp_eq_u32_e64 s[2:3], 1, v4
	s_or_b64 s[2:3], vcc, s[2:3]
	s_nop 0
	v_cndmask_b32_e64 v16, 0, 1, s[2:3]
.LBB1953_211:
	s_or_b64 exec, exec, s[46:47]
	v_cmp_eq_u16_sdwa vcc, v16, v1 src0_sel:BYTE_0 src1_sel:DWORD
	s_waitcnt lgkmcnt(0)
	s_nop 0
	v_cndmask_b32_e32 v1, 0, v8, vcc
	v_add_u32_e32 v82, v1, v13
	v_cndmask_b32_e32 v1, 0, v9, vcc
	v_add_u32_e32 v83, v1, v12
	v_cndmask_b32_e64 v1, 0, v82, s[50:51]
	v_add_u32_e32 v44, v1, v6
	v_cndmask_b32_e64 v1, 0, v83, s[50:51]
	;; [unrolled: 2-line block ×39, first 2 shown]
	v_cndmask_b32_e64 v12, 0, v103, s[42:43]
	s_branch .LBB1953_248
.LBB1953_212:
                                        ; implicit-def: $vgpr80_vgpr81_vgpr82_vgpr83
                                        ; kill: def $vgpr1 killed $sgpr0 killed $exec
                                        ; implicit-def: $vgpr12
                                        ; implicit-def: $vgpr5
                                        ; implicit-def: $vgpr103
                                        ; implicit-def: $vgpr101
                                        ; implicit-def: $vgpr99
                                        ; implicit-def: $vgpr97
                                        ; implicit-def: $vgpr95
                                        ; implicit-def: $vgpr93
                                        ; implicit-def: $vgpr91
                                        ; implicit-def: $vgpr89
                                        ; implicit-def: $vgpr87
                                        ; implicit-def: $vgpr45
                                        ; implicit-def: $vgpr76_vgpr77_vgpr78_vgpr79
                                        ; implicit-def: $vgpr72_vgpr73_vgpr74_vgpr75
                                        ; implicit-def: $vgpr68_vgpr69_vgpr70_vgpr71
                                        ; implicit-def: $vgpr64_vgpr65_vgpr66_vgpr67
                                        ; implicit-def: $vgpr60_vgpr61_vgpr62_vgpr63
                                        ; implicit-def: $vgpr56_vgpr57_vgpr58_vgpr59
                                        ; implicit-def: $vgpr52_vgpr53_vgpr54_vgpr55
                                        ; implicit-def: $vgpr48_vgpr49_vgpr50_vgpr51
                                        ; implicit-def: $vgpr82_vgpr83_vgpr84_vgpr85
	s_cbranch_execz .LBB1953_248
; %bb.213:
	v_readlane_b32 s2, v136, 0
	v_readlane_b32 s3, v136, 1
	s_cmp_lg_u64 s[2:3], 0
	s_cselect_b32 s5, s91, 0
	s_cselect_b32 s4, s90, 0
	s_cmp_lg_u64 s[4:5], 0
	s_cselect_b64 s[6:7], -1, 0
	v_cmp_eq_u32_e32 vcc, 0, v0
	v_cmp_ne_u32_e64 s[2:3], 0, v0
	s_and_b64 s[8:9], vcc, s[6:7]
	s_and_saveexec_b64 s[6:7], s[8:9]
	s_cbranch_execz .LBB1953_217
; %bb.214:
	v_mov_b32_e32 v1, 0
	v_cmp_eq_u16_sdwa s[10:11], v104, v1 src0_sel:BYTE_0 src1_sel:DWORD
	s_and_saveexec_b64 s[8:9], s[10:11]
	s_cbranch_execz .LBB1953_216
; %bb.215:
	global_load_dwordx2 v[4:5], v1, s[4:5]
	s_waitcnt vmcnt(0)
	v_add_u32_e32 v2, v4, v2
	v_add_u32_e32 v3, v5, v3
.LBB1953_216:
	s_or_b64 exec, exec, s[8:9]
	global_load_ubyte v1, v1, s[4:5] offset:8
	s_waitcnt vmcnt(0)
	v_or_b32_e32 v1, v104, v1
	v_and_b32_e32 v104, 1, v1
.LBB1953_217:
	s_or_b64 exec, exec, s[6:7]
	v_mov_b32_e32 v1, 0
	v_cmp_eq_u16_sdwa s[4:5], v123, v1 src0_sel:BYTE_0 src1_sel:DWORD
	v_cmp_eq_u16_sdwa s[6:7], v135, v1 src0_sel:BYTE_0 src1_sel:DWORD
	s_movk_i32 s40, 0xff
	v_cndmask_b32_e64 v4, 0, v2, s[4:5]
	v_add_u32_e32 v44, v4, v6
	v_cndmask_b32_e64 v4, 0, v3, s[4:5]
	v_add_u32_e32 v45, v4, v7
	;; [unrolled: 2-line block ×4, first 2 shown]
	v_and_b32_sdwa v4, v123, s40 dst_sel:DWORD dst_unused:UNUSED_PAD src0_sel:WORD_1 src1_sel:DWORD
	v_cmp_eq_u16_e64 s[8:9], 0, v4
	v_cmp_eq_u16_sdwa s[10:11], v123, v1 src0_sel:BYTE_3 src1_sel:DWORD
	v_cmp_eq_u16_sdwa s[12:13], v106, v1 src0_sel:BYTE_0 src1_sel:DWORD
	v_cndmask_b32_e64 v4, 0, v48, s[8:9]
	v_add_u32_e32 v86, v4, v10
	v_cndmask_b32_e64 v4, 0, v49, s[8:9]
	v_add_u32_e32 v87, v4, v11
	;; [unrolled: 2-line block ×5, first 2 shown]
	v_cndmask_b32_e64 v4, 0, v53, s[12:13]
	v_cmp_eq_u16_sdwa s[14:15], v116, v1 src0_sel:BYTE_0 src1_sel:DWORD
	v_add_u32_e32 v89, v4, v15
	v_cmp_eq_u16_sdwa s[16:17], v134, v1 src0_sel:BYTE_0 src1_sel:DWORD
	v_cndmask_b32_e64 v4, 0, v88, s[14:15]
	v_add_u32_e32 v56, v4, v122
	v_cndmask_b32_e64 v4, 0, v89, s[14:15]
	v_add_u32_e32 v57, v4, v121
	;; [unrolled: 2-line block ×4, first 2 shown]
	v_and_b32_sdwa v4, v116, s40 dst_sel:DWORD dst_unused:UNUSED_PAD src0_sel:WORD_1 src1_sel:DWORD
	v_cmp_eq_u16_e64 s[18:19], 0, v4
	v_cmp_eq_u16_sdwa s[20:21], v116, v1 src0_sel:BYTE_3 src1_sel:DWORD
	v_cmp_eq_u16_sdwa s[22:23], v107, v1 src0_sel:BYTE_0 src1_sel:DWORD
	v_cndmask_b32_e64 v4, 0, v90, s[18:19]
	v_add_u32_e32 v60, v4, v120
	v_cndmask_b32_e64 v4, 0, v91, s[18:19]
	v_add_u32_e32 v61, v4, v119
	;; [unrolled: 2-line block ×5, first 2 shown]
	v_cndmask_b32_e64 v4, 0, v93, s[22:23]
	v_cmp_eq_u16_sdwa s[24:25], v111, v1 src0_sel:BYTE_0 src1_sel:DWORD
	v_add_u32_e32 v65, v4, v117
	v_cmp_eq_u16_sdwa s[26:27], v133, v1 src0_sel:BYTE_0 src1_sel:DWORD
	v_cndmask_b32_e64 v4, 0, v64, s[24:25]
	v_add_u32_e32 v94, v4, v30
	v_cndmask_b32_e64 v4, 0, v65, s[24:25]
	v_add_u32_e32 v95, v4, v31
	;; [unrolled: 2-line block ×4, first 2 shown]
	v_and_b32_sdwa v4, v111, s40 dst_sel:DWORD dst_unused:UNUSED_PAD src0_sel:WORD_1 src1_sel:DWORD
	v_cmp_eq_u16_e64 s[28:29], 0, v4
	v_cmp_eq_u16_sdwa s[30:31], v111, v1 src0_sel:BYTE_3 src1_sel:DWORD
	v_cmp_eq_u16_sdwa s[34:35], v105, v1 src0_sel:BYTE_0 src1_sel:DWORD
	v_cndmask_b32_e64 v4, 0, v68, s[28:29]
	v_add_u32_e32 v96, v4, v38
	v_cndmask_b32_e64 v4, 0, v69, s[28:29]
	v_add_u32_e32 v97, v4, v39
	;; [unrolled: 2-line block ×4, first 2 shown]
	v_cndmask_b32_e64 v4, 0, v72, s[34:35]
	v_or_b32_e32 v9, v108, v111
	v_add_u32_e32 v98, v4, v42
	v_cndmask_b32_e64 v4, 0, v73, s[34:35]
	v_cmp_eq_u16_sdwa s[36:37], v108, v1 src0_sel:BYTE_0 src1_sel:DWORD
	v_or3_b32 v9, v9, v116, v123
	v_add_u32_e32 v99, v4, v43
	v_cndmask_b32_e64 v4, 0, v98, s[36:37]
	v_lshrrev_b16_e32 v16, 7, v9
	v_add_u32_e32 v76, v4, v110
	v_cndmask_b32_e64 v4, 0, v99, s[36:37]
	v_cmp_eq_u16_sdwa s[38:39], v132, v1 src0_sel:BYTE_0 src1_sel:DWORD
	v_and_b32_e32 v13, 1, v9
	v_and_b32_e32 v16, 2, v16
	v_add_u32_e32 v77, v4, v109
	v_cndmask_b32_e64 v4, 0, v76, s[38:39]
	v_or_b32_e32 v13, v13, v16
	v_lshrrev_b32_e32 v16, 23, v9
	v_mov_b32_e32 v17, 1
	v_add_u32_e32 v100, v4, v46
	v_cndmask_b32_e64 v4, 0, v77, s[38:39]
	v_and_b32_e32 v16, 2, v16
	v_and_b32_sdwa v9, v9, v17 dst_sel:DWORD dst_unused:UNUSED_PAD src0_sel:WORD_1 src1_sel:DWORD
	v_add_u32_e32 v101, v4, v47
	v_and_b32_sdwa v4, v108, s40 dst_sel:DWORD dst_unused:UNUSED_PAD src0_sel:WORD_1 src1_sel:DWORD
	v_or_b32_e32 v9, v9, v16
	v_cmp_eq_u16_e64 s[40:41], 0, v4
	v_lshlrev_b16_e32 v9, 2, v9
	v_or_b32_e32 v9, v13, v9
	v_cndmask_b32_e64 v4, 0, v100, s[40:41]
	v_add_u32_e32 v80, v4, v34
	v_cndmask_b32_e64 v4, 0, v101, s[40:41]
	v_cmp_eq_u16_sdwa s[42:43], v108, v1 src0_sel:BYTE_3 src1_sel:DWORD
	v_cmp_eq_u32_e64 s[52:53], 1, v131
	v_cmp_ne_u16_e64 s[54:55], 0, v9
	v_add_u32_e32 v81, v4, v35
	v_cndmask_b32_e64 v4, 0, v80, s[42:43]
	v_cmp_eq_u32_e64 s[50:51], 1, v130
	s_or_b64 s[52:53], s[54:55], s[52:53]
	v_add_u32_e32 v102, v4, v26
	v_cndmask_b32_e64 v4, 0, v81, s[42:43]
	v_cmp_eq_u32_e64 s[48:49], 1, v129
	s_or_b64 s[50:51], s[52:53], s[50:51]
	v_add_u32_e32 v103, v4, v27
	v_cmp_eq_u16_sdwa s[44:45], v41, v1 src0_sel:BYTE_0 src1_sel:DWORD
	v_cmp_eq_u32_e64 s[46:47], 1, v128
	s_or_b64 s[48:49], s[50:51], s[48:49]
	v_cndmask_b32_e64 v5, 0, v102, s[44:45]
	v_cndmask_b32_e64 v12, 0, v103, s[44:45]
	v_and_b32_e32 v8, 0xff, v104
	s_or_b64 s[46:47], s[48:49], s[46:47]
	v_mbcnt_hi_u32_b32 v13, -1, v37
	v_add_u32_e32 v4, v5, v33
	v_add_u32_e32 v1, v12, v40
	v_cndmask_b32_e64 v16, v8, 1, s[46:47]
	v_and_b32_e32 v8, 15, v13
	v_mov_b32_dpp v9, v4 row_shr:1 row_mask:0xf bank_mask:0xf
	v_mov_b32_dpp v17, v1 row_shr:1 row_mask:0xf bank_mask:0xf
	;; [unrolled: 1-line block ×3, first 2 shown]
	v_cmp_ne_u32_e64 s[46:47], 0, v8
	s_and_saveexec_b64 s[48:49], s[46:47]
; %bb.218:
	v_cmp_eq_u32_e64 s[46:47], 0, v16
	v_and_or_b32 v16, v20, 1, v16
	s_nop 0
	v_cndmask_b32_e64 v9, 0, v9, s[46:47]
	v_add_u32_e32 v4, v4, v9
	v_cndmask_b32_e64 v9, 0, v17, s[46:47]
	v_add_u32_e32 v1, v1, v9
; %bb.219:
	s_or_b64 exec, exec, s[48:49]
	v_mov_b32_dpp v17, v4 row_shr:2 row_mask:0xf bank_mask:0xf
	v_mov_b32_dpp v20, v1 row_shr:2 row_mask:0xf bank_mask:0xf
	;; [unrolled: 1-line block ×3, first 2 shown]
	v_cmp_lt_u32_e64 s[46:47], 1, v8
	s_and_saveexec_b64 s[48:49], s[46:47]
; %bb.220:
	v_add_u32_e32 v17, v17, v4
	v_add_u32_e32 v20, v20, v1
	v_cmp_eq_u32_e64 s[46:47], 0, v16
	v_or_b32_e32 v9, v9, v16
	v_and_b32_e32 v16, 1, v9
	v_cndmask_b32_e64 v4, v4, v17, s[46:47]
	v_cndmask_b32_e64 v1, v1, v20, s[46:47]
; %bb.221:
	s_or_b64 exec, exec, s[48:49]
	v_mov_b32_dpp v17, v4 row_shr:4 row_mask:0xf bank_mask:0xf
	v_mov_b32_dpp v20, v1 row_shr:4 row_mask:0xf bank_mask:0xf
	;; [unrolled: 1-line block ×3, first 2 shown]
	v_cmp_lt_u32_e64 s[46:47], 3, v8
	s_and_saveexec_b64 s[48:49], s[46:47]
; %bb.222:
	v_add_u32_e32 v17, v17, v4
	v_add_u32_e32 v20, v20, v1
	v_cmp_eq_u32_e64 s[46:47], 0, v16
	v_or_b32_e32 v9, v9, v16
	v_and_b32_e32 v16, 1, v9
	v_cndmask_b32_e64 v4, v4, v17, s[46:47]
	v_cndmask_b32_e64 v1, v1, v20, s[46:47]
; %bb.223:
	s_or_b64 exec, exec, s[48:49]
	v_mov_b32_dpp v17, v4 row_shr:8 row_mask:0xf bank_mask:0xf
	v_mov_b32_dpp v20, v1 row_shr:8 row_mask:0xf bank_mask:0xf
	;; [unrolled: 1-line block ×3, first 2 shown]
	v_cmp_lt_u32_e64 s[46:47], 7, v8
	s_and_saveexec_b64 s[48:49], s[46:47]
; %bb.224:
	v_add_u32_e32 v8, v17, v4
	v_cmp_eq_u32_e64 s[46:47], 0, v16
	v_add_u32_e32 v17, v20, v1
	s_nop 0
	v_cndmask_b32_e64 v4, v4, v8, s[46:47]
	v_or_b32_e32 v8, v9, v16
	v_cndmask_b32_e64 v1, v1, v17, s[46:47]
	v_and_b32_e32 v16, 1, v8
; %bb.225:
	s_or_b64 exec, exec, s[48:49]
	v_and_b32_e32 v20, 16, v13
	v_mov_b32_dpp v9, v4 row_bcast:15 row_mask:0xf bank_mask:0xf
	v_mov_b32_dpp v17, v1 row_bcast:15 row_mask:0xf bank_mask:0xf
	;; [unrolled: 1-line block ×3, first 2 shown]
	v_cmp_ne_u32_e64 s[46:47], 0, v20
	s_and_saveexec_b64 s[48:49], s[46:47]
; %bb.226:
	v_add_u32_e32 v9, v9, v4
	v_add_u32_e32 v17, v17, v1
	v_cmp_eq_u32_e64 s[46:47], 0, v16
	v_or_b32_e32 v8, v8, v16
	v_and_b32_e32 v16, 1, v8
	v_cndmask_b32_e64 v4, v4, v9, s[46:47]
	v_cndmask_b32_e64 v1, v1, v17, s[46:47]
; %bb.227:
	s_or_b64 exec, exec, s[48:49]
	v_mov_b32_dpp v17, v4 row_bcast:31 row_mask:0xf bank_mask:0xf
	v_mov_b32_dpp v20, v1 row_bcast:31 row_mask:0xf bank_mask:0xf
	;; [unrolled: 1-line block ×3, first 2 shown]
	v_cmp_lt_u32_e64 s[46:47], 31, v13
	v_mov_b32_e32 v8, v16
	s_and_saveexec_b64 s[48:49], s[46:47]
; %bb.228:
	v_add_u32_e32 v8, v17, v4
	v_add_u32_e32 v17, v20, v1
	v_cmp_eq_u32_e64 s[46:47], 0, v16
	v_or_b32_e32 v9, v9, v16
	v_and_b32_e32 v16, 1, v9
	v_cndmask_b32_e64 v4, v4, v8, s[46:47]
	v_cndmask_b32_e64 v1, v1, v17, s[46:47]
	v_and_b32_e32 v8, 1, v9
; %bb.229:
	s_or_b64 exec, exec, s[48:49]
	v_or_b32_e32 v9, 63, v0
	v_lshrrev_b32_e32 v17, 6, v0
	v_cmp_eq_u32_e64 s[46:47], v9, v0
	s_and_saveexec_b64 s[48:49], s[46:47]
	s_cbranch_execz .LBB1953_231
; %bb.230:
	v_mul_u32_u24_e32 v9, 12, v17
	ds_write2_b32 v9, v4, v1 offset1:1
	ds_write_b8 v9, v8 offset:8
.LBB1953_231:
	s_or_b64 exec, exec, s[48:49]
	v_cmp_gt_u32_e64 s[46:47], 4, v0
	s_waitcnt lgkmcnt(0)
	s_barrier
	s_and_saveexec_b64 s[48:49], s[46:47]
	s_cbranch_execz .LBB1953_237
; %bb.232:
	v_mul_u32_u24_e32 v20, 12, v0
	ds_read2_b32 v[8:9], v20 offset1:1
	ds_read_b32 v21, v20 offset:8
	v_and_b32_e32 v24, 3, v13
	v_cmp_ne_u32_e64 s[46:47], 0, v24
	s_waitcnt lgkmcnt(1)
	v_mov_b32_dpp v32, v8 row_shr:1 row_mask:0xf bank_mask:0xf
	v_mov_b32_dpp v28, v9 row_shr:1 row_mask:0xf bank_mask:0xf
	s_waitcnt lgkmcnt(0)
	v_mov_b32_dpp v29, v21 row_shr:1 row_mask:0xf bank_mask:0xf
	v_mov_b32_e32 v25, v21
	s_and_saveexec_b64 s[50:51], s[46:47]
; %bb.233:
	v_mov_b32_e32 v25, 0
	v_cmp_eq_u16_sdwa s[46:47], v21, v25 src0_sel:BYTE_0 src1_sel:DWORD
	s_nop 1
	v_cndmask_b32_e64 v25, 0, v32, s[46:47]
	v_add_u32_e32 v8, v25, v8
	v_cndmask_b32_e64 v25, 0, v28, s[46:47]
	v_add_u32_e32 v9, v25, v9
	v_or_b32_e32 v25, v29, v21
	v_and_b32_e32 v25, 1, v25
	s_movk_i32 s46, 0xff00
	v_and_or_b32 v21, v21, s46, v25
; %bb.234:
	s_or_b64 exec, exec, s[50:51]
	v_mov_b32_dpp v29, v8 row_shr:2 row_mask:0xf bank_mask:0xf
	v_mov_b32_dpp v32, v9 row_shr:2 row_mask:0xf bank_mask:0xf
	;; [unrolled: 1-line block ×3, first 2 shown]
	v_cmp_lt_u32_e64 s[46:47], 1, v24
	s_and_saveexec_b64 s[50:51], s[46:47]
; %bb.235:
	v_mov_b32_e32 v21, 0
	v_add_u32_e32 v24, v29, v8
	v_add_u32_e32 v29, v32, v9
	v_cmp_eq_u16_sdwa s[46:47], v25, v21 src0_sel:BYTE_0 src1_sel:DWORD
	v_or_b32_e32 v21, v28, v25
	v_and_b32_e32 v21, 1, v21
	v_cndmask_b32_e64 v8, v8, v24, s[46:47]
	v_cndmask_b32_e64 v9, v9, v29, s[46:47]
; %bb.236:
	s_or_b64 exec, exec, s[50:51]
	ds_write2_b32 v20, v8, v9 offset1:1
	ds_write_b8 v20, v21 offset:8
.LBB1953_237:
	s_or_b64 exec, exec, s[48:49]
	v_cmp_lt_u32_e64 s[46:47], 63, v0
	s_waitcnt lgkmcnt(0)
	s_barrier
	s_waitcnt lgkmcnt(0)
                                        ; implicit-def: $vgpr8_vgpr9
	s_and_saveexec_b64 s[48:49], s[46:47]
	s_xor_b64 s[48:49], exec, s[48:49]
	s_cbranch_execz .LBB1953_241
; %bb.238:
	v_mad_u32_u24 v8, v17, 12, -12
	ds_read2_b32 v[8:9], v8 offset1:1
	v_cmp_ne_u32_e64 s[46:47], 0, v16
                                        ; kill: def $vgpr16_vgpr17 killed $sgpr0_sgpr1 killed $exec
                                        ; kill: def $vgpr16 killed $sgpr0 killed $exec
	s_and_saveexec_b64 s[50:51], s[46:47]
	s_xor_b64 s[46:47], exec, s[50:51]
	s_andn2_saveexec_b64 s[46:47], s[46:47]
	s_cbranch_execz .LBB1953_240
; %bb.239:
	s_waitcnt lgkmcnt(0)
	v_add_u32_e32 v4, v8, v4
	v_add_u32_e32 v1, v9, v1
.LBB1953_240:
	s_or_b64 exec, exec, s[46:47]
.LBB1953_241:
	s_andn2_saveexec_b64 s[46:47], s[48:49]
	s_cbranch_execz .LBB1953_243
; %bb.242:
	s_waitcnt lgkmcnt(0)
	v_mov_b64_e32 v[8:9], 0
.LBB1953_243:
	s_or_b64 exec, exec, s[46:47]
	v_add_u32_e32 v16, -1, v13
	v_and_b32_e32 v17, 64, v13
	v_cmp_lt_i32_e64 s[46:47], v16, v17
	s_nop 1
	v_cndmask_b32_e64 v16, v16, v13, s[46:47]
	v_lshlrev_b32_e32 v16, 2, v16
	ds_bpermute_b32 v4, v16, v4
	ds_bpermute_b32 v1, v16, v1
	s_and_saveexec_b64 s[46:47], s[2:3]
	s_cbranch_execz .LBB1953_245
; %bb.244:
	v_cmp_eq_u32_e64 s[2:3], 0, v13
	v_mov_b32_e32 v5, 0
	;;#ASMSTART
	;;#ASMEND
	s_waitcnt lgkmcnt(0)
	v_cndmask_b32_e64 v1, v1, v9, s[2:3]
	v_cndmask_b32_e64 v4, v4, v8, s[2:3]
	v_cmp_eq_u16_sdwa s[2:3], v104, v5 src0_sel:BYTE_0 src1_sel:DWORD
	s_nop 1
	v_cndmask_b32_e64 v4, 0, v4, s[2:3]
	v_add_u32_e32 v2, v4, v2
	v_cndmask_b32_e64 v1, 0, v1, s[2:3]
	v_add_u32_e32 v3, v1, v3
	;; [unrolled: 2-line block ×40, first 2 shown]
	v_cndmask_b32_e64 v5, 0, v102, s[44:45]
	v_cndmask_b32_e64 v12, 0, v103, s[44:45]
.LBB1953_245:
	s_or_b64 exec, exec, s[46:47]
	s_and_saveexec_b64 s[2:3], vcc
	s_cbranch_execz .LBB1953_247
; %bb.246:
	s_waitcnt lgkmcnt(0)
	v_mov_b32_e32 v1, 0
	ds_read2_b32 v[6:7], v1 offset0:9 offset1:10
	ds_read_u8 v8, v1 offset:44
	s_add_u32 s4, s96, 0x400
	s_mov_b32 s6, 0
	s_addc_u32 s5, s97, 0
	s_waitcnt lgkmcnt(1)
	v_readfirstlane_b32 s12, v7
	s_bfe_u32 s8, s12, 0x80010
	s_and_b32 s7, s12, 0xff000000
	s_lshl_b32 s9, s8, 16
	s_mov_b32 s8, s6
	s_bfe_u32 s10, s12, 0x80008
	s_lshl_b32 s11, s10, 8
	s_mov_b32 s10, s6
	s_and_b32 s12, s12, 0xff
	s_or_b64 s[6:7], s[6:7], s[8:9]
	s_or_b64 s[6:7], s[6:7], s[10:11]
	v_mov_b32_e32 v1, s12
	v_or_b32_e32 v6, s6, v6
	v_or_b32_e32 v7, s7, v1
	v_mov_b32_e32 v9, 2
	v_mov_b64_e32 v[10:11], s[4:5]
	s_waitcnt lgkmcnt(0)
	;;#ASMSTART
	global_store_dwordx4 v[10:11], v[6:9] off sc1	
s_waitcnt vmcnt(0)
	;;#ASMEND
.LBB1953_247:
	s_or_b64 exec, exec, s[2:3]
	v_mov_b32_e32 v83, v3
	v_mov_b32_e32 v82, v2
.LBB1953_248:
	s_add_u32 s0, s86, s0
	s_addc_u32 s1, s87, s1
	s_add_u32 s0, s0, s92
	v_add_u32_e32 v43, v12, v40
	v_add_u32_e32 v42, v5, v33
	s_addc_u32 s1, s1, s93
	s_and_b64 vcc, exec, s[84:85]
	s_cbranch_vccz .LBB1953_330
; %bb.249:
	s_add_i32 s33, s33, s98
	s_waitcnt lgkmcnt(0)
	v_mul_u32_u24_e32 v1, 21, v0
	v_mov_b64_e32 v[8:9], 0
	v_cmp_gt_u32_e32 vcc, s33, v1
	v_mov_b64_e32 v[4:5], v[8:9]
	v_mov_b64_e32 v[2:3], v[8:9]
	;; [unrolled: 1-line block ×20, first 2 shown]
	s_and_saveexec_b64 s[2:3], vcc
	s_cbranch_execz .LBB1953_289
; %bb.250:
	v_add_u32_e32 v2, 1, v1
	v_mov_b64_e32 v[40:41], 0
	v_cmp_gt_u32_e32 vcc, s33, v2
	v_mov_b64_e32 v[38:39], v[40:41]
	v_mov_b64_e32 v[36:37], v[40:41]
	;; [unrolled: 1-line block ×19, first 2 shown]
	s_and_saveexec_b64 s[4:5], vcc
	s_cbranch_execz .LBB1953_288
; %bb.251:
	v_add_u32_e32 v2, 2, v1
	v_mov_b64_e32 v[38:39], 0
	v_cmp_gt_u32_e32 vcc, s33, v2
	v_mov_b64_e32 v[36:37], v[38:39]
	v_mov_b64_e32 v[34:35], v[38:39]
	;; [unrolled: 1-line block ×18, first 2 shown]
	s_and_saveexec_b64 s[6:7], vcc
	s_cbranch_execz .LBB1953_287
; %bb.252:
	v_add_u32_e32 v2, 3, v1
	v_mov_b64_e32 v[36:37], 0
	v_cmp_gt_u32_e32 vcc, s33, v2
	v_mov_b64_e32 v[34:35], v[36:37]
	v_mov_b64_e32 v[32:33], v[36:37]
	;; [unrolled: 1-line block ×17, first 2 shown]
	s_and_saveexec_b64 s[8:9], vcc
	s_cbranch_execz .LBB1953_286
; %bb.253:
	v_add_u32_e32 v2, 4, v1
	v_mov_b64_e32 v[34:35], 0
	v_cmp_gt_u32_e32 vcc, s33, v2
	v_mov_b64_e32 v[32:33], v[34:35]
	v_mov_b64_e32 v[30:31], v[34:35]
	v_mov_b64_e32 v[28:29], v[34:35]
	v_mov_b64_e32 v[26:27], v[34:35]
	v_mov_b64_e32 v[24:25], v[34:35]
	v_mov_b64_e32 v[22:23], v[34:35]
	v_mov_b64_e32 v[20:21], v[34:35]
	v_mov_b64_e32 v[18:19], v[34:35]
	v_mov_b64_e32 v[16:17], v[34:35]
	v_mov_b64_e32 v[14:15], v[34:35]
	v_mov_b64_e32 v[12:13], v[34:35]
	v_mov_b64_e32 v[10:11], v[34:35]
	v_mov_b64_e32 v[6:7], v[34:35]
	v_mov_b64_e32 v[2:3], v[34:35]
	v_mov_b64_e32 v[4:5], v[34:35]
	v_mov_b64_e32 v[8:9], v[34:35]
	s_and_saveexec_b64 s[10:11], vcc
	s_cbranch_execz .LBB1953_285
; %bb.254:
	v_add_u32_e32 v2, 5, v1
	v_mov_b64_e32 v[32:33], 0
	v_cmp_gt_u32_e32 vcc, s33, v2
	v_mov_b64_e32 v[30:31], v[32:33]
	v_mov_b64_e32 v[28:29], v[32:33]
	;; [unrolled: 1-line block ×15, first 2 shown]
	s_and_saveexec_b64 s[12:13], vcc
	s_cbranch_execz .LBB1953_284
; %bb.255:
	v_add_u32_e32 v2, 6, v1
	v_mov_b64_e32 v[30:31], 0
	v_cmp_gt_u32_e32 vcc, s33, v2
	v_mov_b64_e32 v[28:29], v[30:31]
	v_mov_b64_e32 v[26:27], v[30:31]
	;; [unrolled: 1-line block ×14, first 2 shown]
	s_and_saveexec_b64 s[14:15], vcc
	s_cbranch_execz .LBB1953_283
; %bb.256:
	v_add_u32_e32 v2, 7, v1
	v_mov_b64_e32 v[28:29], 0
	v_cmp_gt_u32_e32 vcc, s33, v2
	v_mov_b64_e32 v[26:27], v[28:29]
	v_mov_b64_e32 v[24:25], v[28:29]
	;; [unrolled: 1-line block ×13, first 2 shown]
	s_and_saveexec_b64 s[16:17], vcc
	s_cbranch_execz .LBB1953_282
; %bb.257:
	v_add_u32_e32 v2, 8, v1
	v_mov_b64_e32 v[26:27], 0
	v_cmp_gt_u32_e32 vcc, s33, v2
	v_mov_b64_e32 v[24:25], v[26:27]
	v_mov_b64_e32 v[22:23], v[26:27]
	;; [unrolled: 1-line block ×12, first 2 shown]
	s_and_saveexec_b64 s[18:19], vcc
	s_cbranch_execz .LBB1953_281
; %bb.258:
	v_add_u32_e32 v2, 9, v1
	v_mov_b64_e32 v[24:25], 0
	v_cmp_gt_u32_e32 vcc, s33, v2
	v_mov_b64_e32 v[22:23], v[24:25]
	v_mov_b64_e32 v[20:21], v[24:25]
	;; [unrolled: 1-line block ×11, first 2 shown]
	s_and_saveexec_b64 s[20:21], vcc
	s_cbranch_execz .LBB1953_280
; %bb.259:
	v_add_u32_e32 v2, 10, v1
	v_mov_b64_e32 v[22:23], 0
	v_cmp_gt_u32_e32 vcc, s33, v2
	v_mov_b64_e32 v[20:21], v[22:23]
	v_mov_b64_e32 v[18:19], v[22:23]
	;; [unrolled: 1-line block ×10, first 2 shown]
	s_and_saveexec_b64 s[22:23], vcc
	s_cbranch_execz .LBB1953_279
; %bb.260:
	v_add_u32_e32 v2, 11, v1
	v_mov_b64_e32 v[20:21], 0
	v_cmp_gt_u32_e32 vcc, s33, v2
	v_mov_b64_e32 v[18:19], v[20:21]
	v_mov_b64_e32 v[16:17], v[20:21]
	;; [unrolled: 1-line block ×9, first 2 shown]
	s_and_saveexec_b64 s[24:25], vcc
	s_cbranch_execz .LBB1953_278
; %bb.261:
	v_add_u32_e32 v2, 12, v1
	v_mov_b64_e32 v[18:19], 0
	v_cmp_gt_u32_e32 vcc, s33, v2
	v_mov_b64_e32 v[16:17], v[18:19]
	v_mov_b64_e32 v[14:15], v[18:19]
	;; [unrolled: 1-line block ×8, first 2 shown]
	s_and_saveexec_b64 s[26:27], vcc
	s_cbranch_execz .LBB1953_277
; %bb.262:
	v_add_u32_e32 v2, 13, v1
	v_mov_b64_e32 v[16:17], 0
	v_cmp_gt_u32_e32 vcc, s33, v2
	v_mov_b64_e32 v[14:15], v[16:17]
	v_mov_b64_e32 v[12:13], v[16:17]
	;; [unrolled: 1-line block ×7, first 2 shown]
	s_and_saveexec_b64 s[28:29], vcc
	s_cbranch_execz .LBB1953_276
; %bb.263:
	v_add_u32_e32 v2, 14, v1
	v_mov_b64_e32 v[14:15], 0
	v_cmp_gt_u32_e32 vcc, s33, v2
	v_mov_b64_e32 v[12:13], v[14:15]
	v_mov_b64_e32 v[10:11], v[14:15]
	;; [unrolled: 1-line block ×6, first 2 shown]
	s_and_saveexec_b64 s[30:31], vcc
	s_cbranch_execz .LBB1953_275
; %bb.264:
	v_add_u32_e32 v2, 15, v1
	v_mov_b64_e32 v[12:13], 0
	v_cmp_gt_u32_e32 vcc, s33, v2
	v_mov_b64_e32 v[10:11], v[12:13]
	v_mov_b64_e32 v[6:7], v[12:13]
	;; [unrolled: 1-line block ×5, first 2 shown]
	s_and_saveexec_b64 s[34:35], vcc
	s_cbranch_execz .LBB1953_274
; %bb.265:
	v_add_u32_e32 v2, 16, v1
	v_mov_b64_e32 v[10:11], 0
	v_cmp_gt_u32_e32 vcc, s33, v2
	v_mov_b64_e32 v[6:7], v[10:11]
	v_mov_b64_e32 v[2:3], v[10:11]
	;; [unrolled: 1-line block ×4, first 2 shown]
	s_and_saveexec_b64 s[36:37], vcc
	s_cbranch_execz .LBB1953_273
; %bb.266:
	v_add_u32_e32 v2, 17, v1
	v_mov_b64_e32 v[6:7], 0
	v_cmp_gt_u32_e32 vcc, s33, v2
	v_mov_b64_e32 v[2:3], v[6:7]
	v_mov_b64_e32 v[4:5], v[6:7]
	v_mov_b64_e32 v[8:9], v[6:7]
	s_and_saveexec_b64 s[38:39], vcc
	s_cbranch_execz .LBB1953_272
; %bb.267:
	v_add_u32_e32 v2, 18, v1
	v_cmp_gt_u32_e32 vcc, s33, v2
	v_mov_b64_e32 v[2:3], 0
	v_mov_b64_e32 v[4:5], v[2:3]
	;; [unrolled: 1-line block ×3, first 2 shown]
	s_and_saveexec_b64 s[40:41], vcc
	s_cbranch_execz .LBB1953_271
; %bb.268:
	v_add_u32_e32 v2, 19, v1
	v_mov_b64_e32 v[4:5], 0
	v_cmp_gt_u32_e32 vcc, s33, v2
	v_mov_b64_e32 v[8:9], v[4:5]
	s_and_saveexec_b64 s[42:43], vcc
; %bb.269:
	v_add_u32_e32 v2, 20, v1
	v_cmp_gt_u32_e32 vcc, s33, v2
	v_mov_b64_e32 v[4:5], v[102:103]
	s_nop 0
	v_cndmask_b32_e32 v9, 0, v43, vcc
	v_cndmask_b32_e32 v8, 0, v42, vcc
; %bb.270:
	s_or_b64 exec, exec, s[42:43]
	v_mov_b64_e32 v[2:3], v[80:81]
.LBB1953_271:
	s_or_b64 exec, exec, s[40:41]
	v_mov_b64_e32 v[6:7], v[100:101]
.LBB1953_272:
	s_or_b64 exec, exec, s[38:39]
	v_mov_b64_e32 v[10:11], v[76:77]
.LBB1953_273:
	s_or_b64 exec, exec, s[36:37]
	v_mov_b64_e32 v[12:13], v[98:99]
.LBB1953_274:
	s_or_b64 exec, exec, s[34:35]
	v_mov_b64_e32 v[14:15], v[72:73]
.LBB1953_275:
	s_or_b64 exec, exec, s[30:31]
	v_mov_b64_e32 v[16:17], v[96:97]
.LBB1953_276:
	s_or_b64 exec, exec, s[28:29]
	v_mov_b64_e32 v[18:19], v[68:69]
.LBB1953_277:
	s_or_b64 exec, exec, s[26:27]
	v_mov_b64_e32 v[20:21], v[94:95]
.LBB1953_278:
	s_or_b64 exec, exec, s[24:25]
	v_mov_b64_e32 v[22:23], v[64:65]
.LBB1953_279:
	s_or_b64 exec, exec, s[22:23]
	v_mov_b64_e32 v[24:25], v[92:93]
.LBB1953_280:
	s_or_b64 exec, exec, s[20:21]
	v_mov_b64_e32 v[26:27], v[60:61]
.LBB1953_281:
	s_or_b64 exec, exec, s[18:19]
	v_mov_b64_e32 v[28:29], v[90:91]
.LBB1953_282:
	s_or_b64 exec, exec, s[16:17]
	v_mov_b64_e32 v[30:31], v[56:57]
.LBB1953_283:
	s_or_b64 exec, exec, s[14:15]
	v_mov_b64_e32 v[32:33], v[88:89]
.LBB1953_284:
	s_or_b64 exec, exec, s[12:13]
	v_mov_b64_e32 v[34:35], v[52:53]
.LBB1953_285:
	s_or_b64 exec, exec, s[10:11]
	v_mov_b64_e32 v[36:37], v[86:87]
.LBB1953_286:
	s_or_b64 exec, exec, s[8:9]
	v_mov_b64_e32 v[38:39], v[48:49]
.LBB1953_287:
	s_or_b64 exec, exec, s[6:7]
	v_mov_b64_e32 v[40:41], v[44:45]
.LBB1953_288:
	s_or_b64 exec, exec, s[4:5]
	v_mov_b64_e32 v[46:47], v[82:83]
.LBB1953_289:
	s_or_b64 exec, exec, s[2:3]
	v_lshlrev_b32_e32 v1, 3, v1
	s_movk_i32 s2, 0xff60
	s_barrier
	ds_write2_b64 v1, v[46:47], v[40:41] offset1:1
	ds_write2_b64 v1, v[38:39], v[36:37] offset0:2 offset1:3
	ds_write2_b64 v1, v[34:35], v[32:33] offset0:4 offset1:5
	;; [unrolled: 1-line block ×9, first 2 shown]
	ds_write_b64 v1, v[8:9] offset:160
	v_mad_i32_i24 v2, v0, s2, v1
	s_waitcnt lgkmcnt(0)
	s_barrier
	ds_read2st64_b64 v[38:41], v2 offset0:4 offset1:8
	ds_read2st64_b64 v[34:37], v2 offset0:12 offset1:16
	ds_read2st64_b64 v[30:33], v2 offset0:20 offset1:24
	ds_read2st64_b64 v[26:29], v2 offset0:28 offset1:32
	ds_read2st64_b64 v[22:25], v2 offset0:36 offset1:40
	ds_read2st64_b64 v[18:21], v2 offset0:44 offset1:48
	ds_read2st64_b64 v[14:17], v2 offset0:52 offset1:56
	ds_read2st64_b64 v[10:13], v2 offset0:60 offset1:64
	ds_read2st64_b64 v[6:9], v2 offset0:68 offset1:72
	ds_read2st64_b64 v[2:5], v2 offset0:76 offset1:80
	v_mov_b32_e32 v47, 0
	v_lshlrev_b32_e32 v46, 3, v0
	v_lshl_add_u64 v[50:51], s[0:1], 0, v[46:47]
	v_cmp_gt_u32_e32 vcc, s33, v0
	s_and_saveexec_b64 s[2:3], vcc
	s_cbranch_execz .LBB1953_291
; %bb.290:
	v_mul_i32_i24_e32 v46, 0xffffff60, v0
	v_add_u32_e32 v1, v1, v46
	ds_read_b64 v[54:55], v1
	s_waitcnt lgkmcnt(0)
	flat_store_dwordx2 v[50:51], v[54:55]
.LBB1953_291:
	s_or_b64 exec, exec, s[2:3]
	v_or_b32_e32 v1, 0x100, v0
	v_cmp_gt_u32_e32 vcc, s33, v1
	s_and_saveexec_b64 s[2:3], vcc
	s_cbranch_execz .LBB1953_293
; %bb.292:
	s_waitcnt lgkmcnt(0)
	flat_store_dwordx2 v[50:51], v[38:39] offset:2048
.LBB1953_293:
	s_or_b64 exec, exec, s[2:3]
	v_or_b32_e32 v1, 0x200, v0
	v_cmp_gt_u32_e32 vcc, s33, v1
	s_and_saveexec_b64 s[2:3], vcc
	s_cbranch_execz .LBB1953_295
; %bb.294:
	s_waitcnt lgkmcnt(0)
	v_add_co_u32_e32 v38, vcc, 0x1000, v50
	s_nop 1
	v_addc_co_u32_e32 v39, vcc, 0, v51, vcc
	flat_store_dwordx2 v[38:39], v[40:41]
.LBB1953_295:
	s_or_b64 exec, exec, s[2:3]
	v_or_b32_e32 v1, 0x300, v0
	v_cmp_gt_u32_e32 vcc, s33, v1
	s_and_saveexec_b64 s[2:3], vcc
	s_cbranch_execz .LBB1953_297
; %bb.296:
	s_waitcnt lgkmcnt(0)
	v_add_co_u32_e32 v38, vcc, 0x1000, v50
	s_nop 1
	v_addc_co_u32_e32 v39, vcc, 0, v51, vcc
	flat_store_dwordx2 v[38:39], v[34:35] offset:2048
.LBB1953_297:
	s_or_b64 exec, exec, s[2:3]
	v_or_b32_e32 v1, 0x400, v0
	v_cmp_gt_u32_e32 vcc, s33, v1
	s_and_saveexec_b64 s[2:3], vcc
	s_cbranch_execz .LBB1953_299
; %bb.298:
	s_waitcnt lgkmcnt(0)
	v_add_co_u32_e32 v34, vcc, 0x2000, v50
	s_nop 1
	v_addc_co_u32_e32 v35, vcc, 0, v51, vcc
	flat_store_dwordx2 v[34:35], v[36:37]
.LBB1953_299:
	s_or_b64 exec, exec, s[2:3]
	v_or_b32_e32 v1, 0x500, v0
	v_cmp_gt_u32_e32 vcc, s33, v1
	s_and_saveexec_b64 s[2:3], vcc
	s_cbranch_execz .LBB1953_301
; %bb.300:
	s_waitcnt lgkmcnt(0)
	v_add_co_u32_e32 v34, vcc, 0x2000, v50
	s_nop 1
	v_addc_co_u32_e32 v35, vcc, 0, v51, vcc
	flat_store_dwordx2 v[34:35], v[30:31] offset:2048
.LBB1953_301:
	;; [unrolled: 24-line block ×9, first 2 shown]
	s_or_b64 exec, exec, s[2:3]
	s_waitcnt lgkmcnt(0)
	v_or_b32_e32 v2, 0x1400, v0
	v_mov_b32_e32 v1, v47
	v_cmp_gt_u32_e64 s[2:3], s33, v2
	s_branch .LBB1953_332
.LBB1953_330:
	s_mov_b64 s[2:3], 0
                                        ; kill: def $vgpr2_vgpr3 killed $sgpr0_sgpr1 killed $exec
                                        ; implicit-def: $vgpr4_vgpr5
	s_cbranch_execz .LBB1953_332
; %bb.331:
	s_movk_i32 s4, 0xa8
	s_waitcnt lgkmcnt(0)
	v_mul_u32_u24_e32 v1, 0xa8, v0
	v_mul_i32_i24_e32 v2, 0xffffff60, v0
	s_barrier
	ds_write2_b64 v1, v[82:83], v[44:45] offset1:1
	ds_write2_b64 v1, v[48:49], v[86:87] offset0:2 offset1:3
	ds_write2_b64 v1, v[52:53], v[88:89] offset0:4 offset1:5
	;; [unrolled: 1-line block ×9, first 2 shown]
	ds_write_b64 v1, v[42:43] offset:160
	v_mov_b32_e32 v1, 0
	v_mad_u32_u24 v2, v0, s4, v2
	s_waitcnt lgkmcnt(0)
	s_barrier
	ds_read2st64_b64 v[6:9], v2 offset1:4
	ds_read2st64_b64 v[10:13], v2 offset0:8 offset1:12
	ds_read2st64_b64 v[14:17], v2 offset0:16 offset1:20
	;; [unrolled: 1-line block ×9, first 2 shown]
	ds_read_b64 v[4:5], v2 offset:40960
	v_lshlrev_b32_e32 v2, 3, v0
	v_mov_b32_e32 v3, v1
	v_lshl_add_u64 v[2:3], s[0:1], 0, v[2:3]
	s_movk_i32 s4, 0x1000
	s_waitcnt lgkmcnt(0)
	flat_store_dwordx2 v[2:3], v[6:7]
	flat_store_dwordx2 v[2:3], v[8:9] offset:2048
	v_add_co_u32_e32 v6, vcc, s4, v2
	s_movk_i32 s4, 0x2000
	s_nop 0
	v_addc_co_u32_e32 v7, vcc, 0, v3, vcc
	flat_store_dwordx2 v[6:7], v[10:11]
	flat_store_dwordx2 v[6:7], v[12:13] offset:2048
	v_add_co_u32_e32 v6, vcc, s4, v2
	s_movk_i32 s4, 0x3000
	s_nop 0
	v_addc_co_u32_e32 v7, vcc, 0, v3, vcc
	;; [unrolled: 6-line block ×6, first 2 shown]
	flat_store_dwordx2 v[6:7], v[30:31]
	flat_store_dwordx2 v[6:7], v[32:33] offset:2048
	v_add_co_u32_e32 v6, vcc, s4, v2
	s_or_b64 s[2:3], s[2:3], exec
	s_nop 0
	v_addc_co_u32_e32 v7, vcc, 0, v3, vcc
	flat_store_dwordx2 v[6:7], v[34:35]
	flat_store_dwordx2 v[6:7], v[36:37] offset:2048
	v_add_co_u32_e32 v6, vcc, 0x8000, v2
	s_nop 1
	v_addc_co_u32_e32 v7, vcc, 0, v3, vcc
	v_add_co_u32_e32 v2, vcc, 0x9000, v2
	flat_store_dwordx2 v[6:7], v[38:39]
	flat_store_dwordx2 v[6:7], v[40:41] offset:2048
	v_addc_co_u32_e32 v3, vcc, 0, v3, vcc
	flat_store_dwordx2 v[2:3], v[42:43]
	flat_store_dwordx2 v[2:3], v[44:45] offset:2048
.LBB1953_332:
	s_and_saveexec_b64 s[4:5], s[2:3]
	s_cbranch_execnz .LBB1953_334
; %bb.333:
	s_endpgm
.LBB1953_334:
	s_waitcnt lgkmcnt(0)
	v_lshl_add_u64 v[0:1], v[0:1], 3, s[0:1]
	v_add_co_u32_e32 v0, vcc, 0xa000, v0
	s_nop 1
	v_addc_co_u32_e32 v1, vcc, 0, v1, vcc
	flat_store_dwordx2 v[0:1], v[4:5]
	s_endpgm
.LBB1953_335:
	v_lshlrev_b32_e32 v60, 3, v62
	v_mov_b32_e32 v61, 0
	v_lshl_add_u64 v[60:61], s[48:49], 0, v[60:61]
	flat_load_dwordx2 v[60:61], v[60:61]
	s_or_b64 exec, exec, s[4:5]
	s_and_saveexec_b64 s[4:5], s[42:43]
	s_cbranch_execz .LBB1953_87
.LBB1953_336:
	v_lshlrev_b32_e32 v58, 3, v63
	v_mov_b32_e32 v59, 0
	v_lshl_add_u64 v[58:59], s[48:49], 0, v[58:59]
	flat_load_dwordx2 v[58:59], v[58:59]
	s_or_b64 exec, exec, s[4:5]
	v_mov_b64_e32 v[62:63], 0
	s_and_saveexec_b64 s[4:5], s[44:45]
	s_cbranch_execnz .LBB1953_88
	s_branch .LBB1953_89
.LBB1953_337:
                                        ; implicit-def: $sgpr56_sgpr57
	s_branch .LBB1953_46
.LBB1953_338:
                                        ; implicit-def: $sgpr4_sgpr5
	s_branch .LBB1953_134
	.section	.rodata,"a",@progbits
	.p2align	6, 0x0
	.amdhsa_kernel _ZN7rocprim17ROCPRIM_400000_NS6detail17trampoline_kernelINS0_14default_configENS1_27scan_by_key_config_selectorIj11FixedVectorIiLj2EEEEZZNS1_16scan_by_key_implILNS1_25lookback_scan_determinismE0ELb0ES3_N6thrust23THRUST_200600_302600_NS6detail15normal_iteratorINSB_10device_ptrIjEEEENSD_INSE_IS6_EEEESI_S6_NSB_4plusIvEENSB_8equal_toIvEES6_EE10hipError_tPvRmT2_T3_T4_T5_mT6_T7_P12ihipStream_tbENKUlT_T0_E_clISt17integral_constantIbLb0EES13_EEDaSY_SZ_EUlSY_E_NS1_11comp_targetILNS1_3genE5ELNS1_11target_archE942ELNS1_3gpuE9ELNS1_3repE0EEENS1_30default_config_static_selectorELNS0_4arch9wavefront6targetE1EEEvT1_
		.amdhsa_group_segment_fixed_size 43008
		.amdhsa_private_segment_fixed_size 0
		.amdhsa_kernarg_size 120
		.amdhsa_user_sgpr_count 2
		.amdhsa_user_sgpr_dispatch_ptr 0
		.amdhsa_user_sgpr_queue_ptr 0
		.amdhsa_user_sgpr_kernarg_segment_ptr 1
		.amdhsa_user_sgpr_dispatch_id 0
		.amdhsa_user_sgpr_kernarg_preload_length 0
		.amdhsa_user_sgpr_kernarg_preload_offset 0
		.amdhsa_user_sgpr_private_segment_size 0
		.amdhsa_uses_dynamic_stack 0
		.amdhsa_enable_private_segment 0
		.amdhsa_system_sgpr_workgroup_id_x 1
		.amdhsa_system_sgpr_workgroup_id_y 0
		.amdhsa_system_sgpr_workgroup_id_z 0
		.amdhsa_system_sgpr_workgroup_info 0
		.amdhsa_system_vgpr_workitem_id 0
		.amdhsa_next_free_vgpr 137
		.amdhsa_next_free_sgpr 100
		.amdhsa_accum_offset 140
		.amdhsa_reserve_vcc 1
		.amdhsa_float_round_mode_32 0
		.amdhsa_float_round_mode_16_64 0
		.amdhsa_float_denorm_mode_32 3
		.amdhsa_float_denorm_mode_16_64 3
		.amdhsa_dx10_clamp 1
		.amdhsa_ieee_mode 1
		.amdhsa_fp16_overflow 0
		.amdhsa_tg_split 0
		.amdhsa_exception_fp_ieee_invalid_op 0
		.amdhsa_exception_fp_denorm_src 0
		.amdhsa_exception_fp_ieee_div_zero 0
		.amdhsa_exception_fp_ieee_overflow 0
		.amdhsa_exception_fp_ieee_underflow 0
		.amdhsa_exception_fp_ieee_inexact 0
		.amdhsa_exception_int_div_zero 0
	.end_amdhsa_kernel
	.section	.text._ZN7rocprim17ROCPRIM_400000_NS6detail17trampoline_kernelINS0_14default_configENS1_27scan_by_key_config_selectorIj11FixedVectorIiLj2EEEEZZNS1_16scan_by_key_implILNS1_25lookback_scan_determinismE0ELb0ES3_N6thrust23THRUST_200600_302600_NS6detail15normal_iteratorINSB_10device_ptrIjEEEENSD_INSE_IS6_EEEESI_S6_NSB_4plusIvEENSB_8equal_toIvEES6_EE10hipError_tPvRmT2_T3_T4_T5_mT6_T7_P12ihipStream_tbENKUlT_T0_E_clISt17integral_constantIbLb0EES13_EEDaSY_SZ_EUlSY_E_NS1_11comp_targetILNS1_3genE5ELNS1_11target_archE942ELNS1_3gpuE9ELNS1_3repE0EEENS1_30default_config_static_selectorELNS0_4arch9wavefront6targetE1EEEvT1_,"axG",@progbits,_ZN7rocprim17ROCPRIM_400000_NS6detail17trampoline_kernelINS0_14default_configENS1_27scan_by_key_config_selectorIj11FixedVectorIiLj2EEEEZZNS1_16scan_by_key_implILNS1_25lookback_scan_determinismE0ELb0ES3_N6thrust23THRUST_200600_302600_NS6detail15normal_iteratorINSB_10device_ptrIjEEEENSD_INSE_IS6_EEEESI_S6_NSB_4plusIvEENSB_8equal_toIvEES6_EE10hipError_tPvRmT2_T3_T4_T5_mT6_T7_P12ihipStream_tbENKUlT_T0_E_clISt17integral_constantIbLb0EES13_EEDaSY_SZ_EUlSY_E_NS1_11comp_targetILNS1_3genE5ELNS1_11target_archE942ELNS1_3gpuE9ELNS1_3repE0EEENS1_30default_config_static_selectorELNS0_4arch9wavefront6targetE1EEEvT1_,comdat
.Lfunc_end1953:
	.size	_ZN7rocprim17ROCPRIM_400000_NS6detail17trampoline_kernelINS0_14default_configENS1_27scan_by_key_config_selectorIj11FixedVectorIiLj2EEEEZZNS1_16scan_by_key_implILNS1_25lookback_scan_determinismE0ELb0ES3_N6thrust23THRUST_200600_302600_NS6detail15normal_iteratorINSB_10device_ptrIjEEEENSD_INSE_IS6_EEEESI_S6_NSB_4plusIvEENSB_8equal_toIvEES6_EE10hipError_tPvRmT2_T3_T4_T5_mT6_T7_P12ihipStream_tbENKUlT_T0_E_clISt17integral_constantIbLb0EES13_EEDaSY_SZ_EUlSY_E_NS1_11comp_targetILNS1_3genE5ELNS1_11target_archE942ELNS1_3gpuE9ELNS1_3repE0EEENS1_30default_config_static_selectorELNS0_4arch9wavefront6targetE1EEEvT1_, .Lfunc_end1953-_ZN7rocprim17ROCPRIM_400000_NS6detail17trampoline_kernelINS0_14default_configENS1_27scan_by_key_config_selectorIj11FixedVectorIiLj2EEEEZZNS1_16scan_by_key_implILNS1_25lookback_scan_determinismE0ELb0ES3_N6thrust23THRUST_200600_302600_NS6detail15normal_iteratorINSB_10device_ptrIjEEEENSD_INSE_IS6_EEEESI_S6_NSB_4plusIvEENSB_8equal_toIvEES6_EE10hipError_tPvRmT2_T3_T4_T5_mT6_T7_P12ihipStream_tbENKUlT_T0_E_clISt17integral_constantIbLb0EES13_EEDaSY_SZ_EUlSY_E_NS1_11comp_targetILNS1_3genE5ELNS1_11target_archE942ELNS1_3gpuE9ELNS1_3repE0EEENS1_30default_config_static_selectorELNS0_4arch9wavefront6targetE1EEEvT1_
                                        ; -- End function
	.section	.AMDGPU.csdata,"",@progbits
; Kernel info:
; codeLenInByte = 19232
; NumSgprs: 106
; NumVgprs: 137
; NumAgprs: 0
; TotalNumVgprs: 137
; ScratchSize: 0
; MemoryBound: 0
; FloatMode: 240
; IeeeMode: 1
; LDSByteSize: 43008 bytes/workgroup (compile time only)
; SGPRBlocks: 13
; VGPRBlocks: 17
; NumSGPRsForWavesPerEU: 106
; NumVGPRsForWavesPerEU: 137
; AccumOffset: 140
; Occupancy: 1
; WaveLimiterHint : 1
; COMPUTE_PGM_RSRC2:SCRATCH_EN: 0
; COMPUTE_PGM_RSRC2:USER_SGPR: 2
; COMPUTE_PGM_RSRC2:TRAP_HANDLER: 0
; COMPUTE_PGM_RSRC2:TGID_X_EN: 1
; COMPUTE_PGM_RSRC2:TGID_Y_EN: 0
; COMPUTE_PGM_RSRC2:TGID_Z_EN: 0
; COMPUTE_PGM_RSRC2:TIDIG_COMP_CNT: 0
; COMPUTE_PGM_RSRC3_GFX90A:ACCUM_OFFSET: 34
; COMPUTE_PGM_RSRC3_GFX90A:TG_SPLIT: 0
	.section	.text._ZN7rocprim17ROCPRIM_400000_NS6detail17trampoline_kernelINS0_14default_configENS1_27scan_by_key_config_selectorIj11FixedVectorIiLj2EEEEZZNS1_16scan_by_key_implILNS1_25lookback_scan_determinismE0ELb0ES3_N6thrust23THRUST_200600_302600_NS6detail15normal_iteratorINSB_10device_ptrIjEEEENSD_INSE_IS6_EEEESI_S6_NSB_4plusIvEENSB_8equal_toIvEES6_EE10hipError_tPvRmT2_T3_T4_T5_mT6_T7_P12ihipStream_tbENKUlT_T0_E_clISt17integral_constantIbLb0EES13_EEDaSY_SZ_EUlSY_E_NS1_11comp_targetILNS1_3genE4ELNS1_11target_archE910ELNS1_3gpuE8ELNS1_3repE0EEENS1_30default_config_static_selectorELNS0_4arch9wavefront6targetE1EEEvT1_,"axG",@progbits,_ZN7rocprim17ROCPRIM_400000_NS6detail17trampoline_kernelINS0_14default_configENS1_27scan_by_key_config_selectorIj11FixedVectorIiLj2EEEEZZNS1_16scan_by_key_implILNS1_25lookback_scan_determinismE0ELb0ES3_N6thrust23THRUST_200600_302600_NS6detail15normal_iteratorINSB_10device_ptrIjEEEENSD_INSE_IS6_EEEESI_S6_NSB_4plusIvEENSB_8equal_toIvEES6_EE10hipError_tPvRmT2_T3_T4_T5_mT6_T7_P12ihipStream_tbENKUlT_T0_E_clISt17integral_constantIbLb0EES13_EEDaSY_SZ_EUlSY_E_NS1_11comp_targetILNS1_3genE4ELNS1_11target_archE910ELNS1_3gpuE8ELNS1_3repE0EEENS1_30default_config_static_selectorELNS0_4arch9wavefront6targetE1EEEvT1_,comdat
	.protected	_ZN7rocprim17ROCPRIM_400000_NS6detail17trampoline_kernelINS0_14default_configENS1_27scan_by_key_config_selectorIj11FixedVectorIiLj2EEEEZZNS1_16scan_by_key_implILNS1_25lookback_scan_determinismE0ELb0ES3_N6thrust23THRUST_200600_302600_NS6detail15normal_iteratorINSB_10device_ptrIjEEEENSD_INSE_IS6_EEEESI_S6_NSB_4plusIvEENSB_8equal_toIvEES6_EE10hipError_tPvRmT2_T3_T4_T5_mT6_T7_P12ihipStream_tbENKUlT_T0_E_clISt17integral_constantIbLb0EES13_EEDaSY_SZ_EUlSY_E_NS1_11comp_targetILNS1_3genE4ELNS1_11target_archE910ELNS1_3gpuE8ELNS1_3repE0EEENS1_30default_config_static_selectorELNS0_4arch9wavefront6targetE1EEEvT1_ ; -- Begin function _ZN7rocprim17ROCPRIM_400000_NS6detail17trampoline_kernelINS0_14default_configENS1_27scan_by_key_config_selectorIj11FixedVectorIiLj2EEEEZZNS1_16scan_by_key_implILNS1_25lookback_scan_determinismE0ELb0ES3_N6thrust23THRUST_200600_302600_NS6detail15normal_iteratorINSB_10device_ptrIjEEEENSD_INSE_IS6_EEEESI_S6_NSB_4plusIvEENSB_8equal_toIvEES6_EE10hipError_tPvRmT2_T3_T4_T5_mT6_T7_P12ihipStream_tbENKUlT_T0_E_clISt17integral_constantIbLb0EES13_EEDaSY_SZ_EUlSY_E_NS1_11comp_targetILNS1_3genE4ELNS1_11target_archE910ELNS1_3gpuE8ELNS1_3repE0EEENS1_30default_config_static_selectorELNS0_4arch9wavefront6targetE1EEEvT1_
	.globl	_ZN7rocprim17ROCPRIM_400000_NS6detail17trampoline_kernelINS0_14default_configENS1_27scan_by_key_config_selectorIj11FixedVectorIiLj2EEEEZZNS1_16scan_by_key_implILNS1_25lookback_scan_determinismE0ELb0ES3_N6thrust23THRUST_200600_302600_NS6detail15normal_iteratorINSB_10device_ptrIjEEEENSD_INSE_IS6_EEEESI_S6_NSB_4plusIvEENSB_8equal_toIvEES6_EE10hipError_tPvRmT2_T3_T4_T5_mT6_T7_P12ihipStream_tbENKUlT_T0_E_clISt17integral_constantIbLb0EES13_EEDaSY_SZ_EUlSY_E_NS1_11comp_targetILNS1_3genE4ELNS1_11target_archE910ELNS1_3gpuE8ELNS1_3repE0EEENS1_30default_config_static_selectorELNS0_4arch9wavefront6targetE1EEEvT1_
	.p2align	8
	.type	_ZN7rocprim17ROCPRIM_400000_NS6detail17trampoline_kernelINS0_14default_configENS1_27scan_by_key_config_selectorIj11FixedVectorIiLj2EEEEZZNS1_16scan_by_key_implILNS1_25lookback_scan_determinismE0ELb0ES3_N6thrust23THRUST_200600_302600_NS6detail15normal_iteratorINSB_10device_ptrIjEEEENSD_INSE_IS6_EEEESI_S6_NSB_4plusIvEENSB_8equal_toIvEES6_EE10hipError_tPvRmT2_T3_T4_T5_mT6_T7_P12ihipStream_tbENKUlT_T0_E_clISt17integral_constantIbLb0EES13_EEDaSY_SZ_EUlSY_E_NS1_11comp_targetILNS1_3genE4ELNS1_11target_archE910ELNS1_3gpuE8ELNS1_3repE0EEENS1_30default_config_static_selectorELNS0_4arch9wavefront6targetE1EEEvT1_,@function
_ZN7rocprim17ROCPRIM_400000_NS6detail17trampoline_kernelINS0_14default_configENS1_27scan_by_key_config_selectorIj11FixedVectorIiLj2EEEEZZNS1_16scan_by_key_implILNS1_25lookback_scan_determinismE0ELb0ES3_N6thrust23THRUST_200600_302600_NS6detail15normal_iteratorINSB_10device_ptrIjEEEENSD_INSE_IS6_EEEESI_S6_NSB_4plusIvEENSB_8equal_toIvEES6_EE10hipError_tPvRmT2_T3_T4_T5_mT6_T7_P12ihipStream_tbENKUlT_T0_E_clISt17integral_constantIbLb0EES13_EEDaSY_SZ_EUlSY_E_NS1_11comp_targetILNS1_3genE4ELNS1_11target_archE910ELNS1_3gpuE8ELNS1_3repE0EEENS1_30default_config_static_selectorELNS0_4arch9wavefront6targetE1EEEvT1_: ; @_ZN7rocprim17ROCPRIM_400000_NS6detail17trampoline_kernelINS0_14default_configENS1_27scan_by_key_config_selectorIj11FixedVectorIiLj2EEEEZZNS1_16scan_by_key_implILNS1_25lookback_scan_determinismE0ELb0ES3_N6thrust23THRUST_200600_302600_NS6detail15normal_iteratorINSB_10device_ptrIjEEEENSD_INSE_IS6_EEEESI_S6_NSB_4plusIvEENSB_8equal_toIvEES6_EE10hipError_tPvRmT2_T3_T4_T5_mT6_T7_P12ihipStream_tbENKUlT_T0_E_clISt17integral_constantIbLb0EES13_EEDaSY_SZ_EUlSY_E_NS1_11comp_targetILNS1_3genE4ELNS1_11target_archE910ELNS1_3gpuE8ELNS1_3repE0EEENS1_30default_config_static_selectorELNS0_4arch9wavefront6targetE1EEEvT1_
; %bb.0:
	.section	.rodata,"a",@progbits
	.p2align	6, 0x0
	.amdhsa_kernel _ZN7rocprim17ROCPRIM_400000_NS6detail17trampoline_kernelINS0_14default_configENS1_27scan_by_key_config_selectorIj11FixedVectorIiLj2EEEEZZNS1_16scan_by_key_implILNS1_25lookback_scan_determinismE0ELb0ES3_N6thrust23THRUST_200600_302600_NS6detail15normal_iteratorINSB_10device_ptrIjEEEENSD_INSE_IS6_EEEESI_S6_NSB_4plusIvEENSB_8equal_toIvEES6_EE10hipError_tPvRmT2_T3_T4_T5_mT6_T7_P12ihipStream_tbENKUlT_T0_E_clISt17integral_constantIbLb0EES13_EEDaSY_SZ_EUlSY_E_NS1_11comp_targetILNS1_3genE4ELNS1_11target_archE910ELNS1_3gpuE8ELNS1_3repE0EEENS1_30default_config_static_selectorELNS0_4arch9wavefront6targetE1EEEvT1_
		.amdhsa_group_segment_fixed_size 0
		.amdhsa_private_segment_fixed_size 0
		.amdhsa_kernarg_size 120
		.amdhsa_user_sgpr_count 2
		.amdhsa_user_sgpr_dispatch_ptr 0
		.amdhsa_user_sgpr_queue_ptr 0
		.amdhsa_user_sgpr_kernarg_segment_ptr 1
		.amdhsa_user_sgpr_dispatch_id 0
		.amdhsa_user_sgpr_kernarg_preload_length 0
		.amdhsa_user_sgpr_kernarg_preload_offset 0
		.amdhsa_user_sgpr_private_segment_size 0
		.amdhsa_uses_dynamic_stack 0
		.amdhsa_enable_private_segment 0
		.amdhsa_system_sgpr_workgroup_id_x 1
		.amdhsa_system_sgpr_workgroup_id_y 0
		.amdhsa_system_sgpr_workgroup_id_z 0
		.amdhsa_system_sgpr_workgroup_info 0
		.amdhsa_system_vgpr_workitem_id 0
		.amdhsa_next_free_vgpr 1
		.amdhsa_next_free_sgpr 0
		.amdhsa_accum_offset 4
		.amdhsa_reserve_vcc 0
		.amdhsa_float_round_mode_32 0
		.amdhsa_float_round_mode_16_64 0
		.amdhsa_float_denorm_mode_32 3
		.amdhsa_float_denorm_mode_16_64 3
		.amdhsa_dx10_clamp 1
		.amdhsa_ieee_mode 1
		.amdhsa_fp16_overflow 0
		.amdhsa_tg_split 0
		.amdhsa_exception_fp_ieee_invalid_op 0
		.amdhsa_exception_fp_denorm_src 0
		.amdhsa_exception_fp_ieee_div_zero 0
		.amdhsa_exception_fp_ieee_overflow 0
		.amdhsa_exception_fp_ieee_underflow 0
		.amdhsa_exception_fp_ieee_inexact 0
		.amdhsa_exception_int_div_zero 0
	.end_amdhsa_kernel
	.section	.text._ZN7rocprim17ROCPRIM_400000_NS6detail17trampoline_kernelINS0_14default_configENS1_27scan_by_key_config_selectorIj11FixedVectorIiLj2EEEEZZNS1_16scan_by_key_implILNS1_25lookback_scan_determinismE0ELb0ES3_N6thrust23THRUST_200600_302600_NS6detail15normal_iteratorINSB_10device_ptrIjEEEENSD_INSE_IS6_EEEESI_S6_NSB_4plusIvEENSB_8equal_toIvEES6_EE10hipError_tPvRmT2_T3_T4_T5_mT6_T7_P12ihipStream_tbENKUlT_T0_E_clISt17integral_constantIbLb0EES13_EEDaSY_SZ_EUlSY_E_NS1_11comp_targetILNS1_3genE4ELNS1_11target_archE910ELNS1_3gpuE8ELNS1_3repE0EEENS1_30default_config_static_selectorELNS0_4arch9wavefront6targetE1EEEvT1_,"axG",@progbits,_ZN7rocprim17ROCPRIM_400000_NS6detail17trampoline_kernelINS0_14default_configENS1_27scan_by_key_config_selectorIj11FixedVectorIiLj2EEEEZZNS1_16scan_by_key_implILNS1_25lookback_scan_determinismE0ELb0ES3_N6thrust23THRUST_200600_302600_NS6detail15normal_iteratorINSB_10device_ptrIjEEEENSD_INSE_IS6_EEEESI_S6_NSB_4plusIvEENSB_8equal_toIvEES6_EE10hipError_tPvRmT2_T3_T4_T5_mT6_T7_P12ihipStream_tbENKUlT_T0_E_clISt17integral_constantIbLb0EES13_EEDaSY_SZ_EUlSY_E_NS1_11comp_targetILNS1_3genE4ELNS1_11target_archE910ELNS1_3gpuE8ELNS1_3repE0EEENS1_30default_config_static_selectorELNS0_4arch9wavefront6targetE1EEEvT1_,comdat
.Lfunc_end1954:
	.size	_ZN7rocprim17ROCPRIM_400000_NS6detail17trampoline_kernelINS0_14default_configENS1_27scan_by_key_config_selectorIj11FixedVectorIiLj2EEEEZZNS1_16scan_by_key_implILNS1_25lookback_scan_determinismE0ELb0ES3_N6thrust23THRUST_200600_302600_NS6detail15normal_iteratorINSB_10device_ptrIjEEEENSD_INSE_IS6_EEEESI_S6_NSB_4plusIvEENSB_8equal_toIvEES6_EE10hipError_tPvRmT2_T3_T4_T5_mT6_T7_P12ihipStream_tbENKUlT_T0_E_clISt17integral_constantIbLb0EES13_EEDaSY_SZ_EUlSY_E_NS1_11comp_targetILNS1_3genE4ELNS1_11target_archE910ELNS1_3gpuE8ELNS1_3repE0EEENS1_30default_config_static_selectorELNS0_4arch9wavefront6targetE1EEEvT1_, .Lfunc_end1954-_ZN7rocprim17ROCPRIM_400000_NS6detail17trampoline_kernelINS0_14default_configENS1_27scan_by_key_config_selectorIj11FixedVectorIiLj2EEEEZZNS1_16scan_by_key_implILNS1_25lookback_scan_determinismE0ELb0ES3_N6thrust23THRUST_200600_302600_NS6detail15normal_iteratorINSB_10device_ptrIjEEEENSD_INSE_IS6_EEEESI_S6_NSB_4plusIvEENSB_8equal_toIvEES6_EE10hipError_tPvRmT2_T3_T4_T5_mT6_T7_P12ihipStream_tbENKUlT_T0_E_clISt17integral_constantIbLb0EES13_EEDaSY_SZ_EUlSY_E_NS1_11comp_targetILNS1_3genE4ELNS1_11target_archE910ELNS1_3gpuE8ELNS1_3repE0EEENS1_30default_config_static_selectorELNS0_4arch9wavefront6targetE1EEEvT1_
                                        ; -- End function
	.section	.AMDGPU.csdata,"",@progbits
; Kernel info:
; codeLenInByte = 0
; NumSgprs: 6
; NumVgprs: 0
; NumAgprs: 0
; TotalNumVgprs: 0
; ScratchSize: 0
; MemoryBound: 0
; FloatMode: 240
; IeeeMode: 1
; LDSByteSize: 0 bytes/workgroup (compile time only)
; SGPRBlocks: 0
; VGPRBlocks: 0
; NumSGPRsForWavesPerEU: 6
; NumVGPRsForWavesPerEU: 1
; AccumOffset: 4
; Occupancy: 8
; WaveLimiterHint : 0
; COMPUTE_PGM_RSRC2:SCRATCH_EN: 0
; COMPUTE_PGM_RSRC2:USER_SGPR: 2
; COMPUTE_PGM_RSRC2:TRAP_HANDLER: 0
; COMPUTE_PGM_RSRC2:TGID_X_EN: 1
; COMPUTE_PGM_RSRC2:TGID_Y_EN: 0
; COMPUTE_PGM_RSRC2:TGID_Z_EN: 0
; COMPUTE_PGM_RSRC2:TIDIG_COMP_CNT: 0
; COMPUTE_PGM_RSRC3_GFX90A:ACCUM_OFFSET: 0
; COMPUTE_PGM_RSRC3_GFX90A:TG_SPLIT: 0
	.section	.text._ZN7rocprim17ROCPRIM_400000_NS6detail17trampoline_kernelINS0_14default_configENS1_27scan_by_key_config_selectorIj11FixedVectorIiLj2EEEEZZNS1_16scan_by_key_implILNS1_25lookback_scan_determinismE0ELb0ES3_N6thrust23THRUST_200600_302600_NS6detail15normal_iteratorINSB_10device_ptrIjEEEENSD_INSE_IS6_EEEESI_S6_NSB_4plusIvEENSB_8equal_toIvEES6_EE10hipError_tPvRmT2_T3_T4_T5_mT6_T7_P12ihipStream_tbENKUlT_T0_E_clISt17integral_constantIbLb0EES13_EEDaSY_SZ_EUlSY_E_NS1_11comp_targetILNS1_3genE3ELNS1_11target_archE908ELNS1_3gpuE7ELNS1_3repE0EEENS1_30default_config_static_selectorELNS0_4arch9wavefront6targetE1EEEvT1_,"axG",@progbits,_ZN7rocprim17ROCPRIM_400000_NS6detail17trampoline_kernelINS0_14default_configENS1_27scan_by_key_config_selectorIj11FixedVectorIiLj2EEEEZZNS1_16scan_by_key_implILNS1_25lookback_scan_determinismE0ELb0ES3_N6thrust23THRUST_200600_302600_NS6detail15normal_iteratorINSB_10device_ptrIjEEEENSD_INSE_IS6_EEEESI_S6_NSB_4plusIvEENSB_8equal_toIvEES6_EE10hipError_tPvRmT2_T3_T4_T5_mT6_T7_P12ihipStream_tbENKUlT_T0_E_clISt17integral_constantIbLb0EES13_EEDaSY_SZ_EUlSY_E_NS1_11comp_targetILNS1_3genE3ELNS1_11target_archE908ELNS1_3gpuE7ELNS1_3repE0EEENS1_30default_config_static_selectorELNS0_4arch9wavefront6targetE1EEEvT1_,comdat
	.protected	_ZN7rocprim17ROCPRIM_400000_NS6detail17trampoline_kernelINS0_14default_configENS1_27scan_by_key_config_selectorIj11FixedVectorIiLj2EEEEZZNS1_16scan_by_key_implILNS1_25lookback_scan_determinismE0ELb0ES3_N6thrust23THRUST_200600_302600_NS6detail15normal_iteratorINSB_10device_ptrIjEEEENSD_INSE_IS6_EEEESI_S6_NSB_4plusIvEENSB_8equal_toIvEES6_EE10hipError_tPvRmT2_T3_T4_T5_mT6_T7_P12ihipStream_tbENKUlT_T0_E_clISt17integral_constantIbLb0EES13_EEDaSY_SZ_EUlSY_E_NS1_11comp_targetILNS1_3genE3ELNS1_11target_archE908ELNS1_3gpuE7ELNS1_3repE0EEENS1_30default_config_static_selectorELNS0_4arch9wavefront6targetE1EEEvT1_ ; -- Begin function _ZN7rocprim17ROCPRIM_400000_NS6detail17trampoline_kernelINS0_14default_configENS1_27scan_by_key_config_selectorIj11FixedVectorIiLj2EEEEZZNS1_16scan_by_key_implILNS1_25lookback_scan_determinismE0ELb0ES3_N6thrust23THRUST_200600_302600_NS6detail15normal_iteratorINSB_10device_ptrIjEEEENSD_INSE_IS6_EEEESI_S6_NSB_4plusIvEENSB_8equal_toIvEES6_EE10hipError_tPvRmT2_T3_T4_T5_mT6_T7_P12ihipStream_tbENKUlT_T0_E_clISt17integral_constantIbLb0EES13_EEDaSY_SZ_EUlSY_E_NS1_11comp_targetILNS1_3genE3ELNS1_11target_archE908ELNS1_3gpuE7ELNS1_3repE0EEENS1_30default_config_static_selectorELNS0_4arch9wavefront6targetE1EEEvT1_
	.globl	_ZN7rocprim17ROCPRIM_400000_NS6detail17trampoline_kernelINS0_14default_configENS1_27scan_by_key_config_selectorIj11FixedVectorIiLj2EEEEZZNS1_16scan_by_key_implILNS1_25lookback_scan_determinismE0ELb0ES3_N6thrust23THRUST_200600_302600_NS6detail15normal_iteratorINSB_10device_ptrIjEEEENSD_INSE_IS6_EEEESI_S6_NSB_4plusIvEENSB_8equal_toIvEES6_EE10hipError_tPvRmT2_T3_T4_T5_mT6_T7_P12ihipStream_tbENKUlT_T0_E_clISt17integral_constantIbLb0EES13_EEDaSY_SZ_EUlSY_E_NS1_11comp_targetILNS1_3genE3ELNS1_11target_archE908ELNS1_3gpuE7ELNS1_3repE0EEENS1_30default_config_static_selectorELNS0_4arch9wavefront6targetE1EEEvT1_
	.p2align	8
	.type	_ZN7rocprim17ROCPRIM_400000_NS6detail17trampoline_kernelINS0_14default_configENS1_27scan_by_key_config_selectorIj11FixedVectorIiLj2EEEEZZNS1_16scan_by_key_implILNS1_25lookback_scan_determinismE0ELb0ES3_N6thrust23THRUST_200600_302600_NS6detail15normal_iteratorINSB_10device_ptrIjEEEENSD_INSE_IS6_EEEESI_S6_NSB_4plusIvEENSB_8equal_toIvEES6_EE10hipError_tPvRmT2_T3_T4_T5_mT6_T7_P12ihipStream_tbENKUlT_T0_E_clISt17integral_constantIbLb0EES13_EEDaSY_SZ_EUlSY_E_NS1_11comp_targetILNS1_3genE3ELNS1_11target_archE908ELNS1_3gpuE7ELNS1_3repE0EEENS1_30default_config_static_selectorELNS0_4arch9wavefront6targetE1EEEvT1_,@function
_ZN7rocprim17ROCPRIM_400000_NS6detail17trampoline_kernelINS0_14default_configENS1_27scan_by_key_config_selectorIj11FixedVectorIiLj2EEEEZZNS1_16scan_by_key_implILNS1_25lookback_scan_determinismE0ELb0ES3_N6thrust23THRUST_200600_302600_NS6detail15normal_iteratorINSB_10device_ptrIjEEEENSD_INSE_IS6_EEEESI_S6_NSB_4plusIvEENSB_8equal_toIvEES6_EE10hipError_tPvRmT2_T3_T4_T5_mT6_T7_P12ihipStream_tbENKUlT_T0_E_clISt17integral_constantIbLb0EES13_EEDaSY_SZ_EUlSY_E_NS1_11comp_targetILNS1_3genE3ELNS1_11target_archE908ELNS1_3gpuE7ELNS1_3repE0EEENS1_30default_config_static_selectorELNS0_4arch9wavefront6targetE1EEEvT1_: ; @_ZN7rocprim17ROCPRIM_400000_NS6detail17trampoline_kernelINS0_14default_configENS1_27scan_by_key_config_selectorIj11FixedVectorIiLj2EEEEZZNS1_16scan_by_key_implILNS1_25lookback_scan_determinismE0ELb0ES3_N6thrust23THRUST_200600_302600_NS6detail15normal_iteratorINSB_10device_ptrIjEEEENSD_INSE_IS6_EEEESI_S6_NSB_4plusIvEENSB_8equal_toIvEES6_EE10hipError_tPvRmT2_T3_T4_T5_mT6_T7_P12ihipStream_tbENKUlT_T0_E_clISt17integral_constantIbLb0EES13_EEDaSY_SZ_EUlSY_E_NS1_11comp_targetILNS1_3genE3ELNS1_11target_archE908ELNS1_3gpuE7ELNS1_3repE0EEENS1_30default_config_static_selectorELNS0_4arch9wavefront6targetE1EEEvT1_
; %bb.0:
	.section	.rodata,"a",@progbits
	.p2align	6, 0x0
	.amdhsa_kernel _ZN7rocprim17ROCPRIM_400000_NS6detail17trampoline_kernelINS0_14default_configENS1_27scan_by_key_config_selectorIj11FixedVectorIiLj2EEEEZZNS1_16scan_by_key_implILNS1_25lookback_scan_determinismE0ELb0ES3_N6thrust23THRUST_200600_302600_NS6detail15normal_iteratorINSB_10device_ptrIjEEEENSD_INSE_IS6_EEEESI_S6_NSB_4plusIvEENSB_8equal_toIvEES6_EE10hipError_tPvRmT2_T3_T4_T5_mT6_T7_P12ihipStream_tbENKUlT_T0_E_clISt17integral_constantIbLb0EES13_EEDaSY_SZ_EUlSY_E_NS1_11comp_targetILNS1_3genE3ELNS1_11target_archE908ELNS1_3gpuE7ELNS1_3repE0EEENS1_30default_config_static_selectorELNS0_4arch9wavefront6targetE1EEEvT1_
		.amdhsa_group_segment_fixed_size 0
		.amdhsa_private_segment_fixed_size 0
		.amdhsa_kernarg_size 120
		.amdhsa_user_sgpr_count 2
		.amdhsa_user_sgpr_dispatch_ptr 0
		.amdhsa_user_sgpr_queue_ptr 0
		.amdhsa_user_sgpr_kernarg_segment_ptr 1
		.amdhsa_user_sgpr_dispatch_id 0
		.amdhsa_user_sgpr_kernarg_preload_length 0
		.amdhsa_user_sgpr_kernarg_preload_offset 0
		.amdhsa_user_sgpr_private_segment_size 0
		.amdhsa_uses_dynamic_stack 0
		.amdhsa_enable_private_segment 0
		.amdhsa_system_sgpr_workgroup_id_x 1
		.amdhsa_system_sgpr_workgroup_id_y 0
		.amdhsa_system_sgpr_workgroup_id_z 0
		.amdhsa_system_sgpr_workgroup_info 0
		.amdhsa_system_vgpr_workitem_id 0
		.amdhsa_next_free_vgpr 1
		.amdhsa_next_free_sgpr 0
		.amdhsa_accum_offset 4
		.amdhsa_reserve_vcc 0
		.amdhsa_float_round_mode_32 0
		.amdhsa_float_round_mode_16_64 0
		.amdhsa_float_denorm_mode_32 3
		.amdhsa_float_denorm_mode_16_64 3
		.amdhsa_dx10_clamp 1
		.amdhsa_ieee_mode 1
		.amdhsa_fp16_overflow 0
		.amdhsa_tg_split 0
		.amdhsa_exception_fp_ieee_invalid_op 0
		.amdhsa_exception_fp_denorm_src 0
		.amdhsa_exception_fp_ieee_div_zero 0
		.amdhsa_exception_fp_ieee_overflow 0
		.amdhsa_exception_fp_ieee_underflow 0
		.amdhsa_exception_fp_ieee_inexact 0
		.amdhsa_exception_int_div_zero 0
	.end_amdhsa_kernel
	.section	.text._ZN7rocprim17ROCPRIM_400000_NS6detail17trampoline_kernelINS0_14default_configENS1_27scan_by_key_config_selectorIj11FixedVectorIiLj2EEEEZZNS1_16scan_by_key_implILNS1_25lookback_scan_determinismE0ELb0ES3_N6thrust23THRUST_200600_302600_NS6detail15normal_iteratorINSB_10device_ptrIjEEEENSD_INSE_IS6_EEEESI_S6_NSB_4plusIvEENSB_8equal_toIvEES6_EE10hipError_tPvRmT2_T3_T4_T5_mT6_T7_P12ihipStream_tbENKUlT_T0_E_clISt17integral_constantIbLb0EES13_EEDaSY_SZ_EUlSY_E_NS1_11comp_targetILNS1_3genE3ELNS1_11target_archE908ELNS1_3gpuE7ELNS1_3repE0EEENS1_30default_config_static_selectorELNS0_4arch9wavefront6targetE1EEEvT1_,"axG",@progbits,_ZN7rocprim17ROCPRIM_400000_NS6detail17trampoline_kernelINS0_14default_configENS1_27scan_by_key_config_selectorIj11FixedVectorIiLj2EEEEZZNS1_16scan_by_key_implILNS1_25lookback_scan_determinismE0ELb0ES3_N6thrust23THRUST_200600_302600_NS6detail15normal_iteratorINSB_10device_ptrIjEEEENSD_INSE_IS6_EEEESI_S6_NSB_4plusIvEENSB_8equal_toIvEES6_EE10hipError_tPvRmT2_T3_T4_T5_mT6_T7_P12ihipStream_tbENKUlT_T0_E_clISt17integral_constantIbLb0EES13_EEDaSY_SZ_EUlSY_E_NS1_11comp_targetILNS1_3genE3ELNS1_11target_archE908ELNS1_3gpuE7ELNS1_3repE0EEENS1_30default_config_static_selectorELNS0_4arch9wavefront6targetE1EEEvT1_,comdat
.Lfunc_end1955:
	.size	_ZN7rocprim17ROCPRIM_400000_NS6detail17trampoline_kernelINS0_14default_configENS1_27scan_by_key_config_selectorIj11FixedVectorIiLj2EEEEZZNS1_16scan_by_key_implILNS1_25lookback_scan_determinismE0ELb0ES3_N6thrust23THRUST_200600_302600_NS6detail15normal_iteratorINSB_10device_ptrIjEEEENSD_INSE_IS6_EEEESI_S6_NSB_4plusIvEENSB_8equal_toIvEES6_EE10hipError_tPvRmT2_T3_T4_T5_mT6_T7_P12ihipStream_tbENKUlT_T0_E_clISt17integral_constantIbLb0EES13_EEDaSY_SZ_EUlSY_E_NS1_11comp_targetILNS1_3genE3ELNS1_11target_archE908ELNS1_3gpuE7ELNS1_3repE0EEENS1_30default_config_static_selectorELNS0_4arch9wavefront6targetE1EEEvT1_, .Lfunc_end1955-_ZN7rocprim17ROCPRIM_400000_NS6detail17trampoline_kernelINS0_14default_configENS1_27scan_by_key_config_selectorIj11FixedVectorIiLj2EEEEZZNS1_16scan_by_key_implILNS1_25lookback_scan_determinismE0ELb0ES3_N6thrust23THRUST_200600_302600_NS6detail15normal_iteratorINSB_10device_ptrIjEEEENSD_INSE_IS6_EEEESI_S6_NSB_4plusIvEENSB_8equal_toIvEES6_EE10hipError_tPvRmT2_T3_T4_T5_mT6_T7_P12ihipStream_tbENKUlT_T0_E_clISt17integral_constantIbLb0EES13_EEDaSY_SZ_EUlSY_E_NS1_11comp_targetILNS1_3genE3ELNS1_11target_archE908ELNS1_3gpuE7ELNS1_3repE0EEENS1_30default_config_static_selectorELNS0_4arch9wavefront6targetE1EEEvT1_
                                        ; -- End function
	.section	.AMDGPU.csdata,"",@progbits
; Kernel info:
; codeLenInByte = 0
; NumSgprs: 6
; NumVgprs: 0
; NumAgprs: 0
; TotalNumVgprs: 0
; ScratchSize: 0
; MemoryBound: 0
; FloatMode: 240
; IeeeMode: 1
; LDSByteSize: 0 bytes/workgroup (compile time only)
; SGPRBlocks: 0
; VGPRBlocks: 0
; NumSGPRsForWavesPerEU: 6
; NumVGPRsForWavesPerEU: 1
; AccumOffset: 4
; Occupancy: 8
; WaveLimiterHint : 0
; COMPUTE_PGM_RSRC2:SCRATCH_EN: 0
; COMPUTE_PGM_RSRC2:USER_SGPR: 2
; COMPUTE_PGM_RSRC2:TRAP_HANDLER: 0
; COMPUTE_PGM_RSRC2:TGID_X_EN: 1
; COMPUTE_PGM_RSRC2:TGID_Y_EN: 0
; COMPUTE_PGM_RSRC2:TGID_Z_EN: 0
; COMPUTE_PGM_RSRC2:TIDIG_COMP_CNT: 0
; COMPUTE_PGM_RSRC3_GFX90A:ACCUM_OFFSET: 0
; COMPUTE_PGM_RSRC3_GFX90A:TG_SPLIT: 0
	.section	.text._ZN7rocprim17ROCPRIM_400000_NS6detail17trampoline_kernelINS0_14default_configENS1_27scan_by_key_config_selectorIj11FixedVectorIiLj2EEEEZZNS1_16scan_by_key_implILNS1_25lookback_scan_determinismE0ELb0ES3_N6thrust23THRUST_200600_302600_NS6detail15normal_iteratorINSB_10device_ptrIjEEEENSD_INSE_IS6_EEEESI_S6_NSB_4plusIvEENSB_8equal_toIvEES6_EE10hipError_tPvRmT2_T3_T4_T5_mT6_T7_P12ihipStream_tbENKUlT_T0_E_clISt17integral_constantIbLb0EES13_EEDaSY_SZ_EUlSY_E_NS1_11comp_targetILNS1_3genE2ELNS1_11target_archE906ELNS1_3gpuE6ELNS1_3repE0EEENS1_30default_config_static_selectorELNS0_4arch9wavefront6targetE1EEEvT1_,"axG",@progbits,_ZN7rocprim17ROCPRIM_400000_NS6detail17trampoline_kernelINS0_14default_configENS1_27scan_by_key_config_selectorIj11FixedVectorIiLj2EEEEZZNS1_16scan_by_key_implILNS1_25lookback_scan_determinismE0ELb0ES3_N6thrust23THRUST_200600_302600_NS6detail15normal_iteratorINSB_10device_ptrIjEEEENSD_INSE_IS6_EEEESI_S6_NSB_4plusIvEENSB_8equal_toIvEES6_EE10hipError_tPvRmT2_T3_T4_T5_mT6_T7_P12ihipStream_tbENKUlT_T0_E_clISt17integral_constantIbLb0EES13_EEDaSY_SZ_EUlSY_E_NS1_11comp_targetILNS1_3genE2ELNS1_11target_archE906ELNS1_3gpuE6ELNS1_3repE0EEENS1_30default_config_static_selectorELNS0_4arch9wavefront6targetE1EEEvT1_,comdat
	.protected	_ZN7rocprim17ROCPRIM_400000_NS6detail17trampoline_kernelINS0_14default_configENS1_27scan_by_key_config_selectorIj11FixedVectorIiLj2EEEEZZNS1_16scan_by_key_implILNS1_25lookback_scan_determinismE0ELb0ES3_N6thrust23THRUST_200600_302600_NS6detail15normal_iteratorINSB_10device_ptrIjEEEENSD_INSE_IS6_EEEESI_S6_NSB_4plusIvEENSB_8equal_toIvEES6_EE10hipError_tPvRmT2_T3_T4_T5_mT6_T7_P12ihipStream_tbENKUlT_T0_E_clISt17integral_constantIbLb0EES13_EEDaSY_SZ_EUlSY_E_NS1_11comp_targetILNS1_3genE2ELNS1_11target_archE906ELNS1_3gpuE6ELNS1_3repE0EEENS1_30default_config_static_selectorELNS0_4arch9wavefront6targetE1EEEvT1_ ; -- Begin function _ZN7rocprim17ROCPRIM_400000_NS6detail17trampoline_kernelINS0_14default_configENS1_27scan_by_key_config_selectorIj11FixedVectorIiLj2EEEEZZNS1_16scan_by_key_implILNS1_25lookback_scan_determinismE0ELb0ES3_N6thrust23THRUST_200600_302600_NS6detail15normal_iteratorINSB_10device_ptrIjEEEENSD_INSE_IS6_EEEESI_S6_NSB_4plusIvEENSB_8equal_toIvEES6_EE10hipError_tPvRmT2_T3_T4_T5_mT6_T7_P12ihipStream_tbENKUlT_T0_E_clISt17integral_constantIbLb0EES13_EEDaSY_SZ_EUlSY_E_NS1_11comp_targetILNS1_3genE2ELNS1_11target_archE906ELNS1_3gpuE6ELNS1_3repE0EEENS1_30default_config_static_selectorELNS0_4arch9wavefront6targetE1EEEvT1_
	.globl	_ZN7rocprim17ROCPRIM_400000_NS6detail17trampoline_kernelINS0_14default_configENS1_27scan_by_key_config_selectorIj11FixedVectorIiLj2EEEEZZNS1_16scan_by_key_implILNS1_25lookback_scan_determinismE0ELb0ES3_N6thrust23THRUST_200600_302600_NS6detail15normal_iteratorINSB_10device_ptrIjEEEENSD_INSE_IS6_EEEESI_S6_NSB_4plusIvEENSB_8equal_toIvEES6_EE10hipError_tPvRmT2_T3_T4_T5_mT6_T7_P12ihipStream_tbENKUlT_T0_E_clISt17integral_constantIbLb0EES13_EEDaSY_SZ_EUlSY_E_NS1_11comp_targetILNS1_3genE2ELNS1_11target_archE906ELNS1_3gpuE6ELNS1_3repE0EEENS1_30default_config_static_selectorELNS0_4arch9wavefront6targetE1EEEvT1_
	.p2align	8
	.type	_ZN7rocprim17ROCPRIM_400000_NS6detail17trampoline_kernelINS0_14default_configENS1_27scan_by_key_config_selectorIj11FixedVectorIiLj2EEEEZZNS1_16scan_by_key_implILNS1_25lookback_scan_determinismE0ELb0ES3_N6thrust23THRUST_200600_302600_NS6detail15normal_iteratorINSB_10device_ptrIjEEEENSD_INSE_IS6_EEEESI_S6_NSB_4plusIvEENSB_8equal_toIvEES6_EE10hipError_tPvRmT2_T3_T4_T5_mT6_T7_P12ihipStream_tbENKUlT_T0_E_clISt17integral_constantIbLb0EES13_EEDaSY_SZ_EUlSY_E_NS1_11comp_targetILNS1_3genE2ELNS1_11target_archE906ELNS1_3gpuE6ELNS1_3repE0EEENS1_30default_config_static_selectorELNS0_4arch9wavefront6targetE1EEEvT1_,@function
_ZN7rocprim17ROCPRIM_400000_NS6detail17trampoline_kernelINS0_14default_configENS1_27scan_by_key_config_selectorIj11FixedVectorIiLj2EEEEZZNS1_16scan_by_key_implILNS1_25lookback_scan_determinismE0ELb0ES3_N6thrust23THRUST_200600_302600_NS6detail15normal_iteratorINSB_10device_ptrIjEEEENSD_INSE_IS6_EEEESI_S6_NSB_4plusIvEENSB_8equal_toIvEES6_EE10hipError_tPvRmT2_T3_T4_T5_mT6_T7_P12ihipStream_tbENKUlT_T0_E_clISt17integral_constantIbLb0EES13_EEDaSY_SZ_EUlSY_E_NS1_11comp_targetILNS1_3genE2ELNS1_11target_archE906ELNS1_3gpuE6ELNS1_3repE0EEENS1_30default_config_static_selectorELNS0_4arch9wavefront6targetE1EEEvT1_: ; @_ZN7rocprim17ROCPRIM_400000_NS6detail17trampoline_kernelINS0_14default_configENS1_27scan_by_key_config_selectorIj11FixedVectorIiLj2EEEEZZNS1_16scan_by_key_implILNS1_25lookback_scan_determinismE0ELb0ES3_N6thrust23THRUST_200600_302600_NS6detail15normal_iteratorINSB_10device_ptrIjEEEENSD_INSE_IS6_EEEESI_S6_NSB_4plusIvEENSB_8equal_toIvEES6_EE10hipError_tPvRmT2_T3_T4_T5_mT6_T7_P12ihipStream_tbENKUlT_T0_E_clISt17integral_constantIbLb0EES13_EEDaSY_SZ_EUlSY_E_NS1_11comp_targetILNS1_3genE2ELNS1_11target_archE906ELNS1_3gpuE6ELNS1_3repE0EEENS1_30default_config_static_selectorELNS0_4arch9wavefront6targetE1EEEvT1_
; %bb.0:
	.section	.rodata,"a",@progbits
	.p2align	6, 0x0
	.amdhsa_kernel _ZN7rocprim17ROCPRIM_400000_NS6detail17trampoline_kernelINS0_14default_configENS1_27scan_by_key_config_selectorIj11FixedVectorIiLj2EEEEZZNS1_16scan_by_key_implILNS1_25lookback_scan_determinismE0ELb0ES3_N6thrust23THRUST_200600_302600_NS6detail15normal_iteratorINSB_10device_ptrIjEEEENSD_INSE_IS6_EEEESI_S6_NSB_4plusIvEENSB_8equal_toIvEES6_EE10hipError_tPvRmT2_T3_T4_T5_mT6_T7_P12ihipStream_tbENKUlT_T0_E_clISt17integral_constantIbLb0EES13_EEDaSY_SZ_EUlSY_E_NS1_11comp_targetILNS1_3genE2ELNS1_11target_archE906ELNS1_3gpuE6ELNS1_3repE0EEENS1_30default_config_static_selectorELNS0_4arch9wavefront6targetE1EEEvT1_
		.amdhsa_group_segment_fixed_size 0
		.amdhsa_private_segment_fixed_size 0
		.amdhsa_kernarg_size 120
		.amdhsa_user_sgpr_count 2
		.amdhsa_user_sgpr_dispatch_ptr 0
		.amdhsa_user_sgpr_queue_ptr 0
		.amdhsa_user_sgpr_kernarg_segment_ptr 1
		.amdhsa_user_sgpr_dispatch_id 0
		.amdhsa_user_sgpr_kernarg_preload_length 0
		.amdhsa_user_sgpr_kernarg_preload_offset 0
		.amdhsa_user_sgpr_private_segment_size 0
		.amdhsa_uses_dynamic_stack 0
		.amdhsa_enable_private_segment 0
		.amdhsa_system_sgpr_workgroup_id_x 1
		.amdhsa_system_sgpr_workgroup_id_y 0
		.amdhsa_system_sgpr_workgroup_id_z 0
		.amdhsa_system_sgpr_workgroup_info 0
		.amdhsa_system_vgpr_workitem_id 0
		.amdhsa_next_free_vgpr 1
		.amdhsa_next_free_sgpr 0
		.amdhsa_accum_offset 4
		.amdhsa_reserve_vcc 0
		.amdhsa_float_round_mode_32 0
		.amdhsa_float_round_mode_16_64 0
		.amdhsa_float_denorm_mode_32 3
		.amdhsa_float_denorm_mode_16_64 3
		.amdhsa_dx10_clamp 1
		.amdhsa_ieee_mode 1
		.amdhsa_fp16_overflow 0
		.amdhsa_tg_split 0
		.amdhsa_exception_fp_ieee_invalid_op 0
		.amdhsa_exception_fp_denorm_src 0
		.amdhsa_exception_fp_ieee_div_zero 0
		.amdhsa_exception_fp_ieee_overflow 0
		.amdhsa_exception_fp_ieee_underflow 0
		.amdhsa_exception_fp_ieee_inexact 0
		.amdhsa_exception_int_div_zero 0
	.end_amdhsa_kernel
	.section	.text._ZN7rocprim17ROCPRIM_400000_NS6detail17trampoline_kernelINS0_14default_configENS1_27scan_by_key_config_selectorIj11FixedVectorIiLj2EEEEZZNS1_16scan_by_key_implILNS1_25lookback_scan_determinismE0ELb0ES3_N6thrust23THRUST_200600_302600_NS6detail15normal_iteratorINSB_10device_ptrIjEEEENSD_INSE_IS6_EEEESI_S6_NSB_4plusIvEENSB_8equal_toIvEES6_EE10hipError_tPvRmT2_T3_T4_T5_mT6_T7_P12ihipStream_tbENKUlT_T0_E_clISt17integral_constantIbLb0EES13_EEDaSY_SZ_EUlSY_E_NS1_11comp_targetILNS1_3genE2ELNS1_11target_archE906ELNS1_3gpuE6ELNS1_3repE0EEENS1_30default_config_static_selectorELNS0_4arch9wavefront6targetE1EEEvT1_,"axG",@progbits,_ZN7rocprim17ROCPRIM_400000_NS6detail17trampoline_kernelINS0_14default_configENS1_27scan_by_key_config_selectorIj11FixedVectorIiLj2EEEEZZNS1_16scan_by_key_implILNS1_25lookback_scan_determinismE0ELb0ES3_N6thrust23THRUST_200600_302600_NS6detail15normal_iteratorINSB_10device_ptrIjEEEENSD_INSE_IS6_EEEESI_S6_NSB_4plusIvEENSB_8equal_toIvEES6_EE10hipError_tPvRmT2_T3_T4_T5_mT6_T7_P12ihipStream_tbENKUlT_T0_E_clISt17integral_constantIbLb0EES13_EEDaSY_SZ_EUlSY_E_NS1_11comp_targetILNS1_3genE2ELNS1_11target_archE906ELNS1_3gpuE6ELNS1_3repE0EEENS1_30default_config_static_selectorELNS0_4arch9wavefront6targetE1EEEvT1_,comdat
.Lfunc_end1956:
	.size	_ZN7rocprim17ROCPRIM_400000_NS6detail17trampoline_kernelINS0_14default_configENS1_27scan_by_key_config_selectorIj11FixedVectorIiLj2EEEEZZNS1_16scan_by_key_implILNS1_25lookback_scan_determinismE0ELb0ES3_N6thrust23THRUST_200600_302600_NS6detail15normal_iteratorINSB_10device_ptrIjEEEENSD_INSE_IS6_EEEESI_S6_NSB_4plusIvEENSB_8equal_toIvEES6_EE10hipError_tPvRmT2_T3_T4_T5_mT6_T7_P12ihipStream_tbENKUlT_T0_E_clISt17integral_constantIbLb0EES13_EEDaSY_SZ_EUlSY_E_NS1_11comp_targetILNS1_3genE2ELNS1_11target_archE906ELNS1_3gpuE6ELNS1_3repE0EEENS1_30default_config_static_selectorELNS0_4arch9wavefront6targetE1EEEvT1_, .Lfunc_end1956-_ZN7rocprim17ROCPRIM_400000_NS6detail17trampoline_kernelINS0_14default_configENS1_27scan_by_key_config_selectorIj11FixedVectorIiLj2EEEEZZNS1_16scan_by_key_implILNS1_25lookback_scan_determinismE0ELb0ES3_N6thrust23THRUST_200600_302600_NS6detail15normal_iteratorINSB_10device_ptrIjEEEENSD_INSE_IS6_EEEESI_S6_NSB_4plusIvEENSB_8equal_toIvEES6_EE10hipError_tPvRmT2_T3_T4_T5_mT6_T7_P12ihipStream_tbENKUlT_T0_E_clISt17integral_constantIbLb0EES13_EEDaSY_SZ_EUlSY_E_NS1_11comp_targetILNS1_3genE2ELNS1_11target_archE906ELNS1_3gpuE6ELNS1_3repE0EEENS1_30default_config_static_selectorELNS0_4arch9wavefront6targetE1EEEvT1_
                                        ; -- End function
	.section	.AMDGPU.csdata,"",@progbits
; Kernel info:
; codeLenInByte = 0
; NumSgprs: 6
; NumVgprs: 0
; NumAgprs: 0
; TotalNumVgprs: 0
; ScratchSize: 0
; MemoryBound: 0
; FloatMode: 240
; IeeeMode: 1
; LDSByteSize: 0 bytes/workgroup (compile time only)
; SGPRBlocks: 0
; VGPRBlocks: 0
; NumSGPRsForWavesPerEU: 6
; NumVGPRsForWavesPerEU: 1
; AccumOffset: 4
; Occupancy: 8
; WaveLimiterHint : 0
; COMPUTE_PGM_RSRC2:SCRATCH_EN: 0
; COMPUTE_PGM_RSRC2:USER_SGPR: 2
; COMPUTE_PGM_RSRC2:TRAP_HANDLER: 0
; COMPUTE_PGM_RSRC2:TGID_X_EN: 1
; COMPUTE_PGM_RSRC2:TGID_Y_EN: 0
; COMPUTE_PGM_RSRC2:TGID_Z_EN: 0
; COMPUTE_PGM_RSRC2:TIDIG_COMP_CNT: 0
; COMPUTE_PGM_RSRC3_GFX90A:ACCUM_OFFSET: 0
; COMPUTE_PGM_RSRC3_GFX90A:TG_SPLIT: 0
	.section	.text._ZN7rocprim17ROCPRIM_400000_NS6detail17trampoline_kernelINS0_14default_configENS1_27scan_by_key_config_selectorIj11FixedVectorIiLj2EEEEZZNS1_16scan_by_key_implILNS1_25lookback_scan_determinismE0ELb0ES3_N6thrust23THRUST_200600_302600_NS6detail15normal_iteratorINSB_10device_ptrIjEEEENSD_INSE_IS6_EEEESI_S6_NSB_4plusIvEENSB_8equal_toIvEES6_EE10hipError_tPvRmT2_T3_T4_T5_mT6_T7_P12ihipStream_tbENKUlT_T0_E_clISt17integral_constantIbLb0EES13_EEDaSY_SZ_EUlSY_E_NS1_11comp_targetILNS1_3genE10ELNS1_11target_archE1200ELNS1_3gpuE4ELNS1_3repE0EEENS1_30default_config_static_selectorELNS0_4arch9wavefront6targetE1EEEvT1_,"axG",@progbits,_ZN7rocprim17ROCPRIM_400000_NS6detail17trampoline_kernelINS0_14default_configENS1_27scan_by_key_config_selectorIj11FixedVectorIiLj2EEEEZZNS1_16scan_by_key_implILNS1_25lookback_scan_determinismE0ELb0ES3_N6thrust23THRUST_200600_302600_NS6detail15normal_iteratorINSB_10device_ptrIjEEEENSD_INSE_IS6_EEEESI_S6_NSB_4plusIvEENSB_8equal_toIvEES6_EE10hipError_tPvRmT2_T3_T4_T5_mT6_T7_P12ihipStream_tbENKUlT_T0_E_clISt17integral_constantIbLb0EES13_EEDaSY_SZ_EUlSY_E_NS1_11comp_targetILNS1_3genE10ELNS1_11target_archE1200ELNS1_3gpuE4ELNS1_3repE0EEENS1_30default_config_static_selectorELNS0_4arch9wavefront6targetE1EEEvT1_,comdat
	.protected	_ZN7rocprim17ROCPRIM_400000_NS6detail17trampoline_kernelINS0_14default_configENS1_27scan_by_key_config_selectorIj11FixedVectorIiLj2EEEEZZNS1_16scan_by_key_implILNS1_25lookback_scan_determinismE0ELb0ES3_N6thrust23THRUST_200600_302600_NS6detail15normal_iteratorINSB_10device_ptrIjEEEENSD_INSE_IS6_EEEESI_S6_NSB_4plusIvEENSB_8equal_toIvEES6_EE10hipError_tPvRmT2_T3_T4_T5_mT6_T7_P12ihipStream_tbENKUlT_T0_E_clISt17integral_constantIbLb0EES13_EEDaSY_SZ_EUlSY_E_NS1_11comp_targetILNS1_3genE10ELNS1_11target_archE1200ELNS1_3gpuE4ELNS1_3repE0EEENS1_30default_config_static_selectorELNS0_4arch9wavefront6targetE1EEEvT1_ ; -- Begin function _ZN7rocprim17ROCPRIM_400000_NS6detail17trampoline_kernelINS0_14default_configENS1_27scan_by_key_config_selectorIj11FixedVectorIiLj2EEEEZZNS1_16scan_by_key_implILNS1_25lookback_scan_determinismE0ELb0ES3_N6thrust23THRUST_200600_302600_NS6detail15normal_iteratorINSB_10device_ptrIjEEEENSD_INSE_IS6_EEEESI_S6_NSB_4plusIvEENSB_8equal_toIvEES6_EE10hipError_tPvRmT2_T3_T4_T5_mT6_T7_P12ihipStream_tbENKUlT_T0_E_clISt17integral_constantIbLb0EES13_EEDaSY_SZ_EUlSY_E_NS1_11comp_targetILNS1_3genE10ELNS1_11target_archE1200ELNS1_3gpuE4ELNS1_3repE0EEENS1_30default_config_static_selectorELNS0_4arch9wavefront6targetE1EEEvT1_
	.globl	_ZN7rocprim17ROCPRIM_400000_NS6detail17trampoline_kernelINS0_14default_configENS1_27scan_by_key_config_selectorIj11FixedVectorIiLj2EEEEZZNS1_16scan_by_key_implILNS1_25lookback_scan_determinismE0ELb0ES3_N6thrust23THRUST_200600_302600_NS6detail15normal_iteratorINSB_10device_ptrIjEEEENSD_INSE_IS6_EEEESI_S6_NSB_4plusIvEENSB_8equal_toIvEES6_EE10hipError_tPvRmT2_T3_T4_T5_mT6_T7_P12ihipStream_tbENKUlT_T0_E_clISt17integral_constantIbLb0EES13_EEDaSY_SZ_EUlSY_E_NS1_11comp_targetILNS1_3genE10ELNS1_11target_archE1200ELNS1_3gpuE4ELNS1_3repE0EEENS1_30default_config_static_selectorELNS0_4arch9wavefront6targetE1EEEvT1_
	.p2align	8
	.type	_ZN7rocprim17ROCPRIM_400000_NS6detail17trampoline_kernelINS0_14default_configENS1_27scan_by_key_config_selectorIj11FixedVectorIiLj2EEEEZZNS1_16scan_by_key_implILNS1_25lookback_scan_determinismE0ELb0ES3_N6thrust23THRUST_200600_302600_NS6detail15normal_iteratorINSB_10device_ptrIjEEEENSD_INSE_IS6_EEEESI_S6_NSB_4plusIvEENSB_8equal_toIvEES6_EE10hipError_tPvRmT2_T3_T4_T5_mT6_T7_P12ihipStream_tbENKUlT_T0_E_clISt17integral_constantIbLb0EES13_EEDaSY_SZ_EUlSY_E_NS1_11comp_targetILNS1_3genE10ELNS1_11target_archE1200ELNS1_3gpuE4ELNS1_3repE0EEENS1_30default_config_static_selectorELNS0_4arch9wavefront6targetE1EEEvT1_,@function
_ZN7rocprim17ROCPRIM_400000_NS6detail17trampoline_kernelINS0_14default_configENS1_27scan_by_key_config_selectorIj11FixedVectorIiLj2EEEEZZNS1_16scan_by_key_implILNS1_25lookback_scan_determinismE0ELb0ES3_N6thrust23THRUST_200600_302600_NS6detail15normal_iteratorINSB_10device_ptrIjEEEENSD_INSE_IS6_EEEESI_S6_NSB_4plusIvEENSB_8equal_toIvEES6_EE10hipError_tPvRmT2_T3_T4_T5_mT6_T7_P12ihipStream_tbENKUlT_T0_E_clISt17integral_constantIbLb0EES13_EEDaSY_SZ_EUlSY_E_NS1_11comp_targetILNS1_3genE10ELNS1_11target_archE1200ELNS1_3gpuE4ELNS1_3repE0EEENS1_30default_config_static_selectorELNS0_4arch9wavefront6targetE1EEEvT1_: ; @_ZN7rocprim17ROCPRIM_400000_NS6detail17trampoline_kernelINS0_14default_configENS1_27scan_by_key_config_selectorIj11FixedVectorIiLj2EEEEZZNS1_16scan_by_key_implILNS1_25lookback_scan_determinismE0ELb0ES3_N6thrust23THRUST_200600_302600_NS6detail15normal_iteratorINSB_10device_ptrIjEEEENSD_INSE_IS6_EEEESI_S6_NSB_4plusIvEENSB_8equal_toIvEES6_EE10hipError_tPvRmT2_T3_T4_T5_mT6_T7_P12ihipStream_tbENKUlT_T0_E_clISt17integral_constantIbLb0EES13_EEDaSY_SZ_EUlSY_E_NS1_11comp_targetILNS1_3genE10ELNS1_11target_archE1200ELNS1_3gpuE4ELNS1_3repE0EEENS1_30default_config_static_selectorELNS0_4arch9wavefront6targetE1EEEvT1_
; %bb.0:
	.section	.rodata,"a",@progbits
	.p2align	6, 0x0
	.amdhsa_kernel _ZN7rocprim17ROCPRIM_400000_NS6detail17trampoline_kernelINS0_14default_configENS1_27scan_by_key_config_selectorIj11FixedVectorIiLj2EEEEZZNS1_16scan_by_key_implILNS1_25lookback_scan_determinismE0ELb0ES3_N6thrust23THRUST_200600_302600_NS6detail15normal_iteratorINSB_10device_ptrIjEEEENSD_INSE_IS6_EEEESI_S6_NSB_4plusIvEENSB_8equal_toIvEES6_EE10hipError_tPvRmT2_T3_T4_T5_mT6_T7_P12ihipStream_tbENKUlT_T0_E_clISt17integral_constantIbLb0EES13_EEDaSY_SZ_EUlSY_E_NS1_11comp_targetILNS1_3genE10ELNS1_11target_archE1200ELNS1_3gpuE4ELNS1_3repE0EEENS1_30default_config_static_selectorELNS0_4arch9wavefront6targetE1EEEvT1_
		.amdhsa_group_segment_fixed_size 0
		.amdhsa_private_segment_fixed_size 0
		.amdhsa_kernarg_size 120
		.amdhsa_user_sgpr_count 2
		.amdhsa_user_sgpr_dispatch_ptr 0
		.amdhsa_user_sgpr_queue_ptr 0
		.amdhsa_user_sgpr_kernarg_segment_ptr 1
		.amdhsa_user_sgpr_dispatch_id 0
		.amdhsa_user_sgpr_kernarg_preload_length 0
		.amdhsa_user_sgpr_kernarg_preload_offset 0
		.amdhsa_user_sgpr_private_segment_size 0
		.amdhsa_uses_dynamic_stack 0
		.amdhsa_enable_private_segment 0
		.amdhsa_system_sgpr_workgroup_id_x 1
		.amdhsa_system_sgpr_workgroup_id_y 0
		.amdhsa_system_sgpr_workgroup_id_z 0
		.amdhsa_system_sgpr_workgroup_info 0
		.amdhsa_system_vgpr_workitem_id 0
		.amdhsa_next_free_vgpr 1
		.amdhsa_next_free_sgpr 0
		.amdhsa_accum_offset 4
		.amdhsa_reserve_vcc 0
		.amdhsa_float_round_mode_32 0
		.amdhsa_float_round_mode_16_64 0
		.amdhsa_float_denorm_mode_32 3
		.amdhsa_float_denorm_mode_16_64 3
		.amdhsa_dx10_clamp 1
		.amdhsa_ieee_mode 1
		.amdhsa_fp16_overflow 0
		.amdhsa_tg_split 0
		.amdhsa_exception_fp_ieee_invalid_op 0
		.amdhsa_exception_fp_denorm_src 0
		.amdhsa_exception_fp_ieee_div_zero 0
		.amdhsa_exception_fp_ieee_overflow 0
		.amdhsa_exception_fp_ieee_underflow 0
		.amdhsa_exception_fp_ieee_inexact 0
		.amdhsa_exception_int_div_zero 0
	.end_amdhsa_kernel
	.section	.text._ZN7rocprim17ROCPRIM_400000_NS6detail17trampoline_kernelINS0_14default_configENS1_27scan_by_key_config_selectorIj11FixedVectorIiLj2EEEEZZNS1_16scan_by_key_implILNS1_25lookback_scan_determinismE0ELb0ES3_N6thrust23THRUST_200600_302600_NS6detail15normal_iteratorINSB_10device_ptrIjEEEENSD_INSE_IS6_EEEESI_S6_NSB_4plusIvEENSB_8equal_toIvEES6_EE10hipError_tPvRmT2_T3_T4_T5_mT6_T7_P12ihipStream_tbENKUlT_T0_E_clISt17integral_constantIbLb0EES13_EEDaSY_SZ_EUlSY_E_NS1_11comp_targetILNS1_3genE10ELNS1_11target_archE1200ELNS1_3gpuE4ELNS1_3repE0EEENS1_30default_config_static_selectorELNS0_4arch9wavefront6targetE1EEEvT1_,"axG",@progbits,_ZN7rocprim17ROCPRIM_400000_NS6detail17trampoline_kernelINS0_14default_configENS1_27scan_by_key_config_selectorIj11FixedVectorIiLj2EEEEZZNS1_16scan_by_key_implILNS1_25lookback_scan_determinismE0ELb0ES3_N6thrust23THRUST_200600_302600_NS6detail15normal_iteratorINSB_10device_ptrIjEEEENSD_INSE_IS6_EEEESI_S6_NSB_4plusIvEENSB_8equal_toIvEES6_EE10hipError_tPvRmT2_T3_T4_T5_mT6_T7_P12ihipStream_tbENKUlT_T0_E_clISt17integral_constantIbLb0EES13_EEDaSY_SZ_EUlSY_E_NS1_11comp_targetILNS1_3genE10ELNS1_11target_archE1200ELNS1_3gpuE4ELNS1_3repE0EEENS1_30default_config_static_selectorELNS0_4arch9wavefront6targetE1EEEvT1_,comdat
.Lfunc_end1957:
	.size	_ZN7rocprim17ROCPRIM_400000_NS6detail17trampoline_kernelINS0_14default_configENS1_27scan_by_key_config_selectorIj11FixedVectorIiLj2EEEEZZNS1_16scan_by_key_implILNS1_25lookback_scan_determinismE0ELb0ES3_N6thrust23THRUST_200600_302600_NS6detail15normal_iteratorINSB_10device_ptrIjEEEENSD_INSE_IS6_EEEESI_S6_NSB_4plusIvEENSB_8equal_toIvEES6_EE10hipError_tPvRmT2_T3_T4_T5_mT6_T7_P12ihipStream_tbENKUlT_T0_E_clISt17integral_constantIbLb0EES13_EEDaSY_SZ_EUlSY_E_NS1_11comp_targetILNS1_3genE10ELNS1_11target_archE1200ELNS1_3gpuE4ELNS1_3repE0EEENS1_30default_config_static_selectorELNS0_4arch9wavefront6targetE1EEEvT1_, .Lfunc_end1957-_ZN7rocprim17ROCPRIM_400000_NS6detail17trampoline_kernelINS0_14default_configENS1_27scan_by_key_config_selectorIj11FixedVectorIiLj2EEEEZZNS1_16scan_by_key_implILNS1_25lookback_scan_determinismE0ELb0ES3_N6thrust23THRUST_200600_302600_NS6detail15normal_iteratorINSB_10device_ptrIjEEEENSD_INSE_IS6_EEEESI_S6_NSB_4plusIvEENSB_8equal_toIvEES6_EE10hipError_tPvRmT2_T3_T4_T5_mT6_T7_P12ihipStream_tbENKUlT_T0_E_clISt17integral_constantIbLb0EES13_EEDaSY_SZ_EUlSY_E_NS1_11comp_targetILNS1_3genE10ELNS1_11target_archE1200ELNS1_3gpuE4ELNS1_3repE0EEENS1_30default_config_static_selectorELNS0_4arch9wavefront6targetE1EEEvT1_
                                        ; -- End function
	.section	.AMDGPU.csdata,"",@progbits
; Kernel info:
; codeLenInByte = 0
; NumSgprs: 6
; NumVgprs: 0
; NumAgprs: 0
; TotalNumVgprs: 0
; ScratchSize: 0
; MemoryBound: 0
; FloatMode: 240
; IeeeMode: 1
; LDSByteSize: 0 bytes/workgroup (compile time only)
; SGPRBlocks: 0
; VGPRBlocks: 0
; NumSGPRsForWavesPerEU: 6
; NumVGPRsForWavesPerEU: 1
; AccumOffset: 4
; Occupancy: 8
; WaveLimiterHint : 0
; COMPUTE_PGM_RSRC2:SCRATCH_EN: 0
; COMPUTE_PGM_RSRC2:USER_SGPR: 2
; COMPUTE_PGM_RSRC2:TRAP_HANDLER: 0
; COMPUTE_PGM_RSRC2:TGID_X_EN: 1
; COMPUTE_PGM_RSRC2:TGID_Y_EN: 0
; COMPUTE_PGM_RSRC2:TGID_Z_EN: 0
; COMPUTE_PGM_RSRC2:TIDIG_COMP_CNT: 0
; COMPUTE_PGM_RSRC3_GFX90A:ACCUM_OFFSET: 0
; COMPUTE_PGM_RSRC3_GFX90A:TG_SPLIT: 0
	.section	.text._ZN7rocprim17ROCPRIM_400000_NS6detail17trampoline_kernelINS0_14default_configENS1_27scan_by_key_config_selectorIj11FixedVectorIiLj2EEEEZZNS1_16scan_by_key_implILNS1_25lookback_scan_determinismE0ELb0ES3_N6thrust23THRUST_200600_302600_NS6detail15normal_iteratorINSB_10device_ptrIjEEEENSD_INSE_IS6_EEEESI_S6_NSB_4plusIvEENSB_8equal_toIvEES6_EE10hipError_tPvRmT2_T3_T4_T5_mT6_T7_P12ihipStream_tbENKUlT_T0_E_clISt17integral_constantIbLb0EES13_EEDaSY_SZ_EUlSY_E_NS1_11comp_targetILNS1_3genE9ELNS1_11target_archE1100ELNS1_3gpuE3ELNS1_3repE0EEENS1_30default_config_static_selectorELNS0_4arch9wavefront6targetE1EEEvT1_,"axG",@progbits,_ZN7rocprim17ROCPRIM_400000_NS6detail17trampoline_kernelINS0_14default_configENS1_27scan_by_key_config_selectorIj11FixedVectorIiLj2EEEEZZNS1_16scan_by_key_implILNS1_25lookback_scan_determinismE0ELb0ES3_N6thrust23THRUST_200600_302600_NS6detail15normal_iteratorINSB_10device_ptrIjEEEENSD_INSE_IS6_EEEESI_S6_NSB_4plusIvEENSB_8equal_toIvEES6_EE10hipError_tPvRmT2_T3_T4_T5_mT6_T7_P12ihipStream_tbENKUlT_T0_E_clISt17integral_constantIbLb0EES13_EEDaSY_SZ_EUlSY_E_NS1_11comp_targetILNS1_3genE9ELNS1_11target_archE1100ELNS1_3gpuE3ELNS1_3repE0EEENS1_30default_config_static_selectorELNS0_4arch9wavefront6targetE1EEEvT1_,comdat
	.protected	_ZN7rocprim17ROCPRIM_400000_NS6detail17trampoline_kernelINS0_14default_configENS1_27scan_by_key_config_selectorIj11FixedVectorIiLj2EEEEZZNS1_16scan_by_key_implILNS1_25lookback_scan_determinismE0ELb0ES3_N6thrust23THRUST_200600_302600_NS6detail15normal_iteratorINSB_10device_ptrIjEEEENSD_INSE_IS6_EEEESI_S6_NSB_4plusIvEENSB_8equal_toIvEES6_EE10hipError_tPvRmT2_T3_T4_T5_mT6_T7_P12ihipStream_tbENKUlT_T0_E_clISt17integral_constantIbLb0EES13_EEDaSY_SZ_EUlSY_E_NS1_11comp_targetILNS1_3genE9ELNS1_11target_archE1100ELNS1_3gpuE3ELNS1_3repE0EEENS1_30default_config_static_selectorELNS0_4arch9wavefront6targetE1EEEvT1_ ; -- Begin function _ZN7rocprim17ROCPRIM_400000_NS6detail17trampoline_kernelINS0_14default_configENS1_27scan_by_key_config_selectorIj11FixedVectorIiLj2EEEEZZNS1_16scan_by_key_implILNS1_25lookback_scan_determinismE0ELb0ES3_N6thrust23THRUST_200600_302600_NS6detail15normal_iteratorINSB_10device_ptrIjEEEENSD_INSE_IS6_EEEESI_S6_NSB_4plusIvEENSB_8equal_toIvEES6_EE10hipError_tPvRmT2_T3_T4_T5_mT6_T7_P12ihipStream_tbENKUlT_T0_E_clISt17integral_constantIbLb0EES13_EEDaSY_SZ_EUlSY_E_NS1_11comp_targetILNS1_3genE9ELNS1_11target_archE1100ELNS1_3gpuE3ELNS1_3repE0EEENS1_30default_config_static_selectorELNS0_4arch9wavefront6targetE1EEEvT1_
	.globl	_ZN7rocprim17ROCPRIM_400000_NS6detail17trampoline_kernelINS0_14default_configENS1_27scan_by_key_config_selectorIj11FixedVectorIiLj2EEEEZZNS1_16scan_by_key_implILNS1_25lookback_scan_determinismE0ELb0ES3_N6thrust23THRUST_200600_302600_NS6detail15normal_iteratorINSB_10device_ptrIjEEEENSD_INSE_IS6_EEEESI_S6_NSB_4plusIvEENSB_8equal_toIvEES6_EE10hipError_tPvRmT2_T3_T4_T5_mT6_T7_P12ihipStream_tbENKUlT_T0_E_clISt17integral_constantIbLb0EES13_EEDaSY_SZ_EUlSY_E_NS1_11comp_targetILNS1_3genE9ELNS1_11target_archE1100ELNS1_3gpuE3ELNS1_3repE0EEENS1_30default_config_static_selectorELNS0_4arch9wavefront6targetE1EEEvT1_
	.p2align	8
	.type	_ZN7rocprim17ROCPRIM_400000_NS6detail17trampoline_kernelINS0_14default_configENS1_27scan_by_key_config_selectorIj11FixedVectorIiLj2EEEEZZNS1_16scan_by_key_implILNS1_25lookback_scan_determinismE0ELb0ES3_N6thrust23THRUST_200600_302600_NS6detail15normal_iteratorINSB_10device_ptrIjEEEENSD_INSE_IS6_EEEESI_S6_NSB_4plusIvEENSB_8equal_toIvEES6_EE10hipError_tPvRmT2_T3_T4_T5_mT6_T7_P12ihipStream_tbENKUlT_T0_E_clISt17integral_constantIbLb0EES13_EEDaSY_SZ_EUlSY_E_NS1_11comp_targetILNS1_3genE9ELNS1_11target_archE1100ELNS1_3gpuE3ELNS1_3repE0EEENS1_30default_config_static_selectorELNS0_4arch9wavefront6targetE1EEEvT1_,@function
_ZN7rocprim17ROCPRIM_400000_NS6detail17trampoline_kernelINS0_14default_configENS1_27scan_by_key_config_selectorIj11FixedVectorIiLj2EEEEZZNS1_16scan_by_key_implILNS1_25lookback_scan_determinismE0ELb0ES3_N6thrust23THRUST_200600_302600_NS6detail15normal_iteratorINSB_10device_ptrIjEEEENSD_INSE_IS6_EEEESI_S6_NSB_4plusIvEENSB_8equal_toIvEES6_EE10hipError_tPvRmT2_T3_T4_T5_mT6_T7_P12ihipStream_tbENKUlT_T0_E_clISt17integral_constantIbLb0EES13_EEDaSY_SZ_EUlSY_E_NS1_11comp_targetILNS1_3genE9ELNS1_11target_archE1100ELNS1_3gpuE3ELNS1_3repE0EEENS1_30default_config_static_selectorELNS0_4arch9wavefront6targetE1EEEvT1_: ; @_ZN7rocprim17ROCPRIM_400000_NS6detail17trampoline_kernelINS0_14default_configENS1_27scan_by_key_config_selectorIj11FixedVectorIiLj2EEEEZZNS1_16scan_by_key_implILNS1_25lookback_scan_determinismE0ELb0ES3_N6thrust23THRUST_200600_302600_NS6detail15normal_iteratorINSB_10device_ptrIjEEEENSD_INSE_IS6_EEEESI_S6_NSB_4plusIvEENSB_8equal_toIvEES6_EE10hipError_tPvRmT2_T3_T4_T5_mT6_T7_P12ihipStream_tbENKUlT_T0_E_clISt17integral_constantIbLb0EES13_EEDaSY_SZ_EUlSY_E_NS1_11comp_targetILNS1_3genE9ELNS1_11target_archE1100ELNS1_3gpuE3ELNS1_3repE0EEENS1_30default_config_static_selectorELNS0_4arch9wavefront6targetE1EEEvT1_
; %bb.0:
	.section	.rodata,"a",@progbits
	.p2align	6, 0x0
	.amdhsa_kernel _ZN7rocprim17ROCPRIM_400000_NS6detail17trampoline_kernelINS0_14default_configENS1_27scan_by_key_config_selectorIj11FixedVectorIiLj2EEEEZZNS1_16scan_by_key_implILNS1_25lookback_scan_determinismE0ELb0ES3_N6thrust23THRUST_200600_302600_NS6detail15normal_iteratorINSB_10device_ptrIjEEEENSD_INSE_IS6_EEEESI_S6_NSB_4plusIvEENSB_8equal_toIvEES6_EE10hipError_tPvRmT2_T3_T4_T5_mT6_T7_P12ihipStream_tbENKUlT_T0_E_clISt17integral_constantIbLb0EES13_EEDaSY_SZ_EUlSY_E_NS1_11comp_targetILNS1_3genE9ELNS1_11target_archE1100ELNS1_3gpuE3ELNS1_3repE0EEENS1_30default_config_static_selectorELNS0_4arch9wavefront6targetE1EEEvT1_
		.amdhsa_group_segment_fixed_size 0
		.amdhsa_private_segment_fixed_size 0
		.amdhsa_kernarg_size 120
		.amdhsa_user_sgpr_count 2
		.amdhsa_user_sgpr_dispatch_ptr 0
		.amdhsa_user_sgpr_queue_ptr 0
		.amdhsa_user_sgpr_kernarg_segment_ptr 1
		.amdhsa_user_sgpr_dispatch_id 0
		.amdhsa_user_sgpr_kernarg_preload_length 0
		.amdhsa_user_sgpr_kernarg_preload_offset 0
		.amdhsa_user_sgpr_private_segment_size 0
		.amdhsa_uses_dynamic_stack 0
		.amdhsa_enable_private_segment 0
		.amdhsa_system_sgpr_workgroup_id_x 1
		.amdhsa_system_sgpr_workgroup_id_y 0
		.amdhsa_system_sgpr_workgroup_id_z 0
		.amdhsa_system_sgpr_workgroup_info 0
		.amdhsa_system_vgpr_workitem_id 0
		.amdhsa_next_free_vgpr 1
		.amdhsa_next_free_sgpr 0
		.amdhsa_accum_offset 4
		.amdhsa_reserve_vcc 0
		.amdhsa_float_round_mode_32 0
		.amdhsa_float_round_mode_16_64 0
		.amdhsa_float_denorm_mode_32 3
		.amdhsa_float_denorm_mode_16_64 3
		.amdhsa_dx10_clamp 1
		.amdhsa_ieee_mode 1
		.amdhsa_fp16_overflow 0
		.amdhsa_tg_split 0
		.amdhsa_exception_fp_ieee_invalid_op 0
		.amdhsa_exception_fp_denorm_src 0
		.amdhsa_exception_fp_ieee_div_zero 0
		.amdhsa_exception_fp_ieee_overflow 0
		.amdhsa_exception_fp_ieee_underflow 0
		.amdhsa_exception_fp_ieee_inexact 0
		.amdhsa_exception_int_div_zero 0
	.end_amdhsa_kernel
	.section	.text._ZN7rocprim17ROCPRIM_400000_NS6detail17trampoline_kernelINS0_14default_configENS1_27scan_by_key_config_selectorIj11FixedVectorIiLj2EEEEZZNS1_16scan_by_key_implILNS1_25lookback_scan_determinismE0ELb0ES3_N6thrust23THRUST_200600_302600_NS6detail15normal_iteratorINSB_10device_ptrIjEEEENSD_INSE_IS6_EEEESI_S6_NSB_4plusIvEENSB_8equal_toIvEES6_EE10hipError_tPvRmT2_T3_T4_T5_mT6_T7_P12ihipStream_tbENKUlT_T0_E_clISt17integral_constantIbLb0EES13_EEDaSY_SZ_EUlSY_E_NS1_11comp_targetILNS1_3genE9ELNS1_11target_archE1100ELNS1_3gpuE3ELNS1_3repE0EEENS1_30default_config_static_selectorELNS0_4arch9wavefront6targetE1EEEvT1_,"axG",@progbits,_ZN7rocprim17ROCPRIM_400000_NS6detail17trampoline_kernelINS0_14default_configENS1_27scan_by_key_config_selectorIj11FixedVectorIiLj2EEEEZZNS1_16scan_by_key_implILNS1_25lookback_scan_determinismE0ELb0ES3_N6thrust23THRUST_200600_302600_NS6detail15normal_iteratorINSB_10device_ptrIjEEEENSD_INSE_IS6_EEEESI_S6_NSB_4plusIvEENSB_8equal_toIvEES6_EE10hipError_tPvRmT2_T3_T4_T5_mT6_T7_P12ihipStream_tbENKUlT_T0_E_clISt17integral_constantIbLb0EES13_EEDaSY_SZ_EUlSY_E_NS1_11comp_targetILNS1_3genE9ELNS1_11target_archE1100ELNS1_3gpuE3ELNS1_3repE0EEENS1_30default_config_static_selectorELNS0_4arch9wavefront6targetE1EEEvT1_,comdat
.Lfunc_end1958:
	.size	_ZN7rocprim17ROCPRIM_400000_NS6detail17trampoline_kernelINS0_14default_configENS1_27scan_by_key_config_selectorIj11FixedVectorIiLj2EEEEZZNS1_16scan_by_key_implILNS1_25lookback_scan_determinismE0ELb0ES3_N6thrust23THRUST_200600_302600_NS6detail15normal_iteratorINSB_10device_ptrIjEEEENSD_INSE_IS6_EEEESI_S6_NSB_4plusIvEENSB_8equal_toIvEES6_EE10hipError_tPvRmT2_T3_T4_T5_mT6_T7_P12ihipStream_tbENKUlT_T0_E_clISt17integral_constantIbLb0EES13_EEDaSY_SZ_EUlSY_E_NS1_11comp_targetILNS1_3genE9ELNS1_11target_archE1100ELNS1_3gpuE3ELNS1_3repE0EEENS1_30default_config_static_selectorELNS0_4arch9wavefront6targetE1EEEvT1_, .Lfunc_end1958-_ZN7rocprim17ROCPRIM_400000_NS6detail17trampoline_kernelINS0_14default_configENS1_27scan_by_key_config_selectorIj11FixedVectorIiLj2EEEEZZNS1_16scan_by_key_implILNS1_25lookback_scan_determinismE0ELb0ES3_N6thrust23THRUST_200600_302600_NS6detail15normal_iteratorINSB_10device_ptrIjEEEENSD_INSE_IS6_EEEESI_S6_NSB_4plusIvEENSB_8equal_toIvEES6_EE10hipError_tPvRmT2_T3_T4_T5_mT6_T7_P12ihipStream_tbENKUlT_T0_E_clISt17integral_constantIbLb0EES13_EEDaSY_SZ_EUlSY_E_NS1_11comp_targetILNS1_3genE9ELNS1_11target_archE1100ELNS1_3gpuE3ELNS1_3repE0EEENS1_30default_config_static_selectorELNS0_4arch9wavefront6targetE1EEEvT1_
                                        ; -- End function
	.section	.AMDGPU.csdata,"",@progbits
; Kernel info:
; codeLenInByte = 0
; NumSgprs: 6
; NumVgprs: 0
; NumAgprs: 0
; TotalNumVgprs: 0
; ScratchSize: 0
; MemoryBound: 0
; FloatMode: 240
; IeeeMode: 1
; LDSByteSize: 0 bytes/workgroup (compile time only)
; SGPRBlocks: 0
; VGPRBlocks: 0
; NumSGPRsForWavesPerEU: 6
; NumVGPRsForWavesPerEU: 1
; AccumOffset: 4
; Occupancy: 8
; WaveLimiterHint : 0
; COMPUTE_PGM_RSRC2:SCRATCH_EN: 0
; COMPUTE_PGM_RSRC2:USER_SGPR: 2
; COMPUTE_PGM_RSRC2:TRAP_HANDLER: 0
; COMPUTE_PGM_RSRC2:TGID_X_EN: 1
; COMPUTE_PGM_RSRC2:TGID_Y_EN: 0
; COMPUTE_PGM_RSRC2:TGID_Z_EN: 0
; COMPUTE_PGM_RSRC2:TIDIG_COMP_CNT: 0
; COMPUTE_PGM_RSRC3_GFX90A:ACCUM_OFFSET: 0
; COMPUTE_PGM_RSRC3_GFX90A:TG_SPLIT: 0
	.section	.text._ZN7rocprim17ROCPRIM_400000_NS6detail17trampoline_kernelINS0_14default_configENS1_27scan_by_key_config_selectorIj11FixedVectorIiLj2EEEEZZNS1_16scan_by_key_implILNS1_25lookback_scan_determinismE0ELb0ES3_N6thrust23THRUST_200600_302600_NS6detail15normal_iteratorINSB_10device_ptrIjEEEENSD_INSE_IS6_EEEESI_S6_NSB_4plusIvEENSB_8equal_toIvEES6_EE10hipError_tPvRmT2_T3_T4_T5_mT6_T7_P12ihipStream_tbENKUlT_T0_E_clISt17integral_constantIbLb0EES13_EEDaSY_SZ_EUlSY_E_NS1_11comp_targetILNS1_3genE8ELNS1_11target_archE1030ELNS1_3gpuE2ELNS1_3repE0EEENS1_30default_config_static_selectorELNS0_4arch9wavefront6targetE1EEEvT1_,"axG",@progbits,_ZN7rocprim17ROCPRIM_400000_NS6detail17trampoline_kernelINS0_14default_configENS1_27scan_by_key_config_selectorIj11FixedVectorIiLj2EEEEZZNS1_16scan_by_key_implILNS1_25lookback_scan_determinismE0ELb0ES3_N6thrust23THRUST_200600_302600_NS6detail15normal_iteratorINSB_10device_ptrIjEEEENSD_INSE_IS6_EEEESI_S6_NSB_4plusIvEENSB_8equal_toIvEES6_EE10hipError_tPvRmT2_T3_T4_T5_mT6_T7_P12ihipStream_tbENKUlT_T0_E_clISt17integral_constantIbLb0EES13_EEDaSY_SZ_EUlSY_E_NS1_11comp_targetILNS1_3genE8ELNS1_11target_archE1030ELNS1_3gpuE2ELNS1_3repE0EEENS1_30default_config_static_selectorELNS0_4arch9wavefront6targetE1EEEvT1_,comdat
	.protected	_ZN7rocprim17ROCPRIM_400000_NS6detail17trampoline_kernelINS0_14default_configENS1_27scan_by_key_config_selectorIj11FixedVectorIiLj2EEEEZZNS1_16scan_by_key_implILNS1_25lookback_scan_determinismE0ELb0ES3_N6thrust23THRUST_200600_302600_NS6detail15normal_iteratorINSB_10device_ptrIjEEEENSD_INSE_IS6_EEEESI_S6_NSB_4plusIvEENSB_8equal_toIvEES6_EE10hipError_tPvRmT2_T3_T4_T5_mT6_T7_P12ihipStream_tbENKUlT_T0_E_clISt17integral_constantIbLb0EES13_EEDaSY_SZ_EUlSY_E_NS1_11comp_targetILNS1_3genE8ELNS1_11target_archE1030ELNS1_3gpuE2ELNS1_3repE0EEENS1_30default_config_static_selectorELNS0_4arch9wavefront6targetE1EEEvT1_ ; -- Begin function _ZN7rocprim17ROCPRIM_400000_NS6detail17trampoline_kernelINS0_14default_configENS1_27scan_by_key_config_selectorIj11FixedVectorIiLj2EEEEZZNS1_16scan_by_key_implILNS1_25lookback_scan_determinismE0ELb0ES3_N6thrust23THRUST_200600_302600_NS6detail15normal_iteratorINSB_10device_ptrIjEEEENSD_INSE_IS6_EEEESI_S6_NSB_4plusIvEENSB_8equal_toIvEES6_EE10hipError_tPvRmT2_T3_T4_T5_mT6_T7_P12ihipStream_tbENKUlT_T0_E_clISt17integral_constantIbLb0EES13_EEDaSY_SZ_EUlSY_E_NS1_11comp_targetILNS1_3genE8ELNS1_11target_archE1030ELNS1_3gpuE2ELNS1_3repE0EEENS1_30default_config_static_selectorELNS0_4arch9wavefront6targetE1EEEvT1_
	.globl	_ZN7rocprim17ROCPRIM_400000_NS6detail17trampoline_kernelINS0_14default_configENS1_27scan_by_key_config_selectorIj11FixedVectorIiLj2EEEEZZNS1_16scan_by_key_implILNS1_25lookback_scan_determinismE0ELb0ES3_N6thrust23THRUST_200600_302600_NS6detail15normal_iteratorINSB_10device_ptrIjEEEENSD_INSE_IS6_EEEESI_S6_NSB_4plusIvEENSB_8equal_toIvEES6_EE10hipError_tPvRmT2_T3_T4_T5_mT6_T7_P12ihipStream_tbENKUlT_T0_E_clISt17integral_constantIbLb0EES13_EEDaSY_SZ_EUlSY_E_NS1_11comp_targetILNS1_3genE8ELNS1_11target_archE1030ELNS1_3gpuE2ELNS1_3repE0EEENS1_30default_config_static_selectorELNS0_4arch9wavefront6targetE1EEEvT1_
	.p2align	8
	.type	_ZN7rocprim17ROCPRIM_400000_NS6detail17trampoline_kernelINS0_14default_configENS1_27scan_by_key_config_selectorIj11FixedVectorIiLj2EEEEZZNS1_16scan_by_key_implILNS1_25lookback_scan_determinismE0ELb0ES3_N6thrust23THRUST_200600_302600_NS6detail15normal_iteratorINSB_10device_ptrIjEEEENSD_INSE_IS6_EEEESI_S6_NSB_4plusIvEENSB_8equal_toIvEES6_EE10hipError_tPvRmT2_T3_T4_T5_mT6_T7_P12ihipStream_tbENKUlT_T0_E_clISt17integral_constantIbLb0EES13_EEDaSY_SZ_EUlSY_E_NS1_11comp_targetILNS1_3genE8ELNS1_11target_archE1030ELNS1_3gpuE2ELNS1_3repE0EEENS1_30default_config_static_selectorELNS0_4arch9wavefront6targetE1EEEvT1_,@function
_ZN7rocprim17ROCPRIM_400000_NS6detail17trampoline_kernelINS0_14default_configENS1_27scan_by_key_config_selectorIj11FixedVectorIiLj2EEEEZZNS1_16scan_by_key_implILNS1_25lookback_scan_determinismE0ELb0ES3_N6thrust23THRUST_200600_302600_NS6detail15normal_iteratorINSB_10device_ptrIjEEEENSD_INSE_IS6_EEEESI_S6_NSB_4plusIvEENSB_8equal_toIvEES6_EE10hipError_tPvRmT2_T3_T4_T5_mT6_T7_P12ihipStream_tbENKUlT_T0_E_clISt17integral_constantIbLb0EES13_EEDaSY_SZ_EUlSY_E_NS1_11comp_targetILNS1_3genE8ELNS1_11target_archE1030ELNS1_3gpuE2ELNS1_3repE0EEENS1_30default_config_static_selectorELNS0_4arch9wavefront6targetE1EEEvT1_: ; @_ZN7rocprim17ROCPRIM_400000_NS6detail17trampoline_kernelINS0_14default_configENS1_27scan_by_key_config_selectorIj11FixedVectorIiLj2EEEEZZNS1_16scan_by_key_implILNS1_25lookback_scan_determinismE0ELb0ES3_N6thrust23THRUST_200600_302600_NS6detail15normal_iteratorINSB_10device_ptrIjEEEENSD_INSE_IS6_EEEESI_S6_NSB_4plusIvEENSB_8equal_toIvEES6_EE10hipError_tPvRmT2_T3_T4_T5_mT6_T7_P12ihipStream_tbENKUlT_T0_E_clISt17integral_constantIbLb0EES13_EEDaSY_SZ_EUlSY_E_NS1_11comp_targetILNS1_3genE8ELNS1_11target_archE1030ELNS1_3gpuE2ELNS1_3repE0EEENS1_30default_config_static_selectorELNS0_4arch9wavefront6targetE1EEEvT1_
; %bb.0:
	.section	.rodata,"a",@progbits
	.p2align	6, 0x0
	.amdhsa_kernel _ZN7rocprim17ROCPRIM_400000_NS6detail17trampoline_kernelINS0_14default_configENS1_27scan_by_key_config_selectorIj11FixedVectorIiLj2EEEEZZNS1_16scan_by_key_implILNS1_25lookback_scan_determinismE0ELb0ES3_N6thrust23THRUST_200600_302600_NS6detail15normal_iteratorINSB_10device_ptrIjEEEENSD_INSE_IS6_EEEESI_S6_NSB_4plusIvEENSB_8equal_toIvEES6_EE10hipError_tPvRmT2_T3_T4_T5_mT6_T7_P12ihipStream_tbENKUlT_T0_E_clISt17integral_constantIbLb0EES13_EEDaSY_SZ_EUlSY_E_NS1_11comp_targetILNS1_3genE8ELNS1_11target_archE1030ELNS1_3gpuE2ELNS1_3repE0EEENS1_30default_config_static_selectorELNS0_4arch9wavefront6targetE1EEEvT1_
		.amdhsa_group_segment_fixed_size 0
		.amdhsa_private_segment_fixed_size 0
		.amdhsa_kernarg_size 120
		.amdhsa_user_sgpr_count 2
		.amdhsa_user_sgpr_dispatch_ptr 0
		.amdhsa_user_sgpr_queue_ptr 0
		.amdhsa_user_sgpr_kernarg_segment_ptr 1
		.amdhsa_user_sgpr_dispatch_id 0
		.amdhsa_user_sgpr_kernarg_preload_length 0
		.amdhsa_user_sgpr_kernarg_preload_offset 0
		.amdhsa_user_sgpr_private_segment_size 0
		.amdhsa_uses_dynamic_stack 0
		.amdhsa_enable_private_segment 0
		.amdhsa_system_sgpr_workgroup_id_x 1
		.amdhsa_system_sgpr_workgroup_id_y 0
		.amdhsa_system_sgpr_workgroup_id_z 0
		.amdhsa_system_sgpr_workgroup_info 0
		.amdhsa_system_vgpr_workitem_id 0
		.amdhsa_next_free_vgpr 1
		.amdhsa_next_free_sgpr 0
		.amdhsa_accum_offset 4
		.amdhsa_reserve_vcc 0
		.amdhsa_float_round_mode_32 0
		.amdhsa_float_round_mode_16_64 0
		.amdhsa_float_denorm_mode_32 3
		.amdhsa_float_denorm_mode_16_64 3
		.amdhsa_dx10_clamp 1
		.amdhsa_ieee_mode 1
		.amdhsa_fp16_overflow 0
		.amdhsa_tg_split 0
		.amdhsa_exception_fp_ieee_invalid_op 0
		.amdhsa_exception_fp_denorm_src 0
		.amdhsa_exception_fp_ieee_div_zero 0
		.amdhsa_exception_fp_ieee_overflow 0
		.amdhsa_exception_fp_ieee_underflow 0
		.amdhsa_exception_fp_ieee_inexact 0
		.amdhsa_exception_int_div_zero 0
	.end_amdhsa_kernel
	.section	.text._ZN7rocprim17ROCPRIM_400000_NS6detail17trampoline_kernelINS0_14default_configENS1_27scan_by_key_config_selectorIj11FixedVectorIiLj2EEEEZZNS1_16scan_by_key_implILNS1_25lookback_scan_determinismE0ELb0ES3_N6thrust23THRUST_200600_302600_NS6detail15normal_iteratorINSB_10device_ptrIjEEEENSD_INSE_IS6_EEEESI_S6_NSB_4plusIvEENSB_8equal_toIvEES6_EE10hipError_tPvRmT2_T3_T4_T5_mT6_T7_P12ihipStream_tbENKUlT_T0_E_clISt17integral_constantIbLb0EES13_EEDaSY_SZ_EUlSY_E_NS1_11comp_targetILNS1_3genE8ELNS1_11target_archE1030ELNS1_3gpuE2ELNS1_3repE0EEENS1_30default_config_static_selectorELNS0_4arch9wavefront6targetE1EEEvT1_,"axG",@progbits,_ZN7rocprim17ROCPRIM_400000_NS6detail17trampoline_kernelINS0_14default_configENS1_27scan_by_key_config_selectorIj11FixedVectorIiLj2EEEEZZNS1_16scan_by_key_implILNS1_25lookback_scan_determinismE0ELb0ES3_N6thrust23THRUST_200600_302600_NS6detail15normal_iteratorINSB_10device_ptrIjEEEENSD_INSE_IS6_EEEESI_S6_NSB_4plusIvEENSB_8equal_toIvEES6_EE10hipError_tPvRmT2_T3_T4_T5_mT6_T7_P12ihipStream_tbENKUlT_T0_E_clISt17integral_constantIbLb0EES13_EEDaSY_SZ_EUlSY_E_NS1_11comp_targetILNS1_3genE8ELNS1_11target_archE1030ELNS1_3gpuE2ELNS1_3repE0EEENS1_30default_config_static_selectorELNS0_4arch9wavefront6targetE1EEEvT1_,comdat
.Lfunc_end1959:
	.size	_ZN7rocprim17ROCPRIM_400000_NS6detail17trampoline_kernelINS0_14default_configENS1_27scan_by_key_config_selectorIj11FixedVectorIiLj2EEEEZZNS1_16scan_by_key_implILNS1_25lookback_scan_determinismE0ELb0ES3_N6thrust23THRUST_200600_302600_NS6detail15normal_iteratorINSB_10device_ptrIjEEEENSD_INSE_IS6_EEEESI_S6_NSB_4plusIvEENSB_8equal_toIvEES6_EE10hipError_tPvRmT2_T3_T4_T5_mT6_T7_P12ihipStream_tbENKUlT_T0_E_clISt17integral_constantIbLb0EES13_EEDaSY_SZ_EUlSY_E_NS1_11comp_targetILNS1_3genE8ELNS1_11target_archE1030ELNS1_3gpuE2ELNS1_3repE0EEENS1_30default_config_static_selectorELNS0_4arch9wavefront6targetE1EEEvT1_, .Lfunc_end1959-_ZN7rocprim17ROCPRIM_400000_NS6detail17trampoline_kernelINS0_14default_configENS1_27scan_by_key_config_selectorIj11FixedVectorIiLj2EEEEZZNS1_16scan_by_key_implILNS1_25lookback_scan_determinismE0ELb0ES3_N6thrust23THRUST_200600_302600_NS6detail15normal_iteratorINSB_10device_ptrIjEEEENSD_INSE_IS6_EEEESI_S6_NSB_4plusIvEENSB_8equal_toIvEES6_EE10hipError_tPvRmT2_T3_T4_T5_mT6_T7_P12ihipStream_tbENKUlT_T0_E_clISt17integral_constantIbLb0EES13_EEDaSY_SZ_EUlSY_E_NS1_11comp_targetILNS1_3genE8ELNS1_11target_archE1030ELNS1_3gpuE2ELNS1_3repE0EEENS1_30default_config_static_selectorELNS0_4arch9wavefront6targetE1EEEvT1_
                                        ; -- End function
	.section	.AMDGPU.csdata,"",@progbits
; Kernel info:
; codeLenInByte = 0
; NumSgprs: 6
; NumVgprs: 0
; NumAgprs: 0
; TotalNumVgprs: 0
; ScratchSize: 0
; MemoryBound: 0
; FloatMode: 240
; IeeeMode: 1
; LDSByteSize: 0 bytes/workgroup (compile time only)
; SGPRBlocks: 0
; VGPRBlocks: 0
; NumSGPRsForWavesPerEU: 6
; NumVGPRsForWavesPerEU: 1
; AccumOffset: 4
; Occupancy: 8
; WaveLimiterHint : 0
; COMPUTE_PGM_RSRC2:SCRATCH_EN: 0
; COMPUTE_PGM_RSRC2:USER_SGPR: 2
; COMPUTE_PGM_RSRC2:TRAP_HANDLER: 0
; COMPUTE_PGM_RSRC2:TGID_X_EN: 1
; COMPUTE_PGM_RSRC2:TGID_Y_EN: 0
; COMPUTE_PGM_RSRC2:TGID_Z_EN: 0
; COMPUTE_PGM_RSRC2:TIDIG_COMP_CNT: 0
; COMPUTE_PGM_RSRC3_GFX90A:ACCUM_OFFSET: 0
; COMPUTE_PGM_RSRC3_GFX90A:TG_SPLIT: 0
	.section	.text._ZN7rocprim17ROCPRIM_400000_NS6detail30init_device_scan_by_key_kernelINS1_19lookback_scan_stateINS0_5tupleIJ11FixedVectorIiLj2EEbEEELb1ELb1EEEN6thrust23THRUST_200600_302600_NS6detail15normal_iteratorINSA_10device_ptrIjEEEEjNS1_16block_id_wrapperIjLb1EEEEEvT_jjPNSI_10value_typeET0_PNSt15iterator_traitsISL_E10value_typeEmT1_T2_,"axG",@progbits,_ZN7rocprim17ROCPRIM_400000_NS6detail30init_device_scan_by_key_kernelINS1_19lookback_scan_stateINS0_5tupleIJ11FixedVectorIiLj2EEbEEELb1ELb1EEEN6thrust23THRUST_200600_302600_NS6detail15normal_iteratorINSA_10device_ptrIjEEEEjNS1_16block_id_wrapperIjLb1EEEEEvT_jjPNSI_10value_typeET0_PNSt15iterator_traitsISL_E10value_typeEmT1_T2_,comdat
	.protected	_ZN7rocprim17ROCPRIM_400000_NS6detail30init_device_scan_by_key_kernelINS1_19lookback_scan_stateINS0_5tupleIJ11FixedVectorIiLj2EEbEEELb1ELb1EEEN6thrust23THRUST_200600_302600_NS6detail15normal_iteratorINSA_10device_ptrIjEEEEjNS1_16block_id_wrapperIjLb1EEEEEvT_jjPNSI_10value_typeET0_PNSt15iterator_traitsISL_E10value_typeEmT1_T2_ ; -- Begin function _ZN7rocprim17ROCPRIM_400000_NS6detail30init_device_scan_by_key_kernelINS1_19lookback_scan_stateINS0_5tupleIJ11FixedVectorIiLj2EEbEEELb1ELb1EEEN6thrust23THRUST_200600_302600_NS6detail15normal_iteratorINSA_10device_ptrIjEEEEjNS1_16block_id_wrapperIjLb1EEEEEvT_jjPNSI_10value_typeET0_PNSt15iterator_traitsISL_E10value_typeEmT1_T2_
	.globl	_ZN7rocprim17ROCPRIM_400000_NS6detail30init_device_scan_by_key_kernelINS1_19lookback_scan_stateINS0_5tupleIJ11FixedVectorIiLj2EEbEEELb1ELb1EEEN6thrust23THRUST_200600_302600_NS6detail15normal_iteratorINSA_10device_ptrIjEEEEjNS1_16block_id_wrapperIjLb1EEEEEvT_jjPNSI_10value_typeET0_PNSt15iterator_traitsISL_E10value_typeEmT1_T2_
	.p2align	8
	.type	_ZN7rocprim17ROCPRIM_400000_NS6detail30init_device_scan_by_key_kernelINS1_19lookback_scan_stateINS0_5tupleIJ11FixedVectorIiLj2EEbEEELb1ELb1EEEN6thrust23THRUST_200600_302600_NS6detail15normal_iteratorINSA_10device_ptrIjEEEEjNS1_16block_id_wrapperIjLb1EEEEEvT_jjPNSI_10value_typeET0_PNSt15iterator_traitsISL_E10value_typeEmT1_T2_,@function
_ZN7rocprim17ROCPRIM_400000_NS6detail30init_device_scan_by_key_kernelINS1_19lookback_scan_stateINS0_5tupleIJ11FixedVectorIiLj2EEbEEELb1ELb1EEEN6thrust23THRUST_200600_302600_NS6detail15normal_iteratorINSA_10device_ptrIjEEEEjNS1_16block_id_wrapperIjLb1EEEEEvT_jjPNSI_10value_typeET0_PNSt15iterator_traitsISL_E10value_typeEmT1_T2_: ; @_ZN7rocprim17ROCPRIM_400000_NS6detail30init_device_scan_by_key_kernelINS1_19lookback_scan_stateINS0_5tupleIJ11FixedVectorIiLj2EEbEEELb1ELb1EEEN6thrust23THRUST_200600_302600_NS6detail15normal_iteratorINSA_10device_ptrIjEEEEjNS1_16block_id_wrapperIjLb1EEEEEvT_jjPNSI_10value_typeET0_PNSt15iterator_traitsISL_E10value_typeEmT1_T2_
; %bb.0:
	s_load_dword s3, s[0:1], 0x4c
	s_load_dwordx8 s[4:11], s[0:1], 0x0
	s_load_dword s18, s[0:1], 0x40
	s_waitcnt lgkmcnt(0)
	s_and_b32 s19, s3, 0xffff
	s_mul_i32 s2, s2, s19
	s_cmp_eq_u64 s[8:9], 0
	v_add_u32_e32 v4, s2, v0
	s_cbranch_scc1 .LBB1960_10
; %bb.1:
	s_cmp_lt_u32 s7, s6
	s_cselect_b32 s2, s7, 0
	s_mov_b32 s13, 0
	v_cmp_eq_u32_e32 vcc, s2, v4
	s_and_saveexec_b64 s[2:3], vcc
	s_cbranch_execz .LBB1960_9
; %bb.2:
	s_add_i32 s12, s7, 64
	s_lshl_b64 s[12:13], s[12:13], 4
	s_add_u32 s14, s4, s12
	s_addc_u32 s15, s5, s13
	v_mov_b64_e32 v[0:1], s[14:15]
	v_mov_b32_e32 v12, 0
	;;#ASMSTART
	global_load_dwordx4 v[0:3], v[0:1] off sc1	
s_waitcnt vmcnt(0)
	;;#ASMEND
	s_mov_b64 s[16:17], 0
	v_lshlrev_b64 v[16:17], 24, v[2:3]
	v_lshrrev_b32_e32 v5, 8, v1
	v_lshlrev_b64 v[18:19], 16, v[2:3]
	v_lshlrev_b64 v[20:21], 8, v[2:3]
	v_and_b32_e32 v13, 0xff, v3
	v_lshrrev_b64 v[6:7], 8, v[0:1]
	v_lshrrev_b64 v[10:11], 16, v[0:1]
	;; [unrolled: 1-line block ×3, first 2 shown]
	v_mov_b32_e32 v14, v1
	v_or_b32_e32 v16, v5, v16
	v_or_b32_sdwa v18, v1, v18 dst_sel:DWORD dst_unused:UNUSED_PAD src0_sel:WORD_1 src1_sel:DWORD
	v_or_b32_sdwa v20, v1, v20 dst_sel:DWORD dst_unused:UNUSED_PAD src0_sel:BYTE_3 src1_sel:DWORD
	v_cmp_eq_u64_e32 vcc, 0, v[12:13]
	s_and_saveexec_b64 s[12:13], vcc
	s_cbranch_execz .LBB1960_8
; %bb.3:
	s_mov_b32 s7, 1
	v_mov_b64_e32 v[6:7], s[14:15]
.LBB1960_4:                             ; =>This Loop Header: Depth=1
                                        ;     Child Loop BB1960_5 Depth 2
	s_max_u32 s14, s7, 1
.LBB1960_5:                             ;   Parent Loop BB1960_4 Depth=1
                                        ; =>  This Inner Loop Header: Depth=2
	s_add_i32 s14, s14, -1
	s_cmp_eq_u32 s14, 0
	s_sleep 1
	s_cbranch_scc0 .LBB1960_5
; %bb.6:                                ;   in Loop: Header=BB1960_4 Depth=1
	s_cmp_lt_u32 s7, 32
	s_cselect_b64 s[14:15], -1, 0
	s_cmp_lg_u64 s[14:15], 0
	;;#ASMSTART
	global_load_dwordx4 v[0:3], v[6:7] off sc1	
s_waitcnt vmcnt(0)
	;;#ASMEND
	s_addc_u32 s7, s7, 0
	v_and_b32_e32 v13, 0xff, v3
	v_cmp_ne_u64_e32 vcc, 0, v[12:13]
	s_or_b64 s[16:17], vcc, s[16:17]
	s_andn2_b64 exec, exec, s[16:17]
	s_cbranch_execnz .LBB1960_4
; %bb.7:
	s_or_b64 exec, exec, s[16:17]
	v_lshlrev_b64 v[12:13], 24, v[2:3]
	v_lshrrev_b32_e32 v5, 8, v1
	v_or_b32_e32 v16, v5, v12
	v_lshlrev_b64 v[12:13], 16, v[2:3]
	v_or_b32_sdwa v18, v1, v12 dst_sel:DWORD dst_unused:UNUSED_PAD src0_sel:WORD_1 src1_sel:DWORD
	v_lshlrev_b64 v[12:13], 8, v[2:3]
	v_lshrrev_b64 v[6:7], 8, v[0:1]
	v_lshrrev_b64 v[10:11], 16, v[0:1]
	;; [unrolled: 1-line block ×3, first 2 shown]
	v_mov_b32_e32 v14, v1
	v_or_b32_sdwa v20, v1, v12 dst_sel:DWORD dst_unused:UNUSED_PAD src0_sel:BYTE_3 src1_sel:DWORD
.LBB1960_8:
	s_or_b64 exec, exec, s[12:13]
	v_lshlrev_b32_e32 v3, 16, v18
	v_lshlrev_b32_e32 v1, 24, v20
	v_and_b32_e32 v3, 0xff0000, v3
	v_lshlrev_b32_e32 v5, 8, v16
	v_lshlrev_b32_e32 v10, 16, v10
	s_mov_b32 s7, 0x4020c0c
	v_and_b32_e32 v5, 0xff00, v5
	v_and_b32_e32 v9, 0xff, v14
	v_lshlrev_b32_e32 v6, 8, v6
	v_or_b32_e32 v1, v3, v1
	v_perm_b32 v3, v8, v10, s7
	v_and_b32_e32 v6, 0xff00, v6
	v_mov_b32_e32 v7, 0
	v_or3_b32 v1, v1, v5, v9
	v_or_b32_sdwa v0, v3, v0 dst_sel:DWORD dst_unused:UNUSED_PAD src0_sel:DWORD src1_sel:BYTE_0
	v_lshl_add_u64 v[0:1], v[0:1], 0, v[6:7]
	global_store_dwordx2 v7, v[0:1], s[8:9]
	global_store_byte v7, v2, s[8:9] offset:8
.LBB1960_9:
	s_or_b64 exec, exec, s[2:3]
.LBB1960_10:
	v_cmp_eq_u32_e32 vcc, 0, v4
	s_and_saveexec_b64 s[2:3], vcc
	s_cbranch_execz .LBB1960_12
; %bb.11:
	s_load_dwordx2 s[8:9], s[0:1], 0x38
	v_mov_b32_e32 v0, 0
	s_waitcnt lgkmcnt(0)
	global_store_dword v0, v0, s[8:9]
.LBB1960_12:
	s_or_b64 exec, exec, s[2:3]
	v_cmp_gt_u32_e32 vcc, s6, v4
	s_and_saveexec_b64 s[2:3], vcc
	s_cbranch_execz .LBB1960_14
; %bb.13:
	v_add_u32_e32 v0, 64, v4
	v_mov_b32_e32 v1, 0
	v_lshl_add_u64 v[6:7], v[0:1], 4, s[4:5]
	v_mov_b32_e32 v0, v1
	v_mov_b32_e32 v2, v1
	;; [unrolled: 1-line block ×3, first 2 shown]
	global_store_dwordx4 v[6:7], v[0:3], off
.LBB1960_14:
	s_or_b64 exec, exec, s[2:3]
	v_cmp_gt_u32_e32 vcc, 64, v4
	v_mov_b32_e32 v5, 0
	s_and_saveexec_b64 s[2:3], vcc
	s_cbranch_execz .LBB1960_16
; %bb.15:
	v_lshl_add_u64 v[6:7], v[4:5], 4, s[4:5]
	v_mov_b32_e32 v3, 0xff
	v_mov_b32_e32 v0, v5
	;; [unrolled: 1-line block ×4, first 2 shown]
	global_store_dwordx4 v[6:7], v[0:3], off
.LBB1960_16:
	s_or_b64 exec, exec, s[2:3]
	s_load_dwordx2 s[2:3], s[0:1], 0x28
	s_waitcnt lgkmcnt(0)
	v_cmp_gt_u64_e32 vcc, s[2:3], v[4:5]
	s_and_saveexec_b64 s[4:5], vcc
	s_cbranch_execz .LBB1960_19
; %bb.17:
	s_load_dword s12, s[0:1], 0x30
	s_load_dwordx2 s[6:7], s[0:1], 0x20
	s_mov_b32 s5, 0
	s_mov_b32 s1, s5
	s_mul_i32 s0, s18, s19
	s_waitcnt lgkmcnt(0)
	s_add_i32 s4, s12, -1
	s_lshl_b64 s[4:5], s[4:5], 2
	s_add_u32 s4, s10, s4
	v_mad_u64_u32 v[0:1], s[8:9], s12, v4, 0
	s_addc_u32 s5, s11, s5
	v_lshl_add_u64 v[0:1], v[0:1], 2, s[4:5]
	s_mul_hi_u32 s5, s12, s0
	s_mul_i32 s4, s12, s0
	s_lshl_b64 s[4:5], s[4:5], 2
	v_lshl_add_u64 v[2:3], v[4:5], 2, s[6:7]
	s_lshl_b64 s[6:7], s[0:1], 2
	s_mov_b64 s[8:9], 0
.LBB1960_18:                            ; =>This Inner Loop Header: Depth=1
	global_load_dword v6, v[0:1], off
	v_lshl_add_u64 v[4:5], v[4:5], 0, s[0:1]
	v_cmp_le_u64_e32 vcc, s[2:3], v[4:5]
	v_lshl_add_u64 v[0:1], v[0:1], 0, s[4:5]
	s_or_b64 s[8:9], vcc, s[8:9]
	s_waitcnt vmcnt(0)
	global_store_dword v[2:3], v6, off
	v_lshl_add_u64 v[2:3], v[2:3], 0, s[6:7]
	s_andn2_b64 exec, exec, s[8:9]
	s_cbranch_execnz .LBB1960_18
.LBB1960_19:
	s_endpgm
	.section	.rodata,"a",@progbits
	.p2align	6, 0x0
	.amdhsa_kernel _ZN7rocprim17ROCPRIM_400000_NS6detail30init_device_scan_by_key_kernelINS1_19lookback_scan_stateINS0_5tupleIJ11FixedVectorIiLj2EEbEEELb1ELb1EEEN6thrust23THRUST_200600_302600_NS6detail15normal_iteratorINSA_10device_ptrIjEEEEjNS1_16block_id_wrapperIjLb1EEEEEvT_jjPNSI_10value_typeET0_PNSt15iterator_traitsISL_E10value_typeEmT1_T2_
		.amdhsa_group_segment_fixed_size 0
		.amdhsa_private_segment_fixed_size 0
		.amdhsa_kernarg_size 320
		.amdhsa_user_sgpr_count 2
		.amdhsa_user_sgpr_dispatch_ptr 0
		.amdhsa_user_sgpr_queue_ptr 0
		.amdhsa_user_sgpr_kernarg_segment_ptr 1
		.amdhsa_user_sgpr_dispatch_id 0
		.amdhsa_user_sgpr_kernarg_preload_length 0
		.amdhsa_user_sgpr_kernarg_preload_offset 0
		.amdhsa_user_sgpr_private_segment_size 0
		.amdhsa_uses_dynamic_stack 0
		.amdhsa_enable_private_segment 0
		.amdhsa_system_sgpr_workgroup_id_x 1
		.amdhsa_system_sgpr_workgroup_id_y 0
		.amdhsa_system_sgpr_workgroup_id_z 0
		.amdhsa_system_sgpr_workgroup_info 0
		.amdhsa_system_vgpr_workitem_id 0
		.amdhsa_next_free_vgpr 22
		.amdhsa_next_free_sgpr 20
		.amdhsa_accum_offset 24
		.amdhsa_reserve_vcc 1
		.amdhsa_float_round_mode_32 0
		.amdhsa_float_round_mode_16_64 0
		.amdhsa_float_denorm_mode_32 3
		.amdhsa_float_denorm_mode_16_64 3
		.amdhsa_dx10_clamp 1
		.amdhsa_ieee_mode 1
		.amdhsa_fp16_overflow 0
		.amdhsa_tg_split 0
		.amdhsa_exception_fp_ieee_invalid_op 0
		.amdhsa_exception_fp_denorm_src 0
		.amdhsa_exception_fp_ieee_div_zero 0
		.amdhsa_exception_fp_ieee_overflow 0
		.amdhsa_exception_fp_ieee_underflow 0
		.amdhsa_exception_fp_ieee_inexact 0
		.amdhsa_exception_int_div_zero 0
	.end_amdhsa_kernel
	.section	.text._ZN7rocprim17ROCPRIM_400000_NS6detail30init_device_scan_by_key_kernelINS1_19lookback_scan_stateINS0_5tupleIJ11FixedVectorIiLj2EEbEEELb1ELb1EEEN6thrust23THRUST_200600_302600_NS6detail15normal_iteratorINSA_10device_ptrIjEEEEjNS1_16block_id_wrapperIjLb1EEEEEvT_jjPNSI_10value_typeET0_PNSt15iterator_traitsISL_E10value_typeEmT1_T2_,"axG",@progbits,_ZN7rocprim17ROCPRIM_400000_NS6detail30init_device_scan_by_key_kernelINS1_19lookback_scan_stateINS0_5tupleIJ11FixedVectorIiLj2EEbEEELb1ELb1EEEN6thrust23THRUST_200600_302600_NS6detail15normal_iteratorINSA_10device_ptrIjEEEEjNS1_16block_id_wrapperIjLb1EEEEEvT_jjPNSI_10value_typeET0_PNSt15iterator_traitsISL_E10value_typeEmT1_T2_,comdat
.Lfunc_end1960:
	.size	_ZN7rocprim17ROCPRIM_400000_NS6detail30init_device_scan_by_key_kernelINS1_19lookback_scan_stateINS0_5tupleIJ11FixedVectorIiLj2EEbEEELb1ELb1EEEN6thrust23THRUST_200600_302600_NS6detail15normal_iteratorINSA_10device_ptrIjEEEEjNS1_16block_id_wrapperIjLb1EEEEEvT_jjPNSI_10value_typeET0_PNSt15iterator_traitsISL_E10value_typeEmT1_T2_, .Lfunc_end1960-_ZN7rocprim17ROCPRIM_400000_NS6detail30init_device_scan_by_key_kernelINS1_19lookback_scan_stateINS0_5tupleIJ11FixedVectorIiLj2EEbEEELb1ELb1EEEN6thrust23THRUST_200600_302600_NS6detail15normal_iteratorINSA_10device_ptrIjEEEEjNS1_16block_id_wrapperIjLb1EEEEEvT_jjPNSI_10value_typeET0_PNSt15iterator_traitsISL_E10value_typeEmT1_T2_
                                        ; -- End function
	.section	.AMDGPU.csdata,"",@progbits
; Kernel info:
; codeLenInByte = 832
; NumSgprs: 26
; NumVgprs: 22
; NumAgprs: 0
; TotalNumVgprs: 22
; ScratchSize: 0
; MemoryBound: 0
; FloatMode: 240
; IeeeMode: 1
; LDSByteSize: 0 bytes/workgroup (compile time only)
; SGPRBlocks: 3
; VGPRBlocks: 2
; NumSGPRsForWavesPerEU: 26
; NumVGPRsForWavesPerEU: 22
; AccumOffset: 24
; Occupancy: 8
; WaveLimiterHint : 0
; COMPUTE_PGM_RSRC2:SCRATCH_EN: 0
; COMPUTE_PGM_RSRC2:USER_SGPR: 2
; COMPUTE_PGM_RSRC2:TRAP_HANDLER: 0
; COMPUTE_PGM_RSRC2:TGID_X_EN: 1
; COMPUTE_PGM_RSRC2:TGID_Y_EN: 0
; COMPUTE_PGM_RSRC2:TGID_Z_EN: 0
; COMPUTE_PGM_RSRC2:TIDIG_COMP_CNT: 0
; COMPUTE_PGM_RSRC3_GFX90A:ACCUM_OFFSET: 5
; COMPUTE_PGM_RSRC3_GFX90A:TG_SPLIT: 0
	.section	.text._ZN7rocprim17ROCPRIM_400000_NS6detail30init_device_scan_by_key_kernelINS1_19lookback_scan_stateINS0_5tupleIJ11FixedVectorIiLj2EEbEEELb1ELb1EEENS1_16block_id_wrapperIjLb1EEEEEvT_jjPNSB_10value_typeET0_,"axG",@progbits,_ZN7rocprim17ROCPRIM_400000_NS6detail30init_device_scan_by_key_kernelINS1_19lookback_scan_stateINS0_5tupleIJ11FixedVectorIiLj2EEbEEELb1ELb1EEENS1_16block_id_wrapperIjLb1EEEEEvT_jjPNSB_10value_typeET0_,comdat
	.protected	_ZN7rocprim17ROCPRIM_400000_NS6detail30init_device_scan_by_key_kernelINS1_19lookback_scan_stateINS0_5tupleIJ11FixedVectorIiLj2EEbEEELb1ELb1EEENS1_16block_id_wrapperIjLb1EEEEEvT_jjPNSB_10value_typeET0_ ; -- Begin function _ZN7rocprim17ROCPRIM_400000_NS6detail30init_device_scan_by_key_kernelINS1_19lookback_scan_stateINS0_5tupleIJ11FixedVectorIiLj2EEbEEELb1ELb1EEENS1_16block_id_wrapperIjLb1EEEEEvT_jjPNSB_10value_typeET0_
	.globl	_ZN7rocprim17ROCPRIM_400000_NS6detail30init_device_scan_by_key_kernelINS1_19lookback_scan_stateINS0_5tupleIJ11FixedVectorIiLj2EEbEEELb1ELb1EEENS1_16block_id_wrapperIjLb1EEEEEvT_jjPNSB_10value_typeET0_
	.p2align	8
	.type	_ZN7rocprim17ROCPRIM_400000_NS6detail30init_device_scan_by_key_kernelINS1_19lookback_scan_stateINS0_5tupleIJ11FixedVectorIiLj2EEbEEELb1ELb1EEENS1_16block_id_wrapperIjLb1EEEEEvT_jjPNSB_10value_typeET0_,@function
_ZN7rocprim17ROCPRIM_400000_NS6detail30init_device_scan_by_key_kernelINS1_19lookback_scan_stateINS0_5tupleIJ11FixedVectorIiLj2EEbEEELb1ELb1EEENS1_16block_id_wrapperIjLb1EEEEEvT_jjPNSB_10value_typeET0_: ; @_ZN7rocprim17ROCPRIM_400000_NS6detail30init_device_scan_by_key_kernelINS1_19lookback_scan_stateINS0_5tupleIJ11FixedVectorIiLj2EEbEEELb1ELb1EEENS1_16block_id_wrapperIjLb1EEEEEvT_jjPNSB_10value_typeET0_
; %bb.0:
	s_load_dword s3, s[0:1], 0x2c
	s_load_dwordx8 s[4:11], s[0:1], 0x0
	s_waitcnt lgkmcnt(0)
	s_and_b32 s0, s3, 0xffff
	s_mul_i32 s2, s2, s0
	s_cmp_eq_u64 s[8:9], 0
	v_add_u32_e32 v0, s2, v0
	s_cbranch_scc1 .LBB1961_10
; %bb.1:
	s_cmp_lt_u32 s7, s6
	s_cselect_b32 s0, s7, 0
	s_mov_b32 s3, 0
	v_cmp_eq_u32_e32 vcc, s0, v0
	s_and_saveexec_b64 s[0:1], vcc
	s_cbranch_execz .LBB1961_9
; %bb.2:
	s_add_i32 s2, s7, 64
	s_lshl_b64 s[2:3], s[2:3], 4
	s_add_u32 s12, s4, s2
	s_addc_u32 s13, s5, s3
	v_mov_b64_e32 v[2:3], s[12:13]
	v_mov_b32_e32 v12, 0
	;;#ASMSTART
	global_load_dwordx4 v[2:5], v[2:3] off sc1	
s_waitcnt vmcnt(0)
	;;#ASMEND
	s_mov_b64 s[14:15], 0
	v_lshlrev_b64 v[16:17], 24, v[4:5]
	v_lshrrev_b32_e32 v1, 8, v3
	v_lshlrev_b64 v[18:19], 16, v[4:5]
	v_lshlrev_b64 v[20:21], 8, v[4:5]
	v_and_b32_e32 v13, 0xff, v5
	v_lshrrev_b64 v[6:7], 8, v[2:3]
	v_lshrrev_b64 v[10:11], 16, v[2:3]
	;; [unrolled: 1-line block ×3, first 2 shown]
	v_mov_b32_e32 v14, v3
	v_or_b32_e32 v16, v1, v16
	v_or_b32_sdwa v18, v3, v18 dst_sel:DWORD dst_unused:UNUSED_PAD src0_sel:WORD_1 src1_sel:DWORD
	v_or_b32_sdwa v20, v3, v20 dst_sel:DWORD dst_unused:UNUSED_PAD src0_sel:BYTE_3 src1_sel:DWORD
	v_cmp_eq_u64_e32 vcc, 0, v[12:13]
	s_and_saveexec_b64 s[2:3], vcc
	s_cbranch_execz .LBB1961_8
; %bb.3:
	s_mov_b32 s7, 1
	v_mov_b64_e32 v[6:7], s[12:13]
.LBB1961_4:                             ; =>This Loop Header: Depth=1
                                        ;     Child Loop BB1961_5 Depth 2
	s_max_u32 s12, s7, 1
.LBB1961_5:                             ;   Parent Loop BB1961_4 Depth=1
                                        ; =>  This Inner Loop Header: Depth=2
	s_add_i32 s12, s12, -1
	s_cmp_eq_u32 s12, 0
	s_sleep 1
	s_cbranch_scc0 .LBB1961_5
; %bb.6:                                ;   in Loop: Header=BB1961_4 Depth=1
	s_cmp_lt_u32 s7, 32
	s_cselect_b64 s[12:13], -1, 0
	s_cmp_lg_u64 s[12:13], 0
	;;#ASMSTART
	global_load_dwordx4 v[2:5], v[6:7] off sc1	
s_waitcnt vmcnt(0)
	;;#ASMEND
	s_addc_u32 s7, s7, 0
	v_and_b32_e32 v13, 0xff, v5
	v_cmp_ne_u64_e32 vcc, 0, v[12:13]
	s_or_b64 s[14:15], vcc, s[14:15]
	s_andn2_b64 exec, exec, s[14:15]
	s_cbranch_execnz .LBB1961_4
; %bb.7:
	s_or_b64 exec, exec, s[14:15]
	v_lshlrev_b64 v[12:13], 24, v[4:5]
	v_lshrrev_b32_e32 v1, 8, v3
	v_or_b32_e32 v16, v1, v12
	v_lshlrev_b64 v[12:13], 16, v[4:5]
	v_or_b32_sdwa v18, v3, v12 dst_sel:DWORD dst_unused:UNUSED_PAD src0_sel:WORD_1 src1_sel:DWORD
	v_lshlrev_b64 v[12:13], 8, v[4:5]
	v_lshrrev_b64 v[6:7], 8, v[2:3]
	v_lshrrev_b64 v[10:11], 16, v[2:3]
	;; [unrolled: 1-line block ×3, first 2 shown]
	v_mov_b32_e32 v14, v3
	v_or_b32_sdwa v20, v3, v12 dst_sel:DWORD dst_unused:UNUSED_PAD src0_sel:BYTE_3 src1_sel:DWORD
.LBB1961_8:
	s_or_b64 exec, exec, s[2:3]
	v_lshlrev_b32_e32 v3, 16, v18
	v_lshlrev_b32_e32 v1, 24, v20
	v_and_b32_e32 v3, 0xff0000, v3
	v_lshlrev_b32_e32 v5, 8, v16
	v_and_b32_e32 v5, 0xff00, v5
	v_and_b32_e32 v9, 0xff, v14
	v_lshlrev_b32_e32 v10, 16, v10
	v_or_b32_e32 v1, v3, v1
	s_mov_b32 s2, 0x4020c0c
	v_lshlrev_b32_e32 v6, 8, v6
	v_or3_b32 v3, v1, v5, v9
	v_perm_b32 v1, v8, v10, s2
	v_and_b32_e32 v6, 0xff00, v6
	v_mov_b32_e32 v7, 0
	v_or_b32_sdwa v2, v1, v2 dst_sel:DWORD dst_unused:UNUSED_PAD src0_sel:DWORD src1_sel:BYTE_0
	v_lshl_add_u64 v[2:3], v[2:3], 0, v[6:7]
	global_store_dwordx2 v7, v[2:3], s[8:9]
	global_store_byte v7, v4, s[8:9] offset:8
.LBB1961_9:
	s_or_b64 exec, exec, s[0:1]
.LBB1961_10:
	v_cmp_eq_u32_e32 vcc, 0, v0
	s_and_saveexec_b64 s[0:1], vcc
	s_cbranch_execnz .LBB1961_14
; %bb.11:
	s_or_b64 exec, exec, s[0:1]
	v_cmp_gt_u32_e32 vcc, s6, v0
	s_and_saveexec_b64 s[0:1], vcc
	s_cbranch_execnz .LBB1961_15
.LBB1961_12:
	s_or_b64 exec, exec, s[0:1]
	v_cmp_gt_u32_e32 vcc, 64, v0
	s_and_saveexec_b64 s[0:1], vcc
	s_cbranch_execnz .LBB1961_16
.LBB1961_13:
	s_endpgm
.LBB1961_14:
	v_mov_b32_e32 v1, 0
	global_store_dword v1, v1, s[10:11]
	s_or_b64 exec, exec, s[0:1]
	v_cmp_gt_u32_e32 vcc, s6, v0
	s_and_saveexec_b64 s[0:1], vcc
	s_cbranch_execz .LBB1961_12
.LBB1961_15:
	v_add_u32_e32 v2, 64, v0
	v_mov_b32_e32 v3, 0
	v_lshl_add_u64 v[6:7], v[2:3], 4, s[4:5]
	v_mov_b32_e32 v2, v3
	v_mov_b32_e32 v4, v3
	;; [unrolled: 1-line block ×3, first 2 shown]
	global_store_dwordx4 v[6:7], v[2:5], off
	s_or_b64 exec, exec, s[0:1]
	v_cmp_gt_u32_e32 vcc, 64, v0
	s_and_saveexec_b64 s[0:1], vcc
	s_cbranch_execz .LBB1961_13
.LBB1961_16:
	v_mov_b32_e32 v1, 0
	v_lshl_add_u64 v[4:5], v[0:1], 4, s[4:5]
	v_mov_b32_e32 v3, 0xff
	v_mov_b32_e32 v0, v1
	;; [unrolled: 1-line block ×3, first 2 shown]
	global_store_dwordx4 v[4:5], v[0:3], off
	s_endpgm
	.section	.rodata,"a",@progbits
	.p2align	6, 0x0
	.amdhsa_kernel _ZN7rocprim17ROCPRIM_400000_NS6detail30init_device_scan_by_key_kernelINS1_19lookback_scan_stateINS0_5tupleIJ11FixedVectorIiLj2EEbEEELb1ELb1EEENS1_16block_id_wrapperIjLb1EEEEEvT_jjPNSB_10value_typeET0_
		.amdhsa_group_segment_fixed_size 0
		.amdhsa_private_segment_fixed_size 0
		.amdhsa_kernarg_size 288
		.amdhsa_user_sgpr_count 2
		.amdhsa_user_sgpr_dispatch_ptr 0
		.amdhsa_user_sgpr_queue_ptr 0
		.amdhsa_user_sgpr_kernarg_segment_ptr 1
		.amdhsa_user_sgpr_dispatch_id 0
		.amdhsa_user_sgpr_kernarg_preload_length 0
		.amdhsa_user_sgpr_kernarg_preload_offset 0
		.amdhsa_user_sgpr_private_segment_size 0
		.amdhsa_uses_dynamic_stack 0
		.amdhsa_enable_private_segment 0
		.amdhsa_system_sgpr_workgroup_id_x 1
		.amdhsa_system_sgpr_workgroup_id_y 0
		.amdhsa_system_sgpr_workgroup_id_z 0
		.amdhsa_system_sgpr_workgroup_info 0
		.amdhsa_system_vgpr_workitem_id 0
		.amdhsa_next_free_vgpr 22
		.amdhsa_next_free_sgpr 16
		.amdhsa_accum_offset 24
		.amdhsa_reserve_vcc 1
		.amdhsa_float_round_mode_32 0
		.amdhsa_float_round_mode_16_64 0
		.amdhsa_float_denorm_mode_32 3
		.amdhsa_float_denorm_mode_16_64 3
		.amdhsa_dx10_clamp 1
		.amdhsa_ieee_mode 1
		.amdhsa_fp16_overflow 0
		.amdhsa_tg_split 0
		.amdhsa_exception_fp_ieee_invalid_op 0
		.amdhsa_exception_fp_denorm_src 0
		.amdhsa_exception_fp_ieee_div_zero 0
		.amdhsa_exception_fp_ieee_overflow 0
		.amdhsa_exception_fp_ieee_underflow 0
		.amdhsa_exception_fp_ieee_inexact 0
		.amdhsa_exception_int_div_zero 0
	.end_amdhsa_kernel
	.section	.text._ZN7rocprim17ROCPRIM_400000_NS6detail30init_device_scan_by_key_kernelINS1_19lookback_scan_stateINS0_5tupleIJ11FixedVectorIiLj2EEbEEELb1ELb1EEENS1_16block_id_wrapperIjLb1EEEEEvT_jjPNSB_10value_typeET0_,"axG",@progbits,_ZN7rocprim17ROCPRIM_400000_NS6detail30init_device_scan_by_key_kernelINS1_19lookback_scan_stateINS0_5tupleIJ11FixedVectorIiLj2EEbEEELb1ELb1EEENS1_16block_id_wrapperIjLb1EEEEEvT_jjPNSB_10value_typeET0_,comdat
.Lfunc_end1961:
	.size	_ZN7rocprim17ROCPRIM_400000_NS6detail30init_device_scan_by_key_kernelINS1_19lookback_scan_stateINS0_5tupleIJ11FixedVectorIiLj2EEbEEELb1ELb1EEENS1_16block_id_wrapperIjLb1EEEEEvT_jjPNSB_10value_typeET0_, .Lfunc_end1961-_ZN7rocprim17ROCPRIM_400000_NS6detail30init_device_scan_by_key_kernelINS1_19lookback_scan_stateINS0_5tupleIJ11FixedVectorIiLj2EEbEEELb1ELb1EEENS1_16block_id_wrapperIjLb1EEEEEvT_jjPNSB_10value_typeET0_
                                        ; -- End function
	.section	.AMDGPU.csdata,"",@progbits
; Kernel info:
; codeLenInByte = 664
; NumSgprs: 22
; NumVgprs: 22
; NumAgprs: 0
; TotalNumVgprs: 22
; ScratchSize: 0
; MemoryBound: 0
; FloatMode: 240
; IeeeMode: 1
; LDSByteSize: 0 bytes/workgroup (compile time only)
; SGPRBlocks: 2
; VGPRBlocks: 2
; NumSGPRsForWavesPerEU: 22
; NumVGPRsForWavesPerEU: 22
; AccumOffset: 24
; Occupancy: 8
; WaveLimiterHint : 0
; COMPUTE_PGM_RSRC2:SCRATCH_EN: 0
; COMPUTE_PGM_RSRC2:USER_SGPR: 2
; COMPUTE_PGM_RSRC2:TRAP_HANDLER: 0
; COMPUTE_PGM_RSRC2:TGID_X_EN: 1
; COMPUTE_PGM_RSRC2:TGID_Y_EN: 0
; COMPUTE_PGM_RSRC2:TGID_Z_EN: 0
; COMPUTE_PGM_RSRC2:TIDIG_COMP_CNT: 0
; COMPUTE_PGM_RSRC3_GFX90A:ACCUM_OFFSET: 5
; COMPUTE_PGM_RSRC3_GFX90A:TG_SPLIT: 0
	.section	.text._ZN7rocprim17ROCPRIM_400000_NS6detail17trampoline_kernelINS0_14default_configENS1_27scan_by_key_config_selectorIj11FixedVectorIiLj2EEEEZZNS1_16scan_by_key_implILNS1_25lookback_scan_determinismE0ELb0ES3_N6thrust23THRUST_200600_302600_NS6detail15normal_iteratorINSB_10device_ptrIjEEEENSD_INSE_IS6_EEEESI_S6_NSB_4plusIvEENSB_8equal_toIvEES6_EE10hipError_tPvRmT2_T3_T4_T5_mT6_T7_P12ihipStream_tbENKUlT_T0_E_clISt17integral_constantIbLb1EES13_EEDaSY_SZ_EUlSY_E_NS1_11comp_targetILNS1_3genE0ELNS1_11target_archE4294967295ELNS1_3gpuE0ELNS1_3repE0EEENS1_30default_config_static_selectorELNS0_4arch9wavefront6targetE1EEEvT1_,"axG",@progbits,_ZN7rocprim17ROCPRIM_400000_NS6detail17trampoline_kernelINS0_14default_configENS1_27scan_by_key_config_selectorIj11FixedVectorIiLj2EEEEZZNS1_16scan_by_key_implILNS1_25lookback_scan_determinismE0ELb0ES3_N6thrust23THRUST_200600_302600_NS6detail15normal_iteratorINSB_10device_ptrIjEEEENSD_INSE_IS6_EEEESI_S6_NSB_4plusIvEENSB_8equal_toIvEES6_EE10hipError_tPvRmT2_T3_T4_T5_mT6_T7_P12ihipStream_tbENKUlT_T0_E_clISt17integral_constantIbLb1EES13_EEDaSY_SZ_EUlSY_E_NS1_11comp_targetILNS1_3genE0ELNS1_11target_archE4294967295ELNS1_3gpuE0ELNS1_3repE0EEENS1_30default_config_static_selectorELNS0_4arch9wavefront6targetE1EEEvT1_,comdat
	.protected	_ZN7rocprim17ROCPRIM_400000_NS6detail17trampoline_kernelINS0_14default_configENS1_27scan_by_key_config_selectorIj11FixedVectorIiLj2EEEEZZNS1_16scan_by_key_implILNS1_25lookback_scan_determinismE0ELb0ES3_N6thrust23THRUST_200600_302600_NS6detail15normal_iteratorINSB_10device_ptrIjEEEENSD_INSE_IS6_EEEESI_S6_NSB_4plusIvEENSB_8equal_toIvEES6_EE10hipError_tPvRmT2_T3_T4_T5_mT6_T7_P12ihipStream_tbENKUlT_T0_E_clISt17integral_constantIbLb1EES13_EEDaSY_SZ_EUlSY_E_NS1_11comp_targetILNS1_3genE0ELNS1_11target_archE4294967295ELNS1_3gpuE0ELNS1_3repE0EEENS1_30default_config_static_selectorELNS0_4arch9wavefront6targetE1EEEvT1_ ; -- Begin function _ZN7rocprim17ROCPRIM_400000_NS6detail17trampoline_kernelINS0_14default_configENS1_27scan_by_key_config_selectorIj11FixedVectorIiLj2EEEEZZNS1_16scan_by_key_implILNS1_25lookback_scan_determinismE0ELb0ES3_N6thrust23THRUST_200600_302600_NS6detail15normal_iteratorINSB_10device_ptrIjEEEENSD_INSE_IS6_EEEESI_S6_NSB_4plusIvEENSB_8equal_toIvEES6_EE10hipError_tPvRmT2_T3_T4_T5_mT6_T7_P12ihipStream_tbENKUlT_T0_E_clISt17integral_constantIbLb1EES13_EEDaSY_SZ_EUlSY_E_NS1_11comp_targetILNS1_3genE0ELNS1_11target_archE4294967295ELNS1_3gpuE0ELNS1_3repE0EEENS1_30default_config_static_selectorELNS0_4arch9wavefront6targetE1EEEvT1_
	.globl	_ZN7rocprim17ROCPRIM_400000_NS6detail17trampoline_kernelINS0_14default_configENS1_27scan_by_key_config_selectorIj11FixedVectorIiLj2EEEEZZNS1_16scan_by_key_implILNS1_25lookback_scan_determinismE0ELb0ES3_N6thrust23THRUST_200600_302600_NS6detail15normal_iteratorINSB_10device_ptrIjEEEENSD_INSE_IS6_EEEESI_S6_NSB_4plusIvEENSB_8equal_toIvEES6_EE10hipError_tPvRmT2_T3_T4_T5_mT6_T7_P12ihipStream_tbENKUlT_T0_E_clISt17integral_constantIbLb1EES13_EEDaSY_SZ_EUlSY_E_NS1_11comp_targetILNS1_3genE0ELNS1_11target_archE4294967295ELNS1_3gpuE0ELNS1_3repE0EEENS1_30default_config_static_selectorELNS0_4arch9wavefront6targetE1EEEvT1_
	.p2align	8
	.type	_ZN7rocprim17ROCPRIM_400000_NS6detail17trampoline_kernelINS0_14default_configENS1_27scan_by_key_config_selectorIj11FixedVectorIiLj2EEEEZZNS1_16scan_by_key_implILNS1_25lookback_scan_determinismE0ELb0ES3_N6thrust23THRUST_200600_302600_NS6detail15normal_iteratorINSB_10device_ptrIjEEEENSD_INSE_IS6_EEEESI_S6_NSB_4plusIvEENSB_8equal_toIvEES6_EE10hipError_tPvRmT2_T3_T4_T5_mT6_T7_P12ihipStream_tbENKUlT_T0_E_clISt17integral_constantIbLb1EES13_EEDaSY_SZ_EUlSY_E_NS1_11comp_targetILNS1_3genE0ELNS1_11target_archE4294967295ELNS1_3gpuE0ELNS1_3repE0EEENS1_30default_config_static_selectorELNS0_4arch9wavefront6targetE1EEEvT1_,@function
_ZN7rocprim17ROCPRIM_400000_NS6detail17trampoline_kernelINS0_14default_configENS1_27scan_by_key_config_selectorIj11FixedVectorIiLj2EEEEZZNS1_16scan_by_key_implILNS1_25lookback_scan_determinismE0ELb0ES3_N6thrust23THRUST_200600_302600_NS6detail15normal_iteratorINSB_10device_ptrIjEEEENSD_INSE_IS6_EEEESI_S6_NSB_4plusIvEENSB_8equal_toIvEES6_EE10hipError_tPvRmT2_T3_T4_T5_mT6_T7_P12ihipStream_tbENKUlT_T0_E_clISt17integral_constantIbLb1EES13_EEDaSY_SZ_EUlSY_E_NS1_11comp_targetILNS1_3genE0ELNS1_11target_archE4294967295ELNS1_3gpuE0ELNS1_3repE0EEENS1_30default_config_static_selectorELNS0_4arch9wavefront6targetE1EEEvT1_: ; @_ZN7rocprim17ROCPRIM_400000_NS6detail17trampoline_kernelINS0_14default_configENS1_27scan_by_key_config_selectorIj11FixedVectorIiLj2EEEEZZNS1_16scan_by_key_implILNS1_25lookback_scan_determinismE0ELb0ES3_N6thrust23THRUST_200600_302600_NS6detail15normal_iteratorINSB_10device_ptrIjEEEENSD_INSE_IS6_EEEESI_S6_NSB_4plusIvEENSB_8equal_toIvEES6_EE10hipError_tPvRmT2_T3_T4_T5_mT6_T7_P12ihipStream_tbENKUlT_T0_E_clISt17integral_constantIbLb1EES13_EEDaSY_SZ_EUlSY_E_NS1_11comp_targetILNS1_3genE0ELNS1_11target_archE4294967295ELNS1_3gpuE0ELNS1_3repE0EEENS1_30default_config_static_selectorELNS0_4arch9wavefront6targetE1EEEvT1_
; %bb.0:
	.section	.rodata,"a",@progbits
	.p2align	6, 0x0
	.amdhsa_kernel _ZN7rocprim17ROCPRIM_400000_NS6detail17trampoline_kernelINS0_14default_configENS1_27scan_by_key_config_selectorIj11FixedVectorIiLj2EEEEZZNS1_16scan_by_key_implILNS1_25lookback_scan_determinismE0ELb0ES3_N6thrust23THRUST_200600_302600_NS6detail15normal_iteratorINSB_10device_ptrIjEEEENSD_INSE_IS6_EEEESI_S6_NSB_4plusIvEENSB_8equal_toIvEES6_EE10hipError_tPvRmT2_T3_T4_T5_mT6_T7_P12ihipStream_tbENKUlT_T0_E_clISt17integral_constantIbLb1EES13_EEDaSY_SZ_EUlSY_E_NS1_11comp_targetILNS1_3genE0ELNS1_11target_archE4294967295ELNS1_3gpuE0ELNS1_3repE0EEENS1_30default_config_static_selectorELNS0_4arch9wavefront6targetE1EEEvT1_
		.amdhsa_group_segment_fixed_size 0
		.amdhsa_private_segment_fixed_size 0
		.amdhsa_kernarg_size 120
		.amdhsa_user_sgpr_count 2
		.amdhsa_user_sgpr_dispatch_ptr 0
		.amdhsa_user_sgpr_queue_ptr 0
		.amdhsa_user_sgpr_kernarg_segment_ptr 1
		.amdhsa_user_sgpr_dispatch_id 0
		.amdhsa_user_sgpr_kernarg_preload_length 0
		.amdhsa_user_sgpr_kernarg_preload_offset 0
		.amdhsa_user_sgpr_private_segment_size 0
		.amdhsa_uses_dynamic_stack 0
		.amdhsa_enable_private_segment 0
		.amdhsa_system_sgpr_workgroup_id_x 1
		.amdhsa_system_sgpr_workgroup_id_y 0
		.amdhsa_system_sgpr_workgroup_id_z 0
		.amdhsa_system_sgpr_workgroup_info 0
		.amdhsa_system_vgpr_workitem_id 0
		.amdhsa_next_free_vgpr 1
		.amdhsa_next_free_sgpr 0
		.amdhsa_accum_offset 4
		.amdhsa_reserve_vcc 0
		.amdhsa_float_round_mode_32 0
		.amdhsa_float_round_mode_16_64 0
		.amdhsa_float_denorm_mode_32 3
		.amdhsa_float_denorm_mode_16_64 3
		.amdhsa_dx10_clamp 1
		.amdhsa_ieee_mode 1
		.amdhsa_fp16_overflow 0
		.amdhsa_tg_split 0
		.amdhsa_exception_fp_ieee_invalid_op 0
		.amdhsa_exception_fp_denorm_src 0
		.amdhsa_exception_fp_ieee_div_zero 0
		.amdhsa_exception_fp_ieee_overflow 0
		.amdhsa_exception_fp_ieee_underflow 0
		.amdhsa_exception_fp_ieee_inexact 0
		.amdhsa_exception_int_div_zero 0
	.end_amdhsa_kernel
	.section	.text._ZN7rocprim17ROCPRIM_400000_NS6detail17trampoline_kernelINS0_14default_configENS1_27scan_by_key_config_selectorIj11FixedVectorIiLj2EEEEZZNS1_16scan_by_key_implILNS1_25lookback_scan_determinismE0ELb0ES3_N6thrust23THRUST_200600_302600_NS6detail15normal_iteratorINSB_10device_ptrIjEEEENSD_INSE_IS6_EEEESI_S6_NSB_4plusIvEENSB_8equal_toIvEES6_EE10hipError_tPvRmT2_T3_T4_T5_mT6_T7_P12ihipStream_tbENKUlT_T0_E_clISt17integral_constantIbLb1EES13_EEDaSY_SZ_EUlSY_E_NS1_11comp_targetILNS1_3genE0ELNS1_11target_archE4294967295ELNS1_3gpuE0ELNS1_3repE0EEENS1_30default_config_static_selectorELNS0_4arch9wavefront6targetE1EEEvT1_,"axG",@progbits,_ZN7rocprim17ROCPRIM_400000_NS6detail17trampoline_kernelINS0_14default_configENS1_27scan_by_key_config_selectorIj11FixedVectorIiLj2EEEEZZNS1_16scan_by_key_implILNS1_25lookback_scan_determinismE0ELb0ES3_N6thrust23THRUST_200600_302600_NS6detail15normal_iteratorINSB_10device_ptrIjEEEENSD_INSE_IS6_EEEESI_S6_NSB_4plusIvEENSB_8equal_toIvEES6_EE10hipError_tPvRmT2_T3_T4_T5_mT6_T7_P12ihipStream_tbENKUlT_T0_E_clISt17integral_constantIbLb1EES13_EEDaSY_SZ_EUlSY_E_NS1_11comp_targetILNS1_3genE0ELNS1_11target_archE4294967295ELNS1_3gpuE0ELNS1_3repE0EEENS1_30default_config_static_selectorELNS0_4arch9wavefront6targetE1EEEvT1_,comdat
.Lfunc_end1962:
	.size	_ZN7rocprim17ROCPRIM_400000_NS6detail17trampoline_kernelINS0_14default_configENS1_27scan_by_key_config_selectorIj11FixedVectorIiLj2EEEEZZNS1_16scan_by_key_implILNS1_25lookback_scan_determinismE0ELb0ES3_N6thrust23THRUST_200600_302600_NS6detail15normal_iteratorINSB_10device_ptrIjEEEENSD_INSE_IS6_EEEESI_S6_NSB_4plusIvEENSB_8equal_toIvEES6_EE10hipError_tPvRmT2_T3_T4_T5_mT6_T7_P12ihipStream_tbENKUlT_T0_E_clISt17integral_constantIbLb1EES13_EEDaSY_SZ_EUlSY_E_NS1_11comp_targetILNS1_3genE0ELNS1_11target_archE4294967295ELNS1_3gpuE0ELNS1_3repE0EEENS1_30default_config_static_selectorELNS0_4arch9wavefront6targetE1EEEvT1_, .Lfunc_end1962-_ZN7rocprim17ROCPRIM_400000_NS6detail17trampoline_kernelINS0_14default_configENS1_27scan_by_key_config_selectorIj11FixedVectorIiLj2EEEEZZNS1_16scan_by_key_implILNS1_25lookback_scan_determinismE0ELb0ES3_N6thrust23THRUST_200600_302600_NS6detail15normal_iteratorINSB_10device_ptrIjEEEENSD_INSE_IS6_EEEESI_S6_NSB_4plusIvEENSB_8equal_toIvEES6_EE10hipError_tPvRmT2_T3_T4_T5_mT6_T7_P12ihipStream_tbENKUlT_T0_E_clISt17integral_constantIbLb1EES13_EEDaSY_SZ_EUlSY_E_NS1_11comp_targetILNS1_3genE0ELNS1_11target_archE4294967295ELNS1_3gpuE0ELNS1_3repE0EEENS1_30default_config_static_selectorELNS0_4arch9wavefront6targetE1EEEvT1_
                                        ; -- End function
	.section	.AMDGPU.csdata,"",@progbits
; Kernel info:
; codeLenInByte = 0
; NumSgprs: 6
; NumVgprs: 0
; NumAgprs: 0
; TotalNumVgprs: 0
; ScratchSize: 0
; MemoryBound: 0
; FloatMode: 240
; IeeeMode: 1
; LDSByteSize: 0 bytes/workgroup (compile time only)
; SGPRBlocks: 0
; VGPRBlocks: 0
; NumSGPRsForWavesPerEU: 6
; NumVGPRsForWavesPerEU: 1
; AccumOffset: 4
; Occupancy: 8
; WaveLimiterHint : 0
; COMPUTE_PGM_RSRC2:SCRATCH_EN: 0
; COMPUTE_PGM_RSRC2:USER_SGPR: 2
; COMPUTE_PGM_RSRC2:TRAP_HANDLER: 0
; COMPUTE_PGM_RSRC2:TGID_X_EN: 1
; COMPUTE_PGM_RSRC2:TGID_Y_EN: 0
; COMPUTE_PGM_RSRC2:TGID_Z_EN: 0
; COMPUTE_PGM_RSRC2:TIDIG_COMP_CNT: 0
; COMPUTE_PGM_RSRC3_GFX90A:ACCUM_OFFSET: 0
; COMPUTE_PGM_RSRC3_GFX90A:TG_SPLIT: 0
	.section	.text._ZN7rocprim17ROCPRIM_400000_NS6detail17trampoline_kernelINS0_14default_configENS1_27scan_by_key_config_selectorIj11FixedVectorIiLj2EEEEZZNS1_16scan_by_key_implILNS1_25lookback_scan_determinismE0ELb0ES3_N6thrust23THRUST_200600_302600_NS6detail15normal_iteratorINSB_10device_ptrIjEEEENSD_INSE_IS6_EEEESI_S6_NSB_4plusIvEENSB_8equal_toIvEES6_EE10hipError_tPvRmT2_T3_T4_T5_mT6_T7_P12ihipStream_tbENKUlT_T0_E_clISt17integral_constantIbLb1EES13_EEDaSY_SZ_EUlSY_E_NS1_11comp_targetILNS1_3genE10ELNS1_11target_archE1201ELNS1_3gpuE5ELNS1_3repE0EEENS1_30default_config_static_selectorELNS0_4arch9wavefront6targetE1EEEvT1_,"axG",@progbits,_ZN7rocprim17ROCPRIM_400000_NS6detail17trampoline_kernelINS0_14default_configENS1_27scan_by_key_config_selectorIj11FixedVectorIiLj2EEEEZZNS1_16scan_by_key_implILNS1_25lookback_scan_determinismE0ELb0ES3_N6thrust23THRUST_200600_302600_NS6detail15normal_iteratorINSB_10device_ptrIjEEEENSD_INSE_IS6_EEEESI_S6_NSB_4plusIvEENSB_8equal_toIvEES6_EE10hipError_tPvRmT2_T3_T4_T5_mT6_T7_P12ihipStream_tbENKUlT_T0_E_clISt17integral_constantIbLb1EES13_EEDaSY_SZ_EUlSY_E_NS1_11comp_targetILNS1_3genE10ELNS1_11target_archE1201ELNS1_3gpuE5ELNS1_3repE0EEENS1_30default_config_static_selectorELNS0_4arch9wavefront6targetE1EEEvT1_,comdat
	.protected	_ZN7rocprim17ROCPRIM_400000_NS6detail17trampoline_kernelINS0_14default_configENS1_27scan_by_key_config_selectorIj11FixedVectorIiLj2EEEEZZNS1_16scan_by_key_implILNS1_25lookback_scan_determinismE0ELb0ES3_N6thrust23THRUST_200600_302600_NS6detail15normal_iteratorINSB_10device_ptrIjEEEENSD_INSE_IS6_EEEESI_S6_NSB_4plusIvEENSB_8equal_toIvEES6_EE10hipError_tPvRmT2_T3_T4_T5_mT6_T7_P12ihipStream_tbENKUlT_T0_E_clISt17integral_constantIbLb1EES13_EEDaSY_SZ_EUlSY_E_NS1_11comp_targetILNS1_3genE10ELNS1_11target_archE1201ELNS1_3gpuE5ELNS1_3repE0EEENS1_30default_config_static_selectorELNS0_4arch9wavefront6targetE1EEEvT1_ ; -- Begin function _ZN7rocprim17ROCPRIM_400000_NS6detail17trampoline_kernelINS0_14default_configENS1_27scan_by_key_config_selectorIj11FixedVectorIiLj2EEEEZZNS1_16scan_by_key_implILNS1_25lookback_scan_determinismE0ELb0ES3_N6thrust23THRUST_200600_302600_NS6detail15normal_iteratorINSB_10device_ptrIjEEEENSD_INSE_IS6_EEEESI_S6_NSB_4plusIvEENSB_8equal_toIvEES6_EE10hipError_tPvRmT2_T3_T4_T5_mT6_T7_P12ihipStream_tbENKUlT_T0_E_clISt17integral_constantIbLb1EES13_EEDaSY_SZ_EUlSY_E_NS1_11comp_targetILNS1_3genE10ELNS1_11target_archE1201ELNS1_3gpuE5ELNS1_3repE0EEENS1_30default_config_static_selectorELNS0_4arch9wavefront6targetE1EEEvT1_
	.globl	_ZN7rocprim17ROCPRIM_400000_NS6detail17trampoline_kernelINS0_14default_configENS1_27scan_by_key_config_selectorIj11FixedVectorIiLj2EEEEZZNS1_16scan_by_key_implILNS1_25lookback_scan_determinismE0ELb0ES3_N6thrust23THRUST_200600_302600_NS6detail15normal_iteratorINSB_10device_ptrIjEEEENSD_INSE_IS6_EEEESI_S6_NSB_4plusIvEENSB_8equal_toIvEES6_EE10hipError_tPvRmT2_T3_T4_T5_mT6_T7_P12ihipStream_tbENKUlT_T0_E_clISt17integral_constantIbLb1EES13_EEDaSY_SZ_EUlSY_E_NS1_11comp_targetILNS1_3genE10ELNS1_11target_archE1201ELNS1_3gpuE5ELNS1_3repE0EEENS1_30default_config_static_selectorELNS0_4arch9wavefront6targetE1EEEvT1_
	.p2align	8
	.type	_ZN7rocprim17ROCPRIM_400000_NS6detail17trampoline_kernelINS0_14default_configENS1_27scan_by_key_config_selectorIj11FixedVectorIiLj2EEEEZZNS1_16scan_by_key_implILNS1_25lookback_scan_determinismE0ELb0ES3_N6thrust23THRUST_200600_302600_NS6detail15normal_iteratorINSB_10device_ptrIjEEEENSD_INSE_IS6_EEEESI_S6_NSB_4plusIvEENSB_8equal_toIvEES6_EE10hipError_tPvRmT2_T3_T4_T5_mT6_T7_P12ihipStream_tbENKUlT_T0_E_clISt17integral_constantIbLb1EES13_EEDaSY_SZ_EUlSY_E_NS1_11comp_targetILNS1_3genE10ELNS1_11target_archE1201ELNS1_3gpuE5ELNS1_3repE0EEENS1_30default_config_static_selectorELNS0_4arch9wavefront6targetE1EEEvT1_,@function
_ZN7rocprim17ROCPRIM_400000_NS6detail17trampoline_kernelINS0_14default_configENS1_27scan_by_key_config_selectorIj11FixedVectorIiLj2EEEEZZNS1_16scan_by_key_implILNS1_25lookback_scan_determinismE0ELb0ES3_N6thrust23THRUST_200600_302600_NS6detail15normal_iteratorINSB_10device_ptrIjEEEENSD_INSE_IS6_EEEESI_S6_NSB_4plusIvEENSB_8equal_toIvEES6_EE10hipError_tPvRmT2_T3_T4_T5_mT6_T7_P12ihipStream_tbENKUlT_T0_E_clISt17integral_constantIbLb1EES13_EEDaSY_SZ_EUlSY_E_NS1_11comp_targetILNS1_3genE10ELNS1_11target_archE1201ELNS1_3gpuE5ELNS1_3repE0EEENS1_30default_config_static_selectorELNS0_4arch9wavefront6targetE1EEEvT1_: ; @_ZN7rocprim17ROCPRIM_400000_NS6detail17trampoline_kernelINS0_14default_configENS1_27scan_by_key_config_selectorIj11FixedVectorIiLj2EEEEZZNS1_16scan_by_key_implILNS1_25lookback_scan_determinismE0ELb0ES3_N6thrust23THRUST_200600_302600_NS6detail15normal_iteratorINSB_10device_ptrIjEEEENSD_INSE_IS6_EEEESI_S6_NSB_4plusIvEENSB_8equal_toIvEES6_EE10hipError_tPvRmT2_T3_T4_T5_mT6_T7_P12ihipStream_tbENKUlT_T0_E_clISt17integral_constantIbLb1EES13_EEDaSY_SZ_EUlSY_E_NS1_11comp_targetILNS1_3genE10ELNS1_11target_archE1201ELNS1_3gpuE5ELNS1_3repE0EEENS1_30default_config_static_selectorELNS0_4arch9wavefront6targetE1EEEvT1_
; %bb.0:
	.section	.rodata,"a",@progbits
	.p2align	6, 0x0
	.amdhsa_kernel _ZN7rocprim17ROCPRIM_400000_NS6detail17trampoline_kernelINS0_14default_configENS1_27scan_by_key_config_selectorIj11FixedVectorIiLj2EEEEZZNS1_16scan_by_key_implILNS1_25lookback_scan_determinismE0ELb0ES3_N6thrust23THRUST_200600_302600_NS6detail15normal_iteratorINSB_10device_ptrIjEEEENSD_INSE_IS6_EEEESI_S6_NSB_4plusIvEENSB_8equal_toIvEES6_EE10hipError_tPvRmT2_T3_T4_T5_mT6_T7_P12ihipStream_tbENKUlT_T0_E_clISt17integral_constantIbLb1EES13_EEDaSY_SZ_EUlSY_E_NS1_11comp_targetILNS1_3genE10ELNS1_11target_archE1201ELNS1_3gpuE5ELNS1_3repE0EEENS1_30default_config_static_selectorELNS0_4arch9wavefront6targetE1EEEvT1_
		.amdhsa_group_segment_fixed_size 0
		.amdhsa_private_segment_fixed_size 0
		.amdhsa_kernarg_size 120
		.amdhsa_user_sgpr_count 2
		.amdhsa_user_sgpr_dispatch_ptr 0
		.amdhsa_user_sgpr_queue_ptr 0
		.amdhsa_user_sgpr_kernarg_segment_ptr 1
		.amdhsa_user_sgpr_dispatch_id 0
		.amdhsa_user_sgpr_kernarg_preload_length 0
		.amdhsa_user_sgpr_kernarg_preload_offset 0
		.amdhsa_user_sgpr_private_segment_size 0
		.amdhsa_uses_dynamic_stack 0
		.amdhsa_enable_private_segment 0
		.amdhsa_system_sgpr_workgroup_id_x 1
		.amdhsa_system_sgpr_workgroup_id_y 0
		.amdhsa_system_sgpr_workgroup_id_z 0
		.amdhsa_system_sgpr_workgroup_info 0
		.amdhsa_system_vgpr_workitem_id 0
		.amdhsa_next_free_vgpr 1
		.amdhsa_next_free_sgpr 0
		.amdhsa_accum_offset 4
		.amdhsa_reserve_vcc 0
		.amdhsa_float_round_mode_32 0
		.amdhsa_float_round_mode_16_64 0
		.amdhsa_float_denorm_mode_32 3
		.amdhsa_float_denorm_mode_16_64 3
		.amdhsa_dx10_clamp 1
		.amdhsa_ieee_mode 1
		.amdhsa_fp16_overflow 0
		.amdhsa_tg_split 0
		.amdhsa_exception_fp_ieee_invalid_op 0
		.amdhsa_exception_fp_denorm_src 0
		.amdhsa_exception_fp_ieee_div_zero 0
		.amdhsa_exception_fp_ieee_overflow 0
		.amdhsa_exception_fp_ieee_underflow 0
		.amdhsa_exception_fp_ieee_inexact 0
		.amdhsa_exception_int_div_zero 0
	.end_amdhsa_kernel
	.section	.text._ZN7rocprim17ROCPRIM_400000_NS6detail17trampoline_kernelINS0_14default_configENS1_27scan_by_key_config_selectorIj11FixedVectorIiLj2EEEEZZNS1_16scan_by_key_implILNS1_25lookback_scan_determinismE0ELb0ES3_N6thrust23THRUST_200600_302600_NS6detail15normal_iteratorINSB_10device_ptrIjEEEENSD_INSE_IS6_EEEESI_S6_NSB_4plusIvEENSB_8equal_toIvEES6_EE10hipError_tPvRmT2_T3_T4_T5_mT6_T7_P12ihipStream_tbENKUlT_T0_E_clISt17integral_constantIbLb1EES13_EEDaSY_SZ_EUlSY_E_NS1_11comp_targetILNS1_3genE10ELNS1_11target_archE1201ELNS1_3gpuE5ELNS1_3repE0EEENS1_30default_config_static_selectorELNS0_4arch9wavefront6targetE1EEEvT1_,"axG",@progbits,_ZN7rocprim17ROCPRIM_400000_NS6detail17trampoline_kernelINS0_14default_configENS1_27scan_by_key_config_selectorIj11FixedVectorIiLj2EEEEZZNS1_16scan_by_key_implILNS1_25lookback_scan_determinismE0ELb0ES3_N6thrust23THRUST_200600_302600_NS6detail15normal_iteratorINSB_10device_ptrIjEEEENSD_INSE_IS6_EEEESI_S6_NSB_4plusIvEENSB_8equal_toIvEES6_EE10hipError_tPvRmT2_T3_T4_T5_mT6_T7_P12ihipStream_tbENKUlT_T0_E_clISt17integral_constantIbLb1EES13_EEDaSY_SZ_EUlSY_E_NS1_11comp_targetILNS1_3genE10ELNS1_11target_archE1201ELNS1_3gpuE5ELNS1_3repE0EEENS1_30default_config_static_selectorELNS0_4arch9wavefront6targetE1EEEvT1_,comdat
.Lfunc_end1963:
	.size	_ZN7rocprim17ROCPRIM_400000_NS6detail17trampoline_kernelINS0_14default_configENS1_27scan_by_key_config_selectorIj11FixedVectorIiLj2EEEEZZNS1_16scan_by_key_implILNS1_25lookback_scan_determinismE0ELb0ES3_N6thrust23THRUST_200600_302600_NS6detail15normal_iteratorINSB_10device_ptrIjEEEENSD_INSE_IS6_EEEESI_S6_NSB_4plusIvEENSB_8equal_toIvEES6_EE10hipError_tPvRmT2_T3_T4_T5_mT6_T7_P12ihipStream_tbENKUlT_T0_E_clISt17integral_constantIbLb1EES13_EEDaSY_SZ_EUlSY_E_NS1_11comp_targetILNS1_3genE10ELNS1_11target_archE1201ELNS1_3gpuE5ELNS1_3repE0EEENS1_30default_config_static_selectorELNS0_4arch9wavefront6targetE1EEEvT1_, .Lfunc_end1963-_ZN7rocprim17ROCPRIM_400000_NS6detail17trampoline_kernelINS0_14default_configENS1_27scan_by_key_config_selectorIj11FixedVectorIiLj2EEEEZZNS1_16scan_by_key_implILNS1_25lookback_scan_determinismE0ELb0ES3_N6thrust23THRUST_200600_302600_NS6detail15normal_iteratorINSB_10device_ptrIjEEEENSD_INSE_IS6_EEEESI_S6_NSB_4plusIvEENSB_8equal_toIvEES6_EE10hipError_tPvRmT2_T3_T4_T5_mT6_T7_P12ihipStream_tbENKUlT_T0_E_clISt17integral_constantIbLb1EES13_EEDaSY_SZ_EUlSY_E_NS1_11comp_targetILNS1_3genE10ELNS1_11target_archE1201ELNS1_3gpuE5ELNS1_3repE0EEENS1_30default_config_static_selectorELNS0_4arch9wavefront6targetE1EEEvT1_
                                        ; -- End function
	.section	.AMDGPU.csdata,"",@progbits
; Kernel info:
; codeLenInByte = 0
; NumSgprs: 6
; NumVgprs: 0
; NumAgprs: 0
; TotalNumVgprs: 0
; ScratchSize: 0
; MemoryBound: 0
; FloatMode: 240
; IeeeMode: 1
; LDSByteSize: 0 bytes/workgroup (compile time only)
; SGPRBlocks: 0
; VGPRBlocks: 0
; NumSGPRsForWavesPerEU: 6
; NumVGPRsForWavesPerEU: 1
; AccumOffset: 4
; Occupancy: 8
; WaveLimiterHint : 0
; COMPUTE_PGM_RSRC2:SCRATCH_EN: 0
; COMPUTE_PGM_RSRC2:USER_SGPR: 2
; COMPUTE_PGM_RSRC2:TRAP_HANDLER: 0
; COMPUTE_PGM_RSRC2:TGID_X_EN: 1
; COMPUTE_PGM_RSRC2:TGID_Y_EN: 0
; COMPUTE_PGM_RSRC2:TGID_Z_EN: 0
; COMPUTE_PGM_RSRC2:TIDIG_COMP_CNT: 0
; COMPUTE_PGM_RSRC3_GFX90A:ACCUM_OFFSET: 0
; COMPUTE_PGM_RSRC3_GFX90A:TG_SPLIT: 0
	.section	.text._ZN7rocprim17ROCPRIM_400000_NS6detail17trampoline_kernelINS0_14default_configENS1_27scan_by_key_config_selectorIj11FixedVectorIiLj2EEEEZZNS1_16scan_by_key_implILNS1_25lookback_scan_determinismE0ELb0ES3_N6thrust23THRUST_200600_302600_NS6detail15normal_iteratorINSB_10device_ptrIjEEEENSD_INSE_IS6_EEEESI_S6_NSB_4plusIvEENSB_8equal_toIvEES6_EE10hipError_tPvRmT2_T3_T4_T5_mT6_T7_P12ihipStream_tbENKUlT_T0_E_clISt17integral_constantIbLb1EES13_EEDaSY_SZ_EUlSY_E_NS1_11comp_targetILNS1_3genE5ELNS1_11target_archE942ELNS1_3gpuE9ELNS1_3repE0EEENS1_30default_config_static_selectorELNS0_4arch9wavefront6targetE1EEEvT1_,"axG",@progbits,_ZN7rocprim17ROCPRIM_400000_NS6detail17trampoline_kernelINS0_14default_configENS1_27scan_by_key_config_selectorIj11FixedVectorIiLj2EEEEZZNS1_16scan_by_key_implILNS1_25lookback_scan_determinismE0ELb0ES3_N6thrust23THRUST_200600_302600_NS6detail15normal_iteratorINSB_10device_ptrIjEEEENSD_INSE_IS6_EEEESI_S6_NSB_4plusIvEENSB_8equal_toIvEES6_EE10hipError_tPvRmT2_T3_T4_T5_mT6_T7_P12ihipStream_tbENKUlT_T0_E_clISt17integral_constantIbLb1EES13_EEDaSY_SZ_EUlSY_E_NS1_11comp_targetILNS1_3genE5ELNS1_11target_archE942ELNS1_3gpuE9ELNS1_3repE0EEENS1_30default_config_static_selectorELNS0_4arch9wavefront6targetE1EEEvT1_,comdat
	.protected	_ZN7rocprim17ROCPRIM_400000_NS6detail17trampoline_kernelINS0_14default_configENS1_27scan_by_key_config_selectorIj11FixedVectorIiLj2EEEEZZNS1_16scan_by_key_implILNS1_25lookback_scan_determinismE0ELb0ES3_N6thrust23THRUST_200600_302600_NS6detail15normal_iteratorINSB_10device_ptrIjEEEENSD_INSE_IS6_EEEESI_S6_NSB_4plusIvEENSB_8equal_toIvEES6_EE10hipError_tPvRmT2_T3_T4_T5_mT6_T7_P12ihipStream_tbENKUlT_T0_E_clISt17integral_constantIbLb1EES13_EEDaSY_SZ_EUlSY_E_NS1_11comp_targetILNS1_3genE5ELNS1_11target_archE942ELNS1_3gpuE9ELNS1_3repE0EEENS1_30default_config_static_selectorELNS0_4arch9wavefront6targetE1EEEvT1_ ; -- Begin function _ZN7rocprim17ROCPRIM_400000_NS6detail17trampoline_kernelINS0_14default_configENS1_27scan_by_key_config_selectorIj11FixedVectorIiLj2EEEEZZNS1_16scan_by_key_implILNS1_25lookback_scan_determinismE0ELb0ES3_N6thrust23THRUST_200600_302600_NS6detail15normal_iteratorINSB_10device_ptrIjEEEENSD_INSE_IS6_EEEESI_S6_NSB_4plusIvEENSB_8equal_toIvEES6_EE10hipError_tPvRmT2_T3_T4_T5_mT6_T7_P12ihipStream_tbENKUlT_T0_E_clISt17integral_constantIbLb1EES13_EEDaSY_SZ_EUlSY_E_NS1_11comp_targetILNS1_3genE5ELNS1_11target_archE942ELNS1_3gpuE9ELNS1_3repE0EEENS1_30default_config_static_selectorELNS0_4arch9wavefront6targetE1EEEvT1_
	.globl	_ZN7rocprim17ROCPRIM_400000_NS6detail17trampoline_kernelINS0_14default_configENS1_27scan_by_key_config_selectorIj11FixedVectorIiLj2EEEEZZNS1_16scan_by_key_implILNS1_25lookback_scan_determinismE0ELb0ES3_N6thrust23THRUST_200600_302600_NS6detail15normal_iteratorINSB_10device_ptrIjEEEENSD_INSE_IS6_EEEESI_S6_NSB_4plusIvEENSB_8equal_toIvEES6_EE10hipError_tPvRmT2_T3_T4_T5_mT6_T7_P12ihipStream_tbENKUlT_T0_E_clISt17integral_constantIbLb1EES13_EEDaSY_SZ_EUlSY_E_NS1_11comp_targetILNS1_3genE5ELNS1_11target_archE942ELNS1_3gpuE9ELNS1_3repE0EEENS1_30default_config_static_selectorELNS0_4arch9wavefront6targetE1EEEvT1_
	.p2align	8
	.type	_ZN7rocprim17ROCPRIM_400000_NS6detail17trampoline_kernelINS0_14default_configENS1_27scan_by_key_config_selectorIj11FixedVectorIiLj2EEEEZZNS1_16scan_by_key_implILNS1_25lookback_scan_determinismE0ELb0ES3_N6thrust23THRUST_200600_302600_NS6detail15normal_iteratorINSB_10device_ptrIjEEEENSD_INSE_IS6_EEEESI_S6_NSB_4plusIvEENSB_8equal_toIvEES6_EE10hipError_tPvRmT2_T3_T4_T5_mT6_T7_P12ihipStream_tbENKUlT_T0_E_clISt17integral_constantIbLb1EES13_EEDaSY_SZ_EUlSY_E_NS1_11comp_targetILNS1_3genE5ELNS1_11target_archE942ELNS1_3gpuE9ELNS1_3repE0EEENS1_30default_config_static_selectorELNS0_4arch9wavefront6targetE1EEEvT1_,@function
_ZN7rocprim17ROCPRIM_400000_NS6detail17trampoline_kernelINS0_14default_configENS1_27scan_by_key_config_selectorIj11FixedVectorIiLj2EEEEZZNS1_16scan_by_key_implILNS1_25lookback_scan_determinismE0ELb0ES3_N6thrust23THRUST_200600_302600_NS6detail15normal_iteratorINSB_10device_ptrIjEEEENSD_INSE_IS6_EEEESI_S6_NSB_4plusIvEENSB_8equal_toIvEES6_EE10hipError_tPvRmT2_T3_T4_T5_mT6_T7_P12ihipStream_tbENKUlT_T0_E_clISt17integral_constantIbLb1EES13_EEDaSY_SZ_EUlSY_E_NS1_11comp_targetILNS1_3genE5ELNS1_11target_archE942ELNS1_3gpuE9ELNS1_3repE0EEENS1_30default_config_static_selectorELNS0_4arch9wavefront6targetE1EEEvT1_: ; @_ZN7rocprim17ROCPRIM_400000_NS6detail17trampoline_kernelINS0_14default_configENS1_27scan_by_key_config_selectorIj11FixedVectorIiLj2EEEEZZNS1_16scan_by_key_implILNS1_25lookback_scan_determinismE0ELb0ES3_N6thrust23THRUST_200600_302600_NS6detail15normal_iteratorINSB_10device_ptrIjEEEENSD_INSE_IS6_EEEESI_S6_NSB_4plusIvEENSB_8equal_toIvEES6_EE10hipError_tPvRmT2_T3_T4_T5_mT6_T7_P12ihipStream_tbENKUlT_T0_E_clISt17integral_constantIbLb1EES13_EEDaSY_SZ_EUlSY_E_NS1_11comp_targetILNS1_3genE5ELNS1_11target_archE942ELNS1_3gpuE9ELNS1_3repE0EEENS1_30default_config_static_selectorELNS0_4arch9wavefront6targetE1EEEvT1_
; %bb.0:
	s_load_dwordx4 s[96:99], s[0:1], 0x30
	s_load_dwordx2 s[62:63], s[0:1], 0x40
	v_cmp_ne_u32_e64 s[4:5], 0, v0
	v_cmp_eq_u32_e64 s[2:3], 0, v0
	s_and_saveexec_b64 s[6:7], s[2:3]
	s_cbranch_execz .LBB1964_4
; %bb.1:
	s_mov_b64 s[10:11], exec
	v_mbcnt_lo_u32_b32 v1, s10, 0
	v_mbcnt_hi_u32_b32 v1, s11, v1
	v_cmp_eq_u32_e32 vcc, 0, v1
                                        ; implicit-def: $vgpr2
	s_and_saveexec_b64 s[8:9], vcc
	s_cbranch_execz .LBB1964_3
; %bb.2:
	s_load_dwordx2 s[12:13], s[0:1], 0x70
	s_bcnt1_i32_b64 s10, s[10:11]
	v_mov_b32_e32 v2, 0
	v_mov_b32_e32 v3, s10
	s_waitcnt lgkmcnt(0)
	global_atomic_add v2, v2, v3, s[12:13] sc0
.LBB1964_3:
	s_or_b64 exec, exec, s[8:9]
	s_waitcnt vmcnt(0)
	v_readfirstlane_b32 s8, v2
	v_mov_b32_e32 v2, 0
	s_nop 0
	v_add_u32_e32 v1, s8, v1
	ds_write_b32 v2, v1
.LBB1964_4:
	s_or_b64 exec, exec, s[6:7]
	s_load_dwordx8 s[80:87], s[0:1], 0x0
	s_load_dword s6, s[0:1], 0x48
	s_load_dwordx8 s[88:95], s[0:1], 0x50
	v_mov_b32_e32 v1, 0
	s_waitcnt lgkmcnt(0)
	s_barrier
	ds_read_b32 v1, v1
	s_lshl_b64 s[0:1], s[82:83], 2
	s_add_u32 s12, s80, s0
	s_addc_u32 s13, s81, s1
	s_lshl_b64 s[0:1], s[82:83], 3
	s_add_u32 s14, s84, s0
	s_mul_i32 s7, s63, s6
	s_mul_hi_u32 s8, s62, s6
	s_addc_u32 s15, s85, s1
	s_add_i32 s16, s8, s7
	s_waitcnt lgkmcnt(0)
	v_readfirstlane_b32 s99, v1
	s_mul_i32 s17, s62, s6
	s_cmp_lg_u64 s[92:93], 0
	s_mov_b32 s7, 0
	s_mul_i32 s6, s99, 0x1500
	s_cselect_b64 s[54:55], -1, 0
	s_lshl_b64 s[10:11], s[6:7], 2
	s_add_u32 s52, s12, s10
	s_addc_u32 s53, s13, s11
	s_lshl_b64 s[92:93], s[6:7], 3
	s_add_u32 s50, s14, s92
	s_addc_u32 s51, s15, s93
	s_add_u32 s56, s17, s99
	s_addc_u32 s57, s16, 0
	s_add_u32 s6, s88, -1
	s_addc_u32 s7, s89, -1
	v_mov_b64_e32 v[2:3], s[6:7]
	v_cmp_ge_u64_e64 s[88:89], s[56:57], v[2:3]
	s_mov_b64 s[8:9], 0
	s_mov_b64 s[12:13], -1
	s_and_b64 vcc, exec, s[88:89]
	s_mul_i32 s33, s6, 0xffffeb00
	s_barrier
	s_barrier
	s_cbranch_vccz .LBB1964_134
; %bb.5:
	v_mov_b64_e32 v[2:3], s[52:53]
	flat_load_dword v2, v[2:3]
	s_add_i32 s65, s33, s98
	v_cmp_gt_u32_e64 s[6:7], s65, v0
	s_waitcnt vmcnt(0) lgkmcnt(0)
	v_mov_b32_e32 v4, v2
	s_and_saveexec_b64 s[8:9], s[6:7]
	s_cbranch_execz .LBB1964_7
; %bb.6:
	v_lshlrev_b32_e32 v4, 2, v0
	v_mov_b32_e32 v5, 0
	v_lshl_add_u64 v[4:5], s[52:53], 0, v[4:5]
	flat_load_dword v4, v[4:5]
.LBB1964_7:
	s_or_b64 exec, exec, s[8:9]
	v_or_b32_e32 v1, 0x100, v0
	v_cmp_gt_u32_e64 s[8:9], s65, v1
	v_mov_b32_e32 v5, v2
	s_and_saveexec_b64 s[10:11], s[8:9]
	s_cbranch_execz .LBB1964_9
; %bb.8:
	v_lshlrev_b32_e32 v6, 2, v0
	v_mov_b32_e32 v7, 0
	v_lshl_add_u64 v[6:7], s[52:53], 0, v[6:7]
	flat_load_dword v5, v[6:7] offset:1024
.LBB1964_9:
	s_or_b64 exec, exec, s[10:11]
	v_or_b32_e32 v1, 0x200, v0
	v_cmp_gt_u32_e64 s[10:11], s65, v1
	v_mov_b32_e32 v6, v2
	s_and_saveexec_b64 s[12:13], s[10:11]
	s_cbranch_execz .LBB1964_11
; %bb.10:
	v_lshlrev_b32_e32 v6, 2, v0
	v_mov_b32_e32 v7, 0
	v_lshl_add_u64 v[6:7], s[52:53], 0, v[6:7]
	flat_load_dword v6, v[6:7] offset:2048
.LBB1964_11:
	;; [unrolled: 12-line block ×3, first 2 shown]
	s_or_b64 exec, exec, s[14:15]
	v_or_b32_e32 v22, 0x400, v0
	v_cmp_gt_u32_e64 s[14:15], s65, v22
	v_mov_b32_e32 v8, v2
	s_and_saveexec_b64 s[16:17], s[14:15]
	s_cbranch_execz .LBB1964_15
; %bb.14:
	v_lshlrev_b32_e32 v8, 2, v22
	v_mov_b32_e32 v9, 0
	v_lshl_add_u64 v[8:9], s[52:53], 0, v[8:9]
	flat_load_dword v8, v[8:9]
.LBB1964_15:
	s_or_b64 exec, exec, s[16:17]
	v_or_b32_e32 v23, 0x500, v0
	v_cmp_gt_u32_e64 s[16:17], s65, v23
	v_mov_b32_e32 v9, v2
	s_and_saveexec_b64 s[18:19], s[16:17]
	s_cbranch_execz .LBB1964_17
; %bb.16:
	v_lshlrev_b32_e32 v10, 2, v23
	v_mov_b32_e32 v11, 0
	v_lshl_add_u64 v[10:11], s[52:53], 0, v[10:11]
	flat_load_dword v9, v[10:11]
.LBB1964_17:
	;; [unrolled: 12-line block ×16, first 2 shown]
	s_or_b64 exec, exec, s[48:49]
	v_or_b32_e32 v65, 0x1400, v0
	v_cmp_gt_u32_e64 s[48:49], s65, v65
	v_mov_b32_e32 v3, 0
	s_and_saveexec_b64 s[58:59], s[48:49]
	s_cbranch_execz .LBB1964_47
; %bb.46:
	v_lshlrev_b32_e32 v2, 2, v65
	v_lshl_add_u64 v[2:3], s[52:53], 0, v[2:3]
	flat_load_dword v2, v[2:3]
.LBB1964_47:
	s_or_b64 exec, exec, s[58:59]
	v_lshlrev_b32_e32 v3, 2, v0
	s_movk_i32 s58, 0x50
	s_waitcnt vmcnt(0) lgkmcnt(0)
	ds_write2st64_b32 v3, v4, v5 offset1:4
	ds_write2st64_b32 v3, v6, v7 offset0:8 offset1:12
	ds_write2st64_b32 v3, v8, v9 offset0:16 offset1:20
	;; [unrolled: 1-line block ×9, first 2 shown]
	ds_write_b32 v3, v2 offset:20480
	v_mad_u32_u24 v2, v0, s58, v3
	s_waitcnt lgkmcnt(0)
	s_barrier
	ds_read2_b32 v[20:21], v2 offset0:7 offset1:8
	ds_read2_b32 v[24:25], v2 offset0:5 offset1:6
	;; [unrolled: 1-line block ×3, first 2 shown]
	ds_read2_b32 v[16:17], v2 offset1:1
	ds_read2_b32 v[32:33], v2 offset0:4 offset1:9
	ds_read2_b32 v[28:29], v2 offset0:15 offset1:16
	ds_read_b32 v64, v2 offset:56
	ds_read2_b32 v[40:41], v2 offset0:12 offset1:13
	ds_read2_b32 v[44:45], v2 offset0:10 offset1:11
	;; [unrolled: 1-line block ×4, first 2 shown]
	s_cmp_eq_u64 s[56:57], 0
	s_mov_b64 s[58:59], s[52:53]
	s_cbranch_scc1 .LBB1964_51
; %bb.48:
	s_andn2_b64 vcc, exec, s[54:55]
	s_cbranch_vccnz .LBB1964_345
; %bb.49:
	s_lshl_b64 s[58:59], s[56:57], 2
	s_add_u32 s58, s94, s58
	s_addc_u32 s59, s95, s59
	s_add_u32 s58, s58, -4
	s_addc_u32 s59, s59, -1
	s_cbranch_execnz .LBB1964_51
.LBB1964_50:
	s_add_u32 s58, s52, -4
	s_addc_u32 s59, s53, -1
.LBB1964_51:
	v_mov_b64_e32 v[6:7], s[58:59]
	flat_load_dword v66, v[6:7]
	s_movk_i32 s58, 0xffb0
	v_mad_i32_i24 v67, v0, s58, v2
	s_waitcnt lgkmcnt(0)
	ds_write_b32 v67, v5 offset:21504
	s_waitcnt lgkmcnt(0)
	s_barrier
	s_and_saveexec_b64 s[58:59], s[4:5]
	s_cbranch_execz .LBB1964_53
; %bb.52:
	s_waitcnt vmcnt(0)
	ds_read_b32 v66, v67 offset:21500
.LBB1964_53:
	s_or_b64 exec, exec, s[58:59]
	v_mov_b64_e32 v[6:7], 0
	v_mov_b32_e32 v9, 0
	v_mov_b64_e32 v[2:3], v[6:7]
	s_waitcnt lgkmcnt(0)
	s_barrier
	s_and_saveexec_b64 s[58:59], s[6:7]
	s_cbranch_execz .LBB1964_55
; %bb.54:
	v_lshlrev_b32_e32 v8, 3, v0
	v_lshl_add_u64 v[2:3], s[50:51], 0, v[8:9]
	flat_load_dwordx2 v[2:3], v[2:3]
.LBB1964_55:
	s_or_b64 exec, exec, s[58:59]
	s_and_saveexec_b64 s[6:7], s[8:9]
	s_cbranch_execz .LBB1964_57
; %bb.56:
	v_lshlrev_b32_e32 v6, 3, v0
	v_mov_b32_e32 v7, 0
	v_lshl_add_u64 v[6:7], s[50:51], 0, v[6:7]
	flat_load_dwordx2 v[6:7], v[6:7] offset:2048
.LBB1964_57:
	s_or_b64 exec, exec, s[6:7]
	v_mov_b64_e32 v[8:9], 0
	v_mov_b64_e32 v[10:11], v[8:9]
	s_and_saveexec_b64 s[6:7], s[10:11]
	s_cbranch_execz .LBB1964_59
; %bb.58:
	v_lshlrev_b32_e32 v10, 3, v1
	v_mov_b32_e32 v11, 0
	v_lshl_add_u64 v[10:11], s[50:51], 0, v[10:11]
	flat_load_dwordx2 v[10:11], v[10:11]
.LBB1964_59:
	s_or_b64 exec, exec, s[6:7]
	s_and_saveexec_b64 s[6:7], s[12:13]
	s_cbranch_execz .LBB1964_61
; %bb.60:
	v_lshlrev_b32_e32 v8, 3, v14
	v_mov_b32_e32 v9, 0
	v_lshl_add_u64 v[8:9], s[50:51], 0, v[8:9]
	flat_load_dwordx2 v[8:9], v[8:9]
.LBB1964_61:
	s_or_b64 exec, exec, s[6:7]
	v_mov_b64_e32 v[14:15], 0
	v_mov_b64_e32 v[18:19], v[14:15]
	s_and_saveexec_b64 s[6:7], s[14:15]
	s_cbranch_execz .LBB1964_63
; %bb.62:
	v_lshlrev_b32_e32 v18, 3, v22
	v_mov_b32_e32 v19, 0
	v_lshl_add_u64 v[18:19], s[50:51], 0, v[18:19]
	flat_load_dwordx2 v[18:19], v[18:19]
.LBB1964_63:
	s_or_b64 exec, exec, s[6:7]
	s_and_saveexec_b64 s[6:7], s[16:17]
	s_cbranch_execz .LBB1964_65
; %bb.64:
	v_lshlrev_b32_e32 v14, 3, v23
	v_mov_b32_e32 v15, 0
	v_lshl_add_u64 v[14:15], s[50:51], 0, v[14:15]
	flat_load_dwordx2 v[14:15], v[14:15]
.LBB1964_65:
	s_or_b64 exec, exec, s[6:7]
	v_mov_b64_e32 v[22:23], 0
	v_mov_b64_e32 v[26:27], v[22:23]
	s_and_saveexec_b64 s[6:7], s[18:19]
	s_cbranch_execz .LBB1964_67
; %bb.66:
	v_lshlrev_b32_e32 v26, 3, v30
	v_mov_b32_e32 v27, 0
	v_lshl_add_u64 v[26:27], s[50:51], 0, v[26:27]
	flat_load_dwordx2 v[26:27], v[26:27]
.LBB1964_67:
	s_or_b64 exec, exec, s[6:7]
	s_and_saveexec_b64 s[6:7], s[20:21]
	s_cbranch_execz .LBB1964_69
; %bb.68:
	v_lshlrev_b32_e32 v22, 3, v31
	v_mov_b32_e32 v23, 0
	v_lshl_add_u64 v[22:23], s[50:51], 0, v[22:23]
	flat_load_dwordx2 v[22:23], v[22:23]
.LBB1964_69:
	s_or_b64 exec, exec, s[6:7]
	v_mov_b64_e32 v[30:31], 0
	v_mov_b64_e32 v[34:35], v[30:31]
	s_and_saveexec_b64 s[6:7], s[22:23]
	s_cbranch_execz .LBB1964_71
; %bb.70:
	v_lshlrev_b32_e32 v34, 3, v38
	v_mov_b32_e32 v35, 0
	v_lshl_add_u64 v[34:35], s[50:51], 0, v[34:35]
	flat_load_dwordx2 v[34:35], v[34:35]
.LBB1964_71:
	s_or_b64 exec, exec, s[6:7]
	s_and_saveexec_b64 s[6:7], s[24:25]
	s_cbranch_execz .LBB1964_73
; %bb.72:
	v_lshlrev_b32_e32 v30, 3, v39
	v_mov_b32_e32 v31, 0
	v_lshl_add_u64 v[30:31], s[50:51], 0, v[30:31]
	flat_load_dwordx2 v[30:31], v[30:31]
.LBB1964_73:
	s_or_b64 exec, exec, s[6:7]
	v_mov_b64_e32 v[38:39], 0
	v_mov_b64_e32 v[42:43], v[38:39]
	s_and_saveexec_b64 s[6:7], s[26:27]
	s_cbranch_execz .LBB1964_75
; %bb.74:
	v_lshlrev_b32_e32 v42, 3, v46
	v_mov_b32_e32 v43, 0
	v_lshl_add_u64 v[42:43], s[50:51], 0, v[42:43]
	flat_load_dwordx2 v[42:43], v[42:43]
.LBB1964_75:
	s_or_b64 exec, exec, s[6:7]
	s_and_saveexec_b64 s[6:7], s[28:29]
	s_cbranch_execz .LBB1964_77
; %bb.76:
	v_lshlrev_b32_e32 v38, 3, v47
	v_mov_b32_e32 v39, 0
	v_lshl_add_u64 v[38:39], s[50:51], 0, v[38:39]
	flat_load_dwordx2 v[38:39], v[38:39]
.LBB1964_77:
	s_or_b64 exec, exec, s[6:7]
	v_mov_b64_e32 v[46:47], 0
	v_mov_b64_e32 v[48:49], v[46:47]
	s_and_saveexec_b64 s[6:7], s[30:31]
	s_cbranch_execz .LBB1964_79
; %bb.78:
	v_lshlrev_b32_e32 v48, 3, v50
	v_mov_b32_e32 v49, 0
	v_lshl_add_u64 v[48:49], s[50:51], 0, v[48:49]
	flat_load_dwordx2 v[48:49], v[48:49]
.LBB1964_79:
	s_or_b64 exec, exec, s[6:7]
	s_and_saveexec_b64 s[6:7], s[34:35]
	s_cbranch_execz .LBB1964_81
; %bb.80:
	v_lshlrev_b32_e32 v46, 3, v51
	v_mov_b32_e32 v47, 0
	v_lshl_add_u64 v[46:47], s[50:51], 0, v[46:47]
	flat_load_dwordx2 v[46:47], v[46:47]
.LBB1964_81:
	s_or_b64 exec, exec, s[6:7]
	v_mov_b64_e32 v[50:51], 0
	v_mov_b64_e32 v[52:53], v[50:51]
	s_and_saveexec_b64 s[6:7], s[36:37]
	s_cbranch_execz .LBB1964_83
; %bb.82:
	v_lshlrev_b32_e32 v52, 3, v54
	v_mov_b32_e32 v53, 0
	v_lshl_add_u64 v[52:53], s[50:51], 0, v[52:53]
	flat_load_dwordx2 v[52:53], v[52:53]
.LBB1964_83:
	s_or_b64 exec, exec, s[6:7]
	s_and_saveexec_b64 s[6:7], s[38:39]
	s_cbranch_execz .LBB1964_85
; %bb.84:
	v_lshlrev_b32_e32 v50, 3, v55
	v_mov_b32_e32 v51, 0
	v_lshl_add_u64 v[50:51], s[50:51], 0, v[50:51]
	flat_load_dwordx2 v[50:51], v[50:51]
.LBB1964_85:
	s_or_b64 exec, exec, s[6:7]
	v_mov_b64_e32 v[54:55], 0
	v_mov_b64_e32 v[56:57], v[54:55]
	s_and_saveexec_b64 s[6:7], s[40:41]
	s_cbranch_execz .LBB1964_87
; %bb.86:
	v_lshlrev_b32_e32 v56, 3, v58
	v_mov_b32_e32 v57, 0
	v_lshl_add_u64 v[56:57], s[50:51], 0, v[56:57]
	flat_load_dwordx2 v[56:57], v[56:57]
.LBB1964_87:
	s_or_b64 exec, exec, s[6:7]
	s_and_saveexec_b64 s[6:7], s[42:43]
	s_cbranch_execz .LBB1964_89
; %bb.88:
	v_lshlrev_b32_e32 v54, 3, v59
	v_mov_b32_e32 v55, 0
	v_lshl_add_u64 v[54:55], s[50:51], 0, v[54:55]
	flat_load_dwordx2 v[54:55], v[54:55]
.LBB1964_89:
	s_or_b64 exec, exec, s[6:7]
	v_mov_b64_e32 v[58:59], 0
	v_mov_b64_e32 v[60:61], v[58:59]
	s_and_saveexec_b64 s[6:7], s[44:45]
	s_cbranch_execnz .LBB1964_343
; %bb.90:
	s_or_b64 exec, exec, s[6:7]
	s_and_saveexec_b64 s[6:7], s[46:47]
	s_cbranch_execnz .LBB1964_344
.LBB1964_91:
	s_or_b64 exec, exec, s[6:7]
	v_mov_b64_e32 v[62:63], 0
	s_and_saveexec_b64 s[6:7], s[48:49]
	s_cbranch_execz .LBB1964_93
.LBB1964_92:
	v_lshlrev_b32_e32 v62, 3, v65
	v_mov_b32_e32 v63, 0
	v_lshl_add_u64 v[62:63], s[50:51], 0, v[62:63]
	flat_load_dwordx2 v[62:63], v[62:63]
.LBB1964_93:
	s_or_b64 exec, exec, s[6:7]
	v_mul_u32_u24_e32 v65, 21, v0
	v_lshl_add_u32 v68, v0, 2, v67
	s_waitcnt vmcnt(0) lgkmcnt(0)
	ds_write2st64_b64 v68, v[2:3], v[6:7] offset1:4
	ds_write2st64_b64 v68, v[10:11], v[8:9] offset0:8 offset1:12
	ds_write2st64_b64 v68, v[18:19], v[14:15] offset0:16 offset1:20
	;; [unrolled: 1-line block ×9, first 2 shown]
	ds_write_b64 v68, v[62:63] offset:40960
	v_cmp_gt_u32_e32 vcc, s65, v65
	s_mov_b64 s[12:13], 0
	s_mov_b32 s64, 0
	v_mov_b32_e32 v123, 0
	v_mov_b32_e32 v105, 0
	s_mov_b64 s[8:9], 0
	v_mov_b32_e32 v116, 0
	v_mov_b32_e32 v111, 0
	;; [unrolled: 1-line block ×46, first 2 shown]
	s_waitcnt lgkmcnt(0)
	s_barrier
	s_waitcnt lgkmcnt(0)
                                        ; implicit-def: $sgpr6_sgpr7
                                        ; implicit-def: $vgpr1
                                        ; implicit-def: $vgpr80
                                        ; implicit-def: $vgpr81
                                        ; implicit-def: $vgpr82
                                        ; implicit-def: $vgpr51
                                        ; implicit-def: $vgpr55
                                        ; implicit-def: $vgpr59
                                        ; implicit-def: $vgpr63
                                        ; implicit-def: $vgpr67
                                        ; implicit-def: $vgpr71
                                        ; implicit-def: $vgpr75
                                        ; implicit-def: $vgpr79
	s_and_saveexec_b64 s[14:15], vcc
	s_cbranch_execz .LBB1964_133
; %bb.94:
	s_movk_i32 s6, 0xa0
	v_mad_u32_u24 v2, v0, s6, v68
	ds_read_b64 v[2:3], v2
	v_cmp_ne_u32_e32 vcc, v66, v16
	v_add_u32_e32 v1, 1, v65
	v_mov_b32_e32 v123, 0
	v_cndmask_b32_e64 v104, 0, 1, vcc
	v_cmp_gt_u32_e32 vcc, s65, v1
	v_mov_b32_e32 v105, 0
	v_mov_b32_e32 v116, 0
	;; [unrolled: 1-line block ×44, first 2 shown]
                                        ; implicit-def: $sgpr6_sgpr7
                                        ; implicit-def: $vgpr1
                                        ; implicit-def: $vgpr80
                                        ; implicit-def: $vgpr81
                                        ; implicit-def: $vgpr82
                                        ; implicit-def: $vgpr51
                                        ; implicit-def: $vgpr55
                                        ; implicit-def: $vgpr59
                                        ; implicit-def: $vgpr63
                                        ; implicit-def: $vgpr67
                                        ; implicit-def: $vgpr71
                                        ; implicit-def: $vgpr75
                                        ; implicit-def: $vgpr79
	s_and_saveexec_b64 s[16:17], vcc
	s_cbranch_execz .LBB1964_132
; %bb.95:
	v_mul_u32_u24_e32 v1, 0xa0, v0
	v_add_u32_e32 v50, v68, v1
	ds_read2_b64 v[6:9], v50 offset0:1 offset1:2
	v_cmp_ne_u32_e64 s[10:11], v16, v17
	v_add_u32_e32 v1, 2, v65
	v_cmp_ne_u32_e32 vcc, v12, v13
	v_cmp_ne_u32_e64 s[6:7], v13, v32
	v_cmp_ne_u32_e64 s[8:9], v17, v12
	v_cndmask_b32_e64 v123, 0, 1, s[10:11]
	v_cmp_gt_u32_e64 s[10:11], s65, v1
	s_mov_b64 s[20:21], 0
	v_mov_b32_e32 v116, 0
	v_mov_b32_e32 v105, 0
	v_mov_b32_e32 v111, 0
	v_mov_b32_e32 v108, 0
	v_mov_b32_e32 v27, 0
	v_mov_b32_e32 v26, 0
	v_mov_b32_e32 v35, 0
	v_mov_b32_e32 v34, 0
	v_mov_b32_e32 v47, 0
	v_mov_b32_e32 v46, 0
	v_mov_b32_e32 v109, 0
	v_mov_b32_e32 v110, 0
	v_mov_b32_e32 v43, 0
	v_mov_b32_e32 v42, 0
	v_mov_b32_e32 v112, 0
	v_mov_b32_e32 v113, 0
	v_mov_b32_e32 v39, 0
	v_mov_b32_e32 v38, 0
	v_mov_b32_e32 v114, 0
	v_mov_b32_e32 v115, 0
	v_mov_b32_e32 v31, 0
	v_mov_b32_e32 v30, 0
	v_mov_b32_e32 v107, 0
	v_mov_b32_e32 v117, 0
	v_mov_b32_e32 v118, 0
	v_mov_b32_e32 v23, 0
	v_mov_b32_e32 v22, 0
	v_mov_b32_e32 v119, 0
	v_mov_b32_e32 v120, 0
	v_mov_b32_e32 v19, 0
	v_mov_b32_e32 v18, 0
	v_mov_b32_e32 v121, 0
	v_mov_b32_e32 v122, 0
	v_mov_b32_e32 v106, 0
	v_mov_b32_e32 v15, 0
	v_mov_b32_e32 v14, 0
	v_mov_b32_e32 v124, 0
	v_mov_b32_e32 v125, 0
	v_mov_b32_e32 v11, 0
	v_mov_b32_e32 v10, 0
	v_mov_b32_e32 v126, 0
	v_mov_b32_e32 v127, 0
                                        ; implicit-def: $sgpr22_sgpr23
                                        ; implicit-def: $vgpr1
                                        ; implicit-def: $vgpr80
                                        ; implicit-def: $vgpr81
                                        ; implicit-def: $vgpr82
                                        ; implicit-def: $vgpr51
                                        ; implicit-def: $vgpr55
                                        ; implicit-def: $vgpr59
                                        ; implicit-def: $vgpr63
                                        ; implicit-def: $vgpr67
                                        ; implicit-def: $vgpr71
                                        ; implicit-def: $vgpr75
                                        ; implicit-def: $vgpr79
	s_and_saveexec_b64 s[18:19], s[10:11]
	s_cbranch_execz .LBB1964_131
; %bb.96:
	v_cndmask_b32_e64 v1, 0, 1, s[8:9]
	v_cndmask_b32_e64 v10, 0, 1, s[6:7]
	v_lshlrev_b16_e32 v1, 8, v1
	v_lshlrev_b16_e32 v10, 8, v10
	v_cndmask_b32_e64 v11, 0, 1, vcc
	v_or_b32_e32 v1, v123, v1
	v_or_b32_sdwa v10, v11, v10 dst_sel:WORD_1 dst_unused:UNUSED_PAD src0_sel:DWORD src1_sel:DWORD
	v_mov_b32_e32 v116, 0
	v_or_b32_sdwa v1, v1, v10 dst_sel:DWORD dst_unused:UNUSED_PAD src0_sel:WORD_0 src1_sel:DWORD
	v_add_u32_e32 v10, 3, v65
	v_and_b32_e32 v123, 0xffff, v1
	v_cmp_gt_u32_e32 vcc, s65, v10
	s_mov_b64 s[6:7], 0
	v_mov_b32_e32 v105, 0
	v_mov_b32_e32 v111, 0
	v_mov_b32_e32 v108, 0
	v_mov_b32_e32 v27, 0
	v_mov_b32_e32 v26, 0
	v_mov_b32_e32 v35, 0
	v_mov_b32_e32 v34, 0
	v_mov_b32_e32 v47, 0
	v_mov_b32_e32 v46, 0
	v_mov_b32_e32 v109, 0
	v_mov_b32_e32 v110, 0
	v_mov_b32_e32 v43, 0
	v_mov_b32_e32 v42, 0
	v_mov_b32_e32 v112, 0
	v_mov_b32_e32 v113, 0
	v_mov_b32_e32 v39, 0
	v_mov_b32_e32 v38, 0
	v_mov_b32_e32 v114, 0
	v_mov_b32_e32 v115, 0
	v_mov_b32_e32 v31, 0
	v_mov_b32_e32 v30, 0
	v_mov_b32_e32 v107, 0
	v_mov_b32_e32 v117, 0
	v_mov_b32_e32 v118, 0
	v_mov_b32_e32 v23, 0
	v_mov_b32_e32 v22, 0
	v_mov_b32_e32 v119, 0
	v_mov_b32_e32 v120, 0
	v_mov_b32_e32 v19, 0
	v_mov_b32_e32 v18, 0
	v_mov_b32_e32 v121, 0
	v_mov_b32_e32 v122, 0
	v_mov_b32_e32 v106, 0
	v_mov_b32_e32 v15, 0
	v_mov_b32_e32 v14, 0
	v_mov_b32_e32 v124, 0
	v_mov_b32_e32 v125, 0
	v_mov_b32_e32 v11, 0
	v_mov_b32_e32 v10, v116
                                        ; implicit-def: $sgpr8_sgpr9
                                        ; implicit-def: $vgpr80
                                        ; implicit-def: $vgpr81
                                        ; implicit-def: $vgpr82
                                        ; implicit-def: $vgpr51
                                        ; implicit-def: $vgpr55
                                        ; implicit-def: $vgpr59
                                        ; implicit-def: $vgpr63
                                        ; implicit-def: $vgpr67
                                        ; implicit-def: $vgpr71
                                        ; implicit-def: $vgpr75
                                        ; implicit-def: $vgpr79
	s_and_saveexec_b64 s[20:21], vcc
	s_cbranch_execz .LBB1964_130
; %bb.97:
	ds_read2_b64 v[10:13], v50 offset0:3 offset1:4
	v_add_u32_e32 v14, 4, v65
	v_cmp_gt_u32_e32 vcc, s65, v14
	v_and_b32_e32 v123, 0xffffff, v1
	v_mov_b32_e32 v116, 0
	v_mov_b32_e32 v105, 0
	;; [unrolled: 1-line block ×38, first 2 shown]
                                        ; implicit-def: $sgpr8_sgpr9
                                        ; implicit-def: $vgpr80
                                        ; implicit-def: $vgpr81
                                        ; implicit-def: $vgpr82
                                        ; implicit-def: $vgpr51
                                        ; implicit-def: $vgpr55
                                        ; implicit-def: $vgpr59
                                        ; implicit-def: $vgpr63
                                        ; implicit-def: $vgpr67
                                        ; implicit-def: $vgpr71
                                        ; implicit-def: $vgpr75
                                        ; implicit-def: $vgpr79
	s_and_saveexec_b64 s[22:23], vcc
	s_cbranch_execz .LBB1964_129
; %bb.98:
	v_add_u32_e32 v14, 5, v65
	v_mov_b32_e32 v116, 0
	v_cmp_gt_u32_e32 vcc, s65, v14
	v_mov_b32_e32 v105, 0
	v_mov_b32_e32 v111, 0
	;; [unrolled: 1-line block ×35, first 2 shown]
                                        ; implicit-def: $sgpr8_sgpr9
                                        ; implicit-def: $vgpr80
                                        ; implicit-def: $vgpr81
                                        ; implicit-def: $vgpr82
                                        ; implicit-def: $vgpr51
                                        ; implicit-def: $vgpr55
                                        ; implicit-def: $vgpr59
                                        ; implicit-def: $vgpr63
                                        ; implicit-def: $vgpr67
                                        ; implicit-def: $vgpr71
                                        ; implicit-def: $vgpr75
                                        ; implicit-def: $vgpr79
	s_and_saveexec_b64 s[24:25], vcc
	s_cbranch_execz .LBB1964_128
; %bb.99:
	ds_read2_b64 v[14:17], v50 offset0:5 offset1:6
	v_cmp_ne_u32_e32 vcc, v32, v24
	v_add_u32_e32 v18, 6, v65
	v_mov_b32_e32 v116, 0
	v_cndmask_b32_e64 v106, 0, 1, vcc
	v_cmp_gt_u32_e32 vcc, s65, v18
	v_mov_b32_e32 v105, 0
	v_mov_b32_e32 v111, 0
	;; [unrolled: 1-line block ×32, first 2 shown]
                                        ; implicit-def: $sgpr8_sgpr9
                                        ; implicit-def: $vgpr80
                                        ; implicit-def: $vgpr81
                                        ; implicit-def: $vgpr82
                                        ; implicit-def: $vgpr51
                                        ; implicit-def: $vgpr55
                                        ; implicit-def: $vgpr59
                                        ; implicit-def: $vgpr63
                                        ; implicit-def: $vgpr67
                                        ; implicit-def: $vgpr71
                                        ; implicit-def: $vgpr75
                                        ; implicit-def: $vgpr79
	s_and_saveexec_b64 s[26:27], vcc
	s_cbranch_execz .LBB1964_127
; %bb.100:
	v_cmp_ne_u32_e64 s[10:11], v24, v25
	v_add_u32_e32 v18, 7, v65
	v_mov_b32_e32 v111, 0
	v_cmp_ne_u32_e32 vcc, v20, v21
	v_cmp_ne_u32_e64 s[6:7], v21, v33
	v_cmp_ne_u32_e64 s[8:9], v25, v20
	v_cndmask_b32_e64 v116, 0, 1, s[10:11]
	v_cmp_gt_u32_e64 s[10:11], s65, v18
	s_mov_b64 s[30:31], 0
	v_mov_b32_e32 v105, 0
	v_mov_b32_e32 v108, 0
	;; [unrolled: 1-line block ×29, first 2 shown]
                                        ; implicit-def: $sgpr34_sgpr35
                                        ; implicit-def: $vgpr80
                                        ; implicit-def: $vgpr81
                                        ; implicit-def: $vgpr82
                                        ; implicit-def: $vgpr51
                                        ; implicit-def: $vgpr55
                                        ; implicit-def: $vgpr59
                                        ; implicit-def: $vgpr63
                                        ; implicit-def: $vgpr67
                                        ; implicit-def: $vgpr71
                                        ; implicit-def: $vgpr75
                                        ; implicit-def: $vgpr79
	s_and_saveexec_b64 s[28:29], s[10:11]
	s_cbranch_execz .LBB1964_126
; %bb.101:
	v_cndmask_b32_e64 v18, 0, 1, s[8:9]
	v_cndmask_b32_e64 v19, 0, 1, s[6:7]
	v_lshlrev_b16_e32 v18, 8, v18
	v_lshlrev_b16_e32 v19, 8, v19
	v_cndmask_b32_e64 v20, 0, 1, vcc
	v_or_b32_e32 v18, v116, v18
	v_or_b32_sdwa v19, v20, v19 dst_sel:WORD_1 dst_unused:UNUSED_PAD src0_sel:DWORD src1_sel:DWORD
	v_add_u32_e32 v22, 8, v65
	v_or_b32_sdwa v80, v18, v19 dst_sel:DWORD dst_unused:UNUSED_PAD src0_sel:WORD_0 src1_sel:DWORD
	ds_read2_b64 v[18:21], v50 offset0:7 offset1:8
	v_and_b32_e32 v116, 0xffff, v80
	v_cmp_gt_u32_e32 vcc, s65, v22
	s_mov_b64 s[6:7], 0
	v_mov_b32_e32 v111, 0
	v_mov_b32_e32 v105, 0
	;; [unrolled: 1-line block ×28, first 2 shown]
                                        ; implicit-def: $sgpr8_sgpr9
                                        ; implicit-def: $vgpr81
                                        ; implicit-def: $vgpr82
                                        ; implicit-def: $vgpr51
                                        ; implicit-def: $vgpr55
                                        ; implicit-def: $vgpr59
                                        ; implicit-def: $vgpr63
                                        ; implicit-def: $vgpr67
                                        ; implicit-def: $vgpr71
                                        ; implicit-def: $vgpr75
                                        ; implicit-def: $vgpr79
	s_and_saveexec_b64 s[30:31], vcc
	s_cbranch_execz .LBB1964_125
; %bb.102:
	v_add_u32_e32 v22, 9, v65
	v_mov_b32_e32 v111, 0
	v_cmp_gt_u32_e32 vcc, s65, v22
	v_and_b32_e32 v116, 0xffffff, v80
	v_mov_b32_e32 v105, 0
	v_mov_b32_e32 v108, 0
	v_mov_b32_e32 v27, 0
	v_mov_b32_e32 v26, 0
	v_mov_b32_e32 v35, 0
	v_mov_b32_e32 v34, 0
	v_mov_b32_e32 v47, 0
	v_mov_b32_e32 v46, 0
	v_mov_b32_e32 v109, 0
	v_mov_b32_e32 v110, 0
	v_mov_b32_e32 v43, 0
	v_mov_b32_e32 v42, 0
	v_mov_b32_e32 v112, 0
	v_mov_b32_e32 v113, 0
	v_mov_b32_e32 v39, 0
	v_mov_b32_e32 v38, 0
	v_mov_b32_e32 v114, 0
	v_mov_b32_e32 v115, 0
	v_mov_b32_e32 v31, 0
	v_mov_b32_e32 v30, 0
	v_mov_b32_e32 v107, 0
	v_mov_b32_e32 v117, 0
	v_mov_b32_e32 v118, 0
	v_mov_b32_e32 v23, 0
	v_mov_b32_e32 v22, v111
                                        ; implicit-def: $sgpr8_sgpr9
                                        ; implicit-def: $vgpr81
                                        ; implicit-def: $vgpr82
                                        ; implicit-def: $vgpr51
                                        ; implicit-def: $vgpr55
                                        ; implicit-def: $vgpr59
                                        ; implicit-def: $vgpr63
                                        ; implicit-def: $vgpr67
                                        ; implicit-def: $vgpr71
                                        ; implicit-def: $vgpr75
                                        ; implicit-def: $vgpr79
	s_and_saveexec_b64 s[34:35], vcc
	s_cbranch_execz .LBB1964_124
; %bb.103:
	ds_read2_b64 v[22:25], v50 offset0:9 offset1:10
	v_add_u32_e32 v26, 10, v65
	v_cmp_gt_u32_e32 vcc, s65, v26
	v_mov_b32_e32 v111, 0
	v_mov_b32_e32 v105, 0
	;; [unrolled: 1-line block ×24, first 2 shown]
                                        ; implicit-def: $sgpr8_sgpr9
                                        ; implicit-def: $vgpr81
                                        ; implicit-def: $vgpr82
                                        ; implicit-def: $vgpr51
                                        ; implicit-def: $vgpr55
                                        ; implicit-def: $vgpr59
                                        ; implicit-def: $vgpr63
                                        ; implicit-def: $vgpr67
                                        ; implicit-def: $vgpr71
                                        ; implicit-def: $vgpr75
                                        ; implicit-def: $vgpr79
	s_and_saveexec_b64 s[36:37], vcc
	s_cbranch_execz .LBB1964_123
; %bb.104:
	v_cmp_ne_u32_e32 vcc, v33, v44
	v_add_u32_e32 v26, 11, v65
	v_mov_b32_e32 v111, 0
	v_cndmask_b32_e64 v107, 0, 1, vcc
	v_cmp_gt_u32_e32 vcc, s65, v26
	v_mov_b32_e32 v105, 0
	v_mov_b32_e32 v108, 0
	;; [unrolled: 1-line block ×20, first 2 shown]
                                        ; implicit-def: $sgpr8_sgpr9
                                        ; implicit-def: $vgpr81
                                        ; implicit-def: $vgpr82
                                        ; implicit-def: $vgpr51
                                        ; implicit-def: $vgpr55
                                        ; implicit-def: $vgpr59
                                        ; implicit-def: $vgpr63
                                        ; implicit-def: $vgpr67
                                        ; implicit-def: $vgpr71
                                        ; implicit-def: $vgpr75
                                        ; implicit-def: $vgpr79
	s_and_saveexec_b64 s[38:39], vcc
	s_cbranch_execz .LBB1964_122
; %bb.105:
	ds_read2_b64 v[30:33], v50 offset0:11 offset1:12
	v_cmp_ne_u32_e64 s[10:11], v44, v45
	v_add_u32_e32 v26, 12, v65
	v_cmp_ne_u32_e32 vcc, v40, v41
	v_cmp_ne_u32_e64 s[6:7], v41, v64
	v_cmp_ne_u32_e64 s[8:9], v45, v40
	v_cndmask_b32_e64 v111, 0, 1, s[10:11]
	v_cmp_gt_u32_e64 s[10:11], s65, v26
	s_mov_b64 s[42:43], 0
	v_mov_b32_e32 v108, 0
	v_mov_b32_e32 v105, 0
	;; [unrolled: 1-line block ×18, first 2 shown]
                                        ; implicit-def: $sgpr44_sgpr45
                                        ; implicit-def: $vgpr81
                                        ; implicit-def: $vgpr82
                                        ; implicit-def: $vgpr51
                                        ; implicit-def: $vgpr55
                                        ; implicit-def: $vgpr59
                                        ; implicit-def: $vgpr63
                                        ; implicit-def: $vgpr67
                                        ; implicit-def: $vgpr71
                                        ; implicit-def: $vgpr75
                                        ; implicit-def: $vgpr79
	s_and_saveexec_b64 s[40:41], s[10:11]
	s_cbranch_execz .LBB1964_121
; %bb.106:
	v_cndmask_b32_e64 v26, 0, 1, s[8:9]
	v_cndmask_b32_e64 v27, 0, 1, s[6:7]
	v_lshlrev_b16_e32 v26, 8, v26
	v_lshlrev_b16_e32 v27, 8, v27
	v_cndmask_b32_e64 v34, 0, 1, vcc
	v_or_b32_e32 v26, v111, v26
	v_or_b32_sdwa v27, v34, v27 dst_sel:WORD_1 dst_unused:UNUSED_PAD src0_sel:DWORD src1_sel:DWORD
	v_mov_b32_e32 v108, 0
	v_or_b32_sdwa v81, v26, v27 dst_sel:DWORD dst_unused:UNUSED_PAD src0_sel:WORD_0 src1_sel:DWORD
	v_add_u32_e32 v26, 13, v65
	s_mov_b64 s[66:67], s[62:63]
	v_and_b32_e32 v111, 0xffff, v81
	v_cmp_gt_u32_e32 vcc, s65, v26
	s_mov_b64 s[6:7], 0
	v_mov_b32_e32 v105, 0
	v_mov_b32_e32 v27, 0
	;; [unrolled: 1-line block ×15, first 2 shown]
                                        ; implicit-def: $sgpr8_sgpr9
                                        ; implicit-def: $vgpr82
                                        ; implicit-def: $vgpr51
                                        ; implicit-def: $vgpr55
                                        ; implicit-def: $vgpr59
                                        ; implicit-def: $vgpr63
                                        ; implicit-def: $vgpr67
                                        ; implicit-def: $vgpr71
                                        ; implicit-def: $vgpr75
                                        ; implicit-def: $vgpr79
	s_and_saveexec_b64 s[42:43], vcc
	s_cbranch_execz .LBB1964_120
; %bb.107:
	ds_read2_b64 v[38:41], v50 offset0:13 offset1:14
	v_add_u32_e32 v26, 14, v65
	v_cmp_gt_u32_e32 vcc, s65, v26
	v_and_b32_e32 v111, 0xffffff, v81
	v_mov_b32_e32 v108, 0
	v_mov_b32_e32 v105, 0
	;; [unrolled: 1-line block ×14, first 2 shown]
                                        ; implicit-def: $sgpr8_sgpr9
                                        ; implicit-def: $vgpr82
                                        ; implicit-def: $vgpr51
                                        ; implicit-def: $vgpr55
                                        ; implicit-def: $vgpr59
                                        ; implicit-def: $vgpr63
                                        ; implicit-def: $vgpr67
                                        ; implicit-def: $vgpr71
                                        ; implicit-def: $vgpr75
                                        ; implicit-def: $vgpr79
	s_and_saveexec_b64 s[44:45], vcc
	s_cbranch_execz .LBB1964_119
; %bb.108:
	v_add_u32_e32 v26, 15, v65
	v_mov_b32_e32 v108, 0
	v_cmp_gt_u32_e32 vcc, s65, v26
	v_mov_b32_e32 v105, 0
	v_mov_b32_e32 v27, 0
	v_mov_b32_e32 v26, 0
	v_mov_b32_e32 v35, 0
	v_mov_b32_e32 v34, 0
	v_mov_b32_e32 v47, 0
	v_mov_b32_e32 v46, 0
	v_mov_b32_e32 v109, 0
	v_mov_b32_e32 v110, 0
	v_mov_b32_e32 v43, 0
	v_mov_b32_e32 v42, v108
                                        ; implicit-def: $sgpr8_sgpr9
                                        ; implicit-def: $vgpr82
                                        ; implicit-def: $vgpr51
                                        ; implicit-def: $vgpr55
                                        ; implicit-def: $vgpr59
                                        ; implicit-def: $vgpr63
                                        ; implicit-def: $vgpr67
                                        ; implicit-def: $vgpr71
                                        ; implicit-def: $vgpr75
                                        ; implicit-def: $vgpr79
	s_and_saveexec_b64 s[46:47], vcc
	s_cbranch_execz .LBB1964_118
; %bb.109:
	ds_read2_b64 v[42:45], v50 offset0:15 offset1:16
	v_cmp_ne_u32_e32 vcc, v64, v28
	v_add_u32_e32 v26, 16, v65
	v_mov_b32_e32 v108, 0
	v_cndmask_b32_e64 v105, 0, 1, vcc
	v_cmp_gt_u32_e32 vcc, s65, v26
	v_mov_b32_e32 v27, 0
	v_mov_b32_e32 v26, 0
	;; [unrolled: 1-line block ×8, first 2 shown]
                                        ; implicit-def: $sgpr8_sgpr9
                                        ; implicit-def: $vgpr82
                                        ; implicit-def: $vgpr51
                                        ; implicit-def: $vgpr55
                                        ; implicit-def: $vgpr59
                                        ; implicit-def: $vgpr63
                                        ; implicit-def: $vgpr67
                                        ; implicit-def: $vgpr71
                                        ; implicit-def: $vgpr75
                                        ; implicit-def: $vgpr79
	s_and_saveexec_b64 s[48:49], vcc
	s_cbranch_execz .LBB1964_117
; %bb.110:
	v_cmp_ne_u32_e64 s[10:11], v28, v29
	v_add_u32_e32 v26, 17, v65
	v_mov_b32_e32 v27, 0
	v_cmp_ne_u32_e32 vcc, v36, v37
	v_cmp_ne_u32_e64 s[6:7], v37, v4
	v_cmp_ne_u32_e64 s[8:9], v29, v36
	v_cndmask_b32_e64 v108, 0, 1, s[10:11]
	v_cmp_gt_u32_e64 s[10:11], s65, v26
	s_mov_b64 s[60:61], 0
	v_mov_b32_e32 v26, 0
	v_mov_b32_e32 v35, 0
	;; [unrolled: 1-line block ×5, first 2 shown]
                                        ; implicit-def: $sgpr62_sgpr63
                                        ; implicit-def: $vgpr82
                                        ; implicit-def: $vgpr51
                                        ; implicit-def: $vgpr55
                                        ; implicit-def: $vgpr59
                                        ; implicit-def: $vgpr63
                                        ; implicit-def: $vgpr67
                                        ; implicit-def: $vgpr71
                                        ; implicit-def: $vgpr75
                                        ; implicit-def: $vgpr79
	s_and_saveexec_b64 s[58:59], s[10:11]
	s_cbranch_execz .LBB1964_116
; %bb.111:
	v_cndmask_b32_e64 v26, 0, 1, s[8:9]
	v_cndmask_b32_e64 v27, 0, 1, s[6:7]
	ds_read2_b64 v[46:49], v50 offset0:17 offset1:18
	v_lshlrev_b16_e32 v26, 8, v26
	v_lshlrev_b16_e32 v27, 8, v27
	v_cndmask_b32_e64 v28, 0, 1, vcc
	v_or_b32_e32 v26, v108, v26
	v_or_b32_sdwa v27, v28, v27 dst_sel:WORD_1 dst_unused:UNUSED_PAD src0_sel:DWORD src1_sel:DWORD
	s_mov_b64 s[6:7], 0
	v_or_b32_sdwa v82, v26, v27 dst_sel:DWORD dst_unused:UNUSED_PAD src0_sel:WORD_0 src1_sel:DWORD
	v_add_u32_e32 v26, 18, v65
	v_and_b32_e32 v108, 0xffff, v82
	v_cmp_gt_u32_e32 vcc, s65, v26
	v_mov_b32_e32 v27, 0
	v_mov_b32_e32 v26, 0
	;; [unrolled: 1-line block ×4, first 2 shown]
                                        ; implicit-def: $sgpr10_sgpr11
	s_and_saveexec_b64 s[8:9], vcc
	s_cbranch_execz .LBB1964_115
; %bb.112:
	v_add_u32_e32 v26, 19, v65
	s_waitcnt lgkmcnt(0)
	v_mov_b32_e32 v34, v48
	v_mov_b32_e32 v35, v49
	v_cmp_gt_u32_e32 vcc, s65, v26
	v_and_b32_e32 v108, 0xffffff, v82
	v_mov_b32_e32 v27, 0
	v_mov_b32_e32 v26, 0
                                        ; implicit-def: $sgpr10_sgpr11
	s_and_saveexec_b64 s[60:61], vcc
	s_xor_b64 s[60:61], exec, s[60:61]
	s_cbranch_execz .LBB1964_114
; %bb.113:
	ds_read2_b64 v[26:29], v50 offset0:19 offset1:20
	v_cmp_ne_u32_e32 vcc, v4, v5
	v_add_u32_e32 v4, 20, v65
	v_cmp_gt_u32_e64 s[6:7], s65, v4
	s_and_b64 s[10:11], vcc, exec
	s_and_b64 s[6:7], s[6:7], exec
	s_waitcnt lgkmcnt(0)
	v_mov_b32_e32 v37, v27
	v_mov_b32_e32 v36, v26
	;; [unrolled: 1-line block ×3, first 2 shown]
.LBB1964_114:
	s_or_b64 exec, exec, s[60:61]
	s_and_b64 s[10:11], s[10:11], exec
	s_and_b64 s[6:7], s[6:7], exec
.LBB1964_115:
	s_or_b64 exec, exec, s[8:9]
	s_and_b64 s[62:63], s[10:11], exec
	s_and_b64 s[60:61], s[6:7], exec
	s_waitcnt lgkmcnt(0)
	v_mov_b32_e32 v51, v47
	v_mov_b32_e32 v50, v46
	;; [unrolled: 1-line block ×34, first 2 shown]
.LBB1964_116:
	s_or_b64 exec, exec, s[58:59]
	s_and_b64 s[8:9], s[62:63], exec
	s_and_b64 s[6:7], s[60:61], exec
	s_waitcnt lgkmcnt(0)
	v_mov_b32_e32 v109, v45
	v_mov_b32_e32 v110, v44
.LBB1964_117:
	s_or_b64 exec, exec, s[48:49]
	s_and_b64 s[8:9], s[8:9], exec
	s_and_b64 s[6:7], s[6:7], exec
.LBB1964_118:
	s_or_b64 exec, exec, s[46:47]
	s_and_b64 s[8:9], s[8:9], exec
	s_and_b64 s[6:7], s[6:7], exec
	v_mov_b32_e32 v111, v81
	s_waitcnt lgkmcnt(0)
	v_mov_b32_e32 v112, v41
	v_mov_b32_e32 v113, v40
.LBB1964_119:
	s_or_b64 exec, exec, s[44:45]
	s_and_b64 s[8:9], s[8:9], exec
	s_and_b64 s[6:7], s[6:7], exec
.LBB1964_120:
	s_or_b64 exec, exec, s[42:43]
	s_and_b64 s[44:45], s[8:9], exec
	s_and_b64 s[42:43], s[6:7], exec
	s_waitcnt lgkmcnt(0)
	v_mov_b32_e32 v114, v33
	v_mov_b32_e32 v115, v32
	s_mov_b64 s[62:63], s[66:67]
.LBB1964_121:
	s_or_b64 exec, exec, s[40:41]
	s_and_b64 s[8:9], s[44:45], exec
	s_and_b64 s[6:7], s[42:43], exec
.LBB1964_122:
	s_or_b64 exec, exec, s[38:39]
	s_and_b64 s[8:9], s[8:9], exec
	s_and_b64 s[6:7], s[6:7], exec
	s_waitcnt lgkmcnt(0)
	v_mov_b32_e32 v117, v25
	v_mov_b32_e32 v118, v24
.LBB1964_123:
	s_or_b64 exec, exec, s[36:37]
	s_and_b64 s[8:9], s[8:9], exec
	s_and_b64 s[6:7], s[6:7], exec
	v_mov_b32_e32 v116, v80
.LBB1964_124:
	s_or_b64 exec, exec, s[34:35]
	s_and_b64 s[8:9], s[8:9], exec
	s_and_b64 s[6:7], s[6:7], exec
	s_waitcnt lgkmcnt(0)
	v_mov_b32_e32 v119, v21
	v_mov_b32_e32 v120, v20
.LBB1964_125:
	s_or_b64 exec, exec, s[30:31]
	s_and_b64 s[34:35], s[8:9], exec
	s_and_b64 s[30:31], s[6:7], exec
.LBB1964_126:
	s_or_b64 exec, exec, s[28:29]
	s_and_b64 s[8:9], s[34:35], exec
	s_and_b64 s[6:7], s[30:31], exec
	s_waitcnt lgkmcnt(0)
	v_mov_b32_e32 v121, v17
	v_mov_b32_e32 v122, v16
.LBB1964_127:
	s_or_b64 exec, exec, s[26:27]
	s_and_b64 s[8:9], s[8:9], exec
	s_and_b64 s[6:7], s[6:7], exec
.LBB1964_128:
	s_or_b64 exec, exec, s[24:25]
	s_and_b64 s[8:9], s[8:9], exec
	s_and_b64 s[6:7], s[6:7], exec
	v_mov_b32_e32 v123, v1
	s_waitcnt lgkmcnt(0)
	v_mov_b32_e32 v124, v13
	v_mov_b32_e32 v125, v12
.LBB1964_129:
	s_or_b64 exec, exec, s[22:23]
	s_and_b64 s[8:9], s[8:9], exec
	s_and_b64 s[6:7], s[6:7], exec
.LBB1964_130:
	s_or_b64 exec, exec, s[20:21]
	s_and_b64 s[22:23], s[8:9], exec
	s_and_b64 s[20:21], s[6:7], exec
	s_waitcnt lgkmcnt(0)
	v_mov_b32_e32 v126, v9
	v_mov_b32_e32 v127, v8
.LBB1964_131:
	s_or_b64 exec, exec, s[18:19]
	s_and_b64 s[6:7], s[22:23], exec
	s_and_b64 s[8:9], s[20:21], exec
.LBB1964_132:
	s_or_b64 exec, exec, s[16:17]
	s_and_b64 s[6:7], s[6:7], exec
	s_and_b64 s[8:9], s[8:9], exec
.LBB1964_133:
	s_or_b64 exec, exec, s[14:15]
	s_mov_b32 s10, 0
	s_and_b64 vcc, exec, s[12:13]
	s_cbranch_vccnz .LBB1964_135
	s_branch .LBB1964_143
.LBB1964_134:
                                        ; kill: def $vgpr2_vgpr3 killed $sgpr0_sgpr1 killed $exec
                                        ; implicit-def: $sgpr6_sgpr7
                                        ; implicit-def: $vgpr1
                                        ; implicit-def: $vgpr80
                                        ; implicit-def: $vgpr81
                                        ; implicit-def: $vgpr82
                                        ; implicit-def: $vgpr28_vgpr29
                                        ; implicit-def: $vgpr37
                                        ; implicit-def: $vgpr51
                                        ; implicit-def: $vgpr105
                                        ; implicit-def: $vgpr55
                                        ; implicit-def: $vgpr59
                                        ; implicit-def: $vgpr63
                                        ; implicit-def: $vgpr107
                                        ; implicit-def: $vgpr67
                                        ; implicit-def: $vgpr71
                                        ; implicit-def: $vgpr106
                                        ; implicit-def: $vgpr75
                                        ; implicit-def: $vgpr79
                                        ; implicit-def: $vgpr5
                                        ; implicit-def: $vgpr104
                                        ; implicit-def: $vgpr123
                                        ; implicit-def: $vgpr116
                                        ; implicit-def: $vgpr111
                                        ; implicit-def: $vgpr108
                                        ; implicit-def: $sgpr10
                                        ; implicit-def: $sgpr64
                                        ; implicit-def: $vgpr47
                                        ; implicit-def: $vgpr109
                                        ; implicit-def: $vgpr110
                                        ; implicit-def: $vgpr43
                                        ; implicit-def: $vgpr112
                                        ; implicit-def: $vgpr113
                                        ; implicit-def: $vgpr39
                                        ; implicit-def: $vgpr114
                                        ; implicit-def: $vgpr115
                                        ; implicit-def: $vgpr31
                                        ; implicit-def: $vgpr117
                                        ; implicit-def: $vgpr118
                                        ; implicit-def: $vgpr23
                                        ; implicit-def: $vgpr119
                                        ; implicit-def: $vgpr120
                                        ; implicit-def: $vgpr19
                                        ; implicit-def: $vgpr121
                                        ; implicit-def: $vgpr122
                                        ; implicit-def: $vgpr15
                                        ; implicit-def: $vgpr124
                                        ; implicit-def: $vgpr125
                                        ; implicit-def: $vgpr11
                                        ; implicit-def: $vgpr126
                                        ; implicit-def: $vgpr127
                                        ; implicit-def: $vgpr7
	s_and_b64 vcc, exec, s[12:13]
	s_cbranch_vccz .LBB1964_143
.LBB1964_135:
	s_waitcnt lgkmcnt(0)
	v_mov_b32_e32 v3, 0
	v_lshlrev_b32_e32 v2, 2, v0
	v_lshl_add_u64 v[4:5], s[52:53], 0, v[2:3]
	v_add_co_u32_e32 v6, vcc, 0x1000, v4
	s_movk_i32 s6, 0x50
	s_nop 0
	v_addc_co_u32_e32 v7, vcc, 0, v5, vcc
	flat_load_dword v1, v[4:5]
	flat_load_dword v3, v[4:5] offset:1024
	flat_load_dword v10, v[4:5] offset:2048
	;; [unrolled: 1-line block ×3, first 2 shown]
	flat_load_dword v12, v[6:7]
	flat_load_dword v13, v[6:7] offset:1024
	flat_load_dword v14, v[6:7] offset:2048
	;; [unrolled: 1-line block ×3, first 2 shown]
	v_add_co_u32_e32 v6, vcc, 0x2000, v4
	v_mad_u32_u24 v23, v0, s6, v2
	s_nop 0
	v_addc_co_u32_e32 v7, vcc, 0, v5, vcc
	v_add_co_u32_e32 v8, vcc, 0x3000, v4
	s_cmp_eq_u64 s[56:57], 0
	s_nop 0
	v_addc_co_u32_e32 v9, vcc, 0, v5, vcc
	flat_load_dword v16, v[6:7]
	flat_load_dword v17, v[6:7] offset:1024
	flat_load_dword v18, v[6:7] offset:2048
	;; [unrolled: 1-line block ×3, first 2 shown]
	flat_load_dword v20, v[8:9]
	flat_load_dword v21, v[8:9] offset:1024
	flat_load_dword v22, v[8:9] offset:2048
	;; [unrolled: 1-line block ×3, first 2 shown]
	v_add_co_u32_e32 v6, vcc, 0x4000, v4
	s_nop 1
	v_addc_co_u32_e32 v7, vcc, 0, v5, vcc
	v_add_co_u32_e32 v4, vcc, 0x5000, v4
	s_nop 1
	v_addc_co_u32_e32 v5, vcc, 0, v5, vcc
	flat_load_dword v8, v[6:7]
	flat_load_dword v9, v[6:7] offset:1024
	flat_load_dword v25, v[6:7] offset:2048
	;; [unrolled: 1-line block ×3, first 2 shown]
	flat_load_dword v27, v[4:5]
	s_waitcnt vmcnt(0) lgkmcnt(0)
	ds_write2st64_b32 v2, v1, v3 offset1:4
	ds_write2st64_b32 v2, v10, v11 offset0:8 offset1:12
	ds_write2st64_b32 v2, v12, v13 offset0:16 offset1:20
	;; [unrolled: 1-line block ×9, first 2 shown]
	ds_write_b32 v2, v27 offset:20480
	s_waitcnt lgkmcnt(0)
	s_barrier
	ds_read2_b32 v[10:11], v23 offset0:7 offset1:8
	ds_read2_b32 v[8:9], v23 offset0:5 offset1:6
	;; [unrolled: 1-line block ×3, first 2 shown]
	ds_read2_b32 v[6:7], v23 offset1:1
	ds_read2_b32 v[4:5], v23 offset0:4 offset1:9
	ds_read2_b32 v[16:17], v23 offset0:15 offset1:16
	ds_read_b32 v1, v23 offset:56
	ds_read2_b32 v[14:15], v23 offset0:12 offset1:13
	ds_read2_b32 v[12:13], v23 offset0:10 offset1:11
	;; [unrolled: 1-line block ×4, first 2 shown]
	s_cbranch_scc1 .LBB1964_140
; %bb.136:
	s_andn2_b64 vcc, exec, s[54:55]
	s_cbranch_vccnz .LBB1964_346
; %bb.137:
	s_lshl_b64 s[6:7], s[56:57], 2
	s_add_u32 s6, s94, s6
	s_addc_u32 s7, s95, s7
	s_add_u32 s6, s6, -4
	s_addc_u32 s7, s7, -1
	s_cbranch_execnz .LBB1964_139
.LBB1964_138:
	s_add_u32 s6, s52, -4
	s_addc_u32 s7, s53, -1
.LBB1964_139:
	s_mov_b64 s[52:53], s[6:7]
.LBB1964_140:
	v_mov_b64_e32 v[24:25], s[52:53]
	flat_load_dword v22, v[24:25]
	s_movk_i32 s6, 0xffb0
	v_mad_i32_i24 v23, v0, s6, v23
	s_waitcnt lgkmcnt(0)
	ds_write_b32 v23, v21 offset:21504
	s_waitcnt lgkmcnt(0)
	s_barrier
	s_and_saveexec_b64 s[6:7], s[4:5]
	s_cbranch_execz .LBB1964_142
; %bb.141:
	s_waitcnt vmcnt(0)
	ds_read_b32 v22, v23 offset:21500
.LBB1964_142:
	s_or_b64 exec, exec, s[6:7]
	v_lshlrev_b32_e32 v24, 3, v0
	v_mov_b32_e32 v25, 0
	v_lshl_add_u64 v[24:25], s[50:51], 0, v[24:25]
	s_movk_i32 s6, 0x1000
	v_add_co_u32_e32 v26, vcc, s6, v24
	s_movk_i32 s6, 0x2000
	s_nop 0
	v_addc_co_u32_e32 v27, vcc, 0, v25, vcc
	s_waitcnt lgkmcnt(0)
	s_barrier
	flat_load_dwordx2 v[28:29], v[24:25]
	flat_load_dwordx2 v[30:31], v[24:25] offset:2048
	flat_load_dwordx2 v[32:33], v[26:27]
	flat_load_dwordx2 v[34:35], v[26:27] offset:2048
	v_add_co_u32_e32 v26, vcc, s6, v24
	s_movk_i32 s6, 0x3000
	s_nop 0
	v_addc_co_u32_e32 v27, vcc, 0, v25, vcc
	v_add_co_u32_e32 v36, vcc, s6, v24
	s_movk_i32 s6, 0x4000
	s_nop 0
	v_addc_co_u32_e32 v37, vcc, 0, v25, vcc
	flat_load_dwordx2 v[38:39], v[26:27]
	flat_load_dwordx2 v[40:41], v[26:27] offset:2048
	flat_load_dwordx2 v[42:43], v[36:37]
	flat_load_dwordx2 v[44:45], v[36:37] offset:2048
	v_add_co_u32_e32 v26, vcc, s6, v24
	s_movk_i32 s6, 0x5000
	s_nop 0
	v_addc_co_u32_e32 v27, vcc, 0, v25, vcc
	v_add_co_u32_e32 v36, vcc, s6, v24
	s_movk_i32 s6, 0x6000
	s_nop 0
	v_addc_co_u32_e32 v37, vcc, 0, v25, vcc
	flat_load_dwordx2 v[46:47], v[26:27]
	flat_load_dwordx2 v[48:49], v[26:27] offset:2048
	flat_load_dwordx2 v[50:51], v[36:37]
	flat_load_dwordx2 v[52:53], v[36:37] offset:2048
	v_add_co_u32_e32 v26, vcc, s6, v24
	s_movk_i32 s6, 0x7000
	s_nop 0
	v_addc_co_u32_e32 v27, vcc, 0, v25, vcc
	v_add_co_u32_e32 v36, vcc, s6, v24
	s_mov_b32 s6, 0x8000
	s_nop 0
	v_addc_co_u32_e32 v37, vcc, 0, v25, vcc
	flat_load_dwordx2 v[54:55], v[26:27]
	flat_load_dwordx2 v[56:57], v[26:27] offset:2048
	flat_load_dwordx2 v[58:59], v[36:37]
	flat_load_dwordx2 v[60:61], v[36:37] offset:2048
	v_add_co_u32_e32 v26, vcc, s6, v24
	s_mov_b32 s6, 0x9000
	s_nop 0
	v_addc_co_u32_e32 v27, vcc, 0, v25, vcc
	v_add_co_u32_e32 v36, vcc, s6, v24
	s_mov_b32 s6, 0xa000
	s_nop 0
	v_addc_co_u32_e32 v37, vcc, 0, v25, vcc
	flat_load_dwordx2 v[62:63], v[26:27]
	flat_load_dwordx2 v[64:65], v[26:27] offset:2048
	flat_load_dwordx2 v[66:67], v[36:37]
	flat_load_dwordx2 v[68:69], v[36:37] offset:2048
	v_add_co_u32_e32 v24, vcc, s6, v24
	v_cmp_ne_u32_e64 s[6:7], v20, v21
	s_nop 0
	v_addc_co_u32_e32 v25, vcc, 0, v25, vcc
	flat_load_dwordx2 v[24:25], v[24:25]
	v_cmp_ne_u32_e32 vcc, v17, v18
	s_movk_i32 s8, 0xa0
                                        ; implicit-def: $vgpr123
                                        ; implicit-def: $vgpr116
                                        ; implicit-def: $vgpr111
                                        ; implicit-def: $vgpr108
                                        ; implicit-def: $sgpr10
                                        ; implicit-def: $sgpr64
                                        ; implicit-def: $vgpr109
                                        ; implicit-def: $vgpr110
                                        ; implicit-def: $vgpr112
                                        ; implicit-def: $vgpr113
                                        ; implicit-def: $vgpr114
                                        ; implicit-def: $vgpr115
                                        ; implicit-def: $vgpr117
                                        ; implicit-def: $vgpr118
                                        ; implicit-def: $vgpr119
                                        ; implicit-def: $vgpr120
                                        ; implicit-def: $vgpr121
                                        ; implicit-def: $vgpr122
                                        ; implicit-def: $vgpr124
                                        ; implicit-def: $vgpr125
                                        ; implicit-def: $vgpr126
                                        ; implicit-def: $vgpr127
	s_nop 0
	v_cndmask_b32_e64 v21, 0, 1, vcc
	v_cmp_ne_u32_e32 vcc, v16, v17
	v_lshlrev_b16_e32 v21, 8, v21
	s_nop 0
	v_cndmask_b32_e64 v17, 0, 1, vcc
	v_cmp_ne_u32_e32 vcc, v19, v20
	v_or_b32_e32 v17, v17, v21
	s_nop 0
	v_cndmask_b32_e64 v20, 0, 1, vcc
	v_cmp_ne_u32_e32 vcc, v18, v19
	v_lshlrev_b16_e32 v20, 8, v20
                                        ; implicit-def: $vgpr19
	s_nop 0
	v_cndmask_b32_e64 v18, 0, 1, vcc
	v_cmp_ne_u32_e32 vcc, v1, v16
	v_or_b32_sdwa v18, v18, v20 dst_sel:WORD_1 dst_unused:UNUSED_PAD src0_sel:DWORD src1_sel:DWORD
	s_nop 0
	v_cndmask_b32_e64 v105, 0, 1, vcc
	v_cmp_ne_u32_e32 vcc, v13, v14
	v_or_b32_sdwa v82, v17, v18 dst_sel:DWORD dst_unused:UNUSED_PAD src0_sel:WORD_0 src1_sel:DWORD
	s_nop 0
	v_cndmask_b32_e64 v16, 0, 1, vcc
	v_cmp_ne_u32_e32 vcc, v12, v13
	v_lshlrev_b16_e32 v16, 8, v16
	s_nop 0
	v_cndmask_b32_e64 v13, 0, 1, vcc
	v_cmp_ne_u32_e32 vcc, v15, v1
	v_or_b32_e32 v13, v13, v16
	s_nop 0
	v_cndmask_b32_e64 v1, 0, 1, vcc
	v_cmp_ne_u32_e32 vcc, v14, v15
	v_lshlrev_b16_e32 v1, 8, v1
                                        ; implicit-def: $vgpr15
	s_nop 0
	v_cndmask_b32_e64 v14, 0, 1, vcc
	v_cmp_ne_u32_e32 vcc, v5, v12
	v_or_b32_sdwa v1, v14, v1 dst_sel:WORD_1 dst_unused:UNUSED_PAD src0_sel:DWORD src1_sel:DWORD
	s_nop 0
	v_cndmask_b32_e64 v107, 0, 1, vcc
	v_cmp_ne_u32_e32 vcc, v9, v10
	v_or_b32_sdwa v81, v13, v1 dst_sel:DWORD dst_unused:UNUSED_PAD src0_sel:WORD_0 src1_sel:DWORD
	s_nop 0
	v_cndmask_b32_e64 v1, 0, 1, vcc
	v_cmp_ne_u32_e32 vcc, v8, v9
	v_lshlrev_b16_e32 v1, 8, v1
	s_nop 0
	v_cndmask_b32_e64 v9, 0, 1, vcc
	v_cmp_ne_u32_e32 vcc, v11, v5
	v_or_b32_e32 v1, v9, v1
	s_nop 0
	v_cndmask_b32_e64 v5, 0, 1, vcc
	v_cmp_ne_u32_e32 vcc, v10, v11
	v_lshlrev_b16_e32 v5, 8, v5
                                        ; implicit-def: $vgpr11
	s_nop 0
	v_cndmask_b32_e64 v9, 0, 1, vcc
	v_cmp_ne_u32_e32 vcc, v4, v8
	v_or_b32_sdwa v5, v9, v5 dst_sel:WORD_1 dst_unused:UNUSED_PAD src0_sel:DWORD src1_sel:DWORD
	s_nop 0
	v_cndmask_b32_e64 v106, 0, 1, vcc
	v_cmp_ne_u32_e32 vcc, v7, v2
	v_or_b32_sdwa v80, v1, v5 dst_sel:DWORD dst_unused:UNUSED_PAD src0_sel:WORD_0 src1_sel:DWORD
	s_nop 0
	v_cndmask_b32_e64 v1, 0, 1, vcc
	v_cmp_ne_u32_e32 vcc, v6, v7
	v_lshlrev_b16_e32 v1, 8, v1
	s_nop 0
	v_cndmask_b32_e64 v5, 0, 1, vcc
	v_cmp_ne_u32_e32 vcc, v3, v4
	v_or_b32_e32 v1, v5, v1
	s_nop 0
	v_cndmask_b32_e64 v4, 0, 1, vcc
	v_cmp_ne_u32_e32 vcc, v2, v3
	v_lshlrev_b16_e32 v4, 8, v4
	s_nop 0
	v_cndmask_b32_e64 v2, 0, 1, vcc
	v_or_b32_sdwa v2, v2, v4 dst_sel:WORD_1 dst_unused:UNUSED_PAD src0_sel:DWORD src1_sel:DWORD
	s_waitcnt vmcnt(0)
	v_cmp_ne_u32_e32 vcc, v22, v6
	v_or_b32_sdwa v1, v1, v2 dst_sel:DWORD dst_unused:UNUSED_PAD src0_sel:WORD_0 src1_sel:DWORD
	v_lshl_add_u32 v2, v0, 2, v23
	v_mad_u32_u24 v7, v0, s8, v2
	s_waitcnt lgkmcnt(0)
	ds_write2st64_b64 v2, v[28:29], v[30:31] offset1:4
	ds_write2st64_b64 v2, v[32:33], v[34:35] offset0:8 offset1:12
	ds_write2st64_b64 v2, v[38:39], v[40:41] offset0:16 offset1:20
	;; [unrolled: 1-line block ×9, first 2 shown]
	ds_write_b64 v2, v[24:25] offset:40960
	s_waitcnt lgkmcnt(0)
	s_barrier
	ds_read2_b64 v[2:5], v7 offset1:1
	ds_read2_b64 v[76:79], v7 offset0:2 offset1:3
	ds_read2_b64 v[72:75], v7 offset0:4 offset1:5
	;; [unrolled: 1-line block ×9, first 2 shown]
	ds_read_b64 v[28:29], v7 offset:160
	v_cndmask_b32_e64 v104, 0, 1, vcc
	s_mov_b64 s[8:9], -1
                                        ; kill: def $vgpr6 killed $sgpr0 killed $exec
                                        ; implicit-def: $vgpr47
                                        ; implicit-def: $vgpr43
                                        ; implicit-def: $vgpr39
                                        ; implicit-def: $vgpr31
                                        ; implicit-def: $vgpr23
                                        ; implicit-def: $vgpr7
.LBB1964_143:
	s_mov_b64 s[94:95], s[62:63]
	v_mov_b32_e32 v25, s64
	v_mov_b32_e32 v33, s64
	;; [unrolled: 1-line block ×3, first 2 shown]
	s_and_saveexec_b64 s[10:11], s[8:9]
	s_cbranch_execz .LBB1964_145
; %bb.144:
	v_cndmask_b32_e64 v40, 0, 1, s[6:7]
	s_waitcnt lgkmcnt(0)
	v_mov_b32_e32 v6, v4
	v_mov_b32_e32 v7, v5
	;; [unrolled: 1-line block ×42, first 2 shown]
.LBB1964_145:
	s_or_b64 exec, exec, s[10:11]
	s_waitcnt lgkmcnt(1)
	v_and_b32_e32 v37, 1, v106
	v_and_b32_e32 v41, 1, v107
	;; [unrolled: 1-line block ×4, first 2 shown]
	s_cmp_lg_u32 s99, 0
	v_lshrrev_b32_e32 v133, 8, v123
	v_lshrrev_b32_e32 v132, 8, v116
	;; [unrolled: 1-line block ×4, first 2 shown]
	v_cmp_eq_u32_e32 vcc, 1, v37
	v_cmp_eq_u32_e64 s[48:49], 1, v41
	v_cmp_eq_u32_e64 s[50:51], 1, v128
	;; [unrolled: 1-line block ×3, first 2 shown]
	s_waitcnt lgkmcnt(0)
	v_mbcnt_lo_u32_b32 v29, -1, 0
	s_barrier
	s_cbranch_scc0 .LBB1964_220
; %bb.146:
	v_mov_b32_e32 v1, 0
	v_cmp_eq_u16_sdwa s[6:7], v123, v1 src0_sel:BYTE_0 src1_sel:DWORD
	s_movk_i32 s42, 0xff
	v_cmp_eq_u16_sdwa s[8:9], v133, v1 src0_sel:BYTE_0 src1_sel:DWORD
	v_cndmask_b32_e64 v4, 0, v2, s[6:7]
	v_add_u32_e32 v4, v4, v6
	v_cndmask_b32_e64 v5, 0, v3, s[6:7]
	v_add_u32_e32 v5, v5, v7
	v_cndmask_b32_e64 v4, 0, v4, s[8:9]
	v_and_b32_sdwa v8, v123, s42 dst_sel:DWORD dst_unused:UNUSED_PAD src0_sel:WORD_1 src1_sel:DWORD
	v_add_u32_e32 v4, v4, v127
	v_cndmask_b32_e64 v5, 0, v5, s[8:9]
	v_cmp_eq_u16_e64 s[10:11], 0, v8
	v_add_u32_e32 v5, v5, v126
	v_cmp_eq_u16_sdwa s[12:13], v123, v1 src0_sel:BYTE_3 src1_sel:DWORD
	v_cndmask_b32_e64 v4, 0, v4, s[10:11]
	v_add_u32_e32 v4, v4, v10
	v_cndmask_b32_e64 v5, 0, v5, s[10:11]
	v_add_u32_e32 v5, v5, v11
	v_cndmask_b32_e64 v4, 0, v4, s[12:13]
	v_add_u32_e32 v4, v4, v125
	v_cndmask_b32_e64 v5, 0, v5, s[12:13]
	v_cmp_eq_u16_sdwa s[14:15], v106, v1 src0_sel:BYTE_0 src1_sel:DWORD
	v_add_u32_e32 v5, v5, v124
	v_cmp_eq_u16_sdwa s[16:17], v116, v1 src0_sel:BYTE_0 src1_sel:DWORD
	v_cndmask_b32_e64 v4, 0, v4, s[14:15]
	v_add_u32_e32 v4, v4, v14
	v_cndmask_b32_e64 v5, 0, v5, s[14:15]
	v_add_u32_e32 v5, v5, v15
	v_cndmask_b32_e64 v4, 0, v4, s[16:17]
	v_add_u32_e32 v4, v4, v122
	v_cndmask_b32_e64 v5, 0, v5, s[16:17]
	v_cmp_eq_u16_sdwa s[18:19], v132, v1 src0_sel:BYTE_0 src1_sel:DWORD
	v_add_u32_e32 v5, v5, v121
	v_and_b32_sdwa v8, v116, s42 dst_sel:DWORD dst_unused:UNUSED_PAD src0_sel:WORD_1 src1_sel:DWORD
	v_cndmask_b32_e64 v4, 0, v4, s[18:19]
	v_add_u32_e32 v4, v4, v18
	v_cndmask_b32_e64 v5, 0, v5, s[18:19]
	v_cmp_eq_u16_e64 s[20:21], 0, v8
	v_add_u32_e32 v5, v5, v19
	v_cmp_eq_u16_sdwa s[22:23], v116, v1 src0_sel:BYTE_3 src1_sel:DWORD
	v_cndmask_b32_e64 v4, 0, v4, s[20:21]
	v_add_u32_e32 v4, v4, v120
	v_cndmask_b32_e64 v5, 0, v5, s[20:21]
	v_add_u32_e32 v5, v5, v119
	v_cndmask_b32_e64 v4, 0, v4, s[22:23]
	v_add_u32_e32 v4, v4, v22
	v_cndmask_b32_e64 v5, 0, v5, s[22:23]
	v_cmp_eq_u16_sdwa s[24:25], v107, v1 src0_sel:BYTE_0 src1_sel:DWORD
	v_add_u32_e32 v5, v5, v23
	v_cmp_eq_u16_sdwa s[26:27], v111, v1 src0_sel:BYTE_0 src1_sel:DWORD
	v_cndmask_b32_e64 v4, 0, v4, s[24:25]
	v_add_u32_e32 v4, v4, v118
	v_cndmask_b32_e64 v5, 0, v5, s[24:25]
	v_add_u32_e32 v5, v5, v117
	v_cndmask_b32_e64 v4, 0, v4, s[26:27]
	v_add_u32_e32 v4, v4, v30
	v_cndmask_b32_e64 v5, 0, v5, s[26:27]
	v_cmp_eq_u16_sdwa s[28:29], v131, v1 src0_sel:BYTE_0 src1_sel:DWORD
	v_add_u32_e32 v5, v5, v31
	v_and_b32_sdwa v8, v111, s42 dst_sel:DWORD dst_unused:UNUSED_PAD src0_sel:WORD_1 src1_sel:DWORD
	v_cndmask_b32_e64 v4, 0, v4, s[28:29]
	;; [unrolled: 26-line block ×3, first 2 shown]
	v_add_u32_e32 v4, v4, v46
	v_cndmask_b32_e64 v5, 0, v5, s[40:41]
	v_cmp_eq_u16_e64 s[42:43], 0, v8
	v_add_u32_e32 v5, v5, v47
	v_cmp_eq_u16_sdwa s[44:45], v108, v1 src0_sel:BYTE_3 src1_sel:DWORD
	v_cndmask_b32_e64 v4, 0, v4, s[42:43]
	v_add_u32_e32 v4, v4, v34
	v_cndmask_b32_e64 v5, 0, v5, s[42:43]
	v_add_u32_e32 v5, v5, v35
	;; [unrolled: 2-line block ×3, first 2 shown]
	v_cndmask_b32_e64 v5, 0, v5, s[44:45]
	v_cmp_eq_u16_sdwa s[46:47], v40, v1 src0_sel:BYTE_0 src1_sel:DWORD
	v_add_u32_e32 v5, v5, v27
	v_mbcnt_hi_u32_b32 v13, -1, v29
	v_cndmask_b32_e64 v1, 0, v4, s[46:47]
	v_add_u32_e32 v8, v1, v25
	v_cndmask_b32_e64 v1, 0, v5, s[46:47]
	v_and_b32_e32 v5, 1, v123
	v_cmp_eq_u32_e64 s[56:57], 1, v5
	v_and_b32_e32 v5, 0x100, v123
	v_cmp_ne_u32_e64 s[58:59], 0, v5
	v_and_b32_e32 v5, 0x10000, v123
	v_cmp_ne_u32_e64 s[60:61], 0, v5
	v_and_b32_e32 v5, 0x1000000, v123
	v_cmp_ne_u32_e64 s[62:63], 0, v5
	v_and_b32_e32 v5, 1, v116
	v_cmp_eq_u32_e64 s[64:65], 1, v5
	v_and_b32_e32 v5, 0x100, v116
	v_cmp_ne_u32_e64 s[66:67], 0, v5
	v_and_b32_e32 v5, 0x10000, v116
	v_cmp_ne_u32_e64 s[68:69], 0, v5
	v_and_b32_e32 v5, 0x1000000, v116
	v_cmp_ne_u32_e64 s[70:71], 0, v5
	;; [unrolled: 8-line block ×3, first 2 shown]
	v_and_b32_e32 v5, 1, v108
	v_and_b32_e32 v4, 0x1000000, v108
	v_cmp_eq_u32_e64 s[80:81], 1, v5
	v_and_b32_e32 v5, 0x100, v108
	v_cmp_ne_u32_e64 s[54:55], 0, v4
	v_cmp_ne_u32_e64 s[82:83], 0, v5
	v_and_b32_e32 v5, 0x10000, v108
	v_cmp_ne_u32_e64 s[84:85], 0, v5
	s_or_b64 s[52:53], s[52:53], s[54:55]
	s_or_b64 s[52:53], s[52:53], s[84:85]
	;; [unrolled: 1-line block ×14, first 2 shown]
	s_or_b64 s[48:49], s[48:49], vcc
	s_or_b64 s[48:49], s[48:49], s[62:63]
	s_or_b64 s[48:49], s[48:49], s[60:61]
	;; [unrolled: 1-line block ×3, first 2 shown]
	v_and_b32_e32 v4, 0xff, v104
	s_or_b64 s[48:49], s[48:49], s[56:57]
	v_add_u32_e32 v1, v1, v33
	v_cndmask_b32_e64 v9, v4, 1, s[48:49]
	v_and_b32_e32 v4, 15, v13
	v_mov_b32_dpp v5, v8 row_shr:1 row_mask:0xf bank_mask:0xf
	v_mov_b32_dpp v12, v1 row_shr:1 row_mask:0xf bank_mask:0xf
	;; [unrolled: 1-line block ×3, first 2 shown]
	v_cmp_ne_u32_e32 vcc, 0, v4
	s_and_saveexec_b64 s[48:49], vcc
; %bb.147:
	v_cmp_eq_u32_e32 vcc, 0, v9
	v_and_or_b32 v9, v16, 1, v9
	s_nop 0
	v_cndmask_b32_e32 v5, 0, v5, vcc
	v_add_u32_e32 v8, v5, v8
	v_cndmask_b32_e32 v5, 0, v12, vcc
	v_add_u32_e32 v1, v5, v1
; %bb.148:
	s_or_b64 exec, exec, s[48:49]
	v_mov_b32_dpp v12, v8 row_shr:2 row_mask:0xf bank_mask:0xf
	v_mov_b32_dpp v16, v1 row_shr:2 row_mask:0xf bank_mask:0xf
	;; [unrolled: 1-line block ×3, first 2 shown]
	v_cmp_lt_u32_e32 vcc, 1, v4
	s_and_saveexec_b64 s[48:49], vcc
; %bb.149:
	v_add_u32_e32 v12, v12, v8
	v_add_u32_e32 v16, v16, v1
	v_cmp_eq_u32_e32 vcc, 0, v9
	v_or_b32_e32 v5, v5, v9
	v_and_b32_e32 v9, 1, v5
	v_cndmask_b32_e32 v8, v8, v12, vcc
	v_cndmask_b32_e32 v1, v1, v16, vcc
; %bb.150:
	s_or_b64 exec, exec, s[48:49]
	v_mov_b32_dpp v12, v8 row_shr:4 row_mask:0xf bank_mask:0xf
	v_mov_b32_dpp v16, v1 row_shr:4 row_mask:0xf bank_mask:0xf
	;; [unrolled: 1-line block ×3, first 2 shown]
	v_cmp_lt_u32_e32 vcc, 3, v4
	s_and_saveexec_b64 s[48:49], vcc
	s_mov_b64 s[66:67], s[94:95]
; %bb.151:
	v_add_u32_e32 v12, v12, v8
	v_add_u32_e32 v16, v16, v1
	v_cmp_eq_u32_e32 vcc, 0, v9
	v_or_b32_e32 v5, v5, v9
	v_and_b32_e32 v9, 1, v5
	v_cndmask_b32_e32 v8, v8, v12, vcc
	v_cndmask_b32_e32 v1, v1, v16, vcc
; %bb.152:
	s_or_b64 exec, exec, s[48:49]
	v_mov_b32_dpp v12, v8 row_shr:8 row_mask:0xf bank_mask:0xf
	v_mov_b32_dpp v16, v1 row_shr:8 row_mask:0xf bank_mask:0xf
	v_mov_b32_dpp v5, v9 row_shr:8 row_mask:0xf bank_mask:0xf
	v_cmp_lt_u32_e32 vcc, 7, v4
	s_and_saveexec_b64 s[48:49], vcc
; %bb.153:
	v_add_u32_e32 v4, v12, v8
	v_cmp_eq_u32_e32 vcc, 0, v9
	v_add_u32_e32 v12, v16, v1
	s_nop 0
	v_cndmask_b32_e32 v8, v8, v4, vcc
	v_or_b32_e32 v4, v5, v9
	v_cndmask_b32_e32 v1, v1, v12, vcc
	v_and_b32_e32 v9, 1, v4
; %bb.154:
	s_or_b64 exec, exec, s[48:49]
	v_and_b32_e32 v16, 16, v13
	v_mov_b32_dpp v5, v8 row_bcast:15 row_mask:0xf bank_mask:0xf
	v_mov_b32_dpp v12, v1 row_bcast:15 row_mask:0xf bank_mask:0xf
	;; [unrolled: 1-line block ×3, first 2 shown]
	v_cmp_ne_u32_e32 vcc, 0, v16
	s_and_saveexec_b64 s[48:49], vcc
; %bb.155:
	v_add_u32_e32 v5, v5, v8
	v_add_u32_e32 v12, v12, v1
	v_cmp_eq_u32_e32 vcc, 0, v9
	v_or_b32_e32 v4, v4, v9
	v_and_b32_e32 v9, 1, v4
	v_cndmask_b32_e32 v8, v8, v5, vcc
	v_cndmask_b32_e32 v1, v1, v12, vcc
; %bb.156:
	s_or_b64 exec, exec, s[48:49]
	v_mov_b32_dpp v12, v8 row_bcast:31 row_mask:0xf bank_mask:0xf
	v_mov_b32_dpp v16, v1 row_bcast:31 row_mask:0xf bank_mask:0xf
	v_mov_b32_dpp v5, v9 row_bcast:31 row_mask:0xf bank_mask:0xf
	v_cmp_lt_u32_e32 vcc, 31, v13
	v_mov_b32_e32 v4, v9
	s_and_saveexec_b64 s[48:49], vcc
; %bb.157:
	v_add_u32_e32 v4, v12, v8
	v_add_u32_e32 v12, v16, v1
	v_cmp_eq_u32_e32 vcc, 0, v9
	v_or_b32_e32 v5, v5, v9
	v_and_b32_e32 v9, 1, v5
	v_cndmask_b32_e32 v8, v8, v4, vcc
	v_cndmask_b32_e32 v1, v1, v12, vcc
	v_and_b32_e32 v4, 1, v5
; %bb.158:
	s_or_b64 exec, exec, s[48:49]
	v_or_b32_e32 v5, 63, v0
	v_lshrrev_b32_e32 v12, 6, v0
	v_cmp_eq_u32_e32 vcc, v5, v0
	s_and_saveexec_b64 s[48:49], vcc
	s_cbranch_execz .LBB1964_160
; %bb.159:
	v_mul_u32_u24_e32 v5, 12, v12
	ds_write2_b32 v5, v8, v1 offset1:1
	ds_write_b8 v5, v4 offset:8
.LBB1964_160:
	s_or_b64 exec, exec, s[48:49]
	v_cmp_gt_u32_e32 vcc, 4, v0
	s_waitcnt lgkmcnt(0)
	s_barrier
	s_and_saveexec_b64 s[48:49], vcc
	s_cbranch_execz .LBB1964_166
; %bb.161:
	v_mul_u32_u24_e32 v16, 12, v0
	ds_read2_b32 v[4:5], v16 offset1:1
	ds_read_b32 v17, v16 offset:8
	v_and_b32_e32 v20, 3, v13
	v_cmp_ne_u32_e32 vcc, 0, v20
	s_waitcnt lgkmcnt(1)
	v_mov_b32_dpp v32, v4 row_shr:1 row_mask:0xf bank_mask:0xf
	v_mov_b32_dpp v24, v5 row_shr:1 row_mask:0xf bank_mask:0xf
	s_waitcnt lgkmcnt(0)
	v_mov_b32_dpp v28, v17 row_shr:1 row_mask:0xf bank_mask:0xf
	v_mov_b32_e32 v21, v17
	s_and_saveexec_b64 s[50:51], vcc
; %bb.162:
	v_mov_b32_e32 v21, 0
	v_cmp_eq_u16_sdwa vcc, v17, v21 src0_sel:BYTE_0 src1_sel:DWORD
	s_movk_i32 s52, 0xff00
	s_nop 0
	v_cndmask_b32_e32 v21, 0, v32, vcc
	v_add_u32_e32 v4, v21, v4
	v_cndmask_b32_e32 v21, 0, v24, vcc
	v_add_u32_e32 v5, v21, v5
	v_or_b32_e32 v21, v28, v17
	v_and_b32_e32 v21, 1, v21
	v_and_or_b32 v17, v17, s52, v21
; %bb.163:
	s_or_b64 exec, exec, s[50:51]
	v_mov_b32_dpp v28, v4 row_shr:2 row_mask:0xf bank_mask:0xf
	v_mov_b32_dpp v32, v5 row_shr:2 row_mask:0xf bank_mask:0xf
	;; [unrolled: 1-line block ×3, first 2 shown]
	v_cmp_lt_u32_e32 vcc, 1, v20
	s_and_saveexec_b64 s[50:51], vcc
; %bb.164:
	v_mov_b32_e32 v17, 0
	v_add_u32_e32 v20, v28, v4
	v_add_u32_e32 v28, v32, v5
	v_cmp_eq_u16_sdwa vcc, v21, v17 src0_sel:BYTE_0 src1_sel:DWORD
	v_or_b32_e32 v17, v24, v21
	v_and_b32_e32 v17, 1, v17
	v_cndmask_b32_e32 v4, v4, v20, vcc
	v_cndmask_b32_e32 v5, v5, v28, vcc
; %bb.165:
	s_or_b64 exec, exec, s[50:51]
	ds_write2_b32 v16, v4, v5 offset1:1
	ds_write_b8 v16, v17 offset:8
.LBB1964_166:
	s_or_b64 exec, exec, s[48:49]
	v_cmp_gt_u32_e32 vcc, 64, v0
	v_cmp_lt_u32_e64 s[48:49], 63, v0
	s_waitcnt lgkmcnt(0)
	s_barrier
	s_waitcnt lgkmcnt(0)
                                        ; implicit-def: $vgpr4_vgpr5
                                        ; implicit-def: $vgpr44
	s_and_saveexec_b64 s[50:51], s[48:49]
	s_xor_b64 s[50:51], exec, s[50:51]
	s_cbranch_execz .LBB1964_170
; %bb.167:
	v_mad_u32_u24 v12, v12, 12, -12
	ds_read2_b32 v[4:5], v12 offset1:1
	ds_read_u8 v44, v12 offset:8
	v_cmp_ne_u32_e64 s[48:49], 0, v9
                                        ; kill: def $vgpr12 killed $sgpr0 killed $exec
	s_and_saveexec_b64 s[52:53], s[48:49]
	s_xor_b64 s[48:49], exec, s[52:53]
	s_andn2_saveexec_b64 s[48:49], s[48:49]
	s_cbranch_execz .LBB1964_169
; %bb.168:
	s_waitcnt lgkmcnt(1)
	v_add_u32_e32 v8, v4, v8
	v_add_u32_e32 v1, v5, v1
.LBB1964_169:
	s_or_b64 exec, exec, s[48:49]
	v_and_b32_e32 v9, 1, v9
	s_waitcnt lgkmcnt(0)
	v_and_b32_e32 v12, 0xff, v44
	v_cmp_eq_u32_e64 s[48:49], 1, v9
	s_nop 1
	v_cndmask_b32_e64 v9, v12, 1, s[48:49]
.LBB1964_170:
	s_andn2_saveexec_b64 s[48:49], s[50:51]
; %bb.171:
	v_mov_b32_e32 v44, 0
	v_mov_b64_e32 v[4:5], 0
; %bb.172:
	s_or_b64 exec, exec, s[48:49]
	v_add_u32_e32 v12, -1, v13
	v_and_b32_e32 v16, 64, v13
	v_cmp_lt_i32_e64 s[48:49], v12, v16
	s_nop 1
	v_cndmask_b32_e64 v12, v12, v13, s[48:49]
	v_lshlrev_b32_e32 v12, 2, v12
	ds_bpermute_b32 v45, v12, v8
	ds_bpermute_b32 v53, v12, v1
	;; [unrolled: 1-line block ×3, first 2 shown]
	v_cmp_eq_u32_e64 s[48:49], 0, v13
	s_and_saveexec_b64 s[52:53], vcc
	s_cbranch_execz .LBB1964_217
; %bb.173:
	v_mov_b32_e32 v17, 0
	ds_read2_b32 v[8:9], v17 offset0:9 offset1:10
	ds_read_b32 v54, v17 offset:44
	s_waitcnt lgkmcnt(1)
	v_readfirstlane_b32 s56, v9
	s_and_saveexec_b64 s[50:51], s[48:49]
	s_cbranch_execz .LBB1964_175
; %bb.174:
	s_add_i32 s54, s99, 64
	s_mov_b32 s55, 0
	s_lshl_b64 s[58:59], s[54:55], 4
	s_add_u32 s58, s96, s58
	s_waitcnt lgkmcnt(0)
	v_and_b32_e32 v12, 0xff00, v54
	s_addc_u32 s59, s97, s59
	v_and_b32_e32 v9, 0xff0000, v54
	v_or_b32_sdwa v12, v12, v54 dst_sel:DWORD dst_unused:UNUSED_PAD src0_sel:DWORD src1_sel:BYTE_0
	s_and_b32 s61, s56, 0xff000000
	s_mov_b32 s60, s55
	s_and_b32 s63, s56, 0xff0000
	s_mov_b32 s62, s55
	v_and_b32_e32 v1, 0xff000000, v54
	v_or_b32_e32 v9, v12, v9
	s_and_b32 s65, s56, 0xff00
	s_mov_b32 s64, s55
	s_and_b32 s57, s56, 0xff
	s_or_b64 s[54:55], s[60:61], s[62:63]
	v_or_b32_e32 v50, v9, v1
	s_or_b64 s[54:55], s[54:55], s[64:65]
	v_mov_b32_e32 v1, s57
	v_or_b32_e32 v48, s54, v8
	v_or_b32_e32 v49, s55, v1
	v_mov_b32_e32 v51, 1
	v_mov_b64_e32 v[20:21], s[58:59]
	;;#ASMSTART
	global_store_dwordx4 v[20:21], v[48:51] off sc1	
s_waitcnt vmcnt(0)
	;;#ASMEND
.LBB1964_175:
	s_or_b64 exec, exec, s[50:51]
	v_xad_u32 v12, v13, -1, s99
	v_add_u32_e32 v16, 64, v12
	v_lshl_add_u64 v[20:21], v[16:17], 4, s[96:97]
	;;#ASMSTART
	global_load_dwordx4 v[48:51], v[20:21] off sc1	
s_waitcnt vmcnt(0)
	;;#ASMEND
	s_nop 0
	v_lshlrev_b64 v[56:57], 24, v[50:51]
	v_lshrrev_b32_e32 v1, 8, v49
	v_or_b32_e32 v24, v1, v56
	v_lshlrev_b64 v[56:57], 16, v[50:51]
	v_or_b32_sdwa v28, v49, v56 dst_sel:DWORD dst_unused:UNUSED_PAD src0_sel:WORD_1 src1_sel:DWORD
	v_lshlrev_b64 v[56:57], 8, v[50:51]
	v_alignbit_b32 v9, v49, v48, 8
	v_alignbit_b32 v55, v49, v48, 16
	;; [unrolled: 1-line block ×3, first 2 shown]
	v_mov_b32_e32 v16, v49
	v_or_b32_sdwa v32, v49, v56 dst_sel:DWORD dst_unused:UNUSED_PAD src0_sel:BYTE_3 src1_sel:DWORD
	v_cmp_eq_u16_sdwa s[54:55], v51, v17 src0_sel:BYTE_0 src1_sel:DWORD
	s_and_saveexec_b64 s[50:51], s[54:55]
	s_cbranch_execz .LBB1964_181
; %bb.176:
	s_mov_b32 s57, 1
	s_mov_b64 s[54:55], 0
	v_mov_b32_e32 v1, 0
.LBB1964_177:                           ; =>This Loop Header: Depth=1
                                        ;     Child Loop BB1964_178 Depth 2
	s_max_u32 s58, s57, 1
.LBB1964_178:                           ;   Parent Loop BB1964_177 Depth=1
                                        ; =>  This Inner Loop Header: Depth=2
	s_add_i32 s58, s58, -1
	s_cmp_eq_u32 s58, 0
	s_sleep 1
	s_cbranch_scc0 .LBB1964_178
; %bb.179:                              ;   in Loop: Header=BB1964_177 Depth=1
	s_cmp_lt_u32 s57, 32
	s_cselect_b64 s[58:59], -1, 0
	s_cmp_lg_u64 s[58:59], 0
	s_addc_u32 s57, s57, 0
	;;#ASMSTART
	global_load_dwordx4 v[48:51], v[20:21] off sc1	
s_waitcnt vmcnt(0)
	;;#ASMEND
	s_nop 0
	v_cmp_ne_u16_sdwa s[58:59], v51, v1 src0_sel:BYTE_0 src1_sel:DWORD
	s_or_b64 s[54:55], s[58:59], s[54:55]
	s_andn2_b64 exec, exec, s[54:55]
	s_cbranch_execnz .LBB1964_177
; %bb.180:
	s_or_b64 exec, exec, s[54:55]
	v_lshlrev_b64 v[20:21], 24, v[50:51]
	v_lshrrev_b32_e32 v1, 8, v49
	v_or_b32_e32 v24, v1, v20
	v_lshlrev_b64 v[20:21], 16, v[50:51]
	v_or_b32_sdwa v28, v49, v20 dst_sel:DWORD dst_unused:UNUSED_PAD src0_sel:WORD_1 src1_sel:DWORD
	v_lshlrev_b64 v[20:21], 8, v[50:51]
	v_alignbit_b32 v9, v49, v48, 8
	v_alignbit_b32 v55, v49, v48, 16
	v_alignbit_b32 v36, v49, v48, 24
	v_mov_b32_e32 v16, v49
	v_or_b32_sdwa v32, v49, v20 dst_sel:DWORD dst_unused:UNUSED_PAD src0_sel:BYTE_3 src1_sel:DWORD
.LBB1964_181:
	s_or_b64 exec, exec, s[50:51]
	v_lshlrev_b32_e32 v17, 16, v28
	v_lshlrev_b32_e32 v1, 24, v32
	v_and_b32_e32 v17, 0xff0000, v17
	v_or_b32_e32 v1, v17, v1
	v_lshlrev_b32_e32 v17, 8, v24
	v_and_b32_e32 v17, 0xff00, v17
	v_and_b32_e32 v16, 0xff, v16
	v_or3_b32 v1, v1, v17, v16
	v_lshlrev_b32_e32 v16, 16, v55
	s_mov_b32 s50, 0x4020c0c
	v_lshlrev_b32_e32 v9, 8, v9
	v_perm_b32 v16, v36, v16, s50
	s_mov_b32 s50, 0xc0c0500
	v_perm_b32 v9, v9, v48, s50
	v_or_b32_e32 v20, v9, v16
	v_mov_b32_e32 v9, 2
	v_cmp_eq_u16_sdwa s[50:51], v51, v9 src0_sel:BYTE_0 src1_sel:DWORD
	v_lshlrev_b64 v[16:17], v13, -1
	v_and_b32_e32 v24, 0xff, v50
	v_and_b32_e32 v9, s51, v17
	v_or_b32_e32 v9, 0x80000000, v9
	v_ffbl_b32_e32 v48, v9
	v_and_b32_e32 v9, 63, v13
	v_cmp_ne_u32_e32 vcc, 63, v9
	v_and_b32_e32 v21, s50, v16
	v_add_u32_e32 v48, 32, v48
	v_addc_co_u32_e32 v28, vcc, 0, v13, vcc
	v_lshlrev_b32_e32 v55, 2, v28
	ds_bpermute_b32 v36, v55, v20
	ds_bpermute_b32 v32, v55, v1
	;; [unrolled: 1-line block ×3, first 2 shown]
	v_ffbl_b32_e32 v21, v21
	v_min_u32_e32 v21, v21, v48
	v_cmp_lt_u32_e32 vcc, v9, v21
	s_and_saveexec_b64 s[50:51], vcc
	s_cbranch_execz .LBB1964_183
; %bb.182:
	v_mov_b32_e32 v24, 0
	v_cmp_eq_u16_sdwa vcc, v50, v24 src0_sel:BYTE_0 src1_sel:DWORD
	s_waitcnt lgkmcnt(2)
	s_nop 0
	v_cndmask_b32_e32 v24, 0, v36, vcc
	v_add_u32_e32 v20, v24, v20
	s_waitcnt lgkmcnt(1)
	v_cndmask_b32_e32 v24, 0, v32, vcc
	v_add_u32_e32 v1, v24, v1
	s_waitcnt lgkmcnt(0)
	v_or_b32_e32 v24, v50, v28
	v_and_b32_e32 v50, 1, v24
	v_and_b32_e32 v24, 0xffff, v50
.LBB1964_183:
	s_or_b64 exec, exec, s[50:51]
	v_cmp_gt_u32_e32 vcc, 62, v9
	v_add_u32_e32 v57, 2, v9
	s_waitcnt lgkmcnt(0)
	v_cndmask_b32_e64 v28, 0, 1, vcc
	v_lshlrev_b32_e32 v28, 1, v28
	v_add_lshl_u32 v56, v28, v13, 2
	ds_bpermute_b32 v32, v56, v20
	ds_bpermute_b32 v36, v56, v1
	ds_bpermute_b32 v28, v56, v24
	v_cmp_le_u32_e32 vcc, v57, v21
	s_and_saveexec_b64 s[50:51], vcc
	s_cbranch_execz .LBB1964_185
; %bb.184:
	v_mov_b32_e32 v24, 0
	v_cmp_eq_u16_sdwa vcc, v50, v24 src0_sel:BYTE_0 src1_sel:DWORD
	s_waitcnt lgkmcnt(0)
	v_or_b32_e32 v24, v28, v50
	v_add_u32_e32 v32, v32, v20
	v_add_u32_e32 v36, v36, v1
	v_and_b32_e32 v24, 1, v24
	v_cndmask_b32_e32 v20, v20, v32, vcc
	v_cndmask_b32_e32 v1, v1, v36, vcc
	v_mov_b32_e32 v50, v24
.LBB1964_185:
	s_or_b64 exec, exec, s[50:51]
	v_cmp_gt_u32_e32 vcc, 60, v9
	v_add_u32_e32 v59, 4, v9
	s_waitcnt lgkmcnt(0)
	v_cndmask_b32_e64 v28, 0, 1, vcc
	v_lshlrev_b32_e32 v28, 2, v28
	v_add_lshl_u32 v58, v28, v13, 2
	ds_bpermute_b32 v32, v58, v20
	ds_bpermute_b32 v36, v58, v1
	ds_bpermute_b32 v28, v58, v24
	v_cmp_le_u32_e32 vcc, v59, v21
	s_and_saveexec_b64 s[50:51], vcc
	s_cbranch_execz .LBB1964_187
; %bb.186:
	v_mov_b32_e32 v24, 0
	v_cmp_eq_u16_sdwa vcc, v50, v24 src0_sel:BYTE_0 src1_sel:DWORD
	s_waitcnt lgkmcnt(0)
	v_or_b32_e32 v24, v28, v50
	v_add_u32_e32 v32, v32, v20
	v_add_u32_e32 v36, v36, v1
	v_and_b32_e32 v24, 1, v24
	v_cndmask_b32_e32 v20, v20, v32, vcc
	v_cndmask_b32_e32 v1, v1, v36, vcc
	v_mov_b32_e32 v50, v24
.LBB1964_187:
	;; [unrolled: 25-line block ×4, first 2 shown]
	s_or_b64 exec, exec, s[50:51]
	v_cmp_gt_u32_e32 vcc, 32, v9
	v_add_u32_e32 v68, 32, v9
	s_waitcnt lgkmcnt(0)
	v_cndmask_b32_e64 v28, 0, 1, vcc
	v_lshlrev_b32_e32 v28, 5, v28
	v_add_lshl_u32 v66, v28, v13, 2
	ds_bpermute_b32 v28, v66, v20
	ds_bpermute_b32 v32, v66, v1
	;; [unrolled: 1-line block ×3, first 2 shown]
	v_cmp_le_u32_e32 vcc, v68, v21
	s_and_saveexec_b64 s[50:51], vcc
	s_cbranch_execz .LBB1964_193
; %bb.192:
	v_mov_b32_e32 v21, 0
	s_waitcnt lgkmcnt(2)
	v_add_u32_e32 v24, v28, v20
	s_waitcnt lgkmcnt(1)
	v_add_u32_e32 v28, v32, v1
	v_cmp_eq_u16_sdwa vcc, v50, v21 src0_sel:BYTE_0 src1_sel:DWORD
	s_waitcnt lgkmcnt(0)
	v_or_b32_e32 v13, v13, v50
	v_cndmask_b32_e32 v20, v20, v24, vcc
	v_cndmask_b32_e32 v1, v1, v28, vcc
	v_and_b32_e32 v24, 1, v13
.LBB1964_193:
	s_or_b64 exec, exec, s[50:51]
	s_movk_i32 s57, 0xff
	s_waitcnt lgkmcnt(0)
	v_mov_b32_e32 v13, 0
	s_mov_b32 s58, 0x4020c0c
	s_mov_b32 s59, 0xc0c0500
	v_mov_b32_e32 v69, 2
	s_branch .LBB1964_195
.LBB1964_194:                           ;   in Loop: Header=BB1964_195 Depth=1
	s_or_b64 exec, exec, s[50:51]
	s_waitcnt lgkmcnt(0)
	ds_bpermute_b32 v28, v66, v20
	ds_bpermute_b32 v32, v66, v1
	;; [unrolled: 1-line block ×3, first 2 shown]
	v_cmp_eq_u16_sdwa vcc, v50, v13 src0_sel:BYTE_0 src1_sel:DWORD
	v_subrev_u32_e32 v12, 64, v12
	s_waitcnt lgkmcnt(2)
	v_add_u32_e32 v28, v28, v20
	s_waitcnt lgkmcnt(1)
	v_add_u32_e32 v32, v32, v1
	v_cndmask_b32_e32 v28, v20, v28, vcc
	v_cndmask_b32_e32 v32, v1, v32, vcc
	s_waitcnt lgkmcnt(0)
	v_and_or_b32 v36, v50, s57, v36
	v_cmp_gt_u32_e32 vcc, v68, v21
	s_nop 1
	v_cndmask_b32_e32 v21, v36, v24, vcc
	v_cndmask_b32_e32 v20, v28, v20, vcc
	;; [unrolled: 1-line block ×3, first 2 shown]
	v_cmp_eq_u16_sdwa vcc, v64, v13 src0_sel:BYTE_0 src1_sel:DWORD
	v_and_b32_e32 v24, 1, v64
	v_and_b32_e32 v21, 1, v21
	v_cndmask_b32_e32 v20, 0, v20, vcc
	v_cndmask_b32_e32 v1, 0, v1, vcc
	v_cmp_eq_u32_e32 vcc, 1, v24
	v_cmp_eq_u32_e64 s[50:51], 1, v21
	s_or_b64 s[50:51], vcc, s[50:51]
	v_add_u32_e32 v20, v20, v67
	v_add_u32_e32 v1, v1, v65
	v_cndmask_b32_e64 v24, 0, 1, s[50:51]
.LBB1964_195:                           ; =>This Loop Header: Depth=1
                                        ;     Child Loop BB1964_198 Depth 2
                                        ;       Child Loop BB1964_199 Depth 3
	v_cmp_ne_u16_sdwa s[50:51], v51, v69 src0_sel:BYTE_0 src1_sel:DWORD
	v_mov_b32_e32 v65, v1
	v_mov_b32_e32 v64, v24
	v_cndmask_b32_e64 v1, 0, 1, s[50:51]
	;;#ASMSTART
	;;#ASMEND
	v_mov_b32_e32 v67, v20
	v_cmp_ne_u32_e32 vcc, 0, v1
	s_cmp_lg_u64 vcc, exec
	s_cbranch_scc1 .LBB1964_212
; %bb.196:                              ;   in Loop: Header=BB1964_195 Depth=1
	v_lshl_add_u64 v[20:21], v[12:13], 4, s[96:97]
	;;#ASMSTART
	global_load_dwordx4 v[48:51], v[20:21] off sc1	
s_waitcnt vmcnt(0)
	;;#ASMEND
	s_nop 0
	v_lshlrev_b64 v[74:75], 24, v[50:51]
	v_lshrrev_b32_e32 v1, 8, v49
	v_or_b32_e32 v28, v1, v74
	v_lshlrev_b64 v[74:75], 16, v[50:51]
	v_or_b32_sdwa v32, v49, v74 dst_sel:DWORD dst_unused:UNUSED_PAD src0_sel:WORD_1 src1_sel:DWORD
	v_lshlrev_b64 v[74:75], 8, v[50:51]
	v_alignbit_b32 v70, v49, v48, 8
	v_alignbit_b32 v71, v49, v48, 16
	;; [unrolled: 1-line block ×3, first 2 shown]
	v_mov_b32_e32 v24, v49
	v_or_b32_sdwa v36, v49, v74 dst_sel:DWORD dst_unused:UNUSED_PAD src0_sel:BYTE_3 src1_sel:DWORD
	v_cmp_eq_u16_sdwa s[54:55], v51, v13 src0_sel:BYTE_0 src1_sel:DWORD
	s_and_saveexec_b64 s[50:51], s[54:55]
	s_cbranch_execz .LBB1964_202
; %bb.197:                              ;   in Loop: Header=BB1964_195 Depth=1
	s_mov_b32 s60, 1
	s_mov_b64 s[54:55], 0
.LBB1964_198:                           ;   Parent Loop BB1964_195 Depth=1
                                        ; =>  This Loop Header: Depth=2
                                        ;       Child Loop BB1964_199 Depth 3
	s_max_u32 s61, s60, 1
.LBB1964_199:                           ;   Parent Loop BB1964_195 Depth=1
                                        ;     Parent Loop BB1964_198 Depth=2
                                        ; =>    This Inner Loop Header: Depth=3
	s_add_i32 s61, s61, -1
	s_cmp_eq_u32 s61, 0
	s_sleep 1
	s_cbranch_scc0 .LBB1964_199
; %bb.200:                              ;   in Loop: Header=BB1964_198 Depth=2
	s_cmp_lt_u32 s60, 32
	s_cselect_b64 s[62:63], -1, 0
	s_cmp_lg_u64 s[62:63], 0
	s_addc_u32 s60, s60, 0
	;;#ASMSTART
	global_load_dwordx4 v[48:51], v[20:21] off sc1	
s_waitcnt vmcnt(0)
	;;#ASMEND
	s_nop 0
	v_cmp_ne_u16_sdwa s[62:63], v51, v13 src0_sel:BYTE_0 src1_sel:DWORD
	s_or_b64 s[54:55], s[62:63], s[54:55]
	s_andn2_b64 exec, exec, s[54:55]
	s_cbranch_execnz .LBB1964_198
; %bb.201:                              ;   in Loop: Header=BB1964_195 Depth=1
	s_or_b64 exec, exec, s[54:55]
	v_lshlrev_b64 v[20:21], 24, v[50:51]
	v_lshrrev_b32_e32 v1, 8, v49
	v_or_b32_e32 v28, v1, v20
	v_lshlrev_b64 v[20:21], 16, v[50:51]
	v_or_b32_sdwa v32, v49, v20 dst_sel:DWORD dst_unused:UNUSED_PAD src0_sel:WORD_1 src1_sel:DWORD
	v_lshlrev_b64 v[20:21], 8, v[50:51]
	v_alignbit_b32 v70, v49, v48, 8
	v_alignbit_b32 v71, v49, v48, 16
	;; [unrolled: 1-line block ×3, first 2 shown]
	v_mov_b32_e32 v24, v49
	v_or_b32_sdwa v36, v49, v20 dst_sel:DWORD dst_unused:UNUSED_PAD src0_sel:BYTE_3 src1_sel:DWORD
.LBB1964_202:                           ;   in Loop: Header=BB1964_195 Depth=1
	s_or_b64 exec, exec, s[50:51]
	v_lshlrev_b32_e32 v20, 16, v32
	v_lshlrev_b32_e32 v1, 24, v36
	v_and_b32_e32 v20, 0xff0000, v20
	v_or_b32_e32 v1, v20, v1
	v_lshlrev_b32_e32 v20, 8, v28
	v_and_b32_e32 v20, 0xff00, v20
	v_and_b32_e32 v21, 0xff, v24
	v_or3_b32 v1, v1, v20, v21
	v_lshlrev_b32_e32 v20, 16, v71
	v_lshlrev_b32_e32 v21, 8, v70
	v_perm_b32 v20, v72, v20, s58
	v_perm_b32 v21, v21, v48, s59
	v_cmp_eq_u16_sdwa s[50:51], v51, v69 src0_sel:BYTE_0 src1_sel:DWORD
	v_or_b32_e32 v20, v21, v20
	v_and_b32_e32 v24, 0xff, v50
	v_and_b32_e32 v21, s51, v17
	v_or_b32_e32 v21, 0x80000000, v21
	ds_bpermute_b32 v36, v55, v20
	ds_bpermute_b32 v32, v55, v1
	;; [unrolled: 1-line block ×3, first 2 shown]
	v_and_b32_e32 v48, s50, v16
	v_ffbl_b32_e32 v21, v21
	v_add_u32_e32 v21, 32, v21
	v_ffbl_b32_e32 v48, v48
	v_min_u32_e32 v21, v48, v21
	v_cmp_lt_u32_e32 vcc, v9, v21
	s_and_saveexec_b64 s[50:51], vcc
	s_cbranch_execz .LBB1964_204
; %bb.203:                              ;   in Loop: Header=BB1964_195 Depth=1
	v_cmp_eq_u16_sdwa vcc, v50, v13 src0_sel:BYTE_0 src1_sel:DWORD
	s_waitcnt lgkmcnt(2)
	s_nop 0
	v_cndmask_b32_e32 v24, 0, v36, vcc
	v_add_u32_e32 v20, v24, v20
	s_waitcnt lgkmcnt(1)
	v_cndmask_b32_e32 v24, 0, v32, vcc
	v_add_u32_e32 v1, v24, v1
	s_waitcnt lgkmcnt(0)
	v_or_b32_e32 v24, v28, v50
	v_and_b32_e32 v24, 1, v24
	v_mov_b32_e32 v50, v24
.LBB1964_204:                           ;   in Loop: Header=BB1964_195 Depth=1
	s_or_b64 exec, exec, s[50:51]
	s_waitcnt lgkmcnt(1)
	ds_bpermute_b32 v32, v56, v20
	ds_bpermute_b32 v36, v56, v1
	s_waitcnt lgkmcnt(2)
	ds_bpermute_b32 v28, v56, v24
	v_cmp_le_u32_e32 vcc, v57, v21
	s_and_saveexec_b64 s[50:51], vcc
	s_cbranch_execz .LBB1964_206
; %bb.205:                              ;   in Loop: Header=BB1964_195 Depth=1
	s_waitcnt lgkmcnt(2)
	v_add_u32_e32 v24, v32, v20
	v_cmp_eq_u16_sdwa vcc, v50, v13 src0_sel:BYTE_0 src1_sel:DWORD
	s_waitcnt lgkmcnt(1)
	v_add_u32_e32 v32, v36, v1
	v_cndmask_b32_e32 v20, v20, v24, vcc
	s_waitcnt lgkmcnt(0)
	v_or_b32_e32 v24, v28, v50
	v_and_b32_e32 v24, 1, v24
	v_cndmask_b32_e32 v1, v1, v32, vcc
	v_mov_b32_e32 v50, v24
.LBB1964_206:                           ;   in Loop: Header=BB1964_195 Depth=1
	s_or_b64 exec, exec, s[50:51]
	s_waitcnt lgkmcnt(2)
	ds_bpermute_b32 v32, v58, v20
	s_waitcnt lgkmcnt(2)
	ds_bpermute_b32 v36, v58, v1
	s_waitcnt lgkmcnt(2)
	ds_bpermute_b32 v28, v58, v24
	v_cmp_le_u32_e32 vcc, v59, v21
	s_and_saveexec_b64 s[50:51], vcc
	s_cbranch_execz .LBB1964_208
; %bb.207:                              ;   in Loop: Header=BB1964_195 Depth=1
	s_waitcnt lgkmcnt(2)
	v_add_u32_e32 v24, v32, v20
	v_cmp_eq_u16_sdwa vcc, v50, v13 src0_sel:BYTE_0 src1_sel:DWORD
	s_waitcnt lgkmcnt(1)
	v_add_u32_e32 v32, v36, v1
	v_cndmask_b32_e32 v20, v20, v24, vcc
	s_waitcnt lgkmcnt(0)
	v_or_b32_e32 v24, v28, v50
	v_and_b32_e32 v24, 1, v24
	v_cndmask_b32_e32 v1, v1, v32, vcc
	v_mov_b32_e32 v50, v24
.LBB1964_208:                           ;   in Loop: Header=BB1964_195 Depth=1
	s_or_b64 exec, exec, s[50:51]
	s_waitcnt lgkmcnt(2)
	ds_bpermute_b32 v32, v60, v20
	s_waitcnt lgkmcnt(2)
	;; [unrolled: 23-line block ×3, first 2 shown]
	ds_bpermute_b32 v36, v62, v1
	s_waitcnt lgkmcnt(2)
	ds_bpermute_b32 v28, v62, v24
	v_cmp_le_u32_e32 vcc, v63, v21
	s_and_saveexec_b64 s[50:51], vcc
	s_cbranch_execz .LBB1964_194
; %bb.211:                              ;   in Loop: Header=BB1964_195 Depth=1
	s_waitcnt lgkmcnt(2)
	v_add_u32_e32 v24, v32, v20
	v_cmp_eq_u16_sdwa vcc, v50, v13 src0_sel:BYTE_0 src1_sel:DWORD
	s_waitcnt lgkmcnt(1)
	v_add_u32_e32 v32, v36, v1
	v_cndmask_b32_e32 v20, v20, v24, vcc
	s_waitcnt lgkmcnt(0)
	v_or_b32_e32 v24, v28, v50
	v_and_b32_e32 v24, 1, v24
	v_cndmask_b32_e32 v1, v1, v32, vcc
	v_mov_b32_e32 v50, v24
	s_branch .LBB1964_194
.LBB1964_212:                           ;   in Loop: Header=BB1964_195 Depth=1
                                        ; implicit-def: $vgpr24
                                        ; implicit-def: $vgpr1
                                        ; implicit-def: $vgpr51
                                        ; implicit-def: $vgpr20_vgpr21
	s_cbranch_execz .LBB1964_195
; %bb.213:
	s_and_saveexec_b64 s[50:51], s[48:49]
	s_cbranch_execz .LBB1964_215
; %bb.214:
	v_mov_b32_e32 v1, 0
	v_cmp_eq_u16_sdwa vcc, v54, v1 src0_sel:BYTE_0 src1_sel:DWORD
	s_mov_b32 s55, 0
	v_or_b32_e32 v9, v54, v64
	v_cndmask_b32_e32 v1, 0, v67, vcc
	v_add_u32_e32 v1, v1, v8
	v_cndmask_b32_e32 v8, 0, v65, vcc
	s_add_i32 s54, s99, 64
	v_add_u32_e32 v8, s56, v8
	v_and_b32_e32 v9, 1, v9
	s_lshl_b64 s[54:55], s[54:55], 4
	s_add_u32 s54, s96, s54
	v_cmp_eq_u32_e32 vcc, 1, v9
	v_and_b32_e32 v9, 0xff000000, v8
	v_and_b32_e32 v12, 0xff0000, v8
	s_addc_u32 s55, s97, s55
	v_and_b32_e32 v13, 0xff00, v8
	v_and_b32_e32 v8, 0xff, v8
	v_or_b32_e32 v9, v9, v12
	v_cndmask_b32_e64 v50, 0, 1, vcc
	v_or3_b32 v49, v9, v13, v8
	v_or3_b32 v48, 0, 0, v1
	v_mov_b32_e32 v51, 2
	v_mov_b64_e32 v[8:9], s[54:55]
	;;#ASMSTART
	global_store_dwordx4 v[8:9], v[48:51] off sc1	
s_waitcnt vmcnt(0)
	;;#ASMEND
.LBB1964_215:
	s_or_b64 exec, exec, s[50:51]
	s_and_b64 exec, exec, s[2:3]
	s_cbranch_execz .LBB1964_217
; %bb.216:
	v_mov_b32_e32 v1, 0
	ds_write2_b32 v1, v67, v65 offset0:9 offset1:10
	ds_write_b8 v1, v64 offset:44
.LBB1964_217:
	s_or_b64 exec, exec, s[52:53]
	v_mov_b32_e32 v1, 0
	s_waitcnt lgkmcnt(0)
	s_barrier
	ds_read2_b32 v[8:9], v1 offset0:9 offset1:10
	v_mov_b32_e32 v12, v3
	v_mov_b32_e32 v13, v2
	;; [unrolled: 1-line block ×3, first 2 shown]
	s_and_saveexec_b64 s[50:51], s[4:5]
	s_cbranch_execz .LBB1964_219
; %bb.218:
	v_cndmask_b32_e64 v4, v45, v4, s[48:49]
	v_cmp_eq_u16_sdwa vcc, v104, v1 src0_sel:BYTE_0 src1_sel:DWORD
	v_cndmask_b32_e64 v5, v53, v5, s[48:49]
	v_and_b32_e32 v12, 0xff, v44
	v_cndmask_b32_e32 v4, 0, v4, vcc
	v_add_u32_e32 v13, v4, v2
	v_cndmask_b32_e32 v4, 0, v5, vcc
	v_cndmask_b32_e64 v16, v52, v12, s[48:49]
	v_add_u32_e32 v12, v4, v3
	v_and_b32_e32 v4, 1, v104
	v_cmp_eq_u32_e32 vcc, 1, v4
	v_and_b32_e32 v4, 1, v16
	v_cmp_eq_u32_e64 s[48:49], 1, v4
	s_or_b64 s[48:49], vcc, s[48:49]
	s_nop 0
	v_cndmask_b32_e64 v16, 0, 1, s[48:49]
.LBB1964_219:
	s_or_b64 exec, exec, s[50:51]
	v_cmp_eq_u16_sdwa vcc, v16, v1 src0_sel:BYTE_0 src1_sel:DWORD
	s_waitcnt lgkmcnt(0)
	s_nop 0
	v_cndmask_b32_e32 v1, 0, v8, vcc
	v_add_u32_e32 v82, v1, v13
	v_cndmask_b32_e32 v1, 0, v9, vcc
	v_add_u32_e32 v83, v1, v12
	v_cndmask_b32_e64 v1, 0, v82, s[6:7]
	v_add_u32_e32 v44, v1, v6
	v_cndmask_b32_e64 v1, 0, v83, s[6:7]
	;; [unrolled: 2-line block ×39, first 2 shown]
	v_cndmask_b32_e64 v12, 0, v103, s[46:47]
	s_branch .LBB1964_256
.LBB1964_220:
                                        ; implicit-def: $vgpr80_vgpr81_vgpr82_vgpr83
                                        ; kill: def $vgpr1 killed $sgpr0 killed $exec
                                        ; implicit-def: $vgpr12
                                        ; implicit-def: $vgpr5
                                        ; implicit-def: $vgpr103
                                        ; implicit-def: $vgpr101
                                        ; implicit-def: $vgpr99
                                        ; implicit-def: $vgpr97
                                        ; implicit-def: $vgpr95
                                        ; implicit-def: $vgpr93
                                        ; implicit-def: $vgpr91
                                        ; implicit-def: $vgpr89
                                        ; implicit-def: $vgpr87
                                        ; implicit-def: $vgpr45
                                        ; implicit-def: $vgpr76_vgpr77_vgpr78_vgpr79
                                        ; implicit-def: $vgpr72_vgpr73_vgpr74_vgpr75
                                        ; implicit-def: $vgpr68_vgpr69_vgpr70_vgpr71
                                        ; implicit-def: $vgpr64_vgpr65_vgpr66_vgpr67
                                        ; implicit-def: $vgpr60_vgpr61_vgpr62_vgpr63
                                        ; implicit-def: $vgpr56_vgpr57_vgpr58_vgpr59
                                        ; implicit-def: $vgpr52_vgpr53_vgpr54_vgpr55
                                        ; implicit-def: $vgpr48_vgpr49_vgpr50_vgpr51
                                        ; implicit-def: $vgpr82_vgpr83_vgpr84_vgpr85
	s_mov_b64 s[66:67], s[94:95]
	s_cbranch_execz .LBB1964_256
; %bb.221:
	s_cmp_lg_u64 s[66:67], 0
	s_cselect_b32 s7, s91, 0
	s_cselect_b32 s6, s90, 0
	s_cmp_lg_u64 s[6:7], 0
	s_cselect_b64 s[8:9], -1, 0
	s_and_b64 s[10:11], s[2:3], s[8:9]
	s_and_saveexec_b64 s[8:9], s[10:11]
	s_cbranch_execz .LBB1964_225
; %bb.222:
	v_mov_b32_e32 v1, 0
	v_cmp_eq_u16_sdwa s[12:13], v104, v1 src0_sel:BYTE_0 src1_sel:DWORD
	s_and_saveexec_b64 s[10:11], s[12:13]
	s_cbranch_execz .LBB1964_224
; %bb.223:
	global_load_dwordx2 v[4:5], v1, s[6:7]
	s_waitcnt vmcnt(0)
	v_add_u32_e32 v2, v4, v2
	v_add_u32_e32 v3, v5, v3
.LBB1964_224:
	s_or_b64 exec, exec, s[10:11]
	global_load_ubyte v1, v1, s[6:7] offset:8
	s_waitcnt vmcnt(0)
	v_or_b32_e32 v1, v104, v1
	v_and_b32_e32 v104, 1, v1
.LBB1964_225:
	s_or_b64 exec, exec, s[8:9]
	v_mov_b32_e32 v1, 0
	v_cmp_eq_u16_sdwa vcc, v123, v1 src0_sel:BYTE_0 src1_sel:DWORD
	v_cmp_eq_u16_sdwa s[6:7], v133, v1 src0_sel:BYTE_0 src1_sel:DWORD
	s_movk_i32 s40, 0xff
	v_cndmask_b32_e32 v4, 0, v2, vcc
	v_add_u32_e32 v44, v4, v6
	v_cndmask_b32_e32 v4, 0, v3, vcc
	v_add_u32_e32 v45, v4, v7
	v_cndmask_b32_e64 v4, 0, v44, s[6:7]
	v_add_u32_e32 v48, v4, v127
	v_cndmask_b32_e64 v4, 0, v45, s[6:7]
	v_add_u32_e32 v49, v4, v126
	v_and_b32_sdwa v4, v123, s40 dst_sel:DWORD dst_unused:UNUSED_PAD src0_sel:WORD_1 src1_sel:DWORD
	v_cmp_eq_u16_e64 s[8:9], 0, v4
	v_cmp_eq_u16_sdwa s[10:11], v123, v1 src0_sel:BYTE_3 src1_sel:DWORD
	v_cmp_eq_u16_sdwa s[12:13], v106, v1 src0_sel:BYTE_0 src1_sel:DWORD
	v_cndmask_b32_e64 v4, 0, v48, s[8:9]
	v_add_u32_e32 v86, v4, v10
	v_cndmask_b32_e64 v4, 0, v49, s[8:9]
	v_add_u32_e32 v87, v4, v11
	;; [unrolled: 2-line block ×5, first 2 shown]
	v_cndmask_b32_e64 v4, 0, v53, s[12:13]
	v_cmp_eq_u16_sdwa s[14:15], v116, v1 src0_sel:BYTE_0 src1_sel:DWORD
	v_add_u32_e32 v89, v4, v15
	v_cmp_eq_u16_sdwa s[16:17], v132, v1 src0_sel:BYTE_0 src1_sel:DWORD
	v_cndmask_b32_e64 v4, 0, v88, s[14:15]
	v_add_u32_e32 v56, v4, v122
	v_cndmask_b32_e64 v4, 0, v89, s[14:15]
	v_add_u32_e32 v57, v4, v121
	;; [unrolled: 2-line block ×4, first 2 shown]
	v_and_b32_sdwa v4, v116, s40 dst_sel:DWORD dst_unused:UNUSED_PAD src0_sel:WORD_1 src1_sel:DWORD
	v_cmp_eq_u16_e64 s[18:19], 0, v4
	v_cmp_eq_u16_sdwa s[20:21], v116, v1 src0_sel:BYTE_3 src1_sel:DWORD
	v_cmp_eq_u16_sdwa s[22:23], v107, v1 src0_sel:BYTE_0 src1_sel:DWORD
	v_cndmask_b32_e64 v4, 0, v90, s[18:19]
	v_add_u32_e32 v60, v4, v120
	v_cndmask_b32_e64 v4, 0, v91, s[18:19]
	v_add_u32_e32 v61, v4, v119
	;; [unrolled: 2-line block ×5, first 2 shown]
	v_cndmask_b32_e64 v4, 0, v93, s[22:23]
	v_cmp_eq_u16_sdwa s[24:25], v111, v1 src0_sel:BYTE_0 src1_sel:DWORD
	v_add_u32_e32 v65, v4, v117
	v_cmp_eq_u16_sdwa s[26:27], v131, v1 src0_sel:BYTE_0 src1_sel:DWORD
	v_cndmask_b32_e64 v4, 0, v64, s[24:25]
	v_add_u32_e32 v94, v4, v30
	v_cndmask_b32_e64 v4, 0, v65, s[24:25]
	v_add_u32_e32 v95, v4, v31
	;; [unrolled: 2-line block ×4, first 2 shown]
	v_and_b32_sdwa v4, v111, s40 dst_sel:DWORD dst_unused:UNUSED_PAD src0_sel:WORD_1 src1_sel:DWORD
	v_cmp_eq_u16_e64 s[28:29], 0, v4
	v_cmp_eq_u16_sdwa s[30:31], v111, v1 src0_sel:BYTE_3 src1_sel:DWORD
	v_cmp_eq_u16_sdwa s[34:35], v105, v1 src0_sel:BYTE_0 src1_sel:DWORD
	v_cndmask_b32_e64 v4, 0, v68, s[28:29]
	v_add_u32_e32 v96, v4, v38
	v_cndmask_b32_e64 v4, 0, v69, s[28:29]
	v_add_u32_e32 v97, v4, v39
	;; [unrolled: 2-line block ×4, first 2 shown]
	v_cndmask_b32_e64 v4, 0, v72, s[34:35]
	v_or_b32_e32 v9, v108, v111
	v_add_u32_e32 v98, v4, v42
	v_cndmask_b32_e64 v4, 0, v73, s[34:35]
	v_cmp_eq_u16_sdwa s[36:37], v108, v1 src0_sel:BYTE_0 src1_sel:DWORD
	v_or3_b32 v9, v9, v116, v123
	v_add_u32_e32 v99, v4, v43
	v_cndmask_b32_e64 v4, 0, v98, s[36:37]
	v_lshrrev_b16_e32 v16, 7, v9
	v_add_u32_e32 v76, v4, v110
	v_cndmask_b32_e64 v4, 0, v99, s[36:37]
	v_cmp_eq_u16_sdwa s[38:39], v130, v1 src0_sel:BYTE_0 src1_sel:DWORD
	v_and_b32_e32 v13, 1, v9
	v_and_b32_e32 v16, 2, v16
	v_add_u32_e32 v77, v4, v109
	v_cndmask_b32_e64 v4, 0, v76, s[38:39]
	v_or_b32_e32 v13, v13, v16
	v_lshrrev_b32_e32 v16, 23, v9
	v_mov_b32_e32 v17, 1
	v_add_u32_e32 v100, v4, v46
	v_cndmask_b32_e64 v4, 0, v77, s[38:39]
	v_and_b32_e32 v16, 2, v16
	v_and_b32_sdwa v9, v9, v17 dst_sel:DWORD dst_unused:UNUSED_PAD src0_sel:WORD_1 src1_sel:DWORD
	v_add_u32_e32 v101, v4, v47
	v_and_b32_sdwa v4, v108, s40 dst_sel:DWORD dst_unused:UNUSED_PAD src0_sel:WORD_1 src1_sel:DWORD
	v_or_b32_e32 v9, v9, v16
	v_cmp_eq_u16_e64 s[40:41], 0, v4
	v_lshlrev_b16_e32 v9, 2, v9
	v_or_b32_e32 v9, v13, v9
	v_cndmask_b32_e64 v4, 0, v100, s[40:41]
	v_add_u32_e32 v80, v4, v34
	v_cndmask_b32_e64 v4, 0, v101, s[40:41]
	v_cmp_eq_u16_sdwa s[42:43], v108, v1 src0_sel:BYTE_3 src1_sel:DWORD
	v_cmp_eq_u32_e64 s[52:53], 1, v129
	v_cmp_ne_u16_e64 s[54:55], 0, v9
	v_add_u32_e32 v81, v4, v35
	v_cndmask_b32_e64 v4, 0, v80, s[42:43]
	v_cmp_eq_u32_e64 s[50:51], 1, v128
	s_or_b64 s[52:53], s[54:55], s[52:53]
	v_add_u32_e32 v102, v4, v26
	v_cndmask_b32_e64 v4, 0, v81, s[42:43]
	v_cmp_eq_u32_e64 s[48:49], 1, v41
	s_or_b64 s[50:51], s[52:53], s[50:51]
	v_add_u32_e32 v103, v4, v27
	v_cmp_eq_u16_sdwa s[44:45], v40, v1 src0_sel:BYTE_0 src1_sel:DWORD
	v_cmp_eq_u32_e64 s[46:47], 1, v37
	s_or_b64 s[48:49], s[50:51], s[48:49]
	v_cndmask_b32_e64 v5, 0, v102, s[44:45]
	v_cndmask_b32_e64 v12, 0, v103, s[44:45]
	v_and_b32_e32 v8, 0xff, v104
	s_or_b64 s[46:47], s[48:49], s[46:47]
	v_mbcnt_hi_u32_b32 v13, -1, v29
	v_add_u32_e32 v4, v5, v25
	v_add_u32_e32 v1, v12, v33
	v_cndmask_b32_e64 v16, v8, 1, s[46:47]
	v_and_b32_e32 v8, 15, v13
	v_mov_b32_dpp v9, v4 row_shr:1 row_mask:0xf bank_mask:0xf
	v_mov_b32_dpp v17, v1 row_shr:1 row_mask:0xf bank_mask:0xf
	;; [unrolled: 1-line block ×3, first 2 shown]
	v_cmp_ne_u32_e64 s[46:47], 0, v8
	s_and_saveexec_b64 s[48:49], s[46:47]
; %bb.226:
	v_cmp_eq_u32_e64 s[46:47], 0, v16
	v_and_or_b32 v16, v20, 1, v16
	s_nop 0
	v_cndmask_b32_e64 v9, 0, v9, s[46:47]
	v_add_u32_e32 v4, v4, v9
	v_cndmask_b32_e64 v9, 0, v17, s[46:47]
	v_add_u32_e32 v1, v1, v9
; %bb.227:
	s_or_b64 exec, exec, s[48:49]
	v_mov_b32_dpp v17, v4 row_shr:2 row_mask:0xf bank_mask:0xf
	v_mov_b32_dpp v20, v1 row_shr:2 row_mask:0xf bank_mask:0xf
	;; [unrolled: 1-line block ×3, first 2 shown]
	v_cmp_lt_u32_e64 s[46:47], 1, v8
	s_and_saveexec_b64 s[48:49], s[46:47]
; %bb.228:
	v_add_u32_e32 v17, v17, v4
	v_add_u32_e32 v20, v20, v1
	v_cmp_eq_u32_e64 s[46:47], 0, v16
	v_or_b32_e32 v9, v9, v16
	v_and_b32_e32 v16, 1, v9
	v_cndmask_b32_e64 v4, v4, v17, s[46:47]
	v_cndmask_b32_e64 v1, v1, v20, s[46:47]
; %bb.229:
	s_or_b64 exec, exec, s[48:49]
	v_mov_b32_dpp v17, v4 row_shr:4 row_mask:0xf bank_mask:0xf
	v_mov_b32_dpp v20, v1 row_shr:4 row_mask:0xf bank_mask:0xf
	;; [unrolled: 1-line block ×3, first 2 shown]
	v_cmp_lt_u32_e64 s[46:47], 3, v8
	s_and_saveexec_b64 s[48:49], s[46:47]
; %bb.230:
	v_add_u32_e32 v17, v17, v4
	v_add_u32_e32 v20, v20, v1
	v_cmp_eq_u32_e64 s[46:47], 0, v16
	v_or_b32_e32 v9, v9, v16
	v_and_b32_e32 v16, 1, v9
	v_cndmask_b32_e64 v4, v4, v17, s[46:47]
	v_cndmask_b32_e64 v1, v1, v20, s[46:47]
; %bb.231:
	s_or_b64 exec, exec, s[48:49]
	v_mov_b32_dpp v17, v4 row_shr:8 row_mask:0xf bank_mask:0xf
	v_mov_b32_dpp v20, v1 row_shr:8 row_mask:0xf bank_mask:0xf
	;; [unrolled: 1-line block ×3, first 2 shown]
	v_cmp_lt_u32_e64 s[46:47], 7, v8
	s_and_saveexec_b64 s[48:49], s[46:47]
; %bb.232:
	v_add_u32_e32 v8, v17, v4
	v_cmp_eq_u32_e64 s[46:47], 0, v16
	v_add_u32_e32 v17, v20, v1
	s_nop 0
	v_cndmask_b32_e64 v4, v4, v8, s[46:47]
	v_or_b32_e32 v8, v9, v16
	v_cndmask_b32_e64 v1, v1, v17, s[46:47]
	v_and_b32_e32 v16, 1, v8
; %bb.233:
	s_or_b64 exec, exec, s[48:49]
	v_and_b32_e32 v20, 16, v13
	v_mov_b32_dpp v9, v4 row_bcast:15 row_mask:0xf bank_mask:0xf
	v_mov_b32_dpp v17, v1 row_bcast:15 row_mask:0xf bank_mask:0xf
	;; [unrolled: 1-line block ×3, first 2 shown]
	v_cmp_ne_u32_e64 s[46:47], 0, v20
	s_and_saveexec_b64 s[48:49], s[46:47]
; %bb.234:
	v_add_u32_e32 v9, v9, v4
	v_add_u32_e32 v17, v17, v1
	v_cmp_eq_u32_e64 s[46:47], 0, v16
	v_or_b32_e32 v8, v8, v16
	v_and_b32_e32 v16, 1, v8
	v_cndmask_b32_e64 v4, v4, v9, s[46:47]
	v_cndmask_b32_e64 v1, v1, v17, s[46:47]
; %bb.235:
	s_or_b64 exec, exec, s[48:49]
	v_mov_b32_dpp v17, v4 row_bcast:31 row_mask:0xf bank_mask:0xf
	v_mov_b32_dpp v20, v1 row_bcast:31 row_mask:0xf bank_mask:0xf
	;; [unrolled: 1-line block ×3, first 2 shown]
	v_cmp_lt_u32_e64 s[46:47], 31, v13
	v_mov_b32_e32 v8, v16
	s_and_saveexec_b64 s[48:49], s[46:47]
; %bb.236:
	v_add_u32_e32 v8, v17, v4
	v_add_u32_e32 v17, v20, v1
	v_cmp_eq_u32_e64 s[46:47], 0, v16
	v_or_b32_e32 v9, v9, v16
	v_and_b32_e32 v16, 1, v9
	v_cndmask_b32_e64 v4, v4, v8, s[46:47]
	v_cndmask_b32_e64 v1, v1, v17, s[46:47]
	v_and_b32_e32 v8, 1, v9
; %bb.237:
	s_or_b64 exec, exec, s[48:49]
	v_or_b32_e32 v9, 63, v0
	v_lshrrev_b32_e32 v17, 6, v0
	v_cmp_eq_u32_e64 s[46:47], v9, v0
	s_and_saveexec_b64 s[48:49], s[46:47]
	s_cbranch_execz .LBB1964_239
; %bb.238:
	v_mul_u32_u24_e32 v9, 12, v17
	ds_write2_b32 v9, v4, v1 offset1:1
	ds_write_b8 v9, v8 offset:8
.LBB1964_239:
	s_or_b64 exec, exec, s[48:49]
	v_cmp_gt_u32_e64 s[46:47], 4, v0
	s_waitcnt lgkmcnt(0)
	s_barrier
	s_and_saveexec_b64 s[48:49], s[46:47]
	s_cbranch_execz .LBB1964_245
; %bb.240:
	v_mul_u32_u24_e32 v20, 12, v0
	ds_read2_b32 v[8:9], v20 offset1:1
	ds_read_b32 v21, v20 offset:8
	v_and_b32_e32 v24, 3, v13
	v_cmp_ne_u32_e64 s[46:47], 0, v24
	s_waitcnt lgkmcnt(1)
	v_mov_b32_dpp v36, v8 row_shr:1 row_mask:0xf bank_mask:0xf
	v_mov_b32_dpp v29, v9 row_shr:1 row_mask:0xf bank_mask:0xf
	s_waitcnt lgkmcnt(0)
	v_mov_b32_dpp v32, v21 row_shr:1 row_mask:0xf bank_mask:0xf
	v_mov_b32_e32 v28, v21
	s_and_saveexec_b64 s[50:51], s[46:47]
; %bb.241:
	v_mov_b32_e32 v28, 0
	v_cmp_eq_u16_sdwa s[46:47], v21, v28 src0_sel:BYTE_0 src1_sel:DWORD
	s_nop 1
	v_cndmask_b32_e64 v28, 0, v36, s[46:47]
	v_add_u32_e32 v8, v28, v8
	v_cndmask_b32_e64 v28, 0, v29, s[46:47]
	v_add_u32_e32 v9, v28, v9
	v_or_b32_e32 v28, v32, v21
	v_and_b32_e32 v28, 1, v28
	s_movk_i32 s46, 0xff00
	v_and_or_b32 v21, v21, s46, v28
; %bb.242:
	s_or_b64 exec, exec, s[50:51]
	v_mov_b32_dpp v32, v8 row_shr:2 row_mask:0xf bank_mask:0xf
	v_mov_b32_dpp v36, v9 row_shr:2 row_mask:0xf bank_mask:0xf
	;; [unrolled: 1-line block ×3, first 2 shown]
	v_cmp_lt_u32_e64 s[46:47], 1, v24
	s_and_saveexec_b64 s[50:51], s[46:47]
; %bb.243:
	v_mov_b32_e32 v21, 0
	v_add_u32_e32 v24, v32, v8
	v_add_u32_e32 v32, v36, v9
	v_cmp_eq_u16_sdwa s[46:47], v28, v21 src0_sel:BYTE_0 src1_sel:DWORD
	v_or_b32_e32 v21, v29, v28
	v_and_b32_e32 v21, 1, v21
	v_cndmask_b32_e64 v8, v8, v24, s[46:47]
	v_cndmask_b32_e64 v9, v9, v32, s[46:47]
; %bb.244:
	s_or_b64 exec, exec, s[50:51]
	ds_write2_b32 v20, v8, v9 offset1:1
	ds_write_b8 v20, v21 offset:8
.LBB1964_245:
	s_or_b64 exec, exec, s[48:49]
	v_cmp_lt_u32_e64 s[46:47], 63, v0
	s_waitcnt lgkmcnt(0)
	s_barrier
	s_waitcnt lgkmcnt(0)
                                        ; implicit-def: $vgpr8_vgpr9
	s_and_saveexec_b64 s[48:49], s[46:47]
	s_xor_b64 s[48:49], exec, s[48:49]
	s_cbranch_execz .LBB1964_249
; %bb.246:
	v_mad_u32_u24 v8, v17, 12, -12
	ds_read2_b32 v[8:9], v8 offset1:1
	v_cmp_ne_u32_e64 s[46:47], 0, v16
                                        ; kill: def $vgpr16_vgpr17 killed $sgpr0_sgpr1 killed $exec
                                        ; kill: def $vgpr16 killed $sgpr0 killed $exec
	s_and_saveexec_b64 s[50:51], s[46:47]
	s_xor_b64 s[46:47], exec, s[50:51]
	s_andn2_saveexec_b64 s[46:47], s[46:47]
	s_cbranch_execz .LBB1964_248
; %bb.247:
	s_waitcnt lgkmcnt(0)
	v_add_u32_e32 v4, v8, v4
	v_add_u32_e32 v1, v9, v1
.LBB1964_248:
	s_or_b64 exec, exec, s[46:47]
.LBB1964_249:
	s_andn2_saveexec_b64 s[46:47], s[48:49]
	s_cbranch_execz .LBB1964_251
; %bb.250:
	s_waitcnt lgkmcnt(0)
	v_mov_b64_e32 v[8:9], 0
.LBB1964_251:
	s_or_b64 exec, exec, s[46:47]
	v_add_u32_e32 v16, -1, v13
	v_and_b32_e32 v17, 64, v13
	v_cmp_lt_i32_e64 s[46:47], v16, v17
	s_nop 1
	v_cndmask_b32_e64 v16, v16, v13, s[46:47]
	v_lshlrev_b32_e32 v16, 2, v16
	ds_bpermute_b32 v4, v16, v4
	ds_bpermute_b32 v1, v16, v1
	s_and_saveexec_b64 s[46:47], s[4:5]
	s_cbranch_execz .LBB1964_253
; %bb.252:
	v_cmp_eq_u32_e64 s[4:5], 0, v13
	v_mov_b32_e32 v5, 0
	;;#ASMSTART
	;;#ASMEND
	s_waitcnt lgkmcnt(0)
	v_cndmask_b32_e64 v1, v1, v9, s[4:5]
	v_cndmask_b32_e64 v4, v4, v8, s[4:5]
	v_cmp_eq_u16_sdwa s[4:5], v104, v5 src0_sel:BYTE_0 src1_sel:DWORD
	s_nop 1
	v_cndmask_b32_e64 v4, 0, v4, s[4:5]
	v_add_u32_e32 v2, v4, v2
	v_cndmask_b32_e64 v1, 0, v1, s[4:5]
	v_add_u32_e32 v3, v1, v3
	v_cndmask_b32_e32 v1, 0, v2, vcc
	v_add_u32_e32 v44, v1, v6
	v_cndmask_b32_e32 v1, 0, v3, vcc
	v_add_u32_e32 v45, v1, v7
	v_cndmask_b32_e64 v1, 0, v44, s[6:7]
	v_add_u32_e32 v48, v1, v127
	v_cndmask_b32_e64 v1, 0, v45, s[6:7]
	;; [unrolled: 2-line block ×37, first 2 shown]
	v_cndmask_b32_e64 v12, 0, v103, s[44:45]
.LBB1964_253:
	s_or_b64 exec, exec, s[46:47]
	s_and_saveexec_b64 s[4:5], s[2:3]
	s_cbranch_execz .LBB1964_255
; %bb.254:
	s_waitcnt lgkmcnt(0)
	v_mov_b32_e32 v1, 0
	ds_read2_b32 v[6:7], v1 offset0:9 offset1:10
	ds_read_u8 v8, v1 offset:44
	s_add_u32 s2, s96, 0x400
	s_mov_b32 s6, 0
	s_addc_u32 s3, s97, 0
	s_waitcnt lgkmcnt(1)
	v_readfirstlane_b32 s12, v7
	s_bfe_u32 s8, s12, 0x80010
	s_and_b32 s7, s12, 0xff000000
	s_lshl_b32 s9, s8, 16
	s_mov_b32 s8, s6
	s_bfe_u32 s10, s12, 0x80008
	s_lshl_b32 s11, s10, 8
	s_mov_b32 s10, s6
	s_and_b32 s12, s12, 0xff
	s_or_b64 s[6:7], s[6:7], s[8:9]
	s_or_b64 s[6:7], s[6:7], s[10:11]
	v_mov_b32_e32 v1, s12
	v_or_b32_e32 v6, s6, v6
	v_or_b32_e32 v7, s7, v1
	v_mov_b32_e32 v9, 2
	v_mov_b64_e32 v[10:11], s[2:3]
	s_waitcnt lgkmcnt(0)
	;;#ASMSTART
	global_store_dwordx4 v[10:11], v[6:9] off sc1	
s_waitcnt vmcnt(0)
	;;#ASMEND
.LBB1964_255:
	s_or_b64 exec, exec, s[4:5]
	v_mov_b32_e32 v83, v3
	v_mov_b32_e32 v82, v2
.LBB1964_256:
	s_add_u32 s0, s86, s0
	s_addc_u32 s1, s87, s1
	s_add_u32 s0, s0, s92
	v_add_u32_e32 v43, v12, v33
	v_add_u32_e32 v42, v5, v25
	s_addc_u32 s1, s1, s93
	s_and_b64 vcc, exec, s[88:89]
	s_cbranch_vccz .LBB1964_338
; %bb.257:
	s_add_i32 s33, s33, s98
	s_waitcnt lgkmcnt(0)
	v_mul_u32_u24_e32 v1, 21, v0
	v_mov_b64_e32 v[8:9], 0
	v_cmp_gt_u32_e32 vcc, s33, v1
	v_mov_b64_e32 v[4:5], v[8:9]
	v_mov_b64_e32 v[2:3], v[8:9]
	;; [unrolled: 1-line block ×20, first 2 shown]
	s_and_saveexec_b64 s[2:3], vcc
	s_cbranch_execz .LBB1964_297
; %bb.258:
	v_add_u32_e32 v2, 1, v1
	v_mov_b64_e32 v[40:41], 0
	v_cmp_gt_u32_e32 vcc, s33, v2
	v_mov_b64_e32 v[38:39], v[40:41]
	v_mov_b64_e32 v[36:37], v[40:41]
	;; [unrolled: 1-line block ×19, first 2 shown]
	s_and_saveexec_b64 s[4:5], vcc
	s_cbranch_execz .LBB1964_296
; %bb.259:
	v_add_u32_e32 v2, 2, v1
	v_mov_b64_e32 v[38:39], 0
	v_cmp_gt_u32_e32 vcc, s33, v2
	v_mov_b64_e32 v[36:37], v[38:39]
	v_mov_b64_e32 v[34:35], v[38:39]
	v_mov_b64_e32 v[32:33], v[38:39]
	v_mov_b64_e32 v[30:31], v[38:39]
	v_mov_b64_e32 v[28:29], v[38:39]
	v_mov_b64_e32 v[26:27], v[38:39]
	v_mov_b64_e32 v[24:25], v[38:39]
	v_mov_b64_e32 v[22:23], v[38:39]
	v_mov_b64_e32 v[20:21], v[38:39]
	v_mov_b64_e32 v[18:19], v[38:39]
	v_mov_b64_e32 v[16:17], v[38:39]
	v_mov_b64_e32 v[14:15], v[38:39]
	v_mov_b64_e32 v[12:13], v[38:39]
	v_mov_b64_e32 v[10:11], v[38:39]
	v_mov_b64_e32 v[6:7], v[38:39]
	v_mov_b64_e32 v[2:3], v[38:39]
	v_mov_b64_e32 v[4:5], v[38:39]
	v_mov_b64_e32 v[8:9], v[38:39]
	s_and_saveexec_b64 s[6:7], vcc
	s_cbranch_execz .LBB1964_295
; %bb.260:
	v_add_u32_e32 v2, 3, v1
	v_mov_b64_e32 v[36:37], 0
	v_cmp_gt_u32_e32 vcc, s33, v2
	v_mov_b64_e32 v[34:35], v[36:37]
	v_mov_b64_e32 v[32:33], v[36:37]
	v_mov_b64_e32 v[30:31], v[36:37]
	v_mov_b64_e32 v[28:29], v[36:37]
	v_mov_b64_e32 v[26:27], v[36:37]
	v_mov_b64_e32 v[24:25], v[36:37]
	v_mov_b64_e32 v[22:23], v[36:37]
	v_mov_b64_e32 v[20:21], v[36:37]
	v_mov_b64_e32 v[18:19], v[36:37]
	v_mov_b64_e32 v[16:17], v[36:37]
	v_mov_b64_e32 v[14:15], v[36:37]
	v_mov_b64_e32 v[12:13], v[36:37]
	v_mov_b64_e32 v[10:11], v[36:37]
	v_mov_b64_e32 v[6:7], v[36:37]
	v_mov_b64_e32 v[2:3], v[36:37]
	v_mov_b64_e32 v[4:5], v[36:37]
	v_mov_b64_e32 v[8:9], v[36:37]
	s_and_saveexec_b64 s[8:9], vcc
	s_cbranch_execz .LBB1964_294
; %bb.261:
	v_add_u32_e32 v2, 4, v1
	v_mov_b64_e32 v[34:35], 0
	v_cmp_gt_u32_e32 vcc, s33, v2
	v_mov_b64_e32 v[32:33], v[34:35]
	v_mov_b64_e32 v[30:31], v[34:35]
	;; [unrolled: 1-line block ×16, first 2 shown]
	s_and_saveexec_b64 s[10:11], vcc
	s_cbranch_execz .LBB1964_293
; %bb.262:
	v_add_u32_e32 v2, 5, v1
	v_mov_b64_e32 v[32:33], 0
	v_cmp_gt_u32_e32 vcc, s33, v2
	v_mov_b64_e32 v[30:31], v[32:33]
	v_mov_b64_e32 v[28:29], v[32:33]
	;; [unrolled: 1-line block ×15, first 2 shown]
	s_and_saveexec_b64 s[12:13], vcc
	s_cbranch_execz .LBB1964_292
; %bb.263:
	v_add_u32_e32 v2, 6, v1
	v_mov_b64_e32 v[30:31], 0
	v_cmp_gt_u32_e32 vcc, s33, v2
	v_mov_b64_e32 v[28:29], v[30:31]
	v_mov_b64_e32 v[26:27], v[30:31]
	;; [unrolled: 1-line block ×14, first 2 shown]
	s_and_saveexec_b64 s[14:15], vcc
	s_cbranch_execz .LBB1964_291
; %bb.264:
	v_add_u32_e32 v2, 7, v1
	v_mov_b64_e32 v[28:29], 0
	v_cmp_gt_u32_e32 vcc, s33, v2
	v_mov_b64_e32 v[26:27], v[28:29]
	v_mov_b64_e32 v[24:25], v[28:29]
	;; [unrolled: 1-line block ×13, first 2 shown]
	s_and_saveexec_b64 s[16:17], vcc
	s_cbranch_execz .LBB1964_290
; %bb.265:
	v_add_u32_e32 v2, 8, v1
	v_mov_b64_e32 v[26:27], 0
	v_cmp_gt_u32_e32 vcc, s33, v2
	v_mov_b64_e32 v[24:25], v[26:27]
	v_mov_b64_e32 v[22:23], v[26:27]
	v_mov_b64_e32 v[20:21], v[26:27]
	v_mov_b64_e32 v[18:19], v[26:27]
	v_mov_b64_e32 v[16:17], v[26:27]
	v_mov_b64_e32 v[14:15], v[26:27]
	v_mov_b64_e32 v[12:13], v[26:27]
	v_mov_b64_e32 v[10:11], v[26:27]
	v_mov_b64_e32 v[6:7], v[26:27]
	v_mov_b64_e32 v[2:3], v[26:27]
	v_mov_b64_e32 v[4:5], v[26:27]
	v_mov_b64_e32 v[8:9], v[26:27]
	s_and_saveexec_b64 s[18:19], vcc
	s_cbranch_execz .LBB1964_289
; %bb.266:
	v_add_u32_e32 v2, 9, v1
	v_mov_b64_e32 v[24:25], 0
	v_cmp_gt_u32_e32 vcc, s33, v2
	v_mov_b64_e32 v[22:23], v[24:25]
	v_mov_b64_e32 v[20:21], v[24:25]
	;; [unrolled: 1-line block ×11, first 2 shown]
	s_and_saveexec_b64 s[20:21], vcc
	s_cbranch_execz .LBB1964_288
; %bb.267:
	v_add_u32_e32 v2, 10, v1
	v_mov_b64_e32 v[22:23], 0
	v_cmp_gt_u32_e32 vcc, s33, v2
	v_mov_b64_e32 v[20:21], v[22:23]
	v_mov_b64_e32 v[18:19], v[22:23]
	;; [unrolled: 1-line block ×10, first 2 shown]
	s_and_saveexec_b64 s[22:23], vcc
	s_cbranch_execz .LBB1964_287
; %bb.268:
	v_add_u32_e32 v2, 11, v1
	v_mov_b64_e32 v[20:21], 0
	v_cmp_gt_u32_e32 vcc, s33, v2
	v_mov_b64_e32 v[18:19], v[20:21]
	v_mov_b64_e32 v[16:17], v[20:21]
	;; [unrolled: 1-line block ×9, first 2 shown]
	s_and_saveexec_b64 s[24:25], vcc
	s_cbranch_execz .LBB1964_286
; %bb.269:
	v_add_u32_e32 v2, 12, v1
	v_mov_b64_e32 v[18:19], 0
	v_cmp_gt_u32_e32 vcc, s33, v2
	v_mov_b64_e32 v[16:17], v[18:19]
	v_mov_b64_e32 v[14:15], v[18:19]
	;; [unrolled: 1-line block ×8, first 2 shown]
	s_and_saveexec_b64 s[26:27], vcc
	s_cbranch_execz .LBB1964_285
; %bb.270:
	v_add_u32_e32 v2, 13, v1
	v_mov_b64_e32 v[16:17], 0
	v_cmp_gt_u32_e32 vcc, s33, v2
	v_mov_b64_e32 v[14:15], v[16:17]
	v_mov_b64_e32 v[12:13], v[16:17]
	;; [unrolled: 1-line block ×7, first 2 shown]
	s_and_saveexec_b64 s[28:29], vcc
	s_cbranch_execz .LBB1964_284
; %bb.271:
	v_add_u32_e32 v2, 14, v1
	v_mov_b64_e32 v[14:15], 0
	v_cmp_gt_u32_e32 vcc, s33, v2
	v_mov_b64_e32 v[12:13], v[14:15]
	v_mov_b64_e32 v[10:11], v[14:15]
	;; [unrolled: 1-line block ×6, first 2 shown]
	s_and_saveexec_b64 s[30:31], vcc
	s_cbranch_execz .LBB1964_283
; %bb.272:
	v_add_u32_e32 v2, 15, v1
	v_mov_b64_e32 v[12:13], 0
	v_cmp_gt_u32_e32 vcc, s33, v2
	v_mov_b64_e32 v[10:11], v[12:13]
	v_mov_b64_e32 v[6:7], v[12:13]
	;; [unrolled: 1-line block ×5, first 2 shown]
	s_and_saveexec_b64 s[34:35], vcc
	s_cbranch_execz .LBB1964_282
; %bb.273:
	v_add_u32_e32 v2, 16, v1
	v_mov_b64_e32 v[10:11], 0
	v_cmp_gt_u32_e32 vcc, s33, v2
	v_mov_b64_e32 v[6:7], v[10:11]
	v_mov_b64_e32 v[2:3], v[10:11]
	;; [unrolled: 1-line block ×4, first 2 shown]
	s_and_saveexec_b64 s[36:37], vcc
	s_cbranch_execz .LBB1964_281
; %bb.274:
	v_add_u32_e32 v2, 17, v1
	v_mov_b64_e32 v[6:7], 0
	v_cmp_gt_u32_e32 vcc, s33, v2
	v_mov_b64_e32 v[2:3], v[6:7]
	v_mov_b64_e32 v[4:5], v[6:7]
	;; [unrolled: 1-line block ×3, first 2 shown]
	s_and_saveexec_b64 s[38:39], vcc
	s_cbranch_execz .LBB1964_280
; %bb.275:
	v_add_u32_e32 v2, 18, v1
	v_cmp_gt_u32_e32 vcc, s33, v2
	v_mov_b64_e32 v[2:3], 0
	v_mov_b64_e32 v[4:5], v[2:3]
	;; [unrolled: 1-line block ×3, first 2 shown]
	s_and_saveexec_b64 s[40:41], vcc
	s_cbranch_execz .LBB1964_279
; %bb.276:
	v_add_u32_e32 v2, 19, v1
	v_mov_b64_e32 v[4:5], 0
	v_cmp_gt_u32_e32 vcc, s33, v2
	v_mov_b64_e32 v[8:9], v[4:5]
	s_and_saveexec_b64 s[42:43], vcc
; %bb.277:
	v_add_u32_e32 v2, 20, v1
	v_cmp_gt_u32_e32 vcc, s33, v2
	v_mov_b64_e32 v[4:5], v[102:103]
	s_nop 0
	v_cndmask_b32_e32 v9, 0, v43, vcc
	v_cndmask_b32_e32 v8, 0, v42, vcc
; %bb.278:
	s_or_b64 exec, exec, s[42:43]
	v_mov_b64_e32 v[2:3], v[80:81]
.LBB1964_279:
	s_or_b64 exec, exec, s[40:41]
	v_mov_b64_e32 v[6:7], v[100:101]
.LBB1964_280:
	s_or_b64 exec, exec, s[38:39]
	v_mov_b64_e32 v[10:11], v[76:77]
.LBB1964_281:
	s_or_b64 exec, exec, s[36:37]
	v_mov_b64_e32 v[12:13], v[98:99]
.LBB1964_282:
	s_or_b64 exec, exec, s[34:35]
	v_mov_b64_e32 v[14:15], v[72:73]
.LBB1964_283:
	s_or_b64 exec, exec, s[30:31]
	v_mov_b64_e32 v[16:17], v[96:97]
.LBB1964_284:
	s_or_b64 exec, exec, s[28:29]
	v_mov_b64_e32 v[18:19], v[68:69]
.LBB1964_285:
	s_or_b64 exec, exec, s[26:27]
	v_mov_b64_e32 v[20:21], v[94:95]
.LBB1964_286:
	s_or_b64 exec, exec, s[24:25]
	v_mov_b64_e32 v[22:23], v[64:65]
.LBB1964_287:
	s_or_b64 exec, exec, s[22:23]
	v_mov_b64_e32 v[24:25], v[92:93]
.LBB1964_288:
	s_or_b64 exec, exec, s[20:21]
	v_mov_b64_e32 v[26:27], v[60:61]
.LBB1964_289:
	s_or_b64 exec, exec, s[18:19]
	v_mov_b64_e32 v[28:29], v[90:91]
.LBB1964_290:
	s_or_b64 exec, exec, s[16:17]
	v_mov_b64_e32 v[30:31], v[56:57]
.LBB1964_291:
	s_or_b64 exec, exec, s[14:15]
	v_mov_b64_e32 v[32:33], v[88:89]
.LBB1964_292:
	s_or_b64 exec, exec, s[12:13]
	v_mov_b64_e32 v[34:35], v[52:53]
.LBB1964_293:
	s_or_b64 exec, exec, s[10:11]
	v_mov_b64_e32 v[36:37], v[86:87]
.LBB1964_294:
	s_or_b64 exec, exec, s[8:9]
	v_mov_b64_e32 v[38:39], v[48:49]
.LBB1964_295:
	s_or_b64 exec, exec, s[6:7]
	v_mov_b64_e32 v[40:41], v[44:45]
.LBB1964_296:
	s_or_b64 exec, exec, s[4:5]
	v_mov_b64_e32 v[46:47], v[82:83]
.LBB1964_297:
	s_or_b64 exec, exec, s[2:3]
	v_lshlrev_b32_e32 v1, 3, v1
	s_movk_i32 s2, 0xff60
	s_barrier
	ds_write2_b64 v1, v[46:47], v[40:41] offset1:1
	ds_write2_b64 v1, v[38:39], v[36:37] offset0:2 offset1:3
	ds_write2_b64 v1, v[34:35], v[32:33] offset0:4 offset1:5
	;; [unrolled: 1-line block ×9, first 2 shown]
	ds_write_b64 v1, v[8:9] offset:160
	v_mad_i32_i24 v2, v0, s2, v1
	s_waitcnt lgkmcnt(0)
	s_barrier
	ds_read2st64_b64 v[38:41], v2 offset0:4 offset1:8
	ds_read2st64_b64 v[34:37], v2 offset0:12 offset1:16
	;; [unrolled: 1-line block ×10, first 2 shown]
	v_mov_b32_e32 v47, 0
	v_lshlrev_b32_e32 v46, 3, v0
	v_lshl_add_u64 v[50:51], s[0:1], 0, v[46:47]
	v_cmp_gt_u32_e32 vcc, s33, v0
	s_and_saveexec_b64 s[2:3], vcc
	s_cbranch_execz .LBB1964_299
; %bb.298:
	v_mul_i32_i24_e32 v46, 0xffffff60, v0
	v_add_u32_e32 v1, v1, v46
	ds_read_b64 v[54:55], v1
	s_waitcnt lgkmcnt(0)
	flat_store_dwordx2 v[50:51], v[54:55]
.LBB1964_299:
	s_or_b64 exec, exec, s[2:3]
	v_or_b32_e32 v1, 0x100, v0
	v_cmp_gt_u32_e32 vcc, s33, v1
	s_and_saveexec_b64 s[2:3], vcc
	s_cbranch_execz .LBB1964_301
; %bb.300:
	s_waitcnt lgkmcnt(0)
	flat_store_dwordx2 v[50:51], v[38:39] offset:2048
.LBB1964_301:
	s_or_b64 exec, exec, s[2:3]
	v_or_b32_e32 v1, 0x200, v0
	v_cmp_gt_u32_e32 vcc, s33, v1
	s_and_saveexec_b64 s[2:3], vcc
	s_cbranch_execz .LBB1964_303
; %bb.302:
	s_waitcnt lgkmcnt(0)
	v_add_co_u32_e32 v38, vcc, 0x1000, v50
	s_nop 1
	v_addc_co_u32_e32 v39, vcc, 0, v51, vcc
	flat_store_dwordx2 v[38:39], v[40:41]
.LBB1964_303:
	s_or_b64 exec, exec, s[2:3]
	v_or_b32_e32 v1, 0x300, v0
	v_cmp_gt_u32_e32 vcc, s33, v1
	s_and_saveexec_b64 s[2:3], vcc
	s_cbranch_execz .LBB1964_305
; %bb.304:
	s_waitcnt lgkmcnt(0)
	v_add_co_u32_e32 v38, vcc, 0x1000, v50
	s_nop 1
	v_addc_co_u32_e32 v39, vcc, 0, v51, vcc
	flat_store_dwordx2 v[38:39], v[34:35] offset:2048
.LBB1964_305:
	s_or_b64 exec, exec, s[2:3]
	v_or_b32_e32 v1, 0x400, v0
	v_cmp_gt_u32_e32 vcc, s33, v1
	s_and_saveexec_b64 s[2:3], vcc
	s_cbranch_execz .LBB1964_307
; %bb.306:
	s_waitcnt lgkmcnt(0)
	v_add_co_u32_e32 v34, vcc, 0x2000, v50
	s_nop 1
	v_addc_co_u32_e32 v35, vcc, 0, v51, vcc
	flat_store_dwordx2 v[34:35], v[36:37]
.LBB1964_307:
	s_or_b64 exec, exec, s[2:3]
	v_or_b32_e32 v1, 0x500, v0
	v_cmp_gt_u32_e32 vcc, s33, v1
	s_and_saveexec_b64 s[2:3], vcc
	s_cbranch_execz .LBB1964_309
; %bb.308:
	s_waitcnt lgkmcnt(0)
	v_add_co_u32_e32 v34, vcc, 0x2000, v50
	s_nop 1
	v_addc_co_u32_e32 v35, vcc, 0, v51, vcc
	flat_store_dwordx2 v[34:35], v[30:31] offset:2048
.LBB1964_309:
	;; [unrolled: 24-line block ×9, first 2 shown]
	s_or_b64 exec, exec, s[2:3]
	s_waitcnt lgkmcnt(0)
	v_or_b32_e32 v2, 0x1400, v0
	v_mov_b32_e32 v1, v47
	v_cmp_gt_u32_e64 s[2:3], s33, v2
	s_branch .LBB1964_340
.LBB1964_338:
	s_mov_b64 s[2:3], 0
                                        ; kill: def $vgpr2_vgpr3 killed $sgpr0_sgpr1 killed $exec
                                        ; implicit-def: $vgpr4_vgpr5
	s_cbranch_execz .LBB1964_340
; %bb.339:
	s_movk_i32 s4, 0xa8
	s_waitcnt lgkmcnt(0)
	v_mul_u32_u24_e32 v1, 0xa8, v0
	v_mul_i32_i24_e32 v2, 0xffffff60, v0
	s_barrier
	ds_write2_b64 v1, v[82:83], v[44:45] offset1:1
	ds_write2_b64 v1, v[48:49], v[86:87] offset0:2 offset1:3
	ds_write2_b64 v1, v[52:53], v[88:89] offset0:4 offset1:5
	ds_write2_b64 v1, v[56:57], v[90:91] offset0:6 offset1:7
	ds_write2_b64 v1, v[60:61], v[92:93] offset0:8 offset1:9
	ds_write2_b64 v1, v[64:65], v[94:95] offset0:10 offset1:11
	ds_write2_b64 v1, v[68:69], v[96:97] offset0:12 offset1:13
	ds_write2_b64 v1, v[72:73], v[98:99] offset0:14 offset1:15
	ds_write2_b64 v1, v[76:77], v[100:101] offset0:16 offset1:17
	ds_write2_b64 v1, v[80:81], v[102:103] offset0:18 offset1:19
	ds_write_b64 v1, v[42:43] offset:160
	v_mov_b32_e32 v1, 0
	v_mad_u32_u24 v2, v0, s4, v2
	s_waitcnt lgkmcnt(0)
	s_barrier
	ds_read2st64_b64 v[6:9], v2 offset1:4
	ds_read2st64_b64 v[10:13], v2 offset0:8 offset1:12
	ds_read2st64_b64 v[14:17], v2 offset0:16 offset1:20
	ds_read2st64_b64 v[18:21], v2 offset0:24 offset1:28
	ds_read2st64_b64 v[22:25], v2 offset0:32 offset1:36
	ds_read2st64_b64 v[26:29], v2 offset0:40 offset1:44
	ds_read2st64_b64 v[30:33], v2 offset0:48 offset1:52
	ds_read2st64_b64 v[34:37], v2 offset0:56 offset1:60
	ds_read2st64_b64 v[38:41], v2 offset0:64 offset1:68
	ds_read2st64_b64 v[42:45], v2 offset0:72 offset1:76
	ds_read_b64 v[4:5], v2 offset:40960
	v_lshlrev_b32_e32 v2, 3, v0
	v_mov_b32_e32 v3, v1
	v_lshl_add_u64 v[2:3], s[0:1], 0, v[2:3]
	s_movk_i32 s4, 0x1000
	s_waitcnt lgkmcnt(0)
	flat_store_dwordx2 v[2:3], v[6:7]
	flat_store_dwordx2 v[2:3], v[8:9] offset:2048
	v_add_co_u32_e32 v6, vcc, s4, v2
	s_movk_i32 s4, 0x2000
	s_nop 0
	v_addc_co_u32_e32 v7, vcc, 0, v3, vcc
	flat_store_dwordx2 v[6:7], v[10:11]
	flat_store_dwordx2 v[6:7], v[12:13] offset:2048
	v_add_co_u32_e32 v6, vcc, s4, v2
	s_movk_i32 s4, 0x3000
	s_nop 0
	v_addc_co_u32_e32 v7, vcc, 0, v3, vcc
	;; [unrolled: 6-line block ×6, first 2 shown]
	flat_store_dwordx2 v[6:7], v[30:31]
	flat_store_dwordx2 v[6:7], v[32:33] offset:2048
	v_add_co_u32_e32 v6, vcc, s4, v2
	s_or_b64 s[2:3], s[2:3], exec
	s_nop 0
	v_addc_co_u32_e32 v7, vcc, 0, v3, vcc
	flat_store_dwordx2 v[6:7], v[34:35]
	flat_store_dwordx2 v[6:7], v[36:37] offset:2048
	v_add_co_u32_e32 v6, vcc, 0x8000, v2
	s_nop 1
	v_addc_co_u32_e32 v7, vcc, 0, v3, vcc
	v_add_co_u32_e32 v2, vcc, 0x9000, v2
	flat_store_dwordx2 v[6:7], v[38:39]
	flat_store_dwordx2 v[6:7], v[40:41] offset:2048
	v_addc_co_u32_e32 v3, vcc, 0, v3, vcc
	flat_store_dwordx2 v[2:3], v[42:43]
	flat_store_dwordx2 v[2:3], v[44:45] offset:2048
.LBB1964_340:
	s_and_saveexec_b64 s[4:5], s[2:3]
	s_cbranch_execnz .LBB1964_342
; %bb.341:
	s_endpgm
.LBB1964_342:
	s_waitcnt lgkmcnt(0)
	v_lshl_add_u64 v[0:1], v[0:1], 3, s[0:1]
	v_add_co_u32_e32 v0, vcc, 0xa000, v0
	s_nop 1
	v_addc_co_u32_e32 v1, vcc, 0, v1, vcc
	flat_store_dwordx2 v[0:1], v[4:5]
	s_endpgm
.LBB1964_343:
	v_lshlrev_b32_e32 v60, 3, v62
	v_mov_b32_e32 v61, 0
	v_lshl_add_u64 v[60:61], s[50:51], 0, v[60:61]
	flat_load_dwordx2 v[60:61], v[60:61]
	s_or_b64 exec, exec, s[6:7]
	s_and_saveexec_b64 s[6:7], s[46:47]
	s_cbranch_execz .LBB1964_91
.LBB1964_344:
	v_lshlrev_b32_e32 v58, 3, v63
	v_mov_b32_e32 v59, 0
	v_lshl_add_u64 v[58:59], s[50:51], 0, v[58:59]
	flat_load_dwordx2 v[58:59], v[58:59]
	s_or_b64 exec, exec, s[6:7]
	v_mov_b64_e32 v[62:63], 0
	s_and_saveexec_b64 s[6:7], s[48:49]
	s_cbranch_execnz .LBB1964_92
	s_branch .LBB1964_93
.LBB1964_345:
                                        ; implicit-def: $sgpr58_sgpr59
	s_branch .LBB1964_50
.LBB1964_346:
                                        ; implicit-def: $sgpr6_sgpr7
	s_branch .LBB1964_138
	.section	.rodata,"a",@progbits
	.p2align	6, 0x0
	.amdhsa_kernel _ZN7rocprim17ROCPRIM_400000_NS6detail17trampoline_kernelINS0_14default_configENS1_27scan_by_key_config_selectorIj11FixedVectorIiLj2EEEEZZNS1_16scan_by_key_implILNS1_25lookback_scan_determinismE0ELb0ES3_N6thrust23THRUST_200600_302600_NS6detail15normal_iteratorINSB_10device_ptrIjEEEENSD_INSE_IS6_EEEESI_S6_NSB_4plusIvEENSB_8equal_toIvEES6_EE10hipError_tPvRmT2_T3_T4_T5_mT6_T7_P12ihipStream_tbENKUlT_T0_E_clISt17integral_constantIbLb1EES13_EEDaSY_SZ_EUlSY_E_NS1_11comp_targetILNS1_3genE5ELNS1_11target_archE942ELNS1_3gpuE9ELNS1_3repE0EEENS1_30default_config_static_selectorELNS0_4arch9wavefront6targetE1EEEvT1_
		.amdhsa_group_segment_fixed_size 43008
		.amdhsa_private_segment_fixed_size 0
		.amdhsa_kernarg_size 120
		.amdhsa_user_sgpr_count 2
		.amdhsa_user_sgpr_dispatch_ptr 0
		.amdhsa_user_sgpr_queue_ptr 0
		.amdhsa_user_sgpr_kernarg_segment_ptr 1
		.amdhsa_user_sgpr_dispatch_id 0
		.amdhsa_user_sgpr_kernarg_preload_length 0
		.amdhsa_user_sgpr_kernarg_preload_offset 0
		.amdhsa_user_sgpr_private_segment_size 0
		.amdhsa_uses_dynamic_stack 0
		.amdhsa_enable_private_segment 0
		.amdhsa_system_sgpr_workgroup_id_x 1
		.amdhsa_system_sgpr_workgroup_id_y 0
		.amdhsa_system_sgpr_workgroup_id_z 0
		.amdhsa_system_sgpr_workgroup_info 0
		.amdhsa_system_vgpr_workitem_id 0
		.amdhsa_next_free_vgpr 134
		.amdhsa_next_free_sgpr 100
		.amdhsa_accum_offset 136
		.amdhsa_reserve_vcc 1
		.amdhsa_float_round_mode_32 0
		.amdhsa_float_round_mode_16_64 0
		.amdhsa_float_denorm_mode_32 3
		.amdhsa_float_denorm_mode_16_64 3
		.amdhsa_dx10_clamp 1
		.amdhsa_ieee_mode 1
		.amdhsa_fp16_overflow 0
		.amdhsa_tg_split 0
		.amdhsa_exception_fp_ieee_invalid_op 0
		.amdhsa_exception_fp_denorm_src 0
		.amdhsa_exception_fp_ieee_div_zero 0
		.amdhsa_exception_fp_ieee_overflow 0
		.amdhsa_exception_fp_ieee_underflow 0
		.amdhsa_exception_fp_ieee_inexact 0
		.amdhsa_exception_int_div_zero 0
	.end_amdhsa_kernel
	.section	.text._ZN7rocprim17ROCPRIM_400000_NS6detail17trampoline_kernelINS0_14default_configENS1_27scan_by_key_config_selectorIj11FixedVectorIiLj2EEEEZZNS1_16scan_by_key_implILNS1_25lookback_scan_determinismE0ELb0ES3_N6thrust23THRUST_200600_302600_NS6detail15normal_iteratorINSB_10device_ptrIjEEEENSD_INSE_IS6_EEEESI_S6_NSB_4plusIvEENSB_8equal_toIvEES6_EE10hipError_tPvRmT2_T3_T4_T5_mT6_T7_P12ihipStream_tbENKUlT_T0_E_clISt17integral_constantIbLb1EES13_EEDaSY_SZ_EUlSY_E_NS1_11comp_targetILNS1_3genE5ELNS1_11target_archE942ELNS1_3gpuE9ELNS1_3repE0EEENS1_30default_config_static_selectorELNS0_4arch9wavefront6targetE1EEEvT1_,"axG",@progbits,_ZN7rocprim17ROCPRIM_400000_NS6detail17trampoline_kernelINS0_14default_configENS1_27scan_by_key_config_selectorIj11FixedVectorIiLj2EEEEZZNS1_16scan_by_key_implILNS1_25lookback_scan_determinismE0ELb0ES3_N6thrust23THRUST_200600_302600_NS6detail15normal_iteratorINSB_10device_ptrIjEEEENSD_INSE_IS6_EEEESI_S6_NSB_4plusIvEENSB_8equal_toIvEES6_EE10hipError_tPvRmT2_T3_T4_T5_mT6_T7_P12ihipStream_tbENKUlT_T0_E_clISt17integral_constantIbLb1EES13_EEDaSY_SZ_EUlSY_E_NS1_11comp_targetILNS1_3genE5ELNS1_11target_archE942ELNS1_3gpuE9ELNS1_3repE0EEENS1_30default_config_static_selectorELNS0_4arch9wavefront6targetE1EEEvT1_,comdat
.Lfunc_end1964:
	.size	_ZN7rocprim17ROCPRIM_400000_NS6detail17trampoline_kernelINS0_14default_configENS1_27scan_by_key_config_selectorIj11FixedVectorIiLj2EEEEZZNS1_16scan_by_key_implILNS1_25lookback_scan_determinismE0ELb0ES3_N6thrust23THRUST_200600_302600_NS6detail15normal_iteratorINSB_10device_ptrIjEEEENSD_INSE_IS6_EEEESI_S6_NSB_4plusIvEENSB_8equal_toIvEES6_EE10hipError_tPvRmT2_T3_T4_T5_mT6_T7_P12ihipStream_tbENKUlT_T0_E_clISt17integral_constantIbLb1EES13_EEDaSY_SZ_EUlSY_E_NS1_11comp_targetILNS1_3genE5ELNS1_11target_archE942ELNS1_3gpuE9ELNS1_3repE0EEENS1_30default_config_static_selectorELNS0_4arch9wavefront6targetE1EEEvT1_, .Lfunc_end1964-_ZN7rocprim17ROCPRIM_400000_NS6detail17trampoline_kernelINS0_14default_configENS1_27scan_by_key_config_selectorIj11FixedVectorIiLj2EEEEZZNS1_16scan_by_key_implILNS1_25lookback_scan_determinismE0ELb0ES3_N6thrust23THRUST_200600_302600_NS6detail15normal_iteratorINSB_10device_ptrIjEEEENSD_INSE_IS6_EEEESI_S6_NSB_4plusIvEENSB_8equal_toIvEES6_EE10hipError_tPvRmT2_T3_T4_T5_mT6_T7_P12ihipStream_tbENKUlT_T0_E_clISt17integral_constantIbLb1EES13_EEDaSY_SZ_EUlSY_E_NS1_11comp_targetILNS1_3genE5ELNS1_11target_archE942ELNS1_3gpuE9ELNS1_3repE0EEENS1_30default_config_static_selectorELNS0_4arch9wavefront6targetE1EEEvT1_
                                        ; -- End function
	.section	.AMDGPU.csdata,"",@progbits
; Kernel info:
; codeLenInByte = 19412
; NumSgprs: 106
; NumVgprs: 134
; NumAgprs: 0
; TotalNumVgprs: 134
; ScratchSize: 0
; MemoryBound: 0
; FloatMode: 240
; IeeeMode: 1
; LDSByteSize: 43008 bytes/workgroup (compile time only)
; SGPRBlocks: 13
; VGPRBlocks: 16
; NumSGPRsForWavesPerEU: 106
; NumVGPRsForWavesPerEU: 134
; AccumOffset: 136
; Occupancy: 1
; WaveLimiterHint : 1
; COMPUTE_PGM_RSRC2:SCRATCH_EN: 0
; COMPUTE_PGM_RSRC2:USER_SGPR: 2
; COMPUTE_PGM_RSRC2:TRAP_HANDLER: 0
; COMPUTE_PGM_RSRC2:TGID_X_EN: 1
; COMPUTE_PGM_RSRC2:TGID_Y_EN: 0
; COMPUTE_PGM_RSRC2:TGID_Z_EN: 0
; COMPUTE_PGM_RSRC2:TIDIG_COMP_CNT: 0
; COMPUTE_PGM_RSRC3_GFX90A:ACCUM_OFFSET: 33
; COMPUTE_PGM_RSRC3_GFX90A:TG_SPLIT: 0
	.section	.text._ZN7rocprim17ROCPRIM_400000_NS6detail17trampoline_kernelINS0_14default_configENS1_27scan_by_key_config_selectorIj11FixedVectorIiLj2EEEEZZNS1_16scan_by_key_implILNS1_25lookback_scan_determinismE0ELb0ES3_N6thrust23THRUST_200600_302600_NS6detail15normal_iteratorINSB_10device_ptrIjEEEENSD_INSE_IS6_EEEESI_S6_NSB_4plusIvEENSB_8equal_toIvEES6_EE10hipError_tPvRmT2_T3_T4_T5_mT6_T7_P12ihipStream_tbENKUlT_T0_E_clISt17integral_constantIbLb1EES13_EEDaSY_SZ_EUlSY_E_NS1_11comp_targetILNS1_3genE4ELNS1_11target_archE910ELNS1_3gpuE8ELNS1_3repE0EEENS1_30default_config_static_selectorELNS0_4arch9wavefront6targetE1EEEvT1_,"axG",@progbits,_ZN7rocprim17ROCPRIM_400000_NS6detail17trampoline_kernelINS0_14default_configENS1_27scan_by_key_config_selectorIj11FixedVectorIiLj2EEEEZZNS1_16scan_by_key_implILNS1_25lookback_scan_determinismE0ELb0ES3_N6thrust23THRUST_200600_302600_NS6detail15normal_iteratorINSB_10device_ptrIjEEEENSD_INSE_IS6_EEEESI_S6_NSB_4plusIvEENSB_8equal_toIvEES6_EE10hipError_tPvRmT2_T3_T4_T5_mT6_T7_P12ihipStream_tbENKUlT_T0_E_clISt17integral_constantIbLb1EES13_EEDaSY_SZ_EUlSY_E_NS1_11comp_targetILNS1_3genE4ELNS1_11target_archE910ELNS1_3gpuE8ELNS1_3repE0EEENS1_30default_config_static_selectorELNS0_4arch9wavefront6targetE1EEEvT1_,comdat
	.protected	_ZN7rocprim17ROCPRIM_400000_NS6detail17trampoline_kernelINS0_14default_configENS1_27scan_by_key_config_selectorIj11FixedVectorIiLj2EEEEZZNS1_16scan_by_key_implILNS1_25lookback_scan_determinismE0ELb0ES3_N6thrust23THRUST_200600_302600_NS6detail15normal_iteratorINSB_10device_ptrIjEEEENSD_INSE_IS6_EEEESI_S6_NSB_4plusIvEENSB_8equal_toIvEES6_EE10hipError_tPvRmT2_T3_T4_T5_mT6_T7_P12ihipStream_tbENKUlT_T0_E_clISt17integral_constantIbLb1EES13_EEDaSY_SZ_EUlSY_E_NS1_11comp_targetILNS1_3genE4ELNS1_11target_archE910ELNS1_3gpuE8ELNS1_3repE0EEENS1_30default_config_static_selectorELNS0_4arch9wavefront6targetE1EEEvT1_ ; -- Begin function _ZN7rocprim17ROCPRIM_400000_NS6detail17trampoline_kernelINS0_14default_configENS1_27scan_by_key_config_selectorIj11FixedVectorIiLj2EEEEZZNS1_16scan_by_key_implILNS1_25lookback_scan_determinismE0ELb0ES3_N6thrust23THRUST_200600_302600_NS6detail15normal_iteratorINSB_10device_ptrIjEEEENSD_INSE_IS6_EEEESI_S6_NSB_4plusIvEENSB_8equal_toIvEES6_EE10hipError_tPvRmT2_T3_T4_T5_mT6_T7_P12ihipStream_tbENKUlT_T0_E_clISt17integral_constantIbLb1EES13_EEDaSY_SZ_EUlSY_E_NS1_11comp_targetILNS1_3genE4ELNS1_11target_archE910ELNS1_3gpuE8ELNS1_3repE0EEENS1_30default_config_static_selectorELNS0_4arch9wavefront6targetE1EEEvT1_
	.globl	_ZN7rocprim17ROCPRIM_400000_NS6detail17trampoline_kernelINS0_14default_configENS1_27scan_by_key_config_selectorIj11FixedVectorIiLj2EEEEZZNS1_16scan_by_key_implILNS1_25lookback_scan_determinismE0ELb0ES3_N6thrust23THRUST_200600_302600_NS6detail15normal_iteratorINSB_10device_ptrIjEEEENSD_INSE_IS6_EEEESI_S6_NSB_4plusIvEENSB_8equal_toIvEES6_EE10hipError_tPvRmT2_T3_T4_T5_mT6_T7_P12ihipStream_tbENKUlT_T0_E_clISt17integral_constantIbLb1EES13_EEDaSY_SZ_EUlSY_E_NS1_11comp_targetILNS1_3genE4ELNS1_11target_archE910ELNS1_3gpuE8ELNS1_3repE0EEENS1_30default_config_static_selectorELNS0_4arch9wavefront6targetE1EEEvT1_
	.p2align	8
	.type	_ZN7rocprim17ROCPRIM_400000_NS6detail17trampoline_kernelINS0_14default_configENS1_27scan_by_key_config_selectorIj11FixedVectorIiLj2EEEEZZNS1_16scan_by_key_implILNS1_25lookback_scan_determinismE0ELb0ES3_N6thrust23THRUST_200600_302600_NS6detail15normal_iteratorINSB_10device_ptrIjEEEENSD_INSE_IS6_EEEESI_S6_NSB_4plusIvEENSB_8equal_toIvEES6_EE10hipError_tPvRmT2_T3_T4_T5_mT6_T7_P12ihipStream_tbENKUlT_T0_E_clISt17integral_constantIbLb1EES13_EEDaSY_SZ_EUlSY_E_NS1_11comp_targetILNS1_3genE4ELNS1_11target_archE910ELNS1_3gpuE8ELNS1_3repE0EEENS1_30default_config_static_selectorELNS0_4arch9wavefront6targetE1EEEvT1_,@function
_ZN7rocprim17ROCPRIM_400000_NS6detail17trampoline_kernelINS0_14default_configENS1_27scan_by_key_config_selectorIj11FixedVectorIiLj2EEEEZZNS1_16scan_by_key_implILNS1_25lookback_scan_determinismE0ELb0ES3_N6thrust23THRUST_200600_302600_NS6detail15normal_iteratorINSB_10device_ptrIjEEEENSD_INSE_IS6_EEEESI_S6_NSB_4plusIvEENSB_8equal_toIvEES6_EE10hipError_tPvRmT2_T3_T4_T5_mT6_T7_P12ihipStream_tbENKUlT_T0_E_clISt17integral_constantIbLb1EES13_EEDaSY_SZ_EUlSY_E_NS1_11comp_targetILNS1_3genE4ELNS1_11target_archE910ELNS1_3gpuE8ELNS1_3repE0EEENS1_30default_config_static_selectorELNS0_4arch9wavefront6targetE1EEEvT1_: ; @_ZN7rocprim17ROCPRIM_400000_NS6detail17trampoline_kernelINS0_14default_configENS1_27scan_by_key_config_selectorIj11FixedVectorIiLj2EEEEZZNS1_16scan_by_key_implILNS1_25lookback_scan_determinismE0ELb0ES3_N6thrust23THRUST_200600_302600_NS6detail15normal_iteratorINSB_10device_ptrIjEEEENSD_INSE_IS6_EEEESI_S6_NSB_4plusIvEENSB_8equal_toIvEES6_EE10hipError_tPvRmT2_T3_T4_T5_mT6_T7_P12ihipStream_tbENKUlT_T0_E_clISt17integral_constantIbLb1EES13_EEDaSY_SZ_EUlSY_E_NS1_11comp_targetILNS1_3genE4ELNS1_11target_archE910ELNS1_3gpuE8ELNS1_3repE0EEENS1_30default_config_static_selectorELNS0_4arch9wavefront6targetE1EEEvT1_
; %bb.0:
	.section	.rodata,"a",@progbits
	.p2align	6, 0x0
	.amdhsa_kernel _ZN7rocprim17ROCPRIM_400000_NS6detail17trampoline_kernelINS0_14default_configENS1_27scan_by_key_config_selectorIj11FixedVectorIiLj2EEEEZZNS1_16scan_by_key_implILNS1_25lookback_scan_determinismE0ELb0ES3_N6thrust23THRUST_200600_302600_NS6detail15normal_iteratorINSB_10device_ptrIjEEEENSD_INSE_IS6_EEEESI_S6_NSB_4plusIvEENSB_8equal_toIvEES6_EE10hipError_tPvRmT2_T3_T4_T5_mT6_T7_P12ihipStream_tbENKUlT_T0_E_clISt17integral_constantIbLb1EES13_EEDaSY_SZ_EUlSY_E_NS1_11comp_targetILNS1_3genE4ELNS1_11target_archE910ELNS1_3gpuE8ELNS1_3repE0EEENS1_30default_config_static_selectorELNS0_4arch9wavefront6targetE1EEEvT1_
		.amdhsa_group_segment_fixed_size 0
		.amdhsa_private_segment_fixed_size 0
		.amdhsa_kernarg_size 120
		.amdhsa_user_sgpr_count 2
		.amdhsa_user_sgpr_dispatch_ptr 0
		.amdhsa_user_sgpr_queue_ptr 0
		.amdhsa_user_sgpr_kernarg_segment_ptr 1
		.amdhsa_user_sgpr_dispatch_id 0
		.amdhsa_user_sgpr_kernarg_preload_length 0
		.amdhsa_user_sgpr_kernarg_preload_offset 0
		.amdhsa_user_sgpr_private_segment_size 0
		.amdhsa_uses_dynamic_stack 0
		.amdhsa_enable_private_segment 0
		.amdhsa_system_sgpr_workgroup_id_x 1
		.amdhsa_system_sgpr_workgroup_id_y 0
		.amdhsa_system_sgpr_workgroup_id_z 0
		.amdhsa_system_sgpr_workgroup_info 0
		.amdhsa_system_vgpr_workitem_id 0
		.amdhsa_next_free_vgpr 1
		.amdhsa_next_free_sgpr 0
		.amdhsa_accum_offset 4
		.amdhsa_reserve_vcc 0
		.amdhsa_float_round_mode_32 0
		.amdhsa_float_round_mode_16_64 0
		.amdhsa_float_denorm_mode_32 3
		.amdhsa_float_denorm_mode_16_64 3
		.amdhsa_dx10_clamp 1
		.amdhsa_ieee_mode 1
		.amdhsa_fp16_overflow 0
		.amdhsa_tg_split 0
		.amdhsa_exception_fp_ieee_invalid_op 0
		.amdhsa_exception_fp_denorm_src 0
		.amdhsa_exception_fp_ieee_div_zero 0
		.amdhsa_exception_fp_ieee_overflow 0
		.amdhsa_exception_fp_ieee_underflow 0
		.amdhsa_exception_fp_ieee_inexact 0
		.amdhsa_exception_int_div_zero 0
	.end_amdhsa_kernel
	.section	.text._ZN7rocprim17ROCPRIM_400000_NS6detail17trampoline_kernelINS0_14default_configENS1_27scan_by_key_config_selectorIj11FixedVectorIiLj2EEEEZZNS1_16scan_by_key_implILNS1_25lookback_scan_determinismE0ELb0ES3_N6thrust23THRUST_200600_302600_NS6detail15normal_iteratorINSB_10device_ptrIjEEEENSD_INSE_IS6_EEEESI_S6_NSB_4plusIvEENSB_8equal_toIvEES6_EE10hipError_tPvRmT2_T3_T4_T5_mT6_T7_P12ihipStream_tbENKUlT_T0_E_clISt17integral_constantIbLb1EES13_EEDaSY_SZ_EUlSY_E_NS1_11comp_targetILNS1_3genE4ELNS1_11target_archE910ELNS1_3gpuE8ELNS1_3repE0EEENS1_30default_config_static_selectorELNS0_4arch9wavefront6targetE1EEEvT1_,"axG",@progbits,_ZN7rocprim17ROCPRIM_400000_NS6detail17trampoline_kernelINS0_14default_configENS1_27scan_by_key_config_selectorIj11FixedVectorIiLj2EEEEZZNS1_16scan_by_key_implILNS1_25lookback_scan_determinismE0ELb0ES3_N6thrust23THRUST_200600_302600_NS6detail15normal_iteratorINSB_10device_ptrIjEEEENSD_INSE_IS6_EEEESI_S6_NSB_4plusIvEENSB_8equal_toIvEES6_EE10hipError_tPvRmT2_T3_T4_T5_mT6_T7_P12ihipStream_tbENKUlT_T0_E_clISt17integral_constantIbLb1EES13_EEDaSY_SZ_EUlSY_E_NS1_11comp_targetILNS1_3genE4ELNS1_11target_archE910ELNS1_3gpuE8ELNS1_3repE0EEENS1_30default_config_static_selectorELNS0_4arch9wavefront6targetE1EEEvT1_,comdat
.Lfunc_end1965:
	.size	_ZN7rocprim17ROCPRIM_400000_NS6detail17trampoline_kernelINS0_14default_configENS1_27scan_by_key_config_selectorIj11FixedVectorIiLj2EEEEZZNS1_16scan_by_key_implILNS1_25lookback_scan_determinismE0ELb0ES3_N6thrust23THRUST_200600_302600_NS6detail15normal_iteratorINSB_10device_ptrIjEEEENSD_INSE_IS6_EEEESI_S6_NSB_4plusIvEENSB_8equal_toIvEES6_EE10hipError_tPvRmT2_T3_T4_T5_mT6_T7_P12ihipStream_tbENKUlT_T0_E_clISt17integral_constantIbLb1EES13_EEDaSY_SZ_EUlSY_E_NS1_11comp_targetILNS1_3genE4ELNS1_11target_archE910ELNS1_3gpuE8ELNS1_3repE0EEENS1_30default_config_static_selectorELNS0_4arch9wavefront6targetE1EEEvT1_, .Lfunc_end1965-_ZN7rocprim17ROCPRIM_400000_NS6detail17trampoline_kernelINS0_14default_configENS1_27scan_by_key_config_selectorIj11FixedVectorIiLj2EEEEZZNS1_16scan_by_key_implILNS1_25lookback_scan_determinismE0ELb0ES3_N6thrust23THRUST_200600_302600_NS6detail15normal_iteratorINSB_10device_ptrIjEEEENSD_INSE_IS6_EEEESI_S6_NSB_4plusIvEENSB_8equal_toIvEES6_EE10hipError_tPvRmT2_T3_T4_T5_mT6_T7_P12ihipStream_tbENKUlT_T0_E_clISt17integral_constantIbLb1EES13_EEDaSY_SZ_EUlSY_E_NS1_11comp_targetILNS1_3genE4ELNS1_11target_archE910ELNS1_3gpuE8ELNS1_3repE0EEENS1_30default_config_static_selectorELNS0_4arch9wavefront6targetE1EEEvT1_
                                        ; -- End function
	.section	.AMDGPU.csdata,"",@progbits
; Kernel info:
; codeLenInByte = 0
; NumSgprs: 6
; NumVgprs: 0
; NumAgprs: 0
; TotalNumVgprs: 0
; ScratchSize: 0
; MemoryBound: 0
; FloatMode: 240
; IeeeMode: 1
; LDSByteSize: 0 bytes/workgroup (compile time only)
; SGPRBlocks: 0
; VGPRBlocks: 0
; NumSGPRsForWavesPerEU: 6
; NumVGPRsForWavesPerEU: 1
; AccumOffset: 4
; Occupancy: 8
; WaveLimiterHint : 0
; COMPUTE_PGM_RSRC2:SCRATCH_EN: 0
; COMPUTE_PGM_RSRC2:USER_SGPR: 2
; COMPUTE_PGM_RSRC2:TRAP_HANDLER: 0
; COMPUTE_PGM_RSRC2:TGID_X_EN: 1
; COMPUTE_PGM_RSRC2:TGID_Y_EN: 0
; COMPUTE_PGM_RSRC2:TGID_Z_EN: 0
; COMPUTE_PGM_RSRC2:TIDIG_COMP_CNT: 0
; COMPUTE_PGM_RSRC3_GFX90A:ACCUM_OFFSET: 0
; COMPUTE_PGM_RSRC3_GFX90A:TG_SPLIT: 0
	.section	.text._ZN7rocprim17ROCPRIM_400000_NS6detail17trampoline_kernelINS0_14default_configENS1_27scan_by_key_config_selectorIj11FixedVectorIiLj2EEEEZZNS1_16scan_by_key_implILNS1_25lookback_scan_determinismE0ELb0ES3_N6thrust23THRUST_200600_302600_NS6detail15normal_iteratorINSB_10device_ptrIjEEEENSD_INSE_IS6_EEEESI_S6_NSB_4plusIvEENSB_8equal_toIvEES6_EE10hipError_tPvRmT2_T3_T4_T5_mT6_T7_P12ihipStream_tbENKUlT_T0_E_clISt17integral_constantIbLb1EES13_EEDaSY_SZ_EUlSY_E_NS1_11comp_targetILNS1_3genE3ELNS1_11target_archE908ELNS1_3gpuE7ELNS1_3repE0EEENS1_30default_config_static_selectorELNS0_4arch9wavefront6targetE1EEEvT1_,"axG",@progbits,_ZN7rocprim17ROCPRIM_400000_NS6detail17trampoline_kernelINS0_14default_configENS1_27scan_by_key_config_selectorIj11FixedVectorIiLj2EEEEZZNS1_16scan_by_key_implILNS1_25lookback_scan_determinismE0ELb0ES3_N6thrust23THRUST_200600_302600_NS6detail15normal_iteratorINSB_10device_ptrIjEEEENSD_INSE_IS6_EEEESI_S6_NSB_4plusIvEENSB_8equal_toIvEES6_EE10hipError_tPvRmT2_T3_T4_T5_mT6_T7_P12ihipStream_tbENKUlT_T0_E_clISt17integral_constantIbLb1EES13_EEDaSY_SZ_EUlSY_E_NS1_11comp_targetILNS1_3genE3ELNS1_11target_archE908ELNS1_3gpuE7ELNS1_3repE0EEENS1_30default_config_static_selectorELNS0_4arch9wavefront6targetE1EEEvT1_,comdat
	.protected	_ZN7rocprim17ROCPRIM_400000_NS6detail17trampoline_kernelINS0_14default_configENS1_27scan_by_key_config_selectorIj11FixedVectorIiLj2EEEEZZNS1_16scan_by_key_implILNS1_25lookback_scan_determinismE0ELb0ES3_N6thrust23THRUST_200600_302600_NS6detail15normal_iteratorINSB_10device_ptrIjEEEENSD_INSE_IS6_EEEESI_S6_NSB_4plusIvEENSB_8equal_toIvEES6_EE10hipError_tPvRmT2_T3_T4_T5_mT6_T7_P12ihipStream_tbENKUlT_T0_E_clISt17integral_constantIbLb1EES13_EEDaSY_SZ_EUlSY_E_NS1_11comp_targetILNS1_3genE3ELNS1_11target_archE908ELNS1_3gpuE7ELNS1_3repE0EEENS1_30default_config_static_selectorELNS0_4arch9wavefront6targetE1EEEvT1_ ; -- Begin function _ZN7rocprim17ROCPRIM_400000_NS6detail17trampoline_kernelINS0_14default_configENS1_27scan_by_key_config_selectorIj11FixedVectorIiLj2EEEEZZNS1_16scan_by_key_implILNS1_25lookback_scan_determinismE0ELb0ES3_N6thrust23THRUST_200600_302600_NS6detail15normal_iteratorINSB_10device_ptrIjEEEENSD_INSE_IS6_EEEESI_S6_NSB_4plusIvEENSB_8equal_toIvEES6_EE10hipError_tPvRmT2_T3_T4_T5_mT6_T7_P12ihipStream_tbENKUlT_T0_E_clISt17integral_constantIbLb1EES13_EEDaSY_SZ_EUlSY_E_NS1_11comp_targetILNS1_3genE3ELNS1_11target_archE908ELNS1_3gpuE7ELNS1_3repE0EEENS1_30default_config_static_selectorELNS0_4arch9wavefront6targetE1EEEvT1_
	.globl	_ZN7rocprim17ROCPRIM_400000_NS6detail17trampoline_kernelINS0_14default_configENS1_27scan_by_key_config_selectorIj11FixedVectorIiLj2EEEEZZNS1_16scan_by_key_implILNS1_25lookback_scan_determinismE0ELb0ES3_N6thrust23THRUST_200600_302600_NS6detail15normal_iteratorINSB_10device_ptrIjEEEENSD_INSE_IS6_EEEESI_S6_NSB_4plusIvEENSB_8equal_toIvEES6_EE10hipError_tPvRmT2_T3_T4_T5_mT6_T7_P12ihipStream_tbENKUlT_T0_E_clISt17integral_constantIbLb1EES13_EEDaSY_SZ_EUlSY_E_NS1_11comp_targetILNS1_3genE3ELNS1_11target_archE908ELNS1_3gpuE7ELNS1_3repE0EEENS1_30default_config_static_selectorELNS0_4arch9wavefront6targetE1EEEvT1_
	.p2align	8
	.type	_ZN7rocprim17ROCPRIM_400000_NS6detail17trampoline_kernelINS0_14default_configENS1_27scan_by_key_config_selectorIj11FixedVectorIiLj2EEEEZZNS1_16scan_by_key_implILNS1_25lookback_scan_determinismE0ELb0ES3_N6thrust23THRUST_200600_302600_NS6detail15normal_iteratorINSB_10device_ptrIjEEEENSD_INSE_IS6_EEEESI_S6_NSB_4plusIvEENSB_8equal_toIvEES6_EE10hipError_tPvRmT2_T3_T4_T5_mT6_T7_P12ihipStream_tbENKUlT_T0_E_clISt17integral_constantIbLb1EES13_EEDaSY_SZ_EUlSY_E_NS1_11comp_targetILNS1_3genE3ELNS1_11target_archE908ELNS1_3gpuE7ELNS1_3repE0EEENS1_30default_config_static_selectorELNS0_4arch9wavefront6targetE1EEEvT1_,@function
_ZN7rocprim17ROCPRIM_400000_NS6detail17trampoline_kernelINS0_14default_configENS1_27scan_by_key_config_selectorIj11FixedVectorIiLj2EEEEZZNS1_16scan_by_key_implILNS1_25lookback_scan_determinismE0ELb0ES3_N6thrust23THRUST_200600_302600_NS6detail15normal_iteratorINSB_10device_ptrIjEEEENSD_INSE_IS6_EEEESI_S6_NSB_4plusIvEENSB_8equal_toIvEES6_EE10hipError_tPvRmT2_T3_T4_T5_mT6_T7_P12ihipStream_tbENKUlT_T0_E_clISt17integral_constantIbLb1EES13_EEDaSY_SZ_EUlSY_E_NS1_11comp_targetILNS1_3genE3ELNS1_11target_archE908ELNS1_3gpuE7ELNS1_3repE0EEENS1_30default_config_static_selectorELNS0_4arch9wavefront6targetE1EEEvT1_: ; @_ZN7rocprim17ROCPRIM_400000_NS6detail17trampoline_kernelINS0_14default_configENS1_27scan_by_key_config_selectorIj11FixedVectorIiLj2EEEEZZNS1_16scan_by_key_implILNS1_25lookback_scan_determinismE0ELb0ES3_N6thrust23THRUST_200600_302600_NS6detail15normal_iteratorINSB_10device_ptrIjEEEENSD_INSE_IS6_EEEESI_S6_NSB_4plusIvEENSB_8equal_toIvEES6_EE10hipError_tPvRmT2_T3_T4_T5_mT6_T7_P12ihipStream_tbENKUlT_T0_E_clISt17integral_constantIbLb1EES13_EEDaSY_SZ_EUlSY_E_NS1_11comp_targetILNS1_3genE3ELNS1_11target_archE908ELNS1_3gpuE7ELNS1_3repE0EEENS1_30default_config_static_selectorELNS0_4arch9wavefront6targetE1EEEvT1_
; %bb.0:
	.section	.rodata,"a",@progbits
	.p2align	6, 0x0
	.amdhsa_kernel _ZN7rocprim17ROCPRIM_400000_NS6detail17trampoline_kernelINS0_14default_configENS1_27scan_by_key_config_selectorIj11FixedVectorIiLj2EEEEZZNS1_16scan_by_key_implILNS1_25lookback_scan_determinismE0ELb0ES3_N6thrust23THRUST_200600_302600_NS6detail15normal_iteratorINSB_10device_ptrIjEEEENSD_INSE_IS6_EEEESI_S6_NSB_4plusIvEENSB_8equal_toIvEES6_EE10hipError_tPvRmT2_T3_T4_T5_mT6_T7_P12ihipStream_tbENKUlT_T0_E_clISt17integral_constantIbLb1EES13_EEDaSY_SZ_EUlSY_E_NS1_11comp_targetILNS1_3genE3ELNS1_11target_archE908ELNS1_3gpuE7ELNS1_3repE0EEENS1_30default_config_static_selectorELNS0_4arch9wavefront6targetE1EEEvT1_
		.amdhsa_group_segment_fixed_size 0
		.amdhsa_private_segment_fixed_size 0
		.amdhsa_kernarg_size 120
		.amdhsa_user_sgpr_count 2
		.amdhsa_user_sgpr_dispatch_ptr 0
		.amdhsa_user_sgpr_queue_ptr 0
		.amdhsa_user_sgpr_kernarg_segment_ptr 1
		.amdhsa_user_sgpr_dispatch_id 0
		.amdhsa_user_sgpr_kernarg_preload_length 0
		.amdhsa_user_sgpr_kernarg_preload_offset 0
		.amdhsa_user_sgpr_private_segment_size 0
		.amdhsa_uses_dynamic_stack 0
		.amdhsa_enable_private_segment 0
		.amdhsa_system_sgpr_workgroup_id_x 1
		.amdhsa_system_sgpr_workgroup_id_y 0
		.amdhsa_system_sgpr_workgroup_id_z 0
		.amdhsa_system_sgpr_workgroup_info 0
		.amdhsa_system_vgpr_workitem_id 0
		.amdhsa_next_free_vgpr 1
		.amdhsa_next_free_sgpr 0
		.amdhsa_accum_offset 4
		.amdhsa_reserve_vcc 0
		.amdhsa_float_round_mode_32 0
		.amdhsa_float_round_mode_16_64 0
		.amdhsa_float_denorm_mode_32 3
		.amdhsa_float_denorm_mode_16_64 3
		.amdhsa_dx10_clamp 1
		.amdhsa_ieee_mode 1
		.amdhsa_fp16_overflow 0
		.amdhsa_tg_split 0
		.amdhsa_exception_fp_ieee_invalid_op 0
		.amdhsa_exception_fp_denorm_src 0
		.amdhsa_exception_fp_ieee_div_zero 0
		.amdhsa_exception_fp_ieee_overflow 0
		.amdhsa_exception_fp_ieee_underflow 0
		.amdhsa_exception_fp_ieee_inexact 0
		.amdhsa_exception_int_div_zero 0
	.end_amdhsa_kernel
	.section	.text._ZN7rocprim17ROCPRIM_400000_NS6detail17trampoline_kernelINS0_14default_configENS1_27scan_by_key_config_selectorIj11FixedVectorIiLj2EEEEZZNS1_16scan_by_key_implILNS1_25lookback_scan_determinismE0ELb0ES3_N6thrust23THRUST_200600_302600_NS6detail15normal_iteratorINSB_10device_ptrIjEEEENSD_INSE_IS6_EEEESI_S6_NSB_4plusIvEENSB_8equal_toIvEES6_EE10hipError_tPvRmT2_T3_T4_T5_mT6_T7_P12ihipStream_tbENKUlT_T0_E_clISt17integral_constantIbLb1EES13_EEDaSY_SZ_EUlSY_E_NS1_11comp_targetILNS1_3genE3ELNS1_11target_archE908ELNS1_3gpuE7ELNS1_3repE0EEENS1_30default_config_static_selectorELNS0_4arch9wavefront6targetE1EEEvT1_,"axG",@progbits,_ZN7rocprim17ROCPRIM_400000_NS6detail17trampoline_kernelINS0_14default_configENS1_27scan_by_key_config_selectorIj11FixedVectorIiLj2EEEEZZNS1_16scan_by_key_implILNS1_25lookback_scan_determinismE0ELb0ES3_N6thrust23THRUST_200600_302600_NS6detail15normal_iteratorINSB_10device_ptrIjEEEENSD_INSE_IS6_EEEESI_S6_NSB_4plusIvEENSB_8equal_toIvEES6_EE10hipError_tPvRmT2_T3_T4_T5_mT6_T7_P12ihipStream_tbENKUlT_T0_E_clISt17integral_constantIbLb1EES13_EEDaSY_SZ_EUlSY_E_NS1_11comp_targetILNS1_3genE3ELNS1_11target_archE908ELNS1_3gpuE7ELNS1_3repE0EEENS1_30default_config_static_selectorELNS0_4arch9wavefront6targetE1EEEvT1_,comdat
.Lfunc_end1966:
	.size	_ZN7rocprim17ROCPRIM_400000_NS6detail17trampoline_kernelINS0_14default_configENS1_27scan_by_key_config_selectorIj11FixedVectorIiLj2EEEEZZNS1_16scan_by_key_implILNS1_25lookback_scan_determinismE0ELb0ES3_N6thrust23THRUST_200600_302600_NS6detail15normal_iteratorINSB_10device_ptrIjEEEENSD_INSE_IS6_EEEESI_S6_NSB_4plusIvEENSB_8equal_toIvEES6_EE10hipError_tPvRmT2_T3_T4_T5_mT6_T7_P12ihipStream_tbENKUlT_T0_E_clISt17integral_constantIbLb1EES13_EEDaSY_SZ_EUlSY_E_NS1_11comp_targetILNS1_3genE3ELNS1_11target_archE908ELNS1_3gpuE7ELNS1_3repE0EEENS1_30default_config_static_selectorELNS0_4arch9wavefront6targetE1EEEvT1_, .Lfunc_end1966-_ZN7rocprim17ROCPRIM_400000_NS6detail17trampoline_kernelINS0_14default_configENS1_27scan_by_key_config_selectorIj11FixedVectorIiLj2EEEEZZNS1_16scan_by_key_implILNS1_25lookback_scan_determinismE0ELb0ES3_N6thrust23THRUST_200600_302600_NS6detail15normal_iteratorINSB_10device_ptrIjEEEENSD_INSE_IS6_EEEESI_S6_NSB_4plusIvEENSB_8equal_toIvEES6_EE10hipError_tPvRmT2_T3_T4_T5_mT6_T7_P12ihipStream_tbENKUlT_T0_E_clISt17integral_constantIbLb1EES13_EEDaSY_SZ_EUlSY_E_NS1_11comp_targetILNS1_3genE3ELNS1_11target_archE908ELNS1_3gpuE7ELNS1_3repE0EEENS1_30default_config_static_selectorELNS0_4arch9wavefront6targetE1EEEvT1_
                                        ; -- End function
	.section	.AMDGPU.csdata,"",@progbits
; Kernel info:
; codeLenInByte = 0
; NumSgprs: 6
; NumVgprs: 0
; NumAgprs: 0
; TotalNumVgprs: 0
; ScratchSize: 0
; MemoryBound: 0
; FloatMode: 240
; IeeeMode: 1
; LDSByteSize: 0 bytes/workgroup (compile time only)
; SGPRBlocks: 0
; VGPRBlocks: 0
; NumSGPRsForWavesPerEU: 6
; NumVGPRsForWavesPerEU: 1
; AccumOffset: 4
; Occupancy: 8
; WaveLimiterHint : 0
; COMPUTE_PGM_RSRC2:SCRATCH_EN: 0
; COMPUTE_PGM_RSRC2:USER_SGPR: 2
; COMPUTE_PGM_RSRC2:TRAP_HANDLER: 0
; COMPUTE_PGM_RSRC2:TGID_X_EN: 1
; COMPUTE_PGM_RSRC2:TGID_Y_EN: 0
; COMPUTE_PGM_RSRC2:TGID_Z_EN: 0
; COMPUTE_PGM_RSRC2:TIDIG_COMP_CNT: 0
; COMPUTE_PGM_RSRC3_GFX90A:ACCUM_OFFSET: 0
; COMPUTE_PGM_RSRC3_GFX90A:TG_SPLIT: 0
	.section	.text._ZN7rocprim17ROCPRIM_400000_NS6detail17trampoline_kernelINS0_14default_configENS1_27scan_by_key_config_selectorIj11FixedVectorIiLj2EEEEZZNS1_16scan_by_key_implILNS1_25lookback_scan_determinismE0ELb0ES3_N6thrust23THRUST_200600_302600_NS6detail15normal_iteratorINSB_10device_ptrIjEEEENSD_INSE_IS6_EEEESI_S6_NSB_4plusIvEENSB_8equal_toIvEES6_EE10hipError_tPvRmT2_T3_T4_T5_mT6_T7_P12ihipStream_tbENKUlT_T0_E_clISt17integral_constantIbLb1EES13_EEDaSY_SZ_EUlSY_E_NS1_11comp_targetILNS1_3genE2ELNS1_11target_archE906ELNS1_3gpuE6ELNS1_3repE0EEENS1_30default_config_static_selectorELNS0_4arch9wavefront6targetE1EEEvT1_,"axG",@progbits,_ZN7rocprim17ROCPRIM_400000_NS6detail17trampoline_kernelINS0_14default_configENS1_27scan_by_key_config_selectorIj11FixedVectorIiLj2EEEEZZNS1_16scan_by_key_implILNS1_25lookback_scan_determinismE0ELb0ES3_N6thrust23THRUST_200600_302600_NS6detail15normal_iteratorINSB_10device_ptrIjEEEENSD_INSE_IS6_EEEESI_S6_NSB_4plusIvEENSB_8equal_toIvEES6_EE10hipError_tPvRmT2_T3_T4_T5_mT6_T7_P12ihipStream_tbENKUlT_T0_E_clISt17integral_constantIbLb1EES13_EEDaSY_SZ_EUlSY_E_NS1_11comp_targetILNS1_3genE2ELNS1_11target_archE906ELNS1_3gpuE6ELNS1_3repE0EEENS1_30default_config_static_selectorELNS0_4arch9wavefront6targetE1EEEvT1_,comdat
	.protected	_ZN7rocprim17ROCPRIM_400000_NS6detail17trampoline_kernelINS0_14default_configENS1_27scan_by_key_config_selectorIj11FixedVectorIiLj2EEEEZZNS1_16scan_by_key_implILNS1_25lookback_scan_determinismE0ELb0ES3_N6thrust23THRUST_200600_302600_NS6detail15normal_iteratorINSB_10device_ptrIjEEEENSD_INSE_IS6_EEEESI_S6_NSB_4plusIvEENSB_8equal_toIvEES6_EE10hipError_tPvRmT2_T3_T4_T5_mT6_T7_P12ihipStream_tbENKUlT_T0_E_clISt17integral_constantIbLb1EES13_EEDaSY_SZ_EUlSY_E_NS1_11comp_targetILNS1_3genE2ELNS1_11target_archE906ELNS1_3gpuE6ELNS1_3repE0EEENS1_30default_config_static_selectorELNS0_4arch9wavefront6targetE1EEEvT1_ ; -- Begin function _ZN7rocprim17ROCPRIM_400000_NS6detail17trampoline_kernelINS0_14default_configENS1_27scan_by_key_config_selectorIj11FixedVectorIiLj2EEEEZZNS1_16scan_by_key_implILNS1_25lookback_scan_determinismE0ELb0ES3_N6thrust23THRUST_200600_302600_NS6detail15normal_iteratorINSB_10device_ptrIjEEEENSD_INSE_IS6_EEEESI_S6_NSB_4plusIvEENSB_8equal_toIvEES6_EE10hipError_tPvRmT2_T3_T4_T5_mT6_T7_P12ihipStream_tbENKUlT_T0_E_clISt17integral_constantIbLb1EES13_EEDaSY_SZ_EUlSY_E_NS1_11comp_targetILNS1_3genE2ELNS1_11target_archE906ELNS1_3gpuE6ELNS1_3repE0EEENS1_30default_config_static_selectorELNS0_4arch9wavefront6targetE1EEEvT1_
	.globl	_ZN7rocprim17ROCPRIM_400000_NS6detail17trampoline_kernelINS0_14default_configENS1_27scan_by_key_config_selectorIj11FixedVectorIiLj2EEEEZZNS1_16scan_by_key_implILNS1_25lookback_scan_determinismE0ELb0ES3_N6thrust23THRUST_200600_302600_NS6detail15normal_iteratorINSB_10device_ptrIjEEEENSD_INSE_IS6_EEEESI_S6_NSB_4plusIvEENSB_8equal_toIvEES6_EE10hipError_tPvRmT2_T3_T4_T5_mT6_T7_P12ihipStream_tbENKUlT_T0_E_clISt17integral_constantIbLb1EES13_EEDaSY_SZ_EUlSY_E_NS1_11comp_targetILNS1_3genE2ELNS1_11target_archE906ELNS1_3gpuE6ELNS1_3repE0EEENS1_30default_config_static_selectorELNS0_4arch9wavefront6targetE1EEEvT1_
	.p2align	8
	.type	_ZN7rocprim17ROCPRIM_400000_NS6detail17trampoline_kernelINS0_14default_configENS1_27scan_by_key_config_selectorIj11FixedVectorIiLj2EEEEZZNS1_16scan_by_key_implILNS1_25lookback_scan_determinismE0ELb0ES3_N6thrust23THRUST_200600_302600_NS6detail15normal_iteratorINSB_10device_ptrIjEEEENSD_INSE_IS6_EEEESI_S6_NSB_4plusIvEENSB_8equal_toIvEES6_EE10hipError_tPvRmT2_T3_T4_T5_mT6_T7_P12ihipStream_tbENKUlT_T0_E_clISt17integral_constantIbLb1EES13_EEDaSY_SZ_EUlSY_E_NS1_11comp_targetILNS1_3genE2ELNS1_11target_archE906ELNS1_3gpuE6ELNS1_3repE0EEENS1_30default_config_static_selectorELNS0_4arch9wavefront6targetE1EEEvT1_,@function
_ZN7rocprim17ROCPRIM_400000_NS6detail17trampoline_kernelINS0_14default_configENS1_27scan_by_key_config_selectorIj11FixedVectorIiLj2EEEEZZNS1_16scan_by_key_implILNS1_25lookback_scan_determinismE0ELb0ES3_N6thrust23THRUST_200600_302600_NS6detail15normal_iteratorINSB_10device_ptrIjEEEENSD_INSE_IS6_EEEESI_S6_NSB_4plusIvEENSB_8equal_toIvEES6_EE10hipError_tPvRmT2_T3_T4_T5_mT6_T7_P12ihipStream_tbENKUlT_T0_E_clISt17integral_constantIbLb1EES13_EEDaSY_SZ_EUlSY_E_NS1_11comp_targetILNS1_3genE2ELNS1_11target_archE906ELNS1_3gpuE6ELNS1_3repE0EEENS1_30default_config_static_selectorELNS0_4arch9wavefront6targetE1EEEvT1_: ; @_ZN7rocprim17ROCPRIM_400000_NS6detail17trampoline_kernelINS0_14default_configENS1_27scan_by_key_config_selectorIj11FixedVectorIiLj2EEEEZZNS1_16scan_by_key_implILNS1_25lookback_scan_determinismE0ELb0ES3_N6thrust23THRUST_200600_302600_NS6detail15normal_iteratorINSB_10device_ptrIjEEEENSD_INSE_IS6_EEEESI_S6_NSB_4plusIvEENSB_8equal_toIvEES6_EE10hipError_tPvRmT2_T3_T4_T5_mT6_T7_P12ihipStream_tbENKUlT_T0_E_clISt17integral_constantIbLb1EES13_EEDaSY_SZ_EUlSY_E_NS1_11comp_targetILNS1_3genE2ELNS1_11target_archE906ELNS1_3gpuE6ELNS1_3repE0EEENS1_30default_config_static_selectorELNS0_4arch9wavefront6targetE1EEEvT1_
; %bb.0:
	.section	.rodata,"a",@progbits
	.p2align	6, 0x0
	.amdhsa_kernel _ZN7rocprim17ROCPRIM_400000_NS6detail17trampoline_kernelINS0_14default_configENS1_27scan_by_key_config_selectorIj11FixedVectorIiLj2EEEEZZNS1_16scan_by_key_implILNS1_25lookback_scan_determinismE0ELb0ES3_N6thrust23THRUST_200600_302600_NS6detail15normal_iteratorINSB_10device_ptrIjEEEENSD_INSE_IS6_EEEESI_S6_NSB_4plusIvEENSB_8equal_toIvEES6_EE10hipError_tPvRmT2_T3_T4_T5_mT6_T7_P12ihipStream_tbENKUlT_T0_E_clISt17integral_constantIbLb1EES13_EEDaSY_SZ_EUlSY_E_NS1_11comp_targetILNS1_3genE2ELNS1_11target_archE906ELNS1_3gpuE6ELNS1_3repE0EEENS1_30default_config_static_selectorELNS0_4arch9wavefront6targetE1EEEvT1_
		.amdhsa_group_segment_fixed_size 0
		.amdhsa_private_segment_fixed_size 0
		.amdhsa_kernarg_size 120
		.amdhsa_user_sgpr_count 2
		.amdhsa_user_sgpr_dispatch_ptr 0
		.amdhsa_user_sgpr_queue_ptr 0
		.amdhsa_user_sgpr_kernarg_segment_ptr 1
		.amdhsa_user_sgpr_dispatch_id 0
		.amdhsa_user_sgpr_kernarg_preload_length 0
		.amdhsa_user_sgpr_kernarg_preload_offset 0
		.amdhsa_user_sgpr_private_segment_size 0
		.amdhsa_uses_dynamic_stack 0
		.amdhsa_enable_private_segment 0
		.amdhsa_system_sgpr_workgroup_id_x 1
		.amdhsa_system_sgpr_workgroup_id_y 0
		.amdhsa_system_sgpr_workgroup_id_z 0
		.amdhsa_system_sgpr_workgroup_info 0
		.amdhsa_system_vgpr_workitem_id 0
		.amdhsa_next_free_vgpr 1
		.amdhsa_next_free_sgpr 0
		.amdhsa_accum_offset 4
		.amdhsa_reserve_vcc 0
		.amdhsa_float_round_mode_32 0
		.amdhsa_float_round_mode_16_64 0
		.amdhsa_float_denorm_mode_32 3
		.amdhsa_float_denorm_mode_16_64 3
		.amdhsa_dx10_clamp 1
		.amdhsa_ieee_mode 1
		.amdhsa_fp16_overflow 0
		.amdhsa_tg_split 0
		.amdhsa_exception_fp_ieee_invalid_op 0
		.amdhsa_exception_fp_denorm_src 0
		.amdhsa_exception_fp_ieee_div_zero 0
		.amdhsa_exception_fp_ieee_overflow 0
		.amdhsa_exception_fp_ieee_underflow 0
		.amdhsa_exception_fp_ieee_inexact 0
		.amdhsa_exception_int_div_zero 0
	.end_amdhsa_kernel
	.section	.text._ZN7rocprim17ROCPRIM_400000_NS6detail17trampoline_kernelINS0_14default_configENS1_27scan_by_key_config_selectorIj11FixedVectorIiLj2EEEEZZNS1_16scan_by_key_implILNS1_25lookback_scan_determinismE0ELb0ES3_N6thrust23THRUST_200600_302600_NS6detail15normal_iteratorINSB_10device_ptrIjEEEENSD_INSE_IS6_EEEESI_S6_NSB_4plusIvEENSB_8equal_toIvEES6_EE10hipError_tPvRmT2_T3_T4_T5_mT6_T7_P12ihipStream_tbENKUlT_T0_E_clISt17integral_constantIbLb1EES13_EEDaSY_SZ_EUlSY_E_NS1_11comp_targetILNS1_3genE2ELNS1_11target_archE906ELNS1_3gpuE6ELNS1_3repE0EEENS1_30default_config_static_selectorELNS0_4arch9wavefront6targetE1EEEvT1_,"axG",@progbits,_ZN7rocprim17ROCPRIM_400000_NS6detail17trampoline_kernelINS0_14default_configENS1_27scan_by_key_config_selectorIj11FixedVectorIiLj2EEEEZZNS1_16scan_by_key_implILNS1_25lookback_scan_determinismE0ELb0ES3_N6thrust23THRUST_200600_302600_NS6detail15normal_iteratorINSB_10device_ptrIjEEEENSD_INSE_IS6_EEEESI_S6_NSB_4plusIvEENSB_8equal_toIvEES6_EE10hipError_tPvRmT2_T3_T4_T5_mT6_T7_P12ihipStream_tbENKUlT_T0_E_clISt17integral_constantIbLb1EES13_EEDaSY_SZ_EUlSY_E_NS1_11comp_targetILNS1_3genE2ELNS1_11target_archE906ELNS1_3gpuE6ELNS1_3repE0EEENS1_30default_config_static_selectorELNS0_4arch9wavefront6targetE1EEEvT1_,comdat
.Lfunc_end1967:
	.size	_ZN7rocprim17ROCPRIM_400000_NS6detail17trampoline_kernelINS0_14default_configENS1_27scan_by_key_config_selectorIj11FixedVectorIiLj2EEEEZZNS1_16scan_by_key_implILNS1_25lookback_scan_determinismE0ELb0ES3_N6thrust23THRUST_200600_302600_NS6detail15normal_iteratorINSB_10device_ptrIjEEEENSD_INSE_IS6_EEEESI_S6_NSB_4plusIvEENSB_8equal_toIvEES6_EE10hipError_tPvRmT2_T3_T4_T5_mT6_T7_P12ihipStream_tbENKUlT_T0_E_clISt17integral_constantIbLb1EES13_EEDaSY_SZ_EUlSY_E_NS1_11comp_targetILNS1_3genE2ELNS1_11target_archE906ELNS1_3gpuE6ELNS1_3repE0EEENS1_30default_config_static_selectorELNS0_4arch9wavefront6targetE1EEEvT1_, .Lfunc_end1967-_ZN7rocprim17ROCPRIM_400000_NS6detail17trampoline_kernelINS0_14default_configENS1_27scan_by_key_config_selectorIj11FixedVectorIiLj2EEEEZZNS1_16scan_by_key_implILNS1_25lookback_scan_determinismE0ELb0ES3_N6thrust23THRUST_200600_302600_NS6detail15normal_iteratorINSB_10device_ptrIjEEEENSD_INSE_IS6_EEEESI_S6_NSB_4plusIvEENSB_8equal_toIvEES6_EE10hipError_tPvRmT2_T3_T4_T5_mT6_T7_P12ihipStream_tbENKUlT_T0_E_clISt17integral_constantIbLb1EES13_EEDaSY_SZ_EUlSY_E_NS1_11comp_targetILNS1_3genE2ELNS1_11target_archE906ELNS1_3gpuE6ELNS1_3repE0EEENS1_30default_config_static_selectorELNS0_4arch9wavefront6targetE1EEEvT1_
                                        ; -- End function
	.section	.AMDGPU.csdata,"",@progbits
; Kernel info:
; codeLenInByte = 0
; NumSgprs: 6
; NumVgprs: 0
; NumAgprs: 0
; TotalNumVgprs: 0
; ScratchSize: 0
; MemoryBound: 0
; FloatMode: 240
; IeeeMode: 1
; LDSByteSize: 0 bytes/workgroup (compile time only)
; SGPRBlocks: 0
; VGPRBlocks: 0
; NumSGPRsForWavesPerEU: 6
; NumVGPRsForWavesPerEU: 1
; AccumOffset: 4
; Occupancy: 8
; WaveLimiterHint : 0
; COMPUTE_PGM_RSRC2:SCRATCH_EN: 0
; COMPUTE_PGM_RSRC2:USER_SGPR: 2
; COMPUTE_PGM_RSRC2:TRAP_HANDLER: 0
; COMPUTE_PGM_RSRC2:TGID_X_EN: 1
; COMPUTE_PGM_RSRC2:TGID_Y_EN: 0
; COMPUTE_PGM_RSRC2:TGID_Z_EN: 0
; COMPUTE_PGM_RSRC2:TIDIG_COMP_CNT: 0
; COMPUTE_PGM_RSRC3_GFX90A:ACCUM_OFFSET: 0
; COMPUTE_PGM_RSRC3_GFX90A:TG_SPLIT: 0
	.section	.text._ZN7rocprim17ROCPRIM_400000_NS6detail17trampoline_kernelINS0_14default_configENS1_27scan_by_key_config_selectorIj11FixedVectorIiLj2EEEEZZNS1_16scan_by_key_implILNS1_25lookback_scan_determinismE0ELb0ES3_N6thrust23THRUST_200600_302600_NS6detail15normal_iteratorINSB_10device_ptrIjEEEENSD_INSE_IS6_EEEESI_S6_NSB_4plusIvEENSB_8equal_toIvEES6_EE10hipError_tPvRmT2_T3_T4_T5_mT6_T7_P12ihipStream_tbENKUlT_T0_E_clISt17integral_constantIbLb1EES13_EEDaSY_SZ_EUlSY_E_NS1_11comp_targetILNS1_3genE10ELNS1_11target_archE1200ELNS1_3gpuE4ELNS1_3repE0EEENS1_30default_config_static_selectorELNS0_4arch9wavefront6targetE1EEEvT1_,"axG",@progbits,_ZN7rocprim17ROCPRIM_400000_NS6detail17trampoline_kernelINS0_14default_configENS1_27scan_by_key_config_selectorIj11FixedVectorIiLj2EEEEZZNS1_16scan_by_key_implILNS1_25lookback_scan_determinismE0ELb0ES3_N6thrust23THRUST_200600_302600_NS6detail15normal_iteratorINSB_10device_ptrIjEEEENSD_INSE_IS6_EEEESI_S6_NSB_4plusIvEENSB_8equal_toIvEES6_EE10hipError_tPvRmT2_T3_T4_T5_mT6_T7_P12ihipStream_tbENKUlT_T0_E_clISt17integral_constantIbLb1EES13_EEDaSY_SZ_EUlSY_E_NS1_11comp_targetILNS1_3genE10ELNS1_11target_archE1200ELNS1_3gpuE4ELNS1_3repE0EEENS1_30default_config_static_selectorELNS0_4arch9wavefront6targetE1EEEvT1_,comdat
	.protected	_ZN7rocprim17ROCPRIM_400000_NS6detail17trampoline_kernelINS0_14default_configENS1_27scan_by_key_config_selectorIj11FixedVectorIiLj2EEEEZZNS1_16scan_by_key_implILNS1_25lookback_scan_determinismE0ELb0ES3_N6thrust23THRUST_200600_302600_NS6detail15normal_iteratorINSB_10device_ptrIjEEEENSD_INSE_IS6_EEEESI_S6_NSB_4plusIvEENSB_8equal_toIvEES6_EE10hipError_tPvRmT2_T3_T4_T5_mT6_T7_P12ihipStream_tbENKUlT_T0_E_clISt17integral_constantIbLb1EES13_EEDaSY_SZ_EUlSY_E_NS1_11comp_targetILNS1_3genE10ELNS1_11target_archE1200ELNS1_3gpuE4ELNS1_3repE0EEENS1_30default_config_static_selectorELNS0_4arch9wavefront6targetE1EEEvT1_ ; -- Begin function _ZN7rocprim17ROCPRIM_400000_NS6detail17trampoline_kernelINS0_14default_configENS1_27scan_by_key_config_selectorIj11FixedVectorIiLj2EEEEZZNS1_16scan_by_key_implILNS1_25lookback_scan_determinismE0ELb0ES3_N6thrust23THRUST_200600_302600_NS6detail15normal_iteratorINSB_10device_ptrIjEEEENSD_INSE_IS6_EEEESI_S6_NSB_4plusIvEENSB_8equal_toIvEES6_EE10hipError_tPvRmT2_T3_T4_T5_mT6_T7_P12ihipStream_tbENKUlT_T0_E_clISt17integral_constantIbLb1EES13_EEDaSY_SZ_EUlSY_E_NS1_11comp_targetILNS1_3genE10ELNS1_11target_archE1200ELNS1_3gpuE4ELNS1_3repE0EEENS1_30default_config_static_selectorELNS0_4arch9wavefront6targetE1EEEvT1_
	.globl	_ZN7rocprim17ROCPRIM_400000_NS6detail17trampoline_kernelINS0_14default_configENS1_27scan_by_key_config_selectorIj11FixedVectorIiLj2EEEEZZNS1_16scan_by_key_implILNS1_25lookback_scan_determinismE0ELb0ES3_N6thrust23THRUST_200600_302600_NS6detail15normal_iteratorINSB_10device_ptrIjEEEENSD_INSE_IS6_EEEESI_S6_NSB_4plusIvEENSB_8equal_toIvEES6_EE10hipError_tPvRmT2_T3_T4_T5_mT6_T7_P12ihipStream_tbENKUlT_T0_E_clISt17integral_constantIbLb1EES13_EEDaSY_SZ_EUlSY_E_NS1_11comp_targetILNS1_3genE10ELNS1_11target_archE1200ELNS1_3gpuE4ELNS1_3repE0EEENS1_30default_config_static_selectorELNS0_4arch9wavefront6targetE1EEEvT1_
	.p2align	8
	.type	_ZN7rocprim17ROCPRIM_400000_NS6detail17trampoline_kernelINS0_14default_configENS1_27scan_by_key_config_selectorIj11FixedVectorIiLj2EEEEZZNS1_16scan_by_key_implILNS1_25lookback_scan_determinismE0ELb0ES3_N6thrust23THRUST_200600_302600_NS6detail15normal_iteratorINSB_10device_ptrIjEEEENSD_INSE_IS6_EEEESI_S6_NSB_4plusIvEENSB_8equal_toIvEES6_EE10hipError_tPvRmT2_T3_T4_T5_mT6_T7_P12ihipStream_tbENKUlT_T0_E_clISt17integral_constantIbLb1EES13_EEDaSY_SZ_EUlSY_E_NS1_11comp_targetILNS1_3genE10ELNS1_11target_archE1200ELNS1_3gpuE4ELNS1_3repE0EEENS1_30default_config_static_selectorELNS0_4arch9wavefront6targetE1EEEvT1_,@function
_ZN7rocprim17ROCPRIM_400000_NS6detail17trampoline_kernelINS0_14default_configENS1_27scan_by_key_config_selectorIj11FixedVectorIiLj2EEEEZZNS1_16scan_by_key_implILNS1_25lookback_scan_determinismE0ELb0ES3_N6thrust23THRUST_200600_302600_NS6detail15normal_iteratorINSB_10device_ptrIjEEEENSD_INSE_IS6_EEEESI_S6_NSB_4plusIvEENSB_8equal_toIvEES6_EE10hipError_tPvRmT2_T3_T4_T5_mT6_T7_P12ihipStream_tbENKUlT_T0_E_clISt17integral_constantIbLb1EES13_EEDaSY_SZ_EUlSY_E_NS1_11comp_targetILNS1_3genE10ELNS1_11target_archE1200ELNS1_3gpuE4ELNS1_3repE0EEENS1_30default_config_static_selectorELNS0_4arch9wavefront6targetE1EEEvT1_: ; @_ZN7rocprim17ROCPRIM_400000_NS6detail17trampoline_kernelINS0_14default_configENS1_27scan_by_key_config_selectorIj11FixedVectorIiLj2EEEEZZNS1_16scan_by_key_implILNS1_25lookback_scan_determinismE0ELb0ES3_N6thrust23THRUST_200600_302600_NS6detail15normal_iteratorINSB_10device_ptrIjEEEENSD_INSE_IS6_EEEESI_S6_NSB_4plusIvEENSB_8equal_toIvEES6_EE10hipError_tPvRmT2_T3_T4_T5_mT6_T7_P12ihipStream_tbENKUlT_T0_E_clISt17integral_constantIbLb1EES13_EEDaSY_SZ_EUlSY_E_NS1_11comp_targetILNS1_3genE10ELNS1_11target_archE1200ELNS1_3gpuE4ELNS1_3repE0EEENS1_30default_config_static_selectorELNS0_4arch9wavefront6targetE1EEEvT1_
; %bb.0:
	.section	.rodata,"a",@progbits
	.p2align	6, 0x0
	.amdhsa_kernel _ZN7rocprim17ROCPRIM_400000_NS6detail17trampoline_kernelINS0_14default_configENS1_27scan_by_key_config_selectorIj11FixedVectorIiLj2EEEEZZNS1_16scan_by_key_implILNS1_25lookback_scan_determinismE0ELb0ES3_N6thrust23THRUST_200600_302600_NS6detail15normal_iteratorINSB_10device_ptrIjEEEENSD_INSE_IS6_EEEESI_S6_NSB_4plusIvEENSB_8equal_toIvEES6_EE10hipError_tPvRmT2_T3_T4_T5_mT6_T7_P12ihipStream_tbENKUlT_T0_E_clISt17integral_constantIbLb1EES13_EEDaSY_SZ_EUlSY_E_NS1_11comp_targetILNS1_3genE10ELNS1_11target_archE1200ELNS1_3gpuE4ELNS1_3repE0EEENS1_30default_config_static_selectorELNS0_4arch9wavefront6targetE1EEEvT1_
		.amdhsa_group_segment_fixed_size 0
		.amdhsa_private_segment_fixed_size 0
		.amdhsa_kernarg_size 120
		.amdhsa_user_sgpr_count 2
		.amdhsa_user_sgpr_dispatch_ptr 0
		.amdhsa_user_sgpr_queue_ptr 0
		.amdhsa_user_sgpr_kernarg_segment_ptr 1
		.amdhsa_user_sgpr_dispatch_id 0
		.amdhsa_user_sgpr_kernarg_preload_length 0
		.amdhsa_user_sgpr_kernarg_preload_offset 0
		.amdhsa_user_sgpr_private_segment_size 0
		.amdhsa_uses_dynamic_stack 0
		.amdhsa_enable_private_segment 0
		.amdhsa_system_sgpr_workgroup_id_x 1
		.amdhsa_system_sgpr_workgroup_id_y 0
		.amdhsa_system_sgpr_workgroup_id_z 0
		.amdhsa_system_sgpr_workgroup_info 0
		.amdhsa_system_vgpr_workitem_id 0
		.amdhsa_next_free_vgpr 1
		.amdhsa_next_free_sgpr 0
		.amdhsa_accum_offset 4
		.amdhsa_reserve_vcc 0
		.amdhsa_float_round_mode_32 0
		.amdhsa_float_round_mode_16_64 0
		.amdhsa_float_denorm_mode_32 3
		.amdhsa_float_denorm_mode_16_64 3
		.amdhsa_dx10_clamp 1
		.amdhsa_ieee_mode 1
		.amdhsa_fp16_overflow 0
		.amdhsa_tg_split 0
		.amdhsa_exception_fp_ieee_invalid_op 0
		.amdhsa_exception_fp_denorm_src 0
		.amdhsa_exception_fp_ieee_div_zero 0
		.amdhsa_exception_fp_ieee_overflow 0
		.amdhsa_exception_fp_ieee_underflow 0
		.amdhsa_exception_fp_ieee_inexact 0
		.amdhsa_exception_int_div_zero 0
	.end_amdhsa_kernel
	.section	.text._ZN7rocprim17ROCPRIM_400000_NS6detail17trampoline_kernelINS0_14default_configENS1_27scan_by_key_config_selectorIj11FixedVectorIiLj2EEEEZZNS1_16scan_by_key_implILNS1_25lookback_scan_determinismE0ELb0ES3_N6thrust23THRUST_200600_302600_NS6detail15normal_iteratorINSB_10device_ptrIjEEEENSD_INSE_IS6_EEEESI_S6_NSB_4plusIvEENSB_8equal_toIvEES6_EE10hipError_tPvRmT2_T3_T4_T5_mT6_T7_P12ihipStream_tbENKUlT_T0_E_clISt17integral_constantIbLb1EES13_EEDaSY_SZ_EUlSY_E_NS1_11comp_targetILNS1_3genE10ELNS1_11target_archE1200ELNS1_3gpuE4ELNS1_3repE0EEENS1_30default_config_static_selectorELNS0_4arch9wavefront6targetE1EEEvT1_,"axG",@progbits,_ZN7rocprim17ROCPRIM_400000_NS6detail17trampoline_kernelINS0_14default_configENS1_27scan_by_key_config_selectorIj11FixedVectorIiLj2EEEEZZNS1_16scan_by_key_implILNS1_25lookback_scan_determinismE0ELb0ES3_N6thrust23THRUST_200600_302600_NS6detail15normal_iteratorINSB_10device_ptrIjEEEENSD_INSE_IS6_EEEESI_S6_NSB_4plusIvEENSB_8equal_toIvEES6_EE10hipError_tPvRmT2_T3_T4_T5_mT6_T7_P12ihipStream_tbENKUlT_T0_E_clISt17integral_constantIbLb1EES13_EEDaSY_SZ_EUlSY_E_NS1_11comp_targetILNS1_3genE10ELNS1_11target_archE1200ELNS1_3gpuE4ELNS1_3repE0EEENS1_30default_config_static_selectorELNS0_4arch9wavefront6targetE1EEEvT1_,comdat
.Lfunc_end1968:
	.size	_ZN7rocprim17ROCPRIM_400000_NS6detail17trampoline_kernelINS0_14default_configENS1_27scan_by_key_config_selectorIj11FixedVectorIiLj2EEEEZZNS1_16scan_by_key_implILNS1_25lookback_scan_determinismE0ELb0ES3_N6thrust23THRUST_200600_302600_NS6detail15normal_iteratorINSB_10device_ptrIjEEEENSD_INSE_IS6_EEEESI_S6_NSB_4plusIvEENSB_8equal_toIvEES6_EE10hipError_tPvRmT2_T3_T4_T5_mT6_T7_P12ihipStream_tbENKUlT_T0_E_clISt17integral_constantIbLb1EES13_EEDaSY_SZ_EUlSY_E_NS1_11comp_targetILNS1_3genE10ELNS1_11target_archE1200ELNS1_3gpuE4ELNS1_3repE0EEENS1_30default_config_static_selectorELNS0_4arch9wavefront6targetE1EEEvT1_, .Lfunc_end1968-_ZN7rocprim17ROCPRIM_400000_NS6detail17trampoline_kernelINS0_14default_configENS1_27scan_by_key_config_selectorIj11FixedVectorIiLj2EEEEZZNS1_16scan_by_key_implILNS1_25lookback_scan_determinismE0ELb0ES3_N6thrust23THRUST_200600_302600_NS6detail15normal_iteratorINSB_10device_ptrIjEEEENSD_INSE_IS6_EEEESI_S6_NSB_4plusIvEENSB_8equal_toIvEES6_EE10hipError_tPvRmT2_T3_T4_T5_mT6_T7_P12ihipStream_tbENKUlT_T0_E_clISt17integral_constantIbLb1EES13_EEDaSY_SZ_EUlSY_E_NS1_11comp_targetILNS1_3genE10ELNS1_11target_archE1200ELNS1_3gpuE4ELNS1_3repE0EEENS1_30default_config_static_selectorELNS0_4arch9wavefront6targetE1EEEvT1_
                                        ; -- End function
	.section	.AMDGPU.csdata,"",@progbits
; Kernel info:
; codeLenInByte = 0
; NumSgprs: 6
; NumVgprs: 0
; NumAgprs: 0
; TotalNumVgprs: 0
; ScratchSize: 0
; MemoryBound: 0
; FloatMode: 240
; IeeeMode: 1
; LDSByteSize: 0 bytes/workgroup (compile time only)
; SGPRBlocks: 0
; VGPRBlocks: 0
; NumSGPRsForWavesPerEU: 6
; NumVGPRsForWavesPerEU: 1
; AccumOffset: 4
; Occupancy: 8
; WaveLimiterHint : 0
; COMPUTE_PGM_RSRC2:SCRATCH_EN: 0
; COMPUTE_PGM_RSRC2:USER_SGPR: 2
; COMPUTE_PGM_RSRC2:TRAP_HANDLER: 0
; COMPUTE_PGM_RSRC2:TGID_X_EN: 1
; COMPUTE_PGM_RSRC2:TGID_Y_EN: 0
; COMPUTE_PGM_RSRC2:TGID_Z_EN: 0
; COMPUTE_PGM_RSRC2:TIDIG_COMP_CNT: 0
; COMPUTE_PGM_RSRC3_GFX90A:ACCUM_OFFSET: 0
; COMPUTE_PGM_RSRC3_GFX90A:TG_SPLIT: 0
	.section	.text._ZN7rocprim17ROCPRIM_400000_NS6detail17trampoline_kernelINS0_14default_configENS1_27scan_by_key_config_selectorIj11FixedVectorIiLj2EEEEZZNS1_16scan_by_key_implILNS1_25lookback_scan_determinismE0ELb0ES3_N6thrust23THRUST_200600_302600_NS6detail15normal_iteratorINSB_10device_ptrIjEEEENSD_INSE_IS6_EEEESI_S6_NSB_4plusIvEENSB_8equal_toIvEES6_EE10hipError_tPvRmT2_T3_T4_T5_mT6_T7_P12ihipStream_tbENKUlT_T0_E_clISt17integral_constantIbLb1EES13_EEDaSY_SZ_EUlSY_E_NS1_11comp_targetILNS1_3genE9ELNS1_11target_archE1100ELNS1_3gpuE3ELNS1_3repE0EEENS1_30default_config_static_selectorELNS0_4arch9wavefront6targetE1EEEvT1_,"axG",@progbits,_ZN7rocprim17ROCPRIM_400000_NS6detail17trampoline_kernelINS0_14default_configENS1_27scan_by_key_config_selectorIj11FixedVectorIiLj2EEEEZZNS1_16scan_by_key_implILNS1_25lookback_scan_determinismE0ELb0ES3_N6thrust23THRUST_200600_302600_NS6detail15normal_iteratorINSB_10device_ptrIjEEEENSD_INSE_IS6_EEEESI_S6_NSB_4plusIvEENSB_8equal_toIvEES6_EE10hipError_tPvRmT2_T3_T4_T5_mT6_T7_P12ihipStream_tbENKUlT_T0_E_clISt17integral_constantIbLb1EES13_EEDaSY_SZ_EUlSY_E_NS1_11comp_targetILNS1_3genE9ELNS1_11target_archE1100ELNS1_3gpuE3ELNS1_3repE0EEENS1_30default_config_static_selectorELNS0_4arch9wavefront6targetE1EEEvT1_,comdat
	.protected	_ZN7rocprim17ROCPRIM_400000_NS6detail17trampoline_kernelINS0_14default_configENS1_27scan_by_key_config_selectorIj11FixedVectorIiLj2EEEEZZNS1_16scan_by_key_implILNS1_25lookback_scan_determinismE0ELb0ES3_N6thrust23THRUST_200600_302600_NS6detail15normal_iteratorINSB_10device_ptrIjEEEENSD_INSE_IS6_EEEESI_S6_NSB_4plusIvEENSB_8equal_toIvEES6_EE10hipError_tPvRmT2_T3_T4_T5_mT6_T7_P12ihipStream_tbENKUlT_T0_E_clISt17integral_constantIbLb1EES13_EEDaSY_SZ_EUlSY_E_NS1_11comp_targetILNS1_3genE9ELNS1_11target_archE1100ELNS1_3gpuE3ELNS1_3repE0EEENS1_30default_config_static_selectorELNS0_4arch9wavefront6targetE1EEEvT1_ ; -- Begin function _ZN7rocprim17ROCPRIM_400000_NS6detail17trampoline_kernelINS0_14default_configENS1_27scan_by_key_config_selectorIj11FixedVectorIiLj2EEEEZZNS1_16scan_by_key_implILNS1_25lookback_scan_determinismE0ELb0ES3_N6thrust23THRUST_200600_302600_NS6detail15normal_iteratorINSB_10device_ptrIjEEEENSD_INSE_IS6_EEEESI_S6_NSB_4plusIvEENSB_8equal_toIvEES6_EE10hipError_tPvRmT2_T3_T4_T5_mT6_T7_P12ihipStream_tbENKUlT_T0_E_clISt17integral_constantIbLb1EES13_EEDaSY_SZ_EUlSY_E_NS1_11comp_targetILNS1_3genE9ELNS1_11target_archE1100ELNS1_3gpuE3ELNS1_3repE0EEENS1_30default_config_static_selectorELNS0_4arch9wavefront6targetE1EEEvT1_
	.globl	_ZN7rocprim17ROCPRIM_400000_NS6detail17trampoline_kernelINS0_14default_configENS1_27scan_by_key_config_selectorIj11FixedVectorIiLj2EEEEZZNS1_16scan_by_key_implILNS1_25lookback_scan_determinismE0ELb0ES3_N6thrust23THRUST_200600_302600_NS6detail15normal_iteratorINSB_10device_ptrIjEEEENSD_INSE_IS6_EEEESI_S6_NSB_4plusIvEENSB_8equal_toIvEES6_EE10hipError_tPvRmT2_T3_T4_T5_mT6_T7_P12ihipStream_tbENKUlT_T0_E_clISt17integral_constantIbLb1EES13_EEDaSY_SZ_EUlSY_E_NS1_11comp_targetILNS1_3genE9ELNS1_11target_archE1100ELNS1_3gpuE3ELNS1_3repE0EEENS1_30default_config_static_selectorELNS0_4arch9wavefront6targetE1EEEvT1_
	.p2align	8
	.type	_ZN7rocprim17ROCPRIM_400000_NS6detail17trampoline_kernelINS0_14default_configENS1_27scan_by_key_config_selectorIj11FixedVectorIiLj2EEEEZZNS1_16scan_by_key_implILNS1_25lookback_scan_determinismE0ELb0ES3_N6thrust23THRUST_200600_302600_NS6detail15normal_iteratorINSB_10device_ptrIjEEEENSD_INSE_IS6_EEEESI_S6_NSB_4plusIvEENSB_8equal_toIvEES6_EE10hipError_tPvRmT2_T3_T4_T5_mT6_T7_P12ihipStream_tbENKUlT_T0_E_clISt17integral_constantIbLb1EES13_EEDaSY_SZ_EUlSY_E_NS1_11comp_targetILNS1_3genE9ELNS1_11target_archE1100ELNS1_3gpuE3ELNS1_3repE0EEENS1_30default_config_static_selectorELNS0_4arch9wavefront6targetE1EEEvT1_,@function
_ZN7rocprim17ROCPRIM_400000_NS6detail17trampoline_kernelINS0_14default_configENS1_27scan_by_key_config_selectorIj11FixedVectorIiLj2EEEEZZNS1_16scan_by_key_implILNS1_25lookback_scan_determinismE0ELb0ES3_N6thrust23THRUST_200600_302600_NS6detail15normal_iteratorINSB_10device_ptrIjEEEENSD_INSE_IS6_EEEESI_S6_NSB_4plusIvEENSB_8equal_toIvEES6_EE10hipError_tPvRmT2_T3_T4_T5_mT6_T7_P12ihipStream_tbENKUlT_T0_E_clISt17integral_constantIbLb1EES13_EEDaSY_SZ_EUlSY_E_NS1_11comp_targetILNS1_3genE9ELNS1_11target_archE1100ELNS1_3gpuE3ELNS1_3repE0EEENS1_30default_config_static_selectorELNS0_4arch9wavefront6targetE1EEEvT1_: ; @_ZN7rocprim17ROCPRIM_400000_NS6detail17trampoline_kernelINS0_14default_configENS1_27scan_by_key_config_selectorIj11FixedVectorIiLj2EEEEZZNS1_16scan_by_key_implILNS1_25lookback_scan_determinismE0ELb0ES3_N6thrust23THRUST_200600_302600_NS6detail15normal_iteratorINSB_10device_ptrIjEEEENSD_INSE_IS6_EEEESI_S6_NSB_4plusIvEENSB_8equal_toIvEES6_EE10hipError_tPvRmT2_T3_T4_T5_mT6_T7_P12ihipStream_tbENKUlT_T0_E_clISt17integral_constantIbLb1EES13_EEDaSY_SZ_EUlSY_E_NS1_11comp_targetILNS1_3genE9ELNS1_11target_archE1100ELNS1_3gpuE3ELNS1_3repE0EEENS1_30default_config_static_selectorELNS0_4arch9wavefront6targetE1EEEvT1_
; %bb.0:
	.section	.rodata,"a",@progbits
	.p2align	6, 0x0
	.amdhsa_kernel _ZN7rocprim17ROCPRIM_400000_NS6detail17trampoline_kernelINS0_14default_configENS1_27scan_by_key_config_selectorIj11FixedVectorIiLj2EEEEZZNS1_16scan_by_key_implILNS1_25lookback_scan_determinismE0ELb0ES3_N6thrust23THRUST_200600_302600_NS6detail15normal_iteratorINSB_10device_ptrIjEEEENSD_INSE_IS6_EEEESI_S6_NSB_4plusIvEENSB_8equal_toIvEES6_EE10hipError_tPvRmT2_T3_T4_T5_mT6_T7_P12ihipStream_tbENKUlT_T0_E_clISt17integral_constantIbLb1EES13_EEDaSY_SZ_EUlSY_E_NS1_11comp_targetILNS1_3genE9ELNS1_11target_archE1100ELNS1_3gpuE3ELNS1_3repE0EEENS1_30default_config_static_selectorELNS0_4arch9wavefront6targetE1EEEvT1_
		.amdhsa_group_segment_fixed_size 0
		.amdhsa_private_segment_fixed_size 0
		.amdhsa_kernarg_size 120
		.amdhsa_user_sgpr_count 2
		.amdhsa_user_sgpr_dispatch_ptr 0
		.amdhsa_user_sgpr_queue_ptr 0
		.amdhsa_user_sgpr_kernarg_segment_ptr 1
		.amdhsa_user_sgpr_dispatch_id 0
		.amdhsa_user_sgpr_kernarg_preload_length 0
		.amdhsa_user_sgpr_kernarg_preload_offset 0
		.amdhsa_user_sgpr_private_segment_size 0
		.amdhsa_uses_dynamic_stack 0
		.amdhsa_enable_private_segment 0
		.amdhsa_system_sgpr_workgroup_id_x 1
		.amdhsa_system_sgpr_workgroup_id_y 0
		.amdhsa_system_sgpr_workgroup_id_z 0
		.amdhsa_system_sgpr_workgroup_info 0
		.amdhsa_system_vgpr_workitem_id 0
		.amdhsa_next_free_vgpr 1
		.amdhsa_next_free_sgpr 0
		.amdhsa_accum_offset 4
		.amdhsa_reserve_vcc 0
		.amdhsa_float_round_mode_32 0
		.amdhsa_float_round_mode_16_64 0
		.amdhsa_float_denorm_mode_32 3
		.amdhsa_float_denorm_mode_16_64 3
		.amdhsa_dx10_clamp 1
		.amdhsa_ieee_mode 1
		.amdhsa_fp16_overflow 0
		.amdhsa_tg_split 0
		.amdhsa_exception_fp_ieee_invalid_op 0
		.amdhsa_exception_fp_denorm_src 0
		.amdhsa_exception_fp_ieee_div_zero 0
		.amdhsa_exception_fp_ieee_overflow 0
		.amdhsa_exception_fp_ieee_underflow 0
		.amdhsa_exception_fp_ieee_inexact 0
		.amdhsa_exception_int_div_zero 0
	.end_amdhsa_kernel
	.section	.text._ZN7rocprim17ROCPRIM_400000_NS6detail17trampoline_kernelINS0_14default_configENS1_27scan_by_key_config_selectorIj11FixedVectorIiLj2EEEEZZNS1_16scan_by_key_implILNS1_25lookback_scan_determinismE0ELb0ES3_N6thrust23THRUST_200600_302600_NS6detail15normal_iteratorINSB_10device_ptrIjEEEENSD_INSE_IS6_EEEESI_S6_NSB_4plusIvEENSB_8equal_toIvEES6_EE10hipError_tPvRmT2_T3_T4_T5_mT6_T7_P12ihipStream_tbENKUlT_T0_E_clISt17integral_constantIbLb1EES13_EEDaSY_SZ_EUlSY_E_NS1_11comp_targetILNS1_3genE9ELNS1_11target_archE1100ELNS1_3gpuE3ELNS1_3repE0EEENS1_30default_config_static_selectorELNS0_4arch9wavefront6targetE1EEEvT1_,"axG",@progbits,_ZN7rocprim17ROCPRIM_400000_NS6detail17trampoline_kernelINS0_14default_configENS1_27scan_by_key_config_selectorIj11FixedVectorIiLj2EEEEZZNS1_16scan_by_key_implILNS1_25lookback_scan_determinismE0ELb0ES3_N6thrust23THRUST_200600_302600_NS6detail15normal_iteratorINSB_10device_ptrIjEEEENSD_INSE_IS6_EEEESI_S6_NSB_4plusIvEENSB_8equal_toIvEES6_EE10hipError_tPvRmT2_T3_T4_T5_mT6_T7_P12ihipStream_tbENKUlT_T0_E_clISt17integral_constantIbLb1EES13_EEDaSY_SZ_EUlSY_E_NS1_11comp_targetILNS1_3genE9ELNS1_11target_archE1100ELNS1_3gpuE3ELNS1_3repE0EEENS1_30default_config_static_selectorELNS0_4arch9wavefront6targetE1EEEvT1_,comdat
.Lfunc_end1969:
	.size	_ZN7rocprim17ROCPRIM_400000_NS6detail17trampoline_kernelINS0_14default_configENS1_27scan_by_key_config_selectorIj11FixedVectorIiLj2EEEEZZNS1_16scan_by_key_implILNS1_25lookback_scan_determinismE0ELb0ES3_N6thrust23THRUST_200600_302600_NS6detail15normal_iteratorINSB_10device_ptrIjEEEENSD_INSE_IS6_EEEESI_S6_NSB_4plusIvEENSB_8equal_toIvEES6_EE10hipError_tPvRmT2_T3_T4_T5_mT6_T7_P12ihipStream_tbENKUlT_T0_E_clISt17integral_constantIbLb1EES13_EEDaSY_SZ_EUlSY_E_NS1_11comp_targetILNS1_3genE9ELNS1_11target_archE1100ELNS1_3gpuE3ELNS1_3repE0EEENS1_30default_config_static_selectorELNS0_4arch9wavefront6targetE1EEEvT1_, .Lfunc_end1969-_ZN7rocprim17ROCPRIM_400000_NS6detail17trampoline_kernelINS0_14default_configENS1_27scan_by_key_config_selectorIj11FixedVectorIiLj2EEEEZZNS1_16scan_by_key_implILNS1_25lookback_scan_determinismE0ELb0ES3_N6thrust23THRUST_200600_302600_NS6detail15normal_iteratorINSB_10device_ptrIjEEEENSD_INSE_IS6_EEEESI_S6_NSB_4plusIvEENSB_8equal_toIvEES6_EE10hipError_tPvRmT2_T3_T4_T5_mT6_T7_P12ihipStream_tbENKUlT_T0_E_clISt17integral_constantIbLb1EES13_EEDaSY_SZ_EUlSY_E_NS1_11comp_targetILNS1_3genE9ELNS1_11target_archE1100ELNS1_3gpuE3ELNS1_3repE0EEENS1_30default_config_static_selectorELNS0_4arch9wavefront6targetE1EEEvT1_
                                        ; -- End function
	.section	.AMDGPU.csdata,"",@progbits
; Kernel info:
; codeLenInByte = 0
; NumSgprs: 6
; NumVgprs: 0
; NumAgprs: 0
; TotalNumVgprs: 0
; ScratchSize: 0
; MemoryBound: 0
; FloatMode: 240
; IeeeMode: 1
; LDSByteSize: 0 bytes/workgroup (compile time only)
; SGPRBlocks: 0
; VGPRBlocks: 0
; NumSGPRsForWavesPerEU: 6
; NumVGPRsForWavesPerEU: 1
; AccumOffset: 4
; Occupancy: 8
; WaveLimiterHint : 0
; COMPUTE_PGM_RSRC2:SCRATCH_EN: 0
; COMPUTE_PGM_RSRC2:USER_SGPR: 2
; COMPUTE_PGM_RSRC2:TRAP_HANDLER: 0
; COMPUTE_PGM_RSRC2:TGID_X_EN: 1
; COMPUTE_PGM_RSRC2:TGID_Y_EN: 0
; COMPUTE_PGM_RSRC2:TGID_Z_EN: 0
; COMPUTE_PGM_RSRC2:TIDIG_COMP_CNT: 0
; COMPUTE_PGM_RSRC3_GFX90A:ACCUM_OFFSET: 0
; COMPUTE_PGM_RSRC3_GFX90A:TG_SPLIT: 0
	.section	.text._ZN7rocprim17ROCPRIM_400000_NS6detail17trampoline_kernelINS0_14default_configENS1_27scan_by_key_config_selectorIj11FixedVectorIiLj2EEEEZZNS1_16scan_by_key_implILNS1_25lookback_scan_determinismE0ELb0ES3_N6thrust23THRUST_200600_302600_NS6detail15normal_iteratorINSB_10device_ptrIjEEEENSD_INSE_IS6_EEEESI_S6_NSB_4plusIvEENSB_8equal_toIvEES6_EE10hipError_tPvRmT2_T3_T4_T5_mT6_T7_P12ihipStream_tbENKUlT_T0_E_clISt17integral_constantIbLb1EES13_EEDaSY_SZ_EUlSY_E_NS1_11comp_targetILNS1_3genE8ELNS1_11target_archE1030ELNS1_3gpuE2ELNS1_3repE0EEENS1_30default_config_static_selectorELNS0_4arch9wavefront6targetE1EEEvT1_,"axG",@progbits,_ZN7rocprim17ROCPRIM_400000_NS6detail17trampoline_kernelINS0_14default_configENS1_27scan_by_key_config_selectorIj11FixedVectorIiLj2EEEEZZNS1_16scan_by_key_implILNS1_25lookback_scan_determinismE0ELb0ES3_N6thrust23THRUST_200600_302600_NS6detail15normal_iteratorINSB_10device_ptrIjEEEENSD_INSE_IS6_EEEESI_S6_NSB_4plusIvEENSB_8equal_toIvEES6_EE10hipError_tPvRmT2_T3_T4_T5_mT6_T7_P12ihipStream_tbENKUlT_T0_E_clISt17integral_constantIbLb1EES13_EEDaSY_SZ_EUlSY_E_NS1_11comp_targetILNS1_3genE8ELNS1_11target_archE1030ELNS1_3gpuE2ELNS1_3repE0EEENS1_30default_config_static_selectorELNS0_4arch9wavefront6targetE1EEEvT1_,comdat
	.protected	_ZN7rocprim17ROCPRIM_400000_NS6detail17trampoline_kernelINS0_14default_configENS1_27scan_by_key_config_selectorIj11FixedVectorIiLj2EEEEZZNS1_16scan_by_key_implILNS1_25lookback_scan_determinismE0ELb0ES3_N6thrust23THRUST_200600_302600_NS6detail15normal_iteratorINSB_10device_ptrIjEEEENSD_INSE_IS6_EEEESI_S6_NSB_4plusIvEENSB_8equal_toIvEES6_EE10hipError_tPvRmT2_T3_T4_T5_mT6_T7_P12ihipStream_tbENKUlT_T0_E_clISt17integral_constantIbLb1EES13_EEDaSY_SZ_EUlSY_E_NS1_11comp_targetILNS1_3genE8ELNS1_11target_archE1030ELNS1_3gpuE2ELNS1_3repE0EEENS1_30default_config_static_selectorELNS0_4arch9wavefront6targetE1EEEvT1_ ; -- Begin function _ZN7rocprim17ROCPRIM_400000_NS6detail17trampoline_kernelINS0_14default_configENS1_27scan_by_key_config_selectorIj11FixedVectorIiLj2EEEEZZNS1_16scan_by_key_implILNS1_25lookback_scan_determinismE0ELb0ES3_N6thrust23THRUST_200600_302600_NS6detail15normal_iteratorINSB_10device_ptrIjEEEENSD_INSE_IS6_EEEESI_S6_NSB_4plusIvEENSB_8equal_toIvEES6_EE10hipError_tPvRmT2_T3_T4_T5_mT6_T7_P12ihipStream_tbENKUlT_T0_E_clISt17integral_constantIbLb1EES13_EEDaSY_SZ_EUlSY_E_NS1_11comp_targetILNS1_3genE8ELNS1_11target_archE1030ELNS1_3gpuE2ELNS1_3repE0EEENS1_30default_config_static_selectorELNS0_4arch9wavefront6targetE1EEEvT1_
	.globl	_ZN7rocprim17ROCPRIM_400000_NS6detail17trampoline_kernelINS0_14default_configENS1_27scan_by_key_config_selectorIj11FixedVectorIiLj2EEEEZZNS1_16scan_by_key_implILNS1_25lookback_scan_determinismE0ELb0ES3_N6thrust23THRUST_200600_302600_NS6detail15normal_iteratorINSB_10device_ptrIjEEEENSD_INSE_IS6_EEEESI_S6_NSB_4plusIvEENSB_8equal_toIvEES6_EE10hipError_tPvRmT2_T3_T4_T5_mT6_T7_P12ihipStream_tbENKUlT_T0_E_clISt17integral_constantIbLb1EES13_EEDaSY_SZ_EUlSY_E_NS1_11comp_targetILNS1_3genE8ELNS1_11target_archE1030ELNS1_3gpuE2ELNS1_3repE0EEENS1_30default_config_static_selectorELNS0_4arch9wavefront6targetE1EEEvT1_
	.p2align	8
	.type	_ZN7rocprim17ROCPRIM_400000_NS6detail17trampoline_kernelINS0_14default_configENS1_27scan_by_key_config_selectorIj11FixedVectorIiLj2EEEEZZNS1_16scan_by_key_implILNS1_25lookback_scan_determinismE0ELb0ES3_N6thrust23THRUST_200600_302600_NS6detail15normal_iteratorINSB_10device_ptrIjEEEENSD_INSE_IS6_EEEESI_S6_NSB_4plusIvEENSB_8equal_toIvEES6_EE10hipError_tPvRmT2_T3_T4_T5_mT6_T7_P12ihipStream_tbENKUlT_T0_E_clISt17integral_constantIbLb1EES13_EEDaSY_SZ_EUlSY_E_NS1_11comp_targetILNS1_3genE8ELNS1_11target_archE1030ELNS1_3gpuE2ELNS1_3repE0EEENS1_30default_config_static_selectorELNS0_4arch9wavefront6targetE1EEEvT1_,@function
_ZN7rocprim17ROCPRIM_400000_NS6detail17trampoline_kernelINS0_14default_configENS1_27scan_by_key_config_selectorIj11FixedVectorIiLj2EEEEZZNS1_16scan_by_key_implILNS1_25lookback_scan_determinismE0ELb0ES3_N6thrust23THRUST_200600_302600_NS6detail15normal_iteratorINSB_10device_ptrIjEEEENSD_INSE_IS6_EEEESI_S6_NSB_4plusIvEENSB_8equal_toIvEES6_EE10hipError_tPvRmT2_T3_T4_T5_mT6_T7_P12ihipStream_tbENKUlT_T0_E_clISt17integral_constantIbLb1EES13_EEDaSY_SZ_EUlSY_E_NS1_11comp_targetILNS1_3genE8ELNS1_11target_archE1030ELNS1_3gpuE2ELNS1_3repE0EEENS1_30default_config_static_selectorELNS0_4arch9wavefront6targetE1EEEvT1_: ; @_ZN7rocprim17ROCPRIM_400000_NS6detail17trampoline_kernelINS0_14default_configENS1_27scan_by_key_config_selectorIj11FixedVectorIiLj2EEEEZZNS1_16scan_by_key_implILNS1_25lookback_scan_determinismE0ELb0ES3_N6thrust23THRUST_200600_302600_NS6detail15normal_iteratorINSB_10device_ptrIjEEEENSD_INSE_IS6_EEEESI_S6_NSB_4plusIvEENSB_8equal_toIvEES6_EE10hipError_tPvRmT2_T3_T4_T5_mT6_T7_P12ihipStream_tbENKUlT_T0_E_clISt17integral_constantIbLb1EES13_EEDaSY_SZ_EUlSY_E_NS1_11comp_targetILNS1_3genE8ELNS1_11target_archE1030ELNS1_3gpuE2ELNS1_3repE0EEENS1_30default_config_static_selectorELNS0_4arch9wavefront6targetE1EEEvT1_
; %bb.0:
	.section	.rodata,"a",@progbits
	.p2align	6, 0x0
	.amdhsa_kernel _ZN7rocprim17ROCPRIM_400000_NS6detail17trampoline_kernelINS0_14default_configENS1_27scan_by_key_config_selectorIj11FixedVectorIiLj2EEEEZZNS1_16scan_by_key_implILNS1_25lookback_scan_determinismE0ELb0ES3_N6thrust23THRUST_200600_302600_NS6detail15normal_iteratorINSB_10device_ptrIjEEEENSD_INSE_IS6_EEEESI_S6_NSB_4plusIvEENSB_8equal_toIvEES6_EE10hipError_tPvRmT2_T3_T4_T5_mT6_T7_P12ihipStream_tbENKUlT_T0_E_clISt17integral_constantIbLb1EES13_EEDaSY_SZ_EUlSY_E_NS1_11comp_targetILNS1_3genE8ELNS1_11target_archE1030ELNS1_3gpuE2ELNS1_3repE0EEENS1_30default_config_static_selectorELNS0_4arch9wavefront6targetE1EEEvT1_
		.amdhsa_group_segment_fixed_size 0
		.amdhsa_private_segment_fixed_size 0
		.amdhsa_kernarg_size 120
		.amdhsa_user_sgpr_count 2
		.amdhsa_user_sgpr_dispatch_ptr 0
		.amdhsa_user_sgpr_queue_ptr 0
		.amdhsa_user_sgpr_kernarg_segment_ptr 1
		.amdhsa_user_sgpr_dispatch_id 0
		.amdhsa_user_sgpr_kernarg_preload_length 0
		.amdhsa_user_sgpr_kernarg_preload_offset 0
		.amdhsa_user_sgpr_private_segment_size 0
		.amdhsa_uses_dynamic_stack 0
		.amdhsa_enable_private_segment 0
		.amdhsa_system_sgpr_workgroup_id_x 1
		.amdhsa_system_sgpr_workgroup_id_y 0
		.amdhsa_system_sgpr_workgroup_id_z 0
		.amdhsa_system_sgpr_workgroup_info 0
		.amdhsa_system_vgpr_workitem_id 0
		.amdhsa_next_free_vgpr 1
		.amdhsa_next_free_sgpr 0
		.amdhsa_accum_offset 4
		.amdhsa_reserve_vcc 0
		.amdhsa_float_round_mode_32 0
		.amdhsa_float_round_mode_16_64 0
		.amdhsa_float_denorm_mode_32 3
		.amdhsa_float_denorm_mode_16_64 3
		.amdhsa_dx10_clamp 1
		.amdhsa_ieee_mode 1
		.amdhsa_fp16_overflow 0
		.amdhsa_tg_split 0
		.amdhsa_exception_fp_ieee_invalid_op 0
		.amdhsa_exception_fp_denorm_src 0
		.amdhsa_exception_fp_ieee_div_zero 0
		.amdhsa_exception_fp_ieee_overflow 0
		.amdhsa_exception_fp_ieee_underflow 0
		.amdhsa_exception_fp_ieee_inexact 0
		.amdhsa_exception_int_div_zero 0
	.end_amdhsa_kernel
	.section	.text._ZN7rocprim17ROCPRIM_400000_NS6detail17trampoline_kernelINS0_14default_configENS1_27scan_by_key_config_selectorIj11FixedVectorIiLj2EEEEZZNS1_16scan_by_key_implILNS1_25lookback_scan_determinismE0ELb0ES3_N6thrust23THRUST_200600_302600_NS6detail15normal_iteratorINSB_10device_ptrIjEEEENSD_INSE_IS6_EEEESI_S6_NSB_4plusIvEENSB_8equal_toIvEES6_EE10hipError_tPvRmT2_T3_T4_T5_mT6_T7_P12ihipStream_tbENKUlT_T0_E_clISt17integral_constantIbLb1EES13_EEDaSY_SZ_EUlSY_E_NS1_11comp_targetILNS1_3genE8ELNS1_11target_archE1030ELNS1_3gpuE2ELNS1_3repE0EEENS1_30default_config_static_selectorELNS0_4arch9wavefront6targetE1EEEvT1_,"axG",@progbits,_ZN7rocprim17ROCPRIM_400000_NS6detail17trampoline_kernelINS0_14default_configENS1_27scan_by_key_config_selectorIj11FixedVectorIiLj2EEEEZZNS1_16scan_by_key_implILNS1_25lookback_scan_determinismE0ELb0ES3_N6thrust23THRUST_200600_302600_NS6detail15normal_iteratorINSB_10device_ptrIjEEEENSD_INSE_IS6_EEEESI_S6_NSB_4plusIvEENSB_8equal_toIvEES6_EE10hipError_tPvRmT2_T3_T4_T5_mT6_T7_P12ihipStream_tbENKUlT_T0_E_clISt17integral_constantIbLb1EES13_EEDaSY_SZ_EUlSY_E_NS1_11comp_targetILNS1_3genE8ELNS1_11target_archE1030ELNS1_3gpuE2ELNS1_3repE0EEENS1_30default_config_static_selectorELNS0_4arch9wavefront6targetE1EEEvT1_,comdat
.Lfunc_end1970:
	.size	_ZN7rocprim17ROCPRIM_400000_NS6detail17trampoline_kernelINS0_14default_configENS1_27scan_by_key_config_selectorIj11FixedVectorIiLj2EEEEZZNS1_16scan_by_key_implILNS1_25lookback_scan_determinismE0ELb0ES3_N6thrust23THRUST_200600_302600_NS6detail15normal_iteratorINSB_10device_ptrIjEEEENSD_INSE_IS6_EEEESI_S6_NSB_4plusIvEENSB_8equal_toIvEES6_EE10hipError_tPvRmT2_T3_T4_T5_mT6_T7_P12ihipStream_tbENKUlT_T0_E_clISt17integral_constantIbLb1EES13_EEDaSY_SZ_EUlSY_E_NS1_11comp_targetILNS1_3genE8ELNS1_11target_archE1030ELNS1_3gpuE2ELNS1_3repE0EEENS1_30default_config_static_selectorELNS0_4arch9wavefront6targetE1EEEvT1_, .Lfunc_end1970-_ZN7rocprim17ROCPRIM_400000_NS6detail17trampoline_kernelINS0_14default_configENS1_27scan_by_key_config_selectorIj11FixedVectorIiLj2EEEEZZNS1_16scan_by_key_implILNS1_25lookback_scan_determinismE0ELb0ES3_N6thrust23THRUST_200600_302600_NS6detail15normal_iteratorINSB_10device_ptrIjEEEENSD_INSE_IS6_EEEESI_S6_NSB_4plusIvEENSB_8equal_toIvEES6_EE10hipError_tPvRmT2_T3_T4_T5_mT6_T7_P12ihipStream_tbENKUlT_T0_E_clISt17integral_constantIbLb1EES13_EEDaSY_SZ_EUlSY_E_NS1_11comp_targetILNS1_3genE8ELNS1_11target_archE1030ELNS1_3gpuE2ELNS1_3repE0EEENS1_30default_config_static_selectorELNS0_4arch9wavefront6targetE1EEEvT1_
                                        ; -- End function
	.section	.AMDGPU.csdata,"",@progbits
; Kernel info:
; codeLenInByte = 0
; NumSgprs: 6
; NumVgprs: 0
; NumAgprs: 0
; TotalNumVgprs: 0
; ScratchSize: 0
; MemoryBound: 0
; FloatMode: 240
; IeeeMode: 1
; LDSByteSize: 0 bytes/workgroup (compile time only)
; SGPRBlocks: 0
; VGPRBlocks: 0
; NumSGPRsForWavesPerEU: 6
; NumVGPRsForWavesPerEU: 1
; AccumOffset: 4
; Occupancy: 8
; WaveLimiterHint : 0
; COMPUTE_PGM_RSRC2:SCRATCH_EN: 0
; COMPUTE_PGM_RSRC2:USER_SGPR: 2
; COMPUTE_PGM_RSRC2:TRAP_HANDLER: 0
; COMPUTE_PGM_RSRC2:TGID_X_EN: 1
; COMPUTE_PGM_RSRC2:TGID_Y_EN: 0
; COMPUTE_PGM_RSRC2:TGID_Z_EN: 0
; COMPUTE_PGM_RSRC2:TIDIG_COMP_CNT: 0
; COMPUTE_PGM_RSRC3_GFX90A:ACCUM_OFFSET: 0
; COMPUTE_PGM_RSRC3_GFX90A:TG_SPLIT: 0
	.section	.text._ZN7rocprim17ROCPRIM_400000_NS6detail30init_device_scan_by_key_kernelINS1_19lookback_scan_stateINS0_5tupleIJ11FixedVectorIiLj2EEbEEELb1ELb1EEEN6thrust23THRUST_200600_302600_NS6detail15normal_iteratorINSA_10device_ptrIjEEEEjNS1_16block_id_wrapperIjLb0EEEEEvT_jjPNSI_10value_typeET0_PNSt15iterator_traitsISL_E10value_typeEmT1_T2_,"axG",@progbits,_ZN7rocprim17ROCPRIM_400000_NS6detail30init_device_scan_by_key_kernelINS1_19lookback_scan_stateINS0_5tupleIJ11FixedVectorIiLj2EEbEEELb1ELb1EEEN6thrust23THRUST_200600_302600_NS6detail15normal_iteratorINSA_10device_ptrIjEEEEjNS1_16block_id_wrapperIjLb0EEEEEvT_jjPNSI_10value_typeET0_PNSt15iterator_traitsISL_E10value_typeEmT1_T2_,comdat
	.protected	_ZN7rocprim17ROCPRIM_400000_NS6detail30init_device_scan_by_key_kernelINS1_19lookback_scan_stateINS0_5tupleIJ11FixedVectorIiLj2EEbEEELb1ELb1EEEN6thrust23THRUST_200600_302600_NS6detail15normal_iteratorINSA_10device_ptrIjEEEEjNS1_16block_id_wrapperIjLb0EEEEEvT_jjPNSI_10value_typeET0_PNSt15iterator_traitsISL_E10value_typeEmT1_T2_ ; -- Begin function _ZN7rocprim17ROCPRIM_400000_NS6detail30init_device_scan_by_key_kernelINS1_19lookback_scan_stateINS0_5tupleIJ11FixedVectorIiLj2EEbEEELb1ELb1EEEN6thrust23THRUST_200600_302600_NS6detail15normal_iteratorINSA_10device_ptrIjEEEEjNS1_16block_id_wrapperIjLb0EEEEEvT_jjPNSI_10value_typeET0_PNSt15iterator_traitsISL_E10value_typeEmT1_T2_
	.globl	_ZN7rocprim17ROCPRIM_400000_NS6detail30init_device_scan_by_key_kernelINS1_19lookback_scan_stateINS0_5tupleIJ11FixedVectorIiLj2EEbEEELb1ELb1EEEN6thrust23THRUST_200600_302600_NS6detail15normal_iteratorINSA_10device_ptrIjEEEEjNS1_16block_id_wrapperIjLb0EEEEEvT_jjPNSI_10value_typeET0_PNSt15iterator_traitsISL_E10value_typeEmT1_T2_
	.p2align	8
	.type	_ZN7rocprim17ROCPRIM_400000_NS6detail30init_device_scan_by_key_kernelINS1_19lookback_scan_stateINS0_5tupleIJ11FixedVectorIiLj2EEbEEELb1ELb1EEEN6thrust23THRUST_200600_302600_NS6detail15normal_iteratorINSA_10device_ptrIjEEEEjNS1_16block_id_wrapperIjLb0EEEEEvT_jjPNSI_10value_typeET0_PNSt15iterator_traitsISL_E10value_typeEmT1_T2_,@function
_ZN7rocprim17ROCPRIM_400000_NS6detail30init_device_scan_by_key_kernelINS1_19lookback_scan_stateINS0_5tupleIJ11FixedVectorIiLj2EEbEEELb1ELb1EEEN6thrust23THRUST_200600_302600_NS6detail15normal_iteratorINSA_10device_ptrIjEEEEjNS1_16block_id_wrapperIjLb0EEEEEvT_jjPNSI_10value_typeET0_PNSt15iterator_traitsISL_E10value_typeEmT1_T2_: ; @_ZN7rocprim17ROCPRIM_400000_NS6detail30init_device_scan_by_key_kernelINS1_19lookback_scan_stateINS0_5tupleIJ11FixedVectorIiLj2EEbEEELb1ELb1EEEN6thrust23THRUST_200600_302600_NS6detail15normal_iteratorINSA_10device_ptrIjEEEEjNS1_16block_id_wrapperIjLb0EEEEEvT_jjPNSI_10value_typeET0_PNSt15iterator_traitsISL_E10value_typeEmT1_T2_
; %bb.0:
	s_load_dword s3, s[0:1], 0x44
	s_load_dwordx8 s[4:11], s[0:1], 0x0
	s_load_dword s18, s[0:1], 0x38
	s_waitcnt lgkmcnt(0)
	s_and_b32 s19, s3, 0xffff
	s_mul_i32 s2, s2, s19
	s_cmp_eq_u64 s[8:9], 0
	v_add_u32_e32 v4, s2, v0
	s_cbranch_scc1 .LBB1971_10
; %bb.1:
	s_cmp_lt_u32 s7, s6
	s_cselect_b32 s2, s7, 0
	s_mov_b32 s13, 0
	v_cmp_eq_u32_e32 vcc, s2, v4
	s_and_saveexec_b64 s[2:3], vcc
	s_cbranch_execz .LBB1971_9
; %bb.2:
	s_add_i32 s12, s7, 64
	s_lshl_b64 s[12:13], s[12:13], 4
	s_add_u32 s14, s4, s12
	s_addc_u32 s15, s5, s13
	v_mov_b64_e32 v[0:1], s[14:15]
	v_mov_b32_e32 v12, 0
	;;#ASMSTART
	global_load_dwordx4 v[0:3], v[0:1] off sc1	
s_waitcnt vmcnt(0)
	;;#ASMEND
	s_mov_b64 s[16:17], 0
	v_lshlrev_b64 v[16:17], 24, v[2:3]
	v_lshrrev_b32_e32 v5, 8, v1
	v_lshlrev_b64 v[18:19], 16, v[2:3]
	v_lshlrev_b64 v[20:21], 8, v[2:3]
	v_and_b32_e32 v13, 0xff, v3
	v_lshrrev_b64 v[6:7], 8, v[0:1]
	v_lshrrev_b64 v[10:11], 16, v[0:1]
	;; [unrolled: 1-line block ×3, first 2 shown]
	v_mov_b32_e32 v14, v1
	v_or_b32_e32 v16, v5, v16
	v_or_b32_sdwa v18, v1, v18 dst_sel:DWORD dst_unused:UNUSED_PAD src0_sel:WORD_1 src1_sel:DWORD
	v_or_b32_sdwa v20, v1, v20 dst_sel:DWORD dst_unused:UNUSED_PAD src0_sel:BYTE_3 src1_sel:DWORD
	v_cmp_eq_u64_e32 vcc, 0, v[12:13]
	s_and_saveexec_b64 s[12:13], vcc
	s_cbranch_execz .LBB1971_8
; %bb.3:
	s_mov_b32 s7, 1
	v_mov_b64_e32 v[6:7], s[14:15]
.LBB1971_4:                             ; =>This Loop Header: Depth=1
                                        ;     Child Loop BB1971_5 Depth 2
	s_max_u32 s14, s7, 1
.LBB1971_5:                             ;   Parent Loop BB1971_4 Depth=1
                                        ; =>  This Inner Loop Header: Depth=2
	s_add_i32 s14, s14, -1
	s_cmp_eq_u32 s14, 0
	s_sleep 1
	s_cbranch_scc0 .LBB1971_5
; %bb.6:                                ;   in Loop: Header=BB1971_4 Depth=1
	s_cmp_lt_u32 s7, 32
	s_cselect_b64 s[14:15], -1, 0
	s_cmp_lg_u64 s[14:15], 0
	;;#ASMSTART
	global_load_dwordx4 v[0:3], v[6:7] off sc1	
s_waitcnt vmcnt(0)
	;;#ASMEND
	s_addc_u32 s7, s7, 0
	v_and_b32_e32 v13, 0xff, v3
	v_cmp_ne_u64_e32 vcc, 0, v[12:13]
	s_or_b64 s[16:17], vcc, s[16:17]
	s_andn2_b64 exec, exec, s[16:17]
	s_cbranch_execnz .LBB1971_4
; %bb.7:
	s_or_b64 exec, exec, s[16:17]
	v_lshlrev_b64 v[12:13], 24, v[2:3]
	v_lshrrev_b32_e32 v5, 8, v1
	v_or_b32_e32 v16, v5, v12
	v_lshlrev_b64 v[12:13], 16, v[2:3]
	v_or_b32_sdwa v18, v1, v12 dst_sel:DWORD dst_unused:UNUSED_PAD src0_sel:WORD_1 src1_sel:DWORD
	v_lshlrev_b64 v[12:13], 8, v[2:3]
	v_lshrrev_b64 v[6:7], 8, v[0:1]
	v_lshrrev_b64 v[10:11], 16, v[0:1]
	;; [unrolled: 1-line block ×3, first 2 shown]
	v_mov_b32_e32 v14, v1
	v_or_b32_sdwa v20, v1, v12 dst_sel:DWORD dst_unused:UNUSED_PAD src0_sel:BYTE_3 src1_sel:DWORD
.LBB1971_8:
	s_or_b64 exec, exec, s[12:13]
	v_lshlrev_b32_e32 v3, 16, v18
	v_lshlrev_b32_e32 v1, 24, v20
	v_and_b32_e32 v3, 0xff0000, v3
	v_lshlrev_b32_e32 v5, 8, v16
	v_lshlrev_b32_e32 v10, 16, v10
	s_mov_b32 s7, 0x4020c0c
	v_and_b32_e32 v5, 0xff00, v5
	v_and_b32_e32 v9, 0xff, v14
	v_lshlrev_b32_e32 v6, 8, v6
	v_or_b32_e32 v1, v3, v1
	v_perm_b32 v3, v8, v10, s7
	v_and_b32_e32 v6, 0xff00, v6
	v_mov_b32_e32 v7, 0
	v_or3_b32 v1, v1, v5, v9
	v_or_b32_sdwa v0, v3, v0 dst_sel:DWORD dst_unused:UNUSED_PAD src0_sel:DWORD src1_sel:BYTE_0
	v_lshl_add_u64 v[0:1], v[0:1], 0, v[6:7]
	global_store_dwordx2 v7, v[0:1], s[8:9]
	global_store_byte v7, v2, s[8:9] offset:8
.LBB1971_9:
	s_or_b64 exec, exec, s[2:3]
.LBB1971_10:
	v_cmp_gt_u32_e32 vcc, s6, v4
	s_and_saveexec_b64 s[2:3], vcc
	s_cbranch_execz .LBB1971_12
; %bb.11:
	v_add_u32_e32 v0, 64, v4
	v_mov_b32_e32 v1, 0
	v_lshl_add_u64 v[6:7], v[0:1], 4, s[4:5]
	v_mov_b32_e32 v0, v1
	v_mov_b32_e32 v2, v1
	;; [unrolled: 1-line block ×3, first 2 shown]
	global_store_dwordx4 v[6:7], v[0:3], off
.LBB1971_12:
	s_or_b64 exec, exec, s[2:3]
	v_cmp_gt_u32_e32 vcc, 64, v4
	v_mov_b32_e32 v5, 0
	s_and_saveexec_b64 s[2:3], vcc
	s_cbranch_execz .LBB1971_14
; %bb.13:
	v_lshl_add_u64 v[6:7], v[4:5], 4, s[4:5]
	v_mov_b32_e32 v3, 0xff
	v_mov_b32_e32 v0, v5
	;; [unrolled: 1-line block ×4, first 2 shown]
	global_store_dwordx4 v[6:7], v[0:3], off
.LBB1971_14:
	s_or_b64 exec, exec, s[2:3]
	s_load_dwordx2 s[2:3], s[0:1], 0x28
	s_waitcnt lgkmcnt(0)
	v_cmp_gt_u64_e32 vcc, s[2:3], v[4:5]
	s_and_saveexec_b64 s[4:5], vcc
	s_cbranch_execz .LBB1971_17
; %bb.15:
	s_load_dword s12, s[0:1], 0x30
	s_load_dwordx2 s[6:7], s[0:1], 0x20
	s_mov_b32 s5, 0
	s_mov_b32 s1, s5
	s_mul_i32 s0, s18, s19
	s_waitcnt lgkmcnt(0)
	s_add_i32 s4, s12, -1
	s_lshl_b64 s[4:5], s[4:5], 2
	s_add_u32 s4, s10, s4
	v_mad_u64_u32 v[0:1], s[8:9], s12, v4, 0
	s_addc_u32 s5, s11, s5
	v_lshl_add_u64 v[0:1], v[0:1], 2, s[4:5]
	s_mul_hi_u32 s5, s12, s0
	s_mul_i32 s4, s12, s0
	s_lshl_b64 s[4:5], s[4:5], 2
	v_lshl_add_u64 v[2:3], v[4:5], 2, s[6:7]
	s_lshl_b64 s[6:7], s[0:1], 2
	s_mov_b64 s[8:9], 0
.LBB1971_16:                            ; =>This Inner Loop Header: Depth=1
	global_load_dword v6, v[0:1], off
	v_lshl_add_u64 v[4:5], v[4:5], 0, s[0:1]
	v_cmp_le_u64_e32 vcc, s[2:3], v[4:5]
	v_lshl_add_u64 v[0:1], v[0:1], 0, s[4:5]
	s_or_b64 s[8:9], vcc, s[8:9]
	s_waitcnt vmcnt(0)
	global_store_dword v[2:3], v6, off
	v_lshl_add_u64 v[2:3], v[2:3], 0, s[6:7]
	s_andn2_b64 exec, exec, s[8:9]
	s_cbranch_execnz .LBB1971_16
.LBB1971_17:
	s_endpgm
	.section	.rodata,"a",@progbits
	.p2align	6, 0x0
	.amdhsa_kernel _ZN7rocprim17ROCPRIM_400000_NS6detail30init_device_scan_by_key_kernelINS1_19lookback_scan_stateINS0_5tupleIJ11FixedVectorIiLj2EEbEEELb1ELb1EEEN6thrust23THRUST_200600_302600_NS6detail15normal_iteratorINSA_10device_ptrIjEEEEjNS1_16block_id_wrapperIjLb0EEEEEvT_jjPNSI_10value_typeET0_PNSt15iterator_traitsISL_E10value_typeEmT1_T2_
		.amdhsa_group_segment_fixed_size 0
		.amdhsa_private_segment_fixed_size 0
		.amdhsa_kernarg_size 312
		.amdhsa_user_sgpr_count 2
		.amdhsa_user_sgpr_dispatch_ptr 0
		.amdhsa_user_sgpr_queue_ptr 0
		.amdhsa_user_sgpr_kernarg_segment_ptr 1
		.amdhsa_user_sgpr_dispatch_id 0
		.amdhsa_user_sgpr_kernarg_preload_length 0
		.amdhsa_user_sgpr_kernarg_preload_offset 0
		.amdhsa_user_sgpr_private_segment_size 0
		.amdhsa_uses_dynamic_stack 0
		.amdhsa_enable_private_segment 0
		.amdhsa_system_sgpr_workgroup_id_x 1
		.amdhsa_system_sgpr_workgroup_id_y 0
		.amdhsa_system_sgpr_workgroup_id_z 0
		.amdhsa_system_sgpr_workgroup_info 0
		.amdhsa_system_vgpr_workitem_id 0
		.amdhsa_next_free_vgpr 22
		.amdhsa_next_free_sgpr 20
		.amdhsa_accum_offset 24
		.amdhsa_reserve_vcc 1
		.amdhsa_float_round_mode_32 0
		.amdhsa_float_round_mode_16_64 0
		.amdhsa_float_denorm_mode_32 3
		.amdhsa_float_denorm_mode_16_64 3
		.amdhsa_dx10_clamp 1
		.amdhsa_ieee_mode 1
		.amdhsa_fp16_overflow 0
		.amdhsa_tg_split 0
		.amdhsa_exception_fp_ieee_invalid_op 0
		.amdhsa_exception_fp_denorm_src 0
		.amdhsa_exception_fp_ieee_div_zero 0
		.amdhsa_exception_fp_ieee_overflow 0
		.amdhsa_exception_fp_ieee_underflow 0
		.amdhsa_exception_fp_ieee_inexact 0
		.amdhsa_exception_int_div_zero 0
	.end_amdhsa_kernel
	.section	.text._ZN7rocprim17ROCPRIM_400000_NS6detail30init_device_scan_by_key_kernelINS1_19lookback_scan_stateINS0_5tupleIJ11FixedVectorIiLj2EEbEEELb1ELb1EEEN6thrust23THRUST_200600_302600_NS6detail15normal_iteratorINSA_10device_ptrIjEEEEjNS1_16block_id_wrapperIjLb0EEEEEvT_jjPNSI_10value_typeET0_PNSt15iterator_traitsISL_E10value_typeEmT1_T2_,"axG",@progbits,_ZN7rocprim17ROCPRIM_400000_NS6detail30init_device_scan_by_key_kernelINS1_19lookback_scan_stateINS0_5tupleIJ11FixedVectorIiLj2EEbEEELb1ELb1EEEN6thrust23THRUST_200600_302600_NS6detail15normal_iteratorINSA_10device_ptrIjEEEEjNS1_16block_id_wrapperIjLb0EEEEEvT_jjPNSI_10value_typeET0_PNSt15iterator_traitsISL_E10value_typeEmT1_T2_,comdat
.Lfunc_end1971:
	.size	_ZN7rocprim17ROCPRIM_400000_NS6detail30init_device_scan_by_key_kernelINS1_19lookback_scan_stateINS0_5tupleIJ11FixedVectorIiLj2EEbEEELb1ELb1EEEN6thrust23THRUST_200600_302600_NS6detail15normal_iteratorINSA_10device_ptrIjEEEEjNS1_16block_id_wrapperIjLb0EEEEEvT_jjPNSI_10value_typeET0_PNSt15iterator_traitsISL_E10value_typeEmT1_T2_, .Lfunc_end1971-_ZN7rocprim17ROCPRIM_400000_NS6detail30init_device_scan_by_key_kernelINS1_19lookback_scan_stateINS0_5tupleIJ11FixedVectorIiLj2EEbEEELb1ELb1EEEN6thrust23THRUST_200600_302600_NS6detail15normal_iteratorINSA_10device_ptrIjEEEEjNS1_16block_id_wrapperIjLb0EEEEEvT_jjPNSI_10value_typeET0_PNSt15iterator_traitsISL_E10value_typeEmT1_T2_
                                        ; -- End function
	.section	.AMDGPU.csdata,"",@progbits
; Kernel info:
; codeLenInByte = 792
; NumSgprs: 26
; NumVgprs: 22
; NumAgprs: 0
; TotalNumVgprs: 22
; ScratchSize: 0
; MemoryBound: 0
; FloatMode: 240
; IeeeMode: 1
; LDSByteSize: 0 bytes/workgroup (compile time only)
; SGPRBlocks: 3
; VGPRBlocks: 2
; NumSGPRsForWavesPerEU: 26
; NumVGPRsForWavesPerEU: 22
; AccumOffset: 24
; Occupancy: 8
; WaveLimiterHint : 0
; COMPUTE_PGM_RSRC2:SCRATCH_EN: 0
; COMPUTE_PGM_RSRC2:USER_SGPR: 2
; COMPUTE_PGM_RSRC2:TRAP_HANDLER: 0
; COMPUTE_PGM_RSRC2:TGID_X_EN: 1
; COMPUTE_PGM_RSRC2:TGID_Y_EN: 0
; COMPUTE_PGM_RSRC2:TGID_Z_EN: 0
; COMPUTE_PGM_RSRC2:TIDIG_COMP_CNT: 0
; COMPUTE_PGM_RSRC3_GFX90A:ACCUM_OFFSET: 5
; COMPUTE_PGM_RSRC3_GFX90A:TG_SPLIT: 0
	.section	.text._ZN7rocprim17ROCPRIM_400000_NS6detail30init_device_scan_by_key_kernelINS1_19lookback_scan_stateINS0_5tupleIJ11FixedVectorIiLj2EEbEEELb1ELb1EEENS1_16block_id_wrapperIjLb0EEEEEvT_jjPNSB_10value_typeET0_,"axG",@progbits,_ZN7rocprim17ROCPRIM_400000_NS6detail30init_device_scan_by_key_kernelINS1_19lookback_scan_stateINS0_5tupleIJ11FixedVectorIiLj2EEbEEELb1ELb1EEENS1_16block_id_wrapperIjLb0EEEEEvT_jjPNSB_10value_typeET0_,comdat
	.protected	_ZN7rocprim17ROCPRIM_400000_NS6detail30init_device_scan_by_key_kernelINS1_19lookback_scan_stateINS0_5tupleIJ11FixedVectorIiLj2EEbEEELb1ELb1EEENS1_16block_id_wrapperIjLb0EEEEEvT_jjPNSB_10value_typeET0_ ; -- Begin function _ZN7rocprim17ROCPRIM_400000_NS6detail30init_device_scan_by_key_kernelINS1_19lookback_scan_stateINS0_5tupleIJ11FixedVectorIiLj2EEbEEELb1ELb1EEENS1_16block_id_wrapperIjLb0EEEEEvT_jjPNSB_10value_typeET0_
	.globl	_ZN7rocprim17ROCPRIM_400000_NS6detail30init_device_scan_by_key_kernelINS1_19lookback_scan_stateINS0_5tupleIJ11FixedVectorIiLj2EEbEEELb1ELb1EEENS1_16block_id_wrapperIjLb0EEEEEvT_jjPNSB_10value_typeET0_
	.p2align	8
	.type	_ZN7rocprim17ROCPRIM_400000_NS6detail30init_device_scan_by_key_kernelINS1_19lookback_scan_stateINS0_5tupleIJ11FixedVectorIiLj2EEbEEELb1ELb1EEENS1_16block_id_wrapperIjLb0EEEEEvT_jjPNSB_10value_typeET0_,@function
_ZN7rocprim17ROCPRIM_400000_NS6detail30init_device_scan_by_key_kernelINS1_19lookback_scan_stateINS0_5tupleIJ11FixedVectorIiLj2EEbEEELb1ELb1EEENS1_16block_id_wrapperIjLb0EEEEEvT_jjPNSB_10value_typeET0_: ; @_ZN7rocprim17ROCPRIM_400000_NS6detail30init_device_scan_by_key_kernelINS1_19lookback_scan_stateINS0_5tupleIJ11FixedVectorIiLj2EEbEEELb1ELb1EEENS1_16block_id_wrapperIjLb0EEEEEvT_jjPNSB_10value_typeET0_
; %bb.0:
	s_load_dword s3, s[0:1], 0x2c
	s_load_dwordx2 s[8:9], s[0:1], 0x10
	s_load_dwordx4 s[4:7], s[0:1], 0x0
	s_waitcnt lgkmcnt(0)
	s_and_b32 s0, s3, 0xffff
	s_mul_i32 s2, s2, s0
	s_cmp_eq_u64 s[8:9], 0
	v_add_u32_e32 v0, s2, v0
	s_cbranch_scc1 .LBB1972_10
; %bb.1:
	s_cmp_lt_u32 s7, s6
	s_cselect_b32 s0, s7, 0
	s_mov_b32 s3, 0
	v_cmp_eq_u32_e32 vcc, s0, v0
	s_and_saveexec_b64 s[0:1], vcc
	s_cbranch_execz .LBB1972_9
; %bb.2:
	s_add_i32 s2, s7, 64
	s_lshl_b64 s[2:3], s[2:3], 4
	s_add_u32 s10, s4, s2
	s_addc_u32 s11, s5, s3
	v_mov_b64_e32 v[2:3], s[10:11]
	v_mov_b32_e32 v12, 0
	;;#ASMSTART
	global_load_dwordx4 v[2:5], v[2:3] off sc1	
s_waitcnt vmcnt(0)
	;;#ASMEND
	s_mov_b64 s[12:13], 0
	v_lshlrev_b64 v[16:17], 24, v[4:5]
	v_lshrrev_b32_e32 v1, 8, v3
	v_lshlrev_b64 v[18:19], 16, v[4:5]
	v_lshlrev_b64 v[20:21], 8, v[4:5]
	v_and_b32_e32 v13, 0xff, v5
	v_lshrrev_b64 v[6:7], 8, v[2:3]
	v_lshrrev_b64 v[10:11], 16, v[2:3]
	;; [unrolled: 1-line block ×3, first 2 shown]
	v_mov_b32_e32 v14, v3
	v_or_b32_e32 v16, v1, v16
	v_or_b32_sdwa v18, v3, v18 dst_sel:DWORD dst_unused:UNUSED_PAD src0_sel:WORD_1 src1_sel:DWORD
	v_or_b32_sdwa v20, v3, v20 dst_sel:DWORD dst_unused:UNUSED_PAD src0_sel:BYTE_3 src1_sel:DWORD
	v_cmp_eq_u64_e32 vcc, 0, v[12:13]
	s_and_saveexec_b64 s[2:3], vcc
	s_cbranch_execz .LBB1972_8
; %bb.3:
	s_mov_b32 s7, 1
	v_mov_b64_e32 v[6:7], s[10:11]
.LBB1972_4:                             ; =>This Loop Header: Depth=1
                                        ;     Child Loop BB1972_5 Depth 2
	s_max_u32 s10, s7, 1
.LBB1972_5:                             ;   Parent Loop BB1972_4 Depth=1
                                        ; =>  This Inner Loop Header: Depth=2
	s_add_i32 s10, s10, -1
	s_cmp_eq_u32 s10, 0
	s_sleep 1
	s_cbranch_scc0 .LBB1972_5
; %bb.6:                                ;   in Loop: Header=BB1972_4 Depth=1
	s_cmp_lt_u32 s7, 32
	s_cselect_b64 s[10:11], -1, 0
	s_cmp_lg_u64 s[10:11], 0
	;;#ASMSTART
	global_load_dwordx4 v[2:5], v[6:7] off sc1	
s_waitcnt vmcnt(0)
	;;#ASMEND
	s_addc_u32 s7, s7, 0
	v_and_b32_e32 v13, 0xff, v5
	v_cmp_ne_u64_e32 vcc, 0, v[12:13]
	s_or_b64 s[12:13], vcc, s[12:13]
	s_andn2_b64 exec, exec, s[12:13]
	s_cbranch_execnz .LBB1972_4
; %bb.7:
	s_or_b64 exec, exec, s[12:13]
	v_lshlrev_b64 v[12:13], 24, v[4:5]
	v_lshrrev_b32_e32 v1, 8, v3
	v_or_b32_e32 v16, v1, v12
	v_lshlrev_b64 v[12:13], 16, v[4:5]
	v_or_b32_sdwa v18, v3, v12 dst_sel:DWORD dst_unused:UNUSED_PAD src0_sel:WORD_1 src1_sel:DWORD
	v_lshlrev_b64 v[12:13], 8, v[4:5]
	v_lshrrev_b64 v[6:7], 8, v[2:3]
	v_lshrrev_b64 v[10:11], 16, v[2:3]
	;; [unrolled: 1-line block ×3, first 2 shown]
	v_mov_b32_e32 v14, v3
	v_or_b32_sdwa v20, v3, v12 dst_sel:DWORD dst_unused:UNUSED_PAD src0_sel:BYTE_3 src1_sel:DWORD
.LBB1972_8:
	s_or_b64 exec, exec, s[2:3]
	v_lshlrev_b32_e32 v3, 16, v18
	v_lshlrev_b32_e32 v1, 24, v20
	v_and_b32_e32 v3, 0xff0000, v3
	v_lshlrev_b32_e32 v5, 8, v16
	v_and_b32_e32 v5, 0xff00, v5
	v_and_b32_e32 v9, 0xff, v14
	v_lshlrev_b32_e32 v10, 16, v10
	v_or_b32_e32 v1, v3, v1
	s_mov_b32 s2, 0x4020c0c
	v_lshlrev_b32_e32 v6, 8, v6
	v_or3_b32 v3, v1, v5, v9
	v_perm_b32 v1, v8, v10, s2
	v_and_b32_e32 v6, 0xff00, v6
	v_mov_b32_e32 v7, 0
	v_or_b32_sdwa v2, v1, v2 dst_sel:DWORD dst_unused:UNUSED_PAD src0_sel:DWORD src1_sel:BYTE_0
	v_lshl_add_u64 v[2:3], v[2:3], 0, v[6:7]
	global_store_dwordx2 v7, v[2:3], s[8:9]
	global_store_byte v7, v4, s[8:9] offset:8
.LBB1972_9:
	s_or_b64 exec, exec, s[0:1]
.LBB1972_10:
	v_cmp_gt_u32_e32 vcc, s6, v0
	s_and_saveexec_b64 s[0:1], vcc
	s_cbranch_execnz .LBB1972_13
; %bb.11:
	s_or_b64 exec, exec, s[0:1]
	v_cmp_gt_u32_e32 vcc, 64, v0
	s_and_saveexec_b64 s[0:1], vcc
	s_cbranch_execnz .LBB1972_14
.LBB1972_12:
	s_endpgm
.LBB1972_13:
	v_add_u32_e32 v2, 64, v0
	v_mov_b32_e32 v3, 0
	v_lshl_add_u64 v[6:7], v[2:3], 4, s[4:5]
	v_mov_b32_e32 v2, v3
	v_mov_b32_e32 v4, v3
	;; [unrolled: 1-line block ×3, first 2 shown]
	global_store_dwordx4 v[6:7], v[2:5], off
	s_or_b64 exec, exec, s[0:1]
	v_cmp_gt_u32_e32 vcc, 64, v0
	s_and_saveexec_b64 s[0:1], vcc
	s_cbranch_execz .LBB1972_12
.LBB1972_14:
	v_mov_b32_e32 v1, 0
	v_lshl_add_u64 v[4:5], v[0:1], 4, s[4:5]
	v_mov_b32_e32 v3, 0xff
	v_mov_b32_e32 v0, v1
	;; [unrolled: 1-line block ×3, first 2 shown]
	global_store_dwordx4 v[4:5], v[0:3], off
	s_endpgm
	.section	.rodata,"a",@progbits
	.p2align	6, 0x0
	.amdhsa_kernel _ZN7rocprim17ROCPRIM_400000_NS6detail30init_device_scan_by_key_kernelINS1_19lookback_scan_stateINS0_5tupleIJ11FixedVectorIiLj2EEbEEELb1ELb1EEENS1_16block_id_wrapperIjLb0EEEEEvT_jjPNSB_10value_typeET0_
		.amdhsa_group_segment_fixed_size 0
		.amdhsa_private_segment_fixed_size 0
		.amdhsa_kernarg_size 288
		.amdhsa_user_sgpr_count 2
		.amdhsa_user_sgpr_dispatch_ptr 0
		.amdhsa_user_sgpr_queue_ptr 0
		.amdhsa_user_sgpr_kernarg_segment_ptr 1
		.amdhsa_user_sgpr_dispatch_id 0
		.amdhsa_user_sgpr_kernarg_preload_length 0
		.amdhsa_user_sgpr_kernarg_preload_offset 0
		.amdhsa_user_sgpr_private_segment_size 0
		.amdhsa_uses_dynamic_stack 0
		.amdhsa_enable_private_segment 0
		.amdhsa_system_sgpr_workgroup_id_x 1
		.amdhsa_system_sgpr_workgroup_id_y 0
		.amdhsa_system_sgpr_workgroup_id_z 0
		.amdhsa_system_sgpr_workgroup_info 0
		.amdhsa_system_vgpr_workitem_id 0
		.amdhsa_next_free_vgpr 22
		.amdhsa_next_free_sgpr 14
		.amdhsa_accum_offset 24
		.amdhsa_reserve_vcc 1
		.amdhsa_float_round_mode_32 0
		.amdhsa_float_round_mode_16_64 0
		.amdhsa_float_denorm_mode_32 3
		.amdhsa_float_denorm_mode_16_64 3
		.amdhsa_dx10_clamp 1
		.amdhsa_ieee_mode 1
		.amdhsa_fp16_overflow 0
		.amdhsa_tg_split 0
		.amdhsa_exception_fp_ieee_invalid_op 0
		.amdhsa_exception_fp_denorm_src 0
		.amdhsa_exception_fp_ieee_div_zero 0
		.amdhsa_exception_fp_ieee_overflow 0
		.amdhsa_exception_fp_ieee_underflow 0
		.amdhsa_exception_fp_ieee_inexact 0
		.amdhsa_exception_int_div_zero 0
	.end_amdhsa_kernel
	.section	.text._ZN7rocprim17ROCPRIM_400000_NS6detail30init_device_scan_by_key_kernelINS1_19lookback_scan_stateINS0_5tupleIJ11FixedVectorIiLj2EEbEEELb1ELb1EEENS1_16block_id_wrapperIjLb0EEEEEvT_jjPNSB_10value_typeET0_,"axG",@progbits,_ZN7rocprim17ROCPRIM_400000_NS6detail30init_device_scan_by_key_kernelINS1_19lookback_scan_stateINS0_5tupleIJ11FixedVectorIiLj2EEbEEELb1ELb1EEENS1_16block_id_wrapperIjLb0EEEEEvT_jjPNSB_10value_typeET0_,comdat
.Lfunc_end1972:
	.size	_ZN7rocprim17ROCPRIM_400000_NS6detail30init_device_scan_by_key_kernelINS1_19lookback_scan_stateINS0_5tupleIJ11FixedVectorIiLj2EEbEEELb1ELb1EEENS1_16block_id_wrapperIjLb0EEEEEvT_jjPNSB_10value_typeET0_, .Lfunc_end1972-_ZN7rocprim17ROCPRIM_400000_NS6detail30init_device_scan_by_key_kernelINS1_19lookback_scan_stateINS0_5tupleIJ11FixedVectorIiLj2EEbEEELb1ELb1EEENS1_16block_id_wrapperIjLb0EEEEEvT_jjPNSB_10value_typeET0_
                                        ; -- End function
	.section	.AMDGPU.csdata,"",@progbits
; Kernel info:
; codeLenInByte = 628
; NumSgprs: 20
; NumVgprs: 22
; NumAgprs: 0
; TotalNumVgprs: 22
; ScratchSize: 0
; MemoryBound: 0
; FloatMode: 240
; IeeeMode: 1
; LDSByteSize: 0 bytes/workgroup (compile time only)
; SGPRBlocks: 2
; VGPRBlocks: 2
; NumSGPRsForWavesPerEU: 20
; NumVGPRsForWavesPerEU: 22
; AccumOffset: 24
; Occupancy: 8
; WaveLimiterHint : 0
; COMPUTE_PGM_RSRC2:SCRATCH_EN: 0
; COMPUTE_PGM_RSRC2:USER_SGPR: 2
; COMPUTE_PGM_RSRC2:TRAP_HANDLER: 0
; COMPUTE_PGM_RSRC2:TGID_X_EN: 1
; COMPUTE_PGM_RSRC2:TGID_Y_EN: 0
; COMPUTE_PGM_RSRC2:TGID_Z_EN: 0
; COMPUTE_PGM_RSRC2:TIDIG_COMP_CNT: 0
; COMPUTE_PGM_RSRC3_GFX90A:ACCUM_OFFSET: 5
; COMPUTE_PGM_RSRC3_GFX90A:TG_SPLIT: 0
	.section	.text._ZN7rocprim17ROCPRIM_400000_NS6detail17trampoline_kernelINS0_14default_configENS1_27scan_by_key_config_selectorIj11FixedVectorIiLj2EEEEZZNS1_16scan_by_key_implILNS1_25lookback_scan_determinismE0ELb0ES3_N6thrust23THRUST_200600_302600_NS6detail15normal_iteratorINSB_10device_ptrIjEEEENSD_INSE_IS6_EEEESI_S6_NSB_4plusIvEENSB_8equal_toIvEES6_EE10hipError_tPvRmT2_T3_T4_T5_mT6_T7_P12ihipStream_tbENKUlT_T0_E_clISt17integral_constantIbLb1EES12_IbLb0EEEEDaSY_SZ_EUlSY_E_NS1_11comp_targetILNS1_3genE0ELNS1_11target_archE4294967295ELNS1_3gpuE0ELNS1_3repE0EEENS1_30default_config_static_selectorELNS0_4arch9wavefront6targetE1EEEvT1_,"axG",@progbits,_ZN7rocprim17ROCPRIM_400000_NS6detail17trampoline_kernelINS0_14default_configENS1_27scan_by_key_config_selectorIj11FixedVectorIiLj2EEEEZZNS1_16scan_by_key_implILNS1_25lookback_scan_determinismE0ELb0ES3_N6thrust23THRUST_200600_302600_NS6detail15normal_iteratorINSB_10device_ptrIjEEEENSD_INSE_IS6_EEEESI_S6_NSB_4plusIvEENSB_8equal_toIvEES6_EE10hipError_tPvRmT2_T3_T4_T5_mT6_T7_P12ihipStream_tbENKUlT_T0_E_clISt17integral_constantIbLb1EES12_IbLb0EEEEDaSY_SZ_EUlSY_E_NS1_11comp_targetILNS1_3genE0ELNS1_11target_archE4294967295ELNS1_3gpuE0ELNS1_3repE0EEENS1_30default_config_static_selectorELNS0_4arch9wavefront6targetE1EEEvT1_,comdat
	.protected	_ZN7rocprim17ROCPRIM_400000_NS6detail17trampoline_kernelINS0_14default_configENS1_27scan_by_key_config_selectorIj11FixedVectorIiLj2EEEEZZNS1_16scan_by_key_implILNS1_25lookback_scan_determinismE0ELb0ES3_N6thrust23THRUST_200600_302600_NS6detail15normal_iteratorINSB_10device_ptrIjEEEENSD_INSE_IS6_EEEESI_S6_NSB_4plusIvEENSB_8equal_toIvEES6_EE10hipError_tPvRmT2_T3_T4_T5_mT6_T7_P12ihipStream_tbENKUlT_T0_E_clISt17integral_constantIbLb1EES12_IbLb0EEEEDaSY_SZ_EUlSY_E_NS1_11comp_targetILNS1_3genE0ELNS1_11target_archE4294967295ELNS1_3gpuE0ELNS1_3repE0EEENS1_30default_config_static_selectorELNS0_4arch9wavefront6targetE1EEEvT1_ ; -- Begin function _ZN7rocprim17ROCPRIM_400000_NS6detail17trampoline_kernelINS0_14default_configENS1_27scan_by_key_config_selectorIj11FixedVectorIiLj2EEEEZZNS1_16scan_by_key_implILNS1_25lookback_scan_determinismE0ELb0ES3_N6thrust23THRUST_200600_302600_NS6detail15normal_iteratorINSB_10device_ptrIjEEEENSD_INSE_IS6_EEEESI_S6_NSB_4plusIvEENSB_8equal_toIvEES6_EE10hipError_tPvRmT2_T3_T4_T5_mT6_T7_P12ihipStream_tbENKUlT_T0_E_clISt17integral_constantIbLb1EES12_IbLb0EEEEDaSY_SZ_EUlSY_E_NS1_11comp_targetILNS1_3genE0ELNS1_11target_archE4294967295ELNS1_3gpuE0ELNS1_3repE0EEENS1_30default_config_static_selectorELNS0_4arch9wavefront6targetE1EEEvT1_
	.globl	_ZN7rocprim17ROCPRIM_400000_NS6detail17trampoline_kernelINS0_14default_configENS1_27scan_by_key_config_selectorIj11FixedVectorIiLj2EEEEZZNS1_16scan_by_key_implILNS1_25lookback_scan_determinismE0ELb0ES3_N6thrust23THRUST_200600_302600_NS6detail15normal_iteratorINSB_10device_ptrIjEEEENSD_INSE_IS6_EEEESI_S6_NSB_4plusIvEENSB_8equal_toIvEES6_EE10hipError_tPvRmT2_T3_T4_T5_mT6_T7_P12ihipStream_tbENKUlT_T0_E_clISt17integral_constantIbLb1EES12_IbLb0EEEEDaSY_SZ_EUlSY_E_NS1_11comp_targetILNS1_3genE0ELNS1_11target_archE4294967295ELNS1_3gpuE0ELNS1_3repE0EEENS1_30default_config_static_selectorELNS0_4arch9wavefront6targetE1EEEvT1_
	.p2align	8
	.type	_ZN7rocprim17ROCPRIM_400000_NS6detail17trampoline_kernelINS0_14default_configENS1_27scan_by_key_config_selectorIj11FixedVectorIiLj2EEEEZZNS1_16scan_by_key_implILNS1_25lookback_scan_determinismE0ELb0ES3_N6thrust23THRUST_200600_302600_NS6detail15normal_iteratorINSB_10device_ptrIjEEEENSD_INSE_IS6_EEEESI_S6_NSB_4plusIvEENSB_8equal_toIvEES6_EE10hipError_tPvRmT2_T3_T4_T5_mT6_T7_P12ihipStream_tbENKUlT_T0_E_clISt17integral_constantIbLb1EES12_IbLb0EEEEDaSY_SZ_EUlSY_E_NS1_11comp_targetILNS1_3genE0ELNS1_11target_archE4294967295ELNS1_3gpuE0ELNS1_3repE0EEENS1_30default_config_static_selectorELNS0_4arch9wavefront6targetE1EEEvT1_,@function
_ZN7rocprim17ROCPRIM_400000_NS6detail17trampoline_kernelINS0_14default_configENS1_27scan_by_key_config_selectorIj11FixedVectorIiLj2EEEEZZNS1_16scan_by_key_implILNS1_25lookback_scan_determinismE0ELb0ES3_N6thrust23THRUST_200600_302600_NS6detail15normal_iteratorINSB_10device_ptrIjEEEENSD_INSE_IS6_EEEESI_S6_NSB_4plusIvEENSB_8equal_toIvEES6_EE10hipError_tPvRmT2_T3_T4_T5_mT6_T7_P12ihipStream_tbENKUlT_T0_E_clISt17integral_constantIbLb1EES12_IbLb0EEEEDaSY_SZ_EUlSY_E_NS1_11comp_targetILNS1_3genE0ELNS1_11target_archE4294967295ELNS1_3gpuE0ELNS1_3repE0EEENS1_30default_config_static_selectorELNS0_4arch9wavefront6targetE1EEEvT1_: ; @_ZN7rocprim17ROCPRIM_400000_NS6detail17trampoline_kernelINS0_14default_configENS1_27scan_by_key_config_selectorIj11FixedVectorIiLj2EEEEZZNS1_16scan_by_key_implILNS1_25lookback_scan_determinismE0ELb0ES3_N6thrust23THRUST_200600_302600_NS6detail15normal_iteratorINSB_10device_ptrIjEEEENSD_INSE_IS6_EEEESI_S6_NSB_4plusIvEENSB_8equal_toIvEES6_EE10hipError_tPvRmT2_T3_T4_T5_mT6_T7_P12ihipStream_tbENKUlT_T0_E_clISt17integral_constantIbLb1EES12_IbLb0EEEEDaSY_SZ_EUlSY_E_NS1_11comp_targetILNS1_3genE0ELNS1_11target_archE4294967295ELNS1_3gpuE0ELNS1_3repE0EEENS1_30default_config_static_selectorELNS0_4arch9wavefront6targetE1EEEvT1_
; %bb.0:
	.section	.rodata,"a",@progbits
	.p2align	6, 0x0
	.amdhsa_kernel _ZN7rocprim17ROCPRIM_400000_NS6detail17trampoline_kernelINS0_14default_configENS1_27scan_by_key_config_selectorIj11FixedVectorIiLj2EEEEZZNS1_16scan_by_key_implILNS1_25lookback_scan_determinismE0ELb0ES3_N6thrust23THRUST_200600_302600_NS6detail15normal_iteratorINSB_10device_ptrIjEEEENSD_INSE_IS6_EEEESI_S6_NSB_4plusIvEENSB_8equal_toIvEES6_EE10hipError_tPvRmT2_T3_T4_T5_mT6_T7_P12ihipStream_tbENKUlT_T0_E_clISt17integral_constantIbLb1EES12_IbLb0EEEEDaSY_SZ_EUlSY_E_NS1_11comp_targetILNS1_3genE0ELNS1_11target_archE4294967295ELNS1_3gpuE0ELNS1_3repE0EEENS1_30default_config_static_selectorELNS0_4arch9wavefront6targetE1EEEvT1_
		.amdhsa_group_segment_fixed_size 0
		.amdhsa_private_segment_fixed_size 0
		.amdhsa_kernarg_size 120
		.amdhsa_user_sgpr_count 2
		.amdhsa_user_sgpr_dispatch_ptr 0
		.amdhsa_user_sgpr_queue_ptr 0
		.amdhsa_user_sgpr_kernarg_segment_ptr 1
		.amdhsa_user_sgpr_dispatch_id 0
		.amdhsa_user_sgpr_kernarg_preload_length 0
		.amdhsa_user_sgpr_kernarg_preload_offset 0
		.amdhsa_user_sgpr_private_segment_size 0
		.amdhsa_uses_dynamic_stack 0
		.amdhsa_enable_private_segment 0
		.amdhsa_system_sgpr_workgroup_id_x 1
		.amdhsa_system_sgpr_workgroup_id_y 0
		.amdhsa_system_sgpr_workgroup_id_z 0
		.amdhsa_system_sgpr_workgroup_info 0
		.amdhsa_system_vgpr_workitem_id 0
		.amdhsa_next_free_vgpr 1
		.amdhsa_next_free_sgpr 0
		.amdhsa_accum_offset 4
		.amdhsa_reserve_vcc 0
		.amdhsa_float_round_mode_32 0
		.amdhsa_float_round_mode_16_64 0
		.amdhsa_float_denorm_mode_32 3
		.amdhsa_float_denorm_mode_16_64 3
		.amdhsa_dx10_clamp 1
		.amdhsa_ieee_mode 1
		.amdhsa_fp16_overflow 0
		.amdhsa_tg_split 0
		.amdhsa_exception_fp_ieee_invalid_op 0
		.amdhsa_exception_fp_denorm_src 0
		.amdhsa_exception_fp_ieee_div_zero 0
		.amdhsa_exception_fp_ieee_overflow 0
		.amdhsa_exception_fp_ieee_underflow 0
		.amdhsa_exception_fp_ieee_inexact 0
		.amdhsa_exception_int_div_zero 0
	.end_amdhsa_kernel
	.section	.text._ZN7rocprim17ROCPRIM_400000_NS6detail17trampoline_kernelINS0_14default_configENS1_27scan_by_key_config_selectorIj11FixedVectorIiLj2EEEEZZNS1_16scan_by_key_implILNS1_25lookback_scan_determinismE0ELb0ES3_N6thrust23THRUST_200600_302600_NS6detail15normal_iteratorINSB_10device_ptrIjEEEENSD_INSE_IS6_EEEESI_S6_NSB_4plusIvEENSB_8equal_toIvEES6_EE10hipError_tPvRmT2_T3_T4_T5_mT6_T7_P12ihipStream_tbENKUlT_T0_E_clISt17integral_constantIbLb1EES12_IbLb0EEEEDaSY_SZ_EUlSY_E_NS1_11comp_targetILNS1_3genE0ELNS1_11target_archE4294967295ELNS1_3gpuE0ELNS1_3repE0EEENS1_30default_config_static_selectorELNS0_4arch9wavefront6targetE1EEEvT1_,"axG",@progbits,_ZN7rocprim17ROCPRIM_400000_NS6detail17trampoline_kernelINS0_14default_configENS1_27scan_by_key_config_selectorIj11FixedVectorIiLj2EEEEZZNS1_16scan_by_key_implILNS1_25lookback_scan_determinismE0ELb0ES3_N6thrust23THRUST_200600_302600_NS6detail15normal_iteratorINSB_10device_ptrIjEEEENSD_INSE_IS6_EEEESI_S6_NSB_4plusIvEENSB_8equal_toIvEES6_EE10hipError_tPvRmT2_T3_T4_T5_mT6_T7_P12ihipStream_tbENKUlT_T0_E_clISt17integral_constantIbLb1EES12_IbLb0EEEEDaSY_SZ_EUlSY_E_NS1_11comp_targetILNS1_3genE0ELNS1_11target_archE4294967295ELNS1_3gpuE0ELNS1_3repE0EEENS1_30default_config_static_selectorELNS0_4arch9wavefront6targetE1EEEvT1_,comdat
.Lfunc_end1973:
	.size	_ZN7rocprim17ROCPRIM_400000_NS6detail17trampoline_kernelINS0_14default_configENS1_27scan_by_key_config_selectorIj11FixedVectorIiLj2EEEEZZNS1_16scan_by_key_implILNS1_25lookback_scan_determinismE0ELb0ES3_N6thrust23THRUST_200600_302600_NS6detail15normal_iteratorINSB_10device_ptrIjEEEENSD_INSE_IS6_EEEESI_S6_NSB_4plusIvEENSB_8equal_toIvEES6_EE10hipError_tPvRmT2_T3_T4_T5_mT6_T7_P12ihipStream_tbENKUlT_T0_E_clISt17integral_constantIbLb1EES12_IbLb0EEEEDaSY_SZ_EUlSY_E_NS1_11comp_targetILNS1_3genE0ELNS1_11target_archE4294967295ELNS1_3gpuE0ELNS1_3repE0EEENS1_30default_config_static_selectorELNS0_4arch9wavefront6targetE1EEEvT1_, .Lfunc_end1973-_ZN7rocprim17ROCPRIM_400000_NS6detail17trampoline_kernelINS0_14default_configENS1_27scan_by_key_config_selectorIj11FixedVectorIiLj2EEEEZZNS1_16scan_by_key_implILNS1_25lookback_scan_determinismE0ELb0ES3_N6thrust23THRUST_200600_302600_NS6detail15normal_iteratorINSB_10device_ptrIjEEEENSD_INSE_IS6_EEEESI_S6_NSB_4plusIvEENSB_8equal_toIvEES6_EE10hipError_tPvRmT2_T3_T4_T5_mT6_T7_P12ihipStream_tbENKUlT_T0_E_clISt17integral_constantIbLb1EES12_IbLb0EEEEDaSY_SZ_EUlSY_E_NS1_11comp_targetILNS1_3genE0ELNS1_11target_archE4294967295ELNS1_3gpuE0ELNS1_3repE0EEENS1_30default_config_static_selectorELNS0_4arch9wavefront6targetE1EEEvT1_
                                        ; -- End function
	.section	.AMDGPU.csdata,"",@progbits
; Kernel info:
; codeLenInByte = 0
; NumSgprs: 6
; NumVgprs: 0
; NumAgprs: 0
; TotalNumVgprs: 0
; ScratchSize: 0
; MemoryBound: 0
; FloatMode: 240
; IeeeMode: 1
; LDSByteSize: 0 bytes/workgroup (compile time only)
; SGPRBlocks: 0
; VGPRBlocks: 0
; NumSGPRsForWavesPerEU: 6
; NumVGPRsForWavesPerEU: 1
; AccumOffset: 4
; Occupancy: 8
; WaveLimiterHint : 0
; COMPUTE_PGM_RSRC2:SCRATCH_EN: 0
; COMPUTE_PGM_RSRC2:USER_SGPR: 2
; COMPUTE_PGM_RSRC2:TRAP_HANDLER: 0
; COMPUTE_PGM_RSRC2:TGID_X_EN: 1
; COMPUTE_PGM_RSRC2:TGID_Y_EN: 0
; COMPUTE_PGM_RSRC2:TGID_Z_EN: 0
; COMPUTE_PGM_RSRC2:TIDIG_COMP_CNT: 0
; COMPUTE_PGM_RSRC3_GFX90A:ACCUM_OFFSET: 0
; COMPUTE_PGM_RSRC3_GFX90A:TG_SPLIT: 0
	.section	.text._ZN7rocprim17ROCPRIM_400000_NS6detail17trampoline_kernelINS0_14default_configENS1_27scan_by_key_config_selectorIj11FixedVectorIiLj2EEEEZZNS1_16scan_by_key_implILNS1_25lookback_scan_determinismE0ELb0ES3_N6thrust23THRUST_200600_302600_NS6detail15normal_iteratorINSB_10device_ptrIjEEEENSD_INSE_IS6_EEEESI_S6_NSB_4plusIvEENSB_8equal_toIvEES6_EE10hipError_tPvRmT2_T3_T4_T5_mT6_T7_P12ihipStream_tbENKUlT_T0_E_clISt17integral_constantIbLb1EES12_IbLb0EEEEDaSY_SZ_EUlSY_E_NS1_11comp_targetILNS1_3genE10ELNS1_11target_archE1201ELNS1_3gpuE5ELNS1_3repE0EEENS1_30default_config_static_selectorELNS0_4arch9wavefront6targetE1EEEvT1_,"axG",@progbits,_ZN7rocprim17ROCPRIM_400000_NS6detail17trampoline_kernelINS0_14default_configENS1_27scan_by_key_config_selectorIj11FixedVectorIiLj2EEEEZZNS1_16scan_by_key_implILNS1_25lookback_scan_determinismE0ELb0ES3_N6thrust23THRUST_200600_302600_NS6detail15normal_iteratorINSB_10device_ptrIjEEEENSD_INSE_IS6_EEEESI_S6_NSB_4plusIvEENSB_8equal_toIvEES6_EE10hipError_tPvRmT2_T3_T4_T5_mT6_T7_P12ihipStream_tbENKUlT_T0_E_clISt17integral_constantIbLb1EES12_IbLb0EEEEDaSY_SZ_EUlSY_E_NS1_11comp_targetILNS1_3genE10ELNS1_11target_archE1201ELNS1_3gpuE5ELNS1_3repE0EEENS1_30default_config_static_selectorELNS0_4arch9wavefront6targetE1EEEvT1_,comdat
	.protected	_ZN7rocprim17ROCPRIM_400000_NS6detail17trampoline_kernelINS0_14default_configENS1_27scan_by_key_config_selectorIj11FixedVectorIiLj2EEEEZZNS1_16scan_by_key_implILNS1_25lookback_scan_determinismE0ELb0ES3_N6thrust23THRUST_200600_302600_NS6detail15normal_iteratorINSB_10device_ptrIjEEEENSD_INSE_IS6_EEEESI_S6_NSB_4plusIvEENSB_8equal_toIvEES6_EE10hipError_tPvRmT2_T3_T4_T5_mT6_T7_P12ihipStream_tbENKUlT_T0_E_clISt17integral_constantIbLb1EES12_IbLb0EEEEDaSY_SZ_EUlSY_E_NS1_11comp_targetILNS1_3genE10ELNS1_11target_archE1201ELNS1_3gpuE5ELNS1_3repE0EEENS1_30default_config_static_selectorELNS0_4arch9wavefront6targetE1EEEvT1_ ; -- Begin function _ZN7rocprim17ROCPRIM_400000_NS6detail17trampoline_kernelINS0_14default_configENS1_27scan_by_key_config_selectorIj11FixedVectorIiLj2EEEEZZNS1_16scan_by_key_implILNS1_25lookback_scan_determinismE0ELb0ES3_N6thrust23THRUST_200600_302600_NS6detail15normal_iteratorINSB_10device_ptrIjEEEENSD_INSE_IS6_EEEESI_S6_NSB_4plusIvEENSB_8equal_toIvEES6_EE10hipError_tPvRmT2_T3_T4_T5_mT6_T7_P12ihipStream_tbENKUlT_T0_E_clISt17integral_constantIbLb1EES12_IbLb0EEEEDaSY_SZ_EUlSY_E_NS1_11comp_targetILNS1_3genE10ELNS1_11target_archE1201ELNS1_3gpuE5ELNS1_3repE0EEENS1_30default_config_static_selectorELNS0_4arch9wavefront6targetE1EEEvT1_
	.globl	_ZN7rocprim17ROCPRIM_400000_NS6detail17trampoline_kernelINS0_14default_configENS1_27scan_by_key_config_selectorIj11FixedVectorIiLj2EEEEZZNS1_16scan_by_key_implILNS1_25lookback_scan_determinismE0ELb0ES3_N6thrust23THRUST_200600_302600_NS6detail15normal_iteratorINSB_10device_ptrIjEEEENSD_INSE_IS6_EEEESI_S6_NSB_4plusIvEENSB_8equal_toIvEES6_EE10hipError_tPvRmT2_T3_T4_T5_mT6_T7_P12ihipStream_tbENKUlT_T0_E_clISt17integral_constantIbLb1EES12_IbLb0EEEEDaSY_SZ_EUlSY_E_NS1_11comp_targetILNS1_3genE10ELNS1_11target_archE1201ELNS1_3gpuE5ELNS1_3repE0EEENS1_30default_config_static_selectorELNS0_4arch9wavefront6targetE1EEEvT1_
	.p2align	8
	.type	_ZN7rocprim17ROCPRIM_400000_NS6detail17trampoline_kernelINS0_14default_configENS1_27scan_by_key_config_selectorIj11FixedVectorIiLj2EEEEZZNS1_16scan_by_key_implILNS1_25lookback_scan_determinismE0ELb0ES3_N6thrust23THRUST_200600_302600_NS6detail15normal_iteratorINSB_10device_ptrIjEEEENSD_INSE_IS6_EEEESI_S6_NSB_4plusIvEENSB_8equal_toIvEES6_EE10hipError_tPvRmT2_T3_T4_T5_mT6_T7_P12ihipStream_tbENKUlT_T0_E_clISt17integral_constantIbLb1EES12_IbLb0EEEEDaSY_SZ_EUlSY_E_NS1_11comp_targetILNS1_3genE10ELNS1_11target_archE1201ELNS1_3gpuE5ELNS1_3repE0EEENS1_30default_config_static_selectorELNS0_4arch9wavefront6targetE1EEEvT1_,@function
_ZN7rocprim17ROCPRIM_400000_NS6detail17trampoline_kernelINS0_14default_configENS1_27scan_by_key_config_selectorIj11FixedVectorIiLj2EEEEZZNS1_16scan_by_key_implILNS1_25lookback_scan_determinismE0ELb0ES3_N6thrust23THRUST_200600_302600_NS6detail15normal_iteratorINSB_10device_ptrIjEEEENSD_INSE_IS6_EEEESI_S6_NSB_4plusIvEENSB_8equal_toIvEES6_EE10hipError_tPvRmT2_T3_T4_T5_mT6_T7_P12ihipStream_tbENKUlT_T0_E_clISt17integral_constantIbLb1EES12_IbLb0EEEEDaSY_SZ_EUlSY_E_NS1_11comp_targetILNS1_3genE10ELNS1_11target_archE1201ELNS1_3gpuE5ELNS1_3repE0EEENS1_30default_config_static_selectorELNS0_4arch9wavefront6targetE1EEEvT1_: ; @_ZN7rocprim17ROCPRIM_400000_NS6detail17trampoline_kernelINS0_14default_configENS1_27scan_by_key_config_selectorIj11FixedVectorIiLj2EEEEZZNS1_16scan_by_key_implILNS1_25lookback_scan_determinismE0ELb0ES3_N6thrust23THRUST_200600_302600_NS6detail15normal_iteratorINSB_10device_ptrIjEEEENSD_INSE_IS6_EEEESI_S6_NSB_4plusIvEENSB_8equal_toIvEES6_EE10hipError_tPvRmT2_T3_T4_T5_mT6_T7_P12ihipStream_tbENKUlT_T0_E_clISt17integral_constantIbLb1EES12_IbLb0EEEEDaSY_SZ_EUlSY_E_NS1_11comp_targetILNS1_3genE10ELNS1_11target_archE1201ELNS1_3gpuE5ELNS1_3repE0EEENS1_30default_config_static_selectorELNS0_4arch9wavefront6targetE1EEEvT1_
; %bb.0:
	.section	.rodata,"a",@progbits
	.p2align	6, 0x0
	.amdhsa_kernel _ZN7rocprim17ROCPRIM_400000_NS6detail17trampoline_kernelINS0_14default_configENS1_27scan_by_key_config_selectorIj11FixedVectorIiLj2EEEEZZNS1_16scan_by_key_implILNS1_25lookback_scan_determinismE0ELb0ES3_N6thrust23THRUST_200600_302600_NS6detail15normal_iteratorINSB_10device_ptrIjEEEENSD_INSE_IS6_EEEESI_S6_NSB_4plusIvEENSB_8equal_toIvEES6_EE10hipError_tPvRmT2_T3_T4_T5_mT6_T7_P12ihipStream_tbENKUlT_T0_E_clISt17integral_constantIbLb1EES12_IbLb0EEEEDaSY_SZ_EUlSY_E_NS1_11comp_targetILNS1_3genE10ELNS1_11target_archE1201ELNS1_3gpuE5ELNS1_3repE0EEENS1_30default_config_static_selectorELNS0_4arch9wavefront6targetE1EEEvT1_
		.amdhsa_group_segment_fixed_size 0
		.amdhsa_private_segment_fixed_size 0
		.amdhsa_kernarg_size 120
		.amdhsa_user_sgpr_count 2
		.amdhsa_user_sgpr_dispatch_ptr 0
		.amdhsa_user_sgpr_queue_ptr 0
		.amdhsa_user_sgpr_kernarg_segment_ptr 1
		.amdhsa_user_sgpr_dispatch_id 0
		.amdhsa_user_sgpr_kernarg_preload_length 0
		.amdhsa_user_sgpr_kernarg_preload_offset 0
		.amdhsa_user_sgpr_private_segment_size 0
		.amdhsa_uses_dynamic_stack 0
		.amdhsa_enable_private_segment 0
		.amdhsa_system_sgpr_workgroup_id_x 1
		.amdhsa_system_sgpr_workgroup_id_y 0
		.amdhsa_system_sgpr_workgroup_id_z 0
		.amdhsa_system_sgpr_workgroup_info 0
		.amdhsa_system_vgpr_workitem_id 0
		.amdhsa_next_free_vgpr 1
		.amdhsa_next_free_sgpr 0
		.amdhsa_accum_offset 4
		.amdhsa_reserve_vcc 0
		.amdhsa_float_round_mode_32 0
		.amdhsa_float_round_mode_16_64 0
		.amdhsa_float_denorm_mode_32 3
		.amdhsa_float_denorm_mode_16_64 3
		.amdhsa_dx10_clamp 1
		.amdhsa_ieee_mode 1
		.amdhsa_fp16_overflow 0
		.amdhsa_tg_split 0
		.amdhsa_exception_fp_ieee_invalid_op 0
		.amdhsa_exception_fp_denorm_src 0
		.amdhsa_exception_fp_ieee_div_zero 0
		.amdhsa_exception_fp_ieee_overflow 0
		.amdhsa_exception_fp_ieee_underflow 0
		.amdhsa_exception_fp_ieee_inexact 0
		.amdhsa_exception_int_div_zero 0
	.end_amdhsa_kernel
	.section	.text._ZN7rocprim17ROCPRIM_400000_NS6detail17trampoline_kernelINS0_14default_configENS1_27scan_by_key_config_selectorIj11FixedVectorIiLj2EEEEZZNS1_16scan_by_key_implILNS1_25lookback_scan_determinismE0ELb0ES3_N6thrust23THRUST_200600_302600_NS6detail15normal_iteratorINSB_10device_ptrIjEEEENSD_INSE_IS6_EEEESI_S6_NSB_4plusIvEENSB_8equal_toIvEES6_EE10hipError_tPvRmT2_T3_T4_T5_mT6_T7_P12ihipStream_tbENKUlT_T0_E_clISt17integral_constantIbLb1EES12_IbLb0EEEEDaSY_SZ_EUlSY_E_NS1_11comp_targetILNS1_3genE10ELNS1_11target_archE1201ELNS1_3gpuE5ELNS1_3repE0EEENS1_30default_config_static_selectorELNS0_4arch9wavefront6targetE1EEEvT1_,"axG",@progbits,_ZN7rocprim17ROCPRIM_400000_NS6detail17trampoline_kernelINS0_14default_configENS1_27scan_by_key_config_selectorIj11FixedVectorIiLj2EEEEZZNS1_16scan_by_key_implILNS1_25lookback_scan_determinismE0ELb0ES3_N6thrust23THRUST_200600_302600_NS6detail15normal_iteratorINSB_10device_ptrIjEEEENSD_INSE_IS6_EEEESI_S6_NSB_4plusIvEENSB_8equal_toIvEES6_EE10hipError_tPvRmT2_T3_T4_T5_mT6_T7_P12ihipStream_tbENKUlT_T0_E_clISt17integral_constantIbLb1EES12_IbLb0EEEEDaSY_SZ_EUlSY_E_NS1_11comp_targetILNS1_3genE10ELNS1_11target_archE1201ELNS1_3gpuE5ELNS1_3repE0EEENS1_30default_config_static_selectorELNS0_4arch9wavefront6targetE1EEEvT1_,comdat
.Lfunc_end1974:
	.size	_ZN7rocprim17ROCPRIM_400000_NS6detail17trampoline_kernelINS0_14default_configENS1_27scan_by_key_config_selectorIj11FixedVectorIiLj2EEEEZZNS1_16scan_by_key_implILNS1_25lookback_scan_determinismE0ELb0ES3_N6thrust23THRUST_200600_302600_NS6detail15normal_iteratorINSB_10device_ptrIjEEEENSD_INSE_IS6_EEEESI_S6_NSB_4plusIvEENSB_8equal_toIvEES6_EE10hipError_tPvRmT2_T3_T4_T5_mT6_T7_P12ihipStream_tbENKUlT_T0_E_clISt17integral_constantIbLb1EES12_IbLb0EEEEDaSY_SZ_EUlSY_E_NS1_11comp_targetILNS1_3genE10ELNS1_11target_archE1201ELNS1_3gpuE5ELNS1_3repE0EEENS1_30default_config_static_selectorELNS0_4arch9wavefront6targetE1EEEvT1_, .Lfunc_end1974-_ZN7rocprim17ROCPRIM_400000_NS6detail17trampoline_kernelINS0_14default_configENS1_27scan_by_key_config_selectorIj11FixedVectorIiLj2EEEEZZNS1_16scan_by_key_implILNS1_25lookback_scan_determinismE0ELb0ES3_N6thrust23THRUST_200600_302600_NS6detail15normal_iteratorINSB_10device_ptrIjEEEENSD_INSE_IS6_EEEESI_S6_NSB_4plusIvEENSB_8equal_toIvEES6_EE10hipError_tPvRmT2_T3_T4_T5_mT6_T7_P12ihipStream_tbENKUlT_T0_E_clISt17integral_constantIbLb1EES12_IbLb0EEEEDaSY_SZ_EUlSY_E_NS1_11comp_targetILNS1_3genE10ELNS1_11target_archE1201ELNS1_3gpuE5ELNS1_3repE0EEENS1_30default_config_static_selectorELNS0_4arch9wavefront6targetE1EEEvT1_
                                        ; -- End function
	.section	.AMDGPU.csdata,"",@progbits
; Kernel info:
; codeLenInByte = 0
; NumSgprs: 6
; NumVgprs: 0
; NumAgprs: 0
; TotalNumVgprs: 0
; ScratchSize: 0
; MemoryBound: 0
; FloatMode: 240
; IeeeMode: 1
; LDSByteSize: 0 bytes/workgroup (compile time only)
; SGPRBlocks: 0
; VGPRBlocks: 0
; NumSGPRsForWavesPerEU: 6
; NumVGPRsForWavesPerEU: 1
; AccumOffset: 4
; Occupancy: 8
; WaveLimiterHint : 0
; COMPUTE_PGM_RSRC2:SCRATCH_EN: 0
; COMPUTE_PGM_RSRC2:USER_SGPR: 2
; COMPUTE_PGM_RSRC2:TRAP_HANDLER: 0
; COMPUTE_PGM_RSRC2:TGID_X_EN: 1
; COMPUTE_PGM_RSRC2:TGID_Y_EN: 0
; COMPUTE_PGM_RSRC2:TGID_Z_EN: 0
; COMPUTE_PGM_RSRC2:TIDIG_COMP_CNT: 0
; COMPUTE_PGM_RSRC3_GFX90A:ACCUM_OFFSET: 0
; COMPUTE_PGM_RSRC3_GFX90A:TG_SPLIT: 0
	.section	.text._ZN7rocprim17ROCPRIM_400000_NS6detail17trampoline_kernelINS0_14default_configENS1_27scan_by_key_config_selectorIj11FixedVectorIiLj2EEEEZZNS1_16scan_by_key_implILNS1_25lookback_scan_determinismE0ELb0ES3_N6thrust23THRUST_200600_302600_NS6detail15normal_iteratorINSB_10device_ptrIjEEEENSD_INSE_IS6_EEEESI_S6_NSB_4plusIvEENSB_8equal_toIvEES6_EE10hipError_tPvRmT2_T3_T4_T5_mT6_T7_P12ihipStream_tbENKUlT_T0_E_clISt17integral_constantIbLb1EES12_IbLb0EEEEDaSY_SZ_EUlSY_E_NS1_11comp_targetILNS1_3genE5ELNS1_11target_archE942ELNS1_3gpuE9ELNS1_3repE0EEENS1_30default_config_static_selectorELNS0_4arch9wavefront6targetE1EEEvT1_,"axG",@progbits,_ZN7rocprim17ROCPRIM_400000_NS6detail17trampoline_kernelINS0_14default_configENS1_27scan_by_key_config_selectorIj11FixedVectorIiLj2EEEEZZNS1_16scan_by_key_implILNS1_25lookback_scan_determinismE0ELb0ES3_N6thrust23THRUST_200600_302600_NS6detail15normal_iteratorINSB_10device_ptrIjEEEENSD_INSE_IS6_EEEESI_S6_NSB_4plusIvEENSB_8equal_toIvEES6_EE10hipError_tPvRmT2_T3_T4_T5_mT6_T7_P12ihipStream_tbENKUlT_T0_E_clISt17integral_constantIbLb1EES12_IbLb0EEEEDaSY_SZ_EUlSY_E_NS1_11comp_targetILNS1_3genE5ELNS1_11target_archE942ELNS1_3gpuE9ELNS1_3repE0EEENS1_30default_config_static_selectorELNS0_4arch9wavefront6targetE1EEEvT1_,comdat
	.protected	_ZN7rocprim17ROCPRIM_400000_NS6detail17trampoline_kernelINS0_14default_configENS1_27scan_by_key_config_selectorIj11FixedVectorIiLj2EEEEZZNS1_16scan_by_key_implILNS1_25lookback_scan_determinismE0ELb0ES3_N6thrust23THRUST_200600_302600_NS6detail15normal_iteratorINSB_10device_ptrIjEEEENSD_INSE_IS6_EEEESI_S6_NSB_4plusIvEENSB_8equal_toIvEES6_EE10hipError_tPvRmT2_T3_T4_T5_mT6_T7_P12ihipStream_tbENKUlT_T0_E_clISt17integral_constantIbLb1EES12_IbLb0EEEEDaSY_SZ_EUlSY_E_NS1_11comp_targetILNS1_3genE5ELNS1_11target_archE942ELNS1_3gpuE9ELNS1_3repE0EEENS1_30default_config_static_selectorELNS0_4arch9wavefront6targetE1EEEvT1_ ; -- Begin function _ZN7rocprim17ROCPRIM_400000_NS6detail17trampoline_kernelINS0_14default_configENS1_27scan_by_key_config_selectorIj11FixedVectorIiLj2EEEEZZNS1_16scan_by_key_implILNS1_25lookback_scan_determinismE0ELb0ES3_N6thrust23THRUST_200600_302600_NS6detail15normal_iteratorINSB_10device_ptrIjEEEENSD_INSE_IS6_EEEESI_S6_NSB_4plusIvEENSB_8equal_toIvEES6_EE10hipError_tPvRmT2_T3_T4_T5_mT6_T7_P12ihipStream_tbENKUlT_T0_E_clISt17integral_constantIbLb1EES12_IbLb0EEEEDaSY_SZ_EUlSY_E_NS1_11comp_targetILNS1_3genE5ELNS1_11target_archE942ELNS1_3gpuE9ELNS1_3repE0EEENS1_30default_config_static_selectorELNS0_4arch9wavefront6targetE1EEEvT1_
	.globl	_ZN7rocprim17ROCPRIM_400000_NS6detail17trampoline_kernelINS0_14default_configENS1_27scan_by_key_config_selectorIj11FixedVectorIiLj2EEEEZZNS1_16scan_by_key_implILNS1_25lookback_scan_determinismE0ELb0ES3_N6thrust23THRUST_200600_302600_NS6detail15normal_iteratorINSB_10device_ptrIjEEEENSD_INSE_IS6_EEEESI_S6_NSB_4plusIvEENSB_8equal_toIvEES6_EE10hipError_tPvRmT2_T3_T4_T5_mT6_T7_P12ihipStream_tbENKUlT_T0_E_clISt17integral_constantIbLb1EES12_IbLb0EEEEDaSY_SZ_EUlSY_E_NS1_11comp_targetILNS1_3genE5ELNS1_11target_archE942ELNS1_3gpuE9ELNS1_3repE0EEENS1_30default_config_static_selectorELNS0_4arch9wavefront6targetE1EEEvT1_
	.p2align	8
	.type	_ZN7rocprim17ROCPRIM_400000_NS6detail17trampoline_kernelINS0_14default_configENS1_27scan_by_key_config_selectorIj11FixedVectorIiLj2EEEEZZNS1_16scan_by_key_implILNS1_25lookback_scan_determinismE0ELb0ES3_N6thrust23THRUST_200600_302600_NS6detail15normal_iteratorINSB_10device_ptrIjEEEENSD_INSE_IS6_EEEESI_S6_NSB_4plusIvEENSB_8equal_toIvEES6_EE10hipError_tPvRmT2_T3_T4_T5_mT6_T7_P12ihipStream_tbENKUlT_T0_E_clISt17integral_constantIbLb1EES12_IbLb0EEEEDaSY_SZ_EUlSY_E_NS1_11comp_targetILNS1_3genE5ELNS1_11target_archE942ELNS1_3gpuE9ELNS1_3repE0EEENS1_30default_config_static_selectorELNS0_4arch9wavefront6targetE1EEEvT1_,@function
_ZN7rocprim17ROCPRIM_400000_NS6detail17trampoline_kernelINS0_14default_configENS1_27scan_by_key_config_selectorIj11FixedVectorIiLj2EEEEZZNS1_16scan_by_key_implILNS1_25lookback_scan_determinismE0ELb0ES3_N6thrust23THRUST_200600_302600_NS6detail15normal_iteratorINSB_10device_ptrIjEEEENSD_INSE_IS6_EEEESI_S6_NSB_4plusIvEENSB_8equal_toIvEES6_EE10hipError_tPvRmT2_T3_T4_T5_mT6_T7_P12ihipStream_tbENKUlT_T0_E_clISt17integral_constantIbLb1EES12_IbLb0EEEEDaSY_SZ_EUlSY_E_NS1_11comp_targetILNS1_3genE5ELNS1_11target_archE942ELNS1_3gpuE9ELNS1_3repE0EEENS1_30default_config_static_selectorELNS0_4arch9wavefront6targetE1EEEvT1_: ; @_ZN7rocprim17ROCPRIM_400000_NS6detail17trampoline_kernelINS0_14default_configENS1_27scan_by_key_config_selectorIj11FixedVectorIiLj2EEEEZZNS1_16scan_by_key_implILNS1_25lookback_scan_determinismE0ELb0ES3_N6thrust23THRUST_200600_302600_NS6detail15normal_iteratorINSB_10device_ptrIjEEEENSD_INSE_IS6_EEEESI_S6_NSB_4plusIvEENSB_8equal_toIvEES6_EE10hipError_tPvRmT2_T3_T4_T5_mT6_T7_P12ihipStream_tbENKUlT_T0_E_clISt17integral_constantIbLb1EES12_IbLb0EEEEDaSY_SZ_EUlSY_E_NS1_11comp_targetILNS1_3genE5ELNS1_11target_archE942ELNS1_3gpuE9ELNS1_3repE0EEENS1_30default_config_static_selectorELNS0_4arch9wavefront6targetE1EEEvT1_
; %bb.0:
	s_load_dwordx8 s[80:87], s[0:1], 0x0
	s_load_dwordx4 s[96:99], s[0:1], 0x30
	s_load_dwordx2 s[6:7], s[0:1], 0x40
	s_load_dword s3, s[0:1], 0x48
	s_load_dwordx8 s[88:95], s[0:1], 0x50
	s_waitcnt lgkmcnt(0)
	s_lshl_b64 s[0:1], s[82:83], 2
	s_add_u32 s10, s80, s0
	s_addc_u32 s11, s81, s1
	s_lshl_b64 s[0:1], s[82:83], 3
	s_add_u32 s12, s84, s0
	s_mul_i32 s4, s7, s3
	s_mul_hi_u32 s5, s6, s3
	s_addc_u32 s13, s85, s1
	s_add_i32 s14, s5, s4
	s_cmp_lg_u64 s[92:93], 0
	s_mul_i32 s4, s2, 0x1500
	s_mov_b32 s5, 0
	s_cselect_b64 s[52:53], -1, 0
	s_lshl_b64 s[8:9], s[4:5], 2
	s_add_u32 s50, s10, s8
	s_addc_u32 s51, s11, s9
	s_lshl_b64 s[92:93], s[4:5], 3
                                        ; implicit-def: $vgpr134 : SGPR spill to VGPR lane
	s_add_u32 s48, s12, s92
	v_writelane_b32 v134, s6, 0
	s_mul_i32 s3, s6, s3
	s_addc_u32 s49, s13, s93
	s_add_u32 s54, s3, s2
	s_addc_u32 s55, s14, 0
	s_add_u32 s4, s88, -1
	s_addc_u32 s5, s89, -1
	v_mov_b64_e32 v[2:3], s[4:5]
	v_cmp_ge_u64_e64 s[84:85], s[54:55], v[2:3]
	v_writelane_b32 v134, s7, 1
	s_mov_b64 s[6:7], 0
	s_mov_b64 s[10:11], -1
	s_and_b64 vcc, exec, s[84:85]
	s_mul_i32 s33, s4, 0xffffeb00
	s_barrier
	s_cbranch_vccz .LBB1975_130
; %bb.1:
	v_mov_b64_e32 v[2:3], s[50:51]
	flat_load_dword v2, v[2:3]
	s_add_i32 s62, s33, s98
	v_cmp_gt_u32_e64 s[46:47], s62, v0
	s_waitcnt vmcnt(0) lgkmcnt(0)
	v_mov_b32_e32 v4, v2
	s_and_saveexec_b64 s[4:5], s[46:47]
	s_cbranch_execz .LBB1975_3
; %bb.2:
	v_lshlrev_b32_e32 v4, 2, v0
	v_mov_b32_e32 v5, 0
	v_lshl_add_u64 v[4:5], s[50:51], 0, v[4:5]
	flat_load_dword v4, v[4:5]
.LBB1975_3:
	s_or_b64 exec, exec, s[4:5]
	v_or_b32_e32 v1, 0x100, v0
	v_cmp_gt_u32_e64 s[4:5], s62, v1
	v_mov_b32_e32 v5, v2
	s_and_saveexec_b64 s[6:7], s[4:5]
	s_cbranch_execz .LBB1975_5
; %bb.4:
	v_lshlrev_b32_e32 v6, 2, v0
	v_mov_b32_e32 v7, 0
	v_lshl_add_u64 v[6:7], s[50:51], 0, v[6:7]
	flat_load_dword v5, v[6:7] offset:1024
.LBB1975_5:
	s_or_b64 exec, exec, s[6:7]
	v_or_b32_e32 v1, 0x200, v0
	v_cmp_gt_u32_e64 s[6:7], s62, v1
	v_mov_b32_e32 v6, v2
	s_and_saveexec_b64 s[8:9], s[6:7]
	s_cbranch_execz .LBB1975_7
; %bb.6:
	v_lshlrev_b32_e32 v6, 2, v0
	v_mov_b32_e32 v7, 0
	v_lshl_add_u64 v[6:7], s[50:51], 0, v[6:7]
	flat_load_dword v6, v[6:7] offset:2048
.LBB1975_7:
	;; [unrolled: 12-line block ×3, first 2 shown]
	s_or_b64 exec, exec, s[10:11]
	v_or_b32_e32 v22, 0x400, v0
	v_cmp_gt_u32_e64 s[10:11], s62, v22
	v_mov_b32_e32 v8, v2
	s_and_saveexec_b64 s[12:13], s[10:11]
	s_cbranch_execz .LBB1975_11
; %bb.10:
	v_lshlrev_b32_e32 v8, 2, v22
	v_mov_b32_e32 v9, 0
	v_lshl_add_u64 v[8:9], s[50:51], 0, v[8:9]
	flat_load_dword v8, v[8:9]
.LBB1975_11:
	s_or_b64 exec, exec, s[12:13]
	v_or_b32_e32 v23, 0x500, v0
	v_cmp_gt_u32_e64 s[12:13], s62, v23
	v_mov_b32_e32 v9, v2
	s_and_saveexec_b64 s[14:15], s[12:13]
	s_cbranch_execz .LBB1975_13
; %bb.12:
	v_lshlrev_b32_e32 v10, 2, v23
	v_mov_b32_e32 v11, 0
	v_lshl_add_u64 v[10:11], s[50:51], 0, v[10:11]
	flat_load_dword v9, v[10:11]
.LBB1975_13:
	;; [unrolled: 12-line block ×16, first 2 shown]
	s_or_b64 exec, exec, s[44:45]
	v_or_b32_e32 v65, 0x1400, v0
	v_cmp_gt_u32_e64 s[44:45], s62, v65
	v_mov_b32_e32 v3, 0
	s_and_saveexec_b64 s[56:57], s[44:45]
	s_cbranch_execz .LBB1975_43
; %bb.42:
	v_lshlrev_b32_e32 v2, 2, v65
	v_lshl_add_u64 v[2:3], s[50:51], 0, v[2:3]
	flat_load_dword v2, v[2:3]
.LBB1975_43:
	s_or_b64 exec, exec, s[56:57]
	v_lshlrev_b32_e32 v3, 2, v0
	s_movk_i32 s3, 0x50
	s_waitcnt vmcnt(0) lgkmcnt(0)
	ds_write2st64_b32 v3, v4, v5 offset1:4
	ds_write2st64_b32 v3, v6, v7 offset0:8 offset1:12
	ds_write2st64_b32 v3, v8, v9 offset0:16 offset1:20
	;; [unrolled: 1-line block ×9, first 2 shown]
	ds_write_b32 v3, v2 offset:20480
	v_mad_u32_u24 v2, v0, s3, v3
	s_waitcnt lgkmcnt(0)
	s_barrier
	ds_read2_b32 v[20:21], v2 offset0:7 offset1:8
	ds_read2_b32 v[24:25], v2 offset0:5 offset1:6
	;; [unrolled: 1-line block ×3, first 2 shown]
	ds_read2_b32 v[16:17], v2 offset1:1
	ds_read2_b32 v[32:33], v2 offset0:4 offset1:9
	ds_read2_b32 v[28:29], v2 offset0:15 offset1:16
	ds_read_b32 v64, v2 offset:56
	ds_read2_b32 v[40:41], v2 offset0:12 offset1:13
	ds_read2_b32 v[44:45], v2 offset0:10 offset1:11
	;; [unrolled: 1-line block ×4, first 2 shown]
	s_cmp_eq_u64 s[54:55], 0
	s_mov_b64 s[56:57], s[50:51]
	s_cbranch_scc1 .LBB1975_47
; %bb.44:
	s_andn2_b64 vcc, exec, s[52:53]
	s_cbranch_vccnz .LBB1975_341
; %bb.45:
	s_lshl_b64 s[56:57], s[54:55], 2
	s_add_u32 s3, s94, s56
	s_addc_u32 s57, s95, s57
	s_add_u32 s56, s3, -4
	s_addc_u32 s57, s57, -1
	s_cbranch_execnz .LBB1975_47
.LBB1975_46:
	s_add_u32 s56, s50, -4
	s_addc_u32 s57, s51, -1
.LBB1975_47:
	v_mov_b64_e32 v[6:7], s[56:57]
	flat_load_dword v66, v[6:7]
	s_movk_i32 s3, 0xffb0
	v_mad_i32_i24 v67, v0, s3, v2
	v_cmp_ne_u32_e32 vcc, 0, v0
	s_waitcnt lgkmcnt(0)
	ds_write_b32 v67, v5 offset:21504
	s_waitcnt lgkmcnt(0)
	s_barrier
	s_and_saveexec_b64 s[56:57], vcc
	s_cbranch_execz .LBB1975_49
; %bb.48:
	s_waitcnt vmcnt(0)
	ds_read_b32 v66, v67 offset:21500
.LBB1975_49:
	s_or_b64 exec, exec, s[56:57]
	v_mov_b64_e32 v[6:7], 0
	v_mov_b32_e32 v9, 0
	v_mov_b64_e32 v[2:3], v[6:7]
	s_waitcnt lgkmcnt(0)
	s_barrier
	s_and_saveexec_b64 s[56:57], s[46:47]
	s_cbranch_execz .LBB1975_51
; %bb.50:
	v_lshlrev_b32_e32 v8, 3, v0
	v_lshl_add_u64 v[2:3], s[48:49], 0, v[8:9]
	flat_load_dwordx2 v[2:3], v[2:3]
.LBB1975_51:
	s_or_b64 exec, exec, s[56:57]
	s_and_saveexec_b64 s[46:47], s[4:5]
	s_cbranch_execz .LBB1975_53
; %bb.52:
	v_lshlrev_b32_e32 v6, 3, v0
	v_mov_b32_e32 v7, 0
	v_lshl_add_u64 v[6:7], s[48:49], 0, v[6:7]
	flat_load_dwordx2 v[6:7], v[6:7] offset:2048
.LBB1975_53:
	s_or_b64 exec, exec, s[46:47]
	v_mov_b64_e32 v[8:9], 0
	v_mov_b64_e32 v[10:11], v[8:9]
	s_and_saveexec_b64 s[4:5], s[6:7]
	s_cbranch_execz .LBB1975_55
; %bb.54:
	v_lshlrev_b32_e32 v10, 3, v1
	v_mov_b32_e32 v11, 0
	v_lshl_add_u64 v[10:11], s[48:49], 0, v[10:11]
	flat_load_dwordx2 v[10:11], v[10:11]
.LBB1975_55:
	s_or_b64 exec, exec, s[4:5]
	s_and_saveexec_b64 s[4:5], s[8:9]
	s_cbranch_execz .LBB1975_57
; %bb.56:
	v_lshlrev_b32_e32 v8, 3, v14
	v_mov_b32_e32 v9, 0
	v_lshl_add_u64 v[8:9], s[48:49], 0, v[8:9]
	flat_load_dwordx2 v[8:9], v[8:9]
.LBB1975_57:
	s_or_b64 exec, exec, s[4:5]
	v_mov_b64_e32 v[14:15], 0
	v_mov_b64_e32 v[18:19], v[14:15]
	s_and_saveexec_b64 s[4:5], s[10:11]
	s_cbranch_execz .LBB1975_59
; %bb.58:
	v_lshlrev_b32_e32 v18, 3, v22
	v_mov_b32_e32 v19, 0
	v_lshl_add_u64 v[18:19], s[48:49], 0, v[18:19]
	flat_load_dwordx2 v[18:19], v[18:19]
.LBB1975_59:
	s_or_b64 exec, exec, s[4:5]
	s_and_saveexec_b64 s[4:5], s[12:13]
	s_cbranch_execz .LBB1975_61
; %bb.60:
	v_lshlrev_b32_e32 v14, 3, v23
	v_mov_b32_e32 v15, 0
	v_lshl_add_u64 v[14:15], s[48:49], 0, v[14:15]
	flat_load_dwordx2 v[14:15], v[14:15]
.LBB1975_61:
	;; [unrolled: 20-line block ×8, first 2 shown]
	s_or_b64 exec, exec, s[4:5]
	v_mov_b64_e32 v[58:59], 0
	v_mov_b64_e32 v[60:61], v[58:59]
	s_and_saveexec_b64 s[4:5], s[40:41]
	s_cbranch_execnz .LBB1975_339
; %bb.86:
	s_or_b64 exec, exec, s[4:5]
	s_and_saveexec_b64 s[4:5], s[42:43]
	s_cbranch_execnz .LBB1975_340
.LBB1975_87:
	s_or_b64 exec, exec, s[4:5]
	v_mov_b64_e32 v[62:63], 0
	s_and_saveexec_b64 s[4:5], s[44:45]
	s_cbranch_execz .LBB1975_89
.LBB1975_88:
	v_lshlrev_b32_e32 v62, 3, v65
	v_mov_b32_e32 v63, 0
	v_lshl_add_u64 v[62:63], s[48:49], 0, v[62:63]
	flat_load_dwordx2 v[62:63], v[62:63]
.LBB1975_89:
	s_or_b64 exec, exec, s[4:5]
	v_mul_u32_u24_e32 v65, 21, v0
	v_lshl_add_u32 v68, v0, 2, v67
	s_waitcnt vmcnt(0) lgkmcnt(0)
	ds_write2st64_b64 v68, v[2:3], v[6:7] offset1:4
	ds_write2st64_b64 v68, v[10:11], v[8:9] offset0:8 offset1:12
	ds_write2st64_b64 v68, v[18:19], v[14:15] offset0:16 offset1:20
	;; [unrolled: 1-line block ×9, first 2 shown]
	ds_write_b64 v68, v[62:63] offset:40960
	v_cmp_gt_u32_e32 vcc, s62, v65
	s_mov_b64 s[10:11], 0
	s_mov_b32 s3, 0
	v_mov_b32_e32 v123, 0
	v_mov_b32_e32 v105, 0
	s_mov_b64 s[6:7], 0
	v_mov_b32_e32 v116, 0
	v_mov_b32_e32 v111, 0
	;; [unrolled: 1-line block ×46, first 2 shown]
	s_waitcnt lgkmcnt(0)
	s_barrier
	s_waitcnt lgkmcnt(0)
                                        ; implicit-def: $sgpr4_sgpr5
                                        ; implicit-def: $vgpr1
                                        ; implicit-def: $vgpr80
                                        ; implicit-def: $vgpr81
                                        ; implicit-def: $vgpr82
                                        ; implicit-def: $vgpr51
                                        ; implicit-def: $vgpr55
                                        ; implicit-def: $vgpr59
                                        ; implicit-def: $vgpr63
                                        ; implicit-def: $vgpr67
                                        ; implicit-def: $vgpr71
                                        ; implicit-def: $vgpr75
                                        ; implicit-def: $vgpr79
	s_and_saveexec_b64 s[12:13], vcc
	s_cbranch_execz .LBB1975_129
; %bb.90:
	s_movk_i32 s4, 0xa0
	v_mad_u32_u24 v2, v0, s4, v68
	ds_read_b64 v[2:3], v2
	v_cmp_ne_u32_e32 vcc, v66, v16
	v_add_u32_e32 v1, 1, v65
	v_mov_b32_e32 v123, 0
	v_cndmask_b32_e64 v104, 0, 1, vcc
	v_cmp_gt_u32_e32 vcc, s62, v1
	v_mov_b32_e32 v105, 0
	v_mov_b32_e32 v116, 0
	;; [unrolled: 1-line block ×44, first 2 shown]
                                        ; implicit-def: $sgpr4_sgpr5
                                        ; implicit-def: $vgpr1
                                        ; implicit-def: $vgpr80
                                        ; implicit-def: $vgpr81
                                        ; implicit-def: $vgpr82
                                        ; implicit-def: $vgpr51
                                        ; implicit-def: $vgpr55
                                        ; implicit-def: $vgpr59
                                        ; implicit-def: $vgpr63
                                        ; implicit-def: $vgpr67
                                        ; implicit-def: $vgpr71
                                        ; implicit-def: $vgpr75
                                        ; implicit-def: $vgpr79
	s_and_saveexec_b64 s[14:15], vcc
	s_cbranch_execz .LBB1975_128
; %bb.91:
	v_mul_u32_u24_e32 v1, 0xa0, v0
	v_add_u32_e32 v50, v68, v1
	ds_read2_b64 v[6:9], v50 offset0:1 offset1:2
	v_cmp_ne_u32_e64 s[6:7], v16, v17
	v_add_u32_e32 v1, 2, v65
	v_cmp_ne_u32_e32 vcc, v12, v13
	v_cmp_ne_u32_e64 s[8:9], v13, v32
	v_cmp_ne_u32_e64 s[4:5], v17, v12
	v_cndmask_b32_e64 v123, 0, 1, s[6:7]
	v_cmp_gt_u32_e64 s[6:7], s62, v1
	s_mov_b64 s[18:19], 0
	v_mov_b32_e32 v116, 0
	v_mov_b32_e32 v105, 0
	;; [unrolled: 1-line block ×42, first 2 shown]
                                        ; implicit-def: $sgpr20_sgpr21
                                        ; implicit-def: $vgpr1
                                        ; implicit-def: $vgpr80
                                        ; implicit-def: $vgpr81
                                        ; implicit-def: $vgpr82
                                        ; implicit-def: $vgpr51
                                        ; implicit-def: $vgpr55
                                        ; implicit-def: $vgpr59
                                        ; implicit-def: $vgpr63
                                        ; implicit-def: $vgpr67
                                        ; implicit-def: $vgpr71
                                        ; implicit-def: $vgpr75
                                        ; implicit-def: $vgpr79
	s_and_saveexec_b64 s[16:17], s[6:7]
	s_cbranch_execz .LBB1975_127
; %bb.92:
	v_cndmask_b32_e64 v1, 0, 1, s[4:5]
	v_cndmask_b32_e64 v10, 0, 1, s[8:9]
	v_lshlrev_b16_e32 v1, 8, v1
	v_lshlrev_b16_e32 v10, 8, v10
	v_cndmask_b32_e64 v11, 0, 1, vcc
	v_or_b32_e32 v1, v123, v1
	v_or_b32_sdwa v10, v11, v10 dst_sel:WORD_1 dst_unused:UNUSED_PAD src0_sel:DWORD src1_sel:DWORD
	v_mov_b32_e32 v116, 0
	v_or_b32_sdwa v1, v1, v10 dst_sel:DWORD dst_unused:UNUSED_PAD src0_sel:WORD_0 src1_sel:DWORD
	v_add_u32_e32 v10, 3, v65
	v_and_b32_e32 v123, 0xffff, v1
	v_cmp_gt_u32_e32 vcc, s62, v10
	s_mov_b64 s[4:5], 0
	v_mov_b32_e32 v105, 0
	v_mov_b32_e32 v111, 0
	;; [unrolled: 1-line block ×39, first 2 shown]
                                        ; implicit-def: $sgpr6_sgpr7
                                        ; implicit-def: $vgpr80
                                        ; implicit-def: $vgpr81
                                        ; implicit-def: $vgpr82
                                        ; implicit-def: $vgpr51
                                        ; implicit-def: $vgpr55
                                        ; implicit-def: $vgpr59
                                        ; implicit-def: $vgpr63
                                        ; implicit-def: $vgpr67
                                        ; implicit-def: $vgpr71
                                        ; implicit-def: $vgpr75
                                        ; implicit-def: $vgpr79
	s_and_saveexec_b64 s[18:19], vcc
	s_cbranch_execz .LBB1975_126
; %bb.93:
	ds_read2_b64 v[10:13], v50 offset0:3 offset1:4
	v_add_u32_e32 v14, 4, v65
	v_cmp_gt_u32_e32 vcc, s62, v14
	v_and_b32_e32 v123, 0xffffff, v1
	v_mov_b32_e32 v116, 0
	v_mov_b32_e32 v105, 0
	;; [unrolled: 1-line block ×38, first 2 shown]
                                        ; implicit-def: $sgpr6_sgpr7
                                        ; implicit-def: $vgpr80
                                        ; implicit-def: $vgpr81
                                        ; implicit-def: $vgpr82
                                        ; implicit-def: $vgpr51
                                        ; implicit-def: $vgpr55
                                        ; implicit-def: $vgpr59
                                        ; implicit-def: $vgpr63
                                        ; implicit-def: $vgpr67
                                        ; implicit-def: $vgpr71
                                        ; implicit-def: $vgpr75
                                        ; implicit-def: $vgpr79
	s_and_saveexec_b64 s[20:21], vcc
	s_cbranch_execz .LBB1975_125
; %bb.94:
	v_add_u32_e32 v14, 5, v65
	v_mov_b32_e32 v116, 0
	v_cmp_gt_u32_e32 vcc, s62, v14
	v_mov_b32_e32 v105, 0
	v_mov_b32_e32 v111, 0
	;; [unrolled: 1-line block ×35, first 2 shown]
                                        ; implicit-def: $sgpr6_sgpr7
                                        ; implicit-def: $vgpr80
                                        ; implicit-def: $vgpr81
                                        ; implicit-def: $vgpr82
                                        ; implicit-def: $vgpr51
                                        ; implicit-def: $vgpr55
                                        ; implicit-def: $vgpr59
                                        ; implicit-def: $vgpr63
                                        ; implicit-def: $vgpr67
                                        ; implicit-def: $vgpr71
                                        ; implicit-def: $vgpr75
                                        ; implicit-def: $vgpr79
	s_and_saveexec_b64 s[22:23], vcc
	s_cbranch_execz .LBB1975_124
; %bb.95:
	ds_read2_b64 v[14:17], v50 offset0:5 offset1:6
	v_cmp_ne_u32_e32 vcc, v32, v24
	v_add_u32_e32 v18, 6, v65
	v_mov_b32_e32 v116, 0
	v_cndmask_b32_e64 v106, 0, 1, vcc
	v_cmp_gt_u32_e32 vcc, s62, v18
	v_mov_b32_e32 v105, 0
	v_mov_b32_e32 v111, 0
	;; [unrolled: 1-line block ×32, first 2 shown]
                                        ; implicit-def: $sgpr6_sgpr7
                                        ; implicit-def: $vgpr80
                                        ; implicit-def: $vgpr81
                                        ; implicit-def: $vgpr82
                                        ; implicit-def: $vgpr51
                                        ; implicit-def: $vgpr55
                                        ; implicit-def: $vgpr59
                                        ; implicit-def: $vgpr63
                                        ; implicit-def: $vgpr67
                                        ; implicit-def: $vgpr71
                                        ; implicit-def: $vgpr75
                                        ; implicit-def: $vgpr79
	s_and_saveexec_b64 s[24:25], vcc
	s_cbranch_execz .LBB1975_123
; %bb.96:
	v_cmp_ne_u32_e64 s[8:9], v24, v25
	v_add_u32_e32 v18, 7, v65
	v_mov_b32_e32 v111, 0
	v_cmp_ne_u32_e32 vcc, v20, v21
	v_cmp_ne_u32_e64 s[6:7], v21, v33
	v_cmp_ne_u32_e64 s[4:5], v25, v20
	v_cndmask_b32_e64 v116, 0, 1, s[8:9]
	v_cmp_gt_u32_e64 s[8:9], s62, v18
	s_mov_b64 s[28:29], 0
	v_mov_b32_e32 v105, 0
	v_mov_b32_e32 v108, 0
	;; [unrolled: 1-line block ×29, first 2 shown]
                                        ; implicit-def: $sgpr30_sgpr31
                                        ; implicit-def: $vgpr80
                                        ; implicit-def: $vgpr81
                                        ; implicit-def: $vgpr82
                                        ; implicit-def: $vgpr51
                                        ; implicit-def: $vgpr55
                                        ; implicit-def: $vgpr59
                                        ; implicit-def: $vgpr63
                                        ; implicit-def: $vgpr67
                                        ; implicit-def: $vgpr71
                                        ; implicit-def: $vgpr75
                                        ; implicit-def: $vgpr79
	s_and_saveexec_b64 s[26:27], s[8:9]
	s_cbranch_execz .LBB1975_122
; %bb.97:
	v_cndmask_b32_e64 v18, 0, 1, s[4:5]
	v_cndmask_b32_e64 v19, 0, 1, s[6:7]
	v_lshlrev_b16_e32 v18, 8, v18
	v_lshlrev_b16_e32 v19, 8, v19
	v_cndmask_b32_e64 v20, 0, 1, vcc
	v_or_b32_e32 v18, v116, v18
	v_or_b32_sdwa v19, v20, v19 dst_sel:WORD_1 dst_unused:UNUSED_PAD src0_sel:DWORD src1_sel:DWORD
	v_add_u32_e32 v22, 8, v65
	v_or_b32_sdwa v80, v18, v19 dst_sel:DWORD dst_unused:UNUSED_PAD src0_sel:WORD_0 src1_sel:DWORD
	ds_read2_b64 v[18:21], v50 offset0:7 offset1:8
	v_and_b32_e32 v116, 0xffff, v80
	v_cmp_gt_u32_e32 vcc, s62, v22
	s_mov_b64 s[4:5], 0
	v_mov_b32_e32 v111, 0
	v_mov_b32_e32 v105, 0
	;; [unrolled: 1-line block ×28, first 2 shown]
                                        ; implicit-def: $sgpr6_sgpr7
                                        ; implicit-def: $vgpr81
                                        ; implicit-def: $vgpr82
                                        ; implicit-def: $vgpr51
                                        ; implicit-def: $vgpr55
                                        ; implicit-def: $vgpr59
                                        ; implicit-def: $vgpr63
                                        ; implicit-def: $vgpr67
                                        ; implicit-def: $vgpr71
                                        ; implicit-def: $vgpr75
                                        ; implicit-def: $vgpr79
	s_and_saveexec_b64 s[28:29], vcc
	s_cbranch_execz .LBB1975_121
; %bb.98:
	v_add_u32_e32 v22, 9, v65
	v_mov_b32_e32 v111, 0
	v_cmp_gt_u32_e32 vcc, s62, v22
	v_and_b32_e32 v116, 0xffffff, v80
	v_mov_b32_e32 v105, 0
	v_mov_b32_e32 v108, 0
	v_mov_b32_e32 v27, 0
	v_mov_b32_e32 v26, 0
	v_mov_b32_e32 v35, 0
	v_mov_b32_e32 v34, 0
	v_mov_b32_e32 v47, 0
	v_mov_b32_e32 v46, 0
	v_mov_b32_e32 v109, 0
	v_mov_b32_e32 v110, 0
	v_mov_b32_e32 v43, 0
	v_mov_b32_e32 v42, 0
	v_mov_b32_e32 v112, 0
	v_mov_b32_e32 v113, 0
	v_mov_b32_e32 v39, 0
	v_mov_b32_e32 v38, 0
	v_mov_b32_e32 v114, 0
	v_mov_b32_e32 v115, 0
	v_mov_b32_e32 v31, 0
	v_mov_b32_e32 v30, 0
	v_mov_b32_e32 v107, 0
	v_mov_b32_e32 v117, 0
	v_mov_b32_e32 v118, 0
	v_mov_b32_e32 v23, 0
	v_mov_b32_e32 v22, v111
                                        ; implicit-def: $sgpr6_sgpr7
                                        ; implicit-def: $vgpr81
                                        ; implicit-def: $vgpr82
                                        ; implicit-def: $vgpr51
                                        ; implicit-def: $vgpr55
                                        ; implicit-def: $vgpr59
                                        ; implicit-def: $vgpr63
                                        ; implicit-def: $vgpr67
                                        ; implicit-def: $vgpr71
                                        ; implicit-def: $vgpr75
                                        ; implicit-def: $vgpr79
	s_and_saveexec_b64 s[30:31], vcc
	s_cbranch_execz .LBB1975_120
; %bb.99:
	ds_read2_b64 v[22:25], v50 offset0:9 offset1:10
	v_add_u32_e32 v26, 10, v65
	v_cmp_gt_u32_e32 vcc, s62, v26
	v_mov_b32_e32 v111, 0
	v_mov_b32_e32 v105, 0
	;; [unrolled: 1-line block ×24, first 2 shown]
                                        ; implicit-def: $sgpr6_sgpr7
                                        ; implicit-def: $vgpr81
                                        ; implicit-def: $vgpr82
                                        ; implicit-def: $vgpr51
                                        ; implicit-def: $vgpr55
                                        ; implicit-def: $vgpr59
                                        ; implicit-def: $vgpr63
                                        ; implicit-def: $vgpr67
                                        ; implicit-def: $vgpr71
                                        ; implicit-def: $vgpr75
                                        ; implicit-def: $vgpr79
	s_and_saveexec_b64 s[34:35], vcc
	s_cbranch_execz .LBB1975_119
; %bb.100:
	v_cmp_ne_u32_e32 vcc, v33, v44
	v_add_u32_e32 v26, 11, v65
	v_mov_b32_e32 v111, 0
	v_cndmask_b32_e64 v107, 0, 1, vcc
	v_cmp_gt_u32_e32 vcc, s62, v26
	v_mov_b32_e32 v105, 0
	v_mov_b32_e32 v108, 0
	;; [unrolled: 1-line block ×20, first 2 shown]
                                        ; implicit-def: $sgpr6_sgpr7
                                        ; implicit-def: $vgpr81
                                        ; implicit-def: $vgpr82
                                        ; implicit-def: $vgpr51
                                        ; implicit-def: $vgpr55
                                        ; implicit-def: $vgpr59
                                        ; implicit-def: $vgpr63
                                        ; implicit-def: $vgpr67
                                        ; implicit-def: $vgpr71
                                        ; implicit-def: $vgpr75
                                        ; implicit-def: $vgpr79
	s_and_saveexec_b64 s[36:37], vcc
	s_cbranch_execz .LBB1975_118
; %bb.101:
	ds_read2_b64 v[30:33], v50 offset0:11 offset1:12
	v_cmp_ne_u32_e64 s[8:9], v44, v45
	v_add_u32_e32 v26, 12, v65
	v_cmp_ne_u32_e32 vcc, v40, v41
	v_cmp_ne_u32_e64 s[6:7], v41, v64
	v_cmp_ne_u32_e64 s[4:5], v45, v40
	v_cndmask_b32_e64 v111, 0, 1, s[8:9]
	v_cmp_gt_u32_e64 s[8:9], s62, v26
	s_mov_b64 s[40:41], 0
	v_mov_b32_e32 v108, 0
	v_mov_b32_e32 v105, 0
	;; [unrolled: 1-line block ×18, first 2 shown]
                                        ; implicit-def: $sgpr42_sgpr43
                                        ; implicit-def: $vgpr81
                                        ; implicit-def: $vgpr82
                                        ; implicit-def: $vgpr51
                                        ; implicit-def: $vgpr55
                                        ; implicit-def: $vgpr59
                                        ; implicit-def: $vgpr63
                                        ; implicit-def: $vgpr67
                                        ; implicit-def: $vgpr71
                                        ; implicit-def: $vgpr75
                                        ; implicit-def: $vgpr79
	s_and_saveexec_b64 s[38:39], s[8:9]
	s_cbranch_execz .LBB1975_117
; %bb.102:
	v_cndmask_b32_e64 v26, 0, 1, s[4:5]
	v_cndmask_b32_e64 v27, 0, 1, s[6:7]
	v_lshlrev_b16_e32 v26, 8, v26
	v_lshlrev_b16_e32 v27, 8, v27
	v_cndmask_b32_e64 v34, 0, 1, vcc
	v_or_b32_e32 v26, v111, v26
	v_or_b32_sdwa v27, v34, v27 dst_sel:WORD_1 dst_unused:UNUSED_PAD src0_sel:DWORD src1_sel:DWORD
	v_mov_b32_e32 v108, 0
	v_or_b32_sdwa v81, v26, v27 dst_sel:DWORD dst_unused:UNUSED_PAD src0_sel:WORD_0 src1_sel:DWORD
	v_add_u32_e32 v26, 13, v65
	v_and_b32_e32 v111, 0xffff, v81
	v_cmp_gt_u32_e32 vcc, s62, v26
	s_mov_b64 s[4:5], 0
	v_mov_b32_e32 v105, 0
	v_mov_b32_e32 v27, 0
	;; [unrolled: 1-line block ×15, first 2 shown]
                                        ; implicit-def: $sgpr6_sgpr7
                                        ; implicit-def: $vgpr82
                                        ; implicit-def: $vgpr51
                                        ; implicit-def: $vgpr55
                                        ; implicit-def: $vgpr59
                                        ; implicit-def: $vgpr63
                                        ; implicit-def: $vgpr67
                                        ; implicit-def: $vgpr71
                                        ; implicit-def: $vgpr75
                                        ; implicit-def: $vgpr79
	s_and_saveexec_b64 s[40:41], vcc
	s_cbranch_execz .LBB1975_116
; %bb.103:
	ds_read2_b64 v[38:41], v50 offset0:13 offset1:14
	v_add_u32_e32 v26, 14, v65
	v_cmp_gt_u32_e32 vcc, s62, v26
	v_and_b32_e32 v111, 0xffffff, v81
	v_mov_b32_e32 v108, 0
	v_mov_b32_e32 v105, 0
	;; [unrolled: 1-line block ×14, first 2 shown]
                                        ; implicit-def: $sgpr6_sgpr7
                                        ; implicit-def: $vgpr82
                                        ; implicit-def: $vgpr51
                                        ; implicit-def: $vgpr55
                                        ; implicit-def: $vgpr59
                                        ; implicit-def: $vgpr63
                                        ; implicit-def: $vgpr67
                                        ; implicit-def: $vgpr71
                                        ; implicit-def: $vgpr75
                                        ; implicit-def: $vgpr79
	s_and_saveexec_b64 s[42:43], vcc
	s_cbranch_execz .LBB1975_115
; %bb.104:
	v_add_u32_e32 v26, 15, v65
	v_mov_b32_e32 v108, 0
	v_cmp_gt_u32_e32 vcc, s62, v26
	v_mov_b32_e32 v105, 0
	v_mov_b32_e32 v27, 0
	;; [unrolled: 1-line block ×11, first 2 shown]
                                        ; implicit-def: $sgpr6_sgpr7
                                        ; implicit-def: $vgpr82
                                        ; implicit-def: $vgpr51
                                        ; implicit-def: $vgpr55
                                        ; implicit-def: $vgpr59
                                        ; implicit-def: $vgpr63
                                        ; implicit-def: $vgpr67
                                        ; implicit-def: $vgpr71
                                        ; implicit-def: $vgpr75
                                        ; implicit-def: $vgpr79
	s_and_saveexec_b64 s[44:45], vcc
	s_cbranch_execz .LBB1975_114
; %bb.105:
	ds_read2_b64 v[42:45], v50 offset0:15 offset1:16
	v_cmp_ne_u32_e32 vcc, v64, v28
	v_add_u32_e32 v26, 16, v65
	v_mov_b32_e32 v108, 0
	v_cndmask_b32_e64 v105, 0, 1, vcc
	v_cmp_gt_u32_e32 vcc, s62, v26
	v_mov_b32_e32 v27, 0
	v_mov_b32_e32 v26, 0
	;; [unrolled: 1-line block ×8, first 2 shown]
                                        ; implicit-def: $sgpr6_sgpr7
                                        ; implicit-def: $vgpr82
                                        ; implicit-def: $vgpr51
                                        ; implicit-def: $vgpr55
                                        ; implicit-def: $vgpr59
                                        ; implicit-def: $vgpr63
                                        ; implicit-def: $vgpr67
                                        ; implicit-def: $vgpr71
                                        ; implicit-def: $vgpr75
                                        ; implicit-def: $vgpr79
	s_and_saveexec_b64 s[46:47], vcc
	s_cbranch_execz .LBB1975_113
; %bb.106:
	v_cmp_ne_u32_e64 s[8:9], v28, v29
	v_add_u32_e32 v26, 17, v65
	v_mov_b32_e32 v27, 0
	v_cmp_ne_u32_e32 vcc, v36, v37
	v_cmp_ne_u32_e64 s[6:7], v37, v4
	v_cmp_ne_u32_e64 s[4:5], v29, v36
	v_cndmask_b32_e64 v108, 0, 1, s[8:9]
	v_cmp_gt_u32_e64 s[8:9], s62, v26
	s_mov_b64 s[58:59], 0
	v_mov_b32_e32 v26, 0
	v_mov_b32_e32 v35, 0
	;; [unrolled: 1-line block ×5, first 2 shown]
                                        ; implicit-def: $sgpr60_sgpr61
                                        ; implicit-def: $vgpr82
                                        ; implicit-def: $vgpr51
                                        ; implicit-def: $vgpr55
                                        ; implicit-def: $vgpr59
                                        ; implicit-def: $vgpr63
                                        ; implicit-def: $vgpr67
                                        ; implicit-def: $vgpr71
                                        ; implicit-def: $vgpr75
                                        ; implicit-def: $vgpr79
	s_and_saveexec_b64 s[56:57], s[8:9]
	s_cbranch_execz .LBB1975_112
; %bb.107:
	v_cndmask_b32_e64 v26, 0, 1, s[4:5]
	v_cndmask_b32_e64 v27, 0, 1, s[6:7]
	ds_read2_b64 v[46:49], v50 offset0:17 offset1:18
	v_lshlrev_b16_e32 v26, 8, v26
	v_lshlrev_b16_e32 v27, 8, v27
	v_cndmask_b32_e64 v28, 0, 1, vcc
	v_or_b32_e32 v26, v108, v26
	v_or_b32_sdwa v27, v28, v27 dst_sel:WORD_1 dst_unused:UNUSED_PAD src0_sel:DWORD src1_sel:DWORD
	s_mov_b64 s[4:5], 0
	v_or_b32_sdwa v82, v26, v27 dst_sel:DWORD dst_unused:UNUSED_PAD src0_sel:WORD_0 src1_sel:DWORD
	v_add_u32_e32 v26, 18, v65
	v_and_b32_e32 v108, 0xffff, v82
	v_cmp_gt_u32_e32 vcc, s62, v26
	v_mov_b32_e32 v27, 0
	v_mov_b32_e32 v26, 0
	;; [unrolled: 1-line block ×4, first 2 shown]
                                        ; implicit-def: $sgpr8_sgpr9
	s_and_saveexec_b64 s[6:7], vcc
	s_cbranch_execz .LBB1975_111
; %bb.108:
	v_add_u32_e32 v26, 19, v65
	s_waitcnt lgkmcnt(0)
	v_mov_b32_e32 v34, v48
	v_mov_b32_e32 v35, v49
	v_cmp_gt_u32_e32 vcc, s62, v26
	v_and_b32_e32 v108, 0xffffff, v82
	v_mov_b32_e32 v27, 0
	v_mov_b32_e32 v26, 0
                                        ; implicit-def: $sgpr8_sgpr9
	s_and_saveexec_b64 s[58:59], vcc
	s_xor_b64 s[58:59], exec, s[58:59]
	s_cbranch_execz .LBB1975_110
; %bb.109:
	ds_read2_b64 v[26:29], v50 offset0:19 offset1:20
	v_cmp_ne_u32_e32 vcc, v4, v5
	v_add_u32_e32 v4, 20, v65
	v_cmp_gt_u32_e64 s[4:5], s62, v4
	s_and_b64 s[8:9], vcc, exec
	s_and_b64 s[4:5], s[4:5], exec
	s_waitcnt lgkmcnt(0)
	v_mov_b32_e32 v37, v27
	v_mov_b32_e32 v36, v26
	;; [unrolled: 1-line block ×3, first 2 shown]
.LBB1975_110:
	s_or_b64 exec, exec, s[58:59]
	s_and_b64 s[8:9], s[8:9], exec
	s_and_b64 s[4:5], s[4:5], exec
.LBB1975_111:
	s_or_b64 exec, exec, s[6:7]
	s_and_b64 s[60:61], s[8:9], exec
	s_and_b64 s[58:59], s[4:5], exec
	s_waitcnt lgkmcnt(0)
	v_mov_b32_e32 v51, v47
	v_mov_b32_e32 v50, v46
	v_mov_b32_e32 v49, v45
	v_mov_b32_e32 v48, v44
	v_mov_b32_e32 v55, v43
	v_mov_b32_e32 v54, v42
	v_mov_b32_e32 v53, v41
	v_mov_b32_e32 v52, v40
	v_mov_b32_e32 v59, v39
	v_mov_b32_e32 v58, v38
	v_mov_b32_e32 v57, v33
	v_mov_b32_e32 v56, v32
	v_mov_b32_e32 v63, v31
	v_mov_b32_e32 v62, v30
	v_mov_b32_e32 v61, v25
	v_mov_b32_e32 v60, v24
	v_mov_b32_e32 v67, v23
	v_mov_b32_e32 v66, v22
	v_mov_b32_e32 v65, v21
	v_mov_b32_e32 v64, v20
	v_mov_b32_e32 v71, v19
	v_mov_b32_e32 v70, v18
	v_mov_b32_e32 v69, v17
	v_mov_b32_e32 v68, v16
	v_mov_b32_e32 v75, v15
	v_mov_b32_e32 v74, v14
	v_mov_b32_e32 v73, v13
	v_mov_b32_e32 v72, v12
	v_mov_b32_e32 v79, v11
	v_mov_b32_e32 v78, v10
	v_mov_b32_e32 v77, v9
	v_mov_b32_e32 v76, v8
	v_mov_b32_e32 v5, v7
	v_mov_b32_e32 v4, v6
.LBB1975_112:
	s_or_b64 exec, exec, s[56:57]
	s_and_b64 s[6:7], s[60:61], exec
	s_and_b64 s[4:5], s[58:59], exec
	s_waitcnt lgkmcnt(0)
	v_mov_b32_e32 v109, v45
	v_mov_b32_e32 v110, v44
.LBB1975_113:
	s_or_b64 exec, exec, s[46:47]
	s_and_b64 s[6:7], s[6:7], exec
	s_and_b64 s[4:5], s[4:5], exec
.LBB1975_114:
	s_or_b64 exec, exec, s[44:45]
	s_and_b64 s[6:7], s[6:7], exec
	s_and_b64 s[4:5], s[4:5], exec
	v_mov_b32_e32 v111, v81
	s_waitcnt lgkmcnt(0)
	v_mov_b32_e32 v112, v41
	v_mov_b32_e32 v113, v40
.LBB1975_115:
	s_or_b64 exec, exec, s[42:43]
	s_and_b64 s[6:7], s[6:7], exec
	s_and_b64 s[4:5], s[4:5], exec
.LBB1975_116:
	s_or_b64 exec, exec, s[40:41]
	s_and_b64 s[42:43], s[6:7], exec
	s_and_b64 s[40:41], s[4:5], exec
	s_waitcnt lgkmcnt(0)
	v_mov_b32_e32 v114, v33
	v_mov_b32_e32 v115, v32
.LBB1975_117:
	s_or_b64 exec, exec, s[38:39]
	s_and_b64 s[6:7], s[42:43], exec
	s_and_b64 s[4:5], s[40:41], exec
.LBB1975_118:
	s_or_b64 exec, exec, s[36:37]
	s_and_b64 s[6:7], s[6:7], exec
	s_and_b64 s[4:5], s[4:5], exec
	s_waitcnt lgkmcnt(0)
	v_mov_b32_e32 v117, v25
	v_mov_b32_e32 v118, v24
.LBB1975_119:
	s_or_b64 exec, exec, s[34:35]
	s_and_b64 s[6:7], s[6:7], exec
	s_and_b64 s[4:5], s[4:5], exec
	v_mov_b32_e32 v116, v80
.LBB1975_120:
	s_or_b64 exec, exec, s[30:31]
	s_and_b64 s[6:7], s[6:7], exec
	s_and_b64 s[4:5], s[4:5], exec
	s_waitcnt lgkmcnt(0)
	v_mov_b32_e32 v119, v21
	v_mov_b32_e32 v120, v20
.LBB1975_121:
	s_or_b64 exec, exec, s[28:29]
	s_and_b64 s[30:31], s[6:7], exec
	s_and_b64 s[28:29], s[4:5], exec
.LBB1975_122:
	s_or_b64 exec, exec, s[26:27]
	s_and_b64 s[6:7], s[30:31], exec
	s_and_b64 s[4:5], s[28:29], exec
	s_waitcnt lgkmcnt(0)
	v_mov_b32_e32 v121, v17
	v_mov_b32_e32 v122, v16
.LBB1975_123:
	s_or_b64 exec, exec, s[24:25]
	s_and_b64 s[6:7], s[6:7], exec
	s_and_b64 s[4:5], s[4:5], exec
.LBB1975_124:
	s_or_b64 exec, exec, s[22:23]
	s_and_b64 s[6:7], s[6:7], exec
	s_and_b64 s[4:5], s[4:5], exec
	v_mov_b32_e32 v123, v1
	s_waitcnt lgkmcnt(0)
	v_mov_b32_e32 v124, v13
	v_mov_b32_e32 v125, v12
.LBB1975_125:
	s_or_b64 exec, exec, s[20:21]
	s_and_b64 s[6:7], s[6:7], exec
	s_and_b64 s[4:5], s[4:5], exec
.LBB1975_126:
	s_or_b64 exec, exec, s[18:19]
	s_and_b64 s[20:21], s[6:7], exec
	s_and_b64 s[18:19], s[4:5], exec
	s_waitcnt lgkmcnt(0)
	v_mov_b32_e32 v126, v9
	v_mov_b32_e32 v127, v8
.LBB1975_127:
	s_or_b64 exec, exec, s[16:17]
	s_and_b64 s[4:5], s[20:21], exec
	s_and_b64 s[6:7], s[18:19], exec
.LBB1975_128:
	s_or_b64 exec, exec, s[14:15]
	s_and_b64 s[4:5], s[4:5], exec
	s_and_b64 s[6:7], s[6:7], exec
.LBB1975_129:
	s_or_b64 exec, exec, s[12:13]
	s_mov_b32 s8, 0
	s_and_b64 vcc, exec, s[10:11]
	s_cbranch_vccnz .LBB1975_131
	s_branch .LBB1975_139
.LBB1975_130:
                                        ; kill: def $vgpr2_vgpr3 killed $sgpr0_sgpr1 killed $exec
                                        ; implicit-def: $sgpr4_sgpr5
                                        ; implicit-def: $vgpr1
                                        ; implicit-def: $vgpr80
                                        ; implicit-def: $vgpr81
                                        ; implicit-def: $vgpr82
                                        ; implicit-def: $vgpr28_vgpr29
                                        ; implicit-def: $vgpr37
                                        ; implicit-def: $vgpr51
                                        ; implicit-def: $vgpr105
                                        ; implicit-def: $vgpr55
                                        ; implicit-def: $vgpr59
                                        ; implicit-def: $vgpr63
                                        ; implicit-def: $vgpr107
                                        ; implicit-def: $vgpr67
                                        ; implicit-def: $vgpr71
                                        ; implicit-def: $vgpr106
                                        ; implicit-def: $vgpr75
                                        ; implicit-def: $vgpr79
                                        ; implicit-def: $vgpr5
                                        ; implicit-def: $vgpr104
                                        ; implicit-def: $vgpr123
                                        ; implicit-def: $vgpr116
                                        ; implicit-def: $vgpr111
                                        ; implicit-def: $vgpr108
                                        ; implicit-def: $sgpr8
                                        ; implicit-def: $sgpr3
                                        ; implicit-def: $vgpr47
                                        ; implicit-def: $vgpr109
                                        ; implicit-def: $vgpr110
                                        ; implicit-def: $vgpr43
                                        ; implicit-def: $vgpr112
                                        ; implicit-def: $vgpr113
                                        ; implicit-def: $vgpr39
                                        ; implicit-def: $vgpr114
                                        ; implicit-def: $vgpr115
                                        ; implicit-def: $vgpr31
                                        ; implicit-def: $vgpr117
                                        ; implicit-def: $vgpr118
                                        ; implicit-def: $vgpr23
                                        ; implicit-def: $vgpr119
                                        ; implicit-def: $vgpr120
                                        ; implicit-def: $vgpr19
                                        ; implicit-def: $vgpr121
                                        ; implicit-def: $vgpr122
                                        ; implicit-def: $vgpr15
                                        ; implicit-def: $vgpr124
                                        ; implicit-def: $vgpr125
                                        ; implicit-def: $vgpr11
                                        ; implicit-def: $vgpr126
                                        ; implicit-def: $vgpr127
                                        ; implicit-def: $vgpr7
	s_and_b64 vcc, exec, s[10:11]
	s_cbranch_vccz .LBB1975_139
.LBB1975_131:
	s_waitcnt lgkmcnt(0)
	v_mov_b32_e32 v3, 0
	v_lshlrev_b32_e32 v2, 2, v0
	v_lshl_add_u64 v[4:5], s[50:51], 0, v[2:3]
	v_add_co_u32_e32 v6, vcc, 0x1000, v4
	s_movk_i32 s3, 0x50
	s_nop 0
	v_addc_co_u32_e32 v7, vcc, 0, v5, vcc
	flat_load_dword v1, v[4:5]
	flat_load_dword v3, v[4:5] offset:1024
	flat_load_dword v10, v[4:5] offset:2048
	;; [unrolled: 1-line block ×3, first 2 shown]
	flat_load_dword v12, v[6:7]
	flat_load_dword v13, v[6:7] offset:1024
	flat_load_dword v14, v[6:7] offset:2048
	;; [unrolled: 1-line block ×3, first 2 shown]
	v_add_co_u32_e32 v6, vcc, 0x2000, v4
	v_mad_u32_u24 v23, v0, s3, v2
	s_nop 0
	v_addc_co_u32_e32 v7, vcc, 0, v5, vcc
	v_add_co_u32_e32 v8, vcc, 0x3000, v4
	s_cmp_eq_u64 s[54:55], 0
	s_nop 0
	v_addc_co_u32_e32 v9, vcc, 0, v5, vcc
	flat_load_dword v16, v[6:7]
	flat_load_dword v17, v[6:7] offset:1024
	flat_load_dword v18, v[6:7] offset:2048
	flat_load_dword v19, v[6:7] offset:3072
	flat_load_dword v20, v[8:9]
	flat_load_dword v21, v[8:9] offset:1024
	flat_load_dword v22, v[8:9] offset:2048
	;; [unrolled: 1-line block ×3, first 2 shown]
	v_add_co_u32_e32 v6, vcc, 0x4000, v4
	s_nop 1
	v_addc_co_u32_e32 v7, vcc, 0, v5, vcc
	v_add_co_u32_e32 v4, vcc, 0x5000, v4
	s_nop 1
	v_addc_co_u32_e32 v5, vcc, 0, v5, vcc
	flat_load_dword v8, v[6:7]
	flat_load_dword v9, v[6:7] offset:1024
	flat_load_dword v25, v[6:7] offset:2048
	;; [unrolled: 1-line block ×3, first 2 shown]
	flat_load_dword v27, v[4:5]
	s_waitcnt vmcnt(0) lgkmcnt(0)
	ds_write2st64_b32 v2, v1, v3 offset1:4
	ds_write2st64_b32 v2, v10, v11 offset0:8 offset1:12
	ds_write2st64_b32 v2, v12, v13 offset0:16 offset1:20
	;; [unrolled: 1-line block ×9, first 2 shown]
	ds_write_b32 v2, v27 offset:20480
	s_waitcnt lgkmcnt(0)
	s_barrier
	ds_read2_b32 v[10:11], v23 offset0:7 offset1:8
	ds_read2_b32 v[8:9], v23 offset0:5 offset1:6
	;; [unrolled: 1-line block ×3, first 2 shown]
	ds_read2_b32 v[6:7], v23 offset1:1
	ds_read2_b32 v[4:5], v23 offset0:4 offset1:9
	ds_read2_b32 v[16:17], v23 offset0:15 offset1:16
	ds_read_b32 v1, v23 offset:56
	ds_read2_b32 v[14:15], v23 offset0:12 offset1:13
	ds_read2_b32 v[12:13], v23 offset0:10 offset1:11
	;; [unrolled: 1-line block ×4, first 2 shown]
	s_cbranch_scc1 .LBB1975_136
; %bb.132:
	s_andn2_b64 vcc, exec, s[52:53]
	s_cbranch_vccnz .LBB1975_342
; %bb.133:
	s_lshl_b64 s[4:5], s[54:55], 2
	s_add_u32 s3, s94, s4
	s_addc_u32 s5, s95, s5
	s_add_u32 s4, s3, -4
	s_addc_u32 s5, s5, -1
	s_cbranch_execnz .LBB1975_135
.LBB1975_134:
	s_add_u32 s4, s50, -4
	s_addc_u32 s5, s51, -1
.LBB1975_135:
	s_mov_b64 s[50:51], s[4:5]
.LBB1975_136:
	v_mov_b64_e32 v[24:25], s[50:51]
	flat_load_dword v22, v[24:25]
	s_movk_i32 s3, 0xffb0
	v_mad_i32_i24 v23, v0, s3, v23
	v_cmp_ne_u32_e32 vcc, 0, v0
	s_waitcnt lgkmcnt(0)
	ds_write_b32 v23, v21 offset:21504
	s_waitcnt lgkmcnt(0)
	s_barrier
	s_and_saveexec_b64 s[4:5], vcc
	s_cbranch_execz .LBB1975_138
; %bb.137:
	s_waitcnt vmcnt(0)
	ds_read_b32 v22, v23 offset:21500
.LBB1975_138:
	s_or_b64 exec, exec, s[4:5]
	v_lshlrev_b32_e32 v24, 3, v0
	v_mov_b32_e32 v25, 0
	v_lshl_add_u64 v[24:25], s[48:49], 0, v[24:25]
	s_movk_i32 s3, 0x1000
	v_add_co_u32_e32 v26, vcc, s3, v24
	s_movk_i32 s3, 0x2000
	s_nop 0
	v_addc_co_u32_e32 v27, vcc, 0, v25, vcc
	s_waitcnt lgkmcnt(0)
	s_barrier
	flat_load_dwordx2 v[28:29], v[24:25]
	flat_load_dwordx2 v[30:31], v[24:25] offset:2048
	flat_load_dwordx2 v[32:33], v[26:27]
	flat_load_dwordx2 v[34:35], v[26:27] offset:2048
	v_add_co_u32_e32 v26, vcc, s3, v24
	s_movk_i32 s3, 0x3000
	s_nop 0
	v_addc_co_u32_e32 v27, vcc, 0, v25, vcc
	v_add_co_u32_e32 v36, vcc, s3, v24
	s_movk_i32 s3, 0x4000
	s_nop 0
	v_addc_co_u32_e32 v37, vcc, 0, v25, vcc
	flat_load_dwordx2 v[38:39], v[26:27]
	flat_load_dwordx2 v[40:41], v[26:27] offset:2048
	flat_load_dwordx2 v[42:43], v[36:37]
	flat_load_dwordx2 v[44:45], v[36:37] offset:2048
	v_add_co_u32_e32 v26, vcc, s3, v24
	s_movk_i32 s3, 0x5000
	s_nop 0
	v_addc_co_u32_e32 v27, vcc, 0, v25, vcc
	v_add_co_u32_e32 v36, vcc, s3, v24
	s_movk_i32 s3, 0x6000
	s_nop 0
	v_addc_co_u32_e32 v37, vcc, 0, v25, vcc
	flat_load_dwordx2 v[46:47], v[26:27]
	flat_load_dwordx2 v[48:49], v[26:27] offset:2048
	flat_load_dwordx2 v[50:51], v[36:37]
	flat_load_dwordx2 v[52:53], v[36:37] offset:2048
	v_add_co_u32_e32 v26, vcc, s3, v24
	s_movk_i32 s3, 0x7000
	s_nop 0
	v_addc_co_u32_e32 v27, vcc, 0, v25, vcc
	v_add_co_u32_e32 v36, vcc, s3, v24
	s_mov_b32 s3, 0x8000
	s_nop 0
	v_addc_co_u32_e32 v37, vcc, 0, v25, vcc
	flat_load_dwordx2 v[54:55], v[26:27]
	flat_load_dwordx2 v[56:57], v[26:27] offset:2048
	flat_load_dwordx2 v[58:59], v[36:37]
	flat_load_dwordx2 v[60:61], v[36:37] offset:2048
	v_add_co_u32_e32 v26, vcc, s3, v24
	s_mov_b32 s3, 0x9000
	s_nop 0
	v_addc_co_u32_e32 v27, vcc, 0, v25, vcc
	v_add_co_u32_e32 v36, vcc, s3, v24
	s_mov_b32 s3, 0xa000
	s_nop 0
	v_addc_co_u32_e32 v37, vcc, 0, v25, vcc
	flat_load_dwordx2 v[62:63], v[26:27]
	flat_load_dwordx2 v[64:65], v[26:27] offset:2048
	flat_load_dwordx2 v[66:67], v[36:37]
	flat_load_dwordx2 v[68:69], v[36:37] offset:2048
	v_add_co_u32_e32 v24, vcc, s3, v24
	v_cmp_ne_u32_e64 s[4:5], v20, v21
	s_nop 0
	v_addc_co_u32_e32 v25, vcc, 0, v25, vcc
	flat_load_dwordx2 v[24:25], v[24:25]
	v_cmp_ne_u32_e32 vcc, v17, v18
	s_movk_i32 s3, 0xa0
	s_mov_b64 s[6:7], -1
	v_cndmask_b32_e64 v21, 0, 1, vcc
	v_cmp_ne_u32_e32 vcc, v16, v17
	v_lshlrev_b16_e32 v21, 8, v21
                                        ; implicit-def: $vgpr123
                                        ; implicit-def: $vgpr116
                                        ; implicit-def: $vgpr111
                                        ; implicit-def: $vgpr108
                                        ; implicit-def: $sgpr8
                                        ; implicit-def: $vgpr109
                                        ; implicit-def: $vgpr110
                                        ; implicit-def: $vgpr112
                                        ; implicit-def: $vgpr113
                                        ; implicit-def: $vgpr114
                                        ; implicit-def: $vgpr115
                                        ; implicit-def: $vgpr117
                                        ; implicit-def: $vgpr118
                                        ; implicit-def: $vgpr119
                                        ; implicit-def: $vgpr120
                                        ; implicit-def: $vgpr121
                                        ; implicit-def: $vgpr122
                                        ; implicit-def: $vgpr124
                                        ; implicit-def: $vgpr125
                                        ; implicit-def: $vgpr126
                                        ; implicit-def: $vgpr127
	s_nop 0
	v_cndmask_b32_e64 v17, 0, 1, vcc
	v_cmp_ne_u32_e32 vcc, v19, v20
	v_or_b32_e32 v17, v17, v21
	s_nop 0
	v_cndmask_b32_e64 v20, 0, 1, vcc
	v_cmp_ne_u32_e32 vcc, v18, v19
	v_lshlrev_b16_e32 v20, 8, v20
                                        ; implicit-def: $vgpr19
	s_nop 0
	v_cndmask_b32_e64 v18, 0, 1, vcc
	v_cmp_ne_u32_e32 vcc, v1, v16
	v_or_b32_sdwa v18, v18, v20 dst_sel:WORD_1 dst_unused:UNUSED_PAD src0_sel:DWORD src1_sel:DWORD
	s_nop 0
	v_cndmask_b32_e64 v105, 0, 1, vcc
	v_cmp_ne_u32_e32 vcc, v13, v14
	v_or_b32_sdwa v82, v17, v18 dst_sel:DWORD dst_unused:UNUSED_PAD src0_sel:WORD_0 src1_sel:DWORD
	s_nop 0
	v_cndmask_b32_e64 v16, 0, 1, vcc
	v_cmp_ne_u32_e32 vcc, v12, v13
	v_lshlrev_b16_e32 v16, 8, v16
	s_nop 0
	v_cndmask_b32_e64 v13, 0, 1, vcc
	v_cmp_ne_u32_e32 vcc, v15, v1
	v_or_b32_e32 v13, v13, v16
	s_nop 0
	v_cndmask_b32_e64 v1, 0, 1, vcc
	v_cmp_ne_u32_e32 vcc, v14, v15
	v_lshlrev_b16_e32 v1, 8, v1
                                        ; implicit-def: $vgpr15
	s_nop 0
	v_cndmask_b32_e64 v14, 0, 1, vcc
	v_cmp_ne_u32_e32 vcc, v5, v12
	v_or_b32_sdwa v1, v14, v1 dst_sel:WORD_1 dst_unused:UNUSED_PAD src0_sel:DWORD src1_sel:DWORD
	s_nop 0
	v_cndmask_b32_e64 v107, 0, 1, vcc
	v_cmp_ne_u32_e32 vcc, v9, v10
	v_or_b32_sdwa v81, v13, v1 dst_sel:DWORD dst_unused:UNUSED_PAD src0_sel:WORD_0 src1_sel:DWORD
	s_nop 0
	v_cndmask_b32_e64 v1, 0, 1, vcc
	v_cmp_ne_u32_e32 vcc, v8, v9
	v_lshlrev_b16_e32 v1, 8, v1
	s_nop 0
	v_cndmask_b32_e64 v9, 0, 1, vcc
	v_cmp_ne_u32_e32 vcc, v11, v5
	v_or_b32_e32 v1, v9, v1
	s_nop 0
	v_cndmask_b32_e64 v5, 0, 1, vcc
	v_cmp_ne_u32_e32 vcc, v10, v11
	v_lshlrev_b16_e32 v5, 8, v5
                                        ; implicit-def: $vgpr11
	s_nop 0
	v_cndmask_b32_e64 v9, 0, 1, vcc
	v_cmp_ne_u32_e32 vcc, v4, v8
	v_or_b32_sdwa v5, v9, v5 dst_sel:WORD_1 dst_unused:UNUSED_PAD src0_sel:DWORD src1_sel:DWORD
	s_nop 0
	v_cndmask_b32_e64 v106, 0, 1, vcc
	v_cmp_ne_u32_e32 vcc, v7, v2
	v_or_b32_sdwa v80, v1, v5 dst_sel:DWORD dst_unused:UNUSED_PAD src0_sel:WORD_0 src1_sel:DWORD
	s_nop 0
	v_cndmask_b32_e64 v1, 0, 1, vcc
	v_cmp_ne_u32_e32 vcc, v6, v7
	v_lshlrev_b16_e32 v1, 8, v1
	s_nop 0
	v_cndmask_b32_e64 v5, 0, 1, vcc
	v_cmp_ne_u32_e32 vcc, v3, v4
	v_or_b32_e32 v1, v5, v1
	s_nop 0
	v_cndmask_b32_e64 v4, 0, 1, vcc
	v_cmp_ne_u32_e32 vcc, v2, v3
	v_lshlrev_b16_e32 v4, 8, v4
	s_nop 0
	v_cndmask_b32_e64 v2, 0, 1, vcc
	v_or_b32_sdwa v2, v2, v4 dst_sel:WORD_1 dst_unused:UNUSED_PAD src0_sel:DWORD src1_sel:DWORD
	s_waitcnt vmcnt(0)
	v_cmp_ne_u32_e32 vcc, v22, v6
	v_or_b32_sdwa v1, v1, v2 dst_sel:DWORD dst_unused:UNUSED_PAD src0_sel:WORD_0 src1_sel:DWORD
	v_lshl_add_u32 v2, v0, 2, v23
	v_mad_u32_u24 v7, v0, s3, v2
	s_waitcnt lgkmcnt(0)
	ds_write2st64_b64 v2, v[28:29], v[30:31] offset1:4
	ds_write2st64_b64 v2, v[32:33], v[34:35] offset0:8 offset1:12
	ds_write2st64_b64 v2, v[38:39], v[40:41] offset0:16 offset1:20
	;; [unrolled: 1-line block ×9, first 2 shown]
	ds_write_b64 v2, v[24:25] offset:40960
	s_waitcnt lgkmcnt(0)
	s_barrier
	ds_read2_b64 v[2:5], v7 offset1:1
	ds_read2_b64 v[76:79], v7 offset0:2 offset1:3
	ds_read2_b64 v[72:75], v7 offset0:4 offset1:5
	ds_read2_b64 v[68:71], v7 offset0:6 offset1:7
	ds_read2_b64 v[64:67], v7 offset0:8 offset1:9
	ds_read2_b64 v[60:63], v7 offset0:10 offset1:11
	ds_read2_b64 v[56:59], v7 offset0:12 offset1:13
	ds_read2_b64 v[52:55], v7 offset0:14 offset1:15
	ds_read2_b64 v[48:51], v7 offset0:16 offset1:17
	ds_read2_b64 v[34:37], v7 offset0:18 offset1:19
	ds_read_b64 v[28:29], v7 offset:160
	v_cndmask_b32_e64 v104, 0, 1, vcc
                                        ; kill: def $vgpr6 killed $sgpr0 killed $exec
                                        ; implicit-def: $sgpr3
                                        ; implicit-def: $vgpr47
                                        ; implicit-def: $vgpr43
                                        ; implicit-def: $vgpr39
                                        ; implicit-def: $vgpr31
                                        ; implicit-def: $vgpr23
                                        ; implicit-def: $vgpr7
.LBB1975_139:
	v_mov_b32_e32 v25, s3
	v_mov_b32_e32 v33, s3
	;; [unrolled: 1-line block ×3, first 2 shown]
	s_and_saveexec_b64 s[8:9], s[6:7]
	s_cbranch_execz .LBB1975_141
; %bb.140:
	v_cndmask_b32_e64 v40, 0, 1, s[4:5]
	s_waitcnt lgkmcnt(0)
	v_mov_b32_e32 v6, v4
	v_mov_b32_e32 v7, v5
	;; [unrolled: 1-line block ×42, first 2 shown]
.LBB1975_141:
	s_or_b64 exec, exec, s[8:9]
	s_waitcnt lgkmcnt(1)
	v_and_b32_e32 v37, 1, v106
	v_and_b32_e32 v41, 1, v107
	;; [unrolled: 1-line block ×4, first 2 shown]
	s_cmp_lg_u32 s2, 0
	v_lshrrev_b32_e32 v133, 8, v123
	v_lshrrev_b32_e32 v132, 8, v116
	v_lshrrev_b32_e32 v131, 8, v111
	v_lshrrev_b32_e32 v130, 8, v108
	v_cmp_eq_u32_e32 vcc, 1, v37
	v_cmp_eq_u32_e64 s[44:45], 1, v41
	v_cmp_eq_u32_e64 s[46:47], 1, v128
	;; [unrolled: 1-line block ×3, first 2 shown]
	s_waitcnt lgkmcnt(0)
	v_mbcnt_lo_u32_b32 v29, -1, 0
	s_barrier
	s_cbranch_scc0 .LBB1975_216
; %bb.142:
	v_mov_b32_e32 v1, 0
	v_cmp_eq_u16_sdwa s[50:51], v123, v1 src0_sel:BYTE_0 src1_sel:DWORD
	s_movk_i32 s3, 0xff
	v_cmp_eq_u16_sdwa s[4:5], v133, v1 src0_sel:BYTE_0 src1_sel:DWORD
	v_cndmask_b32_e64 v4, 0, v2, s[50:51]
	v_add_u32_e32 v4, v4, v6
	v_cndmask_b32_e64 v5, 0, v3, s[50:51]
	v_add_u32_e32 v5, v5, v7
	v_cndmask_b32_e64 v4, 0, v4, s[4:5]
	v_and_b32_sdwa v8, v123, s3 dst_sel:DWORD dst_unused:UNUSED_PAD src0_sel:WORD_1 src1_sel:DWORD
	v_add_u32_e32 v4, v4, v127
	v_cndmask_b32_e64 v5, 0, v5, s[4:5]
	v_cmp_eq_u16_e64 s[6:7], 0, v8
	v_add_u32_e32 v5, v5, v126
	v_cmp_eq_u16_sdwa s[8:9], v123, v1 src0_sel:BYTE_3 src1_sel:DWORD
	v_cndmask_b32_e64 v4, 0, v4, s[6:7]
	v_add_u32_e32 v4, v4, v10
	v_cndmask_b32_e64 v5, 0, v5, s[6:7]
	v_add_u32_e32 v5, v5, v11
	v_cndmask_b32_e64 v4, 0, v4, s[8:9]
	v_add_u32_e32 v4, v4, v125
	v_cndmask_b32_e64 v5, 0, v5, s[8:9]
	v_cmp_eq_u16_sdwa s[10:11], v106, v1 src0_sel:BYTE_0 src1_sel:DWORD
	v_add_u32_e32 v5, v5, v124
	v_cmp_eq_u16_sdwa s[12:13], v116, v1 src0_sel:BYTE_0 src1_sel:DWORD
	v_cndmask_b32_e64 v4, 0, v4, s[10:11]
	v_add_u32_e32 v4, v4, v14
	v_cndmask_b32_e64 v5, 0, v5, s[10:11]
	v_add_u32_e32 v5, v5, v15
	v_cndmask_b32_e64 v4, 0, v4, s[12:13]
	v_add_u32_e32 v4, v4, v122
	v_cndmask_b32_e64 v5, 0, v5, s[12:13]
	v_cmp_eq_u16_sdwa s[14:15], v132, v1 src0_sel:BYTE_0 src1_sel:DWORD
	v_add_u32_e32 v5, v5, v121
	v_and_b32_sdwa v8, v116, s3 dst_sel:DWORD dst_unused:UNUSED_PAD src0_sel:WORD_1 src1_sel:DWORD
	v_cndmask_b32_e64 v4, 0, v4, s[14:15]
	v_add_u32_e32 v4, v4, v18
	v_cndmask_b32_e64 v5, 0, v5, s[14:15]
	v_cmp_eq_u16_e64 s[16:17], 0, v8
	v_add_u32_e32 v5, v5, v19
	v_cmp_eq_u16_sdwa s[18:19], v116, v1 src0_sel:BYTE_3 src1_sel:DWORD
	v_cndmask_b32_e64 v4, 0, v4, s[16:17]
	v_add_u32_e32 v4, v4, v120
	v_cndmask_b32_e64 v5, 0, v5, s[16:17]
	v_add_u32_e32 v5, v5, v119
	v_cndmask_b32_e64 v4, 0, v4, s[18:19]
	v_add_u32_e32 v4, v4, v22
	v_cndmask_b32_e64 v5, 0, v5, s[18:19]
	v_cmp_eq_u16_sdwa s[20:21], v107, v1 src0_sel:BYTE_0 src1_sel:DWORD
	v_add_u32_e32 v5, v5, v23
	v_cmp_eq_u16_sdwa s[22:23], v111, v1 src0_sel:BYTE_0 src1_sel:DWORD
	v_cndmask_b32_e64 v4, 0, v4, s[20:21]
	v_add_u32_e32 v4, v4, v118
	v_cndmask_b32_e64 v5, 0, v5, s[20:21]
	v_add_u32_e32 v5, v5, v117
	v_cndmask_b32_e64 v4, 0, v4, s[22:23]
	v_add_u32_e32 v4, v4, v30
	v_cndmask_b32_e64 v5, 0, v5, s[22:23]
	v_cmp_eq_u16_sdwa s[24:25], v131, v1 src0_sel:BYTE_0 src1_sel:DWORD
	v_add_u32_e32 v5, v5, v31
	v_and_b32_sdwa v8, v111, s3 dst_sel:DWORD dst_unused:UNUSED_PAD src0_sel:WORD_1 src1_sel:DWORD
	v_cndmask_b32_e64 v4, 0, v4, s[24:25]
	;; [unrolled: 26-line block ×3, first 2 shown]
	v_add_u32_e32 v4, v4, v46
	v_cndmask_b32_e64 v5, 0, v5, s[36:37]
	v_cmp_eq_u16_e64 s[38:39], 0, v8
	v_add_u32_e32 v5, v5, v47
	v_cmp_eq_u16_sdwa s[40:41], v108, v1 src0_sel:BYTE_3 src1_sel:DWORD
	v_cndmask_b32_e64 v4, 0, v4, s[38:39]
	v_add_u32_e32 v4, v4, v34
	v_cndmask_b32_e64 v5, 0, v5, s[38:39]
	v_add_u32_e32 v5, v5, v35
	;; [unrolled: 2-line block ×3, first 2 shown]
	v_cndmask_b32_e64 v5, 0, v5, s[40:41]
	v_cmp_eq_u16_sdwa s[42:43], v40, v1 src0_sel:BYTE_0 src1_sel:DWORD
	v_add_u32_e32 v5, v5, v27
	v_mbcnt_hi_u32_b32 v13, -1, v29
	v_cndmask_b32_e64 v1, 0, v4, s[42:43]
	v_add_u32_e32 v8, v1, v25
	v_cndmask_b32_e64 v1, 0, v5, s[42:43]
	v_and_b32_e32 v5, 1, v123
	v_cmp_eq_u32_e64 s[54:55], 1, v5
	v_and_b32_e32 v5, 0x100, v123
	v_cmp_ne_u32_e64 s[56:57], 0, v5
	v_and_b32_e32 v5, 0x10000, v123
	v_cmp_ne_u32_e64 s[58:59], 0, v5
	v_and_b32_e32 v5, 0x1000000, v123
	v_cmp_ne_u32_e64 s[60:61], 0, v5
	v_and_b32_e32 v5, 1, v116
	v_cmp_eq_u32_e64 s[62:63], 1, v5
	v_and_b32_e32 v5, 0x100, v116
	v_cmp_ne_u32_e64 s[64:65], 0, v5
	v_and_b32_e32 v5, 0x10000, v116
	v_cmp_ne_u32_e64 s[66:67], 0, v5
	v_and_b32_e32 v5, 0x1000000, v116
	v_cmp_ne_u32_e64 s[68:69], 0, v5
	v_and_b32_e32 v5, 1, v111
	v_cmp_eq_u32_e64 s[70:71], 1, v5
	v_and_b32_e32 v5, 0x100, v111
	v_cmp_ne_u32_e64 s[72:73], 0, v5
	v_and_b32_e32 v5, 0x10000, v111
	v_cmp_ne_u32_e64 s[74:75], 0, v5
	v_and_b32_e32 v5, 0x1000000, v111
	v_cmp_ne_u32_e64 s[76:77], 0, v5
	v_and_b32_e32 v5, 1, v108
	v_and_b32_e32 v4, 0x1000000, v108
	v_cmp_eq_u32_e64 s[78:79], 1, v5
	v_and_b32_e32 v5, 0x100, v108
	v_cmp_ne_u32_e64 s[52:53], 0, v4
	v_cmp_ne_u32_e64 s[80:81], 0, v5
	v_and_b32_e32 v5, 0x10000, v108
	v_cmp_ne_u32_e64 s[82:83], 0, v5
	s_or_b64 s[48:49], s[48:49], s[52:53]
	s_or_b64 s[48:49], s[48:49], s[82:83]
	;; [unrolled: 1-line block ×14, first 2 shown]
	s_or_b64 s[44:45], s[44:45], vcc
	s_or_b64 s[44:45], s[44:45], s[60:61]
	s_or_b64 s[44:45], s[44:45], s[58:59]
	;; [unrolled: 1-line block ×3, first 2 shown]
	v_and_b32_e32 v4, 0xff, v104
	s_or_b64 s[44:45], s[44:45], s[54:55]
	v_add_u32_e32 v1, v1, v33
	v_cndmask_b32_e64 v9, v4, 1, s[44:45]
	v_and_b32_e32 v4, 15, v13
	v_mov_b32_dpp v5, v8 row_shr:1 row_mask:0xf bank_mask:0xf
	v_mov_b32_dpp v12, v1 row_shr:1 row_mask:0xf bank_mask:0xf
	;; [unrolled: 1-line block ×3, first 2 shown]
	v_cmp_ne_u32_e32 vcc, 0, v4
	s_and_saveexec_b64 s[44:45], vcc
; %bb.143:
	v_cmp_eq_u32_e32 vcc, 0, v9
	v_and_or_b32 v9, v16, 1, v9
	s_nop 0
	v_cndmask_b32_e32 v5, 0, v5, vcc
	v_add_u32_e32 v8, v5, v8
	v_cndmask_b32_e32 v5, 0, v12, vcc
	v_add_u32_e32 v1, v5, v1
; %bb.144:
	s_or_b64 exec, exec, s[44:45]
	v_mov_b32_dpp v12, v8 row_shr:2 row_mask:0xf bank_mask:0xf
	v_mov_b32_dpp v16, v1 row_shr:2 row_mask:0xf bank_mask:0xf
	v_mov_b32_dpp v5, v9 row_shr:2 row_mask:0xf bank_mask:0xf
	v_cmp_lt_u32_e32 vcc, 1, v4
	s_and_saveexec_b64 s[44:45], vcc
; %bb.145:
	v_add_u32_e32 v12, v12, v8
	v_add_u32_e32 v16, v16, v1
	v_cmp_eq_u32_e32 vcc, 0, v9
	v_or_b32_e32 v5, v5, v9
	v_and_b32_e32 v9, 1, v5
	v_cndmask_b32_e32 v8, v8, v12, vcc
	v_cndmask_b32_e32 v1, v1, v16, vcc
; %bb.146:
	s_or_b64 exec, exec, s[44:45]
	v_mov_b32_dpp v12, v8 row_shr:4 row_mask:0xf bank_mask:0xf
	v_mov_b32_dpp v16, v1 row_shr:4 row_mask:0xf bank_mask:0xf
	;; [unrolled: 1-line block ×3, first 2 shown]
	v_cmp_lt_u32_e32 vcc, 3, v4
	s_and_saveexec_b64 s[44:45], vcc
; %bb.147:
	v_add_u32_e32 v12, v12, v8
	v_add_u32_e32 v16, v16, v1
	v_cmp_eq_u32_e32 vcc, 0, v9
	v_or_b32_e32 v5, v5, v9
	v_and_b32_e32 v9, 1, v5
	v_cndmask_b32_e32 v8, v8, v12, vcc
	v_cndmask_b32_e32 v1, v1, v16, vcc
; %bb.148:
	s_or_b64 exec, exec, s[44:45]
	v_mov_b32_dpp v12, v8 row_shr:8 row_mask:0xf bank_mask:0xf
	v_mov_b32_dpp v16, v1 row_shr:8 row_mask:0xf bank_mask:0xf
	;; [unrolled: 1-line block ×3, first 2 shown]
	v_cmp_lt_u32_e32 vcc, 7, v4
	s_and_saveexec_b64 s[44:45], vcc
; %bb.149:
	v_add_u32_e32 v4, v12, v8
	v_cmp_eq_u32_e32 vcc, 0, v9
	v_add_u32_e32 v12, v16, v1
	s_nop 0
	v_cndmask_b32_e32 v8, v8, v4, vcc
	v_or_b32_e32 v4, v5, v9
	v_cndmask_b32_e32 v1, v1, v12, vcc
	v_and_b32_e32 v9, 1, v4
; %bb.150:
	s_or_b64 exec, exec, s[44:45]
	v_and_b32_e32 v16, 16, v13
	v_mov_b32_dpp v5, v8 row_bcast:15 row_mask:0xf bank_mask:0xf
	v_mov_b32_dpp v12, v1 row_bcast:15 row_mask:0xf bank_mask:0xf
	;; [unrolled: 1-line block ×3, first 2 shown]
	v_cmp_ne_u32_e32 vcc, 0, v16
	s_and_saveexec_b64 s[44:45], vcc
; %bb.151:
	v_add_u32_e32 v5, v5, v8
	v_add_u32_e32 v12, v12, v1
	v_cmp_eq_u32_e32 vcc, 0, v9
	v_or_b32_e32 v4, v4, v9
	v_and_b32_e32 v9, 1, v4
	v_cndmask_b32_e32 v8, v8, v5, vcc
	v_cndmask_b32_e32 v1, v1, v12, vcc
; %bb.152:
	s_or_b64 exec, exec, s[44:45]
	v_mov_b32_dpp v12, v8 row_bcast:31 row_mask:0xf bank_mask:0xf
	v_mov_b32_dpp v16, v1 row_bcast:31 row_mask:0xf bank_mask:0xf
	;; [unrolled: 1-line block ×3, first 2 shown]
	v_cmp_lt_u32_e32 vcc, 31, v13
	v_mov_b32_e32 v4, v9
	s_and_saveexec_b64 s[44:45], vcc
; %bb.153:
	v_add_u32_e32 v4, v12, v8
	v_add_u32_e32 v12, v16, v1
	v_cmp_eq_u32_e32 vcc, 0, v9
	v_or_b32_e32 v5, v5, v9
	v_and_b32_e32 v9, 1, v5
	v_cndmask_b32_e32 v8, v8, v4, vcc
	v_cndmask_b32_e32 v1, v1, v12, vcc
	v_and_b32_e32 v4, 1, v5
; %bb.154:
	s_or_b64 exec, exec, s[44:45]
	v_or_b32_e32 v5, 63, v0
	v_lshrrev_b32_e32 v12, 6, v0
	v_cmp_eq_u32_e32 vcc, v5, v0
	s_and_saveexec_b64 s[44:45], vcc
	s_cbranch_execz .LBB1975_156
; %bb.155:
	v_mul_u32_u24_e32 v5, 12, v12
	ds_write2_b32 v5, v8, v1 offset1:1
	ds_write_b8 v5, v4 offset:8
.LBB1975_156:
	s_or_b64 exec, exec, s[44:45]
	v_cmp_gt_u32_e32 vcc, 4, v0
	s_waitcnt lgkmcnt(0)
	s_barrier
	s_and_saveexec_b64 s[44:45], vcc
	s_cbranch_execz .LBB1975_162
; %bb.157:
	v_mul_u32_u24_e32 v16, 12, v0
	ds_read2_b32 v[4:5], v16 offset1:1
	ds_read_b32 v17, v16 offset:8
	v_and_b32_e32 v20, 3, v13
	v_cmp_ne_u32_e32 vcc, 0, v20
	s_waitcnt lgkmcnt(1)
	v_mov_b32_dpp v32, v4 row_shr:1 row_mask:0xf bank_mask:0xf
	v_mov_b32_dpp v24, v5 row_shr:1 row_mask:0xf bank_mask:0xf
	s_waitcnt lgkmcnt(0)
	v_mov_b32_dpp v28, v17 row_shr:1 row_mask:0xf bank_mask:0xf
	v_mov_b32_e32 v21, v17
	s_and_saveexec_b64 s[46:47], vcc
; %bb.158:
	v_mov_b32_e32 v21, 0
	v_cmp_eq_u16_sdwa vcc, v17, v21 src0_sel:BYTE_0 src1_sel:DWORD
	s_movk_i32 s3, 0xff00
	s_nop 0
	v_cndmask_b32_e32 v21, 0, v32, vcc
	v_add_u32_e32 v4, v21, v4
	v_cndmask_b32_e32 v21, 0, v24, vcc
	v_add_u32_e32 v5, v21, v5
	v_or_b32_e32 v21, v28, v17
	v_and_b32_e32 v21, 1, v21
	v_and_or_b32 v17, v17, s3, v21
; %bb.159:
	s_or_b64 exec, exec, s[46:47]
	v_mov_b32_dpp v28, v4 row_shr:2 row_mask:0xf bank_mask:0xf
	v_mov_b32_dpp v32, v5 row_shr:2 row_mask:0xf bank_mask:0xf
	;; [unrolled: 1-line block ×3, first 2 shown]
	v_cmp_lt_u32_e32 vcc, 1, v20
	s_and_saveexec_b64 s[46:47], vcc
; %bb.160:
	v_mov_b32_e32 v17, 0
	v_add_u32_e32 v20, v28, v4
	v_add_u32_e32 v28, v32, v5
	v_cmp_eq_u16_sdwa vcc, v21, v17 src0_sel:BYTE_0 src1_sel:DWORD
	v_or_b32_e32 v17, v24, v21
	v_and_b32_e32 v17, 1, v17
	v_cndmask_b32_e32 v4, v4, v20, vcc
	v_cndmask_b32_e32 v5, v5, v28, vcc
; %bb.161:
	s_or_b64 exec, exec, s[46:47]
	ds_write2_b32 v16, v4, v5 offset1:1
	ds_write_b8 v16, v17 offset:8
.LBB1975_162:
	s_or_b64 exec, exec, s[44:45]
	v_cmp_gt_u32_e32 vcc, 64, v0
	v_cmp_lt_u32_e64 s[44:45], 63, v0
	s_waitcnt lgkmcnt(0)
	s_barrier
	s_waitcnt lgkmcnt(0)
                                        ; implicit-def: $vgpr4_vgpr5
                                        ; implicit-def: $vgpr44
	s_and_saveexec_b64 s[46:47], s[44:45]
	s_xor_b64 s[46:47], exec, s[46:47]
	s_cbranch_execz .LBB1975_166
; %bb.163:
	v_mad_u32_u24 v12, v12, 12, -12
	ds_read2_b32 v[4:5], v12 offset1:1
	ds_read_u8 v44, v12 offset:8
	v_cmp_ne_u32_e64 s[44:45], 0, v9
                                        ; kill: def $vgpr12 killed $sgpr0 killed $exec
	s_and_saveexec_b64 s[48:49], s[44:45]
	s_xor_b64 s[44:45], exec, s[48:49]
	s_andn2_saveexec_b64 s[44:45], s[44:45]
	s_cbranch_execz .LBB1975_165
; %bb.164:
	s_waitcnt lgkmcnt(1)
	v_add_u32_e32 v8, v4, v8
	v_add_u32_e32 v1, v5, v1
.LBB1975_165:
	s_or_b64 exec, exec, s[44:45]
	v_and_b32_e32 v9, 1, v9
	s_waitcnt lgkmcnt(0)
	v_and_b32_e32 v12, 0xff, v44
	v_cmp_eq_u32_e64 s[44:45], 1, v9
	s_nop 1
	v_cndmask_b32_e64 v9, v12, 1, s[44:45]
.LBB1975_166:
	s_andn2_saveexec_b64 s[44:45], s[46:47]
; %bb.167:
	v_mov_b32_e32 v44, 0
	v_mov_b64_e32 v[4:5], 0
; %bb.168:
	s_or_b64 exec, exec, s[44:45]
	v_add_u32_e32 v12, -1, v13
	v_and_b32_e32 v16, 64, v13
	v_cmp_lt_i32_e64 s[44:45], v12, v16
	s_nop 1
	v_cndmask_b32_e64 v12, v12, v13, s[44:45]
	v_lshlrev_b32_e32 v12, 2, v12
	ds_bpermute_b32 v45, v12, v8
	ds_bpermute_b32 v53, v12, v1
	;; [unrolled: 1-line block ×3, first 2 shown]
	v_cmp_eq_u32_e64 s[44:45], 0, v13
	s_and_saveexec_b64 s[48:49], vcc
	s_cbranch_execz .LBB1975_213
; %bb.169:
	v_mov_b32_e32 v17, 0
	ds_read2_b32 v[8:9], v17 offset0:9 offset1:10
	ds_read_b32 v54, v17 offset:44
	s_waitcnt lgkmcnt(1)
	v_readfirstlane_b32 s3, v9
	s_and_saveexec_b64 s[46:47], s[44:45]
	s_cbranch_execz .LBB1975_171
; %bb.170:
	s_add_i32 s52, s2, 64
	s_mov_b32 s53, 0
	s_lshl_b64 s[54:55], s[52:53], 4
	s_add_u32 s54, s96, s54
	s_waitcnt lgkmcnt(0)
	v_and_b32_e32 v12, 0xff00, v54
	s_addc_u32 s55, s97, s55
	v_and_b32_e32 v9, 0xff0000, v54
	v_or_b32_sdwa v12, v12, v54 dst_sel:DWORD dst_unused:UNUSED_PAD src0_sel:DWORD src1_sel:BYTE_0
	s_and_b32 s57, s3, 0xff000000
	s_mov_b32 s56, s53
	s_and_b32 s59, s3, 0xff0000
	s_mov_b32 s58, s53
	v_and_b32_e32 v1, 0xff000000, v54
	v_or_b32_e32 v9, v12, v9
	s_and_b32 s61, s3, 0xff00
	s_mov_b32 s60, s53
	s_and_b32 s62, s3, 0xff
	s_or_b64 s[52:53], s[56:57], s[58:59]
	v_or_b32_e32 v50, v9, v1
	s_or_b64 s[52:53], s[52:53], s[60:61]
	v_mov_b32_e32 v1, s62
	v_or_b32_e32 v48, s52, v8
	v_or_b32_e32 v49, s53, v1
	v_mov_b32_e32 v51, 1
	v_mov_b64_e32 v[20:21], s[54:55]
	;;#ASMSTART
	global_store_dwordx4 v[20:21], v[48:51] off sc1	
s_waitcnt vmcnt(0)
	;;#ASMEND
.LBB1975_171:
	s_or_b64 exec, exec, s[46:47]
	v_xad_u32 v12, v13, -1, s2
	v_add_u32_e32 v16, 64, v12
	v_lshl_add_u64 v[20:21], v[16:17], 4, s[96:97]
	;;#ASMSTART
	global_load_dwordx4 v[48:51], v[20:21] off sc1	
s_waitcnt vmcnt(0)
	;;#ASMEND
	s_nop 0
	v_lshlrev_b64 v[56:57], 24, v[50:51]
	v_lshrrev_b32_e32 v1, 8, v49
	v_or_b32_e32 v24, v1, v56
	v_lshlrev_b64 v[56:57], 16, v[50:51]
	v_or_b32_sdwa v28, v49, v56 dst_sel:DWORD dst_unused:UNUSED_PAD src0_sel:WORD_1 src1_sel:DWORD
	v_lshlrev_b64 v[56:57], 8, v[50:51]
	v_alignbit_b32 v9, v49, v48, 8
	v_alignbit_b32 v55, v49, v48, 16
	;; [unrolled: 1-line block ×3, first 2 shown]
	v_mov_b32_e32 v16, v49
	v_or_b32_sdwa v32, v49, v56 dst_sel:DWORD dst_unused:UNUSED_PAD src0_sel:BYTE_3 src1_sel:DWORD
	v_cmp_eq_u16_sdwa s[52:53], v51, v17 src0_sel:BYTE_0 src1_sel:DWORD
	s_and_saveexec_b64 s[46:47], s[52:53]
	s_cbranch_execz .LBB1975_177
; %bb.172:
	s_mov_b32 s54, 1
	s_mov_b64 s[52:53], 0
	v_mov_b32_e32 v1, 0
.LBB1975_173:                           ; =>This Loop Header: Depth=1
                                        ;     Child Loop BB1975_174 Depth 2
	s_max_u32 s55, s54, 1
.LBB1975_174:                           ;   Parent Loop BB1975_173 Depth=1
                                        ; =>  This Inner Loop Header: Depth=2
	s_add_i32 s55, s55, -1
	s_cmp_eq_u32 s55, 0
	s_sleep 1
	s_cbranch_scc0 .LBB1975_174
; %bb.175:                              ;   in Loop: Header=BB1975_173 Depth=1
	s_cmp_lt_u32 s54, 32
	s_cselect_b64 s[56:57], -1, 0
	s_cmp_lg_u64 s[56:57], 0
	s_addc_u32 s54, s54, 0
	;;#ASMSTART
	global_load_dwordx4 v[48:51], v[20:21] off sc1	
s_waitcnt vmcnt(0)
	;;#ASMEND
	s_nop 0
	v_cmp_ne_u16_sdwa s[56:57], v51, v1 src0_sel:BYTE_0 src1_sel:DWORD
	s_or_b64 s[52:53], s[56:57], s[52:53]
	s_andn2_b64 exec, exec, s[52:53]
	s_cbranch_execnz .LBB1975_173
; %bb.176:
	s_or_b64 exec, exec, s[52:53]
	v_lshlrev_b64 v[20:21], 24, v[50:51]
	v_lshrrev_b32_e32 v1, 8, v49
	v_or_b32_e32 v24, v1, v20
	v_lshlrev_b64 v[20:21], 16, v[50:51]
	v_or_b32_sdwa v28, v49, v20 dst_sel:DWORD dst_unused:UNUSED_PAD src0_sel:WORD_1 src1_sel:DWORD
	v_lshlrev_b64 v[20:21], 8, v[50:51]
	v_alignbit_b32 v9, v49, v48, 8
	v_alignbit_b32 v55, v49, v48, 16
	;; [unrolled: 1-line block ×3, first 2 shown]
	v_mov_b32_e32 v16, v49
	v_or_b32_sdwa v32, v49, v20 dst_sel:DWORD dst_unused:UNUSED_PAD src0_sel:BYTE_3 src1_sel:DWORD
.LBB1975_177:
	s_or_b64 exec, exec, s[46:47]
	v_lshlrev_b32_e32 v17, 16, v28
	v_lshlrev_b32_e32 v1, 24, v32
	v_and_b32_e32 v17, 0xff0000, v17
	v_or_b32_e32 v1, v17, v1
	v_lshlrev_b32_e32 v17, 8, v24
	v_and_b32_e32 v17, 0xff00, v17
	v_and_b32_e32 v16, 0xff, v16
	v_or3_b32 v1, v1, v17, v16
	v_lshlrev_b32_e32 v16, 16, v55
	s_mov_b32 s46, 0x4020c0c
	v_lshlrev_b32_e32 v9, 8, v9
	v_perm_b32 v16, v36, v16, s46
	s_mov_b32 s46, 0xc0c0500
	v_perm_b32 v9, v9, v48, s46
	v_or_b32_e32 v20, v9, v16
	v_mov_b32_e32 v9, 2
	v_cmp_eq_u16_sdwa s[46:47], v51, v9 src0_sel:BYTE_0 src1_sel:DWORD
	v_lshlrev_b64 v[16:17], v13, -1
	v_and_b32_e32 v24, 0xff, v50
	v_and_b32_e32 v9, s47, v17
	v_or_b32_e32 v9, 0x80000000, v9
	v_ffbl_b32_e32 v48, v9
	v_and_b32_e32 v9, 63, v13
	v_cmp_ne_u32_e32 vcc, 63, v9
	v_and_b32_e32 v21, s46, v16
	v_add_u32_e32 v48, 32, v48
	v_addc_co_u32_e32 v28, vcc, 0, v13, vcc
	v_lshlrev_b32_e32 v55, 2, v28
	ds_bpermute_b32 v36, v55, v20
	ds_bpermute_b32 v32, v55, v1
	;; [unrolled: 1-line block ×3, first 2 shown]
	v_ffbl_b32_e32 v21, v21
	v_min_u32_e32 v21, v21, v48
	v_cmp_lt_u32_e32 vcc, v9, v21
	s_and_saveexec_b64 s[46:47], vcc
	s_cbranch_execz .LBB1975_179
; %bb.178:
	v_mov_b32_e32 v24, 0
	v_cmp_eq_u16_sdwa vcc, v50, v24 src0_sel:BYTE_0 src1_sel:DWORD
	s_waitcnt lgkmcnt(2)
	s_nop 0
	v_cndmask_b32_e32 v24, 0, v36, vcc
	v_add_u32_e32 v20, v24, v20
	s_waitcnt lgkmcnt(1)
	v_cndmask_b32_e32 v24, 0, v32, vcc
	v_add_u32_e32 v1, v24, v1
	s_waitcnt lgkmcnt(0)
	v_or_b32_e32 v24, v50, v28
	v_and_b32_e32 v50, 1, v24
	v_and_b32_e32 v24, 0xffff, v50
.LBB1975_179:
	s_or_b64 exec, exec, s[46:47]
	v_cmp_gt_u32_e32 vcc, 62, v9
	v_add_u32_e32 v57, 2, v9
	s_waitcnt lgkmcnt(0)
	v_cndmask_b32_e64 v28, 0, 1, vcc
	v_lshlrev_b32_e32 v28, 1, v28
	v_add_lshl_u32 v56, v28, v13, 2
	ds_bpermute_b32 v32, v56, v20
	ds_bpermute_b32 v36, v56, v1
	ds_bpermute_b32 v28, v56, v24
	v_cmp_le_u32_e32 vcc, v57, v21
	s_and_saveexec_b64 s[46:47], vcc
	s_cbranch_execz .LBB1975_181
; %bb.180:
	v_mov_b32_e32 v24, 0
	v_cmp_eq_u16_sdwa vcc, v50, v24 src0_sel:BYTE_0 src1_sel:DWORD
	s_waitcnt lgkmcnt(0)
	v_or_b32_e32 v24, v28, v50
	v_add_u32_e32 v32, v32, v20
	v_add_u32_e32 v36, v36, v1
	v_and_b32_e32 v24, 1, v24
	v_cndmask_b32_e32 v20, v20, v32, vcc
	v_cndmask_b32_e32 v1, v1, v36, vcc
	v_mov_b32_e32 v50, v24
.LBB1975_181:
	s_or_b64 exec, exec, s[46:47]
	v_cmp_gt_u32_e32 vcc, 60, v9
	v_add_u32_e32 v59, 4, v9
	s_waitcnt lgkmcnt(0)
	v_cndmask_b32_e64 v28, 0, 1, vcc
	v_lshlrev_b32_e32 v28, 2, v28
	v_add_lshl_u32 v58, v28, v13, 2
	ds_bpermute_b32 v32, v58, v20
	ds_bpermute_b32 v36, v58, v1
	ds_bpermute_b32 v28, v58, v24
	v_cmp_le_u32_e32 vcc, v59, v21
	s_and_saveexec_b64 s[46:47], vcc
	s_cbranch_execz .LBB1975_183
; %bb.182:
	v_mov_b32_e32 v24, 0
	v_cmp_eq_u16_sdwa vcc, v50, v24 src0_sel:BYTE_0 src1_sel:DWORD
	s_waitcnt lgkmcnt(0)
	v_or_b32_e32 v24, v28, v50
	v_add_u32_e32 v32, v32, v20
	v_add_u32_e32 v36, v36, v1
	v_and_b32_e32 v24, 1, v24
	v_cndmask_b32_e32 v20, v20, v32, vcc
	v_cndmask_b32_e32 v1, v1, v36, vcc
	v_mov_b32_e32 v50, v24
.LBB1975_183:
	;; [unrolled: 25-line block ×4, first 2 shown]
	s_or_b64 exec, exec, s[46:47]
	v_cmp_gt_u32_e32 vcc, 32, v9
	v_add_u32_e32 v68, 32, v9
	s_waitcnt lgkmcnt(0)
	v_cndmask_b32_e64 v28, 0, 1, vcc
	v_lshlrev_b32_e32 v28, 5, v28
	v_add_lshl_u32 v66, v28, v13, 2
	ds_bpermute_b32 v28, v66, v20
	ds_bpermute_b32 v32, v66, v1
	;; [unrolled: 1-line block ×3, first 2 shown]
	v_cmp_le_u32_e32 vcc, v68, v21
	s_and_saveexec_b64 s[46:47], vcc
	s_cbranch_execz .LBB1975_189
; %bb.188:
	v_mov_b32_e32 v21, 0
	s_waitcnt lgkmcnt(2)
	v_add_u32_e32 v24, v28, v20
	s_waitcnt lgkmcnt(1)
	v_add_u32_e32 v28, v32, v1
	v_cmp_eq_u16_sdwa vcc, v50, v21 src0_sel:BYTE_0 src1_sel:DWORD
	s_waitcnt lgkmcnt(0)
	v_or_b32_e32 v13, v13, v50
	v_cndmask_b32_e32 v20, v20, v24, vcc
	v_cndmask_b32_e32 v1, v1, v28, vcc
	v_and_b32_e32 v24, 1, v13
.LBB1975_189:
	s_or_b64 exec, exec, s[46:47]
	s_movk_i32 s54, 0xff
	s_waitcnt lgkmcnt(0)
	v_mov_b32_e32 v13, 0
	s_mov_b32 s55, 0x4020c0c
	s_mov_b32 s56, 0xc0c0500
	v_mov_b32_e32 v69, 2
	s_branch .LBB1975_191
.LBB1975_190:                           ;   in Loop: Header=BB1975_191 Depth=1
	s_or_b64 exec, exec, s[46:47]
	s_waitcnt lgkmcnt(0)
	ds_bpermute_b32 v28, v66, v20
	ds_bpermute_b32 v32, v66, v1
	;; [unrolled: 1-line block ×3, first 2 shown]
	v_cmp_eq_u16_sdwa vcc, v50, v13 src0_sel:BYTE_0 src1_sel:DWORD
	v_subrev_u32_e32 v12, 64, v12
	s_waitcnt lgkmcnt(2)
	v_add_u32_e32 v28, v28, v20
	s_waitcnt lgkmcnt(1)
	v_add_u32_e32 v32, v32, v1
	v_cndmask_b32_e32 v28, v20, v28, vcc
	v_cndmask_b32_e32 v32, v1, v32, vcc
	s_waitcnt lgkmcnt(0)
	v_and_or_b32 v36, v50, s54, v36
	v_cmp_gt_u32_e32 vcc, v68, v21
	s_nop 1
	v_cndmask_b32_e32 v21, v36, v24, vcc
	v_cndmask_b32_e32 v20, v28, v20, vcc
	;; [unrolled: 1-line block ×3, first 2 shown]
	v_cmp_eq_u16_sdwa vcc, v64, v13 src0_sel:BYTE_0 src1_sel:DWORD
	v_and_b32_e32 v24, 1, v64
	v_and_b32_e32 v21, 1, v21
	v_cndmask_b32_e32 v20, 0, v20, vcc
	v_cndmask_b32_e32 v1, 0, v1, vcc
	v_cmp_eq_u32_e32 vcc, 1, v24
	v_cmp_eq_u32_e64 s[46:47], 1, v21
	s_or_b64 s[46:47], vcc, s[46:47]
	v_add_u32_e32 v20, v20, v67
	v_add_u32_e32 v1, v1, v65
	v_cndmask_b32_e64 v24, 0, 1, s[46:47]
.LBB1975_191:                           ; =>This Loop Header: Depth=1
                                        ;     Child Loop BB1975_194 Depth 2
                                        ;       Child Loop BB1975_195 Depth 3
	v_cmp_ne_u16_sdwa s[46:47], v51, v69 src0_sel:BYTE_0 src1_sel:DWORD
	v_mov_b32_e32 v65, v1
	v_mov_b32_e32 v64, v24
	v_cndmask_b32_e64 v1, 0, 1, s[46:47]
	;;#ASMSTART
	;;#ASMEND
	v_mov_b32_e32 v67, v20
	v_cmp_ne_u32_e32 vcc, 0, v1
	s_cmp_lg_u64 vcc, exec
	s_cbranch_scc1 .LBB1975_208
; %bb.192:                              ;   in Loop: Header=BB1975_191 Depth=1
	v_lshl_add_u64 v[20:21], v[12:13], 4, s[96:97]
	;;#ASMSTART
	global_load_dwordx4 v[48:51], v[20:21] off sc1	
s_waitcnt vmcnt(0)
	;;#ASMEND
	s_nop 0
	v_lshlrev_b64 v[74:75], 24, v[50:51]
	v_lshrrev_b32_e32 v1, 8, v49
	v_or_b32_e32 v28, v1, v74
	v_lshlrev_b64 v[74:75], 16, v[50:51]
	v_or_b32_sdwa v32, v49, v74 dst_sel:DWORD dst_unused:UNUSED_PAD src0_sel:WORD_1 src1_sel:DWORD
	v_lshlrev_b64 v[74:75], 8, v[50:51]
	v_alignbit_b32 v70, v49, v48, 8
	v_alignbit_b32 v71, v49, v48, 16
	;; [unrolled: 1-line block ×3, first 2 shown]
	v_mov_b32_e32 v24, v49
	v_or_b32_sdwa v36, v49, v74 dst_sel:DWORD dst_unused:UNUSED_PAD src0_sel:BYTE_3 src1_sel:DWORD
	v_cmp_eq_u16_sdwa s[52:53], v51, v13 src0_sel:BYTE_0 src1_sel:DWORD
	s_and_saveexec_b64 s[46:47], s[52:53]
	s_cbranch_execz .LBB1975_198
; %bb.193:                              ;   in Loop: Header=BB1975_191 Depth=1
	s_mov_b32 s57, 1
	s_mov_b64 s[52:53], 0
.LBB1975_194:                           ;   Parent Loop BB1975_191 Depth=1
                                        ; =>  This Loop Header: Depth=2
                                        ;       Child Loop BB1975_195 Depth 3
	s_max_u32 s58, s57, 1
.LBB1975_195:                           ;   Parent Loop BB1975_191 Depth=1
                                        ;     Parent Loop BB1975_194 Depth=2
                                        ; =>    This Inner Loop Header: Depth=3
	s_add_i32 s58, s58, -1
	s_cmp_eq_u32 s58, 0
	s_sleep 1
	s_cbranch_scc0 .LBB1975_195
; %bb.196:                              ;   in Loop: Header=BB1975_194 Depth=2
	s_cmp_lt_u32 s57, 32
	s_cselect_b64 s[58:59], -1, 0
	s_cmp_lg_u64 s[58:59], 0
	s_addc_u32 s57, s57, 0
	;;#ASMSTART
	global_load_dwordx4 v[48:51], v[20:21] off sc1	
s_waitcnt vmcnt(0)
	;;#ASMEND
	s_nop 0
	v_cmp_ne_u16_sdwa s[58:59], v51, v13 src0_sel:BYTE_0 src1_sel:DWORD
	s_or_b64 s[52:53], s[58:59], s[52:53]
	s_andn2_b64 exec, exec, s[52:53]
	s_cbranch_execnz .LBB1975_194
; %bb.197:                              ;   in Loop: Header=BB1975_191 Depth=1
	s_or_b64 exec, exec, s[52:53]
	v_lshlrev_b64 v[20:21], 24, v[50:51]
	v_lshrrev_b32_e32 v1, 8, v49
	v_or_b32_e32 v28, v1, v20
	v_lshlrev_b64 v[20:21], 16, v[50:51]
	v_or_b32_sdwa v32, v49, v20 dst_sel:DWORD dst_unused:UNUSED_PAD src0_sel:WORD_1 src1_sel:DWORD
	v_lshlrev_b64 v[20:21], 8, v[50:51]
	v_alignbit_b32 v70, v49, v48, 8
	v_alignbit_b32 v71, v49, v48, 16
	;; [unrolled: 1-line block ×3, first 2 shown]
	v_mov_b32_e32 v24, v49
	v_or_b32_sdwa v36, v49, v20 dst_sel:DWORD dst_unused:UNUSED_PAD src0_sel:BYTE_3 src1_sel:DWORD
.LBB1975_198:                           ;   in Loop: Header=BB1975_191 Depth=1
	s_or_b64 exec, exec, s[46:47]
	v_lshlrev_b32_e32 v20, 16, v32
	v_lshlrev_b32_e32 v1, 24, v36
	v_and_b32_e32 v20, 0xff0000, v20
	v_or_b32_e32 v1, v20, v1
	v_lshlrev_b32_e32 v20, 8, v28
	v_and_b32_e32 v20, 0xff00, v20
	v_and_b32_e32 v21, 0xff, v24
	v_or3_b32 v1, v1, v20, v21
	v_lshlrev_b32_e32 v20, 16, v71
	v_lshlrev_b32_e32 v21, 8, v70
	v_perm_b32 v20, v72, v20, s55
	v_perm_b32 v21, v21, v48, s56
	v_cmp_eq_u16_sdwa s[46:47], v51, v69 src0_sel:BYTE_0 src1_sel:DWORD
	v_or_b32_e32 v20, v21, v20
	v_and_b32_e32 v24, 0xff, v50
	v_and_b32_e32 v21, s47, v17
	v_or_b32_e32 v21, 0x80000000, v21
	ds_bpermute_b32 v36, v55, v20
	ds_bpermute_b32 v32, v55, v1
	;; [unrolled: 1-line block ×3, first 2 shown]
	v_and_b32_e32 v48, s46, v16
	v_ffbl_b32_e32 v21, v21
	v_add_u32_e32 v21, 32, v21
	v_ffbl_b32_e32 v48, v48
	v_min_u32_e32 v21, v48, v21
	v_cmp_lt_u32_e32 vcc, v9, v21
	s_and_saveexec_b64 s[46:47], vcc
	s_cbranch_execz .LBB1975_200
; %bb.199:                              ;   in Loop: Header=BB1975_191 Depth=1
	v_cmp_eq_u16_sdwa vcc, v50, v13 src0_sel:BYTE_0 src1_sel:DWORD
	s_waitcnt lgkmcnt(2)
	s_nop 0
	v_cndmask_b32_e32 v24, 0, v36, vcc
	v_add_u32_e32 v20, v24, v20
	s_waitcnt lgkmcnt(1)
	v_cndmask_b32_e32 v24, 0, v32, vcc
	v_add_u32_e32 v1, v24, v1
	s_waitcnt lgkmcnt(0)
	v_or_b32_e32 v24, v28, v50
	v_and_b32_e32 v24, 1, v24
	v_mov_b32_e32 v50, v24
.LBB1975_200:                           ;   in Loop: Header=BB1975_191 Depth=1
	s_or_b64 exec, exec, s[46:47]
	s_waitcnt lgkmcnt(1)
	ds_bpermute_b32 v32, v56, v20
	ds_bpermute_b32 v36, v56, v1
	s_waitcnt lgkmcnt(2)
	ds_bpermute_b32 v28, v56, v24
	v_cmp_le_u32_e32 vcc, v57, v21
	s_and_saveexec_b64 s[46:47], vcc
	s_cbranch_execz .LBB1975_202
; %bb.201:                              ;   in Loop: Header=BB1975_191 Depth=1
	s_waitcnt lgkmcnt(2)
	v_add_u32_e32 v24, v32, v20
	v_cmp_eq_u16_sdwa vcc, v50, v13 src0_sel:BYTE_0 src1_sel:DWORD
	s_waitcnt lgkmcnt(1)
	v_add_u32_e32 v32, v36, v1
	v_cndmask_b32_e32 v20, v20, v24, vcc
	s_waitcnt lgkmcnt(0)
	v_or_b32_e32 v24, v28, v50
	v_and_b32_e32 v24, 1, v24
	v_cndmask_b32_e32 v1, v1, v32, vcc
	v_mov_b32_e32 v50, v24
.LBB1975_202:                           ;   in Loop: Header=BB1975_191 Depth=1
	s_or_b64 exec, exec, s[46:47]
	s_waitcnt lgkmcnt(2)
	ds_bpermute_b32 v32, v58, v20
	s_waitcnt lgkmcnt(2)
	ds_bpermute_b32 v36, v58, v1
	s_waitcnt lgkmcnt(2)
	ds_bpermute_b32 v28, v58, v24
	v_cmp_le_u32_e32 vcc, v59, v21
	s_and_saveexec_b64 s[46:47], vcc
	s_cbranch_execz .LBB1975_204
; %bb.203:                              ;   in Loop: Header=BB1975_191 Depth=1
	s_waitcnt lgkmcnt(2)
	v_add_u32_e32 v24, v32, v20
	v_cmp_eq_u16_sdwa vcc, v50, v13 src0_sel:BYTE_0 src1_sel:DWORD
	s_waitcnt lgkmcnt(1)
	v_add_u32_e32 v32, v36, v1
	v_cndmask_b32_e32 v20, v20, v24, vcc
	s_waitcnt lgkmcnt(0)
	v_or_b32_e32 v24, v28, v50
	v_and_b32_e32 v24, 1, v24
	v_cndmask_b32_e32 v1, v1, v32, vcc
	v_mov_b32_e32 v50, v24
.LBB1975_204:                           ;   in Loop: Header=BB1975_191 Depth=1
	s_or_b64 exec, exec, s[46:47]
	s_waitcnt lgkmcnt(2)
	ds_bpermute_b32 v32, v60, v20
	s_waitcnt lgkmcnt(2)
	;; [unrolled: 23-line block ×3, first 2 shown]
	ds_bpermute_b32 v36, v62, v1
	s_waitcnt lgkmcnt(2)
	ds_bpermute_b32 v28, v62, v24
	v_cmp_le_u32_e32 vcc, v63, v21
	s_and_saveexec_b64 s[46:47], vcc
	s_cbranch_execz .LBB1975_190
; %bb.207:                              ;   in Loop: Header=BB1975_191 Depth=1
	s_waitcnt lgkmcnt(2)
	v_add_u32_e32 v24, v32, v20
	v_cmp_eq_u16_sdwa vcc, v50, v13 src0_sel:BYTE_0 src1_sel:DWORD
	s_waitcnt lgkmcnt(1)
	v_add_u32_e32 v32, v36, v1
	v_cndmask_b32_e32 v20, v20, v24, vcc
	s_waitcnt lgkmcnt(0)
	v_or_b32_e32 v24, v28, v50
	v_and_b32_e32 v24, 1, v24
	v_cndmask_b32_e32 v1, v1, v32, vcc
	v_mov_b32_e32 v50, v24
	s_branch .LBB1975_190
.LBB1975_208:                           ;   in Loop: Header=BB1975_191 Depth=1
                                        ; implicit-def: $vgpr24
                                        ; implicit-def: $vgpr1
                                        ; implicit-def: $vgpr51
                                        ; implicit-def: $vgpr20_vgpr21
	s_cbranch_execz .LBB1975_191
; %bb.209:
	s_and_saveexec_b64 s[46:47], s[44:45]
	s_cbranch_execz .LBB1975_211
; %bb.210:
	v_mov_b32_e32 v1, 0
	v_cmp_eq_u16_sdwa vcc, v54, v1 src0_sel:BYTE_0 src1_sel:DWORD
	s_mov_b32 s53, 0
	v_or_b32_e32 v9, v54, v64
	v_cndmask_b32_e32 v1, 0, v67, vcc
	v_add_u32_e32 v1, v1, v8
	v_cndmask_b32_e32 v8, 0, v65, vcc
	s_add_i32 s52, s2, 64
	v_add_u32_e32 v8, s3, v8
	v_and_b32_e32 v9, 1, v9
	s_lshl_b64 s[2:3], s[52:53], 4
	s_add_u32 s2, s96, s2
	v_cmp_eq_u32_e32 vcc, 1, v9
	v_and_b32_e32 v9, 0xff000000, v8
	v_and_b32_e32 v12, 0xff0000, v8
	s_addc_u32 s3, s97, s3
	v_and_b32_e32 v13, 0xff00, v8
	v_and_b32_e32 v8, 0xff, v8
	v_or_b32_e32 v9, v9, v12
	v_cndmask_b32_e64 v50, 0, 1, vcc
	v_or3_b32 v49, v9, v13, v8
	v_or3_b32 v48, 0, 0, v1
	v_mov_b32_e32 v51, 2
	v_mov_b64_e32 v[8:9], s[2:3]
	;;#ASMSTART
	global_store_dwordx4 v[8:9], v[48:51] off sc1	
s_waitcnt vmcnt(0)
	;;#ASMEND
.LBB1975_211:
	s_or_b64 exec, exec, s[46:47]
	v_cmp_eq_u32_e32 vcc, 0, v0
	s_and_b64 exec, exec, vcc
	s_cbranch_execz .LBB1975_213
; %bb.212:
	v_mov_b32_e32 v1, 0
	ds_write2_b32 v1, v67, v65 offset0:9 offset1:10
	ds_write_b8 v1, v64 offset:44
.LBB1975_213:
	s_or_b64 exec, exec, s[48:49]
	v_mov_b32_e32 v1, 0
	s_waitcnt lgkmcnt(0)
	s_barrier
	ds_read2_b32 v[8:9], v1 offset0:9 offset1:10
	v_cmp_ne_u32_e32 vcc, 0, v0
	v_mov_b32_e32 v12, v3
	v_mov_b32_e32 v13, v2
	;; [unrolled: 1-line block ×3, first 2 shown]
	s_and_saveexec_b64 s[46:47], vcc
	s_cbranch_execz .LBB1975_215
; %bb.214:
	v_cndmask_b32_e64 v4, v45, v4, s[44:45]
	v_cmp_eq_u16_sdwa vcc, v104, v1 src0_sel:BYTE_0 src1_sel:DWORD
	v_cndmask_b32_e64 v5, v53, v5, s[44:45]
	v_and_b32_e32 v12, 0xff, v44
	v_cndmask_b32_e32 v4, 0, v4, vcc
	v_add_u32_e32 v13, v4, v2
	v_cndmask_b32_e32 v4, 0, v5, vcc
	v_cndmask_b32_e64 v16, v52, v12, s[44:45]
	v_add_u32_e32 v12, v4, v3
	v_and_b32_e32 v4, 1, v104
	v_cmp_eq_u32_e32 vcc, 1, v4
	v_and_b32_e32 v4, 1, v16
	v_cmp_eq_u32_e64 s[2:3], 1, v4
	s_or_b64 s[2:3], vcc, s[2:3]
	s_nop 0
	v_cndmask_b32_e64 v16, 0, 1, s[2:3]
.LBB1975_215:
	s_or_b64 exec, exec, s[46:47]
	v_cmp_eq_u16_sdwa vcc, v16, v1 src0_sel:BYTE_0 src1_sel:DWORD
	s_waitcnt lgkmcnt(0)
	s_nop 0
	v_cndmask_b32_e32 v1, 0, v8, vcc
	v_add_u32_e32 v82, v1, v13
	v_cndmask_b32_e32 v1, 0, v9, vcc
	v_add_u32_e32 v83, v1, v12
	v_cndmask_b32_e64 v1, 0, v82, s[50:51]
	v_add_u32_e32 v44, v1, v6
	v_cndmask_b32_e64 v1, 0, v83, s[50:51]
	;; [unrolled: 2-line block ×39, first 2 shown]
	v_cndmask_b32_e64 v12, 0, v103, s[42:43]
	s_branch .LBB1975_252
.LBB1975_216:
                                        ; implicit-def: $vgpr80_vgpr81_vgpr82_vgpr83
                                        ; kill: def $vgpr1 killed $sgpr0 killed $exec
                                        ; implicit-def: $vgpr12
                                        ; implicit-def: $vgpr5
                                        ; implicit-def: $vgpr103
                                        ; implicit-def: $vgpr101
                                        ; implicit-def: $vgpr99
                                        ; implicit-def: $vgpr97
                                        ; implicit-def: $vgpr95
                                        ; implicit-def: $vgpr93
                                        ; implicit-def: $vgpr91
                                        ; implicit-def: $vgpr89
                                        ; implicit-def: $vgpr87
                                        ; implicit-def: $vgpr45
                                        ; implicit-def: $vgpr76_vgpr77_vgpr78_vgpr79
                                        ; implicit-def: $vgpr72_vgpr73_vgpr74_vgpr75
                                        ; implicit-def: $vgpr68_vgpr69_vgpr70_vgpr71
                                        ; implicit-def: $vgpr64_vgpr65_vgpr66_vgpr67
                                        ; implicit-def: $vgpr60_vgpr61_vgpr62_vgpr63
                                        ; implicit-def: $vgpr56_vgpr57_vgpr58_vgpr59
                                        ; implicit-def: $vgpr52_vgpr53_vgpr54_vgpr55
                                        ; implicit-def: $vgpr48_vgpr49_vgpr50_vgpr51
                                        ; implicit-def: $vgpr82_vgpr83_vgpr84_vgpr85
	s_cbranch_execz .LBB1975_252
; %bb.217:
	v_readlane_b32 s2, v134, 0
	v_readlane_b32 s3, v134, 1
	s_cmp_lg_u64 s[2:3], 0
	s_cselect_b32 s5, s91, 0
	s_cselect_b32 s4, s90, 0
	s_cmp_lg_u64 s[4:5], 0
	s_cselect_b64 s[6:7], -1, 0
	v_cmp_eq_u32_e32 vcc, 0, v0
	v_cmp_ne_u32_e64 s[2:3], 0, v0
	s_and_b64 s[8:9], vcc, s[6:7]
	s_and_saveexec_b64 s[6:7], s[8:9]
	s_cbranch_execz .LBB1975_221
; %bb.218:
	v_mov_b32_e32 v1, 0
	v_cmp_eq_u16_sdwa s[10:11], v104, v1 src0_sel:BYTE_0 src1_sel:DWORD
	s_and_saveexec_b64 s[8:9], s[10:11]
	s_cbranch_execz .LBB1975_220
; %bb.219:
	global_load_dwordx2 v[4:5], v1, s[4:5]
	s_waitcnt vmcnt(0)
	v_add_u32_e32 v2, v4, v2
	v_add_u32_e32 v3, v5, v3
.LBB1975_220:
	s_or_b64 exec, exec, s[8:9]
	global_load_ubyte v1, v1, s[4:5] offset:8
	s_waitcnt vmcnt(0)
	v_or_b32_e32 v1, v104, v1
	v_and_b32_e32 v104, 1, v1
.LBB1975_221:
	s_or_b64 exec, exec, s[6:7]
	v_mov_b32_e32 v1, 0
	v_cmp_eq_u16_sdwa s[4:5], v123, v1 src0_sel:BYTE_0 src1_sel:DWORD
	v_cmp_eq_u16_sdwa s[6:7], v133, v1 src0_sel:BYTE_0 src1_sel:DWORD
	s_movk_i32 s40, 0xff
	v_cndmask_b32_e64 v4, 0, v2, s[4:5]
	v_add_u32_e32 v44, v4, v6
	v_cndmask_b32_e64 v4, 0, v3, s[4:5]
	v_add_u32_e32 v45, v4, v7
	;; [unrolled: 2-line block ×4, first 2 shown]
	v_and_b32_sdwa v4, v123, s40 dst_sel:DWORD dst_unused:UNUSED_PAD src0_sel:WORD_1 src1_sel:DWORD
	v_cmp_eq_u16_e64 s[8:9], 0, v4
	v_cmp_eq_u16_sdwa s[10:11], v123, v1 src0_sel:BYTE_3 src1_sel:DWORD
	v_cmp_eq_u16_sdwa s[12:13], v106, v1 src0_sel:BYTE_0 src1_sel:DWORD
	v_cndmask_b32_e64 v4, 0, v48, s[8:9]
	v_add_u32_e32 v86, v4, v10
	v_cndmask_b32_e64 v4, 0, v49, s[8:9]
	v_add_u32_e32 v87, v4, v11
	;; [unrolled: 2-line block ×5, first 2 shown]
	v_cndmask_b32_e64 v4, 0, v53, s[12:13]
	v_cmp_eq_u16_sdwa s[14:15], v116, v1 src0_sel:BYTE_0 src1_sel:DWORD
	v_add_u32_e32 v89, v4, v15
	v_cmp_eq_u16_sdwa s[16:17], v132, v1 src0_sel:BYTE_0 src1_sel:DWORD
	v_cndmask_b32_e64 v4, 0, v88, s[14:15]
	v_add_u32_e32 v56, v4, v122
	v_cndmask_b32_e64 v4, 0, v89, s[14:15]
	v_add_u32_e32 v57, v4, v121
	;; [unrolled: 2-line block ×4, first 2 shown]
	v_and_b32_sdwa v4, v116, s40 dst_sel:DWORD dst_unused:UNUSED_PAD src0_sel:WORD_1 src1_sel:DWORD
	v_cmp_eq_u16_e64 s[18:19], 0, v4
	v_cmp_eq_u16_sdwa s[20:21], v116, v1 src0_sel:BYTE_3 src1_sel:DWORD
	v_cmp_eq_u16_sdwa s[22:23], v107, v1 src0_sel:BYTE_0 src1_sel:DWORD
	v_cndmask_b32_e64 v4, 0, v90, s[18:19]
	v_add_u32_e32 v60, v4, v120
	v_cndmask_b32_e64 v4, 0, v91, s[18:19]
	v_add_u32_e32 v61, v4, v119
	;; [unrolled: 2-line block ×5, first 2 shown]
	v_cndmask_b32_e64 v4, 0, v93, s[22:23]
	v_cmp_eq_u16_sdwa s[24:25], v111, v1 src0_sel:BYTE_0 src1_sel:DWORD
	v_add_u32_e32 v65, v4, v117
	v_cmp_eq_u16_sdwa s[26:27], v131, v1 src0_sel:BYTE_0 src1_sel:DWORD
	v_cndmask_b32_e64 v4, 0, v64, s[24:25]
	v_add_u32_e32 v94, v4, v30
	v_cndmask_b32_e64 v4, 0, v65, s[24:25]
	v_add_u32_e32 v95, v4, v31
	v_cndmask_b32_e64 v4, 0, v94, s[26:27]
	v_add_u32_e32 v68, v4, v115
	v_cndmask_b32_e64 v4, 0, v95, s[26:27]
	v_add_u32_e32 v69, v4, v114
	v_and_b32_sdwa v4, v111, s40 dst_sel:DWORD dst_unused:UNUSED_PAD src0_sel:WORD_1 src1_sel:DWORD
	v_cmp_eq_u16_e64 s[28:29], 0, v4
	v_cmp_eq_u16_sdwa s[30:31], v111, v1 src0_sel:BYTE_3 src1_sel:DWORD
	v_cmp_eq_u16_sdwa s[34:35], v105, v1 src0_sel:BYTE_0 src1_sel:DWORD
	v_cndmask_b32_e64 v4, 0, v68, s[28:29]
	v_add_u32_e32 v96, v4, v38
	v_cndmask_b32_e64 v4, 0, v69, s[28:29]
	v_add_u32_e32 v97, v4, v39
	;; [unrolled: 2-line block ×4, first 2 shown]
	v_cndmask_b32_e64 v4, 0, v72, s[34:35]
	v_or_b32_e32 v9, v108, v111
	v_add_u32_e32 v98, v4, v42
	v_cndmask_b32_e64 v4, 0, v73, s[34:35]
	v_cmp_eq_u16_sdwa s[36:37], v108, v1 src0_sel:BYTE_0 src1_sel:DWORD
	v_or3_b32 v9, v9, v116, v123
	v_add_u32_e32 v99, v4, v43
	v_cndmask_b32_e64 v4, 0, v98, s[36:37]
	v_lshrrev_b16_e32 v16, 7, v9
	v_add_u32_e32 v76, v4, v110
	v_cndmask_b32_e64 v4, 0, v99, s[36:37]
	v_cmp_eq_u16_sdwa s[38:39], v130, v1 src0_sel:BYTE_0 src1_sel:DWORD
	v_and_b32_e32 v13, 1, v9
	v_and_b32_e32 v16, 2, v16
	v_add_u32_e32 v77, v4, v109
	v_cndmask_b32_e64 v4, 0, v76, s[38:39]
	v_or_b32_e32 v13, v13, v16
	v_lshrrev_b32_e32 v16, 23, v9
	v_mov_b32_e32 v17, 1
	v_add_u32_e32 v100, v4, v46
	v_cndmask_b32_e64 v4, 0, v77, s[38:39]
	v_and_b32_e32 v16, 2, v16
	v_and_b32_sdwa v9, v9, v17 dst_sel:DWORD dst_unused:UNUSED_PAD src0_sel:WORD_1 src1_sel:DWORD
	v_add_u32_e32 v101, v4, v47
	v_and_b32_sdwa v4, v108, s40 dst_sel:DWORD dst_unused:UNUSED_PAD src0_sel:WORD_1 src1_sel:DWORD
	v_or_b32_e32 v9, v9, v16
	v_cmp_eq_u16_e64 s[40:41], 0, v4
	v_lshlrev_b16_e32 v9, 2, v9
	v_or_b32_e32 v9, v13, v9
	v_cndmask_b32_e64 v4, 0, v100, s[40:41]
	v_add_u32_e32 v80, v4, v34
	v_cndmask_b32_e64 v4, 0, v101, s[40:41]
	v_cmp_eq_u16_sdwa s[42:43], v108, v1 src0_sel:BYTE_3 src1_sel:DWORD
	v_cmp_eq_u32_e64 s[52:53], 1, v129
	v_cmp_ne_u16_e64 s[54:55], 0, v9
	v_add_u32_e32 v81, v4, v35
	v_cndmask_b32_e64 v4, 0, v80, s[42:43]
	v_cmp_eq_u32_e64 s[50:51], 1, v128
	s_or_b64 s[52:53], s[54:55], s[52:53]
	v_add_u32_e32 v102, v4, v26
	v_cndmask_b32_e64 v4, 0, v81, s[42:43]
	v_cmp_eq_u32_e64 s[48:49], 1, v41
	s_or_b64 s[50:51], s[52:53], s[50:51]
	v_add_u32_e32 v103, v4, v27
	v_cmp_eq_u16_sdwa s[44:45], v40, v1 src0_sel:BYTE_0 src1_sel:DWORD
	v_cmp_eq_u32_e64 s[46:47], 1, v37
	s_or_b64 s[48:49], s[50:51], s[48:49]
	v_cndmask_b32_e64 v5, 0, v102, s[44:45]
	v_cndmask_b32_e64 v12, 0, v103, s[44:45]
	v_and_b32_e32 v8, 0xff, v104
	s_or_b64 s[46:47], s[48:49], s[46:47]
	v_mbcnt_hi_u32_b32 v13, -1, v29
	v_add_u32_e32 v4, v5, v25
	v_add_u32_e32 v1, v12, v33
	v_cndmask_b32_e64 v16, v8, 1, s[46:47]
	v_and_b32_e32 v8, 15, v13
	v_mov_b32_dpp v9, v4 row_shr:1 row_mask:0xf bank_mask:0xf
	v_mov_b32_dpp v17, v1 row_shr:1 row_mask:0xf bank_mask:0xf
	;; [unrolled: 1-line block ×3, first 2 shown]
	v_cmp_ne_u32_e64 s[46:47], 0, v8
	s_and_saveexec_b64 s[48:49], s[46:47]
; %bb.222:
	v_cmp_eq_u32_e64 s[46:47], 0, v16
	v_and_or_b32 v16, v20, 1, v16
	s_nop 0
	v_cndmask_b32_e64 v9, 0, v9, s[46:47]
	v_add_u32_e32 v4, v4, v9
	v_cndmask_b32_e64 v9, 0, v17, s[46:47]
	v_add_u32_e32 v1, v1, v9
; %bb.223:
	s_or_b64 exec, exec, s[48:49]
	v_mov_b32_dpp v17, v4 row_shr:2 row_mask:0xf bank_mask:0xf
	v_mov_b32_dpp v20, v1 row_shr:2 row_mask:0xf bank_mask:0xf
	v_mov_b32_dpp v9, v16 row_shr:2 row_mask:0xf bank_mask:0xf
	v_cmp_lt_u32_e64 s[46:47], 1, v8
	s_and_saveexec_b64 s[48:49], s[46:47]
; %bb.224:
	v_add_u32_e32 v17, v17, v4
	v_add_u32_e32 v20, v20, v1
	v_cmp_eq_u32_e64 s[46:47], 0, v16
	v_or_b32_e32 v9, v9, v16
	v_and_b32_e32 v16, 1, v9
	v_cndmask_b32_e64 v4, v4, v17, s[46:47]
	v_cndmask_b32_e64 v1, v1, v20, s[46:47]
; %bb.225:
	s_or_b64 exec, exec, s[48:49]
	v_mov_b32_dpp v17, v4 row_shr:4 row_mask:0xf bank_mask:0xf
	v_mov_b32_dpp v20, v1 row_shr:4 row_mask:0xf bank_mask:0xf
	;; [unrolled: 1-line block ×3, first 2 shown]
	v_cmp_lt_u32_e64 s[46:47], 3, v8
	s_and_saveexec_b64 s[48:49], s[46:47]
; %bb.226:
	v_add_u32_e32 v17, v17, v4
	v_add_u32_e32 v20, v20, v1
	v_cmp_eq_u32_e64 s[46:47], 0, v16
	v_or_b32_e32 v9, v9, v16
	v_and_b32_e32 v16, 1, v9
	v_cndmask_b32_e64 v4, v4, v17, s[46:47]
	v_cndmask_b32_e64 v1, v1, v20, s[46:47]
; %bb.227:
	s_or_b64 exec, exec, s[48:49]
	v_mov_b32_dpp v17, v4 row_shr:8 row_mask:0xf bank_mask:0xf
	v_mov_b32_dpp v20, v1 row_shr:8 row_mask:0xf bank_mask:0xf
	;; [unrolled: 1-line block ×3, first 2 shown]
	v_cmp_lt_u32_e64 s[46:47], 7, v8
	s_and_saveexec_b64 s[48:49], s[46:47]
; %bb.228:
	v_add_u32_e32 v8, v17, v4
	v_cmp_eq_u32_e64 s[46:47], 0, v16
	v_add_u32_e32 v17, v20, v1
	s_nop 0
	v_cndmask_b32_e64 v4, v4, v8, s[46:47]
	v_or_b32_e32 v8, v9, v16
	v_cndmask_b32_e64 v1, v1, v17, s[46:47]
	v_and_b32_e32 v16, 1, v8
; %bb.229:
	s_or_b64 exec, exec, s[48:49]
	v_and_b32_e32 v20, 16, v13
	v_mov_b32_dpp v9, v4 row_bcast:15 row_mask:0xf bank_mask:0xf
	v_mov_b32_dpp v17, v1 row_bcast:15 row_mask:0xf bank_mask:0xf
	;; [unrolled: 1-line block ×3, first 2 shown]
	v_cmp_ne_u32_e64 s[46:47], 0, v20
	s_and_saveexec_b64 s[48:49], s[46:47]
; %bb.230:
	v_add_u32_e32 v9, v9, v4
	v_add_u32_e32 v17, v17, v1
	v_cmp_eq_u32_e64 s[46:47], 0, v16
	v_or_b32_e32 v8, v8, v16
	v_and_b32_e32 v16, 1, v8
	v_cndmask_b32_e64 v4, v4, v9, s[46:47]
	v_cndmask_b32_e64 v1, v1, v17, s[46:47]
; %bb.231:
	s_or_b64 exec, exec, s[48:49]
	v_mov_b32_dpp v17, v4 row_bcast:31 row_mask:0xf bank_mask:0xf
	v_mov_b32_dpp v20, v1 row_bcast:31 row_mask:0xf bank_mask:0xf
	;; [unrolled: 1-line block ×3, first 2 shown]
	v_cmp_lt_u32_e64 s[46:47], 31, v13
	v_mov_b32_e32 v8, v16
	s_and_saveexec_b64 s[48:49], s[46:47]
; %bb.232:
	v_add_u32_e32 v8, v17, v4
	v_add_u32_e32 v17, v20, v1
	v_cmp_eq_u32_e64 s[46:47], 0, v16
	v_or_b32_e32 v9, v9, v16
	v_and_b32_e32 v16, 1, v9
	v_cndmask_b32_e64 v4, v4, v8, s[46:47]
	v_cndmask_b32_e64 v1, v1, v17, s[46:47]
	v_and_b32_e32 v8, 1, v9
; %bb.233:
	s_or_b64 exec, exec, s[48:49]
	v_or_b32_e32 v9, 63, v0
	v_lshrrev_b32_e32 v17, 6, v0
	v_cmp_eq_u32_e64 s[46:47], v9, v0
	s_and_saveexec_b64 s[48:49], s[46:47]
	s_cbranch_execz .LBB1975_235
; %bb.234:
	v_mul_u32_u24_e32 v9, 12, v17
	ds_write2_b32 v9, v4, v1 offset1:1
	ds_write_b8 v9, v8 offset:8
.LBB1975_235:
	s_or_b64 exec, exec, s[48:49]
	v_cmp_gt_u32_e64 s[46:47], 4, v0
	s_waitcnt lgkmcnt(0)
	s_barrier
	s_and_saveexec_b64 s[48:49], s[46:47]
	s_cbranch_execz .LBB1975_241
; %bb.236:
	v_mul_u32_u24_e32 v20, 12, v0
	ds_read2_b32 v[8:9], v20 offset1:1
	ds_read_b32 v21, v20 offset:8
	v_and_b32_e32 v24, 3, v13
	v_cmp_ne_u32_e64 s[46:47], 0, v24
	s_waitcnt lgkmcnt(1)
	v_mov_b32_dpp v36, v8 row_shr:1 row_mask:0xf bank_mask:0xf
	v_mov_b32_dpp v29, v9 row_shr:1 row_mask:0xf bank_mask:0xf
	s_waitcnt lgkmcnt(0)
	v_mov_b32_dpp v32, v21 row_shr:1 row_mask:0xf bank_mask:0xf
	v_mov_b32_e32 v28, v21
	s_and_saveexec_b64 s[50:51], s[46:47]
; %bb.237:
	v_mov_b32_e32 v28, 0
	v_cmp_eq_u16_sdwa s[46:47], v21, v28 src0_sel:BYTE_0 src1_sel:DWORD
	s_nop 1
	v_cndmask_b32_e64 v28, 0, v36, s[46:47]
	v_add_u32_e32 v8, v28, v8
	v_cndmask_b32_e64 v28, 0, v29, s[46:47]
	v_add_u32_e32 v9, v28, v9
	v_or_b32_e32 v28, v32, v21
	v_and_b32_e32 v28, 1, v28
	s_movk_i32 s46, 0xff00
	v_and_or_b32 v21, v21, s46, v28
; %bb.238:
	s_or_b64 exec, exec, s[50:51]
	v_mov_b32_dpp v32, v8 row_shr:2 row_mask:0xf bank_mask:0xf
	v_mov_b32_dpp v36, v9 row_shr:2 row_mask:0xf bank_mask:0xf
	;; [unrolled: 1-line block ×3, first 2 shown]
	v_cmp_lt_u32_e64 s[46:47], 1, v24
	s_and_saveexec_b64 s[50:51], s[46:47]
; %bb.239:
	v_mov_b32_e32 v21, 0
	v_add_u32_e32 v24, v32, v8
	v_add_u32_e32 v32, v36, v9
	v_cmp_eq_u16_sdwa s[46:47], v28, v21 src0_sel:BYTE_0 src1_sel:DWORD
	v_or_b32_e32 v21, v29, v28
	v_and_b32_e32 v21, 1, v21
	v_cndmask_b32_e64 v8, v8, v24, s[46:47]
	v_cndmask_b32_e64 v9, v9, v32, s[46:47]
; %bb.240:
	s_or_b64 exec, exec, s[50:51]
	ds_write2_b32 v20, v8, v9 offset1:1
	ds_write_b8 v20, v21 offset:8
.LBB1975_241:
	s_or_b64 exec, exec, s[48:49]
	v_cmp_lt_u32_e64 s[46:47], 63, v0
	s_waitcnt lgkmcnt(0)
	s_barrier
	s_waitcnt lgkmcnt(0)
                                        ; implicit-def: $vgpr8_vgpr9
	s_and_saveexec_b64 s[48:49], s[46:47]
	s_xor_b64 s[48:49], exec, s[48:49]
	s_cbranch_execz .LBB1975_245
; %bb.242:
	v_mad_u32_u24 v8, v17, 12, -12
	ds_read2_b32 v[8:9], v8 offset1:1
	v_cmp_ne_u32_e64 s[46:47], 0, v16
                                        ; kill: def $vgpr16_vgpr17 killed $sgpr0_sgpr1 killed $exec
                                        ; kill: def $vgpr16 killed $sgpr0 killed $exec
	s_and_saveexec_b64 s[50:51], s[46:47]
	s_xor_b64 s[46:47], exec, s[50:51]
	s_andn2_saveexec_b64 s[46:47], s[46:47]
	s_cbranch_execz .LBB1975_244
; %bb.243:
	s_waitcnt lgkmcnt(0)
	v_add_u32_e32 v4, v8, v4
	v_add_u32_e32 v1, v9, v1
.LBB1975_244:
	s_or_b64 exec, exec, s[46:47]
.LBB1975_245:
	s_andn2_saveexec_b64 s[46:47], s[48:49]
	s_cbranch_execz .LBB1975_247
; %bb.246:
	s_waitcnt lgkmcnt(0)
	v_mov_b64_e32 v[8:9], 0
.LBB1975_247:
	s_or_b64 exec, exec, s[46:47]
	v_add_u32_e32 v16, -1, v13
	v_and_b32_e32 v17, 64, v13
	v_cmp_lt_i32_e64 s[46:47], v16, v17
	s_nop 1
	v_cndmask_b32_e64 v16, v16, v13, s[46:47]
	v_lshlrev_b32_e32 v16, 2, v16
	ds_bpermute_b32 v4, v16, v4
	ds_bpermute_b32 v1, v16, v1
	s_and_saveexec_b64 s[46:47], s[2:3]
	s_cbranch_execz .LBB1975_249
; %bb.248:
	v_cmp_eq_u32_e64 s[2:3], 0, v13
	v_mov_b32_e32 v5, 0
	;;#ASMSTART
	;;#ASMEND
	s_waitcnt lgkmcnt(0)
	v_cndmask_b32_e64 v1, v1, v9, s[2:3]
	v_cndmask_b32_e64 v4, v4, v8, s[2:3]
	v_cmp_eq_u16_sdwa s[2:3], v104, v5 src0_sel:BYTE_0 src1_sel:DWORD
	s_nop 1
	v_cndmask_b32_e64 v4, 0, v4, s[2:3]
	v_add_u32_e32 v2, v4, v2
	v_cndmask_b32_e64 v1, 0, v1, s[2:3]
	v_add_u32_e32 v3, v1, v3
	;; [unrolled: 2-line block ×40, first 2 shown]
	v_cndmask_b32_e64 v5, 0, v102, s[44:45]
	v_cndmask_b32_e64 v12, 0, v103, s[44:45]
.LBB1975_249:
	s_or_b64 exec, exec, s[46:47]
	s_and_saveexec_b64 s[2:3], vcc
	s_cbranch_execz .LBB1975_251
; %bb.250:
	s_waitcnt lgkmcnt(0)
	v_mov_b32_e32 v1, 0
	ds_read2_b32 v[6:7], v1 offset0:9 offset1:10
	ds_read_u8 v8, v1 offset:44
	s_add_u32 s4, s96, 0x400
	s_mov_b32 s6, 0
	s_addc_u32 s5, s97, 0
	s_waitcnt lgkmcnt(1)
	v_readfirstlane_b32 s12, v7
	s_bfe_u32 s8, s12, 0x80010
	s_and_b32 s7, s12, 0xff000000
	s_lshl_b32 s9, s8, 16
	s_mov_b32 s8, s6
	s_bfe_u32 s10, s12, 0x80008
	s_lshl_b32 s11, s10, 8
	s_mov_b32 s10, s6
	s_and_b32 s12, s12, 0xff
	s_or_b64 s[6:7], s[6:7], s[8:9]
	s_or_b64 s[6:7], s[6:7], s[10:11]
	v_mov_b32_e32 v1, s12
	v_or_b32_e32 v6, s6, v6
	v_or_b32_e32 v7, s7, v1
	v_mov_b32_e32 v9, 2
	v_mov_b64_e32 v[10:11], s[4:5]
	s_waitcnt lgkmcnt(0)
	;;#ASMSTART
	global_store_dwordx4 v[10:11], v[6:9] off sc1	
s_waitcnt vmcnt(0)
	;;#ASMEND
.LBB1975_251:
	s_or_b64 exec, exec, s[2:3]
	v_mov_b32_e32 v83, v3
	v_mov_b32_e32 v82, v2
.LBB1975_252:
	s_add_u32 s0, s86, s0
	s_addc_u32 s1, s87, s1
	s_add_u32 s0, s0, s92
	v_add_u32_e32 v43, v12, v33
	v_add_u32_e32 v42, v5, v25
	s_addc_u32 s1, s1, s93
	s_and_b64 vcc, exec, s[84:85]
	s_cbranch_vccz .LBB1975_334
; %bb.253:
	s_add_i32 s33, s33, s98
	s_waitcnt lgkmcnt(0)
	v_mul_u32_u24_e32 v1, 21, v0
	v_mov_b64_e32 v[8:9], 0
	v_cmp_gt_u32_e32 vcc, s33, v1
	v_mov_b64_e32 v[4:5], v[8:9]
	v_mov_b64_e32 v[2:3], v[8:9]
	;; [unrolled: 1-line block ×20, first 2 shown]
	s_and_saveexec_b64 s[2:3], vcc
	s_cbranch_execz .LBB1975_293
; %bb.254:
	v_add_u32_e32 v2, 1, v1
	v_mov_b64_e32 v[40:41], 0
	v_cmp_gt_u32_e32 vcc, s33, v2
	v_mov_b64_e32 v[38:39], v[40:41]
	v_mov_b64_e32 v[36:37], v[40:41]
	;; [unrolled: 1-line block ×19, first 2 shown]
	s_and_saveexec_b64 s[4:5], vcc
	s_cbranch_execz .LBB1975_292
; %bb.255:
	v_add_u32_e32 v2, 2, v1
	v_mov_b64_e32 v[38:39], 0
	v_cmp_gt_u32_e32 vcc, s33, v2
	v_mov_b64_e32 v[36:37], v[38:39]
	v_mov_b64_e32 v[34:35], v[38:39]
	v_mov_b64_e32 v[32:33], v[38:39]
	v_mov_b64_e32 v[30:31], v[38:39]
	v_mov_b64_e32 v[28:29], v[38:39]
	v_mov_b64_e32 v[26:27], v[38:39]
	v_mov_b64_e32 v[24:25], v[38:39]
	v_mov_b64_e32 v[22:23], v[38:39]
	v_mov_b64_e32 v[20:21], v[38:39]
	v_mov_b64_e32 v[18:19], v[38:39]
	v_mov_b64_e32 v[16:17], v[38:39]
	v_mov_b64_e32 v[14:15], v[38:39]
	v_mov_b64_e32 v[12:13], v[38:39]
	v_mov_b64_e32 v[10:11], v[38:39]
	v_mov_b64_e32 v[6:7], v[38:39]
	v_mov_b64_e32 v[2:3], v[38:39]
	v_mov_b64_e32 v[4:5], v[38:39]
	v_mov_b64_e32 v[8:9], v[38:39]
	s_and_saveexec_b64 s[6:7], vcc
	s_cbranch_execz .LBB1975_291
; %bb.256:
	v_add_u32_e32 v2, 3, v1
	v_mov_b64_e32 v[36:37], 0
	v_cmp_gt_u32_e32 vcc, s33, v2
	v_mov_b64_e32 v[34:35], v[36:37]
	v_mov_b64_e32 v[32:33], v[36:37]
	;; [unrolled: 1-line block ×17, first 2 shown]
	s_and_saveexec_b64 s[8:9], vcc
	s_cbranch_execz .LBB1975_290
; %bb.257:
	v_add_u32_e32 v2, 4, v1
	v_mov_b64_e32 v[34:35], 0
	v_cmp_gt_u32_e32 vcc, s33, v2
	v_mov_b64_e32 v[32:33], v[34:35]
	v_mov_b64_e32 v[30:31], v[34:35]
	;; [unrolled: 1-line block ×16, first 2 shown]
	s_and_saveexec_b64 s[10:11], vcc
	s_cbranch_execz .LBB1975_289
; %bb.258:
	v_add_u32_e32 v2, 5, v1
	v_mov_b64_e32 v[32:33], 0
	v_cmp_gt_u32_e32 vcc, s33, v2
	v_mov_b64_e32 v[30:31], v[32:33]
	v_mov_b64_e32 v[28:29], v[32:33]
	;; [unrolled: 1-line block ×15, first 2 shown]
	s_and_saveexec_b64 s[12:13], vcc
	s_cbranch_execz .LBB1975_288
; %bb.259:
	v_add_u32_e32 v2, 6, v1
	v_mov_b64_e32 v[30:31], 0
	v_cmp_gt_u32_e32 vcc, s33, v2
	v_mov_b64_e32 v[28:29], v[30:31]
	v_mov_b64_e32 v[26:27], v[30:31]
	;; [unrolled: 1-line block ×14, first 2 shown]
	s_and_saveexec_b64 s[14:15], vcc
	s_cbranch_execz .LBB1975_287
; %bb.260:
	v_add_u32_e32 v2, 7, v1
	v_mov_b64_e32 v[28:29], 0
	v_cmp_gt_u32_e32 vcc, s33, v2
	v_mov_b64_e32 v[26:27], v[28:29]
	v_mov_b64_e32 v[24:25], v[28:29]
	;; [unrolled: 1-line block ×13, first 2 shown]
	s_and_saveexec_b64 s[16:17], vcc
	s_cbranch_execz .LBB1975_286
; %bb.261:
	v_add_u32_e32 v2, 8, v1
	v_mov_b64_e32 v[26:27], 0
	v_cmp_gt_u32_e32 vcc, s33, v2
	v_mov_b64_e32 v[24:25], v[26:27]
	v_mov_b64_e32 v[22:23], v[26:27]
	;; [unrolled: 1-line block ×12, first 2 shown]
	s_and_saveexec_b64 s[18:19], vcc
	s_cbranch_execz .LBB1975_285
; %bb.262:
	v_add_u32_e32 v2, 9, v1
	v_mov_b64_e32 v[24:25], 0
	v_cmp_gt_u32_e32 vcc, s33, v2
	v_mov_b64_e32 v[22:23], v[24:25]
	v_mov_b64_e32 v[20:21], v[24:25]
	;; [unrolled: 1-line block ×11, first 2 shown]
	s_and_saveexec_b64 s[20:21], vcc
	s_cbranch_execz .LBB1975_284
; %bb.263:
	v_add_u32_e32 v2, 10, v1
	v_mov_b64_e32 v[22:23], 0
	v_cmp_gt_u32_e32 vcc, s33, v2
	v_mov_b64_e32 v[20:21], v[22:23]
	v_mov_b64_e32 v[18:19], v[22:23]
	;; [unrolled: 1-line block ×10, first 2 shown]
	s_and_saveexec_b64 s[22:23], vcc
	s_cbranch_execz .LBB1975_283
; %bb.264:
	v_add_u32_e32 v2, 11, v1
	v_mov_b64_e32 v[20:21], 0
	v_cmp_gt_u32_e32 vcc, s33, v2
	v_mov_b64_e32 v[18:19], v[20:21]
	v_mov_b64_e32 v[16:17], v[20:21]
	;; [unrolled: 1-line block ×9, first 2 shown]
	s_and_saveexec_b64 s[24:25], vcc
	s_cbranch_execz .LBB1975_282
; %bb.265:
	v_add_u32_e32 v2, 12, v1
	v_mov_b64_e32 v[18:19], 0
	v_cmp_gt_u32_e32 vcc, s33, v2
	v_mov_b64_e32 v[16:17], v[18:19]
	v_mov_b64_e32 v[14:15], v[18:19]
	;; [unrolled: 1-line block ×8, first 2 shown]
	s_and_saveexec_b64 s[26:27], vcc
	s_cbranch_execz .LBB1975_281
; %bb.266:
	v_add_u32_e32 v2, 13, v1
	v_mov_b64_e32 v[16:17], 0
	v_cmp_gt_u32_e32 vcc, s33, v2
	v_mov_b64_e32 v[14:15], v[16:17]
	v_mov_b64_e32 v[12:13], v[16:17]
	;; [unrolled: 1-line block ×7, first 2 shown]
	s_and_saveexec_b64 s[28:29], vcc
	s_cbranch_execz .LBB1975_280
; %bb.267:
	v_add_u32_e32 v2, 14, v1
	v_mov_b64_e32 v[14:15], 0
	v_cmp_gt_u32_e32 vcc, s33, v2
	v_mov_b64_e32 v[12:13], v[14:15]
	v_mov_b64_e32 v[10:11], v[14:15]
	;; [unrolled: 1-line block ×6, first 2 shown]
	s_and_saveexec_b64 s[30:31], vcc
	s_cbranch_execz .LBB1975_279
; %bb.268:
	v_add_u32_e32 v2, 15, v1
	v_mov_b64_e32 v[12:13], 0
	v_cmp_gt_u32_e32 vcc, s33, v2
	v_mov_b64_e32 v[10:11], v[12:13]
	v_mov_b64_e32 v[6:7], v[12:13]
	;; [unrolled: 1-line block ×5, first 2 shown]
	s_and_saveexec_b64 s[34:35], vcc
	s_cbranch_execz .LBB1975_278
; %bb.269:
	v_add_u32_e32 v2, 16, v1
	v_mov_b64_e32 v[10:11], 0
	v_cmp_gt_u32_e32 vcc, s33, v2
	v_mov_b64_e32 v[6:7], v[10:11]
	v_mov_b64_e32 v[2:3], v[10:11]
	;; [unrolled: 1-line block ×4, first 2 shown]
	s_and_saveexec_b64 s[36:37], vcc
	s_cbranch_execz .LBB1975_277
; %bb.270:
	v_add_u32_e32 v2, 17, v1
	v_mov_b64_e32 v[6:7], 0
	v_cmp_gt_u32_e32 vcc, s33, v2
	v_mov_b64_e32 v[2:3], v[6:7]
	v_mov_b64_e32 v[4:5], v[6:7]
	;; [unrolled: 1-line block ×3, first 2 shown]
	s_and_saveexec_b64 s[38:39], vcc
	s_cbranch_execz .LBB1975_276
; %bb.271:
	v_add_u32_e32 v2, 18, v1
	v_cmp_gt_u32_e32 vcc, s33, v2
	v_mov_b64_e32 v[2:3], 0
	v_mov_b64_e32 v[4:5], v[2:3]
	;; [unrolled: 1-line block ×3, first 2 shown]
	s_and_saveexec_b64 s[40:41], vcc
	s_cbranch_execz .LBB1975_275
; %bb.272:
	v_add_u32_e32 v2, 19, v1
	v_mov_b64_e32 v[4:5], 0
	v_cmp_gt_u32_e32 vcc, s33, v2
	v_mov_b64_e32 v[8:9], v[4:5]
	s_and_saveexec_b64 s[42:43], vcc
; %bb.273:
	v_add_u32_e32 v2, 20, v1
	v_cmp_gt_u32_e32 vcc, s33, v2
	v_mov_b64_e32 v[4:5], v[102:103]
	s_nop 0
	v_cndmask_b32_e32 v9, 0, v43, vcc
	v_cndmask_b32_e32 v8, 0, v42, vcc
; %bb.274:
	s_or_b64 exec, exec, s[42:43]
	v_mov_b64_e32 v[2:3], v[80:81]
.LBB1975_275:
	s_or_b64 exec, exec, s[40:41]
	v_mov_b64_e32 v[6:7], v[100:101]
.LBB1975_276:
	s_or_b64 exec, exec, s[38:39]
	v_mov_b64_e32 v[10:11], v[76:77]
.LBB1975_277:
	s_or_b64 exec, exec, s[36:37]
	v_mov_b64_e32 v[12:13], v[98:99]
.LBB1975_278:
	s_or_b64 exec, exec, s[34:35]
	v_mov_b64_e32 v[14:15], v[72:73]
.LBB1975_279:
	s_or_b64 exec, exec, s[30:31]
	v_mov_b64_e32 v[16:17], v[96:97]
.LBB1975_280:
	s_or_b64 exec, exec, s[28:29]
	v_mov_b64_e32 v[18:19], v[68:69]
.LBB1975_281:
	s_or_b64 exec, exec, s[26:27]
	v_mov_b64_e32 v[20:21], v[94:95]
.LBB1975_282:
	s_or_b64 exec, exec, s[24:25]
	v_mov_b64_e32 v[22:23], v[64:65]
.LBB1975_283:
	s_or_b64 exec, exec, s[22:23]
	v_mov_b64_e32 v[24:25], v[92:93]
.LBB1975_284:
	s_or_b64 exec, exec, s[20:21]
	v_mov_b64_e32 v[26:27], v[60:61]
.LBB1975_285:
	s_or_b64 exec, exec, s[18:19]
	v_mov_b64_e32 v[28:29], v[90:91]
.LBB1975_286:
	s_or_b64 exec, exec, s[16:17]
	v_mov_b64_e32 v[30:31], v[56:57]
.LBB1975_287:
	s_or_b64 exec, exec, s[14:15]
	v_mov_b64_e32 v[32:33], v[88:89]
.LBB1975_288:
	s_or_b64 exec, exec, s[12:13]
	v_mov_b64_e32 v[34:35], v[52:53]
.LBB1975_289:
	s_or_b64 exec, exec, s[10:11]
	v_mov_b64_e32 v[36:37], v[86:87]
.LBB1975_290:
	s_or_b64 exec, exec, s[8:9]
	v_mov_b64_e32 v[38:39], v[48:49]
.LBB1975_291:
	s_or_b64 exec, exec, s[6:7]
	v_mov_b64_e32 v[40:41], v[44:45]
.LBB1975_292:
	s_or_b64 exec, exec, s[4:5]
	v_mov_b64_e32 v[46:47], v[82:83]
.LBB1975_293:
	s_or_b64 exec, exec, s[2:3]
	v_lshlrev_b32_e32 v1, 3, v1
	s_movk_i32 s2, 0xff60
	s_barrier
	ds_write2_b64 v1, v[46:47], v[40:41] offset1:1
	ds_write2_b64 v1, v[38:39], v[36:37] offset0:2 offset1:3
	ds_write2_b64 v1, v[34:35], v[32:33] offset0:4 offset1:5
	;; [unrolled: 1-line block ×9, first 2 shown]
	ds_write_b64 v1, v[8:9] offset:160
	v_mad_i32_i24 v2, v0, s2, v1
	s_waitcnt lgkmcnt(0)
	s_barrier
	ds_read2st64_b64 v[38:41], v2 offset0:4 offset1:8
	ds_read2st64_b64 v[34:37], v2 offset0:12 offset1:16
	;; [unrolled: 1-line block ×10, first 2 shown]
	v_mov_b32_e32 v47, 0
	v_lshlrev_b32_e32 v46, 3, v0
	v_lshl_add_u64 v[50:51], s[0:1], 0, v[46:47]
	v_cmp_gt_u32_e32 vcc, s33, v0
	s_and_saveexec_b64 s[2:3], vcc
	s_cbranch_execz .LBB1975_295
; %bb.294:
	v_mul_i32_i24_e32 v46, 0xffffff60, v0
	v_add_u32_e32 v1, v1, v46
	ds_read_b64 v[54:55], v1
	s_waitcnt lgkmcnt(0)
	flat_store_dwordx2 v[50:51], v[54:55]
.LBB1975_295:
	s_or_b64 exec, exec, s[2:3]
	v_or_b32_e32 v1, 0x100, v0
	v_cmp_gt_u32_e32 vcc, s33, v1
	s_and_saveexec_b64 s[2:3], vcc
	s_cbranch_execz .LBB1975_297
; %bb.296:
	s_waitcnt lgkmcnt(0)
	flat_store_dwordx2 v[50:51], v[38:39] offset:2048
.LBB1975_297:
	s_or_b64 exec, exec, s[2:3]
	v_or_b32_e32 v1, 0x200, v0
	v_cmp_gt_u32_e32 vcc, s33, v1
	s_and_saveexec_b64 s[2:3], vcc
	s_cbranch_execz .LBB1975_299
; %bb.298:
	s_waitcnt lgkmcnt(0)
	v_add_co_u32_e32 v38, vcc, 0x1000, v50
	s_nop 1
	v_addc_co_u32_e32 v39, vcc, 0, v51, vcc
	flat_store_dwordx2 v[38:39], v[40:41]
.LBB1975_299:
	s_or_b64 exec, exec, s[2:3]
	v_or_b32_e32 v1, 0x300, v0
	v_cmp_gt_u32_e32 vcc, s33, v1
	s_and_saveexec_b64 s[2:3], vcc
	s_cbranch_execz .LBB1975_301
; %bb.300:
	s_waitcnt lgkmcnt(0)
	v_add_co_u32_e32 v38, vcc, 0x1000, v50
	s_nop 1
	v_addc_co_u32_e32 v39, vcc, 0, v51, vcc
	flat_store_dwordx2 v[38:39], v[34:35] offset:2048
.LBB1975_301:
	s_or_b64 exec, exec, s[2:3]
	v_or_b32_e32 v1, 0x400, v0
	v_cmp_gt_u32_e32 vcc, s33, v1
	s_and_saveexec_b64 s[2:3], vcc
	s_cbranch_execz .LBB1975_303
; %bb.302:
	s_waitcnt lgkmcnt(0)
	v_add_co_u32_e32 v34, vcc, 0x2000, v50
	s_nop 1
	v_addc_co_u32_e32 v35, vcc, 0, v51, vcc
	flat_store_dwordx2 v[34:35], v[36:37]
.LBB1975_303:
	s_or_b64 exec, exec, s[2:3]
	v_or_b32_e32 v1, 0x500, v0
	v_cmp_gt_u32_e32 vcc, s33, v1
	s_and_saveexec_b64 s[2:3], vcc
	s_cbranch_execz .LBB1975_305
; %bb.304:
	s_waitcnt lgkmcnt(0)
	v_add_co_u32_e32 v34, vcc, 0x2000, v50
	s_nop 1
	v_addc_co_u32_e32 v35, vcc, 0, v51, vcc
	flat_store_dwordx2 v[34:35], v[30:31] offset:2048
.LBB1975_305:
	;; [unrolled: 24-line block ×9, first 2 shown]
	s_or_b64 exec, exec, s[2:3]
	s_waitcnt lgkmcnt(0)
	v_or_b32_e32 v2, 0x1400, v0
	v_mov_b32_e32 v1, v47
	v_cmp_gt_u32_e64 s[2:3], s33, v2
	s_branch .LBB1975_336
.LBB1975_334:
	s_mov_b64 s[2:3], 0
                                        ; kill: def $vgpr2_vgpr3 killed $sgpr0_sgpr1 killed $exec
                                        ; implicit-def: $vgpr4_vgpr5
	s_cbranch_execz .LBB1975_336
; %bb.335:
	s_movk_i32 s4, 0xa8
	s_waitcnt lgkmcnt(0)
	v_mul_u32_u24_e32 v1, 0xa8, v0
	v_mul_i32_i24_e32 v2, 0xffffff60, v0
	s_barrier
	ds_write2_b64 v1, v[82:83], v[44:45] offset1:1
	ds_write2_b64 v1, v[48:49], v[86:87] offset0:2 offset1:3
	ds_write2_b64 v1, v[52:53], v[88:89] offset0:4 offset1:5
	;; [unrolled: 1-line block ×9, first 2 shown]
	ds_write_b64 v1, v[42:43] offset:160
	v_mov_b32_e32 v1, 0
	v_mad_u32_u24 v2, v0, s4, v2
	s_waitcnt lgkmcnt(0)
	s_barrier
	ds_read2st64_b64 v[6:9], v2 offset1:4
	ds_read2st64_b64 v[10:13], v2 offset0:8 offset1:12
	ds_read2st64_b64 v[14:17], v2 offset0:16 offset1:20
	;; [unrolled: 1-line block ×9, first 2 shown]
	ds_read_b64 v[4:5], v2 offset:40960
	v_lshlrev_b32_e32 v2, 3, v0
	v_mov_b32_e32 v3, v1
	v_lshl_add_u64 v[2:3], s[0:1], 0, v[2:3]
	s_movk_i32 s4, 0x1000
	s_waitcnt lgkmcnt(0)
	flat_store_dwordx2 v[2:3], v[6:7]
	flat_store_dwordx2 v[2:3], v[8:9] offset:2048
	v_add_co_u32_e32 v6, vcc, s4, v2
	s_movk_i32 s4, 0x2000
	s_nop 0
	v_addc_co_u32_e32 v7, vcc, 0, v3, vcc
	flat_store_dwordx2 v[6:7], v[10:11]
	flat_store_dwordx2 v[6:7], v[12:13] offset:2048
	v_add_co_u32_e32 v6, vcc, s4, v2
	s_movk_i32 s4, 0x3000
	s_nop 0
	v_addc_co_u32_e32 v7, vcc, 0, v3, vcc
	;; [unrolled: 6-line block ×6, first 2 shown]
	flat_store_dwordx2 v[6:7], v[30:31]
	flat_store_dwordx2 v[6:7], v[32:33] offset:2048
	v_add_co_u32_e32 v6, vcc, s4, v2
	s_or_b64 s[2:3], s[2:3], exec
	s_nop 0
	v_addc_co_u32_e32 v7, vcc, 0, v3, vcc
	flat_store_dwordx2 v[6:7], v[34:35]
	flat_store_dwordx2 v[6:7], v[36:37] offset:2048
	v_add_co_u32_e32 v6, vcc, 0x8000, v2
	s_nop 1
	v_addc_co_u32_e32 v7, vcc, 0, v3, vcc
	v_add_co_u32_e32 v2, vcc, 0x9000, v2
	flat_store_dwordx2 v[6:7], v[38:39]
	flat_store_dwordx2 v[6:7], v[40:41] offset:2048
	v_addc_co_u32_e32 v3, vcc, 0, v3, vcc
	flat_store_dwordx2 v[2:3], v[42:43]
	flat_store_dwordx2 v[2:3], v[44:45] offset:2048
.LBB1975_336:
	s_and_saveexec_b64 s[4:5], s[2:3]
	s_cbranch_execnz .LBB1975_338
; %bb.337:
	s_endpgm
.LBB1975_338:
	s_waitcnt lgkmcnt(0)
	v_lshl_add_u64 v[0:1], v[0:1], 3, s[0:1]
	v_add_co_u32_e32 v0, vcc, 0xa000, v0
	s_nop 1
	v_addc_co_u32_e32 v1, vcc, 0, v1, vcc
	flat_store_dwordx2 v[0:1], v[4:5]
	s_endpgm
.LBB1975_339:
	v_lshlrev_b32_e32 v60, 3, v62
	v_mov_b32_e32 v61, 0
	v_lshl_add_u64 v[60:61], s[48:49], 0, v[60:61]
	flat_load_dwordx2 v[60:61], v[60:61]
	s_or_b64 exec, exec, s[4:5]
	s_and_saveexec_b64 s[4:5], s[42:43]
	s_cbranch_execz .LBB1975_87
.LBB1975_340:
	v_lshlrev_b32_e32 v58, 3, v63
	v_mov_b32_e32 v59, 0
	v_lshl_add_u64 v[58:59], s[48:49], 0, v[58:59]
	flat_load_dwordx2 v[58:59], v[58:59]
	s_or_b64 exec, exec, s[4:5]
	v_mov_b64_e32 v[62:63], 0
	s_and_saveexec_b64 s[4:5], s[44:45]
	s_cbranch_execnz .LBB1975_88
	s_branch .LBB1975_89
.LBB1975_341:
                                        ; implicit-def: $sgpr56_sgpr57
	s_branch .LBB1975_46
.LBB1975_342:
                                        ; implicit-def: $sgpr4_sgpr5
	s_branch .LBB1975_134
	.section	.rodata,"a",@progbits
	.p2align	6, 0x0
	.amdhsa_kernel _ZN7rocprim17ROCPRIM_400000_NS6detail17trampoline_kernelINS0_14default_configENS1_27scan_by_key_config_selectorIj11FixedVectorIiLj2EEEEZZNS1_16scan_by_key_implILNS1_25lookback_scan_determinismE0ELb0ES3_N6thrust23THRUST_200600_302600_NS6detail15normal_iteratorINSB_10device_ptrIjEEEENSD_INSE_IS6_EEEESI_S6_NSB_4plusIvEENSB_8equal_toIvEES6_EE10hipError_tPvRmT2_T3_T4_T5_mT6_T7_P12ihipStream_tbENKUlT_T0_E_clISt17integral_constantIbLb1EES12_IbLb0EEEEDaSY_SZ_EUlSY_E_NS1_11comp_targetILNS1_3genE5ELNS1_11target_archE942ELNS1_3gpuE9ELNS1_3repE0EEENS1_30default_config_static_selectorELNS0_4arch9wavefront6targetE1EEEvT1_
		.amdhsa_group_segment_fixed_size 43008
		.amdhsa_private_segment_fixed_size 0
		.amdhsa_kernarg_size 120
		.amdhsa_user_sgpr_count 2
		.amdhsa_user_sgpr_dispatch_ptr 0
		.amdhsa_user_sgpr_queue_ptr 0
		.amdhsa_user_sgpr_kernarg_segment_ptr 1
		.amdhsa_user_sgpr_dispatch_id 0
		.amdhsa_user_sgpr_kernarg_preload_length 0
		.amdhsa_user_sgpr_kernarg_preload_offset 0
		.amdhsa_user_sgpr_private_segment_size 0
		.amdhsa_uses_dynamic_stack 0
		.amdhsa_enable_private_segment 0
		.amdhsa_system_sgpr_workgroup_id_x 1
		.amdhsa_system_sgpr_workgroup_id_y 0
		.amdhsa_system_sgpr_workgroup_id_z 0
		.amdhsa_system_sgpr_workgroup_info 0
		.amdhsa_system_vgpr_workitem_id 0
		.amdhsa_next_free_vgpr 135
		.amdhsa_next_free_sgpr 100
		.amdhsa_accum_offset 136
		.amdhsa_reserve_vcc 1
		.amdhsa_float_round_mode_32 0
		.amdhsa_float_round_mode_16_64 0
		.amdhsa_float_denorm_mode_32 3
		.amdhsa_float_denorm_mode_16_64 3
		.amdhsa_dx10_clamp 1
		.amdhsa_ieee_mode 1
		.amdhsa_fp16_overflow 0
		.amdhsa_tg_split 0
		.amdhsa_exception_fp_ieee_invalid_op 0
		.amdhsa_exception_fp_denorm_src 0
		.amdhsa_exception_fp_ieee_div_zero 0
		.amdhsa_exception_fp_ieee_overflow 0
		.amdhsa_exception_fp_ieee_underflow 0
		.amdhsa_exception_fp_ieee_inexact 0
		.amdhsa_exception_int_div_zero 0
	.end_amdhsa_kernel
	.section	.text._ZN7rocprim17ROCPRIM_400000_NS6detail17trampoline_kernelINS0_14default_configENS1_27scan_by_key_config_selectorIj11FixedVectorIiLj2EEEEZZNS1_16scan_by_key_implILNS1_25lookback_scan_determinismE0ELb0ES3_N6thrust23THRUST_200600_302600_NS6detail15normal_iteratorINSB_10device_ptrIjEEEENSD_INSE_IS6_EEEESI_S6_NSB_4plusIvEENSB_8equal_toIvEES6_EE10hipError_tPvRmT2_T3_T4_T5_mT6_T7_P12ihipStream_tbENKUlT_T0_E_clISt17integral_constantIbLb1EES12_IbLb0EEEEDaSY_SZ_EUlSY_E_NS1_11comp_targetILNS1_3genE5ELNS1_11target_archE942ELNS1_3gpuE9ELNS1_3repE0EEENS1_30default_config_static_selectorELNS0_4arch9wavefront6targetE1EEEvT1_,"axG",@progbits,_ZN7rocprim17ROCPRIM_400000_NS6detail17trampoline_kernelINS0_14default_configENS1_27scan_by_key_config_selectorIj11FixedVectorIiLj2EEEEZZNS1_16scan_by_key_implILNS1_25lookback_scan_determinismE0ELb0ES3_N6thrust23THRUST_200600_302600_NS6detail15normal_iteratorINSB_10device_ptrIjEEEENSD_INSE_IS6_EEEESI_S6_NSB_4plusIvEENSB_8equal_toIvEES6_EE10hipError_tPvRmT2_T3_T4_T5_mT6_T7_P12ihipStream_tbENKUlT_T0_E_clISt17integral_constantIbLb1EES12_IbLb0EEEEDaSY_SZ_EUlSY_E_NS1_11comp_targetILNS1_3genE5ELNS1_11target_archE942ELNS1_3gpuE9ELNS1_3repE0EEENS1_30default_config_static_selectorELNS0_4arch9wavefront6targetE1EEEvT1_,comdat
.Lfunc_end1975:
	.size	_ZN7rocprim17ROCPRIM_400000_NS6detail17trampoline_kernelINS0_14default_configENS1_27scan_by_key_config_selectorIj11FixedVectorIiLj2EEEEZZNS1_16scan_by_key_implILNS1_25lookback_scan_determinismE0ELb0ES3_N6thrust23THRUST_200600_302600_NS6detail15normal_iteratorINSB_10device_ptrIjEEEENSD_INSE_IS6_EEEESI_S6_NSB_4plusIvEENSB_8equal_toIvEES6_EE10hipError_tPvRmT2_T3_T4_T5_mT6_T7_P12ihipStream_tbENKUlT_T0_E_clISt17integral_constantIbLb1EES12_IbLb0EEEEDaSY_SZ_EUlSY_E_NS1_11comp_targetILNS1_3genE5ELNS1_11target_archE942ELNS1_3gpuE9ELNS1_3repE0EEENS1_30default_config_static_selectorELNS0_4arch9wavefront6targetE1EEEvT1_, .Lfunc_end1975-_ZN7rocprim17ROCPRIM_400000_NS6detail17trampoline_kernelINS0_14default_configENS1_27scan_by_key_config_selectorIj11FixedVectorIiLj2EEEEZZNS1_16scan_by_key_implILNS1_25lookback_scan_determinismE0ELb0ES3_N6thrust23THRUST_200600_302600_NS6detail15normal_iteratorINSB_10device_ptrIjEEEENSD_INSE_IS6_EEEESI_S6_NSB_4plusIvEENSB_8equal_toIvEES6_EE10hipError_tPvRmT2_T3_T4_T5_mT6_T7_P12ihipStream_tbENKUlT_T0_E_clISt17integral_constantIbLb1EES12_IbLb0EEEEDaSY_SZ_EUlSY_E_NS1_11comp_targetILNS1_3genE5ELNS1_11target_archE942ELNS1_3gpuE9ELNS1_3repE0EEENS1_30default_config_static_selectorELNS0_4arch9wavefront6targetE1EEEvT1_
                                        ; -- End function
	.section	.AMDGPU.csdata,"",@progbits
; Kernel info:
; codeLenInByte = 19312
; NumSgprs: 106
; NumVgprs: 135
; NumAgprs: 0
; TotalNumVgprs: 135
; ScratchSize: 0
; MemoryBound: 0
; FloatMode: 240
; IeeeMode: 1
; LDSByteSize: 43008 bytes/workgroup (compile time only)
; SGPRBlocks: 13
; VGPRBlocks: 16
; NumSGPRsForWavesPerEU: 106
; NumVGPRsForWavesPerEU: 135
; AccumOffset: 136
; Occupancy: 1
; WaveLimiterHint : 1
; COMPUTE_PGM_RSRC2:SCRATCH_EN: 0
; COMPUTE_PGM_RSRC2:USER_SGPR: 2
; COMPUTE_PGM_RSRC2:TRAP_HANDLER: 0
; COMPUTE_PGM_RSRC2:TGID_X_EN: 1
; COMPUTE_PGM_RSRC2:TGID_Y_EN: 0
; COMPUTE_PGM_RSRC2:TGID_Z_EN: 0
; COMPUTE_PGM_RSRC2:TIDIG_COMP_CNT: 0
; COMPUTE_PGM_RSRC3_GFX90A:ACCUM_OFFSET: 33
; COMPUTE_PGM_RSRC3_GFX90A:TG_SPLIT: 0
	.section	.text._ZN7rocprim17ROCPRIM_400000_NS6detail17trampoline_kernelINS0_14default_configENS1_27scan_by_key_config_selectorIj11FixedVectorIiLj2EEEEZZNS1_16scan_by_key_implILNS1_25lookback_scan_determinismE0ELb0ES3_N6thrust23THRUST_200600_302600_NS6detail15normal_iteratorINSB_10device_ptrIjEEEENSD_INSE_IS6_EEEESI_S6_NSB_4plusIvEENSB_8equal_toIvEES6_EE10hipError_tPvRmT2_T3_T4_T5_mT6_T7_P12ihipStream_tbENKUlT_T0_E_clISt17integral_constantIbLb1EES12_IbLb0EEEEDaSY_SZ_EUlSY_E_NS1_11comp_targetILNS1_3genE4ELNS1_11target_archE910ELNS1_3gpuE8ELNS1_3repE0EEENS1_30default_config_static_selectorELNS0_4arch9wavefront6targetE1EEEvT1_,"axG",@progbits,_ZN7rocprim17ROCPRIM_400000_NS6detail17trampoline_kernelINS0_14default_configENS1_27scan_by_key_config_selectorIj11FixedVectorIiLj2EEEEZZNS1_16scan_by_key_implILNS1_25lookback_scan_determinismE0ELb0ES3_N6thrust23THRUST_200600_302600_NS6detail15normal_iteratorINSB_10device_ptrIjEEEENSD_INSE_IS6_EEEESI_S6_NSB_4plusIvEENSB_8equal_toIvEES6_EE10hipError_tPvRmT2_T3_T4_T5_mT6_T7_P12ihipStream_tbENKUlT_T0_E_clISt17integral_constantIbLb1EES12_IbLb0EEEEDaSY_SZ_EUlSY_E_NS1_11comp_targetILNS1_3genE4ELNS1_11target_archE910ELNS1_3gpuE8ELNS1_3repE0EEENS1_30default_config_static_selectorELNS0_4arch9wavefront6targetE1EEEvT1_,comdat
	.protected	_ZN7rocprim17ROCPRIM_400000_NS6detail17trampoline_kernelINS0_14default_configENS1_27scan_by_key_config_selectorIj11FixedVectorIiLj2EEEEZZNS1_16scan_by_key_implILNS1_25lookback_scan_determinismE0ELb0ES3_N6thrust23THRUST_200600_302600_NS6detail15normal_iteratorINSB_10device_ptrIjEEEENSD_INSE_IS6_EEEESI_S6_NSB_4plusIvEENSB_8equal_toIvEES6_EE10hipError_tPvRmT2_T3_T4_T5_mT6_T7_P12ihipStream_tbENKUlT_T0_E_clISt17integral_constantIbLb1EES12_IbLb0EEEEDaSY_SZ_EUlSY_E_NS1_11comp_targetILNS1_3genE4ELNS1_11target_archE910ELNS1_3gpuE8ELNS1_3repE0EEENS1_30default_config_static_selectorELNS0_4arch9wavefront6targetE1EEEvT1_ ; -- Begin function _ZN7rocprim17ROCPRIM_400000_NS6detail17trampoline_kernelINS0_14default_configENS1_27scan_by_key_config_selectorIj11FixedVectorIiLj2EEEEZZNS1_16scan_by_key_implILNS1_25lookback_scan_determinismE0ELb0ES3_N6thrust23THRUST_200600_302600_NS6detail15normal_iteratorINSB_10device_ptrIjEEEENSD_INSE_IS6_EEEESI_S6_NSB_4plusIvEENSB_8equal_toIvEES6_EE10hipError_tPvRmT2_T3_T4_T5_mT6_T7_P12ihipStream_tbENKUlT_T0_E_clISt17integral_constantIbLb1EES12_IbLb0EEEEDaSY_SZ_EUlSY_E_NS1_11comp_targetILNS1_3genE4ELNS1_11target_archE910ELNS1_3gpuE8ELNS1_3repE0EEENS1_30default_config_static_selectorELNS0_4arch9wavefront6targetE1EEEvT1_
	.globl	_ZN7rocprim17ROCPRIM_400000_NS6detail17trampoline_kernelINS0_14default_configENS1_27scan_by_key_config_selectorIj11FixedVectorIiLj2EEEEZZNS1_16scan_by_key_implILNS1_25lookback_scan_determinismE0ELb0ES3_N6thrust23THRUST_200600_302600_NS6detail15normal_iteratorINSB_10device_ptrIjEEEENSD_INSE_IS6_EEEESI_S6_NSB_4plusIvEENSB_8equal_toIvEES6_EE10hipError_tPvRmT2_T3_T4_T5_mT6_T7_P12ihipStream_tbENKUlT_T0_E_clISt17integral_constantIbLb1EES12_IbLb0EEEEDaSY_SZ_EUlSY_E_NS1_11comp_targetILNS1_3genE4ELNS1_11target_archE910ELNS1_3gpuE8ELNS1_3repE0EEENS1_30default_config_static_selectorELNS0_4arch9wavefront6targetE1EEEvT1_
	.p2align	8
	.type	_ZN7rocprim17ROCPRIM_400000_NS6detail17trampoline_kernelINS0_14default_configENS1_27scan_by_key_config_selectorIj11FixedVectorIiLj2EEEEZZNS1_16scan_by_key_implILNS1_25lookback_scan_determinismE0ELb0ES3_N6thrust23THRUST_200600_302600_NS6detail15normal_iteratorINSB_10device_ptrIjEEEENSD_INSE_IS6_EEEESI_S6_NSB_4plusIvEENSB_8equal_toIvEES6_EE10hipError_tPvRmT2_T3_T4_T5_mT6_T7_P12ihipStream_tbENKUlT_T0_E_clISt17integral_constantIbLb1EES12_IbLb0EEEEDaSY_SZ_EUlSY_E_NS1_11comp_targetILNS1_3genE4ELNS1_11target_archE910ELNS1_3gpuE8ELNS1_3repE0EEENS1_30default_config_static_selectorELNS0_4arch9wavefront6targetE1EEEvT1_,@function
_ZN7rocprim17ROCPRIM_400000_NS6detail17trampoline_kernelINS0_14default_configENS1_27scan_by_key_config_selectorIj11FixedVectorIiLj2EEEEZZNS1_16scan_by_key_implILNS1_25lookback_scan_determinismE0ELb0ES3_N6thrust23THRUST_200600_302600_NS6detail15normal_iteratorINSB_10device_ptrIjEEEENSD_INSE_IS6_EEEESI_S6_NSB_4plusIvEENSB_8equal_toIvEES6_EE10hipError_tPvRmT2_T3_T4_T5_mT6_T7_P12ihipStream_tbENKUlT_T0_E_clISt17integral_constantIbLb1EES12_IbLb0EEEEDaSY_SZ_EUlSY_E_NS1_11comp_targetILNS1_3genE4ELNS1_11target_archE910ELNS1_3gpuE8ELNS1_3repE0EEENS1_30default_config_static_selectorELNS0_4arch9wavefront6targetE1EEEvT1_: ; @_ZN7rocprim17ROCPRIM_400000_NS6detail17trampoline_kernelINS0_14default_configENS1_27scan_by_key_config_selectorIj11FixedVectorIiLj2EEEEZZNS1_16scan_by_key_implILNS1_25lookback_scan_determinismE0ELb0ES3_N6thrust23THRUST_200600_302600_NS6detail15normal_iteratorINSB_10device_ptrIjEEEENSD_INSE_IS6_EEEESI_S6_NSB_4plusIvEENSB_8equal_toIvEES6_EE10hipError_tPvRmT2_T3_T4_T5_mT6_T7_P12ihipStream_tbENKUlT_T0_E_clISt17integral_constantIbLb1EES12_IbLb0EEEEDaSY_SZ_EUlSY_E_NS1_11comp_targetILNS1_3genE4ELNS1_11target_archE910ELNS1_3gpuE8ELNS1_3repE0EEENS1_30default_config_static_selectorELNS0_4arch9wavefront6targetE1EEEvT1_
; %bb.0:
	.section	.rodata,"a",@progbits
	.p2align	6, 0x0
	.amdhsa_kernel _ZN7rocprim17ROCPRIM_400000_NS6detail17trampoline_kernelINS0_14default_configENS1_27scan_by_key_config_selectorIj11FixedVectorIiLj2EEEEZZNS1_16scan_by_key_implILNS1_25lookback_scan_determinismE0ELb0ES3_N6thrust23THRUST_200600_302600_NS6detail15normal_iteratorINSB_10device_ptrIjEEEENSD_INSE_IS6_EEEESI_S6_NSB_4plusIvEENSB_8equal_toIvEES6_EE10hipError_tPvRmT2_T3_T4_T5_mT6_T7_P12ihipStream_tbENKUlT_T0_E_clISt17integral_constantIbLb1EES12_IbLb0EEEEDaSY_SZ_EUlSY_E_NS1_11comp_targetILNS1_3genE4ELNS1_11target_archE910ELNS1_3gpuE8ELNS1_3repE0EEENS1_30default_config_static_selectorELNS0_4arch9wavefront6targetE1EEEvT1_
		.amdhsa_group_segment_fixed_size 0
		.amdhsa_private_segment_fixed_size 0
		.amdhsa_kernarg_size 120
		.amdhsa_user_sgpr_count 2
		.amdhsa_user_sgpr_dispatch_ptr 0
		.amdhsa_user_sgpr_queue_ptr 0
		.amdhsa_user_sgpr_kernarg_segment_ptr 1
		.amdhsa_user_sgpr_dispatch_id 0
		.amdhsa_user_sgpr_kernarg_preload_length 0
		.amdhsa_user_sgpr_kernarg_preload_offset 0
		.amdhsa_user_sgpr_private_segment_size 0
		.amdhsa_uses_dynamic_stack 0
		.amdhsa_enable_private_segment 0
		.amdhsa_system_sgpr_workgroup_id_x 1
		.amdhsa_system_sgpr_workgroup_id_y 0
		.amdhsa_system_sgpr_workgroup_id_z 0
		.amdhsa_system_sgpr_workgroup_info 0
		.amdhsa_system_vgpr_workitem_id 0
		.amdhsa_next_free_vgpr 1
		.amdhsa_next_free_sgpr 0
		.amdhsa_accum_offset 4
		.amdhsa_reserve_vcc 0
		.amdhsa_float_round_mode_32 0
		.amdhsa_float_round_mode_16_64 0
		.amdhsa_float_denorm_mode_32 3
		.amdhsa_float_denorm_mode_16_64 3
		.amdhsa_dx10_clamp 1
		.amdhsa_ieee_mode 1
		.amdhsa_fp16_overflow 0
		.amdhsa_tg_split 0
		.amdhsa_exception_fp_ieee_invalid_op 0
		.amdhsa_exception_fp_denorm_src 0
		.amdhsa_exception_fp_ieee_div_zero 0
		.amdhsa_exception_fp_ieee_overflow 0
		.amdhsa_exception_fp_ieee_underflow 0
		.amdhsa_exception_fp_ieee_inexact 0
		.amdhsa_exception_int_div_zero 0
	.end_amdhsa_kernel
	.section	.text._ZN7rocprim17ROCPRIM_400000_NS6detail17trampoline_kernelINS0_14default_configENS1_27scan_by_key_config_selectorIj11FixedVectorIiLj2EEEEZZNS1_16scan_by_key_implILNS1_25lookback_scan_determinismE0ELb0ES3_N6thrust23THRUST_200600_302600_NS6detail15normal_iteratorINSB_10device_ptrIjEEEENSD_INSE_IS6_EEEESI_S6_NSB_4plusIvEENSB_8equal_toIvEES6_EE10hipError_tPvRmT2_T3_T4_T5_mT6_T7_P12ihipStream_tbENKUlT_T0_E_clISt17integral_constantIbLb1EES12_IbLb0EEEEDaSY_SZ_EUlSY_E_NS1_11comp_targetILNS1_3genE4ELNS1_11target_archE910ELNS1_3gpuE8ELNS1_3repE0EEENS1_30default_config_static_selectorELNS0_4arch9wavefront6targetE1EEEvT1_,"axG",@progbits,_ZN7rocprim17ROCPRIM_400000_NS6detail17trampoline_kernelINS0_14default_configENS1_27scan_by_key_config_selectorIj11FixedVectorIiLj2EEEEZZNS1_16scan_by_key_implILNS1_25lookback_scan_determinismE0ELb0ES3_N6thrust23THRUST_200600_302600_NS6detail15normal_iteratorINSB_10device_ptrIjEEEENSD_INSE_IS6_EEEESI_S6_NSB_4plusIvEENSB_8equal_toIvEES6_EE10hipError_tPvRmT2_T3_T4_T5_mT6_T7_P12ihipStream_tbENKUlT_T0_E_clISt17integral_constantIbLb1EES12_IbLb0EEEEDaSY_SZ_EUlSY_E_NS1_11comp_targetILNS1_3genE4ELNS1_11target_archE910ELNS1_3gpuE8ELNS1_3repE0EEENS1_30default_config_static_selectorELNS0_4arch9wavefront6targetE1EEEvT1_,comdat
.Lfunc_end1976:
	.size	_ZN7rocprim17ROCPRIM_400000_NS6detail17trampoline_kernelINS0_14default_configENS1_27scan_by_key_config_selectorIj11FixedVectorIiLj2EEEEZZNS1_16scan_by_key_implILNS1_25lookback_scan_determinismE0ELb0ES3_N6thrust23THRUST_200600_302600_NS6detail15normal_iteratorINSB_10device_ptrIjEEEENSD_INSE_IS6_EEEESI_S6_NSB_4plusIvEENSB_8equal_toIvEES6_EE10hipError_tPvRmT2_T3_T4_T5_mT6_T7_P12ihipStream_tbENKUlT_T0_E_clISt17integral_constantIbLb1EES12_IbLb0EEEEDaSY_SZ_EUlSY_E_NS1_11comp_targetILNS1_3genE4ELNS1_11target_archE910ELNS1_3gpuE8ELNS1_3repE0EEENS1_30default_config_static_selectorELNS0_4arch9wavefront6targetE1EEEvT1_, .Lfunc_end1976-_ZN7rocprim17ROCPRIM_400000_NS6detail17trampoline_kernelINS0_14default_configENS1_27scan_by_key_config_selectorIj11FixedVectorIiLj2EEEEZZNS1_16scan_by_key_implILNS1_25lookback_scan_determinismE0ELb0ES3_N6thrust23THRUST_200600_302600_NS6detail15normal_iteratorINSB_10device_ptrIjEEEENSD_INSE_IS6_EEEESI_S6_NSB_4plusIvEENSB_8equal_toIvEES6_EE10hipError_tPvRmT2_T3_T4_T5_mT6_T7_P12ihipStream_tbENKUlT_T0_E_clISt17integral_constantIbLb1EES12_IbLb0EEEEDaSY_SZ_EUlSY_E_NS1_11comp_targetILNS1_3genE4ELNS1_11target_archE910ELNS1_3gpuE8ELNS1_3repE0EEENS1_30default_config_static_selectorELNS0_4arch9wavefront6targetE1EEEvT1_
                                        ; -- End function
	.section	.AMDGPU.csdata,"",@progbits
; Kernel info:
; codeLenInByte = 0
; NumSgprs: 6
; NumVgprs: 0
; NumAgprs: 0
; TotalNumVgprs: 0
; ScratchSize: 0
; MemoryBound: 0
; FloatMode: 240
; IeeeMode: 1
; LDSByteSize: 0 bytes/workgroup (compile time only)
; SGPRBlocks: 0
; VGPRBlocks: 0
; NumSGPRsForWavesPerEU: 6
; NumVGPRsForWavesPerEU: 1
; AccumOffset: 4
; Occupancy: 8
; WaveLimiterHint : 0
; COMPUTE_PGM_RSRC2:SCRATCH_EN: 0
; COMPUTE_PGM_RSRC2:USER_SGPR: 2
; COMPUTE_PGM_RSRC2:TRAP_HANDLER: 0
; COMPUTE_PGM_RSRC2:TGID_X_EN: 1
; COMPUTE_PGM_RSRC2:TGID_Y_EN: 0
; COMPUTE_PGM_RSRC2:TGID_Z_EN: 0
; COMPUTE_PGM_RSRC2:TIDIG_COMP_CNT: 0
; COMPUTE_PGM_RSRC3_GFX90A:ACCUM_OFFSET: 0
; COMPUTE_PGM_RSRC3_GFX90A:TG_SPLIT: 0
	.section	.text._ZN7rocprim17ROCPRIM_400000_NS6detail17trampoline_kernelINS0_14default_configENS1_27scan_by_key_config_selectorIj11FixedVectorIiLj2EEEEZZNS1_16scan_by_key_implILNS1_25lookback_scan_determinismE0ELb0ES3_N6thrust23THRUST_200600_302600_NS6detail15normal_iteratorINSB_10device_ptrIjEEEENSD_INSE_IS6_EEEESI_S6_NSB_4plusIvEENSB_8equal_toIvEES6_EE10hipError_tPvRmT2_T3_T4_T5_mT6_T7_P12ihipStream_tbENKUlT_T0_E_clISt17integral_constantIbLb1EES12_IbLb0EEEEDaSY_SZ_EUlSY_E_NS1_11comp_targetILNS1_3genE3ELNS1_11target_archE908ELNS1_3gpuE7ELNS1_3repE0EEENS1_30default_config_static_selectorELNS0_4arch9wavefront6targetE1EEEvT1_,"axG",@progbits,_ZN7rocprim17ROCPRIM_400000_NS6detail17trampoline_kernelINS0_14default_configENS1_27scan_by_key_config_selectorIj11FixedVectorIiLj2EEEEZZNS1_16scan_by_key_implILNS1_25lookback_scan_determinismE0ELb0ES3_N6thrust23THRUST_200600_302600_NS6detail15normal_iteratorINSB_10device_ptrIjEEEENSD_INSE_IS6_EEEESI_S6_NSB_4plusIvEENSB_8equal_toIvEES6_EE10hipError_tPvRmT2_T3_T4_T5_mT6_T7_P12ihipStream_tbENKUlT_T0_E_clISt17integral_constantIbLb1EES12_IbLb0EEEEDaSY_SZ_EUlSY_E_NS1_11comp_targetILNS1_3genE3ELNS1_11target_archE908ELNS1_3gpuE7ELNS1_3repE0EEENS1_30default_config_static_selectorELNS0_4arch9wavefront6targetE1EEEvT1_,comdat
	.protected	_ZN7rocprim17ROCPRIM_400000_NS6detail17trampoline_kernelINS0_14default_configENS1_27scan_by_key_config_selectorIj11FixedVectorIiLj2EEEEZZNS1_16scan_by_key_implILNS1_25lookback_scan_determinismE0ELb0ES3_N6thrust23THRUST_200600_302600_NS6detail15normal_iteratorINSB_10device_ptrIjEEEENSD_INSE_IS6_EEEESI_S6_NSB_4plusIvEENSB_8equal_toIvEES6_EE10hipError_tPvRmT2_T3_T4_T5_mT6_T7_P12ihipStream_tbENKUlT_T0_E_clISt17integral_constantIbLb1EES12_IbLb0EEEEDaSY_SZ_EUlSY_E_NS1_11comp_targetILNS1_3genE3ELNS1_11target_archE908ELNS1_3gpuE7ELNS1_3repE0EEENS1_30default_config_static_selectorELNS0_4arch9wavefront6targetE1EEEvT1_ ; -- Begin function _ZN7rocprim17ROCPRIM_400000_NS6detail17trampoline_kernelINS0_14default_configENS1_27scan_by_key_config_selectorIj11FixedVectorIiLj2EEEEZZNS1_16scan_by_key_implILNS1_25lookback_scan_determinismE0ELb0ES3_N6thrust23THRUST_200600_302600_NS6detail15normal_iteratorINSB_10device_ptrIjEEEENSD_INSE_IS6_EEEESI_S6_NSB_4plusIvEENSB_8equal_toIvEES6_EE10hipError_tPvRmT2_T3_T4_T5_mT6_T7_P12ihipStream_tbENKUlT_T0_E_clISt17integral_constantIbLb1EES12_IbLb0EEEEDaSY_SZ_EUlSY_E_NS1_11comp_targetILNS1_3genE3ELNS1_11target_archE908ELNS1_3gpuE7ELNS1_3repE0EEENS1_30default_config_static_selectorELNS0_4arch9wavefront6targetE1EEEvT1_
	.globl	_ZN7rocprim17ROCPRIM_400000_NS6detail17trampoline_kernelINS0_14default_configENS1_27scan_by_key_config_selectorIj11FixedVectorIiLj2EEEEZZNS1_16scan_by_key_implILNS1_25lookback_scan_determinismE0ELb0ES3_N6thrust23THRUST_200600_302600_NS6detail15normal_iteratorINSB_10device_ptrIjEEEENSD_INSE_IS6_EEEESI_S6_NSB_4plusIvEENSB_8equal_toIvEES6_EE10hipError_tPvRmT2_T3_T4_T5_mT6_T7_P12ihipStream_tbENKUlT_T0_E_clISt17integral_constantIbLb1EES12_IbLb0EEEEDaSY_SZ_EUlSY_E_NS1_11comp_targetILNS1_3genE3ELNS1_11target_archE908ELNS1_3gpuE7ELNS1_3repE0EEENS1_30default_config_static_selectorELNS0_4arch9wavefront6targetE1EEEvT1_
	.p2align	8
	.type	_ZN7rocprim17ROCPRIM_400000_NS6detail17trampoline_kernelINS0_14default_configENS1_27scan_by_key_config_selectorIj11FixedVectorIiLj2EEEEZZNS1_16scan_by_key_implILNS1_25lookback_scan_determinismE0ELb0ES3_N6thrust23THRUST_200600_302600_NS6detail15normal_iteratorINSB_10device_ptrIjEEEENSD_INSE_IS6_EEEESI_S6_NSB_4plusIvEENSB_8equal_toIvEES6_EE10hipError_tPvRmT2_T3_T4_T5_mT6_T7_P12ihipStream_tbENKUlT_T0_E_clISt17integral_constantIbLb1EES12_IbLb0EEEEDaSY_SZ_EUlSY_E_NS1_11comp_targetILNS1_3genE3ELNS1_11target_archE908ELNS1_3gpuE7ELNS1_3repE0EEENS1_30default_config_static_selectorELNS0_4arch9wavefront6targetE1EEEvT1_,@function
_ZN7rocprim17ROCPRIM_400000_NS6detail17trampoline_kernelINS0_14default_configENS1_27scan_by_key_config_selectorIj11FixedVectorIiLj2EEEEZZNS1_16scan_by_key_implILNS1_25lookback_scan_determinismE0ELb0ES3_N6thrust23THRUST_200600_302600_NS6detail15normal_iteratorINSB_10device_ptrIjEEEENSD_INSE_IS6_EEEESI_S6_NSB_4plusIvEENSB_8equal_toIvEES6_EE10hipError_tPvRmT2_T3_T4_T5_mT6_T7_P12ihipStream_tbENKUlT_T0_E_clISt17integral_constantIbLb1EES12_IbLb0EEEEDaSY_SZ_EUlSY_E_NS1_11comp_targetILNS1_3genE3ELNS1_11target_archE908ELNS1_3gpuE7ELNS1_3repE0EEENS1_30default_config_static_selectorELNS0_4arch9wavefront6targetE1EEEvT1_: ; @_ZN7rocprim17ROCPRIM_400000_NS6detail17trampoline_kernelINS0_14default_configENS1_27scan_by_key_config_selectorIj11FixedVectorIiLj2EEEEZZNS1_16scan_by_key_implILNS1_25lookback_scan_determinismE0ELb0ES3_N6thrust23THRUST_200600_302600_NS6detail15normal_iteratorINSB_10device_ptrIjEEEENSD_INSE_IS6_EEEESI_S6_NSB_4plusIvEENSB_8equal_toIvEES6_EE10hipError_tPvRmT2_T3_T4_T5_mT6_T7_P12ihipStream_tbENKUlT_T0_E_clISt17integral_constantIbLb1EES12_IbLb0EEEEDaSY_SZ_EUlSY_E_NS1_11comp_targetILNS1_3genE3ELNS1_11target_archE908ELNS1_3gpuE7ELNS1_3repE0EEENS1_30default_config_static_selectorELNS0_4arch9wavefront6targetE1EEEvT1_
; %bb.0:
	.section	.rodata,"a",@progbits
	.p2align	6, 0x0
	.amdhsa_kernel _ZN7rocprim17ROCPRIM_400000_NS6detail17trampoline_kernelINS0_14default_configENS1_27scan_by_key_config_selectorIj11FixedVectorIiLj2EEEEZZNS1_16scan_by_key_implILNS1_25lookback_scan_determinismE0ELb0ES3_N6thrust23THRUST_200600_302600_NS6detail15normal_iteratorINSB_10device_ptrIjEEEENSD_INSE_IS6_EEEESI_S6_NSB_4plusIvEENSB_8equal_toIvEES6_EE10hipError_tPvRmT2_T3_T4_T5_mT6_T7_P12ihipStream_tbENKUlT_T0_E_clISt17integral_constantIbLb1EES12_IbLb0EEEEDaSY_SZ_EUlSY_E_NS1_11comp_targetILNS1_3genE3ELNS1_11target_archE908ELNS1_3gpuE7ELNS1_3repE0EEENS1_30default_config_static_selectorELNS0_4arch9wavefront6targetE1EEEvT1_
		.amdhsa_group_segment_fixed_size 0
		.amdhsa_private_segment_fixed_size 0
		.amdhsa_kernarg_size 120
		.amdhsa_user_sgpr_count 2
		.amdhsa_user_sgpr_dispatch_ptr 0
		.amdhsa_user_sgpr_queue_ptr 0
		.amdhsa_user_sgpr_kernarg_segment_ptr 1
		.amdhsa_user_sgpr_dispatch_id 0
		.amdhsa_user_sgpr_kernarg_preload_length 0
		.amdhsa_user_sgpr_kernarg_preload_offset 0
		.amdhsa_user_sgpr_private_segment_size 0
		.amdhsa_uses_dynamic_stack 0
		.amdhsa_enable_private_segment 0
		.amdhsa_system_sgpr_workgroup_id_x 1
		.amdhsa_system_sgpr_workgroup_id_y 0
		.amdhsa_system_sgpr_workgroup_id_z 0
		.amdhsa_system_sgpr_workgroup_info 0
		.amdhsa_system_vgpr_workitem_id 0
		.amdhsa_next_free_vgpr 1
		.amdhsa_next_free_sgpr 0
		.amdhsa_accum_offset 4
		.amdhsa_reserve_vcc 0
		.amdhsa_float_round_mode_32 0
		.amdhsa_float_round_mode_16_64 0
		.amdhsa_float_denorm_mode_32 3
		.amdhsa_float_denorm_mode_16_64 3
		.amdhsa_dx10_clamp 1
		.amdhsa_ieee_mode 1
		.amdhsa_fp16_overflow 0
		.amdhsa_tg_split 0
		.amdhsa_exception_fp_ieee_invalid_op 0
		.amdhsa_exception_fp_denorm_src 0
		.amdhsa_exception_fp_ieee_div_zero 0
		.amdhsa_exception_fp_ieee_overflow 0
		.amdhsa_exception_fp_ieee_underflow 0
		.amdhsa_exception_fp_ieee_inexact 0
		.amdhsa_exception_int_div_zero 0
	.end_amdhsa_kernel
	.section	.text._ZN7rocprim17ROCPRIM_400000_NS6detail17trampoline_kernelINS0_14default_configENS1_27scan_by_key_config_selectorIj11FixedVectorIiLj2EEEEZZNS1_16scan_by_key_implILNS1_25lookback_scan_determinismE0ELb0ES3_N6thrust23THRUST_200600_302600_NS6detail15normal_iteratorINSB_10device_ptrIjEEEENSD_INSE_IS6_EEEESI_S6_NSB_4plusIvEENSB_8equal_toIvEES6_EE10hipError_tPvRmT2_T3_T4_T5_mT6_T7_P12ihipStream_tbENKUlT_T0_E_clISt17integral_constantIbLb1EES12_IbLb0EEEEDaSY_SZ_EUlSY_E_NS1_11comp_targetILNS1_3genE3ELNS1_11target_archE908ELNS1_3gpuE7ELNS1_3repE0EEENS1_30default_config_static_selectorELNS0_4arch9wavefront6targetE1EEEvT1_,"axG",@progbits,_ZN7rocprim17ROCPRIM_400000_NS6detail17trampoline_kernelINS0_14default_configENS1_27scan_by_key_config_selectorIj11FixedVectorIiLj2EEEEZZNS1_16scan_by_key_implILNS1_25lookback_scan_determinismE0ELb0ES3_N6thrust23THRUST_200600_302600_NS6detail15normal_iteratorINSB_10device_ptrIjEEEENSD_INSE_IS6_EEEESI_S6_NSB_4plusIvEENSB_8equal_toIvEES6_EE10hipError_tPvRmT2_T3_T4_T5_mT6_T7_P12ihipStream_tbENKUlT_T0_E_clISt17integral_constantIbLb1EES12_IbLb0EEEEDaSY_SZ_EUlSY_E_NS1_11comp_targetILNS1_3genE3ELNS1_11target_archE908ELNS1_3gpuE7ELNS1_3repE0EEENS1_30default_config_static_selectorELNS0_4arch9wavefront6targetE1EEEvT1_,comdat
.Lfunc_end1977:
	.size	_ZN7rocprim17ROCPRIM_400000_NS6detail17trampoline_kernelINS0_14default_configENS1_27scan_by_key_config_selectorIj11FixedVectorIiLj2EEEEZZNS1_16scan_by_key_implILNS1_25lookback_scan_determinismE0ELb0ES3_N6thrust23THRUST_200600_302600_NS6detail15normal_iteratorINSB_10device_ptrIjEEEENSD_INSE_IS6_EEEESI_S6_NSB_4plusIvEENSB_8equal_toIvEES6_EE10hipError_tPvRmT2_T3_T4_T5_mT6_T7_P12ihipStream_tbENKUlT_T0_E_clISt17integral_constantIbLb1EES12_IbLb0EEEEDaSY_SZ_EUlSY_E_NS1_11comp_targetILNS1_3genE3ELNS1_11target_archE908ELNS1_3gpuE7ELNS1_3repE0EEENS1_30default_config_static_selectorELNS0_4arch9wavefront6targetE1EEEvT1_, .Lfunc_end1977-_ZN7rocprim17ROCPRIM_400000_NS6detail17trampoline_kernelINS0_14default_configENS1_27scan_by_key_config_selectorIj11FixedVectorIiLj2EEEEZZNS1_16scan_by_key_implILNS1_25lookback_scan_determinismE0ELb0ES3_N6thrust23THRUST_200600_302600_NS6detail15normal_iteratorINSB_10device_ptrIjEEEENSD_INSE_IS6_EEEESI_S6_NSB_4plusIvEENSB_8equal_toIvEES6_EE10hipError_tPvRmT2_T3_T4_T5_mT6_T7_P12ihipStream_tbENKUlT_T0_E_clISt17integral_constantIbLb1EES12_IbLb0EEEEDaSY_SZ_EUlSY_E_NS1_11comp_targetILNS1_3genE3ELNS1_11target_archE908ELNS1_3gpuE7ELNS1_3repE0EEENS1_30default_config_static_selectorELNS0_4arch9wavefront6targetE1EEEvT1_
                                        ; -- End function
	.section	.AMDGPU.csdata,"",@progbits
; Kernel info:
; codeLenInByte = 0
; NumSgprs: 6
; NumVgprs: 0
; NumAgprs: 0
; TotalNumVgprs: 0
; ScratchSize: 0
; MemoryBound: 0
; FloatMode: 240
; IeeeMode: 1
; LDSByteSize: 0 bytes/workgroup (compile time only)
; SGPRBlocks: 0
; VGPRBlocks: 0
; NumSGPRsForWavesPerEU: 6
; NumVGPRsForWavesPerEU: 1
; AccumOffset: 4
; Occupancy: 8
; WaveLimiterHint : 0
; COMPUTE_PGM_RSRC2:SCRATCH_EN: 0
; COMPUTE_PGM_RSRC2:USER_SGPR: 2
; COMPUTE_PGM_RSRC2:TRAP_HANDLER: 0
; COMPUTE_PGM_RSRC2:TGID_X_EN: 1
; COMPUTE_PGM_RSRC2:TGID_Y_EN: 0
; COMPUTE_PGM_RSRC2:TGID_Z_EN: 0
; COMPUTE_PGM_RSRC2:TIDIG_COMP_CNT: 0
; COMPUTE_PGM_RSRC3_GFX90A:ACCUM_OFFSET: 0
; COMPUTE_PGM_RSRC3_GFX90A:TG_SPLIT: 0
	.section	.text._ZN7rocprim17ROCPRIM_400000_NS6detail17trampoline_kernelINS0_14default_configENS1_27scan_by_key_config_selectorIj11FixedVectorIiLj2EEEEZZNS1_16scan_by_key_implILNS1_25lookback_scan_determinismE0ELb0ES3_N6thrust23THRUST_200600_302600_NS6detail15normal_iteratorINSB_10device_ptrIjEEEENSD_INSE_IS6_EEEESI_S6_NSB_4plusIvEENSB_8equal_toIvEES6_EE10hipError_tPvRmT2_T3_T4_T5_mT6_T7_P12ihipStream_tbENKUlT_T0_E_clISt17integral_constantIbLb1EES12_IbLb0EEEEDaSY_SZ_EUlSY_E_NS1_11comp_targetILNS1_3genE2ELNS1_11target_archE906ELNS1_3gpuE6ELNS1_3repE0EEENS1_30default_config_static_selectorELNS0_4arch9wavefront6targetE1EEEvT1_,"axG",@progbits,_ZN7rocprim17ROCPRIM_400000_NS6detail17trampoline_kernelINS0_14default_configENS1_27scan_by_key_config_selectorIj11FixedVectorIiLj2EEEEZZNS1_16scan_by_key_implILNS1_25lookback_scan_determinismE0ELb0ES3_N6thrust23THRUST_200600_302600_NS6detail15normal_iteratorINSB_10device_ptrIjEEEENSD_INSE_IS6_EEEESI_S6_NSB_4plusIvEENSB_8equal_toIvEES6_EE10hipError_tPvRmT2_T3_T4_T5_mT6_T7_P12ihipStream_tbENKUlT_T0_E_clISt17integral_constantIbLb1EES12_IbLb0EEEEDaSY_SZ_EUlSY_E_NS1_11comp_targetILNS1_3genE2ELNS1_11target_archE906ELNS1_3gpuE6ELNS1_3repE0EEENS1_30default_config_static_selectorELNS0_4arch9wavefront6targetE1EEEvT1_,comdat
	.protected	_ZN7rocprim17ROCPRIM_400000_NS6detail17trampoline_kernelINS0_14default_configENS1_27scan_by_key_config_selectorIj11FixedVectorIiLj2EEEEZZNS1_16scan_by_key_implILNS1_25lookback_scan_determinismE0ELb0ES3_N6thrust23THRUST_200600_302600_NS6detail15normal_iteratorINSB_10device_ptrIjEEEENSD_INSE_IS6_EEEESI_S6_NSB_4plusIvEENSB_8equal_toIvEES6_EE10hipError_tPvRmT2_T3_T4_T5_mT6_T7_P12ihipStream_tbENKUlT_T0_E_clISt17integral_constantIbLb1EES12_IbLb0EEEEDaSY_SZ_EUlSY_E_NS1_11comp_targetILNS1_3genE2ELNS1_11target_archE906ELNS1_3gpuE6ELNS1_3repE0EEENS1_30default_config_static_selectorELNS0_4arch9wavefront6targetE1EEEvT1_ ; -- Begin function _ZN7rocprim17ROCPRIM_400000_NS6detail17trampoline_kernelINS0_14default_configENS1_27scan_by_key_config_selectorIj11FixedVectorIiLj2EEEEZZNS1_16scan_by_key_implILNS1_25lookback_scan_determinismE0ELb0ES3_N6thrust23THRUST_200600_302600_NS6detail15normal_iteratorINSB_10device_ptrIjEEEENSD_INSE_IS6_EEEESI_S6_NSB_4plusIvEENSB_8equal_toIvEES6_EE10hipError_tPvRmT2_T3_T4_T5_mT6_T7_P12ihipStream_tbENKUlT_T0_E_clISt17integral_constantIbLb1EES12_IbLb0EEEEDaSY_SZ_EUlSY_E_NS1_11comp_targetILNS1_3genE2ELNS1_11target_archE906ELNS1_3gpuE6ELNS1_3repE0EEENS1_30default_config_static_selectorELNS0_4arch9wavefront6targetE1EEEvT1_
	.globl	_ZN7rocprim17ROCPRIM_400000_NS6detail17trampoline_kernelINS0_14default_configENS1_27scan_by_key_config_selectorIj11FixedVectorIiLj2EEEEZZNS1_16scan_by_key_implILNS1_25lookback_scan_determinismE0ELb0ES3_N6thrust23THRUST_200600_302600_NS6detail15normal_iteratorINSB_10device_ptrIjEEEENSD_INSE_IS6_EEEESI_S6_NSB_4plusIvEENSB_8equal_toIvEES6_EE10hipError_tPvRmT2_T3_T4_T5_mT6_T7_P12ihipStream_tbENKUlT_T0_E_clISt17integral_constantIbLb1EES12_IbLb0EEEEDaSY_SZ_EUlSY_E_NS1_11comp_targetILNS1_3genE2ELNS1_11target_archE906ELNS1_3gpuE6ELNS1_3repE0EEENS1_30default_config_static_selectorELNS0_4arch9wavefront6targetE1EEEvT1_
	.p2align	8
	.type	_ZN7rocprim17ROCPRIM_400000_NS6detail17trampoline_kernelINS0_14default_configENS1_27scan_by_key_config_selectorIj11FixedVectorIiLj2EEEEZZNS1_16scan_by_key_implILNS1_25lookback_scan_determinismE0ELb0ES3_N6thrust23THRUST_200600_302600_NS6detail15normal_iteratorINSB_10device_ptrIjEEEENSD_INSE_IS6_EEEESI_S6_NSB_4plusIvEENSB_8equal_toIvEES6_EE10hipError_tPvRmT2_T3_T4_T5_mT6_T7_P12ihipStream_tbENKUlT_T0_E_clISt17integral_constantIbLb1EES12_IbLb0EEEEDaSY_SZ_EUlSY_E_NS1_11comp_targetILNS1_3genE2ELNS1_11target_archE906ELNS1_3gpuE6ELNS1_3repE0EEENS1_30default_config_static_selectorELNS0_4arch9wavefront6targetE1EEEvT1_,@function
_ZN7rocprim17ROCPRIM_400000_NS6detail17trampoline_kernelINS0_14default_configENS1_27scan_by_key_config_selectorIj11FixedVectorIiLj2EEEEZZNS1_16scan_by_key_implILNS1_25lookback_scan_determinismE0ELb0ES3_N6thrust23THRUST_200600_302600_NS6detail15normal_iteratorINSB_10device_ptrIjEEEENSD_INSE_IS6_EEEESI_S6_NSB_4plusIvEENSB_8equal_toIvEES6_EE10hipError_tPvRmT2_T3_T4_T5_mT6_T7_P12ihipStream_tbENKUlT_T0_E_clISt17integral_constantIbLb1EES12_IbLb0EEEEDaSY_SZ_EUlSY_E_NS1_11comp_targetILNS1_3genE2ELNS1_11target_archE906ELNS1_3gpuE6ELNS1_3repE0EEENS1_30default_config_static_selectorELNS0_4arch9wavefront6targetE1EEEvT1_: ; @_ZN7rocprim17ROCPRIM_400000_NS6detail17trampoline_kernelINS0_14default_configENS1_27scan_by_key_config_selectorIj11FixedVectorIiLj2EEEEZZNS1_16scan_by_key_implILNS1_25lookback_scan_determinismE0ELb0ES3_N6thrust23THRUST_200600_302600_NS6detail15normal_iteratorINSB_10device_ptrIjEEEENSD_INSE_IS6_EEEESI_S6_NSB_4plusIvEENSB_8equal_toIvEES6_EE10hipError_tPvRmT2_T3_T4_T5_mT6_T7_P12ihipStream_tbENKUlT_T0_E_clISt17integral_constantIbLb1EES12_IbLb0EEEEDaSY_SZ_EUlSY_E_NS1_11comp_targetILNS1_3genE2ELNS1_11target_archE906ELNS1_3gpuE6ELNS1_3repE0EEENS1_30default_config_static_selectorELNS0_4arch9wavefront6targetE1EEEvT1_
; %bb.0:
	.section	.rodata,"a",@progbits
	.p2align	6, 0x0
	.amdhsa_kernel _ZN7rocprim17ROCPRIM_400000_NS6detail17trampoline_kernelINS0_14default_configENS1_27scan_by_key_config_selectorIj11FixedVectorIiLj2EEEEZZNS1_16scan_by_key_implILNS1_25lookback_scan_determinismE0ELb0ES3_N6thrust23THRUST_200600_302600_NS6detail15normal_iteratorINSB_10device_ptrIjEEEENSD_INSE_IS6_EEEESI_S6_NSB_4plusIvEENSB_8equal_toIvEES6_EE10hipError_tPvRmT2_T3_T4_T5_mT6_T7_P12ihipStream_tbENKUlT_T0_E_clISt17integral_constantIbLb1EES12_IbLb0EEEEDaSY_SZ_EUlSY_E_NS1_11comp_targetILNS1_3genE2ELNS1_11target_archE906ELNS1_3gpuE6ELNS1_3repE0EEENS1_30default_config_static_selectorELNS0_4arch9wavefront6targetE1EEEvT1_
		.amdhsa_group_segment_fixed_size 0
		.amdhsa_private_segment_fixed_size 0
		.amdhsa_kernarg_size 120
		.amdhsa_user_sgpr_count 2
		.amdhsa_user_sgpr_dispatch_ptr 0
		.amdhsa_user_sgpr_queue_ptr 0
		.amdhsa_user_sgpr_kernarg_segment_ptr 1
		.amdhsa_user_sgpr_dispatch_id 0
		.amdhsa_user_sgpr_kernarg_preload_length 0
		.amdhsa_user_sgpr_kernarg_preload_offset 0
		.amdhsa_user_sgpr_private_segment_size 0
		.amdhsa_uses_dynamic_stack 0
		.amdhsa_enable_private_segment 0
		.amdhsa_system_sgpr_workgroup_id_x 1
		.amdhsa_system_sgpr_workgroup_id_y 0
		.amdhsa_system_sgpr_workgroup_id_z 0
		.amdhsa_system_sgpr_workgroup_info 0
		.amdhsa_system_vgpr_workitem_id 0
		.amdhsa_next_free_vgpr 1
		.amdhsa_next_free_sgpr 0
		.amdhsa_accum_offset 4
		.amdhsa_reserve_vcc 0
		.amdhsa_float_round_mode_32 0
		.amdhsa_float_round_mode_16_64 0
		.amdhsa_float_denorm_mode_32 3
		.amdhsa_float_denorm_mode_16_64 3
		.amdhsa_dx10_clamp 1
		.amdhsa_ieee_mode 1
		.amdhsa_fp16_overflow 0
		.amdhsa_tg_split 0
		.amdhsa_exception_fp_ieee_invalid_op 0
		.amdhsa_exception_fp_denorm_src 0
		.amdhsa_exception_fp_ieee_div_zero 0
		.amdhsa_exception_fp_ieee_overflow 0
		.amdhsa_exception_fp_ieee_underflow 0
		.amdhsa_exception_fp_ieee_inexact 0
		.amdhsa_exception_int_div_zero 0
	.end_amdhsa_kernel
	.section	.text._ZN7rocprim17ROCPRIM_400000_NS6detail17trampoline_kernelINS0_14default_configENS1_27scan_by_key_config_selectorIj11FixedVectorIiLj2EEEEZZNS1_16scan_by_key_implILNS1_25lookback_scan_determinismE0ELb0ES3_N6thrust23THRUST_200600_302600_NS6detail15normal_iteratorINSB_10device_ptrIjEEEENSD_INSE_IS6_EEEESI_S6_NSB_4plusIvEENSB_8equal_toIvEES6_EE10hipError_tPvRmT2_T3_T4_T5_mT6_T7_P12ihipStream_tbENKUlT_T0_E_clISt17integral_constantIbLb1EES12_IbLb0EEEEDaSY_SZ_EUlSY_E_NS1_11comp_targetILNS1_3genE2ELNS1_11target_archE906ELNS1_3gpuE6ELNS1_3repE0EEENS1_30default_config_static_selectorELNS0_4arch9wavefront6targetE1EEEvT1_,"axG",@progbits,_ZN7rocprim17ROCPRIM_400000_NS6detail17trampoline_kernelINS0_14default_configENS1_27scan_by_key_config_selectorIj11FixedVectorIiLj2EEEEZZNS1_16scan_by_key_implILNS1_25lookback_scan_determinismE0ELb0ES3_N6thrust23THRUST_200600_302600_NS6detail15normal_iteratorINSB_10device_ptrIjEEEENSD_INSE_IS6_EEEESI_S6_NSB_4plusIvEENSB_8equal_toIvEES6_EE10hipError_tPvRmT2_T3_T4_T5_mT6_T7_P12ihipStream_tbENKUlT_T0_E_clISt17integral_constantIbLb1EES12_IbLb0EEEEDaSY_SZ_EUlSY_E_NS1_11comp_targetILNS1_3genE2ELNS1_11target_archE906ELNS1_3gpuE6ELNS1_3repE0EEENS1_30default_config_static_selectorELNS0_4arch9wavefront6targetE1EEEvT1_,comdat
.Lfunc_end1978:
	.size	_ZN7rocprim17ROCPRIM_400000_NS6detail17trampoline_kernelINS0_14default_configENS1_27scan_by_key_config_selectorIj11FixedVectorIiLj2EEEEZZNS1_16scan_by_key_implILNS1_25lookback_scan_determinismE0ELb0ES3_N6thrust23THRUST_200600_302600_NS6detail15normal_iteratorINSB_10device_ptrIjEEEENSD_INSE_IS6_EEEESI_S6_NSB_4plusIvEENSB_8equal_toIvEES6_EE10hipError_tPvRmT2_T3_T4_T5_mT6_T7_P12ihipStream_tbENKUlT_T0_E_clISt17integral_constantIbLb1EES12_IbLb0EEEEDaSY_SZ_EUlSY_E_NS1_11comp_targetILNS1_3genE2ELNS1_11target_archE906ELNS1_3gpuE6ELNS1_3repE0EEENS1_30default_config_static_selectorELNS0_4arch9wavefront6targetE1EEEvT1_, .Lfunc_end1978-_ZN7rocprim17ROCPRIM_400000_NS6detail17trampoline_kernelINS0_14default_configENS1_27scan_by_key_config_selectorIj11FixedVectorIiLj2EEEEZZNS1_16scan_by_key_implILNS1_25lookback_scan_determinismE0ELb0ES3_N6thrust23THRUST_200600_302600_NS6detail15normal_iteratorINSB_10device_ptrIjEEEENSD_INSE_IS6_EEEESI_S6_NSB_4plusIvEENSB_8equal_toIvEES6_EE10hipError_tPvRmT2_T3_T4_T5_mT6_T7_P12ihipStream_tbENKUlT_T0_E_clISt17integral_constantIbLb1EES12_IbLb0EEEEDaSY_SZ_EUlSY_E_NS1_11comp_targetILNS1_3genE2ELNS1_11target_archE906ELNS1_3gpuE6ELNS1_3repE0EEENS1_30default_config_static_selectorELNS0_4arch9wavefront6targetE1EEEvT1_
                                        ; -- End function
	.section	.AMDGPU.csdata,"",@progbits
; Kernel info:
; codeLenInByte = 0
; NumSgprs: 6
; NumVgprs: 0
; NumAgprs: 0
; TotalNumVgprs: 0
; ScratchSize: 0
; MemoryBound: 0
; FloatMode: 240
; IeeeMode: 1
; LDSByteSize: 0 bytes/workgroup (compile time only)
; SGPRBlocks: 0
; VGPRBlocks: 0
; NumSGPRsForWavesPerEU: 6
; NumVGPRsForWavesPerEU: 1
; AccumOffset: 4
; Occupancy: 8
; WaveLimiterHint : 0
; COMPUTE_PGM_RSRC2:SCRATCH_EN: 0
; COMPUTE_PGM_RSRC2:USER_SGPR: 2
; COMPUTE_PGM_RSRC2:TRAP_HANDLER: 0
; COMPUTE_PGM_RSRC2:TGID_X_EN: 1
; COMPUTE_PGM_RSRC2:TGID_Y_EN: 0
; COMPUTE_PGM_RSRC2:TGID_Z_EN: 0
; COMPUTE_PGM_RSRC2:TIDIG_COMP_CNT: 0
; COMPUTE_PGM_RSRC3_GFX90A:ACCUM_OFFSET: 0
; COMPUTE_PGM_RSRC3_GFX90A:TG_SPLIT: 0
	.section	.text._ZN7rocprim17ROCPRIM_400000_NS6detail17trampoline_kernelINS0_14default_configENS1_27scan_by_key_config_selectorIj11FixedVectorIiLj2EEEEZZNS1_16scan_by_key_implILNS1_25lookback_scan_determinismE0ELb0ES3_N6thrust23THRUST_200600_302600_NS6detail15normal_iteratorINSB_10device_ptrIjEEEENSD_INSE_IS6_EEEESI_S6_NSB_4plusIvEENSB_8equal_toIvEES6_EE10hipError_tPvRmT2_T3_T4_T5_mT6_T7_P12ihipStream_tbENKUlT_T0_E_clISt17integral_constantIbLb1EES12_IbLb0EEEEDaSY_SZ_EUlSY_E_NS1_11comp_targetILNS1_3genE10ELNS1_11target_archE1200ELNS1_3gpuE4ELNS1_3repE0EEENS1_30default_config_static_selectorELNS0_4arch9wavefront6targetE1EEEvT1_,"axG",@progbits,_ZN7rocprim17ROCPRIM_400000_NS6detail17trampoline_kernelINS0_14default_configENS1_27scan_by_key_config_selectorIj11FixedVectorIiLj2EEEEZZNS1_16scan_by_key_implILNS1_25lookback_scan_determinismE0ELb0ES3_N6thrust23THRUST_200600_302600_NS6detail15normal_iteratorINSB_10device_ptrIjEEEENSD_INSE_IS6_EEEESI_S6_NSB_4plusIvEENSB_8equal_toIvEES6_EE10hipError_tPvRmT2_T3_T4_T5_mT6_T7_P12ihipStream_tbENKUlT_T0_E_clISt17integral_constantIbLb1EES12_IbLb0EEEEDaSY_SZ_EUlSY_E_NS1_11comp_targetILNS1_3genE10ELNS1_11target_archE1200ELNS1_3gpuE4ELNS1_3repE0EEENS1_30default_config_static_selectorELNS0_4arch9wavefront6targetE1EEEvT1_,comdat
	.protected	_ZN7rocprim17ROCPRIM_400000_NS6detail17trampoline_kernelINS0_14default_configENS1_27scan_by_key_config_selectorIj11FixedVectorIiLj2EEEEZZNS1_16scan_by_key_implILNS1_25lookback_scan_determinismE0ELb0ES3_N6thrust23THRUST_200600_302600_NS6detail15normal_iteratorINSB_10device_ptrIjEEEENSD_INSE_IS6_EEEESI_S6_NSB_4plusIvEENSB_8equal_toIvEES6_EE10hipError_tPvRmT2_T3_T4_T5_mT6_T7_P12ihipStream_tbENKUlT_T0_E_clISt17integral_constantIbLb1EES12_IbLb0EEEEDaSY_SZ_EUlSY_E_NS1_11comp_targetILNS1_3genE10ELNS1_11target_archE1200ELNS1_3gpuE4ELNS1_3repE0EEENS1_30default_config_static_selectorELNS0_4arch9wavefront6targetE1EEEvT1_ ; -- Begin function _ZN7rocprim17ROCPRIM_400000_NS6detail17trampoline_kernelINS0_14default_configENS1_27scan_by_key_config_selectorIj11FixedVectorIiLj2EEEEZZNS1_16scan_by_key_implILNS1_25lookback_scan_determinismE0ELb0ES3_N6thrust23THRUST_200600_302600_NS6detail15normal_iteratorINSB_10device_ptrIjEEEENSD_INSE_IS6_EEEESI_S6_NSB_4plusIvEENSB_8equal_toIvEES6_EE10hipError_tPvRmT2_T3_T4_T5_mT6_T7_P12ihipStream_tbENKUlT_T0_E_clISt17integral_constantIbLb1EES12_IbLb0EEEEDaSY_SZ_EUlSY_E_NS1_11comp_targetILNS1_3genE10ELNS1_11target_archE1200ELNS1_3gpuE4ELNS1_3repE0EEENS1_30default_config_static_selectorELNS0_4arch9wavefront6targetE1EEEvT1_
	.globl	_ZN7rocprim17ROCPRIM_400000_NS6detail17trampoline_kernelINS0_14default_configENS1_27scan_by_key_config_selectorIj11FixedVectorIiLj2EEEEZZNS1_16scan_by_key_implILNS1_25lookback_scan_determinismE0ELb0ES3_N6thrust23THRUST_200600_302600_NS6detail15normal_iteratorINSB_10device_ptrIjEEEENSD_INSE_IS6_EEEESI_S6_NSB_4plusIvEENSB_8equal_toIvEES6_EE10hipError_tPvRmT2_T3_T4_T5_mT6_T7_P12ihipStream_tbENKUlT_T0_E_clISt17integral_constantIbLb1EES12_IbLb0EEEEDaSY_SZ_EUlSY_E_NS1_11comp_targetILNS1_3genE10ELNS1_11target_archE1200ELNS1_3gpuE4ELNS1_3repE0EEENS1_30default_config_static_selectorELNS0_4arch9wavefront6targetE1EEEvT1_
	.p2align	8
	.type	_ZN7rocprim17ROCPRIM_400000_NS6detail17trampoline_kernelINS0_14default_configENS1_27scan_by_key_config_selectorIj11FixedVectorIiLj2EEEEZZNS1_16scan_by_key_implILNS1_25lookback_scan_determinismE0ELb0ES3_N6thrust23THRUST_200600_302600_NS6detail15normal_iteratorINSB_10device_ptrIjEEEENSD_INSE_IS6_EEEESI_S6_NSB_4plusIvEENSB_8equal_toIvEES6_EE10hipError_tPvRmT2_T3_T4_T5_mT6_T7_P12ihipStream_tbENKUlT_T0_E_clISt17integral_constantIbLb1EES12_IbLb0EEEEDaSY_SZ_EUlSY_E_NS1_11comp_targetILNS1_3genE10ELNS1_11target_archE1200ELNS1_3gpuE4ELNS1_3repE0EEENS1_30default_config_static_selectorELNS0_4arch9wavefront6targetE1EEEvT1_,@function
_ZN7rocprim17ROCPRIM_400000_NS6detail17trampoline_kernelINS0_14default_configENS1_27scan_by_key_config_selectorIj11FixedVectorIiLj2EEEEZZNS1_16scan_by_key_implILNS1_25lookback_scan_determinismE0ELb0ES3_N6thrust23THRUST_200600_302600_NS6detail15normal_iteratorINSB_10device_ptrIjEEEENSD_INSE_IS6_EEEESI_S6_NSB_4plusIvEENSB_8equal_toIvEES6_EE10hipError_tPvRmT2_T3_T4_T5_mT6_T7_P12ihipStream_tbENKUlT_T0_E_clISt17integral_constantIbLb1EES12_IbLb0EEEEDaSY_SZ_EUlSY_E_NS1_11comp_targetILNS1_3genE10ELNS1_11target_archE1200ELNS1_3gpuE4ELNS1_3repE0EEENS1_30default_config_static_selectorELNS0_4arch9wavefront6targetE1EEEvT1_: ; @_ZN7rocprim17ROCPRIM_400000_NS6detail17trampoline_kernelINS0_14default_configENS1_27scan_by_key_config_selectorIj11FixedVectorIiLj2EEEEZZNS1_16scan_by_key_implILNS1_25lookback_scan_determinismE0ELb0ES3_N6thrust23THRUST_200600_302600_NS6detail15normal_iteratorINSB_10device_ptrIjEEEENSD_INSE_IS6_EEEESI_S6_NSB_4plusIvEENSB_8equal_toIvEES6_EE10hipError_tPvRmT2_T3_T4_T5_mT6_T7_P12ihipStream_tbENKUlT_T0_E_clISt17integral_constantIbLb1EES12_IbLb0EEEEDaSY_SZ_EUlSY_E_NS1_11comp_targetILNS1_3genE10ELNS1_11target_archE1200ELNS1_3gpuE4ELNS1_3repE0EEENS1_30default_config_static_selectorELNS0_4arch9wavefront6targetE1EEEvT1_
; %bb.0:
	.section	.rodata,"a",@progbits
	.p2align	6, 0x0
	.amdhsa_kernel _ZN7rocprim17ROCPRIM_400000_NS6detail17trampoline_kernelINS0_14default_configENS1_27scan_by_key_config_selectorIj11FixedVectorIiLj2EEEEZZNS1_16scan_by_key_implILNS1_25lookback_scan_determinismE0ELb0ES3_N6thrust23THRUST_200600_302600_NS6detail15normal_iteratorINSB_10device_ptrIjEEEENSD_INSE_IS6_EEEESI_S6_NSB_4plusIvEENSB_8equal_toIvEES6_EE10hipError_tPvRmT2_T3_T4_T5_mT6_T7_P12ihipStream_tbENKUlT_T0_E_clISt17integral_constantIbLb1EES12_IbLb0EEEEDaSY_SZ_EUlSY_E_NS1_11comp_targetILNS1_3genE10ELNS1_11target_archE1200ELNS1_3gpuE4ELNS1_3repE0EEENS1_30default_config_static_selectorELNS0_4arch9wavefront6targetE1EEEvT1_
		.amdhsa_group_segment_fixed_size 0
		.amdhsa_private_segment_fixed_size 0
		.amdhsa_kernarg_size 120
		.amdhsa_user_sgpr_count 2
		.amdhsa_user_sgpr_dispatch_ptr 0
		.amdhsa_user_sgpr_queue_ptr 0
		.amdhsa_user_sgpr_kernarg_segment_ptr 1
		.amdhsa_user_sgpr_dispatch_id 0
		.amdhsa_user_sgpr_kernarg_preload_length 0
		.amdhsa_user_sgpr_kernarg_preload_offset 0
		.amdhsa_user_sgpr_private_segment_size 0
		.amdhsa_uses_dynamic_stack 0
		.amdhsa_enable_private_segment 0
		.amdhsa_system_sgpr_workgroup_id_x 1
		.amdhsa_system_sgpr_workgroup_id_y 0
		.amdhsa_system_sgpr_workgroup_id_z 0
		.amdhsa_system_sgpr_workgroup_info 0
		.amdhsa_system_vgpr_workitem_id 0
		.amdhsa_next_free_vgpr 1
		.amdhsa_next_free_sgpr 0
		.amdhsa_accum_offset 4
		.amdhsa_reserve_vcc 0
		.amdhsa_float_round_mode_32 0
		.amdhsa_float_round_mode_16_64 0
		.amdhsa_float_denorm_mode_32 3
		.amdhsa_float_denorm_mode_16_64 3
		.amdhsa_dx10_clamp 1
		.amdhsa_ieee_mode 1
		.amdhsa_fp16_overflow 0
		.amdhsa_tg_split 0
		.amdhsa_exception_fp_ieee_invalid_op 0
		.amdhsa_exception_fp_denorm_src 0
		.amdhsa_exception_fp_ieee_div_zero 0
		.amdhsa_exception_fp_ieee_overflow 0
		.amdhsa_exception_fp_ieee_underflow 0
		.amdhsa_exception_fp_ieee_inexact 0
		.amdhsa_exception_int_div_zero 0
	.end_amdhsa_kernel
	.section	.text._ZN7rocprim17ROCPRIM_400000_NS6detail17trampoline_kernelINS0_14default_configENS1_27scan_by_key_config_selectorIj11FixedVectorIiLj2EEEEZZNS1_16scan_by_key_implILNS1_25lookback_scan_determinismE0ELb0ES3_N6thrust23THRUST_200600_302600_NS6detail15normal_iteratorINSB_10device_ptrIjEEEENSD_INSE_IS6_EEEESI_S6_NSB_4plusIvEENSB_8equal_toIvEES6_EE10hipError_tPvRmT2_T3_T4_T5_mT6_T7_P12ihipStream_tbENKUlT_T0_E_clISt17integral_constantIbLb1EES12_IbLb0EEEEDaSY_SZ_EUlSY_E_NS1_11comp_targetILNS1_3genE10ELNS1_11target_archE1200ELNS1_3gpuE4ELNS1_3repE0EEENS1_30default_config_static_selectorELNS0_4arch9wavefront6targetE1EEEvT1_,"axG",@progbits,_ZN7rocprim17ROCPRIM_400000_NS6detail17trampoline_kernelINS0_14default_configENS1_27scan_by_key_config_selectorIj11FixedVectorIiLj2EEEEZZNS1_16scan_by_key_implILNS1_25lookback_scan_determinismE0ELb0ES3_N6thrust23THRUST_200600_302600_NS6detail15normal_iteratorINSB_10device_ptrIjEEEENSD_INSE_IS6_EEEESI_S6_NSB_4plusIvEENSB_8equal_toIvEES6_EE10hipError_tPvRmT2_T3_T4_T5_mT6_T7_P12ihipStream_tbENKUlT_T0_E_clISt17integral_constantIbLb1EES12_IbLb0EEEEDaSY_SZ_EUlSY_E_NS1_11comp_targetILNS1_3genE10ELNS1_11target_archE1200ELNS1_3gpuE4ELNS1_3repE0EEENS1_30default_config_static_selectorELNS0_4arch9wavefront6targetE1EEEvT1_,comdat
.Lfunc_end1979:
	.size	_ZN7rocprim17ROCPRIM_400000_NS6detail17trampoline_kernelINS0_14default_configENS1_27scan_by_key_config_selectorIj11FixedVectorIiLj2EEEEZZNS1_16scan_by_key_implILNS1_25lookback_scan_determinismE0ELb0ES3_N6thrust23THRUST_200600_302600_NS6detail15normal_iteratorINSB_10device_ptrIjEEEENSD_INSE_IS6_EEEESI_S6_NSB_4plusIvEENSB_8equal_toIvEES6_EE10hipError_tPvRmT2_T3_T4_T5_mT6_T7_P12ihipStream_tbENKUlT_T0_E_clISt17integral_constantIbLb1EES12_IbLb0EEEEDaSY_SZ_EUlSY_E_NS1_11comp_targetILNS1_3genE10ELNS1_11target_archE1200ELNS1_3gpuE4ELNS1_3repE0EEENS1_30default_config_static_selectorELNS0_4arch9wavefront6targetE1EEEvT1_, .Lfunc_end1979-_ZN7rocprim17ROCPRIM_400000_NS6detail17trampoline_kernelINS0_14default_configENS1_27scan_by_key_config_selectorIj11FixedVectorIiLj2EEEEZZNS1_16scan_by_key_implILNS1_25lookback_scan_determinismE0ELb0ES3_N6thrust23THRUST_200600_302600_NS6detail15normal_iteratorINSB_10device_ptrIjEEEENSD_INSE_IS6_EEEESI_S6_NSB_4plusIvEENSB_8equal_toIvEES6_EE10hipError_tPvRmT2_T3_T4_T5_mT6_T7_P12ihipStream_tbENKUlT_T0_E_clISt17integral_constantIbLb1EES12_IbLb0EEEEDaSY_SZ_EUlSY_E_NS1_11comp_targetILNS1_3genE10ELNS1_11target_archE1200ELNS1_3gpuE4ELNS1_3repE0EEENS1_30default_config_static_selectorELNS0_4arch9wavefront6targetE1EEEvT1_
                                        ; -- End function
	.section	.AMDGPU.csdata,"",@progbits
; Kernel info:
; codeLenInByte = 0
; NumSgprs: 6
; NumVgprs: 0
; NumAgprs: 0
; TotalNumVgprs: 0
; ScratchSize: 0
; MemoryBound: 0
; FloatMode: 240
; IeeeMode: 1
; LDSByteSize: 0 bytes/workgroup (compile time only)
; SGPRBlocks: 0
; VGPRBlocks: 0
; NumSGPRsForWavesPerEU: 6
; NumVGPRsForWavesPerEU: 1
; AccumOffset: 4
; Occupancy: 8
; WaveLimiterHint : 0
; COMPUTE_PGM_RSRC2:SCRATCH_EN: 0
; COMPUTE_PGM_RSRC2:USER_SGPR: 2
; COMPUTE_PGM_RSRC2:TRAP_HANDLER: 0
; COMPUTE_PGM_RSRC2:TGID_X_EN: 1
; COMPUTE_PGM_RSRC2:TGID_Y_EN: 0
; COMPUTE_PGM_RSRC2:TGID_Z_EN: 0
; COMPUTE_PGM_RSRC2:TIDIG_COMP_CNT: 0
; COMPUTE_PGM_RSRC3_GFX90A:ACCUM_OFFSET: 0
; COMPUTE_PGM_RSRC3_GFX90A:TG_SPLIT: 0
	.section	.text._ZN7rocprim17ROCPRIM_400000_NS6detail17trampoline_kernelINS0_14default_configENS1_27scan_by_key_config_selectorIj11FixedVectorIiLj2EEEEZZNS1_16scan_by_key_implILNS1_25lookback_scan_determinismE0ELb0ES3_N6thrust23THRUST_200600_302600_NS6detail15normal_iteratorINSB_10device_ptrIjEEEENSD_INSE_IS6_EEEESI_S6_NSB_4plusIvEENSB_8equal_toIvEES6_EE10hipError_tPvRmT2_T3_T4_T5_mT6_T7_P12ihipStream_tbENKUlT_T0_E_clISt17integral_constantIbLb1EES12_IbLb0EEEEDaSY_SZ_EUlSY_E_NS1_11comp_targetILNS1_3genE9ELNS1_11target_archE1100ELNS1_3gpuE3ELNS1_3repE0EEENS1_30default_config_static_selectorELNS0_4arch9wavefront6targetE1EEEvT1_,"axG",@progbits,_ZN7rocprim17ROCPRIM_400000_NS6detail17trampoline_kernelINS0_14default_configENS1_27scan_by_key_config_selectorIj11FixedVectorIiLj2EEEEZZNS1_16scan_by_key_implILNS1_25lookback_scan_determinismE0ELb0ES3_N6thrust23THRUST_200600_302600_NS6detail15normal_iteratorINSB_10device_ptrIjEEEENSD_INSE_IS6_EEEESI_S6_NSB_4plusIvEENSB_8equal_toIvEES6_EE10hipError_tPvRmT2_T3_T4_T5_mT6_T7_P12ihipStream_tbENKUlT_T0_E_clISt17integral_constantIbLb1EES12_IbLb0EEEEDaSY_SZ_EUlSY_E_NS1_11comp_targetILNS1_3genE9ELNS1_11target_archE1100ELNS1_3gpuE3ELNS1_3repE0EEENS1_30default_config_static_selectorELNS0_4arch9wavefront6targetE1EEEvT1_,comdat
	.protected	_ZN7rocprim17ROCPRIM_400000_NS6detail17trampoline_kernelINS0_14default_configENS1_27scan_by_key_config_selectorIj11FixedVectorIiLj2EEEEZZNS1_16scan_by_key_implILNS1_25lookback_scan_determinismE0ELb0ES3_N6thrust23THRUST_200600_302600_NS6detail15normal_iteratorINSB_10device_ptrIjEEEENSD_INSE_IS6_EEEESI_S6_NSB_4plusIvEENSB_8equal_toIvEES6_EE10hipError_tPvRmT2_T3_T4_T5_mT6_T7_P12ihipStream_tbENKUlT_T0_E_clISt17integral_constantIbLb1EES12_IbLb0EEEEDaSY_SZ_EUlSY_E_NS1_11comp_targetILNS1_3genE9ELNS1_11target_archE1100ELNS1_3gpuE3ELNS1_3repE0EEENS1_30default_config_static_selectorELNS0_4arch9wavefront6targetE1EEEvT1_ ; -- Begin function _ZN7rocprim17ROCPRIM_400000_NS6detail17trampoline_kernelINS0_14default_configENS1_27scan_by_key_config_selectorIj11FixedVectorIiLj2EEEEZZNS1_16scan_by_key_implILNS1_25lookback_scan_determinismE0ELb0ES3_N6thrust23THRUST_200600_302600_NS6detail15normal_iteratorINSB_10device_ptrIjEEEENSD_INSE_IS6_EEEESI_S6_NSB_4plusIvEENSB_8equal_toIvEES6_EE10hipError_tPvRmT2_T3_T4_T5_mT6_T7_P12ihipStream_tbENKUlT_T0_E_clISt17integral_constantIbLb1EES12_IbLb0EEEEDaSY_SZ_EUlSY_E_NS1_11comp_targetILNS1_3genE9ELNS1_11target_archE1100ELNS1_3gpuE3ELNS1_3repE0EEENS1_30default_config_static_selectorELNS0_4arch9wavefront6targetE1EEEvT1_
	.globl	_ZN7rocprim17ROCPRIM_400000_NS6detail17trampoline_kernelINS0_14default_configENS1_27scan_by_key_config_selectorIj11FixedVectorIiLj2EEEEZZNS1_16scan_by_key_implILNS1_25lookback_scan_determinismE0ELb0ES3_N6thrust23THRUST_200600_302600_NS6detail15normal_iteratorINSB_10device_ptrIjEEEENSD_INSE_IS6_EEEESI_S6_NSB_4plusIvEENSB_8equal_toIvEES6_EE10hipError_tPvRmT2_T3_T4_T5_mT6_T7_P12ihipStream_tbENKUlT_T0_E_clISt17integral_constantIbLb1EES12_IbLb0EEEEDaSY_SZ_EUlSY_E_NS1_11comp_targetILNS1_3genE9ELNS1_11target_archE1100ELNS1_3gpuE3ELNS1_3repE0EEENS1_30default_config_static_selectorELNS0_4arch9wavefront6targetE1EEEvT1_
	.p2align	8
	.type	_ZN7rocprim17ROCPRIM_400000_NS6detail17trampoline_kernelINS0_14default_configENS1_27scan_by_key_config_selectorIj11FixedVectorIiLj2EEEEZZNS1_16scan_by_key_implILNS1_25lookback_scan_determinismE0ELb0ES3_N6thrust23THRUST_200600_302600_NS6detail15normal_iteratorINSB_10device_ptrIjEEEENSD_INSE_IS6_EEEESI_S6_NSB_4plusIvEENSB_8equal_toIvEES6_EE10hipError_tPvRmT2_T3_T4_T5_mT6_T7_P12ihipStream_tbENKUlT_T0_E_clISt17integral_constantIbLb1EES12_IbLb0EEEEDaSY_SZ_EUlSY_E_NS1_11comp_targetILNS1_3genE9ELNS1_11target_archE1100ELNS1_3gpuE3ELNS1_3repE0EEENS1_30default_config_static_selectorELNS0_4arch9wavefront6targetE1EEEvT1_,@function
_ZN7rocprim17ROCPRIM_400000_NS6detail17trampoline_kernelINS0_14default_configENS1_27scan_by_key_config_selectorIj11FixedVectorIiLj2EEEEZZNS1_16scan_by_key_implILNS1_25lookback_scan_determinismE0ELb0ES3_N6thrust23THRUST_200600_302600_NS6detail15normal_iteratorINSB_10device_ptrIjEEEENSD_INSE_IS6_EEEESI_S6_NSB_4plusIvEENSB_8equal_toIvEES6_EE10hipError_tPvRmT2_T3_T4_T5_mT6_T7_P12ihipStream_tbENKUlT_T0_E_clISt17integral_constantIbLb1EES12_IbLb0EEEEDaSY_SZ_EUlSY_E_NS1_11comp_targetILNS1_3genE9ELNS1_11target_archE1100ELNS1_3gpuE3ELNS1_3repE0EEENS1_30default_config_static_selectorELNS0_4arch9wavefront6targetE1EEEvT1_: ; @_ZN7rocprim17ROCPRIM_400000_NS6detail17trampoline_kernelINS0_14default_configENS1_27scan_by_key_config_selectorIj11FixedVectorIiLj2EEEEZZNS1_16scan_by_key_implILNS1_25lookback_scan_determinismE0ELb0ES3_N6thrust23THRUST_200600_302600_NS6detail15normal_iteratorINSB_10device_ptrIjEEEENSD_INSE_IS6_EEEESI_S6_NSB_4plusIvEENSB_8equal_toIvEES6_EE10hipError_tPvRmT2_T3_T4_T5_mT6_T7_P12ihipStream_tbENKUlT_T0_E_clISt17integral_constantIbLb1EES12_IbLb0EEEEDaSY_SZ_EUlSY_E_NS1_11comp_targetILNS1_3genE9ELNS1_11target_archE1100ELNS1_3gpuE3ELNS1_3repE0EEENS1_30default_config_static_selectorELNS0_4arch9wavefront6targetE1EEEvT1_
; %bb.0:
	.section	.rodata,"a",@progbits
	.p2align	6, 0x0
	.amdhsa_kernel _ZN7rocprim17ROCPRIM_400000_NS6detail17trampoline_kernelINS0_14default_configENS1_27scan_by_key_config_selectorIj11FixedVectorIiLj2EEEEZZNS1_16scan_by_key_implILNS1_25lookback_scan_determinismE0ELb0ES3_N6thrust23THRUST_200600_302600_NS6detail15normal_iteratorINSB_10device_ptrIjEEEENSD_INSE_IS6_EEEESI_S6_NSB_4plusIvEENSB_8equal_toIvEES6_EE10hipError_tPvRmT2_T3_T4_T5_mT6_T7_P12ihipStream_tbENKUlT_T0_E_clISt17integral_constantIbLb1EES12_IbLb0EEEEDaSY_SZ_EUlSY_E_NS1_11comp_targetILNS1_3genE9ELNS1_11target_archE1100ELNS1_3gpuE3ELNS1_3repE0EEENS1_30default_config_static_selectorELNS0_4arch9wavefront6targetE1EEEvT1_
		.amdhsa_group_segment_fixed_size 0
		.amdhsa_private_segment_fixed_size 0
		.amdhsa_kernarg_size 120
		.amdhsa_user_sgpr_count 2
		.amdhsa_user_sgpr_dispatch_ptr 0
		.amdhsa_user_sgpr_queue_ptr 0
		.amdhsa_user_sgpr_kernarg_segment_ptr 1
		.amdhsa_user_sgpr_dispatch_id 0
		.amdhsa_user_sgpr_kernarg_preload_length 0
		.amdhsa_user_sgpr_kernarg_preload_offset 0
		.amdhsa_user_sgpr_private_segment_size 0
		.amdhsa_uses_dynamic_stack 0
		.amdhsa_enable_private_segment 0
		.amdhsa_system_sgpr_workgroup_id_x 1
		.amdhsa_system_sgpr_workgroup_id_y 0
		.amdhsa_system_sgpr_workgroup_id_z 0
		.amdhsa_system_sgpr_workgroup_info 0
		.amdhsa_system_vgpr_workitem_id 0
		.amdhsa_next_free_vgpr 1
		.amdhsa_next_free_sgpr 0
		.amdhsa_accum_offset 4
		.amdhsa_reserve_vcc 0
		.amdhsa_float_round_mode_32 0
		.amdhsa_float_round_mode_16_64 0
		.amdhsa_float_denorm_mode_32 3
		.amdhsa_float_denorm_mode_16_64 3
		.amdhsa_dx10_clamp 1
		.amdhsa_ieee_mode 1
		.amdhsa_fp16_overflow 0
		.amdhsa_tg_split 0
		.amdhsa_exception_fp_ieee_invalid_op 0
		.amdhsa_exception_fp_denorm_src 0
		.amdhsa_exception_fp_ieee_div_zero 0
		.amdhsa_exception_fp_ieee_overflow 0
		.amdhsa_exception_fp_ieee_underflow 0
		.amdhsa_exception_fp_ieee_inexact 0
		.amdhsa_exception_int_div_zero 0
	.end_amdhsa_kernel
	.section	.text._ZN7rocprim17ROCPRIM_400000_NS6detail17trampoline_kernelINS0_14default_configENS1_27scan_by_key_config_selectorIj11FixedVectorIiLj2EEEEZZNS1_16scan_by_key_implILNS1_25lookback_scan_determinismE0ELb0ES3_N6thrust23THRUST_200600_302600_NS6detail15normal_iteratorINSB_10device_ptrIjEEEENSD_INSE_IS6_EEEESI_S6_NSB_4plusIvEENSB_8equal_toIvEES6_EE10hipError_tPvRmT2_T3_T4_T5_mT6_T7_P12ihipStream_tbENKUlT_T0_E_clISt17integral_constantIbLb1EES12_IbLb0EEEEDaSY_SZ_EUlSY_E_NS1_11comp_targetILNS1_3genE9ELNS1_11target_archE1100ELNS1_3gpuE3ELNS1_3repE0EEENS1_30default_config_static_selectorELNS0_4arch9wavefront6targetE1EEEvT1_,"axG",@progbits,_ZN7rocprim17ROCPRIM_400000_NS6detail17trampoline_kernelINS0_14default_configENS1_27scan_by_key_config_selectorIj11FixedVectorIiLj2EEEEZZNS1_16scan_by_key_implILNS1_25lookback_scan_determinismE0ELb0ES3_N6thrust23THRUST_200600_302600_NS6detail15normal_iteratorINSB_10device_ptrIjEEEENSD_INSE_IS6_EEEESI_S6_NSB_4plusIvEENSB_8equal_toIvEES6_EE10hipError_tPvRmT2_T3_T4_T5_mT6_T7_P12ihipStream_tbENKUlT_T0_E_clISt17integral_constantIbLb1EES12_IbLb0EEEEDaSY_SZ_EUlSY_E_NS1_11comp_targetILNS1_3genE9ELNS1_11target_archE1100ELNS1_3gpuE3ELNS1_3repE0EEENS1_30default_config_static_selectorELNS0_4arch9wavefront6targetE1EEEvT1_,comdat
.Lfunc_end1980:
	.size	_ZN7rocprim17ROCPRIM_400000_NS6detail17trampoline_kernelINS0_14default_configENS1_27scan_by_key_config_selectorIj11FixedVectorIiLj2EEEEZZNS1_16scan_by_key_implILNS1_25lookback_scan_determinismE0ELb0ES3_N6thrust23THRUST_200600_302600_NS6detail15normal_iteratorINSB_10device_ptrIjEEEENSD_INSE_IS6_EEEESI_S6_NSB_4plusIvEENSB_8equal_toIvEES6_EE10hipError_tPvRmT2_T3_T4_T5_mT6_T7_P12ihipStream_tbENKUlT_T0_E_clISt17integral_constantIbLb1EES12_IbLb0EEEEDaSY_SZ_EUlSY_E_NS1_11comp_targetILNS1_3genE9ELNS1_11target_archE1100ELNS1_3gpuE3ELNS1_3repE0EEENS1_30default_config_static_selectorELNS0_4arch9wavefront6targetE1EEEvT1_, .Lfunc_end1980-_ZN7rocprim17ROCPRIM_400000_NS6detail17trampoline_kernelINS0_14default_configENS1_27scan_by_key_config_selectorIj11FixedVectorIiLj2EEEEZZNS1_16scan_by_key_implILNS1_25lookback_scan_determinismE0ELb0ES3_N6thrust23THRUST_200600_302600_NS6detail15normal_iteratorINSB_10device_ptrIjEEEENSD_INSE_IS6_EEEESI_S6_NSB_4plusIvEENSB_8equal_toIvEES6_EE10hipError_tPvRmT2_T3_T4_T5_mT6_T7_P12ihipStream_tbENKUlT_T0_E_clISt17integral_constantIbLb1EES12_IbLb0EEEEDaSY_SZ_EUlSY_E_NS1_11comp_targetILNS1_3genE9ELNS1_11target_archE1100ELNS1_3gpuE3ELNS1_3repE0EEENS1_30default_config_static_selectorELNS0_4arch9wavefront6targetE1EEEvT1_
                                        ; -- End function
	.section	.AMDGPU.csdata,"",@progbits
; Kernel info:
; codeLenInByte = 0
; NumSgprs: 6
; NumVgprs: 0
; NumAgprs: 0
; TotalNumVgprs: 0
; ScratchSize: 0
; MemoryBound: 0
; FloatMode: 240
; IeeeMode: 1
; LDSByteSize: 0 bytes/workgroup (compile time only)
; SGPRBlocks: 0
; VGPRBlocks: 0
; NumSGPRsForWavesPerEU: 6
; NumVGPRsForWavesPerEU: 1
; AccumOffset: 4
; Occupancy: 8
; WaveLimiterHint : 0
; COMPUTE_PGM_RSRC2:SCRATCH_EN: 0
; COMPUTE_PGM_RSRC2:USER_SGPR: 2
; COMPUTE_PGM_RSRC2:TRAP_HANDLER: 0
; COMPUTE_PGM_RSRC2:TGID_X_EN: 1
; COMPUTE_PGM_RSRC2:TGID_Y_EN: 0
; COMPUTE_PGM_RSRC2:TGID_Z_EN: 0
; COMPUTE_PGM_RSRC2:TIDIG_COMP_CNT: 0
; COMPUTE_PGM_RSRC3_GFX90A:ACCUM_OFFSET: 0
; COMPUTE_PGM_RSRC3_GFX90A:TG_SPLIT: 0
	.section	.text._ZN7rocprim17ROCPRIM_400000_NS6detail17trampoline_kernelINS0_14default_configENS1_27scan_by_key_config_selectorIj11FixedVectorIiLj2EEEEZZNS1_16scan_by_key_implILNS1_25lookback_scan_determinismE0ELb0ES3_N6thrust23THRUST_200600_302600_NS6detail15normal_iteratorINSB_10device_ptrIjEEEENSD_INSE_IS6_EEEESI_S6_NSB_4plusIvEENSB_8equal_toIvEES6_EE10hipError_tPvRmT2_T3_T4_T5_mT6_T7_P12ihipStream_tbENKUlT_T0_E_clISt17integral_constantIbLb1EES12_IbLb0EEEEDaSY_SZ_EUlSY_E_NS1_11comp_targetILNS1_3genE8ELNS1_11target_archE1030ELNS1_3gpuE2ELNS1_3repE0EEENS1_30default_config_static_selectorELNS0_4arch9wavefront6targetE1EEEvT1_,"axG",@progbits,_ZN7rocprim17ROCPRIM_400000_NS6detail17trampoline_kernelINS0_14default_configENS1_27scan_by_key_config_selectorIj11FixedVectorIiLj2EEEEZZNS1_16scan_by_key_implILNS1_25lookback_scan_determinismE0ELb0ES3_N6thrust23THRUST_200600_302600_NS6detail15normal_iteratorINSB_10device_ptrIjEEEENSD_INSE_IS6_EEEESI_S6_NSB_4plusIvEENSB_8equal_toIvEES6_EE10hipError_tPvRmT2_T3_T4_T5_mT6_T7_P12ihipStream_tbENKUlT_T0_E_clISt17integral_constantIbLb1EES12_IbLb0EEEEDaSY_SZ_EUlSY_E_NS1_11comp_targetILNS1_3genE8ELNS1_11target_archE1030ELNS1_3gpuE2ELNS1_3repE0EEENS1_30default_config_static_selectorELNS0_4arch9wavefront6targetE1EEEvT1_,comdat
	.protected	_ZN7rocprim17ROCPRIM_400000_NS6detail17trampoline_kernelINS0_14default_configENS1_27scan_by_key_config_selectorIj11FixedVectorIiLj2EEEEZZNS1_16scan_by_key_implILNS1_25lookback_scan_determinismE0ELb0ES3_N6thrust23THRUST_200600_302600_NS6detail15normal_iteratorINSB_10device_ptrIjEEEENSD_INSE_IS6_EEEESI_S6_NSB_4plusIvEENSB_8equal_toIvEES6_EE10hipError_tPvRmT2_T3_T4_T5_mT6_T7_P12ihipStream_tbENKUlT_T0_E_clISt17integral_constantIbLb1EES12_IbLb0EEEEDaSY_SZ_EUlSY_E_NS1_11comp_targetILNS1_3genE8ELNS1_11target_archE1030ELNS1_3gpuE2ELNS1_3repE0EEENS1_30default_config_static_selectorELNS0_4arch9wavefront6targetE1EEEvT1_ ; -- Begin function _ZN7rocprim17ROCPRIM_400000_NS6detail17trampoline_kernelINS0_14default_configENS1_27scan_by_key_config_selectorIj11FixedVectorIiLj2EEEEZZNS1_16scan_by_key_implILNS1_25lookback_scan_determinismE0ELb0ES3_N6thrust23THRUST_200600_302600_NS6detail15normal_iteratorINSB_10device_ptrIjEEEENSD_INSE_IS6_EEEESI_S6_NSB_4plusIvEENSB_8equal_toIvEES6_EE10hipError_tPvRmT2_T3_T4_T5_mT6_T7_P12ihipStream_tbENKUlT_T0_E_clISt17integral_constantIbLb1EES12_IbLb0EEEEDaSY_SZ_EUlSY_E_NS1_11comp_targetILNS1_3genE8ELNS1_11target_archE1030ELNS1_3gpuE2ELNS1_3repE0EEENS1_30default_config_static_selectorELNS0_4arch9wavefront6targetE1EEEvT1_
	.globl	_ZN7rocprim17ROCPRIM_400000_NS6detail17trampoline_kernelINS0_14default_configENS1_27scan_by_key_config_selectorIj11FixedVectorIiLj2EEEEZZNS1_16scan_by_key_implILNS1_25lookback_scan_determinismE0ELb0ES3_N6thrust23THRUST_200600_302600_NS6detail15normal_iteratorINSB_10device_ptrIjEEEENSD_INSE_IS6_EEEESI_S6_NSB_4plusIvEENSB_8equal_toIvEES6_EE10hipError_tPvRmT2_T3_T4_T5_mT6_T7_P12ihipStream_tbENKUlT_T0_E_clISt17integral_constantIbLb1EES12_IbLb0EEEEDaSY_SZ_EUlSY_E_NS1_11comp_targetILNS1_3genE8ELNS1_11target_archE1030ELNS1_3gpuE2ELNS1_3repE0EEENS1_30default_config_static_selectorELNS0_4arch9wavefront6targetE1EEEvT1_
	.p2align	8
	.type	_ZN7rocprim17ROCPRIM_400000_NS6detail17trampoline_kernelINS0_14default_configENS1_27scan_by_key_config_selectorIj11FixedVectorIiLj2EEEEZZNS1_16scan_by_key_implILNS1_25lookback_scan_determinismE0ELb0ES3_N6thrust23THRUST_200600_302600_NS6detail15normal_iteratorINSB_10device_ptrIjEEEENSD_INSE_IS6_EEEESI_S6_NSB_4plusIvEENSB_8equal_toIvEES6_EE10hipError_tPvRmT2_T3_T4_T5_mT6_T7_P12ihipStream_tbENKUlT_T0_E_clISt17integral_constantIbLb1EES12_IbLb0EEEEDaSY_SZ_EUlSY_E_NS1_11comp_targetILNS1_3genE8ELNS1_11target_archE1030ELNS1_3gpuE2ELNS1_3repE0EEENS1_30default_config_static_selectorELNS0_4arch9wavefront6targetE1EEEvT1_,@function
_ZN7rocprim17ROCPRIM_400000_NS6detail17trampoline_kernelINS0_14default_configENS1_27scan_by_key_config_selectorIj11FixedVectorIiLj2EEEEZZNS1_16scan_by_key_implILNS1_25lookback_scan_determinismE0ELb0ES3_N6thrust23THRUST_200600_302600_NS6detail15normal_iteratorINSB_10device_ptrIjEEEENSD_INSE_IS6_EEEESI_S6_NSB_4plusIvEENSB_8equal_toIvEES6_EE10hipError_tPvRmT2_T3_T4_T5_mT6_T7_P12ihipStream_tbENKUlT_T0_E_clISt17integral_constantIbLb1EES12_IbLb0EEEEDaSY_SZ_EUlSY_E_NS1_11comp_targetILNS1_3genE8ELNS1_11target_archE1030ELNS1_3gpuE2ELNS1_3repE0EEENS1_30default_config_static_selectorELNS0_4arch9wavefront6targetE1EEEvT1_: ; @_ZN7rocprim17ROCPRIM_400000_NS6detail17trampoline_kernelINS0_14default_configENS1_27scan_by_key_config_selectorIj11FixedVectorIiLj2EEEEZZNS1_16scan_by_key_implILNS1_25lookback_scan_determinismE0ELb0ES3_N6thrust23THRUST_200600_302600_NS6detail15normal_iteratorINSB_10device_ptrIjEEEENSD_INSE_IS6_EEEESI_S6_NSB_4plusIvEENSB_8equal_toIvEES6_EE10hipError_tPvRmT2_T3_T4_T5_mT6_T7_P12ihipStream_tbENKUlT_T0_E_clISt17integral_constantIbLb1EES12_IbLb0EEEEDaSY_SZ_EUlSY_E_NS1_11comp_targetILNS1_3genE8ELNS1_11target_archE1030ELNS1_3gpuE2ELNS1_3repE0EEENS1_30default_config_static_selectorELNS0_4arch9wavefront6targetE1EEEvT1_
; %bb.0:
	.section	.rodata,"a",@progbits
	.p2align	6, 0x0
	.amdhsa_kernel _ZN7rocprim17ROCPRIM_400000_NS6detail17trampoline_kernelINS0_14default_configENS1_27scan_by_key_config_selectorIj11FixedVectorIiLj2EEEEZZNS1_16scan_by_key_implILNS1_25lookback_scan_determinismE0ELb0ES3_N6thrust23THRUST_200600_302600_NS6detail15normal_iteratorINSB_10device_ptrIjEEEENSD_INSE_IS6_EEEESI_S6_NSB_4plusIvEENSB_8equal_toIvEES6_EE10hipError_tPvRmT2_T3_T4_T5_mT6_T7_P12ihipStream_tbENKUlT_T0_E_clISt17integral_constantIbLb1EES12_IbLb0EEEEDaSY_SZ_EUlSY_E_NS1_11comp_targetILNS1_3genE8ELNS1_11target_archE1030ELNS1_3gpuE2ELNS1_3repE0EEENS1_30default_config_static_selectorELNS0_4arch9wavefront6targetE1EEEvT1_
		.amdhsa_group_segment_fixed_size 0
		.amdhsa_private_segment_fixed_size 0
		.amdhsa_kernarg_size 120
		.amdhsa_user_sgpr_count 2
		.amdhsa_user_sgpr_dispatch_ptr 0
		.amdhsa_user_sgpr_queue_ptr 0
		.amdhsa_user_sgpr_kernarg_segment_ptr 1
		.amdhsa_user_sgpr_dispatch_id 0
		.amdhsa_user_sgpr_kernarg_preload_length 0
		.amdhsa_user_sgpr_kernarg_preload_offset 0
		.amdhsa_user_sgpr_private_segment_size 0
		.amdhsa_uses_dynamic_stack 0
		.amdhsa_enable_private_segment 0
		.amdhsa_system_sgpr_workgroup_id_x 1
		.amdhsa_system_sgpr_workgroup_id_y 0
		.amdhsa_system_sgpr_workgroup_id_z 0
		.amdhsa_system_sgpr_workgroup_info 0
		.amdhsa_system_vgpr_workitem_id 0
		.amdhsa_next_free_vgpr 1
		.amdhsa_next_free_sgpr 0
		.amdhsa_accum_offset 4
		.amdhsa_reserve_vcc 0
		.amdhsa_float_round_mode_32 0
		.amdhsa_float_round_mode_16_64 0
		.amdhsa_float_denorm_mode_32 3
		.amdhsa_float_denorm_mode_16_64 3
		.amdhsa_dx10_clamp 1
		.amdhsa_ieee_mode 1
		.amdhsa_fp16_overflow 0
		.amdhsa_tg_split 0
		.amdhsa_exception_fp_ieee_invalid_op 0
		.amdhsa_exception_fp_denorm_src 0
		.amdhsa_exception_fp_ieee_div_zero 0
		.amdhsa_exception_fp_ieee_overflow 0
		.amdhsa_exception_fp_ieee_underflow 0
		.amdhsa_exception_fp_ieee_inexact 0
		.amdhsa_exception_int_div_zero 0
	.end_amdhsa_kernel
	.section	.text._ZN7rocprim17ROCPRIM_400000_NS6detail17trampoline_kernelINS0_14default_configENS1_27scan_by_key_config_selectorIj11FixedVectorIiLj2EEEEZZNS1_16scan_by_key_implILNS1_25lookback_scan_determinismE0ELb0ES3_N6thrust23THRUST_200600_302600_NS6detail15normal_iteratorINSB_10device_ptrIjEEEENSD_INSE_IS6_EEEESI_S6_NSB_4plusIvEENSB_8equal_toIvEES6_EE10hipError_tPvRmT2_T3_T4_T5_mT6_T7_P12ihipStream_tbENKUlT_T0_E_clISt17integral_constantIbLb1EES12_IbLb0EEEEDaSY_SZ_EUlSY_E_NS1_11comp_targetILNS1_3genE8ELNS1_11target_archE1030ELNS1_3gpuE2ELNS1_3repE0EEENS1_30default_config_static_selectorELNS0_4arch9wavefront6targetE1EEEvT1_,"axG",@progbits,_ZN7rocprim17ROCPRIM_400000_NS6detail17trampoline_kernelINS0_14default_configENS1_27scan_by_key_config_selectorIj11FixedVectorIiLj2EEEEZZNS1_16scan_by_key_implILNS1_25lookback_scan_determinismE0ELb0ES3_N6thrust23THRUST_200600_302600_NS6detail15normal_iteratorINSB_10device_ptrIjEEEENSD_INSE_IS6_EEEESI_S6_NSB_4plusIvEENSB_8equal_toIvEES6_EE10hipError_tPvRmT2_T3_T4_T5_mT6_T7_P12ihipStream_tbENKUlT_T0_E_clISt17integral_constantIbLb1EES12_IbLb0EEEEDaSY_SZ_EUlSY_E_NS1_11comp_targetILNS1_3genE8ELNS1_11target_archE1030ELNS1_3gpuE2ELNS1_3repE0EEENS1_30default_config_static_selectorELNS0_4arch9wavefront6targetE1EEEvT1_,comdat
.Lfunc_end1981:
	.size	_ZN7rocprim17ROCPRIM_400000_NS6detail17trampoline_kernelINS0_14default_configENS1_27scan_by_key_config_selectorIj11FixedVectorIiLj2EEEEZZNS1_16scan_by_key_implILNS1_25lookback_scan_determinismE0ELb0ES3_N6thrust23THRUST_200600_302600_NS6detail15normal_iteratorINSB_10device_ptrIjEEEENSD_INSE_IS6_EEEESI_S6_NSB_4plusIvEENSB_8equal_toIvEES6_EE10hipError_tPvRmT2_T3_T4_T5_mT6_T7_P12ihipStream_tbENKUlT_T0_E_clISt17integral_constantIbLb1EES12_IbLb0EEEEDaSY_SZ_EUlSY_E_NS1_11comp_targetILNS1_3genE8ELNS1_11target_archE1030ELNS1_3gpuE2ELNS1_3repE0EEENS1_30default_config_static_selectorELNS0_4arch9wavefront6targetE1EEEvT1_, .Lfunc_end1981-_ZN7rocprim17ROCPRIM_400000_NS6detail17trampoline_kernelINS0_14default_configENS1_27scan_by_key_config_selectorIj11FixedVectorIiLj2EEEEZZNS1_16scan_by_key_implILNS1_25lookback_scan_determinismE0ELb0ES3_N6thrust23THRUST_200600_302600_NS6detail15normal_iteratorINSB_10device_ptrIjEEEENSD_INSE_IS6_EEEESI_S6_NSB_4plusIvEENSB_8equal_toIvEES6_EE10hipError_tPvRmT2_T3_T4_T5_mT6_T7_P12ihipStream_tbENKUlT_T0_E_clISt17integral_constantIbLb1EES12_IbLb0EEEEDaSY_SZ_EUlSY_E_NS1_11comp_targetILNS1_3genE8ELNS1_11target_archE1030ELNS1_3gpuE2ELNS1_3repE0EEENS1_30default_config_static_selectorELNS0_4arch9wavefront6targetE1EEEvT1_
                                        ; -- End function
	.section	.AMDGPU.csdata,"",@progbits
; Kernel info:
; codeLenInByte = 0
; NumSgprs: 6
; NumVgprs: 0
; NumAgprs: 0
; TotalNumVgprs: 0
; ScratchSize: 0
; MemoryBound: 0
; FloatMode: 240
; IeeeMode: 1
; LDSByteSize: 0 bytes/workgroup (compile time only)
; SGPRBlocks: 0
; VGPRBlocks: 0
; NumSGPRsForWavesPerEU: 6
; NumVGPRsForWavesPerEU: 1
; AccumOffset: 4
; Occupancy: 8
; WaveLimiterHint : 0
; COMPUTE_PGM_RSRC2:SCRATCH_EN: 0
; COMPUTE_PGM_RSRC2:USER_SGPR: 2
; COMPUTE_PGM_RSRC2:TRAP_HANDLER: 0
; COMPUTE_PGM_RSRC2:TGID_X_EN: 1
; COMPUTE_PGM_RSRC2:TGID_Y_EN: 0
; COMPUTE_PGM_RSRC2:TGID_Z_EN: 0
; COMPUTE_PGM_RSRC2:TIDIG_COMP_CNT: 0
; COMPUTE_PGM_RSRC3_GFX90A:ACCUM_OFFSET: 0
; COMPUTE_PGM_RSRC3_GFX90A:TG_SPLIT: 0
	.section	.text._ZN7rocprim17ROCPRIM_400000_NS6detail30init_device_scan_by_key_kernelINS1_19lookback_scan_stateINS0_5tupleIJ11FixedVectorIiLj2EEbEEELb0ELb1EEEN6thrust23THRUST_200600_302600_NS6detail15normal_iteratorINSA_10device_ptrIjEEEEjNS1_16block_id_wrapperIjLb1EEEEEvT_jjPNSI_10value_typeET0_PNSt15iterator_traitsISL_E10value_typeEmT1_T2_,"axG",@progbits,_ZN7rocprim17ROCPRIM_400000_NS6detail30init_device_scan_by_key_kernelINS1_19lookback_scan_stateINS0_5tupleIJ11FixedVectorIiLj2EEbEEELb0ELb1EEEN6thrust23THRUST_200600_302600_NS6detail15normal_iteratorINSA_10device_ptrIjEEEEjNS1_16block_id_wrapperIjLb1EEEEEvT_jjPNSI_10value_typeET0_PNSt15iterator_traitsISL_E10value_typeEmT1_T2_,comdat
	.protected	_ZN7rocprim17ROCPRIM_400000_NS6detail30init_device_scan_by_key_kernelINS1_19lookback_scan_stateINS0_5tupleIJ11FixedVectorIiLj2EEbEEELb0ELb1EEEN6thrust23THRUST_200600_302600_NS6detail15normal_iteratorINSA_10device_ptrIjEEEEjNS1_16block_id_wrapperIjLb1EEEEEvT_jjPNSI_10value_typeET0_PNSt15iterator_traitsISL_E10value_typeEmT1_T2_ ; -- Begin function _ZN7rocprim17ROCPRIM_400000_NS6detail30init_device_scan_by_key_kernelINS1_19lookback_scan_stateINS0_5tupleIJ11FixedVectorIiLj2EEbEEELb0ELb1EEEN6thrust23THRUST_200600_302600_NS6detail15normal_iteratorINSA_10device_ptrIjEEEEjNS1_16block_id_wrapperIjLb1EEEEEvT_jjPNSI_10value_typeET0_PNSt15iterator_traitsISL_E10value_typeEmT1_T2_
	.globl	_ZN7rocprim17ROCPRIM_400000_NS6detail30init_device_scan_by_key_kernelINS1_19lookback_scan_stateINS0_5tupleIJ11FixedVectorIiLj2EEbEEELb0ELb1EEEN6thrust23THRUST_200600_302600_NS6detail15normal_iteratorINSA_10device_ptrIjEEEEjNS1_16block_id_wrapperIjLb1EEEEEvT_jjPNSI_10value_typeET0_PNSt15iterator_traitsISL_E10value_typeEmT1_T2_
	.p2align	8
	.type	_ZN7rocprim17ROCPRIM_400000_NS6detail30init_device_scan_by_key_kernelINS1_19lookback_scan_stateINS0_5tupleIJ11FixedVectorIiLj2EEbEEELb0ELb1EEEN6thrust23THRUST_200600_302600_NS6detail15normal_iteratorINSA_10device_ptrIjEEEEjNS1_16block_id_wrapperIjLb1EEEEEvT_jjPNSI_10value_typeET0_PNSt15iterator_traitsISL_E10value_typeEmT1_T2_,@function
_ZN7rocprim17ROCPRIM_400000_NS6detail30init_device_scan_by_key_kernelINS1_19lookback_scan_stateINS0_5tupleIJ11FixedVectorIiLj2EEbEEELb0ELb1EEEN6thrust23THRUST_200600_302600_NS6detail15normal_iteratorINSA_10device_ptrIjEEEEjNS1_16block_id_wrapperIjLb1EEEEEvT_jjPNSI_10value_typeET0_PNSt15iterator_traitsISL_E10value_typeEmT1_T2_: ; @_ZN7rocprim17ROCPRIM_400000_NS6detail30init_device_scan_by_key_kernelINS1_19lookback_scan_stateINS0_5tupleIJ11FixedVectorIiLj2EEbEEELb0ELb1EEEN6thrust23THRUST_200600_302600_NS6detail15normal_iteratorINSA_10device_ptrIjEEEEjNS1_16block_id_wrapperIjLb1EEEEEvT_jjPNSI_10value_typeET0_PNSt15iterator_traitsISL_E10value_typeEmT1_T2_
; %bb.0:
	s_load_dword s3, s[0:1], 0x4c
	s_load_dwordx8 s[4:11], s[0:1], 0x0
	s_load_dword s18, s[0:1], 0x40
	s_waitcnt lgkmcnt(0)
	s_and_b32 s19, s3, 0xffff
	s_mul_i32 s2, s2, s19
	s_cmp_eq_u64 s[8:9], 0
	v_add_u32_e32 v4, s2, v0
	s_cbranch_scc1 .LBB1982_8
; %bb.1:
	s_cmp_lt_u32 s7, s6
	s_cselect_b32 s2, s7, 0
	s_mov_b32 s13, 0
	v_cmp_eq_u32_e32 vcc, s2, v4
	s_and_saveexec_b64 s[2:3], vcc
	s_cbranch_execz .LBB1982_7
; %bb.2:
	s_add_i32 s12, s7, 64
	s_lshl_b64 s[12:13], s[12:13], 4
	s_add_u32 s14, s4, s12
	s_addc_u32 s15, s5, s13
	v_mov_b64_e32 v[0:1], s[14:15]
	v_mov_b32_e32 v16, 0
	;;#ASMSTART
	global_load_dwordx4 v[0:3], v[0:1] off sc1	
s_waitcnt vmcnt(0)
	;;#ASMEND
	s_mov_b64 s[16:17], 0
	v_lshlrev_b64 v[14:15], 24, v[2:3]
	v_lshrrev_b32_e32 v5, 8, v1
	v_lshlrev_b64 v[18:19], 16, v[2:3]
	v_lshlrev_b64 v[20:21], 8, v[2:3]
	v_and_b32_e32 v17, 0xff, v3
	v_lshrrev_b64 v[6:7], 8, v[0:1]
	v_lshrrev_b64 v[10:11], 16, v[0:1]
	;; [unrolled: 1-line block ×3, first 2 shown]
	v_mov_b32_e32 v12, v1
	v_or_b32_e32 v14, v5, v14
	v_or_b32_sdwa v18, v1, v18 dst_sel:DWORD dst_unused:UNUSED_PAD src0_sel:WORD_1 src1_sel:DWORD
	v_or_b32_sdwa v20, v1, v20 dst_sel:DWORD dst_unused:UNUSED_PAD src0_sel:BYTE_3 src1_sel:DWORD
	v_cmp_eq_u64_e32 vcc, 0, v[16:17]
	s_and_saveexec_b64 s[12:13], vcc
	s_cbranch_execz .LBB1982_6
; %bb.3:
	v_mov_b64_e32 v[6:7], s[14:15]
.LBB1982_4:                             ; =>This Inner Loop Header: Depth=1
	;;#ASMSTART
	global_load_dwordx4 v[0:3], v[6:7] off sc1	
s_waitcnt vmcnt(0)
	;;#ASMEND
	s_nop 0
	v_and_b32_e32 v17, 0xff, v3
	v_cmp_ne_u64_e32 vcc, 0, v[16:17]
	s_or_b64 s[16:17], vcc, s[16:17]
	s_andn2_b64 exec, exec, s[16:17]
	s_cbranch_execnz .LBB1982_4
; %bb.5:
	s_or_b64 exec, exec, s[16:17]
	v_lshlrev_b64 v[16:17], 16, v[2:3]
	v_lshlrev_b64 v[14:15], 24, v[2:3]
	v_lshrrev_b32_e32 v5, 8, v1
	v_or_b32_sdwa v18, v1, v16 dst_sel:DWORD dst_unused:UNUSED_PAD src0_sel:WORD_1 src1_sel:DWORD
	v_lshlrev_b64 v[16:17], 8, v[2:3]
	v_lshrrev_b64 v[6:7], 8, v[0:1]
	v_lshrrev_b64 v[10:11], 16, v[0:1]
	;; [unrolled: 1-line block ×3, first 2 shown]
	v_mov_b32_e32 v12, v1
	v_or_b32_e32 v14, v5, v14
	v_or_b32_sdwa v20, v1, v16 dst_sel:DWORD dst_unused:UNUSED_PAD src0_sel:BYTE_3 src1_sel:DWORD
.LBB1982_6:
	s_or_b64 exec, exec, s[12:13]
	v_lshlrev_b32_e32 v3, 16, v18
	v_lshlrev_b32_e32 v1, 24, v20
	v_and_b32_e32 v3, 0xff0000, v3
	v_lshlrev_b32_e32 v5, 8, v14
	v_lshlrev_b32_e32 v10, 16, v10
	s_mov_b32 s7, 0x4020c0c
	v_and_b32_e32 v5, 0xff00, v5
	v_and_b32_e32 v9, 0xff, v12
	v_lshlrev_b32_e32 v6, 8, v6
	v_or_b32_e32 v1, v3, v1
	v_perm_b32 v3, v8, v10, s7
	v_and_b32_e32 v6, 0xff00, v6
	v_mov_b32_e32 v7, 0
	v_or3_b32 v1, v1, v5, v9
	v_or_b32_sdwa v0, v3, v0 dst_sel:DWORD dst_unused:UNUSED_PAD src0_sel:DWORD src1_sel:BYTE_0
	v_lshl_add_u64 v[0:1], v[0:1], 0, v[6:7]
	global_store_dwordx2 v7, v[0:1], s[8:9]
	global_store_byte v7, v2, s[8:9] offset:8
.LBB1982_7:
	s_or_b64 exec, exec, s[2:3]
.LBB1982_8:
	v_cmp_eq_u32_e32 vcc, 0, v4
	s_and_saveexec_b64 s[2:3], vcc
	s_cbranch_execz .LBB1982_10
; %bb.9:
	s_load_dwordx2 s[8:9], s[0:1], 0x38
	v_mov_b32_e32 v0, 0
	s_waitcnt lgkmcnt(0)
	global_store_dword v0, v0, s[8:9]
.LBB1982_10:
	s_or_b64 exec, exec, s[2:3]
	v_cmp_gt_u32_e32 vcc, s6, v4
	s_and_saveexec_b64 s[2:3], vcc
	s_cbranch_execz .LBB1982_12
; %bb.11:
	v_add_u32_e32 v0, 64, v4
	v_mov_b32_e32 v1, 0
	v_lshl_add_u64 v[6:7], v[0:1], 4, s[4:5]
	v_mov_b32_e32 v0, v1
	v_mov_b32_e32 v2, v1
	;; [unrolled: 1-line block ×3, first 2 shown]
	global_store_dwordx4 v[6:7], v[0:3], off
.LBB1982_12:
	s_or_b64 exec, exec, s[2:3]
	v_cmp_gt_u32_e32 vcc, 64, v4
	v_mov_b32_e32 v5, 0
	s_and_saveexec_b64 s[2:3], vcc
	s_cbranch_execz .LBB1982_14
; %bb.13:
	v_lshl_add_u64 v[6:7], v[4:5], 4, s[4:5]
	v_mov_b32_e32 v3, 0xff
	v_mov_b32_e32 v0, v5
	;; [unrolled: 1-line block ×4, first 2 shown]
	global_store_dwordx4 v[6:7], v[0:3], off
.LBB1982_14:
	s_or_b64 exec, exec, s[2:3]
	s_load_dwordx2 s[2:3], s[0:1], 0x28
	s_waitcnt lgkmcnt(0)
	v_cmp_gt_u64_e32 vcc, s[2:3], v[4:5]
	s_and_saveexec_b64 s[4:5], vcc
	s_cbranch_execz .LBB1982_17
; %bb.15:
	s_load_dword s12, s[0:1], 0x30
	s_load_dwordx2 s[6:7], s[0:1], 0x20
	s_mov_b32 s5, 0
	s_mov_b32 s1, s5
	s_mul_i32 s0, s18, s19
	s_waitcnt lgkmcnt(0)
	s_add_i32 s4, s12, -1
	s_lshl_b64 s[4:5], s[4:5], 2
	s_add_u32 s4, s10, s4
	v_mad_u64_u32 v[0:1], s[8:9], s12, v4, 0
	s_addc_u32 s5, s11, s5
	v_lshl_add_u64 v[0:1], v[0:1], 2, s[4:5]
	s_mul_hi_u32 s5, s12, s0
	s_mul_i32 s4, s12, s0
	s_lshl_b64 s[4:5], s[4:5], 2
	v_lshl_add_u64 v[2:3], v[4:5], 2, s[6:7]
	s_lshl_b64 s[6:7], s[0:1], 2
	s_mov_b64 s[8:9], 0
.LBB1982_16:                            ; =>This Inner Loop Header: Depth=1
	global_load_dword v6, v[0:1], off
	v_lshl_add_u64 v[4:5], v[4:5], 0, s[0:1]
	v_cmp_le_u64_e32 vcc, s[2:3], v[4:5]
	v_lshl_add_u64 v[0:1], v[0:1], 0, s[4:5]
	s_or_b64 s[8:9], vcc, s[8:9]
	s_waitcnt vmcnt(0)
	global_store_dword v[2:3], v6, off
	v_lshl_add_u64 v[2:3], v[2:3], 0, s[6:7]
	s_andn2_b64 exec, exec, s[8:9]
	s_cbranch_execnz .LBB1982_16
.LBB1982_17:
	s_endpgm
	.section	.rodata,"a",@progbits
	.p2align	6, 0x0
	.amdhsa_kernel _ZN7rocprim17ROCPRIM_400000_NS6detail30init_device_scan_by_key_kernelINS1_19lookback_scan_stateINS0_5tupleIJ11FixedVectorIiLj2EEbEEELb0ELb1EEEN6thrust23THRUST_200600_302600_NS6detail15normal_iteratorINSA_10device_ptrIjEEEEjNS1_16block_id_wrapperIjLb1EEEEEvT_jjPNSI_10value_typeET0_PNSt15iterator_traitsISL_E10value_typeEmT1_T2_
		.amdhsa_group_segment_fixed_size 0
		.amdhsa_private_segment_fixed_size 0
		.amdhsa_kernarg_size 320
		.amdhsa_user_sgpr_count 2
		.amdhsa_user_sgpr_dispatch_ptr 0
		.amdhsa_user_sgpr_queue_ptr 0
		.amdhsa_user_sgpr_kernarg_segment_ptr 1
		.amdhsa_user_sgpr_dispatch_id 0
		.amdhsa_user_sgpr_kernarg_preload_length 0
		.amdhsa_user_sgpr_kernarg_preload_offset 0
		.amdhsa_user_sgpr_private_segment_size 0
		.amdhsa_uses_dynamic_stack 0
		.amdhsa_enable_private_segment 0
		.amdhsa_system_sgpr_workgroup_id_x 1
		.amdhsa_system_sgpr_workgroup_id_y 0
		.amdhsa_system_sgpr_workgroup_id_z 0
		.amdhsa_system_sgpr_workgroup_info 0
		.amdhsa_system_vgpr_workitem_id 0
		.amdhsa_next_free_vgpr 22
		.amdhsa_next_free_sgpr 20
		.amdhsa_accum_offset 24
		.amdhsa_reserve_vcc 1
		.amdhsa_float_round_mode_32 0
		.amdhsa_float_round_mode_16_64 0
		.amdhsa_float_denorm_mode_32 3
		.amdhsa_float_denorm_mode_16_64 3
		.amdhsa_dx10_clamp 1
		.amdhsa_ieee_mode 1
		.amdhsa_fp16_overflow 0
		.amdhsa_tg_split 0
		.amdhsa_exception_fp_ieee_invalid_op 0
		.amdhsa_exception_fp_denorm_src 0
		.amdhsa_exception_fp_ieee_div_zero 0
		.amdhsa_exception_fp_ieee_overflow 0
		.amdhsa_exception_fp_ieee_underflow 0
		.amdhsa_exception_fp_ieee_inexact 0
		.amdhsa_exception_int_div_zero 0
	.end_amdhsa_kernel
	.section	.text._ZN7rocprim17ROCPRIM_400000_NS6detail30init_device_scan_by_key_kernelINS1_19lookback_scan_stateINS0_5tupleIJ11FixedVectorIiLj2EEbEEELb0ELb1EEEN6thrust23THRUST_200600_302600_NS6detail15normal_iteratorINSA_10device_ptrIjEEEEjNS1_16block_id_wrapperIjLb1EEEEEvT_jjPNSI_10value_typeET0_PNSt15iterator_traitsISL_E10value_typeEmT1_T2_,"axG",@progbits,_ZN7rocprim17ROCPRIM_400000_NS6detail30init_device_scan_by_key_kernelINS1_19lookback_scan_stateINS0_5tupleIJ11FixedVectorIiLj2EEbEEELb0ELb1EEEN6thrust23THRUST_200600_302600_NS6detail15normal_iteratorINSA_10device_ptrIjEEEEjNS1_16block_id_wrapperIjLb1EEEEEvT_jjPNSI_10value_typeET0_PNSt15iterator_traitsISL_E10value_typeEmT1_T2_,comdat
.Lfunc_end1982:
	.size	_ZN7rocprim17ROCPRIM_400000_NS6detail30init_device_scan_by_key_kernelINS1_19lookback_scan_stateINS0_5tupleIJ11FixedVectorIiLj2EEbEEELb0ELb1EEEN6thrust23THRUST_200600_302600_NS6detail15normal_iteratorINSA_10device_ptrIjEEEEjNS1_16block_id_wrapperIjLb1EEEEEvT_jjPNSI_10value_typeET0_PNSt15iterator_traitsISL_E10value_typeEmT1_T2_, .Lfunc_end1982-_ZN7rocprim17ROCPRIM_400000_NS6detail30init_device_scan_by_key_kernelINS1_19lookback_scan_stateINS0_5tupleIJ11FixedVectorIiLj2EEbEEELb0ELb1EEEN6thrust23THRUST_200600_302600_NS6detail15normal_iteratorINSA_10device_ptrIjEEEEjNS1_16block_id_wrapperIjLb1EEEEEvT_jjPNSI_10value_typeET0_PNSt15iterator_traitsISL_E10value_typeEmT1_T2_
                                        ; -- End function
	.section	.AMDGPU.csdata,"",@progbits
; Kernel info:
; codeLenInByte = 796
; NumSgprs: 26
; NumVgprs: 22
; NumAgprs: 0
; TotalNumVgprs: 22
; ScratchSize: 0
; MemoryBound: 0
; FloatMode: 240
; IeeeMode: 1
; LDSByteSize: 0 bytes/workgroup (compile time only)
; SGPRBlocks: 3
; VGPRBlocks: 2
; NumSGPRsForWavesPerEU: 26
; NumVGPRsForWavesPerEU: 22
; AccumOffset: 24
; Occupancy: 8
; WaveLimiterHint : 0
; COMPUTE_PGM_RSRC2:SCRATCH_EN: 0
; COMPUTE_PGM_RSRC2:USER_SGPR: 2
; COMPUTE_PGM_RSRC2:TRAP_HANDLER: 0
; COMPUTE_PGM_RSRC2:TGID_X_EN: 1
; COMPUTE_PGM_RSRC2:TGID_Y_EN: 0
; COMPUTE_PGM_RSRC2:TGID_Z_EN: 0
; COMPUTE_PGM_RSRC2:TIDIG_COMP_CNT: 0
; COMPUTE_PGM_RSRC3_GFX90A:ACCUM_OFFSET: 5
; COMPUTE_PGM_RSRC3_GFX90A:TG_SPLIT: 0
	.section	.text._ZN7rocprim17ROCPRIM_400000_NS6detail30init_device_scan_by_key_kernelINS1_19lookback_scan_stateINS0_5tupleIJ11FixedVectorIiLj2EEbEEELb0ELb1EEENS1_16block_id_wrapperIjLb1EEEEEvT_jjPNSB_10value_typeET0_,"axG",@progbits,_ZN7rocprim17ROCPRIM_400000_NS6detail30init_device_scan_by_key_kernelINS1_19lookback_scan_stateINS0_5tupleIJ11FixedVectorIiLj2EEbEEELb0ELb1EEENS1_16block_id_wrapperIjLb1EEEEEvT_jjPNSB_10value_typeET0_,comdat
	.protected	_ZN7rocprim17ROCPRIM_400000_NS6detail30init_device_scan_by_key_kernelINS1_19lookback_scan_stateINS0_5tupleIJ11FixedVectorIiLj2EEbEEELb0ELb1EEENS1_16block_id_wrapperIjLb1EEEEEvT_jjPNSB_10value_typeET0_ ; -- Begin function _ZN7rocprim17ROCPRIM_400000_NS6detail30init_device_scan_by_key_kernelINS1_19lookback_scan_stateINS0_5tupleIJ11FixedVectorIiLj2EEbEEELb0ELb1EEENS1_16block_id_wrapperIjLb1EEEEEvT_jjPNSB_10value_typeET0_
	.globl	_ZN7rocprim17ROCPRIM_400000_NS6detail30init_device_scan_by_key_kernelINS1_19lookback_scan_stateINS0_5tupleIJ11FixedVectorIiLj2EEbEEELb0ELb1EEENS1_16block_id_wrapperIjLb1EEEEEvT_jjPNSB_10value_typeET0_
	.p2align	8
	.type	_ZN7rocprim17ROCPRIM_400000_NS6detail30init_device_scan_by_key_kernelINS1_19lookback_scan_stateINS0_5tupleIJ11FixedVectorIiLj2EEbEEELb0ELb1EEENS1_16block_id_wrapperIjLb1EEEEEvT_jjPNSB_10value_typeET0_,@function
_ZN7rocprim17ROCPRIM_400000_NS6detail30init_device_scan_by_key_kernelINS1_19lookback_scan_stateINS0_5tupleIJ11FixedVectorIiLj2EEbEEELb0ELb1EEENS1_16block_id_wrapperIjLb1EEEEEvT_jjPNSB_10value_typeET0_: ; @_ZN7rocprim17ROCPRIM_400000_NS6detail30init_device_scan_by_key_kernelINS1_19lookback_scan_stateINS0_5tupleIJ11FixedVectorIiLj2EEbEEELb0ELb1EEENS1_16block_id_wrapperIjLb1EEEEEvT_jjPNSB_10value_typeET0_
; %bb.0:
	s_load_dword s3, s[0:1], 0x2c
	s_load_dwordx8 s[4:11], s[0:1], 0x0
	s_waitcnt lgkmcnt(0)
	s_and_b32 s0, s3, 0xffff
	s_mul_i32 s2, s2, s0
	s_cmp_eq_u64 s[8:9], 0
	v_add_u32_e32 v0, s2, v0
	s_cbranch_scc1 .LBB1983_8
; %bb.1:
	s_cmp_lt_u32 s7, s6
	s_cselect_b32 s0, s7, 0
	s_mov_b32 s3, 0
	v_cmp_eq_u32_e32 vcc, s0, v0
	s_and_saveexec_b64 s[0:1], vcc
	s_cbranch_execz .LBB1983_7
; %bb.2:
	s_add_i32 s2, s7, 64
	s_lshl_b64 s[2:3], s[2:3], 4
	s_add_u32 s12, s4, s2
	s_addc_u32 s13, s5, s3
	v_mov_b64_e32 v[2:3], s[12:13]
	v_mov_b32_e32 v16, 0
	;;#ASMSTART
	global_load_dwordx4 v[2:5], v[2:3] off sc1	
s_waitcnt vmcnt(0)
	;;#ASMEND
	s_mov_b64 s[14:15], 0
	v_lshlrev_b64 v[14:15], 24, v[4:5]
	v_lshrrev_b32_e32 v1, 8, v3
	v_lshlrev_b64 v[18:19], 16, v[4:5]
	v_lshlrev_b64 v[20:21], 8, v[4:5]
	v_and_b32_e32 v17, 0xff, v5
	v_lshrrev_b64 v[6:7], 8, v[2:3]
	v_lshrrev_b64 v[10:11], 16, v[2:3]
	;; [unrolled: 1-line block ×3, first 2 shown]
	v_mov_b32_e32 v12, v3
	v_or_b32_e32 v14, v1, v14
	v_or_b32_sdwa v18, v3, v18 dst_sel:DWORD dst_unused:UNUSED_PAD src0_sel:WORD_1 src1_sel:DWORD
	v_or_b32_sdwa v20, v3, v20 dst_sel:DWORD dst_unused:UNUSED_PAD src0_sel:BYTE_3 src1_sel:DWORD
	v_cmp_eq_u64_e32 vcc, 0, v[16:17]
	s_and_saveexec_b64 s[2:3], vcc
	s_cbranch_execz .LBB1983_6
; %bb.3:
	v_mov_b64_e32 v[6:7], s[12:13]
.LBB1983_4:                             ; =>This Inner Loop Header: Depth=1
	;;#ASMSTART
	global_load_dwordx4 v[2:5], v[6:7] off sc1	
s_waitcnt vmcnt(0)
	;;#ASMEND
	s_nop 0
	v_and_b32_e32 v17, 0xff, v5
	v_cmp_ne_u64_e32 vcc, 0, v[16:17]
	s_or_b64 s[14:15], vcc, s[14:15]
	s_andn2_b64 exec, exec, s[14:15]
	s_cbranch_execnz .LBB1983_4
; %bb.5:
	s_or_b64 exec, exec, s[14:15]
	v_lshlrev_b64 v[16:17], 16, v[4:5]
	v_lshlrev_b64 v[14:15], 24, v[4:5]
	v_lshrrev_b32_e32 v1, 8, v3
	v_or_b32_sdwa v18, v3, v16 dst_sel:DWORD dst_unused:UNUSED_PAD src0_sel:WORD_1 src1_sel:DWORD
	v_lshlrev_b64 v[16:17], 8, v[4:5]
	v_lshrrev_b64 v[6:7], 8, v[2:3]
	v_lshrrev_b64 v[10:11], 16, v[2:3]
	;; [unrolled: 1-line block ×3, first 2 shown]
	v_mov_b32_e32 v12, v3
	v_or_b32_e32 v14, v1, v14
	v_or_b32_sdwa v20, v3, v16 dst_sel:DWORD dst_unused:UNUSED_PAD src0_sel:BYTE_3 src1_sel:DWORD
.LBB1983_6:
	s_or_b64 exec, exec, s[2:3]
	v_lshlrev_b32_e32 v3, 16, v18
	v_lshlrev_b32_e32 v1, 24, v20
	v_and_b32_e32 v3, 0xff0000, v3
	v_lshlrev_b32_e32 v5, 8, v14
	v_and_b32_e32 v5, 0xff00, v5
	v_and_b32_e32 v9, 0xff, v12
	v_lshlrev_b32_e32 v10, 16, v10
	v_or_b32_e32 v1, v3, v1
	s_mov_b32 s2, 0x4020c0c
	v_lshlrev_b32_e32 v6, 8, v6
	v_or3_b32 v3, v1, v5, v9
	v_perm_b32 v1, v8, v10, s2
	v_and_b32_e32 v6, 0xff00, v6
	v_mov_b32_e32 v7, 0
	v_or_b32_sdwa v2, v1, v2 dst_sel:DWORD dst_unused:UNUSED_PAD src0_sel:DWORD src1_sel:BYTE_0
	v_lshl_add_u64 v[2:3], v[2:3], 0, v[6:7]
	global_store_dwordx2 v7, v[2:3], s[8:9]
	global_store_byte v7, v4, s[8:9] offset:8
.LBB1983_7:
	s_or_b64 exec, exec, s[0:1]
.LBB1983_8:
	v_cmp_eq_u32_e32 vcc, 0, v0
	s_and_saveexec_b64 s[0:1], vcc
	s_cbranch_execnz .LBB1983_12
; %bb.9:
	s_or_b64 exec, exec, s[0:1]
	v_cmp_gt_u32_e32 vcc, s6, v0
	s_and_saveexec_b64 s[0:1], vcc
	s_cbranch_execnz .LBB1983_13
.LBB1983_10:
	s_or_b64 exec, exec, s[0:1]
	v_cmp_gt_u32_e32 vcc, 64, v0
	s_and_saveexec_b64 s[0:1], vcc
	s_cbranch_execnz .LBB1983_14
.LBB1983_11:
	s_endpgm
.LBB1983_12:
	v_mov_b32_e32 v1, 0
	global_store_dword v1, v1, s[10:11]
	s_or_b64 exec, exec, s[0:1]
	v_cmp_gt_u32_e32 vcc, s6, v0
	s_and_saveexec_b64 s[0:1], vcc
	s_cbranch_execz .LBB1983_10
.LBB1983_13:
	v_add_u32_e32 v2, 64, v0
	v_mov_b32_e32 v3, 0
	v_lshl_add_u64 v[6:7], v[2:3], 4, s[4:5]
	v_mov_b32_e32 v2, v3
	v_mov_b32_e32 v4, v3
	;; [unrolled: 1-line block ×3, first 2 shown]
	global_store_dwordx4 v[6:7], v[2:5], off
	s_or_b64 exec, exec, s[0:1]
	v_cmp_gt_u32_e32 vcc, 64, v0
	s_and_saveexec_b64 s[0:1], vcc
	s_cbranch_execz .LBB1983_11
.LBB1983_14:
	v_mov_b32_e32 v1, 0
	v_lshl_add_u64 v[4:5], v[0:1], 4, s[4:5]
	v_mov_b32_e32 v3, 0xff
	v_mov_b32_e32 v0, v1
	;; [unrolled: 1-line block ×3, first 2 shown]
	global_store_dwordx4 v[4:5], v[0:3], off
	s_endpgm
	.section	.rodata,"a",@progbits
	.p2align	6, 0x0
	.amdhsa_kernel _ZN7rocprim17ROCPRIM_400000_NS6detail30init_device_scan_by_key_kernelINS1_19lookback_scan_stateINS0_5tupleIJ11FixedVectorIiLj2EEbEEELb0ELb1EEENS1_16block_id_wrapperIjLb1EEEEEvT_jjPNSB_10value_typeET0_
		.amdhsa_group_segment_fixed_size 0
		.amdhsa_private_segment_fixed_size 0
		.amdhsa_kernarg_size 288
		.amdhsa_user_sgpr_count 2
		.amdhsa_user_sgpr_dispatch_ptr 0
		.amdhsa_user_sgpr_queue_ptr 0
		.amdhsa_user_sgpr_kernarg_segment_ptr 1
		.amdhsa_user_sgpr_dispatch_id 0
		.amdhsa_user_sgpr_kernarg_preload_length 0
		.amdhsa_user_sgpr_kernarg_preload_offset 0
		.amdhsa_user_sgpr_private_segment_size 0
		.amdhsa_uses_dynamic_stack 0
		.amdhsa_enable_private_segment 0
		.amdhsa_system_sgpr_workgroup_id_x 1
		.amdhsa_system_sgpr_workgroup_id_y 0
		.amdhsa_system_sgpr_workgroup_id_z 0
		.amdhsa_system_sgpr_workgroup_info 0
		.amdhsa_system_vgpr_workitem_id 0
		.amdhsa_next_free_vgpr 22
		.amdhsa_next_free_sgpr 16
		.amdhsa_accum_offset 24
		.amdhsa_reserve_vcc 1
		.amdhsa_float_round_mode_32 0
		.amdhsa_float_round_mode_16_64 0
		.amdhsa_float_denorm_mode_32 3
		.amdhsa_float_denorm_mode_16_64 3
		.amdhsa_dx10_clamp 1
		.amdhsa_ieee_mode 1
		.amdhsa_fp16_overflow 0
		.amdhsa_tg_split 0
		.amdhsa_exception_fp_ieee_invalid_op 0
		.amdhsa_exception_fp_denorm_src 0
		.amdhsa_exception_fp_ieee_div_zero 0
		.amdhsa_exception_fp_ieee_overflow 0
		.amdhsa_exception_fp_ieee_underflow 0
		.amdhsa_exception_fp_ieee_inexact 0
		.amdhsa_exception_int_div_zero 0
	.end_amdhsa_kernel
	.section	.text._ZN7rocprim17ROCPRIM_400000_NS6detail30init_device_scan_by_key_kernelINS1_19lookback_scan_stateINS0_5tupleIJ11FixedVectorIiLj2EEbEEELb0ELb1EEENS1_16block_id_wrapperIjLb1EEEEEvT_jjPNSB_10value_typeET0_,"axG",@progbits,_ZN7rocprim17ROCPRIM_400000_NS6detail30init_device_scan_by_key_kernelINS1_19lookback_scan_stateINS0_5tupleIJ11FixedVectorIiLj2EEbEEELb0ELb1EEENS1_16block_id_wrapperIjLb1EEEEEvT_jjPNSB_10value_typeET0_,comdat
.Lfunc_end1983:
	.size	_ZN7rocprim17ROCPRIM_400000_NS6detail30init_device_scan_by_key_kernelINS1_19lookback_scan_stateINS0_5tupleIJ11FixedVectorIiLj2EEbEEELb0ELb1EEENS1_16block_id_wrapperIjLb1EEEEEvT_jjPNSB_10value_typeET0_, .Lfunc_end1983-_ZN7rocprim17ROCPRIM_400000_NS6detail30init_device_scan_by_key_kernelINS1_19lookback_scan_stateINS0_5tupleIJ11FixedVectorIiLj2EEbEEELb0ELb1EEENS1_16block_id_wrapperIjLb1EEEEEvT_jjPNSB_10value_typeET0_
                                        ; -- End function
	.section	.AMDGPU.csdata,"",@progbits
; Kernel info:
; codeLenInByte = 628
; NumSgprs: 22
; NumVgprs: 22
; NumAgprs: 0
; TotalNumVgprs: 22
; ScratchSize: 0
; MemoryBound: 0
; FloatMode: 240
; IeeeMode: 1
; LDSByteSize: 0 bytes/workgroup (compile time only)
; SGPRBlocks: 2
; VGPRBlocks: 2
; NumSGPRsForWavesPerEU: 22
; NumVGPRsForWavesPerEU: 22
; AccumOffset: 24
; Occupancy: 8
; WaveLimiterHint : 0
; COMPUTE_PGM_RSRC2:SCRATCH_EN: 0
; COMPUTE_PGM_RSRC2:USER_SGPR: 2
; COMPUTE_PGM_RSRC2:TRAP_HANDLER: 0
; COMPUTE_PGM_RSRC2:TGID_X_EN: 1
; COMPUTE_PGM_RSRC2:TGID_Y_EN: 0
; COMPUTE_PGM_RSRC2:TGID_Z_EN: 0
; COMPUTE_PGM_RSRC2:TIDIG_COMP_CNT: 0
; COMPUTE_PGM_RSRC3_GFX90A:ACCUM_OFFSET: 5
; COMPUTE_PGM_RSRC3_GFX90A:TG_SPLIT: 0
	.section	.text._ZN7rocprim17ROCPRIM_400000_NS6detail17trampoline_kernelINS0_14default_configENS1_27scan_by_key_config_selectorIj11FixedVectorIiLj2EEEEZZNS1_16scan_by_key_implILNS1_25lookback_scan_determinismE0ELb0ES3_N6thrust23THRUST_200600_302600_NS6detail15normal_iteratorINSB_10device_ptrIjEEEENSD_INSE_IS6_EEEESI_S6_NSB_4plusIvEENSB_8equal_toIvEES6_EE10hipError_tPvRmT2_T3_T4_T5_mT6_T7_P12ihipStream_tbENKUlT_T0_E_clISt17integral_constantIbLb0EES12_IbLb1EEEEDaSY_SZ_EUlSY_E_NS1_11comp_targetILNS1_3genE0ELNS1_11target_archE4294967295ELNS1_3gpuE0ELNS1_3repE0EEENS1_30default_config_static_selectorELNS0_4arch9wavefront6targetE1EEEvT1_,"axG",@progbits,_ZN7rocprim17ROCPRIM_400000_NS6detail17trampoline_kernelINS0_14default_configENS1_27scan_by_key_config_selectorIj11FixedVectorIiLj2EEEEZZNS1_16scan_by_key_implILNS1_25lookback_scan_determinismE0ELb0ES3_N6thrust23THRUST_200600_302600_NS6detail15normal_iteratorINSB_10device_ptrIjEEEENSD_INSE_IS6_EEEESI_S6_NSB_4plusIvEENSB_8equal_toIvEES6_EE10hipError_tPvRmT2_T3_T4_T5_mT6_T7_P12ihipStream_tbENKUlT_T0_E_clISt17integral_constantIbLb0EES12_IbLb1EEEEDaSY_SZ_EUlSY_E_NS1_11comp_targetILNS1_3genE0ELNS1_11target_archE4294967295ELNS1_3gpuE0ELNS1_3repE0EEENS1_30default_config_static_selectorELNS0_4arch9wavefront6targetE1EEEvT1_,comdat
	.protected	_ZN7rocprim17ROCPRIM_400000_NS6detail17trampoline_kernelINS0_14default_configENS1_27scan_by_key_config_selectorIj11FixedVectorIiLj2EEEEZZNS1_16scan_by_key_implILNS1_25lookback_scan_determinismE0ELb0ES3_N6thrust23THRUST_200600_302600_NS6detail15normal_iteratorINSB_10device_ptrIjEEEENSD_INSE_IS6_EEEESI_S6_NSB_4plusIvEENSB_8equal_toIvEES6_EE10hipError_tPvRmT2_T3_T4_T5_mT6_T7_P12ihipStream_tbENKUlT_T0_E_clISt17integral_constantIbLb0EES12_IbLb1EEEEDaSY_SZ_EUlSY_E_NS1_11comp_targetILNS1_3genE0ELNS1_11target_archE4294967295ELNS1_3gpuE0ELNS1_3repE0EEENS1_30default_config_static_selectorELNS0_4arch9wavefront6targetE1EEEvT1_ ; -- Begin function _ZN7rocprim17ROCPRIM_400000_NS6detail17trampoline_kernelINS0_14default_configENS1_27scan_by_key_config_selectorIj11FixedVectorIiLj2EEEEZZNS1_16scan_by_key_implILNS1_25lookback_scan_determinismE0ELb0ES3_N6thrust23THRUST_200600_302600_NS6detail15normal_iteratorINSB_10device_ptrIjEEEENSD_INSE_IS6_EEEESI_S6_NSB_4plusIvEENSB_8equal_toIvEES6_EE10hipError_tPvRmT2_T3_T4_T5_mT6_T7_P12ihipStream_tbENKUlT_T0_E_clISt17integral_constantIbLb0EES12_IbLb1EEEEDaSY_SZ_EUlSY_E_NS1_11comp_targetILNS1_3genE0ELNS1_11target_archE4294967295ELNS1_3gpuE0ELNS1_3repE0EEENS1_30default_config_static_selectorELNS0_4arch9wavefront6targetE1EEEvT1_
	.globl	_ZN7rocprim17ROCPRIM_400000_NS6detail17trampoline_kernelINS0_14default_configENS1_27scan_by_key_config_selectorIj11FixedVectorIiLj2EEEEZZNS1_16scan_by_key_implILNS1_25lookback_scan_determinismE0ELb0ES3_N6thrust23THRUST_200600_302600_NS6detail15normal_iteratorINSB_10device_ptrIjEEEENSD_INSE_IS6_EEEESI_S6_NSB_4plusIvEENSB_8equal_toIvEES6_EE10hipError_tPvRmT2_T3_T4_T5_mT6_T7_P12ihipStream_tbENKUlT_T0_E_clISt17integral_constantIbLb0EES12_IbLb1EEEEDaSY_SZ_EUlSY_E_NS1_11comp_targetILNS1_3genE0ELNS1_11target_archE4294967295ELNS1_3gpuE0ELNS1_3repE0EEENS1_30default_config_static_selectorELNS0_4arch9wavefront6targetE1EEEvT1_
	.p2align	8
	.type	_ZN7rocprim17ROCPRIM_400000_NS6detail17trampoline_kernelINS0_14default_configENS1_27scan_by_key_config_selectorIj11FixedVectorIiLj2EEEEZZNS1_16scan_by_key_implILNS1_25lookback_scan_determinismE0ELb0ES3_N6thrust23THRUST_200600_302600_NS6detail15normal_iteratorINSB_10device_ptrIjEEEENSD_INSE_IS6_EEEESI_S6_NSB_4plusIvEENSB_8equal_toIvEES6_EE10hipError_tPvRmT2_T3_T4_T5_mT6_T7_P12ihipStream_tbENKUlT_T0_E_clISt17integral_constantIbLb0EES12_IbLb1EEEEDaSY_SZ_EUlSY_E_NS1_11comp_targetILNS1_3genE0ELNS1_11target_archE4294967295ELNS1_3gpuE0ELNS1_3repE0EEENS1_30default_config_static_selectorELNS0_4arch9wavefront6targetE1EEEvT1_,@function
_ZN7rocprim17ROCPRIM_400000_NS6detail17trampoline_kernelINS0_14default_configENS1_27scan_by_key_config_selectorIj11FixedVectorIiLj2EEEEZZNS1_16scan_by_key_implILNS1_25lookback_scan_determinismE0ELb0ES3_N6thrust23THRUST_200600_302600_NS6detail15normal_iteratorINSB_10device_ptrIjEEEENSD_INSE_IS6_EEEESI_S6_NSB_4plusIvEENSB_8equal_toIvEES6_EE10hipError_tPvRmT2_T3_T4_T5_mT6_T7_P12ihipStream_tbENKUlT_T0_E_clISt17integral_constantIbLb0EES12_IbLb1EEEEDaSY_SZ_EUlSY_E_NS1_11comp_targetILNS1_3genE0ELNS1_11target_archE4294967295ELNS1_3gpuE0ELNS1_3repE0EEENS1_30default_config_static_selectorELNS0_4arch9wavefront6targetE1EEEvT1_: ; @_ZN7rocprim17ROCPRIM_400000_NS6detail17trampoline_kernelINS0_14default_configENS1_27scan_by_key_config_selectorIj11FixedVectorIiLj2EEEEZZNS1_16scan_by_key_implILNS1_25lookback_scan_determinismE0ELb0ES3_N6thrust23THRUST_200600_302600_NS6detail15normal_iteratorINSB_10device_ptrIjEEEENSD_INSE_IS6_EEEESI_S6_NSB_4plusIvEENSB_8equal_toIvEES6_EE10hipError_tPvRmT2_T3_T4_T5_mT6_T7_P12ihipStream_tbENKUlT_T0_E_clISt17integral_constantIbLb0EES12_IbLb1EEEEDaSY_SZ_EUlSY_E_NS1_11comp_targetILNS1_3genE0ELNS1_11target_archE4294967295ELNS1_3gpuE0ELNS1_3repE0EEENS1_30default_config_static_selectorELNS0_4arch9wavefront6targetE1EEEvT1_
; %bb.0:
	.section	.rodata,"a",@progbits
	.p2align	6, 0x0
	.amdhsa_kernel _ZN7rocprim17ROCPRIM_400000_NS6detail17trampoline_kernelINS0_14default_configENS1_27scan_by_key_config_selectorIj11FixedVectorIiLj2EEEEZZNS1_16scan_by_key_implILNS1_25lookback_scan_determinismE0ELb0ES3_N6thrust23THRUST_200600_302600_NS6detail15normal_iteratorINSB_10device_ptrIjEEEENSD_INSE_IS6_EEEESI_S6_NSB_4plusIvEENSB_8equal_toIvEES6_EE10hipError_tPvRmT2_T3_T4_T5_mT6_T7_P12ihipStream_tbENKUlT_T0_E_clISt17integral_constantIbLb0EES12_IbLb1EEEEDaSY_SZ_EUlSY_E_NS1_11comp_targetILNS1_3genE0ELNS1_11target_archE4294967295ELNS1_3gpuE0ELNS1_3repE0EEENS1_30default_config_static_selectorELNS0_4arch9wavefront6targetE1EEEvT1_
		.amdhsa_group_segment_fixed_size 0
		.amdhsa_private_segment_fixed_size 0
		.amdhsa_kernarg_size 120
		.amdhsa_user_sgpr_count 2
		.amdhsa_user_sgpr_dispatch_ptr 0
		.amdhsa_user_sgpr_queue_ptr 0
		.amdhsa_user_sgpr_kernarg_segment_ptr 1
		.amdhsa_user_sgpr_dispatch_id 0
		.amdhsa_user_sgpr_kernarg_preload_length 0
		.amdhsa_user_sgpr_kernarg_preload_offset 0
		.amdhsa_user_sgpr_private_segment_size 0
		.amdhsa_uses_dynamic_stack 0
		.amdhsa_enable_private_segment 0
		.amdhsa_system_sgpr_workgroup_id_x 1
		.amdhsa_system_sgpr_workgroup_id_y 0
		.amdhsa_system_sgpr_workgroup_id_z 0
		.amdhsa_system_sgpr_workgroup_info 0
		.amdhsa_system_vgpr_workitem_id 0
		.amdhsa_next_free_vgpr 1
		.amdhsa_next_free_sgpr 0
		.amdhsa_accum_offset 4
		.amdhsa_reserve_vcc 0
		.amdhsa_float_round_mode_32 0
		.amdhsa_float_round_mode_16_64 0
		.amdhsa_float_denorm_mode_32 3
		.amdhsa_float_denorm_mode_16_64 3
		.amdhsa_dx10_clamp 1
		.amdhsa_ieee_mode 1
		.amdhsa_fp16_overflow 0
		.amdhsa_tg_split 0
		.amdhsa_exception_fp_ieee_invalid_op 0
		.amdhsa_exception_fp_denorm_src 0
		.amdhsa_exception_fp_ieee_div_zero 0
		.amdhsa_exception_fp_ieee_overflow 0
		.amdhsa_exception_fp_ieee_underflow 0
		.amdhsa_exception_fp_ieee_inexact 0
		.amdhsa_exception_int_div_zero 0
	.end_amdhsa_kernel
	.section	.text._ZN7rocprim17ROCPRIM_400000_NS6detail17trampoline_kernelINS0_14default_configENS1_27scan_by_key_config_selectorIj11FixedVectorIiLj2EEEEZZNS1_16scan_by_key_implILNS1_25lookback_scan_determinismE0ELb0ES3_N6thrust23THRUST_200600_302600_NS6detail15normal_iteratorINSB_10device_ptrIjEEEENSD_INSE_IS6_EEEESI_S6_NSB_4plusIvEENSB_8equal_toIvEES6_EE10hipError_tPvRmT2_T3_T4_T5_mT6_T7_P12ihipStream_tbENKUlT_T0_E_clISt17integral_constantIbLb0EES12_IbLb1EEEEDaSY_SZ_EUlSY_E_NS1_11comp_targetILNS1_3genE0ELNS1_11target_archE4294967295ELNS1_3gpuE0ELNS1_3repE0EEENS1_30default_config_static_selectorELNS0_4arch9wavefront6targetE1EEEvT1_,"axG",@progbits,_ZN7rocprim17ROCPRIM_400000_NS6detail17trampoline_kernelINS0_14default_configENS1_27scan_by_key_config_selectorIj11FixedVectorIiLj2EEEEZZNS1_16scan_by_key_implILNS1_25lookback_scan_determinismE0ELb0ES3_N6thrust23THRUST_200600_302600_NS6detail15normal_iteratorINSB_10device_ptrIjEEEENSD_INSE_IS6_EEEESI_S6_NSB_4plusIvEENSB_8equal_toIvEES6_EE10hipError_tPvRmT2_T3_T4_T5_mT6_T7_P12ihipStream_tbENKUlT_T0_E_clISt17integral_constantIbLb0EES12_IbLb1EEEEDaSY_SZ_EUlSY_E_NS1_11comp_targetILNS1_3genE0ELNS1_11target_archE4294967295ELNS1_3gpuE0ELNS1_3repE0EEENS1_30default_config_static_selectorELNS0_4arch9wavefront6targetE1EEEvT1_,comdat
.Lfunc_end1984:
	.size	_ZN7rocprim17ROCPRIM_400000_NS6detail17trampoline_kernelINS0_14default_configENS1_27scan_by_key_config_selectorIj11FixedVectorIiLj2EEEEZZNS1_16scan_by_key_implILNS1_25lookback_scan_determinismE0ELb0ES3_N6thrust23THRUST_200600_302600_NS6detail15normal_iteratorINSB_10device_ptrIjEEEENSD_INSE_IS6_EEEESI_S6_NSB_4plusIvEENSB_8equal_toIvEES6_EE10hipError_tPvRmT2_T3_T4_T5_mT6_T7_P12ihipStream_tbENKUlT_T0_E_clISt17integral_constantIbLb0EES12_IbLb1EEEEDaSY_SZ_EUlSY_E_NS1_11comp_targetILNS1_3genE0ELNS1_11target_archE4294967295ELNS1_3gpuE0ELNS1_3repE0EEENS1_30default_config_static_selectorELNS0_4arch9wavefront6targetE1EEEvT1_, .Lfunc_end1984-_ZN7rocprim17ROCPRIM_400000_NS6detail17trampoline_kernelINS0_14default_configENS1_27scan_by_key_config_selectorIj11FixedVectorIiLj2EEEEZZNS1_16scan_by_key_implILNS1_25lookback_scan_determinismE0ELb0ES3_N6thrust23THRUST_200600_302600_NS6detail15normal_iteratorINSB_10device_ptrIjEEEENSD_INSE_IS6_EEEESI_S6_NSB_4plusIvEENSB_8equal_toIvEES6_EE10hipError_tPvRmT2_T3_T4_T5_mT6_T7_P12ihipStream_tbENKUlT_T0_E_clISt17integral_constantIbLb0EES12_IbLb1EEEEDaSY_SZ_EUlSY_E_NS1_11comp_targetILNS1_3genE0ELNS1_11target_archE4294967295ELNS1_3gpuE0ELNS1_3repE0EEENS1_30default_config_static_selectorELNS0_4arch9wavefront6targetE1EEEvT1_
                                        ; -- End function
	.section	.AMDGPU.csdata,"",@progbits
; Kernel info:
; codeLenInByte = 0
; NumSgprs: 6
; NumVgprs: 0
; NumAgprs: 0
; TotalNumVgprs: 0
; ScratchSize: 0
; MemoryBound: 0
; FloatMode: 240
; IeeeMode: 1
; LDSByteSize: 0 bytes/workgroup (compile time only)
; SGPRBlocks: 0
; VGPRBlocks: 0
; NumSGPRsForWavesPerEU: 6
; NumVGPRsForWavesPerEU: 1
; AccumOffset: 4
; Occupancy: 8
; WaveLimiterHint : 0
; COMPUTE_PGM_RSRC2:SCRATCH_EN: 0
; COMPUTE_PGM_RSRC2:USER_SGPR: 2
; COMPUTE_PGM_RSRC2:TRAP_HANDLER: 0
; COMPUTE_PGM_RSRC2:TGID_X_EN: 1
; COMPUTE_PGM_RSRC2:TGID_Y_EN: 0
; COMPUTE_PGM_RSRC2:TGID_Z_EN: 0
; COMPUTE_PGM_RSRC2:TIDIG_COMP_CNT: 0
; COMPUTE_PGM_RSRC3_GFX90A:ACCUM_OFFSET: 0
; COMPUTE_PGM_RSRC3_GFX90A:TG_SPLIT: 0
	.section	.text._ZN7rocprim17ROCPRIM_400000_NS6detail17trampoline_kernelINS0_14default_configENS1_27scan_by_key_config_selectorIj11FixedVectorIiLj2EEEEZZNS1_16scan_by_key_implILNS1_25lookback_scan_determinismE0ELb0ES3_N6thrust23THRUST_200600_302600_NS6detail15normal_iteratorINSB_10device_ptrIjEEEENSD_INSE_IS6_EEEESI_S6_NSB_4plusIvEENSB_8equal_toIvEES6_EE10hipError_tPvRmT2_T3_T4_T5_mT6_T7_P12ihipStream_tbENKUlT_T0_E_clISt17integral_constantIbLb0EES12_IbLb1EEEEDaSY_SZ_EUlSY_E_NS1_11comp_targetILNS1_3genE10ELNS1_11target_archE1201ELNS1_3gpuE5ELNS1_3repE0EEENS1_30default_config_static_selectorELNS0_4arch9wavefront6targetE1EEEvT1_,"axG",@progbits,_ZN7rocprim17ROCPRIM_400000_NS6detail17trampoline_kernelINS0_14default_configENS1_27scan_by_key_config_selectorIj11FixedVectorIiLj2EEEEZZNS1_16scan_by_key_implILNS1_25lookback_scan_determinismE0ELb0ES3_N6thrust23THRUST_200600_302600_NS6detail15normal_iteratorINSB_10device_ptrIjEEEENSD_INSE_IS6_EEEESI_S6_NSB_4plusIvEENSB_8equal_toIvEES6_EE10hipError_tPvRmT2_T3_T4_T5_mT6_T7_P12ihipStream_tbENKUlT_T0_E_clISt17integral_constantIbLb0EES12_IbLb1EEEEDaSY_SZ_EUlSY_E_NS1_11comp_targetILNS1_3genE10ELNS1_11target_archE1201ELNS1_3gpuE5ELNS1_3repE0EEENS1_30default_config_static_selectorELNS0_4arch9wavefront6targetE1EEEvT1_,comdat
	.protected	_ZN7rocprim17ROCPRIM_400000_NS6detail17trampoline_kernelINS0_14default_configENS1_27scan_by_key_config_selectorIj11FixedVectorIiLj2EEEEZZNS1_16scan_by_key_implILNS1_25lookback_scan_determinismE0ELb0ES3_N6thrust23THRUST_200600_302600_NS6detail15normal_iteratorINSB_10device_ptrIjEEEENSD_INSE_IS6_EEEESI_S6_NSB_4plusIvEENSB_8equal_toIvEES6_EE10hipError_tPvRmT2_T3_T4_T5_mT6_T7_P12ihipStream_tbENKUlT_T0_E_clISt17integral_constantIbLb0EES12_IbLb1EEEEDaSY_SZ_EUlSY_E_NS1_11comp_targetILNS1_3genE10ELNS1_11target_archE1201ELNS1_3gpuE5ELNS1_3repE0EEENS1_30default_config_static_selectorELNS0_4arch9wavefront6targetE1EEEvT1_ ; -- Begin function _ZN7rocprim17ROCPRIM_400000_NS6detail17trampoline_kernelINS0_14default_configENS1_27scan_by_key_config_selectorIj11FixedVectorIiLj2EEEEZZNS1_16scan_by_key_implILNS1_25lookback_scan_determinismE0ELb0ES3_N6thrust23THRUST_200600_302600_NS6detail15normal_iteratorINSB_10device_ptrIjEEEENSD_INSE_IS6_EEEESI_S6_NSB_4plusIvEENSB_8equal_toIvEES6_EE10hipError_tPvRmT2_T3_T4_T5_mT6_T7_P12ihipStream_tbENKUlT_T0_E_clISt17integral_constantIbLb0EES12_IbLb1EEEEDaSY_SZ_EUlSY_E_NS1_11comp_targetILNS1_3genE10ELNS1_11target_archE1201ELNS1_3gpuE5ELNS1_3repE0EEENS1_30default_config_static_selectorELNS0_4arch9wavefront6targetE1EEEvT1_
	.globl	_ZN7rocprim17ROCPRIM_400000_NS6detail17trampoline_kernelINS0_14default_configENS1_27scan_by_key_config_selectorIj11FixedVectorIiLj2EEEEZZNS1_16scan_by_key_implILNS1_25lookback_scan_determinismE0ELb0ES3_N6thrust23THRUST_200600_302600_NS6detail15normal_iteratorINSB_10device_ptrIjEEEENSD_INSE_IS6_EEEESI_S6_NSB_4plusIvEENSB_8equal_toIvEES6_EE10hipError_tPvRmT2_T3_T4_T5_mT6_T7_P12ihipStream_tbENKUlT_T0_E_clISt17integral_constantIbLb0EES12_IbLb1EEEEDaSY_SZ_EUlSY_E_NS1_11comp_targetILNS1_3genE10ELNS1_11target_archE1201ELNS1_3gpuE5ELNS1_3repE0EEENS1_30default_config_static_selectorELNS0_4arch9wavefront6targetE1EEEvT1_
	.p2align	8
	.type	_ZN7rocprim17ROCPRIM_400000_NS6detail17trampoline_kernelINS0_14default_configENS1_27scan_by_key_config_selectorIj11FixedVectorIiLj2EEEEZZNS1_16scan_by_key_implILNS1_25lookback_scan_determinismE0ELb0ES3_N6thrust23THRUST_200600_302600_NS6detail15normal_iteratorINSB_10device_ptrIjEEEENSD_INSE_IS6_EEEESI_S6_NSB_4plusIvEENSB_8equal_toIvEES6_EE10hipError_tPvRmT2_T3_T4_T5_mT6_T7_P12ihipStream_tbENKUlT_T0_E_clISt17integral_constantIbLb0EES12_IbLb1EEEEDaSY_SZ_EUlSY_E_NS1_11comp_targetILNS1_3genE10ELNS1_11target_archE1201ELNS1_3gpuE5ELNS1_3repE0EEENS1_30default_config_static_selectorELNS0_4arch9wavefront6targetE1EEEvT1_,@function
_ZN7rocprim17ROCPRIM_400000_NS6detail17trampoline_kernelINS0_14default_configENS1_27scan_by_key_config_selectorIj11FixedVectorIiLj2EEEEZZNS1_16scan_by_key_implILNS1_25lookback_scan_determinismE0ELb0ES3_N6thrust23THRUST_200600_302600_NS6detail15normal_iteratorINSB_10device_ptrIjEEEENSD_INSE_IS6_EEEESI_S6_NSB_4plusIvEENSB_8equal_toIvEES6_EE10hipError_tPvRmT2_T3_T4_T5_mT6_T7_P12ihipStream_tbENKUlT_T0_E_clISt17integral_constantIbLb0EES12_IbLb1EEEEDaSY_SZ_EUlSY_E_NS1_11comp_targetILNS1_3genE10ELNS1_11target_archE1201ELNS1_3gpuE5ELNS1_3repE0EEENS1_30default_config_static_selectorELNS0_4arch9wavefront6targetE1EEEvT1_: ; @_ZN7rocprim17ROCPRIM_400000_NS6detail17trampoline_kernelINS0_14default_configENS1_27scan_by_key_config_selectorIj11FixedVectorIiLj2EEEEZZNS1_16scan_by_key_implILNS1_25lookback_scan_determinismE0ELb0ES3_N6thrust23THRUST_200600_302600_NS6detail15normal_iteratorINSB_10device_ptrIjEEEENSD_INSE_IS6_EEEESI_S6_NSB_4plusIvEENSB_8equal_toIvEES6_EE10hipError_tPvRmT2_T3_T4_T5_mT6_T7_P12ihipStream_tbENKUlT_T0_E_clISt17integral_constantIbLb0EES12_IbLb1EEEEDaSY_SZ_EUlSY_E_NS1_11comp_targetILNS1_3genE10ELNS1_11target_archE1201ELNS1_3gpuE5ELNS1_3repE0EEENS1_30default_config_static_selectorELNS0_4arch9wavefront6targetE1EEEvT1_
; %bb.0:
	.section	.rodata,"a",@progbits
	.p2align	6, 0x0
	.amdhsa_kernel _ZN7rocprim17ROCPRIM_400000_NS6detail17trampoline_kernelINS0_14default_configENS1_27scan_by_key_config_selectorIj11FixedVectorIiLj2EEEEZZNS1_16scan_by_key_implILNS1_25lookback_scan_determinismE0ELb0ES3_N6thrust23THRUST_200600_302600_NS6detail15normal_iteratorINSB_10device_ptrIjEEEENSD_INSE_IS6_EEEESI_S6_NSB_4plusIvEENSB_8equal_toIvEES6_EE10hipError_tPvRmT2_T3_T4_T5_mT6_T7_P12ihipStream_tbENKUlT_T0_E_clISt17integral_constantIbLb0EES12_IbLb1EEEEDaSY_SZ_EUlSY_E_NS1_11comp_targetILNS1_3genE10ELNS1_11target_archE1201ELNS1_3gpuE5ELNS1_3repE0EEENS1_30default_config_static_selectorELNS0_4arch9wavefront6targetE1EEEvT1_
		.amdhsa_group_segment_fixed_size 0
		.amdhsa_private_segment_fixed_size 0
		.amdhsa_kernarg_size 120
		.amdhsa_user_sgpr_count 2
		.amdhsa_user_sgpr_dispatch_ptr 0
		.amdhsa_user_sgpr_queue_ptr 0
		.amdhsa_user_sgpr_kernarg_segment_ptr 1
		.amdhsa_user_sgpr_dispatch_id 0
		.amdhsa_user_sgpr_kernarg_preload_length 0
		.amdhsa_user_sgpr_kernarg_preload_offset 0
		.amdhsa_user_sgpr_private_segment_size 0
		.amdhsa_uses_dynamic_stack 0
		.amdhsa_enable_private_segment 0
		.amdhsa_system_sgpr_workgroup_id_x 1
		.amdhsa_system_sgpr_workgroup_id_y 0
		.amdhsa_system_sgpr_workgroup_id_z 0
		.amdhsa_system_sgpr_workgroup_info 0
		.amdhsa_system_vgpr_workitem_id 0
		.amdhsa_next_free_vgpr 1
		.amdhsa_next_free_sgpr 0
		.amdhsa_accum_offset 4
		.amdhsa_reserve_vcc 0
		.amdhsa_float_round_mode_32 0
		.amdhsa_float_round_mode_16_64 0
		.amdhsa_float_denorm_mode_32 3
		.amdhsa_float_denorm_mode_16_64 3
		.amdhsa_dx10_clamp 1
		.amdhsa_ieee_mode 1
		.amdhsa_fp16_overflow 0
		.amdhsa_tg_split 0
		.amdhsa_exception_fp_ieee_invalid_op 0
		.amdhsa_exception_fp_denorm_src 0
		.amdhsa_exception_fp_ieee_div_zero 0
		.amdhsa_exception_fp_ieee_overflow 0
		.amdhsa_exception_fp_ieee_underflow 0
		.amdhsa_exception_fp_ieee_inexact 0
		.amdhsa_exception_int_div_zero 0
	.end_amdhsa_kernel
	.section	.text._ZN7rocprim17ROCPRIM_400000_NS6detail17trampoline_kernelINS0_14default_configENS1_27scan_by_key_config_selectorIj11FixedVectorIiLj2EEEEZZNS1_16scan_by_key_implILNS1_25lookback_scan_determinismE0ELb0ES3_N6thrust23THRUST_200600_302600_NS6detail15normal_iteratorINSB_10device_ptrIjEEEENSD_INSE_IS6_EEEESI_S6_NSB_4plusIvEENSB_8equal_toIvEES6_EE10hipError_tPvRmT2_T3_T4_T5_mT6_T7_P12ihipStream_tbENKUlT_T0_E_clISt17integral_constantIbLb0EES12_IbLb1EEEEDaSY_SZ_EUlSY_E_NS1_11comp_targetILNS1_3genE10ELNS1_11target_archE1201ELNS1_3gpuE5ELNS1_3repE0EEENS1_30default_config_static_selectorELNS0_4arch9wavefront6targetE1EEEvT1_,"axG",@progbits,_ZN7rocprim17ROCPRIM_400000_NS6detail17trampoline_kernelINS0_14default_configENS1_27scan_by_key_config_selectorIj11FixedVectorIiLj2EEEEZZNS1_16scan_by_key_implILNS1_25lookback_scan_determinismE0ELb0ES3_N6thrust23THRUST_200600_302600_NS6detail15normal_iteratorINSB_10device_ptrIjEEEENSD_INSE_IS6_EEEESI_S6_NSB_4plusIvEENSB_8equal_toIvEES6_EE10hipError_tPvRmT2_T3_T4_T5_mT6_T7_P12ihipStream_tbENKUlT_T0_E_clISt17integral_constantIbLb0EES12_IbLb1EEEEDaSY_SZ_EUlSY_E_NS1_11comp_targetILNS1_3genE10ELNS1_11target_archE1201ELNS1_3gpuE5ELNS1_3repE0EEENS1_30default_config_static_selectorELNS0_4arch9wavefront6targetE1EEEvT1_,comdat
.Lfunc_end1985:
	.size	_ZN7rocprim17ROCPRIM_400000_NS6detail17trampoline_kernelINS0_14default_configENS1_27scan_by_key_config_selectorIj11FixedVectorIiLj2EEEEZZNS1_16scan_by_key_implILNS1_25lookback_scan_determinismE0ELb0ES3_N6thrust23THRUST_200600_302600_NS6detail15normal_iteratorINSB_10device_ptrIjEEEENSD_INSE_IS6_EEEESI_S6_NSB_4plusIvEENSB_8equal_toIvEES6_EE10hipError_tPvRmT2_T3_T4_T5_mT6_T7_P12ihipStream_tbENKUlT_T0_E_clISt17integral_constantIbLb0EES12_IbLb1EEEEDaSY_SZ_EUlSY_E_NS1_11comp_targetILNS1_3genE10ELNS1_11target_archE1201ELNS1_3gpuE5ELNS1_3repE0EEENS1_30default_config_static_selectorELNS0_4arch9wavefront6targetE1EEEvT1_, .Lfunc_end1985-_ZN7rocprim17ROCPRIM_400000_NS6detail17trampoline_kernelINS0_14default_configENS1_27scan_by_key_config_selectorIj11FixedVectorIiLj2EEEEZZNS1_16scan_by_key_implILNS1_25lookback_scan_determinismE0ELb0ES3_N6thrust23THRUST_200600_302600_NS6detail15normal_iteratorINSB_10device_ptrIjEEEENSD_INSE_IS6_EEEESI_S6_NSB_4plusIvEENSB_8equal_toIvEES6_EE10hipError_tPvRmT2_T3_T4_T5_mT6_T7_P12ihipStream_tbENKUlT_T0_E_clISt17integral_constantIbLb0EES12_IbLb1EEEEDaSY_SZ_EUlSY_E_NS1_11comp_targetILNS1_3genE10ELNS1_11target_archE1201ELNS1_3gpuE5ELNS1_3repE0EEENS1_30default_config_static_selectorELNS0_4arch9wavefront6targetE1EEEvT1_
                                        ; -- End function
	.section	.AMDGPU.csdata,"",@progbits
; Kernel info:
; codeLenInByte = 0
; NumSgprs: 6
; NumVgprs: 0
; NumAgprs: 0
; TotalNumVgprs: 0
; ScratchSize: 0
; MemoryBound: 0
; FloatMode: 240
; IeeeMode: 1
; LDSByteSize: 0 bytes/workgroup (compile time only)
; SGPRBlocks: 0
; VGPRBlocks: 0
; NumSGPRsForWavesPerEU: 6
; NumVGPRsForWavesPerEU: 1
; AccumOffset: 4
; Occupancy: 8
; WaveLimiterHint : 0
; COMPUTE_PGM_RSRC2:SCRATCH_EN: 0
; COMPUTE_PGM_RSRC2:USER_SGPR: 2
; COMPUTE_PGM_RSRC2:TRAP_HANDLER: 0
; COMPUTE_PGM_RSRC2:TGID_X_EN: 1
; COMPUTE_PGM_RSRC2:TGID_Y_EN: 0
; COMPUTE_PGM_RSRC2:TGID_Z_EN: 0
; COMPUTE_PGM_RSRC2:TIDIG_COMP_CNT: 0
; COMPUTE_PGM_RSRC3_GFX90A:ACCUM_OFFSET: 0
; COMPUTE_PGM_RSRC3_GFX90A:TG_SPLIT: 0
	.section	.text._ZN7rocprim17ROCPRIM_400000_NS6detail17trampoline_kernelINS0_14default_configENS1_27scan_by_key_config_selectorIj11FixedVectorIiLj2EEEEZZNS1_16scan_by_key_implILNS1_25lookback_scan_determinismE0ELb0ES3_N6thrust23THRUST_200600_302600_NS6detail15normal_iteratorINSB_10device_ptrIjEEEENSD_INSE_IS6_EEEESI_S6_NSB_4plusIvEENSB_8equal_toIvEES6_EE10hipError_tPvRmT2_T3_T4_T5_mT6_T7_P12ihipStream_tbENKUlT_T0_E_clISt17integral_constantIbLb0EES12_IbLb1EEEEDaSY_SZ_EUlSY_E_NS1_11comp_targetILNS1_3genE5ELNS1_11target_archE942ELNS1_3gpuE9ELNS1_3repE0EEENS1_30default_config_static_selectorELNS0_4arch9wavefront6targetE1EEEvT1_,"axG",@progbits,_ZN7rocprim17ROCPRIM_400000_NS6detail17trampoline_kernelINS0_14default_configENS1_27scan_by_key_config_selectorIj11FixedVectorIiLj2EEEEZZNS1_16scan_by_key_implILNS1_25lookback_scan_determinismE0ELb0ES3_N6thrust23THRUST_200600_302600_NS6detail15normal_iteratorINSB_10device_ptrIjEEEENSD_INSE_IS6_EEEESI_S6_NSB_4plusIvEENSB_8equal_toIvEES6_EE10hipError_tPvRmT2_T3_T4_T5_mT6_T7_P12ihipStream_tbENKUlT_T0_E_clISt17integral_constantIbLb0EES12_IbLb1EEEEDaSY_SZ_EUlSY_E_NS1_11comp_targetILNS1_3genE5ELNS1_11target_archE942ELNS1_3gpuE9ELNS1_3repE0EEENS1_30default_config_static_selectorELNS0_4arch9wavefront6targetE1EEEvT1_,comdat
	.protected	_ZN7rocprim17ROCPRIM_400000_NS6detail17trampoline_kernelINS0_14default_configENS1_27scan_by_key_config_selectorIj11FixedVectorIiLj2EEEEZZNS1_16scan_by_key_implILNS1_25lookback_scan_determinismE0ELb0ES3_N6thrust23THRUST_200600_302600_NS6detail15normal_iteratorINSB_10device_ptrIjEEEENSD_INSE_IS6_EEEESI_S6_NSB_4plusIvEENSB_8equal_toIvEES6_EE10hipError_tPvRmT2_T3_T4_T5_mT6_T7_P12ihipStream_tbENKUlT_T0_E_clISt17integral_constantIbLb0EES12_IbLb1EEEEDaSY_SZ_EUlSY_E_NS1_11comp_targetILNS1_3genE5ELNS1_11target_archE942ELNS1_3gpuE9ELNS1_3repE0EEENS1_30default_config_static_selectorELNS0_4arch9wavefront6targetE1EEEvT1_ ; -- Begin function _ZN7rocprim17ROCPRIM_400000_NS6detail17trampoline_kernelINS0_14default_configENS1_27scan_by_key_config_selectorIj11FixedVectorIiLj2EEEEZZNS1_16scan_by_key_implILNS1_25lookback_scan_determinismE0ELb0ES3_N6thrust23THRUST_200600_302600_NS6detail15normal_iteratorINSB_10device_ptrIjEEEENSD_INSE_IS6_EEEESI_S6_NSB_4plusIvEENSB_8equal_toIvEES6_EE10hipError_tPvRmT2_T3_T4_T5_mT6_T7_P12ihipStream_tbENKUlT_T0_E_clISt17integral_constantIbLb0EES12_IbLb1EEEEDaSY_SZ_EUlSY_E_NS1_11comp_targetILNS1_3genE5ELNS1_11target_archE942ELNS1_3gpuE9ELNS1_3repE0EEENS1_30default_config_static_selectorELNS0_4arch9wavefront6targetE1EEEvT1_
	.globl	_ZN7rocprim17ROCPRIM_400000_NS6detail17trampoline_kernelINS0_14default_configENS1_27scan_by_key_config_selectorIj11FixedVectorIiLj2EEEEZZNS1_16scan_by_key_implILNS1_25lookback_scan_determinismE0ELb0ES3_N6thrust23THRUST_200600_302600_NS6detail15normal_iteratorINSB_10device_ptrIjEEEENSD_INSE_IS6_EEEESI_S6_NSB_4plusIvEENSB_8equal_toIvEES6_EE10hipError_tPvRmT2_T3_T4_T5_mT6_T7_P12ihipStream_tbENKUlT_T0_E_clISt17integral_constantIbLb0EES12_IbLb1EEEEDaSY_SZ_EUlSY_E_NS1_11comp_targetILNS1_3genE5ELNS1_11target_archE942ELNS1_3gpuE9ELNS1_3repE0EEENS1_30default_config_static_selectorELNS0_4arch9wavefront6targetE1EEEvT1_
	.p2align	8
	.type	_ZN7rocprim17ROCPRIM_400000_NS6detail17trampoline_kernelINS0_14default_configENS1_27scan_by_key_config_selectorIj11FixedVectorIiLj2EEEEZZNS1_16scan_by_key_implILNS1_25lookback_scan_determinismE0ELb0ES3_N6thrust23THRUST_200600_302600_NS6detail15normal_iteratorINSB_10device_ptrIjEEEENSD_INSE_IS6_EEEESI_S6_NSB_4plusIvEENSB_8equal_toIvEES6_EE10hipError_tPvRmT2_T3_T4_T5_mT6_T7_P12ihipStream_tbENKUlT_T0_E_clISt17integral_constantIbLb0EES12_IbLb1EEEEDaSY_SZ_EUlSY_E_NS1_11comp_targetILNS1_3genE5ELNS1_11target_archE942ELNS1_3gpuE9ELNS1_3repE0EEENS1_30default_config_static_selectorELNS0_4arch9wavefront6targetE1EEEvT1_,@function
_ZN7rocprim17ROCPRIM_400000_NS6detail17trampoline_kernelINS0_14default_configENS1_27scan_by_key_config_selectorIj11FixedVectorIiLj2EEEEZZNS1_16scan_by_key_implILNS1_25lookback_scan_determinismE0ELb0ES3_N6thrust23THRUST_200600_302600_NS6detail15normal_iteratorINSB_10device_ptrIjEEEENSD_INSE_IS6_EEEESI_S6_NSB_4plusIvEENSB_8equal_toIvEES6_EE10hipError_tPvRmT2_T3_T4_T5_mT6_T7_P12ihipStream_tbENKUlT_T0_E_clISt17integral_constantIbLb0EES12_IbLb1EEEEDaSY_SZ_EUlSY_E_NS1_11comp_targetILNS1_3genE5ELNS1_11target_archE942ELNS1_3gpuE9ELNS1_3repE0EEENS1_30default_config_static_selectorELNS0_4arch9wavefront6targetE1EEEvT1_: ; @_ZN7rocprim17ROCPRIM_400000_NS6detail17trampoline_kernelINS0_14default_configENS1_27scan_by_key_config_selectorIj11FixedVectorIiLj2EEEEZZNS1_16scan_by_key_implILNS1_25lookback_scan_determinismE0ELb0ES3_N6thrust23THRUST_200600_302600_NS6detail15normal_iteratorINSB_10device_ptrIjEEEENSD_INSE_IS6_EEEESI_S6_NSB_4plusIvEENSB_8equal_toIvEES6_EE10hipError_tPvRmT2_T3_T4_T5_mT6_T7_P12ihipStream_tbENKUlT_T0_E_clISt17integral_constantIbLb0EES12_IbLb1EEEEDaSY_SZ_EUlSY_E_NS1_11comp_targetILNS1_3genE5ELNS1_11target_archE942ELNS1_3gpuE9ELNS1_3repE0EEENS1_30default_config_static_selectorELNS0_4arch9wavefront6targetE1EEEvT1_
; %bb.0:
	s_load_dwordx4 s[96:99], s[0:1], 0x30
	s_load_dwordx2 s[62:63], s[0:1], 0x40
	v_cmp_ne_u32_e64 s[4:5], 0, v0
	v_cmp_eq_u32_e64 s[2:3], 0, v0
	s_and_saveexec_b64 s[6:7], s[2:3]
	s_cbranch_execz .LBB1986_4
; %bb.1:
	s_mov_b64 s[10:11], exec
	v_mbcnt_lo_u32_b32 v1, s10, 0
	v_mbcnt_hi_u32_b32 v1, s11, v1
	v_cmp_eq_u32_e32 vcc, 0, v1
                                        ; implicit-def: $vgpr2
	s_and_saveexec_b64 s[8:9], vcc
	s_cbranch_execz .LBB1986_3
; %bb.2:
	s_load_dwordx2 s[12:13], s[0:1], 0x70
	s_bcnt1_i32_b64 s10, s[10:11]
	v_mov_b32_e32 v2, 0
	v_mov_b32_e32 v3, s10
	s_waitcnt lgkmcnt(0)
	global_atomic_add v2, v2, v3, s[12:13] sc0
.LBB1986_3:
	s_or_b64 exec, exec, s[8:9]
	s_waitcnt vmcnt(0)
	v_readfirstlane_b32 s8, v2
	v_mov_b32_e32 v2, 0
	s_nop 0
	v_add_u32_e32 v1, s8, v1
	ds_write_b32 v2, v1
.LBB1986_4:
	s_or_b64 exec, exec, s[6:7]
	s_load_dwordx8 s[80:87], s[0:1], 0x0
	s_load_dword s6, s[0:1], 0x48
	s_load_dwordx8 s[88:95], s[0:1], 0x50
	v_mov_b32_e32 v1, 0
	s_waitcnt lgkmcnt(0)
	s_barrier
	ds_read_b32 v1, v1
	s_lshl_b64 s[0:1], s[82:83], 2
	s_add_u32 s12, s80, s0
	s_addc_u32 s13, s81, s1
	s_lshl_b64 s[0:1], s[82:83], 3
	s_add_u32 s14, s84, s0
	s_mul_i32 s7, s63, s6
	s_mul_hi_u32 s8, s62, s6
	s_addc_u32 s15, s85, s1
	s_add_i32 s16, s8, s7
	s_waitcnt lgkmcnt(0)
	v_readfirstlane_b32 s99, v1
	s_mul_i32 s17, s62, s6
	s_cmp_lg_u64 s[92:93], 0
	s_mov_b32 s7, 0
	s_mul_i32 s6, s99, 0x1500
	s_cselect_b64 s[54:55], -1, 0
	s_lshl_b64 s[10:11], s[6:7], 2
	s_add_u32 s52, s12, s10
	s_addc_u32 s53, s13, s11
	s_lshl_b64 s[92:93], s[6:7], 3
	s_add_u32 s50, s14, s92
	s_addc_u32 s51, s15, s93
	s_add_u32 s56, s17, s99
	s_addc_u32 s57, s16, 0
	s_add_u32 s6, s88, -1
	s_addc_u32 s7, s89, -1
	v_mov_b64_e32 v[2:3], s[6:7]
	v_cmp_ge_u64_e64 s[88:89], s[56:57], v[2:3]
	s_mov_b64 s[8:9], 0
	s_mov_b64 s[12:13], -1
	s_and_b64 vcc, exec, s[88:89]
	s_mul_i32 s33, s6, 0xffffeb00
	s_barrier
	s_barrier
	s_cbranch_vccz .LBB1986_134
; %bb.5:
	v_mov_b64_e32 v[2:3], s[52:53]
	flat_load_dword v2, v[2:3]
	s_add_i32 s65, s33, s98
	v_cmp_gt_u32_e64 s[6:7], s65, v0
	s_waitcnt vmcnt(0) lgkmcnt(0)
	v_mov_b32_e32 v4, v2
	s_and_saveexec_b64 s[8:9], s[6:7]
	s_cbranch_execz .LBB1986_7
; %bb.6:
	v_lshlrev_b32_e32 v4, 2, v0
	v_mov_b32_e32 v5, 0
	v_lshl_add_u64 v[4:5], s[52:53], 0, v[4:5]
	flat_load_dword v4, v[4:5]
.LBB1986_7:
	s_or_b64 exec, exec, s[8:9]
	v_or_b32_e32 v1, 0x100, v0
	v_cmp_gt_u32_e64 s[8:9], s65, v1
	v_mov_b32_e32 v5, v2
	s_and_saveexec_b64 s[10:11], s[8:9]
	s_cbranch_execz .LBB1986_9
; %bb.8:
	v_lshlrev_b32_e32 v6, 2, v0
	v_mov_b32_e32 v7, 0
	v_lshl_add_u64 v[6:7], s[52:53], 0, v[6:7]
	flat_load_dword v5, v[6:7] offset:1024
.LBB1986_9:
	s_or_b64 exec, exec, s[10:11]
	v_or_b32_e32 v1, 0x200, v0
	v_cmp_gt_u32_e64 s[10:11], s65, v1
	v_mov_b32_e32 v6, v2
	s_and_saveexec_b64 s[12:13], s[10:11]
	s_cbranch_execz .LBB1986_11
; %bb.10:
	v_lshlrev_b32_e32 v6, 2, v0
	v_mov_b32_e32 v7, 0
	v_lshl_add_u64 v[6:7], s[52:53], 0, v[6:7]
	flat_load_dword v6, v[6:7] offset:2048
.LBB1986_11:
	;; [unrolled: 12-line block ×3, first 2 shown]
	s_or_b64 exec, exec, s[14:15]
	v_or_b32_e32 v22, 0x400, v0
	v_cmp_gt_u32_e64 s[14:15], s65, v22
	v_mov_b32_e32 v8, v2
	s_and_saveexec_b64 s[16:17], s[14:15]
	s_cbranch_execz .LBB1986_15
; %bb.14:
	v_lshlrev_b32_e32 v8, 2, v22
	v_mov_b32_e32 v9, 0
	v_lshl_add_u64 v[8:9], s[52:53], 0, v[8:9]
	flat_load_dword v8, v[8:9]
.LBB1986_15:
	s_or_b64 exec, exec, s[16:17]
	v_or_b32_e32 v23, 0x500, v0
	v_cmp_gt_u32_e64 s[16:17], s65, v23
	v_mov_b32_e32 v9, v2
	s_and_saveexec_b64 s[18:19], s[16:17]
	s_cbranch_execz .LBB1986_17
; %bb.16:
	v_lshlrev_b32_e32 v10, 2, v23
	v_mov_b32_e32 v11, 0
	v_lshl_add_u64 v[10:11], s[52:53], 0, v[10:11]
	flat_load_dword v9, v[10:11]
.LBB1986_17:
	;; [unrolled: 12-line block ×16, first 2 shown]
	s_or_b64 exec, exec, s[48:49]
	v_or_b32_e32 v65, 0x1400, v0
	v_cmp_gt_u32_e64 s[48:49], s65, v65
	v_mov_b32_e32 v3, 0
	s_and_saveexec_b64 s[58:59], s[48:49]
	s_cbranch_execz .LBB1986_47
; %bb.46:
	v_lshlrev_b32_e32 v2, 2, v65
	v_lshl_add_u64 v[2:3], s[52:53], 0, v[2:3]
	flat_load_dword v2, v[2:3]
.LBB1986_47:
	s_or_b64 exec, exec, s[58:59]
	v_lshlrev_b32_e32 v3, 2, v0
	s_movk_i32 s58, 0x50
	s_waitcnt vmcnt(0) lgkmcnt(0)
	ds_write2st64_b32 v3, v4, v5 offset1:4
	ds_write2st64_b32 v3, v6, v7 offset0:8 offset1:12
	ds_write2st64_b32 v3, v8, v9 offset0:16 offset1:20
	;; [unrolled: 1-line block ×9, first 2 shown]
	ds_write_b32 v3, v2 offset:20480
	v_mad_u32_u24 v2, v0, s58, v3
	s_waitcnt lgkmcnt(0)
	s_barrier
	ds_read2_b32 v[20:21], v2 offset0:7 offset1:8
	ds_read2_b32 v[24:25], v2 offset0:5 offset1:6
	;; [unrolled: 1-line block ×3, first 2 shown]
	ds_read2_b32 v[16:17], v2 offset1:1
	ds_read2_b32 v[32:33], v2 offset0:4 offset1:9
	ds_read2_b32 v[28:29], v2 offset0:15 offset1:16
	ds_read_b32 v64, v2 offset:56
	ds_read2_b32 v[40:41], v2 offset0:12 offset1:13
	ds_read2_b32 v[44:45], v2 offset0:10 offset1:11
	;; [unrolled: 1-line block ×4, first 2 shown]
	s_cmp_eq_u64 s[56:57], 0
	s_mov_b64 s[58:59], s[52:53]
	s_cbranch_scc1 .LBB1986_51
; %bb.48:
	s_andn2_b64 vcc, exec, s[54:55]
	s_cbranch_vccnz .LBB1986_341
; %bb.49:
	s_lshl_b64 s[58:59], s[56:57], 2
	s_add_u32 s58, s94, s58
	s_addc_u32 s59, s95, s59
	s_add_u32 s58, s58, -4
	s_addc_u32 s59, s59, -1
	s_cbranch_execnz .LBB1986_51
.LBB1986_50:
	s_add_u32 s58, s52, -4
	s_addc_u32 s59, s53, -1
.LBB1986_51:
	v_mov_b64_e32 v[6:7], s[58:59]
	flat_load_dword v66, v[6:7]
	s_movk_i32 s58, 0xffb0
	v_mad_i32_i24 v67, v0, s58, v2
	s_waitcnt lgkmcnt(0)
	ds_write_b32 v67, v5 offset:21504
	s_waitcnt lgkmcnt(0)
	s_barrier
	s_and_saveexec_b64 s[58:59], s[4:5]
	s_cbranch_execz .LBB1986_53
; %bb.52:
	s_waitcnt vmcnt(0)
	ds_read_b32 v66, v67 offset:21500
.LBB1986_53:
	s_or_b64 exec, exec, s[58:59]
	v_mov_b64_e32 v[6:7], 0
	v_mov_b32_e32 v9, 0
	v_mov_b64_e32 v[2:3], v[6:7]
	s_waitcnt lgkmcnt(0)
	s_barrier
	s_and_saveexec_b64 s[58:59], s[6:7]
	s_cbranch_execz .LBB1986_55
; %bb.54:
	v_lshlrev_b32_e32 v8, 3, v0
	v_lshl_add_u64 v[2:3], s[50:51], 0, v[8:9]
	flat_load_dwordx2 v[2:3], v[2:3]
.LBB1986_55:
	s_or_b64 exec, exec, s[58:59]
	s_and_saveexec_b64 s[6:7], s[8:9]
	s_cbranch_execz .LBB1986_57
; %bb.56:
	v_lshlrev_b32_e32 v6, 3, v0
	v_mov_b32_e32 v7, 0
	v_lshl_add_u64 v[6:7], s[50:51], 0, v[6:7]
	flat_load_dwordx2 v[6:7], v[6:7] offset:2048
.LBB1986_57:
	s_or_b64 exec, exec, s[6:7]
	v_mov_b64_e32 v[8:9], 0
	v_mov_b64_e32 v[10:11], v[8:9]
	s_and_saveexec_b64 s[6:7], s[10:11]
	s_cbranch_execz .LBB1986_59
; %bb.58:
	v_lshlrev_b32_e32 v10, 3, v1
	v_mov_b32_e32 v11, 0
	v_lshl_add_u64 v[10:11], s[50:51], 0, v[10:11]
	flat_load_dwordx2 v[10:11], v[10:11]
.LBB1986_59:
	s_or_b64 exec, exec, s[6:7]
	s_and_saveexec_b64 s[6:7], s[12:13]
	s_cbranch_execz .LBB1986_61
; %bb.60:
	v_lshlrev_b32_e32 v8, 3, v14
	v_mov_b32_e32 v9, 0
	v_lshl_add_u64 v[8:9], s[50:51], 0, v[8:9]
	flat_load_dwordx2 v[8:9], v[8:9]
.LBB1986_61:
	s_or_b64 exec, exec, s[6:7]
	v_mov_b64_e32 v[14:15], 0
	v_mov_b64_e32 v[18:19], v[14:15]
	s_and_saveexec_b64 s[6:7], s[14:15]
	s_cbranch_execz .LBB1986_63
; %bb.62:
	v_lshlrev_b32_e32 v18, 3, v22
	v_mov_b32_e32 v19, 0
	v_lshl_add_u64 v[18:19], s[50:51], 0, v[18:19]
	flat_load_dwordx2 v[18:19], v[18:19]
.LBB1986_63:
	s_or_b64 exec, exec, s[6:7]
	s_and_saveexec_b64 s[6:7], s[16:17]
	s_cbranch_execz .LBB1986_65
; %bb.64:
	v_lshlrev_b32_e32 v14, 3, v23
	v_mov_b32_e32 v15, 0
	v_lshl_add_u64 v[14:15], s[50:51], 0, v[14:15]
	flat_load_dwordx2 v[14:15], v[14:15]
.LBB1986_65:
	;; [unrolled: 20-line block ×8, first 2 shown]
	s_or_b64 exec, exec, s[6:7]
	v_mov_b64_e32 v[58:59], 0
	v_mov_b64_e32 v[60:61], v[58:59]
	s_and_saveexec_b64 s[6:7], s[44:45]
	s_cbranch_execnz .LBB1986_339
; %bb.90:
	s_or_b64 exec, exec, s[6:7]
	s_and_saveexec_b64 s[6:7], s[46:47]
	s_cbranch_execnz .LBB1986_340
.LBB1986_91:
	s_or_b64 exec, exec, s[6:7]
	v_mov_b64_e32 v[62:63], 0
	s_and_saveexec_b64 s[6:7], s[48:49]
	s_cbranch_execz .LBB1986_93
.LBB1986_92:
	v_lshlrev_b32_e32 v62, 3, v65
	v_mov_b32_e32 v63, 0
	v_lshl_add_u64 v[62:63], s[50:51], 0, v[62:63]
	flat_load_dwordx2 v[62:63], v[62:63]
.LBB1986_93:
	s_or_b64 exec, exec, s[6:7]
	v_mul_u32_u24_e32 v65, 21, v0
	v_lshl_add_u32 v68, v0, 2, v67
	s_waitcnt vmcnt(0) lgkmcnt(0)
	ds_write2st64_b64 v68, v[2:3], v[6:7] offset1:4
	ds_write2st64_b64 v68, v[10:11], v[8:9] offset0:8 offset1:12
	ds_write2st64_b64 v68, v[18:19], v[14:15] offset0:16 offset1:20
	;; [unrolled: 1-line block ×9, first 2 shown]
	ds_write_b64 v68, v[62:63] offset:40960
	v_cmp_gt_u32_e32 vcc, s65, v65
	s_mov_b64 s[12:13], 0
	s_mov_b32 s64, 0
	v_mov_b32_e32 v123, 0
	v_mov_b32_e32 v105, 0
	s_mov_b64 s[8:9], 0
	v_mov_b32_e32 v116, 0
	v_mov_b32_e32 v111, 0
	;; [unrolled: 1-line block ×46, first 2 shown]
	s_waitcnt lgkmcnt(0)
	s_barrier
	s_waitcnt lgkmcnt(0)
                                        ; implicit-def: $sgpr6_sgpr7
                                        ; implicit-def: $vgpr1
                                        ; implicit-def: $vgpr80
                                        ; implicit-def: $vgpr81
                                        ; implicit-def: $vgpr82
                                        ; implicit-def: $vgpr51
                                        ; implicit-def: $vgpr55
                                        ; implicit-def: $vgpr59
                                        ; implicit-def: $vgpr63
                                        ; implicit-def: $vgpr67
                                        ; implicit-def: $vgpr71
                                        ; implicit-def: $vgpr75
                                        ; implicit-def: $vgpr79
	s_and_saveexec_b64 s[14:15], vcc
	s_cbranch_execz .LBB1986_133
; %bb.94:
	s_movk_i32 s6, 0xa0
	v_mad_u32_u24 v2, v0, s6, v68
	ds_read_b64 v[2:3], v2
	v_cmp_ne_u32_e32 vcc, v66, v16
	v_add_u32_e32 v1, 1, v65
	v_mov_b32_e32 v123, 0
	v_cndmask_b32_e64 v104, 0, 1, vcc
	v_cmp_gt_u32_e32 vcc, s65, v1
	v_mov_b32_e32 v105, 0
	v_mov_b32_e32 v116, 0
	;; [unrolled: 1-line block ×44, first 2 shown]
                                        ; implicit-def: $sgpr6_sgpr7
                                        ; implicit-def: $vgpr1
                                        ; implicit-def: $vgpr80
                                        ; implicit-def: $vgpr81
                                        ; implicit-def: $vgpr82
                                        ; implicit-def: $vgpr51
                                        ; implicit-def: $vgpr55
                                        ; implicit-def: $vgpr59
                                        ; implicit-def: $vgpr63
                                        ; implicit-def: $vgpr67
                                        ; implicit-def: $vgpr71
                                        ; implicit-def: $vgpr75
                                        ; implicit-def: $vgpr79
	s_and_saveexec_b64 s[16:17], vcc
	s_cbranch_execz .LBB1986_132
; %bb.95:
	v_mul_u32_u24_e32 v1, 0xa0, v0
	v_add_u32_e32 v50, v68, v1
	ds_read2_b64 v[6:9], v50 offset0:1 offset1:2
	v_cmp_ne_u32_e64 s[10:11], v16, v17
	v_add_u32_e32 v1, 2, v65
	v_cmp_ne_u32_e32 vcc, v12, v13
	v_cmp_ne_u32_e64 s[6:7], v13, v32
	v_cmp_ne_u32_e64 s[8:9], v17, v12
	v_cndmask_b32_e64 v123, 0, 1, s[10:11]
	v_cmp_gt_u32_e64 s[10:11], s65, v1
	s_mov_b64 s[20:21], 0
	v_mov_b32_e32 v116, 0
	v_mov_b32_e32 v105, 0
	;; [unrolled: 1-line block ×42, first 2 shown]
                                        ; implicit-def: $sgpr22_sgpr23
                                        ; implicit-def: $vgpr1
                                        ; implicit-def: $vgpr80
                                        ; implicit-def: $vgpr81
                                        ; implicit-def: $vgpr82
                                        ; implicit-def: $vgpr51
                                        ; implicit-def: $vgpr55
                                        ; implicit-def: $vgpr59
                                        ; implicit-def: $vgpr63
                                        ; implicit-def: $vgpr67
                                        ; implicit-def: $vgpr71
                                        ; implicit-def: $vgpr75
                                        ; implicit-def: $vgpr79
	s_and_saveexec_b64 s[18:19], s[10:11]
	s_cbranch_execz .LBB1986_131
; %bb.96:
	v_cndmask_b32_e64 v1, 0, 1, s[8:9]
	v_cndmask_b32_e64 v10, 0, 1, s[6:7]
	v_lshlrev_b16_e32 v1, 8, v1
	v_lshlrev_b16_e32 v10, 8, v10
	v_cndmask_b32_e64 v11, 0, 1, vcc
	v_or_b32_e32 v1, v123, v1
	v_or_b32_sdwa v10, v11, v10 dst_sel:WORD_1 dst_unused:UNUSED_PAD src0_sel:DWORD src1_sel:DWORD
	v_mov_b32_e32 v116, 0
	v_or_b32_sdwa v1, v1, v10 dst_sel:DWORD dst_unused:UNUSED_PAD src0_sel:WORD_0 src1_sel:DWORD
	v_add_u32_e32 v10, 3, v65
	v_and_b32_e32 v123, 0xffff, v1
	v_cmp_gt_u32_e32 vcc, s65, v10
	s_mov_b64 s[6:7], 0
	v_mov_b32_e32 v105, 0
	v_mov_b32_e32 v111, 0
	v_mov_b32_e32 v108, 0
	v_mov_b32_e32 v27, 0
	v_mov_b32_e32 v26, 0
	v_mov_b32_e32 v35, 0
	v_mov_b32_e32 v34, 0
	v_mov_b32_e32 v47, 0
	v_mov_b32_e32 v46, 0
	v_mov_b32_e32 v109, 0
	v_mov_b32_e32 v110, 0
	v_mov_b32_e32 v43, 0
	v_mov_b32_e32 v42, 0
	v_mov_b32_e32 v112, 0
	v_mov_b32_e32 v113, 0
	v_mov_b32_e32 v39, 0
	v_mov_b32_e32 v38, 0
	v_mov_b32_e32 v114, 0
	v_mov_b32_e32 v115, 0
	v_mov_b32_e32 v31, 0
	v_mov_b32_e32 v30, 0
	v_mov_b32_e32 v107, 0
	v_mov_b32_e32 v117, 0
	v_mov_b32_e32 v118, 0
	v_mov_b32_e32 v23, 0
	v_mov_b32_e32 v22, 0
	v_mov_b32_e32 v119, 0
	v_mov_b32_e32 v120, 0
	v_mov_b32_e32 v19, 0
	v_mov_b32_e32 v18, 0
	v_mov_b32_e32 v121, 0
	v_mov_b32_e32 v122, 0
	v_mov_b32_e32 v106, 0
	v_mov_b32_e32 v15, 0
	v_mov_b32_e32 v14, 0
	v_mov_b32_e32 v124, 0
	v_mov_b32_e32 v125, 0
	v_mov_b32_e32 v11, 0
	v_mov_b32_e32 v10, v116
                                        ; implicit-def: $sgpr8_sgpr9
                                        ; implicit-def: $vgpr80
                                        ; implicit-def: $vgpr81
                                        ; implicit-def: $vgpr82
                                        ; implicit-def: $vgpr51
                                        ; implicit-def: $vgpr55
                                        ; implicit-def: $vgpr59
                                        ; implicit-def: $vgpr63
                                        ; implicit-def: $vgpr67
                                        ; implicit-def: $vgpr71
                                        ; implicit-def: $vgpr75
                                        ; implicit-def: $vgpr79
	s_and_saveexec_b64 s[20:21], vcc
	s_cbranch_execz .LBB1986_130
; %bb.97:
	ds_read2_b64 v[10:13], v50 offset0:3 offset1:4
	v_add_u32_e32 v14, 4, v65
	v_cmp_gt_u32_e32 vcc, s65, v14
	v_and_b32_e32 v123, 0xffffff, v1
	v_mov_b32_e32 v116, 0
	v_mov_b32_e32 v105, 0
	;; [unrolled: 1-line block ×38, first 2 shown]
                                        ; implicit-def: $sgpr8_sgpr9
                                        ; implicit-def: $vgpr80
                                        ; implicit-def: $vgpr81
                                        ; implicit-def: $vgpr82
                                        ; implicit-def: $vgpr51
                                        ; implicit-def: $vgpr55
                                        ; implicit-def: $vgpr59
                                        ; implicit-def: $vgpr63
                                        ; implicit-def: $vgpr67
                                        ; implicit-def: $vgpr71
                                        ; implicit-def: $vgpr75
                                        ; implicit-def: $vgpr79
	s_and_saveexec_b64 s[22:23], vcc
	s_cbranch_execz .LBB1986_129
; %bb.98:
	v_add_u32_e32 v14, 5, v65
	v_mov_b32_e32 v116, 0
	v_cmp_gt_u32_e32 vcc, s65, v14
	v_mov_b32_e32 v105, 0
	v_mov_b32_e32 v111, 0
	;; [unrolled: 1-line block ×35, first 2 shown]
                                        ; implicit-def: $sgpr8_sgpr9
                                        ; implicit-def: $vgpr80
                                        ; implicit-def: $vgpr81
                                        ; implicit-def: $vgpr82
                                        ; implicit-def: $vgpr51
                                        ; implicit-def: $vgpr55
                                        ; implicit-def: $vgpr59
                                        ; implicit-def: $vgpr63
                                        ; implicit-def: $vgpr67
                                        ; implicit-def: $vgpr71
                                        ; implicit-def: $vgpr75
                                        ; implicit-def: $vgpr79
	s_and_saveexec_b64 s[24:25], vcc
	s_cbranch_execz .LBB1986_128
; %bb.99:
	ds_read2_b64 v[14:17], v50 offset0:5 offset1:6
	v_cmp_ne_u32_e32 vcc, v32, v24
	v_add_u32_e32 v18, 6, v65
	v_mov_b32_e32 v116, 0
	v_cndmask_b32_e64 v106, 0, 1, vcc
	v_cmp_gt_u32_e32 vcc, s65, v18
	v_mov_b32_e32 v105, 0
	v_mov_b32_e32 v111, 0
	;; [unrolled: 1-line block ×32, first 2 shown]
                                        ; implicit-def: $sgpr8_sgpr9
                                        ; implicit-def: $vgpr80
                                        ; implicit-def: $vgpr81
                                        ; implicit-def: $vgpr82
                                        ; implicit-def: $vgpr51
                                        ; implicit-def: $vgpr55
                                        ; implicit-def: $vgpr59
                                        ; implicit-def: $vgpr63
                                        ; implicit-def: $vgpr67
                                        ; implicit-def: $vgpr71
                                        ; implicit-def: $vgpr75
                                        ; implicit-def: $vgpr79
	s_and_saveexec_b64 s[26:27], vcc
	s_cbranch_execz .LBB1986_127
; %bb.100:
	v_cmp_ne_u32_e64 s[10:11], v24, v25
	v_add_u32_e32 v18, 7, v65
	v_mov_b32_e32 v111, 0
	v_cmp_ne_u32_e32 vcc, v20, v21
	v_cmp_ne_u32_e64 s[6:7], v21, v33
	v_cmp_ne_u32_e64 s[8:9], v25, v20
	v_cndmask_b32_e64 v116, 0, 1, s[10:11]
	v_cmp_gt_u32_e64 s[10:11], s65, v18
	s_mov_b64 s[30:31], 0
	v_mov_b32_e32 v105, 0
	v_mov_b32_e32 v108, 0
	;; [unrolled: 1-line block ×29, first 2 shown]
                                        ; implicit-def: $sgpr34_sgpr35
                                        ; implicit-def: $vgpr80
                                        ; implicit-def: $vgpr81
                                        ; implicit-def: $vgpr82
                                        ; implicit-def: $vgpr51
                                        ; implicit-def: $vgpr55
                                        ; implicit-def: $vgpr59
                                        ; implicit-def: $vgpr63
                                        ; implicit-def: $vgpr67
                                        ; implicit-def: $vgpr71
                                        ; implicit-def: $vgpr75
                                        ; implicit-def: $vgpr79
	s_and_saveexec_b64 s[28:29], s[10:11]
	s_cbranch_execz .LBB1986_126
; %bb.101:
	v_cndmask_b32_e64 v18, 0, 1, s[8:9]
	v_cndmask_b32_e64 v19, 0, 1, s[6:7]
	v_lshlrev_b16_e32 v18, 8, v18
	v_lshlrev_b16_e32 v19, 8, v19
	v_cndmask_b32_e64 v20, 0, 1, vcc
	v_or_b32_e32 v18, v116, v18
	v_or_b32_sdwa v19, v20, v19 dst_sel:WORD_1 dst_unused:UNUSED_PAD src0_sel:DWORD src1_sel:DWORD
	v_add_u32_e32 v22, 8, v65
	v_or_b32_sdwa v80, v18, v19 dst_sel:DWORD dst_unused:UNUSED_PAD src0_sel:WORD_0 src1_sel:DWORD
	ds_read2_b64 v[18:21], v50 offset0:7 offset1:8
	v_and_b32_e32 v116, 0xffff, v80
	v_cmp_gt_u32_e32 vcc, s65, v22
	s_mov_b64 s[6:7], 0
	v_mov_b32_e32 v111, 0
	v_mov_b32_e32 v105, 0
	;; [unrolled: 1-line block ×28, first 2 shown]
                                        ; implicit-def: $sgpr8_sgpr9
                                        ; implicit-def: $vgpr81
                                        ; implicit-def: $vgpr82
                                        ; implicit-def: $vgpr51
                                        ; implicit-def: $vgpr55
                                        ; implicit-def: $vgpr59
                                        ; implicit-def: $vgpr63
                                        ; implicit-def: $vgpr67
                                        ; implicit-def: $vgpr71
                                        ; implicit-def: $vgpr75
                                        ; implicit-def: $vgpr79
	s_and_saveexec_b64 s[30:31], vcc
	s_cbranch_execz .LBB1986_125
; %bb.102:
	v_add_u32_e32 v22, 9, v65
	v_mov_b32_e32 v111, 0
	v_cmp_gt_u32_e32 vcc, s65, v22
	v_and_b32_e32 v116, 0xffffff, v80
	v_mov_b32_e32 v105, 0
	v_mov_b32_e32 v108, 0
	;; [unrolled: 1-line block ×25, first 2 shown]
                                        ; implicit-def: $sgpr8_sgpr9
                                        ; implicit-def: $vgpr81
                                        ; implicit-def: $vgpr82
                                        ; implicit-def: $vgpr51
                                        ; implicit-def: $vgpr55
                                        ; implicit-def: $vgpr59
                                        ; implicit-def: $vgpr63
                                        ; implicit-def: $vgpr67
                                        ; implicit-def: $vgpr71
                                        ; implicit-def: $vgpr75
                                        ; implicit-def: $vgpr79
	s_and_saveexec_b64 s[34:35], vcc
	s_cbranch_execz .LBB1986_124
; %bb.103:
	ds_read2_b64 v[22:25], v50 offset0:9 offset1:10
	v_add_u32_e32 v26, 10, v65
	v_cmp_gt_u32_e32 vcc, s65, v26
	v_mov_b32_e32 v111, 0
	v_mov_b32_e32 v105, 0
	;; [unrolled: 1-line block ×24, first 2 shown]
                                        ; implicit-def: $sgpr8_sgpr9
                                        ; implicit-def: $vgpr81
                                        ; implicit-def: $vgpr82
                                        ; implicit-def: $vgpr51
                                        ; implicit-def: $vgpr55
                                        ; implicit-def: $vgpr59
                                        ; implicit-def: $vgpr63
                                        ; implicit-def: $vgpr67
                                        ; implicit-def: $vgpr71
                                        ; implicit-def: $vgpr75
                                        ; implicit-def: $vgpr79
	s_and_saveexec_b64 s[36:37], vcc
	s_cbranch_execz .LBB1986_123
; %bb.104:
	v_cmp_ne_u32_e32 vcc, v33, v44
	v_add_u32_e32 v26, 11, v65
	v_mov_b32_e32 v111, 0
	v_cndmask_b32_e64 v107, 0, 1, vcc
	v_cmp_gt_u32_e32 vcc, s65, v26
	v_mov_b32_e32 v105, 0
	v_mov_b32_e32 v108, 0
	;; [unrolled: 1-line block ×20, first 2 shown]
                                        ; implicit-def: $sgpr8_sgpr9
                                        ; implicit-def: $vgpr81
                                        ; implicit-def: $vgpr82
                                        ; implicit-def: $vgpr51
                                        ; implicit-def: $vgpr55
                                        ; implicit-def: $vgpr59
                                        ; implicit-def: $vgpr63
                                        ; implicit-def: $vgpr67
                                        ; implicit-def: $vgpr71
                                        ; implicit-def: $vgpr75
                                        ; implicit-def: $vgpr79
	s_and_saveexec_b64 s[38:39], vcc
	s_cbranch_execz .LBB1986_122
; %bb.105:
	ds_read2_b64 v[30:33], v50 offset0:11 offset1:12
	v_cmp_ne_u32_e64 s[10:11], v44, v45
	v_add_u32_e32 v26, 12, v65
	v_cmp_ne_u32_e32 vcc, v40, v41
	v_cmp_ne_u32_e64 s[6:7], v41, v64
	v_cmp_ne_u32_e64 s[8:9], v45, v40
	v_cndmask_b32_e64 v111, 0, 1, s[10:11]
	v_cmp_gt_u32_e64 s[10:11], s65, v26
	s_mov_b64 s[42:43], 0
	v_mov_b32_e32 v108, 0
	v_mov_b32_e32 v105, 0
	;; [unrolled: 1-line block ×18, first 2 shown]
                                        ; implicit-def: $sgpr44_sgpr45
                                        ; implicit-def: $vgpr81
                                        ; implicit-def: $vgpr82
                                        ; implicit-def: $vgpr51
                                        ; implicit-def: $vgpr55
                                        ; implicit-def: $vgpr59
                                        ; implicit-def: $vgpr63
                                        ; implicit-def: $vgpr67
                                        ; implicit-def: $vgpr71
                                        ; implicit-def: $vgpr75
                                        ; implicit-def: $vgpr79
	s_and_saveexec_b64 s[40:41], s[10:11]
	s_cbranch_execz .LBB1986_121
; %bb.106:
	v_cndmask_b32_e64 v26, 0, 1, s[8:9]
	v_cndmask_b32_e64 v27, 0, 1, s[6:7]
	v_lshlrev_b16_e32 v26, 8, v26
	v_lshlrev_b16_e32 v27, 8, v27
	v_cndmask_b32_e64 v34, 0, 1, vcc
	v_or_b32_e32 v26, v111, v26
	v_or_b32_sdwa v27, v34, v27 dst_sel:WORD_1 dst_unused:UNUSED_PAD src0_sel:DWORD src1_sel:DWORD
	v_mov_b32_e32 v108, 0
	v_or_b32_sdwa v81, v26, v27 dst_sel:DWORD dst_unused:UNUSED_PAD src0_sel:WORD_0 src1_sel:DWORD
	v_add_u32_e32 v26, 13, v65
	v_and_b32_e32 v111, 0xffff, v81
	v_cmp_gt_u32_e32 vcc, s65, v26
	s_mov_b64 s[6:7], 0
	v_mov_b32_e32 v105, 0
	v_mov_b32_e32 v27, 0
	v_mov_b32_e32 v26, 0
	v_mov_b32_e32 v35, 0
	v_mov_b32_e32 v34, 0
	v_mov_b32_e32 v47, 0
	v_mov_b32_e32 v46, 0
	v_mov_b32_e32 v109, 0
	v_mov_b32_e32 v110, 0
	v_mov_b32_e32 v43, 0
	v_mov_b32_e32 v42, 0
	v_mov_b32_e32 v112, 0
	v_mov_b32_e32 v113, 0
	v_mov_b32_e32 v39, 0
	v_mov_b32_e32 v38, v108
                                        ; implicit-def: $sgpr8_sgpr9
                                        ; implicit-def: $vgpr82
                                        ; implicit-def: $vgpr51
                                        ; implicit-def: $vgpr55
                                        ; implicit-def: $vgpr59
                                        ; implicit-def: $vgpr63
                                        ; implicit-def: $vgpr67
                                        ; implicit-def: $vgpr71
                                        ; implicit-def: $vgpr75
                                        ; implicit-def: $vgpr79
	s_and_saveexec_b64 s[42:43], vcc
	s_cbranch_execz .LBB1986_120
; %bb.107:
	ds_read2_b64 v[38:41], v50 offset0:13 offset1:14
	v_add_u32_e32 v26, 14, v65
	s_mov_b64 s[66:67], s[62:63]
	v_cmp_gt_u32_e32 vcc, s65, v26
	v_and_b32_e32 v111, 0xffffff, v81
	v_mov_b32_e32 v108, 0
	v_mov_b32_e32 v105, 0
	;; [unrolled: 1-line block ×14, first 2 shown]
                                        ; implicit-def: $sgpr8_sgpr9
                                        ; implicit-def: $vgpr82
                                        ; implicit-def: $vgpr51
                                        ; implicit-def: $vgpr55
                                        ; implicit-def: $vgpr59
                                        ; implicit-def: $vgpr63
                                        ; implicit-def: $vgpr67
                                        ; implicit-def: $vgpr71
                                        ; implicit-def: $vgpr75
                                        ; implicit-def: $vgpr79
	s_and_saveexec_b64 s[44:45], vcc
	s_cbranch_execz .LBB1986_119
; %bb.108:
	v_add_u32_e32 v26, 15, v65
	v_mov_b32_e32 v108, 0
	v_cmp_gt_u32_e32 vcc, s65, v26
	v_mov_b32_e32 v105, 0
	v_mov_b32_e32 v27, 0
	;; [unrolled: 1-line block ×11, first 2 shown]
                                        ; implicit-def: $sgpr8_sgpr9
                                        ; implicit-def: $vgpr82
                                        ; implicit-def: $vgpr51
                                        ; implicit-def: $vgpr55
                                        ; implicit-def: $vgpr59
                                        ; implicit-def: $vgpr63
                                        ; implicit-def: $vgpr67
                                        ; implicit-def: $vgpr71
                                        ; implicit-def: $vgpr75
                                        ; implicit-def: $vgpr79
	s_and_saveexec_b64 s[46:47], vcc
	s_cbranch_execz .LBB1986_118
; %bb.109:
	ds_read2_b64 v[42:45], v50 offset0:15 offset1:16
	v_cmp_ne_u32_e32 vcc, v64, v28
	v_add_u32_e32 v26, 16, v65
	v_mov_b32_e32 v108, 0
	v_cndmask_b32_e64 v105, 0, 1, vcc
	v_cmp_gt_u32_e32 vcc, s65, v26
	v_mov_b32_e32 v27, 0
	v_mov_b32_e32 v26, 0
	;; [unrolled: 1-line block ×8, first 2 shown]
                                        ; implicit-def: $sgpr8_sgpr9
                                        ; implicit-def: $vgpr82
                                        ; implicit-def: $vgpr51
                                        ; implicit-def: $vgpr55
                                        ; implicit-def: $vgpr59
                                        ; implicit-def: $vgpr63
                                        ; implicit-def: $vgpr67
                                        ; implicit-def: $vgpr71
                                        ; implicit-def: $vgpr75
                                        ; implicit-def: $vgpr79
	s_and_saveexec_b64 s[48:49], vcc
	s_cbranch_execz .LBB1986_117
; %bb.110:
	v_cmp_ne_u32_e64 s[10:11], v28, v29
	v_add_u32_e32 v26, 17, v65
	v_mov_b32_e32 v27, 0
	v_cmp_ne_u32_e32 vcc, v36, v37
	v_cmp_ne_u32_e64 s[6:7], v37, v4
	v_cmp_ne_u32_e64 s[8:9], v29, v36
	v_cndmask_b32_e64 v108, 0, 1, s[10:11]
	v_cmp_gt_u32_e64 s[10:11], s65, v26
	s_mov_b64 s[60:61], 0
	v_mov_b32_e32 v26, 0
	v_mov_b32_e32 v35, 0
	v_mov_b32_e32 v34, 0
	v_mov_b32_e32 v47, 0
	v_mov_b32_e32 v46, v27
                                        ; implicit-def: $sgpr62_sgpr63
                                        ; implicit-def: $vgpr82
                                        ; implicit-def: $vgpr51
                                        ; implicit-def: $vgpr55
                                        ; implicit-def: $vgpr59
                                        ; implicit-def: $vgpr63
                                        ; implicit-def: $vgpr67
                                        ; implicit-def: $vgpr71
                                        ; implicit-def: $vgpr75
                                        ; implicit-def: $vgpr79
	s_and_saveexec_b64 s[58:59], s[10:11]
	s_cbranch_execz .LBB1986_116
; %bb.111:
	v_cndmask_b32_e64 v26, 0, 1, s[8:9]
	v_cndmask_b32_e64 v27, 0, 1, s[6:7]
	ds_read2_b64 v[46:49], v50 offset0:17 offset1:18
	v_lshlrev_b16_e32 v26, 8, v26
	v_lshlrev_b16_e32 v27, 8, v27
	v_cndmask_b32_e64 v28, 0, 1, vcc
	v_or_b32_e32 v26, v108, v26
	v_or_b32_sdwa v27, v28, v27 dst_sel:WORD_1 dst_unused:UNUSED_PAD src0_sel:DWORD src1_sel:DWORD
	s_mov_b64 s[6:7], 0
	v_or_b32_sdwa v82, v26, v27 dst_sel:DWORD dst_unused:UNUSED_PAD src0_sel:WORD_0 src1_sel:DWORD
	v_add_u32_e32 v26, 18, v65
	v_and_b32_e32 v108, 0xffff, v82
	v_cmp_gt_u32_e32 vcc, s65, v26
	v_mov_b32_e32 v27, 0
	v_mov_b32_e32 v26, 0
	;; [unrolled: 1-line block ×4, first 2 shown]
                                        ; implicit-def: $sgpr10_sgpr11
	s_and_saveexec_b64 s[8:9], vcc
	s_cbranch_execz .LBB1986_115
; %bb.112:
	v_add_u32_e32 v26, 19, v65
	s_waitcnt lgkmcnt(0)
	v_mov_b32_e32 v34, v48
	v_mov_b32_e32 v35, v49
	v_cmp_gt_u32_e32 vcc, s65, v26
	v_and_b32_e32 v108, 0xffffff, v82
	v_mov_b32_e32 v27, 0
	v_mov_b32_e32 v26, 0
                                        ; implicit-def: $sgpr10_sgpr11
	s_and_saveexec_b64 s[60:61], vcc
	s_xor_b64 s[60:61], exec, s[60:61]
	s_cbranch_execz .LBB1986_114
; %bb.113:
	ds_read2_b64 v[26:29], v50 offset0:19 offset1:20
	v_cmp_ne_u32_e32 vcc, v4, v5
	v_add_u32_e32 v4, 20, v65
	v_cmp_gt_u32_e64 s[6:7], s65, v4
	s_and_b64 s[10:11], vcc, exec
	s_and_b64 s[6:7], s[6:7], exec
	s_waitcnt lgkmcnt(0)
	v_mov_b32_e32 v37, v27
	v_mov_b32_e32 v36, v26
	;; [unrolled: 1-line block ×3, first 2 shown]
.LBB1986_114:
	s_or_b64 exec, exec, s[60:61]
	s_and_b64 s[10:11], s[10:11], exec
	s_and_b64 s[6:7], s[6:7], exec
.LBB1986_115:
	s_or_b64 exec, exec, s[8:9]
	s_and_b64 s[62:63], s[10:11], exec
	s_and_b64 s[60:61], s[6:7], exec
	s_waitcnt lgkmcnt(0)
	v_mov_b32_e32 v51, v47
	v_mov_b32_e32 v50, v46
	;; [unrolled: 1-line block ×34, first 2 shown]
.LBB1986_116:
	s_or_b64 exec, exec, s[58:59]
	s_and_b64 s[8:9], s[62:63], exec
	s_and_b64 s[6:7], s[60:61], exec
	s_waitcnt lgkmcnt(0)
	v_mov_b32_e32 v109, v45
	v_mov_b32_e32 v110, v44
.LBB1986_117:
	s_or_b64 exec, exec, s[48:49]
	s_and_b64 s[8:9], s[8:9], exec
	s_and_b64 s[6:7], s[6:7], exec
.LBB1986_118:
	s_or_b64 exec, exec, s[46:47]
	s_and_b64 s[8:9], s[8:9], exec
	s_and_b64 s[6:7], s[6:7], exec
	v_mov_b32_e32 v111, v81
	s_waitcnt lgkmcnt(0)
	v_mov_b32_e32 v112, v41
	v_mov_b32_e32 v113, v40
.LBB1986_119:
	s_or_b64 exec, exec, s[44:45]
	s_and_b64 s[8:9], s[8:9], exec
	s_and_b64 s[6:7], s[6:7], exec
	s_mov_b64 s[62:63], s[66:67]
.LBB1986_120:
	s_or_b64 exec, exec, s[42:43]
	s_and_b64 s[44:45], s[8:9], exec
	s_and_b64 s[42:43], s[6:7], exec
	s_waitcnt lgkmcnt(0)
	v_mov_b32_e32 v114, v33
	v_mov_b32_e32 v115, v32
.LBB1986_121:
	s_or_b64 exec, exec, s[40:41]
	s_and_b64 s[8:9], s[44:45], exec
	s_and_b64 s[6:7], s[42:43], exec
.LBB1986_122:
	s_or_b64 exec, exec, s[38:39]
	s_and_b64 s[8:9], s[8:9], exec
	s_and_b64 s[6:7], s[6:7], exec
	s_waitcnt lgkmcnt(0)
	v_mov_b32_e32 v117, v25
	v_mov_b32_e32 v118, v24
.LBB1986_123:
	s_or_b64 exec, exec, s[36:37]
	s_and_b64 s[8:9], s[8:9], exec
	s_and_b64 s[6:7], s[6:7], exec
	v_mov_b32_e32 v116, v80
.LBB1986_124:
	s_or_b64 exec, exec, s[34:35]
	s_and_b64 s[8:9], s[8:9], exec
	s_and_b64 s[6:7], s[6:7], exec
	s_waitcnt lgkmcnt(0)
	v_mov_b32_e32 v119, v21
	v_mov_b32_e32 v120, v20
.LBB1986_125:
	s_or_b64 exec, exec, s[30:31]
	s_and_b64 s[34:35], s[8:9], exec
	s_and_b64 s[30:31], s[6:7], exec
.LBB1986_126:
	s_or_b64 exec, exec, s[28:29]
	s_and_b64 s[8:9], s[34:35], exec
	s_and_b64 s[6:7], s[30:31], exec
	s_waitcnt lgkmcnt(0)
	v_mov_b32_e32 v121, v17
	v_mov_b32_e32 v122, v16
.LBB1986_127:
	s_or_b64 exec, exec, s[26:27]
	s_and_b64 s[8:9], s[8:9], exec
	s_and_b64 s[6:7], s[6:7], exec
.LBB1986_128:
	s_or_b64 exec, exec, s[24:25]
	s_and_b64 s[8:9], s[8:9], exec
	s_and_b64 s[6:7], s[6:7], exec
	v_mov_b32_e32 v123, v1
	s_waitcnt lgkmcnt(0)
	v_mov_b32_e32 v124, v13
	v_mov_b32_e32 v125, v12
.LBB1986_129:
	s_or_b64 exec, exec, s[22:23]
	s_and_b64 s[8:9], s[8:9], exec
	s_and_b64 s[6:7], s[6:7], exec
.LBB1986_130:
	s_or_b64 exec, exec, s[20:21]
	s_and_b64 s[22:23], s[8:9], exec
	s_and_b64 s[20:21], s[6:7], exec
	s_waitcnt lgkmcnt(0)
	v_mov_b32_e32 v126, v9
	v_mov_b32_e32 v127, v8
.LBB1986_131:
	s_or_b64 exec, exec, s[18:19]
	s_and_b64 s[6:7], s[22:23], exec
	s_and_b64 s[8:9], s[20:21], exec
.LBB1986_132:
	s_or_b64 exec, exec, s[16:17]
	s_and_b64 s[6:7], s[6:7], exec
	s_and_b64 s[8:9], s[8:9], exec
.LBB1986_133:
	s_or_b64 exec, exec, s[14:15]
	s_mov_b32 s10, 0
	s_and_b64 vcc, exec, s[12:13]
	s_cbranch_vccnz .LBB1986_135
	s_branch .LBB1986_143
.LBB1986_134:
                                        ; kill: def $vgpr2_vgpr3 killed $sgpr0_sgpr1 killed $exec
                                        ; implicit-def: $sgpr6_sgpr7
                                        ; implicit-def: $vgpr1
                                        ; implicit-def: $vgpr80
                                        ; implicit-def: $vgpr81
                                        ; implicit-def: $vgpr82
                                        ; implicit-def: $vgpr28_vgpr29
                                        ; implicit-def: $vgpr37
                                        ; implicit-def: $vgpr51
                                        ; implicit-def: $vgpr105
                                        ; implicit-def: $vgpr55
                                        ; implicit-def: $vgpr59
                                        ; implicit-def: $vgpr63
                                        ; implicit-def: $vgpr107
                                        ; implicit-def: $vgpr67
                                        ; implicit-def: $vgpr71
                                        ; implicit-def: $vgpr106
                                        ; implicit-def: $vgpr75
                                        ; implicit-def: $vgpr79
                                        ; implicit-def: $vgpr5
                                        ; implicit-def: $vgpr104
                                        ; implicit-def: $vgpr123
                                        ; implicit-def: $vgpr116
                                        ; implicit-def: $vgpr111
                                        ; implicit-def: $vgpr108
                                        ; implicit-def: $sgpr10
                                        ; implicit-def: $sgpr64
                                        ; implicit-def: $vgpr47
                                        ; implicit-def: $vgpr109
                                        ; implicit-def: $vgpr110
                                        ; implicit-def: $vgpr43
                                        ; implicit-def: $vgpr112
                                        ; implicit-def: $vgpr113
                                        ; implicit-def: $vgpr39
                                        ; implicit-def: $vgpr114
                                        ; implicit-def: $vgpr115
                                        ; implicit-def: $vgpr31
                                        ; implicit-def: $vgpr117
                                        ; implicit-def: $vgpr118
                                        ; implicit-def: $vgpr23
                                        ; implicit-def: $vgpr119
                                        ; implicit-def: $vgpr120
                                        ; implicit-def: $vgpr19
                                        ; implicit-def: $vgpr121
                                        ; implicit-def: $vgpr122
                                        ; implicit-def: $vgpr15
                                        ; implicit-def: $vgpr124
                                        ; implicit-def: $vgpr125
                                        ; implicit-def: $vgpr11
                                        ; implicit-def: $vgpr126
                                        ; implicit-def: $vgpr127
                                        ; implicit-def: $vgpr7
	s_and_b64 vcc, exec, s[12:13]
	s_cbranch_vccz .LBB1986_143
.LBB1986_135:
	s_waitcnt lgkmcnt(0)
	v_mov_b32_e32 v3, 0
	v_lshlrev_b32_e32 v2, 2, v0
	v_lshl_add_u64 v[4:5], s[52:53], 0, v[2:3]
	v_add_co_u32_e32 v6, vcc, 0x1000, v4
	s_movk_i32 s6, 0x50
	s_nop 0
	v_addc_co_u32_e32 v7, vcc, 0, v5, vcc
	flat_load_dword v1, v[4:5]
	flat_load_dword v3, v[4:5] offset:1024
	flat_load_dword v10, v[4:5] offset:2048
	flat_load_dword v11, v[4:5] offset:3072
	flat_load_dword v12, v[6:7]
	flat_load_dword v13, v[6:7] offset:1024
	flat_load_dword v14, v[6:7] offset:2048
	;; [unrolled: 1-line block ×3, first 2 shown]
	v_add_co_u32_e32 v6, vcc, 0x2000, v4
	v_mad_u32_u24 v23, v0, s6, v2
	s_nop 0
	v_addc_co_u32_e32 v7, vcc, 0, v5, vcc
	v_add_co_u32_e32 v8, vcc, 0x3000, v4
	s_cmp_eq_u64 s[56:57], 0
	s_nop 0
	v_addc_co_u32_e32 v9, vcc, 0, v5, vcc
	flat_load_dword v16, v[6:7]
	flat_load_dword v17, v[6:7] offset:1024
	flat_load_dword v18, v[6:7] offset:2048
	;; [unrolled: 1-line block ×3, first 2 shown]
	flat_load_dword v20, v[8:9]
	flat_load_dword v21, v[8:9] offset:1024
	flat_load_dword v22, v[8:9] offset:2048
	;; [unrolled: 1-line block ×3, first 2 shown]
	v_add_co_u32_e32 v6, vcc, 0x4000, v4
	s_nop 1
	v_addc_co_u32_e32 v7, vcc, 0, v5, vcc
	v_add_co_u32_e32 v4, vcc, 0x5000, v4
	s_nop 1
	v_addc_co_u32_e32 v5, vcc, 0, v5, vcc
	flat_load_dword v8, v[6:7]
	flat_load_dword v9, v[6:7] offset:1024
	flat_load_dword v25, v[6:7] offset:2048
	;; [unrolled: 1-line block ×3, first 2 shown]
	flat_load_dword v27, v[4:5]
	s_waitcnt vmcnt(0) lgkmcnt(0)
	ds_write2st64_b32 v2, v1, v3 offset1:4
	ds_write2st64_b32 v2, v10, v11 offset0:8 offset1:12
	ds_write2st64_b32 v2, v12, v13 offset0:16 offset1:20
	;; [unrolled: 1-line block ×9, first 2 shown]
	ds_write_b32 v2, v27 offset:20480
	s_waitcnt lgkmcnt(0)
	s_barrier
	ds_read2_b32 v[10:11], v23 offset0:7 offset1:8
	ds_read2_b32 v[8:9], v23 offset0:5 offset1:6
	;; [unrolled: 1-line block ×3, first 2 shown]
	ds_read2_b32 v[6:7], v23 offset1:1
	ds_read2_b32 v[4:5], v23 offset0:4 offset1:9
	ds_read2_b32 v[16:17], v23 offset0:15 offset1:16
	ds_read_b32 v1, v23 offset:56
	ds_read2_b32 v[14:15], v23 offset0:12 offset1:13
	ds_read2_b32 v[12:13], v23 offset0:10 offset1:11
	;; [unrolled: 1-line block ×4, first 2 shown]
	s_cbranch_scc1 .LBB1986_140
; %bb.136:
	s_andn2_b64 vcc, exec, s[54:55]
	s_cbranch_vccnz .LBB1986_342
; %bb.137:
	s_lshl_b64 s[6:7], s[56:57], 2
	s_add_u32 s6, s94, s6
	s_addc_u32 s7, s95, s7
	s_add_u32 s6, s6, -4
	s_addc_u32 s7, s7, -1
	s_cbranch_execnz .LBB1986_139
.LBB1986_138:
	s_add_u32 s6, s52, -4
	s_addc_u32 s7, s53, -1
.LBB1986_139:
	s_mov_b64 s[52:53], s[6:7]
.LBB1986_140:
	v_mov_b64_e32 v[24:25], s[52:53]
	flat_load_dword v22, v[24:25]
	s_movk_i32 s6, 0xffb0
	v_mad_i32_i24 v23, v0, s6, v23
	s_waitcnt lgkmcnt(0)
	ds_write_b32 v23, v21 offset:21504
	s_waitcnt lgkmcnt(0)
	s_barrier
	s_and_saveexec_b64 s[6:7], s[4:5]
	s_cbranch_execz .LBB1986_142
; %bb.141:
	s_waitcnt vmcnt(0)
	ds_read_b32 v22, v23 offset:21500
.LBB1986_142:
	s_or_b64 exec, exec, s[6:7]
	v_lshlrev_b32_e32 v24, 3, v0
	v_mov_b32_e32 v25, 0
	v_lshl_add_u64 v[24:25], s[50:51], 0, v[24:25]
	s_movk_i32 s6, 0x1000
	v_add_co_u32_e32 v26, vcc, s6, v24
	s_movk_i32 s6, 0x2000
	s_nop 0
	v_addc_co_u32_e32 v27, vcc, 0, v25, vcc
	s_waitcnt lgkmcnt(0)
	s_barrier
	flat_load_dwordx2 v[28:29], v[24:25]
	flat_load_dwordx2 v[30:31], v[24:25] offset:2048
	flat_load_dwordx2 v[32:33], v[26:27]
	flat_load_dwordx2 v[34:35], v[26:27] offset:2048
	v_add_co_u32_e32 v26, vcc, s6, v24
	s_movk_i32 s6, 0x3000
	s_nop 0
	v_addc_co_u32_e32 v27, vcc, 0, v25, vcc
	v_add_co_u32_e32 v36, vcc, s6, v24
	s_movk_i32 s6, 0x4000
	s_nop 0
	v_addc_co_u32_e32 v37, vcc, 0, v25, vcc
	flat_load_dwordx2 v[38:39], v[26:27]
	flat_load_dwordx2 v[40:41], v[26:27] offset:2048
	flat_load_dwordx2 v[42:43], v[36:37]
	flat_load_dwordx2 v[44:45], v[36:37] offset:2048
	v_add_co_u32_e32 v26, vcc, s6, v24
	s_movk_i32 s6, 0x5000
	s_nop 0
	v_addc_co_u32_e32 v27, vcc, 0, v25, vcc
	v_add_co_u32_e32 v36, vcc, s6, v24
	s_movk_i32 s6, 0x6000
	s_nop 0
	v_addc_co_u32_e32 v37, vcc, 0, v25, vcc
	flat_load_dwordx2 v[46:47], v[26:27]
	flat_load_dwordx2 v[48:49], v[26:27] offset:2048
	flat_load_dwordx2 v[50:51], v[36:37]
	flat_load_dwordx2 v[52:53], v[36:37] offset:2048
	v_add_co_u32_e32 v26, vcc, s6, v24
	s_movk_i32 s6, 0x7000
	s_nop 0
	v_addc_co_u32_e32 v27, vcc, 0, v25, vcc
	v_add_co_u32_e32 v36, vcc, s6, v24
	s_mov_b32 s6, 0x8000
	s_nop 0
	v_addc_co_u32_e32 v37, vcc, 0, v25, vcc
	flat_load_dwordx2 v[54:55], v[26:27]
	flat_load_dwordx2 v[56:57], v[26:27] offset:2048
	flat_load_dwordx2 v[58:59], v[36:37]
	flat_load_dwordx2 v[60:61], v[36:37] offset:2048
	v_add_co_u32_e32 v26, vcc, s6, v24
	s_mov_b32 s6, 0x9000
	s_nop 0
	v_addc_co_u32_e32 v27, vcc, 0, v25, vcc
	v_add_co_u32_e32 v36, vcc, s6, v24
	s_mov_b32 s6, 0xa000
	s_nop 0
	v_addc_co_u32_e32 v37, vcc, 0, v25, vcc
	flat_load_dwordx2 v[62:63], v[26:27]
	flat_load_dwordx2 v[64:65], v[26:27] offset:2048
	flat_load_dwordx2 v[66:67], v[36:37]
	flat_load_dwordx2 v[68:69], v[36:37] offset:2048
	v_add_co_u32_e32 v24, vcc, s6, v24
	v_cmp_ne_u32_e64 s[6:7], v20, v21
	s_nop 0
	v_addc_co_u32_e32 v25, vcc, 0, v25, vcc
	flat_load_dwordx2 v[24:25], v[24:25]
	v_cmp_ne_u32_e32 vcc, v17, v18
	s_movk_i32 s8, 0xa0
                                        ; implicit-def: $vgpr123
                                        ; implicit-def: $vgpr116
                                        ; implicit-def: $vgpr111
                                        ; implicit-def: $vgpr108
                                        ; implicit-def: $sgpr10
                                        ; implicit-def: $sgpr64
                                        ; implicit-def: $vgpr109
                                        ; implicit-def: $vgpr110
                                        ; implicit-def: $vgpr112
                                        ; implicit-def: $vgpr113
                                        ; implicit-def: $vgpr114
                                        ; implicit-def: $vgpr115
                                        ; implicit-def: $vgpr117
                                        ; implicit-def: $vgpr118
                                        ; implicit-def: $vgpr119
                                        ; implicit-def: $vgpr120
                                        ; implicit-def: $vgpr121
                                        ; implicit-def: $vgpr122
                                        ; implicit-def: $vgpr124
                                        ; implicit-def: $vgpr125
                                        ; implicit-def: $vgpr126
                                        ; implicit-def: $vgpr127
	s_nop 0
	v_cndmask_b32_e64 v21, 0, 1, vcc
	v_cmp_ne_u32_e32 vcc, v16, v17
	v_lshlrev_b16_e32 v21, 8, v21
	s_nop 0
	v_cndmask_b32_e64 v17, 0, 1, vcc
	v_cmp_ne_u32_e32 vcc, v19, v20
	v_or_b32_e32 v17, v17, v21
	s_nop 0
	v_cndmask_b32_e64 v20, 0, 1, vcc
	v_cmp_ne_u32_e32 vcc, v18, v19
	v_lshlrev_b16_e32 v20, 8, v20
                                        ; implicit-def: $vgpr19
	s_nop 0
	v_cndmask_b32_e64 v18, 0, 1, vcc
	v_cmp_ne_u32_e32 vcc, v1, v16
	v_or_b32_sdwa v18, v18, v20 dst_sel:WORD_1 dst_unused:UNUSED_PAD src0_sel:DWORD src1_sel:DWORD
	s_nop 0
	v_cndmask_b32_e64 v105, 0, 1, vcc
	v_cmp_ne_u32_e32 vcc, v13, v14
	v_or_b32_sdwa v82, v17, v18 dst_sel:DWORD dst_unused:UNUSED_PAD src0_sel:WORD_0 src1_sel:DWORD
	s_nop 0
	v_cndmask_b32_e64 v16, 0, 1, vcc
	v_cmp_ne_u32_e32 vcc, v12, v13
	v_lshlrev_b16_e32 v16, 8, v16
	s_nop 0
	v_cndmask_b32_e64 v13, 0, 1, vcc
	v_cmp_ne_u32_e32 vcc, v15, v1
	v_or_b32_e32 v13, v13, v16
	s_nop 0
	v_cndmask_b32_e64 v1, 0, 1, vcc
	v_cmp_ne_u32_e32 vcc, v14, v15
	v_lshlrev_b16_e32 v1, 8, v1
                                        ; implicit-def: $vgpr15
	s_nop 0
	v_cndmask_b32_e64 v14, 0, 1, vcc
	v_cmp_ne_u32_e32 vcc, v5, v12
	v_or_b32_sdwa v1, v14, v1 dst_sel:WORD_1 dst_unused:UNUSED_PAD src0_sel:DWORD src1_sel:DWORD
	s_nop 0
	v_cndmask_b32_e64 v107, 0, 1, vcc
	v_cmp_ne_u32_e32 vcc, v9, v10
	v_or_b32_sdwa v81, v13, v1 dst_sel:DWORD dst_unused:UNUSED_PAD src0_sel:WORD_0 src1_sel:DWORD
	s_nop 0
	v_cndmask_b32_e64 v1, 0, 1, vcc
	v_cmp_ne_u32_e32 vcc, v8, v9
	v_lshlrev_b16_e32 v1, 8, v1
	s_nop 0
	v_cndmask_b32_e64 v9, 0, 1, vcc
	v_cmp_ne_u32_e32 vcc, v11, v5
	v_or_b32_e32 v1, v9, v1
	s_nop 0
	v_cndmask_b32_e64 v5, 0, 1, vcc
	v_cmp_ne_u32_e32 vcc, v10, v11
	v_lshlrev_b16_e32 v5, 8, v5
                                        ; implicit-def: $vgpr11
	s_nop 0
	v_cndmask_b32_e64 v9, 0, 1, vcc
	v_cmp_ne_u32_e32 vcc, v4, v8
	v_or_b32_sdwa v5, v9, v5 dst_sel:WORD_1 dst_unused:UNUSED_PAD src0_sel:DWORD src1_sel:DWORD
	s_nop 0
	v_cndmask_b32_e64 v106, 0, 1, vcc
	v_cmp_ne_u32_e32 vcc, v7, v2
	v_or_b32_sdwa v80, v1, v5 dst_sel:DWORD dst_unused:UNUSED_PAD src0_sel:WORD_0 src1_sel:DWORD
	s_nop 0
	v_cndmask_b32_e64 v1, 0, 1, vcc
	v_cmp_ne_u32_e32 vcc, v6, v7
	v_lshlrev_b16_e32 v1, 8, v1
	s_nop 0
	v_cndmask_b32_e64 v5, 0, 1, vcc
	v_cmp_ne_u32_e32 vcc, v3, v4
	v_or_b32_e32 v1, v5, v1
	s_nop 0
	v_cndmask_b32_e64 v4, 0, 1, vcc
	v_cmp_ne_u32_e32 vcc, v2, v3
	v_lshlrev_b16_e32 v4, 8, v4
	s_nop 0
	v_cndmask_b32_e64 v2, 0, 1, vcc
	v_or_b32_sdwa v2, v2, v4 dst_sel:WORD_1 dst_unused:UNUSED_PAD src0_sel:DWORD src1_sel:DWORD
	s_waitcnt vmcnt(0)
	v_cmp_ne_u32_e32 vcc, v22, v6
	v_or_b32_sdwa v1, v1, v2 dst_sel:DWORD dst_unused:UNUSED_PAD src0_sel:WORD_0 src1_sel:DWORD
	v_lshl_add_u32 v2, v0, 2, v23
	v_mad_u32_u24 v7, v0, s8, v2
	s_waitcnt lgkmcnt(0)
	ds_write2st64_b64 v2, v[28:29], v[30:31] offset1:4
	ds_write2st64_b64 v2, v[32:33], v[34:35] offset0:8 offset1:12
	ds_write2st64_b64 v2, v[38:39], v[40:41] offset0:16 offset1:20
	;; [unrolled: 1-line block ×9, first 2 shown]
	ds_write_b64 v2, v[24:25] offset:40960
	s_waitcnt lgkmcnt(0)
	s_barrier
	ds_read2_b64 v[2:5], v7 offset1:1
	ds_read2_b64 v[76:79], v7 offset0:2 offset1:3
	ds_read2_b64 v[72:75], v7 offset0:4 offset1:5
	;; [unrolled: 1-line block ×9, first 2 shown]
	ds_read_b64 v[28:29], v7 offset:160
	v_cndmask_b32_e64 v104, 0, 1, vcc
	s_mov_b64 s[8:9], -1
                                        ; kill: def $vgpr6 killed $sgpr0 killed $exec
                                        ; implicit-def: $vgpr47
                                        ; implicit-def: $vgpr43
                                        ; implicit-def: $vgpr39
                                        ; implicit-def: $vgpr31
                                        ; implicit-def: $vgpr23
                                        ; implicit-def: $vgpr7
.LBB1986_143:
	s_mov_b64 s[94:95], s[62:63]
	v_mov_b32_e32 v33, s64
	v_mov_b32_e32 v40, s64
	;; [unrolled: 1-line block ×3, first 2 shown]
	s_and_saveexec_b64 s[10:11], s[8:9]
	s_cbranch_execz .LBB1986_145
; %bb.144:
	v_cndmask_b32_e64 v41, 0, 1, s[6:7]
	s_waitcnt lgkmcnt(0)
	v_mov_b32_e32 v6, v4
	v_mov_b32_e32 v7, v5
	;; [unrolled: 1-line block ×42, first 2 shown]
.LBB1986_145:
	s_or_b64 exec, exec, s[10:11]
	v_and_b32_e32 v128, 1, v106
	v_and_b32_e32 v129, 1, v107
	v_and_b32_e32 v130, 1, v105
	v_and_b32_e32 v131, 1, v41
	s_cmp_lg_u32 s99, 0
	v_lshrrev_b32_e32 v135, 8, v123
	v_lshrrev_b32_e32 v134, 8, v116
	;; [unrolled: 1-line block ×4, first 2 shown]
	v_cmp_eq_u32_e32 vcc, 1, v128
	v_cmp_eq_u32_e64 s[48:49], 1, v129
	v_cmp_eq_u32_e64 s[50:51], 1, v130
	v_cmp_eq_u32_e64 s[52:53], 1, v131
	s_waitcnt lgkmcnt(1)
	v_mbcnt_lo_u32_b32 v37, -1, 0
	s_waitcnt lgkmcnt(0)
	s_barrier
	s_cbranch_scc0 .LBB1986_216
; %bb.146:
	v_mov_b32_e32 v1, 0
	v_cmp_eq_u16_sdwa s[6:7], v123, v1 src0_sel:BYTE_0 src1_sel:DWORD
	s_movk_i32 s42, 0xff
	v_cmp_eq_u16_sdwa s[8:9], v135, v1 src0_sel:BYTE_0 src1_sel:DWORD
	v_cndmask_b32_e64 v4, 0, v2, s[6:7]
	v_add_u32_e32 v4, v4, v6
	v_cndmask_b32_e64 v5, 0, v3, s[6:7]
	v_add_u32_e32 v5, v5, v7
	v_cndmask_b32_e64 v4, 0, v4, s[8:9]
	v_and_b32_sdwa v8, v123, s42 dst_sel:DWORD dst_unused:UNUSED_PAD src0_sel:WORD_1 src1_sel:DWORD
	v_add_u32_e32 v4, v4, v127
	v_cndmask_b32_e64 v5, 0, v5, s[8:9]
	v_cmp_eq_u16_e64 s[10:11], 0, v8
	v_add_u32_e32 v5, v5, v126
	v_cmp_eq_u16_sdwa s[12:13], v123, v1 src0_sel:BYTE_3 src1_sel:DWORD
	v_cndmask_b32_e64 v4, 0, v4, s[10:11]
	v_add_u32_e32 v4, v4, v10
	v_cndmask_b32_e64 v5, 0, v5, s[10:11]
	v_add_u32_e32 v5, v5, v11
	v_cndmask_b32_e64 v4, 0, v4, s[12:13]
	v_add_u32_e32 v4, v4, v125
	v_cndmask_b32_e64 v5, 0, v5, s[12:13]
	v_cmp_eq_u16_sdwa s[14:15], v106, v1 src0_sel:BYTE_0 src1_sel:DWORD
	v_add_u32_e32 v5, v5, v124
	v_cmp_eq_u16_sdwa s[16:17], v116, v1 src0_sel:BYTE_0 src1_sel:DWORD
	v_cndmask_b32_e64 v4, 0, v4, s[14:15]
	v_add_u32_e32 v4, v4, v14
	v_cndmask_b32_e64 v5, 0, v5, s[14:15]
	v_add_u32_e32 v5, v5, v15
	v_cndmask_b32_e64 v4, 0, v4, s[16:17]
	v_add_u32_e32 v4, v4, v122
	v_cndmask_b32_e64 v5, 0, v5, s[16:17]
	v_cmp_eq_u16_sdwa s[18:19], v134, v1 src0_sel:BYTE_0 src1_sel:DWORD
	v_add_u32_e32 v5, v5, v121
	v_and_b32_sdwa v8, v116, s42 dst_sel:DWORD dst_unused:UNUSED_PAD src0_sel:WORD_1 src1_sel:DWORD
	v_cndmask_b32_e64 v4, 0, v4, s[18:19]
	v_add_u32_e32 v4, v4, v18
	v_cndmask_b32_e64 v5, 0, v5, s[18:19]
	v_cmp_eq_u16_e64 s[20:21], 0, v8
	v_add_u32_e32 v5, v5, v19
	v_cmp_eq_u16_sdwa s[22:23], v116, v1 src0_sel:BYTE_3 src1_sel:DWORD
	v_cndmask_b32_e64 v4, 0, v4, s[20:21]
	v_add_u32_e32 v4, v4, v120
	v_cndmask_b32_e64 v5, 0, v5, s[20:21]
	v_add_u32_e32 v5, v5, v119
	v_cndmask_b32_e64 v4, 0, v4, s[22:23]
	v_add_u32_e32 v4, v4, v22
	v_cndmask_b32_e64 v5, 0, v5, s[22:23]
	v_cmp_eq_u16_sdwa s[24:25], v107, v1 src0_sel:BYTE_0 src1_sel:DWORD
	v_add_u32_e32 v5, v5, v23
	v_cmp_eq_u16_sdwa s[26:27], v111, v1 src0_sel:BYTE_0 src1_sel:DWORD
	v_cndmask_b32_e64 v4, 0, v4, s[24:25]
	v_add_u32_e32 v4, v4, v118
	v_cndmask_b32_e64 v5, 0, v5, s[24:25]
	v_add_u32_e32 v5, v5, v117
	v_cndmask_b32_e64 v4, 0, v4, s[26:27]
	v_add_u32_e32 v4, v4, v30
	v_cndmask_b32_e64 v5, 0, v5, s[26:27]
	v_cmp_eq_u16_sdwa s[28:29], v133, v1 src0_sel:BYTE_0 src1_sel:DWORD
	v_add_u32_e32 v5, v5, v31
	v_and_b32_sdwa v8, v111, s42 dst_sel:DWORD dst_unused:UNUSED_PAD src0_sel:WORD_1 src1_sel:DWORD
	v_cndmask_b32_e64 v4, 0, v4, s[28:29]
	;; [unrolled: 26-line block ×3, first 2 shown]
	v_add_u32_e32 v4, v4, v46
	v_cndmask_b32_e64 v5, 0, v5, s[40:41]
	v_cmp_eq_u16_e64 s[42:43], 0, v8
	v_add_u32_e32 v5, v5, v47
	v_cmp_eq_u16_sdwa s[44:45], v108, v1 src0_sel:BYTE_3 src1_sel:DWORD
	v_cndmask_b32_e64 v4, 0, v4, s[42:43]
	v_add_u32_e32 v4, v4, v34
	v_cndmask_b32_e64 v5, 0, v5, s[42:43]
	v_add_u32_e32 v5, v5, v35
	v_cndmask_b32_e64 v4, 0, v4, s[44:45]
	v_add_u32_e32 v4, v4, v26
	v_cndmask_b32_e64 v5, 0, v5, s[44:45]
	v_cmp_eq_u16_sdwa s[46:47], v41, v1 src0_sel:BYTE_0 src1_sel:DWORD
	v_add_u32_e32 v5, v5, v27
	v_mbcnt_hi_u32_b32 v13, -1, v37
	v_cndmask_b32_e64 v1, 0, v4, s[46:47]
	v_add_u32_e32 v8, v1, v33
	v_cndmask_b32_e64 v1, 0, v5, s[46:47]
	v_and_b32_e32 v5, 1, v123
	v_cmp_eq_u32_e64 s[56:57], 1, v5
	v_and_b32_e32 v5, 0x100, v123
	v_cmp_ne_u32_e64 s[58:59], 0, v5
	v_and_b32_e32 v5, 0x10000, v123
	v_cmp_ne_u32_e64 s[60:61], 0, v5
	v_and_b32_e32 v5, 0x1000000, v123
	v_cmp_ne_u32_e64 s[62:63], 0, v5
	v_and_b32_e32 v5, 1, v116
	v_cmp_eq_u32_e64 s[64:65], 1, v5
	v_and_b32_e32 v5, 0x100, v116
	v_cmp_ne_u32_e64 s[66:67], 0, v5
	v_and_b32_e32 v5, 0x10000, v116
	v_cmp_ne_u32_e64 s[68:69], 0, v5
	v_and_b32_e32 v5, 0x1000000, v116
	v_cmp_ne_u32_e64 s[70:71], 0, v5
	;; [unrolled: 8-line block ×3, first 2 shown]
	v_and_b32_e32 v5, 1, v108
	v_and_b32_e32 v4, 0x1000000, v108
	v_cmp_eq_u32_e64 s[80:81], 1, v5
	v_and_b32_e32 v5, 0x100, v108
	v_cmp_ne_u32_e64 s[54:55], 0, v4
	v_cmp_ne_u32_e64 s[82:83], 0, v5
	v_and_b32_e32 v5, 0x10000, v108
	v_cmp_ne_u32_e64 s[84:85], 0, v5
	s_or_b64 s[52:53], s[52:53], s[54:55]
	s_or_b64 s[52:53], s[52:53], s[84:85]
	s_or_b64 s[52:53], s[52:53], s[82:83]
	s_or_b64 s[52:53], s[52:53], s[80:81]
	s_or_b64 s[50:51], s[52:53], s[50:51]
	s_or_b64 s[50:51], s[50:51], s[78:79]
	s_or_b64 s[50:51], s[50:51], s[76:77]
	s_or_b64 s[50:51], s[50:51], s[74:75]
	s_or_b64 s[50:51], s[50:51], s[72:73]
	s_or_b64 s[48:49], s[50:51], s[48:49]
	s_or_b64 s[48:49], s[48:49], s[70:71]
	s_or_b64 s[48:49], s[48:49], s[68:69]
	s_or_b64 s[48:49], s[48:49], s[66:67]
	s_or_b64 s[48:49], s[48:49], s[64:65]
	s_or_b64 s[48:49], s[48:49], vcc
	s_or_b64 s[48:49], s[48:49], s[62:63]
	s_or_b64 s[48:49], s[48:49], s[60:61]
	;; [unrolled: 1-line block ×3, first 2 shown]
	v_and_b32_e32 v4, 0xff, v104
	s_or_b64 s[48:49], s[48:49], s[56:57]
	v_add_u32_e32 v1, v1, v40
	v_cndmask_b32_e64 v9, v4, 1, s[48:49]
	v_and_b32_e32 v4, 15, v13
	v_mov_b32_dpp v5, v8 row_shr:1 row_mask:0xf bank_mask:0xf
	v_mov_b32_dpp v12, v1 row_shr:1 row_mask:0xf bank_mask:0xf
	;; [unrolled: 1-line block ×3, first 2 shown]
	v_cmp_ne_u32_e32 vcc, 0, v4
	s_and_saveexec_b64 s[48:49], vcc
; %bb.147:
	v_cmp_eq_u32_e32 vcc, 0, v9
	v_and_or_b32 v9, v16, 1, v9
	s_nop 0
	v_cndmask_b32_e32 v5, 0, v5, vcc
	v_add_u32_e32 v8, v5, v8
	v_cndmask_b32_e32 v5, 0, v12, vcc
	v_add_u32_e32 v1, v5, v1
; %bb.148:
	s_or_b64 exec, exec, s[48:49]
	v_mov_b32_dpp v12, v8 row_shr:2 row_mask:0xf bank_mask:0xf
	v_mov_b32_dpp v16, v1 row_shr:2 row_mask:0xf bank_mask:0xf
	;; [unrolled: 1-line block ×3, first 2 shown]
	v_cmp_lt_u32_e32 vcc, 1, v4
	s_and_saveexec_b64 s[48:49], vcc
; %bb.149:
	v_add_u32_e32 v12, v12, v8
	v_add_u32_e32 v16, v16, v1
	v_cmp_eq_u32_e32 vcc, 0, v9
	v_or_b32_e32 v5, v5, v9
	v_and_b32_e32 v9, 1, v5
	v_cndmask_b32_e32 v8, v8, v12, vcc
	v_cndmask_b32_e32 v1, v1, v16, vcc
; %bb.150:
	s_or_b64 exec, exec, s[48:49]
	v_mov_b32_dpp v12, v8 row_shr:4 row_mask:0xf bank_mask:0xf
	v_mov_b32_dpp v16, v1 row_shr:4 row_mask:0xf bank_mask:0xf
	;; [unrolled: 1-line block ×3, first 2 shown]
	v_cmp_lt_u32_e32 vcc, 3, v4
	s_and_saveexec_b64 s[48:49], vcc
	s_mov_b64 s[66:67], s[94:95]
; %bb.151:
	v_add_u32_e32 v12, v12, v8
	v_add_u32_e32 v16, v16, v1
	v_cmp_eq_u32_e32 vcc, 0, v9
	v_or_b32_e32 v5, v5, v9
	v_and_b32_e32 v9, 1, v5
	v_cndmask_b32_e32 v8, v8, v12, vcc
	v_cndmask_b32_e32 v1, v1, v16, vcc
; %bb.152:
	s_or_b64 exec, exec, s[48:49]
	v_mov_b32_dpp v12, v8 row_shr:8 row_mask:0xf bank_mask:0xf
	v_mov_b32_dpp v16, v1 row_shr:8 row_mask:0xf bank_mask:0xf
	;; [unrolled: 1-line block ×3, first 2 shown]
	v_cmp_lt_u32_e32 vcc, 7, v4
	s_and_saveexec_b64 s[48:49], vcc
; %bb.153:
	v_add_u32_e32 v4, v12, v8
	v_cmp_eq_u32_e32 vcc, 0, v9
	v_add_u32_e32 v12, v16, v1
	s_nop 0
	v_cndmask_b32_e32 v8, v8, v4, vcc
	v_or_b32_e32 v4, v5, v9
	v_cndmask_b32_e32 v1, v1, v12, vcc
	v_and_b32_e32 v9, 1, v4
; %bb.154:
	s_or_b64 exec, exec, s[48:49]
	v_and_b32_e32 v16, 16, v13
	v_mov_b32_dpp v5, v8 row_bcast:15 row_mask:0xf bank_mask:0xf
	v_mov_b32_dpp v12, v1 row_bcast:15 row_mask:0xf bank_mask:0xf
	;; [unrolled: 1-line block ×3, first 2 shown]
	v_cmp_ne_u32_e32 vcc, 0, v16
	s_and_saveexec_b64 s[48:49], vcc
; %bb.155:
	v_add_u32_e32 v5, v5, v8
	v_add_u32_e32 v12, v12, v1
	v_cmp_eq_u32_e32 vcc, 0, v9
	v_or_b32_e32 v4, v4, v9
	v_and_b32_e32 v9, 1, v4
	v_cndmask_b32_e32 v8, v8, v5, vcc
	v_cndmask_b32_e32 v1, v1, v12, vcc
; %bb.156:
	s_or_b64 exec, exec, s[48:49]
	v_mov_b32_dpp v12, v8 row_bcast:31 row_mask:0xf bank_mask:0xf
	v_mov_b32_dpp v16, v1 row_bcast:31 row_mask:0xf bank_mask:0xf
	v_mov_b32_dpp v5, v9 row_bcast:31 row_mask:0xf bank_mask:0xf
	v_cmp_lt_u32_e32 vcc, 31, v13
	v_mov_b32_e32 v4, v9
	s_and_saveexec_b64 s[48:49], vcc
; %bb.157:
	v_add_u32_e32 v4, v12, v8
	v_add_u32_e32 v12, v16, v1
	v_cmp_eq_u32_e32 vcc, 0, v9
	v_or_b32_e32 v5, v5, v9
	v_and_b32_e32 v9, 1, v5
	v_cndmask_b32_e32 v8, v8, v4, vcc
	v_cndmask_b32_e32 v1, v1, v12, vcc
	v_and_b32_e32 v4, 1, v5
; %bb.158:
	s_or_b64 exec, exec, s[48:49]
	v_or_b32_e32 v5, 63, v0
	v_lshrrev_b32_e32 v12, 6, v0
	v_cmp_eq_u32_e32 vcc, v5, v0
	s_and_saveexec_b64 s[48:49], vcc
	s_cbranch_execz .LBB1986_160
; %bb.159:
	v_mul_u32_u24_e32 v5, 12, v12
	ds_write2_b32 v5, v8, v1 offset1:1
	ds_write_b8 v5, v4 offset:8
.LBB1986_160:
	s_or_b64 exec, exec, s[48:49]
	v_cmp_gt_u32_e32 vcc, 4, v0
	s_waitcnt lgkmcnt(0)
	s_barrier
	s_and_saveexec_b64 s[48:49], vcc
	s_cbranch_execz .LBB1986_166
; %bb.161:
	v_mul_u32_u24_e32 v16, 12, v0
	ds_read2_b32 v[4:5], v16 offset1:1
	ds_read_b32 v17, v16 offset:8
	v_and_b32_e32 v20, 3, v13
	v_cmp_ne_u32_e32 vcc, 0, v20
	s_waitcnt lgkmcnt(1)
	v_mov_b32_dpp v28, v4 row_shr:1 row_mask:0xf bank_mask:0xf
	v_mov_b32_dpp v24, v5 row_shr:1 row_mask:0xf bank_mask:0xf
	s_waitcnt lgkmcnt(0)
	v_mov_b32_dpp v25, v17 row_shr:1 row_mask:0xf bank_mask:0xf
	v_mov_b32_e32 v21, v17
	s_and_saveexec_b64 s[50:51], vcc
; %bb.162:
	v_mov_b32_e32 v21, 0
	v_cmp_eq_u16_sdwa vcc, v17, v21 src0_sel:BYTE_0 src1_sel:DWORD
	s_movk_i32 s52, 0xff00
	s_nop 0
	v_cndmask_b32_e32 v21, 0, v28, vcc
	v_add_u32_e32 v4, v21, v4
	v_cndmask_b32_e32 v21, 0, v24, vcc
	v_add_u32_e32 v5, v21, v5
	v_or_b32_e32 v21, v25, v17
	v_and_b32_e32 v21, 1, v21
	v_and_or_b32 v17, v17, s52, v21
; %bb.163:
	s_or_b64 exec, exec, s[50:51]
	v_mov_b32_dpp v25, v4 row_shr:2 row_mask:0xf bank_mask:0xf
	v_mov_b32_dpp v28, v5 row_shr:2 row_mask:0xf bank_mask:0xf
	;; [unrolled: 1-line block ×3, first 2 shown]
	v_cmp_lt_u32_e32 vcc, 1, v20
	s_and_saveexec_b64 s[50:51], vcc
; %bb.164:
	v_mov_b32_e32 v17, 0
	v_add_u32_e32 v20, v25, v4
	v_add_u32_e32 v25, v28, v5
	v_cmp_eq_u16_sdwa vcc, v21, v17 src0_sel:BYTE_0 src1_sel:DWORD
	v_or_b32_e32 v17, v24, v21
	v_and_b32_e32 v17, 1, v17
	v_cndmask_b32_e32 v4, v4, v20, vcc
	v_cndmask_b32_e32 v5, v5, v25, vcc
; %bb.165:
	s_or_b64 exec, exec, s[50:51]
	ds_write2_b32 v16, v4, v5 offset1:1
	ds_write_b8 v16, v17 offset:8
.LBB1986_166:
	s_or_b64 exec, exec, s[48:49]
	v_cmp_gt_u32_e32 vcc, 64, v0
	v_cmp_lt_u32_e64 s[48:49], 63, v0
	s_waitcnt lgkmcnt(0)
	s_barrier
	s_waitcnt lgkmcnt(0)
                                        ; implicit-def: $vgpr4_vgpr5
                                        ; implicit-def: $vgpr44
	s_and_saveexec_b64 s[50:51], s[48:49]
	s_xor_b64 s[50:51], exec, s[50:51]
	s_cbranch_execz .LBB1986_170
; %bb.167:
	v_mad_u32_u24 v12, v12, 12, -12
	ds_read2_b32 v[4:5], v12 offset1:1
	ds_read_u8 v44, v12 offset:8
	v_cmp_ne_u32_e64 s[48:49], 0, v9
                                        ; kill: def $vgpr12 killed $sgpr0 killed $exec
	s_and_saveexec_b64 s[52:53], s[48:49]
	s_xor_b64 s[48:49], exec, s[52:53]
	s_andn2_saveexec_b64 s[48:49], s[48:49]
	s_cbranch_execz .LBB1986_169
; %bb.168:
	s_waitcnt lgkmcnt(1)
	v_add_u32_e32 v8, v4, v8
	v_add_u32_e32 v1, v5, v1
.LBB1986_169:
	s_or_b64 exec, exec, s[48:49]
	v_and_b32_e32 v9, 1, v9
	s_waitcnt lgkmcnt(0)
	v_and_b32_e32 v12, 0xff, v44
	v_cmp_eq_u32_e64 s[48:49], 1, v9
	s_nop 1
	v_cndmask_b32_e64 v9, v12, 1, s[48:49]
.LBB1986_170:
	s_andn2_saveexec_b64 s[48:49], s[50:51]
; %bb.171:
	v_mov_b32_e32 v44, 0
	v_mov_b64_e32 v[4:5], 0
; %bb.172:
	s_or_b64 exec, exec, s[48:49]
	v_add_u32_e32 v12, -1, v13
	v_and_b32_e32 v16, 64, v13
	v_cmp_lt_i32_e64 s[48:49], v12, v16
	s_nop 1
	v_cndmask_b32_e64 v12, v12, v13, s[48:49]
	v_lshlrev_b32_e32 v12, 2, v12
	ds_bpermute_b32 v45, v12, v8
	ds_bpermute_b32 v53, v12, v1
	;; [unrolled: 1-line block ×3, first 2 shown]
	v_cmp_eq_u32_e64 s[48:49], 0, v13
	s_and_saveexec_b64 s[52:53], vcc
	s_cbranch_execz .LBB1986_213
; %bb.173:
	v_mov_b32_e32 v17, 0
	ds_read2_b32 v[8:9], v17 offset0:9 offset1:10
	ds_read_b32 v54, v17 offset:44
	s_waitcnt lgkmcnt(1)
	v_readfirstlane_b32 s56, v9
	s_and_saveexec_b64 s[50:51], s[48:49]
	s_cbranch_execz .LBB1986_175
; %bb.174:
	s_add_i32 s54, s99, 64
	s_mov_b32 s55, 0
	s_lshl_b64 s[58:59], s[54:55], 4
	s_add_u32 s58, s96, s58
	s_waitcnt lgkmcnt(0)
	v_and_b32_e32 v12, 0xff00, v54
	s_addc_u32 s59, s97, s59
	v_and_b32_e32 v9, 0xff0000, v54
	v_or_b32_sdwa v12, v12, v54 dst_sel:DWORD dst_unused:UNUSED_PAD src0_sel:DWORD src1_sel:BYTE_0
	s_and_b32 s61, s56, 0xff000000
	s_mov_b32 s60, s55
	s_and_b32 s63, s56, 0xff0000
	s_mov_b32 s62, s55
	v_and_b32_e32 v1, 0xff000000, v54
	v_or_b32_e32 v9, v12, v9
	s_and_b32 s65, s56, 0xff00
	s_mov_b32 s64, s55
	s_and_b32 s57, s56, 0xff
	s_or_b64 s[54:55], s[60:61], s[62:63]
	v_or_b32_e32 v50, v9, v1
	s_or_b64 s[54:55], s[54:55], s[64:65]
	v_mov_b32_e32 v1, s57
	v_or_b32_e32 v48, s54, v8
	v_or_b32_e32 v49, s55, v1
	v_mov_b32_e32 v51, 1
	v_mov_b64_e32 v[20:21], s[58:59]
	;;#ASMSTART
	global_store_dwordx4 v[20:21], v[48:51] off sc1	
s_waitcnt vmcnt(0)
	;;#ASMEND
.LBB1986_175:
	s_or_b64 exec, exec, s[50:51]
	v_xad_u32 v12, v13, -1, s99
	v_add_u32_e32 v16, 64, v12
	v_lshl_add_u64 v[24:25], v[16:17], 4, s[96:97]
	;;#ASMSTART
	global_load_dwordx4 v[48:51], v[24:25] off sc1	
s_waitcnt vmcnt(0)
	;;#ASMEND
	s_nop 0
	v_lshlrev_b64 v[56:57], 24, v[50:51]
	v_lshrrev_b32_e32 v1, 8, v49
	v_or_b32_e32 v20, v1, v56
	v_lshlrev_b64 v[56:57], 16, v[50:51]
	v_or_b32_sdwa v28, v49, v56 dst_sel:DWORD dst_unused:UNUSED_PAD src0_sel:WORD_1 src1_sel:DWORD
	v_lshlrev_b64 v[56:57], 8, v[50:51]
	v_alignbit_b32 v9, v49, v48, 8
	v_alignbit_b32 v29, v49, v48, 16
	;; [unrolled: 1-line block ×3, first 2 shown]
	v_mov_b32_e32 v16, v49
	v_or_b32_sdwa v32, v49, v56 dst_sel:DWORD dst_unused:UNUSED_PAD src0_sel:BYTE_3 src1_sel:DWORD
	v_cmp_eq_u16_sdwa s[54:55], v51, v17 src0_sel:BYTE_0 src1_sel:DWORD
	s_and_saveexec_b64 s[50:51], s[54:55]
	s_cbranch_execz .LBB1986_179
; %bb.176:
	s_mov_b64 s[54:55], 0
	v_mov_b32_e32 v1, 0
.LBB1986_177:                           ; =>This Inner Loop Header: Depth=1
	;;#ASMSTART
	global_load_dwordx4 v[48:51], v[24:25] off sc1	
s_waitcnt vmcnt(0)
	;;#ASMEND
	s_nop 0
	v_cmp_ne_u16_sdwa s[58:59], v51, v1 src0_sel:BYTE_0 src1_sel:DWORD
	s_or_b64 s[54:55], s[58:59], s[54:55]
	s_andn2_b64 exec, exec, s[54:55]
	s_cbranch_execnz .LBB1986_177
; %bb.178:
	s_or_b64 exec, exec, s[54:55]
	v_lshlrev_b64 v[24:25], 24, v[50:51]
	v_lshrrev_b32_e32 v1, 8, v49
	v_or_b32_e32 v20, v1, v24
	v_lshlrev_b64 v[24:25], 16, v[50:51]
	v_or_b32_sdwa v28, v49, v24 dst_sel:DWORD dst_unused:UNUSED_PAD src0_sel:WORD_1 src1_sel:DWORD
	v_lshlrev_b64 v[24:25], 8, v[50:51]
	v_alignbit_b32 v9, v49, v48, 8
	v_alignbit_b32 v29, v49, v48, 16
	;; [unrolled: 1-line block ×3, first 2 shown]
	v_mov_b32_e32 v16, v49
	v_or_b32_sdwa v32, v49, v24 dst_sel:DWORD dst_unused:UNUSED_PAD src0_sel:BYTE_3 src1_sel:DWORD
.LBB1986_179:
	s_or_b64 exec, exec, s[50:51]
	v_lshlrev_b32_e32 v17, 16, v28
	v_lshlrev_b32_e32 v1, 24, v32
	v_and_b32_e32 v17, 0xff0000, v17
	v_or_b32_e32 v1, v17, v1
	v_lshlrev_b32_e32 v17, 8, v20
	v_and_b32_e32 v17, 0xff00, v17
	v_and_b32_e32 v16, 0xff, v16
	v_or3_b32 v1, v1, v17, v16
	v_lshlrev_b32_e32 v16, 16, v29
	s_mov_b32 s50, 0x4020c0c
	v_lshlrev_b32_e32 v9, 8, v9
	v_perm_b32 v16, v21, v16, s50
	s_mov_b32 s50, 0xc0c0500
	v_perm_b32 v9, v9, v48, s50
	v_or_b32_e32 v20, v9, v16
	v_mov_b32_e32 v9, 2
	v_cmp_eq_u16_sdwa s[50:51], v51, v9 src0_sel:BYTE_0 src1_sel:DWORD
	v_lshlrev_b64 v[16:17], v13, -1
	v_and_b32_e32 v24, 0xff, v50
	v_and_b32_e32 v9, s51, v17
	v_or_b32_e32 v9, 0x80000000, v9
	v_ffbl_b32_e32 v36, v9
	v_and_b32_e32 v9, 63, v13
	v_cmp_ne_u32_e32 vcc, 63, v9
	v_and_b32_e32 v21, s50, v16
	v_add_u32_e32 v36, 32, v36
	v_addc_co_u32_e32 v25, vcc, 0, v13, vcc
	v_lshlrev_b32_e32 v25, 2, v25
	ds_bpermute_b32 v32, v25, v20
	ds_bpermute_b32 v29, v25, v1
	;; [unrolled: 1-line block ×3, first 2 shown]
	v_ffbl_b32_e32 v21, v21
	v_min_u32_e32 v21, v21, v36
	v_cmp_lt_u32_e32 vcc, v9, v21
	s_and_saveexec_b64 s[50:51], vcc
	s_cbranch_execz .LBB1986_181
; %bb.180:
	v_mov_b32_e32 v24, 0
	v_cmp_eq_u16_sdwa vcc, v50, v24 src0_sel:BYTE_0 src1_sel:DWORD
	s_waitcnt lgkmcnt(2)
	s_nop 0
	v_cndmask_b32_e32 v24, 0, v32, vcc
	v_add_u32_e32 v20, v24, v20
	s_waitcnt lgkmcnt(1)
	v_cndmask_b32_e32 v24, 0, v29, vcc
	v_add_u32_e32 v1, v24, v1
	s_waitcnt lgkmcnt(0)
	v_or_b32_e32 v24, v50, v28
	v_and_b32_e32 v50, 1, v24
	v_and_b32_e32 v24, 0xffff, v50
.LBB1986_181:
	s_or_b64 exec, exec, s[50:51]
	v_cmp_gt_u32_e32 vcc, 62, v9
	v_add_u32_e32 v56, 2, v9
	s_waitcnt lgkmcnt(0)
	v_cndmask_b32_e64 v28, 0, 1, vcc
	v_lshlrev_b32_e32 v28, 1, v28
	v_add_lshl_u32 v55, v28, v13, 2
	ds_bpermute_b32 v29, v55, v20
	ds_bpermute_b32 v32, v55, v1
	ds_bpermute_b32 v28, v55, v24
	v_cmp_le_u32_e32 vcc, v56, v21
	s_and_saveexec_b64 s[50:51], vcc
	s_cbranch_execz .LBB1986_183
; %bb.182:
	v_mov_b32_e32 v24, 0
	v_cmp_eq_u16_sdwa vcc, v50, v24 src0_sel:BYTE_0 src1_sel:DWORD
	s_waitcnt lgkmcnt(0)
	v_or_b32_e32 v24, v28, v50
	v_add_u32_e32 v29, v29, v20
	v_add_u32_e32 v32, v32, v1
	v_and_b32_e32 v24, 1, v24
	v_cndmask_b32_e32 v20, v20, v29, vcc
	v_cndmask_b32_e32 v1, v1, v32, vcc
	v_mov_b32_e32 v50, v24
.LBB1986_183:
	s_or_b64 exec, exec, s[50:51]
	v_cmp_gt_u32_e32 vcc, 60, v9
	v_add_u32_e32 v58, 4, v9
	s_waitcnt lgkmcnt(0)
	v_cndmask_b32_e64 v28, 0, 1, vcc
	v_lshlrev_b32_e32 v28, 2, v28
	v_add_lshl_u32 v57, v28, v13, 2
	ds_bpermute_b32 v29, v57, v20
	ds_bpermute_b32 v32, v57, v1
	ds_bpermute_b32 v28, v57, v24
	v_cmp_le_u32_e32 vcc, v58, v21
	s_and_saveexec_b64 s[50:51], vcc
	s_cbranch_execz .LBB1986_185
; %bb.184:
	v_mov_b32_e32 v24, 0
	v_cmp_eq_u16_sdwa vcc, v50, v24 src0_sel:BYTE_0 src1_sel:DWORD
	s_waitcnt lgkmcnt(0)
	v_or_b32_e32 v24, v28, v50
	v_add_u32_e32 v29, v29, v20
	v_add_u32_e32 v32, v32, v1
	v_and_b32_e32 v24, 1, v24
	v_cndmask_b32_e32 v20, v20, v29, vcc
	v_cndmask_b32_e32 v1, v1, v32, vcc
	v_mov_b32_e32 v50, v24
.LBB1986_185:
	;; [unrolled: 25-line block ×4, first 2 shown]
	s_or_b64 exec, exec, s[50:51]
	v_cmp_gt_u32_e32 vcc, 32, v9
	v_add_u32_e32 v67, 32, v9
	s_waitcnt lgkmcnt(0)
	v_cndmask_b32_e64 v28, 0, 1, vcc
	v_lshlrev_b32_e32 v28, 5, v28
	v_add_lshl_u32 v65, v28, v13, 2
	ds_bpermute_b32 v28, v65, v20
	ds_bpermute_b32 v29, v65, v1
	;; [unrolled: 1-line block ×3, first 2 shown]
	v_cmp_le_u32_e32 vcc, v67, v21
	s_and_saveexec_b64 s[50:51], vcc
	s_cbranch_execz .LBB1986_191
; %bb.190:
	v_mov_b32_e32 v21, 0
	s_waitcnt lgkmcnt(2)
	v_add_u32_e32 v24, v28, v20
	s_waitcnt lgkmcnt(1)
	v_add_u32_e32 v28, v29, v1
	v_cmp_eq_u16_sdwa vcc, v50, v21 src0_sel:BYTE_0 src1_sel:DWORD
	s_waitcnt lgkmcnt(0)
	v_or_b32_e32 v13, v13, v50
	v_cndmask_b32_e32 v20, v20, v24, vcc
	v_cndmask_b32_e32 v1, v1, v28, vcc
	v_and_b32_e32 v24, 1, v13
.LBB1986_191:
	s_or_b64 exec, exec, s[50:51]
	s_movk_i32 s57, 0xff
	s_waitcnt lgkmcnt(0)
	v_mov_b32_e32 v13, 0
	s_mov_b32 s58, 0x4020c0c
	s_mov_b32 s59, 0xc0c0500
	v_mov_b32_e32 v68, 2
	s_branch .LBB1986_193
.LBB1986_192:                           ;   in Loop: Header=BB1986_193 Depth=1
	s_or_b64 exec, exec, s[50:51]
	s_waitcnt lgkmcnt(0)
	ds_bpermute_b32 v28, v65, v20
	ds_bpermute_b32 v29, v65, v1
	;; [unrolled: 1-line block ×3, first 2 shown]
	v_cmp_eq_u16_sdwa vcc, v50, v13 src0_sel:BYTE_0 src1_sel:DWORD
	v_subrev_u32_e32 v12, 64, v12
	s_waitcnt lgkmcnt(2)
	v_add_u32_e32 v28, v28, v20
	s_waitcnt lgkmcnt(1)
	v_add_u32_e32 v29, v29, v1
	v_cndmask_b32_e32 v28, v20, v28, vcc
	v_cndmask_b32_e32 v29, v1, v29, vcc
	s_waitcnt lgkmcnt(0)
	v_and_or_b32 v32, v50, s57, v32
	v_cmp_gt_u32_e32 vcc, v67, v21
	s_nop 1
	v_cndmask_b32_e32 v21, v32, v24, vcc
	v_cndmask_b32_e32 v20, v28, v20, vcc
	;; [unrolled: 1-line block ×3, first 2 shown]
	v_cmp_eq_u16_sdwa vcc, v63, v13 src0_sel:BYTE_0 src1_sel:DWORD
	v_and_b32_e32 v24, 1, v63
	v_and_b32_e32 v21, 1, v21
	v_cndmask_b32_e32 v20, 0, v20, vcc
	v_cndmask_b32_e32 v1, 0, v1, vcc
	v_cmp_eq_u32_e32 vcc, 1, v24
	v_cmp_eq_u32_e64 s[50:51], 1, v21
	s_or_b64 s[50:51], vcc, s[50:51]
	v_add_u32_e32 v20, v20, v66
	v_add_u32_e32 v1, v1, v64
	v_cndmask_b32_e64 v24, 0, 1, s[50:51]
.LBB1986_193:                           ; =>This Loop Header: Depth=1
                                        ;     Child Loop BB1986_196 Depth 2
	v_cmp_ne_u16_sdwa s[50:51], v51, v68 src0_sel:BYTE_0 src1_sel:DWORD
	v_mov_b32_e32 v64, v1
	v_mov_b32_e32 v63, v24
	v_cndmask_b32_e64 v1, 0, 1, s[50:51]
	;;#ASMSTART
	;;#ASMEND
	v_mov_b32_e32 v66, v20
	v_cmp_ne_u32_e32 vcc, 0, v1
	s_cmp_lg_u64 vcc, exec
	s_cbranch_scc1 .LBB1986_208
; %bb.194:                              ;   in Loop: Header=BB1986_193 Depth=1
	v_lshl_add_u64 v[28:29], v[12:13], 4, s[96:97]
	;;#ASMSTART
	global_load_dwordx4 v[48:51], v[28:29] off sc1	
s_waitcnt vmcnt(0)
	;;#ASMEND
	s_nop 0
	v_lshlrev_b64 v[72:73], 24, v[50:51]
	v_lshrrev_b32_e32 v1, 8, v49
	v_or_b32_e32 v24, v1, v72
	v_lshlrev_b64 v[72:73], 16, v[50:51]
	v_or_b32_sdwa v32, v49, v72 dst_sel:DWORD dst_unused:UNUSED_PAD src0_sel:WORD_1 src1_sel:DWORD
	v_lshlrev_b64 v[72:73], 8, v[50:51]
	v_alignbit_b32 v21, v49, v48, 8
	v_alignbit_b32 v69, v49, v48, 16
	;; [unrolled: 1-line block ×3, first 2 shown]
	v_mov_b32_e32 v20, v49
	v_or_b32_sdwa v36, v49, v72 dst_sel:DWORD dst_unused:UNUSED_PAD src0_sel:BYTE_3 src1_sel:DWORD
	v_cmp_eq_u16_sdwa s[54:55], v51, v13 src0_sel:BYTE_0 src1_sel:DWORD
	s_and_saveexec_b64 s[50:51], s[54:55]
	s_cbranch_execz .LBB1986_198
; %bb.195:                              ;   in Loop: Header=BB1986_193 Depth=1
	s_mov_b64 s[54:55], 0
.LBB1986_196:                           ;   Parent Loop BB1986_193 Depth=1
                                        ; =>  This Inner Loop Header: Depth=2
	;;#ASMSTART
	global_load_dwordx4 v[48:51], v[28:29] off sc1	
s_waitcnt vmcnt(0)
	;;#ASMEND
	s_nop 0
	v_cmp_ne_u16_sdwa s[60:61], v51, v13 src0_sel:BYTE_0 src1_sel:DWORD
	s_or_b64 s[54:55], s[60:61], s[54:55]
	s_andn2_b64 exec, exec, s[54:55]
	s_cbranch_execnz .LBB1986_196
; %bb.197:                              ;   in Loop: Header=BB1986_193 Depth=1
	s_or_b64 exec, exec, s[54:55]
	v_lshlrev_b64 v[28:29], 24, v[50:51]
	v_lshrrev_b32_e32 v1, 8, v49
	v_or_b32_e32 v24, v1, v28
	v_lshlrev_b64 v[28:29], 16, v[50:51]
	v_or_b32_sdwa v32, v49, v28 dst_sel:DWORD dst_unused:UNUSED_PAD src0_sel:WORD_1 src1_sel:DWORD
	v_lshlrev_b64 v[28:29], 8, v[50:51]
	v_alignbit_b32 v21, v49, v48, 8
	v_alignbit_b32 v69, v49, v48, 16
	;; [unrolled: 1-line block ×3, first 2 shown]
	v_mov_b32_e32 v20, v49
	v_or_b32_sdwa v36, v49, v28 dst_sel:DWORD dst_unused:UNUSED_PAD src0_sel:BYTE_3 src1_sel:DWORD
.LBB1986_198:                           ;   in Loop: Header=BB1986_193 Depth=1
	s_or_b64 exec, exec, s[50:51]
	v_lshlrev_b32_e32 v28, 16, v32
	v_lshlrev_b32_e32 v1, 24, v36
	v_and_b32_e32 v28, 0xff0000, v28
	v_lshlrev_b32_e32 v24, 8, v24
	v_or_b32_e32 v1, v28, v1
	v_and_b32_e32 v24, 0xff00, v24
	v_and_b32_e32 v20, 0xff, v20
	v_or3_b32 v1, v1, v24, v20
	v_lshlrev_b32_e32 v20, 16, v69
	v_lshlrev_b32_e32 v21, 8, v21
	v_perm_b32 v20, v70, v20, s58
	v_perm_b32 v21, v21, v48, s59
	v_cmp_eq_u16_sdwa s[50:51], v51, v68 src0_sel:BYTE_0 src1_sel:DWORD
	v_or_b32_e32 v20, v21, v20
	v_and_b32_e32 v24, 0xff, v50
	v_and_b32_e32 v21, s51, v17
	v_or_b32_e32 v21, 0x80000000, v21
	ds_bpermute_b32 v32, v25, v20
	ds_bpermute_b32 v29, v25, v1
	;; [unrolled: 1-line block ×3, first 2 shown]
	v_and_b32_e32 v36, s50, v16
	v_ffbl_b32_e32 v21, v21
	v_add_u32_e32 v21, 32, v21
	v_ffbl_b32_e32 v36, v36
	v_min_u32_e32 v21, v36, v21
	v_cmp_lt_u32_e32 vcc, v9, v21
	s_and_saveexec_b64 s[50:51], vcc
	s_cbranch_execz .LBB1986_200
; %bb.199:                              ;   in Loop: Header=BB1986_193 Depth=1
	v_cmp_eq_u16_sdwa vcc, v50, v13 src0_sel:BYTE_0 src1_sel:DWORD
	s_waitcnt lgkmcnt(2)
	s_nop 0
	v_cndmask_b32_e32 v24, 0, v32, vcc
	v_add_u32_e32 v20, v24, v20
	s_waitcnt lgkmcnt(1)
	v_cndmask_b32_e32 v24, 0, v29, vcc
	v_add_u32_e32 v1, v24, v1
	s_waitcnt lgkmcnt(0)
	v_or_b32_e32 v24, v28, v50
	v_and_b32_e32 v24, 1, v24
	v_mov_b32_e32 v50, v24
.LBB1986_200:                           ;   in Loop: Header=BB1986_193 Depth=1
	s_or_b64 exec, exec, s[50:51]
	s_waitcnt lgkmcnt(1)
	ds_bpermute_b32 v29, v55, v20
	ds_bpermute_b32 v32, v55, v1
	s_waitcnt lgkmcnt(2)
	ds_bpermute_b32 v28, v55, v24
	v_cmp_le_u32_e32 vcc, v56, v21
	s_and_saveexec_b64 s[50:51], vcc
	s_cbranch_execz .LBB1986_202
; %bb.201:                              ;   in Loop: Header=BB1986_193 Depth=1
	s_waitcnt lgkmcnt(2)
	v_add_u32_e32 v24, v29, v20
	v_cmp_eq_u16_sdwa vcc, v50, v13 src0_sel:BYTE_0 src1_sel:DWORD
	s_waitcnt lgkmcnt(1)
	v_add_u32_e32 v29, v32, v1
	v_cndmask_b32_e32 v20, v20, v24, vcc
	s_waitcnt lgkmcnt(0)
	v_or_b32_e32 v24, v28, v50
	v_and_b32_e32 v24, 1, v24
	v_cndmask_b32_e32 v1, v1, v29, vcc
	v_mov_b32_e32 v50, v24
.LBB1986_202:                           ;   in Loop: Header=BB1986_193 Depth=1
	s_or_b64 exec, exec, s[50:51]
	s_waitcnt lgkmcnt(2)
	ds_bpermute_b32 v29, v57, v20
	s_waitcnt lgkmcnt(2)
	ds_bpermute_b32 v32, v57, v1
	s_waitcnt lgkmcnt(2)
	ds_bpermute_b32 v28, v57, v24
	v_cmp_le_u32_e32 vcc, v58, v21
	s_and_saveexec_b64 s[50:51], vcc
	s_cbranch_execz .LBB1986_204
; %bb.203:                              ;   in Loop: Header=BB1986_193 Depth=1
	s_waitcnt lgkmcnt(2)
	v_add_u32_e32 v24, v29, v20
	v_cmp_eq_u16_sdwa vcc, v50, v13 src0_sel:BYTE_0 src1_sel:DWORD
	s_waitcnt lgkmcnt(1)
	v_add_u32_e32 v29, v32, v1
	v_cndmask_b32_e32 v20, v20, v24, vcc
	s_waitcnt lgkmcnt(0)
	v_or_b32_e32 v24, v28, v50
	v_and_b32_e32 v24, 1, v24
	v_cndmask_b32_e32 v1, v1, v29, vcc
	v_mov_b32_e32 v50, v24
.LBB1986_204:                           ;   in Loop: Header=BB1986_193 Depth=1
	s_or_b64 exec, exec, s[50:51]
	s_waitcnt lgkmcnt(2)
	ds_bpermute_b32 v29, v59, v20
	s_waitcnt lgkmcnt(2)
	;; [unrolled: 23-line block ×3, first 2 shown]
	ds_bpermute_b32 v32, v61, v1
	s_waitcnt lgkmcnt(2)
	ds_bpermute_b32 v28, v61, v24
	v_cmp_le_u32_e32 vcc, v62, v21
	s_and_saveexec_b64 s[50:51], vcc
	s_cbranch_execz .LBB1986_192
; %bb.207:                              ;   in Loop: Header=BB1986_193 Depth=1
	s_waitcnt lgkmcnt(2)
	v_add_u32_e32 v24, v29, v20
	v_cmp_eq_u16_sdwa vcc, v50, v13 src0_sel:BYTE_0 src1_sel:DWORD
	s_waitcnt lgkmcnt(1)
	v_add_u32_e32 v29, v32, v1
	v_cndmask_b32_e32 v20, v20, v24, vcc
	s_waitcnt lgkmcnt(0)
	v_or_b32_e32 v24, v28, v50
	v_and_b32_e32 v24, 1, v24
	v_cndmask_b32_e32 v1, v1, v29, vcc
	v_mov_b32_e32 v50, v24
	s_branch .LBB1986_192
.LBB1986_208:                           ;   in Loop: Header=BB1986_193 Depth=1
                                        ; implicit-def: $vgpr24
                                        ; implicit-def: $vgpr1
                                        ; implicit-def: $vgpr51
                                        ; implicit-def: $vgpr20_vgpr21
	s_cbranch_execz .LBB1986_193
; %bb.209:
	s_and_saveexec_b64 s[50:51], s[48:49]
	s_cbranch_execz .LBB1986_211
; %bb.210:
	v_mov_b32_e32 v1, 0
	v_cmp_eq_u16_sdwa vcc, v54, v1 src0_sel:BYTE_0 src1_sel:DWORD
	s_mov_b32 s55, 0
	v_or_b32_e32 v9, v54, v63
	v_cndmask_b32_e32 v1, 0, v66, vcc
	v_add_u32_e32 v1, v1, v8
	v_cndmask_b32_e32 v8, 0, v64, vcc
	s_add_i32 s54, s99, 64
	v_add_u32_e32 v8, s56, v8
	v_and_b32_e32 v9, 1, v9
	s_lshl_b64 s[54:55], s[54:55], 4
	s_add_u32 s54, s96, s54
	v_cmp_eq_u32_e32 vcc, 1, v9
	v_and_b32_e32 v9, 0xff000000, v8
	v_and_b32_e32 v12, 0xff0000, v8
	s_addc_u32 s55, s97, s55
	v_and_b32_e32 v13, 0xff00, v8
	v_and_b32_e32 v8, 0xff, v8
	v_or_b32_e32 v9, v9, v12
	v_cndmask_b32_e64 v50, 0, 1, vcc
	v_or3_b32 v49, v9, v13, v8
	v_or3_b32 v48, 0, 0, v1
	v_mov_b32_e32 v51, 2
	v_mov_b64_e32 v[8:9], s[54:55]
	;;#ASMSTART
	global_store_dwordx4 v[8:9], v[48:51] off sc1	
s_waitcnt vmcnt(0)
	;;#ASMEND
.LBB1986_211:
	s_or_b64 exec, exec, s[50:51]
	s_and_b64 exec, exec, s[2:3]
	s_cbranch_execz .LBB1986_213
; %bb.212:
	v_mov_b32_e32 v1, 0
	ds_write2_b32 v1, v66, v64 offset0:9 offset1:10
	ds_write_b8 v1, v63 offset:44
.LBB1986_213:
	s_or_b64 exec, exec, s[52:53]
	v_mov_b32_e32 v1, 0
	s_waitcnt lgkmcnt(0)
	s_barrier
	ds_read2_b32 v[8:9], v1 offset0:9 offset1:10
	v_mov_b32_e32 v12, v3
	v_mov_b32_e32 v13, v2
	;; [unrolled: 1-line block ×3, first 2 shown]
	s_and_saveexec_b64 s[50:51], s[4:5]
	s_cbranch_execz .LBB1986_215
; %bb.214:
	v_cndmask_b32_e64 v4, v45, v4, s[48:49]
	v_cmp_eq_u16_sdwa vcc, v104, v1 src0_sel:BYTE_0 src1_sel:DWORD
	v_cndmask_b32_e64 v5, v53, v5, s[48:49]
	v_and_b32_e32 v12, 0xff, v44
	v_cndmask_b32_e32 v4, 0, v4, vcc
	v_add_u32_e32 v13, v4, v2
	v_cndmask_b32_e32 v4, 0, v5, vcc
	v_cndmask_b32_e64 v16, v52, v12, s[48:49]
	v_add_u32_e32 v12, v4, v3
	v_and_b32_e32 v4, 1, v104
	v_cmp_eq_u32_e32 vcc, 1, v4
	v_and_b32_e32 v4, 1, v16
	v_cmp_eq_u32_e64 s[48:49], 1, v4
	s_or_b64 s[48:49], vcc, s[48:49]
	s_nop 0
	v_cndmask_b32_e64 v16, 0, 1, s[48:49]
.LBB1986_215:
	s_or_b64 exec, exec, s[50:51]
	v_cmp_eq_u16_sdwa vcc, v16, v1 src0_sel:BYTE_0 src1_sel:DWORD
	s_waitcnt lgkmcnt(0)
	s_nop 0
	v_cndmask_b32_e32 v1, 0, v8, vcc
	v_add_u32_e32 v82, v1, v13
	v_cndmask_b32_e32 v1, 0, v9, vcc
	v_add_u32_e32 v83, v1, v12
	v_cndmask_b32_e64 v1, 0, v82, s[6:7]
	v_add_u32_e32 v44, v1, v6
	v_cndmask_b32_e64 v1, 0, v83, s[6:7]
	;; [unrolled: 2-line block ×39, first 2 shown]
	v_cndmask_b32_e64 v12, 0, v103, s[46:47]
	s_branch .LBB1986_252
.LBB1986_216:
                                        ; implicit-def: $vgpr80_vgpr81_vgpr82_vgpr83
                                        ; kill: def $vgpr1 killed $sgpr0 killed $exec
                                        ; implicit-def: $vgpr12
                                        ; implicit-def: $vgpr5
                                        ; implicit-def: $vgpr103
                                        ; implicit-def: $vgpr101
                                        ; implicit-def: $vgpr99
                                        ; implicit-def: $vgpr97
                                        ; implicit-def: $vgpr95
                                        ; implicit-def: $vgpr93
                                        ; implicit-def: $vgpr91
                                        ; implicit-def: $vgpr89
                                        ; implicit-def: $vgpr87
                                        ; implicit-def: $vgpr45
                                        ; implicit-def: $vgpr76_vgpr77_vgpr78_vgpr79
                                        ; implicit-def: $vgpr72_vgpr73_vgpr74_vgpr75
                                        ; implicit-def: $vgpr68_vgpr69_vgpr70_vgpr71
                                        ; implicit-def: $vgpr64_vgpr65_vgpr66_vgpr67
                                        ; implicit-def: $vgpr60_vgpr61_vgpr62_vgpr63
                                        ; implicit-def: $vgpr56_vgpr57_vgpr58_vgpr59
                                        ; implicit-def: $vgpr52_vgpr53_vgpr54_vgpr55
                                        ; implicit-def: $vgpr48_vgpr49_vgpr50_vgpr51
                                        ; implicit-def: $vgpr82_vgpr83_vgpr84_vgpr85
	s_mov_b64 s[66:67], s[94:95]
	s_cbranch_execz .LBB1986_252
; %bb.217:
	s_cmp_lg_u64 s[66:67], 0
	s_cselect_b32 s7, s91, 0
	s_cselect_b32 s6, s90, 0
	s_cmp_lg_u64 s[6:7], 0
	s_cselect_b64 s[8:9], -1, 0
	s_and_b64 s[10:11], s[2:3], s[8:9]
	s_and_saveexec_b64 s[8:9], s[10:11]
	s_cbranch_execz .LBB1986_221
; %bb.218:
	v_mov_b32_e32 v1, 0
	v_cmp_eq_u16_sdwa s[12:13], v104, v1 src0_sel:BYTE_0 src1_sel:DWORD
	s_and_saveexec_b64 s[10:11], s[12:13]
	s_cbranch_execz .LBB1986_220
; %bb.219:
	global_load_dwordx2 v[4:5], v1, s[6:7]
	s_waitcnt vmcnt(0)
	v_add_u32_e32 v2, v4, v2
	v_add_u32_e32 v3, v5, v3
.LBB1986_220:
	s_or_b64 exec, exec, s[10:11]
	global_load_ubyte v1, v1, s[6:7] offset:8
	s_waitcnt vmcnt(0)
	v_or_b32_e32 v1, v104, v1
	v_and_b32_e32 v104, 1, v1
.LBB1986_221:
	s_or_b64 exec, exec, s[8:9]
	v_mov_b32_e32 v1, 0
	v_cmp_eq_u16_sdwa vcc, v123, v1 src0_sel:BYTE_0 src1_sel:DWORD
	v_cmp_eq_u16_sdwa s[6:7], v135, v1 src0_sel:BYTE_0 src1_sel:DWORD
	s_movk_i32 s40, 0xff
	v_cndmask_b32_e32 v4, 0, v2, vcc
	v_add_u32_e32 v44, v4, v6
	v_cndmask_b32_e32 v4, 0, v3, vcc
	v_add_u32_e32 v45, v4, v7
	v_cndmask_b32_e64 v4, 0, v44, s[6:7]
	v_add_u32_e32 v48, v4, v127
	v_cndmask_b32_e64 v4, 0, v45, s[6:7]
	v_add_u32_e32 v49, v4, v126
	v_and_b32_sdwa v4, v123, s40 dst_sel:DWORD dst_unused:UNUSED_PAD src0_sel:WORD_1 src1_sel:DWORD
	v_cmp_eq_u16_e64 s[8:9], 0, v4
	v_cmp_eq_u16_sdwa s[10:11], v123, v1 src0_sel:BYTE_3 src1_sel:DWORD
	v_cmp_eq_u16_sdwa s[12:13], v106, v1 src0_sel:BYTE_0 src1_sel:DWORD
	v_cndmask_b32_e64 v4, 0, v48, s[8:9]
	v_add_u32_e32 v86, v4, v10
	v_cndmask_b32_e64 v4, 0, v49, s[8:9]
	v_add_u32_e32 v87, v4, v11
	;; [unrolled: 2-line block ×5, first 2 shown]
	v_cndmask_b32_e64 v4, 0, v53, s[12:13]
	v_cmp_eq_u16_sdwa s[14:15], v116, v1 src0_sel:BYTE_0 src1_sel:DWORD
	v_add_u32_e32 v89, v4, v15
	v_cmp_eq_u16_sdwa s[16:17], v134, v1 src0_sel:BYTE_0 src1_sel:DWORD
	v_cndmask_b32_e64 v4, 0, v88, s[14:15]
	v_add_u32_e32 v56, v4, v122
	v_cndmask_b32_e64 v4, 0, v89, s[14:15]
	v_add_u32_e32 v57, v4, v121
	;; [unrolled: 2-line block ×4, first 2 shown]
	v_and_b32_sdwa v4, v116, s40 dst_sel:DWORD dst_unused:UNUSED_PAD src0_sel:WORD_1 src1_sel:DWORD
	v_cmp_eq_u16_e64 s[18:19], 0, v4
	v_cmp_eq_u16_sdwa s[20:21], v116, v1 src0_sel:BYTE_3 src1_sel:DWORD
	v_cmp_eq_u16_sdwa s[22:23], v107, v1 src0_sel:BYTE_0 src1_sel:DWORD
	v_cndmask_b32_e64 v4, 0, v90, s[18:19]
	v_add_u32_e32 v60, v4, v120
	v_cndmask_b32_e64 v4, 0, v91, s[18:19]
	v_add_u32_e32 v61, v4, v119
	;; [unrolled: 2-line block ×5, first 2 shown]
	v_cndmask_b32_e64 v4, 0, v93, s[22:23]
	v_cmp_eq_u16_sdwa s[24:25], v111, v1 src0_sel:BYTE_0 src1_sel:DWORD
	v_add_u32_e32 v65, v4, v117
	v_cmp_eq_u16_sdwa s[26:27], v133, v1 src0_sel:BYTE_0 src1_sel:DWORD
	v_cndmask_b32_e64 v4, 0, v64, s[24:25]
	v_add_u32_e32 v94, v4, v30
	v_cndmask_b32_e64 v4, 0, v65, s[24:25]
	v_add_u32_e32 v95, v4, v31
	;; [unrolled: 2-line block ×4, first 2 shown]
	v_and_b32_sdwa v4, v111, s40 dst_sel:DWORD dst_unused:UNUSED_PAD src0_sel:WORD_1 src1_sel:DWORD
	v_cmp_eq_u16_e64 s[28:29], 0, v4
	v_cmp_eq_u16_sdwa s[30:31], v111, v1 src0_sel:BYTE_3 src1_sel:DWORD
	v_cmp_eq_u16_sdwa s[34:35], v105, v1 src0_sel:BYTE_0 src1_sel:DWORD
	v_cndmask_b32_e64 v4, 0, v68, s[28:29]
	v_add_u32_e32 v96, v4, v38
	v_cndmask_b32_e64 v4, 0, v69, s[28:29]
	v_add_u32_e32 v97, v4, v39
	v_cndmask_b32_e64 v4, 0, v96, s[30:31]
	v_add_u32_e32 v72, v4, v113
	v_cndmask_b32_e64 v4, 0, v97, s[30:31]
	v_add_u32_e32 v73, v4, v112
	v_cndmask_b32_e64 v4, 0, v72, s[34:35]
	v_or_b32_e32 v9, v108, v111
	v_add_u32_e32 v98, v4, v42
	v_cndmask_b32_e64 v4, 0, v73, s[34:35]
	v_cmp_eq_u16_sdwa s[36:37], v108, v1 src0_sel:BYTE_0 src1_sel:DWORD
	v_or3_b32 v9, v9, v116, v123
	v_add_u32_e32 v99, v4, v43
	v_cndmask_b32_e64 v4, 0, v98, s[36:37]
	v_lshrrev_b16_e32 v16, 7, v9
	v_add_u32_e32 v76, v4, v110
	v_cndmask_b32_e64 v4, 0, v99, s[36:37]
	v_cmp_eq_u16_sdwa s[38:39], v132, v1 src0_sel:BYTE_0 src1_sel:DWORD
	v_and_b32_e32 v13, 1, v9
	v_and_b32_e32 v16, 2, v16
	v_add_u32_e32 v77, v4, v109
	v_cndmask_b32_e64 v4, 0, v76, s[38:39]
	v_or_b32_e32 v13, v13, v16
	v_lshrrev_b32_e32 v16, 23, v9
	v_mov_b32_e32 v17, 1
	v_add_u32_e32 v100, v4, v46
	v_cndmask_b32_e64 v4, 0, v77, s[38:39]
	v_and_b32_e32 v16, 2, v16
	v_and_b32_sdwa v9, v9, v17 dst_sel:DWORD dst_unused:UNUSED_PAD src0_sel:WORD_1 src1_sel:DWORD
	v_add_u32_e32 v101, v4, v47
	v_and_b32_sdwa v4, v108, s40 dst_sel:DWORD dst_unused:UNUSED_PAD src0_sel:WORD_1 src1_sel:DWORD
	v_or_b32_e32 v9, v9, v16
	v_cmp_eq_u16_e64 s[40:41], 0, v4
	v_lshlrev_b16_e32 v9, 2, v9
	v_or_b32_e32 v9, v13, v9
	v_cndmask_b32_e64 v4, 0, v100, s[40:41]
	v_add_u32_e32 v80, v4, v34
	v_cndmask_b32_e64 v4, 0, v101, s[40:41]
	v_cmp_eq_u16_sdwa s[42:43], v108, v1 src0_sel:BYTE_3 src1_sel:DWORD
	v_cmp_eq_u32_e64 s[52:53], 1, v131
	v_cmp_ne_u16_e64 s[54:55], 0, v9
	v_add_u32_e32 v81, v4, v35
	v_cndmask_b32_e64 v4, 0, v80, s[42:43]
	v_cmp_eq_u32_e64 s[50:51], 1, v130
	s_or_b64 s[52:53], s[54:55], s[52:53]
	v_add_u32_e32 v102, v4, v26
	v_cndmask_b32_e64 v4, 0, v81, s[42:43]
	v_cmp_eq_u32_e64 s[48:49], 1, v129
	s_or_b64 s[50:51], s[52:53], s[50:51]
	v_add_u32_e32 v103, v4, v27
	v_cmp_eq_u16_sdwa s[44:45], v41, v1 src0_sel:BYTE_0 src1_sel:DWORD
	v_cmp_eq_u32_e64 s[46:47], 1, v128
	s_or_b64 s[48:49], s[50:51], s[48:49]
	v_cndmask_b32_e64 v5, 0, v102, s[44:45]
	v_cndmask_b32_e64 v12, 0, v103, s[44:45]
	v_and_b32_e32 v8, 0xff, v104
	s_or_b64 s[46:47], s[48:49], s[46:47]
	v_mbcnt_hi_u32_b32 v13, -1, v37
	v_add_u32_e32 v4, v5, v33
	v_add_u32_e32 v1, v12, v40
	v_cndmask_b32_e64 v16, v8, 1, s[46:47]
	v_and_b32_e32 v8, 15, v13
	v_mov_b32_dpp v9, v4 row_shr:1 row_mask:0xf bank_mask:0xf
	v_mov_b32_dpp v17, v1 row_shr:1 row_mask:0xf bank_mask:0xf
	;; [unrolled: 1-line block ×3, first 2 shown]
	v_cmp_ne_u32_e64 s[46:47], 0, v8
	s_and_saveexec_b64 s[48:49], s[46:47]
; %bb.222:
	v_cmp_eq_u32_e64 s[46:47], 0, v16
	v_and_or_b32 v16, v20, 1, v16
	s_nop 0
	v_cndmask_b32_e64 v9, 0, v9, s[46:47]
	v_add_u32_e32 v4, v4, v9
	v_cndmask_b32_e64 v9, 0, v17, s[46:47]
	v_add_u32_e32 v1, v1, v9
; %bb.223:
	s_or_b64 exec, exec, s[48:49]
	v_mov_b32_dpp v17, v4 row_shr:2 row_mask:0xf bank_mask:0xf
	v_mov_b32_dpp v20, v1 row_shr:2 row_mask:0xf bank_mask:0xf
	;; [unrolled: 1-line block ×3, first 2 shown]
	v_cmp_lt_u32_e64 s[46:47], 1, v8
	s_and_saveexec_b64 s[48:49], s[46:47]
; %bb.224:
	v_add_u32_e32 v17, v17, v4
	v_add_u32_e32 v20, v20, v1
	v_cmp_eq_u32_e64 s[46:47], 0, v16
	v_or_b32_e32 v9, v9, v16
	v_and_b32_e32 v16, 1, v9
	v_cndmask_b32_e64 v4, v4, v17, s[46:47]
	v_cndmask_b32_e64 v1, v1, v20, s[46:47]
; %bb.225:
	s_or_b64 exec, exec, s[48:49]
	v_mov_b32_dpp v17, v4 row_shr:4 row_mask:0xf bank_mask:0xf
	v_mov_b32_dpp v20, v1 row_shr:4 row_mask:0xf bank_mask:0xf
	;; [unrolled: 1-line block ×3, first 2 shown]
	v_cmp_lt_u32_e64 s[46:47], 3, v8
	s_and_saveexec_b64 s[48:49], s[46:47]
; %bb.226:
	v_add_u32_e32 v17, v17, v4
	v_add_u32_e32 v20, v20, v1
	v_cmp_eq_u32_e64 s[46:47], 0, v16
	v_or_b32_e32 v9, v9, v16
	v_and_b32_e32 v16, 1, v9
	v_cndmask_b32_e64 v4, v4, v17, s[46:47]
	v_cndmask_b32_e64 v1, v1, v20, s[46:47]
; %bb.227:
	s_or_b64 exec, exec, s[48:49]
	v_mov_b32_dpp v17, v4 row_shr:8 row_mask:0xf bank_mask:0xf
	v_mov_b32_dpp v20, v1 row_shr:8 row_mask:0xf bank_mask:0xf
	;; [unrolled: 1-line block ×3, first 2 shown]
	v_cmp_lt_u32_e64 s[46:47], 7, v8
	s_and_saveexec_b64 s[48:49], s[46:47]
; %bb.228:
	v_add_u32_e32 v8, v17, v4
	v_cmp_eq_u32_e64 s[46:47], 0, v16
	v_add_u32_e32 v17, v20, v1
	s_nop 0
	v_cndmask_b32_e64 v4, v4, v8, s[46:47]
	v_or_b32_e32 v8, v9, v16
	v_cndmask_b32_e64 v1, v1, v17, s[46:47]
	v_and_b32_e32 v16, 1, v8
; %bb.229:
	s_or_b64 exec, exec, s[48:49]
	v_and_b32_e32 v20, 16, v13
	v_mov_b32_dpp v9, v4 row_bcast:15 row_mask:0xf bank_mask:0xf
	v_mov_b32_dpp v17, v1 row_bcast:15 row_mask:0xf bank_mask:0xf
	;; [unrolled: 1-line block ×3, first 2 shown]
	v_cmp_ne_u32_e64 s[46:47], 0, v20
	s_and_saveexec_b64 s[48:49], s[46:47]
; %bb.230:
	v_add_u32_e32 v9, v9, v4
	v_add_u32_e32 v17, v17, v1
	v_cmp_eq_u32_e64 s[46:47], 0, v16
	v_or_b32_e32 v8, v8, v16
	v_and_b32_e32 v16, 1, v8
	v_cndmask_b32_e64 v4, v4, v9, s[46:47]
	v_cndmask_b32_e64 v1, v1, v17, s[46:47]
; %bb.231:
	s_or_b64 exec, exec, s[48:49]
	v_mov_b32_dpp v17, v4 row_bcast:31 row_mask:0xf bank_mask:0xf
	v_mov_b32_dpp v20, v1 row_bcast:31 row_mask:0xf bank_mask:0xf
	;; [unrolled: 1-line block ×3, first 2 shown]
	v_cmp_lt_u32_e64 s[46:47], 31, v13
	v_mov_b32_e32 v8, v16
	s_and_saveexec_b64 s[48:49], s[46:47]
; %bb.232:
	v_add_u32_e32 v8, v17, v4
	v_add_u32_e32 v17, v20, v1
	v_cmp_eq_u32_e64 s[46:47], 0, v16
	v_or_b32_e32 v9, v9, v16
	v_and_b32_e32 v16, 1, v9
	v_cndmask_b32_e64 v4, v4, v8, s[46:47]
	v_cndmask_b32_e64 v1, v1, v17, s[46:47]
	v_and_b32_e32 v8, 1, v9
; %bb.233:
	s_or_b64 exec, exec, s[48:49]
	v_or_b32_e32 v9, 63, v0
	v_lshrrev_b32_e32 v17, 6, v0
	v_cmp_eq_u32_e64 s[46:47], v9, v0
	s_and_saveexec_b64 s[48:49], s[46:47]
	s_cbranch_execz .LBB1986_235
; %bb.234:
	v_mul_u32_u24_e32 v9, 12, v17
	ds_write2_b32 v9, v4, v1 offset1:1
	ds_write_b8 v9, v8 offset:8
.LBB1986_235:
	s_or_b64 exec, exec, s[48:49]
	v_cmp_gt_u32_e64 s[46:47], 4, v0
	s_waitcnt lgkmcnt(0)
	s_barrier
	s_and_saveexec_b64 s[48:49], s[46:47]
	s_cbranch_execz .LBB1986_241
; %bb.236:
	v_mul_u32_u24_e32 v20, 12, v0
	ds_read2_b32 v[8:9], v20 offset1:1
	ds_read_b32 v21, v20 offset:8
	v_and_b32_e32 v24, 3, v13
	v_cmp_ne_u32_e64 s[46:47], 0, v24
	s_waitcnt lgkmcnt(1)
	v_mov_b32_dpp v32, v8 row_shr:1 row_mask:0xf bank_mask:0xf
	v_mov_b32_dpp v28, v9 row_shr:1 row_mask:0xf bank_mask:0xf
	s_waitcnt lgkmcnt(0)
	v_mov_b32_dpp v29, v21 row_shr:1 row_mask:0xf bank_mask:0xf
	v_mov_b32_e32 v25, v21
	s_and_saveexec_b64 s[50:51], s[46:47]
; %bb.237:
	v_mov_b32_e32 v25, 0
	v_cmp_eq_u16_sdwa s[46:47], v21, v25 src0_sel:BYTE_0 src1_sel:DWORD
	s_nop 1
	v_cndmask_b32_e64 v25, 0, v32, s[46:47]
	v_add_u32_e32 v8, v25, v8
	v_cndmask_b32_e64 v25, 0, v28, s[46:47]
	v_add_u32_e32 v9, v25, v9
	v_or_b32_e32 v25, v29, v21
	v_and_b32_e32 v25, 1, v25
	s_movk_i32 s46, 0xff00
	v_and_or_b32 v21, v21, s46, v25
; %bb.238:
	s_or_b64 exec, exec, s[50:51]
	v_mov_b32_dpp v29, v8 row_shr:2 row_mask:0xf bank_mask:0xf
	v_mov_b32_dpp v32, v9 row_shr:2 row_mask:0xf bank_mask:0xf
	;; [unrolled: 1-line block ×3, first 2 shown]
	v_cmp_lt_u32_e64 s[46:47], 1, v24
	s_and_saveexec_b64 s[50:51], s[46:47]
; %bb.239:
	v_mov_b32_e32 v21, 0
	v_add_u32_e32 v24, v29, v8
	v_add_u32_e32 v29, v32, v9
	v_cmp_eq_u16_sdwa s[46:47], v25, v21 src0_sel:BYTE_0 src1_sel:DWORD
	v_or_b32_e32 v21, v28, v25
	v_and_b32_e32 v21, 1, v21
	v_cndmask_b32_e64 v8, v8, v24, s[46:47]
	v_cndmask_b32_e64 v9, v9, v29, s[46:47]
; %bb.240:
	s_or_b64 exec, exec, s[50:51]
	ds_write2_b32 v20, v8, v9 offset1:1
	ds_write_b8 v20, v21 offset:8
.LBB1986_241:
	s_or_b64 exec, exec, s[48:49]
	v_cmp_lt_u32_e64 s[46:47], 63, v0
	s_waitcnt lgkmcnt(0)
	s_barrier
	s_waitcnt lgkmcnt(0)
                                        ; implicit-def: $vgpr8_vgpr9
	s_and_saveexec_b64 s[48:49], s[46:47]
	s_xor_b64 s[48:49], exec, s[48:49]
	s_cbranch_execz .LBB1986_245
; %bb.242:
	v_mad_u32_u24 v8, v17, 12, -12
	ds_read2_b32 v[8:9], v8 offset1:1
	v_cmp_ne_u32_e64 s[46:47], 0, v16
                                        ; kill: def $vgpr16_vgpr17 killed $sgpr0_sgpr1 killed $exec
                                        ; kill: def $vgpr16 killed $sgpr0 killed $exec
	s_and_saveexec_b64 s[50:51], s[46:47]
	s_xor_b64 s[46:47], exec, s[50:51]
	s_andn2_saveexec_b64 s[46:47], s[46:47]
	s_cbranch_execz .LBB1986_244
; %bb.243:
	s_waitcnt lgkmcnt(0)
	v_add_u32_e32 v4, v8, v4
	v_add_u32_e32 v1, v9, v1
.LBB1986_244:
	s_or_b64 exec, exec, s[46:47]
.LBB1986_245:
	s_andn2_saveexec_b64 s[46:47], s[48:49]
	s_cbranch_execz .LBB1986_247
; %bb.246:
	s_waitcnt lgkmcnt(0)
	v_mov_b64_e32 v[8:9], 0
.LBB1986_247:
	s_or_b64 exec, exec, s[46:47]
	v_add_u32_e32 v16, -1, v13
	v_and_b32_e32 v17, 64, v13
	v_cmp_lt_i32_e64 s[46:47], v16, v17
	s_nop 1
	v_cndmask_b32_e64 v16, v16, v13, s[46:47]
	v_lshlrev_b32_e32 v16, 2, v16
	ds_bpermute_b32 v4, v16, v4
	ds_bpermute_b32 v1, v16, v1
	s_and_saveexec_b64 s[46:47], s[4:5]
	s_cbranch_execz .LBB1986_249
; %bb.248:
	v_cmp_eq_u32_e64 s[4:5], 0, v13
	v_mov_b32_e32 v5, 0
	;;#ASMSTART
	;;#ASMEND
	s_waitcnt lgkmcnt(0)
	v_cndmask_b32_e64 v1, v1, v9, s[4:5]
	v_cndmask_b32_e64 v4, v4, v8, s[4:5]
	v_cmp_eq_u16_sdwa s[4:5], v104, v5 src0_sel:BYTE_0 src1_sel:DWORD
	s_nop 1
	v_cndmask_b32_e64 v4, 0, v4, s[4:5]
	v_add_u32_e32 v2, v4, v2
	v_cndmask_b32_e64 v1, 0, v1, s[4:5]
	v_add_u32_e32 v3, v1, v3
	v_cndmask_b32_e32 v1, 0, v2, vcc
	v_add_u32_e32 v44, v1, v6
	v_cndmask_b32_e32 v1, 0, v3, vcc
	v_add_u32_e32 v45, v1, v7
	v_cndmask_b32_e64 v1, 0, v44, s[6:7]
	v_add_u32_e32 v48, v1, v127
	v_cndmask_b32_e64 v1, 0, v45, s[6:7]
	;; [unrolled: 2-line block ×37, first 2 shown]
	v_cndmask_b32_e64 v12, 0, v103, s[44:45]
.LBB1986_249:
	s_or_b64 exec, exec, s[46:47]
	s_and_saveexec_b64 s[4:5], s[2:3]
	s_cbranch_execz .LBB1986_251
; %bb.250:
	s_waitcnt lgkmcnt(0)
	v_mov_b32_e32 v1, 0
	ds_read2_b32 v[6:7], v1 offset0:9 offset1:10
	ds_read_u8 v8, v1 offset:44
	s_add_u32 s2, s96, 0x400
	s_mov_b32 s6, 0
	s_addc_u32 s3, s97, 0
	s_waitcnt lgkmcnt(1)
	v_readfirstlane_b32 s12, v7
	s_bfe_u32 s8, s12, 0x80010
	s_and_b32 s7, s12, 0xff000000
	s_lshl_b32 s9, s8, 16
	s_mov_b32 s8, s6
	s_bfe_u32 s10, s12, 0x80008
	s_lshl_b32 s11, s10, 8
	s_mov_b32 s10, s6
	s_and_b32 s12, s12, 0xff
	s_or_b64 s[6:7], s[6:7], s[8:9]
	s_or_b64 s[6:7], s[6:7], s[10:11]
	v_mov_b32_e32 v1, s12
	v_or_b32_e32 v6, s6, v6
	v_or_b32_e32 v7, s7, v1
	v_mov_b32_e32 v9, 2
	v_mov_b64_e32 v[10:11], s[2:3]
	s_waitcnt lgkmcnt(0)
	;;#ASMSTART
	global_store_dwordx4 v[10:11], v[6:9] off sc1	
s_waitcnt vmcnt(0)
	;;#ASMEND
.LBB1986_251:
	s_or_b64 exec, exec, s[4:5]
	v_mov_b32_e32 v83, v3
	v_mov_b32_e32 v82, v2
.LBB1986_252:
	s_add_u32 s0, s86, s0
	s_addc_u32 s1, s87, s1
	s_add_u32 s0, s0, s92
	v_add_u32_e32 v43, v12, v40
	v_add_u32_e32 v42, v5, v33
	s_addc_u32 s1, s1, s93
	s_and_b64 vcc, exec, s[88:89]
	s_cbranch_vccz .LBB1986_334
; %bb.253:
	s_add_i32 s33, s33, s98
	s_waitcnt lgkmcnt(0)
	v_mul_u32_u24_e32 v1, 21, v0
	v_mov_b64_e32 v[8:9], 0
	v_cmp_gt_u32_e32 vcc, s33, v1
	v_mov_b64_e32 v[4:5], v[8:9]
	v_mov_b64_e32 v[2:3], v[8:9]
	;; [unrolled: 1-line block ×20, first 2 shown]
	s_and_saveexec_b64 s[2:3], vcc
	s_cbranch_execz .LBB1986_293
; %bb.254:
	v_add_u32_e32 v2, 1, v1
	v_mov_b64_e32 v[40:41], 0
	v_cmp_gt_u32_e32 vcc, s33, v2
	v_mov_b64_e32 v[38:39], v[40:41]
	v_mov_b64_e32 v[36:37], v[40:41]
	;; [unrolled: 1-line block ×19, first 2 shown]
	s_and_saveexec_b64 s[4:5], vcc
	s_cbranch_execz .LBB1986_292
; %bb.255:
	v_add_u32_e32 v2, 2, v1
	v_mov_b64_e32 v[38:39], 0
	v_cmp_gt_u32_e32 vcc, s33, v2
	v_mov_b64_e32 v[36:37], v[38:39]
	v_mov_b64_e32 v[34:35], v[38:39]
	;; [unrolled: 1-line block ×18, first 2 shown]
	s_and_saveexec_b64 s[6:7], vcc
	s_cbranch_execz .LBB1986_291
; %bb.256:
	v_add_u32_e32 v2, 3, v1
	v_mov_b64_e32 v[36:37], 0
	v_cmp_gt_u32_e32 vcc, s33, v2
	v_mov_b64_e32 v[34:35], v[36:37]
	v_mov_b64_e32 v[32:33], v[36:37]
	;; [unrolled: 1-line block ×17, first 2 shown]
	s_and_saveexec_b64 s[8:9], vcc
	s_cbranch_execz .LBB1986_290
; %bb.257:
	v_add_u32_e32 v2, 4, v1
	v_mov_b64_e32 v[34:35], 0
	v_cmp_gt_u32_e32 vcc, s33, v2
	v_mov_b64_e32 v[32:33], v[34:35]
	v_mov_b64_e32 v[30:31], v[34:35]
	;; [unrolled: 1-line block ×16, first 2 shown]
	s_and_saveexec_b64 s[10:11], vcc
	s_cbranch_execz .LBB1986_289
; %bb.258:
	v_add_u32_e32 v2, 5, v1
	v_mov_b64_e32 v[32:33], 0
	v_cmp_gt_u32_e32 vcc, s33, v2
	v_mov_b64_e32 v[30:31], v[32:33]
	v_mov_b64_e32 v[28:29], v[32:33]
	;; [unrolled: 1-line block ×15, first 2 shown]
	s_and_saveexec_b64 s[12:13], vcc
	s_cbranch_execz .LBB1986_288
; %bb.259:
	v_add_u32_e32 v2, 6, v1
	v_mov_b64_e32 v[30:31], 0
	v_cmp_gt_u32_e32 vcc, s33, v2
	v_mov_b64_e32 v[28:29], v[30:31]
	v_mov_b64_e32 v[26:27], v[30:31]
	;; [unrolled: 1-line block ×14, first 2 shown]
	s_and_saveexec_b64 s[14:15], vcc
	s_cbranch_execz .LBB1986_287
; %bb.260:
	v_add_u32_e32 v2, 7, v1
	v_mov_b64_e32 v[28:29], 0
	v_cmp_gt_u32_e32 vcc, s33, v2
	v_mov_b64_e32 v[26:27], v[28:29]
	v_mov_b64_e32 v[24:25], v[28:29]
	;; [unrolled: 1-line block ×13, first 2 shown]
	s_and_saveexec_b64 s[16:17], vcc
	s_cbranch_execz .LBB1986_286
; %bb.261:
	v_add_u32_e32 v2, 8, v1
	v_mov_b64_e32 v[26:27], 0
	v_cmp_gt_u32_e32 vcc, s33, v2
	v_mov_b64_e32 v[24:25], v[26:27]
	v_mov_b64_e32 v[22:23], v[26:27]
	;; [unrolled: 1-line block ×12, first 2 shown]
	s_and_saveexec_b64 s[18:19], vcc
	s_cbranch_execz .LBB1986_285
; %bb.262:
	v_add_u32_e32 v2, 9, v1
	v_mov_b64_e32 v[24:25], 0
	v_cmp_gt_u32_e32 vcc, s33, v2
	v_mov_b64_e32 v[22:23], v[24:25]
	v_mov_b64_e32 v[20:21], v[24:25]
	;; [unrolled: 1-line block ×11, first 2 shown]
	s_and_saveexec_b64 s[20:21], vcc
	s_cbranch_execz .LBB1986_284
; %bb.263:
	v_add_u32_e32 v2, 10, v1
	v_mov_b64_e32 v[22:23], 0
	v_cmp_gt_u32_e32 vcc, s33, v2
	v_mov_b64_e32 v[20:21], v[22:23]
	v_mov_b64_e32 v[18:19], v[22:23]
	;; [unrolled: 1-line block ×10, first 2 shown]
	s_and_saveexec_b64 s[22:23], vcc
	s_cbranch_execz .LBB1986_283
; %bb.264:
	v_add_u32_e32 v2, 11, v1
	v_mov_b64_e32 v[20:21], 0
	v_cmp_gt_u32_e32 vcc, s33, v2
	v_mov_b64_e32 v[18:19], v[20:21]
	v_mov_b64_e32 v[16:17], v[20:21]
	;; [unrolled: 1-line block ×9, first 2 shown]
	s_and_saveexec_b64 s[24:25], vcc
	s_cbranch_execz .LBB1986_282
; %bb.265:
	v_add_u32_e32 v2, 12, v1
	v_mov_b64_e32 v[18:19], 0
	v_cmp_gt_u32_e32 vcc, s33, v2
	v_mov_b64_e32 v[16:17], v[18:19]
	v_mov_b64_e32 v[14:15], v[18:19]
	v_mov_b64_e32 v[12:13], v[18:19]
	v_mov_b64_e32 v[10:11], v[18:19]
	v_mov_b64_e32 v[6:7], v[18:19]
	v_mov_b64_e32 v[2:3], v[18:19]
	v_mov_b64_e32 v[4:5], v[18:19]
	v_mov_b64_e32 v[8:9], v[18:19]
	s_and_saveexec_b64 s[26:27], vcc
	s_cbranch_execz .LBB1986_281
; %bb.266:
	v_add_u32_e32 v2, 13, v1
	v_mov_b64_e32 v[16:17], 0
	v_cmp_gt_u32_e32 vcc, s33, v2
	v_mov_b64_e32 v[14:15], v[16:17]
	v_mov_b64_e32 v[12:13], v[16:17]
	;; [unrolled: 1-line block ×7, first 2 shown]
	s_and_saveexec_b64 s[28:29], vcc
	s_cbranch_execz .LBB1986_280
; %bb.267:
	v_add_u32_e32 v2, 14, v1
	v_mov_b64_e32 v[14:15], 0
	v_cmp_gt_u32_e32 vcc, s33, v2
	v_mov_b64_e32 v[12:13], v[14:15]
	v_mov_b64_e32 v[10:11], v[14:15]
	;; [unrolled: 1-line block ×6, first 2 shown]
	s_and_saveexec_b64 s[30:31], vcc
	s_cbranch_execz .LBB1986_279
; %bb.268:
	v_add_u32_e32 v2, 15, v1
	v_mov_b64_e32 v[12:13], 0
	v_cmp_gt_u32_e32 vcc, s33, v2
	v_mov_b64_e32 v[10:11], v[12:13]
	v_mov_b64_e32 v[6:7], v[12:13]
	;; [unrolled: 1-line block ×5, first 2 shown]
	s_and_saveexec_b64 s[34:35], vcc
	s_cbranch_execz .LBB1986_278
; %bb.269:
	v_add_u32_e32 v2, 16, v1
	v_mov_b64_e32 v[10:11], 0
	v_cmp_gt_u32_e32 vcc, s33, v2
	v_mov_b64_e32 v[6:7], v[10:11]
	v_mov_b64_e32 v[2:3], v[10:11]
	;; [unrolled: 1-line block ×4, first 2 shown]
	s_and_saveexec_b64 s[36:37], vcc
	s_cbranch_execz .LBB1986_277
; %bb.270:
	v_add_u32_e32 v2, 17, v1
	v_mov_b64_e32 v[6:7], 0
	v_cmp_gt_u32_e32 vcc, s33, v2
	v_mov_b64_e32 v[2:3], v[6:7]
	v_mov_b64_e32 v[4:5], v[6:7]
	v_mov_b64_e32 v[8:9], v[6:7]
	s_and_saveexec_b64 s[38:39], vcc
	s_cbranch_execz .LBB1986_276
; %bb.271:
	v_add_u32_e32 v2, 18, v1
	v_cmp_gt_u32_e32 vcc, s33, v2
	v_mov_b64_e32 v[2:3], 0
	v_mov_b64_e32 v[4:5], v[2:3]
	;; [unrolled: 1-line block ×3, first 2 shown]
	s_and_saveexec_b64 s[40:41], vcc
	s_cbranch_execz .LBB1986_275
; %bb.272:
	v_add_u32_e32 v2, 19, v1
	v_mov_b64_e32 v[4:5], 0
	v_cmp_gt_u32_e32 vcc, s33, v2
	v_mov_b64_e32 v[8:9], v[4:5]
	s_and_saveexec_b64 s[42:43], vcc
; %bb.273:
	v_add_u32_e32 v2, 20, v1
	v_cmp_gt_u32_e32 vcc, s33, v2
	v_mov_b64_e32 v[4:5], v[102:103]
	s_nop 0
	v_cndmask_b32_e32 v9, 0, v43, vcc
	v_cndmask_b32_e32 v8, 0, v42, vcc
; %bb.274:
	s_or_b64 exec, exec, s[42:43]
	v_mov_b64_e32 v[2:3], v[80:81]
.LBB1986_275:
	s_or_b64 exec, exec, s[40:41]
	v_mov_b64_e32 v[6:7], v[100:101]
.LBB1986_276:
	s_or_b64 exec, exec, s[38:39]
	v_mov_b64_e32 v[10:11], v[76:77]
.LBB1986_277:
	s_or_b64 exec, exec, s[36:37]
	v_mov_b64_e32 v[12:13], v[98:99]
.LBB1986_278:
	s_or_b64 exec, exec, s[34:35]
	v_mov_b64_e32 v[14:15], v[72:73]
.LBB1986_279:
	s_or_b64 exec, exec, s[30:31]
	v_mov_b64_e32 v[16:17], v[96:97]
.LBB1986_280:
	s_or_b64 exec, exec, s[28:29]
	v_mov_b64_e32 v[18:19], v[68:69]
.LBB1986_281:
	s_or_b64 exec, exec, s[26:27]
	v_mov_b64_e32 v[20:21], v[94:95]
.LBB1986_282:
	s_or_b64 exec, exec, s[24:25]
	v_mov_b64_e32 v[22:23], v[64:65]
.LBB1986_283:
	s_or_b64 exec, exec, s[22:23]
	v_mov_b64_e32 v[24:25], v[92:93]
.LBB1986_284:
	s_or_b64 exec, exec, s[20:21]
	v_mov_b64_e32 v[26:27], v[60:61]
.LBB1986_285:
	s_or_b64 exec, exec, s[18:19]
	v_mov_b64_e32 v[28:29], v[90:91]
.LBB1986_286:
	s_or_b64 exec, exec, s[16:17]
	v_mov_b64_e32 v[30:31], v[56:57]
.LBB1986_287:
	s_or_b64 exec, exec, s[14:15]
	v_mov_b64_e32 v[32:33], v[88:89]
.LBB1986_288:
	s_or_b64 exec, exec, s[12:13]
	v_mov_b64_e32 v[34:35], v[52:53]
.LBB1986_289:
	s_or_b64 exec, exec, s[10:11]
	v_mov_b64_e32 v[36:37], v[86:87]
.LBB1986_290:
	s_or_b64 exec, exec, s[8:9]
	v_mov_b64_e32 v[38:39], v[48:49]
.LBB1986_291:
	s_or_b64 exec, exec, s[6:7]
	v_mov_b64_e32 v[40:41], v[44:45]
.LBB1986_292:
	s_or_b64 exec, exec, s[4:5]
	v_mov_b64_e32 v[46:47], v[82:83]
.LBB1986_293:
	s_or_b64 exec, exec, s[2:3]
	v_lshlrev_b32_e32 v1, 3, v1
	s_movk_i32 s2, 0xff60
	s_barrier
	ds_write2_b64 v1, v[46:47], v[40:41] offset1:1
	ds_write2_b64 v1, v[38:39], v[36:37] offset0:2 offset1:3
	ds_write2_b64 v1, v[34:35], v[32:33] offset0:4 offset1:5
	;; [unrolled: 1-line block ×9, first 2 shown]
	ds_write_b64 v1, v[8:9] offset:160
	v_mad_i32_i24 v2, v0, s2, v1
	s_waitcnt lgkmcnt(0)
	s_barrier
	ds_read2st64_b64 v[38:41], v2 offset0:4 offset1:8
	ds_read2st64_b64 v[34:37], v2 offset0:12 offset1:16
	;; [unrolled: 1-line block ×10, first 2 shown]
	v_mov_b32_e32 v47, 0
	v_lshlrev_b32_e32 v46, 3, v0
	v_lshl_add_u64 v[50:51], s[0:1], 0, v[46:47]
	v_cmp_gt_u32_e32 vcc, s33, v0
	s_and_saveexec_b64 s[2:3], vcc
	s_cbranch_execz .LBB1986_295
; %bb.294:
	v_mul_i32_i24_e32 v46, 0xffffff60, v0
	v_add_u32_e32 v1, v1, v46
	ds_read_b64 v[54:55], v1
	s_waitcnt lgkmcnt(0)
	flat_store_dwordx2 v[50:51], v[54:55]
.LBB1986_295:
	s_or_b64 exec, exec, s[2:3]
	v_or_b32_e32 v1, 0x100, v0
	v_cmp_gt_u32_e32 vcc, s33, v1
	s_and_saveexec_b64 s[2:3], vcc
	s_cbranch_execz .LBB1986_297
; %bb.296:
	s_waitcnt lgkmcnt(0)
	flat_store_dwordx2 v[50:51], v[38:39] offset:2048
.LBB1986_297:
	s_or_b64 exec, exec, s[2:3]
	v_or_b32_e32 v1, 0x200, v0
	v_cmp_gt_u32_e32 vcc, s33, v1
	s_and_saveexec_b64 s[2:3], vcc
	s_cbranch_execz .LBB1986_299
; %bb.298:
	s_waitcnt lgkmcnt(0)
	v_add_co_u32_e32 v38, vcc, 0x1000, v50
	s_nop 1
	v_addc_co_u32_e32 v39, vcc, 0, v51, vcc
	flat_store_dwordx2 v[38:39], v[40:41]
.LBB1986_299:
	s_or_b64 exec, exec, s[2:3]
	v_or_b32_e32 v1, 0x300, v0
	v_cmp_gt_u32_e32 vcc, s33, v1
	s_and_saveexec_b64 s[2:3], vcc
	s_cbranch_execz .LBB1986_301
; %bb.300:
	s_waitcnt lgkmcnt(0)
	v_add_co_u32_e32 v38, vcc, 0x1000, v50
	s_nop 1
	v_addc_co_u32_e32 v39, vcc, 0, v51, vcc
	flat_store_dwordx2 v[38:39], v[34:35] offset:2048
.LBB1986_301:
	s_or_b64 exec, exec, s[2:3]
	v_or_b32_e32 v1, 0x400, v0
	v_cmp_gt_u32_e32 vcc, s33, v1
	s_and_saveexec_b64 s[2:3], vcc
	s_cbranch_execz .LBB1986_303
; %bb.302:
	s_waitcnt lgkmcnt(0)
	v_add_co_u32_e32 v34, vcc, 0x2000, v50
	s_nop 1
	v_addc_co_u32_e32 v35, vcc, 0, v51, vcc
	flat_store_dwordx2 v[34:35], v[36:37]
.LBB1986_303:
	s_or_b64 exec, exec, s[2:3]
	v_or_b32_e32 v1, 0x500, v0
	v_cmp_gt_u32_e32 vcc, s33, v1
	s_and_saveexec_b64 s[2:3], vcc
	s_cbranch_execz .LBB1986_305
; %bb.304:
	s_waitcnt lgkmcnt(0)
	v_add_co_u32_e32 v34, vcc, 0x2000, v50
	s_nop 1
	v_addc_co_u32_e32 v35, vcc, 0, v51, vcc
	flat_store_dwordx2 v[34:35], v[30:31] offset:2048
.LBB1986_305:
	;; [unrolled: 24-line block ×9, first 2 shown]
	s_or_b64 exec, exec, s[2:3]
	s_waitcnt lgkmcnt(0)
	v_or_b32_e32 v2, 0x1400, v0
	v_mov_b32_e32 v1, v47
	v_cmp_gt_u32_e64 s[2:3], s33, v2
	s_branch .LBB1986_336
.LBB1986_334:
	s_mov_b64 s[2:3], 0
                                        ; kill: def $vgpr2_vgpr3 killed $sgpr0_sgpr1 killed $exec
                                        ; implicit-def: $vgpr4_vgpr5
	s_cbranch_execz .LBB1986_336
; %bb.335:
	s_movk_i32 s4, 0xa8
	s_waitcnt lgkmcnt(0)
	v_mul_u32_u24_e32 v1, 0xa8, v0
	v_mul_i32_i24_e32 v2, 0xffffff60, v0
	s_barrier
	ds_write2_b64 v1, v[82:83], v[44:45] offset1:1
	ds_write2_b64 v1, v[48:49], v[86:87] offset0:2 offset1:3
	ds_write2_b64 v1, v[52:53], v[88:89] offset0:4 offset1:5
	;; [unrolled: 1-line block ×9, first 2 shown]
	ds_write_b64 v1, v[42:43] offset:160
	v_mov_b32_e32 v1, 0
	v_mad_u32_u24 v2, v0, s4, v2
	s_waitcnt lgkmcnt(0)
	s_barrier
	ds_read2st64_b64 v[6:9], v2 offset1:4
	ds_read2st64_b64 v[10:13], v2 offset0:8 offset1:12
	ds_read2st64_b64 v[14:17], v2 offset0:16 offset1:20
	;; [unrolled: 1-line block ×9, first 2 shown]
	ds_read_b64 v[4:5], v2 offset:40960
	v_lshlrev_b32_e32 v2, 3, v0
	v_mov_b32_e32 v3, v1
	v_lshl_add_u64 v[2:3], s[0:1], 0, v[2:3]
	s_movk_i32 s4, 0x1000
	s_waitcnt lgkmcnt(0)
	flat_store_dwordx2 v[2:3], v[6:7]
	flat_store_dwordx2 v[2:3], v[8:9] offset:2048
	v_add_co_u32_e32 v6, vcc, s4, v2
	s_movk_i32 s4, 0x2000
	s_nop 0
	v_addc_co_u32_e32 v7, vcc, 0, v3, vcc
	flat_store_dwordx2 v[6:7], v[10:11]
	flat_store_dwordx2 v[6:7], v[12:13] offset:2048
	v_add_co_u32_e32 v6, vcc, s4, v2
	s_movk_i32 s4, 0x3000
	s_nop 0
	v_addc_co_u32_e32 v7, vcc, 0, v3, vcc
	;; [unrolled: 6-line block ×6, first 2 shown]
	flat_store_dwordx2 v[6:7], v[30:31]
	flat_store_dwordx2 v[6:7], v[32:33] offset:2048
	v_add_co_u32_e32 v6, vcc, s4, v2
	s_or_b64 s[2:3], s[2:3], exec
	s_nop 0
	v_addc_co_u32_e32 v7, vcc, 0, v3, vcc
	flat_store_dwordx2 v[6:7], v[34:35]
	flat_store_dwordx2 v[6:7], v[36:37] offset:2048
	v_add_co_u32_e32 v6, vcc, 0x8000, v2
	s_nop 1
	v_addc_co_u32_e32 v7, vcc, 0, v3, vcc
	v_add_co_u32_e32 v2, vcc, 0x9000, v2
	flat_store_dwordx2 v[6:7], v[38:39]
	flat_store_dwordx2 v[6:7], v[40:41] offset:2048
	v_addc_co_u32_e32 v3, vcc, 0, v3, vcc
	flat_store_dwordx2 v[2:3], v[42:43]
	flat_store_dwordx2 v[2:3], v[44:45] offset:2048
.LBB1986_336:
	s_and_saveexec_b64 s[4:5], s[2:3]
	s_cbranch_execnz .LBB1986_338
; %bb.337:
	s_endpgm
.LBB1986_338:
	s_waitcnt lgkmcnt(0)
	v_lshl_add_u64 v[0:1], v[0:1], 3, s[0:1]
	v_add_co_u32_e32 v0, vcc, 0xa000, v0
	s_nop 1
	v_addc_co_u32_e32 v1, vcc, 0, v1, vcc
	flat_store_dwordx2 v[0:1], v[4:5]
	s_endpgm
.LBB1986_339:
	v_lshlrev_b32_e32 v60, 3, v62
	v_mov_b32_e32 v61, 0
	v_lshl_add_u64 v[60:61], s[50:51], 0, v[60:61]
	flat_load_dwordx2 v[60:61], v[60:61]
	s_or_b64 exec, exec, s[6:7]
	s_and_saveexec_b64 s[6:7], s[46:47]
	s_cbranch_execz .LBB1986_91
.LBB1986_340:
	v_lshlrev_b32_e32 v58, 3, v63
	v_mov_b32_e32 v59, 0
	v_lshl_add_u64 v[58:59], s[50:51], 0, v[58:59]
	flat_load_dwordx2 v[58:59], v[58:59]
	s_or_b64 exec, exec, s[6:7]
	v_mov_b64_e32 v[62:63], 0
	s_and_saveexec_b64 s[6:7], s[48:49]
	s_cbranch_execnz .LBB1986_92
	s_branch .LBB1986_93
.LBB1986_341:
                                        ; implicit-def: $sgpr58_sgpr59
	s_branch .LBB1986_50
.LBB1986_342:
                                        ; implicit-def: $sgpr6_sgpr7
	s_branch .LBB1986_138
	.section	.rodata,"a",@progbits
	.p2align	6, 0x0
	.amdhsa_kernel _ZN7rocprim17ROCPRIM_400000_NS6detail17trampoline_kernelINS0_14default_configENS1_27scan_by_key_config_selectorIj11FixedVectorIiLj2EEEEZZNS1_16scan_by_key_implILNS1_25lookback_scan_determinismE0ELb0ES3_N6thrust23THRUST_200600_302600_NS6detail15normal_iteratorINSB_10device_ptrIjEEEENSD_INSE_IS6_EEEESI_S6_NSB_4plusIvEENSB_8equal_toIvEES6_EE10hipError_tPvRmT2_T3_T4_T5_mT6_T7_P12ihipStream_tbENKUlT_T0_E_clISt17integral_constantIbLb0EES12_IbLb1EEEEDaSY_SZ_EUlSY_E_NS1_11comp_targetILNS1_3genE5ELNS1_11target_archE942ELNS1_3gpuE9ELNS1_3repE0EEENS1_30default_config_static_selectorELNS0_4arch9wavefront6targetE1EEEvT1_
		.amdhsa_group_segment_fixed_size 43008
		.amdhsa_private_segment_fixed_size 0
		.amdhsa_kernarg_size 120
		.amdhsa_user_sgpr_count 2
		.amdhsa_user_sgpr_dispatch_ptr 0
		.amdhsa_user_sgpr_queue_ptr 0
		.amdhsa_user_sgpr_kernarg_segment_ptr 1
		.amdhsa_user_sgpr_dispatch_id 0
		.amdhsa_user_sgpr_kernarg_preload_length 0
		.amdhsa_user_sgpr_kernarg_preload_offset 0
		.amdhsa_user_sgpr_private_segment_size 0
		.amdhsa_uses_dynamic_stack 0
		.amdhsa_enable_private_segment 0
		.amdhsa_system_sgpr_workgroup_id_x 1
		.amdhsa_system_sgpr_workgroup_id_y 0
		.amdhsa_system_sgpr_workgroup_id_z 0
		.amdhsa_system_sgpr_workgroup_info 0
		.amdhsa_system_vgpr_workitem_id 0
		.amdhsa_next_free_vgpr 136
		.amdhsa_next_free_sgpr 100
		.amdhsa_accum_offset 136
		.amdhsa_reserve_vcc 1
		.amdhsa_float_round_mode_32 0
		.amdhsa_float_round_mode_16_64 0
		.amdhsa_float_denorm_mode_32 3
		.amdhsa_float_denorm_mode_16_64 3
		.amdhsa_dx10_clamp 1
		.amdhsa_ieee_mode 1
		.amdhsa_fp16_overflow 0
		.amdhsa_tg_split 0
		.amdhsa_exception_fp_ieee_invalid_op 0
		.amdhsa_exception_fp_denorm_src 0
		.amdhsa_exception_fp_ieee_div_zero 0
		.amdhsa_exception_fp_ieee_overflow 0
		.amdhsa_exception_fp_ieee_underflow 0
		.amdhsa_exception_fp_ieee_inexact 0
		.amdhsa_exception_int_div_zero 0
	.end_amdhsa_kernel
	.section	.text._ZN7rocprim17ROCPRIM_400000_NS6detail17trampoline_kernelINS0_14default_configENS1_27scan_by_key_config_selectorIj11FixedVectorIiLj2EEEEZZNS1_16scan_by_key_implILNS1_25lookback_scan_determinismE0ELb0ES3_N6thrust23THRUST_200600_302600_NS6detail15normal_iteratorINSB_10device_ptrIjEEEENSD_INSE_IS6_EEEESI_S6_NSB_4plusIvEENSB_8equal_toIvEES6_EE10hipError_tPvRmT2_T3_T4_T5_mT6_T7_P12ihipStream_tbENKUlT_T0_E_clISt17integral_constantIbLb0EES12_IbLb1EEEEDaSY_SZ_EUlSY_E_NS1_11comp_targetILNS1_3genE5ELNS1_11target_archE942ELNS1_3gpuE9ELNS1_3repE0EEENS1_30default_config_static_selectorELNS0_4arch9wavefront6targetE1EEEvT1_,"axG",@progbits,_ZN7rocprim17ROCPRIM_400000_NS6detail17trampoline_kernelINS0_14default_configENS1_27scan_by_key_config_selectorIj11FixedVectorIiLj2EEEEZZNS1_16scan_by_key_implILNS1_25lookback_scan_determinismE0ELb0ES3_N6thrust23THRUST_200600_302600_NS6detail15normal_iteratorINSB_10device_ptrIjEEEENSD_INSE_IS6_EEEESI_S6_NSB_4plusIvEENSB_8equal_toIvEES6_EE10hipError_tPvRmT2_T3_T4_T5_mT6_T7_P12ihipStream_tbENKUlT_T0_E_clISt17integral_constantIbLb0EES12_IbLb1EEEEDaSY_SZ_EUlSY_E_NS1_11comp_targetILNS1_3genE5ELNS1_11target_archE942ELNS1_3gpuE9ELNS1_3repE0EEENS1_30default_config_static_selectorELNS0_4arch9wavefront6targetE1EEEvT1_,comdat
.Lfunc_end1986:
	.size	_ZN7rocprim17ROCPRIM_400000_NS6detail17trampoline_kernelINS0_14default_configENS1_27scan_by_key_config_selectorIj11FixedVectorIiLj2EEEEZZNS1_16scan_by_key_implILNS1_25lookback_scan_determinismE0ELb0ES3_N6thrust23THRUST_200600_302600_NS6detail15normal_iteratorINSB_10device_ptrIjEEEENSD_INSE_IS6_EEEESI_S6_NSB_4plusIvEENSB_8equal_toIvEES6_EE10hipError_tPvRmT2_T3_T4_T5_mT6_T7_P12ihipStream_tbENKUlT_T0_E_clISt17integral_constantIbLb0EES12_IbLb1EEEEDaSY_SZ_EUlSY_E_NS1_11comp_targetILNS1_3genE5ELNS1_11target_archE942ELNS1_3gpuE9ELNS1_3repE0EEENS1_30default_config_static_selectorELNS0_4arch9wavefront6targetE1EEEvT1_, .Lfunc_end1986-_ZN7rocprim17ROCPRIM_400000_NS6detail17trampoline_kernelINS0_14default_configENS1_27scan_by_key_config_selectorIj11FixedVectorIiLj2EEEEZZNS1_16scan_by_key_implILNS1_25lookback_scan_determinismE0ELb0ES3_N6thrust23THRUST_200600_302600_NS6detail15normal_iteratorINSB_10device_ptrIjEEEENSD_INSE_IS6_EEEESI_S6_NSB_4plusIvEENSB_8equal_toIvEES6_EE10hipError_tPvRmT2_T3_T4_T5_mT6_T7_P12ihipStream_tbENKUlT_T0_E_clISt17integral_constantIbLb0EES12_IbLb1EEEEDaSY_SZ_EUlSY_E_NS1_11comp_targetILNS1_3genE5ELNS1_11target_archE942ELNS1_3gpuE9ELNS1_3repE0EEENS1_30default_config_static_selectorELNS0_4arch9wavefront6targetE1EEEvT1_
                                        ; -- End function
	.section	.AMDGPU.csdata,"",@progbits
; Kernel info:
; codeLenInByte = 19332
; NumSgprs: 106
; NumVgprs: 136
; NumAgprs: 0
; TotalNumVgprs: 136
; ScratchSize: 0
; MemoryBound: 0
; FloatMode: 240
; IeeeMode: 1
; LDSByteSize: 43008 bytes/workgroup (compile time only)
; SGPRBlocks: 13
; VGPRBlocks: 16
; NumSGPRsForWavesPerEU: 106
; NumVGPRsForWavesPerEU: 136
; AccumOffset: 136
; Occupancy: 1
; WaveLimiterHint : 1
; COMPUTE_PGM_RSRC2:SCRATCH_EN: 0
; COMPUTE_PGM_RSRC2:USER_SGPR: 2
; COMPUTE_PGM_RSRC2:TRAP_HANDLER: 0
; COMPUTE_PGM_RSRC2:TGID_X_EN: 1
; COMPUTE_PGM_RSRC2:TGID_Y_EN: 0
; COMPUTE_PGM_RSRC2:TGID_Z_EN: 0
; COMPUTE_PGM_RSRC2:TIDIG_COMP_CNT: 0
; COMPUTE_PGM_RSRC3_GFX90A:ACCUM_OFFSET: 33
; COMPUTE_PGM_RSRC3_GFX90A:TG_SPLIT: 0
	.section	.text._ZN7rocprim17ROCPRIM_400000_NS6detail17trampoline_kernelINS0_14default_configENS1_27scan_by_key_config_selectorIj11FixedVectorIiLj2EEEEZZNS1_16scan_by_key_implILNS1_25lookback_scan_determinismE0ELb0ES3_N6thrust23THRUST_200600_302600_NS6detail15normal_iteratorINSB_10device_ptrIjEEEENSD_INSE_IS6_EEEESI_S6_NSB_4plusIvEENSB_8equal_toIvEES6_EE10hipError_tPvRmT2_T3_T4_T5_mT6_T7_P12ihipStream_tbENKUlT_T0_E_clISt17integral_constantIbLb0EES12_IbLb1EEEEDaSY_SZ_EUlSY_E_NS1_11comp_targetILNS1_3genE4ELNS1_11target_archE910ELNS1_3gpuE8ELNS1_3repE0EEENS1_30default_config_static_selectorELNS0_4arch9wavefront6targetE1EEEvT1_,"axG",@progbits,_ZN7rocprim17ROCPRIM_400000_NS6detail17trampoline_kernelINS0_14default_configENS1_27scan_by_key_config_selectorIj11FixedVectorIiLj2EEEEZZNS1_16scan_by_key_implILNS1_25lookback_scan_determinismE0ELb0ES3_N6thrust23THRUST_200600_302600_NS6detail15normal_iteratorINSB_10device_ptrIjEEEENSD_INSE_IS6_EEEESI_S6_NSB_4plusIvEENSB_8equal_toIvEES6_EE10hipError_tPvRmT2_T3_T4_T5_mT6_T7_P12ihipStream_tbENKUlT_T0_E_clISt17integral_constantIbLb0EES12_IbLb1EEEEDaSY_SZ_EUlSY_E_NS1_11comp_targetILNS1_3genE4ELNS1_11target_archE910ELNS1_3gpuE8ELNS1_3repE0EEENS1_30default_config_static_selectorELNS0_4arch9wavefront6targetE1EEEvT1_,comdat
	.protected	_ZN7rocprim17ROCPRIM_400000_NS6detail17trampoline_kernelINS0_14default_configENS1_27scan_by_key_config_selectorIj11FixedVectorIiLj2EEEEZZNS1_16scan_by_key_implILNS1_25lookback_scan_determinismE0ELb0ES3_N6thrust23THRUST_200600_302600_NS6detail15normal_iteratorINSB_10device_ptrIjEEEENSD_INSE_IS6_EEEESI_S6_NSB_4plusIvEENSB_8equal_toIvEES6_EE10hipError_tPvRmT2_T3_T4_T5_mT6_T7_P12ihipStream_tbENKUlT_T0_E_clISt17integral_constantIbLb0EES12_IbLb1EEEEDaSY_SZ_EUlSY_E_NS1_11comp_targetILNS1_3genE4ELNS1_11target_archE910ELNS1_3gpuE8ELNS1_3repE0EEENS1_30default_config_static_selectorELNS0_4arch9wavefront6targetE1EEEvT1_ ; -- Begin function _ZN7rocprim17ROCPRIM_400000_NS6detail17trampoline_kernelINS0_14default_configENS1_27scan_by_key_config_selectorIj11FixedVectorIiLj2EEEEZZNS1_16scan_by_key_implILNS1_25lookback_scan_determinismE0ELb0ES3_N6thrust23THRUST_200600_302600_NS6detail15normal_iteratorINSB_10device_ptrIjEEEENSD_INSE_IS6_EEEESI_S6_NSB_4plusIvEENSB_8equal_toIvEES6_EE10hipError_tPvRmT2_T3_T4_T5_mT6_T7_P12ihipStream_tbENKUlT_T0_E_clISt17integral_constantIbLb0EES12_IbLb1EEEEDaSY_SZ_EUlSY_E_NS1_11comp_targetILNS1_3genE4ELNS1_11target_archE910ELNS1_3gpuE8ELNS1_3repE0EEENS1_30default_config_static_selectorELNS0_4arch9wavefront6targetE1EEEvT1_
	.globl	_ZN7rocprim17ROCPRIM_400000_NS6detail17trampoline_kernelINS0_14default_configENS1_27scan_by_key_config_selectorIj11FixedVectorIiLj2EEEEZZNS1_16scan_by_key_implILNS1_25lookback_scan_determinismE0ELb0ES3_N6thrust23THRUST_200600_302600_NS6detail15normal_iteratorINSB_10device_ptrIjEEEENSD_INSE_IS6_EEEESI_S6_NSB_4plusIvEENSB_8equal_toIvEES6_EE10hipError_tPvRmT2_T3_T4_T5_mT6_T7_P12ihipStream_tbENKUlT_T0_E_clISt17integral_constantIbLb0EES12_IbLb1EEEEDaSY_SZ_EUlSY_E_NS1_11comp_targetILNS1_3genE4ELNS1_11target_archE910ELNS1_3gpuE8ELNS1_3repE0EEENS1_30default_config_static_selectorELNS0_4arch9wavefront6targetE1EEEvT1_
	.p2align	8
	.type	_ZN7rocprim17ROCPRIM_400000_NS6detail17trampoline_kernelINS0_14default_configENS1_27scan_by_key_config_selectorIj11FixedVectorIiLj2EEEEZZNS1_16scan_by_key_implILNS1_25lookback_scan_determinismE0ELb0ES3_N6thrust23THRUST_200600_302600_NS6detail15normal_iteratorINSB_10device_ptrIjEEEENSD_INSE_IS6_EEEESI_S6_NSB_4plusIvEENSB_8equal_toIvEES6_EE10hipError_tPvRmT2_T3_T4_T5_mT6_T7_P12ihipStream_tbENKUlT_T0_E_clISt17integral_constantIbLb0EES12_IbLb1EEEEDaSY_SZ_EUlSY_E_NS1_11comp_targetILNS1_3genE4ELNS1_11target_archE910ELNS1_3gpuE8ELNS1_3repE0EEENS1_30default_config_static_selectorELNS0_4arch9wavefront6targetE1EEEvT1_,@function
_ZN7rocprim17ROCPRIM_400000_NS6detail17trampoline_kernelINS0_14default_configENS1_27scan_by_key_config_selectorIj11FixedVectorIiLj2EEEEZZNS1_16scan_by_key_implILNS1_25lookback_scan_determinismE0ELb0ES3_N6thrust23THRUST_200600_302600_NS6detail15normal_iteratorINSB_10device_ptrIjEEEENSD_INSE_IS6_EEEESI_S6_NSB_4plusIvEENSB_8equal_toIvEES6_EE10hipError_tPvRmT2_T3_T4_T5_mT6_T7_P12ihipStream_tbENKUlT_T0_E_clISt17integral_constantIbLb0EES12_IbLb1EEEEDaSY_SZ_EUlSY_E_NS1_11comp_targetILNS1_3genE4ELNS1_11target_archE910ELNS1_3gpuE8ELNS1_3repE0EEENS1_30default_config_static_selectorELNS0_4arch9wavefront6targetE1EEEvT1_: ; @_ZN7rocprim17ROCPRIM_400000_NS6detail17trampoline_kernelINS0_14default_configENS1_27scan_by_key_config_selectorIj11FixedVectorIiLj2EEEEZZNS1_16scan_by_key_implILNS1_25lookback_scan_determinismE0ELb0ES3_N6thrust23THRUST_200600_302600_NS6detail15normal_iteratorINSB_10device_ptrIjEEEENSD_INSE_IS6_EEEESI_S6_NSB_4plusIvEENSB_8equal_toIvEES6_EE10hipError_tPvRmT2_T3_T4_T5_mT6_T7_P12ihipStream_tbENKUlT_T0_E_clISt17integral_constantIbLb0EES12_IbLb1EEEEDaSY_SZ_EUlSY_E_NS1_11comp_targetILNS1_3genE4ELNS1_11target_archE910ELNS1_3gpuE8ELNS1_3repE0EEENS1_30default_config_static_selectorELNS0_4arch9wavefront6targetE1EEEvT1_
; %bb.0:
	.section	.rodata,"a",@progbits
	.p2align	6, 0x0
	.amdhsa_kernel _ZN7rocprim17ROCPRIM_400000_NS6detail17trampoline_kernelINS0_14default_configENS1_27scan_by_key_config_selectorIj11FixedVectorIiLj2EEEEZZNS1_16scan_by_key_implILNS1_25lookback_scan_determinismE0ELb0ES3_N6thrust23THRUST_200600_302600_NS6detail15normal_iteratorINSB_10device_ptrIjEEEENSD_INSE_IS6_EEEESI_S6_NSB_4plusIvEENSB_8equal_toIvEES6_EE10hipError_tPvRmT2_T3_T4_T5_mT6_T7_P12ihipStream_tbENKUlT_T0_E_clISt17integral_constantIbLb0EES12_IbLb1EEEEDaSY_SZ_EUlSY_E_NS1_11comp_targetILNS1_3genE4ELNS1_11target_archE910ELNS1_3gpuE8ELNS1_3repE0EEENS1_30default_config_static_selectorELNS0_4arch9wavefront6targetE1EEEvT1_
		.amdhsa_group_segment_fixed_size 0
		.amdhsa_private_segment_fixed_size 0
		.amdhsa_kernarg_size 120
		.amdhsa_user_sgpr_count 2
		.amdhsa_user_sgpr_dispatch_ptr 0
		.amdhsa_user_sgpr_queue_ptr 0
		.amdhsa_user_sgpr_kernarg_segment_ptr 1
		.amdhsa_user_sgpr_dispatch_id 0
		.amdhsa_user_sgpr_kernarg_preload_length 0
		.amdhsa_user_sgpr_kernarg_preload_offset 0
		.amdhsa_user_sgpr_private_segment_size 0
		.amdhsa_uses_dynamic_stack 0
		.amdhsa_enable_private_segment 0
		.amdhsa_system_sgpr_workgroup_id_x 1
		.amdhsa_system_sgpr_workgroup_id_y 0
		.amdhsa_system_sgpr_workgroup_id_z 0
		.amdhsa_system_sgpr_workgroup_info 0
		.amdhsa_system_vgpr_workitem_id 0
		.amdhsa_next_free_vgpr 1
		.amdhsa_next_free_sgpr 0
		.amdhsa_accum_offset 4
		.amdhsa_reserve_vcc 0
		.amdhsa_float_round_mode_32 0
		.amdhsa_float_round_mode_16_64 0
		.amdhsa_float_denorm_mode_32 3
		.amdhsa_float_denorm_mode_16_64 3
		.amdhsa_dx10_clamp 1
		.amdhsa_ieee_mode 1
		.amdhsa_fp16_overflow 0
		.amdhsa_tg_split 0
		.amdhsa_exception_fp_ieee_invalid_op 0
		.amdhsa_exception_fp_denorm_src 0
		.amdhsa_exception_fp_ieee_div_zero 0
		.amdhsa_exception_fp_ieee_overflow 0
		.amdhsa_exception_fp_ieee_underflow 0
		.amdhsa_exception_fp_ieee_inexact 0
		.amdhsa_exception_int_div_zero 0
	.end_amdhsa_kernel
	.section	.text._ZN7rocprim17ROCPRIM_400000_NS6detail17trampoline_kernelINS0_14default_configENS1_27scan_by_key_config_selectorIj11FixedVectorIiLj2EEEEZZNS1_16scan_by_key_implILNS1_25lookback_scan_determinismE0ELb0ES3_N6thrust23THRUST_200600_302600_NS6detail15normal_iteratorINSB_10device_ptrIjEEEENSD_INSE_IS6_EEEESI_S6_NSB_4plusIvEENSB_8equal_toIvEES6_EE10hipError_tPvRmT2_T3_T4_T5_mT6_T7_P12ihipStream_tbENKUlT_T0_E_clISt17integral_constantIbLb0EES12_IbLb1EEEEDaSY_SZ_EUlSY_E_NS1_11comp_targetILNS1_3genE4ELNS1_11target_archE910ELNS1_3gpuE8ELNS1_3repE0EEENS1_30default_config_static_selectorELNS0_4arch9wavefront6targetE1EEEvT1_,"axG",@progbits,_ZN7rocprim17ROCPRIM_400000_NS6detail17trampoline_kernelINS0_14default_configENS1_27scan_by_key_config_selectorIj11FixedVectorIiLj2EEEEZZNS1_16scan_by_key_implILNS1_25lookback_scan_determinismE0ELb0ES3_N6thrust23THRUST_200600_302600_NS6detail15normal_iteratorINSB_10device_ptrIjEEEENSD_INSE_IS6_EEEESI_S6_NSB_4plusIvEENSB_8equal_toIvEES6_EE10hipError_tPvRmT2_T3_T4_T5_mT6_T7_P12ihipStream_tbENKUlT_T0_E_clISt17integral_constantIbLb0EES12_IbLb1EEEEDaSY_SZ_EUlSY_E_NS1_11comp_targetILNS1_3genE4ELNS1_11target_archE910ELNS1_3gpuE8ELNS1_3repE0EEENS1_30default_config_static_selectorELNS0_4arch9wavefront6targetE1EEEvT1_,comdat
.Lfunc_end1987:
	.size	_ZN7rocprim17ROCPRIM_400000_NS6detail17trampoline_kernelINS0_14default_configENS1_27scan_by_key_config_selectorIj11FixedVectorIiLj2EEEEZZNS1_16scan_by_key_implILNS1_25lookback_scan_determinismE0ELb0ES3_N6thrust23THRUST_200600_302600_NS6detail15normal_iteratorINSB_10device_ptrIjEEEENSD_INSE_IS6_EEEESI_S6_NSB_4plusIvEENSB_8equal_toIvEES6_EE10hipError_tPvRmT2_T3_T4_T5_mT6_T7_P12ihipStream_tbENKUlT_T0_E_clISt17integral_constantIbLb0EES12_IbLb1EEEEDaSY_SZ_EUlSY_E_NS1_11comp_targetILNS1_3genE4ELNS1_11target_archE910ELNS1_3gpuE8ELNS1_3repE0EEENS1_30default_config_static_selectorELNS0_4arch9wavefront6targetE1EEEvT1_, .Lfunc_end1987-_ZN7rocprim17ROCPRIM_400000_NS6detail17trampoline_kernelINS0_14default_configENS1_27scan_by_key_config_selectorIj11FixedVectorIiLj2EEEEZZNS1_16scan_by_key_implILNS1_25lookback_scan_determinismE0ELb0ES3_N6thrust23THRUST_200600_302600_NS6detail15normal_iteratorINSB_10device_ptrIjEEEENSD_INSE_IS6_EEEESI_S6_NSB_4plusIvEENSB_8equal_toIvEES6_EE10hipError_tPvRmT2_T3_T4_T5_mT6_T7_P12ihipStream_tbENKUlT_T0_E_clISt17integral_constantIbLb0EES12_IbLb1EEEEDaSY_SZ_EUlSY_E_NS1_11comp_targetILNS1_3genE4ELNS1_11target_archE910ELNS1_3gpuE8ELNS1_3repE0EEENS1_30default_config_static_selectorELNS0_4arch9wavefront6targetE1EEEvT1_
                                        ; -- End function
	.section	.AMDGPU.csdata,"",@progbits
; Kernel info:
; codeLenInByte = 0
; NumSgprs: 6
; NumVgprs: 0
; NumAgprs: 0
; TotalNumVgprs: 0
; ScratchSize: 0
; MemoryBound: 0
; FloatMode: 240
; IeeeMode: 1
; LDSByteSize: 0 bytes/workgroup (compile time only)
; SGPRBlocks: 0
; VGPRBlocks: 0
; NumSGPRsForWavesPerEU: 6
; NumVGPRsForWavesPerEU: 1
; AccumOffset: 4
; Occupancy: 8
; WaveLimiterHint : 0
; COMPUTE_PGM_RSRC2:SCRATCH_EN: 0
; COMPUTE_PGM_RSRC2:USER_SGPR: 2
; COMPUTE_PGM_RSRC2:TRAP_HANDLER: 0
; COMPUTE_PGM_RSRC2:TGID_X_EN: 1
; COMPUTE_PGM_RSRC2:TGID_Y_EN: 0
; COMPUTE_PGM_RSRC2:TGID_Z_EN: 0
; COMPUTE_PGM_RSRC2:TIDIG_COMP_CNT: 0
; COMPUTE_PGM_RSRC3_GFX90A:ACCUM_OFFSET: 0
; COMPUTE_PGM_RSRC3_GFX90A:TG_SPLIT: 0
	.section	.text._ZN7rocprim17ROCPRIM_400000_NS6detail17trampoline_kernelINS0_14default_configENS1_27scan_by_key_config_selectorIj11FixedVectorIiLj2EEEEZZNS1_16scan_by_key_implILNS1_25lookback_scan_determinismE0ELb0ES3_N6thrust23THRUST_200600_302600_NS6detail15normal_iteratorINSB_10device_ptrIjEEEENSD_INSE_IS6_EEEESI_S6_NSB_4plusIvEENSB_8equal_toIvEES6_EE10hipError_tPvRmT2_T3_T4_T5_mT6_T7_P12ihipStream_tbENKUlT_T0_E_clISt17integral_constantIbLb0EES12_IbLb1EEEEDaSY_SZ_EUlSY_E_NS1_11comp_targetILNS1_3genE3ELNS1_11target_archE908ELNS1_3gpuE7ELNS1_3repE0EEENS1_30default_config_static_selectorELNS0_4arch9wavefront6targetE1EEEvT1_,"axG",@progbits,_ZN7rocprim17ROCPRIM_400000_NS6detail17trampoline_kernelINS0_14default_configENS1_27scan_by_key_config_selectorIj11FixedVectorIiLj2EEEEZZNS1_16scan_by_key_implILNS1_25lookback_scan_determinismE0ELb0ES3_N6thrust23THRUST_200600_302600_NS6detail15normal_iteratorINSB_10device_ptrIjEEEENSD_INSE_IS6_EEEESI_S6_NSB_4plusIvEENSB_8equal_toIvEES6_EE10hipError_tPvRmT2_T3_T4_T5_mT6_T7_P12ihipStream_tbENKUlT_T0_E_clISt17integral_constantIbLb0EES12_IbLb1EEEEDaSY_SZ_EUlSY_E_NS1_11comp_targetILNS1_3genE3ELNS1_11target_archE908ELNS1_3gpuE7ELNS1_3repE0EEENS1_30default_config_static_selectorELNS0_4arch9wavefront6targetE1EEEvT1_,comdat
	.protected	_ZN7rocprim17ROCPRIM_400000_NS6detail17trampoline_kernelINS0_14default_configENS1_27scan_by_key_config_selectorIj11FixedVectorIiLj2EEEEZZNS1_16scan_by_key_implILNS1_25lookback_scan_determinismE0ELb0ES3_N6thrust23THRUST_200600_302600_NS6detail15normal_iteratorINSB_10device_ptrIjEEEENSD_INSE_IS6_EEEESI_S6_NSB_4plusIvEENSB_8equal_toIvEES6_EE10hipError_tPvRmT2_T3_T4_T5_mT6_T7_P12ihipStream_tbENKUlT_T0_E_clISt17integral_constantIbLb0EES12_IbLb1EEEEDaSY_SZ_EUlSY_E_NS1_11comp_targetILNS1_3genE3ELNS1_11target_archE908ELNS1_3gpuE7ELNS1_3repE0EEENS1_30default_config_static_selectorELNS0_4arch9wavefront6targetE1EEEvT1_ ; -- Begin function _ZN7rocprim17ROCPRIM_400000_NS6detail17trampoline_kernelINS0_14default_configENS1_27scan_by_key_config_selectorIj11FixedVectorIiLj2EEEEZZNS1_16scan_by_key_implILNS1_25lookback_scan_determinismE0ELb0ES3_N6thrust23THRUST_200600_302600_NS6detail15normal_iteratorINSB_10device_ptrIjEEEENSD_INSE_IS6_EEEESI_S6_NSB_4plusIvEENSB_8equal_toIvEES6_EE10hipError_tPvRmT2_T3_T4_T5_mT6_T7_P12ihipStream_tbENKUlT_T0_E_clISt17integral_constantIbLb0EES12_IbLb1EEEEDaSY_SZ_EUlSY_E_NS1_11comp_targetILNS1_3genE3ELNS1_11target_archE908ELNS1_3gpuE7ELNS1_3repE0EEENS1_30default_config_static_selectorELNS0_4arch9wavefront6targetE1EEEvT1_
	.globl	_ZN7rocprim17ROCPRIM_400000_NS6detail17trampoline_kernelINS0_14default_configENS1_27scan_by_key_config_selectorIj11FixedVectorIiLj2EEEEZZNS1_16scan_by_key_implILNS1_25lookback_scan_determinismE0ELb0ES3_N6thrust23THRUST_200600_302600_NS6detail15normal_iteratorINSB_10device_ptrIjEEEENSD_INSE_IS6_EEEESI_S6_NSB_4plusIvEENSB_8equal_toIvEES6_EE10hipError_tPvRmT2_T3_T4_T5_mT6_T7_P12ihipStream_tbENKUlT_T0_E_clISt17integral_constantIbLb0EES12_IbLb1EEEEDaSY_SZ_EUlSY_E_NS1_11comp_targetILNS1_3genE3ELNS1_11target_archE908ELNS1_3gpuE7ELNS1_3repE0EEENS1_30default_config_static_selectorELNS0_4arch9wavefront6targetE1EEEvT1_
	.p2align	8
	.type	_ZN7rocprim17ROCPRIM_400000_NS6detail17trampoline_kernelINS0_14default_configENS1_27scan_by_key_config_selectorIj11FixedVectorIiLj2EEEEZZNS1_16scan_by_key_implILNS1_25lookback_scan_determinismE0ELb0ES3_N6thrust23THRUST_200600_302600_NS6detail15normal_iteratorINSB_10device_ptrIjEEEENSD_INSE_IS6_EEEESI_S6_NSB_4plusIvEENSB_8equal_toIvEES6_EE10hipError_tPvRmT2_T3_T4_T5_mT6_T7_P12ihipStream_tbENKUlT_T0_E_clISt17integral_constantIbLb0EES12_IbLb1EEEEDaSY_SZ_EUlSY_E_NS1_11comp_targetILNS1_3genE3ELNS1_11target_archE908ELNS1_3gpuE7ELNS1_3repE0EEENS1_30default_config_static_selectorELNS0_4arch9wavefront6targetE1EEEvT1_,@function
_ZN7rocprim17ROCPRIM_400000_NS6detail17trampoline_kernelINS0_14default_configENS1_27scan_by_key_config_selectorIj11FixedVectorIiLj2EEEEZZNS1_16scan_by_key_implILNS1_25lookback_scan_determinismE0ELb0ES3_N6thrust23THRUST_200600_302600_NS6detail15normal_iteratorINSB_10device_ptrIjEEEENSD_INSE_IS6_EEEESI_S6_NSB_4plusIvEENSB_8equal_toIvEES6_EE10hipError_tPvRmT2_T3_T4_T5_mT6_T7_P12ihipStream_tbENKUlT_T0_E_clISt17integral_constantIbLb0EES12_IbLb1EEEEDaSY_SZ_EUlSY_E_NS1_11comp_targetILNS1_3genE3ELNS1_11target_archE908ELNS1_3gpuE7ELNS1_3repE0EEENS1_30default_config_static_selectorELNS0_4arch9wavefront6targetE1EEEvT1_: ; @_ZN7rocprim17ROCPRIM_400000_NS6detail17trampoline_kernelINS0_14default_configENS1_27scan_by_key_config_selectorIj11FixedVectorIiLj2EEEEZZNS1_16scan_by_key_implILNS1_25lookback_scan_determinismE0ELb0ES3_N6thrust23THRUST_200600_302600_NS6detail15normal_iteratorINSB_10device_ptrIjEEEENSD_INSE_IS6_EEEESI_S6_NSB_4plusIvEENSB_8equal_toIvEES6_EE10hipError_tPvRmT2_T3_T4_T5_mT6_T7_P12ihipStream_tbENKUlT_T0_E_clISt17integral_constantIbLb0EES12_IbLb1EEEEDaSY_SZ_EUlSY_E_NS1_11comp_targetILNS1_3genE3ELNS1_11target_archE908ELNS1_3gpuE7ELNS1_3repE0EEENS1_30default_config_static_selectorELNS0_4arch9wavefront6targetE1EEEvT1_
; %bb.0:
	.section	.rodata,"a",@progbits
	.p2align	6, 0x0
	.amdhsa_kernel _ZN7rocprim17ROCPRIM_400000_NS6detail17trampoline_kernelINS0_14default_configENS1_27scan_by_key_config_selectorIj11FixedVectorIiLj2EEEEZZNS1_16scan_by_key_implILNS1_25lookback_scan_determinismE0ELb0ES3_N6thrust23THRUST_200600_302600_NS6detail15normal_iteratorINSB_10device_ptrIjEEEENSD_INSE_IS6_EEEESI_S6_NSB_4plusIvEENSB_8equal_toIvEES6_EE10hipError_tPvRmT2_T3_T4_T5_mT6_T7_P12ihipStream_tbENKUlT_T0_E_clISt17integral_constantIbLb0EES12_IbLb1EEEEDaSY_SZ_EUlSY_E_NS1_11comp_targetILNS1_3genE3ELNS1_11target_archE908ELNS1_3gpuE7ELNS1_3repE0EEENS1_30default_config_static_selectorELNS0_4arch9wavefront6targetE1EEEvT1_
		.amdhsa_group_segment_fixed_size 0
		.amdhsa_private_segment_fixed_size 0
		.amdhsa_kernarg_size 120
		.amdhsa_user_sgpr_count 2
		.amdhsa_user_sgpr_dispatch_ptr 0
		.amdhsa_user_sgpr_queue_ptr 0
		.amdhsa_user_sgpr_kernarg_segment_ptr 1
		.amdhsa_user_sgpr_dispatch_id 0
		.amdhsa_user_sgpr_kernarg_preload_length 0
		.amdhsa_user_sgpr_kernarg_preload_offset 0
		.amdhsa_user_sgpr_private_segment_size 0
		.amdhsa_uses_dynamic_stack 0
		.amdhsa_enable_private_segment 0
		.amdhsa_system_sgpr_workgroup_id_x 1
		.amdhsa_system_sgpr_workgroup_id_y 0
		.amdhsa_system_sgpr_workgroup_id_z 0
		.amdhsa_system_sgpr_workgroup_info 0
		.amdhsa_system_vgpr_workitem_id 0
		.amdhsa_next_free_vgpr 1
		.amdhsa_next_free_sgpr 0
		.amdhsa_accum_offset 4
		.amdhsa_reserve_vcc 0
		.amdhsa_float_round_mode_32 0
		.amdhsa_float_round_mode_16_64 0
		.amdhsa_float_denorm_mode_32 3
		.amdhsa_float_denorm_mode_16_64 3
		.amdhsa_dx10_clamp 1
		.amdhsa_ieee_mode 1
		.amdhsa_fp16_overflow 0
		.amdhsa_tg_split 0
		.amdhsa_exception_fp_ieee_invalid_op 0
		.amdhsa_exception_fp_denorm_src 0
		.amdhsa_exception_fp_ieee_div_zero 0
		.amdhsa_exception_fp_ieee_overflow 0
		.amdhsa_exception_fp_ieee_underflow 0
		.amdhsa_exception_fp_ieee_inexact 0
		.amdhsa_exception_int_div_zero 0
	.end_amdhsa_kernel
	.section	.text._ZN7rocprim17ROCPRIM_400000_NS6detail17trampoline_kernelINS0_14default_configENS1_27scan_by_key_config_selectorIj11FixedVectorIiLj2EEEEZZNS1_16scan_by_key_implILNS1_25lookback_scan_determinismE0ELb0ES3_N6thrust23THRUST_200600_302600_NS6detail15normal_iteratorINSB_10device_ptrIjEEEENSD_INSE_IS6_EEEESI_S6_NSB_4plusIvEENSB_8equal_toIvEES6_EE10hipError_tPvRmT2_T3_T4_T5_mT6_T7_P12ihipStream_tbENKUlT_T0_E_clISt17integral_constantIbLb0EES12_IbLb1EEEEDaSY_SZ_EUlSY_E_NS1_11comp_targetILNS1_3genE3ELNS1_11target_archE908ELNS1_3gpuE7ELNS1_3repE0EEENS1_30default_config_static_selectorELNS0_4arch9wavefront6targetE1EEEvT1_,"axG",@progbits,_ZN7rocprim17ROCPRIM_400000_NS6detail17trampoline_kernelINS0_14default_configENS1_27scan_by_key_config_selectorIj11FixedVectorIiLj2EEEEZZNS1_16scan_by_key_implILNS1_25lookback_scan_determinismE0ELb0ES3_N6thrust23THRUST_200600_302600_NS6detail15normal_iteratorINSB_10device_ptrIjEEEENSD_INSE_IS6_EEEESI_S6_NSB_4plusIvEENSB_8equal_toIvEES6_EE10hipError_tPvRmT2_T3_T4_T5_mT6_T7_P12ihipStream_tbENKUlT_T0_E_clISt17integral_constantIbLb0EES12_IbLb1EEEEDaSY_SZ_EUlSY_E_NS1_11comp_targetILNS1_3genE3ELNS1_11target_archE908ELNS1_3gpuE7ELNS1_3repE0EEENS1_30default_config_static_selectorELNS0_4arch9wavefront6targetE1EEEvT1_,comdat
.Lfunc_end1988:
	.size	_ZN7rocprim17ROCPRIM_400000_NS6detail17trampoline_kernelINS0_14default_configENS1_27scan_by_key_config_selectorIj11FixedVectorIiLj2EEEEZZNS1_16scan_by_key_implILNS1_25lookback_scan_determinismE0ELb0ES3_N6thrust23THRUST_200600_302600_NS6detail15normal_iteratorINSB_10device_ptrIjEEEENSD_INSE_IS6_EEEESI_S6_NSB_4plusIvEENSB_8equal_toIvEES6_EE10hipError_tPvRmT2_T3_T4_T5_mT6_T7_P12ihipStream_tbENKUlT_T0_E_clISt17integral_constantIbLb0EES12_IbLb1EEEEDaSY_SZ_EUlSY_E_NS1_11comp_targetILNS1_3genE3ELNS1_11target_archE908ELNS1_3gpuE7ELNS1_3repE0EEENS1_30default_config_static_selectorELNS0_4arch9wavefront6targetE1EEEvT1_, .Lfunc_end1988-_ZN7rocprim17ROCPRIM_400000_NS6detail17trampoline_kernelINS0_14default_configENS1_27scan_by_key_config_selectorIj11FixedVectorIiLj2EEEEZZNS1_16scan_by_key_implILNS1_25lookback_scan_determinismE0ELb0ES3_N6thrust23THRUST_200600_302600_NS6detail15normal_iteratorINSB_10device_ptrIjEEEENSD_INSE_IS6_EEEESI_S6_NSB_4plusIvEENSB_8equal_toIvEES6_EE10hipError_tPvRmT2_T3_T4_T5_mT6_T7_P12ihipStream_tbENKUlT_T0_E_clISt17integral_constantIbLb0EES12_IbLb1EEEEDaSY_SZ_EUlSY_E_NS1_11comp_targetILNS1_3genE3ELNS1_11target_archE908ELNS1_3gpuE7ELNS1_3repE0EEENS1_30default_config_static_selectorELNS0_4arch9wavefront6targetE1EEEvT1_
                                        ; -- End function
	.section	.AMDGPU.csdata,"",@progbits
; Kernel info:
; codeLenInByte = 0
; NumSgprs: 6
; NumVgprs: 0
; NumAgprs: 0
; TotalNumVgprs: 0
; ScratchSize: 0
; MemoryBound: 0
; FloatMode: 240
; IeeeMode: 1
; LDSByteSize: 0 bytes/workgroup (compile time only)
; SGPRBlocks: 0
; VGPRBlocks: 0
; NumSGPRsForWavesPerEU: 6
; NumVGPRsForWavesPerEU: 1
; AccumOffset: 4
; Occupancy: 8
; WaveLimiterHint : 0
; COMPUTE_PGM_RSRC2:SCRATCH_EN: 0
; COMPUTE_PGM_RSRC2:USER_SGPR: 2
; COMPUTE_PGM_RSRC2:TRAP_HANDLER: 0
; COMPUTE_PGM_RSRC2:TGID_X_EN: 1
; COMPUTE_PGM_RSRC2:TGID_Y_EN: 0
; COMPUTE_PGM_RSRC2:TGID_Z_EN: 0
; COMPUTE_PGM_RSRC2:TIDIG_COMP_CNT: 0
; COMPUTE_PGM_RSRC3_GFX90A:ACCUM_OFFSET: 0
; COMPUTE_PGM_RSRC3_GFX90A:TG_SPLIT: 0
	.section	.text._ZN7rocprim17ROCPRIM_400000_NS6detail17trampoline_kernelINS0_14default_configENS1_27scan_by_key_config_selectorIj11FixedVectorIiLj2EEEEZZNS1_16scan_by_key_implILNS1_25lookback_scan_determinismE0ELb0ES3_N6thrust23THRUST_200600_302600_NS6detail15normal_iteratorINSB_10device_ptrIjEEEENSD_INSE_IS6_EEEESI_S6_NSB_4plusIvEENSB_8equal_toIvEES6_EE10hipError_tPvRmT2_T3_T4_T5_mT6_T7_P12ihipStream_tbENKUlT_T0_E_clISt17integral_constantIbLb0EES12_IbLb1EEEEDaSY_SZ_EUlSY_E_NS1_11comp_targetILNS1_3genE2ELNS1_11target_archE906ELNS1_3gpuE6ELNS1_3repE0EEENS1_30default_config_static_selectorELNS0_4arch9wavefront6targetE1EEEvT1_,"axG",@progbits,_ZN7rocprim17ROCPRIM_400000_NS6detail17trampoline_kernelINS0_14default_configENS1_27scan_by_key_config_selectorIj11FixedVectorIiLj2EEEEZZNS1_16scan_by_key_implILNS1_25lookback_scan_determinismE0ELb0ES3_N6thrust23THRUST_200600_302600_NS6detail15normal_iteratorINSB_10device_ptrIjEEEENSD_INSE_IS6_EEEESI_S6_NSB_4plusIvEENSB_8equal_toIvEES6_EE10hipError_tPvRmT2_T3_T4_T5_mT6_T7_P12ihipStream_tbENKUlT_T0_E_clISt17integral_constantIbLb0EES12_IbLb1EEEEDaSY_SZ_EUlSY_E_NS1_11comp_targetILNS1_3genE2ELNS1_11target_archE906ELNS1_3gpuE6ELNS1_3repE0EEENS1_30default_config_static_selectorELNS0_4arch9wavefront6targetE1EEEvT1_,comdat
	.protected	_ZN7rocprim17ROCPRIM_400000_NS6detail17trampoline_kernelINS0_14default_configENS1_27scan_by_key_config_selectorIj11FixedVectorIiLj2EEEEZZNS1_16scan_by_key_implILNS1_25lookback_scan_determinismE0ELb0ES3_N6thrust23THRUST_200600_302600_NS6detail15normal_iteratorINSB_10device_ptrIjEEEENSD_INSE_IS6_EEEESI_S6_NSB_4plusIvEENSB_8equal_toIvEES6_EE10hipError_tPvRmT2_T3_T4_T5_mT6_T7_P12ihipStream_tbENKUlT_T0_E_clISt17integral_constantIbLb0EES12_IbLb1EEEEDaSY_SZ_EUlSY_E_NS1_11comp_targetILNS1_3genE2ELNS1_11target_archE906ELNS1_3gpuE6ELNS1_3repE0EEENS1_30default_config_static_selectorELNS0_4arch9wavefront6targetE1EEEvT1_ ; -- Begin function _ZN7rocprim17ROCPRIM_400000_NS6detail17trampoline_kernelINS0_14default_configENS1_27scan_by_key_config_selectorIj11FixedVectorIiLj2EEEEZZNS1_16scan_by_key_implILNS1_25lookback_scan_determinismE0ELb0ES3_N6thrust23THRUST_200600_302600_NS6detail15normal_iteratorINSB_10device_ptrIjEEEENSD_INSE_IS6_EEEESI_S6_NSB_4plusIvEENSB_8equal_toIvEES6_EE10hipError_tPvRmT2_T3_T4_T5_mT6_T7_P12ihipStream_tbENKUlT_T0_E_clISt17integral_constantIbLb0EES12_IbLb1EEEEDaSY_SZ_EUlSY_E_NS1_11comp_targetILNS1_3genE2ELNS1_11target_archE906ELNS1_3gpuE6ELNS1_3repE0EEENS1_30default_config_static_selectorELNS0_4arch9wavefront6targetE1EEEvT1_
	.globl	_ZN7rocprim17ROCPRIM_400000_NS6detail17trampoline_kernelINS0_14default_configENS1_27scan_by_key_config_selectorIj11FixedVectorIiLj2EEEEZZNS1_16scan_by_key_implILNS1_25lookback_scan_determinismE0ELb0ES3_N6thrust23THRUST_200600_302600_NS6detail15normal_iteratorINSB_10device_ptrIjEEEENSD_INSE_IS6_EEEESI_S6_NSB_4plusIvEENSB_8equal_toIvEES6_EE10hipError_tPvRmT2_T3_T4_T5_mT6_T7_P12ihipStream_tbENKUlT_T0_E_clISt17integral_constantIbLb0EES12_IbLb1EEEEDaSY_SZ_EUlSY_E_NS1_11comp_targetILNS1_3genE2ELNS1_11target_archE906ELNS1_3gpuE6ELNS1_3repE0EEENS1_30default_config_static_selectorELNS0_4arch9wavefront6targetE1EEEvT1_
	.p2align	8
	.type	_ZN7rocprim17ROCPRIM_400000_NS6detail17trampoline_kernelINS0_14default_configENS1_27scan_by_key_config_selectorIj11FixedVectorIiLj2EEEEZZNS1_16scan_by_key_implILNS1_25lookback_scan_determinismE0ELb0ES3_N6thrust23THRUST_200600_302600_NS6detail15normal_iteratorINSB_10device_ptrIjEEEENSD_INSE_IS6_EEEESI_S6_NSB_4plusIvEENSB_8equal_toIvEES6_EE10hipError_tPvRmT2_T3_T4_T5_mT6_T7_P12ihipStream_tbENKUlT_T0_E_clISt17integral_constantIbLb0EES12_IbLb1EEEEDaSY_SZ_EUlSY_E_NS1_11comp_targetILNS1_3genE2ELNS1_11target_archE906ELNS1_3gpuE6ELNS1_3repE0EEENS1_30default_config_static_selectorELNS0_4arch9wavefront6targetE1EEEvT1_,@function
_ZN7rocprim17ROCPRIM_400000_NS6detail17trampoline_kernelINS0_14default_configENS1_27scan_by_key_config_selectorIj11FixedVectorIiLj2EEEEZZNS1_16scan_by_key_implILNS1_25lookback_scan_determinismE0ELb0ES3_N6thrust23THRUST_200600_302600_NS6detail15normal_iteratorINSB_10device_ptrIjEEEENSD_INSE_IS6_EEEESI_S6_NSB_4plusIvEENSB_8equal_toIvEES6_EE10hipError_tPvRmT2_T3_T4_T5_mT6_T7_P12ihipStream_tbENKUlT_T0_E_clISt17integral_constantIbLb0EES12_IbLb1EEEEDaSY_SZ_EUlSY_E_NS1_11comp_targetILNS1_3genE2ELNS1_11target_archE906ELNS1_3gpuE6ELNS1_3repE0EEENS1_30default_config_static_selectorELNS0_4arch9wavefront6targetE1EEEvT1_: ; @_ZN7rocprim17ROCPRIM_400000_NS6detail17trampoline_kernelINS0_14default_configENS1_27scan_by_key_config_selectorIj11FixedVectorIiLj2EEEEZZNS1_16scan_by_key_implILNS1_25lookback_scan_determinismE0ELb0ES3_N6thrust23THRUST_200600_302600_NS6detail15normal_iteratorINSB_10device_ptrIjEEEENSD_INSE_IS6_EEEESI_S6_NSB_4plusIvEENSB_8equal_toIvEES6_EE10hipError_tPvRmT2_T3_T4_T5_mT6_T7_P12ihipStream_tbENKUlT_T0_E_clISt17integral_constantIbLb0EES12_IbLb1EEEEDaSY_SZ_EUlSY_E_NS1_11comp_targetILNS1_3genE2ELNS1_11target_archE906ELNS1_3gpuE6ELNS1_3repE0EEENS1_30default_config_static_selectorELNS0_4arch9wavefront6targetE1EEEvT1_
; %bb.0:
	.section	.rodata,"a",@progbits
	.p2align	6, 0x0
	.amdhsa_kernel _ZN7rocprim17ROCPRIM_400000_NS6detail17trampoline_kernelINS0_14default_configENS1_27scan_by_key_config_selectorIj11FixedVectorIiLj2EEEEZZNS1_16scan_by_key_implILNS1_25lookback_scan_determinismE0ELb0ES3_N6thrust23THRUST_200600_302600_NS6detail15normal_iteratorINSB_10device_ptrIjEEEENSD_INSE_IS6_EEEESI_S6_NSB_4plusIvEENSB_8equal_toIvEES6_EE10hipError_tPvRmT2_T3_T4_T5_mT6_T7_P12ihipStream_tbENKUlT_T0_E_clISt17integral_constantIbLb0EES12_IbLb1EEEEDaSY_SZ_EUlSY_E_NS1_11comp_targetILNS1_3genE2ELNS1_11target_archE906ELNS1_3gpuE6ELNS1_3repE0EEENS1_30default_config_static_selectorELNS0_4arch9wavefront6targetE1EEEvT1_
		.amdhsa_group_segment_fixed_size 0
		.amdhsa_private_segment_fixed_size 0
		.amdhsa_kernarg_size 120
		.amdhsa_user_sgpr_count 2
		.amdhsa_user_sgpr_dispatch_ptr 0
		.amdhsa_user_sgpr_queue_ptr 0
		.amdhsa_user_sgpr_kernarg_segment_ptr 1
		.amdhsa_user_sgpr_dispatch_id 0
		.amdhsa_user_sgpr_kernarg_preload_length 0
		.amdhsa_user_sgpr_kernarg_preload_offset 0
		.amdhsa_user_sgpr_private_segment_size 0
		.amdhsa_uses_dynamic_stack 0
		.amdhsa_enable_private_segment 0
		.amdhsa_system_sgpr_workgroup_id_x 1
		.amdhsa_system_sgpr_workgroup_id_y 0
		.amdhsa_system_sgpr_workgroup_id_z 0
		.amdhsa_system_sgpr_workgroup_info 0
		.amdhsa_system_vgpr_workitem_id 0
		.amdhsa_next_free_vgpr 1
		.amdhsa_next_free_sgpr 0
		.amdhsa_accum_offset 4
		.amdhsa_reserve_vcc 0
		.amdhsa_float_round_mode_32 0
		.amdhsa_float_round_mode_16_64 0
		.amdhsa_float_denorm_mode_32 3
		.amdhsa_float_denorm_mode_16_64 3
		.amdhsa_dx10_clamp 1
		.amdhsa_ieee_mode 1
		.amdhsa_fp16_overflow 0
		.amdhsa_tg_split 0
		.amdhsa_exception_fp_ieee_invalid_op 0
		.amdhsa_exception_fp_denorm_src 0
		.amdhsa_exception_fp_ieee_div_zero 0
		.amdhsa_exception_fp_ieee_overflow 0
		.amdhsa_exception_fp_ieee_underflow 0
		.amdhsa_exception_fp_ieee_inexact 0
		.amdhsa_exception_int_div_zero 0
	.end_amdhsa_kernel
	.section	.text._ZN7rocprim17ROCPRIM_400000_NS6detail17trampoline_kernelINS0_14default_configENS1_27scan_by_key_config_selectorIj11FixedVectorIiLj2EEEEZZNS1_16scan_by_key_implILNS1_25lookback_scan_determinismE0ELb0ES3_N6thrust23THRUST_200600_302600_NS6detail15normal_iteratorINSB_10device_ptrIjEEEENSD_INSE_IS6_EEEESI_S6_NSB_4plusIvEENSB_8equal_toIvEES6_EE10hipError_tPvRmT2_T3_T4_T5_mT6_T7_P12ihipStream_tbENKUlT_T0_E_clISt17integral_constantIbLb0EES12_IbLb1EEEEDaSY_SZ_EUlSY_E_NS1_11comp_targetILNS1_3genE2ELNS1_11target_archE906ELNS1_3gpuE6ELNS1_3repE0EEENS1_30default_config_static_selectorELNS0_4arch9wavefront6targetE1EEEvT1_,"axG",@progbits,_ZN7rocprim17ROCPRIM_400000_NS6detail17trampoline_kernelINS0_14default_configENS1_27scan_by_key_config_selectorIj11FixedVectorIiLj2EEEEZZNS1_16scan_by_key_implILNS1_25lookback_scan_determinismE0ELb0ES3_N6thrust23THRUST_200600_302600_NS6detail15normal_iteratorINSB_10device_ptrIjEEEENSD_INSE_IS6_EEEESI_S6_NSB_4plusIvEENSB_8equal_toIvEES6_EE10hipError_tPvRmT2_T3_T4_T5_mT6_T7_P12ihipStream_tbENKUlT_T0_E_clISt17integral_constantIbLb0EES12_IbLb1EEEEDaSY_SZ_EUlSY_E_NS1_11comp_targetILNS1_3genE2ELNS1_11target_archE906ELNS1_3gpuE6ELNS1_3repE0EEENS1_30default_config_static_selectorELNS0_4arch9wavefront6targetE1EEEvT1_,comdat
.Lfunc_end1989:
	.size	_ZN7rocprim17ROCPRIM_400000_NS6detail17trampoline_kernelINS0_14default_configENS1_27scan_by_key_config_selectorIj11FixedVectorIiLj2EEEEZZNS1_16scan_by_key_implILNS1_25lookback_scan_determinismE0ELb0ES3_N6thrust23THRUST_200600_302600_NS6detail15normal_iteratorINSB_10device_ptrIjEEEENSD_INSE_IS6_EEEESI_S6_NSB_4plusIvEENSB_8equal_toIvEES6_EE10hipError_tPvRmT2_T3_T4_T5_mT6_T7_P12ihipStream_tbENKUlT_T0_E_clISt17integral_constantIbLb0EES12_IbLb1EEEEDaSY_SZ_EUlSY_E_NS1_11comp_targetILNS1_3genE2ELNS1_11target_archE906ELNS1_3gpuE6ELNS1_3repE0EEENS1_30default_config_static_selectorELNS0_4arch9wavefront6targetE1EEEvT1_, .Lfunc_end1989-_ZN7rocprim17ROCPRIM_400000_NS6detail17trampoline_kernelINS0_14default_configENS1_27scan_by_key_config_selectorIj11FixedVectorIiLj2EEEEZZNS1_16scan_by_key_implILNS1_25lookback_scan_determinismE0ELb0ES3_N6thrust23THRUST_200600_302600_NS6detail15normal_iteratorINSB_10device_ptrIjEEEENSD_INSE_IS6_EEEESI_S6_NSB_4plusIvEENSB_8equal_toIvEES6_EE10hipError_tPvRmT2_T3_T4_T5_mT6_T7_P12ihipStream_tbENKUlT_T0_E_clISt17integral_constantIbLb0EES12_IbLb1EEEEDaSY_SZ_EUlSY_E_NS1_11comp_targetILNS1_3genE2ELNS1_11target_archE906ELNS1_3gpuE6ELNS1_3repE0EEENS1_30default_config_static_selectorELNS0_4arch9wavefront6targetE1EEEvT1_
                                        ; -- End function
	.section	.AMDGPU.csdata,"",@progbits
; Kernel info:
; codeLenInByte = 0
; NumSgprs: 6
; NumVgprs: 0
; NumAgprs: 0
; TotalNumVgprs: 0
; ScratchSize: 0
; MemoryBound: 0
; FloatMode: 240
; IeeeMode: 1
; LDSByteSize: 0 bytes/workgroup (compile time only)
; SGPRBlocks: 0
; VGPRBlocks: 0
; NumSGPRsForWavesPerEU: 6
; NumVGPRsForWavesPerEU: 1
; AccumOffset: 4
; Occupancy: 8
; WaveLimiterHint : 0
; COMPUTE_PGM_RSRC2:SCRATCH_EN: 0
; COMPUTE_PGM_RSRC2:USER_SGPR: 2
; COMPUTE_PGM_RSRC2:TRAP_HANDLER: 0
; COMPUTE_PGM_RSRC2:TGID_X_EN: 1
; COMPUTE_PGM_RSRC2:TGID_Y_EN: 0
; COMPUTE_PGM_RSRC2:TGID_Z_EN: 0
; COMPUTE_PGM_RSRC2:TIDIG_COMP_CNT: 0
; COMPUTE_PGM_RSRC3_GFX90A:ACCUM_OFFSET: 0
; COMPUTE_PGM_RSRC3_GFX90A:TG_SPLIT: 0
	.section	.text._ZN7rocprim17ROCPRIM_400000_NS6detail17trampoline_kernelINS0_14default_configENS1_27scan_by_key_config_selectorIj11FixedVectorIiLj2EEEEZZNS1_16scan_by_key_implILNS1_25lookback_scan_determinismE0ELb0ES3_N6thrust23THRUST_200600_302600_NS6detail15normal_iteratorINSB_10device_ptrIjEEEENSD_INSE_IS6_EEEESI_S6_NSB_4plusIvEENSB_8equal_toIvEES6_EE10hipError_tPvRmT2_T3_T4_T5_mT6_T7_P12ihipStream_tbENKUlT_T0_E_clISt17integral_constantIbLb0EES12_IbLb1EEEEDaSY_SZ_EUlSY_E_NS1_11comp_targetILNS1_3genE10ELNS1_11target_archE1200ELNS1_3gpuE4ELNS1_3repE0EEENS1_30default_config_static_selectorELNS0_4arch9wavefront6targetE1EEEvT1_,"axG",@progbits,_ZN7rocprim17ROCPRIM_400000_NS6detail17trampoline_kernelINS0_14default_configENS1_27scan_by_key_config_selectorIj11FixedVectorIiLj2EEEEZZNS1_16scan_by_key_implILNS1_25lookback_scan_determinismE0ELb0ES3_N6thrust23THRUST_200600_302600_NS6detail15normal_iteratorINSB_10device_ptrIjEEEENSD_INSE_IS6_EEEESI_S6_NSB_4plusIvEENSB_8equal_toIvEES6_EE10hipError_tPvRmT2_T3_T4_T5_mT6_T7_P12ihipStream_tbENKUlT_T0_E_clISt17integral_constantIbLb0EES12_IbLb1EEEEDaSY_SZ_EUlSY_E_NS1_11comp_targetILNS1_3genE10ELNS1_11target_archE1200ELNS1_3gpuE4ELNS1_3repE0EEENS1_30default_config_static_selectorELNS0_4arch9wavefront6targetE1EEEvT1_,comdat
	.protected	_ZN7rocprim17ROCPRIM_400000_NS6detail17trampoline_kernelINS0_14default_configENS1_27scan_by_key_config_selectorIj11FixedVectorIiLj2EEEEZZNS1_16scan_by_key_implILNS1_25lookback_scan_determinismE0ELb0ES3_N6thrust23THRUST_200600_302600_NS6detail15normal_iteratorINSB_10device_ptrIjEEEENSD_INSE_IS6_EEEESI_S6_NSB_4plusIvEENSB_8equal_toIvEES6_EE10hipError_tPvRmT2_T3_T4_T5_mT6_T7_P12ihipStream_tbENKUlT_T0_E_clISt17integral_constantIbLb0EES12_IbLb1EEEEDaSY_SZ_EUlSY_E_NS1_11comp_targetILNS1_3genE10ELNS1_11target_archE1200ELNS1_3gpuE4ELNS1_3repE0EEENS1_30default_config_static_selectorELNS0_4arch9wavefront6targetE1EEEvT1_ ; -- Begin function _ZN7rocprim17ROCPRIM_400000_NS6detail17trampoline_kernelINS0_14default_configENS1_27scan_by_key_config_selectorIj11FixedVectorIiLj2EEEEZZNS1_16scan_by_key_implILNS1_25lookback_scan_determinismE0ELb0ES3_N6thrust23THRUST_200600_302600_NS6detail15normal_iteratorINSB_10device_ptrIjEEEENSD_INSE_IS6_EEEESI_S6_NSB_4plusIvEENSB_8equal_toIvEES6_EE10hipError_tPvRmT2_T3_T4_T5_mT6_T7_P12ihipStream_tbENKUlT_T0_E_clISt17integral_constantIbLb0EES12_IbLb1EEEEDaSY_SZ_EUlSY_E_NS1_11comp_targetILNS1_3genE10ELNS1_11target_archE1200ELNS1_3gpuE4ELNS1_3repE0EEENS1_30default_config_static_selectorELNS0_4arch9wavefront6targetE1EEEvT1_
	.globl	_ZN7rocprim17ROCPRIM_400000_NS6detail17trampoline_kernelINS0_14default_configENS1_27scan_by_key_config_selectorIj11FixedVectorIiLj2EEEEZZNS1_16scan_by_key_implILNS1_25lookback_scan_determinismE0ELb0ES3_N6thrust23THRUST_200600_302600_NS6detail15normal_iteratorINSB_10device_ptrIjEEEENSD_INSE_IS6_EEEESI_S6_NSB_4plusIvEENSB_8equal_toIvEES6_EE10hipError_tPvRmT2_T3_T4_T5_mT6_T7_P12ihipStream_tbENKUlT_T0_E_clISt17integral_constantIbLb0EES12_IbLb1EEEEDaSY_SZ_EUlSY_E_NS1_11comp_targetILNS1_3genE10ELNS1_11target_archE1200ELNS1_3gpuE4ELNS1_3repE0EEENS1_30default_config_static_selectorELNS0_4arch9wavefront6targetE1EEEvT1_
	.p2align	8
	.type	_ZN7rocprim17ROCPRIM_400000_NS6detail17trampoline_kernelINS0_14default_configENS1_27scan_by_key_config_selectorIj11FixedVectorIiLj2EEEEZZNS1_16scan_by_key_implILNS1_25lookback_scan_determinismE0ELb0ES3_N6thrust23THRUST_200600_302600_NS6detail15normal_iteratorINSB_10device_ptrIjEEEENSD_INSE_IS6_EEEESI_S6_NSB_4plusIvEENSB_8equal_toIvEES6_EE10hipError_tPvRmT2_T3_T4_T5_mT6_T7_P12ihipStream_tbENKUlT_T0_E_clISt17integral_constantIbLb0EES12_IbLb1EEEEDaSY_SZ_EUlSY_E_NS1_11comp_targetILNS1_3genE10ELNS1_11target_archE1200ELNS1_3gpuE4ELNS1_3repE0EEENS1_30default_config_static_selectorELNS0_4arch9wavefront6targetE1EEEvT1_,@function
_ZN7rocprim17ROCPRIM_400000_NS6detail17trampoline_kernelINS0_14default_configENS1_27scan_by_key_config_selectorIj11FixedVectorIiLj2EEEEZZNS1_16scan_by_key_implILNS1_25lookback_scan_determinismE0ELb0ES3_N6thrust23THRUST_200600_302600_NS6detail15normal_iteratorINSB_10device_ptrIjEEEENSD_INSE_IS6_EEEESI_S6_NSB_4plusIvEENSB_8equal_toIvEES6_EE10hipError_tPvRmT2_T3_T4_T5_mT6_T7_P12ihipStream_tbENKUlT_T0_E_clISt17integral_constantIbLb0EES12_IbLb1EEEEDaSY_SZ_EUlSY_E_NS1_11comp_targetILNS1_3genE10ELNS1_11target_archE1200ELNS1_3gpuE4ELNS1_3repE0EEENS1_30default_config_static_selectorELNS0_4arch9wavefront6targetE1EEEvT1_: ; @_ZN7rocprim17ROCPRIM_400000_NS6detail17trampoline_kernelINS0_14default_configENS1_27scan_by_key_config_selectorIj11FixedVectorIiLj2EEEEZZNS1_16scan_by_key_implILNS1_25lookback_scan_determinismE0ELb0ES3_N6thrust23THRUST_200600_302600_NS6detail15normal_iteratorINSB_10device_ptrIjEEEENSD_INSE_IS6_EEEESI_S6_NSB_4plusIvEENSB_8equal_toIvEES6_EE10hipError_tPvRmT2_T3_T4_T5_mT6_T7_P12ihipStream_tbENKUlT_T0_E_clISt17integral_constantIbLb0EES12_IbLb1EEEEDaSY_SZ_EUlSY_E_NS1_11comp_targetILNS1_3genE10ELNS1_11target_archE1200ELNS1_3gpuE4ELNS1_3repE0EEENS1_30default_config_static_selectorELNS0_4arch9wavefront6targetE1EEEvT1_
; %bb.0:
	.section	.rodata,"a",@progbits
	.p2align	6, 0x0
	.amdhsa_kernel _ZN7rocprim17ROCPRIM_400000_NS6detail17trampoline_kernelINS0_14default_configENS1_27scan_by_key_config_selectorIj11FixedVectorIiLj2EEEEZZNS1_16scan_by_key_implILNS1_25lookback_scan_determinismE0ELb0ES3_N6thrust23THRUST_200600_302600_NS6detail15normal_iteratorINSB_10device_ptrIjEEEENSD_INSE_IS6_EEEESI_S6_NSB_4plusIvEENSB_8equal_toIvEES6_EE10hipError_tPvRmT2_T3_T4_T5_mT6_T7_P12ihipStream_tbENKUlT_T0_E_clISt17integral_constantIbLb0EES12_IbLb1EEEEDaSY_SZ_EUlSY_E_NS1_11comp_targetILNS1_3genE10ELNS1_11target_archE1200ELNS1_3gpuE4ELNS1_3repE0EEENS1_30default_config_static_selectorELNS0_4arch9wavefront6targetE1EEEvT1_
		.amdhsa_group_segment_fixed_size 0
		.amdhsa_private_segment_fixed_size 0
		.amdhsa_kernarg_size 120
		.amdhsa_user_sgpr_count 2
		.amdhsa_user_sgpr_dispatch_ptr 0
		.amdhsa_user_sgpr_queue_ptr 0
		.amdhsa_user_sgpr_kernarg_segment_ptr 1
		.amdhsa_user_sgpr_dispatch_id 0
		.amdhsa_user_sgpr_kernarg_preload_length 0
		.amdhsa_user_sgpr_kernarg_preload_offset 0
		.amdhsa_user_sgpr_private_segment_size 0
		.amdhsa_uses_dynamic_stack 0
		.amdhsa_enable_private_segment 0
		.amdhsa_system_sgpr_workgroup_id_x 1
		.amdhsa_system_sgpr_workgroup_id_y 0
		.amdhsa_system_sgpr_workgroup_id_z 0
		.amdhsa_system_sgpr_workgroup_info 0
		.amdhsa_system_vgpr_workitem_id 0
		.amdhsa_next_free_vgpr 1
		.amdhsa_next_free_sgpr 0
		.amdhsa_accum_offset 4
		.amdhsa_reserve_vcc 0
		.amdhsa_float_round_mode_32 0
		.amdhsa_float_round_mode_16_64 0
		.amdhsa_float_denorm_mode_32 3
		.amdhsa_float_denorm_mode_16_64 3
		.amdhsa_dx10_clamp 1
		.amdhsa_ieee_mode 1
		.amdhsa_fp16_overflow 0
		.amdhsa_tg_split 0
		.amdhsa_exception_fp_ieee_invalid_op 0
		.amdhsa_exception_fp_denorm_src 0
		.amdhsa_exception_fp_ieee_div_zero 0
		.amdhsa_exception_fp_ieee_overflow 0
		.amdhsa_exception_fp_ieee_underflow 0
		.amdhsa_exception_fp_ieee_inexact 0
		.amdhsa_exception_int_div_zero 0
	.end_amdhsa_kernel
	.section	.text._ZN7rocprim17ROCPRIM_400000_NS6detail17trampoline_kernelINS0_14default_configENS1_27scan_by_key_config_selectorIj11FixedVectorIiLj2EEEEZZNS1_16scan_by_key_implILNS1_25lookback_scan_determinismE0ELb0ES3_N6thrust23THRUST_200600_302600_NS6detail15normal_iteratorINSB_10device_ptrIjEEEENSD_INSE_IS6_EEEESI_S6_NSB_4plusIvEENSB_8equal_toIvEES6_EE10hipError_tPvRmT2_T3_T4_T5_mT6_T7_P12ihipStream_tbENKUlT_T0_E_clISt17integral_constantIbLb0EES12_IbLb1EEEEDaSY_SZ_EUlSY_E_NS1_11comp_targetILNS1_3genE10ELNS1_11target_archE1200ELNS1_3gpuE4ELNS1_3repE0EEENS1_30default_config_static_selectorELNS0_4arch9wavefront6targetE1EEEvT1_,"axG",@progbits,_ZN7rocprim17ROCPRIM_400000_NS6detail17trampoline_kernelINS0_14default_configENS1_27scan_by_key_config_selectorIj11FixedVectorIiLj2EEEEZZNS1_16scan_by_key_implILNS1_25lookback_scan_determinismE0ELb0ES3_N6thrust23THRUST_200600_302600_NS6detail15normal_iteratorINSB_10device_ptrIjEEEENSD_INSE_IS6_EEEESI_S6_NSB_4plusIvEENSB_8equal_toIvEES6_EE10hipError_tPvRmT2_T3_T4_T5_mT6_T7_P12ihipStream_tbENKUlT_T0_E_clISt17integral_constantIbLb0EES12_IbLb1EEEEDaSY_SZ_EUlSY_E_NS1_11comp_targetILNS1_3genE10ELNS1_11target_archE1200ELNS1_3gpuE4ELNS1_3repE0EEENS1_30default_config_static_selectorELNS0_4arch9wavefront6targetE1EEEvT1_,comdat
.Lfunc_end1990:
	.size	_ZN7rocprim17ROCPRIM_400000_NS6detail17trampoline_kernelINS0_14default_configENS1_27scan_by_key_config_selectorIj11FixedVectorIiLj2EEEEZZNS1_16scan_by_key_implILNS1_25lookback_scan_determinismE0ELb0ES3_N6thrust23THRUST_200600_302600_NS6detail15normal_iteratorINSB_10device_ptrIjEEEENSD_INSE_IS6_EEEESI_S6_NSB_4plusIvEENSB_8equal_toIvEES6_EE10hipError_tPvRmT2_T3_T4_T5_mT6_T7_P12ihipStream_tbENKUlT_T0_E_clISt17integral_constantIbLb0EES12_IbLb1EEEEDaSY_SZ_EUlSY_E_NS1_11comp_targetILNS1_3genE10ELNS1_11target_archE1200ELNS1_3gpuE4ELNS1_3repE0EEENS1_30default_config_static_selectorELNS0_4arch9wavefront6targetE1EEEvT1_, .Lfunc_end1990-_ZN7rocprim17ROCPRIM_400000_NS6detail17trampoline_kernelINS0_14default_configENS1_27scan_by_key_config_selectorIj11FixedVectorIiLj2EEEEZZNS1_16scan_by_key_implILNS1_25lookback_scan_determinismE0ELb0ES3_N6thrust23THRUST_200600_302600_NS6detail15normal_iteratorINSB_10device_ptrIjEEEENSD_INSE_IS6_EEEESI_S6_NSB_4plusIvEENSB_8equal_toIvEES6_EE10hipError_tPvRmT2_T3_T4_T5_mT6_T7_P12ihipStream_tbENKUlT_T0_E_clISt17integral_constantIbLb0EES12_IbLb1EEEEDaSY_SZ_EUlSY_E_NS1_11comp_targetILNS1_3genE10ELNS1_11target_archE1200ELNS1_3gpuE4ELNS1_3repE0EEENS1_30default_config_static_selectorELNS0_4arch9wavefront6targetE1EEEvT1_
                                        ; -- End function
	.section	.AMDGPU.csdata,"",@progbits
; Kernel info:
; codeLenInByte = 0
; NumSgprs: 6
; NumVgprs: 0
; NumAgprs: 0
; TotalNumVgprs: 0
; ScratchSize: 0
; MemoryBound: 0
; FloatMode: 240
; IeeeMode: 1
; LDSByteSize: 0 bytes/workgroup (compile time only)
; SGPRBlocks: 0
; VGPRBlocks: 0
; NumSGPRsForWavesPerEU: 6
; NumVGPRsForWavesPerEU: 1
; AccumOffset: 4
; Occupancy: 8
; WaveLimiterHint : 0
; COMPUTE_PGM_RSRC2:SCRATCH_EN: 0
; COMPUTE_PGM_RSRC2:USER_SGPR: 2
; COMPUTE_PGM_RSRC2:TRAP_HANDLER: 0
; COMPUTE_PGM_RSRC2:TGID_X_EN: 1
; COMPUTE_PGM_RSRC2:TGID_Y_EN: 0
; COMPUTE_PGM_RSRC2:TGID_Z_EN: 0
; COMPUTE_PGM_RSRC2:TIDIG_COMP_CNT: 0
; COMPUTE_PGM_RSRC3_GFX90A:ACCUM_OFFSET: 0
; COMPUTE_PGM_RSRC3_GFX90A:TG_SPLIT: 0
	.section	.text._ZN7rocprim17ROCPRIM_400000_NS6detail17trampoline_kernelINS0_14default_configENS1_27scan_by_key_config_selectorIj11FixedVectorIiLj2EEEEZZNS1_16scan_by_key_implILNS1_25lookback_scan_determinismE0ELb0ES3_N6thrust23THRUST_200600_302600_NS6detail15normal_iteratorINSB_10device_ptrIjEEEENSD_INSE_IS6_EEEESI_S6_NSB_4plusIvEENSB_8equal_toIvEES6_EE10hipError_tPvRmT2_T3_T4_T5_mT6_T7_P12ihipStream_tbENKUlT_T0_E_clISt17integral_constantIbLb0EES12_IbLb1EEEEDaSY_SZ_EUlSY_E_NS1_11comp_targetILNS1_3genE9ELNS1_11target_archE1100ELNS1_3gpuE3ELNS1_3repE0EEENS1_30default_config_static_selectorELNS0_4arch9wavefront6targetE1EEEvT1_,"axG",@progbits,_ZN7rocprim17ROCPRIM_400000_NS6detail17trampoline_kernelINS0_14default_configENS1_27scan_by_key_config_selectorIj11FixedVectorIiLj2EEEEZZNS1_16scan_by_key_implILNS1_25lookback_scan_determinismE0ELb0ES3_N6thrust23THRUST_200600_302600_NS6detail15normal_iteratorINSB_10device_ptrIjEEEENSD_INSE_IS6_EEEESI_S6_NSB_4plusIvEENSB_8equal_toIvEES6_EE10hipError_tPvRmT2_T3_T4_T5_mT6_T7_P12ihipStream_tbENKUlT_T0_E_clISt17integral_constantIbLb0EES12_IbLb1EEEEDaSY_SZ_EUlSY_E_NS1_11comp_targetILNS1_3genE9ELNS1_11target_archE1100ELNS1_3gpuE3ELNS1_3repE0EEENS1_30default_config_static_selectorELNS0_4arch9wavefront6targetE1EEEvT1_,comdat
	.protected	_ZN7rocprim17ROCPRIM_400000_NS6detail17trampoline_kernelINS0_14default_configENS1_27scan_by_key_config_selectorIj11FixedVectorIiLj2EEEEZZNS1_16scan_by_key_implILNS1_25lookback_scan_determinismE0ELb0ES3_N6thrust23THRUST_200600_302600_NS6detail15normal_iteratorINSB_10device_ptrIjEEEENSD_INSE_IS6_EEEESI_S6_NSB_4plusIvEENSB_8equal_toIvEES6_EE10hipError_tPvRmT2_T3_T4_T5_mT6_T7_P12ihipStream_tbENKUlT_T0_E_clISt17integral_constantIbLb0EES12_IbLb1EEEEDaSY_SZ_EUlSY_E_NS1_11comp_targetILNS1_3genE9ELNS1_11target_archE1100ELNS1_3gpuE3ELNS1_3repE0EEENS1_30default_config_static_selectorELNS0_4arch9wavefront6targetE1EEEvT1_ ; -- Begin function _ZN7rocprim17ROCPRIM_400000_NS6detail17trampoline_kernelINS0_14default_configENS1_27scan_by_key_config_selectorIj11FixedVectorIiLj2EEEEZZNS1_16scan_by_key_implILNS1_25lookback_scan_determinismE0ELb0ES3_N6thrust23THRUST_200600_302600_NS6detail15normal_iteratorINSB_10device_ptrIjEEEENSD_INSE_IS6_EEEESI_S6_NSB_4plusIvEENSB_8equal_toIvEES6_EE10hipError_tPvRmT2_T3_T4_T5_mT6_T7_P12ihipStream_tbENKUlT_T0_E_clISt17integral_constantIbLb0EES12_IbLb1EEEEDaSY_SZ_EUlSY_E_NS1_11comp_targetILNS1_3genE9ELNS1_11target_archE1100ELNS1_3gpuE3ELNS1_3repE0EEENS1_30default_config_static_selectorELNS0_4arch9wavefront6targetE1EEEvT1_
	.globl	_ZN7rocprim17ROCPRIM_400000_NS6detail17trampoline_kernelINS0_14default_configENS1_27scan_by_key_config_selectorIj11FixedVectorIiLj2EEEEZZNS1_16scan_by_key_implILNS1_25lookback_scan_determinismE0ELb0ES3_N6thrust23THRUST_200600_302600_NS6detail15normal_iteratorINSB_10device_ptrIjEEEENSD_INSE_IS6_EEEESI_S6_NSB_4plusIvEENSB_8equal_toIvEES6_EE10hipError_tPvRmT2_T3_T4_T5_mT6_T7_P12ihipStream_tbENKUlT_T0_E_clISt17integral_constantIbLb0EES12_IbLb1EEEEDaSY_SZ_EUlSY_E_NS1_11comp_targetILNS1_3genE9ELNS1_11target_archE1100ELNS1_3gpuE3ELNS1_3repE0EEENS1_30default_config_static_selectorELNS0_4arch9wavefront6targetE1EEEvT1_
	.p2align	8
	.type	_ZN7rocprim17ROCPRIM_400000_NS6detail17trampoline_kernelINS0_14default_configENS1_27scan_by_key_config_selectorIj11FixedVectorIiLj2EEEEZZNS1_16scan_by_key_implILNS1_25lookback_scan_determinismE0ELb0ES3_N6thrust23THRUST_200600_302600_NS6detail15normal_iteratorINSB_10device_ptrIjEEEENSD_INSE_IS6_EEEESI_S6_NSB_4plusIvEENSB_8equal_toIvEES6_EE10hipError_tPvRmT2_T3_T4_T5_mT6_T7_P12ihipStream_tbENKUlT_T0_E_clISt17integral_constantIbLb0EES12_IbLb1EEEEDaSY_SZ_EUlSY_E_NS1_11comp_targetILNS1_3genE9ELNS1_11target_archE1100ELNS1_3gpuE3ELNS1_3repE0EEENS1_30default_config_static_selectorELNS0_4arch9wavefront6targetE1EEEvT1_,@function
_ZN7rocprim17ROCPRIM_400000_NS6detail17trampoline_kernelINS0_14default_configENS1_27scan_by_key_config_selectorIj11FixedVectorIiLj2EEEEZZNS1_16scan_by_key_implILNS1_25lookback_scan_determinismE0ELb0ES3_N6thrust23THRUST_200600_302600_NS6detail15normal_iteratorINSB_10device_ptrIjEEEENSD_INSE_IS6_EEEESI_S6_NSB_4plusIvEENSB_8equal_toIvEES6_EE10hipError_tPvRmT2_T3_T4_T5_mT6_T7_P12ihipStream_tbENKUlT_T0_E_clISt17integral_constantIbLb0EES12_IbLb1EEEEDaSY_SZ_EUlSY_E_NS1_11comp_targetILNS1_3genE9ELNS1_11target_archE1100ELNS1_3gpuE3ELNS1_3repE0EEENS1_30default_config_static_selectorELNS0_4arch9wavefront6targetE1EEEvT1_: ; @_ZN7rocprim17ROCPRIM_400000_NS6detail17trampoline_kernelINS0_14default_configENS1_27scan_by_key_config_selectorIj11FixedVectorIiLj2EEEEZZNS1_16scan_by_key_implILNS1_25lookback_scan_determinismE0ELb0ES3_N6thrust23THRUST_200600_302600_NS6detail15normal_iteratorINSB_10device_ptrIjEEEENSD_INSE_IS6_EEEESI_S6_NSB_4plusIvEENSB_8equal_toIvEES6_EE10hipError_tPvRmT2_T3_T4_T5_mT6_T7_P12ihipStream_tbENKUlT_T0_E_clISt17integral_constantIbLb0EES12_IbLb1EEEEDaSY_SZ_EUlSY_E_NS1_11comp_targetILNS1_3genE9ELNS1_11target_archE1100ELNS1_3gpuE3ELNS1_3repE0EEENS1_30default_config_static_selectorELNS0_4arch9wavefront6targetE1EEEvT1_
; %bb.0:
	.section	.rodata,"a",@progbits
	.p2align	6, 0x0
	.amdhsa_kernel _ZN7rocprim17ROCPRIM_400000_NS6detail17trampoline_kernelINS0_14default_configENS1_27scan_by_key_config_selectorIj11FixedVectorIiLj2EEEEZZNS1_16scan_by_key_implILNS1_25lookback_scan_determinismE0ELb0ES3_N6thrust23THRUST_200600_302600_NS6detail15normal_iteratorINSB_10device_ptrIjEEEENSD_INSE_IS6_EEEESI_S6_NSB_4plusIvEENSB_8equal_toIvEES6_EE10hipError_tPvRmT2_T3_T4_T5_mT6_T7_P12ihipStream_tbENKUlT_T0_E_clISt17integral_constantIbLb0EES12_IbLb1EEEEDaSY_SZ_EUlSY_E_NS1_11comp_targetILNS1_3genE9ELNS1_11target_archE1100ELNS1_3gpuE3ELNS1_3repE0EEENS1_30default_config_static_selectorELNS0_4arch9wavefront6targetE1EEEvT1_
		.amdhsa_group_segment_fixed_size 0
		.amdhsa_private_segment_fixed_size 0
		.amdhsa_kernarg_size 120
		.amdhsa_user_sgpr_count 2
		.amdhsa_user_sgpr_dispatch_ptr 0
		.amdhsa_user_sgpr_queue_ptr 0
		.amdhsa_user_sgpr_kernarg_segment_ptr 1
		.amdhsa_user_sgpr_dispatch_id 0
		.amdhsa_user_sgpr_kernarg_preload_length 0
		.amdhsa_user_sgpr_kernarg_preload_offset 0
		.amdhsa_user_sgpr_private_segment_size 0
		.amdhsa_uses_dynamic_stack 0
		.amdhsa_enable_private_segment 0
		.amdhsa_system_sgpr_workgroup_id_x 1
		.amdhsa_system_sgpr_workgroup_id_y 0
		.amdhsa_system_sgpr_workgroup_id_z 0
		.amdhsa_system_sgpr_workgroup_info 0
		.amdhsa_system_vgpr_workitem_id 0
		.amdhsa_next_free_vgpr 1
		.amdhsa_next_free_sgpr 0
		.amdhsa_accum_offset 4
		.amdhsa_reserve_vcc 0
		.amdhsa_float_round_mode_32 0
		.amdhsa_float_round_mode_16_64 0
		.amdhsa_float_denorm_mode_32 3
		.amdhsa_float_denorm_mode_16_64 3
		.amdhsa_dx10_clamp 1
		.amdhsa_ieee_mode 1
		.amdhsa_fp16_overflow 0
		.amdhsa_tg_split 0
		.amdhsa_exception_fp_ieee_invalid_op 0
		.amdhsa_exception_fp_denorm_src 0
		.amdhsa_exception_fp_ieee_div_zero 0
		.amdhsa_exception_fp_ieee_overflow 0
		.amdhsa_exception_fp_ieee_underflow 0
		.amdhsa_exception_fp_ieee_inexact 0
		.amdhsa_exception_int_div_zero 0
	.end_amdhsa_kernel
	.section	.text._ZN7rocprim17ROCPRIM_400000_NS6detail17trampoline_kernelINS0_14default_configENS1_27scan_by_key_config_selectorIj11FixedVectorIiLj2EEEEZZNS1_16scan_by_key_implILNS1_25lookback_scan_determinismE0ELb0ES3_N6thrust23THRUST_200600_302600_NS6detail15normal_iteratorINSB_10device_ptrIjEEEENSD_INSE_IS6_EEEESI_S6_NSB_4plusIvEENSB_8equal_toIvEES6_EE10hipError_tPvRmT2_T3_T4_T5_mT6_T7_P12ihipStream_tbENKUlT_T0_E_clISt17integral_constantIbLb0EES12_IbLb1EEEEDaSY_SZ_EUlSY_E_NS1_11comp_targetILNS1_3genE9ELNS1_11target_archE1100ELNS1_3gpuE3ELNS1_3repE0EEENS1_30default_config_static_selectorELNS0_4arch9wavefront6targetE1EEEvT1_,"axG",@progbits,_ZN7rocprim17ROCPRIM_400000_NS6detail17trampoline_kernelINS0_14default_configENS1_27scan_by_key_config_selectorIj11FixedVectorIiLj2EEEEZZNS1_16scan_by_key_implILNS1_25lookback_scan_determinismE0ELb0ES3_N6thrust23THRUST_200600_302600_NS6detail15normal_iteratorINSB_10device_ptrIjEEEENSD_INSE_IS6_EEEESI_S6_NSB_4plusIvEENSB_8equal_toIvEES6_EE10hipError_tPvRmT2_T3_T4_T5_mT6_T7_P12ihipStream_tbENKUlT_T0_E_clISt17integral_constantIbLb0EES12_IbLb1EEEEDaSY_SZ_EUlSY_E_NS1_11comp_targetILNS1_3genE9ELNS1_11target_archE1100ELNS1_3gpuE3ELNS1_3repE0EEENS1_30default_config_static_selectorELNS0_4arch9wavefront6targetE1EEEvT1_,comdat
.Lfunc_end1991:
	.size	_ZN7rocprim17ROCPRIM_400000_NS6detail17trampoline_kernelINS0_14default_configENS1_27scan_by_key_config_selectorIj11FixedVectorIiLj2EEEEZZNS1_16scan_by_key_implILNS1_25lookback_scan_determinismE0ELb0ES3_N6thrust23THRUST_200600_302600_NS6detail15normal_iteratorINSB_10device_ptrIjEEEENSD_INSE_IS6_EEEESI_S6_NSB_4plusIvEENSB_8equal_toIvEES6_EE10hipError_tPvRmT2_T3_T4_T5_mT6_T7_P12ihipStream_tbENKUlT_T0_E_clISt17integral_constantIbLb0EES12_IbLb1EEEEDaSY_SZ_EUlSY_E_NS1_11comp_targetILNS1_3genE9ELNS1_11target_archE1100ELNS1_3gpuE3ELNS1_3repE0EEENS1_30default_config_static_selectorELNS0_4arch9wavefront6targetE1EEEvT1_, .Lfunc_end1991-_ZN7rocprim17ROCPRIM_400000_NS6detail17trampoline_kernelINS0_14default_configENS1_27scan_by_key_config_selectorIj11FixedVectorIiLj2EEEEZZNS1_16scan_by_key_implILNS1_25lookback_scan_determinismE0ELb0ES3_N6thrust23THRUST_200600_302600_NS6detail15normal_iteratorINSB_10device_ptrIjEEEENSD_INSE_IS6_EEEESI_S6_NSB_4plusIvEENSB_8equal_toIvEES6_EE10hipError_tPvRmT2_T3_T4_T5_mT6_T7_P12ihipStream_tbENKUlT_T0_E_clISt17integral_constantIbLb0EES12_IbLb1EEEEDaSY_SZ_EUlSY_E_NS1_11comp_targetILNS1_3genE9ELNS1_11target_archE1100ELNS1_3gpuE3ELNS1_3repE0EEENS1_30default_config_static_selectorELNS0_4arch9wavefront6targetE1EEEvT1_
                                        ; -- End function
	.section	.AMDGPU.csdata,"",@progbits
; Kernel info:
; codeLenInByte = 0
; NumSgprs: 6
; NumVgprs: 0
; NumAgprs: 0
; TotalNumVgprs: 0
; ScratchSize: 0
; MemoryBound: 0
; FloatMode: 240
; IeeeMode: 1
; LDSByteSize: 0 bytes/workgroup (compile time only)
; SGPRBlocks: 0
; VGPRBlocks: 0
; NumSGPRsForWavesPerEU: 6
; NumVGPRsForWavesPerEU: 1
; AccumOffset: 4
; Occupancy: 8
; WaveLimiterHint : 0
; COMPUTE_PGM_RSRC2:SCRATCH_EN: 0
; COMPUTE_PGM_RSRC2:USER_SGPR: 2
; COMPUTE_PGM_RSRC2:TRAP_HANDLER: 0
; COMPUTE_PGM_RSRC2:TGID_X_EN: 1
; COMPUTE_PGM_RSRC2:TGID_Y_EN: 0
; COMPUTE_PGM_RSRC2:TGID_Z_EN: 0
; COMPUTE_PGM_RSRC2:TIDIG_COMP_CNT: 0
; COMPUTE_PGM_RSRC3_GFX90A:ACCUM_OFFSET: 0
; COMPUTE_PGM_RSRC3_GFX90A:TG_SPLIT: 0
	.section	.text._ZN7rocprim17ROCPRIM_400000_NS6detail17trampoline_kernelINS0_14default_configENS1_27scan_by_key_config_selectorIj11FixedVectorIiLj2EEEEZZNS1_16scan_by_key_implILNS1_25lookback_scan_determinismE0ELb0ES3_N6thrust23THRUST_200600_302600_NS6detail15normal_iteratorINSB_10device_ptrIjEEEENSD_INSE_IS6_EEEESI_S6_NSB_4plusIvEENSB_8equal_toIvEES6_EE10hipError_tPvRmT2_T3_T4_T5_mT6_T7_P12ihipStream_tbENKUlT_T0_E_clISt17integral_constantIbLb0EES12_IbLb1EEEEDaSY_SZ_EUlSY_E_NS1_11comp_targetILNS1_3genE8ELNS1_11target_archE1030ELNS1_3gpuE2ELNS1_3repE0EEENS1_30default_config_static_selectorELNS0_4arch9wavefront6targetE1EEEvT1_,"axG",@progbits,_ZN7rocprim17ROCPRIM_400000_NS6detail17trampoline_kernelINS0_14default_configENS1_27scan_by_key_config_selectorIj11FixedVectorIiLj2EEEEZZNS1_16scan_by_key_implILNS1_25lookback_scan_determinismE0ELb0ES3_N6thrust23THRUST_200600_302600_NS6detail15normal_iteratorINSB_10device_ptrIjEEEENSD_INSE_IS6_EEEESI_S6_NSB_4plusIvEENSB_8equal_toIvEES6_EE10hipError_tPvRmT2_T3_T4_T5_mT6_T7_P12ihipStream_tbENKUlT_T0_E_clISt17integral_constantIbLb0EES12_IbLb1EEEEDaSY_SZ_EUlSY_E_NS1_11comp_targetILNS1_3genE8ELNS1_11target_archE1030ELNS1_3gpuE2ELNS1_3repE0EEENS1_30default_config_static_selectorELNS0_4arch9wavefront6targetE1EEEvT1_,comdat
	.protected	_ZN7rocprim17ROCPRIM_400000_NS6detail17trampoline_kernelINS0_14default_configENS1_27scan_by_key_config_selectorIj11FixedVectorIiLj2EEEEZZNS1_16scan_by_key_implILNS1_25lookback_scan_determinismE0ELb0ES3_N6thrust23THRUST_200600_302600_NS6detail15normal_iteratorINSB_10device_ptrIjEEEENSD_INSE_IS6_EEEESI_S6_NSB_4plusIvEENSB_8equal_toIvEES6_EE10hipError_tPvRmT2_T3_T4_T5_mT6_T7_P12ihipStream_tbENKUlT_T0_E_clISt17integral_constantIbLb0EES12_IbLb1EEEEDaSY_SZ_EUlSY_E_NS1_11comp_targetILNS1_3genE8ELNS1_11target_archE1030ELNS1_3gpuE2ELNS1_3repE0EEENS1_30default_config_static_selectorELNS0_4arch9wavefront6targetE1EEEvT1_ ; -- Begin function _ZN7rocprim17ROCPRIM_400000_NS6detail17trampoline_kernelINS0_14default_configENS1_27scan_by_key_config_selectorIj11FixedVectorIiLj2EEEEZZNS1_16scan_by_key_implILNS1_25lookback_scan_determinismE0ELb0ES3_N6thrust23THRUST_200600_302600_NS6detail15normal_iteratorINSB_10device_ptrIjEEEENSD_INSE_IS6_EEEESI_S6_NSB_4plusIvEENSB_8equal_toIvEES6_EE10hipError_tPvRmT2_T3_T4_T5_mT6_T7_P12ihipStream_tbENKUlT_T0_E_clISt17integral_constantIbLb0EES12_IbLb1EEEEDaSY_SZ_EUlSY_E_NS1_11comp_targetILNS1_3genE8ELNS1_11target_archE1030ELNS1_3gpuE2ELNS1_3repE0EEENS1_30default_config_static_selectorELNS0_4arch9wavefront6targetE1EEEvT1_
	.globl	_ZN7rocprim17ROCPRIM_400000_NS6detail17trampoline_kernelINS0_14default_configENS1_27scan_by_key_config_selectorIj11FixedVectorIiLj2EEEEZZNS1_16scan_by_key_implILNS1_25lookback_scan_determinismE0ELb0ES3_N6thrust23THRUST_200600_302600_NS6detail15normal_iteratorINSB_10device_ptrIjEEEENSD_INSE_IS6_EEEESI_S6_NSB_4plusIvEENSB_8equal_toIvEES6_EE10hipError_tPvRmT2_T3_T4_T5_mT6_T7_P12ihipStream_tbENKUlT_T0_E_clISt17integral_constantIbLb0EES12_IbLb1EEEEDaSY_SZ_EUlSY_E_NS1_11comp_targetILNS1_3genE8ELNS1_11target_archE1030ELNS1_3gpuE2ELNS1_3repE0EEENS1_30default_config_static_selectorELNS0_4arch9wavefront6targetE1EEEvT1_
	.p2align	8
	.type	_ZN7rocprim17ROCPRIM_400000_NS6detail17trampoline_kernelINS0_14default_configENS1_27scan_by_key_config_selectorIj11FixedVectorIiLj2EEEEZZNS1_16scan_by_key_implILNS1_25lookback_scan_determinismE0ELb0ES3_N6thrust23THRUST_200600_302600_NS6detail15normal_iteratorINSB_10device_ptrIjEEEENSD_INSE_IS6_EEEESI_S6_NSB_4plusIvEENSB_8equal_toIvEES6_EE10hipError_tPvRmT2_T3_T4_T5_mT6_T7_P12ihipStream_tbENKUlT_T0_E_clISt17integral_constantIbLb0EES12_IbLb1EEEEDaSY_SZ_EUlSY_E_NS1_11comp_targetILNS1_3genE8ELNS1_11target_archE1030ELNS1_3gpuE2ELNS1_3repE0EEENS1_30default_config_static_selectorELNS0_4arch9wavefront6targetE1EEEvT1_,@function
_ZN7rocprim17ROCPRIM_400000_NS6detail17trampoline_kernelINS0_14default_configENS1_27scan_by_key_config_selectorIj11FixedVectorIiLj2EEEEZZNS1_16scan_by_key_implILNS1_25lookback_scan_determinismE0ELb0ES3_N6thrust23THRUST_200600_302600_NS6detail15normal_iteratorINSB_10device_ptrIjEEEENSD_INSE_IS6_EEEESI_S6_NSB_4plusIvEENSB_8equal_toIvEES6_EE10hipError_tPvRmT2_T3_T4_T5_mT6_T7_P12ihipStream_tbENKUlT_T0_E_clISt17integral_constantIbLb0EES12_IbLb1EEEEDaSY_SZ_EUlSY_E_NS1_11comp_targetILNS1_3genE8ELNS1_11target_archE1030ELNS1_3gpuE2ELNS1_3repE0EEENS1_30default_config_static_selectorELNS0_4arch9wavefront6targetE1EEEvT1_: ; @_ZN7rocprim17ROCPRIM_400000_NS6detail17trampoline_kernelINS0_14default_configENS1_27scan_by_key_config_selectorIj11FixedVectorIiLj2EEEEZZNS1_16scan_by_key_implILNS1_25lookback_scan_determinismE0ELb0ES3_N6thrust23THRUST_200600_302600_NS6detail15normal_iteratorINSB_10device_ptrIjEEEENSD_INSE_IS6_EEEESI_S6_NSB_4plusIvEENSB_8equal_toIvEES6_EE10hipError_tPvRmT2_T3_T4_T5_mT6_T7_P12ihipStream_tbENKUlT_T0_E_clISt17integral_constantIbLb0EES12_IbLb1EEEEDaSY_SZ_EUlSY_E_NS1_11comp_targetILNS1_3genE8ELNS1_11target_archE1030ELNS1_3gpuE2ELNS1_3repE0EEENS1_30default_config_static_selectorELNS0_4arch9wavefront6targetE1EEEvT1_
; %bb.0:
	.section	.rodata,"a",@progbits
	.p2align	6, 0x0
	.amdhsa_kernel _ZN7rocprim17ROCPRIM_400000_NS6detail17trampoline_kernelINS0_14default_configENS1_27scan_by_key_config_selectorIj11FixedVectorIiLj2EEEEZZNS1_16scan_by_key_implILNS1_25lookback_scan_determinismE0ELb0ES3_N6thrust23THRUST_200600_302600_NS6detail15normal_iteratorINSB_10device_ptrIjEEEENSD_INSE_IS6_EEEESI_S6_NSB_4plusIvEENSB_8equal_toIvEES6_EE10hipError_tPvRmT2_T3_T4_T5_mT6_T7_P12ihipStream_tbENKUlT_T0_E_clISt17integral_constantIbLb0EES12_IbLb1EEEEDaSY_SZ_EUlSY_E_NS1_11comp_targetILNS1_3genE8ELNS1_11target_archE1030ELNS1_3gpuE2ELNS1_3repE0EEENS1_30default_config_static_selectorELNS0_4arch9wavefront6targetE1EEEvT1_
		.amdhsa_group_segment_fixed_size 0
		.amdhsa_private_segment_fixed_size 0
		.amdhsa_kernarg_size 120
		.amdhsa_user_sgpr_count 2
		.amdhsa_user_sgpr_dispatch_ptr 0
		.amdhsa_user_sgpr_queue_ptr 0
		.amdhsa_user_sgpr_kernarg_segment_ptr 1
		.amdhsa_user_sgpr_dispatch_id 0
		.amdhsa_user_sgpr_kernarg_preload_length 0
		.amdhsa_user_sgpr_kernarg_preload_offset 0
		.amdhsa_user_sgpr_private_segment_size 0
		.amdhsa_uses_dynamic_stack 0
		.amdhsa_enable_private_segment 0
		.amdhsa_system_sgpr_workgroup_id_x 1
		.amdhsa_system_sgpr_workgroup_id_y 0
		.amdhsa_system_sgpr_workgroup_id_z 0
		.amdhsa_system_sgpr_workgroup_info 0
		.amdhsa_system_vgpr_workitem_id 0
		.amdhsa_next_free_vgpr 1
		.amdhsa_next_free_sgpr 0
		.amdhsa_accum_offset 4
		.amdhsa_reserve_vcc 0
		.amdhsa_float_round_mode_32 0
		.amdhsa_float_round_mode_16_64 0
		.amdhsa_float_denorm_mode_32 3
		.amdhsa_float_denorm_mode_16_64 3
		.amdhsa_dx10_clamp 1
		.amdhsa_ieee_mode 1
		.amdhsa_fp16_overflow 0
		.amdhsa_tg_split 0
		.amdhsa_exception_fp_ieee_invalid_op 0
		.amdhsa_exception_fp_denorm_src 0
		.amdhsa_exception_fp_ieee_div_zero 0
		.amdhsa_exception_fp_ieee_overflow 0
		.amdhsa_exception_fp_ieee_underflow 0
		.amdhsa_exception_fp_ieee_inexact 0
		.amdhsa_exception_int_div_zero 0
	.end_amdhsa_kernel
	.section	.text._ZN7rocprim17ROCPRIM_400000_NS6detail17trampoline_kernelINS0_14default_configENS1_27scan_by_key_config_selectorIj11FixedVectorIiLj2EEEEZZNS1_16scan_by_key_implILNS1_25lookback_scan_determinismE0ELb0ES3_N6thrust23THRUST_200600_302600_NS6detail15normal_iteratorINSB_10device_ptrIjEEEENSD_INSE_IS6_EEEESI_S6_NSB_4plusIvEENSB_8equal_toIvEES6_EE10hipError_tPvRmT2_T3_T4_T5_mT6_T7_P12ihipStream_tbENKUlT_T0_E_clISt17integral_constantIbLb0EES12_IbLb1EEEEDaSY_SZ_EUlSY_E_NS1_11comp_targetILNS1_3genE8ELNS1_11target_archE1030ELNS1_3gpuE2ELNS1_3repE0EEENS1_30default_config_static_selectorELNS0_4arch9wavefront6targetE1EEEvT1_,"axG",@progbits,_ZN7rocprim17ROCPRIM_400000_NS6detail17trampoline_kernelINS0_14default_configENS1_27scan_by_key_config_selectorIj11FixedVectorIiLj2EEEEZZNS1_16scan_by_key_implILNS1_25lookback_scan_determinismE0ELb0ES3_N6thrust23THRUST_200600_302600_NS6detail15normal_iteratorINSB_10device_ptrIjEEEENSD_INSE_IS6_EEEESI_S6_NSB_4plusIvEENSB_8equal_toIvEES6_EE10hipError_tPvRmT2_T3_T4_T5_mT6_T7_P12ihipStream_tbENKUlT_T0_E_clISt17integral_constantIbLb0EES12_IbLb1EEEEDaSY_SZ_EUlSY_E_NS1_11comp_targetILNS1_3genE8ELNS1_11target_archE1030ELNS1_3gpuE2ELNS1_3repE0EEENS1_30default_config_static_selectorELNS0_4arch9wavefront6targetE1EEEvT1_,comdat
.Lfunc_end1992:
	.size	_ZN7rocprim17ROCPRIM_400000_NS6detail17trampoline_kernelINS0_14default_configENS1_27scan_by_key_config_selectorIj11FixedVectorIiLj2EEEEZZNS1_16scan_by_key_implILNS1_25lookback_scan_determinismE0ELb0ES3_N6thrust23THRUST_200600_302600_NS6detail15normal_iteratorINSB_10device_ptrIjEEEENSD_INSE_IS6_EEEESI_S6_NSB_4plusIvEENSB_8equal_toIvEES6_EE10hipError_tPvRmT2_T3_T4_T5_mT6_T7_P12ihipStream_tbENKUlT_T0_E_clISt17integral_constantIbLb0EES12_IbLb1EEEEDaSY_SZ_EUlSY_E_NS1_11comp_targetILNS1_3genE8ELNS1_11target_archE1030ELNS1_3gpuE2ELNS1_3repE0EEENS1_30default_config_static_selectorELNS0_4arch9wavefront6targetE1EEEvT1_, .Lfunc_end1992-_ZN7rocprim17ROCPRIM_400000_NS6detail17trampoline_kernelINS0_14default_configENS1_27scan_by_key_config_selectorIj11FixedVectorIiLj2EEEEZZNS1_16scan_by_key_implILNS1_25lookback_scan_determinismE0ELb0ES3_N6thrust23THRUST_200600_302600_NS6detail15normal_iteratorINSB_10device_ptrIjEEEENSD_INSE_IS6_EEEESI_S6_NSB_4plusIvEENSB_8equal_toIvEES6_EE10hipError_tPvRmT2_T3_T4_T5_mT6_T7_P12ihipStream_tbENKUlT_T0_E_clISt17integral_constantIbLb0EES12_IbLb1EEEEDaSY_SZ_EUlSY_E_NS1_11comp_targetILNS1_3genE8ELNS1_11target_archE1030ELNS1_3gpuE2ELNS1_3repE0EEENS1_30default_config_static_selectorELNS0_4arch9wavefront6targetE1EEEvT1_
                                        ; -- End function
	.section	.AMDGPU.csdata,"",@progbits
; Kernel info:
; codeLenInByte = 0
; NumSgprs: 6
; NumVgprs: 0
; NumAgprs: 0
; TotalNumVgprs: 0
; ScratchSize: 0
; MemoryBound: 0
; FloatMode: 240
; IeeeMode: 1
; LDSByteSize: 0 bytes/workgroup (compile time only)
; SGPRBlocks: 0
; VGPRBlocks: 0
; NumSGPRsForWavesPerEU: 6
; NumVGPRsForWavesPerEU: 1
; AccumOffset: 4
; Occupancy: 8
; WaveLimiterHint : 0
; COMPUTE_PGM_RSRC2:SCRATCH_EN: 0
; COMPUTE_PGM_RSRC2:USER_SGPR: 2
; COMPUTE_PGM_RSRC2:TRAP_HANDLER: 0
; COMPUTE_PGM_RSRC2:TGID_X_EN: 1
; COMPUTE_PGM_RSRC2:TGID_Y_EN: 0
; COMPUTE_PGM_RSRC2:TGID_Z_EN: 0
; COMPUTE_PGM_RSRC2:TIDIG_COMP_CNT: 0
; COMPUTE_PGM_RSRC3_GFX90A:ACCUM_OFFSET: 0
; COMPUTE_PGM_RSRC3_GFX90A:TG_SPLIT: 0
	.section	.text._ZN7rocprim17ROCPRIM_400000_NS6detail17trampoline_kernelINS0_14default_configENS1_27scan_by_key_config_selectorIj11FixedVectorIiLj2EEEEZZNS1_16scan_by_key_implILNS1_25lookback_scan_determinismE0ELb1ES3_N6thrust23THRUST_200600_302600_NS6detail15normal_iteratorINSB_10device_ptrIjEEEENSD_INSE_IS6_EEEESI_S6_NSB_4plusIvEENSB_8equal_toIvEES6_EE10hipError_tPvRmT2_T3_T4_T5_mT6_T7_P12ihipStream_tbENKUlT_T0_E_clISt17integral_constantIbLb0EES13_EEDaSY_SZ_EUlSY_E_NS1_11comp_targetILNS1_3genE0ELNS1_11target_archE4294967295ELNS1_3gpuE0ELNS1_3repE0EEENS1_30default_config_static_selectorELNS0_4arch9wavefront6targetE1EEEvT1_,"axG",@progbits,_ZN7rocprim17ROCPRIM_400000_NS6detail17trampoline_kernelINS0_14default_configENS1_27scan_by_key_config_selectorIj11FixedVectorIiLj2EEEEZZNS1_16scan_by_key_implILNS1_25lookback_scan_determinismE0ELb1ES3_N6thrust23THRUST_200600_302600_NS6detail15normal_iteratorINSB_10device_ptrIjEEEENSD_INSE_IS6_EEEESI_S6_NSB_4plusIvEENSB_8equal_toIvEES6_EE10hipError_tPvRmT2_T3_T4_T5_mT6_T7_P12ihipStream_tbENKUlT_T0_E_clISt17integral_constantIbLb0EES13_EEDaSY_SZ_EUlSY_E_NS1_11comp_targetILNS1_3genE0ELNS1_11target_archE4294967295ELNS1_3gpuE0ELNS1_3repE0EEENS1_30default_config_static_selectorELNS0_4arch9wavefront6targetE1EEEvT1_,comdat
	.protected	_ZN7rocprim17ROCPRIM_400000_NS6detail17trampoline_kernelINS0_14default_configENS1_27scan_by_key_config_selectorIj11FixedVectorIiLj2EEEEZZNS1_16scan_by_key_implILNS1_25lookback_scan_determinismE0ELb1ES3_N6thrust23THRUST_200600_302600_NS6detail15normal_iteratorINSB_10device_ptrIjEEEENSD_INSE_IS6_EEEESI_S6_NSB_4plusIvEENSB_8equal_toIvEES6_EE10hipError_tPvRmT2_T3_T4_T5_mT6_T7_P12ihipStream_tbENKUlT_T0_E_clISt17integral_constantIbLb0EES13_EEDaSY_SZ_EUlSY_E_NS1_11comp_targetILNS1_3genE0ELNS1_11target_archE4294967295ELNS1_3gpuE0ELNS1_3repE0EEENS1_30default_config_static_selectorELNS0_4arch9wavefront6targetE1EEEvT1_ ; -- Begin function _ZN7rocprim17ROCPRIM_400000_NS6detail17trampoline_kernelINS0_14default_configENS1_27scan_by_key_config_selectorIj11FixedVectorIiLj2EEEEZZNS1_16scan_by_key_implILNS1_25lookback_scan_determinismE0ELb1ES3_N6thrust23THRUST_200600_302600_NS6detail15normal_iteratorINSB_10device_ptrIjEEEENSD_INSE_IS6_EEEESI_S6_NSB_4plusIvEENSB_8equal_toIvEES6_EE10hipError_tPvRmT2_T3_T4_T5_mT6_T7_P12ihipStream_tbENKUlT_T0_E_clISt17integral_constantIbLb0EES13_EEDaSY_SZ_EUlSY_E_NS1_11comp_targetILNS1_3genE0ELNS1_11target_archE4294967295ELNS1_3gpuE0ELNS1_3repE0EEENS1_30default_config_static_selectorELNS0_4arch9wavefront6targetE1EEEvT1_
	.globl	_ZN7rocprim17ROCPRIM_400000_NS6detail17trampoline_kernelINS0_14default_configENS1_27scan_by_key_config_selectorIj11FixedVectorIiLj2EEEEZZNS1_16scan_by_key_implILNS1_25lookback_scan_determinismE0ELb1ES3_N6thrust23THRUST_200600_302600_NS6detail15normal_iteratorINSB_10device_ptrIjEEEENSD_INSE_IS6_EEEESI_S6_NSB_4plusIvEENSB_8equal_toIvEES6_EE10hipError_tPvRmT2_T3_T4_T5_mT6_T7_P12ihipStream_tbENKUlT_T0_E_clISt17integral_constantIbLb0EES13_EEDaSY_SZ_EUlSY_E_NS1_11comp_targetILNS1_3genE0ELNS1_11target_archE4294967295ELNS1_3gpuE0ELNS1_3repE0EEENS1_30default_config_static_selectorELNS0_4arch9wavefront6targetE1EEEvT1_
	.p2align	8
	.type	_ZN7rocprim17ROCPRIM_400000_NS6detail17trampoline_kernelINS0_14default_configENS1_27scan_by_key_config_selectorIj11FixedVectorIiLj2EEEEZZNS1_16scan_by_key_implILNS1_25lookback_scan_determinismE0ELb1ES3_N6thrust23THRUST_200600_302600_NS6detail15normal_iteratorINSB_10device_ptrIjEEEENSD_INSE_IS6_EEEESI_S6_NSB_4plusIvEENSB_8equal_toIvEES6_EE10hipError_tPvRmT2_T3_T4_T5_mT6_T7_P12ihipStream_tbENKUlT_T0_E_clISt17integral_constantIbLb0EES13_EEDaSY_SZ_EUlSY_E_NS1_11comp_targetILNS1_3genE0ELNS1_11target_archE4294967295ELNS1_3gpuE0ELNS1_3repE0EEENS1_30default_config_static_selectorELNS0_4arch9wavefront6targetE1EEEvT1_,@function
_ZN7rocprim17ROCPRIM_400000_NS6detail17trampoline_kernelINS0_14default_configENS1_27scan_by_key_config_selectorIj11FixedVectorIiLj2EEEEZZNS1_16scan_by_key_implILNS1_25lookback_scan_determinismE0ELb1ES3_N6thrust23THRUST_200600_302600_NS6detail15normal_iteratorINSB_10device_ptrIjEEEENSD_INSE_IS6_EEEESI_S6_NSB_4plusIvEENSB_8equal_toIvEES6_EE10hipError_tPvRmT2_T3_T4_T5_mT6_T7_P12ihipStream_tbENKUlT_T0_E_clISt17integral_constantIbLb0EES13_EEDaSY_SZ_EUlSY_E_NS1_11comp_targetILNS1_3genE0ELNS1_11target_archE4294967295ELNS1_3gpuE0ELNS1_3repE0EEENS1_30default_config_static_selectorELNS0_4arch9wavefront6targetE1EEEvT1_: ; @_ZN7rocprim17ROCPRIM_400000_NS6detail17trampoline_kernelINS0_14default_configENS1_27scan_by_key_config_selectorIj11FixedVectorIiLj2EEEEZZNS1_16scan_by_key_implILNS1_25lookback_scan_determinismE0ELb1ES3_N6thrust23THRUST_200600_302600_NS6detail15normal_iteratorINSB_10device_ptrIjEEEENSD_INSE_IS6_EEEESI_S6_NSB_4plusIvEENSB_8equal_toIvEES6_EE10hipError_tPvRmT2_T3_T4_T5_mT6_T7_P12ihipStream_tbENKUlT_T0_E_clISt17integral_constantIbLb0EES13_EEDaSY_SZ_EUlSY_E_NS1_11comp_targetILNS1_3genE0ELNS1_11target_archE4294967295ELNS1_3gpuE0ELNS1_3repE0EEENS1_30default_config_static_selectorELNS0_4arch9wavefront6targetE1EEEvT1_
; %bb.0:
	.section	.rodata,"a",@progbits
	.p2align	6, 0x0
	.amdhsa_kernel _ZN7rocprim17ROCPRIM_400000_NS6detail17trampoline_kernelINS0_14default_configENS1_27scan_by_key_config_selectorIj11FixedVectorIiLj2EEEEZZNS1_16scan_by_key_implILNS1_25lookback_scan_determinismE0ELb1ES3_N6thrust23THRUST_200600_302600_NS6detail15normal_iteratorINSB_10device_ptrIjEEEENSD_INSE_IS6_EEEESI_S6_NSB_4plusIvEENSB_8equal_toIvEES6_EE10hipError_tPvRmT2_T3_T4_T5_mT6_T7_P12ihipStream_tbENKUlT_T0_E_clISt17integral_constantIbLb0EES13_EEDaSY_SZ_EUlSY_E_NS1_11comp_targetILNS1_3genE0ELNS1_11target_archE4294967295ELNS1_3gpuE0ELNS1_3repE0EEENS1_30default_config_static_selectorELNS0_4arch9wavefront6targetE1EEEvT1_
		.amdhsa_group_segment_fixed_size 0
		.amdhsa_private_segment_fixed_size 0
		.amdhsa_kernarg_size 120
		.amdhsa_user_sgpr_count 2
		.amdhsa_user_sgpr_dispatch_ptr 0
		.amdhsa_user_sgpr_queue_ptr 0
		.amdhsa_user_sgpr_kernarg_segment_ptr 1
		.amdhsa_user_sgpr_dispatch_id 0
		.amdhsa_user_sgpr_kernarg_preload_length 0
		.amdhsa_user_sgpr_kernarg_preload_offset 0
		.amdhsa_user_sgpr_private_segment_size 0
		.amdhsa_uses_dynamic_stack 0
		.amdhsa_enable_private_segment 0
		.amdhsa_system_sgpr_workgroup_id_x 1
		.amdhsa_system_sgpr_workgroup_id_y 0
		.amdhsa_system_sgpr_workgroup_id_z 0
		.amdhsa_system_sgpr_workgroup_info 0
		.amdhsa_system_vgpr_workitem_id 0
		.amdhsa_next_free_vgpr 1
		.amdhsa_next_free_sgpr 0
		.amdhsa_accum_offset 4
		.amdhsa_reserve_vcc 0
		.amdhsa_float_round_mode_32 0
		.amdhsa_float_round_mode_16_64 0
		.amdhsa_float_denorm_mode_32 3
		.amdhsa_float_denorm_mode_16_64 3
		.amdhsa_dx10_clamp 1
		.amdhsa_ieee_mode 1
		.amdhsa_fp16_overflow 0
		.amdhsa_tg_split 0
		.amdhsa_exception_fp_ieee_invalid_op 0
		.amdhsa_exception_fp_denorm_src 0
		.amdhsa_exception_fp_ieee_div_zero 0
		.amdhsa_exception_fp_ieee_overflow 0
		.amdhsa_exception_fp_ieee_underflow 0
		.amdhsa_exception_fp_ieee_inexact 0
		.amdhsa_exception_int_div_zero 0
	.end_amdhsa_kernel
	.section	.text._ZN7rocprim17ROCPRIM_400000_NS6detail17trampoline_kernelINS0_14default_configENS1_27scan_by_key_config_selectorIj11FixedVectorIiLj2EEEEZZNS1_16scan_by_key_implILNS1_25lookback_scan_determinismE0ELb1ES3_N6thrust23THRUST_200600_302600_NS6detail15normal_iteratorINSB_10device_ptrIjEEEENSD_INSE_IS6_EEEESI_S6_NSB_4plusIvEENSB_8equal_toIvEES6_EE10hipError_tPvRmT2_T3_T4_T5_mT6_T7_P12ihipStream_tbENKUlT_T0_E_clISt17integral_constantIbLb0EES13_EEDaSY_SZ_EUlSY_E_NS1_11comp_targetILNS1_3genE0ELNS1_11target_archE4294967295ELNS1_3gpuE0ELNS1_3repE0EEENS1_30default_config_static_selectorELNS0_4arch9wavefront6targetE1EEEvT1_,"axG",@progbits,_ZN7rocprim17ROCPRIM_400000_NS6detail17trampoline_kernelINS0_14default_configENS1_27scan_by_key_config_selectorIj11FixedVectorIiLj2EEEEZZNS1_16scan_by_key_implILNS1_25lookback_scan_determinismE0ELb1ES3_N6thrust23THRUST_200600_302600_NS6detail15normal_iteratorINSB_10device_ptrIjEEEENSD_INSE_IS6_EEEESI_S6_NSB_4plusIvEENSB_8equal_toIvEES6_EE10hipError_tPvRmT2_T3_T4_T5_mT6_T7_P12ihipStream_tbENKUlT_T0_E_clISt17integral_constantIbLb0EES13_EEDaSY_SZ_EUlSY_E_NS1_11comp_targetILNS1_3genE0ELNS1_11target_archE4294967295ELNS1_3gpuE0ELNS1_3repE0EEENS1_30default_config_static_selectorELNS0_4arch9wavefront6targetE1EEEvT1_,comdat
.Lfunc_end1993:
	.size	_ZN7rocprim17ROCPRIM_400000_NS6detail17trampoline_kernelINS0_14default_configENS1_27scan_by_key_config_selectorIj11FixedVectorIiLj2EEEEZZNS1_16scan_by_key_implILNS1_25lookback_scan_determinismE0ELb1ES3_N6thrust23THRUST_200600_302600_NS6detail15normal_iteratorINSB_10device_ptrIjEEEENSD_INSE_IS6_EEEESI_S6_NSB_4plusIvEENSB_8equal_toIvEES6_EE10hipError_tPvRmT2_T3_T4_T5_mT6_T7_P12ihipStream_tbENKUlT_T0_E_clISt17integral_constantIbLb0EES13_EEDaSY_SZ_EUlSY_E_NS1_11comp_targetILNS1_3genE0ELNS1_11target_archE4294967295ELNS1_3gpuE0ELNS1_3repE0EEENS1_30default_config_static_selectorELNS0_4arch9wavefront6targetE1EEEvT1_, .Lfunc_end1993-_ZN7rocprim17ROCPRIM_400000_NS6detail17trampoline_kernelINS0_14default_configENS1_27scan_by_key_config_selectorIj11FixedVectorIiLj2EEEEZZNS1_16scan_by_key_implILNS1_25lookback_scan_determinismE0ELb1ES3_N6thrust23THRUST_200600_302600_NS6detail15normal_iteratorINSB_10device_ptrIjEEEENSD_INSE_IS6_EEEESI_S6_NSB_4plusIvEENSB_8equal_toIvEES6_EE10hipError_tPvRmT2_T3_T4_T5_mT6_T7_P12ihipStream_tbENKUlT_T0_E_clISt17integral_constantIbLb0EES13_EEDaSY_SZ_EUlSY_E_NS1_11comp_targetILNS1_3genE0ELNS1_11target_archE4294967295ELNS1_3gpuE0ELNS1_3repE0EEENS1_30default_config_static_selectorELNS0_4arch9wavefront6targetE1EEEvT1_
                                        ; -- End function
	.section	.AMDGPU.csdata,"",@progbits
; Kernel info:
; codeLenInByte = 0
; NumSgprs: 6
; NumVgprs: 0
; NumAgprs: 0
; TotalNumVgprs: 0
; ScratchSize: 0
; MemoryBound: 0
; FloatMode: 240
; IeeeMode: 1
; LDSByteSize: 0 bytes/workgroup (compile time only)
; SGPRBlocks: 0
; VGPRBlocks: 0
; NumSGPRsForWavesPerEU: 6
; NumVGPRsForWavesPerEU: 1
; AccumOffset: 4
; Occupancy: 8
; WaveLimiterHint : 0
; COMPUTE_PGM_RSRC2:SCRATCH_EN: 0
; COMPUTE_PGM_RSRC2:USER_SGPR: 2
; COMPUTE_PGM_RSRC2:TRAP_HANDLER: 0
; COMPUTE_PGM_RSRC2:TGID_X_EN: 1
; COMPUTE_PGM_RSRC2:TGID_Y_EN: 0
; COMPUTE_PGM_RSRC2:TGID_Z_EN: 0
; COMPUTE_PGM_RSRC2:TIDIG_COMP_CNT: 0
; COMPUTE_PGM_RSRC3_GFX90A:ACCUM_OFFSET: 0
; COMPUTE_PGM_RSRC3_GFX90A:TG_SPLIT: 0
	.section	.text._ZN7rocprim17ROCPRIM_400000_NS6detail17trampoline_kernelINS0_14default_configENS1_27scan_by_key_config_selectorIj11FixedVectorIiLj2EEEEZZNS1_16scan_by_key_implILNS1_25lookback_scan_determinismE0ELb1ES3_N6thrust23THRUST_200600_302600_NS6detail15normal_iteratorINSB_10device_ptrIjEEEENSD_INSE_IS6_EEEESI_S6_NSB_4plusIvEENSB_8equal_toIvEES6_EE10hipError_tPvRmT2_T3_T4_T5_mT6_T7_P12ihipStream_tbENKUlT_T0_E_clISt17integral_constantIbLb0EES13_EEDaSY_SZ_EUlSY_E_NS1_11comp_targetILNS1_3genE10ELNS1_11target_archE1201ELNS1_3gpuE5ELNS1_3repE0EEENS1_30default_config_static_selectorELNS0_4arch9wavefront6targetE1EEEvT1_,"axG",@progbits,_ZN7rocprim17ROCPRIM_400000_NS6detail17trampoline_kernelINS0_14default_configENS1_27scan_by_key_config_selectorIj11FixedVectorIiLj2EEEEZZNS1_16scan_by_key_implILNS1_25lookback_scan_determinismE0ELb1ES3_N6thrust23THRUST_200600_302600_NS6detail15normal_iteratorINSB_10device_ptrIjEEEENSD_INSE_IS6_EEEESI_S6_NSB_4plusIvEENSB_8equal_toIvEES6_EE10hipError_tPvRmT2_T3_T4_T5_mT6_T7_P12ihipStream_tbENKUlT_T0_E_clISt17integral_constantIbLb0EES13_EEDaSY_SZ_EUlSY_E_NS1_11comp_targetILNS1_3genE10ELNS1_11target_archE1201ELNS1_3gpuE5ELNS1_3repE0EEENS1_30default_config_static_selectorELNS0_4arch9wavefront6targetE1EEEvT1_,comdat
	.protected	_ZN7rocprim17ROCPRIM_400000_NS6detail17trampoline_kernelINS0_14default_configENS1_27scan_by_key_config_selectorIj11FixedVectorIiLj2EEEEZZNS1_16scan_by_key_implILNS1_25lookback_scan_determinismE0ELb1ES3_N6thrust23THRUST_200600_302600_NS6detail15normal_iteratorINSB_10device_ptrIjEEEENSD_INSE_IS6_EEEESI_S6_NSB_4plusIvEENSB_8equal_toIvEES6_EE10hipError_tPvRmT2_T3_T4_T5_mT6_T7_P12ihipStream_tbENKUlT_T0_E_clISt17integral_constantIbLb0EES13_EEDaSY_SZ_EUlSY_E_NS1_11comp_targetILNS1_3genE10ELNS1_11target_archE1201ELNS1_3gpuE5ELNS1_3repE0EEENS1_30default_config_static_selectorELNS0_4arch9wavefront6targetE1EEEvT1_ ; -- Begin function _ZN7rocprim17ROCPRIM_400000_NS6detail17trampoline_kernelINS0_14default_configENS1_27scan_by_key_config_selectorIj11FixedVectorIiLj2EEEEZZNS1_16scan_by_key_implILNS1_25lookback_scan_determinismE0ELb1ES3_N6thrust23THRUST_200600_302600_NS6detail15normal_iteratorINSB_10device_ptrIjEEEENSD_INSE_IS6_EEEESI_S6_NSB_4plusIvEENSB_8equal_toIvEES6_EE10hipError_tPvRmT2_T3_T4_T5_mT6_T7_P12ihipStream_tbENKUlT_T0_E_clISt17integral_constantIbLb0EES13_EEDaSY_SZ_EUlSY_E_NS1_11comp_targetILNS1_3genE10ELNS1_11target_archE1201ELNS1_3gpuE5ELNS1_3repE0EEENS1_30default_config_static_selectorELNS0_4arch9wavefront6targetE1EEEvT1_
	.globl	_ZN7rocprim17ROCPRIM_400000_NS6detail17trampoline_kernelINS0_14default_configENS1_27scan_by_key_config_selectorIj11FixedVectorIiLj2EEEEZZNS1_16scan_by_key_implILNS1_25lookback_scan_determinismE0ELb1ES3_N6thrust23THRUST_200600_302600_NS6detail15normal_iteratorINSB_10device_ptrIjEEEENSD_INSE_IS6_EEEESI_S6_NSB_4plusIvEENSB_8equal_toIvEES6_EE10hipError_tPvRmT2_T3_T4_T5_mT6_T7_P12ihipStream_tbENKUlT_T0_E_clISt17integral_constantIbLb0EES13_EEDaSY_SZ_EUlSY_E_NS1_11comp_targetILNS1_3genE10ELNS1_11target_archE1201ELNS1_3gpuE5ELNS1_3repE0EEENS1_30default_config_static_selectorELNS0_4arch9wavefront6targetE1EEEvT1_
	.p2align	8
	.type	_ZN7rocprim17ROCPRIM_400000_NS6detail17trampoline_kernelINS0_14default_configENS1_27scan_by_key_config_selectorIj11FixedVectorIiLj2EEEEZZNS1_16scan_by_key_implILNS1_25lookback_scan_determinismE0ELb1ES3_N6thrust23THRUST_200600_302600_NS6detail15normal_iteratorINSB_10device_ptrIjEEEENSD_INSE_IS6_EEEESI_S6_NSB_4plusIvEENSB_8equal_toIvEES6_EE10hipError_tPvRmT2_T3_T4_T5_mT6_T7_P12ihipStream_tbENKUlT_T0_E_clISt17integral_constantIbLb0EES13_EEDaSY_SZ_EUlSY_E_NS1_11comp_targetILNS1_3genE10ELNS1_11target_archE1201ELNS1_3gpuE5ELNS1_3repE0EEENS1_30default_config_static_selectorELNS0_4arch9wavefront6targetE1EEEvT1_,@function
_ZN7rocprim17ROCPRIM_400000_NS6detail17trampoline_kernelINS0_14default_configENS1_27scan_by_key_config_selectorIj11FixedVectorIiLj2EEEEZZNS1_16scan_by_key_implILNS1_25lookback_scan_determinismE0ELb1ES3_N6thrust23THRUST_200600_302600_NS6detail15normal_iteratorINSB_10device_ptrIjEEEENSD_INSE_IS6_EEEESI_S6_NSB_4plusIvEENSB_8equal_toIvEES6_EE10hipError_tPvRmT2_T3_T4_T5_mT6_T7_P12ihipStream_tbENKUlT_T0_E_clISt17integral_constantIbLb0EES13_EEDaSY_SZ_EUlSY_E_NS1_11comp_targetILNS1_3genE10ELNS1_11target_archE1201ELNS1_3gpuE5ELNS1_3repE0EEENS1_30default_config_static_selectorELNS0_4arch9wavefront6targetE1EEEvT1_: ; @_ZN7rocprim17ROCPRIM_400000_NS6detail17trampoline_kernelINS0_14default_configENS1_27scan_by_key_config_selectorIj11FixedVectorIiLj2EEEEZZNS1_16scan_by_key_implILNS1_25lookback_scan_determinismE0ELb1ES3_N6thrust23THRUST_200600_302600_NS6detail15normal_iteratorINSB_10device_ptrIjEEEENSD_INSE_IS6_EEEESI_S6_NSB_4plusIvEENSB_8equal_toIvEES6_EE10hipError_tPvRmT2_T3_T4_T5_mT6_T7_P12ihipStream_tbENKUlT_T0_E_clISt17integral_constantIbLb0EES13_EEDaSY_SZ_EUlSY_E_NS1_11comp_targetILNS1_3genE10ELNS1_11target_archE1201ELNS1_3gpuE5ELNS1_3repE0EEENS1_30default_config_static_selectorELNS0_4arch9wavefront6targetE1EEEvT1_
; %bb.0:
	.section	.rodata,"a",@progbits
	.p2align	6, 0x0
	.amdhsa_kernel _ZN7rocprim17ROCPRIM_400000_NS6detail17trampoline_kernelINS0_14default_configENS1_27scan_by_key_config_selectorIj11FixedVectorIiLj2EEEEZZNS1_16scan_by_key_implILNS1_25lookback_scan_determinismE0ELb1ES3_N6thrust23THRUST_200600_302600_NS6detail15normal_iteratorINSB_10device_ptrIjEEEENSD_INSE_IS6_EEEESI_S6_NSB_4plusIvEENSB_8equal_toIvEES6_EE10hipError_tPvRmT2_T3_T4_T5_mT6_T7_P12ihipStream_tbENKUlT_T0_E_clISt17integral_constantIbLb0EES13_EEDaSY_SZ_EUlSY_E_NS1_11comp_targetILNS1_3genE10ELNS1_11target_archE1201ELNS1_3gpuE5ELNS1_3repE0EEENS1_30default_config_static_selectorELNS0_4arch9wavefront6targetE1EEEvT1_
		.amdhsa_group_segment_fixed_size 0
		.amdhsa_private_segment_fixed_size 0
		.amdhsa_kernarg_size 120
		.amdhsa_user_sgpr_count 2
		.amdhsa_user_sgpr_dispatch_ptr 0
		.amdhsa_user_sgpr_queue_ptr 0
		.amdhsa_user_sgpr_kernarg_segment_ptr 1
		.amdhsa_user_sgpr_dispatch_id 0
		.amdhsa_user_sgpr_kernarg_preload_length 0
		.amdhsa_user_sgpr_kernarg_preload_offset 0
		.amdhsa_user_sgpr_private_segment_size 0
		.amdhsa_uses_dynamic_stack 0
		.amdhsa_enable_private_segment 0
		.amdhsa_system_sgpr_workgroup_id_x 1
		.amdhsa_system_sgpr_workgroup_id_y 0
		.amdhsa_system_sgpr_workgroup_id_z 0
		.amdhsa_system_sgpr_workgroup_info 0
		.amdhsa_system_vgpr_workitem_id 0
		.amdhsa_next_free_vgpr 1
		.amdhsa_next_free_sgpr 0
		.amdhsa_accum_offset 4
		.amdhsa_reserve_vcc 0
		.amdhsa_float_round_mode_32 0
		.amdhsa_float_round_mode_16_64 0
		.amdhsa_float_denorm_mode_32 3
		.amdhsa_float_denorm_mode_16_64 3
		.amdhsa_dx10_clamp 1
		.amdhsa_ieee_mode 1
		.amdhsa_fp16_overflow 0
		.amdhsa_tg_split 0
		.amdhsa_exception_fp_ieee_invalid_op 0
		.amdhsa_exception_fp_denorm_src 0
		.amdhsa_exception_fp_ieee_div_zero 0
		.amdhsa_exception_fp_ieee_overflow 0
		.amdhsa_exception_fp_ieee_underflow 0
		.amdhsa_exception_fp_ieee_inexact 0
		.amdhsa_exception_int_div_zero 0
	.end_amdhsa_kernel
	.section	.text._ZN7rocprim17ROCPRIM_400000_NS6detail17trampoline_kernelINS0_14default_configENS1_27scan_by_key_config_selectorIj11FixedVectorIiLj2EEEEZZNS1_16scan_by_key_implILNS1_25lookback_scan_determinismE0ELb1ES3_N6thrust23THRUST_200600_302600_NS6detail15normal_iteratorINSB_10device_ptrIjEEEENSD_INSE_IS6_EEEESI_S6_NSB_4plusIvEENSB_8equal_toIvEES6_EE10hipError_tPvRmT2_T3_T4_T5_mT6_T7_P12ihipStream_tbENKUlT_T0_E_clISt17integral_constantIbLb0EES13_EEDaSY_SZ_EUlSY_E_NS1_11comp_targetILNS1_3genE10ELNS1_11target_archE1201ELNS1_3gpuE5ELNS1_3repE0EEENS1_30default_config_static_selectorELNS0_4arch9wavefront6targetE1EEEvT1_,"axG",@progbits,_ZN7rocprim17ROCPRIM_400000_NS6detail17trampoline_kernelINS0_14default_configENS1_27scan_by_key_config_selectorIj11FixedVectorIiLj2EEEEZZNS1_16scan_by_key_implILNS1_25lookback_scan_determinismE0ELb1ES3_N6thrust23THRUST_200600_302600_NS6detail15normal_iteratorINSB_10device_ptrIjEEEENSD_INSE_IS6_EEEESI_S6_NSB_4plusIvEENSB_8equal_toIvEES6_EE10hipError_tPvRmT2_T3_T4_T5_mT6_T7_P12ihipStream_tbENKUlT_T0_E_clISt17integral_constantIbLb0EES13_EEDaSY_SZ_EUlSY_E_NS1_11comp_targetILNS1_3genE10ELNS1_11target_archE1201ELNS1_3gpuE5ELNS1_3repE0EEENS1_30default_config_static_selectorELNS0_4arch9wavefront6targetE1EEEvT1_,comdat
.Lfunc_end1994:
	.size	_ZN7rocprim17ROCPRIM_400000_NS6detail17trampoline_kernelINS0_14default_configENS1_27scan_by_key_config_selectorIj11FixedVectorIiLj2EEEEZZNS1_16scan_by_key_implILNS1_25lookback_scan_determinismE0ELb1ES3_N6thrust23THRUST_200600_302600_NS6detail15normal_iteratorINSB_10device_ptrIjEEEENSD_INSE_IS6_EEEESI_S6_NSB_4plusIvEENSB_8equal_toIvEES6_EE10hipError_tPvRmT2_T3_T4_T5_mT6_T7_P12ihipStream_tbENKUlT_T0_E_clISt17integral_constantIbLb0EES13_EEDaSY_SZ_EUlSY_E_NS1_11comp_targetILNS1_3genE10ELNS1_11target_archE1201ELNS1_3gpuE5ELNS1_3repE0EEENS1_30default_config_static_selectorELNS0_4arch9wavefront6targetE1EEEvT1_, .Lfunc_end1994-_ZN7rocprim17ROCPRIM_400000_NS6detail17trampoline_kernelINS0_14default_configENS1_27scan_by_key_config_selectorIj11FixedVectorIiLj2EEEEZZNS1_16scan_by_key_implILNS1_25lookback_scan_determinismE0ELb1ES3_N6thrust23THRUST_200600_302600_NS6detail15normal_iteratorINSB_10device_ptrIjEEEENSD_INSE_IS6_EEEESI_S6_NSB_4plusIvEENSB_8equal_toIvEES6_EE10hipError_tPvRmT2_T3_T4_T5_mT6_T7_P12ihipStream_tbENKUlT_T0_E_clISt17integral_constantIbLb0EES13_EEDaSY_SZ_EUlSY_E_NS1_11comp_targetILNS1_3genE10ELNS1_11target_archE1201ELNS1_3gpuE5ELNS1_3repE0EEENS1_30default_config_static_selectorELNS0_4arch9wavefront6targetE1EEEvT1_
                                        ; -- End function
	.section	.AMDGPU.csdata,"",@progbits
; Kernel info:
; codeLenInByte = 0
; NumSgprs: 6
; NumVgprs: 0
; NumAgprs: 0
; TotalNumVgprs: 0
; ScratchSize: 0
; MemoryBound: 0
; FloatMode: 240
; IeeeMode: 1
; LDSByteSize: 0 bytes/workgroup (compile time only)
; SGPRBlocks: 0
; VGPRBlocks: 0
; NumSGPRsForWavesPerEU: 6
; NumVGPRsForWavesPerEU: 1
; AccumOffset: 4
; Occupancy: 8
; WaveLimiterHint : 0
; COMPUTE_PGM_RSRC2:SCRATCH_EN: 0
; COMPUTE_PGM_RSRC2:USER_SGPR: 2
; COMPUTE_PGM_RSRC2:TRAP_HANDLER: 0
; COMPUTE_PGM_RSRC2:TGID_X_EN: 1
; COMPUTE_PGM_RSRC2:TGID_Y_EN: 0
; COMPUTE_PGM_RSRC2:TGID_Z_EN: 0
; COMPUTE_PGM_RSRC2:TIDIG_COMP_CNT: 0
; COMPUTE_PGM_RSRC3_GFX90A:ACCUM_OFFSET: 0
; COMPUTE_PGM_RSRC3_GFX90A:TG_SPLIT: 0
	.section	.text._ZN7rocprim17ROCPRIM_400000_NS6detail17trampoline_kernelINS0_14default_configENS1_27scan_by_key_config_selectorIj11FixedVectorIiLj2EEEEZZNS1_16scan_by_key_implILNS1_25lookback_scan_determinismE0ELb1ES3_N6thrust23THRUST_200600_302600_NS6detail15normal_iteratorINSB_10device_ptrIjEEEENSD_INSE_IS6_EEEESI_S6_NSB_4plusIvEENSB_8equal_toIvEES6_EE10hipError_tPvRmT2_T3_T4_T5_mT6_T7_P12ihipStream_tbENKUlT_T0_E_clISt17integral_constantIbLb0EES13_EEDaSY_SZ_EUlSY_E_NS1_11comp_targetILNS1_3genE5ELNS1_11target_archE942ELNS1_3gpuE9ELNS1_3repE0EEENS1_30default_config_static_selectorELNS0_4arch9wavefront6targetE1EEEvT1_,"axG",@progbits,_ZN7rocprim17ROCPRIM_400000_NS6detail17trampoline_kernelINS0_14default_configENS1_27scan_by_key_config_selectorIj11FixedVectorIiLj2EEEEZZNS1_16scan_by_key_implILNS1_25lookback_scan_determinismE0ELb1ES3_N6thrust23THRUST_200600_302600_NS6detail15normal_iteratorINSB_10device_ptrIjEEEENSD_INSE_IS6_EEEESI_S6_NSB_4plusIvEENSB_8equal_toIvEES6_EE10hipError_tPvRmT2_T3_T4_T5_mT6_T7_P12ihipStream_tbENKUlT_T0_E_clISt17integral_constantIbLb0EES13_EEDaSY_SZ_EUlSY_E_NS1_11comp_targetILNS1_3genE5ELNS1_11target_archE942ELNS1_3gpuE9ELNS1_3repE0EEENS1_30default_config_static_selectorELNS0_4arch9wavefront6targetE1EEEvT1_,comdat
	.protected	_ZN7rocprim17ROCPRIM_400000_NS6detail17trampoline_kernelINS0_14default_configENS1_27scan_by_key_config_selectorIj11FixedVectorIiLj2EEEEZZNS1_16scan_by_key_implILNS1_25lookback_scan_determinismE0ELb1ES3_N6thrust23THRUST_200600_302600_NS6detail15normal_iteratorINSB_10device_ptrIjEEEENSD_INSE_IS6_EEEESI_S6_NSB_4plusIvEENSB_8equal_toIvEES6_EE10hipError_tPvRmT2_T3_T4_T5_mT6_T7_P12ihipStream_tbENKUlT_T0_E_clISt17integral_constantIbLb0EES13_EEDaSY_SZ_EUlSY_E_NS1_11comp_targetILNS1_3genE5ELNS1_11target_archE942ELNS1_3gpuE9ELNS1_3repE0EEENS1_30default_config_static_selectorELNS0_4arch9wavefront6targetE1EEEvT1_ ; -- Begin function _ZN7rocprim17ROCPRIM_400000_NS6detail17trampoline_kernelINS0_14default_configENS1_27scan_by_key_config_selectorIj11FixedVectorIiLj2EEEEZZNS1_16scan_by_key_implILNS1_25lookback_scan_determinismE0ELb1ES3_N6thrust23THRUST_200600_302600_NS6detail15normal_iteratorINSB_10device_ptrIjEEEENSD_INSE_IS6_EEEESI_S6_NSB_4plusIvEENSB_8equal_toIvEES6_EE10hipError_tPvRmT2_T3_T4_T5_mT6_T7_P12ihipStream_tbENKUlT_T0_E_clISt17integral_constantIbLb0EES13_EEDaSY_SZ_EUlSY_E_NS1_11comp_targetILNS1_3genE5ELNS1_11target_archE942ELNS1_3gpuE9ELNS1_3repE0EEENS1_30default_config_static_selectorELNS0_4arch9wavefront6targetE1EEEvT1_
	.globl	_ZN7rocprim17ROCPRIM_400000_NS6detail17trampoline_kernelINS0_14default_configENS1_27scan_by_key_config_selectorIj11FixedVectorIiLj2EEEEZZNS1_16scan_by_key_implILNS1_25lookback_scan_determinismE0ELb1ES3_N6thrust23THRUST_200600_302600_NS6detail15normal_iteratorINSB_10device_ptrIjEEEENSD_INSE_IS6_EEEESI_S6_NSB_4plusIvEENSB_8equal_toIvEES6_EE10hipError_tPvRmT2_T3_T4_T5_mT6_T7_P12ihipStream_tbENKUlT_T0_E_clISt17integral_constantIbLb0EES13_EEDaSY_SZ_EUlSY_E_NS1_11comp_targetILNS1_3genE5ELNS1_11target_archE942ELNS1_3gpuE9ELNS1_3repE0EEENS1_30default_config_static_selectorELNS0_4arch9wavefront6targetE1EEEvT1_
	.p2align	8
	.type	_ZN7rocprim17ROCPRIM_400000_NS6detail17trampoline_kernelINS0_14default_configENS1_27scan_by_key_config_selectorIj11FixedVectorIiLj2EEEEZZNS1_16scan_by_key_implILNS1_25lookback_scan_determinismE0ELb1ES3_N6thrust23THRUST_200600_302600_NS6detail15normal_iteratorINSB_10device_ptrIjEEEENSD_INSE_IS6_EEEESI_S6_NSB_4plusIvEENSB_8equal_toIvEES6_EE10hipError_tPvRmT2_T3_T4_T5_mT6_T7_P12ihipStream_tbENKUlT_T0_E_clISt17integral_constantIbLb0EES13_EEDaSY_SZ_EUlSY_E_NS1_11comp_targetILNS1_3genE5ELNS1_11target_archE942ELNS1_3gpuE9ELNS1_3repE0EEENS1_30default_config_static_selectorELNS0_4arch9wavefront6targetE1EEEvT1_,@function
_ZN7rocprim17ROCPRIM_400000_NS6detail17trampoline_kernelINS0_14default_configENS1_27scan_by_key_config_selectorIj11FixedVectorIiLj2EEEEZZNS1_16scan_by_key_implILNS1_25lookback_scan_determinismE0ELb1ES3_N6thrust23THRUST_200600_302600_NS6detail15normal_iteratorINSB_10device_ptrIjEEEENSD_INSE_IS6_EEEESI_S6_NSB_4plusIvEENSB_8equal_toIvEES6_EE10hipError_tPvRmT2_T3_T4_T5_mT6_T7_P12ihipStream_tbENKUlT_T0_E_clISt17integral_constantIbLb0EES13_EEDaSY_SZ_EUlSY_E_NS1_11comp_targetILNS1_3genE5ELNS1_11target_archE942ELNS1_3gpuE9ELNS1_3repE0EEENS1_30default_config_static_selectorELNS0_4arch9wavefront6targetE1EEEvT1_: ; @_ZN7rocprim17ROCPRIM_400000_NS6detail17trampoline_kernelINS0_14default_configENS1_27scan_by_key_config_selectorIj11FixedVectorIiLj2EEEEZZNS1_16scan_by_key_implILNS1_25lookback_scan_determinismE0ELb1ES3_N6thrust23THRUST_200600_302600_NS6detail15normal_iteratorINSB_10device_ptrIjEEEENSD_INSE_IS6_EEEESI_S6_NSB_4plusIvEENSB_8equal_toIvEES6_EE10hipError_tPvRmT2_T3_T4_T5_mT6_T7_P12ihipStream_tbENKUlT_T0_E_clISt17integral_constantIbLb0EES13_EEDaSY_SZ_EUlSY_E_NS1_11comp_targetILNS1_3genE5ELNS1_11target_archE942ELNS1_3gpuE9ELNS1_3repE0EEENS1_30default_config_static_selectorELNS0_4arch9wavefront6targetE1EEEvT1_
; %bb.0:
	s_load_dwordx8 s[44:51], s[0:1], 0x0
	s_load_dwordx2 s[62:63], s[0:1], 0x20
	s_load_dwordx4 s[52:55], s[0:1], 0x30
	s_load_dwordx2 s[64:65], s[0:1], 0x40
	s_load_dword s3, s[0:1], 0x48
	s_load_dwordx4 s[56:59], s[0:1], 0x50
	s_waitcnt lgkmcnt(0)
	s_lshl_b64 s[0:1], s[46:47], 2
	s_add_u32 s6, s44, s0
	s_addc_u32 s7, s45, s1
	s_lshl_b64 s[60:61], s[46:47], 3
	s_add_u32 s8, s48, s60
	s_mul_i32 s0, s65, s3
	s_mul_hi_u32 s1, s64, s3
	s_addc_u32 s9, s49, s61
	s_add_i32 s10, s1, s0
	s_mul_i32 s0, s2, 0x1500
	s_mov_b32 s1, 0
	s_lshl_b64 s[4:5], s[0:1], 2
	s_add_u32 s68, s6, s4
	s_addc_u32 s69, s7, s5
	s_lshl_b64 s[48:49], s[0:1], 3
	s_add_u32 s66, s8, s48
	s_mul_i32 s3, s64, s3
	s_addc_u32 s67, s9, s49
	s_add_u32 s0, s3, s2
	s_addc_u32 s1, s10, 0
	s_add_u32 s6, s56, -1
	s_addc_u32 s7, s57, -1
	v_mov_b64_e32 v[2:3], s[6:7]
	v_cmp_ge_u64_e64 s[0:1], s[0:1], v[2:3]
	s_mov_b64 s[4:5], -1
	s_and_b64 vcc, exec, s[0:1]
	s_mul_i32 s33, s6, 0xffffeb00
	s_barrier
	s_cbranch_vccz .LBB1995_130
; %bb.1:
	v_mov_b64_e32 v[2:3], s[68:69]
	flat_load_dword v1, v[2:3]
	s_add_i32 s55, s33, s54
	v_cmp_gt_u32_e64 s[42:43], s55, v0
	s_waitcnt vmcnt(0) lgkmcnt(0)
	v_mov_b32_e32 v4, v1
	s_and_saveexec_b64 s[4:5], s[42:43]
	s_cbranch_execz .LBB1995_3
; %bb.2:
	v_lshlrev_b32_e32 v2, 2, v0
	v_mov_b32_e32 v3, 0
	v_lshl_add_u64 v[2:3], s[68:69], 0, v[2:3]
	flat_load_dword v4, v[2:3]
.LBB1995_3:
	s_or_b64 exec, exec, s[4:5]
	v_or_b32_e32 v2, 0x100, v0
	v_cmp_gt_u32_e64 s[40:41], s55, v2
	v_mov_b32_e32 v5, v1
	s_and_saveexec_b64 s[4:5], s[40:41]
	s_cbranch_execz .LBB1995_5
; %bb.4:
	v_lshlrev_b32_e32 v2, 2, v0
	v_mov_b32_e32 v3, 0
	v_lshl_add_u64 v[2:3], s[68:69], 0, v[2:3]
	flat_load_dword v5, v[2:3] offset:1024
.LBB1995_5:
	s_or_b64 exec, exec, s[4:5]
	v_or_b32_e32 v27, 0x200, v0
	v_cmp_gt_u32_e64 s[38:39], s55, v27
	v_mov_b32_e32 v6, v1
	s_and_saveexec_b64 s[4:5], s[38:39]
	s_cbranch_execz .LBB1995_7
; %bb.6:
	v_lshlrev_b32_e32 v2, 2, v0
	v_mov_b32_e32 v3, 0
	v_lshl_add_u64 v[2:3], s[68:69], 0, v[2:3]
	flat_load_dword v6, v[2:3] offset:2048
.LBB1995_7:
	;; [unrolled: 12-line block ×3, first 2 shown]
	s_or_b64 exec, exec, s[4:5]
	v_or_b32_e32 v31, 0x400, v0
	v_cmp_gt_u32_e64 s[34:35], s55, v31
	v_mov_b32_e32 v8, v1
	s_and_saveexec_b64 s[4:5], s[34:35]
	s_cbranch_execz .LBB1995_11
; %bb.10:
	v_lshlrev_b32_e32 v2, 2, v31
	v_mov_b32_e32 v3, 0
	v_lshl_add_u64 v[2:3], s[68:69], 0, v[2:3]
	flat_load_dword v8, v[2:3]
.LBB1995_11:
	s_or_b64 exec, exec, s[4:5]
	v_or_b32_e32 v34, 0x500, v0
	v_cmp_gt_u32_e64 s[30:31], s55, v34
	v_mov_b32_e32 v9, v1
	s_and_saveexec_b64 s[4:5], s[30:31]
	s_cbranch_execz .LBB1995_13
; %bb.12:
	v_lshlrev_b32_e32 v2, 2, v34
	v_mov_b32_e32 v3, 0
	v_lshl_add_u64 v[2:3], s[68:69], 0, v[2:3]
	flat_load_dword v9, v[2:3]
.LBB1995_13:
	;; [unrolled: 12-line block ×16, first 2 shown]
	s_or_b64 exec, exec, s[46:47]
	v_or_b32_e32 v65, 0x1400, v0
	v_cmp_gt_u32_e32 vcc, s55, v65
	v_mov_b32_e32 v3, 0
	s_and_saveexec_b64 s[46:47], vcc
	s_cbranch_execz .LBB1995_43
; %bb.42:
	v_lshlrev_b32_e32 v2, 2, v65
	v_lshl_add_u64 v[2:3], s[68:69], 0, v[2:3]
	flat_load_dword v1, v[2:3]
.LBB1995_43:
	s_or_b64 exec, exec, s[46:47]
	v_lshlrev_b32_e32 v2, 2, v0
	s_waitcnt vmcnt(0) lgkmcnt(0)
	ds_write2st64_b32 v2, v4, v5 offset1:4
	ds_write2st64_b32 v2, v6, v7 offset0:8 offset1:12
	ds_write2st64_b32 v2, v8, v9 offset0:16 offset1:20
	;; [unrolled: 1-line block ×9, first 2 shown]
	ds_write_b32 v2, v1 offset:20480
	v_mov_b64_e32 v[4:5], s[68:69]
	s_waitcnt lgkmcnt(0)
	s_barrier
	flat_load_dword v1, v[4:5]
	s_movk_i32 s3, 0x50
	v_mad_u32_u24 v3, v0, s3, v2
	s_movk_i32 s3, 0xffb0
	v_mad_i32_i24 v66, v0, s3, v3
	s_movk_i32 s3, 0xff
	v_cmp_ne_u32_e64 s[46:47], s3, v0
	ds_read_b32 v79, v3
	ds_read2_b32 v[24:25], v3 offset0:1 offset1:2
	ds_read2_b32 v[22:23], v3 offset0:3 offset1:4
	;; [unrolled: 1-line block ×10, first 2 shown]
	s_waitcnt lgkmcnt(0)
	ds_write_b32 v66, v79 offset:22528
	s_waitcnt lgkmcnt(0)
	s_barrier
	s_and_saveexec_b64 s[56:57], s[46:47]
	s_cbranch_execz .LBB1995_45
; %bb.44:
	s_waitcnt vmcnt(0)
	ds_read_b32 v1, v2 offset:22532
.LBB1995_45:
	s_or_b64 exec, exec, s[56:57]
	v_mov_b32_e32 v2, 0
	v_mov_b32_e32 v4, 0
	;; [unrolled: 1-line block ×3, first 2 shown]
	s_waitcnt lgkmcnt(0)
	s_barrier
	s_and_saveexec_b64 s[46:47], s[42:43]
	s_cbranch_execz .LBB1995_47
; %bb.46:
	v_lshlrev_b32_e32 v4, 3, v0
	v_mov_b32_e32 v5, v2
	v_lshl_add_u64 v[4:5], s[66:67], 0, v[4:5]
	flat_load_dwordx2 v[4:5], v[4:5]
.LBB1995_47:
	s_or_b64 exec, exec, s[46:47]
	v_mov_b32_e32 v3, 0
	s_and_saveexec_b64 s[42:43], s[40:41]
	s_cbranch_execz .LBB1995_49
; %bb.48:
	v_lshlrev_b32_e32 v2, 3, v0
	v_mov_b32_e32 v3, 0
	v_lshl_add_u64 v[2:3], s[66:67], 0, v[2:3]
	flat_load_dwordx2 v[2:3], v[2:3] offset:2048
.LBB1995_49:
	s_or_b64 exec, exec, s[42:43]
	v_mov_b32_e32 v26, 0
	v_mov_b32_e32 v28, 0
	v_mov_b32_e32 v29, 0
	s_and_saveexec_b64 s[40:41], s[38:39]
	s_cbranch_execz .LBB1995_51
; %bb.50:
	v_lshlrev_b32_e32 v28, 3, v27
	v_mov_b32_e32 v29, 0
	v_lshl_add_u64 v[28:29], s[66:67], 0, v[28:29]
	flat_load_dwordx2 v[28:29], v[28:29]
.LBB1995_51:
	s_or_b64 exec, exec, s[40:41]
	v_mov_b32_e32 v27, 0
	s_and_saveexec_b64 s[38:39], s[36:37]
	s_cbranch_execz .LBB1995_53
; %bb.52:
	v_lshlrev_b32_e32 v26, 3, v30
	v_mov_b32_e32 v27, 0
	v_lshl_add_u64 v[26:27], s[66:67], 0, v[26:27]
	flat_load_dwordx2 v[26:27], v[26:27]
.LBB1995_53:
	s_or_b64 exec, exec, s[38:39]
	v_mov_b32_e32 v30, 0
	v_mov_b32_e32 v32, 0
	v_mov_b32_e32 v33, 0
	s_and_saveexec_b64 s[36:37], s[34:35]
	s_cbranch_execz .LBB1995_55
; %bb.54:
	v_lshlrev_b32_e32 v32, 3, v31
	v_mov_b32_e32 v33, 0
	v_lshl_add_u64 v[32:33], s[66:67], 0, v[32:33]
	flat_load_dwordx2 v[32:33], v[32:33]
.LBB1995_55:
	s_or_b64 exec, exec, s[36:37]
	v_mov_b32_e32 v31, 0
	s_and_saveexec_b64 s[34:35], s[30:31]
	s_cbranch_execz .LBB1995_57
; %bb.56:
	v_lshlrev_b32_e32 v30, 3, v34
	v_mov_b32_e32 v31, 0
	v_lshl_add_u64 v[30:31], s[66:67], 0, v[30:31]
	flat_load_dwordx2 v[30:31], v[30:31]
.LBB1995_57:
	;; [unrolled: 22-line block ×9, first 2 shown]
	s_or_b64 exec, exec, s[4:5]
	v_mul_u32_u24_e32 v78, 21, v0
	v_mov_b32_e32 v64, 0
	v_mov_b32_e32 v62, 0
	;; [unrolled: 1-line block ×3, first 2 shown]
	s_and_saveexec_b64 s[4:5], vcc
	s_cbranch_execz .LBB1995_87
; %bb.86:
	v_lshlrev_b32_e32 v62, 3, v65
	v_mov_b32_e32 v63, 0
	v_lshl_add_u64 v[62:63], s[66:67], 0, v[62:63]
	flat_load_dwordx2 v[62:63], v[62:63]
.LBB1995_87:
	s_or_b64 exec, exec, s[4:5]
	v_lshl_add_u32 v80, v0, 2, v66
	s_waitcnt vmcnt(0) lgkmcnt(0)
	ds_write2st64_b64 v80, v[4:5], v[2:3] offset1:4
	ds_write2st64_b64 v80, v[28:29], v[26:27] offset0:8 offset1:12
	ds_write2st64_b64 v80, v[32:33], v[30:31] offset0:16 offset1:20
	ds_write2st64_b64 v80, v[36:37], v[34:35] offset0:24 offset1:28
	ds_write2st64_b64 v80, v[40:41], v[38:39] offset0:32 offset1:36
	ds_write2st64_b64 v80, v[44:45], v[42:43] offset0:40 offset1:44
	ds_write2st64_b64 v80, v[48:49], v[46:47] offset0:48 offset1:52
	ds_write2st64_b64 v80, v[52:53], v[50:51] offset0:56 offset1:60
	ds_write2st64_b64 v80, v[56:57], v[54:55] offset0:64 offset1:68
	ds_write2st64_b64 v80, v[60:61], v[58:59] offset0:72 offset1:76
	ds_write_b64 v80, v[62:63] offset:40960
	v_cmp_gt_u32_e32 vcc, s55, v78
	s_mov_b64 s[4:5], 0
	s_mov_b32 s3, 0
	v_mov_b64_e32 v[40:41], 0
	s_mov_b64 s[10:11], 0
	v_mov_b32_e32 v60, 0
	v_mov_b32_e32 v48, 0
	;; [unrolled: 1-line block ×57, first 2 shown]
	s_waitcnt lgkmcnt(0)
	s_barrier
	s_waitcnt lgkmcnt(0)
                                        ; implicit-def: $sgpr8_sgpr9
                                        ; implicit-def: $vgpr2_vgpr3
	s_and_saveexec_b64 s[6:7], vcc
	s_cbranch_execz .LBB1995_129
; %bb.88:
	s_movk_i32 s8, 0xa0
	v_mad_u32_u24 v2, v0, s8, v80
	ds_read_b64 v[2:3], v2
	v_add_u32_e32 v4, 1, v78
	v_mov_b32_e32 v5, s63
	v_mov_b32_e32 v26, s62
	v_cmp_ne_u32_e32 vcc, v79, v24
	v_mov_b32_e32 v60, 0
	v_mov_b32_e32 v48, 0
	s_waitcnt lgkmcnt(0)
	v_cndmask_b32_e32 v41, v3, v5, vcc
	v_cndmask_b32_e32 v40, v2, v26, vcc
	v_cndmask_b32_e64 v64, 0, 1, vcc
	v_cmp_gt_u32_e32 vcc, s55, v4
	v_mov_b32_e32 v103, 0
	v_mov_b32_e32 v120, 0
	;; [unrolled: 1-line block ×55, first 2 shown]
                                        ; implicit-def: $sgpr12_sgpr13
                                        ; implicit-def: $vgpr2_vgpr3
	s_and_saveexec_b64 s[8:9], vcc
	s_cbranch_execz .LBB1995_128
; %bb.89:
	v_mul_u32_u24_e32 v2, 0xa0, v0
	v_add_u32_e32 v26, v80, v2
	ds_read2_b64 v[2:5], v26 offset0:1 offset1:2
	v_cmp_ne_u32_e32 vcc, v24, v25
	v_mov_b32_e32 v24, s62
	v_add_u32_e32 v27, 2, v78
	v_cndmask_b32_e64 v57, 0, 1, vcc
	s_waitcnt lgkmcnt(0)
	v_cndmask_b32_e32 v50, v2, v24, vcc
	v_mov_b32_e32 v2, s63
	v_cndmask_b32_e32 v49, v3, v2, vcc
	v_cmp_gt_u32_e32 vcc, s55, v27
	s_mov_b64 s[14:15], 0
	v_mov_b32_e32 v60, 0
	v_mov_b32_e32 v48, 0
	;; [unrolled: 1-line block ×54, first 2 shown]
                                        ; implicit-def: $sgpr12_sgpr13
                                        ; implicit-def: $vgpr2_vgpr3
	s_and_saveexec_b64 s[10:11], vcc
	s_cbranch_execz .LBB1995_127
; %bb.90:
	v_cmp_ne_u32_e32 vcc, v25, v22
	v_mov_b32_e32 v3, s62
	v_add_u32_e32 v2, 3, v78
	v_cndmask_b32_e32 v52, v4, v3, vcc
	v_mov_b32_e32 v3, s63
	v_cndmask_b32_e64 v61, 0, 1, vcc
	v_cndmask_b32_e32 v51, v5, v3, vcc
	v_cmp_gt_u32_e32 vcc, s55, v2
	v_mov_b32_e32 v60, 0
	v_mov_b32_e32 v48, 0
	;; [unrolled: 1-line block ×51, first 2 shown]
                                        ; implicit-def: $sgpr16_sgpr17
                                        ; implicit-def: $vgpr2_vgpr3
	s_and_saveexec_b64 s[12:13], vcc
	s_cbranch_execz .LBB1995_126
; %bb.91:
	ds_read2_b64 v[2:5], v26 offset0:3 offset1:4
	v_cmp_ne_u32_e32 vcc, v22, v23
	v_mov_b32_e32 v22, s62
	v_add_u32_e32 v24, 4, v78
	v_cndmask_b32_e64 v65, 0, 1, vcc
	s_waitcnt lgkmcnt(0)
	v_cndmask_b32_e32 v54, v2, v22, vcc
	v_mov_b32_e32 v2, s63
	v_cndmask_b32_e32 v53, v3, v2, vcc
	v_cmp_gt_u32_e32 vcc, s55, v24
	s_mov_b64 s[18:19], 0
	v_mov_b32_e32 v60, 0
	v_mov_b32_e32 v48, 0
	;; [unrolled: 1-line block ×48, first 2 shown]
                                        ; implicit-def: $sgpr16_sgpr17
                                        ; implicit-def: $vgpr2_vgpr3
	s_and_saveexec_b64 s[14:15], vcc
	s_cbranch_execz .LBB1995_125
; %bb.92:
	v_cmp_ne_u32_e32 vcc, v23, v20
	v_mov_b32_e32 v3, s62
	v_add_u32_e32 v2, 5, v78
	v_cndmask_b32_e32 v56, v4, v3, vcc
	v_mov_b32_e32 v3, s63
	v_cndmask_b32_e64 v70, 0, 1, vcc
	v_cndmask_b32_e32 v55, v5, v3, vcc
	v_cmp_gt_u32_e32 vcc, s55, v2
	v_mov_b32_e32 v60, 0
	v_mov_b32_e32 v48, 0
	;; [unrolled: 1-line block ×45, first 2 shown]
                                        ; implicit-def: $sgpr20_sgpr21
                                        ; implicit-def: $vgpr2_vgpr3
	s_and_saveexec_b64 s[16:17], vcc
	s_cbranch_execz .LBB1995_124
; %bb.93:
	ds_read2_b64 v[2:5], v26 offset0:5 offset1:6
	v_cmp_ne_u32_e32 vcc, v20, v21
	v_mov_b32_e32 v20, s62
	v_add_u32_e32 v22, 6, v78
	v_cndmask_b32_e64 v73, 0, 1, vcc
	s_waitcnt lgkmcnt(0)
	v_cndmask_b32_e32 v59, v2, v20, vcc
	v_mov_b32_e32 v2, s63
	v_cndmask_b32_e32 v58, v3, v2, vcc
	v_cmp_gt_u32_e32 vcc, s55, v22
	s_mov_b64 s[22:23], 0
	v_mov_b32_e32 v60, 0
	v_mov_b32_e32 v48, 0
	;; [unrolled: 1-line block ×42, first 2 shown]
                                        ; implicit-def: $sgpr20_sgpr21
                                        ; implicit-def: $vgpr2_vgpr3
	s_and_saveexec_b64 s[18:19], vcc
	s_cbranch_execz .LBB1995_123
; %bb.94:
	v_cmp_ne_u32_e32 vcc, v21, v18
	v_mov_b32_e32 v3, s62
	v_add_u32_e32 v2, 7, v78
	v_cndmask_b32_e32 v63, v4, v3, vcc
	v_mov_b32_e32 v3, s63
	v_cndmask_b32_e64 v77, 0, 1, vcc
	v_cndmask_b32_e32 v62, v5, v3, vcc
	v_cmp_gt_u32_e32 vcc, s55, v2
	v_mov_b32_e32 v60, 0
	v_mov_b32_e32 v48, 0
	;; [unrolled: 1-line block ×39, first 2 shown]
                                        ; implicit-def: $sgpr24_sgpr25
                                        ; implicit-def: $vgpr2_vgpr3
	s_and_saveexec_b64 s[20:21], vcc
	s_cbranch_execz .LBB1995_122
; %bb.95:
	ds_read2_b64 v[2:5], v26 offset0:7 offset1:8
	v_cmp_ne_u32_e32 vcc, v18, v19
	v_mov_b32_e32 v18, s62
	v_add_u32_e32 v20, 8, v78
	v_cndmask_b32_e64 v102, 0, 1, vcc
	s_waitcnt lgkmcnt(0)
	v_cndmask_b32_e32 v67, v2, v18, vcc
	v_mov_b32_e32 v2, s63
	v_cndmask_b32_e32 v66, v3, v2, vcc
	v_cmp_gt_u32_e32 vcc, s55, v20
	s_mov_b64 s[26:27], 0
	v_mov_b32_e32 v60, 0
	v_mov_b32_e32 v48, 0
	;; [unrolled: 1-line block ×36, first 2 shown]
                                        ; implicit-def: $sgpr24_sgpr25
                                        ; implicit-def: $vgpr2_vgpr3
	s_and_saveexec_b64 s[22:23], vcc
	s_cbranch_execz .LBB1995_121
; %bb.96:
	v_cmp_ne_u32_e32 vcc, v19, v16
	v_mov_b32_e32 v3, s62
	v_add_u32_e32 v2, 9, v78
	v_cndmask_b32_e32 v69, v4, v3, vcc
	v_mov_b32_e32 v3, s63
	v_cndmask_b32_e64 v104, 0, 1, vcc
	v_cndmask_b32_e32 v68, v5, v3, vcc
	v_cmp_gt_u32_e32 vcc, s55, v2
	v_mov_b32_e32 v60, 0
	v_mov_b32_e32 v48, 0
	;; [unrolled: 1-line block ×33, first 2 shown]
                                        ; implicit-def: $sgpr28_sgpr29
                                        ; implicit-def: $vgpr2_vgpr3
	s_and_saveexec_b64 s[24:25], vcc
	s_cbranch_execz .LBB1995_120
; %bb.97:
	ds_read2_b64 v[2:5], v26 offset0:9 offset1:10
	v_cmp_ne_u32_e32 vcc, v16, v17
	v_mov_b32_e32 v16, s62
	v_add_u32_e32 v18, 10, v78
	v_cndmask_b32_e64 v110, 0, 1, vcc
	s_waitcnt lgkmcnt(0)
	v_cndmask_b32_e32 v72, v2, v16, vcc
	v_mov_b32_e32 v2, s63
	v_cndmask_b32_e32 v71, v3, v2, vcc
	v_cmp_gt_u32_e32 vcc, s55, v18
	s_mov_b64 s[30:31], 0
	v_mov_b32_e32 v60, 0
	v_mov_b32_e32 v48, 0
	;; [unrolled: 1-line block ×30, first 2 shown]
                                        ; implicit-def: $sgpr28_sgpr29
                                        ; implicit-def: $vgpr2_vgpr3
	s_and_saveexec_b64 s[26:27], vcc
	s_cbranch_execz .LBB1995_119
; %bb.98:
	v_cmp_ne_u32_e32 vcc, v17, v14
	v_mov_b32_e32 v3, s62
	v_add_u32_e32 v2, 11, v78
	v_cndmask_b32_e32 v75, v4, v3, vcc
	v_mov_b32_e32 v3, s63
	v_cndmask_b32_e64 v112, 0, 1, vcc
	v_cndmask_b32_e32 v74, v5, v3, vcc
	v_cmp_gt_u32_e32 vcc, s55, v2
	v_mov_b32_e32 v60, 0
	v_mov_b32_e32 v48, 0
	;; [unrolled: 1-line block ×27, first 2 shown]
                                        ; implicit-def: $sgpr34_sgpr35
                                        ; implicit-def: $vgpr2_vgpr3
	s_and_saveexec_b64 s[28:29], vcc
	s_cbranch_execz .LBB1995_118
; %bb.99:
	ds_read2_b64 v[2:5], v26 offset0:11 offset1:12
	v_cmp_ne_u32_e32 vcc, v14, v15
	v_mov_b32_e32 v14, s62
	v_add_u32_e32 v16, 12, v78
	v_cndmask_b32_e64 v113, 0, 1, vcc
	s_waitcnt lgkmcnt(0)
	v_cndmask_b32_e32 v92, v2, v14, vcc
	v_mov_b32_e32 v2, s63
	v_cndmask_b32_e32 v76, v3, v2, vcc
	v_cmp_gt_u32_e32 vcc, s55, v16
	s_mov_b64 s[36:37], 0
	v_mov_b32_e32 v60, 0
	v_mov_b32_e32 v48, 0
	;; [unrolled: 1-line block ×24, first 2 shown]
                                        ; implicit-def: $sgpr34_sgpr35
                                        ; implicit-def: $vgpr2_vgpr3
	s_and_saveexec_b64 s[30:31], vcc
	s_cbranch_execz .LBB1995_117
; %bb.100:
	v_cmp_ne_u32_e32 vcc, v15, v12
	v_mov_b32_e32 v3, s62
	v_add_u32_e32 v2, 13, v78
	v_cndmask_b32_e32 v96, v4, v3, vcc
	v_mov_b32_e32 v3, s63
	v_cndmask_b32_e64 v114, 0, 1, vcc
	v_cndmask_b32_e32 v95, v5, v3, vcc
	v_cmp_gt_u32_e32 vcc, s55, v2
	v_mov_b32_e32 v60, 0
	v_mov_b32_e32 v48, 0
	;; [unrolled: 1-line block ×21, first 2 shown]
                                        ; implicit-def: $sgpr38_sgpr39
                                        ; implicit-def: $vgpr2_vgpr3
	s_and_saveexec_b64 s[34:35], vcc
	s_cbranch_execz .LBB1995_116
; %bb.101:
	ds_read2_b64 v[2:5], v26 offset0:13 offset1:14
	v_cmp_ne_u32_e32 vcc, v12, v13
	v_mov_b32_e32 v12, s62
	v_add_u32_e32 v14, 14, v78
	v_cndmask_b32_e64 v115, 0, 1, vcc
	s_waitcnt lgkmcnt(0)
	v_cndmask_b32_e32 v42, v2, v12, vcc
	v_mov_b32_e32 v2, s63
	v_cndmask_b32_e32 v43, v3, v2, vcc
	v_cmp_gt_u32_e32 vcc, s55, v14
	s_mov_b64 s[40:41], 0
	v_mov_b32_e32 v60, 0
	v_mov_b32_e32 v48, 0
	;; [unrolled: 1-line block ×18, first 2 shown]
                                        ; implicit-def: $sgpr38_sgpr39
                                        ; implicit-def: $vgpr2_vgpr3
	s_and_saveexec_b64 s[36:37], vcc
	s_cbranch_execz .LBB1995_115
; %bb.102:
	v_cmp_ne_u32_e32 vcc, v13, v10
	v_mov_b32_e32 v3, s62
	v_add_u32_e32 v2, 15, v78
	v_cndmask_b32_e32 v44, v4, v3, vcc
	v_mov_b32_e32 v3, s63
	v_cndmask_b32_e64 v116, 0, 1, vcc
	v_cndmask_b32_e32 v45, v5, v3, vcc
	v_cmp_gt_u32_e32 vcc, s55, v2
	v_mov_b32_e32 v60, 0
	v_mov_b32_e32 v48, 0
	;; [unrolled: 1-line block ×15, first 2 shown]
                                        ; implicit-def: $sgpr42_sgpr43
                                        ; implicit-def: $vgpr2_vgpr3
	s_and_saveexec_b64 s[38:39], vcc
	s_cbranch_execz .LBB1995_114
; %bb.103:
	ds_read2_b64 v[2:5], v26 offset0:15 offset1:16
	v_cmp_ne_u32_e32 vcc, v10, v11
	v_mov_b32_e32 v10, s62
	v_add_u32_e32 v12, 16, v78
	v_cndmask_b32_e64 v117, 0, 1, vcc
	s_waitcnt lgkmcnt(0)
	v_cndmask_b32_e32 v46, v2, v10, vcc
	v_mov_b32_e32 v2, s63
	v_cndmask_b32_e32 v47, v3, v2, vcc
	v_cmp_gt_u32_e32 vcc, s55, v12
	s_mov_b64 s[44:45], 0
	v_mov_b32_e32 v60, 0
	v_mov_b32_e32 v48, 0
	v_mov_b32_e32 v103, 0
	v_mov_b32_e32 v120, 0
	v_mov_b32_e32 v109, 0
	v_mov_b32_e32 v111, 0
	v_mov_b32_e32 v119, 0
	v_mov_b32_e32 v107, 0
	v_mov_b32_e32 v108, 0
	v_mov_b32_e32 v118, 0
	v_mov_b32_e32 v105, 0
	v_mov_b32_e32 v106, 0
                                        ; implicit-def: $sgpr42_sgpr43
                                        ; implicit-def: $vgpr2_vgpr3
	s_and_saveexec_b64 s[40:41], vcc
	s_cbranch_execz .LBB1995_113
; %bb.104:
	v_cmp_ne_u32_e32 vcc, v11, v8
	v_mov_b32_e32 v3, s62
	v_add_u32_e32 v2, 17, v78
	v_cndmask_b32_e32 v106, v4, v3, vcc
	v_mov_b32_e32 v3, s63
	v_cndmask_b32_e64 v118, 0, 1, vcc
	v_cndmask_b32_e32 v105, v5, v3, vcc
	v_cmp_gt_u32_e32 vcc, s55, v2
	v_mov_b32_e32 v60, 0
	v_mov_b32_e32 v48, 0
	;; [unrolled: 1-line block ×9, first 2 shown]
                                        ; implicit-def: $sgpr46_sgpr47
                                        ; implicit-def: $vgpr2_vgpr3
	s_and_saveexec_b64 s[42:43], vcc
	s_cbranch_execz .LBB1995_112
; %bb.105:
	ds_read2_b64 v[2:5], v26 offset0:17 offset1:18
	v_cmp_ne_u32_e32 vcc, v8, v9
	v_mov_b32_e32 v8, s62
	v_add_u32_e32 v10, 18, v78
	v_cndmask_b32_e64 v119, 0, 1, vcc
	s_waitcnt lgkmcnt(0)
	v_cndmask_b32_e32 v108, v2, v8, vcc
	v_mov_b32_e32 v2, s63
	v_cndmask_b32_e32 v107, v3, v2, vcc
	v_cmp_gt_u32_e32 vcc, s55, v10
	s_mov_b64 s[56:57], 0
	v_mov_b32_e32 v60, 0
	v_mov_b32_e32 v48, 0
	;; [unrolled: 1-line block ×6, first 2 shown]
                                        ; implicit-def: $sgpr46_sgpr47
                                        ; implicit-def: $vgpr2_vgpr3
	s_and_saveexec_b64 s[44:45], vcc
	s_cbranch_execz .LBB1995_111
; %bb.106:
	v_cmp_ne_u32_e32 vcc, v9, v6
	v_mov_b32_e32 v3, s62
	v_add_u32_e32 v2, 19, v78
	v_cndmask_b32_e32 v111, v4, v3, vcc
	v_mov_b32_e32 v3, s63
	v_cndmask_b32_e64 v120, 0, 1, vcc
	v_cndmask_b32_e32 v109, v5, v3, vcc
	v_cmp_gt_u32_e32 vcc, s55, v2
	v_mov_b32_e32 v60, 0
	v_mov_b32_e32 v48, 0
	v_mov_b32_e32 v103, 0
                                        ; implicit-def: $sgpr70_sgpr71
                                        ; implicit-def: $vgpr2_vgpr3
	s_and_saveexec_b64 s[46:47], vcc
	s_cbranch_execz .LBB1995_110
; %bb.107:
	ds_read2_b64 v[2:5], v26 offset0:19 offset1:20
	v_cmp_ne_u32_e32 vcc, v6, v7
	v_mov_b32_e32 v6, s62
	v_add_u32_e32 v8, 20, v78
	v_cndmask_b32_e64 v60, 0, 1, vcc
	s_waitcnt lgkmcnt(0)
	v_cndmask_b32_e32 v103, v2, v6, vcc
	v_mov_b32_e32 v2, s63
	v_cndmask_b32_e32 v48, v3, v2, vcc
	v_cmp_gt_u32_e32 vcc, s55, v8
                                        ; implicit-def: $sgpr70_sgpr71
                                        ; implicit-def: $vgpr2_vgpr3
	s_and_saveexec_b64 s[72:73], vcc
	s_xor_b64 s[72:73], exec, s[72:73]
; %bb.108:
	v_mov_b32_e32 v2, s63
	v_cmp_ne_u32_e32 vcc, v7, v1
	v_mov_b32_e32 v1, s62
	s_mov_b64 s[56:57], exec
	v_cndmask_b32_e32 v3, v5, v2, vcc
	v_cndmask_b32_e32 v2, v4, v1, vcc
	s_and_b64 s[70:71], vcc, exec
; %bb.109:
	s_or_b64 exec, exec, s[72:73]
	s_and_b64 s[70:71], s[70:71], exec
	s_and_b64 s[56:57], s[56:57], exec
.LBB1995_110:
	s_or_b64 exec, exec, s[46:47]
	s_and_b64 s[46:47], s[70:71], exec
	s_and_b64 s[56:57], s[56:57], exec
.LBB1995_111:
	s_or_b64 exec, exec, s[44:45]
	s_and_b64 s[46:47], s[46:47], exec
	s_and_b64 s[44:45], s[56:57], exec
.LBB1995_112:
	s_or_b64 exec, exec, s[42:43]
	s_and_b64 s[42:43], s[46:47], exec
	s_and_b64 s[44:45], s[44:45], exec
.LBB1995_113:
	s_or_b64 exec, exec, s[40:41]
	s_and_b64 s[42:43], s[42:43], exec
	s_and_b64 s[40:41], s[44:45], exec
.LBB1995_114:
	s_or_b64 exec, exec, s[38:39]
	s_and_b64 s[38:39], s[42:43], exec
	s_and_b64 s[40:41], s[40:41], exec
.LBB1995_115:
	s_or_b64 exec, exec, s[36:37]
	s_and_b64 s[38:39], s[38:39], exec
	s_and_b64 s[36:37], s[40:41], exec
.LBB1995_116:
	s_or_b64 exec, exec, s[34:35]
	s_and_b64 s[34:35], s[38:39], exec
	s_and_b64 s[36:37], s[36:37], exec
.LBB1995_117:
	s_or_b64 exec, exec, s[30:31]
	s_and_b64 s[34:35], s[34:35], exec
	s_and_b64 s[30:31], s[36:37], exec
.LBB1995_118:
	s_or_b64 exec, exec, s[28:29]
	s_and_b64 s[28:29], s[34:35], exec
	s_and_b64 s[30:31], s[30:31], exec
.LBB1995_119:
	s_or_b64 exec, exec, s[26:27]
	s_and_b64 s[28:29], s[28:29], exec
	s_and_b64 s[26:27], s[30:31], exec
.LBB1995_120:
	s_or_b64 exec, exec, s[24:25]
	s_and_b64 s[24:25], s[28:29], exec
	s_and_b64 s[26:27], s[26:27], exec
.LBB1995_121:
	s_or_b64 exec, exec, s[22:23]
	s_and_b64 s[24:25], s[24:25], exec
	s_and_b64 s[22:23], s[26:27], exec
.LBB1995_122:
	s_or_b64 exec, exec, s[20:21]
	s_and_b64 s[20:21], s[24:25], exec
	s_and_b64 s[22:23], s[22:23], exec
.LBB1995_123:
	s_or_b64 exec, exec, s[18:19]
	s_and_b64 s[20:21], s[20:21], exec
	s_and_b64 s[18:19], s[22:23], exec
.LBB1995_124:
	s_or_b64 exec, exec, s[16:17]
	s_and_b64 s[16:17], s[20:21], exec
	s_and_b64 s[18:19], s[18:19], exec
.LBB1995_125:
	s_or_b64 exec, exec, s[14:15]
	s_and_b64 s[16:17], s[16:17], exec
	s_and_b64 s[14:15], s[18:19], exec
.LBB1995_126:
	s_or_b64 exec, exec, s[12:13]
	s_and_b64 s[12:13], s[16:17], exec
	s_and_b64 s[14:15], s[14:15], exec
.LBB1995_127:
	s_or_b64 exec, exec, s[10:11]
	s_and_b64 s[12:13], s[12:13], exec
	s_and_b64 s[10:11], s[14:15], exec
.LBB1995_128:
	s_or_b64 exec, exec, s[8:9]
	s_and_b64 s[8:9], s[12:13], exec
	s_and_b64 s[10:11], s[10:11], exec
.LBB1995_129:
	s_or_b64 exec, exec, s[6:7]
	s_mov_b32 s6, 0
	s_and_b64 vcc, exec, s[4:5]
	s_cbranch_vccnz .LBB1995_131
	s_branch .LBB1995_134
.LBB1995_130:
	s_mov_b64 s[10:11], 0
                                        ; kill: def $vgpr1 killed $sgpr0 killed $exec
                                        ; implicit-def: $sgpr8_sgpr9
                                        ; implicit-def: $vgpr64
                                        ; implicit-def: $vgpr2_vgpr3
                                        ; implicit-def: $vgpr60
                                        ; implicit-def: $vgpr48
                                        ; implicit-def: $vgpr103
                                        ; implicit-def: $vgpr120
                                        ; implicit-def: $vgpr109
                                        ; implicit-def: $vgpr111
                                        ; implicit-def: $vgpr119
                                        ; implicit-def: $vgpr107
                                        ; implicit-def: $vgpr108
                                        ; implicit-def: $vgpr118
                                        ; implicit-def: $vgpr105
                                        ; implicit-def: $vgpr106
                                        ; implicit-def: $vgpr117
                                        ; implicit-def: $vgpr47
                                        ; implicit-def: $vgpr116
                                        ; implicit-def: $vgpr45
                                        ; implicit-def: $vgpr115
                                        ; implicit-def: $vgpr43
                                        ; implicit-def: $vgpr114
                                        ; implicit-def: $vgpr95
                                        ; implicit-def: $vgpr96
                                        ; implicit-def: $vgpr113
                                        ; implicit-def: $vgpr76
                                        ; implicit-def: $vgpr92
                                        ; implicit-def: $vgpr112
                                        ; implicit-def: $vgpr74
                                        ; implicit-def: $vgpr75
                                        ; implicit-def: $vgpr110
                                        ; implicit-def: $vgpr71
                                        ; implicit-def: $vgpr72
                                        ; implicit-def: $vgpr104
                                        ; implicit-def: $vgpr68
                                        ; implicit-def: $vgpr69
                                        ; implicit-def: $vgpr102
                                        ; implicit-def: $vgpr66
                                        ; implicit-def: $vgpr67
                                        ; implicit-def: $vgpr77
                                        ; implicit-def: $vgpr62
                                        ; implicit-def: $vgpr63
                                        ; implicit-def: $vgpr73
                                        ; implicit-def: $vgpr58
                                        ; implicit-def: $vgpr59
                                        ; implicit-def: $vgpr70
                                        ; implicit-def: $vgpr55
                                        ; implicit-def: $vgpr56
                                        ; implicit-def: $vgpr65
                                        ; implicit-def: $vgpr53
                                        ; implicit-def: $vgpr54
                                        ; implicit-def: $vgpr61
                                        ; implicit-def: $vgpr51
                                        ; implicit-def: $vgpr52
                                        ; implicit-def: $vgpr57
                                        ; implicit-def: $vgpr49
                                        ; implicit-def: $vgpr50
                                        ; implicit-def: $vgpr40_vgpr41
                                        ; implicit-def: $sgpr6
                                        ; implicit-def: $sgpr3
	s_and_b64 vcc, exec, s[4:5]
	s_cbranch_vccz .LBB1995_134
.LBB1995_131:
	v_mov_b32_e32 v7, 0
	v_lshlrev_b32_e32 v6, 2, v0
	v_lshl_add_u64 v[2:3], s[68:69], 0, v[6:7]
	v_add_co_u32_e32 v4, vcc, 0x1000, v2
	s_movk_i32 s4, 0x50
	s_nop 0
	v_addc_co_u32_e32 v5, vcc, 0, v3, vcc
	flat_load_dword v1, v[2:3]
	flat_load_dword v10, v[2:3] offset:1024
	flat_load_dword v11, v[2:3] offset:2048
	flat_load_dword v12, v[2:3] offset:3072
	flat_load_dword v13, v[4:5]
	flat_load_dword v14, v[4:5] offset:1024
	flat_load_dword v15, v[4:5] offset:2048
	;; [unrolled: 1-line block ×3, first 2 shown]
	v_add_co_u32_e32 v4, vcc, 0x2000, v2
	s_movk_i32 s9, 0x1000
	s_nop 0
	v_addc_co_u32_e32 v5, vcc, 0, v3, vcc
	v_add_co_u32_e32 v8, vcc, 0x3000, v2
	s_movk_i32 s8, 0x2000
	s_nop 0
	v_addc_co_u32_e32 v9, vcc, 0, v3, vcc
	flat_load_dword v17, v[4:5]
	flat_load_dword v18, v[4:5] offset:1024
	flat_load_dword v19, v[4:5] offset:2048
	;; [unrolled: 1-line block ×3, first 2 shown]
	flat_load_dword v21, v[8:9]
	flat_load_dword v22, v[8:9] offset:1024
	flat_load_dword v23, v[8:9] offset:2048
	flat_load_dword v24, v[8:9] offset:3072
	v_add_co_u32_e32 v4, vcc, 0x4000, v2
	s_movk_i32 s7, 0x3000
	s_nop 0
	v_addc_co_u32_e32 v5, vcc, 0, v3, vcc
	v_add_co_u32_e32 v2, vcc, 0x5000, v2
	s_movk_i32 s6, 0x4000
	s_nop 0
	v_addc_co_u32_e32 v3, vcc, 0, v3, vcc
	flat_load_dword v8, v[4:5]
	flat_load_dword v9, v[4:5] offset:1024
	flat_load_dword v25, v[4:5] offset:2048
	;; [unrolled: 1-line block ×3, first 2 shown]
	flat_load_dword v27, v[2:3]
	v_mov_b32_e32 v2, s68
	v_mov_b32_e32 v3, s69
	v_add_co_u32_e32 v2, vcc, 0x5000, v2
	s_movk_i32 s3, 0x5000
	s_nop 0
	v_addc_co_u32_e32 v3, vcc, 0, v3, vcc
	s_waitcnt vmcnt(0) lgkmcnt(0)
	ds_write2st64_b32 v6, v1, v10 offset1:4
	ds_write2st64_b32 v6, v11, v12 offset0:8 offset1:12
	ds_write2st64_b32 v6, v13, v14 offset0:16 offset1:20
	;; [unrolled: 1-line block ×9, first 2 shown]
	ds_write_b32 v6, v27 offset:20480
	s_waitcnt lgkmcnt(0)
	s_barrier
	flat_load_dword v1, v[2:3] offset:1024
	v_mad_u32_u24 v25, v0, s4, v6
	s_movk_i32 s4, 0xffb0
	ds_read_b32 v24, v25
	ds_read2_b32 v[4:5], v25 offset0:1 offset1:2
	ds_read2_b32 v[22:23], v25 offset0:3 offset1:4
	;; [unrolled: 1-line block ×10, first 2 shown]
	v_mad_i32_i24 v25, v0, s4, v25
	s_movk_i32 s4, 0xff
	v_cmp_ne_u32_e32 vcc, s4, v0
	s_waitcnt lgkmcnt(0)
	ds_write_b32 v25, v24 offset:22528
	s_waitcnt lgkmcnt(0)
	s_barrier
	s_and_saveexec_b64 s[4:5], vcc
	s_cbranch_execz .LBB1995_133
; %bb.132:
	s_waitcnt vmcnt(0)
	ds_read_b32 v1, v6 offset:22532
.LBB1995_133:
	s_or_b64 exec, exec, s[4:5]
	v_lshlrev_b32_e32 v6, 3, v0
	v_lshl_add_u64 v[6:7], s[66:67], 0, v[6:7]
	v_add_co_u32_e32 v26, vcc, s9, v6
	s_waitcnt lgkmcnt(0)
	s_nop 0
	v_addc_co_u32_e32 v27, vcc, 0, v7, vcc
	s_barrier
	flat_load_dwordx2 v[28:29], v[6:7]
	flat_load_dwordx2 v[30:31], v[6:7] offset:2048
	flat_load_dwordx2 v[32:33], v[26:27]
	flat_load_dwordx2 v[34:35], v[26:27] offset:2048
	v_add_co_u32_e32 v26, vcc, s8, v6
	v_cmp_ne_u32_e64 s[38:39], v9, v2
	s_nop 0
	v_addc_co_u32_e32 v27, vcc, 0, v7, vcc
	v_add_co_u32_e32 v36, vcc, s7, v6
	v_cmp_ne_u32_e64 s[40:41], v2, v3
	s_nop 0
	v_addc_co_u32_e32 v37, vcc, 0, v7, vcc
	flat_load_dwordx2 v[38:39], v[26:27]
	flat_load_dwordx2 v[40:41], v[26:27] offset:2048
	flat_load_dwordx2 v[42:43], v[36:37]
	flat_load_dwordx2 v[44:45], v[36:37] offset:2048
	v_add_co_u32_e32 v26, vcc, s6, v6
	v_lshl_add_u32 v2, v0, 2, v25
	s_nop 0
	v_addc_co_u32_e32 v27, vcc, 0, v7, vcc
	v_add_co_u32_e32 v36, vcc, s3, v6
	s_movk_i32 s3, 0x6000
	s_nop 0
	v_addc_co_u32_e32 v37, vcc, 0, v7, vcc
	flat_load_dwordx2 v[46:47], v[26:27]
	flat_load_dwordx2 v[48:49], v[26:27] offset:2048
	flat_load_dwordx2 v[50:51], v[36:37]
	flat_load_dwordx2 v[52:53], v[36:37] offset:2048
	v_add_co_u32_e32 v26, vcc, s3, v6
	s_movk_i32 s3, 0x7000
	s_nop 0
	v_addc_co_u32_e32 v27, vcc, 0, v7, vcc
	v_add_co_u32_e32 v36, vcc, s3, v6
	s_mov_b32 s3, 0x8000
	s_nop 0
	v_addc_co_u32_e32 v37, vcc, 0, v7, vcc
	flat_load_dwordx2 v[54:55], v[26:27]
	flat_load_dwordx2 v[58:59], v[26:27] offset:2048
	flat_load_dwordx2 v[62:63], v[36:37]
	flat_load_dwordx2 v[66:67], v[36:37] offset:2048
	v_add_co_u32_e32 v26, vcc, s3, v6
	s_mov_b32 s3, 0x9000
	s_nop 0
	v_addc_co_u32_e32 v27, vcc, 0, v7, vcc
	v_add_co_u32_e32 v36, vcc, s3, v6
	s_mov_b32 s3, 0xa000
	s_nop 0
	v_addc_co_u32_e32 v37, vcc, 0, v7, vcc
	flat_load_dwordx2 v[68:69], v[26:27]
	flat_load_dwordx2 v[74:75], v[26:27] offset:2048
	flat_load_dwordx2 v[78:79], v[36:37]
	flat_load_dwordx2 v[80:81], v[36:37] offset:2048
	v_add_co_u32_e32 v6, vcc, s3, v6
	s_movk_i32 s3, 0xa0
	s_nop 0
	v_addc_co_u32_e32 v7, vcc, 0, v7, vcc
	flat_load_dwordx2 v[6:7], v[6:7]
	v_cmp_ne_u32_e64 s[4:5], v5, v22
	v_cmp_ne_u32_e64 s[6:7], v22, v23
	;; [unrolled: 1-line block ×16, first 2 shown]
	v_cmp_ne_u32_e32 vcc, v4, v5
	v_cmp_ne_u32_e64 s[42:43], v24, v4
	v_mov_b32_e32 v4, s62
	v_cndmask_b32_e64 v70, 0, 1, s[8:9]
	v_cndmask_b32_e64 v57, 0, 1, vcc
	v_cndmask_b32_e64 v61, 0, 1, s[4:5]
	v_cndmask_b32_e64 v65, 0, 1, s[6:7]
	;; [unrolled: 1-line block ×18, first 2 shown]
	s_waitcnt vmcnt(0) lgkmcnt(0)
	ds_write2st64_b64 v2, v[28:29], v[30:31] offset1:4
	ds_write2st64_b64 v2, v[32:33], v[34:35] offset0:8 offset1:12
	ds_write2st64_b64 v2, v[38:39], v[40:41] offset0:16 offset1:20
	;; [unrolled: 1-line block ×9, first 2 shown]
	ds_write_b64 v2, v[6:7] offset:40960
	v_mad_u32_u24 v2, v0, s3, v2
	s_waitcnt lgkmcnt(0)
	s_barrier
	ds_read2_b64 v[6:9], v2 offset1:1
	ds_read2_b64 v[10:13], v2 offset0:2 offset1:3
	ds_read2_b64 v[14:17], v2 offset0:4 offset1:5
	;; [unrolled: 1-line block ×9, first 2 shown]
	ds_read_b64 v[22:23], v2 offset:160
	v_mov_b32_e32 v2, s63
	s_waitcnt lgkmcnt(8)
	v_cndmask_b32_e64 v56, v14, v4, s[8:9]
	v_cndmask_b32_e64 v55, v15, v2, s[8:9]
	v_cmp_ne_u32_e64 s[8:9], v3, v1
	v_cndmask_b32_e64 v41, v7, v2, s[42:43]
	v_cndmask_b32_e64 v40, v6, v4, s[42:43]
	v_cndmask_b32_e32 v50, v8, v4, vcc
	v_cndmask_b32_e32 v49, v9, v2, vcc
	v_cndmask_b32_e64 v52, v10, v4, s[4:5]
	v_cndmask_b32_e64 v51, v11, v2, s[4:5]
	;; [unrolled: 1-line block ×6, first 2 shown]
	s_waitcnt lgkmcnt(7)
	v_cndmask_b32_e64 v63, v18, v4, s[12:13]
	v_cndmask_b32_e64 v62, v19, v2, s[12:13]
	v_cndmask_b32_e64 v67, v20, v4, s[14:15]
	v_cndmask_b32_e64 v66, v21, v2, s[14:15]
	s_waitcnt lgkmcnt(6)
	v_cndmask_b32_e64 v69, v26, v4, s[16:17]
	v_cndmask_b32_e64 v68, v27, v2, s[16:17]
	v_cndmask_b32_e64 v72, v28, v4, s[18:19]
	v_cndmask_b32_e64 v71, v29, v2, s[18:19]
	;; [unrolled: 5-line block ×7, first 2 shown]
	s_waitcnt lgkmcnt(0)
	v_cndmask_b32_e64 v3, v23, v2, s[8:9]
	v_cndmask_b32_e64 v2, v22, v4, s[8:9]
	s_mov_b64 s[10:11], -1
                                        ; kill: def $vgpr1 killed $sgpr0 killed $exec
                                        ; implicit-def: $sgpr6
                                        ; implicit-def: $sgpr3
.LBB1995_134:
	v_mov_b32_e32 v122, s3
	v_mov_b32_e32 v123, s3
	;; [unrolled: 1-line block ×3, first 2 shown]
	s_and_saveexec_b64 s[4:5], s[10:11]
; %bb.135:
	v_cndmask_b32_e64 v121, 0, 1, s[8:9]
	v_mov_b32_e32 v122, v2
	v_mov_b32_e32 v123, v3
; %bb.136:
	s_or_b64 exec, exec, s[4:5]
	v_or_b32_e32 v1, v121, v60
	s_cmp_lg_u32 s2, 0
	v_or_b32_e32 v125, v1, v120
	v_mbcnt_lo_u32_b32 v124, -1, 0
	s_barrier
	s_cbranch_scc0 .LBB1995_201
; %bb.137:
	v_mov_b32_e32 v1, 0
	v_cmp_eq_u16_sdwa s[44:45], v57, v1 src0_sel:BYTE_0 src1_sel:DWORD
	v_cmp_eq_u16_sdwa s[4:5], v61, v1 src0_sel:BYTE_0 src1_sel:DWORD
	;; [unrolled: 1-line block ×3, first 2 shown]
	v_cndmask_b32_e64 v2, 0, v40, s[44:45]
	v_add_u32_e32 v2, v2, v50
	v_cndmask_b32_e64 v3, 0, v41, s[44:45]
	v_add_u32_e32 v3, v3, v49
	;; [unrolled: 2-line block ×5, first 2 shown]
	v_cndmask_b32_e64 v3, 0, v3, s[6:7]
	v_cmp_eq_u16_sdwa s[8:9], v70, v1 src0_sel:BYTE_0 src1_sel:DWORD
	v_add_u32_e32 v3, v3, v53
	v_cmp_eq_u16_sdwa s[10:11], v73, v1 src0_sel:BYTE_0 src1_sel:DWORD
	v_cndmask_b32_e64 v2, 0, v2, s[8:9]
	v_add_u32_e32 v2, v2, v56
	v_cndmask_b32_e64 v3, 0, v3, s[8:9]
	v_add_u32_e32 v3, v3, v55
	v_cndmask_b32_e64 v2, 0, v2, s[10:11]
	v_add_u32_e32 v2, v2, v59
	v_cndmask_b32_e64 v3, 0, v3, s[10:11]
	v_cmp_eq_u16_sdwa s[12:13], v77, v1 src0_sel:BYTE_0 src1_sel:DWORD
	v_add_u32_e32 v3, v3, v58
	v_cmp_eq_u16_sdwa s[14:15], v102, v1 src0_sel:BYTE_0 src1_sel:DWORD
	v_cndmask_b32_e64 v2, 0, v2, s[12:13]
	v_add_u32_e32 v2, v2, v63
	v_cndmask_b32_e64 v3, 0, v3, s[12:13]
	v_add_u32_e32 v3, v3, v62
	v_cndmask_b32_e64 v2, 0, v2, s[14:15]
	v_add_u32_e32 v2, v2, v67
	;; [unrolled: 10-line block ×8, first 2 shown]
	v_cndmask_b32_e64 v3, 0, v3, s[40:41]
	v_cmp_eq_u16_sdwa vcc, v121, v1 src0_sel:BYTE_0 src1_sel:DWORD
	v_add_u32_e32 v3, v3, v48
	v_mbcnt_hi_u32_b32 v11, -1, v124
	v_cndmask_b32_e32 v1, 0, v2, vcc
	v_add_u32_e32 v2, v1, v122
	v_cndmask_b32_e32 v1, 0, v3, vcc
	v_or_b32_e32 v3, v125, v119
	v_or_b32_e32 v3, v3, v118
	;; [unrolled: 1-line block ×17, first 2 shown]
	v_and_b32_e32 v3, 1, v3
	v_cmp_eq_u32_e32 vcc, 1, v3
	v_add_u32_e32 v1, v1, v123
	v_and_b32_e32 v4, 15, v11
	v_cndmask_b32_e64 v3, v64, 1, vcc
	v_mov_b32_dpp v5, v2 row_shr:1 row_mask:0xf bank_mask:0xf
	v_mov_b32_dpp v6, v1 row_shr:1 row_mask:0xf bank_mask:0xf
	;; [unrolled: 1-line block ×3, first 2 shown]
	v_cmp_ne_u32_e32 vcc, 0, v4
	s_and_saveexec_b64 s[42:43], vcc
; %bb.138:
	v_cmp_eq_u32_e32 vcc, 0, v3
	v_and_or_b32 v3, v7, 1, v3
	s_nop 0
	v_cndmask_b32_e32 v5, 0, v5, vcc
	v_add_u32_e32 v2, v5, v2
	v_cndmask_b32_e32 v5, 0, v6, vcc
	v_add_u32_e32 v1, v5, v1
; %bb.139:
	s_or_b64 exec, exec, s[42:43]
	v_mov_b32_dpp v6, v2 row_shr:2 row_mask:0xf bank_mask:0xf
	v_mov_b32_dpp v7, v1 row_shr:2 row_mask:0xf bank_mask:0xf
	v_mov_b32_dpp v5, v3 row_shr:2 row_mask:0xf bank_mask:0xf
	v_cmp_lt_u32_e32 vcc, 1, v4
	s_and_saveexec_b64 s[42:43], vcc
; %bb.140:
	v_add_u32_e32 v6, v6, v2
	v_add_u32_e32 v7, v7, v1
	v_cmp_eq_u32_e32 vcc, 0, v3
	v_or_b32_e32 v3, v5, v3
	v_and_b32_e32 v3, 1, v3
	v_cndmask_b32_e32 v2, v2, v6, vcc
	v_cndmask_b32_e32 v1, v1, v7, vcc
; %bb.141:
	s_or_b64 exec, exec, s[42:43]
	v_mov_b32_dpp v6, v2 row_shr:4 row_mask:0xf bank_mask:0xf
	v_mov_b32_dpp v7, v1 row_shr:4 row_mask:0xf bank_mask:0xf
	v_mov_b32_dpp v5, v3 row_shr:4 row_mask:0xf bank_mask:0xf
	v_cmp_lt_u32_e32 vcc, 3, v4
	s_and_saveexec_b64 s[42:43], vcc
; %bb.142:
	v_add_u32_e32 v6, v6, v2
	v_add_u32_e32 v7, v7, v1
	v_cmp_eq_u32_e32 vcc, 0, v3
	v_or_b32_e32 v3, v5, v3
	v_and_b32_e32 v3, 1, v3
	v_cndmask_b32_e32 v2, v2, v6, vcc
	v_cndmask_b32_e32 v1, v1, v7, vcc
	;; [unrolled: 15-line block ×3, first 2 shown]
; %bb.145:
	s_or_b64 exec, exec, s[42:43]
	v_and_b32_e32 v7, 16, v11
	v_mov_b32_dpp v5, v2 row_bcast:15 row_mask:0xf bank_mask:0xf
	v_mov_b32_dpp v6, v1 row_bcast:15 row_mask:0xf bank_mask:0xf
	;; [unrolled: 1-line block ×3, first 2 shown]
	v_cmp_ne_u32_e32 vcc, 0, v7
	s_and_saveexec_b64 s[42:43], vcc
; %bb.146:
	v_add_u32_e32 v5, v5, v2
	v_add_u32_e32 v6, v6, v1
	v_cmp_eq_u32_e32 vcc, 0, v3
	v_or_b32_e32 v3, v4, v3
	v_and_b32_e32 v3, 1, v3
	v_cndmask_b32_e32 v2, v2, v5, vcc
	v_cndmask_b32_e32 v1, v1, v6, vcc
; %bb.147:
	s_or_b64 exec, exec, s[42:43]
	v_mov_b32_dpp v6, v2 row_bcast:31 row_mask:0xf bank_mask:0xf
	v_mov_b32_dpp v7, v1 row_bcast:31 row_mask:0xf bank_mask:0xf
	;; [unrolled: 1-line block ×3, first 2 shown]
	v_cmp_lt_u32_e32 vcc, 31, v11
	v_mov_b32_e32 v4, v3
	s_and_saveexec_b64 s[42:43], vcc
; %bb.148:
	v_add_u32_e32 v4, v6, v2
	v_add_u32_e32 v6, v7, v1
	v_cmp_eq_u32_e32 vcc, 0, v3
	v_or_b32_e32 v3, v5, v3
	s_nop 0
	v_cndmask_b32_e32 v2, v2, v4, vcc
	v_cndmask_b32_e32 v1, v1, v6, vcc
	v_and_b32_e32 v4, 1, v3
	v_and_b32_e32 v3, 1, v3
; %bb.149:
	s_or_b64 exec, exec, s[42:43]
	v_or_b32_e32 v5, 63, v0
	v_lshrrev_b32_e32 v8, 6, v0
	v_cmp_eq_u32_e32 vcc, v5, v0
	s_and_saveexec_b64 s[42:43], vcc
	s_cbranch_execz .LBB1995_151
; %bb.150:
	v_mul_u32_u24_e32 v5, 12, v8
	ds_write2_b32 v5, v2, v1 offset1:1
	ds_write_b8 v5, v4 offset:8
.LBB1995_151:
	s_or_b64 exec, exec, s[42:43]
	v_cmp_gt_u32_e32 vcc, 4, v0
	s_waitcnt lgkmcnt(0)
	s_barrier
	s_and_saveexec_b64 s[42:43], vcc
	s_cbranch_execz .LBB1995_157
; %bb.152:
	v_mul_u32_u24_e32 v6, 12, v0
	ds_read2_b32 v[4:5], v6 offset1:1
	ds_read_b32 v7, v6 offset:8
	v_and_b32_e32 v9, 3, v11
	v_cmp_ne_u32_e32 vcc, 0, v9
	s_waitcnt lgkmcnt(1)
	v_mov_b32_dpp v14, v4 row_shr:1 row_mask:0xf bank_mask:0xf
	v_mov_b32_dpp v12, v5 row_shr:1 row_mask:0xf bank_mask:0xf
	s_waitcnt lgkmcnt(0)
	v_mov_b32_dpp v13, v7 row_shr:1 row_mask:0xf bank_mask:0xf
	v_mov_b32_e32 v10, v7
	s_and_saveexec_b64 s[46:47], vcc
; %bb.153:
	v_mov_b32_e32 v10, 0
	v_cmp_eq_u16_sdwa vcc, v7, v10 src0_sel:BYTE_0 src1_sel:DWORD
	s_movk_i32 s3, 0xff00
	s_nop 0
	v_cndmask_b32_e32 v10, 0, v14, vcc
	v_add_u32_e32 v4, v10, v4
	v_cndmask_b32_e32 v10, 0, v12, vcc
	v_add_u32_e32 v5, v10, v5
	v_or_b32_e32 v10, v13, v7
	v_and_b32_e32 v10, 1, v10
	v_and_or_b32 v7, v7, s3, v10
; %bb.154:
	s_or_b64 exec, exec, s[46:47]
	v_mov_b32_dpp v13, v4 row_shr:2 row_mask:0xf bank_mask:0xf
	v_mov_b32_dpp v14, v5 row_shr:2 row_mask:0xf bank_mask:0xf
	;; [unrolled: 1-line block ×3, first 2 shown]
	v_cmp_lt_u32_e32 vcc, 1, v9
	s_and_saveexec_b64 s[46:47], vcc
; %bb.155:
	v_mov_b32_e32 v7, 0
	v_add_u32_e32 v9, v13, v4
	v_add_u32_e32 v13, v14, v5
	v_cmp_eq_u16_sdwa vcc, v10, v7 src0_sel:BYTE_0 src1_sel:DWORD
	v_or_b32_e32 v7, v12, v10
	v_and_b32_e32 v7, 1, v7
	v_cndmask_b32_e32 v4, v4, v9, vcc
	v_cndmask_b32_e32 v5, v5, v13, vcc
; %bb.156:
	s_or_b64 exec, exec, s[46:47]
	ds_write2_b32 v6, v4, v5 offset1:1
	ds_write_b8 v6, v7 offset:8
.LBB1995_157:
	s_or_b64 exec, exec, s[42:43]
	v_cmp_gt_u32_e32 vcc, 64, v0
	v_cmp_lt_u32_e64 s[42:43], 63, v0
	v_mov_b32_e32 v15, 0
	v_mov_b64_e32 v[6:7], 0
	s_waitcnt lgkmcnt(0)
	s_barrier
	s_and_saveexec_b64 s[46:47], s[42:43]
	s_cbranch_execz .LBB1995_159
; %bb.158:
	v_mad_u32_u24 v4, v8, 12, -12
	ds_read2_b32 v[6:7], v4 offset1:1
	ds_read_u8 v15, v4 offset:8
	v_cmp_eq_u32_e64 s[42:43], 0, v3
	v_and_b32_e32 v3, 1, v3
	s_waitcnt lgkmcnt(1)
	v_cndmask_b32_e64 v4, 0, v6, s[42:43]
	v_cndmask_b32_e64 v5, 0, v7, s[42:43]
	v_add_u32_e32 v2, v4, v2
	s_waitcnt lgkmcnt(0)
	v_and_b32_e32 v4, 1, v15
	v_cmp_eq_u32_e64 s[42:43], 1, v3
	v_add_u32_e32 v1, v5, v1
	s_nop 0
	v_cndmask_b32_e64 v3, v4, 1, s[42:43]
.LBB1995_159:
	s_or_b64 exec, exec, s[46:47]
	v_add_u32_e32 v4, -1, v11
	v_and_b32_e32 v5, 64, v11
	v_cmp_lt_i32_e64 s[42:43], v4, v5
	s_nop 1
	v_cndmask_b32_e64 v4, v4, v11, s[42:43]
	v_lshlrev_b32_e32 v4, 2, v4
	ds_bpermute_b32 v21, v4, v2
	ds_bpermute_b32 v23, v4, v1
	;; [unrolled: 1-line block ×3, first 2 shown]
	v_cmp_eq_u32_e64 s[42:43], 0, v11
	s_and_saveexec_b64 s[56:57], vcc
	s_cbranch_execz .LBB1995_200
; %bb.160:
	v_mov_b32_e32 v13, 0
	ds_read2_b32 v[8:9], v13 offset0:9 offset1:10
	ds_read_b32 v25, v13 offset:44
	s_waitcnt lgkmcnt(1)
	v_readfirstlane_b32 s3, v9
	s_and_saveexec_b64 s[46:47], s[42:43]
	s_cbranch_execz .LBB1995_162
; %bb.161:
	s_add_i32 s66, s2, 64
	s_mov_b32 s67, 0
	s_lshl_b64 s[68:69], s[66:67], 4
	s_add_u32 s68, s52, s68
	s_waitcnt lgkmcnt(0)
	v_and_b32_e32 v3, 0xff00, v25
	s_addc_u32 s69, s53, s69
	v_and_b32_e32 v2, 0xff0000, v25
	v_or_b32_sdwa v3, v3, v25 dst_sel:DWORD dst_unused:UNUSED_PAD src0_sel:DWORD src1_sel:BYTE_0
	s_and_b32 s71, s3, 0xff000000
	s_mov_b32 s70, s67
	s_and_b32 s73, s3, 0xff0000
	s_mov_b32 s72, s67
	v_and_b32_e32 v1, 0xff000000, v25
	v_or_b32_e32 v2, v3, v2
	s_and_b32 s75, s3, 0xff00
	s_mov_b32 s74, s67
	s_and_b32 s55, s3, 0xff
	s_or_b64 s[66:67], s[70:71], s[72:73]
	v_or_b32_e32 v4, v2, v1
	s_or_b64 s[66:67], s[66:67], s[74:75]
	v_mov_b32_e32 v1, s55
	v_or_b32_e32 v2, s66, v8
	v_or_b32_e32 v3, s67, v1
	v_mov_b32_e32 v5, 1
	v_mov_b64_e32 v[16:17], s[68:69]
	;;#ASMSTART
	global_store_dwordx4 v[16:17], v[2:5] off sc1	
s_waitcnt vmcnt(0)
	;;#ASMEND
.LBB1995_162:
	s_or_b64 exec, exec, s[46:47]
	v_xad_u32 v10, v11, -1, s2
	v_add_u32_e32 v12, 64, v10
	v_lshl_add_u64 v[16:17], v[12:13], 4, s[52:53]
	;;#ASMSTART
	global_load_dwordx4 v[2:5], v[16:17] off sc1	
s_waitcnt vmcnt(0)
	;;#ASMEND
	s_nop 0
	v_lshlrev_b64 v[26:27], 24, v[4:5]
	v_lshrrev_b32_e32 v1, 8, v3
	v_or_b32_e32 v14, v1, v26
	v_lshlrev_b64 v[26:27], 16, v[4:5]
	v_or_b32_sdwa v18, v3, v26 dst_sel:DWORD dst_unused:UNUSED_PAD src0_sel:WORD_1 src1_sel:DWORD
	v_lshlrev_b64 v[26:27], 8, v[4:5]
	v_alignbit_b32 v9, v3, v2, 8
	v_alignbit_b32 v22, v3, v2, 16
	;; [unrolled: 1-line block ×3, first 2 shown]
	v_mov_b32_e32 v12, v3
	v_or_b32_sdwa v20, v3, v26 dst_sel:DWORD dst_unused:UNUSED_PAD src0_sel:BYTE_3 src1_sel:DWORD
	v_cmp_eq_u16_sdwa s[66:67], v5, v13 src0_sel:BYTE_0 src1_sel:DWORD
	s_and_saveexec_b64 s[46:47], s[66:67]
	s_cbranch_execz .LBB1995_166
; %bb.163:
	s_mov_b64 s[66:67], 0
	v_mov_b32_e32 v1, 0
.LBB1995_164:                           ; =>This Inner Loop Header: Depth=1
	;;#ASMSTART
	global_load_dwordx4 v[2:5], v[16:17] off sc1	
s_waitcnt vmcnt(0)
	;;#ASMEND
	s_nop 0
	v_cmp_ne_u16_sdwa s[68:69], v5, v1 src0_sel:BYTE_0 src1_sel:DWORD
	s_or_b64 s[66:67], s[68:69], s[66:67]
	s_andn2_b64 exec, exec, s[66:67]
	s_cbranch_execnz .LBB1995_164
; %bb.165:
	s_or_b64 exec, exec, s[66:67]
	v_lshlrev_b64 v[16:17], 24, v[4:5]
	v_lshrrev_b32_e32 v1, 8, v3
	v_or_b32_e32 v14, v1, v16
	v_lshlrev_b64 v[16:17], 16, v[4:5]
	v_or_b32_sdwa v18, v3, v16 dst_sel:DWORD dst_unused:UNUSED_PAD src0_sel:WORD_1 src1_sel:DWORD
	v_lshlrev_b64 v[16:17], 8, v[4:5]
	v_alignbit_b32 v9, v3, v2, 8
	v_alignbit_b32 v22, v3, v2, 16
	;; [unrolled: 1-line block ×3, first 2 shown]
	v_mov_b32_e32 v12, v3
	v_or_b32_sdwa v20, v3, v16 dst_sel:DWORD dst_unused:UNUSED_PAD src0_sel:BYTE_3 src1_sel:DWORD
.LBB1995_166:
	s_or_b64 exec, exec, s[46:47]
	v_lshlrev_b32_e32 v3, 16, v18
	v_lshlrev_b32_e32 v1, 24, v20
	v_and_b32_e32 v3, 0xff0000, v3
	v_or_b32_e32 v1, v3, v1
	v_lshlrev_b32_e32 v3, 8, v14
	v_and_b32_e32 v3, 0xff00, v3
	v_and_b32_e32 v12, 0xff, v12
	v_or3_b32 v1, v1, v3, v12
	v_lshlrev_b32_e32 v3, 16, v22
	s_mov_b32 s46, 0x4020c0c
	v_lshlrev_b32_e32 v9, 8, v9
	v_perm_b32 v3, v19, v3, s46
	s_mov_b32 s46, 0xc0c0500
	v_perm_b32 v2, v9, v2, s46
	v_and_b32_e32 v9, 63, v11
	v_or_b32_e32 v2, v2, v3
	v_mov_b32_e32 v3, 2
	v_cmp_ne_u32_e32 vcc, 63, v9
	v_cmp_eq_u16_sdwa s[46:47], v5, v3 src0_sel:BYTE_0 src1_sel:DWORD
	v_lshlrev_b64 v[12:13], v11, -1
	v_addc_co_u32_e32 v16, vcc, 0, v11, vcc
	v_and_b32_e32 v3, s47, v13
	v_and_b32_e32 v14, 0xff, v4
	v_lshlrev_b32_e32 v17, 2, v16
	v_or_b32_e32 v3, 0x80000000, v3
	ds_bpermute_b32 v19, v17, v2
	ds_bpermute_b32 v18, v17, v1
	;; [unrolled: 1-line block ×3, first 2 shown]
	v_and_b32_e32 v20, s46, v12
	v_ffbl_b32_e32 v3, v3
	v_add_u32_e32 v3, 32, v3
	v_ffbl_b32_e32 v20, v20
	v_min_u32_e32 v3, v20, v3
	v_cmp_lt_u32_e32 vcc, v9, v3
	s_and_saveexec_b64 s[46:47], vcc
	s_cbranch_execz .LBB1995_168
; %bb.167:
	v_mov_b32_e32 v14, 0
	v_cmp_eq_u16_sdwa vcc, v4, v14 src0_sel:BYTE_0 src1_sel:DWORD
	s_waitcnt lgkmcnt(0)
	v_or_b32_e32 v4, v4, v16
	v_and_b32_e32 v4, 1, v4
	v_cndmask_b32_e32 v14, 0, v19, vcc
	v_add_u32_e32 v2, v14, v2
	v_cndmask_b32_e32 v14, 0, v18, vcc
	v_add_u32_e32 v1, v14, v1
	v_and_b32_e32 v14, 0xffff, v4
.LBB1995_168:
	s_or_b64 exec, exec, s[46:47]
	v_cmp_gt_u32_e32 vcc, 62, v9
	v_add_u32_e32 v27, 2, v9
	s_waitcnt lgkmcnt(0)
	v_cndmask_b32_e64 v16, 0, 1, vcc
	v_lshlrev_b32_e32 v16, 1, v16
	v_add_lshl_u32 v26, v16, v11, 2
	ds_bpermute_b32 v18, v26, v2
	ds_bpermute_b32 v19, v26, v1
	ds_bpermute_b32 v16, v26, v14
	v_cmp_le_u32_e32 vcc, v27, v3
	s_and_saveexec_b64 s[46:47], vcc
	s_cbranch_execz .LBB1995_170
; %bb.169:
	v_mov_b32_e32 v14, 0
	v_cmp_eq_u16_sdwa vcc, v4, v14 src0_sel:BYTE_0 src1_sel:DWORD
	s_waitcnt lgkmcnt(0)
	v_or_b32_e32 v4, v16, v4
	v_add_u32_e32 v18, v18, v2
	v_add_u32_e32 v19, v19, v1
	v_and_b32_e32 v14, 1, v4
	v_cndmask_b32_e32 v2, v2, v18, vcc
	v_cndmask_b32_e32 v1, v1, v19, vcc
	v_mov_b32_e32 v4, v14
.LBB1995_170:
	s_or_b64 exec, exec, s[46:47]
	v_cmp_gt_u32_e32 vcc, 60, v9
	v_add_u32_e32 v29, 4, v9
	s_waitcnt lgkmcnt(0)
	v_cndmask_b32_e64 v16, 0, 1, vcc
	v_lshlrev_b32_e32 v16, 2, v16
	v_add_lshl_u32 v28, v16, v11, 2
	ds_bpermute_b32 v18, v28, v2
	ds_bpermute_b32 v19, v28, v1
	ds_bpermute_b32 v16, v28, v14
	v_cmp_le_u32_e32 vcc, v29, v3
	s_and_saveexec_b64 s[46:47], vcc
	s_cbranch_execz .LBB1995_172
; %bb.171:
	v_mov_b32_e32 v14, 0
	v_cmp_eq_u16_sdwa vcc, v4, v14 src0_sel:BYTE_0 src1_sel:DWORD
	s_waitcnt lgkmcnt(0)
	v_or_b32_e32 v4, v16, v4
	v_add_u32_e32 v18, v18, v2
	v_add_u32_e32 v19, v19, v1
	v_and_b32_e32 v14, 1, v4
	v_cndmask_b32_e32 v2, v2, v18, vcc
	v_cndmask_b32_e32 v1, v1, v19, vcc
	v_mov_b32_e32 v4, v14
.LBB1995_172:
	s_or_b64 exec, exec, s[46:47]
	v_cmp_gt_u32_e32 vcc, 56, v9
	v_add_u32_e32 v31, 8, v9
	s_waitcnt lgkmcnt(0)
	v_cndmask_b32_e64 v16, 0, 1, vcc
	v_lshlrev_b32_e32 v16, 3, v16
	v_add_lshl_u32 v30, v16, v11, 2
	ds_bpermute_b32 v18, v30, v2
	ds_bpermute_b32 v19, v30, v1
	ds_bpermute_b32 v16, v30, v14
	v_cmp_le_u32_e32 vcc, v31, v3
	s_and_saveexec_b64 s[46:47], vcc
	s_cbranch_execz .LBB1995_174
; %bb.173:
	v_mov_b32_e32 v14, 0
	v_cmp_eq_u16_sdwa vcc, v4, v14 src0_sel:BYTE_0 src1_sel:DWORD
	s_waitcnt lgkmcnt(0)
	v_or_b32_e32 v4, v16, v4
	v_add_u32_e32 v18, v18, v2
	v_add_u32_e32 v19, v19, v1
	v_and_b32_e32 v14, 1, v4
	v_cndmask_b32_e32 v2, v2, v18, vcc
	v_cndmask_b32_e32 v1, v1, v19, vcc
	v_mov_b32_e32 v4, v14
.LBB1995_174:
	s_or_b64 exec, exec, s[46:47]
	v_cmp_gt_u32_e32 vcc, 48, v9
	v_add_u32_e32 v33, 16, v9
	s_waitcnt lgkmcnt(0)
	v_cndmask_b32_e64 v16, 0, 1, vcc
	v_lshlrev_b32_e32 v16, 4, v16
	v_add_lshl_u32 v32, v16, v11, 2
	ds_bpermute_b32 v18, v32, v2
	ds_bpermute_b32 v19, v32, v1
	ds_bpermute_b32 v16, v32, v14
	v_cmp_le_u32_e32 vcc, v33, v3
	s_and_saveexec_b64 s[46:47], vcc
	s_cbranch_execz .LBB1995_176
; %bb.175:
	v_mov_b32_e32 v14, 0
	v_cmp_eq_u16_sdwa vcc, v4, v14 src0_sel:BYTE_0 src1_sel:DWORD
	s_waitcnt lgkmcnt(0)
	v_or_b32_e32 v4, v16, v4
	v_add_u32_e32 v18, v18, v2
	v_add_u32_e32 v19, v19, v1
	v_and_b32_e32 v14, 1, v4
	v_cndmask_b32_e32 v2, v2, v18, vcc
	v_cndmask_b32_e32 v1, v1, v19, vcc
	v_mov_b32_e32 v4, v14
.LBB1995_176:
	s_or_b64 exec, exec, s[46:47]
	v_cmp_gt_u32_e32 vcc, 32, v9
	v_add_u32_e32 v38, 32, v9
	s_waitcnt lgkmcnt(0)
	v_cndmask_b32_e64 v16, 0, 1, vcc
	v_lshlrev_b32_e32 v16, 5, v16
	v_add_lshl_u32 v36, v16, v11, 2
	ds_bpermute_b32 v16, v36, v2
	ds_bpermute_b32 v18, v36, v1
	;; [unrolled: 1-line block ×3, first 2 shown]
	v_cmp_le_u32_e32 vcc, v38, v3
	s_and_saveexec_b64 s[46:47], vcc
	s_cbranch_execz .LBB1995_178
; %bb.177:
	v_mov_b32_e32 v3, 0
	s_waitcnt lgkmcnt(2)
	v_add_u32_e32 v14, v16, v2
	s_waitcnt lgkmcnt(1)
	v_add_u32_e32 v16, v18, v1
	v_cmp_eq_u16_sdwa vcc, v4, v3 src0_sel:BYTE_0 src1_sel:DWORD
	s_waitcnt lgkmcnt(0)
	v_or_b32_e32 v3, v11, v4
	v_cndmask_b32_e32 v2, v2, v14, vcc
	v_cndmask_b32_e32 v1, v1, v16, vcc
	v_and_b32_e32 v14, 1, v3
.LBB1995_178:
	s_or_b64 exec, exec, s[46:47]
	s_movk_i32 s55, 0xff
	s_waitcnt lgkmcnt(0)
	v_mov_b32_e32 v11, 0
	s_mov_b32 s68, 0x4020c0c
	s_mov_b32 s69, 0xc0c0500
	v_mov_b32_e32 v39, 2
	s_branch .LBB1995_180
.LBB1995_179:                           ;   in Loop: Header=BB1995_180 Depth=1
	s_or_b64 exec, exec, s[46:47]
	s_waitcnt lgkmcnt(0)
	ds_bpermute_b32 v16, v36, v2
	ds_bpermute_b32 v18, v36, v1
	;; [unrolled: 1-line block ×3, first 2 shown]
	v_cmp_eq_u16_sdwa vcc, v4, v11 src0_sel:BYTE_0 src1_sel:DWORD
	v_subrev_u32_e32 v10, 64, v10
	s_waitcnt lgkmcnt(2)
	v_add_u32_e32 v16, v16, v2
	s_waitcnt lgkmcnt(1)
	v_add_u32_e32 v18, v18, v1
	v_cndmask_b32_e32 v16, v2, v16, vcc
	v_cndmask_b32_e32 v18, v1, v18, vcc
	s_waitcnt lgkmcnt(0)
	v_and_or_b32 v4, v4, s55, v19
	v_cmp_gt_u32_e32 vcc, v38, v3
	s_nop 1
	v_cndmask_b32_e32 v3, v4, v14, vcc
	v_cndmask_b32_e32 v2, v16, v2, vcc
	;; [unrolled: 1-line block ×3, first 2 shown]
	v_cmp_eq_u16_sdwa vcc, v34, v11 src0_sel:BYTE_0 src1_sel:DWORD
	v_and_b32_e32 v4, 1, v34
	v_and_b32_e32 v3, 1, v3
	v_cndmask_b32_e32 v2, 0, v2, vcc
	v_cndmask_b32_e32 v1, 0, v1, vcc
	v_cmp_eq_u32_e32 vcc, 1, v4
	v_cmp_eq_u32_e64 s[46:47], 1, v3
	s_or_b64 s[46:47], vcc, s[46:47]
	v_add_u32_e32 v2, v2, v37
	v_add_u32_e32 v1, v1, v35
	v_cndmask_b32_e64 v14, 0, 1, s[46:47]
.LBB1995_180:                           ; =>This Loop Header: Depth=1
                                        ;     Child Loop BB1995_183 Depth 2
	v_cmp_ne_u16_sdwa s[46:47], v5, v39 src0_sel:BYTE_0 src1_sel:DWORD
	v_mov_b32_e32 v35, v1
	v_mov_b32_e32 v34, v14
	v_cndmask_b32_e64 v1, 0, 1, s[46:47]
	;;#ASMSTART
	;;#ASMEND
	v_mov_b32_e32 v37, v2
	v_cmp_ne_u32_e32 vcc, 0, v1
	s_cmp_lg_u64 vcc, exec
	s_cbranch_scc1 .LBB1995_195
; %bb.181:                              ;   in Loop: Header=BB1995_180 Depth=1
	v_lshl_add_u64 v[18:19], v[10:11], 4, s[52:53]
	;;#ASMSTART
	global_load_dwordx4 v[2:5], v[18:19] off sc1	
s_waitcnt vmcnt(0)
	;;#ASMEND
	s_nop 0
	v_lshlrev_b64 v[82:83], 24, v[4:5]
	v_lshrrev_b32_e32 v1, 8, v3
	v_or_b32_e32 v16, v1, v82
	v_lshlrev_b64 v[82:83], 16, v[4:5]
	v_or_b32_sdwa v20, v3, v82 dst_sel:DWORD dst_unused:UNUSED_PAD src0_sel:WORD_1 src1_sel:DWORD
	v_lshlrev_b64 v[82:83], 8, v[4:5]
	v_alignbit_b32 v78, v3, v2, 8
	v_alignbit_b32 v79, v3, v2, 16
	;; [unrolled: 1-line block ×3, first 2 shown]
	v_mov_b32_e32 v14, v3
	v_or_b32_sdwa v22, v3, v82 dst_sel:DWORD dst_unused:UNUSED_PAD src0_sel:BYTE_3 src1_sel:DWORD
	v_cmp_eq_u16_sdwa s[66:67], v5, v11 src0_sel:BYTE_0 src1_sel:DWORD
	s_and_saveexec_b64 s[46:47], s[66:67]
	s_cbranch_execz .LBB1995_185
; %bb.182:                              ;   in Loop: Header=BB1995_180 Depth=1
	s_mov_b64 s[66:67], 0
.LBB1995_183:                           ;   Parent Loop BB1995_180 Depth=1
                                        ; =>  This Inner Loop Header: Depth=2
	;;#ASMSTART
	global_load_dwordx4 v[2:5], v[18:19] off sc1	
s_waitcnt vmcnt(0)
	;;#ASMEND
	s_nop 0
	v_cmp_ne_u16_sdwa s[70:71], v5, v11 src0_sel:BYTE_0 src1_sel:DWORD
	s_or_b64 s[66:67], s[70:71], s[66:67]
	s_andn2_b64 exec, exec, s[66:67]
	s_cbranch_execnz .LBB1995_183
; %bb.184:                              ;   in Loop: Header=BB1995_180 Depth=1
	s_or_b64 exec, exec, s[66:67]
	v_lshlrev_b64 v[18:19], 24, v[4:5]
	v_lshrrev_b32_e32 v1, 8, v3
	v_or_b32_e32 v16, v1, v18
	v_lshlrev_b64 v[18:19], 16, v[4:5]
	v_or_b32_sdwa v20, v3, v18 dst_sel:DWORD dst_unused:UNUSED_PAD src0_sel:WORD_1 src1_sel:DWORD
	v_lshlrev_b64 v[18:19], 8, v[4:5]
	v_alignbit_b32 v78, v3, v2, 8
	v_alignbit_b32 v79, v3, v2, 16
	;; [unrolled: 1-line block ×3, first 2 shown]
	v_mov_b32_e32 v14, v3
	v_or_b32_sdwa v22, v3, v18 dst_sel:DWORD dst_unused:UNUSED_PAD src0_sel:BYTE_3 src1_sel:DWORD
.LBB1995_185:                           ;   in Loop: Header=BB1995_180 Depth=1
	s_or_b64 exec, exec, s[46:47]
	v_lshlrev_b32_e32 v3, 16, v20
	v_lshlrev_b32_e32 v1, 24, v22
	v_and_b32_e32 v3, 0xff0000, v3
	v_or_b32_e32 v1, v3, v1
	v_lshlrev_b32_e32 v3, 8, v16
	v_and_b32_e32 v3, 0xff00, v3
	v_and_b32_e32 v14, 0xff, v14
	v_or3_b32 v1, v1, v3, v14
	v_lshlrev_b32_e32 v3, 16, v79
	v_lshlrev_b32_e32 v14, 8, v78
	v_perm_b32 v3, v80, v3, s68
	v_perm_b32 v2, v14, v2, s69
	v_cmp_eq_u16_sdwa s[46:47], v5, v39 src0_sel:BYTE_0 src1_sel:DWORD
	v_or_b32_e32 v2, v2, v3
	v_and_b32_e32 v14, 0xff, v4
	v_and_b32_e32 v3, s47, v13
	v_or_b32_e32 v3, 0x80000000, v3
	ds_bpermute_b32 v19, v17, v2
	ds_bpermute_b32 v18, v17, v1
	;; [unrolled: 1-line block ×3, first 2 shown]
	v_and_b32_e32 v20, s46, v12
	v_ffbl_b32_e32 v3, v3
	v_add_u32_e32 v3, 32, v3
	v_ffbl_b32_e32 v20, v20
	v_min_u32_e32 v3, v20, v3
	v_cmp_lt_u32_e32 vcc, v9, v3
	s_and_saveexec_b64 s[46:47], vcc
	s_cbranch_execz .LBB1995_187
; %bb.186:                              ;   in Loop: Header=BB1995_180 Depth=1
	v_cmp_eq_u16_sdwa vcc, v4, v11 src0_sel:BYTE_0 src1_sel:DWORD
	s_waitcnt lgkmcnt(0)
	v_or_b32_e32 v4, v16, v4
	v_cndmask_b32_e32 v14, 0, v19, vcc
	v_add_u32_e32 v2, v14, v2
	v_cndmask_b32_e32 v14, 0, v18, vcc
	v_add_u32_e32 v1, v14, v1
	v_and_b32_e32 v14, 1, v4
	v_mov_b32_e32 v4, v14
.LBB1995_187:                           ;   in Loop: Header=BB1995_180 Depth=1
	s_or_b64 exec, exec, s[46:47]
	s_waitcnt lgkmcnt(1)
	ds_bpermute_b32 v18, v26, v2
	ds_bpermute_b32 v19, v26, v1
	s_waitcnt lgkmcnt(2)
	ds_bpermute_b32 v16, v26, v14
	v_cmp_le_u32_e32 vcc, v27, v3
	s_and_saveexec_b64 s[46:47], vcc
	s_cbranch_execz .LBB1995_189
; %bb.188:                              ;   in Loop: Header=BB1995_180 Depth=1
	s_waitcnt lgkmcnt(2)
	v_add_u32_e32 v14, v18, v2
	v_cmp_eq_u16_sdwa vcc, v4, v11 src0_sel:BYTE_0 src1_sel:DWORD
	s_waitcnt lgkmcnt(0)
	v_or_b32_e32 v4, v16, v4
	v_add_u32_e32 v18, v19, v1
	v_cndmask_b32_e32 v2, v2, v14, vcc
	v_and_b32_e32 v14, 1, v4
	v_cndmask_b32_e32 v1, v1, v18, vcc
	v_mov_b32_e32 v4, v14
.LBB1995_189:                           ;   in Loop: Header=BB1995_180 Depth=1
	s_or_b64 exec, exec, s[46:47]
	s_waitcnt lgkmcnt(2)
	ds_bpermute_b32 v18, v28, v2
	s_waitcnt lgkmcnt(2)
	ds_bpermute_b32 v19, v28, v1
	s_waitcnt lgkmcnt(2)
	ds_bpermute_b32 v16, v28, v14
	v_cmp_le_u32_e32 vcc, v29, v3
	s_and_saveexec_b64 s[46:47], vcc
	s_cbranch_execz .LBB1995_191
; %bb.190:                              ;   in Loop: Header=BB1995_180 Depth=1
	s_waitcnt lgkmcnt(2)
	v_add_u32_e32 v14, v18, v2
	v_cmp_eq_u16_sdwa vcc, v4, v11 src0_sel:BYTE_0 src1_sel:DWORD
	s_waitcnt lgkmcnt(0)
	v_or_b32_e32 v4, v16, v4
	v_add_u32_e32 v18, v19, v1
	v_cndmask_b32_e32 v2, v2, v14, vcc
	v_and_b32_e32 v14, 1, v4
	v_cndmask_b32_e32 v1, v1, v18, vcc
	v_mov_b32_e32 v4, v14
.LBB1995_191:                           ;   in Loop: Header=BB1995_180 Depth=1
	s_or_b64 exec, exec, s[46:47]
	s_waitcnt lgkmcnt(2)
	ds_bpermute_b32 v18, v30, v2
	s_waitcnt lgkmcnt(2)
	;; [unrolled: 22-line block ×3, first 2 shown]
	ds_bpermute_b32 v19, v32, v1
	s_waitcnt lgkmcnt(2)
	ds_bpermute_b32 v16, v32, v14
	v_cmp_le_u32_e32 vcc, v33, v3
	s_and_saveexec_b64 s[46:47], vcc
	s_cbranch_execz .LBB1995_179
; %bb.194:                              ;   in Loop: Header=BB1995_180 Depth=1
	s_waitcnt lgkmcnt(2)
	v_add_u32_e32 v14, v18, v2
	v_cmp_eq_u16_sdwa vcc, v4, v11 src0_sel:BYTE_0 src1_sel:DWORD
	s_waitcnt lgkmcnt(0)
	v_or_b32_e32 v4, v16, v4
	v_add_u32_e32 v18, v19, v1
	v_cndmask_b32_e32 v2, v2, v14, vcc
	v_and_b32_e32 v14, 1, v4
	v_cndmask_b32_e32 v1, v1, v18, vcc
	v_mov_b32_e32 v4, v14
	s_branch .LBB1995_179
.LBB1995_195:                           ;   in Loop: Header=BB1995_180 Depth=1
                                        ; implicit-def: $vgpr14
                                        ; implicit-def: $vgpr1
                                        ; implicit-def: $vgpr5
                                        ; implicit-def: $vgpr2_vgpr3
	s_cbranch_execz .LBB1995_180
; %bb.196:
	s_and_saveexec_b64 s[46:47], s[42:43]
	s_cbranch_execz .LBB1995_198
; %bb.197:
	v_mov_b32_e32 v1, 0
	v_cmp_eq_u16_sdwa vcc, v25, v1 src0_sel:BYTE_0 src1_sel:DWORD
	s_mov_b32 s67, 0
	v_or_b32_e32 v3, v25, v34
	v_cndmask_b32_e32 v2, 0, v35, vcc
	s_add_i32 s66, s2, 64
	v_add_u32_e32 v2, s3, v2
	v_and_b32_e32 v3, 1, v3
	s_lshl_b64 s[2:3], s[66:67], 4
	v_cndmask_b32_e32 v1, 0, v37, vcc
	s_add_u32 s2, s52, s2
	v_cmp_eq_u32_e32 vcc, 1, v3
	v_and_b32_e32 v3, 0xff000000, v2
	v_and_b32_e32 v5, 0xff0000, v2
	v_add_u32_e32 v1, v1, v8
	s_addc_u32 s3, s53, s3
	v_and_b32_e32 v8, 0xff00, v2
	v_and_b32_e32 v2, 0xff, v2
	v_or_b32_e32 v3, v3, v5
	v_cndmask_b32_e64 v4, 0, 1, vcc
	v_or3_b32 v3, v3, v8, v2
	v_or3_b32 v2, 0, 0, v1
	v_mov_b32_e32 v5, 2
	v_mov_b64_e32 v[8:9], s[2:3]
	;;#ASMSTART
	global_store_dwordx4 v[8:9], v[2:5] off sc1	
s_waitcnt vmcnt(0)
	;;#ASMEND
.LBB1995_198:
	s_or_b64 exec, exec, s[46:47]
	v_cmp_eq_u32_e32 vcc, 0, v0
	s_and_b64 exec, exec, vcc
	s_cbranch_execz .LBB1995_200
; %bb.199:
	v_mov_b32_e32 v1, 0
	ds_write2_b32 v1, v37, v35 offset0:9 offset1:10
	ds_write_b8 v1, v34 offset:44
.LBB1995_200:
	s_or_b64 exec, exec, s[56:57]
	v_mov_b32_e32 v1, 0
	s_waitcnt lgkmcnt(0)
	s_barrier
	ds_read2_b32 v[2:3], v1 offset0:9 offset1:10
	v_cndmask_b32_e64 v4, v24, v15, s[42:43]
	v_cmp_eq_u32_sdwa vcc, v4, v1 src0_sel:BYTE_0 src1_sel:DWORD
	v_cndmask_b32_e64 v5, v21, v6, s[42:43]
	v_cndmask_b32_e64 v6, v23, v7, s[42:43]
	s_waitcnt lgkmcnt(0)
	v_cndmask_b32_e32 v1, 0, v2, vcc
	v_cndmask_b32_e32 v4, 0, v3, vcc
	v_add_u32_e32 v1, v1, v5
	v_add_u32_e32 v4, v4, v6
	v_cmp_eq_u32_e32 vcc, 0, v0
	s_nop 1
	v_cndmask_b32_e32 v9, v4, v3, vcc
	v_cndmask_b32_e32 v8, v1, v2, vcc
	v_cmp_eq_u32_e32 vcc, 0, v64
	s_nop 1
	v_cndmask_b32_e32 v1, 0, v8, vcc
	v_add_u32_e32 v78, v1, v40
	v_cndmask_b32_e32 v1, 0, v9, vcc
	v_add_u32_e32 v79, v1, v41
	v_cndmask_b32_e64 v1, 0, v78, s[44:45]
	v_add_u32_e32 v2, v1, v50
	v_cndmask_b32_e64 v1, 0, v79, s[44:45]
	;; [unrolled: 2-line block ×37, first 2 shown]
	v_cndmask_b32_e64 v126, 0, v101, s[40:41]
	s_branch .LBB1995_233
.LBB1995_201:
                                        ; implicit-def: $vgpr6_vgpr7_vgpr8_vgpr9
                                        ; implicit-def: $vgpr126
                                        ; implicit-def: $vgpr1
                                        ; implicit-def: $vgpr101
                                        ; implicit-def: $vgpr99
                                        ; implicit-def: $vgpr97
                                        ; implicit-def: $vgpr94
                                        ; implicit-def: $vgpr93
                                        ; implicit-def: $vgpr91
                                        ; implicit-def: $vgpr89
                                        ; implicit-def: $vgpr87
                                        ; implicit-def: $vgpr85
                                        ; implicit-def: $vgpr83
                                        ; implicit-def: $vgpr81
                                        ; implicit-def: $vgpr79
                                        ; implicit-def: $vgpr36_vgpr37_vgpr38_vgpr39
                                        ; implicit-def: $vgpr32_vgpr33_vgpr34_vgpr35
                                        ; implicit-def: $vgpr28_vgpr29_vgpr30_vgpr31
                                        ; implicit-def: $vgpr24_vgpr25_vgpr26_vgpr27
                                        ; implicit-def: $vgpr20_vgpr21_vgpr22_vgpr23
                                        ; implicit-def: $vgpr16_vgpr17_vgpr18_vgpr19
                                        ; implicit-def: $vgpr12_vgpr13_vgpr14_vgpr15
                                        ; implicit-def: $vgpr2_vgpr3_vgpr4_vgpr5
                                        ; implicit-def: $vgpr8_vgpr9_vgpr10_vgpr11
	s_cbranch_execz .LBB1995_233
; %bb.202:
	s_cmp_lg_u64 s[64:65], 0
	s_cselect_b32 s3, s59, 0
	s_cselect_b32 s2, s58, 0
	s_cmp_eq_u64 s[2:3], 0
	s_cbranch_scc1 .LBB1995_204
; %bb.203:
	v_mov_b32_e32 v1, 0
	global_load_dwordx2 v[2:3], v1, s[2:3]
	s_waitcnt vmcnt(0)
	v_readfirstlane_b32 s62, v2
	v_readfirstlane_b32 s63, v3
.LBB1995_204:
	v_mov_b32_e32 v1, 0
	v_cmp_eq_u16_sdwa s[4:5], v57, v1 src0_sel:BYTE_0 src1_sel:DWORD
	v_cmp_eq_u16_sdwa s[8:9], v61, v1 src0_sel:BYTE_0 src1_sel:DWORD
	;; [unrolled: 1-line block ×3, first 2 shown]
	v_cndmask_b32_e64 v2, 0, v40, s[4:5]
	v_add_u32_e32 v2, v2, v50
	v_cndmask_b32_e64 v3, 0, v41, s[4:5]
	v_add_u32_e32 v3, v3, v49
	;; [unrolled: 2-line block ×5, first 2 shown]
	v_cndmask_b32_e64 v3, 0, v3, s[12:13]
	v_cmp_eq_u16_sdwa s[16:17], v70, v1 src0_sel:BYTE_0 src1_sel:DWORD
	v_add_u32_e32 v3, v3, v53
	v_cmp_eq_u16_sdwa s[18:19], v73, v1 src0_sel:BYTE_0 src1_sel:DWORD
	v_cndmask_b32_e64 v2, 0, v2, s[16:17]
	v_add_u32_e32 v2, v2, v56
	v_cndmask_b32_e64 v3, 0, v3, s[16:17]
	v_add_u32_e32 v3, v3, v55
	v_cndmask_b32_e64 v2, 0, v2, s[18:19]
	v_add_u32_e32 v2, v2, v59
	v_cndmask_b32_e64 v3, 0, v3, s[18:19]
	v_cmp_eq_u16_sdwa s[20:21], v77, v1 src0_sel:BYTE_0 src1_sel:DWORD
	v_add_u32_e32 v3, v3, v58
	v_cmp_eq_u16_sdwa s[22:23], v102, v1 src0_sel:BYTE_0 src1_sel:DWORD
	v_cndmask_b32_e64 v2, 0, v2, s[20:21]
	v_add_u32_e32 v2, v2, v63
	v_cndmask_b32_e64 v3, 0, v3, s[20:21]
	v_add_u32_e32 v3, v3, v62
	v_cndmask_b32_e64 v2, 0, v2, s[22:23]
	v_add_u32_e32 v2, v2, v67
	;; [unrolled: 10-line block ×7, first 2 shown]
	v_cndmask_b32_e64 v3, 0, v3, s[10:11]
	v_cmp_eq_u16_sdwa s[14:15], v120, v1 src0_sel:BYTE_0 src1_sel:DWORD
	v_add_u32_e32 v3, v3, v107
	v_cmp_eq_u16_sdwa vcc, v60, v1 src0_sel:BYTE_0 src1_sel:DWORD
	v_cndmask_b32_e64 v2, 0, v2, s[14:15]
	v_add_u32_e32 v2, v2, v111
	v_cndmask_b32_e64 v3, 0, v3, s[14:15]
	v_add_u32_e32 v3, v3, v109
	v_cndmask_b32_e32 v2, 0, v2, vcc
	v_add_u32_e32 v2, v2, v103
	v_cndmask_b32_e32 v3, 0, v3, vcc
	v_cmp_eq_u16_sdwa s[40:41], v121, v1 src0_sel:BYTE_0 src1_sel:DWORD
	v_add_u32_e32 v3, v3, v48
	s_nop 0
	v_cndmask_b32_e64 v1, 0, v2, s[40:41]
	v_add_u32_e32 v2, v1, v122
	v_cndmask_b32_e64 v1, 0, v3, s[40:41]
	v_or_b32_e32 v3, v125, v119
	v_or_b32_e32 v3, v3, v118
	;; [unrolled: 1-line block ×17, first 2 shown]
	v_and_b32_e32 v3, 1, v3
	v_cmp_eq_u32_e64 s[40:41], 1, v3
	v_mbcnt_hi_u32_b32 v3, -1, v124
	v_add_u32_e32 v1, v1, v123
	v_cndmask_b32_e64 v7, v64, 1, s[40:41]
	v_and_b32_e32 v4, 15, v3
	v_mov_b32_dpp v5, v2 row_shr:1 row_mask:0xf bank_mask:0xf
	v_mov_b32_dpp v6, v1 row_shr:1 row_mask:0xf bank_mask:0xf
	;; [unrolled: 1-line block ×3, first 2 shown]
	v_cmp_ne_u32_e64 s[40:41], 0, v4
	s_and_saveexec_b64 s[42:43], s[40:41]
; %bb.205:
	v_cmp_eq_u32_e64 s[40:41], 0, v7
	v_and_or_b32 v7, v8, 1, v7
	s_nop 0
	v_cndmask_b32_e64 v5, 0, v5, s[40:41]
	v_add_u32_e32 v2, v5, v2
	v_cndmask_b32_e64 v5, 0, v6, s[40:41]
	v_add_u32_e32 v1, v5, v1
; %bb.206:
	s_or_b64 exec, exec, s[42:43]
	v_mov_b32_dpp v6, v2 row_shr:2 row_mask:0xf bank_mask:0xf
	v_mov_b32_dpp v8, v1 row_shr:2 row_mask:0xf bank_mask:0xf
	v_mov_b32_dpp v5, v7 row_shr:2 row_mask:0xf bank_mask:0xf
	v_cmp_lt_u32_e64 s[40:41], 1, v4
	s_and_saveexec_b64 s[42:43], s[40:41]
; %bb.207:
	v_add_u32_e32 v6, v6, v2
	v_add_u32_e32 v8, v8, v1
	v_cmp_eq_u32_e64 s[40:41], 0, v7
	v_or_b32_e32 v5, v5, v7
	v_and_b32_e32 v7, 1, v5
	v_cndmask_b32_e64 v2, v2, v6, s[40:41]
	v_cndmask_b32_e64 v1, v1, v8, s[40:41]
; %bb.208:
	s_or_b64 exec, exec, s[42:43]
	v_mov_b32_dpp v6, v2 row_shr:4 row_mask:0xf bank_mask:0xf
	v_mov_b32_dpp v8, v1 row_shr:4 row_mask:0xf bank_mask:0xf
	;; [unrolled: 1-line block ×3, first 2 shown]
	v_cmp_lt_u32_e64 s[40:41], 3, v4
	s_and_saveexec_b64 s[42:43], s[40:41]
; %bb.209:
	v_add_u32_e32 v6, v6, v2
	v_add_u32_e32 v8, v8, v1
	v_cmp_eq_u32_e64 s[40:41], 0, v7
	v_or_b32_e32 v5, v5, v7
	v_and_b32_e32 v7, 1, v5
	v_cndmask_b32_e64 v2, v2, v6, s[40:41]
	v_cndmask_b32_e64 v1, v1, v8, s[40:41]
; %bb.210:
	s_or_b64 exec, exec, s[42:43]
	v_mov_b32_dpp v6, v2 row_shr:8 row_mask:0xf bank_mask:0xf
	v_mov_b32_dpp v8, v1 row_shr:8 row_mask:0xf bank_mask:0xf
	;; [unrolled: 1-line block ×3, first 2 shown]
	v_cmp_lt_u32_e64 s[40:41], 7, v4
	s_and_saveexec_b64 s[42:43], s[40:41]
; %bb.211:
	v_add_u32_e32 v4, v6, v2
	v_cmp_eq_u32_e64 s[40:41], 0, v7
	v_add_u32_e32 v6, v8, v1
	s_nop 0
	v_cndmask_b32_e64 v2, v2, v4, s[40:41]
	v_or_b32_e32 v4, v5, v7
	v_cndmask_b32_e64 v1, v1, v6, s[40:41]
	v_and_b32_e32 v7, 1, v4
; %bb.212:
	s_or_b64 exec, exec, s[42:43]
	v_and_b32_e32 v8, 16, v3
	v_mov_b32_dpp v5, v2 row_bcast:15 row_mask:0xf bank_mask:0xf
	v_mov_b32_dpp v6, v1 row_bcast:15 row_mask:0xf bank_mask:0xf
	;; [unrolled: 1-line block ×3, first 2 shown]
	v_cmp_ne_u32_e64 s[40:41], 0, v8
	s_and_saveexec_b64 s[42:43], s[40:41]
; %bb.213:
	v_add_u32_e32 v5, v5, v2
	v_add_u32_e32 v6, v6, v1
	v_cmp_eq_u32_e64 s[40:41], 0, v7
	v_or_b32_e32 v4, v4, v7
	v_and_b32_e32 v7, 1, v4
	v_cndmask_b32_e64 v2, v2, v5, s[40:41]
	v_cndmask_b32_e64 v1, v1, v6, s[40:41]
; %bb.214:
	s_or_b64 exec, exec, s[42:43]
	v_mov_b32_dpp v6, v2 row_bcast:31 row_mask:0xf bank_mask:0xf
	v_mov_b32_dpp v8, v1 row_bcast:31 row_mask:0xf bank_mask:0xf
	;; [unrolled: 1-line block ×3, first 2 shown]
	v_cmp_lt_u32_e64 s[40:41], 31, v3
	v_mov_b32_e32 v4, v7
	s_and_saveexec_b64 s[42:43], s[40:41]
; %bb.215:
	v_add_u32_e32 v4, v6, v2
	v_add_u32_e32 v6, v8, v1
	v_cmp_eq_u32_e64 s[40:41], 0, v7
	v_or_b32_e32 v5, v5, v7
	v_and_b32_e32 v7, 1, v5
	v_cndmask_b32_e64 v2, v2, v4, s[40:41]
	v_cndmask_b32_e64 v1, v1, v6, s[40:41]
	v_and_b32_e32 v4, 1, v5
; %bb.216:
	s_or_b64 exec, exec, s[42:43]
	v_or_b32_e32 v5, 63, v0
	v_lshrrev_b32_e32 v10, 6, v0
	v_cmp_eq_u32_e64 s[40:41], v5, v0
	s_and_saveexec_b64 s[42:43], s[40:41]
	s_cbranch_execz .LBB1995_218
; %bb.217:
	v_mul_u32_u24_e32 v5, 12, v10
	ds_write2_b32 v5, v2, v1 offset1:1
	ds_write_b8 v5, v4 offset:8
.LBB1995_218:
	s_or_b64 exec, exec, s[42:43]
	v_cmp_gt_u32_e64 s[40:41], 4, v0
	s_waitcnt lgkmcnt(0)
	s_barrier
	s_and_saveexec_b64 s[42:43], s[40:41]
	s_cbranch_execz .LBB1995_224
; %bb.219:
	v_mul_u32_u24_e32 v6, 12, v0
	ds_read2_b32 v[4:5], v6 offset1:1
	ds_read_b32 v8, v6 offset:8
	v_and_b32_e32 v9, 3, v3
	v_cmp_ne_u32_e64 s[40:41], 0, v9
	s_waitcnt lgkmcnt(1)
	v_mov_b32_dpp v14, v4 row_shr:1 row_mask:0xf bank_mask:0xf
	v_mov_b32_dpp v12, v5 row_shr:1 row_mask:0xf bank_mask:0xf
	s_waitcnt lgkmcnt(0)
	v_mov_b32_dpp v13, v8 row_shr:1 row_mask:0xf bank_mask:0xf
	v_mov_b32_e32 v11, v8
	s_and_saveexec_b64 s[44:45], s[40:41]
; %bb.220:
	v_mov_b32_e32 v11, 0
	v_cmp_eq_u16_sdwa s[40:41], v8, v11 src0_sel:BYTE_0 src1_sel:DWORD
	s_nop 1
	v_cndmask_b32_e64 v11, 0, v14, s[40:41]
	v_add_u32_e32 v4, v11, v4
	v_cndmask_b32_e64 v11, 0, v12, s[40:41]
	v_add_u32_e32 v5, v11, v5
	v_or_b32_e32 v11, v13, v8
	v_and_b32_e32 v11, 1, v11
	s_movk_i32 s40, 0xff00
	v_and_or_b32 v8, v8, s40, v11
; %bb.221:
	s_or_b64 exec, exec, s[44:45]
	v_mov_b32_dpp v13, v4 row_shr:2 row_mask:0xf bank_mask:0xf
	v_mov_b32_dpp v14, v5 row_shr:2 row_mask:0xf bank_mask:0xf
	;; [unrolled: 1-line block ×3, first 2 shown]
	v_cmp_lt_u32_e64 s[40:41], 1, v9
	s_and_saveexec_b64 s[44:45], s[40:41]
; %bb.222:
	v_mov_b32_e32 v8, 0
	v_add_u32_e32 v9, v13, v4
	v_add_u32_e32 v13, v14, v5
	v_cmp_eq_u16_sdwa s[40:41], v11, v8 src0_sel:BYTE_0 src1_sel:DWORD
	v_or_b32_e32 v8, v12, v11
	v_and_b32_e32 v8, 1, v8
	v_cndmask_b32_e64 v4, v4, v9, s[40:41]
	v_cndmask_b32_e64 v5, v5, v13, s[40:41]
; %bb.223:
	s_or_b64 exec, exec, s[44:45]
	ds_write2_b32 v6, v4, v5 offset1:1
	ds_write_b8 v6, v8 offset:8
.LBB1995_224:
	s_or_b64 exec, exec, s[42:43]
	v_mov_b32_e32 v6, v41
	v_cmp_lt_u32_e64 s[40:41], 63, v0
	v_mov_b32_e32 v8, s62
	v_mov_b32_e32 v9, s63
	s_waitcnt lgkmcnt(0)
	s_barrier
	s_and_saveexec_b64 s[42:43], s[40:41]
	s_cbranch_execz .LBB1995_230
; %bb.225:
	v_mad_u32_u24 v4, v10, 12, -12
	ds_read_u8 v5, v4 offset:8
                                        ; implicit-def: $vgpr9
	s_waitcnt lgkmcnt(0)
	v_cmp_ne_u16_e64 s[40:41], 0, v5
	s_and_saveexec_b64 s[44:45], s[40:41]
	s_xor_b64 s[40:41], exec, s[44:45]
	s_cbranch_execz .LBB1995_227
; %bb.226:
	ds_read2_b32 v[8:9], v4 offset1:1
                                        ; implicit-def: $vgpr4
.LBB1995_227:
	s_andn2_saveexec_b64 s[40:41], s[40:41]
	s_cbranch_execz .LBB1995_229
; %bb.228:
	ds_read2_b32 v[4:5], v4 offset1:1
	s_waitcnt lgkmcnt(0)
	v_add_u32_e32 v8, s62, v4
	v_add_u32_e32 v9, s63, v5
.LBB1995_229:
	s_or_b64 exec, exec, s[40:41]
.LBB1995_230:
	s_or_b64 exec, exec, s[42:43]
	v_cmp_eq_u32_e64 s[40:41], 0, v7
	v_and_b32_e32 v5, 64, v3
	v_cmp_eq_u32_e64 s[42:43], 0, v64
	s_waitcnt lgkmcnt(0)
	v_cndmask_b32_e64 v4, 0, v8, s[40:41]
	v_add_u32_e32 v2, v4, v2
	v_cndmask_b32_e64 v4, 0, v9, s[40:41]
	v_add_u32_e32 v1, v4, v1
	v_add_u32_e32 v4, -1, v3
	v_cmp_lt_i32_e64 s[40:41], v4, v5
	s_mov_b32 s44, 0
	s_nop 0
	v_cndmask_b32_e64 v4, v4, v3, s[40:41]
	v_lshlrev_b32_e32 v4, 2, v4
	ds_bpermute_b32 v2, v4, v2
	ds_bpermute_b32 v1, v4, v1
	v_cmp_eq_u32_e64 s[40:41], 0, v3
	v_mov_b32_e32 v4, 0
	s_waitcnt lgkmcnt(1)
	v_cndmask_b32_e64 v8, v2, v8, s[40:41]
	s_waitcnt lgkmcnt(0)
	v_cndmask_b32_e64 v9, v1, v9, s[40:41]
	v_cmp_eq_u32_e64 s[40:41], 0, v0
	v_mov_b32_e32 v2, s62
	v_mov_b32_e32 v1, s63
	v_cndmask_b32_e64 v2, v8, v2, s[40:41]
	v_cndmask_b32_e64 v1, v9, v1, s[40:41]
	;; [unrolled: 1-line block ×3, first 2 shown]
	v_add_u32_e32 v78, v2, v40
	v_cndmask_b32_e64 v1, 0, v1, s[42:43]
	v_add_u32_e32 v79, v1, v6
	v_cndmask_b32_e64 v1, 0, v78, s[4:5]
	;; [unrolled: 2-line block ×26, first 2 shown]
	v_cndmask_b32_e64 v1, 0, v90, s[36:37]
	v_lshl_add_u64 v[92:93], v[4:5], 0, v[42:43]
	v_add_u32_e32 v28, v1, v42
	v_cndmask_b32_e64 v5, 0, v93, s[24:25]
	v_cndmask_b32_e64 v1, 0, v28, s[24:25]
	v_lshl_add_u64 v[96:97], v[4:5], 0, v[44:45]
	v_add_u32_e32 v94, v1, v44
	v_cndmask_b32_e64 v5, 0, v97, s[2:3]
	v_lshl_add_u64 v[32:33], v[4:5], 0, v[46:47]
	v_cndmask_b32_e64 v1, 0, v94, s[2:3]
	v_add_u32_e32 v32, v1, v46
	v_cndmask_b32_e64 v1, 0, v32, s[6:7]
	v_add_u32_e32 v98, v1, v106
	;; [unrolled: 2-line block ×7, first 2 shown]
	s_and_saveexec_b64 s[4:5], s[40:41]
	s_cbranch_execz .LBB1995_232
; %bb.231:
	ds_read_u8 v1, v4 offset:44
	ds_read2_b32 v[4:5], v4 offset0:9 offset1:10
	s_mov_b32 s8, s44
	v_mov_b32_e32 v11, 2
	s_waitcnt lgkmcnt(1)
	v_cmp_eq_u16_e64 s[2:3], 0, v1
	s_and_b64 s[2:3], s[2:3], exec
	s_waitcnt lgkmcnt(0)
	v_readfirstlane_b32 s6, v5
	s_cselect_b32 s3, s63, 0
	s_cselect_b32 s2, s62, 0
	s_add_i32 s10, s3, s6
	v_add_u32_e32 v4, s2, v4
	s_add_u32 s2, s52, 0x400
	s_addc_u32 s3, s53, 0
	s_and_b32 s45, s10, 0xff000000
	s_and_b32 s7, s10, 0xff0000
	s_mov_b32 s6, s44
	s_and_b32 s9, s10, 0xff00
	s_and_b32 s10, s10, 0xff
	s_or_b64 s[6:7], s[44:45], s[6:7]
	v_and_b32_e32 v10, 0xffff, v1
	s_or_b64 s[6:7], s[6:7], s[8:9]
	v_mov_b32_e32 v1, s10
	v_or_b32_e32 v8, s6, v4
	v_or_b32_e32 v9, s7, v1
	v_mov_b64_e32 v[4:5], s[2:3]
	;;#ASMSTART
	global_store_dwordx4 v[4:5], v[8:11] off sc1	
s_waitcnt vmcnt(0)
	;;#ASMEND
	v_mov_b64_e32 v[8:9], s[62:63]
.LBB1995_232:
	s_or_b64 exec, exec, s[4:5]
	v_cndmask_b32_e32 v1, 0, v100, vcc
	v_cndmask_b32_e32 v126, 0, v101, vcc
.LBB1995_233:
	s_add_u32 s2, s50, s60
	s_addc_u32 s3, s51, s61
	s_add_u32 s2, s2, s48
	v_add_u32_e32 v5, v126, v48
	v_add_u32_e32 v4, v1, v103
	s_addc_u32 s3, s3, s49
	s_and_b64 vcc, exec, s[0:1]
	s_cbranch_vccz .LBB1995_315
; %bb.234:
	s_add_i32 s33, s33, s54
	v_mul_u32_u24_e32 v1, 21, v0
	v_mov_b64_e32 v[22:23], 0
	v_cmp_gt_u32_e32 vcc, s33, v1
	v_mov_b64_e32 v[14:15], v[22:23]
	v_mov_b64_e32 v[10:11], v[22:23]
	;; [unrolled: 1-line block ×20, first 2 shown]
	s_and_saveexec_b64 s[0:1], vcc
	s_cbranch_execz .LBB1995_274
; %bb.235:
	v_add_u32_e32 v10, 1, v1
	v_mov_b64_e32 v[62:63], 0
	v_cmp_gt_u32_e32 vcc, s33, v10
	v_mov_b64_e32 v[60:61], v[62:63]
	v_mov_b64_e32 v[58:59], v[62:63]
	;; [unrolled: 1-line block ×19, first 2 shown]
	s_and_saveexec_b64 s[4:5], vcc
	s_cbranch_execz .LBB1995_273
; %bb.236:
	v_add_u32_e32 v10, 2, v1
	v_mov_b64_e32 v[60:61], 0
	v_cmp_gt_u32_e32 vcc, s33, v10
	v_mov_b64_e32 v[58:59], v[60:61]
	v_mov_b64_e32 v[56:57], v[60:61]
	;; [unrolled: 1-line block ×18, first 2 shown]
	s_and_saveexec_b64 s[6:7], vcc
	s_cbranch_execz .LBB1995_272
; %bb.237:
	v_add_u32_e32 v10, 3, v1
	v_mov_b64_e32 v[58:59], 0
	v_cmp_gt_u32_e32 vcc, s33, v10
	v_mov_b64_e32 v[56:57], v[58:59]
	v_mov_b64_e32 v[54:55], v[58:59]
	;; [unrolled: 1-line block ×17, first 2 shown]
	s_and_saveexec_b64 s[8:9], vcc
	s_cbranch_execz .LBB1995_271
; %bb.238:
	v_add_u32_e32 v10, 4, v1
	v_mov_b64_e32 v[56:57], 0
	v_cmp_gt_u32_e32 vcc, s33, v10
	v_mov_b64_e32 v[54:55], v[56:57]
	v_mov_b64_e32 v[52:53], v[56:57]
	;; [unrolled: 1-line block ×16, first 2 shown]
	s_and_saveexec_b64 s[10:11], vcc
	s_cbranch_execz .LBB1995_270
; %bb.239:
	v_add_u32_e32 v10, 5, v1
	v_mov_b64_e32 v[54:55], 0
	v_cmp_gt_u32_e32 vcc, s33, v10
	v_mov_b64_e32 v[52:53], v[54:55]
	v_mov_b64_e32 v[50:51], v[54:55]
	;; [unrolled: 1-line block ×15, first 2 shown]
	s_and_saveexec_b64 s[12:13], vcc
	s_cbranch_execz .LBB1995_269
; %bb.240:
	v_add_u32_e32 v10, 6, v1
	v_mov_b64_e32 v[52:53], 0
	v_cmp_gt_u32_e32 vcc, s33, v10
	v_mov_b64_e32 v[50:51], v[52:53]
	v_mov_b64_e32 v[48:49], v[52:53]
	;; [unrolled: 1-line block ×14, first 2 shown]
	s_and_saveexec_b64 s[14:15], vcc
	s_cbranch_execz .LBB1995_268
; %bb.241:
	v_add_u32_e32 v10, 7, v1
	v_mov_b64_e32 v[50:51], 0
	v_cmp_gt_u32_e32 vcc, s33, v10
	v_mov_b64_e32 v[48:49], v[50:51]
	v_mov_b64_e32 v[46:47], v[50:51]
	v_mov_b64_e32 v[44:45], v[50:51]
	v_mov_b64_e32 v[42:43], v[50:51]
	v_mov_b64_e32 v[40:41], v[50:51]
	v_mov_b64_e32 v[38:39], v[50:51]
	v_mov_b64_e32 v[34:35], v[50:51]
	v_mov_b64_e32 v[30:31], v[50:51]
	v_mov_b64_e32 v[26:27], v[50:51]
	v_mov_b64_e32 v[18:19], v[50:51]
	v_mov_b64_e32 v[10:11], v[50:51]
	v_mov_b64_e32 v[14:15], v[50:51]
	v_mov_b64_e32 v[22:23], v[50:51]
	s_and_saveexec_b64 s[16:17], vcc
	s_cbranch_execz .LBB1995_267
; %bb.242:
	v_add_u32_e32 v10, 8, v1
	v_mov_b64_e32 v[48:49], 0
	v_cmp_gt_u32_e32 vcc, s33, v10
	v_mov_b64_e32 v[46:47], v[48:49]
	v_mov_b64_e32 v[44:45], v[48:49]
	v_mov_b64_e32 v[42:43], v[48:49]
	v_mov_b64_e32 v[40:41], v[48:49]
	v_mov_b64_e32 v[38:39], v[48:49]
	v_mov_b64_e32 v[34:35], v[48:49]
	v_mov_b64_e32 v[30:31], v[48:49]
	v_mov_b64_e32 v[26:27], v[48:49]
	v_mov_b64_e32 v[18:19], v[48:49]
	v_mov_b64_e32 v[10:11], v[48:49]
	v_mov_b64_e32 v[14:15], v[48:49]
	v_mov_b64_e32 v[22:23], v[48:49]
	s_and_saveexec_b64 s[18:19], vcc
	s_cbranch_execz .LBB1995_266
; %bb.243:
	v_add_u32_e32 v10, 9, v1
	v_mov_b64_e32 v[46:47], 0
	v_cmp_gt_u32_e32 vcc, s33, v10
	v_mov_b64_e32 v[44:45], v[46:47]
	v_mov_b64_e32 v[42:43], v[46:47]
	;; [unrolled: 1-line block ×11, first 2 shown]
	s_and_saveexec_b64 s[20:21], vcc
	s_cbranch_execz .LBB1995_265
; %bb.244:
	v_add_u32_e32 v10, 10, v1
	v_mov_b64_e32 v[44:45], 0
	v_cmp_gt_u32_e32 vcc, s33, v10
	v_mov_b64_e32 v[42:43], v[44:45]
	v_mov_b64_e32 v[40:41], v[44:45]
	;; [unrolled: 1-line block ×10, first 2 shown]
	s_and_saveexec_b64 s[22:23], vcc
	s_cbranch_execz .LBB1995_264
; %bb.245:
	v_add_u32_e32 v10, 11, v1
	v_mov_b64_e32 v[42:43], 0
	v_cmp_gt_u32_e32 vcc, s33, v10
	v_mov_b64_e32 v[40:41], v[42:43]
	v_mov_b64_e32 v[38:39], v[42:43]
	;; [unrolled: 1-line block ×9, first 2 shown]
	s_and_saveexec_b64 s[24:25], vcc
	s_cbranch_execz .LBB1995_263
; %bb.246:
	v_add_u32_e32 v10, 12, v1
	v_mov_b64_e32 v[40:41], 0
	v_cmp_gt_u32_e32 vcc, s33, v10
	v_mov_b64_e32 v[38:39], v[40:41]
	v_mov_b64_e32 v[34:35], v[40:41]
	;; [unrolled: 1-line block ×8, first 2 shown]
	s_and_saveexec_b64 s[26:27], vcc
	s_cbranch_execz .LBB1995_262
; %bb.247:
	v_add_u32_e32 v10, 13, v1
	v_mov_b64_e32 v[38:39], 0
	v_cmp_gt_u32_e32 vcc, s33, v10
	v_mov_b64_e32 v[34:35], v[38:39]
	v_mov_b64_e32 v[30:31], v[38:39]
	;; [unrolled: 1-line block ×7, first 2 shown]
	s_and_saveexec_b64 s[28:29], vcc
	s_cbranch_execz .LBB1995_261
; %bb.248:
	v_add_u32_e32 v10, 14, v1
	v_mov_b64_e32 v[34:35], 0
	v_cmp_gt_u32_e32 vcc, s33, v10
	v_mov_b64_e32 v[30:31], v[34:35]
	v_mov_b64_e32 v[26:27], v[34:35]
	;; [unrolled: 1-line block ×6, first 2 shown]
	s_and_saveexec_b64 s[30:31], vcc
	s_cbranch_execz .LBB1995_260
; %bb.249:
	v_add_u32_e32 v10, 15, v1
	v_mov_b64_e32 v[30:31], 0
	v_cmp_gt_u32_e32 vcc, s33, v10
	v_mov_b64_e32 v[26:27], v[30:31]
	v_mov_b64_e32 v[18:19], v[30:31]
	;; [unrolled: 1-line block ×5, first 2 shown]
	s_and_saveexec_b64 s[34:35], vcc
	s_cbranch_execz .LBB1995_259
; %bb.250:
	v_add_u32_e32 v10, 16, v1
	v_mov_b64_e32 v[26:27], 0
	v_cmp_gt_u32_e32 vcc, s33, v10
	v_mov_b64_e32 v[18:19], v[26:27]
	v_mov_b64_e32 v[10:11], v[26:27]
	;; [unrolled: 1-line block ×4, first 2 shown]
	s_and_saveexec_b64 s[36:37], vcc
	s_cbranch_execz .LBB1995_258
; %bb.251:
	v_add_u32_e32 v10, 17, v1
	v_mov_b64_e32 v[18:19], 0
	v_cmp_gt_u32_e32 vcc, s33, v10
	v_mov_b64_e32 v[10:11], v[18:19]
	v_mov_b64_e32 v[14:15], v[18:19]
	;; [unrolled: 1-line block ×3, first 2 shown]
	s_and_saveexec_b64 s[38:39], vcc
	s_cbranch_execz .LBB1995_257
; %bb.252:
	v_add_u32_e32 v10, 18, v1
	v_cmp_gt_u32_e32 vcc, s33, v10
	v_mov_b64_e32 v[10:11], 0
	v_mov_b64_e32 v[14:15], v[10:11]
	;; [unrolled: 1-line block ×3, first 2 shown]
	s_and_saveexec_b64 s[40:41], vcc
	s_cbranch_execz .LBB1995_256
; %bb.253:
	v_add_u32_e32 v10, 19, v1
	v_mov_b64_e32 v[14:15], 0
	v_cmp_gt_u32_e32 vcc, s33, v10
	v_mov_b64_e32 v[22:23], v[14:15]
	s_and_saveexec_b64 s[42:43], vcc
; %bb.254:
	v_add_u32_e32 v10, 20, v1
	v_cmp_gt_u32_e32 vcc, s33, v10
	v_mov_b64_e32 v[14:15], v[100:101]
	s_nop 0
	v_cndmask_b32_e32 v23, 0, v5, vcc
	v_cndmask_b32_e32 v22, 0, v4, vcc
; %bb.255:
	s_or_b64 exec, exec, s[42:43]
	v_mov_b64_e32 v[10:11], v[36:37]
.LBB1995_256:
	s_or_b64 exec, exec, s[40:41]
	v_mov_b64_e32 v[18:19], v[98:99]
.LBB1995_257:
	s_or_b64 exec, exec, s[38:39]
	v_mov_b64_e32 v[26:27], v[32:33]
.LBB1995_258:
	s_or_b64 exec, exec, s[36:37]
	v_mov_b32_e32 v95, v97
	v_mov_b64_e32 v[30:31], v[94:95]
.LBB1995_259:
	s_or_b64 exec, exec, s[34:35]
	v_mov_b32_e32 v29, v93
	v_mov_b64_e32 v[34:35], v[28:29]
.LBB1995_260:
	s_or_b64 exec, exec, s[30:31]
	v_mov_b64_e32 v[38:39], v[90:91]
.LBB1995_261:
	s_or_b64 exec, exec, s[28:29]
	v_mov_b64_e32 v[40:41], v[24:25]
.LBB1995_262:
	s_or_b64 exec, exec, s[26:27]
	v_mov_b64_e32 v[42:43], v[88:89]
.LBB1995_263:
	s_or_b64 exec, exec, s[24:25]
	v_mov_b64_e32 v[44:45], v[20:21]
.LBB1995_264:
	s_or_b64 exec, exec, s[22:23]
	v_mov_b64_e32 v[46:47], v[86:87]
.LBB1995_265:
	s_or_b64 exec, exec, s[20:21]
	v_mov_b64_e32 v[48:49], v[16:17]
.LBB1995_266:
	s_or_b64 exec, exec, s[18:19]
	v_mov_b64_e32 v[50:51], v[84:85]
.LBB1995_267:
	s_or_b64 exec, exec, s[16:17]
	v_mov_b64_e32 v[52:53], v[12:13]
.LBB1995_268:
	s_or_b64 exec, exec, s[14:15]
	v_mov_b64_e32 v[54:55], v[82:83]
.LBB1995_269:
	s_or_b64 exec, exec, s[12:13]
	v_mov_b64_e32 v[56:57], v[6:7]
.LBB1995_270:
	s_or_b64 exec, exec, s[10:11]
	v_mov_b64_e32 v[58:59], v[80:81]
.LBB1995_271:
	s_or_b64 exec, exec, s[8:9]
	v_mov_b64_e32 v[60:61], v[2:3]
.LBB1995_272:
	s_or_b64 exec, exec, s[6:7]
	v_mov_b64_e32 v[62:63], v[78:79]
.LBB1995_273:
	s_or_b64 exec, exec, s[4:5]
	v_mov_b64_e32 v[64:65], v[8:9]
.LBB1995_274:
	s_or_b64 exec, exec, s[0:1]
	v_lshlrev_b32_e32 v1, 3, v1
	s_movk_i32 s0, 0xff60
	s_barrier
	ds_write2_b64 v1, v[64:65], v[62:63] offset1:1
	ds_write2_b64 v1, v[60:61], v[58:59] offset0:2 offset1:3
	ds_write2_b64 v1, v[56:57], v[54:55] offset0:4 offset1:5
	;; [unrolled: 1-line block ×9, first 2 shown]
	ds_write_b64 v1, v[22:23] offset:160
	v_mad_i32_i24 v10, v0, s0, v1
	s_waitcnt lgkmcnt(0)
	s_barrier
	ds_read2st64_b64 v[74:77], v10 offset0:4 offset1:8
	ds_read2st64_b64 v[70:73], v10 offset0:12 offset1:16
	;; [unrolled: 1-line block ×10, first 2 shown]
	v_mov_b32_e32 v11, 0
	v_lshlrev_b32_e32 v10, 3, v0
	v_lshl_add_u64 v[14:15], s[2:3], 0, v[10:11]
	v_cmp_gt_u32_e32 vcc, s33, v0
	s_and_saveexec_b64 s[0:1], vcc
	s_cbranch_execz .LBB1995_276
; %bb.275:
	v_mul_i32_i24_e32 v10, 0xffffff60, v0
	v_add_u32_e32 v1, v1, v10
	ds_read_b64 v[18:19], v1
	s_waitcnt lgkmcnt(0)
	flat_store_dwordx2 v[14:15], v[18:19]
.LBB1995_276:
	s_or_b64 exec, exec, s[0:1]
	v_or_b32_e32 v1, 0x100, v0
	v_cmp_gt_u32_e32 vcc, s33, v1
	s_and_saveexec_b64 s[0:1], vcc
	s_cbranch_execz .LBB1995_278
; %bb.277:
	s_waitcnt lgkmcnt(0)
	flat_store_dwordx2 v[14:15], v[74:75] offset:2048
.LBB1995_278:
	s_or_b64 exec, exec, s[0:1]
	v_or_b32_e32 v1, 0x200, v0
	v_cmp_gt_u32_e32 vcc, s33, v1
	s_and_saveexec_b64 s[0:1], vcc
	s_cbranch_execz .LBB1995_280
; %bb.279:
	v_add_co_u32_e32 v18, vcc, 0x1000, v14
	s_nop 1
	v_addc_co_u32_e32 v19, vcc, 0, v15, vcc
	s_waitcnt lgkmcnt(0)
	flat_store_dwordx2 v[18:19], v[76:77]
.LBB1995_280:
	s_or_b64 exec, exec, s[0:1]
	v_or_b32_e32 v1, 0x300, v0
	v_cmp_gt_u32_e32 vcc, s33, v1
	s_and_saveexec_b64 s[0:1], vcc
	s_cbranch_execz .LBB1995_282
; %bb.281:
	v_add_co_u32_e32 v18, vcc, 0x1000, v14
	s_nop 1
	v_addc_co_u32_e32 v19, vcc, 0, v15, vcc
	s_waitcnt lgkmcnt(0)
	flat_store_dwordx2 v[18:19], v[70:71] offset:2048
.LBB1995_282:
	s_or_b64 exec, exec, s[0:1]
	v_or_b32_e32 v1, 0x400, v0
	v_cmp_gt_u32_e32 vcc, s33, v1
	s_and_saveexec_b64 s[0:1], vcc
	s_cbranch_execz .LBB1995_284
; %bb.283:
	v_add_co_u32_e32 v18, vcc, 0x2000, v14
	s_nop 1
	v_addc_co_u32_e32 v19, vcc, 0, v15, vcc
	s_waitcnt lgkmcnt(0)
	flat_store_dwordx2 v[18:19], v[72:73]
.LBB1995_284:
	s_or_b64 exec, exec, s[0:1]
	v_or_b32_e32 v1, 0x500, v0
	v_cmp_gt_u32_e32 vcc, s33, v1
	s_and_saveexec_b64 s[0:1], vcc
	s_cbranch_execz .LBB1995_286
; %bb.285:
	v_add_co_u32_e32 v18, vcc, 0x2000, v14
	s_nop 1
	v_addc_co_u32_e32 v19, vcc, 0, v15, vcc
	s_waitcnt lgkmcnt(0)
	flat_store_dwordx2 v[18:19], v[66:67] offset:2048
.LBB1995_286:
	;; [unrolled: 24-line block ×9, first 2 shown]
	s_or_b64 exec, exec, s[0:1]
	v_or_b32_e32 v10, 0x1400, v0
	v_mov_b32_e32 v1, v11
	v_cmp_gt_u32_e64 s[0:1], s33, v10
	s_branch .LBB1995_317
.LBB1995_315:
	s_mov_b64 s[0:1], 0
                                        ; kill: def $vgpr10_vgpr11 killed $sgpr0_sgpr1 killed $exec
                                        ; implicit-def: $vgpr40_vgpr41
	s_cbranch_execz .LBB1995_317
; %bb.316:
	v_mul_u32_u24_e32 v1, 0xa8, v0
	s_waitcnt lgkmcnt(0)
	s_barrier
	s_movk_i32 s4, 0xa8
	ds_write2_b64 v1, v[8:9], v[78:79] offset1:1
	ds_write2_b64 v1, v[2:3], v[80:81] offset0:2 offset1:3
	ds_write2_b64 v1, v[6:7], v[82:83] offset0:4 offset1:5
	ds_write2_b64 v1, v[12:13], v[84:85] offset0:6 offset1:7
	ds_write2_b64 v1, v[16:17], v[86:87] offset0:8 offset1:9
	ds_write2_b64 v1, v[20:21], v[88:89] offset0:10 offset1:11
	ds_write2_b64 v1, v[24:25], v[90:91] offset0:12 offset1:13
	v_mov_b32_e32 v29, v93
	v_mov_b32_e32 v95, v97
	v_mul_i32_i24_e32 v2, 0xffffff60, v0
	ds_write2_b64 v1, v[28:29], v[94:95] offset0:14 offset1:15
	ds_write2_b64 v1, v[32:33], v[98:99] offset0:16 offset1:17
	;; [unrolled: 1-line block ×3, first 2 shown]
	ds_write_b64 v1, v[4:5] offset:160
	v_mov_b32_e32 v1, 0
	v_mad_u32_u24 v38, v0, s4, v2
	s_waitcnt lgkmcnt(0)
	s_barrier
	ds_read2st64_b64 v[2:5], v38 offset1:4
	ds_read2st64_b64 v[6:9], v38 offset0:8 offset1:12
	ds_read2st64_b64 v[10:13], v38 offset0:16 offset1:20
	;; [unrolled: 1-line block ×9, first 2 shown]
	ds_read_b64 v[40:41], v38 offset:40960
	v_lshlrev_b32_e32 v38, 3, v0
	v_mov_b32_e32 v39, v1
	v_lshl_add_u64 v[38:39], s[2:3], 0, v[38:39]
	s_movk_i32 s4, 0x1000
	s_waitcnt lgkmcnt(0)
	flat_store_dwordx2 v[38:39], v[2:3]
	flat_store_dwordx2 v[38:39], v[4:5] offset:2048
	v_add_co_u32_e32 v2, vcc, s4, v38
	s_movk_i32 s4, 0x2000
	s_nop 0
	v_addc_co_u32_e32 v3, vcc, 0, v39, vcc
	flat_store_dwordx2 v[2:3], v[6:7]
	flat_store_dwordx2 v[2:3], v[8:9] offset:2048
	v_add_co_u32_e32 v2, vcc, s4, v38
	s_movk_i32 s4, 0x3000
	s_nop 0
	v_addc_co_u32_e32 v3, vcc, 0, v39, vcc
	;; [unrolled: 6-line block ×6, first 2 shown]
	flat_store_dwordx2 v[2:3], v[26:27]
	flat_store_dwordx2 v[2:3], v[28:29] offset:2048
	v_add_co_u32_e32 v2, vcc, s4, v38
	s_or_b64 s[0:1], s[0:1], exec
	s_nop 0
	v_addc_co_u32_e32 v3, vcc, 0, v39, vcc
	flat_store_dwordx2 v[2:3], v[30:31]
	flat_store_dwordx2 v[2:3], v[32:33] offset:2048
	v_add_co_u32_e32 v2, vcc, 0x8000, v38
	s_nop 1
	v_addc_co_u32_e32 v3, vcc, 0, v39, vcc
	flat_store_dwordx2 v[2:3], v[34:35]
	flat_store_dwordx2 v[2:3], v[36:37] offset:2048
	v_add_co_u32_e32 v2, vcc, 0x9000, v38
	s_nop 1
	v_addc_co_u32_e32 v3, vcc, 0, v39, vcc
	flat_store_dwordx2 v[2:3], v[42:43]
	flat_store_dwordx2 v[2:3], v[44:45] offset:2048
.LBB1995_317:
	s_and_saveexec_b64 s[4:5], s[0:1]
	s_cbranch_execnz .LBB1995_319
; %bb.318:
	s_endpgm
.LBB1995_319:
	v_lshl_add_u64 v[0:1], v[0:1], 3, s[2:3]
	v_add_co_u32_e32 v0, vcc, 0xa000, v0
	s_nop 1
	v_addc_co_u32_e32 v1, vcc, 0, v1, vcc
	s_waitcnt lgkmcnt(0)
	flat_store_dwordx2 v[0:1], v[40:41]
	s_endpgm
	.section	.rodata,"a",@progbits
	.p2align	6, 0x0
	.amdhsa_kernel _ZN7rocprim17ROCPRIM_400000_NS6detail17trampoline_kernelINS0_14default_configENS1_27scan_by_key_config_selectorIj11FixedVectorIiLj2EEEEZZNS1_16scan_by_key_implILNS1_25lookback_scan_determinismE0ELb1ES3_N6thrust23THRUST_200600_302600_NS6detail15normal_iteratorINSB_10device_ptrIjEEEENSD_INSE_IS6_EEEESI_S6_NSB_4plusIvEENSB_8equal_toIvEES6_EE10hipError_tPvRmT2_T3_T4_T5_mT6_T7_P12ihipStream_tbENKUlT_T0_E_clISt17integral_constantIbLb0EES13_EEDaSY_SZ_EUlSY_E_NS1_11comp_targetILNS1_3genE5ELNS1_11target_archE942ELNS1_3gpuE9ELNS1_3repE0EEENS1_30default_config_static_selectorELNS0_4arch9wavefront6targetE1EEEvT1_
		.amdhsa_group_segment_fixed_size 43008
		.amdhsa_private_segment_fixed_size 0
		.amdhsa_kernarg_size 120
		.amdhsa_user_sgpr_count 2
		.amdhsa_user_sgpr_dispatch_ptr 0
		.amdhsa_user_sgpr_queue_ptr 0
		.amdhsa_user_sgpr_kernarg_segment_ptr 1
		.amdhsa_user_sgpr_dispatch_id 0
		.amdhsa_user_sgpr_kernarg_preload_length 0
		.amdhsa_user_sgpr_kernarg_preload_offset 0
		.amdhsa_user_sgpr_private_segment_size 0
		.amdhsa_uses_dynamic_stack 0
		.amdhsa_enable_private_segment 0
		.amdhsa_system_sgpr_workgroup_id_x 1
		.amdhsa_system_sgpr_workgroup_id_y 0
		.amdhsa_system_sgpr_workgroup_id_z 0
		.amdhsa_system_sgpr_workgroup_info 0
		.amdhsa_system_vgpr_workitem_id 0
		.amdhsa_next_free_vgpr 127
		.amdhsa_next_free_sgpr 76
		.amdhsa_accum_offset 128
		.amdhsa_reserve_vcc 1
		.amdhsa_float_round_mode_32 0
		.amdhsa_float_round_mode_16_64 0
		.amdhsa_float_denorm_mode_32 3
		.amdhsa_float_denorm_mode_16_64 3
		.amdhsa_dx10_clamp 1
		.amdhsa_ieee_mode 1
		.amdhsa_fp16_overflow 0
		.amdhsa_tg_split 0
		.amdhsa_exception_fp_ieee_invalid_op 0
		.amdhsa_exception_fp_denorm_src 0
		.amdhsa_exception_fp_ieee_div_zero 0
		.amdhsa_exception_fp_ieee_overflow 0
		.amdhsa_exception_fp_ieee_underflow 0
		.amdhsa_exception_fp_ieee_inexact 0
		.amdhsa_exception_int_div_zero 0
	.end_amdhsa_kernel
	.section	.text._ZN7rocprim17ROCPRIM_400000_NS6detail17trampoline_kernelINS0_14default_configENS1_27scan_by_key_config_selectorIj11FixedVectorIiLj2EEEEZZNS1_16scan_by_key_implILNS1_25lookback_scan_determinismE0ELb1ES3_N6thrust23THRUST_200600_302600_NS6detail15normal_iteratorINSB_10device_ptrIjEEEENSD_INSE_IS6_EEEESI_S6_NSB_4plusIvEENSB_8equal_toIvEES6_EE10hipError_tPvRmT2_T3_T4_T5_mT6_T7_P12ihipStream_tbENKUlT_T0_E_clISt17integral_constantIbLb0EES13_EEDaSY_SZ_EUlSY_E_NS1_11comp_targetILNS1_3genE5ELNS1_11target_archE942ELNS1_3gpuE9ELNS1_3repE0EEENS1_30default_config_static_selectorELNS0_4arch9wavefront6targetE1EEEvT1_,"axG",@progbits,_ZN7rocprim17ROCPRIM_400000_NS6detail17trampoline_kernelINS0_14default_configENS1_27scan_by_key_config_selectorIj11FixedVectorIiLj2EEEEZZNS1_16scan_by_key_implILNS1_25lookback_scan_determinismE0ELb1ES3_N6thrust23THRUST_200600_302600_NS6detail15normal_iteratorINSB_10device_ptrIjEEEENSD_INSE_IS6_EEEESI_S6_NSB_4plusIvEENSB_8equal_toIvEES6_EE10hipError_tPvRmT2_T3_T4_T5_mT6_T7_P12ihipStream_tbENKUlT_T0_E_clISt17integral_constantIbLb0EES13_EEDaSY_SZ_EUlSY_E_NS1_11comp_targetILNS1_3genE5ELNS1_11target_archE942ELNS1_3gpuE9ELNS1_3repE0EEENS1_30default_config_static_selectorELNS0_4arch9wavefront6targetE1EEEvT1_,comdat
.Lfunc_end1995:
	.size	_ZN7rocprim17ROCPRIM_400000_NS6detail17trampoline_kernelINS0_14default_configENS1_27scan_by_key_config_selectorIj11FixedVectorIiLj2EEEEZZNS1_16scan_by_key_implILNS1_25lookback_scan_determinismE0ELb1ES3_N6thrust23THRUST_200600_302600_NS6detail15normal_iteratorINSB_10device_ptrIjEEEENSD_INSE_IS6_EEEESI_S6_NSB_4plusIvEENSB_8equal_toIvEES6_EE10hipError_tPvRmT2_T3_T4_T5_mT6_T7_P12ihipStream_tbENKUlT_T0_E_clISt17integral_constantIbLb0EES13_EEDaSY_SZ_EUlSY_E_NS1_11comp_targetILNS1_3genE5ELNS1_11target_archE942ELNS1_3gpuE9ELNS1_3repE0EEENS1_30default_config_static_selectorELNS0_4arch9wavefront6targetE1EEEvT1_, .Lfunc_end1995-_ZN7rocprim17ROCPRIM_400000_NS6detail17trampoline_kernelINS0_14default_configENS1_27scan_by_key_config_selectorIj11FixedVectorIiLj2EEEEZZNS1_16scan_by_key_implILNS1_25lookback_scan_determinismE0ELb1ES3_N6thrust23THRUST_200600_302600_NS6detail15normal_iteratorINSB_10device_ptrIjEEEENSD_INSE_IS6_EEEESI_S6_NSB_4plusIvEENSB_8equal_toIvEES6_EE10hipError_tPvRmT2_T3_T4_T5_mT6_T7_P12ihipStream_tbENKUlT_T0_E_clISt17integral_constantIbLb0EES13_EEDaSY_SZ_EUlSY_E_NS1_11comp_targetILNS1_3genE5ELNS1_11target_archE942ELNS1_3gpuE9ELNS1_3repE0EEENS1_30default_config_static_selectorELNS0_4arch9wavefront6targetE1EEEvT1_
                                        ; -- End function
	.section	.AMDGPU.csdata,"",@progbits
; Kernel info:
; codeLenInByte = 19108
; NumSgprs: 82
; NumVgprs: 127
; NumAgprs: 0
; TotalNumVgprs: 127
; ScratchSize: 0
; MemoryBound: 0
; FloatMode: 240
; IeeeMode: 1
; LDSByteSize: 43008 bytes/workgroup (compile time only)
; SGPRBlocks: 10
; VGPRBlocks: 15
; NumSGPRsForWavesPerEU: 82
; NumVGPRsForWavesPerEU: 127
; AccumOffset: 128
; Occupancy: 1
; WaveLimiterHint : 1
; COMPUTE_PGM_RSRC2:SCRATCH_EN: 0
; COMPUTE_PGM_RSRC2:USER_SGPR: 2
; COMPUTE_PGM_RSRC2:TRAP_HANDLER: 0
; COMPUTE_PGM_RSRC2:TGID_X_EN: 1
; COMPUTE_PGM_RSRC2:TGID_Y_EN: 0
; COMPUTE_PGM_RSRC2:TGID_Z_EN: 0
; COMPUTE_PGM_RSRC2:TIDIG_COMP_CNT: 0
; COMPUTE_PGM_RSRC3_GFX90A:ACCUM_OFFSET: 31
; COMPUTE_PGM_RSRC3_GFX90A:TG_SPLIT: 0
	.section	.text._ZN7rocprim17ROCPRIM_400000_NS6detail17trampoline_kernelINS0_14default_configENS1_27scan_by_key_config_selectorIj11FixedVectorIiLj2EEEEZZNS1_16scan_by_key_implILNS1_25lookback_scan_determinismE0ELb1ES3_N6thrust23THRUST_200600_302600_NS6detail15normal_iteratorINSB_10device_ptrIjEEEENSD_INSE_IS6_EEEESI_S6_NSB_4plusIvEENSB_8equal_toIvEES6_EE10hipError_tPvRmT2_T3_T4_T5_mT6_T7_P12ihipStream_tbENKUlT_T0_E_clISt17integral_constantIbLb0EES13_EEDaSY_SZ_EUlSY_E_NS1_11comp_targetILNS1_3genE4ELNS1_11target_archE910ELNS1_3gpuE8ELNS1_3repE0EEENS1_30default_config_static_selectorELNS0_4arch9wavefront6targetE1EEEvT1_,"axG",@progbits,_ZN7rocprim17ROCPRIM_400000_NS6detail17trampoline_kernelINS0_14default_configENS1_27scan_by_key_config_selectorIj11FixedVectorIiLj2EEEEZZNS1_16scan_by_key_implILNS1_25lookback_scan_determinismE0ELb1ES3_N6thrust23THRUST_200600_302600_NS6detail15normal_iteratorINSB_10device_ptrIjEEEENSD_INSE_IS6_EEEESI_S6_NSB_4plusIvEENSB_8equal_toIvEES6_EE10hipError_tPvRmT2_T3_T4_T5_mT6_T7_P12ihipStream_tbENKUlT_T0_E_clISt17integral_constantIbLb0EES13_EEDaSY_SZ_EUlSY_E_NS1_11comp_targetILNS1_3genE4ELNS1_11target_archE910ELNS1_3gpuE8ELNS1_3repE0EEENS1_30default_config_static_selectorELNS0_4arch9wavefront6targetE1EEEvT1_,comdat
	.protected	_ZN7rocprim17ROCPRIM_400000_NS6detail17trampoline_kernelINS0_14default_configENS1_27scan_by_key_config_selectorIj11FixedVectorIiLj2EEEEZZNS1_16scan_by_key_implILNS1_25lookback_scan_determinismE0ELb1ES3_N6thrust23THRUST_200600_302600_NS6detail15normal_iteratorINSB_10device_ptrIjEEEENSD_INSE_IS6_EEEESI_S6_NSB_4plusIvEENSB_8equal_toIvEES6_EE10hipError_tPvRmT2_T3_T4_T5_mT6_T7_P12ihipStream_tbENKUlT_T0_E_clISt17integral_constantIbLb0EES13_EEDaSY_SZ_EUlSY_E_NS1_11comp_targetILNS1_3genE4ELNS1_11target_archE910ELNS1_3gpuE8ELNS1_3repE0EEENS1_30default_config_static_selectorELNS0_4arch9wavefront6targetE1EEEvT1_ ; -- Begin function _ZN7rocprim17ROCPRIM_400000_NS6detail17trampoline_kernelINS0_14default_configENS1_27scan_by_key_config_selectorIj11FixedVectorIiLj2EEEEZZNS1_16scan_by_key_implILNS1_25lookback_scan_determinismE0ELb1ES3_N6thrust23THRUST_200600_302600_NS6detail15normal_iteratorINSB_10device_ptrIjEEEENSD_INSE_IS6_EEEESI_S6_NSB_4plusIvEENSB_8equal_toIvEES6_EE10hipError_tPvRmT2_T3_T4_T5_mT6_T7_P12ihipStream_tbENKUlT_T0_E_clISt17integral_constantIbLb0EES13_EEDaSY_SZ_EUlSY_E_NS1_11comp_targetILNS1_3genE4ELNS1_11target_archE910ELNS1_3gpuE8ELNS1_3repE0EEENS1_30default_config_static_selectorELNS0_4arch9wavefront6targetE1EEEvT1_
	.globl	_ZN7rocprim17ROCPRIM_400000_NS6detail17trampoline_kernelINS0_14default_configENS1_27scan_by_key_config_selectorIj11FixedVectorIiLj2EEEEZZNS1_16scan_by_key_implILNS1_25lookback_scan_determinismE0ELb1ES3_N6thrust23THRUST_200600_302600_NS6detail15normal_iteratorINSB_10device_ptrIjEEEENSD_INSE_IS6_EEEESI_S6_NSB_4plusIvEENSB_8equal_toIvEES6_EE10hipError_tPvRmT2_T3_T4_T5_mT6_T7_P12ihipStream_tbENKUlT_T0_E_clISt17integral_constantIbLb0EES13_EEDaSY_SZ_EUlSY_E_NS1_11comp_targetILNS1_3genE4ELNS1_11target_archE910ELNS1_3gpuE8ELNS1_3repE0EEENS1_30default_config_static_selectorELNS0_4arch9wavefront6targetE1EEEvT1_
	.p2align	8
	.type	_ZN7rocprim17ROCPRIM_400000_NS6detail17trampoline_kernelINS0_14default_configENS1_27scan_by_key_config_selectorIj11FixedVectorIiLj2EEEEZZNS1_16scan_by_key_implILNS1_25lookback_scan_determinismE0ELb1ES3_N6thrust23THRUST_200600_302600_NS6detail15normal_iteratorINSB_10device_ptrIjEEEENSD_INSE_IS6_EEEESI_S6_NSB_4plusIvEENSB_8equal_toIvEES6_EE10hipError_tPvRmT2_T3_T4_T5_mT6_T7_P12ihipStream_tbENKUlT_T0_E_clISt17integral_constantIbLb0EES13_EEDaSY_SZ_EUlSY_E_NS1_11comp_targetILNS1_3genE4ELNS1_11target_archE910ELNS1_3gpuE8ELNS1_3repE0EEENS1_30default_config_static_selectorELNS0_4arch9wavefront6targetE1EEEvT1_,@function
_ZN7rocprim17ROCPRIM_400000_NS6detail17trampoline_kernelINS0_14default_configENS1_27scan_by_key_config_selectorIj11FixedVectorIiLj2EEEEZZNS1_16scan_by_key_implILNS1_25lookback_scan_determinismE0ELb1ES3_N6thrust23THRUST_200600_302600_NS6detail15normal_iteratorINSB_10device_ptrIjEEEENSD_INSE_IS6_EEEESI_S6_NSB_4plusIvEENSB_8equal_toIvEES6_EE10hipError_tPvRmT2_T3_T4_T5_mT6_T7_P12ihipStream_tbENKUlT_T0_E_clISt17integral_constantIbLb0EES13_EEDaSY_SZ_EUlSY_E_NS1_11comp_targetILNS1_3genE4ELNS1_11target_archE910ELNS1_3gpuE8ELNS1_3repE0EEENS1_30default_config_static_selectorELNS0_4arch9wavefront6targetE1EEEvT1_: ; @_ZN7rocprim17ROCPRIM_400000_NS6detail17trampoline_kernelINS0_14default_configENS1_27scan_by_key_config_selectorIj11FixedVectorIiLj2EEEEZZNS1_16scan_by_key_implILNS1_25lookback_scan_determinismE0ELb1ES3_N6thrust23THRUST_200600_302600_NS6detail15normal_iteratorINSB_10device_ptrIjEEEENSD_INSE_IS6_EEEESI_S6_NSB_4plusIvEENSB_8equal_toIvEES6_EE10hipError_tPvRmT2_T3_T4_T5_mT6_T7_P12ihipStream_tbENKUlT_T0_E_clISt17integral_constantIbLb0EES13_EEDaSY_SZ_EUlSY_E_NS1_11comp_targetILNS1_3genE4ELNS1_11target_archE910ELNS1_3gpuE8ELNS1_3repE0EEENS1_30default_config_static_selectorELNS0_4arch9wavefront6targetE1EEEvT1_
; %bb.0:
	.section	.rodata,"a",@progbits
	.p2align	6, 0x0
	.amdhsa_kernel _ZN7rocprim17ROCPRIM_400000_NS6detail17trampoline_kernelINS0_14default_configENS1_27scan_by_key_config_selectorIj11FixedVectorIiLj2EEEEZZNS1_16scan_by_key_implILNS1_25lookback_scan_determinismE0ELb1ES3_N6thrust23THRUST_200600_302600_NS6detail15normal_iteratorINSB_10device_ptrIjEEEENSD_INSE_IS6_EEEESI_S6_NSB_4plusIvEENSB_8equal_toIvEES6_EE10hipError_tPvRmT2_T3_T4_T5_mT6_T7_P12ihipStream_tbENKUlT_T0_E_clISt17integral_constantIbLb0EES13_EEDaSY_SZ_EUlSY_E_NS1_11comp_targetILNS1_3genE4ELNS1_11target_archE910ELNS1_3gpuE8ELNS1_3repE0EEENS1_30default_config_static_selectorELNS0_4arch9wavefront6targetE1EEEvT1_
		.amdhsa_group_segment_fixed_size 0
		.amdhsa_private_segment_fixed_size 0
		.amdhsa_kernarg_size 120
		.amdhsa_user_sgpr_count 2
		.amdhsa_user_sgpr_dispatch_ptr 0
		.amdhsa_user_sgpr_queue_ptr 0
		.amdhsa_user_sgpr_kernarg_segment_ptr 1
		.amdhsa_user_sgpr_dispatch_id 0
		.amdhsa_user_sgpr_kernarg_preload_length 0
		.amdhsa_user_sgpr_kernarg_preload_offset 0
		.amdhsa_user_sgpr_private_segment_size 0
		.amdhsa_uses_dynamic_stack 0
		.amdhsa_enable_private_segment 0
		.amdhsa_system_sgpr_workgroup_id_x 1
		.amdhsa_system_sgpr_workgroup_id_y 0
		.amdhsa_system_sgpr_workgroup_id_z 0
		.amdhsa_system_sgpr_workgroup_info 0
		.amdhsa_system_vgpr_workitem_id 0
		.amdhsa_next_free_vgpr 1
		.amdhsa_next_free_sgpr 0
		.amdhsa_accum_offset 4
		.amdhsa_reserve_vcc 0
		.amdhsa_float_round_mode_32 0
		.amdhsa_float_round_mode_16_64 0
		.amdhsa_float_denorm_mode_32 3
		.amdhsa_float_denorm_mode_16_64 3
		.amdhsa_dx10_clamp 1
		.amdhsa_ieee_mode 1
		.amdhsa_fp16_overflow 0
		.amdhsa_tg_split 0
		.amdhsa_exception_fp_ieee_invalid_op 0
		.amdhsa_exception_fp_denorm_src 0
		.amdhsa_exception_fp_ieee_div_zero 0
		.amdhsa_exception_fp_ieee_overflow 0
		.amdhsa_exception_fp_ieee_underflow 0
		.amdhsa_exception_fp_ieee_inexact 0
		.amdhsa_exception_int_div_zero 0
	.end_amdhsa_kernel
	.section	.text._ZN7rocprim17ROCPRIM_400000_NS6detail17trampoline_kernelINS0_14default_configENS1_27scan_by_key_config_selectorIj11FixedVectorIiLj2EEEEZZNS1_16scan_by_key_implILNS1_25lookback_scan_determinismE0ELb1ES3_N6thrust23THRUST_200600_302600_NS6detail15normal_iteratorINSB_10device_ptrIjEEEENSD_INSE_IS6_EEEESI_S6_NSB_4plusIvEENSB_8equal_toIvEES6_EE10hipError_tPvRmT2_T3_T4_T5_mT6_T7_P12ihipStream_tbENKUlT_T0_E_clISt17integral_constantIbLb0EES13_EEDaSY_SZ_EUlSY_E_NS1_11comp_targetILNS1_3genE4ELNS1_11target_archE910ELNS1_3gpuE8ELNS1_3repE0EEENS1_30default_config_static_selectorELNS0_4arch9wavefront6targetE1EEEvT1_,"axG",@progbits,_ZN7rocprim17ROCPRIM_400000_NS6detail17trampoline_kernelINS0_14default_configENS1_27scan_by_key_config_selectorIj11FixedVectorIiLj2EEEEZZNS1_16scan_by_key_implILNS1_25lookback_scan_determinismE0ELb1ES3_N6thrust23THRUST_200600_302600_NS6detail15normal_iteratorINSB_10device_ptrIjEEEENSD_INSE_IS6_EEEESI_S6_NSB_4plusIvEENSB_8equal_toIvEES6_EE10hipError_tPvRmT2_T3_T4_T5_mT6_T7_P12ihipStream_tbENKUlT_T0_E_clISt17integral_constantIbLb0EES13_EEDaSY_SZ_EUlSY_E_NS1_11comp_targetILNS1_3genE4ELNS1_11target_archE910ELNS1_3gpuE8ELNS1_3repE0EEENS1_30default_config_static_selectorELNS0_4arch9wavefront6targetE1EEEvT1_,comdat
.Lfunc_end1996:
	.size	_ZN7rocprim17ROCPRIM_400000_NS6detail17trampoline_kernelINS0_14default_configENS1_27scan_by_key_config_selectorIj11FixedVectorIiLj2EEEEZZNS1_16scan_by_key_implILNS1_25lookback_scan_determinismE0ELb1ES3_N6thrust23THRUST_200600_302600_NS6detail15normal_iteratorINSB_10device_ptrIjEEEENSD_INSE_IS6_EEEESI_S6_NSB_4plusIvEENSB_8equal_toIvEES6_EE10hipError_tPvRmT2_T3_T4_T5_mT6_T7_P12ihipStream_tbENKUlT_T0_E_clISt17integral_constantIbLb0EES13_EEDaSY_SZ_EUlSY_E_NS1_11comp_targetILNS1_3genE4ELNS1_11target_archE910ELNS1_3gpuE8ELNS1_3repE0EEENS1_30default_config_static_selectorELNS0_4arch9wavefront6targetE1EEEvT1_, .Lfunc_end1996-_ZN7rocprim17ROCPRIM_400000_NS6detail17trampoline_kernelINS0_14default_configENS1_27scan_by_key_config_selectorIj11FixedVectorIiLj2EEEEZZNS1_16scan_by_key_implILNS1_25lookback_scan_determinismE0ELb1ES3_N6thrust23THRUST_200600_302600_NS6detail15normal_iteratorINSB_10device_ptrIjEEEENSD_INSE_IS6_EEEESI_S6_NSB_4plusIvEENSB_8equal_toIvEES6_EE10hipError_tPvRmT2_T3_T4_T5_mT6_T7_P12ihipStream_tbENKUlT_T0_E_clISt17integral_constantIbLb0EES13_EEDaSY_SZ_EUlSY_E_NS1_11comp_targetILNS1_3genE4ELNS1_11target_archE910ELNS1_3gpuE8ELNS1_3repE0EEENS1_30default_config_static_selectorELNS0_4arch9wavefront6targetE1EEEvT1_
                                        ; -- End function
	.section	.AMDGPU.csdata,"",@progbits
; Kernel info:
; codeLenInByte = 0
; NumSgprs: 6
; NumVgprs: 0
; NumAgprs: 0
; TotalNumVgprs: 0
; ScratchSize: 0
; MemoryBound: 0
; FloatMode: 240
; IeeeMode: 1
; LDSByteSize: 0 bytes/workgroup (compile time only)
; SGPRBlocks: 0
; VGPRBlocks: 0
; NumSGPRsForWavesPerEU: 6
; NumVGPRsForWavesPerEU: 1
; AccumOffset: 4
; Occupancy: 8
; WaveLimiterHint : 0
; COMPUTE_PGM_RSRC2:SCRATCH_EN: 0
; COMPUTE_PGM_RSRC2:USER_SGPR: 2
; COMPUTE_PGM_RSRC2:TRAP_HANDLER: 0
; COMPUTE_PGM_RSRC2:TGID_X_EN: 1
; COMPUTE_PGM_RSRC2:TGID_Y_EN: 0
; COMPUTE_PGM_RSRC2:TGID_Z_EN: 0
; COMPUTE_PGM_RSRC2:TIDIG_COMP_CNT: 0
; COMPUTE_PGM_RSRC3_GFX90A:ACCUM_OFFSET: 0
; COMPUTE_PGM_RSRC3_GFX90A:TG_SPLIT: 0
	.section	.text._ZN7rocprim17ROCPRIM_400000_NS6detail17trampoline_kernelINS0_14default_configENS1_27scan_by_key_config_selectorIj11FixedVectorIiLj2EEEEZZNS1_16scan_by_key_implILNS1_25lookback_scan_determinismE0ELb1ES3_N6thrust23THRUST_200600_302600_NS6detail15normal_iteratorINSB_10device_ptrIjEEEENSD_INSE_IS6_EEEESI_S6_NSB_4plusIvEENSB_8equal_toIvEES6_EE10hipError_tPvRmT2_T3_T4_T5_mT6_T7_P12ihipStream_tbENKUlT_T0_E_clISt17integral_constantIbLb0EES13_EEDaSY_SZ_EUlSY_E_NS1_11comp_targetILNS1_3genE3ELNS1_11target_archE908ELNS1_3gpuE7ELNS1_3repE0EEENS1_30default_config_static_selectorELNS0_4arch9wavefront6targetE1EEEvT1_,"axG",@progbits,_ZN7rocprim17ROCPRIM_400000_NS6detail17trampoline_kernelINS0_14default_configENS1_27scan_by_key_config_selectorIj11FixedVectorIiLj2EEEEZZNS1_16scan_by_key_implILNS1_25lookback_scan_determinismE0ELb1ES3_N6thrust23THRUST_200600_302600_NS6detail15normal_iteratorINSB_10device_ptrIjEEEENSD_INSE_IS6_EEEESI_S6_NSB_4plusIvEENSB_8equal_toIvEES6_EE10hipError_tPvRmT2_T3_T4_T5_mT6_T7_P12ihipStream_tbENKUlT_T0_E_clISt17integral_constantIbLb0EES13_EEDaSY_SZ_EUlSY_E_NS1_11comp_targetILNS1_3genE3ELNS1_11target_archE908ELNS1_3gpuE7ELNS1_3repE0EEENS1_30default_config_static_selectorELNS0_4arch9wavefront6targetE1EEEvT1_,comdat
	.protected	_ZN7rocprim17ROCPRIM_400000_NS6detail17trampoline_kernelINS0_14default_configENS1_27scan_by_key_config_selectorIj11FixedVectorIiLj2EEEEZZNS1_16scan_by_key_implILNS1_25lookback_scan_determinismE0ELb1ES3_N6thrust23THRUST_200600_302600_NS6detail15normal_iteratorINSB_10device_ptrIjEEEENSD_INSE_IS6_EEEESI_S6_NSB_4plusIvEENSB_8equal_toIvEES6_EE10hipError_tPvRmT2_T3_T4_T5_mT6_T7_P12ihipStream_tbENKUlT_T0_E_clISt17integral_constantIbLb0EES13_EEDaSY_SZ_EUlSY_E_NS1_11comp_targetILNS1_3genE3ELNS1_11target_archE908ELNS1_3gpuE7ELNS1_3repE0EEENS1_30default_config_static_selectorELNS0_4arch9wavefront6targetE1EEEvT1_ ; -- Begin function _ZN7rocprim17ROCPRIM_400000_NS6detail17trampoline_kernelINS0_14default_configENS1_27scan_by_key_config_selectorIj11FixedVectorIiLj2EEEEZZNS1_16scan_by_key_implILNS1_25lookback_scan_determinismE0ELb1ES3_N6thrust23THRUST_200600_302600_NS6detail15normal_iteratorINSB_10device_ptrIjEEEENSD_INSE_IS6_EEEESI_S6_NSB_4plusIvEENSB_8equal_toIvEES6_EE10hipError_tPvRmT2_T3_T4_T5_mT6_T7_P12ihipStream_tbENKUlT_T0_E_clISt17integral_constantIbLb0EES13_EEDaSY_SZ_EUlSY_E_NS1_11comp_targetILNS1_3genE3ELNS1_11target_archE908ELNS1_3gpuE7ELNS1_3repE0EEENS1_30default_config_static_selectorELNS0_4arch9wavefront6targetE1EEEvT1_
	.globl	_ZN7rocprim17ROCPRIM_400000_NS6detail17trampoline_kernelINS0_14default_configENS1_27scan_by_key_config_selectorIj11FixedVectorIiLj2EEEEZZNS1_16scan_by_key_implILNS1_25lookback_scan_determinismE0ELb1ES3_N6thrust23THRUST_200600_302600_NS6detail15normal_iteratorINSB_10device_ptrIjEEEENSD_INSE_IS6_EEEESI_S6_NSB_4plusIvEENSB_8equal_toIvEES6_EE10hipError_tPvRmT2_T3_T4_T5_mT6_T7_P12ihipStream_tbENKUlT_T0_E_clISt17integral_constantIbLb0EES13_EEDaSY_SZ_EUlSY_E_NS1_11comp_targetILNS1_3genE3ELNS1_11target_archE908ELNS1_3gpuE7ELNS1_3repE0EEENS1_30default_config_static_selectorELNS0_4arch9wavefront6targetE1EEEvT1_
	.p2align	8
	.type	_ZN7rocprim17ROCPRIM_400000_NS6detail17trampoline_kernelINS0_14default_configENS1_27scan_by_key_config_selectorIj11FixedVectorIiLj2EEEEZZNS1_16scan_by_key_implILNS1_25lookback_scan_determinismE0ELb1ES3_N6thrust23THRUST_200600_302600_NS6detail15normal_iteratorINSB_10device_ptrIjEEEENSD_INSE_IS6_EEEESI_S6_NSB_4plusIvEENSB_8equal_toIvEES6_EE10hipError_tPvRmT2_T3_T4_T5_mT6_T7_P12ihipStream_tbENKUlT_T0_E_clISt17integral_constantIbLb0EES13_EEDaSY_SZ_EUlSY_E_NS1_11comp_targetILNS1_3genE3ELNS1_11target_archE908ELNS1_3gpuE7ELNS1_3repE0EEENS1_30default_config_static_selectorELNS0_4arch9wavefront6targetE1EEEvT1_,@function
_ZN7rocprim17ROCPRIM_400000_NS6detail17trampoline_kernelINS0_14default_configENS1_27scan_by_key_config_selectorIj11FixedVectorIiLj2EEEEZZNS1_16scan_by_key_implILNS1_25lookback_scan_determinismE0ELb1ES3_N6thrust23THRUST_200600_302600_NS6detail15normal_iteratorINSB_10device_ptrIjEEEENSD_INSE_IS6_EEEESI_S6_NSB_4plusIvEENSB_8equal_toIvEES6_EE10hipError_tPvRmT2_T3_T4_T5_mT6_T7_P12ihipStream_tbENKUlT_T0_E_clISt17integral_constantIbLb0EES13_EEDaSY_SZ_EUlSY_E_NS1_11comp_targetILNS1_3genE3ELNS1_11target_archE908ELNS1_3gpuE7ELNS1_3repE0EEENS1_30default_config_static_selectorELNS0_4arch9wavefront6targetE1EEEvT1_: ; @_ZN7rocprim17ROCPRIM_400000_NS6detail17trampoline_kernelINS0_14default_configENS1_27scan_by_key_config_selectorIj11FixedVectorIiLj2EEEEZZNS1_16scan_by_key_implILNS1_25lookback_scan_determinismE0ELb1ES3_N6thrust23THRUST_200600_302600_NS6detail15normal_iteratorINSB_10device_ptrIjEEEENSD_INSE_IS6_EEEESI_S6_NSB_4plusIvEENSB_8equal_toIvEES6_EE10hipError_tPvRmT2_T3_T4_T5_mT6_T7_P12ihipStream_tbENKUlT_T0_E_clISt17integral_constantIbLb0EES13_EEDaSY_SZ_EUlSY_E_NS1_11comp_targetILNS1_3genE3ELNS1_11target_archE908ELNS1_3gpuE7ELNS1_3repE0EEENS1_30default_config_static_selectorELNS0_4arch9wavefront6targetE1EEEvT1_
; %bb.0:
	.section	.rodata,"a",@progbits
	.p2align	6, 0x0
	.amdhsa_kernel _ZN7rocprim17ROCPRIM_400000_NS6detail17trampoline_kernelINS0_14default_configENS1_27scan_by_key_config_selectorIj11FixedVectorIiLj2EEEEZZNS1_16scan_by_key_implILNS1_25lookback_scan_determinismE0ELb1ES3_N6thrust23THRUST_200600_302600_NS6detail15normal_iteratorINSB_10device_ptrIjEEEENSD_INSE_IS6_EEEESI_S6_NSB_4plusIvEENSB_8equal_toIvEES6_EE10hipError_tPvRmT2_T3_T4_T5_mT6_T7_P12ihipStream_tbENKUlT_T0_E_clISt17integral_constantIbLb0EES13_EEDaSY_SZ_EUlSY_E_NS1_11comp_targetILNS1_3genE3ELNS1_11target_archE908ELNS1_3gpuE7ELNS1_3repE0EEENS1_30default_config_static_selectorELNS0_4arch9wavefront6targetE1EEEvT1_
		.amdhsa_group_segment_fixed_size 0
		.amdhsa_private_segment_fixed_size 0
		.amdhsa_kernarg_size 120
		.amdhsa_user_sgpr_count 2
		.amdhsa_user_sgpr_dispatch_ptr 0
		.amdhsa_user_sgpr_queue_ptr 0
		.amdhsa_user_sgpr_kernarg_segment_ptr 1
		.amdhsa_user_sgpr_dispatch_id 0
		.amdhsa_user_sgpr_kernarg_preload_length 0
		.amdhsa_user_sgpr_kernarg_preload_offset 0
		.amdhsa_user_sgpr_private_segment_size 0
		.amdhsa_uses_dynamic_stack 0
		.amdhsa_enable_private_segment 0
		.amdhsa_system_sgpr_workgroup_id_x 1
		.amdhsa_system_sgpr_workgroup_id_y 0
		.amdhsa_system_sgpr_workgroup_id_z 0
		.amdhsa_system_sgpr_workgroup_info 0
		.amdhsa_system_vgpr_workitem_id 0
		.amdhsa_next_free_vgpr 1
		.amdhsa_next_free_sgpr 0
		.amdhsa_accum_offset 4
		.amdhsa_reserve_vcc 0
		.amdhsa_float_round_mode_32 0
		.amdhsa_float_round_mode_16_64 0
		.amdhsa_float_denorm_mode_32 3
		.amdhsa_float_denorm_mode_16_64 3
		.amdhsa_dx10_clamp 1
		.amdhsa_ieee_mode 1
		.amdhsa_fp16_overflow 0
		.amdhsa_tg_split 0
		.amdhsa_exception_fp_ieee_invalid_op 0
		.amdhsa_exception_fp_denorm_src 0
		.amdhsa_exception_fp_ieee_div_zero 0
		.amdhsa_exception_fp_ieee_overflow 0
		.amdhsa_exception_fp_ieee_underflow 0
		.amdhsa_exception_fp_ieee_inexact 0
		.amdhsa_exception_int_div_zero 0
	.end_amdhsa_kernel
	.section	.text._ZN7rocprim17ROCPRIM_400000_NS6detail17trampoline_kernelINS0_14default_configENS1_27scan_by_key_config_selectorIj11FixedVectorIiLj2EEEEZZNS1_16scan_by_key_implILNS1_25lookback_scan_determinismE0ELb1ES3_N6thrust23THRUST_200600_302600_NS6detail15normal_iteratorINSB_10device_ptrIjEEEENSD_INSE_IS6_EEEESI_S6_NSB_4plusIvEENSB_8equal_toIvEES6_EE10hipError_tPvRmT2_T3_T4_T5_mT6_T7_P12ihipStream_tbENKUlT_T0_E_clISt17integral_constantIbLb0EES13_EEDaSY_SZ_EUlSY_E_NS1_11comp_targetILNS1_3genE3ELNS1_11target_archE908ELNS1_3gpuE7ELNS1_3repE0EEENS1_30default_config_static_selectorELNS0_4arch9wavefront6targetE1EEEvT1_,"axG",@progbits,_ZN7rocprim17ROCPRIM_400000_NS6detail17trampoline_kernelINS0_14default_configENS1_27scan_by_key_config_selectorIj11FixedVectorIiLj2EEEEZZNS1_16scan_by_key_implILNS1_25lookback_scan_determinismE0ELb1ES3_N6thrust23THRUST_200600_302600_NS6detail15normal_iteratorINSB_10device_ptrIjEEEENSD_INSE_IS6_EEEESI_S6_NSB_4plusIvEENSB_8equal_toIvEES6_EE10hipError_tPvRmT2_T3_T4_T5_mT6_T7_P12ihipStream_tbENKUlT_T0_E_clISt17integral_constantIbLb0EES13_EEDaSY_SZ_EUlSY_E_NS1_11comp_targetILNS1_3genE3ELNS1_11target_archE908ELNS1_3gpuE7ELNS1_3repE0EEENS1_30default_config_static_selectorELNS0_4arch9wavefront6targetE1EEEvT1_,comdat
.Lfunc_end1997:
	.size	_ZN7rocprim17ROCPRIM_400000_NS6detail17trampoline_kernelINS0_14default_configENS1_27scan_by_key_config_selectorIj11FixedVectorIiLj2EEEEZZNS1_16scan_by_key_implILNS1_25lookback_scan_determinismE0ELb1ES3_N6thrust23THRUST_200600_302600_NS6detail15normal_iteratorINSB_10device_ptrIjEEEENSD_INSE_IS6_EEEESI_S6_NSB_4plusIvEENSB_8equal_toIvEES6_EE10hipError_tPvRmT2_T3_T4_T5_mT6_T7_P12ihipStream_tbENKUlT_T0_E_clISt17integral_constantIbLb0EES13_EEDaSY_SZ_EUlSY_E_NS1_11comp_targetILNS1_3genE3ELNS1_11target_archE908ELNS1_3gpuE7ELNS1_3repE0EEENS1_30default_config_static_selectorELNS0_4arch9wavefront6targetE1EEEvT1_, .Lfunc_end1997-_ZN7rocprim17ROCPRIM_400000_NS6detail17trampoline_kernelINS0_14default_configENS1_27scan_by_key_config_selectorIj11FixedVectorIiLj2EEEEZZNS1_16scan_by_key_implILNS1_25lookback_scan_determinismE0ELb1ES3_N6thrust23THRUST_200600_302600_NS6detail15normal_iteratorINSB_10device_ptrIjEEEENSD_INSE_IS6_EEEESI_S6_NSB_4plusIvEENSB_8equal_toIvEES6_EE10hipError_tPvRmT2_T3_T4_T5_mT6_T7_P12ihipStream_tbENKUlT_T0_E_clISt17integral_constantIbLb0EES13_EEDaSY_SZ_EUlSY_E_NS1_11comp_targetILNS1_3genE3ELNS1_11target_archE908ELNS1_3gpuE7ELNS1_3repE0EEENS1_30default_config_static_selectorELNS0_4arch9wavefront6targetE1EEEvT1_
                                        ; -- End function
	.section	.AMDGPU.csdata,"",@progbits
; Kernel info:
; codeLenInByte = 0
; NumSgprs: 6
; NumVgprs: 0
; NumAgprs: 0
; TotalNumVgprs: 0
; ScratchSize: 0
; MemoryBound: 0
; FloatMode: 240
; IeeeMode: 1
; LDSByteSize: 0 bytes/workgroup (compile time only)
; SGPRBlocks: 0
; VGPRBlocks: 0
; NumSGPRsForWavesPerEU: 6
; NumVGPRsForWavesPerEU: 1
; AccumOffset: 4
; Occupancy: 8
; WaveLimiterHint : 0
; COMPUTE_PGM_RSRC2:SCRATCH_EN: 0
; COMPUTE_PGM_RSRC2:USER_SGPR: 2
; COMPUTE_PGM_RSRC2:TRAP_HANDLER: 0
; COMPUTE_PGM_RSRC2:TGID_X_EN: 1
; COMPUTE_PGM_RSRC2:TGID_Y_EN: 0
; COMPUTE_PGM_RSRC2:TGID_Z_EN: 0
; COMPUTE_PGM_RSRC2:TIDIG_COMP_CNT: 0
; COMPUTE_PGM_RSRC3_GFX90A:ACCUM_OFFSET: 0
; COMPUTE_PGM_RSRC3_GFX90A:TG_SPLIT: 0
	.section	.text._ZN7rocprim17ROCPRIM_400000_NS6detail17trampoline_kernelINS0_14default_configENS1_27scan_by_key_config_selectorIj11FixedVectorIiLj2EEEEZZNS1_16scan_by_key_implILNS1_25lookback_scan_determinismE0ELb1ES3_N6thrust23THRUST_200600_302600_NS6detail15normal_iteratorINSB_10device_ptrIjEEEENSD_INSE_IS6_EEEESI_S6_NSB_4plusIvEENSB_8equal_toIvEES6_EE10hipError_tPvRmT2_T3_T4_T5_mT6_T7_P12ihipStream_tbENKUlT_T0_E_clISt17integral_constantIbLb0EES13_EEDaSY_SZ_EUlSY_E_NS1_11comp_targetILNS1_3genE2ELNS1_11target_archE906ELNS1_3gpuE6ELNS1_3repE0EEENS1_30default_config_static_selectorELNS0_4arch9wavefront6targetE1EEEvT1_,"axG",@progbits,_ZN7rocprim17ROCPRIM_400000_NS6detail17trampoline_kernelINS0_14default_configENS1_27scan_by_key_config_selectorIj11FixedVectorIiLj2EEEEZZNS1_16scan_by_key_implILNS1_25lookback_scan_determinismE0ELb1ES3_N6thrust23THRUST_200600_302600_NS6detail15normal_iteratorINSB_10device_ptrIjEEEENSD_INSE_IS6_EEEESI_S6_NSB_4plusIvEENSB_8equal_toIvEES6_EE10hipError_tPvRmT2_T3_T4_T5_mT6_T7_P12ihipStream_tbENKUlT_T0_E_clISt17integral_constantIbLb0EES13_EEDaSY_SZ_EUlSY_E_NS1_11comp_targetILNS1_3genE2ELNS1_11target_archE906ELNS1_3gpuE6ELNS1_3repE0EEENS1_30default_config_static_selectorELNS0_4arch9wavefront6targetE1EEEvT1_,comdat
	.protected	_ZN7rocprim17ROCPRIM_400000_NS6detail17trampoline_kernelINS0_14default_configENS1_27scan_by_key_config_selectorIj11FixedVectorIiLj2EEEEZZNS1_16scan_by_key_implILNS1_25lookback_scan_determinismE0ELb1ES3_N6thrust23THRUST_200600_302600_NS6detail15normal_iteratorINSB_10device_ptrIjEEEENSD_INSE_IS6_EEEESI_S6_NSB_4plusIvEENSB_8equal_toIvEES6_EE10hipError_tPvRmT2_T3_T4_T5_mT6_T7_P12ihipStream_tbENKUlT_T0_E_clISt17integral_constantIbLb0EES13_EEDaSY_SZ_EUlSY_E_NS1_11comp_targetILNS1_3genE2ELNS1_11target_archE906ELNS1_3gpuE6ELNS1_3repE0EEENS1_30default_config_static_selectorELNS0_4arch9wavefront6targetE1EEEvT1_ ; -- Begin function _ZN7rocprim17ROCPRIM_400000_NS6detail17trampoline_kernelINS0_14default_configENS1_27scan_by_key_config_selectorIj11FixedVectorIiLj2EEEEZZNS1_16scan_by_key_implILNS1_25lookback_scan_determinismE0ELb1ES3_N6thrust23THRUST_200600_302600_NS6detail15normal_iteratorINSB_10device_ptrIjEEEENSD_INSE_IS6_EEEESI_S6_NSB_4plusIvEENSB_8equal_toIvEES6_EE10hipError_tPvRmT2_T3_T4_T5_mT6_T7_P12ihipStream_tbENKUlT_T0_E_clISt17integral_constantIbLb0EES13_EEDaSY_SZ_EUlSY_E_NS1_11comp_targetILNS1_3genE2ELNS1_11target_archE906ELNS1_3gpuE6ELNS1_3repE0EEENS1_30default_config_static_selectorELNS0_4arch9wavefront6targetE1EEEvT1_
	.globl	_ZN7rocprim17ROCPRIM_400000_NS6detail17trampoline_kernelINS0_14default_configENS1_27scan_by_key_config_selectorIj11FixedVectorIiLj2EEEEZZNS1_16scan_by_key_implILNS1_25lookback_scan_determinismE0ELb1ES3_N6thrust23THRUST_200600_302600_NS6detail15normal_iteratorINSB_10device_ptrIjEEEENSD_INSE_IS6_EEEESI_S6_NSB_4plusIvEENSB_8equal_toIvEES6_EE10hipError_tPvRmT2_T3_T4_T5_mT6_T7_P12ihipStream_tbENKUlT_T0_E_clISt17integral_constantIbLb0EES13_EEDaSY_SZ_EUlSY_E_NS1_11comp_targetILNS1_3genE2ELNS1_11target_archE906ELNS1_3gpuE6ELNS1_3repE0EEENS1_30default_config_static_selectorELNS0_4arch9wavefront6targetE1EEEvT1_
	.p2align	8
	.type	_ZN7rocprim17ROCPRIM_400000_NS6detail17trampoline_kernelINS0_14default_configENS1_27scan_by_key_config_selectorIj11FixedVectorIiLj2EEEEZZNS1_16scan_by_key_implILNS1_25lookback_scan_determinismE0ELb1ES3_N6thrust23THRUST_200600_302600_NS6detail15normal_iteratorINSB_10device_ptrIjEEEENSD_INSE_IS6_EEEESI_S6_NSB_4plusIvEENSB_8equal_toIvEES6_EE10hipError_tPvRmT2_T3_T4_T5_mT6_T7_P12ihipStream_tbENKUlT_T0_E_clISt17integral_constantIbLb0EES13_EEDaSY_SZ_EUlSY_E_NS1_11comp_targetILNS1_3genE2ELNS1_11target_archE906ELNS1_3gpuE6ELNS1_3repE0EEENS1_30default_config_static_selectorELNS0_4arch9wavefront6targetE1EEEvT1_,@function
_ZN7rocprim17ROCPRIM_400000_NS6detail17trampoline_kernelINS0_14default_configENS1_27scan_by_key_config_selectorIj11FixedVectorIiLj2EEEEZZNS1_16scan_by_key_implILNS1_25lookback_scan_determinismE0ELb1ES3_N6thrust23THRUST_200600_302600_NS6detail15normal_iteratorINSB_10device_ptrIjEEEENSD_INSE_IS6_EEEESI_S6_NSB_4plusIvEENSB_8equal_toIvEES6_EE10hipError_tPvRmT2_T3_T4_T5_mT6_T7_P12ihipStream_tbENKUlT_T0_E_clISt17integral_constantIbLb0EES13_EEDaSY_SZ_EUlSY_E_NS1_11comp_targetILNS1_3genE2ELNS1_11target_archE906ELNS1_3gpuE6ELNS1_3repE0EEENS1_30default_config_static_selectorELNS0_4arch9wavefront6targetE1EEEvT1_: ; @_ZN7rocprim17ROCPRIM_400000_NS6detail17trampoline_kernelINS0_14default_configENS1_27scan_by_key_config_selectorIj11FixedVectorIiLj2EEEEZZNS1_16scan_by_key_implILNS1_25lookback_scan_determinismE0ELb1ES3_N6thrust23THRUST_200600_302600_NS6detail15normal_iteratorINSB_10device_ptrIjEEEENSD_INSE_IS6_EEEESI_S6_NSB_4plusIvEENSB_8equal_toIvEES6_EE10hipError_tPvRmT2_T3_T4_T5_mT6_T7_P12ihipStream_tbENKUlT_T0_E_clISt17integral_constantIbLb0EES13_EEDaSY_SZ_EUlSY_E_NS1_11comp_targetILNS1_3genE2ELNS1_11target_archE906ELNS1_3gpuE6ELNS1_3repE0EEENS1_30default_config_static_selectorELNS0_4arch9wavefront6targetE1EEEvT1_
; %bb.0:
	.section	.rodata,"a",@progbits
	.p2align	6, 0x0
	.amdhsa_kernel _ZN7rocprim17ROCPRIM_400000_NS6detail17trampoline_kernelINS0_14default_configENS1_27scan_by_key_config_selectorIj11FixedVectorIiLj2EEEEZZNS1_16scan_by_key_implILNS1_25lookback_scan_determinismE0ELb1ES3_N6thrust23THRUST_200600_302600_NS6detail15normal_iteratorINSB_10device_ptrIjEEEENSD_INSE_IS6_EEEESI_S6_NSB_4plusIvEENSB_8equal_toIvEES6_EE10hipError_tPvRmT2_T3_T4_T5_mT6_T7_P12ihipStream_tbENKUlT_T0_E_clISt17integral_constantIbLb0EES13_EEDaSY_SZ_EUlSY_E_NS1_11comp_targetILNS1_3genE2ELNS1_11target_archE906ELNS1_3gpuE6ELNS1_3repE0EEENS1_30default_config_static_selectorELNS0_4arch9wavefront6targetE1EEEvT1_
		.amdhsa_group_segment_fixed_size 0
		.amdhsa_private_segment_fixed_size 0
		.amdhsa_kernarg_size 120
		.amdhsa_user_sgpr_count 2
		.amdhsa_user_sgpr_dispatch_ptr 0
		.amdhsa_user_sgpr_queue_ptr 0
		.amdhsa_user_sgpr_kernarg_segment_ptr 1
		.amdhsa_user_sgpr_dispatch_id 0
		.amdhsa_user_sgpr_kernarg_preload_length 0
		.amdhsa_user_sgpr_kernarg_preload_offset 0
		.amdhsa_user_sgpr_private_segment_size 0
		.amdhsa_uses_dynamic_stack 0
		.amdhsa_enable_private_segment 0
		.amdhsa_system_sgpr_workgroup_id_x 1
		.amdhsa_system_sgpr_workgroup_id_y 0
		.amdhsa_system_sgpr_workgroup_id_z 0
		.amdhsa_system_sgpr_workgroup_info 0
		.amdhsa_system_vgpr_workitem_id 0
		.amdhsa_next_free_vgpr 1
		.amdhsa_next_free_sgpr 0
		.amdhsa_accum_offset 4
		.amdhsa_reserve_vcc 0
		.amdhsa_float_round_mode_32 0
		.amdhsa_float_round_mode_16_64 0
		.amdhsa_float_denorm_mode_32 3
		.amdhsa_float_denorm_mode_16_64 3
		.amdhsa_dx10_clamp 1
		.amdhsa_ieee_mode 1
		.amdhsa_fp16_overflow 0
		.amdhsa_tg_split 0
		.amdhsa_exception_fp_ieee_invalid_op 0
		.amdhsa_exception_fp_denorm_src 0
		.amdhsa_exception_fp_ieee_div_zero 0
		.amdhsa_exception_fp_ieee_overflow 0
		.amdhsa_exception_fp_ieee_underflow 0
		.amdhsa_exception_fp_ieee_inexact 0
		.amdhsa_exception_int_div_zero 0
	.end_amdhsa_kernel
	.section	.text._ZN7rocprim17ROCPRIM_400000_NS6detail17trampoline_kernelINS0_14default_configENS1_27scan_by_key_config_selectorIj11FixedVectorIiLj2EEEEZZNS1_16scan_by_key_implILNS1_25lookback_scan_determinismE0ELb1ES3_N6thrust23THRUST_200600_302600_NS6detail15normal_iteratorINSB_10device_ptrIjEEEENSD_INSE_IS6_EEEESI_S6_NSB_4plusIvEENSB_8equal_toIvEES6_EE10hipError_tPvRmT2_T3_T4_T5_mT6_T7_P12ihipStream_tbENKUlT_T0_E_clISt17integral_constantIbLb0EES13_EEDaSY_SZ_EUlSY_E_NS1_11comp_targetILNS1_3genE2ELNS1_11target_archE906ELNS1_3gpuE6ELNS1_3repE0EEENS1_30default_config_static_selectorELNS0_4arch9wavefront6targetE1EEEvT1_,"axG",@progbits,_ZN7rocprim17ROCPRIM_400000_NS6detail17trampoline_kernelINS0_14default_configENS1_27scan_by_key_config_selectorIj11FixedVectorIiLj2EEEEZZNS1_16scan_by_key_implILNS1_25lookback_scan_determinismE0ELb1ES3_N6thrust23THRUST_200600_302600_NS6detail15normal_iteratorINSB_10device_ptrIjEEEENSD_INSE_IS6_EEEESI_S6_NSB_4plusIvEENSB_8equal_toIvEES6_EE10hipError_tPvRmT2_T3_T4_T5_mT6_T7_P12ihipStream_tbENKUlT_T0_E_clISt17integral_constantIbLb0EES13_EEDaSY_SZ_EUlSY_E_NS1_11comp_targetILNS1_3genE2ELNS1_11target_archE906ELNS1_3gpuE6ELNS1_3repE0EEENS1_30default_config_static_selectorELNS0_4arch9wavefront6targetE1EEEvT1_,comdat
.Lfunc_end1998:
	.size	_ZN7rocprim17ROCPRIM_400000_NS6detail17trampoline_kernelINS0_14default_configENS1_27scan_by_key_config_selectorIj11FixedVectorIiLj2EEEEZZNS1_16scan_by_key_implILNS1_25lookback_scan_determinismE0ELb1ES3_N6thrust23THRUST_200600_302600_NS6detail15normal_iteratorINSB_10device_ptrIjEEEENSD_INSE_IS6_EEEESI_S6_NSB_4plusIvEENSB_8equal_toIvEES6_EE10hipError_tPvRmT2_T3_T4_T5_mT6_T7_P12ihipStream_tbENKUlT_T0_E_clISt17integral_constantIbLb0EES13_EEDaSY_SZ_EUlSY_E_NS1_11comp_targetILNS1_3genE2ELNS1_11target_archE906ELNS1_3gpuE6ELNS1_3repE0EEENS1_30default_config_static_selectorELNS0_4arch9wavefront6targetE1EEEvT1_, .Lfunc_end1998-_ZN7rocprim17ROCPRIM_400000_NS6detail17trampoline_kernelINS0_14default_configENS1_27scan_by_key_config_selectorIj11FixedVectorIiLj2EEEEZZNS1_16scan_by_key_implILNS1_25lookback_scan_determinismE0ELb1ES3_N6thrust23THRUST_200600_302600_NS6detail15normal_iteratorINSB_10device_ptrIjEEEENSD_INSE_IS6_EEEESI_S6_NSB_4plusIvEENSB_8equal_toIvEES6_EE10hipError_tPvRmT2_T3_T4_T5_mT6_T7_P12ihipStream_tbENKUlT_T0_E_clISt17integral_constantIbLb0EES13_EEDaSY_SZ_EUlSY_E_NS1_11comp_targetILNS1_3genE2ELNS1_11target_archE906ELNS1_3gpuE6ELNS1_3repE0EEENS1_30default_config_static_selectorELNS0_4arch9wavefront6targetE1EEEvT1_
                                        ; -- End function
	.section	.AMDGPU.csdata,"",@progbits
; Kernel info:
; codeLenInByte = 0
; NumSgprs: 6
; NumVgprs: 0
; NumAgprs: 0
; TotalNumVgprs: 0
; ScratchSize: 0
; MemoryBound: 0
; FloatMode: 240
; IeeeMode: 1
; LDSByteSize: 0 bytes/workgroup (compile time only)
; SGPRBlocks: 0
; VGPRBlocks: 0
; NumSGPRsForWavesPerEU: 6
; NumVGPRsForWavesPerEU: 1
; AccumOffset: 4
; Occupancy: 8
; WaveLimiterHint : 0
; COMPUTE_PGM_RSRC2:SCRATCH_EN: 0
; COMPUTE_PGM_RSRC2:USER_SGPR: 2
; COMPUTE_PGM_RSRC2:TRAP_HANDLER: 0
; COMPUTE_PGM_RSRC2:TGID_X_EN: 1
; COMPUTE_PGM_RSRC2:TGID_Y_EN: 0
; COMPUTE_PGM_RSRC2:TGID_Z_EN: 0
; COMPUTE_PGM_RSRC2:TIDIG_COMP_CNT: 0
; COMPUTE_PGM_RSRC3_GFX90A:ACCUM_OFFSET: 0
; COMPUTE_PGM_RSRC3_GFX90A:TG_SPLIT: 0
	.section	.text._ZN7rocprim17ROCPRIM_400000_NS6detail17trampoline_kernelINS0_14default_configENS1_27scan_by_key_config_selectorIj11FixedVectorIiLj2EEEEZZNS1_16scan_by_key_implILNS1_25lookback_scan_determinismE0ELb1ES3_N6thrust23THRUST_200600_302600_NS6detail15normal_iteratorINSB_10device_ptrIjEEEENSD_INSE_IS6_EEEESI_S6_NSB_4plusIvEENSB_8equal_toIvEES6_EE10hipError_tPvRmT2_T3_T4_T5_mT6_T7_P12ihipStream_tbENKUlT_T0_E_clISt17integral_constantIbLb0EES13_EEDaSY_SZ_EUlSY_E_NS1_11comp_targetILNS1_3genE10ELNS1_11target_archE1200ELNS1_3gpuE4ELNS1_3repE0EEENS1_30default_config_static_selectorELNS0_4arch9wavefront6targetE1EEEvT1_,"axG",@progbits,_ZN7rocprim17ROCPRIM_400000_NS6detail17trampoline_kernelINS0_14default_configENS1_27scan_by_key_config_selectorIj11FixedVectorIiLj2EEEEZZNS1_16scan_by_key_implILNS1_25lookback_scan_determinismE0ELb1ES3_N6thrust23THRUST_200600_302600_NS6detail15normal_iteratorINSB_10device_ptrIjEEEENSD_INSE_IS6_EEEESI_S6_NSB_4plusIvEENSB_8equal_toIvEES6_EE10hipError_tPvRmT2_T3_T4_T5_mT6_T7_P12ihipStream_tbENKUlT_T0_E_clISt17integral_constantIbLb0EES13_EEDaSY_SZ_EUlSY_E_NS1_11comp_targetILNS1_3genE10ELNS1_11target_archE1200ELNS1_3gpuE4ELNS1_3repE0EEENS1_30default_config_static_selectorELNS0_4arch9wavefront6targetE1EEEvT1_,comdat
	.protected	_ZN7rocprim17ROCPRIM_400000_NS6detail17trampoline_kernelINS0_14default_configENS1_27scan_by_key_config_selectorIj11FixedVectorIiLj2EEEEZZNS1_16scan_by_key_implILNS1_25lookback_scan_determinismE0ELb1ES3_N6thrust23THRUST_200600_302600_NS6detail15normal_iteratorINSB_10device_ptrIjEEEENSD_INSE_IS6_EEEESI_S6_NSB_4plusIvEENSB_8equal_toIvEES6_EE10hipError_tPvRmT2_T3_T4_T5_mT6_T7_P12ihipStream_tbENKUlT_T0_E_clISt17integral_constantIbLb0EES13_EEDaSY_SZ_EUlSY_E_NS1_11comp_targetILNS1_3genE10ELNS1_11target_archE1200ELNS1_3gpuE4ELNS1_3repE0EEENS1_30default_config_static_selectorELNS0_4arch9wavefront6targetE1EEEvT1_ ; -- Begin function _ZN7rocprim17ROCPRIM_400000_NS6detail17trampoline_kernelINS0_14default_configENS1_27scan_by_key_config_selectorIj11FixedVectorIiLj2EEEEZZNS1_16scan_by_key_implILNS1_25lookback_scan_determinismE0ELb1ES3_N6thrust23THRUST_200600_302600_NS6detail15normal_iteratorINSB_10device_ptrIjEEEENSD_INSE_IS6_EEEESI_S6_NSB_4plusIvEENSB_8equal_toIvEES6_EE10hipError_tPvRmT2_T3_T4_T5_mT6_T7_P12ihipStream_tbENKUlT_T0_E_clISt17integral_constantIbLb0EES13_EEDaSY_SZ_EUlSY_E_NS1_11comp_targetILNS1_3genE10ELNS1_11target_archE1200ELNS1_3gpuE4ELNS1_3repE0EEENS1_30default_config_static_selectorELNS0_4arch9wavefront6targetE1EEEvT1_
	.globl	_ZN7rocprim17ROCPRIM_400000_NS6detail17trampoline_kernelINS0_14default_configENS1_27scan_by_key_config_selectorIj11FixedVectorIiLj2EEEEZZNS1_16scan_by_key_implILNS1_25lookback_scan_determinismE0ELb1ES3_N6thrust23THRUST_200600_302600_NS6detail15normal_iteratorINSB_10device_ptrIjEEEENSD_INSE_IS6_EEEESI_S6_NSB_4plusIvEENSB_8equal_toIvEES6_EE10hipError_tPvRmT2_T3_T4_T5_mT6_T7_P12ihipStream_tbENKUlT_T0_E_clISt17integral_constantIbLb0EES13_EEDaSY_SZ_EUlSY_E_NS1_11comp_targetILNS1_3genE10ELNS1_11target_archE1200ELNS1_3gpuE4ELNS1_3repE0EEENS1_30default_config_static_selectorELNS0_4arch9wavefront6targetE1EEEvT1_
	.p2align	8
	.type	_ZN7rocprim17ROCPRIM_400000_NS6detail17trampoline_kernelINS0_14default_configENS1_27scan_by_key_config_selectorIj11FixedVectorIiLj2EEEEZZNS1_16scan_by_key_implILNS1_25lookback_scan_determinismE0ELb1ES3_N6thrust23THRUST_200600_302600_NS6detail15normal_iteratorINSB_10device_ptrIjEEEENSD_INSE_IS6_EEEESI_S6_NSB_4plusIvEENSB_8equal_toIvEES6_EE10hipError_tPvRmT2_T3_T4_T5_mT6_T7_P12ihipStream_tbENKUlT_T0_E_clISt17integral_constantIbLb0EES13_EEDaSY_SZ_EUlSY_E_NS1_11comp_targetILNS1_3genE10ELNS1_11target_archE1200ELNS1_3gpuE4ELNS1_3repE0EEENS1_30default_config_static_selectorELNS0_4arch9wavefront6targetE1EEEvT1_,@function
_ZN7rocprim17ROCPRIM_400000_NS6detail17trampoline_kernelINS0_14default_configENS1_27scan_by_key_config_selectorIj11FixedVectorIiLj2EEEEZZNS1_16scan_by_key_implILNS1_25lookback_scan_determinismE0ELb1ES3_N6thrust23THRUST_200600_302600_NS6detail15normal_iteratorINSB_10device_ptrIjEEEENSD_INSE_IS6_EEEESI_S6_NSB_4plusIvEENSB_8equal_toIvEES6_EE10hipError_tPvRmT2_T3_T4_T5_mT6_T7_P12ihipStream_tbENKUlT_T0_E_clISt17integral_constantIbLb0EES13_EEDaSY_SZ_EUlSY_E_NS1_11comp_targetILNS1_3genE10ELNS1_11target_archE1200ELNS1_3gpuE4ELNS1_3repE0EEENS1_30default_config_static_selectorELNS0_4arch9wavefront6targetE1EEEvT1_: ; @_ZN7rocprim17ROCPRIM_400000_NS6detail17trampoline_kernelINS0_14default_configENS1_27scan_by_key_config_selectorIj11FixedVectorIiLj2EEEEZZNS1_16scan_by_key_implILNS1_25lookback_scan_determinismE0ELb1ES3_N6thrust23THRUST_200600_302600_NS6detail15normal_iteratorINSB_10device_ptrIjEEEENSD_INSE_IS6_EEEESI_S6_NSB_4plusIvEENSB_8equal_toIvEES6_EE10hipError_tPvRmT2_T3_T4_T5_mT6_T7_P12ihipStream_tbENKUlT_T0_E_clISt17integral_constantIbLb0EES13_EEDaSY_SZ_EUlSY_E_NS1_11comp_targetILNS1_3genE10ELNS1_11target_archE1200ELNS1_3gpuE4ELNS1_3repE0EEENS1_30default_config_static_selectorELNS0_4arch9wavefront6targetE1EEEvT1_
; %bb.0:
	.section	.rodata,"a",@progbits
	.p2align	6, 0x0
	.amdhsa_kernel _ZN7rocprim17ROCPRIM_400000_NS6detail17trampoline_kernelINS0_14default_configENS1_27scan_by_key_config_selectorIj11FixedVectorIiLj2EEEEZZNS1_16scan_by_key_implILNS1_25lookback_scan_determinismE0ELb1ES3_N6thrust23THRUST_200600_302600_NS6detail15normal_iteratorINSB_10device_ptrIjEEEENSD_INSE_IS6_EEEESI_S6_NSB_4plusIvEENSB_8equal_toIvEES6_EE10hipError_tPvRmT2_T3_T4_T5_mT6_T7_P12ihipStream_tbENKUlT_T0_E_clISt17integral_constantIbLb0EES13_EEDaSY_SZ_EUlSY_E_NS1_11comp_targetILNS1_3genE10ELNS1_11target_archE1200ELNS1_3gpuE4ELNS1_3repE0EEENS1_30default_config_static_selectorELNS0_4arch9wavefront6targetE1EEEvT1_
		.amdhsa_group_segment_fixed_size 0
		.amdhsa_private_segment_fixed_size 0
		.amdhsa_kernarg_size 120
		.amdhsa_user_sgpr_count 2
		.amdhsa_user_sgpr_dispatch_ptr 0
		.amdhsa_user_sgpr_queue_ptr 0
		.amdhsa_user_sgpr_kernarg_segment_ptr 1
		.amdhsa_user_sgpr_dispatch_id 0
		.amdhsa_user_sgpr_kernarg_preload_length 0
		.amdhsa_user_sgpr_kernarg_preload_offset 0
		.amdhsa_user_sgpr_private_segment_size 0
		.amdhsa_uses_dynamic_stack 0
		.amdhsa_enable_private_segment 0
		.amdhsa_system_sgpr_workgroup_id_x 1
		.amdhsa_system_sgpr_workgroup_id_y 0
		.amdhsa_system_sgpr_workgroup_id_z 0
		.amdhsa_system_sgpr_workgroup_info 0
		.amdhsa_system_vgpr_workitem_id 0
		.amdhsa_next_free_vgpr 1
		.amdhsa_next_free_sgpr 0
		.amdhsa_accum_offset 4
		.amdhsa_reserve_vcc 0
		.amdhsa_float_round_mode_32 0
		.amdhsa_float_round_mode_16_64 0
		.amdhsa_float_denorm_mode_32 3
		.amdhsa_float_denorm_mode_16_64 3
		.amdhsa_dx10_clamp 1
		.amdhsa_ieee_mode 1
		.amdhsa_fp16_overflow 0
		.amdhsa_tg_split 0
		.amdhsa_exception_fp_ieee_invalid_op 0
		.amdhsa_exception_fp_denorm_src 0
		.amdhsa_exception_fp_ieee_div_zero 0
		.amdhsa_exception_fp_ieee_overflow 0
		.amdhsa_exception_fp_ieee_underflow 0
		.amdhsa_exception_fp_ieee_inexact 0
		.amdhsa_exception_int_div_zero 0
	.end_amdhsa_kernel
	.section	.text._ZN7rocprim17ROCPRIM_400000_NS6detail17trampoline_kernelINS0_14default_configENS1_27scan_by_key_config_selectorIj11FixedVectorIiLj2EEEEZZNS1_16scan_by_key_implILNS1_25lookback_scan_determinismE0ELb1ES3_N6thrust23THRUST_200600_302600_NS6detail15normal_iteratorINSB_10device_ptrIjEEEENSD_INSE_IS6_EEEESI_S6_NSB_4plusIvEENSB_8equal_toIvEES6_EE10hipError_tPvRmT2_T3_T4_T5_mT6_T7_P12ihipStream_tbENKUlT_T0_E_clISt17integral_constantIbLb0EES13_EEDaSY_SZ_EUlSY_E_NS1_11comp_targetILNS1_3genE10ELNS1_11target_archE1200ELNS1_3gpuE4ELNS1_3repE0EEENS1_30default_config_static_selectorELNS0_4arch9wavefront6targetE1EEEvT1_,"axG",@progbits,_ZN7rocprim17ROCPRIM_400000_NS6detail17trampoline_kernelINS0_14default_configENS1_27scan_by_key_config_selectorIj11FixedVectorIiLj2EEEEZZNS1_16scan_by_key_implILNS1_25lookback_scan_determinismE0ELb1ES3_N6thrust23THRUST_200600_302600_NS6detail15normal_iteratorINSB_10device_ptrIjEEEENSD_INSE_IS6_EEEESI_S6_NSB_4plusIvEENSB_8equal_toIvEES6_EE10hipError_tPvRmT2_T3_T4_T5_mT6_T7_P12ihipStream_tbENKUlT_T0_E_clISt17integral_constantIbLb0EES13_EEDaSY_SZ_EUlSY_E_NS1_11comp_targetILNS1_3genE10ELNS1_11target_archE1200ELNS1_3gpuE4ELNS1_3repE0EEENS1_30default_config_static_selectorELNS0_4arch9wavefront6targetE1EEEvT1_,comdat
.Lfunc_end1999:
	.size	_ZN7rocprim17ROCPRIM_400000_NS6detail17trampoline_kernelINS0_14default_configENS1_27scan_by_key_config_selectorIj11FixedVectorIiLj2EEEEZZNS1_16scan_by_key_implILNS1_25lookback_scan_determinismE0ELb1ES3_N6thrust23THRUST_200600_302600_NS6detail15normal_iteratorINSB_10device_ptrIjEEEENSD_INSE_IS6_EEEESI_S6_NSB_4plusIvEENSB_8equal_toIvEES6_EE10hipError_tPvRmT2_T3_T4_T5_mT6_T7_P12ihipStream_tbENKUlT_T0_E_clISt17integral_constantIbLb0EES13_EEDaSY_SZ_EUlSY_E_NS1_11comp_targetILNS1_3genE10ELNS1_11target_archE1200ELNS1_3gpuE4ELNS1_3repE0EEENS1_30default_config_static_selectorELNS0_4arch9wavefront6targetE1EEEvT1_, .Lfunc_end1999-_ZN7rocprim17ROCPRIM_400000_NS6detail17trampoline_kernelINS0_14default_configENS1_27scan_by_key_config_selectorIj11FixedVectorIiLj2EEEEZZNS1_16scan_by_key_implILNS1_25lookback_scan_determinismE0ELb1ES3_N6thrust23THRUST_200600_302600_NS6detail15normal_iteratorINSB_10device_ptrIjEEEENSD_INSE_IS6_EEEESI_S6_NSB_4plusIvEENSB_8equal_toIvEES6_EE10hipError_tPvRmT2_T3_T4_T5_mT6_T7_P12ihipStream_tbENKUlT_T0_E_clISt17integral_constantIbLb0EES13_EEDaSY_SZ_EUlSY_E_NS1_11comp_targetILNS1_3genE10ELNS1_11target_archE1200ELNS1_3gpuE4ELNS1_3repE0EEENS1_30default_config_static_selectorELNS0_4arch9wavefront6targetE1EEEvT1_
                                        ; -- End function
	.section	.AMDGPU.csdata,"",@progbits
; Kernel info:
; codeLenInByte = 0
; NumSgprs: 6
; NumVgprs: 0
; NumAgprs: 0
; TotalNumVgprs: 0
; ScratchSize: 0
; MemoryBound: 0
; FloatMode: 240
; IeeeMode: 1
; LDSByteSize: 0 bytes/workgroup (compile time only)
; SGPRBlocks: 0
; VGPRBlocks: 0
; NumSGPRsForWavesPerEU: 6
; NumVGPRsForWavesPerEU: 1
; AccumOffset: 4
; Occupancy: 8
; WaveLimiterHint : 0
; COMPUTE_PGM_RSRC2:SCRATCH_EN: 0
; COMPUTE_PGM_RSRC2:USER_SGPR: 2
; COMPUTE_PGM_RSRC2:TRAP_HANDLER: 0
; COMPUTE_PGM_RSRC2:TGID_X_EN: 1
; COMPUTE_PGM_RSRC2:TGID_Y_EN: 0
; COMPUTE_PGM_RSRC2:TGID_Z_EN: 0
; COMPUTE_PGM_RSRC2:TIDIG_COMP_CNT: 0
; COMPUTE_PGM_RSRC3_GFX90A:ACCUM_OFFSET: 0
; COMPUTE_PGM_RSRC3_GFX90A:TG_SPLIT: 0
	.section	.text._ZN7rocprim17ROCPRIM_400000_NS6detail17trampoline_kernelINS0_14default_configENS1_27scan_by_key_config_selectorIj11FixedVectorIiLj2EEEEZZNS1_16scan_by_key_implILNS1_25lookback_scan_determinismE0ELb1ES3_N6thrust23THRUST_200600_302600_NS6detail15normal_iteratorINSB_10device_ptrIjEEEENSD_INSE_IS6_EEEESI_S6_NSB_4plusIvEENSB_8equal_toIvEES6_EE10hipError_tPvRmT2_T3_T4_T5_mT6_T7_P12ihipStream_tbENKUlT_T0_E_clISt17integral_constantIbLb0EES13_EEDaSY_SZ_EUlSY_E_NS1_11comp_targetILNS1_3genE9ELNS1_11target_archE1100ELNS1_3gpuE3ELNS1_3repE0EEENS1_30default_config_static_selectorELNS0_4arch9wavefront6targetE1EEEvT1_,"axG",@progbits,_ZN7rocprim17ROCPRIM_400000_NS6detail17trampoline_kernelINS0_14default_configENS1_27scan_by_key_config_selectorIj11FixedVectorIiLj2EEEEZZNS1_16scan_by_key_implILNS1_25lookback_scan_determinismE0ELb1ES3_N6thrust23THRUST_200600_302600_NS6detail15normal_iteratorINSB_10device_ptrIjEEEENSD_INSE_IS6_EEEESI_S6_NSB_4plusIvEENSB_8equal_toIvEES6_EE10hipError_tPvRmT2_T3_T4_T5_mT6_T7_P12ihipStream_tbENKUlT_T0_E_clISt17integral_constantIbLb0EES13_EEDaSY_SZ_EUlSY_E_NS1_11comp_targetILNS1_3genE9ELNS1_11target_archE1100ELNS1_3gpuE3ELNS1_3repE0EEENS1_30default_config_static_selectorELNS0_4arch9wavefront6targetE1EEEvT1_,comdat
	.protected	_ZN7rocprim17ROCPRIM_400000_NS6detail17trampoline_kernelINS0_14default_configENS1_27scan_by_key_config_selectorIj11FixedVectorIiLj2EEEEZZNS1_16scan_by_key_implILNS1_25lookback_scan_determinismE0ELb1ES3_N6thrust23THRUST_200600_302600_NS6detail15normal_iteratorINSB_10device_ptrIjEEEENSD_INSE_IS6_EEEESI_S6_NSB_4plusIvEENSB_8equal_toIvEES6_EE10hipError_tPvRmT2_T3_T4_T5_mT6_T7_P12ihipStream_tbENKUlT_T0_E_clISt17integral_constantIbLb0EES13_EEDaSY_SZ_EUlSY_E_NS1_11comp_targetILNS1_3genE9ELNS1_11target_archE1100ELNS1_3gpuE3ELNS1_3repE0EEENS1_30default_config_static_selectorELNS0_4arch9wavefront6targetE1EEEvT1_ ; -- Begin function _ZN7rocprim17ROCPRIM_400000_NS6detail17trampoline_kernelINS0_14default_configENS1_27scan_by_key_config_selectorIj11FixedVectorIiLj2EEEEZZNS1_16scan_by_key_implILNS1_25lookback_scan_determinismE0ELb1ES3_N6thrust23THRUST_200600_302600_NS6detail15normal_iteratorINSB_10device_ptrIjEEEENSD_INSE_IS6_EEEESI_S6_NSB_4plusIvEENSB_8equal_toIvEES6_EE10hipError_tPvRmT2_T3_T4_T5_mT6_T7_P12ihipStream_tbENKUlT_T0_E_clISt17integral_constantIbLb0EES13_EEDaSY_SZ_EUlSY_E_NS1_11comp_targetILNS1_3genE9ELNS1_11target_archE1100ELNS1_3gpuE3ELNS1_3repE0EEENS1_30default_config_static_selectorELNS0_4arch9wavefront6targetE1EEEvT1_
	.globl	_ZN7rocprim17ROCPRIM_400000_NS6detail17trampoline_kernelINS0_14default_configENS1_27scan_by_key_config_selectorIj11FixedVectorIiLj2EEEEZZNS1_16scan_by_key_implILNS1_25lookback_scan_determinismE0ELb1ES3_N6thrust23THRUST_200600_302600_NS6detail15normal_iteratorINSB_10device_ptrIjEEEENSD_INSE_IS6_EEEESI_S6_NSB_4plusIvEENSB_8equal_toIvEES6_EE10hipError_tPvRmT2_T3_T4_T5_mT6_T7_P12ihipStream_tbENKUlT_T0_E_clISt17integral_constantIbLb0EES13_EEDaSY_SZ_EUlSY_E_NS1_11comp_targetILNS1_3genE9ELNS1_11target_archE1100ELNS1_3gpuE3ELNS1_3repE0EEENS1_30default_config_static_selectorELNS0_4arch9wavefront6targetE1EEEvT1_
	.p2align	8
	.type	_ZN7rocprim17ROCPRIM_400000_NS6detail17trampoline_kernelINS0_14default_configENS1_27scan_by_key_config_selectorIj11FixedVectorIiLj2EEEEZZNS1_16scan_by_key_implILNS1_25lookback_scan_determinismE0ELb1ES3_N6thrust23THRUST_200600_302600_NS6detail15normal_iteratorINSB_10device_ptrIjEEEENSD_INSE_IS6_EEEESI_S6_NSB_4plusIvEENSB_8equal_toIvEES6_EE10hipError_tPvRmT2_T3_T4_T5_mT6_T7_P12ihipStream_tbENKUlT_T0_E_clISt17integral_constantIbLb0EES13_EEDaSY_SZ_EUlSY_E_NS1_11comp_targetILNS1_3genE9ELNS1_11target_archE1100ELNS1_3gpuE3ELNS1_3repE0EEENS1_30default_config_static_selectorELNS0_4arch9wavefront6targetE1EEEvT1_,@function
_ZN7rocprim17ROCPRIM_400000_NS6detail17trampoline_kernelINS0_14default_configENS1_27scan_by_key_config_selectorIj11FixedVectorIiLj2EEEEZZNS1_16scan_by_key_implILNS1_25lookback_scan_determinismE0ELb1ES3_N6thrust23THRUST_200600_302600_NS6detail15normal_iteratorINSB_10device_ptrIjEEEENSD_INSE_IS6_EEEESI_S6_NSB_4plusIvEENSB_8equal_toIvEES6_EE10hipError_tPvRmT2_T3_T4_T5_mT6_T7_P12ihipStream_tbENKUlT_T0_E_clISt17integral_constantIbLb0EES13_EEDaSY_SZ_EUlSY_E_NS1_11comp_targetILNS1_3genE9ELNS1_11target_archE1100ELNS1_3gpuE3ELNS1_3repE0EEENS1_30default_config_static_selectorELNS0_4arch9wavefront6targetE1EEEvT1_: ; @_ZN7rocprim17ROCPRIM_400000_NS6detail17trampoline_kernelINS0_14default_configENS1_27scan_by_key_config_selectorIj11FixedVectorIiLj2EEEEZZNS1_16scan_by_key_implILNS1_25lookback_scan_determinismE0ELb1ES3_N6thrust23THRUST_200600_302600_NS6detail15normal_iteratorINSB_10device_ptrIjEEEENSD_INSE_IS6_EEEESI_S6_NSB_4plusIvEENSB_8equal_toIvEES6_EE10hipError_tPvRmT2_T3_T4_T5_mT6_T7_P12ihipStream_tbENKUlT_T0_E_clISt17integral_constantIbLb0EES13_EEDaSY_SZ_EUlSY_E_NS1_11comp_targetILNS1_3genE9ELNS1_11target_archE1100ELNS1_3gpuE3ELNS1_3repE0EEENS1_30default_config_static_selectorELNS0_4arch9wavefront6targetE1EEEvT1_
; %bb.0:
	.section	.rodata,"a",@progbits
	.p2align	6, 0x0
	.amdhsa_kernel _ZN7rocprim17ROCPRIM_400000_NS6detail17trampoline_kernelINS0_14default_configENS1_27scan_by_key_config_selectorIj11FixedVectorIiLj2EEEEZZNS1_16scan_by_key_implILNS1_25lookback_scan_determinismE0ELb1ES3_N6thrust23THRUST_200600_302600_NS6detail15normal_iteratorINSB_10device_ptrIjEEEENSD_INSE_IS6_EEEESI_S6_NSB_4plusIvEENSB_8equal_toIvEES6_EE10hipError_tPvRmT2_T3_T4_T5_mT6_T7_P12ihipStream_tbENKUlT_T0_E_clISt17integral_constantIbLb0EES13_EEDaSY_SZ_EUlSY_E_NS1_11comp_targetILNS1_3genE9ELNS1_11target_archE1100ELNS1_3gpuE3ELNS1_3repE0EEENS1_30default_config_static_selectorELNS0_4arch9wavefront6targetE1EEEvT1_
		.amdhsa_group_segment_fixed_size 0
		.amdhsa_private_segment_fixed_size 0
		.amdhsa_kernarg_size 120
		.amdhsa_user_sgpr_count 2
		.amdhsa_user_sgpr_dispatch_ptr 0
		.amdhsa_user_sgpr_queue_ptr 0
		.amdhsa_user_sgpr_kernarg_segment_ptr 1
		.amdhsa_user_sgpr_dispatch_id 0
		.amdhsa_user_sgpr_kernarg_preload_length 0
		.amdhsa_user_sgpr_kernarg_preload_offset 0
		.amdhsa_user_sgpr_private_segment_size 0
		.amdhsa_uses_dynamic_stack 0
		.amdhsa_enable_private_segment 0
		.amdhsa_system_sgpr_workgroup_id_x 1
		.amdhsa_system_sgpr_workgroup_id_y 0
		.amdhsa_system_sgpr_workgroup_id_z 0
		.amdhsa_system_sgpr_workgroup_info 0
		.amdhsa_system_vgpr_workitem_id 0
		.amdhsa_next_free_vgpr 1
		.amdhsa_next_free_sgpr 0
		.amdhsa_accum_offset 4
		.amdhsa_reserve_vcc 0
		.amdhsa_float_round_mode_32 0
		.amdhsa_float_round_mode_16_64 0
		.amdhsa_float_denorm_mode_32 3
		.amdhsa_float_denorm_mode_16_64 3
		.amdhsa_dx10_clamp 1
		.amdhsa_ieee_mode 1
		.amdhsa_fp16_overflow 0
		.amdhsa_tg_split 0
		.amdhsa_exception_fp_ieee_invalid_op 0
		.amdhsa_exception_fp_denorm_src 0
		.amdhsa_exception_fp_ieee_div_zero 0
		.amdhsa_exception_fp_ieee_overflow 0
		.amdhsa_exception_fp_ieee_underflow 0
		.amdhsa_exception_fp_ieee_inexact 0
		.amdhsa_exception_int_div_zero 0
	.end_amdhsa_kernel
	.section	.text._ZN7rocprim17ROCPRIM_400000_NS6detail17trampoline_kernelINS0_14default_configENS1_27scan_by_key_config_selectorIj11FixedVectorIiLj2EEEEZZNS1_16scan_by_key_implILNS1_25lookback_scan_determinismE0ELb1ES3_N6thrust23THRUST_200600_302600_NS6detail15normal_iteratorINSB_10device_ptrIjEEEENSD_INSE_IS6_EEEESI_S6_NSB_4plusIvEENSB_8equal_toIvEES6_EE10hipError_tPvRmT2_T3_T4_T5_mT6_T7_P12ihipStream_tbENKUlT_T0_E_clISt17integral_constantIbLb0EES13_EEDaSY_SZ_EUlSY_E_NS1_11comp_targetILNS1_3genE9ELNS1_11target_archE1100ELNS1_3gpuE3ELNS1_3repE0EEENS1_30default_config_static_selectorELNS0_4arch9wavefront6targetE1EEEvT1_,"axG",@progbits,_ZN7rocprim17ROCPRIM_400000_NS6detail17trampoline_kernelINS0_14default_configENS1_27scan_by_key_config_selectorIj11FixedVectorIiLj2EEEEZZNS1_16scan_by_key_implILNS1_25lookback_scan_determinismE0ELb1ES3_N6thrust23THRUST_200600_302600_NS6detail15normal_iteratorINSB_10device_ptrIjEEEENSD_INSE_IS6_EEEESI_S6_NSB_4plusIvEENSB_8equal_toIvEES6_EE10hipError_tPvRmT2_T3_T4_T5_mT6_T7_P12ihipStream_tbENKUlT_T0_E_clISt17integral_constantIbLb0EES13_EEDaSY_SZ_EUlSY_E_NS1_11comp_targetILNS1_3genE9ELNS1_11target_archE1100ELNS1_3gpuE3ELNS1_3repE0EEENS1_30default_config_static_selectorELNS0_4arch9wavefront6targetE1EEEvT1_,comdat
.Lfunc_end2000:
	.size	_ZN7rocprim17ROCPRIM_400000_NS6detail17trampoline_kernelINS0_14default_configENS1_27scan_by_key_config_selectorIj11FixedVectorIiLj2EEEEZZNS1_16scan_by_key_implILNS1_25lookback_scan_determinismE0ELb1ES3_N6thrust23THRUST_200600_302600_NS6detail15normal_iteratorINSB_10device_ptrIjEEEENSD_INSE_IS6_EEEESI_S6_NSB_4plusIvEENSB_8equal_toIvEES6_EE10hipError_tPvRmT2_T3_T4_T5_mT6_T7_P12ihipStream_tbENKUlT_T0_E_clISt17integral_constantIbLb0EES13_EEDaSY_SZ_EUlSY_E_NS1_11comp_targetILNS1_3genE9ELNS1_11target_archE1100ELNS1_3gpuE3ELNS1_3repE0EEENS1_30default_config_static_selectorELNS0_4arch9wavefront6targetE1EEEvT1_, .Lfunc_end2000-_ZN7rocprim17ROCPRIM_400000_NS6detail17trampoline_kernelINS0_14default_configENS1_27scan_by_key_config_selectorIj11FixedVectorIiLj2EEEEZZNS1_16scan_by_key_implILNS1_25lookback_scan_determinismE0ELb1ES3_N6thrust23THRUST_200600_302600_NS6detail15normal_iteratorINSB_10device_ptrIjEEEENSD_INSE_IS6_EEEESI_S6_NSB_4plusIvEENSB_8equal_toIvEES6_EE10hipError_tPvRmT2_T3_T4_T5_mT6_T7_P12ihipStream_tbENKUlT_T0_E_clISt17integral_constantIbLb0EES13_EEDaSY_SZ_EUlSY_E_NS1_11comp_targetILNS1_3genE9ELNS1_11target_archE1100ELNS1_3gpuE3ELNS1_3repE0EEENS1_30default_config_static_selectorELNS0_4arch9wavefront6targetE1EEEvT1_
                                        ; -- End function
	.section	.AMDGPU.csdata,"",@progbits
; Kernel info:
; codeLenInByte = 0
; NumSgprs: 6
; NumVgprs: 0
; NumAgprs: 0
; TotalNumVgprs: 0
; ScratchSize: 0
; MemoryBound: 0
; FloatMode: 240
; IeeeMode: 1
; LDSByteSize: 0 bytes/workgroup (compile time only)
; SGPRBlocks: 0
; VGPRBlocks: 0
; NumSGPRsForWavesPerEU: 6
; NumVGPRsForWavesPerEU: 1
; AccumOffset: 4
; Occupancy: 8
; WaveLimiterHint : 0
; COMPUTE_PGM_RSRC2:SCRATCH_EN: 0
; COMPUTE_PGM_RSRC2:USER_SGPR: 2
; COMPUTE_PGM_RSRC2:TRAP_HANDLER: 0
; COMPUTE_PGM_RSRC2:TGID_X_EN: 1
; COMPUTE_PGM_RSRC2:TGID_Y_EN: 0
; COMPUTE_PGM_RSRC2:TGID_Z_EN: 0
; COMPUTE_PGM_RSRC2:TIDIG_COMP_CNT: 0
; COMPUTE_PGM_RSRC3_GFX90A:ACCUM_OFFSET: 0
; COMPUTE_PGM_RSRC3_GFX90A:TG_SPLIT: 0
	.section	.text._ZN7rocprim17ROCPRIM_400000_NS6detail17trampoline_kernelINS0_14default_configENS1_27scan_by_key_config_selectorIj11FixedVectorIiLj2EEEEZZNS1_16scan_by_key_implILNS1_25lookback_scan_determinismE0ELb1ES3_N6thrust23THRUST_200600_302600_NS6detail15normal_iteratorINSB_10device_ptrIjEEEENSD_INSE_IS6_EEEESI_S6_NSB_4plusIvEENSB_8equal_toIvEES6_EE10hipError_tPvRmT2_T3_T4_T5_mT6_T7_P12ihipStream_tbENKUlT_T0_E_clISt17integral_constantIbLb0EES13_EEDaSY_SZ_EUlSY_E_NS1_11comp_targetILNS1_3genE8ELNS1_11target_archE1030ELNS1_3gpuE2ELNS1_3repE0EEENS1_30default_config_static_selectorELNS0_4arch9wavefront6targetE1EEEvT1_,"axG",@progbits,_ZN7rocprim17ROCPRIM_400000_NS6detail17trampoline_kernelINS0_14default_configENS1_27scan_by_key_config_selectorIj11FixedVectorIiLj2EEEEZZNS1_16scan_by_key_implILNS1_25lookback_scan_determinismE0ELb1ES3_N6thrust23THRUST_200600_302600_NS6detail15normal_iteratorINSB_10device_ptrIjEEEENSD_INSE_IS6_EEEESI_S6_NSB_4plusIvEENSB_8equal_toIvEES6_EE10hipError_tPvRmT2_T3_T4_T5_mT6_T7_P12ihipStream_tbENKUlT_T0_E_clISt17integral_constantIbLb0EES13_EEDaSY_SZ_EUlSY_E_NS1_11comp_targetILNS1_3genE8ELNS1_11target_archE1030ELNS1_3gpuE2ELNS1_3repE0EEENS1_30default_config_static_selectorELNS0_4arch9wavefront6targetE1EEEvT1_,comdat
	.protected	_ZN7rocprim17ROCPRIM_400000_NS6detail17trampoline_kernelINS0_14default_configENS1_27scan_by_key_config_selectorIj11FixedVectorIiLj2EEEEZZNS1_16scan_by_key_implILNS1_25lookback_scan_determinismE0ELb1ES3_N6thrust23THRUST_200600_302600_NS6detail15normal_iteratorINSB_10device_ptrIjEEEENSD_INSE_IS6_EEEESI_S6_NSB_4plusIvEENSB_8equal_toIvEES6_EE10hipError_tPvRmT2_T3_T4_T5_mT6_T7_P12ihipStream_tbENKUlT_T0_E_clISt17integral_constantIbLb0EES13_EEDaSY_SZ_EUlSY_E_NS1_11comp_targetILNS1_3genE8ELNS1_11target_archE1030ELNS1_3gpuE2ELNS1_3repE0EEENS1_30default_config_static_selectorELNS0_4arch9wavefront6targetE1EEEvT1_ ; -- Begin function _ZN7rocprim17ROCPRIM_400000_NS6detail17trampoline_kernelINS0_14default_configENS1_27scan_by_key_config_selectorIj11FixedVectorIiLj2EEEEZZNS1_16scan_by_key_implILNS1_25lookback_scan_determinismE0ELb1ES3_N6thrust23THRUST_200600_302600_NS6detail15normal_iteratorINSB_10device_ptrIjEEEENSD_INSE_IS6_EEEESI_S6_NSB_4plusIvEENSB_8equal_toIvEES6_EE10hipError_tPvRmT2_T3_T4_T5_mT6_T7_P12ihipStream_tbENKUlT_T0_E_clISt17integral_constantIbLb0EES13_EEDaSY_SZ_EUlSY_E_NS1_11comp_targetILNS1_3genE8ELNS1_11target_archE1030ELNS1_3gpuE2ELNS1_3repE0EEENS1_30default_config_static_selectorELNS0_4arch9wavefront6targetE1EEEvT1_
	.globl	_ZN7rocprim17ROCPRIM_400000_NS6detail17trampoline_kernelINS0_14default_configENS1_27scan_by_key_config_selectorIj11FixedVectorIiLj2EEEEZZNS1_16scan_by_key_implILNS1_25lookback_scan_determinismE0ELb1ES3_N6thrust23THRUST_200600_302600_NS6detail15normal_iteratorINSB_10device_ptrIjEEEENSD_INSE_IS6_EEEESI_S6_NSB_4plusIvEENSB_8equal_toIvEES6_EE10hipError_tPvRmT2_T3_T4_T5_mT6_T7_P12ihipStream_tbENKUlT_T0_E_clISt17integral_constantIbLb0EES13_EEDaSY_SZ_EUlSY_E_NS1_11comp_targetILNS1_3genE8ELNS1_11target_archE1030ELNS1_3gpuE2ELNS1_3repE0EEENS1_30default_config_static_selectorELNS0_4arch9wavefront6targetE1EEEvT1_
	.p2align	8
	.type	_ZN7rocprim17ROCPRIM_400000_NS6detail17trampoline_kernelINS0_14default_configENS1_27scan_by_key_config_selectorIj11FixedVectorIiLj2EEEEZZNS1_16scan_by_key_implILNS1_25lookback_scan_determinismE0ELb1ES3_N6thrust23THRUST_200600_302600_NS6detail15normal_iteratorINSB_10device_ptrIjEEEENSD_INSE_IS6_EEEESI_S6_NSB_4plusIvEENSB_8equal_toIvEES6_EE10hipError_tPvRmT2_T3_T4_T5_mT6_T7_P12ihipStream_tbENKUlT_T0_E_clISt17integral_constantIbLb0EES13_EEDaSY_SZ_EUlSY_E_NS1_11comp_targetILNS1_3genE8ELNS1_11target_archE1030ELNS1_3gpuE2ELNS1_3repE0EEENS1_30default_config_static_selectorELNS0_4arch9wavefront6targetE1EEEvT1_,@function
_ZN7rocprim17ROCPRIM_400000_NS6detail17trampoline_kernelINS0_14default_configENS1_27scan_by_key_config_selectorIj11FixedVectorIiLj2EEEEZZNS1_16scan_by_key_implILNS1_25lookback_scan_determinismE0ELb1ES3_N6thrust23THRUST_200600_302600_NS6detail15normal_iteratorINSB_10device_ptrIjEEEENSD_INSE_IS6_EEEESI_S6_NSB_4plusIvEENSB_8equal_toIvEES6_EE10hipError_tPvRmT2_T3_T4_T5_mT6_T7_P12ihipStream_tbENKUlT_T0_E_clISt17integral_constantIbLb0EES13_EEDaSY_SZ_EUlSY_E_NS1_11comp_targetILNS1_3genE8ELNS1_11target_archE1030ELNS1_3gpuE2ELNS1_3repE0EEENS1_30default_config_static_selectorELNS0_4arch9wavefront6targetE1EEEvT1_: ; @_ZN7rocprim17ROCPRIM_400000_NS6detail17trampoline_kernelINS0_14default_configENS1_27scan_by_key_config_selectorIj11FixedVectorIiLj2EEEEZZNS1_16scan_by_key_implILNS1_25lookback_scan_determinismE0ELb1ES3_N6thrust23THRUST_200600_302600_NS6detail15normal_iteratorINSB_10device_ptrIjEEEENSD_INSE_IS6_EEEESI_S6_NSB_4plusIvEENSB_8equal_toIvEES6_EE10hipError_tPvRmT2_T3_T4_T5_mT6_T7_P12ihipStream_tbENKUlT_T0_E_clISt17integral_constantIbLb0EES13_EEDaSY_SZ_EUlSY_E_NS1_11comp_targetILNS1_3genE8ELNS1_11target_archE1030ELNS1_3gpuE2ELNS1_3repE0EEENS1_30default_config_static_selectorELNS0_4arch9wavefront6targetE1EEEvT1_
; %bb.0:
	.section	.rodata,"a",@progbits
	.p2align	6, 0x0
	.amdhsa_kernel _ZN7rocprim17ROCPRIM_400000_NS6detail17trampoline_kernelINS0_14default_configENS1_27scan_by_key_config_selectorIj11FixedVectorIiLj2EEEEZZNS1_16scan_by_key_implILNS1_25lookback_scan_determinismE0ELb1ES3_N6thrust23THRUST_200600_302600_NS6detail15normal_iteratorINSB_10device_ptrIjEEEENSD_INSE_IS6_EEEESI_S6_NSB_4plusIvEENSB_8equal_toIvEES6_EE10hipError_tPvRmT2_T3_T4_T5_mT6_T7_P12ihipStream_tbENKUlT_T0_E_clISt17integral_constantIbLb0EES13_EEDaSY_SZ_EUlSY_E_NS1_11comp_targetILNS1_3genE8ELNS1_11target_archE1030ELNS1_3gpuE2ELNS1_3repE0EEENS1_30default_config_static_selectorELNS0_4arch9wavefront6targetE1EEEvT1_
		.amdhsa_group_segment_fixed_size 0
		.amdhsa_private_segment_fixed_size 0
		.amdhsa_kernarg_size 120
		.amdhsa_user_sgpr_count 2
		.amdhsa_user_sgpr_dispatch_ptr 0
		.amdhsa_user_sgpr_queue_ptr 0
		.amdhsa_user_sgpr_kernarg_segment_ptr 1
		.amdhsa_user_sgpr_dispatch_id 0
		.amdhsa_user_sgpr_kernarg_preload_length 0
		.amdhsa_user_sgpr_kernarg_preload_offset 0
		.amdhsa_user_sgpr_private_segment_size 0
		.amdhsa_uses_dynamic_stack 0
		.amdhsa_enable_private_segment 0
		.amdhsa_system_sgpr_workgroup_id_x 1
		.amdhsa_system_sgpr_workgroup_id_y 0
		.amdhsa_system_sgpr_workgroup_id_z 0
		.amdhsa_system_sgpr_workgroup_info 0
		.amdhsa_system_vgpr_workitem_id 0
		.amdhsa_next_free_vgpr 1
		.amdhsa_next_free_sgpr 0
		.amdhsa_accum_offset 4
		.amdhsa_reserve_vcc 0
		.amdhsa_float_round_mode_32 0
		.amdhsa_float_round_mode_16_64 0
		.amdhsa_float_denorm_mode_32 3
		.amdhsa_float_denorm_mode_16_64 3
		.amdhsa_dx10_clamp 1
		.amdhsa_ieee_mode 1
		.amdhsa_fp16_overflow 0
		.amdhsa_tg_split 0
		.amdhsa_exception_fp_ieee_invalid_op 0
		.amdhsa_exception_fp_denorm_src 0
		.amdhsa_exception_fp_ieee_div_zero 0
		.amdhsa_exception_fp_ieee_overflow 0
		.amdhsa_exception_fp_ieee_underflow 0
		.amdhsa_exception_fp_ieee_inexact 0
		.amdhsa_exception_int_div_zero 0
	.end_amdhsa_kernel
	.section	.text._ZN7rocprim17ROCPRIM_400000_NS6detail17trampoline_kernelINS0_14default_configENS1_27scan_by_key_config_selectorIj11FixedVectorIiLj2EEEEZZNS1_16scan_by_key_implILNS1_25lookback_scan_determinismE0ELb1ES3_N6thrust23THRUST_200600_302600_NS6detail15normal_iteratorINSB_10device_ptrIjEEEENSD_INSE_IS6_EEEESI_S6_NSB_4plusIvEENSB_8equal_toIvEES6_EE10hipError_tPvRmT2_T3_T4_T5_mT6_T7_P12ihipStream_tbENKUlT_T0_E_clISt17integral_constantIbLb0EES13_EEDaSY_SZ_EUlSY_E_NS1_11comp_targetILNS1_3genE8ELNS1_11target_archE1030ELNS1_3gpuE2ELNS1_3repE0EEENS1_30default_config_static_selectorELNS0_4arch9wavefront6targetE1EEEvT1_,"axG",@progbits,_ZN7rocprim17ROCPRIM_400000_NS6detail17trampoline_kernelINS0_14default_configENS1_27scan_by_key_config_selectorIj11FixedVectorIiLj2EEEEZZNS1_16scan_by_key_implILNS1_25lookback_scan_determinismE0ELb1ES3_N6thrust23THRUST_200600_302600_NS6detail15normal_iteratorINSB_10device_ptrIjEEEENSD_INSE_IS6_EEEESI_S6_NSB_4plusIvEENSB_8equal_toIvEES6_EE10hipError_tPvRmT2_T3_T4_T5_mT6_T7_P12ihipStream_tbENKUlT_T0_E_clISt17integral_constantIbLb0EES13_EEDaSY_SZ_EUlSY_E_NS1_11comp_targetILNS1_3genE8ELNS1_11target_archE1030ELNS1_3gpuE2ELNS1_3repE0EEENS1_30default_config_static_selectorELNS0_4arch9wavefront6targetE1EEEvT1_,comdat
.Lfunc_end2001:
	.size	_ZN7rocprim17ROCPRIM_400000_NS6detail17trampoline_kernelINS0_14default_configENS1_27scan_by_key_config_selectorIj11FixedVectorIiLj2EEEEZZNS1_16scan_by_key_implILNS1_25lookback_scan_determinismE0ELb1ES3_N6thrust23THRUST_200600_302600_NS6detail15normal_iteratorINSB_10device_ptrIjEEEENSD_INSE_IS6_EEEESI_S6_NSB_4plusIvEENSB_8equal_toIvEES6_EE10hipError_tPvRmT2_T3_T4_T5_mT6_T7_P12ihipStream_tbENKUlT_T0_E_clISt17integral_constantIbLb0EES13_EEDaSY_SZ_EUlSY_E_NS1_11comp_targetILNS1_3genE8ELNS1_11target_archE1030ELNS1_3gpuE2ELNS1_3repE0EEENS1_30default_config_static_selectorELNS0_4arch9wavefront6targetE1EEEvT1_, .Lfunc_end2001-_ZN7rocprim17ROCPRIM_400000_NS6detail17trampoline_kernelINS0_14default_configENS1_27scan_by_key_config_selectorIj11FixedVectorIiLj2EEEEZZNS1_16scan_by_key_implILNS1_25lookback_scan_determinismE0ELb1ES3_N6thrust23THRUST_200600_302600_NS6detail15normal_iteratorINSB_10device_ptrIjEEEENSD_INSE_IS6_EEEESI_S6_NSB_4plusIvEENSB_8equal_toIvEES6_EE10hipError_tPvRmT2_T3_T4_T5_mT6_T7_P12ihipStream_tbENKUlT_T0_E_clISt17integral_constantIbLb0EES13_EEDaSY_SZ_EUlSY_E_NS1_11comp_targetILNS1_3genE8ELNS1_11target_archE1030ELNS1_3gpuE2ELNS1_3repE0EEENS1_30default_config_static_selectorELNS0_4arch9wavefront6targetE1EEEvT1_
                                        ; -- End function
	.section	.AMDGPU.csdata,"",@progbits
; Kernel info:
; codeLenInByte = 0
; NumSgprs: 6
; NumVgprs: 0
; NumAgprs: 0
; TotalNumVgprs: 0
; ScratchSize: 0
; MemoryBound: 0
; FloatMode: 240
; IeeeMode: 1
; LDSByteSize: 0 bytes/workgroup (compile time only)
; SGPRBlocks: 0
; VGPRBlocks: 0
; NumSGPRsForWavesPerEU: 6
; NumVGPRsForWavesPerEU: 1
; AccumOffset: 4
; Occupancy: 8
; WaveLimiterHint : 0
; COMPUTE_PGM_RSRC2:SCRATCH_EN: 0
; COMPUTE_PGM_RSRC2:USER_SGPR: 2
; COMPUTE_PGM_RSRC2:TRAP_HANDLER: 0
; COMPUTE_PGM_RSRC2:TGID_X_EN: 1
; COMPUTE_PGM_RSRC2:TGID_Y_EN: 0
; COMPUTE_PGM_RSRC2:TGID_Z_EN: 0
; COMPUTE_PGM_RSRC2:TIDIG_COMP_CNT: 0
; COMPUTE_PGM_RSRC3_GFX90A:ACCUM_OFFSET: 0
; COMPUTE_PGM_RSRC3_GFX90A:TG_SPLIT: 0
	.section	.text._ZN7rocprim17ROCPRIM_400000_NS6detail17trampoline_kernelINS0_14default_configENS1_27scan_by_key_config_selectorIj11FixedVectorIiLj2EEEEZZNS1_16scan_by_key_implILNS1_25lookback_scan_determinismE0ELb1ES3_N6thrust23THRUST_200600_302600_NS6detail15normal_iteratorINSB_10device_ptrIjEEEENSD_INSE_IS6_EEEESI_S6_NSB_4plusIvEENSB_8equal_toIvEES6_EE10hipError_tPvRmT2_T3_T4_T5_mT6_T7_P12ihipStream_tbENKUlT_T0_E_clISt17integral_constantIbLb1EES13_EEDaSY_SZ_EUlSY_E_NS1_11comp_targetILNS1_3genE0ELNS1_11target_archE4294967295ELNS1_3gpuE0ELNS1_3repE0EEENS1_30default_config_static_selectorELNS0_4arch9wavefront6targetE1EEEvT1_,"axG",@progbits,_ZN7rocprim17ROCPRIM_400000_NS6detail17trampoline_kernelINS0_14default_configENS1_27scan_by_key_config_selectorIj11FixedVectorIiLj2EEEEZZNS1_16scan_by_key_implILNS1_25lookback_scan_determinismE0ELb1ES3_N6thrust23THRUST_200600_302600_NS6detail15normal_iteratorINSB_10device_ptrIjEEEENSD_INSE_IS6_EEEESI_S6_NSB_4plusIvEENSB_8equal_toIvEES6_EE10hipError_tPvRmT2_T3_T4_T5_mT6_T7_P12ihipStream_tbENKUlT_T0_E_clISt17integral_constantIbLb1EES13_EEDaSY_SZ_EUlSY_E_NS1_11comp_targetILNS1_3genE0ELNS1_11target_archE4294967295ELNS1_3gpuE0ELNS1_3repE0EEENS1_30default_config_static_selectorELNS0_4arch9wavefront6targetE1EEEvT1_,comdat
	.protected	_ZN7rocprim17ROCPRIM_400000_NS6detail17trampoline_kernelINS0_14default_configENS1_27scan_by_key_config_selectorIj11FixedVectorIiLj2EEEEZZNS1_16scan_by_key_implILNS1_25lookback_scan_determinismE0ELb1ES3_N6thrust23THRUST_200600_302600_NS6detail15normal_iteratorINSB_10device_ptrIjEEEENSD_INSE_IS6_EEEESI_S6_NSB_4plusIvEENSB_8equal_toIvEES6_EE10hipError_tPvRmT2_T3_T4_T5_mT6_T7_P12ihipStream_tbENKUlT_T0_E_clISt17integral_constantIbLb1EES13_EEDaSY_SZ_EUlSY_E_NS1_11comp_targetILNS1_3genE0ELNS1_11target_archE4294967295ELNS1_3gpuE0ELNS1_3repE0EEENS1_30default_config_static_selectorELNS0_4arch9wavefront6targetE1EEEvT1_ ; -- Begin function _ZN7rocprim17ROCPRIM_400000_NS6detail17trampoline_kernelINS0_14default_configENS1_27scan_by_key_config_selectorIj11FixedVectorIiLj2EEEEZZNS1_16scan_by_key_implILNS1_25lookback_scan_determinismE0ELb1ES3_N6thrust23THRUST_200600_302600_NS6detail15normal_iteratorINSB_10device_ptrIjEEEENSD_INSE_IS6_EEEESI_S6_NSB_4plusIvEENSB_8equal_toIvEES6_EE10hipError_tPvRmT2_T3_T4_T5_mT6_T7_P12ihipStream_tbENKUlT_T0_E_clISt17integral_constantIbLb1EES13_EEDaSY_SZ_EUlSY_E_NS1_11comp_targetILNS1_3genE0ELNS1_11target_archE4294967295ELNS1_3gpuE0ELNS1_3repE0EEENS1_30default_config_static_selectorELNS0_4arch9wavefront6targetE1EEEvT1_
	.globl	_ZN7rocprim17ROCPRIM_400000_NS6detail17trampoline_kernelINS0_14default_configENS1_27scan_by_key_config_selectorIj11FixedVectorIiLj2EEEEZZNS1_16scan_by_key_implILNS1_25lookback_scan_determinismE0ELb1ES3_N6thrust23THRUST_200600_302600_NS6detail15normal_iteratorINSB_10device_ptrIjEEEENSD_INSE_IS6_EEEESI_S6_NSB_4plusIvEENSB_8equal_toIvEES6_EE10hipError_tPvRmT2_T3_T4_T5_mT6_T7_P12ihipStream_tbENKUlT_T0_E_clISt17integral_constantIbLb1EES13_EEDaSY_SZ_EUlSY_E_NS1_11comp_targetILNS1_3genE0ELNS1_11target_archE4294967295ELNS1_3gpuE0ELNS1_3repE0EEENS1_30default_config_static_selectorELNS0_4arch9wavefront6targetE1EEEvT1_
	.p2align	8
	.type	_ZN7rocprim17ROCPRIM_400000_NS6detail17trampoline_kernelINS0_14default_configENS1_27scan_by_key_config_selectorIj11FixedVectorIiLj2EEEEZZNS1_16scan_by_key_implILNS1_25lookback_scan_determinismE0ELb1ES3_N6thrust23THRUST_200600_302600_NS6detail15normal_iteratorINSB_10device_ptrIjEEEENSD_INSE_IS6_EEEESI_S6_NSB_4plusIvEENSB_8equal_toIvEES6_EE10hipError_tPvRmT2_T3_T4_T5_mT6_T7_P12ihipStream_tbENKUlT_T0_E_clISt17integral_constantIbLb1EES13_EEDaSY_SZ_EUlSY_E_NS1_11comp_targetILNS1_3genE0ELNS1_11target_archE4294967295ELNS1_3gpuE0ELNS1_3repE0EEENS1_30default_config_static_selectorELNS0_4arch9wavefront6targetE1EEEvT1_,@function
_ZN7rocprim17ROCPRIM_400000_NS6detail17trampoline_kernelINS0_14default_configENS1_27scan_by_key_config_selectorIj11FixedVectorIiLj2EEEEZZNS1_16scan_by_key_implILNS1_25lookback_scan_determinismE0ELb1ES3_N6thrust23THRUST_200600_302600_NS6detail15normal_iteratorINSB_10device_ptrIjEEEENSD_INSE_IS6_EEEESI_S6_NSB_4plusIvEENSB_8equal_toIvEES6_EE10hipError_tPvRmT2_T3_T4_T5_mT6_T7_P12ihipStream_tbENKUlT_T0_E_clISt17integral_constantIbLb1EES13_EEDaSY_SZ_EUlSY_E_NS1_11comp_targetILNS1_3genE0ELNS1_11target_archE4294967295ELNS1_3gpuE0ELNS1_3repE0EEENS1_30default_config_static_selectorELNS0_4arch9wavefront6targetE1EEEvT1_: ; @_ZN7rocprim17ROCPRIM_400000_NS6detail17trampoline_kernelINS0_14default_configENS1_27scan_by_key_config_selectorIj11FixedVectorIiLj2EEEEZZNS1_16scan_by_key_implILNS1_25lookback_scan_determinismE0ELb1ES3_N6thrust23THRUST_200600_302600_NS6detail15normal_iteratorINSB_10device_ptrIjEEEENSD_INSE_IS6_EEEESI_S6_NSB_4plusIvEENSB_8equal_toIvEES6_EE10hipError_tPvRmT2_T3_T4_T5_mT6_T7_P12ihipStream_tbENKUlT_T0_E_clISt17integral_constantIbLb1EES13_EEDaSY_SZ_EUlSY_E_NS1_11comp_targetILNS1_3genE0ELNS1_11target_archE4294967295ELNS1_3gpuE0ELNS1_3repE0EEENS1_30default_config_static_selectorELNS0_4arch9wavefront6targetE1EEEvT1_
; %bb.0:
	.section	.rodata,"a",@progbits
	.p2align	6, 0x0
	.amdhsa_kernel _ZN7rocprim17ROCPRIM_400000_NS6detail17trampoline_kernelINS0_14default_configENS1_27scan_by_key_config_selectorIj11FixedVectorIiLj2EEEEZZNS1_16scan_by_key_implILNS1_25lookback_scan_determinismE0ELb1ES3_N6thrust23THRUST_200600_302600_NS6detail15normal_iteratorINSB_10device_ptrIjEEEENSD_INSE_IS6_EEEESI_S6_NSB_4plusIvEENSB_8equal_toIvEES6_EE10hipError_tPvRmT2_T3_T4_T5_mT6_T7_P12ihipStream_tbENKUlT_T0_E_clISt17integral_constantIbLb1EES13_EEDaSY_SZ_EUlSY_E_NS1_11comp_targetILNS1_3genE0ELNS1_11target_archE4294967295ELNS1_3gpuE0ELNS1_3repE0EEENS1_30default_config_static_selectorELNS0_4arch9wavefront6targetE1EEEvT1_
		.amdhsa_group_segment_fixed_size 0
		.amdhsa_private_segment_fixed_size 0
		.amdhsa_kernarg_size 120
		.amdhsa_user_sgpr_count 2
		.amdhsa_user_sgpr_dispatch_ptr 0
		.amdhsa_user_sgpr_queue_ptr 0
		.amdhsa_user_sgpr_kernarg_segment_ptr 1
		.amdhsa_user_sgpr_dispatch_id 0
		.amdhsa_user_sgpr_kernarg_preload_length 0
		.amdhsa_user_sgpr_kernarg_preload_offset 0
		.amdhsa_user_sgpr_private_segment_size 0
		.amdhsa_uses_dynamic_stack 0
		.amdhsa_enable_private_segment 0
		.amdhsa_system_sgpr_workgroup_id_x 1
		.amdhsa_system_sgpr_workgroup_id_y 0
		.amdhsa_system_sgpr_workgroup_id_z 0
		.amdhsa_system_sgpr_workgroup_info 0
		.amdhsa_system_vgpr_workitem_id 0
		.amdhsa_next_free_vgpr 1
		.amdhsa_next_free_sgpr 0
		.amdhsa_accum_offset 4
		.amdhsa_reserve_vcc 0
		.amdhsa_float_round_mode_32 0
		.amdhsa_float_round_mode_16_64 0
		.amdhsa_float_denorm_mode_32 3
		.amdhsa_float_denorm_mode_16_64 3
		.amdhsa_dx10_clamp 1
		.amdhsa_ieee_mode 1
		.amdhsa_fp16_overflow 0
		.amdhsa_tg_split 0
		.amdhsa_exception_fp_ieee_invalid_op 0
		.amdhsa_exception_fp_denorm_src 0
		.amdhsa_exception_fp_ieee_div_zero 0
		.amdhsa_exception_fp_ieee_overflow 0
		.amdhsa_exception_fp_ieee_underflow 0
		.amdhsa_exception_fp_ieee_inexact 0
		.amdhsa_exception_int_div_zero 0
	.end_amdhsa_kernel
	.section	.text._ZN7rocprim17ROCPRIM_400000_NS6detail17trampoline_kernelINS0_14default_configENS1_27scan_by_key_config_selectorIj11FixedVectorIiLj2EEEEZZNS1_16scan_by_key_implILNS1_25lookback_scan_determinismE0ELb1ES3_N6thrust23THRUST_200600_302600_NS6detail15normal_iteratorINSB_10device_ptrIjEEEENSD_INSE_IS6_EEEESI_S6_NSB_4plusIvEENSB_8equal_toIvEES6_EE10hipError_tPvRmT2_T3_T4_T5_mT6_T7_P12ihipStream_tbENKUlT_T0_E_clISt17integral_constantIbLb1EES13_EEDaSY_SZ_EUlSY_E_NS1_11comp_targetILNS1_3genE0ELNS1_11target_archE4294967295ELNS1_3gpuE0ELNS1_3repE0EEENS1_30default_config_static_selectorELNS0_4arch9wavefront6targetE1EEEvT1_,"axG",@progbits,_ZN7rocprim17ROCPRIM_400000_NS6detail17trampoline_kernelINS0_14default_configENS1_27scan_by_key_config_selectorIj11FixedVectorIiLj2EEEEZZNS1_16scan_by_key_implILNS1_25lookback_scan_determinismE0ELb1ES3_N6thrust23THRUST_200600_302600_NS6detail15normal_iteratorINSB_10device_ptrIjEEEENSD_INSE_IS6_EEEESI_S6_NSB_4plusIvEENSB_8equal_toIvEES6_EE10hipError_tPvRmT2_T3_T4_T5_mT6_T7_P12ihipStream_tbENKUlT_T0_E_clISt17integral_constantIbLb1EES13_EEDaSY_SZ_EUlSY_E_NS1_11comp_targetILNS1_3genE0ELNS1_11target_archE4294967295ELNS1_3gpuE0ELNS1_3repE0EEENS1_30default_config_static_selectorELNS0_4arch9wavefront6targetE1EEEvT1_,comdat
.Lfunc_end2002:
	.size	_ZN7rocprim17ROCPRIM_400000_NS6detail17trampoline_kernelINS0_14default_configENS1_27scan_by_key_config_selectorIj11FixedVectorIiLj2EEEEZZNS1_16scan_by_key_implILNS1_25lookback_scan_determinismE0ELb1ES3_N6thrust23THRUST_200600_302600_NS6detail15normal_iteratorINSB_10device_ptrIjEEEENSD_INSE_IS6_EEEESI_S6_NSB_4plusIvEENSB_8equal_toIvEES6_EE10hipError_tPvRmT2_T3_T4_T5_mT6_T7_P12ihipStream_tbENKUlT_T0_E_clISt17integral_constantIbLb1EES13_EEDaSY_SZ_EUlSY_E_NS1_11comp_targetILNS1_3genE0ELNS1_11target_archE4294967295ELNS1_3gpuE0ELNS1_3repE0EEENS1_30default_config_static_selectorELNS0_4arch9wavefront6targetE1EEEvT1_, .Lfunc_end2002-_ZN7rocprim17ROCPRIM_400000_NS6detail17trampoline_kernelINS0_14default_configENS1_27scan_by_key_config_selectorIj11FixedVectorIiLj2EEEEZZNS1_16scan_by_key_implILNS1_25lookback_scan_determinismE0ELb1ES3_N6thrust23THRUST_200600_302600_NS6detail15normal_iteratorINSB_10device_ptrIjEEEENSD_INSE_IS6_EEEESI_S6_NSB_4plusIvEENSB_8equal_toIvEES6_EE10hipError_tPvRmT2_T3_T4_T5_mT6_T7_P12ihipStream_tbENKUlT_T0_E_clISt17integral_constantIbLb1EES13_EEDaSY_SZ_EUlSY_E_NS1_11comp_targetILNS1_3genE0ELNS1_11target_archE4294967295ELNS1_3gpuE0ELNS1_3repE0EEENS1_30default_config_static_selectorELNS0_4arch9wavefront6targetE1EEEvT1_
                                        ; -- End function
	.section	.AMDGPU.csdata,"",@progbits
; Kernel info:
; codeLenInByte = 0
; NumSgprs: 6
; NumVgprs: 0
; NumAgprs: 0
; TotalNumVgprs: 0
; ScratchSize: 0
; MemoryBound: 0
; FloatMode: 240
; IeeeMode: 1
; LDSByteSize: 0 bytes/workgroup (compile time only)
; SGPRBlocks: 0
; VGPRBlocks: 0
; NumSGPRsForWavesPerEU: 6
; NumVGPRsForWavesPerEU: 1
; AccumOffset: 4
; Occupancy: 8
; WaveLimiterHint : 0
; COMPUTE_PGM_RSRC2:SCRATCH_EN: 0
; COMPUTE_PGM_RSRC2:USER_SGPR: 2
; COMPUTE_PGM_RSRC2:TRAP_HANDLER: 0
; COMPUTE_PGM_RSRC2:TGID_X_EN: 1
; COMPUTE_PGM_RSRC2:TGID_Y_EN: 0
; COMPUTE_PGM_RSRC2:TGID_Z_EN: 0
; COMPUTE_PGM_RSRC2:TIDIG_COMP_CNT: 0
; COMPUTE_PGM_RSRC3_GFX90A:ACCUM_OFFSET: 0
; COMPUTE_PGM_RSRC3_GFX90A:TG_SPLIT: 0
	.section	.text._ZN7rocprim17ROCPRIM_400000_NS6detail17trampoline_kernelINS0_14default_configENS1_27scan_by_key_config_selectorIj11FixedVectorIiLj2EEEEZZNS1_16scan_by_key_implILNS1_25lookback_scan_determinismE0ELb1ES3_N6thrust23THRUST_200600_302600_NS6detail15normal_iteratorINSB_10device_ptrIjEEEENSD_INSE_IS6_EEEESI_S6_NSB_4plusIvEENSB_8equal_toIvEES6_EE10hipError_tPvRmT2_T3_T4_T5_mT6_T7_P12ihipStream_tbENKUlT_T0_E_clISt17integral_constantIbLb1EES13_EEDaSY_SZ_EUlSY_E_NS1_11comp_targetILNS1_3genE10ELNS1_11target_archE1201ELNS1_3gpuE5ELNS1_3repE0EEENS1_30default_config_static_selectorELNS0_4arch9wavefront6targetE1EEEvT1_,"axG",@progbits,_ZN7rocprim17ROCPRIM_400000_NS6detail17trampoline_kernelINS0_14default_configENS1_27scan_by_key_config_selectorIj11FixedVectorIiLj2EEEEZZNS1_16scan_by_key_implILNS1_25lookback_scan_determinismE0ELb1ES3_N6thrust23THRUST_200600_302600_NS6detail15normal_iteratorINSB_10device_ptrIjEEEENSD_INSE_IS6_EEEESI_S6_NSB_4plusIvEENSB_8equal_toIvEES6_EE10hipError_tPvRmT2_T3_T4_T5_mT6_T7_P12ihipStream_tbENKUlT_T0_E_clISt17integral_constantIbLb1EES13_EEDaSY_SZ_EUlSY_E_NS1_11comp_targetILNS1_3genE10ELNS1_11target_archE1201ELNS1_3gpuE5ELNS1_3repE0EEENS1_30default_config_static_selectorELNS0_4arch9wavefront6targetE1EEEvT1_,comdat
	.protected	_ZN7rocprim17ROCPRIM_400000_NS6detail17trampoline_kernelINS0_14default_configENS1_27scan_by_key_config_selectorIj11FixedVectorIiLj2EEEEZZNS1_16scan_by_key_implILNS1_25lookback_scan_determinismE0ELb1ES3_N6thrust23THRUST_200600_302600_NS6detail15normal_iteratorINSB_10device_ptrIjEEEENSD_INSE_IS6_EEEESI_S6_NSB_4plusIvEENSB_8equal_toIvEES6_EE10hipError_tPvRmT2_T3_T4_T5_mT6_T7_P12ihipStream_tbENKUlT_T0_E_clISt17integral_constantIbLb1EES13_EEDaSY_SZ_EUlSY_E_NS1_11comp_targetILNS1_3genE10ELNS1_11target_archE1201ELNS1_3gpuE5ELNS1_3repE0EEENS1_30default_config_static_selectorELNS0_4arch9wavefront6targetE1EEEvT1_ ; -- Begin function _ZN7rocprim17ROCPRIM_400000_NS6detail17trampoline_kernelINS0_14default_configENS1_27scan_by_key_config_selectorIj11FixedVectorIiLj2EEEEZZNS1_16scan_by_key_implILNS1_25lookback_scan_determinismE0ELb1ES3_N6thrust23THRUST_200600_302600_NS6detail15normal_iteratorINSB_10device_ptrIjEEEENSD_INSE_IS6_EEEESI_S6_NSB_4plusIvEENSB_8equal_toIvEES6_EE10hipError_tPvRmT2_T3_T4_T5_mT6_T7_P12ihipStream_tbENKUlT_T0_E_clISt17integral_constantIbLb1EES13_EEDaSY_SZ_EUlSY_E_NS1_11comp_targetILNS1_3genE10ELNS1_11target_archE1201ELNS1_3gpuE5ELNS1_3repE0EEENS1_30default_config_static_selectorELNS0_4arch9wavefront6targetE1EEEvT1_
	.globl	_ZN7rocprim17ROCPRIM_400000_NS6detail17trampoline_kernelINS0_14default_configENS1_27scan_by_key_config_selectorIj11FixedVectorIiLj2EEEEZZNS1_16scan_by_key_implILNS1_25lookback_scan_determinismE0ELb1ES3_N6thrust23THRUST_200600_302600_NS6detail15normal_iteratorINSB_10device_ptrIjEEEENSD_INSE_IS6_EEEESI_S6_NSB_4plusIvEENSB_8equal_toIvEES6_EE10hipError_tPvRmT2_T3_T4_T5_mT6_T7_P12ihipStream_tbENKUlT_T0_E_clISt17integral_constantIbLb1EES13_EEDaSY_SZ_EUlSY_E_NS1_11comp_targetILNS1_3genE10ELNS1_11target_archE1201ELNS1_3gpuE5ELNS1_3repE0EEENS1_30default_config_static_selectorELNS0_4arch9wavefront6targetE1EEEvT1_
	.p2align	8
	.type	_ZN7rocprim17ROCPRIM_400000_NS6detail17trampoline_kernelINS0_14default_configENS1_27scan_by_key_config_selectorIj11FixedVectorIiLj2EEEEZZNS1_16scan_by_key_implILNS1_25lookback_scan_determinismE0ELb1ES3_N6thrust23THRUST_200600_302600_NS6detail15normal_iteratorINSB_10device_ptrIjEEEENSD_INSE_IS6_EEEESI_S6_NSB_4plusIvEENSB_8equal_toIvEES6_EE10hipError_tPvRmT2_T3_T4_T5_mT6_T7_P12ihipStream_tbENKUlT_T0_E_clISt17integral_constantIbLb1EES13_EEDaSY_SZ_EUlSY_E_NS1_11comp_targetILNS1_3genE10ELNS1_11target_archE1201ELNS1_3gpuE5ELNS1_3repE0EEENS1_30default_config_static_selectorELNS0_4arch9wavefront6targetE1EEEvT1_,@function
_ZN7rocprim17ROCPRIM_400000_NS6detail17trampoline_kernelINS0_14default_configENS1_27scan_by_key_config_selectorIj11FixedVectorIiLj2EEEEZZNS1_16scan_by_key_implILNS1_25lookback_scan_determinismE0ELb1ES3_N6thrust23THRUST_200600_302600_NS6detail15normal_iteratorINSB_10device_ptrIjEEEENSD_INSE_IS6_EEEESI_S6_NSB_4plusIvEENSB_8equal_toIvEES6_EE10hipError_tPvRmT2_T3_T4_T5_mT6_T7_P12ihipStream_tbENKUlT_T0_E_clISt17integral_constantIbLb1EES13_EEDaSY_SZ_EUlSY_E_NS1_11comp_targetILNS1_3genE10ELNS1_11target_archE1201ELNS1_3gpuE5ELNS1_3repE0EEENS1_30default_config_static_selectorELNS0_4arch9wavefront6targetE1EEEvT1_: ; @_ZN7rocprim17ROCPRIM_400000_NS6detail17trampoline_kernelINS0_14default_configENS1_27scan_by_key_config_selectorIj11FixedVectorIiLj2EEEEZZNS1_16scan_by_key_implILNS1_25lookback_scan_determinismE0ELb1ES3_N6thrust23THRUST_200600_302600_NS6detail15normal_iteratorINSB_10device_ptrIjEEEENSD_INSE_IS6_EEEESI_S6_NSB_4plusIvEENSB_8equal_toIvEES6_EE10hipError_tPvRmT2_T3_T4_T5_mT6_T7_P12ihipStream_tbENKUlT_T0_E_clISt17integral_constantIbLb1EES13_EEDaSY_SZ_EUlSY_E_NS1_11comp_targetILNS1_3genE10ELNS1_11target_archE1201ELNS1_3gpuE5ELNS1_3repE0EEENS1_30default_config_static_selectorELNS0_4arch9wavefront6targetE1EEEvT1_
; %bb.0:
	.section	.rodata,"a",@progbits
	.p2align	6, 0x0
	.amdhsa_kernel _ZN7rocprim17ROCPRIM_400000_NS6detail17trampoline_kernelINS0_14default_configENS1_27scan_by_key_config_selectorIj11FixedVectorIiLj2EEEEZZNS1_16scan_by_key_implILNS1_25lookback_scan_determinismE0ELb1ES3_N6thrust23THRUST_200600_302600_NS6detail15normal_iteratorINSB_10device_ptrIjEEEENSD_INSE_IS6_EEEESI_S6_NSB_4plusIvEENSB_8equal_toIvEES6_EE10hipError_tPvRmT2_T3_T4_T5_mT6_T7_P12ihipStream_tbENKUlT_T0_E_clISt17integral_constantIbLb1EES13_EEDaSY_SZ_EUlSY_E_NS1_11comp_targetILNS1_3genE10ELNS1_11target_archE1201ELNS1_3gpuE5ELNS1_3repE0EEENS1_30default_config_static_selectorELNS0_4arch9wavefront6targetE1EEEvT1_
		.amdhsa_group_segment_fixed_size 0
		.amdhsa_private_segment_fixed_size 0
		.amdhsa_kernarg_size 120
		.amdhsa_user_sgpr_count 2
		.amdhsa_user_sgpr_dispatch_ptr 0
		.amdhsa_user_sgpr_queue_ptr 0
		.amdhsa_user_sgpr_kernarg_segment_ptr 1
		.amdhsa_user_sgpr_dispatch_id 0
		.amdhsa_user_sgpr_kernarg_preload_length 0
		.amdhsa_user_sgpr_kernarg_preload_offset 0
		.amdhsa_user_sgpr_private_segment_size 0
		.amdhsa_uses_dynamic_stack 0
		.amdhsa_enable_private_segment 0
		.amdhsa_system_sgpr_workgroup_id_x 1
		.amdhsa_system_sgpr_workgroup_id_y 0
		.amdhsa_system_sgpr_workgroup_id_z 0
		.amdhsa_system_sgpr_workgroup_info 0
		.amdhsa_system_vgpr_workitem_id 0
		.amdhsa_next_free_vgpr 1
		.amdhsa_next_free_sgpr 0
		.amdhsa_accum_offset 4
		.amdhsa_reserve_vcc 0
		.amdhsa_float_round_mode_32 0
		.amdhsa_float_round_mode_16_64 0
		.amdhsa_float_denorm_mode_32 3
		.amdhsa_float_denorm_mode_16_64 3
		.amdhsa_dx10_clamp 1
		.amdhsa_ieee_mode 1
		.amdhsa_fp16_overflow 0
		.amdhsa_tg_split 0
		.amdhsa_exception_fp_ieee_invalid_op 0
		.amdhsa_exception_fp_denorm_src 0
		.amdhsa_exception_fp_ieee_div_zero 0
		.amdhsa_exception_fp_ieee_overflow 0
		.amdhsa_exception_fp_ieee_underflow 0
		.amdhsa_exception_fp_ieee_inexact 0
		.amdhsa_exception_int_div_zero 0
	.end_amdhsa_kernel
	.section	.text._ZN7rocprim17ROCPRIM_400000_NS6detail17trampoline_kernelINS0_14default_configENS1_27scan_by_key_config_selectorIj11FixedVectorIiLj2EEEEZZNS1_16scan_by_key_implILNS1_25lookback_scan_determinismE0ELb1ES3_N6thrust23THRUST_200600_302600_NS6detail15normal_iteratorINSB_10device_ptrIjEEEENSD_INSE_IS6_EEEESI_S6_NSB_4plusIvEENSB_8equal_toIvEES6_EE10hipError_tPvRmT2_T3_T4_T5_mT6_T7_P12ihipStream_tbENKUlT_T0_E_clISt17integral_constantIbLb1EES13_EEDaSY_SZ_EUlSY_E_NS1_11comp_targetILNS1_3genE10ELNS1_11target_archE1201ELNS1_3gpuE5ELNS1_3repE0EEENS1_30default_config_static_selectorELNS0_4arch9wavefront6targetE1EEEvT1_,"axG",@progbits,_ZN7rocprim17ROCPRIM_400000_NS6detail17trampoline_kernelINS0_14default_configENS1_27scan_by_key_config_selectorIj11FixedVectorIiLj2EEEEZZNS1_16scan_by_key_implILNS1_25lookback_scan_determinismE0ELb1ES3_N6thrust23THRUST_200600_302600_NS6detail15normal_iteratorINSB_10device_ptrIjEEEENSD_INSE_IS6_EEEESI_S6_NSB_4plusIvEENSB_8equal_toIvEES6_EE10hipError_tPvRmT2_T3_T4_T5_mT6_T7_P12ihipStream_tbENKUlT_T0_E_clISt17integral_constantIbLb1EES13_EEDaSY_SZ_EUlSY_E_NS1_11comp_targetILNS1_3genE10ELNS1_11target_archE1201ELNS1_3gpuE5ELNS1_3repE0EEENS1_30default_config_static_selectorELNS0_4arch9wavefront6targetE1EEEvT1_,comdat
.Lfunc_end2003:
	.size	_ZN7rocprim17ROCPRIM_400000_NS6detail17trampoline_kernelINS0_14default_configENS1_27scan_by_key_config_selectorIj11FixedVectorIiLj2EEEEZZNS1_16scan_by_key_implILNS1_25lookback_scan_determinismE0ELb1ES3_N6thrust23THRUST_200600_302600_NS6detail15normal_iteratorINSB_10device_ptrIjEEEENSD_INSE_IS6_EEEESI_S6_NSB_4plusIvEENSB_8equal_toIvEES6_EE10hipError_tPvRmT2_T3_T4_T5_mT6_T7_P12ihipStream_tbENKUlT_T0_E_clISt17integral_constantIbLb1EES13_EEDaSY_SZ_EUlSY_E_NS1_11comp_targetILNS1_3genE10ELNS1_11target_archE1201ELNS1_3gpuE5ELNS1_3repE0EEENS1_30default_config_static_selectorELNS0_4arch9wavefront6targetE1EEEvT1_, .Lfunc_end2003-_ZN7rocprim17ROCPRIM_400000_NS6detail17trampoline_kernelINS0_14default_configENS1_27scan_by_key_config_selectorIj11FixedVectorIiLj2EEEEZZNS1_16scan_by_key_implILNS1_25lookback_scan_determinismE0ELb1ES3_N6thrust23THRUST_200600_302600_NS6detail15normal_iteratorINSB_10device_ptrIjEEEENSD_INSE_IS6_EEEESI_S6_NSB_4plusIvEENSB_8equal_toIvEES6_EE10hipError_tPvRmT2_T3_T4_T5_mT6_T7_P12ihipStream_tbENKUlT_T0_E_clISt17integral_constantIbLb1EES13_EEDaSY_SZ_EUlSY_E_NS1_11comp_targetILNS1_3genE10ELNS1_11target_archE1201ELNS1_3gpuE5ELNS1_3repE0EEENS1_30default_config_static_selectorELNS0_4arch9wavefront6targetE1EEEvT1_
                                        ; -- End function
	.section	.AMDGPU.csdata,"",@progbits
; Kernel info:
; codeLenInByte = 0
; NumSgprs: 6
; NumVgprs: 0
; NumAgprs: 0
; TotalNumVgprs: 0
; ScratchSize: 0
; MemoryBound: 0
; FloatMode: 240
; IeeeMode: 1
; LDSByteSize: 0 bytes/workgroup (compile time only)
; SGPRBlocks: 0
; VGPRBlocks: 0
; NumSGPRsForWavesPerEU: 6
; NumVGPRsForWavesPerEU: 1
; AccumOffset: 4
; Occupancy: 8
; WaveLimiterHint : 0
; COMPUTE_PGM_RSRC2:SCRATCH_EN: 0
; COMPUTE_PGM_RSRC2:USER_SGPR: 2
; COMPUTE_PGM_RSRC2:TRAP_HANDLER: 0
; COMPUTE_PGM_RSRC2:TGID_X_EN: 1
; COMPUTE_PGM_RSRC2:TGID_Y_EN: 0
; COMPUTE_PGM_RSRC2:TGID_Z_EN: 0
; COMPUTE_PGM_RSRC2:TIDIG_COMP_CNT: 0
; COMPUTE_PGM_RSRC3_GFX90A:ACCUM_OFFSET: 0
; COMPUTE_PGM_RSRC3_GFX90A:TG_SPLIT: 0
	.section	.text._ZN7rocprim17ROCPRIM_400000_NS6detail17trampoline_kernelINS0_14default_configENS1_27scan_by_key_config_selectorIj11FixedVectorIiLj2EEEEZZNS1_16scan_by_key_implILNS1_25lookback_scan_determinismE0ELb1ES3_N6thrust23THRUST_200600_302600_NS6detail15normal_iteratorINSB_10device_ptrIjEEEENSD_INSE_IS6_EEEESI_S6_NSB_4plusIvEENSB_8equal_toIvEES6_EE10hipError_tPvRmT2_T3_T4_T5_mT6_T7_P12ihipStream_tbENKUlT_T0_E_clISt17integral_constantIbLb1EES13_EEDaSY_SZ_EUlSY_E_NS1_11comp_targetILNS1_3genE5ELNS1_11target_archE942ELNS1_3gpuE9ELNS1_3repE0EEENS1_30default_config_static_selectorELNS0_4arch9wavefront6targetE1EEEvT1_,"axG",@progbits,_ZN7rocprim17ROCPRIM_400000_NS6detail17trampoline_kernelINS0_14default_configENS1_27scan_by_key_config_selectorIj11FixedVectorIiLj2EEEEZZNS1_16scan_by_key_implILNS1_25lookback_scan_determinismE0ELb1ES3_N6thrust23THRUST_200600_302600_NS6detail15normal_iteratorINSB_10device_ptrIjEEEENSD_INSE_IS6_EEEESI_S6_NSB_4plusIvEENSB_8equal_toIvEES6_EE10hipError_tPvRmT2_T3_T4_T5_mT6_T7_P12ihipStream_tbENKUlT_T0_E_clISt17integral_constantIbLb1EES13_EEDaSY_SZ_EUlSY_E_NS1_11comp_targetILNS1_3genE5ELNS1_11target_archE942ELNS1_3gpuE9ELNS1_3repE0EEENS1_30default_config_static_selectorELNS0_4arch9wavefront6targetE1EEEvT1_,comdat
	.protected	_ZN7rocprim17ROCPRIM_400000_NS6detail17trampoline_kernelINS0_14default_configENS1_27scan_by_key_config_selectorIj11FixedVectorIiLj2EEEEZZNS1_16scan_by_key_implILNS1_25lookback_scan_determinismE0ELb1ES3_N6thrust23THRUST_200600_302600_NS6detail15normal_iteratorINSB_10device_ptrIjEEEENSD_INSE_IS6_EEEESI_S6_NSB_4plusIvEENSB_8equal_toIvEES6_EE10hipError_tPvRmT2_T3_T4_T5_mT6_T7_P12ihipStream_tbENKUlT_T0_E_clISt17integral_constantIbLb1EES13_EEDaSY_SZ_EUlSY_E_NS1_11comp_targetILNS1_3genE5ELNS1_11target_archE942ELNS1_3gpuE9ELNS1_3repE0EEENS1_30default_config_static_selectorELNS0_4arch9wavefront6targetE1EEEvT1_ ; -- Begin function _ZN7rocprim17ROCPRIM_400000_NS6detail17trampoline_kernelINS0_14default_configENS1_27scan_by_key_config_selectorIj11FixedVectorIiLj2EEEEZZNS1_16scan_by_key_implILNS1_25lookback_scan_determinismE0ELb1ES3_N6thrust23THRUST_200600_302600_NS6detail15normal_iteratorINSB_10device_ptrIjEEEENSD_INSE_IS6_EEEESI_S6_NSB_4plusIvEENSB_8equal_toIvEES6_EE10hipError_tPvRmT2_T3_T4_T5_mT6_T7_P12ihipStream_tbENKUlT_T0_E_clISt17integral_constantIbLb1EES13_EEDaSY_SZ_EUlSY_E_NS1_11comp_targetILNS1_3genE5ELNS1_11target_archE942ELNS1_3gpuE9ELNS1_3repE0EEENS1_30default_config_static_selectorELNS0_4arch9wavefront6targetE1EEEvT1_
	.globl	_ZN7rocprim17ROCPRIM_400000_NS6detail17trampoline_kernelINS0_14default_configENS1_27scan_by_key_config_selectorIj11FixedVectorIiLj2EEEEZZNS1_16scan_by_key_implILNS1_25lookback_scan_determinismE0ELb1ES3_N6thrust23THRUST_200600_302600_NS6detail15normal_iteratorINSB_10device_ptrIjEEEENSD_INSE_IS6_EEEESI_S6_NSB_4plusIvEENSB_8equal_toIvEES6_EE10hipError_tPvRmT2_T3_T4_T5_mT6_T7_P12ihipStream_tbENKUlT_T0_E_clISt17integral_constantIbLb1EES13_EEDaSY_SZ_EUlSY_E_NS1_11comp_targetILNS1_3genE5ELNS1_11target_archE942ELNS1_3gpuE9ELNS1_3repE0EEENS1_30default_config_static_selectorELNS0_4arch9wavefront6targetE1EEEvT1_
	.p2align	8
	.type	_ZN7rocprim17ROCPRIM_400000_NS6detail17trampoline_kernelINS0_14default_configENS1_27scan_by_key_config_selectorIj11FixedVectorIiLj2EEEEZZNS1_16scan_by_key_implILNS1_25lookback_scan_determinismE0ELb1ES3_N6thrust23THRUST_200600_302600_NS6detail15normal_iteratorINSB_10device_ptrIjEEEENSD_INSE_IS6_EEEESI_S6_NSB_4plusIvEENSB_8equal_toIvEES6_EE10hipError_tPvRmT2_T3_T4_T5_mT6_T7_P12ihipStream_tbENKUlT_T0_E_clISt17integral_constantIbLb1EES13_EEDaSY_SZ_EUlSY_E_NS1_11comp_targetILNS1_3genE5ELNS1_11target_archE942ELNS1_3gpuE9ELNS1_3repE0EEENS1_30default_config_static_selectorELNS0_4arch9wavefront6targetE1EEEvT1_,@function
_ZN7rocprim17ROCPRIM_400000_NS6detail17trampoline_kernelINS0_14default_configENS1_27scan_by_key_config_selectorIj11FixedVectorIiLj2EEEEZZNS1_16scan_by_key_implILNS1_25lookback_scan_determinismE0ELb1ES3_N6thrust23THRUST_200600_302600_NS6detail15normal_iteratorINSB_10device_ptrIjEEEENSD_INSE_IS6_EEEESI_S6_NSB_4plusIvEENSB_8equal_toIvEES6_EE10hipError_tPvRmT2_T3_T4_T5_mT6_T7_P12ihipStream_tbENKUlT_T0_E_clISt17integral_constantIbLb1EES13_EEDaSY_SZ_EUlSY_E_NS1_11comp_targetILNS1_3genE5ELNS1_11target_archE942ELNS1_3gpuE9ELNS1_3repE0EEENS1_30default_config_static_selectorELNS0_4arch9wavefront6targetE1EEEvT1_: ; @_ZN7rocprim17ROCPRIM_400000_NS6detail17trampoline_kernelINS0_14default_configENS1_27scan_by_key_config_selectorIj11FixedVectorIiLj2EEEEZZNS1_16scan_by_key_implILNS1_25lookback_scan_determinismE0ELb1ES3_N6thrust23THRUST_200600_302600_NS6detail15normal_iteratorINSB_10device_ptrIjEEEENSD_INSE_IS6_EEEESI_S6_NSB_4plusIvEENSB_8equal_toIvEES6_EE10hipError_tPvRmT2_T3_T4_T5_mT6_T7_P12ihipStream_tbENKUlT_T0_E_clISt17integral_constantIbLb1EES13_EEDaSY_SZ_EUlSY_E_NS1_11comp_targetILNS1_3genE5ELNS1_11target_archE942ELNS1_3gpuE9ELNS1_3repE0EEENS1_30default_config_static_selectorELNS0_4arch9wavefront6targetE1EEEvT1_
; %bb.0:
	s_load_dwordx2 s[62:63], s[0:1], 0x20
	s_load_dwordx4 s[52:55], s[0:1], 0x30
	s_load_dwordx2 s[64:65], s[0:1], 0x40
	v_cmp_eq_u32_e64 s[2:3], 0, v0
	s_and_saveexec_b64 s[4:5], s[2:3]
	s_cbranch_execz .LBB2004_4
; %bb.1:
	s_mov_b64 s[8:9], exec
	v_mbcnt_lo_u32_b32 v1, s8, 0
	v_mbcnt_hi_u32_b32 v1, s9, v1
	v_cmp_eq_u32_e32 vcc, 0, v1
                                        ; implicit-def: $vgpr2
	s_and_saveexec_b64 s[6:7], vcc
	s_cbranch_execz .LBB2004_3
; %bb.2:
	s_load_dwordx2 s[10:11], s[0:1], 0x70
	s_bcnt1_i32_b64 s8, s[8:9]
	v_mov_b32_e32 v2, 0
	v_mov_b32_e32 v3, s8
	s_waitcnt lgkmcnt(0)
	global_atomic_add v2, v2, v3, s[10:11] sc0
.LBB2004_3:
	s_or_b64 exec, exec, s[6:7]
	s_waitcnt vmcnt(0)
	v_readfirstlane_b32 s6, v2
	v_mov_b32_e32 v2, 0
	s_nop 0
	v_add_u32_e32 v1, s6, v1
	ds_write_b32 v2, v1
.LBB2004_4:
	s_or_b64 exec, exec, s[4:5]
	s_load_dwordx8 s[44:51], s[0:1], 0x0
	s_load_dword s4, s[0:1], 0x48
	s_load_dwordx4 s[56:59], s[0:1], 0x50
	v_mov_b32_e32 v3, 0
	s_waitcnt lgkmcnt(0)
	s_lshl_b64 s[0:1], s[46:47], 2
	s_barrier
	ds_read_b32 v2, v3
	s_add_u32 s0, s44, s0
	s_addc_u32 s1, s45, s1
	s_lshl_b64 s[60:61], s[46:47], 3
	s_add_u32 s6, s48, s60
	s_mul_i32 s5, s65, s4
	s_mul_hi_u32 s8, s64, s4
	s_addc_u32 s7, s49, s61
	s_add_i32 s5, s8, s5
	s_movk_i32 s8, 0x1500
	s_waitcnt lgkmcnt(0)
	v_mul_lo_u32 v4, v2, s8
	v_mov_b32_e32 v5, v3
	v_lshlrev_b64 v[6:7], 2, v[4:5]
	v_lshlrev_b64 v[40:41], 3, v[4:5]
	s_mul_i32 s4, s64, s4
	v_lshl_add_u64 v[8:9], s[0:1], 0, v[6:7]
	v_lshl_add_u64 v[6:7], s[6:7], 0, v[40:41]
	s_add_u32 s6, s56, -1
	v_readfirstlane_b32 s55, v2
	v_lshl_add_u64 v[2:3], s[4:5], 0, v[2:3]
	s_addc_u32 s7, s57, -1
	v_cmp_le_u64_e64 s[0:1], s[6:7], v[2:3]
	s_mov_b64 s[4:5], -1
	s_and_b64 vcc, exec, s[0:1]
	s_mul_i32 s33, s6, 0xffffeb00
	s_barrier
	s_barrier
	s_cbranch_vccz .LBB2004_134
; %bb.5:
	flat_load_dword v1, v[8:9]
	s_add_i32 s66, s33, s54
	v_cmp_gt_u32_e64 s[44:45], s66, v0
	s_waitcnt vmcnt(0) lgkmcnt(0)
	v_mov_b32_e32 v4, v1
	s_and_saveexec_b64 s[4:5], s[44:45]
	s_cbranch_execz .LBB2004_7
; %bb.6:
	v_lshlrev_b32_e32 v2, 2, v0
	v_mov_b32_e32 v3, 0
	v_lshl_add_u64 v[2:3], v[8:9], 0, v[2:3]
	flat_load_dword v4, v[2:3]
.LBB2004_7:
	s_or_b64 exec, exec, s[4:5]
	v_or_b32_e32 v2, 0x100, v0
	v_cmp_gt_u32_e64 s[42:43], s66, v2
	v_mov_b32_e32 v5, v1
	s_and_saveexec_b64 s[4:5], s[42:43]
	s_cbranch_execz .LBB2004_9
; %bb.8:
	v_lshlrev_b32_e32 v2, 2, v0
	v_mov_b32_e32 v3, 0
	v_lshl_add_u64 v[2:3], v[8:9], 0, v[2:3]
	flat_load_dword v5, v[2:3] offset:1024
.LBB2004_9:
	s_or_b64 exec, exec, s[4:5]
	v_or_b32_e32 v31, 0x200, v0
	v_cmp_gt_u32_e64 s[40:41], s66, v31
	v_mov_b32_e32 v10, v1
	s_and_saveexec_b64 s[4:5], s[40:41]
	s_cbranch_execz .LBB2004_11
; %bb.10:
	v_lshlrev_b32_e32 v2, 2, v0
	v_mov_b32_e32 v3, 0
	v_lshl_add_u64 v[2:3], v[8:9], 0, v[2:3]
	flat_load_dword v10, v[2:3] offset:2048
.LBB2004_11:
	;; [unrolled: 12-line block ×3, first 2 shown]
	s_or_b64 exec, exec, s[4:5]
	v_or_b32_e32 v35, 0x400, v0
	v_cmp_gt_u32_e64 s[36:37], s66, v35
	v_mov_b32_e32 v12, v1
	s_and_saveexec_b64 s[4:5], s[36:37]
	s_cbranch_execz .LBB2004_15
; %bb.14:
	v_lshlrev_b32_e32 v2, 2, v35
	v_mov_b32_e32 v3, 0
	v_lshl_add_u64 v[2:3], v[8:9], 0, v[2:3]
	flat_load_dword v12, v[2:3]
.LBB2004_15:
	s_or_b64 exec, exec, s[4:5]
	v_or_b32_e32 v38, 0x500, v0
	v_cmp_gt_u32_e64 s[34:35], s66, v38
	v_mov_b32_e32 v13, v1
	s_and_saveexec_b64 s[4:5], s[34:35]
	s_cbranch_execz .LBB2004_17
; %bb.16:
	v_lshlrev_b32_e32 v2, 2, v38
	v_mov_b32_e32 v3, 0
	v_lshl_add_u64 v[2:3], v[8:9], 0, v[2:3]
	flat_load_dword v13, v[2:3]
.LBB2004_17:
	;; [unrolled: 12-line block ×16, first 2 shown]
	s_or_b64 exec, exec, s[46:47]
	v_or_b32_e32 v71, 0x1400, v0
	v_cmp_gt_u32_e32 vcc, s66, v71
	v_mov_b32_e32 v3, 0
	s_and_saveexec_b64 s[46:47], vcc
	s_cbranch_execz .LBB2004_47
; %bb.46:
	v_lshlrev_b32_e32 v2, 2, v71
	v_lshl_add_u64 v[2:3], v[8:9], 0, v[2:3]
	flat_load_dword v1, v[2:3]
.LBB2004_47:
	s_or_b64 exec, exec, s[46:47]
	v_lshlrev_b32_e32 v2, 2, v0
	s_waitcnt vmcnt(0) lgkmcnt(0)
	ds_write2st64_b32 v2, v4, v5 offset1:4
	ds_write2st64_b32 v2, v10, v11 offset0:8 offset1:12
	ds_write2st64_b32 v2, v12, v13 offset0:16 offset1:20
	;; [unrolled: 1-line block ×9, first 2 shown]
	ds_write_b32 v2, v1 offset:20480
	s_waitcnt lgkmcnt(0)
	s_barrier
	flat_load_dword v1, v[8:9]
	s_movk_i32 s46, 0x50
	v_mad_u32_u24 v3, v0, s46, v2
	s_movk_i32 s46, 0xffb0
	v_mad_i32_i24 v72, v0, s46, v3
	s_movk_i32 s46, 0xff
	v_cmp_ne_u32_e64 s[46:47], s46, v0
	ds_read_b32 v79, v3
	ds_read2_b32 v[28:29], v3 offset0:1 offset1:2
	ds_read2_b32 v[26:27], v3 offset0:3 offset1:4
	;; [unrolled: 1-line block ×10, first 2 shown]
	s_waitcnt lgkmcnt(0)
	ds_write_b32 v72, v79 offset:22528
	s_waitcnt lgkmcnt(0)
	s_barrier
	s_and_saveexec_b64 s[48:49], s[46:47]
	s_cbranch_execz .LBB2004_49
; %bb.48:
	s_waitcnt vmcnt(0)
	ds_read_b32 v1, v2 offset:22532
.LBB2004_49:
	s_or_b64 exec, exec, s[48:49]
	v_mov_b32_e32 v2, 0
	v_mov_b32_e32 v4, 0
	;; [unrolled: 1-line block ×3, first 2 shown]
	s_waitcnt lgkmcnt(0)
	s_barrier
	s_and_saveexec_b64 s[46:47], s[44:45]
	s_cbranch_execz .LBB2004_51
; %bb.50:
	v_lshlrev_b32_e32 v4, 3, v0
	v_mov_b32_e32 v5, v2
	v_lshl_add_u64 v[4:5], v[6:7], 0, v[4:5]
	flat_load_dwordx2 v[4:5], v[4:5]
.LBB2004_51:
	s_or_b64 exec, exec, s[46:47]
	v_mov_b32_e32 v3, 0
	s_and_saveexec_b64 s[44:45], s[42:43]
	s_cbranch_execz .LBB2004_53
; %bb.52:
	v_lshlrev_b32_e32 v2, 3, v0
	v_mov_b32_e32 v3, 0
	v_lshl_add_u64 v[2:3], v[6:7], 0, v[2:3]
	flat_load_dwordx2 v[2:3], v[2:3] offset:2048
.LBB2004_53:
	s_or_b64 exec, exec, s[44:45]
	v_mov_b32_e32 v30, 0
	v_mov_b32_e32 v32, 0
	v_mov_b32_e32 v33, 0
	s_and_saveexec_b64 s[42:43], s[40:41]
	s_cbranch_execz .LBB2004_55
; %bb.54:
	v_lshlrev_b32_e32 v32, 3, v31
	v_mov_b32_e32 v33, 0
	v_lshl_add_u64 v[32:33], v[6:7], 0, v[32:33]
	flat_load_dwordx2 v[32:33], v[32:33]
.LBB2004_55:
	s_or_b64 exec, exec, s[42:43]
	v_mov_b32_e32 v31, 0
	s_and_saveexec_b64 s[40:41], s[38:39]
	s_cbranch_execz .LBB2004_57
; %bb.56:
	v_lshlrev_b32_e32 v30, 3, v34
	v_mov_b32_e32 v31, 0
	v_lshl_add_u64 v[30:31], v[6:7], 0, v[30:31]
	flat_load_dwordx2 v[30:31], v[30:31]
.LBB2004_57:
	s_or_b64 exec, exec, s[40:41]
	v_mov_b32_e32 v34, 0
	v_mov_b32_e32 v36, 0
	v_mov_b32_e32 v37, 0
	s_and_saveexec_b64 s[38:39], s[36:37]
	s_cbranch_execz .LBB2004_59
; %bb.58:
	v_lshlrev_b32_e32 v36, 3, v35
	v_mov_b32_e32 v37, 0
	v_lshl_add_u64 v[36:37], v[6:7], 0, v[36:37]
	flat_load_dwordx2 v[36:37], v[36:37]
.LBB2004_59:
	s_or_b64 exec, exec, s[38:39]
	v_mov_b32_e32 v35, 0
	s_and_saveexec_b64 s[36:37], s[34:35]
	s_cbranch_execz .LBB2004_61
; %bb.60:
	v_lshlrev_b32_e32 v34, 3, v38
	v_mov_b32_e32 v35, 0
	v_lshl_add_u64 v[34:35], v[6:7], 0, v[34:35]
	flat_load_dwordx2 v[34:35], v[34:35]
.LBB2004_61:
	;; [unrolled: 22-line block ×9, first 2 shown]
	s_or_b64 exec, exec, s[6:7]
	v_mul_u32_u24_e32 v78, 21, v0
	v_mov_b32_e32 v70, 0
	v_mov_b32_e32 v68, 0
	;; [unrolled: 1-line block ×3, first 2 shown]
	s_and_saveexec_b64 s[4:5], vcc
	s_cbranch_execz .LBB2004_91
; %bb.90:
	v_lshlrev_b32_e32 v68, 3, v71
	v_mov_b32_e32 v69, 0
	v_lshl_add_u64 v[68:69], v[6:7], 0, v[68:69]
	flat_load_dwordx2 v[68:69], v[68:69]
.LBB2004_91:
	s_or_b64 exec, exec, s[4:5]
	v_lshl_add_u32 v80, v0, 2, v72
	s_waitcnt vmcnt(0) lgkmcnt(0)
	ds_write2st64_b64 v80, v[4:5], v[2:3] offset1:4
	ds_write2st64_b64 v80, v[32:33], v[30:31] offset0:8 offset1:12
	ds_write2st64_b64 v80, v[36:37], v[34:35] offset0:16 offset1:20
	;; [unrolled: 1-line block ×9, first 2 shown]
	ds_write_b64 v80, v[68:69] offset:40960
	v_cmp_gt_u32_e32 vcc, s66, v78
	s_mov_b64 s[4:5], 0
	s_mov_b32 s68, 0
	v_mov_b64_e32 v[42:43], 0
	s_mov_b64 s[10:11], 0
	v_mov_b32_e32 v62, 0
	v_mov_b32_e32 v50, 0
	;; [unrolled: 1-line block ×57, first 2 shown]
	s_waitcnt lgkmcnt(0)
	s_barrier
	s_waitcnt lgkmcnt(0)
                                        ; implicit-def: $sgpr8_sgpr9
                                        ; implicit-def: $vgpr2_vgpr3
	s_and_saveexec_b64 s[6:7], vcc
	s_cbranch_execz .LBB2004_133
; %bb.92:
	s_movk_i32 s8, 0xa0
	v_mad_u32_u24 v2, v0, s8, v80
	ds_read_b64 v[2:3], v2
	v_add_u32_e32 v4, 1, v78
	v_mov_b32_e32 v5, s63
	v_mov_b32_e32 v30, s62
	v_cmp_ne_u32_e32 vcc, v79, v28
	v_mov_b32_e32 v62, 0
	v_mov_b32_e32 v50, 0
	s_waitcnt lgkmcnt(0)
	v_cndmask_b32_e32 v43, v3, v5, vcc
	v_cndmask_b32_e32 v42, v2, v30, vcc
	v_cndmask_b32_e64 v70, 0, 1, vcc
	v_cmp_gt_u32_e32 vcc, s66, v4
	v_mov_b32_e32 v105, 0
	v_mov_b32_e32 v122, 0
	;; [unrolled: 1-line block ×55, first 2 shown]
                                        ; implicit-def: $sgpr12_sgpr13
                                        ; implicit-def: $vgpr2_vgpr3
	s_and_saveexec_b64 s[8:9], vcc
	s_cbranch_execz .LBB2004_132
; %bb.93:
	v_mul_u32_u24_e32 v2, 0xa0, v0
	v_add_u32_e32 v30, v80, v2
	ds_read2_b64 v[2:5], v30 offset0:1 offset1:2
	v_cmp_ne_u32_e32 vcc, v28, v29
	v_mov_b32_e32 v28, s62
	v_add_u32_e32 v31, 2, v78
	v_cndmask_b32_e64 v59, 0, 1, vcc
	s_waitcnt lgkmcnt(0)
	v_cndmask_b32_e32 v52, v2, v28, vcc
	v_mov_b32_e32 v2, s63
	v_cndmask_b32_e32 v51, v3, v2, vcc
	v_cmp_gt_u32_e32 vcc, s66, v31
	s_mov_b64 s[14:15], 0
	v_mov_b32_e32 v62, 0
	v_mov_b32_e32 v50, 0
	;; [unrolled: 1-line block ×54, first 2 shown]
                                        ; implicit-def: $sgpr12_sgpr13
                                        ; implicit-def: $vgpr2_vgpr3
	s_and_saveexec_b64 s[10:11], vcc
	s_cbranch_execz .LBB2004_131
; %bb.94:
	v_cmp_ne_u32_e32 vcc, v29, v26
	v_mov_b32_e32 v3, s62
	v_add_u32_e32 v2, 3, v78
	v_cndmask_b32_e32 v54, v4, v3, vcc
	v_mov_b32_e32 v3, s63
	v_cndmask_b32_e64 v63, 0, 1, vcc
	v_cndmask_b32_e32 v53, v5, v3, vcc
	v_cmp_gt_u32_e32 vcc, s66, v2
	v_mov_b32_e32 v62, 0
	v_mov_b32_e32 v50, 0
	;; [unrolled: 1-line block ×51, first 2 shown]
                                        ; implicit-def: $sgpr16_sgpr17
                                        ; implicit-def: $vgpr2_vgpr3
	s_and_saveexec_b64 s[12:13], vcc
	s_cbranch_execz .LBB2004_130
; %bb.95:
	ds_read2_b64 v[2:5], v30 offset0:3 offset1:4
	v_cmp_ne_u32_e32 vcc, v26, v27
	v_mov_b32_e32 v26, s62
	v_add_u32_e32 v28, 4, v78
	v_cndmask_b32_e64 v66, 0, 1, vcc
	s_waitcnt lgkmcnt(0)
	v_cndmask_b32_e32 v56, v2, v26, vcc
	v_mov_b32_e32 v2, s63
	v_cndmask_b32_e32 v55, v3, v2, vcc
	v_cmp_gt_u32_e32 vcc, s66, v28
	s_mov_b64 s[18:19], 0
	v_mov_b32_e32 v62, 0
	v_mov_b32_e32 v50, 0
	;; [unrolled: 1-line block ×48, first 2 shown]
                                        ; implicit-def: $sgpr16_sgpr17
                                        ; implicit-def: $vgpr2_vgpr3
	s_and_saveexec_b64 s[14:15], vcc
	s_cbranch_execz .LBB2004_129
; %bb.96:
	v_cmp_ne_u32_e32 vcc, v27, v24
	v_mov_b32_e32 v3, s62
	v_add_u32_e32 v2, 5, v78
	v_cndmask_b32_e32 v58, v4, v3, vcc
	v_mov_b32_e32 v3, s63
	v_cndmask_b32_e64 v72, 0, 1, vcc
	v_cndmask_b32_e32 v57, v5, v3, vcc
	v_cmp_gt_u32_e32 vcc, s66, v2
	v_mov_b32_e32 v62, 0
	v_mov_b32_e32 v50, 0
	;; [unrolled: 1-line block ×45, first 2 shown]
                                        ; implicit-def: $sgpr20_sgpr21
                                        ; implicit-def: $vgpr2_vgpr3
	s_and_saveexec_b64 s[16:17], vcc
	s_cbranch_execz .LBB2004_128
; %bb.97:
	ds_read2_b64 v[2:5], v30 offset0:5 offset1:6
	v_cmp_ne_u32_e32 vcc, v24, v25
	v_mov_b32_e32 v24, s62
	v_add_u32_e32 v26, 6, v78
	v_cndmask_b32_e64 v75, 0, 1, vcc
	s_waitcnt lgkmcnt(0)
	v_cndmask_b32_e32 v61, v2, v24, vcc
	v_mov_b32_e32 v2, s63
	v_cndmask_b32_e32 v60, v3, v2, vcc
	v_cmp_gt_u32_e32 vcc, s66, v26
	s_mov_b64 s[22:23], 0
	v_mov_b32_e32 v62, 0
	v_mov_b32_e32 v50, 0
	;; [unrolled: 1-line block ×42, first 2 shown]
                                        ; implicit-def: $sgpr20_sgpr21
                                        ; implicit-def: $vgpr2_vgpr3
	s_and_saveexec_b64 s[18:19], vcc
	s_cbranch_execz .LBB2004_127
; %bb.98:
	v_cmp_ne_u32_e32 vcc, v25, v22
	v_mov_b32_e32 v3, s62
	v_add_u32_e32 v2, 7, v78
	v_cndmask_b32_e32 v65, v4, v3, vcc
	v_mov_b32_e32 v3, s63
	v_cndmask_b32_e64 v95, 0, 1, vcc
	v_cndmask_b32_e32 v64, v5, v3, vcc
	v_cmp_gt_u32_e32 vcc, s66, v2
	v_mov_b32_e32 v62, 0
	v_mov_b32_e32 v50, 0
	;; [unrolled: 1-line block ×39, first 2 shown]
                                        ; implicit-def: $sgpr24_sgpr25
                                        ; implicit-def: $vgpr2_vgpr3
	s_and_saveexec_b64 s[20:21], vcc
	s_cbranch_execz .LBB2004_126
; %bb.99:
	ds_read2_b64 v[2:5], v30 offset0:7 offset1:8
	v_cmp_ne_u32_e32 vcc, v22, v23
	v_mov_b32_e32 v22, s62
	v_add_u32_e32 v24, 8, v78
	v_cndmask_b32_e64 v104, 0, 1, vcc
	s_waitcnt lgkmcnt(0)
	v_cndmask_b32_e32 v68, v2, v22, vcc
	v_mov_b32_e32 v2, s63
	v_cndmask_b32_e32 v67, v3, v2, vcc
	v_cmp_gt_u32_e32 vcc, s66, v24
	s_mov_b64 s[26:27], 0
	v_mov_b32_e32 v62, 0
	v_mov_b32_e32 v50, 0
	;; [unrolled: 1-line block ×36, first 2 shown]
                                        ; implicit-def: $sgpr24_sgpr25
                                        ; implicit-def: $vgpr2_vgpr3
	s_and_saveexec_b64 s[22:23], vcc
	s_cbranch_execz .LBB2004_125
; %bb.100:
	v_cmp_ne_u32_e32 vcc, v23, v20
	v_mov_b32_e32 v3, s62
	v_add_u32_e32 v2, 9, v78
	v_cndmask_b32_e32 v71, v4, v3, vcc
	v_mov_b32_e32 v3, s63
	v_cndmask_b32_e64 v106, 0, 1, vcc
	v_cndmask_b32_e32 v69, v5, v3, vcc
	v_cmp_gt_u32_e32 vcc, s66, v2
	v_mov_b32_e32 v62, 0
	v_mov_b32_e32 v50, 0
	;; [unrolled: 1-line block ×33, first 2 shown]
                                        ; implicit-def: $sgpr28_sgpr29
                                        ; implicit-def: $vgpr2_vgpr3
	s_and_saveexec_b64 s[24:25], vcc
	s_cbranch_execz .LBB2004_124
; %bb.101:
	ds_read2_b64 v[2:5], v30 offset0:9 offset1:10
	v_cmp_ne_u32_e32 vcc, v20, v21
	v_mov_b32_e32 v20, s62
	v_add_u32_e32 v22, 10, v78
	v_cndmask_b32_e64 v112, 0, 1, vcc
	s_waitcnt lgkmcnt(0)
	v_cndmask_b32_e32 v74, v2, v20, vcc
	v_mov_b32_e32 v2, s63
	v_cndmask_b32_e32 v73, v3, v2, vcc
	v_cmp_gt_u32_e32 vcc, s66, v22
	s_mov_b64 s[30:31], 0
	v_mov_b32_e32 v62, 0
	v_mov_b32_e32 v50, 0
	;; [unrolled: 1-line block ×30, first 2 shown]
                                        ; implicit-def: $sgpr28_sgpr29
                                        ; implicit-def: $vgpr2_vgpr3
	s_and_saveexec_b64 s[26:27], vcc
	s_cbranch_execz .LBB2004_123
; %bb.102:
	v_cmp_ne_u32_e32 vcc, v21, v18
	v_mov_b32_e32 v3, s62
	v_add_u32_e32 v2, 11, v78
	v_cndmask_b32_e32 v77, v4, v3, vcc
	v_mov_b32_e32 v3, s63
	v_cndmask_b32_e64 v114, 0, 1, vcc
	v_cndmask_b32_e32 v76, v5, v3, vcc
	v_cmp_gt_u32_e32 vcc, s66, v2
	v_mov_b32_e32 v62, 0
	v_mov_b32_e32 v50, 0
	;; [unrolled: 1-line block ×27, first 2 shown]
                                        ; implicit-def: $sgpr34_sgpr35
                                        ; implicit-def: $vgpr2_vgpr3
	s_and_saveexec_b64 s[28:29], vcc
	s_cbranch_execz .LBB2004_122
; %bb.103:
	ds_read2_b64 v[2:5], v30 offset0:11 offset1:12
	v_cmp_ne_u32_e32 vcc, v18, v19
	v_mov_b32_e32 v18, s62
	v_add_u32_e32 v20, 12, v78
	v_cndmask_b32_e64 v115, 0, 1, vcc
	s_waitcnt lgkmcnt(0)
	v_cndmask_b32_e32 v96, v2, v18, vcc
	v_mov_b32_e32 v2, s63
	v_cndmask_b32_e32 v92, v3, v2, vcc
	v_cmp_gt_u32_e32 vcc, s66, v20
	s_mov_b64 s[36:37], 0
	v_mov_b32_e32 v62, 0
	v_mov_b32_e32 v50, 0
	;; [unrolled: 1-line block ×24, first 2 shown]
                                        ; implicit-def: $sgpr34_sgpr35
                                        ; implicit-def: $vgpr2_vgpr3
	s_and_saveexec_b64 s[30:31], vcc
	s_cbranch_execz .LBB2004_121
; %bb.104:
	v_cmp_ne_u32_e32 vcc, v19, v16
	v_mov_b32_e32 v3, s62
	v_add_u32_e32 v2, 13, v78
	v_cndmask_b32_e32 v103, v4, v3, vcc
	v_mov_b32_e32 v3, s63
	v_cndmask_b32_e64 v116, 0, 1, vcc
	v_cndmask_b32_e32 v102, v5, v3, vcc
	v_cmp_gt_u32_e32 vcc, s66, v2
	v_mov_b32_e32 v62, 0
	v_mov_b32_e32 v50, 0
	;; [unrolled: 1-line block ×21, first 2 shown]
                                        ; implicit-def: $sgpr38_sgpr39
                                        ; implicit-def: $vgpr2_vgpr3
	s_and_saveexec_b64 s[34:35], vcc
	s_cbranch_execz .LBB2004_120
; %bb.105:
	ds_read2_b64 v[2:5], v30 offset0:13 offset1:14
	v_cmp_ne_u32_e32 vcc, v16, v17
	v_mov_b32_e32 v16, s62
	v_add_u32_e32 v18, 14, v78
	v_cndmask_b32_e64 v117, 0, 1, vcc
	s_waitcnt lgkmcnt(0)
	v_cndmask_b32_e32 v44, v2, v16, vcc
	v_mov_b32_e32 v2, s63
	v_cndmask_b32_e32 v45, v3, v2, vcc
	v_cmp_gt_u32_e32 vcc, s66, v18
	s_mov_b64 s[40:41], 0
	v_mov_b32_e32 v62, 0
	v_mov_b32_e32 v50, 0
	;; [unrolled: 1-line block ×18, first 2 shown]
                                        ; implicit-def: $sgpr38_sgpr39
                                        ; implicit-def: $vgpr2_vgpr3
	s_and_saveexec_b64 s[36:37], vcc
	s_cbranch_execz .LBB2004_119
; %bb.106:
	v_cmp_ne_u32_e32 vcc, v17, v14
	v_mov_b32_e32 v3, s62
	v_add_u32_e32 v2, 15, v78
	v_cndmask_b32_e32 v46, v4, v3, vcc
	v_mov_b32_e32 v3, s63
	v_cndmask_b32_e64 v118, 0, 1, vcc
	v_cndmask_b32_e32 v47, v5, v3, vcc
	v_cmp_gt_u32_e32 vcc, s66, v2
	v_mov_b32_e32 v62, 0
	v_mov_b32_e32 v50, 0
	;; [unrolled: 1-line block ×15, first 2 shown]
                                        ; implicit-def: $sgpr42_sgpr43
                                        ; implicit-def: $vgpr2_vgpr3
	s_and_saveexec_b64 s[38:39], vcc
	s_cbranch_execz .LBB2004_118
; %bb.107:
	ds_read2_b64 v[2:5], v30 offset0:15 offset1:16
	v_cmp_ne_u32_e32 vcc, v14, v15
	v_mov_b32_e32 v14, s62
	v_add_u32_e32 v16, 16, v78
	v_cndmask_b32_e64 v119, 0, 1, vcc
	s_waitcnt lgkmcnt(0)
	v_cndmask_b32_e32 v48, v2, v14, vcc
	v_mov_b32_e32 v2, s63
	v_cndmask_b32_e32 v49, v3, v2, vcc
	v_cmp_gt_u32_e32 vcc, s66, v16
	s_mov_b64 s[44:45], 0
	v_mov_b32_e32 v62, 0
	v_mov_b32_e32 v50, 0
	;; [unrolled: 1-line block ×12, first 2 shown]
                                        ; implicit-def: $sgpr42_sgpr43
                                        ; implicit-def: $vgpr2_vgpr3
	s_and_saveexec_b64 s[40:41], vcc
	s_cbranch_execz .LBB2004_117
; %bb.108:
	v_cmp_ne_u32_e32 vcc, v15, v12
	v_mov_b32_e32 v3, s62
	v_add_u32_e32 v2, 17, v78
	v_cndmask_b32_e32 v108, v4, v3, vcc
	v_mov_b32_e32 v3, s63
	v_cndmask_b32_e64 v120, 0, 1, vcc
	v_cndmask_b32_e32 v107, v5, v3, vcc
	v_cmp_gt_u32_e32 vcc, s66, v2
	v_mov_b32_e32 v62, 0
	v_mov_b32_e32 v50, 0
	v_mov_b32_e32 v105, 0
	v_mov_b32_e32 v122, 0
	v_mov_b32_e32 v111, 0
	v_mov_b32_e32 v113, 0
	v_mov_b32_e32 v121, 0
	v_mov_b32_e32 v109, 0
	v_mov_b32_e32 v110, 0
                                        ; implicit-def: $sgpr46_sgpr47
                                        ; implicit-def: $vgpr2_vgpr3
	s_and_saveexec_b64 s[42:43], vcc
	s_cbranch_execz .LBB2004_116
; %bb.109:
	ds_read2_b64 v[2:5], v30 offset0:17 offset1:18
	v_cmp_ne_u32_e32 vcc, v12, v13
	v_mov_b32_e32 v12, s62
	v_add_u32_e32 v14, 18, v78
	v_cndmask_b32_e64 v121, 0, 1, vcc
	s_waitcnt lgkmcnt(0)
	v_cndmask_b32_e32 v110, v2, v12, vcc
	v_mov_b32_e32 v2, s63
	v_cndmask_b32_e32 v109, v3, v2, vcc
	v_cmp_gt_u32_e32 vcc, s66, v14
	s_mov_b64 s[48:49], 0
	v_mov_b32_e32 v62, 0
	v_mov_b32_e32 v50, 0
	;; [unrolled: 1-line block ×6, first 2 shown]
                                        ; implicit-def: $sgpr46_sgpr47
                                        ; implicit-def: $vgpr2_vgpr3
	s_and_saveexec_b64 s[44:45], vcc
	s_cbranch_execz .LBB2004_115
; %bb.110:
	v_cmp_ne_u32_e32 vcc, v13, v10
	v_mov_b32_e32 v3, s62
	v_add_u32_e32 v2, 19, v78
	v_cndmask_b32_e32 v113, v4, v3, vcc
	v_mov_b32_e32 v3, s63
	v_cndmask_b32_e64 v122, 0, 1, vcc
	v_cndmask_b32_e32 v111, v5, v3, vcc
	v_cmp_gt_u32_e32 vcc, s66, v2
	v_mov_b32_e32 v62, 0
	v_mov_b32_e32 v50, 0
	;; [unrolled: 1-line block ×3, first 2 shown]
                                        ; implicit-def: $sgpr56_sgpr57
                                        ; implicit-def: $vgpr2_vgpr3
	s_and_saveexec_b64 s[46:47], vcc
	s_cbranch_execz .LBB2004_114
; %bb.111:
	ds_read2_b64 v[2:5], v30 offset0:19 offset1:20
	v_cmp_ne_u32_e32 vcc, v10, v11
	v_mov_b32_e32 v10, s62
	v_add_u32_e32 v12, 20, v78
	v_cndmask_b32_e64 v62, 0, 1, vcc
	s_waitcnt lgkmcnt(0)
	v_cndmask_b32_e32 v105, v2, v10, vcc
	v_mov_b32_e32 v2, s63
	v_cndmask_b32_e32 v50, v3, v2, vcc
	v_cmp_gt_u32_e32 vcc, s66, v12
                                        ; implicit-def: $sgpr56_sgpr57
                                        ; implicit-def: $vgpr2_vgpr3
	s_and_saveexec_b64 s[66:67], vcc
	s_xor_b64 s[66:67], exec, s[66:67]
; %bb.112:
	v_mov_b32_e32 v2, s63
	v_cmp_ne_u32_e32 vcc, v11, v1
	v_mov_b32_e32 v1, s62
	s_mov_b64 s[48:49], exec
	v_cndmask_b32_e32 v3, v5, v2, vcc
	v_cndmask_b32_e32 v2, v4, v1, vcc
	s_and_b64 s[56:57], vcc, exec
; %bb.113:
	s_or_b64 exec, exec, s[66:67]
	s_and_b64 s[56:57], s[56:57], exec
	s_and_b64 s[48:49], s[48:49], exec
.LBB2004_114:
	s_or_b64 exec, exec, s[46:47]
	s_and_b64 s[46:47], s[56:57], exec
	s_and_b64 s[48:49], s[48:49], exec
.LBB2004_115:
	s_or_b64 exec, exec, s[44:45]
	s_and_b64 s[46:47], s[46:47], exec
	s_and_b64 s[44:45], s[48:49], exec
.LBB2004_116:
	s_or_b64 exec, exec, s[42:43]
	s_and_b64 s[42:43], s[46:47], exec
	s_and_b64 s[44:45], s[44:45], exec
.LBB2004_117:
	s_or_b64 exec, exec, s[40:41]
	s_and_b64 s[42:43], s[42:43], exec
	s_and_b64 s[40:41], s[44:45], exec
.LBB2004_118:
	s_or_b64 exec, exec, s[38:39]
	s_and_b64 s[38:39], s[42:43], exec
	s_and_b64 s[40:41], s[40:41], exec
.LBB2004_119:
	s_or_b64 exec, exec, s[36:37]
	s_and_b64 s[38:39], s[38:39], exec
	s_and_b64 s[36:37], s[40:41], exec
.LBB2004_120:
	s_or_b64 exec, exec, s[34:35]
	s_and_b64 s[34:35], s[38:39], exec
	s_and_b64 s[36:37], s[36:37], exec
.LBB2004_121:
	s_or_b64 exec, exec, s[30:31]
	s_and_b64 s[34:35], s[34:35], exec
	s_and_b64 s[30:31], s[36:37], exec
.LBB2004_122:
	s_or_b64 exec, exec, s[28:29]
	s_and_b64 s[28:29], s[34:35], exec
	s_and_b64 s[30:31], s[30:31], exec
.LBB2004_123:
	s_or_b64 exec, exec, s[26:27]
	s_and_b64 s[28:29], s[28:29], exec
	s_and_b64 s[26:27], s[30:31], exec
.LBB2004_124:
	s_or_b64 exec, exec, s[24:25]
	s_and_b64 s[24:25], s[28:29], exec
	s_and_b64 s[26:27], s[26:27], exec
.LBB2004_125:
	s_or_b64 exec, exec, s[22:23]
	s_and_b64 s[24:25], s[24:25], exec
	s_and_b64 s[22:23], s[26:27], exec
.LBB2004_126:
	s_or_b64 exec, exec, s[20:21]
	s_and_b64 s[20:21], s[24:25], exec
	s_and_b64 s[22:23], s[22:23], exec
.LBB2004_127:
	s_or_b64 exec, exec, s[18:19]
	s_and_b64 s[20:21], s[20:21], exec
	s_and_b64 s[18:19], s[22:23], exec
.LBB2004_128:
	s_or_b64 exec, exec, s[16:17]
	s_and_b64 s[16:17], s[20:21], exec
	s_and_b64 s[18:19], s[18:19], exec
.LBB2004_129:
	s_or_b64 exec, exec, s[14:15]
	s_and_b64 s[16:17], s[16:17], exec
	s_and_b64 s[14:15], s[18:19], exec
.LBB2004_130:
	s_or_b64 exec, exec, s[12:13]
	s_and_b64 s[12:13], s[16:17], exec
	s_and_b64 s[14:15], s[14:15], exec
.LBB2004_131:
	s_or_b64 exec, exec, s[10:11]
	s_and_b64 s[12:13], s[12:13], exec
	s_and_b64 s[10:11], s[14:15], exec
.LBB2004_132:
	s_or_b64 exec, exec, s[8:9]
	s_and_b64 s[8:9], s[12:13], exec
	s_and_b64 s[10:11], s[10:11], exec
.LBB2004_133:
	s_or_b64 exec, exec, s[6:7]
	s_mov_b32 s6, 0
	s_and_b64 vcc, exec, s[4:5]
	s_cbranch_vccnz .LBB2004_135
	s_branch .LBB2004_138
.LBB2004_134:
	s_mov_b64 s[10:11], 0
                                        ; kill: def $vgpr1 killed $sgpr0 killed $exec
                                        ; implicit-def: $sgpr8_sgpr9
                                        ; implicit-def: $vgpr70
                                        ; implicit-def: $vgpr2_vgpr3
                                        ; implicit-def: $vgpr62
                                        ; implicit-def: $vgpr50
                                        ; implicit-def: $vgpr105
                                        ; implicit-def: $vgpr122
                                        ; implicit-def: $vgpr111
                                        ; implicit-def: $vgpr113
                                        ; implicit-def: $vgpr121
                                        ; implicit-def: $vgpr109
                                        ; implicit-def: $vgpr110
                                        ; implicit-def: $vgpr120
                                        ; implicit-def: $vgpr107
                                        ; implicit-def: $vgpr108
                                        ; implicit-def: $vgpr119
                                        ; implicit-def: $vgpr49
                                        ; implicit-def: $vgpr118
                                        ; implicit-def: $vgpr47
                                        ; implicit-def: $vgpr117
                                        ; implicit-def: $vgpr45
                                        ; implicit-def: $vgpr116
                                        ; implicit-def: $vgpr102
                                        ; implicit-def: $vgpr103
                                        ; implicit-def: $vgpr115
                                        ; implicit-def: $vgpr92
                                        ; implicit-def: $vgpr96
                                        ; implicit-def: $vgpr114
                                        ; implicit-def: $vgpr76
                                        ; implicit-def: $vgpr77
                                        ; implicit-def: $vgpr112
                                        ; implicit-def: $vgpr73
                                        ; implicit-def: $vgpr74
                                        ; implicit-def: $vgpr106
                                        ; implicit-def: $vgpr69
                                        ; implicit-def: $vgpr71
                                        ; implicit-def: $vgpr104
                                        ; implicit-def: $vgpr67
                                        ; implicit-def: $vgpr68
                                        ; implicit-def: $vgpr95
                                        ; implicit-def: $vgpr64
                                        ; implicit-def: $vgpr65
                                        ; implicit-def: $vgpr75
                                        ; implicit-def: $vgpr60
                                        ; implicit-def: $vgpr61
                                        ; implicit-def: $vgpr72
                                        ; implicit-def: $vgpr57
                                        ; implicit-def: $vgpr58
                                        ; implicit-def: $vgpr66
                                        ; implicit-def: $vgpr55
                                        ; implicit-def: $vgpr56
                                        ; implicit-def: $vgpr63
                                        ; implicit-def: $vgpr53
                                        ; implicit-def: $vgpr54
                                        ; implicit-def: $vgpr59
                                        ; implicit-def: $vgpr51
                                        ; implicit-def: $vgpr52
                                        ; implicit-def: $vgpr42_vgpr43
                                        ; implicit-def: $sgpr6
                                        ; implicit-def: $sgpr68
	s_and_b64 vcc, exec, s[4:5]
	s_cbranch_vccz .LBB2004_138
.LBB2004_135:
	v_mov_b32_e32 v11, 0
	v_lshlrev_b32_e32 v10, 2, v0
	v_lshl_add_u64 v[2:3], v[8:9], 0, v[10:11]
	v_add_co_u32_e32 v4, vcc, 0x1000, v2
	s_movk_i32 s4, 0x50
	s_nop 0
	v_addc_co_u32_e32 v5, vcc, 0, v3, vcc
	flat_load_dword v1, v[2:3]
	flat_load_dword v14, v[2:3] offset:1024
	flat_load_dword v15, v[2:3] offset:2048
	;; [unrolled: 1-line block ×3, first 2 shown]
	flat_load_dword v17, v[4:5]
	flat_load_dword v18, v[4:5] offset:1024
	flat_load_dword v19, v[4:5] offset:2048
	;; [unrolled: 1-line block ×3, first 2 shown]
	v_add_co_u32_e32 v4, vcc, 0x2000, v2
	s_movk_i32 s10, 0x1000
	s_nop 0
	v_addc_co_u32_e32 v5, vcc, 0, v3, vcc
	v_add_co_u32_e32 v12, vcc, 0x3000, v2
	s_movk_i32 s9, 0x2000
	s_nop 0
	v_addc_co_u32_e32 v13, vcc, 0, v3, vcc
	flat_load_dword v21, v[4:5]
	flat_load_dword v22, v[4:5] offset:1024
	flat_load_dword v23, v[4:5] offset:2048
	;; [unrolled: 1-line block ×3, first 2 shown]
	flat_load_dword v25, v[12:13]
	flat_load_dword v26, v[12:13] offset:1024
	flat_load_dword v27, v[12:13] offset:2048
	;; [unrolled: 1-line block ×3, first 2 shown]
	v_add_co_u32_e32 v4, vcc, 0x4000, v2
	s_movk_i32 s8, 0x3000
	s_nop 0
	v_addc_co_u32_e32 v5, vcc, 0, v3, vcc
	v_add_co_u32_e32 v2, vcc, 0x5000, v2
	s_movk_i32 s7, 0x4000
	s_nop 0
	v_addc_co_u32_e32 v3, vcc, 0, v3, vcc
	flat_load_dword v12, v[4:5]
	flat_load_dword v13, v[4:5] offset:1024
	flat_load_dword v29, v[4:5] offset:2048
	;; [unrolled: 1-line block ×3, first 2 shown]
	flat_load_dword v31, v[2:3]
	v_add_co_u32_e32 v2, vcc, 0x5000, v8
	s_movk_i32 s6, 0x5000
	s_nop 0
	v_addc_co_u32_e32 v3, vcc, 0, v9, vcc
	s_waitcnt vmcnt(0) lgkmcnt(0)
	ds_write2st64_b32 v10, v1, v14 offset1:4
	ds_write2st64_b32 v10, v15, v16 offset0:8 offset1:12
	ds_write2st64_b32 v10, v17, v18 offset0:16 offset1:20
	ds_write2st64_b32 v10, v19, v20 offset0:24 offset1:28
	ds_write2st64_b32 v10, v21, v22 offset0:32 offset1:36
	ds_write2st64_b32 v10, v23, v24 offset0:40 offset1:44
	ds_write2st64_b32 v10, v25, v26 offset0:48 offset1:52
	ds_write2st64_b32 v10, v27, v28 offset0:56 offset1:60
	ds_write2st64_b32 v10, v12, v13 offset0:64 offset1:68
	ds_write2st64_b32 v10, v29, v30 offset0:72 offset1:76
	ds_write_b32 v10, v31 offset:20480
	s_waitcnt lgkmcnt(0)
	s_barrier
	flat_load_dword v1, v[2:3] offset:1024
	v_mad_u32_u24 v27, v0, s4, v10
	s_movk_i32 s4, 0xffb0
	ds_read_b32 v26, v27
	ds_read2_b32 v[4:5], v27 offset0:1 offset1:2
	ds_read2_b32 v[24:25], v27 offset0:3 offset1:4
	;; [unrolled: 1-line block ×10, first 2 shown]
	v_mad_i32_i24 v27, v0, s4, v27
	s_movk_i32 s4, 0xff
	v_cmp_ne_u32_e32 vcc, s4, v0
	s_waitcnt lgkmcnt(0)
	ds_write_b32 v27, v26 offset:22528
	s_waitcnt lgkmcnt(0)
	s_barrier
	s_and_saveexec_b64 s[4:5], vcc
	s_cbranch_execz .LBB2004_137
; %bb.136:
	s_waitcnt vmcnt(0)
	ds_read_b32 v1, v10 offset:22532
.LBB2004_137:
	s_or_b64 exec, exec, s[4:5]
	v_lshlrev_b32_e32 v10, 3, v0
	v_lshl_add_u64 v[6:7], v[6:7], 0, v[10:11]
	v_add_co_u32_e32 v10, vcc, s10, v6
	s_waitcnt lgkmcnt(0)
	s_nop 0
	v_addc_co_u32_e32 v11, vcc, 0, v7, vcc
	s_barrier
	flat_load_dwordx2 v[28:29], v[6:7]
	flat_load_dwordx2 v[30:31], v[6:7] offset:2048
	flat_load_dwordx2 v[32:33], v[10:11]
	flat_load_dwordx2 v[34:35], v[10:11] offset:2048
	v_add_co_u32_e32 v10, vcc, s9, v6
	s_movk_i32 s4, 0x6000
	s_nop 0
	v_addc_co_u32_e32 v11, vcc, 0, v7, vcc
	v_add_co_u32_e32 v36, vcc, s8, v6
	v_cmp_ne_u32_e64 s[38:39], v9, v2
	s_nop 0
	v_addc_co_u32_e32 v37, vcc, 0, v7, vcc
	flat_load_dwordx2 v[38:39], v[10:11]
	flat_load_dwordx2 v[42:43], v[10:11] offset:2048
	flat_load_dwordx2 v[44:45], v[36:37]
	flat_load_dwordx2 v[46:47], v[36:37] offset:2048
	v_add_co_u32_e32 v10, vcc, s7, v6
	v_cmp_ne_u32_e64 s[40:41], v2, v3
	s_nop 0
	v_addc_co_u32_e32 v11, vcc, 0, v7, vcc
	v_add_co_u32_e32 v36, vcc, s6, v6
	v_lshl_add_u32 v2, v0, 2, v27
	s_nop 0
	v_addc_co_u32_e32 v37, vcc, 0, v7, vcc
	flat_load_dwordx2 v[48:49], v[10:11]
	flat_load_dwordx2 v[50:51], v[10:11] offset:2048
	flat_load_dwordx2 v[52:53], v[36:37]
	flat_load_dwordx2 v[54:55], v[36:37] offset:2048
	v_add_co_u32_e32 v10, vcc, s4, v6
	s_movk_i32 s4, 0x7000
	s_nop 0
	v_addc_co_u32_e32 v11, vcc, 0, v7, vcc
	v_add_co_u32_e32 v36, vcc, s4, v6
	s_mov_b32 s4, 0x8000
	s_nop 0
	v_addc_co_u32_e32 v37, vcc, 0, v7, vcc
	flat_load_dwordx2 v[56:57], v[10:11]
	flat_load_dwordx2 v[60:61], v[10:11] offset:2048
	flat_load_dwordx2 v[64:65], v[36:37]
	flat_load_dwordx2 v[68:69], v[36:37] offset:2048
	v_add_co_u32_e32 v10, vcc, s4, v6
	s_mov_b32 s4, 0x9000
	s_nop 0
	v_addc_co_u32_e32 v11, vcc, 0, v7, vcc
	v_add_co_u32_e32 v36, vcc, s4, v6
	s_mov_b32 s4, 0xa000
	s_nop 0
	v_addc_co_u32_e32 v37, vcc, 0, v7, vcc
	flat_load_dwordx2 v[70:71], v[10:11]
	flat_load_dwordx2 v[76:77], v[10:11] offset:2048
	flat_load_dwordx2 v[78:79], v[36:37]
	flat_load_dwordx2 v[80:81], v[36:37] offset:2048
	v_add_co_u32_e32 v6, vcc, s4, v6
	s_movk_i32 s42, 0xa0
	s_nop 0
	v_addc_co_u32_e32 v7, vcc, 0, v7, vcc
	flat_load_dwordx2 v[6:7], v[6:7]
	v_cmp_ne_u32_e64 s[4:5], v5, v24
	v_cmp_ne_u32_e64 s[6:7], v24, v25
	;; [unrolled: 1-line block ×16, first 2 shown]
	v_cmp_ne_u32_e32 vcc, v4, v5
	v_cndmask_b32_e64 v72, 0, 1, s[8:9]
	v_cndmask_b32_e64 v63, 0, 1, s[4:5]
	v_cndmask_b32_e64 v59, 0, 1, vcc
	v_cndmask_b32_e64 v66, 0, 1, s[6:7]
	v_cndmask_b32_e64 v75, 0, 1, s[10:11]
	;; [unrolled: 1-line block ×16, first 2 shown]
                                        ; implicit-def: $sgpr68
	s_waitcnt vmcnt(0) lgkmcnt(0)
	ds_write2st64_b64 v2, v[28:29], v[30:31] offset1:4
	ds_write2st64_b64 v2, v[32:33], v[34:35] offset0:8 offset1:12
	ds_write2st64_b64 v2, v[38:39], v[42:43] offset0:16 offset1:20
	;; [unrolled: 1-line block ×9, first 2 shown]
	ds_write_b64 v2, v[6:7] offset:40960
	v_mad_u32_u24 v2, v0, s42, v2
	s_waitcnt lgkmcnt(0)
	s_barrier
	ds_read2_b64 v[6:9], v2 offset1:1
	ds_read2_b64 v[10:13], v2 offset0:2 offset1:3
	ds_read2_b64 v[14:17], v2 offset0:4 offset1:5
	ds_read2_b64 v[18:21], v2 offset0:6 offset1:7
	ds_read2_b64 v[22:25], v2 offset0:8 offset1:9
	ds_read2_b64 v[28:31], v2 offset0:10 offset1:11
	ds_read2_b64 v[32:35], v2 offset0:12 offset1:13
	ds_read2_b64 v[36:39], v2 offset0:14 offset1:15
	ds_read2_b64 v[78:81], v2 offset0:16 offset1:17
	ds_read2_b64 v[82:85], v2 offset0:18 offset1:19
	ds_read_b64 v[86:87], v2 offset:160
	v_mov_b32_e32 v2, s63
	v_cmp_ne_u32_e64 s[42:43], v26, v4
	v_mov_b32_e32 v4, s62
	s_waitcnt lgkmcnt(8)
	v_cndmask_b32_e64 v58, v14, v4, s[8:9]
	v_cndmask_b32_e64 v57, v15, v2, s[8:9]
	v_cmp_ne_u32_e64 s[8:9], v3, v1
	v_cndmask_b32_e64 v43, v7, v2, s[42:43]
	v_cndmask_b32_e64 v42, v6, v4, s[42:43]
	;; [unrolled: 1-line block ×3, first 2 shown]
	v_cndmask_b32_e32 v52, v8, v4, vcc
	v_cndmask_b32_e32 v51, v9, v2, vcc
	v_cndmask_b32_e64 v54, v10, v4, s[4:5]
	v_cndmask_b32_e64 v53, v11, v2, s[4:5]
	;; [unrolled: 1-line block ×6, first 2 shown]
	s_waitcnt lgkmcnt(7)
	v_cndmask_b32_e64 v65, v18, v4, s[12:13]
	v_cndmask_b32_e64 v64, v19, v2, s[12:13]
	v_cndmask_b32_e64 v68, v20, v4, s[14:15]
	v_cndmask_b32_e64 v67, v21, v2, s[14:15]
	s_waitcnt lgkmcnt(6)
	v_cndmask_b32_e64 v71, v22, v4, s[16:17]
	v_cndmask_b32_e64 v69, v23, v2, s[16:17]
	v_cndmask_b32_e64 v74, v24, v4, s[18:19]
	v_cndmask_b32_e64 v73, v25, v2, s[18:19]
	;; [unrolled: 5-line block ×7, first 2 shown]
	s_waitcnt lgkmcnt(0)
	v_cndmask_b32_e64 v3, v87, v2, s[8:9]
	v_cndmask_b32_e64 v2, v86, v4, s[8:9]
	s_mov_b64 s[10:11], -1
                                        ; kill: def $vgpr1 killed $sgpr0 killed $exec
                                        ; implicit-def: $sgpr6
.LBB2004_138:
	v_mov_b32_e32 v124, s68
	v_mov_b32_e32 v125, s68
	;; [unrolled: 1-line block ×3, first 2 shown]
	s_and_saveexec_b64 s[4:5], s[10:11]
; %bb.139:
	v_cndmask_b32_e64 v123, 0, 1, s[8:9]
	v_mov_b32_e32 v124, v2
	v_mov_b32_e32 v125, v3
; %bb.140:
	s_or_b64 exec, exec, s[4:5]
	v_or_b32_e32 v1, v123, v62
	s_cmp_lg_u32 s55, 0
	v_or_b32_e32 v127, v1, v122
	v_mbcnt_lo_u32_b32 v126, -1, 0
	s_barrier
	s_cbranch_scc0 .LBB2004_209
; %bb.141:
	v_mov_b32_e32 v1, 0
	v_cmp_eq_u16_sdwa s[4:5], v59, v1 src0_sel:BYTE_0 src1_sel:DWORD
	v_cmp_eq_u16_sdwa s[6:7], v63, v1 src0_sel:BYTE_0 src1_sel:DWORD
	;; [unrolled: 1-line block ×3, first 2 shown]
	v_cndmask_b32_e64 v2, 0, v42, s[4:5]
	v_add_u32_e32 v2, v2, v52
	v_cndmask_b32_e64 v3, 0, v43, s[4:5]
	v_add_u32_e32 v3, v3, v51
	;; [unrolled: 2-line block ×5, first 2 shown]
	v_cndmask_b32_e64 v3, 0, v3, s[8:9]
	v_cmp_eq_u16_sdwa s[10:11], v72, v1 src0_sel:BYTE_0 src1_sel:DWORD
	v_add_u32_e32 v3, v3, v55
	v_cmp_eq_u16_sdwa s[12:13], v75, v1 src0_sel:BYTE_0 src1_sel:DWORD
	v_cndmask_b32_e64 v2, 0, v2, s[10:11]
	v_add_u32_e32 v2, v2, v58
	v_cndmask_b32_e64 v3, 0, v3, s[10:11]
	v_add_u32_e32 v3, v3, v57
	v_cndmask_b32_e64 v2, 0, v2, s[12:13]
	v_add_u32_e32 v2, v2, v61
	v_cndmask_b32_e64 v3, 0, v3, s[12:13]
	v_cmp_eq_u16_sdwa s[14:15], v95, v1 src0_sel:BYTE_0 src1_sel:DWORD
	v_add_u32_e32 v3, v3, v60
	v_cmp_eq_u16_sdwa s[16:17], v104, v1 src0_sel:BYTE_0 src1_sel:DWORD
	v_cndmask_b32_e64 v2, 0, v2, s[14:15]
	v_add_u32_e32 v2, v2, v65
	v_cndmask_b32_e64 v3, 0, v3, s[14:15]
	v_add_u32_e32 v3, v3, v64
	v_cndmask_b32_e64 v2, 0, v2, s[16:17]
	v_add_u32_e32 v2, v2, v68
	;; [unrolled: 10-line block ×8, first 2 shown]
	v_cndmask_b32_e64 v3, 0, v3, s[42:43]
	v_cmp_eq_u16_sdwa vcc, v123, v1 src0_sel:BYTE_0 src1_sel:DWORD
	v_add_u32_e32 v3, v3, v50
	v_mbcnt_hi_u32_b32 v11, -1, v126
	v_cndmask_b32_e32 v1, 0, v2, vcc
	v_add_u32_e32 v2, v1, v124
	v_cndmask_b32_e32 v1, 0, v3, vcc
	v_or_b32_e32 v3, v127, v121
	v_or_b32_e32 v3, v3, v120
	;; [unrolled: 1-line block ×17, first 2 shown]
	v_and_b32_e32 v3, 1, v3
	v_cmp_eq_u32_e32 vcc, 1, v3
	v_add_u32_e32 v1, v1, v125
	v_and_b32_e32 v4, 15, v11
	v_cndmask_b32_e64 v3, v70, 1, vcc
	v_mov_b32_dpp v5, v2 row_shr:1 row_mask:0xf bank_mask:0xf
	v_mov_b32_dpp v6, v1 row_shr:1 row_mask:0xf bank_mask:0xf
	;; [unrolled: 1-line block ×3, first 2 shown]
	v_cmp_ne_u32_e32 vcc, 0, v4
	s_and_saveexec_b64 s[44:45], vcc
; %bb.142:
	v_cmp_eq_u32_e32 vcc, 0, v3
	v_and_or_b32 v3, v7, 1, v3
	s_nop 0
	v_cndmask_b32_e32 v5, 0, v5, vcc
	v_add_u32_e32 v2, v5, v2
	v_cndmask_b32_e32 v5, 0, v6, vcc
	v_add_u32_e32 v1, v5, v1
; %bb.143:
	s_or_b64 exec, exec, s[44:45]
	v_mov_b32_dpp v6, v2 row_shr:2 row_mask:0xf bank_mask:0xf
	v_mov_b32_dpp v7, v1 row_shr:2 row_mask:0xf bank_mask:0xf
	v_mov_b32_dpp v5, v3 row_shr:2 row_mask:0xf bank_mask:0xf
	v_cmp_lt_u32_e32 vcc, 1, v4
	s_and_saveexec_b64 s[44:45], vcc
; %bb.144:
	v_add_u32_e32 v6, v6, v2
	v_add_u32_e32 v7, v7, v1
	v_cmp_eq_u32_e32 vcc, 0, v3
	v_or_b32_e32 v3, v5, v3
	v_and_b32_e32 v3, 1, v3
	v_cndmask_b32_e32 v2, v2, v6, vcc
	v_cndmask_b32_e32 v1, v1, v7, vcc
; %bb.145:
	s_or_b64 exec, exec, s[44:45]
	v_mov_b32_dpp v6, v2 row_shr:4 row_mask:0xf bank_mask:0xf
	v_mov_b32_dpp v7, v1 row_shr:4 row_mask:0xf bank_mask:0xf
	v_mov_b32_dpp v5, v3 row_shr:4 row_mask:0xf bank_mask:0xf
	v_cmp_lt_u32_e32 vcc, 3, v4
	s_and_saveexec_b64 s[44:45], vcc
; %bb.146:
	v_add_u32_e32 v6, v6, v2
	v_add_u32_e32 v7, v7, v1
	v_cmp_eq_u32_e32 vcc, 0, v3
	v_or_b32_e32 v3, v5, v3
	v_and_b32_e32 v3, 1, v3
	v_cndmask_b32_e32 v2, v2, v6, vcc
	v_cndmask_b32_e32 v1, v1, v7, vcc
	;; [unrolled: 15-line block ×3, first 2 shown]
; %bb.149:
	s_or_b64 exec, exec, s[44:45]
	v_and_b32_e32 v7, 16, v11
	v_mov_b32_dpp v5, v2 row_bcast:15 row_mask:0xf bank_mask:0xf
	v_mov_b32_dpp v6, v1 row_bcast:15 row_mask:0xf bank_mask:0xf
	;; [unrolled: 1-line block ×3, first 2 shown]
	v_cmp_ne_u32_e32 vcc, 0, v7
	s_and_saveexec_b64 s[44:45], vcc
; %bb.150:
	v_add_u32_e32 v5, v5, v2
	v_add_u32_e32 v6, v6, v1
	v_cmp_eq_u32_e32 vcc, 0, v3
	v_or_b32_e32 v3, v4, v3
	v_and_b32_e32 v3, 1, v3
	v_cndmask_b32_e32 v2, v2, v5, vcc
	v_cndmask_b32_e32 v1, v1, v6, vcc
; %bb.151:
	s_or_b64 exec, exec, s[44:45]
	v_mov_b32_dpp v6, v2 row_bcast:31 row_mask:0xf bank_mask:0xf
	v_mov_b32_dpp v7, v1 row_bcast:31 row_mask:0xf bank_mask:0xf
	;; [unrolled: 1-line block ×3, first 2 shown]
	v_cmp_lt_u32_e32 vcc, 31, v11
	v_mov_b32_e32 v4, v3
	s_and_saveexec_b64 s[44:45], vcc
; %bb.152:
	v_add_u32_e32 v4, v6, v2
	v_add_u32_e32 v6, v7, v1
	v_cmp_eq_u32_e32 vcc, 0, v3
	v_or_b32_e32 v3, v5, v3
	s_nop 0
	v_cndmask_b32_e32 v2, v2, v4, vcc
	v_cndmask_b32_e32 v1, v1, v6, vcc
	v_and_b32_e32 v4, 1, v3
	v_and_b32_e32 v3, 1, v3
; %bb.153:
	s_or_b64 exec, exec, s[44:45]
	v_or_b32_e32 v5, 63, v0
	v_lshrrev_b32_e32 v8, 6, v0
	v_cmp_eq_u32_e32 vcc, v5, v0
	s_and_saveexec_b64 s[44:45], vcc
	s_cbranch_execz .LBB2004_155
; %bb.154:
	v_mul_u32_u24_e32 v5, 12, v8
	ds_write2_b32 v5, v2, v1 offset1:1
	ds_write_b8 v5, v4 offset:8
.LBB2004_155:
	s_or_b64 exec, exec, s[44:45]
	v_cmp_gt_u32_e32 vcc, 4, v0
	s_waitcnt lgkmcnt(0)
	s_barrier
	s_and_saveexec_b64 s[44:45], vcc
	s_cbranch_execz .LBB2004_161
; %bb.156:
	v_mul_u32_u24_e32 v6, 12, v0
	ds_read2_b32 v[4:5], v6 offset1:1
	ds_read_b32 v7, v6 offset:8
	v_and_b32_e32 v9, 3, v11
	v_cmp_ne_u32_e32 vcc, 0, v9
	s_waitcnt lgkmcnt(1)
	v_mov_b32_dpp v14, v4 row_shr:1 row_mask:0xf bank_mask:0xf
	v_mov_b32_dpp v12, v5 row_shr:1 row_mask:0xf bank_mask:0xf
	s_waitcnt lgkmcnt(0)
	v_mov_b32_dpp v13, v7 row_shr:1 row_mask:0xf bank_mask:0xf
	v_mov_b32_e32 v10, v7
	s_and_saveexec_b64 s[46:47], vcc
; %bb.157:
	v_mov_b32_e32 v10, 0
	v_cmp_eq_u16_sdwa vcc, v7, v10 src0_sel:BYTE_0 src1_sel:DWORD
	s_movk_i32 s48, 0xff00
	s_nop 0
	v_cndmask_b32_e32 v10, 0, v14, vcc
	v_add_u32_e32 v4, v10, v4
	v_cndmask_b32_e32 v10, 0, v12, vcc
	v_add_u32_e32 v5, v10, v5
	v_or_b32_e32 v10, v13, v7
	v_and_b32_e32 v10, 1, v10
	v_and_or_b32 v7, v7, s48, v10
; %bb.158:
	s_or_b64 exec, exec, s[46:47]
	v_mov_b32_dpp v13, v4 row_shr:2 row_mask:0xf bank_mask:0xf
	v_mov_b32_dpp v14, v5 row_shr:2 row_mask:0xf bank_mask:0xf
	;; [unrolled: 1-line block ×3, first 2 shown]
	v_cmp_lt_u32_e32 vcc, 1, v9
	s_and_saveexec_b64 s[46:47], vcc
; %bb.159:
	v_mov_b32_e32 v7, 0
	v_add_u32_e32 v9, v13, v4
	v_add_u32_e32 v13, v14, v5
	v_cmp_eq_u16_sdwa vcc, v10, v7 src0_sel:BYTE_0 src1_sel:DWORD
	v_or_b32_e32 v7, v12, v10
	v_and_b32_e32 v7, 1, v7
	v_cndmask_b32_e32 v4, v4, v9, vcc
	v_cndmask_b32_e32 v5, v5, v13, vcc
; %bb.160:
	s_or_b64 exec, exec, s[46:47]
	ds_write2_b32 v6, v4, v5 offset1:1
	ds_write_b8 v6, v7 offset:8
.LBB2004_161:
	s_or_b64 exec, exec, s[44:45]
	v_cmp_gt_u32_e32 vcc, 64, v0
	v_cmp_lt_u32_e64 s[44:45], 63, v0
	v_mov_b32_e32 v17, 0
	v_mov_b64_e32 v[6:7], 0
	s_waitcnt lgkmcnt(0)
	s_barrier
	s_and_saveexec_b64 s[46:47], s[44:45]
	s_cbranch_execz .LBB2004_163
; %bb.162:
	v_mad_u32_u24 v4, v8, 12, -12
	ds_read2_b32 v[6:7], v4 offset1:1
	ds_read_u8 v17, v4 offset:8
	v_cmp_eq_u32_e64 s[44:45], 0, v3
	v_and_b32_e32 v3, 1, v3
	s_waitcnt lgkmcnt(1)
	v_cndmask_b32_e64 v4, 0, v6, s[44:45]
	v_cndmask_b32_e64 v5, 0, v7, s[44:45]
	v_add_u32_e32 v2, v4, v2
	s_waitcnt lgkmcnt(0)
	v_and_b32_e32 v4, 1, v17
	v_cmp_eq_u32_e64 s[44:45], 1, v3
	v_add_u32_e32 v1, v5, v1
	s_nop 0
	v_cndmask_b32_e64 v3, v4, 1, s[44:45]
.LBB2004_163:
	s_or_b64 exec, exec, s[46:47]
	v_add_u32_e32 v4, -1, v11
	v_and_b32_e32 v5, 64, v11
	v_cmp_lt_i32_e64 s[44:45], v4, v5
	s_nop 1
	v_cndmask_b32_e64 v4, v4, v11, s[44:45]
	v_lshlrev_b32_e32 v4, 2, v4
	ds_bpermute_b32 v19, v4, v2
	ds_bpermute_b32 v21, v4, v1
	;; [unrolled: 1-line block ×3, first 2 shown]
	v_cmp_eq_u32_e64 s[44:45], 0, v11
	s_and_saveexec_b64 s[48:49], vcc
	s_cbranch_execz .LBB2004_208
; %bb.164:
	v_mov_b32_e32 v13, 0
	ds_read2_b32 v[8:9], v13 offset0:9 offset1:10
	ds_read_b32 v24, v13 offset:44
	s_waitcnt lgkmcnt(1)
	v_readfirstlane_b32 s66, v9
	s_and_saveexec_b64 s[46:47], s[44:45]
	s_cbranch_execz .LBB2004_166
; %bb.165:
	s_add_i32 s56, s55, 64
	s_mov_b32 s57, 0
	s_lshl_b64 s[68:69], s[56:57], 4
	s_add_u32 s68, s52, s68
	s_waitcnt lgkmcnt(0)
	v_and_b32_e32 v3, 0xff00, v24
	s_addc_u32 s69, s53, s69
	v_and_b32_e32 v2, 0xff0000, v24
	v_or_b32_sdwa v3, v3, v24 dst_sel:DWORD dst_unused:UNUSED_PAD src0_sel:DWORD src1_sel:BYTE_0
	s_and_b32 s71, s66, 0xff000000
	s_mov_b32 s70, s57
	s_and_b32 s73, s66, 0xff0000
	s_mov_b32 s72, s57
	v_and_b32_e32 v1, 0xff000000, v24
	v_or_b32_e32 v2, v3, v2
	s_and_b32 s75, s66, 0xff00
	s_mov_b32 s74, s57
	s_and_b32 s67, s66, 0xff
	s_or_b64 s[56:57], s[70:71], s[72:73]
	v_or_b32_e32 v4, v2, v1
	s_or_b64 s[56:57], s[56:57], s[74:75]
	v_mov_b32_e32 v1, s67
	v_or_b32_e32 v2, s56, v8
	v_or_b32_e32 v3, s57, v1
	v_mov_b32_e32 v5, 1
	v_mov_b64_e32 v[14:15], s[68:69]
	;;#ASMSTART
	global_store_dwordx4 v[14:15], v[2:5] off sc1	
s_waitcnt vmcnt(0)
	;;#ASMEND
.LBB2004_166:
	s_or_b64 exec, exec, s[46:47]
	v_xad_u32 v10, v11, -1, s55
	v_add_u32_e32 v12, 64, v10
	v_lshl_add_u64 v[14:15], v[12:13], 4, s[52:53]
	;;#ASMSTART
	global_load_dwordx4 v[2:5], v[14:15] off sc1	
s_waitcnt vmcnt(0)
	;;#ASMEND
	s_nop 0
	v_lshlrev_b64 v[26:27], 24, v[4:5]
	v_lshrrev_b32_e32 v1, 8, v3
	v_or_b32_e32 v16, v1, v26
	v_lshlrev_b64 v[26:27], 16, v[4:5]
	v_or_b32_sdwa v18, v3, v26 dst_sel:DWORD dst_unused:UNUSED_PAD src0_sel:WORD_1 src1_sel:DWORD
	v_lshlrev_b64 v[26:27], 8, v[4:5]
	v_alignbit_b32 v9, v3, v2, 8
	v_alignbit_b32 v25, v3, v2, 16
	;; [unrolled: 1-line block ×3, first 2 shown]
	v_mov_b32_e32 v12, v3
	v_or_b32_sdwa v20, v3, v26 dst_sel:DWORD dst_unused:UNUSED_PAD src0_sel:BYTE_3 src1_sel:DWORD
	v_cmp_eq_u16_sdwa s[56:57], v5, v13 src0_sel:BYTE_0 src1_sel:DWORD
	s_and_saveexec_b64 s[46:47], s[56:57]
	s_cbranch_execz .LBB2004_172
; %bb.167:
	s_mov_b32 s67, 1
	s_mov_b64 s[56:57], 0
	v_mov_b32_e32 v1, 0
.LBB2004_168:                           ; =>This Loop Header: Depth=1
                                        ;     Child Loop BB2004_169 Depth 2
	s_max_u32 s68, s67, 1
.LBB2004_169:                           ;   Parent Loop BB2004_168 Depth=1
                                        ; =>  This Inner Loop Header: Depth=2
	s_add_i32 s68, s68, -1
	s_cmp_eq_u32 s68, 0
	s_sleep 1
	s_cbranch_scc0 .LBB2004_169
; %bb.170:                              ;   in Loop: Header=BB2004_168 Depth=1
	s_cmp_lt_u32 s67, 32
	s_cselect_b64 s[68:69], -1, 0
	s_cmp_lg_u64 s[68:69], 0
	s_addc_u32 s67, s67, 0
	;;#ASMSTART
	global_load_dwordx4 v[2:5], v[14:15] off sc1	
s_waitcnt vmcnt(0)
	;;#ASMEND
	s_nop 0
	v_cmp_ne_u16_sdwa s[68:69], v5, v1 src0_sel:BYTE_0 src1_sel:DWORD
	s_or_b64 s[56:57], s[68:69], s[56:57]
	s_andn2_b64 exec, exec, s[56:57]
	s_cbranch_execnz .LBB2004_168
; %bb.171:
	s_or_b64 exec, exec, s[56:57]
	v_lshlrev_b64 v[14:15], 24, v[4:5]
	v_lshrrev_b32_e32 v1, 8, v3
	v_or_b32_e32 v16, v1, v14
	v_lshlrev_b64 v[14:15], 16, v[4:5]
	v_or_b32_sdwa v18, v3, v14 dst_sel:DWORD dst_unused:UNUSED_PAD src0_sel:WORD_1 src1_sel:DWORD
	v_lshlrev_b64 v[14:15], 8, v[4:5]
	v_alignbit_b32 v9, v3, v2, 8
	v_alignbit_b32 v25, v3, v2, 16
	v_alignbit_b32 v22, v3, v2, 24
	v_mov_b32_e32 v12, v3
	v_or_b32_sdwa v20, v3, v14 dst_sel:DWORD dst_unused:UNUSED_PAD src0_sel:BYTE_3 src1_sel:DWORD
.LBB2004_172:
	s_or_b64 exec, exec, s[46:47]
	v_lshlrev_b32_e32 v3, 16, v18
	v_lshlrev_b32_e32 v1, 24, v20
	v_and_b32_e32 v3, 0xff0000, v3
	v_or_b32_e32 v1, v3, v1
	v_lshlrev_b32_e32 v3, 8, v16
	v_and_b32_e32 v3, 0xff00, v3
	v_and_b32_e32 v12, 0xff, v12
	v_or3_b32 v1, v1, v3, v12
	v_lshlrev_b32_e32 v3, 16, v25
	s_mov_b32 s46, 0x4020c0c
	v_lshlrev_b32_e32 v9, 8, v9
	v_perm_b32 v3, v22, v3, s46
	s_mov_b32 s46, 0xc0c0500
	v_perm_b32 v2, v9, v2, s46
	v_and_b32_e32 v9, 63, v11
	v_or_b32_e32 v2, v2, v3
	v_mov_b32_e32 v3, 2
	v_cmp_ne_u32_e32 vcc, 63, v9
	v_cmp_eq_u16_sdwa s[46:47], v5, v3 src0_sel:BYTE_0 src1_sel:DWORD
	v_lshlrev_b64 v[12:13], v11, -1
	v_addc_co_u32_e32 v15, vcc, 0, v11, vcc
	v_and_b32_e32 v3, s47, v13
	v_and_b32_e32 v14, 0xff, v4
	v_lshlrev_b32_e32 v25, 2, v15
	v_or_b32_e32 v3, 0x80000000, v3
	ds_bpermute_b32 v18, v25, v2
	ds_bpermute_b32 v16, v25, v1
	;; [unrolled: 1-line block ×3, first 2 shown]
	v_and_b32_e32 v20, s46, v12
	v_ffbl_b32_e32 v3, v3
	v_add_u32_e32 v3, 32, v3
	v_ffbl_b32_e32 v20, v20
	v_min_u32_e32 v3, v20, v3
	v_cmp_lt_u32_e32 vcc, v9, v3
	s_and_saveexec_b64 s[46:47], vcc
	s_cbranch_execz .LBB2004_174
; %bb.173:
	v_mov_b32_e32 v14, 0
	v_cmp_eq_u16_sdwa vcc, v4, v14 src0_sel:BYTE_0 src1_sel:DWORD
	s_waitcnt lgkmcnt(0)
	v_or_b32_e32 v4, v4, v15
	v_and_b32_e32 v4, 1, v4
	v_cndmask_b32_e32 v14, 0, v18, vcc
	v_add_u32_e32 v2, v14, v2
	v_cndmask_b32_e32 v14, 0, v16, vcc
	v_add_u32_e32 v1, v14, v1
	v_and_b32_e32 v14, 0xffff, v4
.LBB2004_174:
	s_or_b64 exec, exec, s[46:47]
	v_cmp_gt_u32_e32 vcc, 62, v9
	v_add_u32_e32 v27, 2, v9
	s_waitcnt lgkmcnt(0)
	v_cndmask_b32_e64 v15, 0, 1, vcc
	v_lshlrev_b32_e32 v15, 1, v15
	v_add_lshl_u32 v26, v15, v11, 2
	ds_bpermute_b32 v16, v26, v2
	ds_bpermute_b32 v18, v26, v1
	ds_bpermute_b32 v15, v26, v14
	v_cmp_le_u32_e32 vcc, v27, v3
	s_and_saveexec_b64 s[46:47], vcc
	s_cbranch_execz .LBB2004_176
; %bb.175:
	v_mov_b32_e32 v14, 0
	v_cmp_eq_u16_sdwa vcc, v4, v14 src0_sel:BYTE_0 src1_sel:DWORD
	s_waitcnt lgkmcnt(0)
	v_or_b32_e32 v4, v15, v4
	v_add_u32_e32 v16, v16, v2
	v_add_u32_e32 v18, v18, v1
	v_and_b32_e32 v14, 1, v4
	v_cndmask_b32_e32 v2, v2, v16, vcc
	v_cndmask_b32_e32 v1, v1, v18, vcc
	v_mov_b32_e32 v4, v14
.LBB2004_176:
	s_or_b64 exec, exec, s[46:47]
	v_cmp_gt_u32_e32 vcc, 60, v9
	v_add_u32_e32 v29, 4, v9
	s_waitcnt lgkmcnt(0)
	v_cndmask_b32_e64 v15, 0, 1, vcc
	v_lshlrev_b32_e32 v15, 2, v15
	v_add_lshl_u32 v28, v15, v11, 2
	ds_bpermute_b32 v16, v28, v2
	ds_bpermute_b32 v18, v28, v1
	ds_bpermute_b32 v15, v28, v14
	v_cmp_le_u32_e32 vcc, v29, v3
	s_and_saveexec_b64 s[46:47], vcc
	s_cbranch_execz .LBB2004_178
; %bb.177:
	v_mov_b32_e32 v14, 0
	v_cmp_eq_u16_sdwa vcc, v4, v14 src0_sel:BYTE_0 src1_sel:DWORD
	s_waitcnt lgkmcnt(0)
	v_or_b32_e32 v4, v15, v4
	v_add_u32_e32 v16, v16, v2
	v_add_u32_e32 v18, v18, v1
	v_and_b32_e32 v14, 1, v4
	v_cndmask_b32_e32 v2, v2, v16, vcc
	v_cndmask_b32_e32 v1, v1, v18, vcc
	v_mov_b32_e32 v4, v14
.LBB2004_178:
	;; [unrolled: 25-line block ×4, first 2 shown]
	s_or_b64 exec, exec, s[46:47]
	v_cmp_gt_u32_e32 vcc, 32, v9
	v_add_u32_e32 v38, 32, v9
	s_waitcnt lgkmcnt(0)
	v_cndmask_b32_e64 v15, 0, 1, vcc
	v_lshlrev_b32_e32 v15, 5, v15
	v_add_lshl_u32 v36, v15, v11, 2
	ds_bpermute_b32 v15, v36, v2
	ds_bpermute_b32 v16, v36, v1
	ds_bpermute_b32 v11, v36, v14
	v_cmp_le_u32_e32 vcc, v38, v3
	s_and_saveexec_b64 s[46:47], vcc
	s_cbranch_execz .LBB2004_184
; %bb.183:
	v_mov_b32_e32 v3, 0
	s_waitcnt lgkmcnt(2)
	v_add_u32_e32 v14, v15, v2
	s_waitcnt lgkmcnt(1)
	v_add_u32_e32 v15, v16, v1
	v_cmp_eq_u16_sdwa vcc, v4, v3 src0_sel:BYTE_0 src1_sel:DWORD
	s_waitcnt lgkmcnt(0)
	v_or_b32_e32 v3, v11, v4
	v_cndmask_b32_e32 v2, v2, v14, vcc
	v_cndmask_b32_e32 v1, v1, v15, vcc
	v_and_b32_e32 v14, 1, v3
.LBB2004_184:
	s_or_b64 exec, exec, s[46:47]
	s_movk_i32 s67, 0xff
	s_waitcnt lgkmcnt(0)
	v_mov_b32_e32 v11, 0
	s_mov_b32 s68, 0x4020c0c
	s_mov_b32 s69, 0xc0c0500
	v_mov_b32_e32 v39, 2
	s_branch .LBB2004_186
.LBB2004_185:                           ;   in Loop: Header=BB2004_186 Depth=1
	s_or_b64 exec, exec, s[46:47]
	s_waitcnt lgkmcnt(0)
	ds_bpermute_b32 v15, v36, v2
	ds_bpermute_b32 v16, v36, v1
	;; [unrolled: 1-line block ×3, first 2 shown]
	v_cmp_eq_u16_sdwa vcc, v4, v11 src0_sel:BYTE_0 src1_sel:DWORD
	v_subrev_u32_e32 v10, 64, v10
	s_waitcnt lgkmcnt(2)
	v_add_u32_e32 v15, v15, v2
	s_waitcnt lgkmcnt(1)
	v_add_u32_e32 v16, v16, v1
	v_cndmask_b32_e32 v15, v2, v15, vcc
	v_cndmask_b32_e32 v16, v1, v16, vcc
	s_waitcnt lgkmcnt(0)
	v_and_or_b32 v4, v4, s67, v18
	v_cmp_gt_u32_e32 vcc, v38, v3
	s_nop 1
	v_cndmask_b32_e32 v3, v4, v14, vcc
	v_cndmask_b32_e32 v2, v15, v2, vcc
	;; [unrolled: 1-line block ×3, first 2 shown]
	v_cmp_eq_u16_sdwa vcc, v34, v11 src0_sel:BYTE_0 src1_sel:DWORD
	v_and_b32_e32 v4, 1, v34
	v_and_b32_e32 v3, 1, v3
	v_cndmask_b32_e32 v2, 0, v2, vcc
	v_cndmask_b32_e32 v1, 0, v1, vcc
	v_cmp_eq_u32_e32 vcc, 1, v4
	v_cmp_eq_u32_e64 s[46:47], 1, v3
	s_or_b64 s[46:47], vcc, s[46:47]
	v_add_u32_e32 v2, v2, v37
	v_add_u32_e32 v1, v1, v35
	v_cndmask_b32_e64 v14, 0, 1, s[46:47]
.LBB2004_186:                           ; =>This Loop Header: Depth=1
                                        ;     Child Loop BB2004_189 Depth 2
                                        ;       Child Loop BB2004_190 Depth 3
	v_cmp_ne_u16_sdwa s[46:47], v5, v39 src0_sel:BYTE_0 src1_sel:DWORD
	v_mov_b32_e32 v35, v1
	v_mov_b32_e32 v34, v14
	v_cndmask_b32_e64 v1, 0, 1, s[46:47]
	;;#ASMSTART
	;;#ASMEND
	v_mov_b32_e32 v37, v2
	v_cmp_ne_u32_e32 vcc, 0, v1
	s_cmp_lg_u64 vcc, exec
	s_cbranch_scc1 .LBB2004_203
; %bb.187:                              ;   in Loop: Header=BB2004_186 Depth=1
	v_lshl_add_u64 v[14:15], v[10:11], 4, s[52:53]
	;;#ASMSTART
	global_load_dwordx4 v[2:5], v[14:15] off sc1	
s_waitcnt vmcnt(0)
	;;#ASMEND
	s_nop 0
	v_lshlrev_b64 v[82:83], 24, v[4:5]
	v_lshrrev_b32_e32 v1, 8, v3
	v_or_b32_e32 v18, v1, v82
	v_lshlrev_b64 v[82:83], 16, v[4:5]
	v_or_b32_sdwa v20, v3, v82 dst_sel:DWORD dst_unused:UNUSED_PAD src0_sel:WORD_1 src1_sel:DWORD
	v_lshlrev_b64 v[82:83], 8, v[4:5]
	v_alignbit_b32 v78, v3, v2, 8
	v_alignbit_b32 v79, v3, v2, 16
	v_alignbit_b32 v80, v3, v2, 24
	v_mov_b32_e32 v16, v3
	v_or_b32_sdwa v22, v3, v82 dst_sel:DWORD dst_unused:UNUSED_PAD src0_sel:BYTE_3 src1_sel:DWORD
	v_cmp_eq_u16_sdwa s[56:57], v5, v11 src0_sel:BYTE_0 src1_sel:DWORD
	s_and_saveexec_b64 s[46:47], s[56:57]
	s_cbranch_execz .LBB2004_193
; %bb.188:                              ;   in Loop: Header=BB2004_186 Depth=1
	s_mov_b32 s70, 1
	s_mov_b64 s[56:57], 0
.LBB2004_189:                           ;   Parent Loop BB2004_186 Depth=1
                                        ; =>  This Loop Header: Depth=2
                                        ;       Child Loop BB2004_190 Depth 3
	s_max_u32 s71, s70, 1
.LBB2004_190:                           ;   Parent Loop BB2004_186 Depth=1
                                        ;     Parent Loop BB2004_189 Depth=2
                                        ; =>    This Inner Loop Header: Depth=3
	s_add_i32 s71, s71, -1
	s_cmp_eq_u32 s71, 0
	s_sleep 1
	s_cbranch_scc0 .LBB2004_190
; %bb.191:                              ;   in Loop: Header=BB2004_189 Depth=2
	s_cmp_lt_u32 s70, 32
	s_cselect_b64 s[72:73], -1, 0
	s_cmp_lg_u64 s[72:73], 0
	s_addc_u32 s70, s70, 0
	;;#ASMSTART
	global_load_dwordx4 v[2:5], v[14:15] off sc1	
s_waitcnt vmcnt(0)
	;;#ASMEND
	s_nop 0
	v_cmp_ne_u16_sdwa s[72:73], v5, v11 src0_sel:BYTE_0 src1_sel:DWORD
	s_or_b64 s[56:57], s[72:73], s[56:57]
	s_andn2_b64 exec, exec, s[56:57]
	s_cbranch_execnz .LBB2004_189
; %bb.192:                              ;   in Loop: Header=BB2004_186 Depth=1
	s_or_b64 exec, exec, s[56:57]
	v_lshlrev_b64 v[14:15], 24, v[4:5]
	v_lshrrev_b32_e32 v1, 8, v3
	v_or_b32_e32 v18, v1, v14
	v_lshlrev_b64 v[14:15], 16, v[4:5]
	v_or_b32_sdwa v20, v3, v14 dst_sel:DWORD dst_unused:UNUSED_PAD src0_sel:WORD_1 src1_sel:DWORD
	v_lshlrev_b64 v[14:15], 8, v[4:5]
	v_alignbit_b32 v78, v3, v2, 8
	v_alignbit_b32 v79, v3, v2, 16
	;; [unrolled: 1-line block ×3, first 2 shown]
	v_mov_b32_e32 v16, v3
	v_or_b32_sdwa v22, v3, v14 dst_sel:DWORD dst_unused:UNUSED_PAD src0_sel:BYTE_3 src1_sel:DWORD
.LBB2004_193:                           ;   in Loop: Header=BB2004_186 Depth=1
	s_or_b64 exec, exec, s[46:47]
	v_lshlrev_b32_e32 v3, 16, v20
	v_lshlrev_b32_e32 v1, 24, v22
	v_and_b32_e32 v3, 0xff0000, v3
	v_or_b32_e32 v1, v3, v1
	v_lshlrev_b32_e32 v3, 8, v18
	v_and_b32_e32 v3, 0xff00, v3
	v_and_b32_e32 v14, 0xff, v16
	v_or3_b32 v1, v1, v3, v14
	v_lshlrev_b32_e32 v3, 16, v79
	v_lshlrev_b32_e32 v14, 8, v78
	v_perm_b32 v3, v80, v3, s68
	v_perm_b32 v2, v14, v2, s69
	v_cmp_eq_u16_sdwa s[46:47], v5, v39 src0_sel:BYTE_0 src1_sel:DWORD
	v_or_b32_e32 v2, v2, v3
	v_and_b32_e32 v14, 0xff, v4
	v_and_b32_e32 v3, s47, v13
	v_or_b32_e32 v3, 0x80000000, v3
	ds_bpermute_b32 v18, v25, v2
	ds_bpermute_b32 v16, v25, v1
	;; [unrolled: 1-line block ×3, first 2 shown]
	v_and_b32_e32 v20, s46, v12
	v_ffbl_b32_e32 v3, v3
	v_add_u32_e32 v3, 32, v3
	v_ffbl_b32_e32 v20, v20
	v_min_u32_e32 v3, v20, v3
	v_cmp_lt_u32_e32 vcc, v9, v3
	s_and_saveexec_b64 s[46:47], vcc
	s_cbranch_execz .LBB2004_195
; %bb.194:                              ;   in Loop: Header=BB2004_186 Depth=1
	v_cmp_eq_u16_sdwa vcc, v4, v11 src0_sel:BYTE_0 src1_sel:DWORD
	s_waitcnt lgkmcnt(0)
	v_or_b32_e32 v4, v15, v4
	v_cndmask_b32_e32 v14, 0, v18, vcc
	v_add_u32_e32 v2, v14, v2
	v_cndmask_b32_e32 v14, 0, v16, vcc
	v_add_u32_e32 v1, v14, v1
	v_and_b32_e32 v14, 1, v4
	v_mov_b32_e32 v4, v14
.LBB2004_195:                           ;   in Loop: Header=BB2004_186 Depth=1
	s_or_b64 exec, exec, s[46:47]
	s_waitcnt lgkmcnt(1)
	ds_bpermute_b32 v16, v26, v2
	ds_bpermute_b32 v18, v26, v1
	s_waitcnt lgkmcnt(2)
	ds_bpermute_b32 v15, v26, v14
	v_cmp_le_u32_e32 vcc, v27, v3
	s_and_saveexec_b64 s[46:47], vcc
	s_cbranch_execz .LBB2004_197
; %bb.196:                              ;   in Loop: Header=BB2004_186 Depth=1
	s_waitcnt lgkmcnt(2)
	v_add_u32_e32 v14, v16, v2
	v_cmp_eq_u16_sdwa vcc, v4, v11 src0_sel:BYTE_0 src1_sel:DWORD
	s_waitcnt lgkmcnt(0)
	v_or_b32_e32 v4, v15, v4
	v_add_u32_e32 v16, v18, v1
	v_cndmask_b32_e32 v2, v2, v14, vcc
	v_and_b32_e32 v14, 1, v4
	v_cndmask_b32_e32 v1, v1, v16, vcc
	v_mov_b32_e32 v4, v14
.LBB2004_197:                           ;   in Loop: Header=BB2004_186 Depth=1
	s_or_b64 exec, exec, s[46:47]
	s_waitcnt lgkmcnt(2)
	ds_bpermute_b32 v16, v28, v2
	s_waitcnt lgkmcnt(2)
	ds_bpermute_b32 v18, v28, v1
	s_waitcnt lgkmcnt(2)
	ds_bpermute_b32 v15, v28, v14
	v_cmp_le_u32_e32 vcc, v29, v3
	s_and_saveexec_b64 s[46:47], vcc
	s_cbranch_execz .LBB2004_199
; %bb.198:                              ;   in Loop: Header=BB2004_186 Depth=1
	s_waitcnt lgkmcnt(2)
	v_add_u32_e32 v14, v16, v2
	v_cmp_eq_u16_sdwa vcc, v4, v11 src0_sel:BYTE_0 src1_sel:DWORD
	s_waitcnt lgkmcnt(0)
	v_or_b32_e32 v4, v15, v4
	v_add_u32_e32 v16, v18, v1
	v_cndmask_b32_e32 v2, v2, v14, vcc
	v_and_b32_e32 v14, 1, v4
	v_cndmask_b32_e32 v1, v1, v16, vcc
	v_mov_b32_e32 v4, v14
.LBB2004_199:                           ;   in Loop: Header=BB2004_186 Depth=1
	s_or_b64 exec, exec, s[46:47]
	s_waitcnt lgkmcnt(2)
	ds_bpermute_b32 v16, v30, v2
	s_waitcnt lgkmcnt(2)
	;; [unrolled: 22-line block ×3, first 2 shown]
	ds_bpermute_b32 v18, v32, v1
	s_waitcnt lgkmcnt(2)
	ds_bpermute_b32 v15, v32, v14
	v_cmp_le_u32_e32 vcc, v33, v3
	s_and_saveexec_b64 s[46:47], vcc
	s_cbranch_execz .LBB2004_185
; %bb.202:                              ;   in Loop: Header=BB2004_186 Depth=1
	s_waitcnt lgkmcnt(2)
	v_add_u32_e32 v14, v16, v2
	v_cmp_eq_u16_sdwa vcc, v4, v11 src0_sel:BYTE_0 src1_sel:DWORD
	s_waitcnt lgkmcnt(0)
	v_or_b32_e32 v4, v15, v4
	v_add_u32_e32 v16, v18, v1
	v_cndmask_b32_e32 v2, v2, v14, vcc
	v_and_b32_e32 v14, 1, v4
	v_cndmask_b32_e32 v1, v1, v16, vcc
	v_mov_b32_e32 v4, v14
	s_branch .LBB2004_185
.LBB2004_203:                           ;   in Loop: Header=BB2004_186 Depth=1
                                        ; implicit-def: $vgpr14
                                        ; implicit-def: $vgpr1
                                        ; implicit-def: $vgpr5
                                        ; implicit-def: $vgpr2_vgpr3
	s_cbranch_execz .LBB2004_186
; %bb.204:
	s_and_saveexec_b64 s[46:47], s[44:45]
	s_cbranch_execz .LBB2004_206
; %bb.205:
	v_mov_b32_e32 v1, 0
	v_cmp_eq_u16_sdwa vcc, v24, v1 src0_sel:BYTE_0 src1_sel:DWORD
	s_mov_b32 s57, 0
	v_or_b32_e32 v3, v24, v34
	v_cndmask_b32_e32 v2, 0, v35, vcc
	s_add_i32 s56, s55, 64
	v_add_u32_e32 v2, s66, v2
	v_and_b32_e32 v3, 1, v3
	s_lshl_b64 s[56:57], s[56:57], 4
	v_cndmask_b32_e32 v1, 0, v37, vcc
	s_add_u32 s56, s52, s56
	v_cmp_eq_u32_e32 vcc, 1, v3
	v_and_b32_e32 v3, 0xff000000, v2
	v_and_b32_e32 v5, 0xff0000, v2
	v_add_u32_e32 v1, v1, v8
	s_addc_u32 s57, s53, s57
	v_and_b32_e32 v8, 0xff00, v2
	v_and_b32_e32 v2, 0xff, v2
	v_or_b32_e32 v3, v3, v5
	v_cndmask_b32_e64 v4, 0, 1, vcc
	v_or3_b32 v3, v3, v8, v2
	v_or3_b32 v2, 0, 0, v1
	v_mov_b32_e32 v5, 2
	v_mov_b64_e32 v[8:9], s[56:57]
	;;#ASMSTART
	global_store_dwordx4 v[8:9], v[2:5] off sc1	
s_waitcnt vmcnt(0)
	;;#ASMEND
.LBB2004_206:
	s_or_b64 exec, exec, s[46:47]
	s_and_b64 exec, exec, s[2:3]
	s_cbranch_execz .LBB2004_208
; %bb.207:
	v_mov_b32_e32 v1, 0
	ds_write2_b32 v1, v37, v35 offset0:9 offset1:10
	ds_write_b8 v1, v34 offset:44
.LBB2004_208:
	s_or_b64 exec, exec, s[48:49]
	v_mov_b32_e32 v1, 0
	s_waitcnt lgkmcnt(0)
	s_barrier
	ds_read2_b32 v[2:3], v1 offset0:9 offset1:10
	v_cndmask_b32_e64 v4, v23, v17, s[44:45]
	v_cmp_eq_u32_sdwa vcc, v4, v1 src0_sel:BYTE_0 src1_sel:DWORD
	v_cndmask_b32_e64 v5, v19, v6, s[44:45]
	v_cndmask_b32_e64 v6, v21, v7, s[44:45]
	s_waitcnt lgkmcnt(0)
	v_cndmask_b32_e32 v1, 0, v2, vcc
	v_add_u32_e32 v1, v1, v5
	v_cndmask_b32_e32 v4, 0, v3, vcc
	v_add_u32_e32 v4, v4, v6
	v_cndmask_b32_e64 v12, v1, v2, s[2:3]
	v_cmp_eq_u32_e32 vcc, 0, v70
	v_cndmask_b32_e64 v13, v4, v3, s[2:3]
	s_nop 0
	v_cndmask_b32_e32 v1, 0, v12, vcc
	v_add_u32_e32 v78, v1, v42
	v_cndmask_b32_e32 v1, 0, v13, vcc
	v_add_u32_e32 v79, v1, v43
	v_cndmask_b32_e64 v1, 0, v78, s[4:5]
	v_add_u32_e32 v2, v1, v52
	v_cndmask_b32_e64 v1, 0, v79, s[4:5]
	;; [unrolled: 2-line block ×37, first 2 shown]
	v_cndmask_b32_e64 v128, 0, v101, s[42:43]
	s_branch .LBB2004_241
.LBB2004_209:
                                        ; implicit-def: $vgpr10_vgpr11_vgpr12_vgpr13
                                        ; implicit-def: $vgpr128
                                        ; implicit-def: $vgpr1
                                        ; implicit-def: $vgpr101
                                        ; implicit-def: $vgpr99
                                        ; implicit-def: $vgpr97
                                        ; implicit-def: $vgpr94
                                        ; implicit-def: $vgpr93
                                        ; implicit-def: $vgpr91
                                        ; implicit-def: $vgpr89
                                        ; implicit-def: $vgpr87
                                        ; implicit-def: $vgpr85
                                        ; implicit-def: $vgpr83
                                        ; implicit-def: $vgpr81
                                        ; implicit-def: $vgpr79
                                        ; implicit-def: $vgpr36_vgpr37_vgpr38_vgpr39
                                        ; implicit-def: $vgpr32_vgpr33_vgpr34_vgpr35
                                        ; implicit-def: $vgpr28_vgpr29_vgpr30_vgpr31
                                        ; implicit-def: $vgpr24_vgpr25_vgpr26_vgpr27
                                        ; implicit-def: $vgpr20_vgpr21_vgpr22_vgpr23
                                        ; implicit-def: $vgpr16_vgpr17_vgpr18_vgpr19
                                        ; implicit-def: $vgpr6_vgpr7_vgpr8_vgpr9
                                        ; implicit-def: $vgpr2_vgpr3_vgpr4_vgpr5
                                        ; implicit-def: $vgpr12_vgpr13_vgpr14_vgpr15
	s_cbranch_execz .LBB2004_241
; %bb.210:
	s_cmp_lg_u64 s[64:65], 0
	s_cselect_b32 s5, s59, 0
	s_cselect_b32 s4, s58, 0
	s_cmp_eq_u64 s[4:5], 0
	s_cbranch_scc1 .LBB2004_212
; %bb.211:
	v_mov_b32_e32 v1, 0
	global_load_dwordx2 v[2:3], v1, s[4:5]
	s_waitcnt vmcnt(0)
	v_readfirstlane_b32 s62, v2
	v_readfirstlane_b32 s63, v3
.LBB2004_212:
	v_mov_b32_e32 v1, 0
	v_cmp_eq_u16_sdwa s[6:7], v59, v1 src0_sel:BYTE_0 src1_sel:DWORD
	v_cmp_eq_u16_sdwa s[10:11], v63, v1 src0_sel:BYTE_0 src1_sel:DWORD
	;; [unrolled: 1-line block ×3, first 2 shown]
	v_cndmask_b32_e64 v2, 0, v42, s[6:7]
	v_add_u32_e32 v2, v2, v52
	v_cndmask_b32_e64 v3, 0, v43, s[6:7]
	v_add_u32_e32 v3, v3, v51
	;; [unrolled: 2-line block ×5, first 2 shown]
	v_cndmask_b32_e64 v3, 0, v3, s[14:15]
	v_cmp_eq_u16_sdwa s[18:19], v72, v1 src0_sel:BYTE_0 src1_sel:DWORD
	v_add_u32_e32 v3, v3, v55
	v_cmp_eq_u16_sdwa s[20:21], v75, v1 src0_sel:BYTE_0 src1_sel:DWORD
	v_cndmask_b32_e64 v2, 0, v2, s[18:19]
	v_add_u32_e32 v2, v2, v58
	v_cndmask_b32_e64 v3, 0, v3, s[18:19]
	v_add_u32_e32 v3, v3, v57
	v_cndmask_b32_e64 v2, 0, v2, s[20:21]
	v_add_u32_e32 v2, v2, v61
	v_cndmask_b32_e64 v3, 0, v3, s[20:21]
	v_cmp_eq_u16_sdwa s[22:23], v95, v1 src0_sel:BYTE_0 src1_sel:DWORD
	v_add_u32_e32 v3, v3, v60
	v_cmp_eq_u16_sdwa s[24:25], v104, v1 src0_sel:BYTE_0 src1_sel:DWORD
	v_cndmask_b32_e64 v2, 0, v2, s[22:23]
	v_add_u32_e32 v2, v2, v65
	v_cndmask_b32_e64 v3, 0, v3, s[22:23]
	v_add_u32_e32 v3, v3, v64
	v_cndmask_b32_e64 v2, 0, v2, s[24:25]
	v_add_u32_e32 v2, v2, v68
	;; [unrolled: 10-line block ×7, first 2 shown]
	v_cndmask_b32_e64 v3, 0, v3, s[12:13]
	v_cmp_eq_u16_sdwa s[16:17], v122, v1 src0_sel:BYTE_0 src1_sel:DWORD
	v_add_u32_e32 v3, v3, v109
	v_cmp_eq_u16_sdwa vcc, v62, v1 src0_sel:BYTE_0 src1_sel:DWORD
	v_cndmask_b32_e64 v2, 0, v2, s[16:17]
	v_add_u32_e32 v2, v2, v113
	v_cndmask_b32_e64 v3, 0, v3, s[16:17]
	v_add_u32_e32 v3, v3, v111
	v_cndmask_b32_e32 v2, 0, v2, vcc
	v_add_u32_e32 v2, v2, v105
	v_cndmask_b32_e32 v3, 0, v3, vcc
	v_cmp_eq_u16_sdwa s[42:43], v123, v1 src0_sel:BYTE_0 src1_sel:DWORD
	v_add_u32_e32 v3, v3, v50
	s_nop 0
	v_cndmask_b32_e64 v1, 0, v2, s[42:43]
	v_add_u32_e32 v2, v1, v124
	v_cndmask_b32_e64 v1, 0, v3, s[42:43]
	v_or_b32_e32 v3, v127, v121
	v_or_b32_e32 v3, v3, v120
	;; [unrolled: 1-line block ×17, first 2 shown]
	v_and_b32_e32 v3, 1, v3
	v_cmp_eq_u32_e64 s[42:43], 1, v3
	v_mbcnt_hi_u32_b32 v3, -1, v126
	v_add_u32_e32 v1, v1, v125
	v_cndmask_b32_e64 v7, v70, 1, s[42:43]
	v_and_b32_e32 v4, 15, v3
	v_mov_b32_dpp v5, v2 row_shr:1 row_mask:0xf bank_mask:0xf
	v_mov_b32_dpp v6, v1 row_shr:1 row_mask:0xf bank_mask:0xf
	;; [unrolled: 1-line block ×3, first 2 shown]
	v_cmp_ne_u32_e64 s[42:43], 0, v4
	s_and_saveexec_b64 s[44:45], s[42:43]
; %bb.213:
	v_cmp_eq_u32_e64 s[42:43], 0, v7
	v_and_or_b32 v7, v8, 1, v7
	s_nop 0
	v_cndmask_b32_e64 v5, 0, v5, s[42:43]
	v_add_u32_e32 v2, v5, v2
	v_cndmask_b32_e64 v5, 0, v6, s[42:43]
	v_add_u32_e32 v1, v5, v1
; %bb.214:
	s_or_b64 exec, exec, s[44:45]
	v_mov_b32_dpp v6, v2 row_shr:2 row_mask:0xf bank_mask:0xf
	v_mov_b32_dpp v8, v1 row_shr:2 row_mask:0xf bank_mask:0xf
	;; [unrolled: 1-line block ×3, first 2 shown]
	v_cmp_lt_u32_e64 s[42:43], 1, v4
	s_and_saveexec_b64 s[44:45], s[42:43]
; %bb.215:
	v_add_u32_e32 v6, v6, v2
	v_add_u32_e32 v8, v8, v1
	v_cmp_eq_u32_e64 s[42:43], 0, v7
	v_or_b32_e32 v5, v5, v7
	v_and_b32_e32 v7, 1, v5
	v_cndmask_b32_e64 v2, v2, v6, s[42:43]
	v_cndmask_b32_e64 v1, v1, v8, s[42:43]
; %bb.216:
	s_or_b64 exec, exec, s[44:45]
	v_mov_b32_dpp v6, v2 row_shr:4 row_mask:0xf bank_mask:0xf
	v_mov_b32_dpp v8, v1 row_shr:4 row_mask:0xf bank_mask:0xf
	;; [unrolled: 1-line block ×3, first 2 shown]
	v_cmp_lt_u32_e64 s[42:43], 3, v4
	s_and_saveexec_b64 s[44:45], s[42:43]
; %bb.217:
	v_add_u32_e32 v6, v6, v2
	v_add_u32_e32 v8, v8, v1
	v_cmp_eq_u32_e64 s[42:43], 0, v7
	v_or_b32_e32 v5, v5, v7
	v_and_b32_e32 v7, 1, v5
	v_cndmask_b32_e64 v2, v2, v6, s[42:43]
	v_cndmask_b32_e64 v1, v1, v8, s[42:43]
; %bb.218:
	s_or_b64 exec, exec, s[44:45]
	v_mov_b32_dpp v6, v2 row_shr:8 row_mask:0xf bank_mask:0xf
	v_mov_b32_dpp v8, v1 row_shr:8 row_mask:0xf bank_mask:0xf
	;; [unrolled: 1-line block ×3, first 2 shown]
	v_cmp_lt_u32_e64 s[42:43], 7, v4
	s_and_saveexec_b64 s[44:45], s[42:43]
; %bb.219:
	v_add_u32_e32 v4, v6, v2
	v_cmp_eq_u32_e64 s[42:43], 0, v7
	v_add_u32_e32 v6, v8, v1
	s_nop 0
	v_cndmask_b32_e64 v2, v2, v4, s[42:43]
	v_or_b32_e32 v4, v5, v7
	v_cndmask_b32_e64 v1, v1, v6, s[42:43]
	v_and_b32_e32 v7, 1, v4
; %bb.220:
	s_or_b64 exec, exec, s[44:45]
	v_and_b32_e32 v8, 16, v3
	v_mov_b32_dpp v5, v2 row_bcast:15 row_mask:0xf bank_mask:0xf
	v_mov_b32_dpp v6, v1 row_bcast:15 row_mask:0xf bank_mask:0xf
	;; [unrolled: 1-line block ×3, first 2 shown]
	v_cmp_ne_u32_e64 s[42:43], 0, v8
	s_and_saveexec_b64 s[44:45], s[42:43]
; %bb.221:
	v_add_u32_e32 v5, v5, v2
	v_add_u32_e32 v6, v6, v1
	v_cmp_eq_u32_e64 s[42:43], 0, v7
	v_or_b32_e32 v4, v4, v7
	v_and_b32_e32 v7, 1, v4
	v_cndmask_b32_e64 v2, v2, v5, s[42:43]
	v_cndmask_b32_e64 v1, v1, v6, s[42:43]
; %bb.222:
	s_or_b64 exec, exec, s[44:45]
	v_mov_b32_dpp v6, v2 row_bcast:31 row_mask:0xf bank_mask:0xf
	v_mov_b32_dpp v8, v1 row_bcast:31 row_mask:0xf bank_mask:0xf
	;; [unrolled: 1-line block ×3, first 2 shown]
	v_cmp_lt_u32_e64 s[42:43], 31, v3
	v_mov_b32_e32 v4, v7
	s_and_saveexec_b64 s[44:45], s[42:43]
; %bb.223:
	v_add_u32_e32 v4, v6, v2
	v_add_u32_e32 v6, v8, v1
	v_cmp_eq_u32_e64 s[42:43], 0, v7
	v_or_b32_e32 v5, v5, v7
	v_and_b32_e32 v7, 1, v5
	v_cndmask_b32_e64 v2, v2, v4, s[42:43]
	v_cndmask_b32_e64 v1, v1, v6, s[42:43]
	v_and_b32_e32 v4, 1, v5
; %bb.224:
	s_or_b64 exec, exec, s[44:45]
	v_or_b32_e32 v5, 63, v0
	v_lshrrev_b32_e32 v10, 6, v0
	v_cmp_eq_u32_e64 s[42:43], v5, v0
	s_and_saveexec_b64 s[44:45], s[42:43]
	s_cbranch_execz .LBB2004_226
; %bb.225:
	v_mul_u32_u24_e32 v5, 12, v10
	ds_write2_b32 v5, v2, v1 offset1:1
	ds_write_b8 v5, v4 offset:8
.LBB2004_226:
	s_or_b64 exec, exec, s[44:45]
	v_cmp_gt_u32_e64 s[42:43], 4, v0
	s_waitcnt lgkmcnt(0)
	s_barrier
	s_and_saveexec_b64 s[44:45], s[42:43]
	s_cbranch_execz .LBB2004_232
; %bb.227:
	v_mul_u32_u24_e32 v6, 12, v0
	ds_read2_b32 v[4:5], v6 offset1:1
	ds_read_b32 v8, v6 offset:8
	v_and_b32_e32 v9, 3, v3
	v_cmp_ne_u32_e64 s[42:43], 0, v9
	s_waitcnt lgkmcnt(1)
	v_mov_b32_dpp v14, v4 row_shr:1 row_mask:0xf bank_mask:0xf
	v_mov_b32_dpp v12, v5 row_shr:1 row_mask:0xf bank_mask:0xf
	s_waitcnt lgkmcnt(0)
	v_mov_b32_dpp v13, v8 row_shr:1 row_mask:0xf bank_mask:0xf
	v_mov_b32_e32 v11, v8
	s_and_saveexec_b64 s[46:47], s[42:43]
; %bb.228:
	v_mov_b32_e32 v11, 0
	v_cmp_eq_u16_sdwa s[42:43], v8, v11 src0_sel:BYTE_0 src1_sel:DWORD
	s_nop 1
	v_cndmask_b32_e64 v11, 0, v14, s[42:43]
	v_add_u32_e32 v4, v11, v4
	v_cndmask_b32_e64 v11, 0, v12, s[42:43]
	v_add_u32_e32 v5, v11, v5
	v_or_b32_e32 v11, v13, v8
	v_and_b32_e32 v11, 1, v11
	s_movk_i32 s42, 0xff00
	v_and_or_b32 v8, v8, s42, v11
; %bb.229:
	s_or_b64 exec, exec, s[46:47]
	v_mov_b32_dpp v13, v4 row_shr:2 row_mask:0xf bank_mask:0xf
	v_mov_b32_dpp v14, v5 row_shr:2 row_mask:0xf bank_mask:0xf
	;; [unrolled: 1-line block ×3, first 2 shown]
	v_cmp_lt_u32_e64 s[42:43], 1, v9
	s_and_saveexec_b64 s[46:47], s[42:43]
; %bb.230:
	v_mov_b32_e32 v8, 0
	v_add_u32_e32 v9, v13, v4
	v_add_u32_e32 v13, v14, v5
	v_cmp_eq_u16_sdwa s[42:43], v11, v8 src0_sel:BYTE_0 src1_sel:DWORD
	v_or_b32_e32 v8, v12, v11
	v_and_b32_e32 v8, 1, v8
	v_cndmask_b32_e64 v4, v4, v9, s[42:43]
	v_cndmask_b32_e64 v5, v5, v13, s[42:43]
; %bb.231:
	s_or_b64 exec, exec, s[46:47]
	ds_write2_b32 v6, v4, v5 offset1:1
	ds_write_b8 v6, v8 offset:8
.LBB2004_232:
	s_or_b64 exec, exec, s[44:45]
	v_mov_b32_e32 v6, v43
	v_cmp_lt_u32_e64 s[42:43], 63, v0
	v_mov_b32_e32 v8, s62
	v_mov_b32_e32 v9, s63
	s_waitcnt lgkmcnt(0)
	s_barrier
	s_and_saveexec_b64 s[44:45], s[42:43]
	s_cbranch_execz .LBB2004_238
; %bb.233:
	v_mad_u32_u24 v4, v10, 12, -12
	ds_read_u8 v5, v4 offset:8
                                        ; implicit-def: $vgpr9
	s_waitcnt lgkmcnt(0)
	v_cmp_ne_u16_e64 s[42:43], 0, v5
	s_and_saveexec_b64 s[46:47], s[42:43]
	s_xor_b64 s[42:43], exec, s[46:47]
	s_cbranch_execz .LBB2004_235
; %bb.234:
	ds_read2_b32 v[8:9], v4 offset1:1
                                        ; implicit-def: $vgpr4
.LBB2004_235:
	s_andn2_saveexec_b64 s[42:43], s[42:43]
	s_cbranch_execz .LBB2004_237
; %bb.236:
	ds_read2_b32 v[4:5], v4 offset1:1
	s_waitcnt lgkmcnt(0)
	v_add_u32_e32 v8, s62, v4
	v_add_u32_e32 v9, s63, v5
.LBB2004_237:
	s_or_b64 exec, exec, s[42:43]
.LBB2004_238:
	s_or_b64 exec, exec, s[44:45]
	v_cmp_eq_u32_e64 s[42:43], 0, v7
	v_and_b32_e32 v5, 64, v3
	s_mov_b32 s44, 0
	s_waitcnt lgkmcnt(0)
	v_cndmask_b32_e64 v4, 0, v8, s[42:43]
	v_add_u32_e32 v2, v4, v2
	v_cndmask_b32_e64 v4, 0, v9, s[42:43]
	v_add_u32_e32 v1, v4, v1
	v_add_u32_e32 v4, -1, v3
	v_cmp_lt_i32_e64 s[42:43], v4, v5
	s_nop 1
	v_cndmask_b32_e64 v4, v4, v3, s[42:43]
	v_lshlrev_b32_e32 v4, 2, v4
	ds_bpermute_b32 v2, v4, v2
	ds_bpermute_b32 v1, v4, v1
	v_cmp_eq_u32_e64 s[42:43], 0, v3
	v_mov_b32_e32 v4, 0
	s_waitcnt lgkmcnt(1)
	v_cndmask_b32_e64 v12, v2, v8, s[42:43]
	v_mov_b32_e32 v2, s62
	s_waitcnt lgkmcnt(0)
	v_cndmask_b32_e64 v13, v1, v9, s[42:43]
	v_mov_b32_e32 v1, s63
	v_cndmask_b32_e64 v2, v12, v2, s[2:3]
	v_cmp_eq_u32_e64 s[42:43], 0, v70
	v_cndmask_b32_e64 v1, v13, v1, s[2:3]
	s_nop 0
	v_cndmask_b32_e64 v2, 0, v2, s[42:43]
	v_add_u32_e32 v78, v2, v42
	v_cndmask_b32_e64 v1, 0, v1, s[42:43]
	v_add_u32_e32 v79, v1, v6
	;; [unrolled: 2-line block ×26, first 2 shown]
	v_cndmask_b32_e64 v5, 0, v91, s[38:39]
	v_cndmask_b32_e64 v1, 0, v90, s[38:39]
	v_lshl_add_u64 v[92:93], v[4:5], 0, v[44:45]
	v_add_u32_e32 v28, v1, v44
	v_cndmask_b32_e64 v5, 0, v93, s[26:27]
	v_cndmask_b32_e64 v1, 0, v28, s[26:27]
	v_lshl_add_u64 v[96:97], v[4:5], 0, v[46:47]
	v_add_u32_e32 v94, v1, v46
	v_cndmask_b32_e64 v5, 0, v97, s[4:5]
	v_lshl_add_u64 v[32:33], v[4:5], 0, v[48:49]
	v_cndmask_b32_e64 v1, 0, v94, s[4:5]
	v_add_u32_e32 v32, v1, v48
	v_cndmask_b32_e64 v1, 0, v32, s[8:9]
	v_add_u32_e32 v98, v1, v108
	;; [unrolled: 2-line block ×7, first 2 shown]
	s_and_saveexec_b64 s[4:5], s[2:3]
	s_cbranch_execz .LBB2004_240
; %bb.239:
	ds_read_u8 v1, v4 offset:44
	ds_read2_b32 v[4:5], v4 offset0:9 offset1:10
	s_mov_b32 s8, s44
	v_mov_b32_e32 v15, 2
	s_waitcnt lgkmcnt(1)
	v_cmp_eq_u16_e64 s[2:3], 0, v1
	s_and_b64 s[2:3], s[2:3], exec
	s_waitcnt lgkmcnt(0)
	v_readfirstlane_b32 s6, v5
	s_cselect_b32 s3, s63, 0
	s_cselect_b32 s2, s62, 0
	s_add_i32 s10, s3, s6
	v_add_u32_e32 v4, s2, v4
	s_add_u32 s2, s52, 0x400
	s_addc_u32 s3, s53, 0
	s_and_b32 s45, s10, 0xff000000
	s_and_b32 s7, s10, 0xff0000
	s_mov_b32 s6, s44
	s_and_b32 s9, s10, 0xff00
	s_and_b32 s10, s10, 0xff
	s_or_b64 s[6:7], s[44:45], s[6:7]
	v_and_b32_e32 v14, 0xffff, v1
	s_or_b64 s[6:7], s[6:7], s[8:9]
	v_mov_b32_e32 v1, s10
	v_or_b32_e32 v12, s6, v4
	v_or_b32_e32 v13, s7, v1
	v_mov_b64_e32 v[4:5], s[2:3]
	;;#ASMSTART
	global_store_dwordx4 v[4:5], v[12:15] off sc1	
s_waitcnt vmcnt(0)
	;;#ASMEND
	v_mov_b64_e32 v[12:13], s[62:63]
.LBB2004_240:
	s_or_b64 exec, exec, s[4:5]
	v_cndmask_b32_e32 v1, 0, v100, vcc
	v_cndmask_b32_e32 v128, 0, v101, vcc
.LBB2004_241:
	s_add_u32 s2, s50, s60
	s_addc_u32 s3, s51, s61
	v_add_u32_e32 v9, v128, v50
	v_add_u32_e32 v8, v1, v105
	v_lshl_add_u64 v[4:5], s[2:3], 0, v[40:41]
	s_and_b64 vcc, exec, s[0:1]
	s_cbranch_vccz .LBB2004_323
; %bb.242:
	s_add_i32 s33, s33, s54
	v_mul_u32_u24_e32 v1, 21, v0
	v_mov_b64_e32 v[26:27], 0
	v_cmp_gt_u32_e32 vcc, s33, v1
	v_mov_b64_e32 v[18:19], v[26:27]
	v_mov_b64_e32 v[14:15], v[26:27]
	;; [unrolled: 1-line block ×20, first 2 shown]
	s_and_saveexec_b64 s[0:1], vcc
	s_cbranch_execz .LBB2004_282
; %bb.243:
	v_add_u32_e32 v14, 1, v1
	v_mov_b64_e32 v[64:65], 0
	v_cmp_gt_u32_e32 vcc, s33, v14
	v_mov_b64_e32 v[62:63], v[64:65]
	v_mov_b64_e32 v[60:61], v[64:65]
	;; [unrolled: 1-line block ×19, first 2 shown]
	s_and_saveexec_b64 s[2:3], vcc
	s_cbranch_execz .LBB2004_281
; %bb.244:
	v_add_u32_e32 v14, 2, v1
	v_mov_b64_e32 v[62:63], 0
	v_cmp_gt_u32_e32 vcc, s33, v14
	v_mov_b64_e32 v[60:61], v[62:63]
	v_mov_b64_e32 v[58:59], v[62:63]
	;; [unrolled: 1-line block ×18, first 2 shown]
	s_and_saveexec_b64 s[4:5], vcc
	s_cbranch_execz .LBB2004_280
; %bb.245:
	v_add_u32_e32 v14, 3, v1
	v_mov_b64_e32 v[60:61], 0
	v_cmp_gt_u32_e32 vcc, s33, v14
	v_mov_b64_e32 v[58:59], v[60:61]
	v_mov_b64_e32 v[56:57], v[60:61]
	v_mov_b64_e32 v[54:55], v[60:61]
	v_mov_b64_e32 v[52:53], v[60:61]
	v_mov_b64_e32 v[50:51], v[60:61]
	v_mov_b64_e32 v[48:49], v[60:61]
	v_mov_b64_e32 v[46:47], v[60:61]
	v_mov_b64_e32 v[44:45], v[60:61]
	v_mov_b64_e32 v[42:43], v[60:61]
	v_mov_b64_e32 v[40:41], v[60:61]
	v_mov_b64_e32 v[38:39], v[60:61]
	v_mov_b64_e32 v[34:35], v[60:61]
	v_mov_b64_e32 v[30:31], v[60:61]
	v_mov_b64_e32 v[22:23], v[60:61]
	v_mov_b64_e32 v[14:15], v[60:61]
	v_mov_b64_e32 v[18:19], v[60:61]
	v_mov_b64_e32 v[26:27], v[60:61]
	s_and_saveexec_b64 s[6:7], vcc
	s_cbranch_execz .LBB2004_279
; %bb.246:
	v_add_u32_e32 v14, 4, v1
	v_mov_b64_e32 v[58:59], 0
	v_cmp_gt_u32_e32 vcc, s33, v14
	v_mov_b64_e32 v[56:57], v[58:59]
	v_mov_b64_e32 v[54:55], v[58:59]
	;; [unrolled: 1-line block ×16, first 2 shown]
	s_and_saveexec_b64 s[8:9], vcc
	s_cbranch_execz .LBB2004_278
; %bb.247:
	v_add_u32_e32 v14, 5, v1
	v_mov_b64_e32 v[56:57], 0
	v_cmp_gt_u32_e32 vcc, s33, v14
	v_mov_b64_e32 v[54:55], v[56:57]
	v_mov_b64_e32 v[52:53], v[56:57]
	;; [unrolled: 1-line block ×15, first 2 shown]
	s_and_saveexec_b64 s[10:11], vcc
	s_cbranch_execz .LBB2004_277
; %bb.248:
	v_add_u32_e32 v14, 6, v1
	v_mov_b64_e32 v[54:55], 0
	v_cmp_gt_u32_e32 vcc, s33, v14
	v_mov_b64_e32 v[52:53], v[54:55]
	v_mov_b64_e32 v[50:51], v[54:55]
	v_mov_b64_e32 v[48:49], v[54:55]
	v_mov_b64_e32 v[46:47], v[54:55]
	v_mov_b64_e32 v[44:45], v[54:55]
	v_mov_b64_e32 v[42:43], v[54:55]
	v_mov_b64_e32 v[40:41], v[54:55]
	v_mov_b64_e32 v[38:39], v[54:55]
	v_mov_b64_e32 v[34:35], v[54:55]
	v_mov_b64_e32 v[30:31], v[54:55]
	v_mov_b64_e32 v[22:23], v[54:55]
	v_mov_b64_e32 v[14:15], v[54:55]
	v_mov_b64_e32 v[18:19], v[54:55]
	v_mov_b64_e32 v[26:27], v[54:55]
	s_and_saveexec_b64 s[12:13], vcc
	s_cbranch_execz .LBB2004_276
; %bb.249:
	v_add_u32_e32 v14, 7, v1
	v_mov_b64_e32 v[52:53], 0
	v_cmp_gt_u32_e32 vcc, s33, v14
	v_mov_b64_e32 v[50:51], v[52:53]
	v_mov_b64_e32 v[48:49], v[52:53]
	;; [unrolled: 1-line block ×13, first 2 shown]
	s_and_saveexec_b64 s[14:15], vcc
	s_cbranch_execz .LBB2004_275
; %bb.250:
	v_add_u32_e32 v14, 8, v1
	v_mov_b64_e32 v[50:51], 0
	v_cmp_gt_u32_e32 vcc, s33, v14
	v_mov_b64_e32 v[48:49], v[50:51]
	v_mov_b64_e32 v[46:47], v[50:51]
	;; [unrolled: 1-line block ×12, first 2 shown]
	s_and_saveexec_b64 s[16:17], vcc
	s_cbranch_execz .LBB2004_274
; %bb.251:
	v_add_u32_e32 v14, 9, v1
	v_mov_b64_e32 v[48:49], 0
	v_cmp_gt_u32_e32 vcc, s33, v14
	v_mov_b64_e32 v[46:47], v[48:49]
	v_mov_b64_e32 v[44:45], v[48:49]
	;; [unrolled: 1-line block ×11, first 2 shown]
	s_and_saveexec_b64 s[18:19], vcc
	s_cbranch_execz .LBB2004_273
; %bb.252:
	v_add_u32_e32 v14, 10, v1
	v_mov_b64_e32 v[46:47], 0
	v_cmp_gt_u32_e32 vcc, s33, v14
	v_mov_b64_e32 v[44:45], v[46:47]
	v_mov_b64_e32 v[42:43], v[46:47]
	;; [unrolled: 1-line block ×10, first 2 shown]
	s_and_saveexec_b64 s[20:21], vcc
	s_cbranch_execz .LBB2004_272
; %bb.253:
	v_add_u32_e32 v14, 11, v1
	v_mov_b64_e32 v[44:45], 0
	v_cmp_gt_u32_e32 vcc, s33, v14
	v_mov_b64_e32 v[42:43], v[44:45]
	v_mov_b64_e32 v[40:41], v[44:45]
	;; [unrolled: 1-line block ×9, first 2 shown]
	s_and_saveexec_b64 s[22:23], vcc
	s_cbranch_execz .LBB2004_271
; %bb.254:
	v_add_u32_e32 v14, 12, v1
	v_mov_b64_e32 v[42:43], 0
	v_cmp_gt_u32_e32 vcc, s33, v14
	v_mov_b64_e32 v[40:41], v[42:43]
	v_mov_b64_e32 v[38:39], v[42:43]
	;; [unrolled: 1-line block ×8, first 2 shown]
	s_and_saveexec_b64 s[24:25], vcc
	s_cbranch_execz .LBB2004_270
; %bb.255:
	v_add_u32_e32 v14, 13, v1
	v_mov_b64_e32 v[40:41], 0
	v_cmp_gt_u32_e32 vcc, s33, v14
	v_mov_b64_e32 v[38:39], v[40:41]
	v_mov_b64_e32 v[34:35], v[40:41]
	;; [unrolled: 1-line block ×7, first 2 shown]
	s_and_saveexec_b64 s[26:27], vcc
	s_cbranch_execz .LBB2004_269
; %bb.256:
	v_add_u32_e32 v14, 14, v1
	v_mov_b64_e32 v[38:39], 0
	v_cmp_gt_u32_e32 vcc, s33, v14
	v_mov_b64_e32 v[34:35], v[38:39]
	v_mov_b64_e32 v[30:31], v[38:39]
	;; [unrolled: 1-line block ×6, first 2 shown]
	s_and_saveexec_b64 s[28:29], vcc
	s_cbranch_execz .LBB2004_268
; %bb.257:
	v_add_u32_e32 v14, 15, v1
	v_mov_b64_e32 v[34:35], 0
	v_cmp_gt_u32_e32 vcc, s33, v14
	v_mov_b64_e32 v[30:31], v[34:35]
	v_mov_b64_e32 v[22:23], v[34:35]
	v_mov_b64_e32 v[14:15], v[34:35]
	v_mov_b64_e32 v[18:19], v[34:35]
	v_mov_b64_e32 v[26:27], v[34:35]
	s_and_saveexec_b64 s[30:31], vcc
	s_cbranch_execz .LBB2004_267
; %bb.258:
	v_add_u32_e32 v14, 16, v1
	v_mov_b64_e32 v[30:31], 0
	v_cmp_gt_u32_e32 vcc, s33, v14
	v_mov_b64_e32 v[22:23], v[30:31]
	v_mov_b64_e32 v[14:15], v[30:31]
	;; [unrolled: 1-line block ×4, first 2 shown]
	s_and_saveexec_b64 s[34:35], vcc
	s_cbranch_execz .LBB2004_266
; %bb.259:
	v_add_u32_e32 v14, 17, v1
	v_mov_b64_e32 v[22:23], 0
	v_cmp_gt_u32_e32 vcc, s33, v14
	v_mov_b64_e32 v[14:15], v[22:23]
	v_mov_b64_e32 v[18:19], v[22:23]
	;; [unrolled: 1-line block ×3, first 2 shown]
	s_and_saveexec_b64 s[36:37], vcc
	s_cbranch_execz .LBB2004_265
; %bb.260:
	v_add_u32_e32 v14, 18, v1
	v_cmp_gt_u32_e32 vcc, s33, v14
	v_mov_b64_e32 v[14:15], 0
	v_mov_b64_e32 v[18:19], v[14:15]
	;; [unrolled: 1-line block ×3, first 2 shown]
	s_and_saveexec_b64 s[38:39], vcc
	s_cbranch_execz .LBB2004_264
; %bb.261:
	v_add_u32_e32 v14, 19, v1
	v_mov_b64_e32 v[18:19], 0
	v_cmp_gt_u32_e32 vcc, s33, v14
	v_mov_b64_e32 v[26:27], v[18:19]
	s_and_saveexec_b64 s[40:41], vcc
; %bb.262:
	v_add_u32_e32 v14, 20, v1
	v_cmp_gt_u32_e32 vcc, s33, v14
	v_mov_b64_e32 v[18:19], v[100:101]
	s_nop 0
	v_cndmask_b32_e32 v27, 0, v9, vcc
	v_cndmask_b32_e32 v26, 0, v8, vcc
; %bb.263:
	s_or_b64 exec, exec, s[40:41]
	v_mov_b64_e32 v[14:15], v[36:37]
.LBB2004_264:
	s_or_b64 exec, exec, s[38:39]
	v_mov_b64_e32 v[22:23], v[98:99]
.LBB2004_265:
	s_or_b64 exec, exec, s[36:37]
	v_mov_b64_e32 v[30:31], v[32:33]
.LBB2004_266:
	s_or_b64 exec, exec, s[34:35]
	v_mov_b32_e32 v95, v97
	v_mov_b64_e32 v[34:35], v[94:95]
.LBB2004_267:
	s_or_b64 exec, exec, s[30:31]
	v_mov_b32_e32 v29, v93
	v_mov_b64_e32 v[38:39], v[28:29]
.LBB2004_268:
	s_or_b64 exec, exec, s[28:29]
	v_mov_b64_e32 v[40:41], v[90:91]
.LBB2004_269:
	s_or_b64 exec, exec, s[26:27]
	v_mov_b64_e32 v[42:43], v[24:25]
.LBB2004_270:
	s_or_b64 exec, exec, s[24:25]
	v_mov_b64_e32 v[44:45], v[88:89]
.LBB2004_271:
	s_or_b64 exec, exec, s[22:23]
	v_mov_b64_e32 v[46:47], v[20:21]
.LBB2004_272:
	s_or_b64 exec, exec, s[20:21]
	v_mov_b64_e32 v[48:49], v[86:87]
.LBB2004_273:
	s_or_b64 exec, exec, s[18:19]
	v_mov_b64_e32 v[50:51], v[16:17]
.LBB2004_274:
	s_or_b64 exec, exec, s[16:17]
	v_mov_b64_e32 v[52:53], v[84:85]
.LBB2004_275:
	s_or_b64 exec, exec, s[14:15]
	v_mov_b64_e32 v[54:55], v[10:11]
.LBB2004_276:
	s_or_b64 exec, exec, s[12:13]
	v_mov_b64_e32 v[56:57], v[82:83]
.LBB2004_277:
	s_or_b64 exec, exec, s[10:11]
	v_mov_b64_e32 v[58:59], v[6:7]
.LBB2004_278:
	s_or_b64 exec, exec, s[8:9]
	v_mov_b64_e32 v[60:61], v[80:81]
.LBB2004_279:
	s_or_b64 exec, exec, s[6:7]
	v_mov_b64_e32 v[62:63], v[2:3]
.LBB2004_280:
	s_or_b64 exec, exec, s[4:5]
	v_mov_b64_e32 v[64:65], v[78:79]
.LBB2004_281:
	s_or_b64 exec, exec, s[2:3]
	v_mov_b64_e32 v[66:67], v[12:13]
.LBB2004_282:
	s_or_b64 exec, exec, s[0:1]
	v_lshlrev_b32_e32 v1, 3, v1
	s_movk_i32 s0, 0xff60
	s_barrier
	ds_write2_b64 v1, v[66:67], v[64:65] offset1:1
	ds_write2_b64 v1, v[62:63], v[60:61] offset0:2 offset1:3
	ds_write2_b64 v1, v[58:59], v[56:57] offset0:4 offset1:5
	;; [unrolled: 1-line block ×9, first 2 shown]
	ds_write_b64 v1, v[26:27] offset:160
	v_mad_i32_i24 v14, v0, s0, v1
	s_waitcnt lgkmcnt(0)
	s_barrier
	ds_read2st64_b64 v[74:77], v14 offset0:4 offset1:8
	ds_read2st64_b64 v[70:73], v14 offset0:12 offset1:16
	;; [unrolled: 1-line block ×10, first 2 shown]
	v_mov_b32_e32 v15, 0
	v_lshlrev_b32_e32 v14, 3, v0
	v_lshl_add_u64 v[18:19], v[4:5], 0, v[14:15]
	v_cmp_gt_u32_e32 vcc, s33, v0
	s_and_saveexec_b64 s[0:1], vcc
	s_cbranch_execz .LBB2004_284
; %bb.283:
	v_mul_i32_i24_e32 v14, 0xffffff60, v0
	v_add_u32_e32 v1, v1, v14
	ds_read_b64 v[22:23], v1
	s_waitcnt lgkmcnt(0)
	flat_store_dwordx2 v[18:19], v[22:23]
.LBB2004_284:
	s_or_b64 exec, exec, s[0:1]
	v_or_b32_e32 v1, 0x100, v0
	v_cmp_gt_u32_e32 vcc, s33, v1
	s_and_saveexec_b64 s[0:1], vcc
	s_cbranch_execz .LBB2004_286
; %bb.285:
	s_waitcnt lgkmcnt(0)
	flat_store_dwordx2 v[18:19], v[74:75] offset:2048
.LBB2004_286:
	s_or_b64 exec, exec, s[0:1]
	v_or_b32_e32 v1, 0x200, v0
	v_cmp_gt_u32_e32 vcc, s33, v1
	s_and_saveexec_b64 s[0:1], vcc
	s_cbranch_execz .LBB2004_288
; %bb.287:
	v_add_co_u32_e32 v22, vcc, 0x1000, v18
	s_nop 1
	v_addc_co_u32_e32 v23, vcc, 0, v19, vcc
	s_waitcnt lgkmcnt(0)
	flat_store_dwordx2 v[22:23], v[76:77]
.LBB2004_288:
	s_or_b64 exec, exec, s[0:1]
	v_or_b32_e32 v1, 0x300, v0
	v_cmp_gt_u32_e32 vcc, s33, v1
	s_and_saveexec_b64 s[0:1], vcc
	s_cbranch_execz .LBB2004_290
; %bb.289:
	v_add_co_u32_e32 v22, vcc, 0x1000, v18
	s_nop 1
	v_addc_co_u32_e32 v23, vcc, 0, v19, vcc
	s_waitcnt lgkmcnt(0)
	flat_store_dwordx2 v[22:23], v[70:71] offset:2048
.LBB2004_290:
	s_or_b64 exec, exec, s[0:1]
	v_or_b32_e32 v1, 0x400, v0
	v_cmp_gt_u32_e32 vcc, s33, v1
	s_and_saveexec_b64 s[0:1], vcc
	s_cbranch_execz .LBB2004_292
; %bb.291:
	v_add_co_u32_e32 v22, vcc, 0x2000, v18
	s_nop 1
	v_addc_co_u32_e32 v23, vcc, 0, v19, vcc
	s_waitcnt lgkmcnt(0)
	flat_store_dwordx2 v[22:23], v[72:73]
.LBB2004_292:
	s_or_b64 exec, exec, s[0:1]
	v_or_b32_e32 v1, 0x500, v0
	v_cmp_gt_u32_e32 vcc, s33, v1
	s_and_saveexec_b64 s[0:1], vcc
	s_cbranch_execz .LBB2004_294
; %bb.293:
	v_add_co_u32_e32 v22, vcc, 0x2000, v18
	s_nop 1
	v_addc_co_u32_e32 v23, vcc, 0, v19, vcc
	s_waitcnt lgkmcnt(0)
	flat_store_dwordx2 v[22:23], v[66:67] offset:2048
.LBB2004_294:
	s_or_b64 exec, exec, s[0:1]
	v_or_b32_e32 v1, 0x600, v0
	v_cmp_gt_u32_e32 vcc, s33, v1
	s_and_saveexec_b64 s[0:1], vcc
	s_cbranch_execz .LBB2004_296
; %bb.295:
	v_add_co_u32_e32 v22, vcc, 0x3000, v18
	s_nop 1
	v_addc_co_u32_e32 v23, vcc, 0, v19, vcc
	s_waitcnt lgkmcnt(0)
	flat_store_dwordx2 v[22:23], v[68:69]
.LBB2004_296:
	s_or_b64 exec, exec, s[0:1]
	v_or_b32_e32 v1, 0x700, v0
	v_cmp_gt_u32_e32 vcc, s33, v1
	s_and_saveexec_b64 s[0:1], vcc
	s_cbranch_execz .LBB2004_298
; %bb.297:
	v_add_co_u32_e32 v22, vcc, 0x3000, v18
	s_nop 1
	v_addc_co_u32_e32 v23, vcc, 0, v19, vcc
	s_waitcnt lgkmcnt(0)
	flat_store_dwordx2 v[22:23], v[62:63] offset:2048
.LBB2004_298:
	s_or_b64 exec, exec, s[0:1]
	v_or_b32_e32 v1, 0x800, v0
	v_cmp_gt_u32_e32 vcc, s33, v1
	s_and_saveexec_b64 s[0:1], vcc
	s_cbranch_execz .LBB2004_300
; %bb.299:
	v_add_co_u32_e32 v22, vcc, 0x4000, v18
	s_nop 1
	v_addc_co_u32_e32 v23, vcc, 0, v19, vcc
	s_waitcnt lgkmcnt(0)
	flat_store_dwordx2 v[22:23], v[64:65]
.LBB2004_300:
	s_or_b64 exec, exec, s[0:1]
	v_or_b32_e32 v1, 0x900, v0
	v_cmp_gt_u32_e32 vcc, s33, v1
	s_and_saveexec_b64 s[0:1], vcc
	s_cbranch_execz .LBB2004_302
; %bb.301:
	v_add_co_u32_e32 v22, vcc, 0x4000, v18
	s_nop 1
	v_addc_co_u32_e32 v23, vcc, 0, v19, vcc
	s_waitcnt lgkmcnt(0)
	flat_store_dwordx2 v[22:23], v[58:59] offset:2048
.LBB2004_302:
	s_or_b64 exec, exec, s[0:1]
	v_or_b32_e32 v1, 0xa00, v0
	v_cmp_gt_u32_e32 vcc, s33, v1
	s_and_saveexec_b64 s[0:1], vcc
	s_cbranch_execz .LBB2004_304
; %bb.303:
	v_add_co_u32_e32 v22, vcc, 0x5000, v18
	s_nop 1
	v_addc_co_u32_e32 v23, vcc, 0, v19, vcc
	s_waitcnt lgkmcnt(0)
	flat_store_dwordx2 v[22:23], v[60:61]
.LBB2004_304:
	s_or_b64 exec, exec, s[0:1]
	v_or_b32_e32 v1, 0xb00, v0
	v_cmp_gt_u32_e32 vcc, s33, v1
	s_and_saveexec_b64 s[0:1], vcc
	s_cbranch_execz .LBB2004_306
; %bb.305:
	v_add_co_u32_e32 v22, vcc, 0x5000, v18
	s_nop 1
	v_addc_co_u32_e32 v23, vcc, 0, v19, vcc
	s_waitcnt lgkmcnt(0)
	flat_store_dwordx2 v[22:23], v[54:55] offset:2048
.LBB2004_306:
	s_or_b64 exec, exec, s[0:1]
	v_or_b32_e32 v1, 0xc00, v0
	v_cmp_gt_u32_e32 vcc, s33, v1
	s_and_saveexec_b64 s[0:1], vcc
	s_cbranch_execz .LBB2004_308
; %bb.307:
	v_add_co_u32_e32 v22, vcc, 0x6000, v18
	s_nop 1
	v_addc_co_u32_e32 v23, vcc, 0, v19, vcc
	s_waitcnt lgkmcnt(0)
	flat_store_dwordx2 v[22:23], v[56:57]
.LBB2004_308:
	s_or_b64 exec, exec, s[0:1]
	v_or_b32_e32 v1, 0xd00, v0
	v_cmp_gt_u32_e32 vcc, s33, v1
	s_and_saveexec_b64 s[0:1], vcc
	s_cbranch_execz .LBB2004_310
; %bb.309:
	v_add_co_u32_e32 v22, vcc, 0x6000, v18
	s_nop 1
	v_addc_co_u32_e32 v23, vcc, 0, v19, vcc
	s_waitcnt lgkmcnt(0)
	flat_store_dwordx2 v[22:23], v[50:51] offset:2048
.LBB2004_310:
	s_or_b64 exec, exec, s[0:1]
	v_or_b32_e32 v1, 0xe00, v0
	v_cmp_gt_u32_e32 vcc, s33, v1
	s_and_saveexec_b64 s[0:1], vcc
	s_cbranch_execz .LBB2004_312
; %bb.311:
	v_add_co_u32_e32 v22, vcc, 0x7000, v18
	s_nop 1
	v_addc_co_u32_e32 v23, vcc, 0, v19, vcc
	s_waitcnt lgkmcnt(0)
	flat_store_dwordx2 v[22:23], v[52:53]
.LBB2004_312:
	s_or_b64 exec, exec, s[0:1]
	v_or_b32_e32 v1, 0xf00, v0
	v_cmp_gt_u32_e32 vcc, s33, v1
	s_and_saveexec_b64 s[0:1], vcc
	s_cbranch_execz .LBB2004_314
; %bb.313:
	v_add_co_u32_e32 v22, vcc, 0x7000, v18
	s_nop 1
	v_addc_co_u32_e32 v23, vcc, 0, v19, vcc
	s_waitcnt lgkmcnt(0)
	flat_store_dwordx2 v[22:23], v[46:47] offset:2048
.LBB2004_314:
	s_or_b64 exec, exec, s[0:1]
	v_or_b32_e32 v1, 0x1000, v0
	v_cmp_gt_u32_e32 vcc, s33, v1
	s_and_saveexec_b64 s[0:1], vcc
	s_cbranch_execz .LBB2004_316
; %bb.315:
	v_add_co_u32_e32 v22, vcc, 0x8000, v18
	s_nop 1
	v_addc_co_u32_e32 v23, vcc, 0, v19, vcc
	s_waitcnt lgkmcnt(0)
	flat_store_dwordx2 v[22:23], v[48:49]
.LBB2004_316:
	s_or_b64 exec, exec, s[0:1]
	v_or_b32_e32 v1, 0x1100, v0
	v_cmp_gt_u32_e32 vcc, s33, v1
	s_and_saveexec_b64 s[0:1], vcc
	s_cbranch_execz .LBB2004_318
; %bb.317:
	v_add_co_u32_e32 v22, vcc, 0x8000, v18
	s_nop 1
	v_addc_co_u32_e32 v23, vcc, 0, v19, vcc
	s_waitcnt lgkmcnt(0)
	flat_store_dwordx2 v[22:23], v[42:43] offset:2048
.LBB2004_318:
	s_or_b64 exec, exec, s[0:1]
	v_or_b32_e32 v1, 0x1200, v0
	v_cmp_gt_u32_e32 vcc, s33, v1
	s_and_saveexec_b64 s[0:1], vcc
	s_cbranch_execz .LBB2004_320
; %bb.319:
	v_add_co_u32_e32 v22, vcc, 0x9000, v18
	s_nop 1
	v_addc_co_u32_e32 v23, vcc, 0, v19, vcc
	s_waitcnt lgkmcnt(0)
	flat_store_dwordx2 v[22:23], v[44:45]
.LBB2004_320:
	s_or_b64 exec, exec, s[0:1]
	v_or_b32_e32 v1, 0x1300, v0
	v_cmp_gt_u32_e32 vcc, s33, v1
	s_and_saveexec_b64 s[0:1], vcc
	s_cbranch_execz .LBB2004_322
; %bb.321:
	v_add_co_u32_e32 v18, vcc, 0x9000, v18
	s_nop 1
	v_addc_co_u32_e32 v19, vcc, 0, v19, vcc
	s_waitcnt lgkmcnt(0)
	flat_store_dwordx2 v[18:19], v[38:39] offset:2048
.LBB2004_322:
	s_or_b64 exec, exec, s[0:1]
	v_or_b32_e32 v14, 0x1400, v0
	v_mov_b32_e32 v1, v15
	v_cmp_gt_u32_e64 s[0:1], s33, v14
	s_branch .LBB2004_325
.LBB2004_323:
	s_mov_b64 s[0:1], 0
                                        ; kill: def $vgpr14_vgpr15 killed $sgpr0_sgpr1 killed $exec
                                        ; implicit-def: $vgpr40_vgpr41
	s_cbranch_execz .LBB2004_325
; %bb.324:
	v_mul_u32_u24_e32 v1, 0xa8, v0
	s_waitcnt lgkmcnt(0)
	s_barrier
	s_movk_i32 s2, 0xa8
	ds_write2_b64 v1, v[12:13], v[78:79] offset1:1
	ds_write2_b64 v1, v[2:3], v[80:81] offset0:2 offset1:3
	ds_write2_b64 v1, v[6:7], v[82:83] offset0:4 offset1:5
	;; [unrolled: 1-line block ×6, first 2 shown]
	v_mov_b32_e32 v29, v93
	v_mov_b32_e32 v95, v97
	v_mul_i32_i24_e32 v2, 0xffffff60, v0
	ds_write2_b64 v1, v[28:29], v[94:95] offset0:14 offset1:15
	ds_write2_b64 v1, v[32:33], v[98:99] offset0:16 offset1:17
	;; [unrolled: 1-line block ×3, first 2 shown]
	ds_write_b64 v1, v[8:9] offset:160
	v_mov_b32_e32 v1, 0
	v_mad_u32_u24 v2, v0, s2, v2
	s_waitcnt lgkmcnt(0)
	s_barrier
	ds_read2st64_b64 v[6:9], v2 offset1:4
	ds_read2st64_b64 v[10:13], v2 offset0:8 offset1:12
	ds_read2st64_b64 v[14:17], v2 offset0:16 offset1:20
	;; [unrolled: 1-line block ×9, first 2 shown]
	ds_read_b64 v[40:41], v2 offset:40960
	v_lshlrev_b32_e32 v2, 3, v0
	v_mov_b32_e32 v3, v1
	v_lshl_add_u64 v[2:3], v[4:5], 0, v[2:3]
	s_movk_i32 s2, 0x1000
	s_waitcnt lgkmcnt(0)
	flat_store_dwordx2 v[2:3], v[6:7]
	flat_store_dwordx2 v[2:3], v[8:9] offset:2048
	v_add_co_u32_e32 v6, vcc, s2, v2
	s_movk_i32 s2, 0x2000
	s_nop 0
	v_addc_co_u32_e32 v7, vcc, 0, v3, vcc
	flat_store_dwordx2 v[6:7], v[10:11]
	flat_store_dwordx2 v[6:7], v[12:13] offset:2048
	v_add_co_u32_e32 v6, vcc, s2, v2
	s_movk_i32 s2, 0x3000
	s_nop 0
	v_addc_co_u32_e32 v7, vcc, 0, v3, vcc
	;; [unrolled: 6-line block ×6, first 2 shown]
	flat_store_dwordx2 v[6:7], v[30:31]
	flat_store_dwordx2 v[6:7], v[32:33] offset:2048
	v_add_co_u32_e32 v6, vcc, s2, v2
	s_or_b64 s[0:1], s[0:1], exec
	s_nop 0
	v_addc_co_u32_e32 v7, vcc, 0, v3, vcc
	flat_store_dwordx2 v[6:7], v[34:35]
	flat_store_dwordx2 v[6:7], v[36:37] offset:2048
	v_add_co_u32_e32 v6, vcc, 0x8000, v2
	s_nop 1
	v_addc_co_u32_e32 v7, vcc, 0, v3, vcc
	v_add_co_u32_e32 v2, vcc, 0x9000, v2
	flat_store_dwordx2 v[6:7], v[42:43]
	flat_store_dwordx2 v[6:7], v[44:45] offset:2048
	v_addc_co_u32_e32 v3, vcc, 0, v3, vcc
	flat_store_dwordx2 v[2:3], v[46:47]
	flat_store_dwordx2 v[2:3], v[48:49] offset:2048
.LBB2004_325:
	s_and_saveexec_b64 s[2:3], s[0:1]
	s_cbranch_execnz .LBB2004_327
; %bb.326:
	s_endpgm
.LBB2004_327:
	v_lshl_add_u64 v[0:1], v[0:1], 3, v[4:5]
	v_add_co_u32_e32 v0, vcc, 0xa000, v0
	s_nop 1
	v_addc_co_u32_e32 v1, vcc, 0, v1, vcc
	s_waitcnt lgkmcnt(0)
	flat_store_dwordx2 v[0:1], v[40:41]
	s_endpgm
	.section	.rodata,"a",@progbits
	.p2align	6, 0x0
	.amdhsa_kernel _ZN7rocprim17ROCPRIM_400000_NS6detail17trampoline_kernelINS0_14default_configENS1_27scan_by_key_config_selectorIj11FixedVectorIiLj2EEEEZZNS1_16scan_by_key_implILNS1_25lookback_scan_determinismE0ELb1ES3_N6thrust23THRUST_200600_302600_NS6detail15normal_iteratorINSB_10device_ptrIjEEEENSD_INSE_IS6_EEEESI_S6_NSB_4plusIvEENSB_8equal_toIvEES6_EE10hipError_tPvRmT2_T3_T4_T5_mT6_T7_P12ihipStream_tbENKUlT_T0_E_clISt17integral_constantIbLb1EES13_EEDaSY_SZ_EUlSY_E_NS1_11comp_targetILNS1_3genE5ELNS1_11target_archE942ELNS1_3gpuE9ELNS1_3repE0EEENS1_30default_config_static_selectorELNS0_4arch9wavefront6targetE1EEEvT1_
		.amdhsa_group_segment_fixed_size 43008
		.amdhsa_private_segment_fixed_size 0
		.amdhsa_kernarg_size 120
		.amdhsa_user_sgpr_count 2
		.amdhsa_user_sgpr_dispatch_ptr 0
		.amdhsa_user_sgpr_queue_ptr 0
		.amdhsa_user_sgpr_kernarg_segment_ptr 1
		.amdhsa_user_sgpr_dispatch_id 0
		.amdhsa_user_sgpr_kernarg_preload_length 0
		.amdhsa_user_sgpr_kernarg_preload_offset 0
		.amdhsa_user_sgpr_private_segment_size 0
		.amdhsa_uses_dynamic_stack 0
		.amdhsa_enable_private_segment 0
		.amdhsa_system_sgpr_workgroup_id_x 1
		.amdhsa_system_sgpr_workgroup_id_y 0
		.amdhsa_system_sgpr_workgroup_id_z 0
		.amdhsa_system_sgpr_workgroup_info 0
		.amdhsa_system_vgpr_workitem_id 0
		.amdhsa_next_free_vgpr 129
		.amdhsa_next_free_sgpr 76
		.amdhsa_accum_offset 132
		.amdhsa_reserve_vcc 1
		.amdhsa_float_round_mode_32 0
		.amdhsa_float_round_mode_16_64 0
		.amdhsa_float_denorm_mode_32 3
		.amdhsa_float_denorm_mode_16_64 3
		.amdhsa_dx10_clamp 1
		.amdhsa_ieee_mode 1
		.amdhsa_fp16_overflow 0
		.amdhsa_tg_split 0
		.amdhsa_exception_fp_ieee_invalid_op 0
		.amdhsa_exception_fp_denorm_src 0
		.amdhsa_exception_fp_ieee_div_zero 0
		.amdhsa_exception_fp_ieee_overflow 0
		.amdhsa_exception_fp_ieee_underflow 0
		.amdhsa_exception_fp_ieee_inexact 0
		.amdhsa_exception_int_div_zero 0
	.end_amdhsa_kernel
	.section	.text._ZN7rocprim17ROCPRIM_400000_NS6detail17trampoline_kernelINS0_14default_configENS1_27scan_by_key_config_selectorIj11FixedVectorIiLj2EEEEZZNS1_16scan_by_key_implILNS1_25lookback_scan_determinismE0ELb1ES3_N6thrust23THRUST_200600_302600_NS6detail15normal_iteratorINSB_10device_ptrIjEEEENSD_INSE_IS6_EEEESI_S6_NSB_4plusIvEENSB_8equal_toIvEES6_EE10hipError_tPvRmT2_T3_T4_T5_mT6_T7_P12ihipStream_tbENKUlT_T0_E_clISt17integral_constantIbLb1EES13_EEDaSY_SZ_EUlSY_E_NS1_11comp_targetILNS1_3genE5ELNS1_11target_archE942ELNS1_3gpuE9ELNS1_3repE0EEENS1_30default_config_static_selectorELNS0_4arch9wavefront6targetE1EEEvT1_,"axG",@progbits,_ZN7rocprim17ROCPRIM_400000_NS6detail17trampoline_kernelINS0_14default_configENS1_27scan_by_key_config_selectorIj11FixedVectorIiLj2EEEEZZNS1_16scan_by_key_implILNS1_25lookback_scan_determinismE0ELb1ES3_N6thrust23THRUST_200600_302600_NS6detail15normal_iteratorINSB_10device_ptrIjEEEENSD_INSE_IS6_EEEESI_S6_NSB_4plusIvEENSB_8equal_toIvEES6_EE10hipError_tPvRmT2_T3_T4_T5_mT6_T7_P12ihipStream_tbENKUlT_T0_E_clISt17integral_constantIbLb1EES13_EEDaSY_SZ_EUlSY_E_NS1_11comp_targetILNS1_3genE5ELNS1_11target_archE942ELNS1_3gpuE9ELNS1_3repE0EEENS1_30default_config_static_selectorELNS0_4arch9wavefront6targetE1EEEvT1_,comdat
.Lfunc_end2004:
	.size	_ZN7rocprim17ROCPRIM_400000_NS6detail17trampoline_kernelINS0_14default_configENS1_27scan_by_key_config_selectorIj11FixedVectorIiLj2EEEEZZNS1_16scan_by_key_implILNS1_25lookback_scan_determinismE0ELb1ES3_N6thrust23THRUST_200600_302600_NS6detail15normal_iteratorINSB_10device_ptrIjEEEENSD_INSE_IS6_EEEESI_S6_NSB_4plusIvEENSB_8equal_toIvEES6_EE10hipError_tPvRmT2_T3_T4_T5_mT6_T7_P12ihipStream_tbENKUlT_T0_E_clISt17integral_constantIbLb1EES13_EEDaSY_SZ_EUlSY_E_NS1_11comp_targetILNS1_3genE5ELNS1_11target_archE942ELNS1_3gpuE9ELNS1_3repE0EEENS1_30default_config_static_selectorELNS0_4arch9wavefront6targetE1EEEvT1_, .Lfunc_end2004-_ZN7rocprim17ROCPRIM_400000_NS6detail17trampoline_kernelINS0_14default_configENS1_27scan_by_key_config_selectorIj11FixedVectorIiLj2EEEEZZNS1_16scan_by_key_implILNS1_25lookback_scan_determinismE0ELb1ES3_N6thrust23THRUST_200600_302600_NS6detail15normal_iteratorINSB_10device_ptrIjEEEENSD_INSE_IS6_EEEESI_S6_NSB_4plusIvEENSB_8equal_toIvEES6_EE10hipError_tPvRmT2_T3_T4_T5_mT6_T7_P12ihipStream_tbENKUlT_T0_E_clISt17integral_constantIbLb1EES13_EEDaSY_SZ_EUlSY_E_NS1_11comp_targetILNS1_3genE5ELNS1_11target_archE942ELNS1_3gpuE9ELNS1_3repE0EEENS1_30default_config_static_selectorELNS0_4arch9wavefront6targetE1EEEvT1_
                                        ; -- End function
	.section	.AMDGPU.csdata,"",@progbits
; Kernel info:
; codeLenInByte = 19312
; NumSgprs: 82
; NumVgprs: 129
; NumAgprs: 0
; TotalNumVgprs: 129
; ScratchSize: 0
; MemoryBound: 0
; FloatMode: 240
; IeeeMode: 1
; LDSByteSize: 43008 bytes/workgroup (compile time only)
; SGPRBlocks: 10
; VGPRBlocks: 16
; NumSGPRsForWavesPerEU: 82
; NumVGPRsForWavesPerEU: 129
; AccumOffset: 132
; Occupancy: 1
; WaveLimiterHint : 1
; COMPUTE_PGM_RSRC2:SCRATCH_EN: 0
; COMPUTE_PGM_RSRC2:USER_SGPR: 2
; COMPUTE_PGM_RSRC2:TRAP_HANDLER: 0
; COMPUTE_PGM_RSRC2:TGID_X_EN: 1
; COMPUTE_PGM_RSRC2:TGID_Y_EN: 0
; COMPUTE_PGM_RSRC2:TGID_Z_EN: 0
; COMPUTE_PGM_RSRC2:TIDIG_COMP_CNT: 0
; COMPUTE_PGM_RSRC3_GFX90A:ACCUM_OFFSET: 32
; COMPUTE_PGM_RSRC3_GFX90A:TG_SPLIT: 0
	.section	.text._ZN7rocprim17ROCPRIM_400000_NS6detail17trampoline_kernelINS0_14default_configENS1_27scan_by_key_config_selectorIj11FixedVectorIiLj2EEEEZZNS1_16scan_by_key_implILNS1_25lookback_scan_determinismE0ELb1ES3_N6thrust23THRUST_200600_302600_NS6detail15normal_iteratorINSB_10device_ptrIjEEEENSD_INSE_IS6_EEEESI_S6_NSB_4plusIvEENSB_8equal_toIvEES6_EE10hipError_tPvRmT2_T3_T4_T5_mT6_T7_P12ihipStream_tbENKUlT_T0_E_clISt17integral_constantIbLb1EES13_EEDaSY_SZ_EUlSY_E_NS1_11comp_targetILNS1_3genE4ELNS1_11target_archE910ELNS1_3gpuE8ELNS1_3repE0EEENS1_30default_config_static_selectorELNS0_4arch9wavefront6targetE1EEEvT1_,"axG",@progbits,_ZN7rocprim17ROCPRIM_400000_NS6detail17trampoline_kernelINS0_14default_configENS1_27scan_by_key_config_selectorIj11FixedVectorIiLj2EEEEZZNS1_16scan_by_key_implILNS1_25lookback_scan_determinismE0ELb1ES3_N6thrust23THRUST_200600_302600_NS6detail15normal_iteratorINSB_10device_ptrIjEEEENSD_INSE_IS6_EEEESI_S6_NSB_4plusIvEENSB_8equal_toIvEES6_EE10hipError_tPvRmT2_T3_T4_T5_mT6_T7_P12ihipStream_tbENKUlT_T0_E_clISt17integral_constantIbLb1EES13_EEDaSY_SZ_EUlSY_E_NS1_11comp_targetILNS1_3genE4ELNS1_11target_archE910ELNS1_3gpuE8ELNS1_3repE0EEENS1_30default_config_static_selectorELNS0_4arch9wavefront6targetE1EEEvT1_,comdat
	.protected	_ZN7rocprim17ROCPRIM_400000_NS6detail17trampoline_kernelINS0_14default_configENS1_27scan_by_key_config_selectorIj11FixedVectorIiLj2EEEEZZNS1_16scan_by_key_implILNS1_25lookback_scan_determinismE0ELb1ES3_N6thrust23THRUST_200600_302600_NS6detail15normal_iteratorINSB_10device_ptrIjEEEENSD_INSE_IS6_EEEESI_S6_NSB_4plusIvEENSB_8equal_toIvEES6_EE10hipError_tPvRmT2_T3_T4_T5_mT6_T7_P12ihipStream_tbENKUlT_T0_E_clISt17integral_constantIbLb1EES13_EEDaSY_SZ_EUlSY_E_NS1_11comp_targetILNS1_3genE4ELNS1_11target_archE910ELNS1_3gpuE8ELNS1_3repE0EEENS1_30default_config_static_selectorELNS0_4arch9wavefront6targetE1EEEvT1_ ; -- Begin function _ZN7rocprim17ROCPRIM_400000_NS6detail17trampoline_kernelINS0_14default_configENS1_27scan_by_key_config_selectorIj11FixedVectorIiLj2EEEEZZNS1_16scan_by_key_implILNS1_25lookback_scan_determinismE0ELb1ES3_N6thrust23THRUST_200600_302600_NS6detail15normal_iteratorINSB_10device_ptrIjEEEENSD_INSE_IS6_EEEESI_S6_NSB_4plusIvEENSB_8equal_toIvEES6_EE10hipError_tPvRmT2_T3_T4_T5_mT6_T7_P12ihipStream_tbENKUlT_T0_E_clISt17integral_constantIbLb1EES13_EEDaSY_SZ_EUlSY_E_NS1_11comp_targetILNS1_3genE4ELNS1_11target_archE910ELNS1_3gpuE8ELNS1_3repE0EEENS1_30default_config_static_selectorELNS0_4arch9wavefront6targetE1EEEvT1_
	.globl	_ZN7rocprim17ROCPRIM_400000_NS6detail17trampoline_kernelINS0_14default_configENS1_27scan_by_key_config_selectorIj11FixedVectorIiLj2EEEEZZNS1_16scan_by_key_implILNS1_25lookback_scan_determinismE0ELb1ES3_N6thrust23THRUST_200600_302600_NS6detail15normal_iteratorINSB_10device_ptrIjEEEENSD_INSE_IS6_EEEESI_S6_NSB_4plusIvEENSB_8equal_toIvEES6_EE10hipError_tPvRmT2_T3_T4_T5_mT6_T7_P12ihipStream_tbENKUlT_T0_E_clISt17integral_constantIbLb1EES13_EEDaSY_SZ_EUlSY_E_NS1_11comp_targetILNS1_3genE4ELNS1_11target_archE910ELNS1_3gpuE8ELNS1_3repE0EEENS1_30default_config_static_selectorELNS0_4arch9wavefront6targetE1EEEvT1_
	.p2align	8
	.type	_ZN7rocprim17ROCPRIM_400000_NS6detail17trampoline_kernelINS0_14default_configENS1_27scan_by_key_config_selectorIj11FixedVectorIiLj2EEEEZZNS1_16scan_by_key_implILNS1_25lookback_scan_determinismE0ELb1ES3_N6thrust23THRUST_200600_302600_NS6detail15normal_iteratorINSB_10device_ptrIjEEEENSD_INSE_IS6_EEEESI_S6_NSB_4plusIvEENSB_8equal_toIvEES6_EE10hipError_tPvRmT2_T3_T4_T5_mT6_T7_P12ihipStream_tbENKUlT_T0_E_clISt17integral_constantIbLb1EES13_EEDaSY_SZ_EUlSY_E_NS1_11comp_targetILNS1_3genE4ELNS1_11target_archE910ELNS1_3gpuE8ELNS1_3repE0EEENS1_30default_config_static_selectorELNS0_4arch9wavefront6targetE1EEEvT1_,@function
_ZN7rocprim17ROCPRIM_400000_NS6detail17trampoline_kernelINS0_14default_configENS1_27scan_by_key_config_selectorIj11FixedVectorIiLj2EEEEZZNS1_16scan_by_key_implILNS1_25lookback_scan_determinismE0ELb1ES3_N6thrust23THRUST_200600_302600_NS6detail15normal_iteratorINSB_10device_ptrIjEEEENSD_INSE_IS6_EEEESI_S6_NSB_4plusIvEENSB_8equal_toIvEES6_EE10hipError_tPvRmT2_T3_T4_T5_mT6_T7_P12ihipStream_tbENKUlT_T0_E_clISt17integral_constantIbLb1EES13_EEDaSY_SZ_EUlSY_E_NS1_11comp_targetILNS1_3genE4ELNS1_11target_archE910ELNS1_3gpuE8ELNS1_3repE0EEENS1_30default_config_static_selectorELNS0_4arch9wavefront6targetE1EEEvT1_: ; @_ZN7rocprim17ROCPRIM_400000_NS6detail17trampoline_kernelINS0_14default_configENS1_27scan_by_key_config_selectorIj11FixedVectorIiLj2EEEEZZNS1_16scan_by_key_implILNS1_25lookback_scan_determinismE0ELb1ES3_N6thrust23THRUST_200600_302600_NS6detail15normal_iteratorINSB_10device_ptrIjEEEENSD_INSE_IS6_EEEESI_S6_NSB_4plusIvEENSB_8equal_toIvEES6_EE10hipError_tPvRmT2_T3_T4_T5_mT6_T7_P12ihipStream_tbENKUlT_T0_E_clISt17integral_constantIbLb1EES13_EEDaSY_SZ_EUlSY_E_NS1_11comp_targetILNS1_3genE4ELNS1_11target_archE910ELNS1_3gpuE8ELNS1_3repE0EEENS1_30default_config_static_selectorELNS0_4arch9wavefront6targetE1EEEvT1_
; %bb.0:
	.section	.rodata,"a",@progbits
	.p2align	6, 0x0
	.amdhsa_kernel _ZN7rocprim17ROCPRIM_400000_NS6detail17trampoline_kernelINS0_14default_configENS1_27scan_by_key_config_selectorIj11FixedVectorIiLj2EEEEZZNS1_16scan_by_key_implILNS1_25lookback_scan_determinismE0ELb1ES3_N6thrust23THRUST_200600_302600_NS6detail15normal_iteratorINSB_10device_ptrIjEEEENSD_INSE_IS6_EEEESI_S6_NSB_4plusIvEENSB_8equal_toIvEES6_EE10hipError_tPvRmT2_T3_T4_T5_mT6_T7_P12ihipStream_tbENKUlT_T0_E_clISt17integral_constantIbLb1EES13_EEDaSY_SZ_EUlSY_E_NS1_11comp_targetILNS1_3genE4ELNS1_11target_archE910ELNS1_3gpuE8ELNS1_3repE0EEENS1_30default_config_static_selectorELNS0_4arch9wavefront6targetE1EEEvT1_
		.amdhsa_group_segment_fixed_size 0
		.amdhsa_private_segment_fixed_size 0
		.amdhsa_kernarg_size 120
		.amdhsa_user_sgpr_count 2
		.amdhsa_user_sgpr_dispatch_ptr 0
		.amdhsa_user_sgpr_queue_ptr 0
		.amdhsa_user_sgpr_kernarg_segment_ptr 1
		.amdhsa_user_sgpr_dispatch_id 0
		.amdhsa_user_sgpr_kernarg_preload_length 0
		.amdhsa_user_sgpr_kernarg_preload_offset 0
		.amdhsa_user_sgpr_private_segment_size 0
		.amdhsa_uses_dynamic_stack 0
		.amdhsa_enable_private_segment 0
		.amdhsa_system_sgpr_workgroup_id_x 1
		.amdhsa_system_sgpr_workgroup_id_y 0
		.amdhsa_system_sgpr_workgroup_id_z 0
		.amdhsa_system_sgpr_workgroup_info 0
		.amdhsa_system_vgpr_workitem_id 0
		.amdhsa_next_free_vgpr 1
		.amdhsa_next_free_sgpr 0
		.amdhsa_accum_offset 4
		.amdhsa_reserve_vcc 0
		.amdhsa_float_round_mode_32 0
		.amdhsa_float_round_mode_16_64 0
		.amdhsa_float_denorm_mode_32 3
		.amdhsa_float_denorm_mode_16_64 3
		.amdhsa_dx10_clamp 1
		.amdhsa_ieee_mode 1
		.amdhsa_fp16_overflow 0
		.amdhsa_tg_split 0
		.amdhsa_exception_fp_ieee_invalid_op 0
		.amdhsa_exception_fp_denorm_src 0
		.amdhsa_exception_fp_ieee_div_zero 0
		.amdhsa_exception_fp_ieee_overflow 0
		.amdhsa_exception_fp_ieee_underflow 0
		.amdhsa_exception_fp_ieee_inexact 0
		.amdhsa_exception_int_div_zero 0
	.end_amdhsa_kernel
	.section	.text._ZN7rocprim17ROCPRIM_400000_NS6detail17trampoline_kernelINS0_14default_configENS1_27scan_by_key_config_selectorIj11FixedVectorIiLj2EEEEZZNS1_16scan_by_key_implILNS1_25lookback_scan_determinismE0ELb1ES3_N6thrust23THRUST_200600_302600_NS6detail15normal_iteratorINSB_10device_ptrIjEEEENSD_INSE_IS6_EEEESI_S6_NSB_4plusIvEENSB_8equal_toIvEES6_EE10hipError_tPvRmT2_T3_T4_T5_mT6_T7_P12ihipStream_tbENKUlT_T0_E_clISt17integral_constantIbLb1EES13_EEDaSY_SZ_EUlSY_E_NS1_11comp_targetILNS1_3genE4ELNS1_11target_archE910ELNS1_3gpuE8ELNS1_3repE0EEENS1_30default_config_static_selectorELNS0_4arch9wavefront6targetE1EEEvT1_,"axG",@progbits,_ZN7rocprim17ROCPRIM_400000_NS6detail17trampoline_kernelINS0_14default_configENS1_27scan_by_key_config_selectorIj11FixedVectorIiLj2EEEEZZNS1_16scan_by_key_implILNS1_25lookback_scan_determinismE0ELb1ES3_N6thrust23THRUST_200600_302600_NS6detail15normal_iteratorINSB_10device_ptrIjEEEENSD_INSE_IS6_EEEESI_S6_NSB_4plusIvEENSB_8equal_toIvEES6_EE10hipError_tPvRmT2_T3_T4_T5_mT6_T7_P12ihipStream_tbENKUlT_T0_E_clISt17integral_constantIbLb1EES13_EEDaSY_SZ_EUlSY_E_NS1_11comp_targetILNS1_3genE4ELNS1_11target_archE910ELNS1_3gpuE8ELNS1_3repE0EEENS1_30default_config_static_selectorELNS0_4arch9wavefront6targetE1EEEvT1_,comdat
.Lfunc_end2005:
	.size	_ZN7rocprim17ROCPRIM_400000_NS6detail17trampoline_kernelINS0_14default_configENS1_27scan_by_key_config_selectorIj11FixedVectorIiLj2EEEEZZNS1_16scan_by_key_implILNS1_25lookback_scan_determinismE0ELb1ES3_N6thrust23THRUST_200600_302600_NS6detail15normal_iteratorINSB_10device_ptrIjEEEENSD_INSE_IS6_EEEESI_S6_NSB_4plusIvEENSB_8equal_toIvEES6_EE10hipError_tPvRmT2_T3_T4_T5_mT6_T7_P12ihipStream_tbENKUlT_T0_E_clISt17integral_constantIbLb1EES13_EEDaSY_SZ_EUlSY_E_NS1_11comp_targetILNS1_3genE4ELNS1_11target_archE910ELNS1_3gpuE8ELNS1_3repE0EEENS1_30default_config_static_selectorELNS0_4arch9wavefront6targetE1EEEvT1_, .Lfunc_end2005-_ZN7rocprim17ROCPRIM_400000_NS6detail17trampoline_kernelINS0_14default_configENS1_27scan_by_key_config_selectorIj11FixedVectorIiLj2EEEEZZNS1_16scan_by_key_implILNS1_25lookback_scan_determinismE0ELb1ES3_N6thrust23THRUST_200600_302600_NS6detail15normal_iteratorINSB_10device_ptrIjEEEENSD_INSE_IS6_EEEESI_S6_NSB_4plusIvEENSB_8equal_toIvEES6_EE10hipError_tPvRmT2_T3_T4_T5_mT6_T7_P12ihipStream_tbENKUlT_T0_E_clISt17integral_constantIbLb1EES13_EEDaSY_SZ_EUlSY_E_NS1_11comp_targetILNS1_3genE4ELNS1_11target_archE910ELNS1_3gpuE8ELNS1_3repE0EEENS1_30default_config_static_selectorELNS0_4arch9wavefront6targetE1EEEvT1_
                                        ; -- End function
	.section	.AMDGPU.csdata,"",@progbits
; Kernel info:
; codeLenInByte = 0
; NumSgprs: 6
; NumVgprs: 0
; NumAgprs: 0
; TotalNumVgprs: 0
; ScratchSize: 0
; MemoryBound: 0
; FloatMode: 240
; IeeeMode: 1
; LDSByteSize: 0 bytes/workgroup (compile time only)
; SGPRBlocks: 0
; VGPRBlocks: 0
; NumSGPRsForWavesPerEU: 6
; NumVGPRsForWavesPerEU: 1
; AccumOffset: 4
; Occupancy: 8
; WaveLimiterHint : 0
; COMPUTE_PGM_RSRC2:SCRATCH_EN: 0
; COMPUTE_PGM_RSRC2:USER_SGPR: 2
; COMPUTE_PGM_RSRC2:TRAP_HANDLER: 0
; COMPUTE_PGM_RSRC2:TGID_X_EN: 1
; COMPUTE_PGM_RSRC2:TGID_Y_EN: 0
; COMPUTE_PGM_RSRC2:TGID_Z_EN: 0
; COMPUTE_PGM_RSRC2:TIDIG_COMP_CNT: 0
; COMPUTE_PGM_RSRC3_GFX90A:ACCUM_OFFSET: 0
; COMPUTE_PGM_RSRC3_GFX90A:TG_SPLIT: 0
	.section	.text._ZN7rocprim17ROCPRIM_400000_NS6detail17trampoline_kernelINS0_14default_configENS1_27scan_by_key_config_selectorIj11FixedVectorIiLj2EEEEZZNS1_16scan_by_key_implILNS1_25lookback_scan_determinismE0ELb1ES3_N6thrust23THRUST_200600_302600_NS6detail15normal_iteratorINSB_10device_ptrIjEEEENSD_INSE_IS6_EEEESI_S6_NSB_4plusIvEENSB_8equal_toIvEES6_EE10hipError_tPvRmT2_T3_T4_T5_mT6_T7_P12ihipStream_tbENKUlT_T0_E_clISt17integral_constantIbLb1EES13_EEDaSY_SZ_EUlSY_E_NS1_11comp_targetILNS1_3genE3ELNS1_11target_archE908ELNS1_3gpuE7ELNS1_3repE0EEENS1_30default_config_static_selectorELNS0_4arch9wavefront6targetE1EEEvT1_,"axG",@progbits,_ZN7rocprim17ROCPRIM_400000_NS6detail17trampoline_kernelINS0_14default_configENS1_27scan_by_key_config_selectorIj11FixedVectorIiLj2EEEEZZNS1_16scan_by_key_implILNS1_25lookback_scan_determinismE0ELb1ES3_N6thrust23THRUST_200600_302600_NS6detail15normal_iteratorINSB_10device_ptrIjEEEENSD_INSE_IS6_EEEESI_S6_NSB_4plusIvEENSB_8equal_toIvEES6_EE10hipError_tPvRmT2_T3_T4_T5_mT6_T7_P12ihipStream_tbENKUlT_T0_E_clISt17integral_constantIbLb1EES13_EEDaSY_SZ_EUlSY_E_NS1_11comp_targetILNS1_3genE3ELNS1_11target_archE908ELNS1_3gpuE7ELNS1_3repE0EEENS1_30default_config_static_selectorELNS0_4arch9wavefront6targetE1EEEvT1_,comdat
	.protected	_ZN7rocprim17ROCPRIM_400000_NS6detail17trampoline_kernelINS0_14default_configENS1_27scan_by_key_config_selectorIj11FixedVectorIiLj2EEEEZZNS1_16scan_by_key_implILNS1_25lookback_scan_determinismE0ELb1ES3_N6thrust23THRUST_200600_302600_NS6detail15normal_iteratorINSB_10device_ptrIjEEEENSD_INSE_IS6_EEEESI_S6_NSB_4plusIvEENSB_8equal_toIvEES6_EE10hipError_tPvRmT2_T3_T4_T5_mT6_T7_P12ihipStream_tbENKUlT_T0_E_clISt17integral_constantIbLb1EES13_EEDaSY_SZ_EUlSY_E_NS1_11comp_targetILNS1_3genE3ELNS1_11target_archE908ELNS1_3gpuE7ELNS1_3repE0EEENS1_30default_config_static_selectorELNS0_4arch9wavefront6targetE1EEEvT1_ ; -- Begin function _ZN7rocprim17ROCPRIM_400000_NS6detail17trampoline_kernelINS0_14default_configENS1_27scan_by_key_config_selectorIj11FixedVectorIiLj2EEEEZZNS1_16scan_by_key_implILNS1_25lookback_scan_determinismE0ELb1ES3_N6thrust23THRUST_200600_302600_NS6detail15normal_iteratorINSB_10device_ptrIjEEEENSD_INSE_IS6_EEEESI_S6_NSB_4plusIvEENSB_8equal_toIvEES6_EE10hipError_tPvRmT2_T3_T4_T5_mT6_T7_P12ihipStream_tbENKUlT_T0_E_clISt17integral_constantIbLb1EES13_EEDaSY_SZ_EUlSY_E_NS1_11comp_targetILNS1_3genE3ELNS1_11target_archE908ELNS1_3gpuE7ELNS1_3repE0EEENS1_30default_config_static_selectorELNS0_4arch9wavefront6targetE1EEEvT1_
	.globl	_ZN7rocprim17ROCPRIM_400000_NS6detail17trampoline_kernelINS0_14default_configENS1_27scan_by_key_config_selectorIj11FixedVectorIiLj2EEEEZZNS1_16scan_by_key_implILNS1_25lookback_scan_determinismE0ELb1ES3_N6thrust23THRUST_200600_302600_NS6detail15normal_iteratorINSB_10device_ptrIjEEEENSD_INSE_IS6_EEEESI_S6_NSB_4plusIvEENSB_8equal_toIvEES6_EE10hipError_tPvRmT2_T3_T4_T5_mT6_T7_P12ihipStream_tbENKUlT_T0_E_clISt17integral_constantIbLb1EES13_EEDaSY_SZ_EUlSY_E_NS1_11comp_targetILNS1_3genE3ELNS1_11target_archE908ELNS1_3gpuE7ELNS1_3repE0EEENS1_30default_config_static_selectorELNS0_4arch9wavefront6targetE1EEEvT1_
	.p2align	8
	.type	_ZN7rocprim17ROCPRIM_400000_NS6detail17trampoline_kernelINS0_14default_configENS1_27scan_by_key_config_selectorIj11FixedVectorIiLj2EEEEZZNS1_16scan_by_key_implILNS1_25lookback_scan_determinismE0ELb1ES3_N6thrust23THRUST_200600_302600_NS6detail15normal_iteratorINSB_10device_ptrIjEEEENSD_INSE_IS6_EEEESI_S6_NSB_4plusIvEENSB_8equal_toIvEES6_EE10hipError_tPvRmT2_T3_T4_T5_mT6_T7_P12ihipStream_tbENKUlT_T0_E_clISt17integral_constantIbLb1EES13_EEDaSY_SZ_EUlSY_E_NS1_11comp_targetILNS1_3genE3ELNS1_11target_archE908ELNS1_3gpuE7ELNS1_3repE0EEENS1_30default_config_static_selectorELNS0_4arch9wavefront6targetE1EEEvT1_,@function
_ZN7rocprim17ROCPRIM_400000_NS6detail17trampoline_kernelINS0_14default_configENS1_27scan_by_key_config_selectorIj11FixedVectorIiLj2EEEEZZNS1_16scan_by_key_implILNS1_25lookback_scan_determinismE0ELb1ES3_N6thrust23THRUST_200600_302600_NS6detail15normal_iteratorINSB_10device_ptrIjEEEENSD_INSE_IS6_EEEESI_S6_NSB_4plusIvEENSB_8equal_toIvEES6_EE10hipError_tPvRmT2_T3_T4_T5_mT6_T7_P12ihipStream_tbENKUlT_T0_E_clISt17integral_constantIbLb1EES13_EEDaSY_SZ_EUlSY_E_NS1_11comp_targetILNS1_3genE3ELNS1_11target_archE908ELNS1_3gpuE7ELNS1_3repE0EEENS1_30default_config_static_selectorELNS0_4arch9wavefront6targetE1EEEvT1_: ; @_ZN7rocprim17ROCPRIM_400000_NS6detail17trampoline_kernelINS0_14default_configENS1_27scan_by_key_config_selectorIj11FixedVectorIiLj2EEEEZZNS1_16scan_by_key_implILNS1_25lookback_scan_determinismE0ELb1ES3_N6thrust23THRUST_200600_302600_NS6detail15normal_iteratorINSB_10device_ptrIjEEEENSD_INSE_IS6_EEEESI_S6_NSB_4plusIvEENSB_8equal_toIvEES6_EE10hipError_tPvRmT2_T3_T4_T5_mT6_T7_P12ihipStream_tbENKUlT_T0_E_clISt17integral_constantIbLb1EES13_EEDaSY_SZ_EUlSY_E_NS1_11comp_targetILNS1_3genE3ELNS1_11target_archE908ELNS1_3gpuE7ELNS1_3repE0EEENS1_30default_config_static_selectorELNS0_4arch9wavefront6targetE1EEEvT1_
; %bb.0:
	.section	.rodata,"a",@progbits
	.p2align	6, 0x0
	.amdhsa_kernel _ZN7rocprim17ROCPRIM_400000_NS6detail17trampoline_kernelINS0_14default_configENS1_27scan_by_key_config_selectorIj11FixedVectorIiLj2EEEEZZNS1_16scan_by_key_implILNS1_25lookback_scan_determinismE0ELb1ES3_N6thrust23THRUST_200600_302600_NS6detail15normal_iteratorINSB_10device_ptrIjEEEENSD_INSE_IS6_EEEESI_S6_NSB_4plusIvEENSB_8equal_toIvEES6_EE10hipError_tPvRmT2_T3_T4_T5_mT6_T7_P12ihipStream_tbENKUlT_T0_E_clISt17integral_constantIbLb1EES13_EEDaSY_SZ_EUlSY_E_NS1_11comp_targetILNS1_3genE3ELNS1_11target_archE908ELNS1_3gpuE7ELNS1_3repE0EEENS1_30default_config_static_selectorELNS0_4arch9wavefront6targetE1EEEvT1_
		.amdhsa_group_segment_fixed_size 0
		.amdhsa_private_segment_fixed_size 0
		.amdhsa_kernarg_size 120
		.amdhsa_user_sgpr_count 2
		.amdhsa_user_sgpr_dispatch_ptr 0
		.amdhsa_user_sgpr_queue_ptr 0
		.amdhsa_user_sgpr_kernarg_segment_ptr 1
		.amdhsa_user_sgpr_dispatch_id 0
		.amdhsa_user_sgpr_kernarg_preload_length 0
		.amdhsa_user_sgpr_kernarg_preload_offset 0
		.amdhsa_user_sgpr_private_segment_size 0
		.amdhsa_uses_dynamic_stack 0
		.amdhsa_enable_private_segment 0
		.amdhsa_system_sgpr_workgroup_id_x 1
		.amdhsa_system_sgpr_workgroup_id_y 0
		.amdhsa_system_sgpr_workgroup_id_z 0
		.amdhsa_system_sgpr_workgroup_info 0
		.amdhsa_system_vgpr_workitem_id 0
		.amdhsa_next_free_vgpr 1
		.amdhsa_next_free_sgpr 0
		.amdhsa_accum_offset 4
		.amdhsa_reserve_vcc 0
		.amdhsa_float_round_mode_32 0
		.amdhsa_float_round_mode_16_64 0
		.amdhsa_float_denorm_mode_32 3
		.amdhsa_float_denorm_mode_16_64 3
		.amdhsa_dx10_clamp 1
		.amdhsa_ieee_mode 1
		.amdhsa_fp16_overflow 0
		.amdhsa_tg_split 0
		.amdhsa_exception_fp_ieee_invalid_op 0
		.amdhsa_exception_fp_denorm_src 0
		.amdhsa_exception_fp_ieee_div_zero 0
		.amdhsa_exception_fp_ieee_overflow 0
		.amdhsa_exception_fp_ieee_underflow 0
		.amdhsa_exception_fp_ieee_inexact 0
		.amdhsa_exception_int_div_zero 0
	.end_amdhsa_kernel
	.section	.text._ZN7rocprim17ROCPRIM_400000_NS6detail17trampoline_kernelINS0_14default_configENS1_27scan_by_key_config_selectorIj11FixedVectorIiLj2EEEEZZNS1_16scan_by_key_implILNS1_25lookback_scan_determinismE0ELb1ES3_N6thrust23THRUST_200600_302600_NS6detail15normal_iteratorINSB_10device_ptrIjEEEENSD_INSE_IS6_EEEESI_S6_NSB_4plusIvEENSB_8equal_toIvEES6_EE10hipError_tPvRmT2_T3_T4_T5_mT6_T7_P12ihipStream_tbENKUlT_T0_E_clISt17integral_constantIbLb1EES13_EEDaSY_SZ_EUlSY_E_NS1_11comp_targetILNS1_3genE3ELNS1_11target_archE908ELNS1_3gpuE7ELNS1_3repE0EEENS1_30default_config_static_selectorELNS0_4arch9wavefront6targetE1EEEvT1_,"axG",@progbits,_ZN7rocprim17ROCPRIM_400000_NS6detail17trampoline_kernelINS0_14default_configENS1_27scan_by_key_config_selectorIj11FixedVectorIiLj2EEEEZZNS1_16scan_by_key_implILNS1_25lookback_scan_determinismE0ELb1ES3_N6thrust23THRUST_200600_302600_NS6detail15normal_iteratorINSB_10device_ptrIjEEEENSD_INSE_IS6_EEEESI_S6_NSB_4plusIvEENSB_8equal_toIvEES6_EE10hipError_tPvRmT2_T3_T4_T5_mT6_T7_P12ihipStream_tbENKUlT_T0_E_clISt17integral_constantIbLb1EES13_EEDaSY_SZ_EUlSY_E_NS1_11comp_targetILNS1_3genE3ELNS1_11target_archE908ELNS1_3gpuE7ELNS1_3repE0EEENS1_30default_config_static_selectorELNS0_4arch9wavefront6targetE1EEEvT1_,comdat
.Lfunc_end2006:
	.size	_ZN7rocprim17ROCPRIM_400000_NS6detail17trampoline_kernelINS0_14default_configENS1_27scan_by_key_config_selectorIj11FixedVectorIiLj2EEEEZZNS1_16scan_by_key_implILNS1_25lookback_scan_determinismE0ELb1ES3_N6thrust23THRUST_200600_302600_NS6detail15normal_iteratorINSB_10device_ptrIjEEEENSD_INSE_IS6_EEEESI_S6_NSB_4plusIvEENSB_8equal_toIvEES6_EE10hipError_tPvRmT2_T3_T4_T5_mT6_T7_P12ihipStream_tbENKUlT_T0_E_clISt17integral_constantIbLb1EES13_EEDaSY_SZ_EUlSY_E_NS1_11comp_targetILNS1_3genE3ELNS1_11target_archE908ELNS1_3gpuE7ELNS1_3repE0EEENS1_30default_config_static_selectorELNS0_4arch9wavefront6targetE1EEEvT1_, .Lfunc_end2006-_ZN7rocprim17ROCPRIM_400000_NS6detail17trampoline_kernelINS0_14default_configENS1_27scan_by_key_config_selectorIj11FixedVectorIiLj2EEEEZZNS1_16scan_by_key_implILNS1_25lookback_scan_determinismE0ELb1ES3_N6thrust23THRUST_200600_302600_NS6detail15normal_iteratorINSB_10device_ptrIjEEEENSD_INSE_IS6_EEEESI_S6_NSB_4plusIvEENSB_8equal_toIvEES6_EE10hipError_tPvRmT2_T3_T4_T5_mT6_T7_P12ihipStream_tbENKUlT_T0_E_clISt17integral_constantIbLb1EES13_EEDaSY_SZ_EUlSY_E_NS1_11comp_targetILNS1_3genE3ELNS1_11target_archE908ELNS1_3gpuE7ELNS1_3repE0EEENS1_30default_config_static_selectorELNS0_4arch9wavefront6targetE1EEEvT1_
                                        ; -- End function
	.section	.AMDGPU.csdata,"",@progbits
; Kernel info:
; codeLenInByte = 0
; NumSgprs: 6
; NumVgprs: 0
; NumAgprs: 0
; TotalNumVgprs: 0
; ScratchSize: 0
; MemoryBound: 0
; FloatMode: 240
; IeeeMode: 1
; LDSByteSize: 0 bytes/workgroup (compile time only)
; SGPRBlocks: 0
; VGPRBlocks: 0
; NumSGPRsForWavesPerEU: 6
; NumVGPRsForWavesPerEU: 1
; AccumOffset: 4
; Occupancy: 8
; WaveLimiterHint : 0
; COMPUTE_PGM_RSRC2:SCRATCH_EN: 0
; COMPUTE_PGM_RSRC2:USER_SGPR: 2
; COMPUTE_PGM_RSRC2:TRAP_HANDLER: 0
; COMPUTE_PGM_RSRC2:TGID_X_EN: 1
; COMPUTE_PGM_RSRC2:TGID_Y_EN: 0
; COMPUTE_PGM_RSRC2:TGID_Z_EN: 0
; COMPUTE_PGM_RSRC2:TIDIG_COMP_CNT: 0
; COMPUTE_PGM_RSRC3_GFX90A:ACCUM_OFFSET: 0
; COMPUTE_PGM_RSRC3_GFX90A:TG_SPLIT: 0
	.section	.text._ZN7rocprim17ROCPRIM_400000_NS6detail17trampoline_kernelINS0_14default_configENS1_27scan_by_key_config_selectorIj11FixedVectorIiLj2EEEEZZNS1_16scan_by_key_implILNS1_25lookback_scan_determinismE0ELb1ES3_N6thrust23THRUST_200600_302600_NS6detail15normal_iteratorINSB_10device_ptrIjEEEENSD_INSE_IS6_EEEESI_S6_NSB_4plusIvEENSB_8equal_toIvEES6_EE10hipError_tPvRmT2_T3_T4_T5_mT6_T7_P12ihipStream_tbENKUlT_T0_E_clISt17integral_constantIbLb1EES13_EEDaSY_SZ_EUlSY_E_NS1_11comp_targetILNS1_3genE2ELNS1_11target_archE906ELNS1_3gpuE6ELNS1_3repE0EEENS1_30default_config_static_selectorELNS0_4arch9wavefront6targetE1EEEvT1_,"axG",@progbits,_ZN7rocprim17ROCPRIM_400000_NS6detail17trampoline_kernelINS0_14default_configENS1_27scan_by_key_config_selectorIj11FixedVectorIiLj2EEEEZZNS1_16scan_by_key_implILNS1_25lookback_scan_determinismE0ELb1ES3_N6thrust23THRUST_200600_302600_NS6detail15normal_iteratorINSB_10device_ptrIjEEEENSD_INSE_IS6_EEEESI_S6_NSB_4plusIvEENSB_8equal_toIvEES6_EE10hipError_tPvRmT2_T3_T4_T5_mT6_T7_P12ihipStream_tbENKUlT_T0_E_clISt17integral_constantIbLb1EES13_EEDaSY_SZ_EUlSY_E_NS1_11comp_targetILNS1_3genE2ELNS1_11target_archE906ELNS1_3gpuE6ELNS1_3repE0EEENS1_30default_config_static_selectorELNS0_4arch9wavefront6targetE1EEEvT1_,comdat
	.protected	_ZN7rocprim17ROCPRIM_400000_NS6detail17trampoline_kernelINS0_14default_configENS1_27scan_by_key_config_selectorIj11FixedVectorIiLj2EEEEZZNS1_16scan_by_key_implILNS1_25lookback_scan_determinismE0ELb1ES3_N6thrust23THRUST_200600_302600_NS6detail15normal_iteratorINSB_10device_ptrIjEEEENSD_INSE_IS6_EEEESI_S6_NSB_4plusIvEENSB_8equal_toIvEES6_EE10hipError_tPvRmT2_T3_T4_T5_mT6_T7_P12ihipStream_tbENKUlT_T0_E_clISt17integral_constantIbLb1EES13_EEDaSY_SZ_EUlSY_E_NS1_11comp_targetILNS1_3genE2ELNS1_11target_archE906ELNS1_3gpuE6ELNS1_3repE0EEENS1_30default_config_static_selectorELNS0_4arch9wavefront6targetE1EEEvT1_ ; -- Begin function _ZN7rocprim17ROCPRIM_400000_NS6detail17trampoline_kernelINS0_14default_configENS1_27scan_by_key_config_selectorIj11FixedVectorIiLj2EEEEZZNS1_16scan_by_key_implILNS1_25lookback_scan_determinismE0ELb1ES3_N6thrust23THRUST_200600_302600_NS6detail15normal_iteratorINSB_10device_ptrIjEEEENSD_INSE_IS6_EEEESI_S6_NSB_4plusIvEENSB_8equal_toIvEES6_EE10hipError_tPvRmT2_T3_T4_T5_mT6_T7_P12ihipStream_tbENKUlT_T0_E_clISt17integral_constantIbLb1EES13_EEDaSY_SZ_EUlSY_E_NS1_11comp_targetILNS1_3genE2ELNS1_11target_archE906ELNS1_3gpuE6ELNS1_3repE0EEENS1_30default_config_static_selectorELNS0_4arch9wavefront6targetE1EEEvT1_
	.globl	_ZN7rocprim17ROCPRIM_400000_NS6detail17trampoline_kernelINS0_14default_configENS1_27scan_by_key_config_selectorIj11FixedVectorIiLj2EEEEZZNS1_16scan_by_key_implILNS1_25lookback_scan_determinismE0ELb1ES3_N6thrust23THRUST_200600_302600_NS6detail15normal_iteratorINSB_10device_ptrIjEEEENSD_INSE_IS6_EEEESI_S6_NSB_4plusIvEENSB_8equal_toIvEES6_EE10hipError_tPvRmT2_T3_T4_T5_mT6_T7_P12ihipStream_tbENKUlT_T0_E_clISt17integral_constantIbLb1EES13_EEDaSY_SZ_EUlSY_E_NS1_11comp_targetILNS1_3genE2ELNS1_11target_archE906ELNS1_3gpuE6ELNS1_3repE0EEENS1_30default_config_static_selectorELNS0_4arch9wavefront6targetE1EEEvT1_
	.p2align	8
	.type	_ZN7rocprim17ROCPRIM_400000_NS6detail17trampoline_kernelINS0_14default_configENS1_27scan_by_key_config_selectorIj11FixedVectorIiLj2EEEEZZNS1_16scan_by_key_implILNS1_25lookback_scan_determinismE0ELb1ES3_N6thrust23THRUST_200600_302600_NS6detail15normal_iteratorINSB_10device_ptrIjEEEENSD_INSE_IS6_EEEESI_S6_NSB_4plusIvEENSB_8equal_toIvEES6_EE10hipError_tPvRmT2_T3_T4_T5_mT6_T7_P12ihipStream_tbENKUlT_T0_E_clISt17integral_constantIbLb1EES13_EEDaSY_SZ_EUlSY_E_NS1_11comp_targetILNS1_3genE2ELNS1_11target_archE906ELNS1_3gpuE6ELNS1_3repE0EEENS1_30default_config_static_selectorELNS0_4arch9wavefront6targetE1EEEvT1_,@function
_ZN7rocprim17ROCPRIM_400000_NS6detail17trampoline_kernelINS0_14default_configENS1_27scan_by_key_config_selectorIj11FixedVectorIiLj2EEEEZZNS1_16scan_by_key_implILNS1_25lookback_scan_determinismE0ELb1ES3_N6thrust23THRUST_200600_302600_NS6detail15normal_iteratorINSB_10device_ptrIjEEEENSD_INSE_IS6_EEEESI_S6_NSB_4plusIvEENSB_8equal_toIvEES6_EE10hipError_tPvRmT2_T3_T4_T5_mT6_T7_P12ihipStream_tbENKUlT_T0_E_clISt17integral_constantIbLb1EES13_EEDaSY_SZ_EUlSY_E_NS1_11comp_targetILNS1_3genE2ELNS1_11target_archE906ELNS1_3gpuE6ELNS1_3repE0EEENS1_30default_config_static_selectorELNS0_4arch9wavefront6targetE1EEEvT1_: ; @_ZN7rocprim17ROCPRIM_400000_NS6detail17trampoline_kernelINS0_14default_configENS1_27scan_by_key_config_selectorIj11FixedVectorIiLj2EEEEZZNS1_16scan_by_key_implILNS1_25lookback_scan_determinismE0ELb1ES3_N6thrust23THRUST_200600_302600_NS6detail15normal_iteratorINSB_10device_ptrIjEEEENSD_INSE_IS6_EEEESI_S6_NSB_4plusIvEENSB_8equal_toIvEES6_EE10hipError_tPvRmT2_T3_T4_T5_mT6_T7_P12ihipStream_tbENKUlT_T0_E_clISt17integral_constantIbLb1EES13_EEDaSY_SZ_EUlSY_E_NS1_11comp_targetILNS1_3genE2ELNS1_11target_archE906ELNS1_3gpuE6ELNS1_3repE0EEENS1_30default_config_static_selectorELNS0_4arch9wavefront6targetE1EEEvT1_
; %bb.0:
	.section	.rodata,"a",@progbits
	.p2align	6, 0x0
	.amdhsa_kernel _ZN7rocprim17ROCPRIM_400000_NS6detail17trampoline_kernelINS0_14default_configENS1_27scan_by_key_config_selectorIj11FixedVectorIiLj2EEEEZZNS1_16scan_by_key_implILNS1_25lookback_scan_determinismE0ELb1ES3_N6thrust23THRUST_200600_302600_NS6detail15normal_iteratorINSB_10device_ptrIjEEEENSD_INSE_IS6_EEEESI_S6_NSB_4plusIvEENSB_8equal_toIvEES6_EE10hipError_tPvRmT2_T3_T4_T5_mT6_T7_P12ihipStream_tbENKUlT_T0_E_clISt17integral_constantIbLb1EES13_EEDaSY_SZ_EUlSY_E_NS1_11comp_targetILNS1_3genE2ELNS1_11target_archE906ELNS1_3gpuE6ELNS1_3repE0EEENS1_30default_config_static_selectorELNS0_4arch9wavefront6targetE1EEEvT1_
		.amdhsa_group_segment_fixed_size 0
		.amdhsa_private_segment_fixed_size 0
		.amdhsa_kernarg_size 120
		.amdhsa_user_sgpr_count 2
		.amdhsa_user_sgpr_dispatch_ptr 0
		.amdhsa_user_sgpr_queue_ptr 0
		.amdhsa_user_sgpr_kernarg_segment_ptr 1
		.amdhsa_user_sgpr_dispatch_id 0
		.amdhsa_user_sgpr_kernarg_preload_length 0
		.amdhsa_user_sgpr_kernarg_preload_offset 0
		.amdhsa_user_sgpr_private_segment_size 0
		.amdhsa_uses_dynamic_stack 0
		.amdhsa_enable_private_segment 0
		.amdhsa_system_sgpr_workgroup_id_x 1
		.amdhsa_system_sgpr_workgroup_id_y 0
		.amdhsa_system_sgpr_workgroup_id_z 0
		.amdhsa_system_sgpr_workgroup_info 0
		.amdhsa_system_vgpr_workitem_id 0
		.amdhsa_next_free_vgpr 1
		.amdhsa_next_free_sgpr 0
		.amdhsa_accum_offset 4
		.amdhsa_reserve_vcc 0
		.amdhsa_float_round_mode_32 0
		.amdhsa_float_round_mode_16_64 0
		.amdhsa_float_denorm_mode_32 3
		.amdhsa_float_denorm_mode_16_64 3
		.amdhsa_dx10_clamp 1
		.amdhsa_ieee_mode 1
		.amdhsa_fp16_overflow 0
		.amdhsa_tg_split 0
		.amdhsa_exception_fp_ieee_invalid_op 0
		.amdhsa_exception_fp_denorm_src 0
		.amdhsa_exception_fp_ieee_div_zero 0
		.amdhsa_exception_fp_ieee_overflow 0
		.amdhsa_exception_fp_ieee_underflow 0
		.amdhsa_exception_fp_ieee_inexact 0
		.amdhsa_exception_int_div_zero 0
	.end_amdhsa_kernel
	.section	.text._ZN7rocprim17ROCPRIM_400000_NS6detail17trampoline_kernelINS0_14default_configENS1_27scan_by_key_config_selectorIj11FixedVectorIiLj2EEEEZZNS1_16scan_by_key_implILNS1_25lookback_scan_determinismE0ELb1ES3_N6thrust23THRUST_200600_302600_NS6detail15normal_iteratorINSB_10device_ptrIjEEEENSD_INSE_IS6_EEEESI_S6_NSB_4plusIvEENSB_8equal_toIvEES6_EE10hipError_tPvRmT2_T3_T4_T5_mT6_T7_P12ihipStream_tbENKUlT_T0_E_clISt17integral_constantIbLb1EES13_EEDaSY_SZ_EUlSY_E_NS1_11comp_targetILNS1_3genE2ELNS1_11target_archE906ELNS1_3gpuE6ELNS1_3repE0EEENS1_30default_config_static_selectorELNS0_4arch9wavefront6targetE1EEEvT1_,"axG",@progbits,_ZN7rocprim17ROCPRIM_400000_NS6detail17trampoline_kernelINS0_14default_configENS1_27scan_by_key_config_selectorIj11FixedVectorIiLj2EEEEZZNS1_16scan_by_key_implILNS1_25lookback_scan_determinismE0ELb1ES3_N6thrust23THRUST_200600_302600_NS6detail15normal_iteratorINSB_10device_ptrIjEEEENSD_INSE_IS6_EEEESI_S6_NSB_4plusIvEENSB_8equal_toIvEES6_EE10hipError_tPvRmT2_T3_T4_T5_mT6_T7_P12ihipStream_tbENKUlT_T0_E_clISt17integral_constantIbLb1EES13_EEDaSY_SZ_EUlSY_E_NS1_11comp_targetILNS1_3genE2ELNS1_11target_archE906ELNS1_3gpuE6ELNS1_3repE0EEENS1_30default_config_static_selectorELNS0_4arch9wavefront6targetE1EEEvT1_,comdat
.Lfunc_end2007:
	.size	_ZN7rocprim17ROCPRIM_400000_NS6detail17trampoline_kernelINS0_14default_configENS1_27scan_by_key_config_selectorIj11FixedVectorIiLj2EEEEZZNS1_16scan_by_key_implILNS1_25lookback_scan_determinismE0ELb1ES3_N6thrust23THRUST_200600_302600_NS6detail15normal_iteratorINSB_10device_ptrIjEEEENSD_INSE_IS6_EEEESI_S6_NSB_4plusIvEENSB_8equal_toIvEES6_EE10hipError_tPvRmT2_T3_T4_T5_mT6_T7_P12ihipStream_tbENKUlT_T0_E_clISt17integral_constantIbLb1EES13_EEDaSY_SZ_EUlSY_E_NS1_11comp_targetILNS1_3genE2ELNS1_11target_archE906ELNS1_3gpuE6ELNS1_3repE0EEENS1_30default_config_static_selectorELNS0_4arch9wavefront6targetE1EEEvT1_, .Lfunc_end2007-_ZN7rocprim17ROCPRIM_400000_NS6detail17trampoline_kernelINS0_14default_configENS1_27scan_by_key_config_selectorIj11FixedVectorIiLj2EEEEZZNS1_16scan_by_key_implILNS1_25lookback_scan_determinismE0ELb1ES3_N6thrust23THRUST_200600_302600_NS6detail15normal_iteratorINSB_10device_ptrIjEEEENSD_INSE_IS6_EEEESI_S6_NSB_4plusIvEENSB_8equal_toIvEES6_EE10hipError_tPvRmT2_T3_T4_T5_mT6_T7_P12ihipStream_tbENKUlT_T0_E_clISt17integral_constantIbLb1EES13_EEDaSY_SZ_EUlSY_E_NS1_11comp_targetILNS1_3genE2ELNS1_11target_archE906ELNS1_3gpuE6ELNS1_3repE0EEENS1_30default_config_static_selectorELNS0_4arch9wavefront6targetE1EEEvT1_
                                        ; -- End function
	.section	.AMDGPU.csdata,"",@progbits
; Kernel info:
; codeLenInByte = 0
; NumSgprs: 6
; NumVgprs: 0
; NumAgprs: 0
; TotalNumVgprs: 0
; ScratchSize: 0
; MemoryBound: 0
; FloatMode: 240
; IeeeMode: 1
; LDSByteSize: 0 bytes/workgroup (compile time only)
; SGPRBlocks: 0
; VGPRBlocks: 0
; NumSGPRsForWavesPerEU: 6
; NumVGPRsForWavesPerEU: 1
; AccumOffset: 4
; Occupancy: 8
; WaveLimiterHint : 0
; COMPUTE_PGM_RSRC2:SCRATCH_EN: 0
; COMPUTE_PGM_RSRC2:USER_SGPR: 2
; COMPUTE_PGM_RSRC2:TRAP_HANDLER: 0
; COMPUTE_PGM_RSRC2:TGID_X_EN: 1
; COMPUTE_PGM_RSRC2:TGID_Y_EN: 0
; COMPUTE_PGM_RSRC2:TGID_Z_EN: 0
; COMPUTE_PGM_RSRC2:TIDIG_COMP_CNT: 0
; COMPUTE_PGM_RSRC3_GFX90A:ACCUM_OFFSET: 0
; COMPUTE_PGM_RSRC3_GFX90A:TG_SPLIT: 0
	.section	.text._ZN7rocprim17ROCPRIM_400000_NS6detail17trampoline_kernelINS0_14default_configENS1_27scan_by_key_config_selectorIj11FixedVectorIiLj2EEEEZZNS1_16scan_by_key_implILNS1_25lookback_scan_determinismE0ELb1ES3_N6thrust23THRUST_200600_302600_NS6detail15normal_iteratorINSB_10device_ptrIjEEEENSD_INSE_IS6_EEEESI_S6_NSB_4plusIvEENSB_8equal_toIvEES6_EE10hipError_tPvRmT2_T3_T4_T5_mT6_T7_P12ihipStream_tbENKUlT_T0_E_clISt17integral_constantIbLb1EES13_EEDaSY_SZ_EUlSY_E_NS1_11comp_targetILNS1_3genE10ELNS1_11target_archE1200ELNS1_3gpuE4ELNS1_3repE0EEENS1_30default_config_static_selectorELNS0_4arch9wavefront6targetE1EEEvT1_,"axG",@progbits,_ZN7rocprim17ROCPRIM_400000_NS6detail17trampoline_kernelINS0_14default_configENS1_27scan_by_key_config_selectorIj11FixedVectorIiLj2EEEEZZNS1_16scan_by_key_implILNS1_25lookback_scan_determinismE0ELb1ES3_N6thrust23THRUST_200600_302600_NS6detail15normal_iteratorINSB_10device_ptrIjEEEENSD_INSE_IS6_EEEESI_S6_NSB_4plusIvEENSB_8equal_toIvEES6_EE10hipError_tPvRmT2_T3_T4_T5_mT6_T7_P12ihipStream_tbENKUlT_T0_E_clISt17integral_constantIbLb1EES13_EEDaSY_SZ_EUlSY_E_NS1_11comp_targetILNS1_3genE10ELNS1_11target_archE1200ELNS1_3gpuE4ELNS1_3repE0EEENS1_30default_config_static_selectorELNS0_4arch9wavefront6targetE1EEEvT1_,comdat
	.protected	_ZN7rocprim17ROCPRIM_400000_NS6detail17trampoline_kernelINS0_14default_configENS1_27scan_by_key_config_selectorIj11FixedVectorIiLj2EEEEZZNS1_16scan_by_key_implILNS1_25lookback_scan_determinismE0ELb1ES3_N6thrust23THRUST_200600_302600_NS6detail15normal_iteratorINSB_10device_ptrIjEEEENSD_INSE_IS6_EEEESI_S6_NSB_4plusIvEENSB_8equal_toIvEES6_EE10hipError_tPvRmT2_T3_T4_T5_mT6_T7_P12ihipStream_tbENKUlT_T0_E_clISt17integral_constantIbLb1EES13_EEDaSY_SZ_EUlSY_E_NS1_11comp_targetILNS1_3genE10ELNS1_11target_archE1200ELNS1_3gpuE4ELNS1_3repE0EEENS1_30default_config_static_selectorELNS0_4arch9wavefront6targetE1EEEvT1_ ; -- Begin function _ZN7rocprim17ROCPRIM_400000_NS6detail17trampoline_kernelINS0_14default_configENS1_27scan_by_key_config_selectorIj11FixedVectorIiLj2EEEEZZNS1_16scan_by_key_implILNS1_25lookback_scan_determinismE0ELb1ES3_N6thrust23THRUST_200600_302600_NS6detail15normal_iteratorINSB_10device_ptrIjEEEENSD_INSE_IS6_EEEESI_S6_NSB_4plusIvEENSB_8equal_toIvEES6_EE10hipError_tPvRmT2_T3_T4_T5_mT6_T7_P12ihipStream_tbENKUlT_T0_E_clISt17integral_constantIbLb1EES13_EEDaSY_SZ_EUlSY_E_NS1_11comp_targetILNS1_3genE10ELNS1_11target_archE1200ELNS1_3gpuE4ELNS1_3repE0EEENS1_30default_config_static_selectorELNS0_4arch9wavefront6targetE1EEEvT1_
	.globl	_ZN7rocprim17ROCPRIM_400000_NS6detail17trampoline_kernelINS0_14default_configENS1_27scan_by_key_config_selectorIj11FixedVectorIiLj2EEEEZZNS1_16scan_by_key_implILNS1_25lookback_scan_determinismE0ELb1ES3_N6thrust23THRUST_200600_302600_NS6detail15normal_iteratorINSB_10device_ptrIjEEEENSD_INSE_IS6_EEEESI_S6_NSB_4plusIvEENSB_8equal_toIvEES6_EE10hipError_tPvRmT2_T3_T4_T5_mT6_T7_P12ihipStream_tbENKUlT_T0_E_clISt17integral_constantIbLb1EES13_EEDaSY_SZ_EUlSY_E_NS1_11comp_targetILNS1_3genE10ELNS1_11target_archE1200ELNS1_3gpuE4ELNS1_3repE0EEENS1_30default_config_static_selectorELNS0_4arch9wavefront6targetE1EEEvT1_
	.p2align	8
	.type	_ZN7rocprim17ROCPRIM_400000_NS6detail17trampoline_kernelINS0_14default_configENS1_27scan_by_key_config_selectorIj11FixedVectorIiLj2EEEEZZNS1_16scan_by_key_implILNS1_25lookback_scan_determinismE0ELb1ES3_N6thrust23THRUST_200600_302600_NS6detail15normal_iteratorINSB_10device_ptrIjEEEENSD_INSE_IS6_EEEESI_S6_NSB_4plusIvEENSB_8equal_toIvEES6_EE10hipError_tPvRmT2_T3_T4_T5_mT6_T7_P12ihipStream_tbENKUlT_T0_E_clISt17integral_constantIbLb1EES13_EEDaSY_SZ_EUlSY_E_NS1_11comp_targetILNS1_3genE10ELNS1_11target_archE1200ELNS1_3gpuE4ELNS1_3repE0EEENS1_30default_config_static_selectorELNS0_4arch9wavefront6targetE1EEEvT1_,@function
_ZN7rocprim17ROCPRIM_400000_NS6detail17trampoline_kernelINS0_14default_configENS1_27scan_by_key_config_selectorIj11FixedVectorIiLj2EEEEZZNS1_16scan_by_key_implILNS1_25lookback_scan_determinismE0ELb1ES3_N6thrust23THRUST_200600_302600_NS6detail15normal_iteratorINSB_10device_ptrIjEEEENSD_INSE_IS6_EEEESI_S6_NSB_4plusIvEENSB_8equal_toIvEES6_EE10hipError_tPvRmT2_T3_T4_T5_mT6_T7_P12ihipStream_tbENKUlT_T0_E_clISt17integral_constantIbLb1EES13_EEDaSY_SZ_EUlSY_E_NS1_11comp_targetILNS1_3genE10ELNS1_11target_archE1200ELNS1_3gpuE4ELNS1_3repE0EEENS1_30default_config_static_selectorELNS0_4arch9wavefront6targetE1EEEvT1_: ; @_ZN7rocprim17ROCPRIM_400000_NS6detail17trampoline_kernelINS0_14default_configENS1_27scan_by_key_config_selectorIj11FixedVectorIiLj2EEEEZZNS1_16scan_by_key_implILNS1_25lookback_scan_determinismE0ELb1ES3_N6thrust23THRUST_200600_302600_NS6detail15normal_iteratorINSB_10device_ptrIjEEEENSD_INSE_IS6_EEEESI_S6_NSB_4plusIvEENSB_8equal_toIvEES6_EE10hipError_tPvRmT2_T3_T4_T5_mT6_T7_P12ihipStream_tbENKUlT_T0_E_clISt17integral_constantIbLb1EES13_EEDaSY_SZ_EUlSY_E_NS1_11comp_targetILNS1_3genE10ELNS1_11target_archE1200ELNS1_3gpuE4ELNS1_3repE0EEENS1_30default_config_static_selectorELNS0_4arch9wavefront6targetE1EEEvT1_
; %bb.0:
	.section	.rodata,"a",@progbits
	.p2align	6, 0x0
	.amdhsa_kernel _ZN7rocprim17ROCPRIM_400000_NS6detail17trampoline_kernelINS0_14default_configENS1_27scan_by_key_config_selectorIj11FixedVectorIiLj2EEEEZZNS1_16scan_by_key_implILNS1_25lookback_scan_determinismE0ELb1ES3_N6thrust23THRUST_200600_302600_NS6detail15normal_iteratorINSB_10device_ptrIjEEEENSD_INSE_IS6_EEEESI_S6_NSB_4plusIvEENSB_8equal_toIvEES6_EE10hipError_tPvRmT2_T3_T4_T5_mT6_T7_P12ihipStream_tbENKUlT_T0_E_clISt17integral_constantIbLb1EES13_EEDaSY_SZ_EUlSY_E_NS1_11comp_targetILNS1_3genE10ELNS1_11target_archE1200ELNS1_3gpuE4ELNS1_3repE0EEENS1_30default_config_static_selectorELNS0_4arch9wavefront6targetE1EEEvT1_
		.amdhsa_group_segment_fixed_size 0
		.amdhsa_private_segment_fixed_size 0
		.amdhsa_kernarg_size 120
		.amdhsa_user_sgpr_count 2
		.amdhsa_user_sgpr_dispatch_ptr 0
		.amdhsa_user_sgpr_queue_ptr 0
		.amdhsa_user_sgpr_kernarg_segment_ptr 1
		.amdhsa_user_sgpr_dispatch_id 0
		.amdhsa_user_sgpr_kernarg_preload_length 0
		.amdhsa_user_sgpr_kernarg_preload_offset 0
		.amdhsa_user_sgpr_private_segment_size 0
		.amdhsa_uses_dynamic_stack 0
		.amdhsa_enable_private_segment 0
		.amdhsa_system_sgpr_workgroup_id_x 1
		.amdhsa_system_sgpr_workgroup_id_y 0
		.amdhsa_system_sgpr_workgroup_id_z 0
		.amdhsa_system_sgpr_workgroup_info 0
		.amdhsa_system_vgpr_workitem_id 0
		.amdhsa_next_free_vgpr 1
		.amdhsa_next_free_sgpr 0
		.amdhsa_accum_offset 4
		.amdhsa_reserve_vcc 0
		.amdhsa_float_round_mode_32 0
		.amdhsa_float_round_mode_16_64 0
		.amdhsa_float_denorm_mode_32 3
		.amdhsa_float_denorm_mode_16_64 3
		.amdhsa_dx10_clamp 1
		.amdhsa_ieee_mode 1
		.amdhsa_fp16_overflow 0
		.amdhsa_tg_split 0
		.amdhsa_exception_fp_ieee_invalid_op 0
		.amdhsa_exception_fp_denorm_src 0
		.amdhsa_exception_fp_ieee_div_zero 0
		.amdhsa_exception_fp_ieee_overflow 0
		.amdhsa_exception_fp_ieee_underflow 0
		.amdhsa_exception_fp_ieee_inexact 0
		.amdhsa_exception_int_div_zero 0
	.end_amdhsa_kernel
	.section	.text._ZN7rocprim17ROCPRIM_400000_NS6detail17trampoline_kernelINS0_14default_configENS1_27scan_by_key_config_selectorIj11FixedVectorIiLj2EEEEZZNS1_16scan_by_key_implILNS1_25lookback_scan_determinismE0ELb1ES3_N6thrust23THRUST_200600_302600_NS6detail15normal_iteratorINSB_10device_ptrIjEEEENSD_INSE_IS6_EEEESI_S6_NSB_4plusIvEENSB_8equal_toIvEES6_EE10hipError_tPvRmT2_T3_T4_T5_mT6_T7_P12ihipStream_tbENKUlT_T0_E_clISt17integral_constantIbLb1EES13_EEDaSY_SZ_EUlSY_E_NS1_11comp_targetILNS1_3genE10ELNS1_11target_archE1200ELNS1_3gpuE4ELNS1_3repE0EEENS1_30default_config_static_selectorELNS0_4arch9wavefront6targetE1EEEvT1_,"axG",@progbits,_ZN7rocprim17ROCPRIM_400000_NS6detail17trampoline_kernelINS0_14default_configENS1_27scan_by_key_config_selectorIj11FixedVectorIiLj2EEEEZZNS1_16scan_by_key_implILNS1_25lookback_scan_determinismE0ELb1ES3_N6thrust23THRUST_200600_302600_NS6detail15normal_iteratorINSB_10device_ptrIjEEEENSD_INSE_IS6_EEEESI_S6_NSB_4plusIvEENSB_8equal_toIvEES6_EE10hipError_tPvRmT2_T3_T4_T5_mT6_T7_P12ihipStream_tbENKUlT_T0_E_clISt17integral_constantIbLb1EES13_EEDaSY_SZ_EUlSY_E_NS1_11comp_targetILNS1_3genE10ELNS1_11target_archE1200ELNS1_3gpuE4ELNS1_3repE0EEENS1_30default_config_static_selectorELNS0_4arch9wavefront6targetE1EEEvT1_,comdat
.Lfunc_end2008:
	.size	_ZN7rocprim17ROCPRIM_400000_NS6detail17trampoline_kernelINS0_14default_configENS1_27scan_by_key_config_selectorIj11FixedVectorIiLj2EEEEZZNS1_16scan_by_key_implILNS1_25lookback_scan_determinismE0ELb1ES3_N6thrust23THRUST_200600_302600_NS6detail15normal_iteratorINSB_10device_ptrIjEEEENSD_INSE_IS6_EEEESI_S6_NSB_4plusIvEENSB_8equal_toIvEES6_EE10hipError_tPvRmT2_T3_T4_T5_mT6_T7_P12ihipStream_tbENKUlT_T0_E_clISt17integral_constantIbLb1EES13_EEDaSY_SZ_EUlSY_E_NS1_11comp_targetILNS1_3genE10ELNS1_11target_archE1200ELNS1_3gpuE4ELNS1_3repE0EEENS1_30default_config_static_selectorELNS0_4arch9wavefront6targetE1EEEvT1_, .Lfunc_end2008-_ZN7rocprim17ROCPRIM_400000_NS6detail17trampoline_kernelINS0_14default_configENS1_27scan_by_key_config_selectorIj11FixedVectorIiLj2EEEEZZNS1_16scan_by_key_implILNS1_25lookback_scan_determinismE0ELb1ES3_N6thrust23THRUST_200600_302600_NS6detail15normal_iteratorINSB_10device_ptrIjEEEENSD_INSE_IS6_EEEESI_S6_NSB_4plusIvEENSB_8equal_toIvEES6_EE10hipError_tPvRmT2_T3_T4_T5_mT6_T7_P12ihipStream_tbENKUlT_T0_E_clISt17integral_constantIbLb1EES13_EEDaSY_SZ_EUlSY_E_NS1_11comp_targetILNS1_3genE10ELNS1_11target_archE1200ELNS1_3gpuE4ELNS1_3repE0EEENS1_30default_config_static_selectorELNS0_4arch9wavefront6targetE1EEEvT1_
                                        ; -- End function
	.section	.AMDGPU.csdata,"",@progbits
; Kernel info:
; codeLenInByte = 0
; NumSgprs: 6
; NumVgprs: 0
; NumAgprs: 0
; TotalNumVgprs: 0
; ScratchSize: 0
; MemoryBound: 0
; FloatMode: 240
; IeeeMode: 1
; LDSByteSize: 0 bytes/workgroup (compile time only)
; SGPRBlocks: 0
; VGPRBlocks: 0
; NumSGPRsForWavesPerEU: 6
; NumVGPRsForWavesPerEU: 1
; AccumOffset: 4
; Occupancy: 8
; WaveLimiterHint : 0
; COMPUTE_PGM_RSRC2:SCRATCH_EN: 0
; COMPUTE_PGM_RSRC2:USER_SGPR: 2
; COMPUTE_PGM_RSRC2:TRAP_HANDLER: 0
; COMPUTE_PGM_RSRC2:TGID_X_EN: 1
; COMPUTE_PGM_RSRC2:TGID_Y_EN: 0
; COMPUTE_PGM_RSRC2:TGID_Z_EN: 0
; COMPUTE_PGM_RSRC2:TIDIG_COMP_CNT: 0
; COMPUTE_PGM_RSRC3_GFX90A:ACCUM_OFFSET: 0
; COMPUTE_PGM_RSRC3_GFX90A:TG_SPLIT: 0
	.section	.text._ZN7rocprim17ROCPRIM_400000_NS6detail17trampoline_kernelINS0_14default_configENS1_27scan_by_key_config_selectorIj11FixedVectorIiLj2EEEEZZNS1_16scan_by_key_implILNS1_25lookback_scan_determinismE0ELb1ES3_N6thrust23THRUST_200600_302600_NS6detail15normal_iteratorINSB_10device_ptrIjEEEENSD_INSE_IS6_EEEESI_S6_NSB_4plusIvEENSB_8equal_toIvEES6_EE10hipError_tPvRmT2_T3_T4_T5_mT6_T7_P12ihipStream_tbENKUlT_T0_E_clISt17integral_constantIbLb1EES13_EEDaSY_SZ_EUlSY_E_NS1_11comp_targetILNS1_3genE9ELNS1_11target_archE1100ELNS1_3gpuE3ELNS1_3repE0EEENS1_30default_config_static_selectorELNS0_4arch9wavefront6targetE1EEEvT1_,"axG",@progbits,_ZN7rocprim17ROCPRIM_400000_NS6detail17trampoline_kernelINS0_14default_configENS1_27scan_by_key_config_selectorIj11FixedVectorIiLj2EEEEZZNS1_16scan_by_key_implILNS1_25lookback_scan_determinismE0ELb1ES3_N6thrust23THRUST_200600_302600_NS6detail15normal_iteratorINSB_10device_ptrIjEEEENSD_INSE_IS6_EEEESI_S6_NSB_4plusIvEENSB_8equal_toIvEES6_EE10hipError_tPvRmT2_T3_T4_T5_mT6_T7_P12ihipStream_tbENKUlT_T0_E_clISt17integral_constantIbLb1EES13_EEDaSY_SZ_EUlSY_E_NS1_11comp_targetILNS1_3genE9ELNS1_11target_archE1100ELNS1_3gpuE3ELNS1_3repE0EEENS1_30default_config_static_selectorELNS0_4arch9wavefront6targetE1EEEvT1_,comdat
	.protected	_ZN7rocprim17ROCPRIM_400000_NS6detail17trampoline_kernelINS0_14default_configENS1_27scan_by_key_config_selectorIj11FixedVectorIiLj2EEEEZZNS1_16scan_by_key_implILNS1_25lookback_scan_determinismE0ELb1ES3_N6thrust23THRUST_200600_302600_NS6detail15normal_iteratorINSB_10device_ptrIjEEEENSD_INSE_IS6_EEEESI_S6_NSB_4plusIvEENSB_8equal_toIvEES6_EE10hipError_tPvRmT2_T3_T4_T5_mT6_T7_P12ihipStream_tbENKUlT_T0_E_clISt17integral_constantIbLb1EES13_EEDaSY_SZ_EUlSY_E_NS1_11comp_targetILNS1_3genE9ELNS1_11target_archE1100ELNS1_3gpuE3ELNS1_3repE0EEENS1_30default_config_static_selectorELNS0_4arch9wavefront6targetE1EEEvT1_ ; -- Begin function _ZN7rocprim17ROCPRIM_400000_NS6detail17trampoline_kernelINS0_14default_configENS1_27scan_by_key_config_selectorIj11FixedVectorIiLj2EEEEZZNS1_16scan_by_key_implILNS1_25lookback_scan_determinismE0ELb1ES3_N6thrust23THRUST_200600_302600_NS6detail15normal_iteratorINSB_10device_ptrIjEEEENSD_INSE_IS6_EEEESI_S6_NSB_4plusIvEENSB_8equal_toIvEES6_EE10hipError_tPvRmT2_T3_T4_T5_mT6_T7_P12ihipStream_tbENKUlT_T0_E_clISt17integral_constantIbLb1EES13_EEDaSY_SZ_EUlSY_E_NS1_11comp_targetILNS1_3genE9ELNS1_11target_archE1100ELNS1_3gpuE3ELNS1_3repE0EEENS1_30default_config_static_selectorELNS0_4arch9wavefront6targetE1EEEvT1_
	.globl	_ZN7rocprim17ROCPRIM_400000_NS6detail17trampoline_kernelINS0_14default_configENS1_27scan_by_key_config_selectorIj11FixedVectorIiLj2EEEEZZNS1_16scan_by_key_implILNS1_25lookback_scan_determinismE0ELb1ES3_N6thrust23THRUST_200600_302600_NS6detail15normal_iteratorINSB_10device_ptrIjEEEENSD_INSE_IS6_EEEESI_S6_NSB_4plusIvEENSB_8equal_toIvEES6_EE10hipError_tPvRmT2_T3_T4_T5_mT6_T7_P12ihipStream_tbENKUlT_T0_E_clISt17integral_constantIbLb1EES13_EEDaSY_SZ_EUlSY_E_NS1_11comp_targetILNS1_3genE9ELNS1_11target_archE1100ELNS1_3gpuE3ELNS1_3repE0EEENS1_30default_config_static_selectorELNS0_4arch9wavefront6targetE1EEEvT1_
	.p2align	8
	.type	_ZN7rocprim17ROCPRIM_400000_NS6detail17trampoline_kernelINS0_14default_configENS1_27scan_by_key_config_selectorIj11FixedVectorIiLj2EEEEZZNS1_16scan_by_key_implILNS1_25lookback_scan_determinismE0ELb1ES3_N6thrust23THRUST_200600_302600_NS6detail15normal_iteratorINSB_10device_ptrIjEEEENSD_INSE_IS6_EEEESI_S6_NSB_4plusIvEENSB_8equal_toIvEES6_EE10hipError_tPvRmT2_T3_T4_T5_mT6_T7_P12ihipStream_tbENKUlT_T0_E_clISt17integral_constantIbLb1EES13_EEDaSY_SZ_EUlSY_E_NS1_11comp_targetILNS1_3genE9ELNS1_11target_archE1100ELNS1_3gpuE3ELNS1_3repE0EEENS1_30default_config_static_selectorELNS0_4arch9wavefront6targetE1EEEvT1_,@function
_ZN7rocprim17ROCPRIM_400000_NS6detail17trampoline_kernelINS0_14default_configENS1_27scan_by_key_config_selectorIj11FixedVectorIiLj2EEEEZZNS1_16scan_by_key_implILNS1_25lookback_scan_determinismE0ELb1ES3_N6thrust23THRUST_200600_302600_NS6detail15normal_iteratorINSB_10device_ptrIjEEEENSD_INSE_IS6_EEEESI_S6_NSB_4plusIvEENSB_8equal_toIvEES6_EE10hipError_tPvRmT2_T3_T4_T5_mT6_T7_P12ihipStream_tbENKUlT_T0_E_clISt17integral_constantIbLb1EES13_EEDaSY_SZ_EUlSY_E_NS1_11comp_targetILNS1_3genE9ELNS1_11target_archE1100ELNS1_3gpuE3ELNS1_3repE0EEENS1_30default_config_static_selectorELNS0_4arch9wavefront6targetE1EEEvT1_: ; @_ZN7rocprim17ROCPRIM_400000_NS6detail17trampoline_kernelINS0_14default_configENS1_27scan_by_key_config_selectorIj11FixedVectorIiLj2EEEEZZNS1_16scan_by_key_implILNS1_25lookback_scan_determinismE0ELb1ES3_N6thrust23THRUST_200600_302600_NS6detail15normal_iteratorINSB_10device_ptrIjEEEENSD_INSE_IS6_EEEESI_S6_NSB_4plusIvEENSB_8equal_toIvEES6_EE10hipError_tPvRmT2_T3_T4_T5_mT6_T7_P12ihipStream_tbENKUlT_T0_E_clISt17integral_constantIbLb1EES13_EEDaSY_SZ_EUlSY_E_NS1_11comp_targetILNS1_3genE9ELNS1_11target_archE1100ELNS1_3gpuE3ELNS1_3repE0EEENS1_30default_config_static_selectorELNS0_4arch9wavefront6targetE1EEEvT1_
; %bb.0:
	.section	.rodata,"a",@progbits
	.p2align	6, 0x0
	.amdhsa_kernel _ZN7rocprim17ROCPRIM_400000_NS6detail17trampoline_kernelINS0_14default_configENS1_27scan_by_key_config_selectorIj11FixedVectorIiLj2EEEEZZNS1_16scan_by_key_implILNS1_25lookback_scan_determinismE0ELb1ES3_N6thrust23THRUST_200600_302600_NS6detail15normal_iteratorINSB_10device_ptrIjEEEENSD_INSE_IS6_EEEESI_S6_NSB_4plusIvEENSB_8equal_toIvEES6_EE10hipError_tPvRmT2_T3_T4_T5_mT6_T7_P12ihipStream_tbENKUlT_T0_E_clISt17integral_constantIbLb1EES13_EEDaSY_SZ_EUlSY_E_NS1_11comp_targetILNS1_3genE9ELNS1_11target_archE1100ELNS1_3gpuE3ELNS1_3repE0EEENS1_30default_config_static_selectorELNS0_4arch9wavefront6targetE1EEEvT1_
		.amdhsa_group_segment_fixed_size 0
		.amdhsa_private_segment_fixed_size 0
		.amdhsa_kernarg_size 120
		.amdhsa_user_sgpr_count 2
		.amdhsa_user_sgpr_dispatch_ptr 0
		.amdhsa_user_sgpr_queue_ptr 0
		.amdhsa_user_sgpr_kernarg_segment_ptr 1
		.amdhsa_user_sgpr_dispatch_id 0
		.amdhsa_user_sgpr_kernarg_preload_length 0
		.amdhsa_user_sgpr_kernarg_preload_offset 0
		.amdhsa_user_sgpr_private_segment_size 0
		.amdhsa_uses_dynamic_stack 0
		.amdhsa_enable_private_segment 0
		.amdhsa_system_sgpr_workgroup_id_x 1
		.amdhsa_system_sgpr_workgroup_id_y 0
		.amdhsa_system_sgpr_workgroup_id_z 0
		.amdhsa_system_sgpr_workgroup_info 0
		.amdhsa_system_vgpr_workitem_id 0
		.amdhsa_next_free_vgpr 1
		.amdhsa_next_free_sgpr 0
		.amdhsa_accum_offset 4
		.amdhsa_reserve_vcc 0
		.amdhsa_float_round_mode_32 0
		.amdhsa_float_round_mode_16_64 0
		.amdhsa_float_denorm_mode_32 3
		.amdhsa_float_denorm_mode_16_64 3
		.amdhsa_dx10_clamp 1
		.amdhsa_ieee_mode 1
		.amdhsa_fp16_overflow 0
		.amdhsa_tg_split 0
		.amdhsa_exception_fp_ieee_invalid_op 0
		.amdhsa_exception_fp_denorm_src 0
		.amdhsa_exception_fp_ieee_div_zero 0
		.amdhsa_exception_fp_ieee_overflow 0
		.amdhsa_exception_fp_ieee_underflow 0
		.amdhsa_exception_fp_ieee_inexact 0
		.amdhsa_exception_int_div_zero 0
	.end_amdhsa_kernel
	.section	.text._ZN7rocprim17ROCPRIM_400000_NS6detail17trampoline_kernelINS0_14default_configENS1_27scan_by_key_config_selectorIj11FixedVectorIiLj2EEEEZZNS1_16scan_by_key_implILNS1_25lookback_scan_determinismE0ELb1ES3_N6thrust23THRUST_200600_302600_NS6detail15normal_iteratorINSB_10device_ptrIjEEEENSD_INSE_IS6_EEEESI_S6_NSB_4plusIvEENSB_8equal_toIvEES6_EE10hipError_tPvRmT2_T3_T4_T5_mT6_T7_P12ihipStream_tbENKUlT_T0_E_clISt17integral_constantIbLb1EES13_EEDaSY_SZ_EUlSY_E_NS1_11comp_targetILNS1_3genE9ELNS1_11target_archE1100ELNS1_3gpuE3ELNS1_3repE0EEENS1_30default_config_static_selectorELNS0_4arch9wavefront6targetE1EEEvT1_,"axG",@progbits,_ZN7rocprim17ROCPRIM_400000_NS6detail17trampoline_kernelINS0_14default_configENS1_27scan_by_key_config_selectorIj11FixedVectorIiLj2EEEEZZNS1_16scan_by_key_implILNS1_25lookback_scan_determinismE0ELb1ES3_N6thrust23THRUST_200600_302600_NS6detail15normal_iteratorINSB_10device_ptrIjEEEENSD_INSE_IS6_EEEESI_S6_NSB_4plusIvEENSB_8equal_toIvEES6_EE10hipError_tPvRmT2_T3_T4_T5_mT6_T7_P12ihipStream_tbENKUlT_T0_E_clISt17integral_constantIbLb1EES13_EEDaSY_SZ_EUlSY_E_NS1_11comp_targetILNS1_3genE9ELNS1_11target_archE1100ELNS1_3gpuE3ELNS1_3repE0EEENS1_30default_config_static_selectorELNS0_4arch9wavefront6targetE1EEEvT1_,comdat
.Lfunc_end2009:
	.size	_ZN7rocprim17ROCPRIM_400000_NS6detail17trampoline_kernelINS0_14default_configENS1_27scan_by_key_config_selectorIj11FixedVectorIiLj2EEEEZZNS1_16scan_by_key_implILNS1_25lookback_scan_determinismE0ELb1ES3_N6thrust23THRUST_200600_302600_NS6detail15normal_iteratorINSB_10device_ptrIjEEEENSD_INSE_IS6_EEEESI_S6_NSB_4plusIvEENSB_8equal_toIvEES6_EE10hipError_tPvRmT2_T3_T4_T5_mT6_T7_P12ihipStream_tbENKUlT_T0_E_clISt17integral_constantIbLb1EES13_EEDaSY_SZ_EUlSY_E_NS1_11comp_targetILNS1_3genE9ELNS1_11target_archE1100ELNS1_3gpuE3ELNS1_3repE0EEENS1_30default_config_static_selectorELNS0_4arch9wavefront6targetE1EEEvT1_, .Lfunc_end2009-_ZN7rocprim17ROCPRIM_400000_NS6detail17trampoline_kernelINS0_14default_configENS1_27scan_by_key_config_selectorIj11FixedVectorIiLj2EEEEZZNS1_16scan_by_key_implILNS1_25lookback_scan_determinismE0ELb1ES3_N6thrust23THRUST_200600_302600_NS6detail15normal_iteratorINSB_10device_ptrIjEEEENSD_INSE_IS6_EEEESI_S6_NSB_4plusIvEENSB_8equal_toIvEES6_EE10hipError_tPvRmT2_T3_T4_T5_mT6_T7_P12ihipStream_tbENKUlT_T0_E_clISt17integral_constantIbLb1EES13_EEDaSY_SZ_EUlSY_E_NS1_11comp_targetILNS1_3genE9ELNS1_11target_archE1100ELNS1_3gpuE3ELNS1_3repE0EEENS1_30default_config_static_selectorELNS0_4arch9wavefront6targetE1EEEvT1_
                                        ; -- End function
	.section	.AMDGPU.csdata,"",@progbits
; Kernel info:
; codeLenInByte = 0
; NumSgprs: 6
; NumVgprs: 0
; NumAgprs: 0
; TotalNumVgprs: 0
; ScratchSize: 0
; MemoryBound: 0
; FloatMode: 240
; IeeeMode: 1
; LDSByteSize: 0 bytes/workgroup (compile time only)
; SGPRBlocks: 0
; VGPRBlocks: 0
; NumSGPRsForWavesPerEU: 6
; NumVGPRsForWavesPerEU: 1
; AccumOffset: 4
; Occupancy: 8
; WaveLimiterHint : 0
; COMPUTE_PGM_RSRC2:SCRATCH_EN: 0
; COMPUTE_PGM_RSRC2:USER_SGPR: 2
; COMPUTE_PGM_RSRC2:TRAP_HANDLER: 0
; COMPUTE_PGM_RSRC2:TGID_X_EN: 1
; COMPUTE_PGM_RSRC2:TGID_Y_EN: 0
; COMPUTE_PGM_RSRC2:TGID_Z_EN: 0
; COMPUTE_PGM_RSRC2:TIDIG_COMP_CNT: 0
; COMPUTE_PGM_RSRC3_GFX90A:ACCUM_OFFSET: 0
; COMPUTE_PGM_RSRC3_GFX90A:TG_SPLIT: 0
	.section	.text._ZN7rocprim17ROCPRIM_400000_NS6detail17trampoline_kernelINS0_14default_configENS1_27scan_by_key_config_selectorIj11FixedVectorIiLj2EEEEZZNS1_16scan_by_key_implILNS1_25lookback_scan_determinismE0ELb1ES3_N6thrust23THRUST_200600_302600_NS6detail15normal_iteratorINSB_10device_ptrIjEEEENSD_INSE_IS6_EEEESI_S6_NSB_4plusIvEENSB_8equal_toIvEES6_EE10hipError_tPvRmT2_T3_T4_T5_mT6_T7_P12ihipStream_tbENKUlT_T0_E_clISt17integral_constantIbLb1EES13_EEDaSY_SZ_EUlSY_E_NS1_11comp_targetILNS1_3genE8ELNS1_11target_archE1030ELNS1_3gpuE2ELNS1_3repE0EEENS1_30default_config_static_selectorELNS0_4arch9wavefront6targetE1EEEvT1_,"axG",@progbits,_ZN7rocprim17ROCPRIM_400000_NS6detail17trampoline_kernelINS0_14default_configENS1_27scan_by_key_config_selectorIj11FixedVectorIiLj2EEEEZZNS1_16scan_by_key_implILNS1_25lookback_scan_determinismE0ELb1ES3_N6thrust23THRUST_200600_302600_NS6detail15normal_iteratorINSB_10device_ptrIjEEEENSD_INSE_IS6_EEEESI_S6_NSB_4plusIvEENSB_8equal_toIvEES6_EE10hipError_tPvRmT2_T3_T4_T5_mT6_T7_P12ihipStream_tbENKUlT_T0_E_clISt17integral_constantIbLb1EES13_EEDaSY_SZ_EUlSY_E_NS1_11comp_targetILNS1_3genE8ELNS1_11target_archE1030ELNS1_3gpuE2ELNS1_3repE0EEENS1_30default_config_static_selectorELNS0_4arch9wavefront6targetE1EEEvT1_,comdat
	.protected	_ZN7rocprim17ROCPRIM_400000_NS6detail17trampoline_kernelINS0_14default_configENS1_27scan_by_key_config_selectorIj11FixedVectorIiLj2EEEEZZNS1_16scan_by_key_implILNS1_25lookback_scan_determinismE0ELb1ES3_N6thrust23THRUST_200600_302600_NS6detail15normal_iteratorINSB_10device_ptrIjEEEENSD_INSE_IS6_EEEESI_S6_NSB_4plusIvEENSB_8equal_toIvEES6_EE10hipError_tPvRmT2_T3_T4_T5_mT6_T7_P12ihipStream_tbENKUlT_T0_E_clISt17integral_constantIbLb1EES13_EEDaSY_SZ_EUlSY_E_NS1_11comp_targetILNS1_3genE8ELNS1_11target_archE1030ELNS1_3gpuE2ELNS1_3repE0EEENS1_30default_config_static_selectorELNS0_4arch9wavefront6targetE1EEEvT1_ ; -- Begin function _ZN7rocprim17ROCPRIM_400000_NS6detail17trampoline_kernelINS0_14default_configENS1_27scan_by_key_config_selectorIj11FixedVectorIiLj2EEEEZZNS1_16scan_by_key_implILNS1_25lookback_scan_determinismE0ELb1ES3_N6thrust23THRUST_200600_302600_NS6detail15normal_iteratorINSB_10device_ptrIjEEEENSD_INSE_IS6_EEEESI_S6_NSB_4plusIvEENSB_8equal_toIvEES6_EE10hipError_tPvRmT2_T3_T4_T5_mT6_T7_P12ihipStream_tbENKUlT_T0_E_clISt17integral_constantIbLb1EES13_EEDaSY_SZ_EUlSY_E_NS1_11comp_targetILNS1_3genE8ELNS1_11target_archE1030ELNS1_3gpuE2ELNS1_3repE0EEENS1_30default_config_static_selectorELNS0_4arch9wavefront6targetE1EEEvT1_
	.globl	_ZN7rocprim17ROCPRIM_400000_NS6detail17trampoline_kernelINS0_14default_configENS1_27scan_by_key_config_selectorIj11FixedVectorIiLj2EEEEZZNS1_16scan_by_key_implILNS1_25lookback_scan_determinismE0ELb1ES3_N6thrust23THRUST_200600_302600_NS6detail15normal_iteratorINSB_10device_ptrIjEEEENSD_INSE_IS6_EEEESI_S6_NSB_4plusIvEENSB_8equal_toIvEES6_EE10hipError_tPvRmT2_T3_T4_T5_mT6_T7_P12ihipStream_tbENKUlT_T0_E_clISt17integral_constantIbLb1EES13_EEDaSY_SZ_EUlSY_E_NS1_11comp_targetILNS1_3genE8ELNS1_11target_archE1030ELNS1_3gpuE2ELNS1_3repE0EEENS1_30default_config_static_selectorELNS0_4arch9wavefront6targetE1EEEvT1_
	.p2align	8
	.type	_ZN7rocprim17ROCPRIM_400000_NS6detail17trampoline_kernelINS0_14default_configENS1_27scan_by_key_config_selectorIj11FixedVectorIiLj2EEEEZZNS1_16scan_by_key_implILNS1_25lookback_scan_determinismE0ELb1ES3_N6thrust23THRUST_200600_302600_NS6detail15normal_iteratorINSB_10device_ptrIjEEEENSD_INSE_IS6_EEEESI_S6_NSB_4plusIvEENSB_8equal_toIvEES6_EE10hipError_tPvRmT2_T3_T4_T5_mT6_T7_P12ihipStream_tbENKUlT_T0_E_clISt17integral_constantIbLb1EES13_EEDaSY_SZ_EUlSY_E_NS1_11comp_targetILNS1_3genE8ELNS1_11target_archE1030ELNS1_3gpuE2ELNS1_3repE0EEENS1_30default_config_static_selectorELNS0_4arch9wavefront6targetE1EEEvT1_,@function
_ZN7rocprim17ROCPRIM_400000_NS6detail17trampoline_kernelINS0_14default_configENS1_27scan_by_key_config_selectorIj11FixedVectorIiLj2EEEEZZNS1_16scan_by_key_implILNS1_25lookback_scan_determinismE0ELb1ES3_N6thrust23THRUST_200600_302600_NS6detail15normal_iteratorINSB_10device_ptrIjEEEENSD_INSE_IS6_EEEESI_S6_NSB_4plusIvEENSB_8equal_toIvEES6_EE10hipError_tPvRmT2_T3_T4_T5_mT6_T7_P12ihipStream_tbENKUlT_T0_E_clISt17integral_constantIbLb1EES13_EEDaSY_SZ_EUlSY_E_NS1_11comp_targetILNS1_3genE8ELNS1_11target_archE1030ELNS1_3gpuE2ELNS1_3repE0EEENS1_30default_config_static_selectorELNS0_4arch9wavefront6targetE1EEEvT1_: ; @_ZN7rocprim17ROCPRIM_400000_NS6detail17trampoline_kernelINS0_14default_configENS1_27scan_by_key_config_selectorIj11FixedVectorIiLj2EEEEZZNS1_16scan_by_key_implILNS1_25lookback_scan_determinismE0ELb1ES3_N6thrust23THRUST_200600_302600_NS6detail15normal_iteratorINSB_10device_ptrIjEEEENSD_INSE_IS6_EEEESI_S6_NSB_4plusIvEENSB_8equal_toIvEES6_EE10hipError_tPvRmT2_T3_T4_T5_mT6_T7_P12ihipStream_tbENKUlT_T0_E_clISt17integral_constantIbLb1EES13_EEDaSY_SZ_EUlSY_E_NS1_11comp_targetILNS1_3genE8ELNS1_11target_archE1030ELNS1_3gpuE2ELNS1_3repE0EEENS1_30default_config_static_selectorELNS0_4arch9wavefront6targetE1EEEvT1_
; %bb.0:
	.section	.rodata,"a",@progbits
	.p2align	6, 0x0
	.amdhsa_kernel _ZN7rocprim17ROCPRIM_400000_NS6detail17trampoline_kernelINS0_14default_configENS1_27scan_by_key_config_selectorIj11FixedVectorIiLj2EEEEZZNS1_16scan_by_key_implILNS1_25lookback_scan_determinismE0ELb1ES3_N6thrust23THRUST_200600_302600_NS6detail15normal_iteratorINSB_10device_ptrIjEEEENSD_INSE_IS6_EEEESI_S6_NSB_4plusIvEENSB_8equal_toIvEES6_EE10hipError_tPvRmT2_T3_T4_T5_mT6_T7_P12ihipStream_tbENKUlT_T0_E_clISt17integral_constantIbLb1EES13_EEDaSY_SZ_EUlSY_E_NS1_11comp_targetILNS1_3genE8ELNS1_11target_archE1030ELNS1_3gpuE2ELNS1_3repE0EEENS1_30default_config_static_selectorELNS0_4arch9wavefront6targetE1EEEvT1_
		.amdhsa_group_segment_fixed_size 0
		.amdhsa_private_segment_fixed_size 0
		.amdhsa_kernarg_size 120
		.amdhsa_user_sgpr_count 2
		.amdhsa_user_sgpr_dispatch_ptr 0
		.amdhsa_user_sgpr_queue_ptr 0
		.amdhsa_user_sgpr_kernarg_segment_ptr 1
		.amdhsa_user_sgpr_dispatch_id 0
		.amdhsa_user_sgpr_kernarg_preload_length 0
		.amdhsa_user_sgpr_kernarg_preload_offset 0
		.amdhsa_user_sgpr_private_segment_size 0
		.amdhsa_uses_dynamic_stack 0
		.amdhsa_enable_private_segment 0
		.amdhsa_system_sgpr_workgroup_id_x 1
		.amdhsa_system_sgpr_workgroup_id_y 0
		.amdhsa_system_sgpr_workgroup_id_z 0
		.amdhsa_system_sgpr_workgroup_info 0
		.amdhsa_system_vgpr_workitem_id 0
		.amdhsa_next_free_vgpr 1
		.amdhsa_next_free_sgpr 0
		.amdhsa_accum_offset 4
		.amdhsa_reserve_vcc 0
		.amdhsa_float_round_mode_32 0
		.amdhsa_float_round_mode_16_64 0
		.amdhsa_float_denorm_mode_32 3
		.amdhsa_float_denorm_mode_16_64 3
		.amdhsa_dx10_clamp 1
		.amdhsa_ieee_mode 1
		.amdhsa_fp16_overflow 0
		.amdhsa_tg_split 0
		.amdhsa_exception_fp_ieee_invalid_op 0
		.amdhsa_exception_fp_denorm_src 0
		.amdhsa_exception_fp_ieee_div_zero 0
		.amdhsa_exception_fp_ieee_overflow 0
		.amdhsa_exception_fp_ieee_underflow 0
		.amdhsa_exception_fp_ieee_inexact 0
		.amdhsa_exception_int_div_zero 0
	.end_amdhsa_kernel
	.section	.text._ZN7rocprim17ROCPRIM_400000_NS6detail17trampoline_kernelINS0_14default_configENS1_27scan_by_key_config_selectorIj11FixedVectorIiLj2EEEEZZNS1_16scan_by_key_implILNS1_25lookback_scan_determinismE0ELb1ES3_N6thrust23THRUST_200600_302600_NS6detail15normal_iteratorINSB_10device_ptrIjEEEENSD_INSE_IS6_EEEESI_S6_NSB_4plusIvEENSB_8equal_toIvEES6_EE10hipError_tPvRmT2_T3_T4_T5_mT6_T7_P12ihipStream_tbENKUlT_T0_E_clISt17integral_constantIbLb1EES13_EEDaSY_SZ_EUlSY_E_NS1_11comp_targetILNS1_3genE8ELNS1_11target_archE1030ELNS1_3gpuE2ELNS1_3repE0EEENS1_30default_config_static_selectorELNS0_4arch9wavefront6targetE1EEEvT1_,"axG",@progbits,_ZN7rocprim17ROCPRIM_400000_NS6detail17trampoline_kernelINS0_14default_configENS1_27scan_by_key_config_selectorIj11FixedVectorIiLj2EEEEZZNS1_16scan_by_key_implILNS1_25lookback_scan_determinismE0ELb1ES3_N6thrust23THRUST_200600_302600_NS6detail15normal_iteratorINSB_10device_ptrIjEEEENSD_INSE_IS6_EEEESI_S6_NSB_4plusIvEENSB_8equal_toIvEES6_EE10hipError_tPvRmT2_T3_T4_T5_mT6_T7_P12ihipStream_tbENKUlT_T0_E_clISt17integral_constantIbLb1EES13_EEDaSY_SZ_EUlSY_E_NS1_11comp_targetILNS1_3genE8ELNS1_11target_archE1030ELNS1_3gpuE2ELNS1_3repE0EEENS1_30default_config_static_selectorELNS0_4arch9wavefront6targetE1EEEvT1_,comdat
.Lfunc_end2010:
	.size	_ZN7rocprim17ROCPRIM_400000_NS6detail17trampoline_kernelINS0_14default_configENS1_27scan_by_key_config_selectorIj11FixedVectorIiLj2EEEEZZNS1_16scan_by_key_implILNS1_25lookback_scan_determinismE0ELb1ES3_N6thrust23THRUST_200600_302600_NS6detail15normal_iteratorINSB_10device_ptrIjEEEENSD_INSE_IS6_EEEESI_S6_NSB_4plusIvEENSB_8equal_toIvEES6_EE10hipError_tPvRmT2_T3_T4_T5_mT6_T7_P12ihipStream_tbENKUlT_T0_E_clISt17integral_constantIbLb1EES13_EEDaSY_SZ_EUlSY_E_NS1_11comp_targetILNS1_3genE8ELNS1_11target_archE1030ELNS1_3gpuE2ELNS1_3repE0EEENS1_30default_config_static_selectorELNS0_4arch9wavefront6targetE1EEEvT1_, .Lfunc_end2010-_ZN7rocprim17ROCPRIM_400000_NS6detail17trampoline_kernelINS0_14default_configENS1_27scan_by_key_config_selectorIj11FixedVectorIiLj2EEEEZZNS1_16scan_by_key_implILNS1_25lookback_scan_determinismE0ELb1ES3_N6thrust23THRUST_200600_302600_NS6detail15normal_iteratorINSB_10device_ptrIjEEEENSD_INSE_IS6_EEEESI_S6_NSB_4plusIvEENSB_8equal_toIvEES6_EE10hipError_tPvRmT2_T3_T4_T5_mT6_T7_P12ihipStream_tbENKUlT_T0_E_clISt17integral_constantIbLb1EES13_EEDaSY_SZ_EUlSY_E_NS1_11comp_targetILNS1_3genE8ELNS1_11target_archE1030ELNS1_3gpuE2ELNS1_3repE0EEENS1_30default_config_static_selectorELNS0_4arch9wavefront6targetE1EEEvT1_
                                        ; -- End function
	.section	.AMDGPU.csdata,"",@progbits
; Kernel info:
; codeLenInByte = 0
; NumSgprs: 6
; NumVgprs: 0
; NumAgprs: 0
; TotalNumVgprs: 0
; ScratchSize: 0
; MemoryBound: 0
; FloatMode: 240
; IeeeMode: 1
; LDSByteSize: 0 bytes/workgroup (compile time only)
; SGPRBlocks: 0
; VGPRBlocks: 0
; NumSGPRsForWavesPerEU: 6
; NumVGPRsForWavesPerEU: 1
; AccumOffset: 4
; Occupancy: 8
; WaveLimiterHint : 0
; COMPUTE_PGM_RSRC2:SCRATCH_EN: 0
; COMPUTE_PGM_RSRC2:USER_SGPR: 2
; COMPUTE_PGM_RSRC2:TRAP_HANDLER: 0
; COMPUTE_PGM_RSRC2:TGID_X_EN: 1
; COMPUTE_PGM_RSRC2:TGID_Y_EN: 0
; COMPUTE_PGM_RSRC2:TGID_Z_EN: 0
; COMPUTE_PGM_RSRC2:TIDIG_COMP_CNT: 0
; COMPUTE_PGM_RSRC3_GFX90A:ACCUM_OFFSET: 0
; COMPUTE_PGM_RSRC3_GFX90A:TG_SPLIT: 0
	.section	.text._ZN7rocprim17ROCPRIM_400000_NS6detail17trampoline_kernelINS0_14default_configENS1_27scan_by_key_config_selectorIj11FixedVectorIiLj2EEEEZZNS1_16scan_by_key_implILNS1_25lookback_scan_determinismE0ELb1ES3_N6thrust23THRUST_200600_302600_NS6detail15normal_iteratorINSB_10device_ptrIjEEEENSD_INSE_IS6_EEEESI_S6_NSB_4plusIvEENSB_8equal_toIvEES6_EE10hipError_tPvRmT2_T3_T4_T5_mT6_T7_P12ihipStream_tbENKUlT_T0_E_clISt17integral_constantIbLb1EES12_IbLb0EEEEDaSY_SZ_EUlSY_E_NS1_11comp_targetILNS1_3genE0ELNS1_11target_archE4294967295ELNS1_3gpuE0ELNS1_3repE0EEENS1_30default_config_static_selectorELNS0_4arch9wavefront6targetE1EEEvT1_,"axG",@progbits,_ZN7rocprim17ROCPRIM_400000_NS6detail17trampoline_kernelINS0_14default_configENS1_27scan_by_key_config_selectorIj11FixedVectorIiLj2EEEEZZNS1_16scan_by_key_implILNS1_25lookback_scan_determinismE0ELb1ES3_N6thrust23THRUST_200600_302600_NS6detail15normal_iteratorINSB_10device_ptrIjEEEENSD_INSE_IS6_EEEESI_S6_NSB_4plusIvEENSB_8equal_toIvEES6_EE10hipError_tPvRmT2_T3_T4_T5_mT6_T7_P12ihipStream_tbENKUlT_T0_E_clISt17integral_constantIbLb1EES12_IbLb0EEEEDaSY_SZ_EUlSY_E_NS1_11comp_targetILNS1_3genE0ELNS1_11target_archE4294967295ELNS1_3gpuE0ELNS1_3repE0EEENS1_30default_config_static_selectorELNS0_4arch9wavefront6targetE1EEEvT1_,comdat
	.protected	_ZN7rocprim17ROCPRIM_400000_NS6detail17trampoline_kernelINS0_14default_configENS1_27scan_by_key_config_selectorIj11FixedVectorIiLj2EEEEZZNS1_16scan_by_key_implILNS1_25lookback_scan_determinismE0ELb1ES3_N6thrust23THRUST_200600_302600_NS6detail15normal_iteratorINSB_10device_ptrIjEEEENSD_INSE_IS6_EEEESI_S6_NSB_4plusIvEENSB_8equal_toIvEES6_EE10hipError_tPvRmT2_T3_T4_T5_mT6_T7_P12ihipStream_tbENKUlT_T0_E_clISt17integral_constantIbLb1EES12_IbLb0EEEEDaSY_SZ_EUlSY_E_NS1_11comp_targetILNS1_3genE0ELNS1_11target_archE4294967295ELNS1_3gpuE0ELNS1_3repE0EEENS1_30default_config_static_selectorELNS0_4arch9wavefront6targetE1EEEvT1_ ; -- Begin function _ZN7rocprim17ROCPRIM_400000_NS6detail17trampoline_kernelINS0_14default_configENS1_27scan_by_key_config_selectorIj11FixedVectorIiLj2EEEEZZNS1_16scan_by_key_implILNS1_25lookback_scan_determinismE0ELb1ES3_N6thrust23THRUST_200600_302600_NS6detail15normal_iteratorINSB_10device_ptrIjEEEENSD_INSE_IS6_EEEESI_S6_NSB_4plusIvEENSB_8equal_toIvEES6_EE10hipError_tPvRmT2_T3_T4_T5_mT6_T7_P12ihipStream_tbENKUlT_T0_E_clISt17integral_constantIbLb1EES12_IbLb0EEEEDaSY_SZ_EUlSY_E_NS1_11comp_targetILNS1_3genE0ELNS1_11target_archE4294967295ELNS1_3gpuE0ELNS1_3repE0EEENS1_30default_config_static_selectorELNS0_4arch9wavefront6targetE1EEEvT1_
	.globl	_ZN7rocprim17ROCPRIM_400000_NS6detail17trampoline_kernelINS0_14default_configENS1_27scan_by_key_config_selectorIj11FixedVectorIiLj2EEEEZZNS1_16scan_by_key_implILNS1_25lookback_scan_determinismE0ELb1ES3_N6thrust23THRUST_200600_302600_NS6detail15normal_iteratorINSB_10device_ptrIjEEEENSD_INSE_IS6_EEEESI_S6_NSB_4plusIvEENSB_8equal_toIvEES6_EE10hipError_tPvRmT2_T3_T4_T5_mT6_T7_P12ihipStream_tbENKUlT_T0_E_clISt17integral_constantIbLb1EES12_IbLb0EEEEDaSY_SZ_EUlSY_E_NS1_11comp_targetILNS1_3genE0ELNS1_11target_archE4294967295ELNS1_3gpuE0ELNS1_3repE0EEENS1_30default_config_static_selectorELNS0_4arch9wavefront6targetE1EEEvT1_
	.p2align	8
	.type	_ZN7rocprim17ROCPRIM_400000_NS6detail17trampoline_kernelINS0_14default_configENS1_27scan_by_key_config_selectorIj11FixedVectorIiLj2EEEEZZNS1_16scan_by_key_implILNS1_25lookback_scan_determinismE0ELb1ES3_N6thrust23THRUST_200600_302600_NS6detail15normal_iteratorINSB_10device_ptrIjEEEENSD_INSE_IS6_EEEESI_S6_NSB_4plusIvEENSB_8equal_toIvEES6_EE10hipError_tPvRmT2_T3_T4_T5_mT6_T7_P12ihipStream_tbENKUlT_T0_E_clISt17integral_constantIbLb1EES12_IbLb0EEEEDaSY_SZ_EUlSY_E_NS1_11comp_targetILNS1_3genE0ELNS1_11target_archE4294967295ELNS1_3gpuE0ELNS1_3repE0EEENS1_30default_config_static_selectorELNS0_4arch9wavefront6targetE1EEEvT1_,@function
_ZN7rocprim17ROCPRIM_400000_NS6detail17trampoline_kernelINS0_14default_configENS1_27scan_by_key_config_selectorIj11FixedVectorIiLj2EEEEZZNS1_16scan_by_key_implILNS1_25lookback_scan_determinismE0ELb1ES3_N6thrust23THRUST_200600_302600_NS6detail15normal_iteratorINSB_10device_ptrIjEEEENSD_INSE_IS6_EEEESI_S6_NSB_4plusIvEENSB_8equal_toIvEES6_EE10hipError_tPvRmT2_T3_T4_T5_mT6_T7_P12ihipStream_tbENKUlT_T0_E_clISt17integral_constantIbLb1EES12_IbLb0EEEEDaSY_SZ_EUlSY_E_NS1_11comp_targetILNS1_3genE0ELNS1_11target_archE4294967295ELNS1_3gpuE0ELNS1_3repE0EEENS1_30default_config_static_selectorELNS0_4arch9wavefront6targetE1EEEvT1_: ; @_ZN7rocprim17ROCPRIM_400000_NS6detail17trampoline_kernelINS0_14default_configENS1_27scan_by_key_config_selectorIj11FixedVectorIiLj2EEEEZZNS1_16scan_by_key_implILNS1_25lookback_scan_determinismE0ELb1ES3_N6thrust23THRUST_200600_302600_NS6detail15normal_iteratorINSB_10device_ptrIjEEEENSD_INSE_IS6_EEEESI_S6_NSB_4plusIvEENSB_8equal_toIvEES6_EE10hipError_tPvRmT2_T3_T4_T5_mT6_T7_P12ihipStream_tbENKUlT_T0_E_clISt17integral_constantIbLb1EES12_IbLb0EEEEDaSY_SZ_EUlSY_E_NS1_11comp_targetILNS1_3genE0ELNS1_11target_archE4294967295ELNS1_3gpuE0ELNS1_3repE0EEENS1_30default_config_static_selectorELNS0_4arch9wavefront6targetE1EEEvT1_
; %bb.0:
	.section	.rodata,"a",@progbits
	.p2align	6, 0x0
	.amdhsa_kernel _ZN7rocprim17ROCPRIM_400000_NS6detail17trampoline_kernelINS0_14default_configENS1_27scan_by_key_config_selectorIj11FixedVectorIiLj2EEEEZZNS1_16scan_by_key_implILNS1_25lookback_scan_determinismE0ELb1ES3_N6thrust23THRUST_200600_302600_NS6detail15normal_iteratorINSB_10device_ptrIjEEEENSD_INSE_IS6_EEEESI_S6_NSB_4plusIvEENSB_8equal_toIvEES6_EE10hipError_tPvRmT2_T3_T4_T5_mT6_T7_P12ihipStream_tbENKUlT_T0_E_clISt17integral_constantIbLb1EES12_IbLb0EEEEDaSY_SZ_EUlSY_E_NS1_11comp_targetILNS1_3genE0ELNS1_11target_archE4294967295ELNS1_3gpuE0ELNS1_3repE0EEENS1_30default_config_static_selectorELNS0_4arch9wavefront6targetE1EEEvT1_
		.amdhsa_group_segment_fixed_size 0
		.amdhsa_private_segment_fixed_size 0
		.amdhsa_kernarg_size 120
		.amdhsa_user_sgpr_count 2
		.amdhsa_user_sgpr_dispatch_ptr 0
		.amdhsa_user_sgpr_queue_ptr 0
		.amdhsa_user_sgpr_kernarg_segment_ptr 1
		.amdhsa_user_sgpr_dispatch_id 0
		.amdhsa_user_sgpr_kernarg_preload_length 0
		.amdhsa_user_sgpr_kernarg_preload_offset 0
		.amdhsa_user_sgpr_private_segment_size 0
		.amdhsa_uses_dynamic_stack 0
		.amdhsa_enable_private_segment 0
		.amdhsa_system_sgpr_workgroup_id_x 1
		.amdhsa_system_sgpr_workgroup_id_y 0
		.amdhsa_system_sgpr_workgroup_id_z 0
		.amdhsa_system_sgpr_workgroup_info 0
		.amdhsa_system_vgpr_workitem_id 0
		.amdhsa_next_free_vgpr 1
		.amdhsa_next_free_sgpr 0
		.amdhsa_accum_offset 4
		.amdhsa_reserve_vcc 0
		.amdhsa_float_round_mode_32 0
		.amdhsa_float_round_mode_16_64 0
		.amdhsa_float_denorm_mode_32 3
		.amdhsa_float_denorm_mode_16_64 3
		.amdhsa_dx10_clamp 1
		.amdhsa_ieee_mode 1
		.amdhsa_fp16_overflow 0
		.amdhsa_tg_split 0
		.amdhsa_exception_fp_ieee_invalid_op 0
		.amdhsa_exception_fp_denorm_src 0
		.amdhsa_exception_fp_ieee_div_zero 0
		.amdhsa_exception_fp_ieee_overflow 0
		.amdhsa_exception_fp_ieee_underflow 0
		.amdhsa_exception_fp_ieee_inexact 0
		.amdhsa_exception_int_div_zero 0
	.end_amdhsa_kernel
	.section	.text._ZN7rocprim17ROCPRIM_400000_NS6detail17trampoline_kernelINS0_14default_configENS1_27scan_by_key_config_selectorIj11FixedVectorIiLj2EEEEZZNS1_16scan_by_key_implILNS1_25lookback_scan_determinismE0ELb1ES3_N6thrust23THRUST_200600_302600_NS6detail15normal_iteratorINSB_10device_ptrIjEEEENSD_INSE_IS6_EEEESI_S6_NSB_4plusIvEENSB_8equal_toIvEES6_EE10hipError_tPvRmT2_T3_T4_T5_mT6_T7_P12ihipStream_tbENKUlT_T0_E_clISt17integral_constantIbLb1EES12_IbLb0EEEEDaSY_SZ_EUlSY_E_NS1_11comp_targetILNS1_3genE0ELNS1_11target_archE4294967295ELNS1_3gpuE0ELNS1_3repE0EEENS1_30default_config_static_selectorELNS0_4arch9wavefront6targetE1EEEvT1_,"axG",@progbits,_ZN7rocprim17ROCPRIM_400000_NS6detail17trampoline_kernelINS0_14default_configENS1_27scan_by_key_config_selectorIj11FixedVectorIiLj2EEEEZZNS1_16scan_by_key_implILNS1_25lookback_scan_determinismE0ELb1ES3_N6thrust23THRUST_200600_302600_NS6detail15normal_iteratorINSB_10device_ptrIjEEEENSD_INSE_IS6_EEEESI_S6_NSB_4plusIvEENSB_8equal_toIvEES6_EE10hipError_tPvRmT2_T3_T4_T5_mT6_T7_P12ihipStream_tbENKUlT_T0_E_clISt17integral_constantIbLb1EES12_IbLb0EEEEDaSY_SZ_EUlSY_E_NS1_11comp_targetILNS1_3genE0ELNS1_11target_archE4294967295ELNS1_3gpuE0ELNS1_3repE0EEENS1_30default_config_static_selectorELNS0_4arch9wavefront6targetE1EEEvT1_,comdat
.Lfunc_end2011:
	.size	_ZN7rocprim17ROCPRIM_400000_NS6detail17trampoline_kernelINS0_14default_configENS1_27scan_by_key_config_selectorIj11FixedVectorIiLj2EEEEZZNS1_16scan_by_key_implILNS1_25lookback_scan_determinismE0ELb1ES3_N6thrust23THRUST_200600_302600_NS6detail15normal_iteratorINSB_10device_ptrIjEEEENSD_INSE_IS6_EEEESI_S6_NSB_4plusIvEENSB_8equal_toIvEES6_EE10hipError_tPvRmT2_T3_T4_T5_mT6_T7_P12ihipStream_tbENKUlT_T0_E_clISt17integral_constantIbLb1EES12_IbLb0EEEEDaSY_SZ_EUlSY_E_NS1_11comp_targetILNS1_3genE0ELNS1_11target_archE4294967295ELNS1_3gpuE0ELNS1_3repE0EEENS1_30default_config_static_selectorELNS0_4arch9wavefront6targetE1EEEvT1_, .Lfunc_end2011-_ZN7rocprim17ROCPRIM_400000_NS6detail17trampoline_kernelINS0_14default_configENS1_27scan_by_key_config_selectorIj11FixedVectorIiLj2EEEEZZNS1_16scan_by_key_implILNS1_25lookback_scan_determinismE0ELb1ES3_N6thrust23THRUST_200600_302600_NS6detail15normal_iteratorINSB_10device_ptrIjEEEENSD_INSE_IS6_EEEESI_S6_NSB_4plusIvEENSB_8equal_toIvEES6_EE10hipError_tPvRmT2_T3_T4_T5_mT6_T7_P12ihipStream_tbENKUlT_T0_E_clISt17integral_constantIbLb1EES12_IbLb0EEEEDaSY_SZ_EUlSY_E_NS1_11comp_targetILNS1_3genE0ELNS1_11target_archE4294967295ELNS1_3gpuE0ELNS1_3repE0EEENS1_30default_config_static_selectorELNS0_4arch9wavefront6targetE1EEEvT1_
                                        ; -- End function
	.section	.AMDGPU.csdata,"",@progbits
; Kernel info:
; codeLenInByte = 0
; NumSgprs: 6
; NumVgprs: 0
; NumAgprs: 0
; TotalNumVgprs: 0
; ScratchSize: 0
; MemoryBound: 0
; FloatMode: 240
; IeeeMode: 1
; LDSByteSize: 0 bytes/workgroup (compile time only)
; SGPRBlocks: 0
; VGPRBlocks: 0
; NumSGPRsForWavesPerEU: 6
; NumVGPRsForWavesPerEU: 1
; AccumOffset: 4
; Occupancy: 8
; WaveLimiterHint : 0
; COMPUTE_PGM_RSRC2:SCRATCH_EN: 0
; COMPUTE_PGM_RSRC2:USER_SGPR: 2
; COMPUTE_PGM_RSRC2:TRAP_HANDLER: 0
; COMPUTE_PGM_RSRC2:TGID_X_EN: 1
; COMPUTE_PGM_RSRC2:TGID_Y_EN: 0
; COMPUTE_PGM_RSRC2:TGID_Z_EN: 0
; COMPUTE_PGM_RSRC2:TIDIG_COMP_CNT: 0
; COMPUTE_PGM_RSRC3_GFX90A:ACCUM_OFFSET: 0
; COMPUTE_PGM_RSRC3_GFX90A:TG_SPLIT: 0
	.section	.text._ZN7rocprim17ROCPRIM_400000_NS6detail17trampoline_kernelINS0_14default_configENS1_27scan_by_key_config_selectorIj11FixedVectorIiLj2EEEEZZNS1_16scan_by_key_implILNS1_25lookback_scan_determinismE0ELb1ES3_N6thrust23THRUST_200600_302600_NS6detail15normal_iteratorINSB_10device_ptrIjEEEENSD_INSE_IS6_EEEESI_S6_NSB_4plusIvEENSB_8equal_toIvEES6_EE10hipError_tPvRmT2_T3_T4_T5_mT6_T7_P12ihipStream_tbENKUlT_T0_E_clISt17integral_constantIbLb1EES12_IbLb0EEEEDaSY_SZ_EUlSY_E_NS1_11comp_targetILNS1_3genE10ELNS1_11target_archE1201ELNS1_3gpuE5ELNS1_3repE0EEENS1_30default_config_static_selectorELNS0_4arch9wavefront6targetE1EEEvT1_,"axG",@progbits,_ZN7rocprim17ROCPRIM_400000_NS6detail17trampoline_kernelINS0_14default_configENS1_27scan_by_key_config_selectorIj11FixedVectorIiLj2EEEEZZNS1_16scan_by_key_implILNS1_25lookback_scan_determinismE0ELb1ES3_N6thrust23THRUST_200600_302600_NS6detail15normal_iteratorINSB_10device_ptrIjEEEENSD_INSE_IS6_EEEESI_S6_NSB_4plusIvEENSB_8equal_toIvEES6_EE10hipError_tPvRmT2_T3_T4_T5_mT6_T7_P12ihipStream_tbENKUlT_T0_E_clISt17integral_constantIbLb1EES12_IbLb0EEEEDaSY_SZ_EUlSY_E_NS1_11comp_targetILNS1_3genE10ELNS1_11target_archE1201ELNS1_3gpuE5ELNS1_3repE0EEENS1_30default_config_static_selectorELNS0_4arch9wavefront6targetE1EEEvT1_,comdat
	.protected	_ZN7rocprim17ROCPRIM_400000_NS6detail17trampoline_kernelINS0_14default_configENS1_27scan_by_key_config_selectorIj11FixedVectorIiLj2EEEEZZNS1_16scan_by_key_implILNS1_25lookback_scan_determinismE0ELb1ES3_N6thrust23THRUST_200600_302600_NS6detail15normal_iteratorINSB_10device_ptrIjEEEENSD_INSE_IS6_EEEESI_S6_NSB_4plusIvEENSB_8equal_toIvEES6_EE10hipError_tPvRmT2_T3_T4_T5_mT6_T7_P12ihipStream_tbENKUlT_T0_E_clISt17integral_constantIbLb1EES12_IbLb0EEEEDaSY_SZ_EUlSY_E_NS1_11comp_targetILNS1_3genE10ELNS1_11target_archE1201ELNS1_3gpuE5ELNS1_3repE0EEENS1_30default_config_static_selectorELNS0_4arch9wavefront6targetE1EEEvT1_ ; -- Begin function _ZN7rocprim17ROCPRIM_400000_NS6detail17trampoline_kernelINS0_14default_configENS1_27scan_by_key_config_selectorIj11FixedVectorIiLj2EEEEZZNS1_16scan_by_key_implILNS1_25lookback_scan_determinismE0ELb1ES3_N6thrust23THRUST_200600_302600_NS6detail15normal_iteratorINSB_10device_ptrIjEEEENSD_INSE_IS6_EEEESI_S6_NSB_4plusIvEENSB_8equal_toIvEES6_EE10hipError_tPvRmT2_T3_T4_T5_mT6_T7_P12ihipStream_tbENKUlT_T0_E_clISt17integral_constantIbLb1EES12_IbLb0EEEEDaSY_SZ_EUlSY_E_NS1_11comp_targetILNS1_3genE10ELNS1_11target_archE1201ELNS1_3gpuE5ELNS1_3repE0EEENS1_30default_config_static_selectorELNS0_4arch9wavefront6targetE1EEEvT1_
	.globl	_ZN7rocprim17ROCPRIM_400000_NS6detail17trampoline_kernelINS0_14default_configENS1_27scan_by_key_config_selectorIj11FixedVectorIiLj2EEEEZZNS1_16scan_by_key_implILNS1_25lookback_scan_determinismE0ELb1ES3_N6thrust23THRUST_200600_302600_NS6detail15normal_iteratorINSB_10device_ptrIjEEEENSD_INSE_IS6_EEEESI_S6_NSB_4plusIvEENSB_8equal_toIvEES6_EE10hipError_tPvRmT2_T3_T4_T5_mT6_T7_P12ihipStream_tbENKUlT_T0_E_clISt17integral_constantIbLb1EES12_IbLb0EEEEDaSY_SZ_EUlSY_E_NS1_11comp_targetILNS1_3genE10ELNS1_11target_archE1201ELNS1_3gpuE5ELNS1_3repE0EEENS1_30default_config_static_selectorELNS0_4arch9wavefront6targetE1EEEvT1_
	.p2align	8
	.type	_ZN7rocprim17ROCPRIM_400000_NS6detail17trampoline_kernelINS0_14default_configENS1_27scan_by_key_config_selectorIj11FixedVectorIiLj2EEEEZZNS1_16scan_by_key_implILNS1_25lookback_scan_determinismE0ELb1ES3_N6thrust23THRUST_200600_302600_NS6detail15normal_iteratorINSB_10device_ptrIjEEEENSD_INSE_IS6_EEEESI_S6_NSB_4plusIvEENSB_8equal_toIvEES6_EE10hipError_tPvRmT2_T3_T4_T5_mT6_T7_P12ihipStream_tbENKUlT_T0_E_clISt17integral_constantIbLb1EES12_IbLb0EEEEDaSY_SZ_EUlSY_E_NS1_11comp_targetILNS1_3genE10ELNS1_11target_archE1201ELNS1_3gpuE5ELNS1_3repE0EEENS1_30default_config_static_selectorELNS0_4arch9wavefront6targetE1EEEvT1_,@function
_ZN7rocprim17ROCPRIM_400000_NS6detail17trampoline_kernelINS0_14default_configENS1_27scan_by_key_config_selectorIj11FixedVectorIiLj2EEEEZZNS1_16scan_by_key_implILNS1_25lookback_scan_determinismE0ELb1ES3_N6thrust23THRUST_200600_302600_NS6detail15normal_iteratorINSB_10device_ptrIjEEEENSD_INSE_IS6_EEEESI_S6_NSB_4plusIvEENSB_8equal_toIvEES6_EE10hipError_tPvRmT2_T3_T4_T5_mT6_T7_P12ihipStream_tbENKUlT_T0_E_clISt17integral_constantIbLb1EES12_IbLb0EEEEDaSY_SZ_EUlSY_E_NS1_11comp_targetILNS1_3genE10ELNS1_11target_archE1201ELNS1_3gpuE5ELNS1_3repE0EEENS1_30default_config_static_selectorELNS0_4arch9wavefront6targetE1EEEvT1_: ; @_ZN7rocprim17ROCPRIM_400000_NS6detail17trampoline_kernelINS0_14default_configENS1_27scan_by_key_config_selectorIj11FixedVectorIiLj2EEEEZZNS1_16scan_by_key_implILNS1_25lookback_scan_determinismE0ELb1ES3_N6thrust23THRUST_200600_302600_NS6detail15normal_iteratorINSB_10device_ptrIjEEEENSD_INSE_IS6_EEEESI_S6_NSB_4plusIvEENSB_8equal_toIvEES6_EE10hipError_tPvRmT2_T3_T4_T5_mT6_T7_P12ihipStream_tbENKUlT_T0_E_clISt17integral_constantIbLb1EES12_IbLb0EEEEDaSY_SZ_EUlSY_E_NS1_11comp_targetILNS1_3genE10ELNS1_11target_archE1201ELNS1_3gpuE5ELNS1_3repE0EEENS1_30default_config_static_selectorELNS0_4arch9wavefront6targetE1EEEvT1_
; %bb.0:
	.section	.rodata,"a",@progbits
	.p2align	6, 0x0
	.amdhsa_kernel _ZN7rocprim17ROCPRIM_400000_NS6detail17trampoline_kernelINS0_14default_configENS1_27scan_by_key_config_selectorIj11FixedVectorIiLj2EEEEZZNS1_16scan_by_key_implILNS1_25lookback_scan_determinismE0ELb1ES3_N6thrust23THRUST_200600_302600_NS6detail15normal_iteratorINSB_10device_ptrIjEEEENSD_INSE_IS6_EEEESI_S6_NSB_4plusIvEENSB_8equal_toIvEES6_EE10hipError_tPvRmT2_T3_T4_T5_mT6_T7_P12ihipStream_tbENKUlT_T0_E_clISt17integral_constantIbLb1EES12_IbLb0EEEEDaSY_SZ_EUlSY_E_NS1_11comp_targetILNS1_3genE10ELNS1_11target_archE1201ELNS1_3gpuE5ELNS1_3repE0EEENS1_30default_config_static_selectorELNS0_4arch9wavefront6targetE1EEEvT1_
		.amdhsa_group_segment_fixed_size 0
		.amdhsa_private_segment_fixed_size 0
		.amdhsa_kernarg_size 120
		.amdhsa_user_sgpr_count 2
		.amdhsa_user_sgpr_dispatch_ptr 0
		.amdhsa_user_sgpr_queue_ptr 0
		.amdhsa_user_sgpr_kernarg_segment_ptr 1
		.amdhsa_user_sgpr_dispatch_id 0
		.amdhsa_user_sgpr_kernarg_preload_length 0
		.amdhsa_user_sgpr_kernarg_preload_offset 0
		.amdhsa_user_sgpr_private_segment_size 0
		.amdhsa_uses_dynamic_stack 0
		.amdhsa_enable_private_segment 0
		.amdhsa_system_sgpr_workgroup_id_x 1
		.amdhsa_system_sgpr_workgroup_id_y 0
		.amdhsa_system_sgpr_workgroup_id_z 0
		.amdhsa_system_sgpr_workgroup_info 0
		.amdhsa_system_vgpr_workitem_id 0
		.amdhsa_next_free_vgpr 1
		.amdhsa_next_free_sgpr 0
		.amdhsa_accum_offset 4
		.amdhsa_reserve_vcc 0
		.amdhsa_float_round_mode_32 0
		.amdhsa_float_round_mode_16_64 0
		.amdhsa_float_denorm_mode_32 3
		.amdhsa_float_denorm_mode_16_64 3
		.amdhsa_dx10_clamp 1
		.amdhsa_ieee_mode 1
		.amdhsa_fp16_overflow 0
		.amdhsa_tg_split 0
		.amdhsa_exception_fp_ieee_invalid_op 0
		.amdhsa_exception_fp_denorm_src 0
		.amdhsa_exception_fp_ieee_div_zero 0
		.amdhsa_exception_fp_ieee_overflow 0
		.amdhsa_exception_fp_ieee_underflow 0
		.amdhsa_exception_fp_ieee_inexact 0
		.amdhsa_exception_int_div_zero 0
	.end_amdhsa_kernel
	.section	.text._ZN7rocprim17ROCPRIM_400000_NS6detail17trampoline_kernelINS0_14default_configENS1_27scan_by_key_config_selectorIj11FixedVectorIiLj2EEEEZZNS1_16scan_by_key_implILNS1_25lookback_scan_determinismE0ELb1ES3_N6thrust23THRUST_200600_302600_NS6detail15normal_iteratorINSB_10device_ptrIjEEEENSD_INSE_IS6_EEEESI_S6_NSB_4plusIvEENSB_8equal_toIvEES6_EE10hipError_tPvRmT2_T3_T4_T5_mT6_T7_P12ihipStream_tbENKUlT_T0_E_clISt17integral_constantIbLb1EES12_IbLb0EEEEDaSY_SZ_EUlSY_E_NS1_11comp_targetILNS1_3genE10ELNS1_11target_archE1201ELNS1_3gpuE5ELNS1_3repE0EEENS1_30default_config_static_selectorELNS0_4arch9wavefront6targetE1EEEvT1_,"axG",@progbits,_ZN7rocprim17ROCPRIM_400000_NS6detail17trampoline_kernelINS0_14default_configENS1_27scan_by_key_config_selectorIj11FixedVectorIiLj2EEEEZZNS1_16scan_by_key_implILNS1_25lookback_scan_determinismE0ELb1ES3_N6thrust23THRUST_200600_302600_NS6detail15normal_iteratorINSB_10device_ptrIjEEEENSD_INSE_IS6_EEEESI_S6_NSB_4plusIvEENSB_8equal_toIvEES6_EE10hipError_tPvRmT2_T3_T4_T5_mT6_T7_P12ihipStream_tbENKUlT_T0_E_clISt17integral_constantIbLb1EES12_IbLb0EEEEDaSY_SZ_EUlSY_E_NS1_11comp_targetILNS1_3genE10ELNS1_11target_archE1201ELNS1_3gpuE5ELNS1_3repE0EEENS1_30default_config_static_selectorELNS0_4arch9wavefront6targetE1EEEvT1_,comdat
.Lfunc_end2012:
	.size	_ZN7rocprim17ROCPRIM_400000_NS6detail17trampoline_kernelINS0_14default_configENS1_27scan_by_key_config_selectorIj11FixedVectorIiLj2EEEEZZNS1_16scan_by_key_implILNS1_25lookback_scan_determinismE0ELb1ES3_N6thrust23THRUST_200600_302600_NS6detail15normal_iteratorINSB_10device_ptrIjEEEENSD_INSE_IS6_EEEESI_S6_NSB_4plusIvEENSB_8equal_toIvEES6_EE10hipError_tPvRmT2_T3_T4_T5_mT6_T7_P12ihipStream_tbENKUlT_T0_E_clISt17integral_constantIbLb1EES12_IbLb0EEEEDaSY_SZ_EUlSY_E_NS1_11comp_targetILNS1_3genE10ELNS1_11target_archE1201ELNS1_3gpuE5ELNS1_3repE0EEENS1_30default_config_static_selectorELNS0_4arch9wavefront6targetE1EEEvT1_, .Lfunc_end2012-_ZN7rocprim17ROCPRIM_400000_NS6detail17trampoline_kernelINS0_14default_configENS1_27scan_by_key_config_selectorIj11FixedVectorIiLj2EEEEZZNS1_16scan_by_key_implILNS1_25lookback_scan_determinismE0ELb1ES3_N6thrust23THRUST_200600_302600_NS6detail15normal_iteratorINSB_10device_ptrIjEEEENSD_INSE_IS6_EEEESI_S6_NSB_4plusIvEENSB_8equal_toIvEES6_EE10hipError_tPvRmT2_T3_T4_T5_mT6_T7_P12ihipStream_tbENKUlT_T0_E_clISt17integral_constantIbLb1EES12_IbLb0EEEEDaSY_SZ_EUlSY_E_NS1_11comp_targetILNS1_3genE10ELNS1_11target_archE1201ELNS1_3gpuE5ELNS1_3repE0EEENS1_30default_config_static_selectorELNS0_4arch9wavefront6targetE1EEEvT1_
                                        ; -- End function
	.section	.AMDGPU.csdata,"",@progbits
; Kernel info:
; codeLenInByte = 0
; NumSgprs: 6
; NumVgprs: 0
; NumAgprs: 0
; TotalNumVgprs: 0
; ScratchSize: 0
; MemoryBound: 0
; FloatMode: 240
; IeeeMode: 1
; LDSByteSize: 0 bytes/workgroup (compile time only)
; SGPRBlocks: 0
; VGPRBlocks: 0
; NumSGPRsForWavesPerEU: 6
; NumVGPRsForWavesPerEU: 1
; AccumOffset: 4
; Occupancy: 8
; WaveLimiterHint : 0
; COMPUTE_PGM_RSRC2:SCRATCH_EN: 0
; COMPUTE_PGM_RSRC2:USER_SGPR: 2
; COMPUTE_PGM_RSRC2:TRAP_HANDLER: 0
; COMPUTE_PGM_RSRC2:TGID_X_EN: 1
; COMPUTE_PGM_RSRC2:TGID_Y_EN: 0
; COMPUTE_PGM_RSRC2:TGID_Z_EN: 0
; COMPUTE_PGM_RSRC2:TIDIG_COMP_CNT: 0
; COMPUTE_PGM_RSRC3_GFX90A:ACCUM_OFFSET: 0
; COMPUTE_PGM_RSRC3_GFX90A:TG_SPLIT: 0
	.section	.text._ZN7rocprim17ROCPRIM_400000_NS6detail17trampoline_kernelINS0_14default_configENS1_27scan_by_key_config_selectorIj11FixedVectorIiLj2EEEEZZNS1_16scan_by_key_implILNS1_25lookback_scan_determinismE0ELb1ES3_N6thrust23THRUST_200600_302600_NS6detail15normal_iteratorINSB_10device_ptrIjEEEENSD_INSE_IS6_EEEESI_S6_NSB_4plusIvEENSB_8equal_toIvEES6_EE10hipError_tPvRmT2_T3_T4_T5_mT6_T7_P12ihipStream_tbENKUlT_T0_E_clISt17integral_constantIbLb1EES12_IbLb0EEEEDaSY_SZ_EUlSY_E_NS1_11comp_targetILNS1_3genE5ELNS1_11target_archE942ELNS1_3gpuE9ELNS1_3repE0EEENS1_30default_config_static_selectorELNS0_4arch9wavefront6targetE1EEEvT1_,"axG",@progbits,_ZN7rocprim17ROCPRIM_400000_NS6detail17trampoline_kernelINS0_14default_configENS1_27scan_by_key_config_selectorIj11FixedVectorIiLj2EEEEZZNS1_16scan_by_key_implILNS1_25lookback_scan_determinismE0ELb1ES3_N6thrust23THRUST_200600_302600_NS6detail15normal_iteratorINSB_10device_ptrIjEEEENSD_INSE_IS6_EEEESI_S6_NSB_4plusIvEENSB_8equal_toIvEES6_EE10hipError_tPvRmT2_T3_T4_T5_mT6_T7_P12ihipStream_tbENKUlT_T0_E_clISt17integral_constantIbLb1EES12_IbLb0EEEEDaSY_SZ_EUlSY_E_NS1_11comp_targetILNS1_3genE5ELNS1_11target_archE942ELNS1_3gpuE9ELNS1_3repE0EEENS1_30default_config_static_selectorELNS0_4arch9wavefront6targetE1EEEvT1_,comdat
	.protected	_ZN7rocprim17ROCPRIM_400000_NS6detail17trampoline_kernelINS0_14default_configENS1_27scan_by_key_config_selectorIj11FixedVectorIiLj2EEEEZZNS1_16scan_by_key_implILNS1_25lookback_scan_determinismE0ELb1ES3_N6thrust23THRUST_200600_302600_NS6detail15normal_iteratorINSB_10device_ptrIjEEEENSD_INSE_IS6_EEEESI_S6_NSB_4plusIvEENSB_8equal_toIvEES6_EE10hipError_tPvRmT2_T3_T4_T5_mT6_T7_P12ihipStream_tbENKUlT_T0_E_clISt17integral_constantIbLb1EES12_IbLb0EEEEDaSY_SZ_EUlSY_E_NS1_11comp_targetILNS1_3genE5ELNS1_11target_archE942ELNS1_3gpuE9ELNS1_3repE0EEENS1_30default_config_static_selectorELNS0_4arch9wavefront6targetE1EEEvT1_ ; -- Begin function _ZN7rocprim17ROCPRIM_400000_NS6detail17trampoline_kernelINS0_14default_configENS1_27scan_by_key_config_selectorIj11FixedVectorIiLj2EEEEZZNS1_16scan_by_key_implILNS1_25lookback_scan_determinismE0ELb1ES3_N6thrust23THRUST_200600_302600_NS6detail15normal_iteratorINSB_10device_ptrIjEEEENSD_INSE_IS6_EEEESI_S6_NSB_4plusIvEENSB_8equal_toIvEES6_EE10hipError_tPvRmT2_T3_T4_T5_mT6_T7_P12ihipStream_tbENKUlT_T0_E_clISt17integral_constantIbLb1EES12_IbLb0EEEEDaSY_SZ_EUlSY_E_NS1_11comp_targetILNS1_3genE5ELNS1_11target_archE942ELNS1_3gpuE9ELNS1_3repE0EEENS1_30default_config_static_selectorELNS0_4arch9wavefront6targetE1EEEvT1_
	.globl	_ZN7rocprim17ROCPRIM_400000_NS6detail17trampoline_kernelINS0_14default_configENS1_27scan_by_key_config_selectorIj11FixedVectorIiLj2EEEEZZNS1_16scan_by_key_implILNS1_25lookback_scan_determinismE0ELb1ES3_N6thrust23THRUST_200600_302600_NS6detail15normal_iteratorINSB_10device_ptrIjEEEENSD_INSE_IS6_EEEESI_S6_NSB_4plusIvEENSB_8equal_toIvEES6_EE10hipError_tPvRmT2_T3_T4_T5_mT6_T7_P12ihipStream_tbENKUlT_T0_E_clISt17integral_constantIbLb1EES12_IbLb0EEEEDaSY_SZ_EUlSY_E_NS1_11comp_targetILNS1_3genE5ELNS1_11target_archE942ELNS1_3gpuE9ELNS1_3repE0EEENS1_30default_config_static_selectorELNS0_4arch9wavefront6targetE1EEEvT1_
	.p2align	8
	.type	_ZN7rocprim17ROCPRIM_400000_NS6detail17trampoline_kernelINS0_14default_configENS1_27scan_by_key_config_selectorIj11FixedVectorIiLj2EEEEZZNS1_16scan_by_key_implILNS1_25lookback_scan_determinismE0ELb1ES3_N6thrust23THRUST_200600_302600_NS6detail15normal_iteratorINSB_10device_ptrIjEEEENSD_INSE_IS6_EEEESI_S6_NSB_4plusIvEENSB_8equal_toIvEES6_EE10hipError_tPvRmT2_T3_T4_T5_mT6_T7_P12ihipStream_tbENKUlT_T0_E_clISt17integral_constantIbLb1EES12_IbLb0EEEEDaSY_SZ_EUlSY_E_NS1_11comp_targetILNS1_3genE5ELNS1_11target_archE942ELNS1_3gpuE9ELNS1_3repE0EEENS1_30default_config_static_selectorELNS0_4arch9wavefront6targetE1EEEvT1_,@function
_ZN7rocprim17ROCPRIM_400000_NS6detail17trampoline_kernelINS0_14default_configENS1_27scan_by_key_config_selectorIj11FixedVectorIiLj2EEEEZZNS1_16scan_by_key_implILNS1_25lookback_scan_determinismE0ELb1ES3_N6thrust23THRUST_200600_302600_NS6detail15normal_iteratorINSB_10device_ptrIjEEEENSD_INSE_IS6_EEEESI_S6_NSB_4plusIvEENSB_8equal_toIvEES6_EE10hipError_tPvRmT2_T3_T4_T5_mT6_T7_P12ihipStream_tbENKUlT_T0_E_clISt17integral_constantIbLb1EES12_IbLb0EEEEDaSY_SZ_EUlSY_E_NS1_11comp_targetILNS1_3genE5ELNS1_11target_archE942ELNS1_3gpuE9ELNS1_3repE0EEENS1_30default_config_static_selectorELNS0_4arch9wavefront6targetE1EEEvT1_: ; @_ZN7rocprim17ROCPRIM_400000_NS6detail17trampoline_kernelINS0_14default_configENS1_27scan_by_key_config_selectorIj11FixedVectorIiLj2EEEEZZNS1_16scan_by_key_implILNS1_25lookback_scan_determinismE0ELb1ES3_N6thrust23THRUST_200600_302600_NS6detail15normal_iteratorINSB_10device_ptrIjEEEENSD_INSE_IS6_EEEESI_S6_NSB_4plusIvEENSB_8equal_toIvEES6_EE10hipError_tPvRmT2_T3_T4_T5_mT6_T7_P12ihipStream_tbENKUlT_T0_E_clISt17integral_constantIbLb1EES12_IbLb0EEEEDaSY_SZ_EUlSY_E_NS1_11comp_targetILNS1_3genE5ELNS1_11target_archE942ELNS1_3gpuE9ELNS1_3repE0EEENS1_30default_config_static_selectorELNS0_4arch9wavefront6targetE1EEEvT1_
; %bb.0:
	s_load_dwordx8 s[44:51], s[0:1], 0x0
	s_load_dwordx2 s[62:63], s[0:1], 0x20
	s_load_dwordx4 s[52:55], s[0:1], 0x30
	s_load_dwordx2 s[64:65], s[0:1], 0x40
	s_load_dword s3, s[0:1], 0x48
	s_load_dwordx4 s[56:59], s[0:1], 0x50
	s_waitcnt lgkmcnt(0)
	s_lshl_b64 s[0:1], s[46:47], 2
	s_add_u32 s6, s44, s0
	s_addc_u32 s7, s45, s1
	s_lshl_b64 s[60:61], s[46:47], 3
	s_add_u32 s8, s48, s60
	s_mul_i32 s0, s65, s3
	s_mul_hi_u32 s1, s64, s3
	s_addc_u32 s9, s49, s61
	s_add_i32 s10, s1, s0
	s_mul_i32 s0, s2, 0x1500
	s_mov_b32 s1, 0
	s_lshl_b64 s[4:5], s[0:1], 2
	s_add_u32 s68, s6, s4
	s_addc_u32 s69, s7, s5
	s_lshl_b64 s[48:49], s[0:1], 3
	s_add_u32 s66, s8, s48
	s_mul_i32 s3, s64, s3
	s_addc_u32 s67, s9, s49
	s_add_u32 s0, s3, s2
	s_addc_u32 s1, s10, 0
	s_add_u32 s6, s56, -1
	s_addc_u32 s7, s57, -1
	v_mov_b64_e32 v[2:3], s[6:7]
	v_cmp_ge_u64_e64 s[0:1], s[0:1], v[2:3]
	s_mov_b64 s[4:5], -1
	s_and_b64 vcc, exec, s[0:1]
	s_mul_i32 s33, s6, 0xffffeb00
	s_barrier
	s_cbranch_vccz .LBB2013_130
; %bb.1:
	v_mov_b64_e32 v[2:3], s[68:69]
	flat_load_dword v1, v[2:3]
	s_add_i32 s55, s33, s54
	v_cmp_gt_u32_e64 s[42:43], s55, v0
	s_waitcnt vmcnt(0) lgkmcnt(0)
	v_mov_b32_e32 v4, v1
	s_and_saveexec_b64 s[4:5], s[42:43]
	s_cbranch_execz .LBB2013_3
; %bb.2:
	v_lshlrev_b32_e32 v2, 2, v0
	v_mov_b32_e32 v3, 0
	v_lshl_add_u64 v[2:3], s[68:69], 0, v[2:3]
	flat_load_dword v4, v[2:3]
.LBB2013_3:
	s_or_b64 exec, exec, s[4:5]
	v_or_b32_e32 v2, 0x100, v0
	v_cmp_gt_u32_e64 s[40:41], s55, v2
	v_mov_b32_e32 v5, v1
	s_and_saveexec_b64 s[4:5], s[40:41]
	s_cbranch_execz .LBB2013_5
; %bb.4:
	v_lshlrev_b32_e32 v2, 2, v0
	v_mov_b32_e32 v3, 0
	v_lshl_add_u64 v[2:3], s[68:69], 0, v[2:3]
	flat_load_dword v5, v[2:3] offset:1024
.LBB2013_5:
	s_or_b64 exec, exec, s[4:5]
	v_or_b32_e32 v27, 0x200, v0
	v_cmp_gt_u32_e64 s[38:39], s55, v27
	v_mov_b32_e32 v6, v1
	s_and_saveexec_b64 s[4:5], s[38:39]
	s_cbranch_execz .LBB2013_7
; %bb.6:
	v_lshlrev_b32_e32 v2, 2, v0
	v_mov_b32_e32 v3, 0
	v_lshl_add_u64 v[2:3], s[68:69], 0, v[2:3]
	flat_load_dword v6, v[2:3] offset:2048
.LBB2013_7:
	;; [unrolled: 12-line block ×3, first 2 shown]
	s_or_b64 exec, exec, s[4:5]
	v_or_b32_e32 v31, 0x400, v0
	v_cmp_gt_u32_e64 s[34:35], s55, v31
	v_mov_b32_e32 v8, v1
	s_and_saveexec_b64 s[4:5], s[34:35]
	s_cbranch_execz .LBB2013_11
; %bb.10:
	v_lshlrev_b32_e32 v2, 2, v31
	v_mov_b32_e32 v3, 0
	v_lshl_add_u64 v[2:3], s[68:69], 0, v[2:3]
	flat_load_dword v8, v[2:3]
.LBB2013_11:
	s_or_b64 exec, exec, s[4:5]
	v_or_b32_e32 v34, 0x500, v0
	v_cmp_gt_u32_e64 s[30:31], s55, v34
	v_mov_b32_e32 v9, v1
	s_and_saveexec_b64 s[4:5], s[30:31]
	s_cbranch_execz .LBB2013_13
; %bb.12:
	v_lshlrev_b32_e32 v2, 2, v34
	v_mov_b32_e32 v3, 0
	v_lshl_add_u64 v[2:3], s[68:69], 0, v[2:3]
	flat_load_dword v9, v[2:3]
.LBB2013_13:
	;; [unrolled: 12-line block ×16, first 2 shown]
	s_or_b64 exec, exec, s[46:47]
	v_or_b32_e32 v65, 0x1400, v0
	v_cmp_gt_u32_e32 vcc, s55, v65
	v_mov_b32_e32 v3, 0
	s_and_saveexec_b64 s[46:47], vcc
	s_cbranch_execz .LBB2013_43
; %bb.42:
	v_lshlrev_b32_e32 v2, 2, v65
	v_lshl_add_u64 v[2:3], s[68:69], 0, v[2:3]
	flat_load_dword v1, v[2:3]
.LBB2013_43:
	s_or_b64 exec, exec, s[46:47]
	v_lshlrev_b32_e32 v2, 2, v0
	s_waitcnt vmcnt(0) lgkmcnt(0)
	ds_write2st64_b32 v2, v4, v5 offset1:4
	ds_write2st64_b32 v2, v6, v7 offset0:8 offset1:12
	ds_write2st64_b32 v2, v8, v9 offset0:16 offset1:20
	;; [unrolled: 1-line block ×9, first 2 shown]
	ds_write_b32 v2, v1 offset:20480
	v_mov_b64_e32 v[4:5], s[68:69]
	s_waitcnt lgkmcnt(0)
	s_barrier
	flat_load_dword v1, v[4:5]
	s_movk_i32 s3, 0x50
	v_mad_u32_u24 v3, v0, s3, v2
	s_movk_i32 s3, 0xffb0
	v_mad_i32_i24 v66, v0, s3, v3
	s_movk_i32 s3, 0xff
	v_cmp_ne_u32_e64 s[46:47], s3, v0
	ds_read_b32 v79, v3
	ds_read2_b32 v[24:25], v3 offset0:1 offset1:2
	ds_read2_b32 v[22:23], v3 offset0:3 offset1:4
	;; [unrolled: 1-line block ×10, first 2 shown]
	s_waitcnt lgkmcnt(0)
	ds_write_b32 v66, v79 offset:22528
	s_waitcnt lgkmcnt(0)
	s_barrier
	s_and_saveexec_b64 s[56:57], s[46:47]
	s_cbranch_execz .LBB2013_45
; %bb.44:
	s_waitcnt vmcnt(0)
	ds_read_b32 v1, v2 offset:22532
.LBB2013_45:
	s_or_b64 exec, exec, s[56:57]
	v_mov_b32_e32 v2, 0
	v_mov_b32_e32 v4, 0
	;; [unrolled: 1-line block ×3, first 2 shown]
	s_waitcnt lgkmcnt(0)
	s_barrier
	s_and_saveexec_b64 s[46:47], s[42:43]
	s_cbranch_execz .LBB2013_47
; %bb.46:
	v_lshlrev_b32_e32 v4, 3, v0
	v_mov_b32_e32 v5, v2
	v_lshl_add_u64 v[4:5], s[66:67], 0, v[4:5]
	flat_load_dwordx2 v[4:5], v[4:5]
.LBB2013_47:
	s_or_b64 exec, exec, s[46:47]
	v_mov_b32_e32 v3, 0
	s_and_saveexec_b64 s[42:43], s[40:41]
	s_cbranch_execz .LBB2013_49
; %bb.48:
	v_lshlrev_b32_e32 v2, 3, v0
	v_mov_b32_e32 v3, 0
	v_lshl_add_u64 v[2:3], s[66:67], 0, v[2:3]
	flat_load_dwordx2 v[2:3], v[2:3] offset:2048
.LBB2013_49:
	s_or_b64 exec, exec, s[42:43]
	v_mov_b32_e32 v26, 0
	v_mov_b32_e32 v28, 0
	v_mov_b32_e32 v29, 0
	s_and_saveexec_b64 s[40:41], s[38:39]
	s_cbranch_execz .LBB2013_51
; %bb.50:
	v_lshlrev_b32_e32 v28, 3, v27
	v_mov_b32_e32 v29, 0
	v_lshl_add_u64 v[28:29], s[66:67], 0, v[28:29]
	flat_load_dwordx2 v[28:29], v[28:29]
.LBB2013_51:
	s_or_b64 exec, exec, s[40:41]
	v_mov_b32_e32 v27, 0
	s_and_saveexec_b64 s[38:39], s[36:37]
	s_cbranch_execz .LBB2013_53
; %bb.52:
	v_lshlrev_b32_e32 v26, 3, v30
	v_mov_b32_e32 v27, 0
	v_lshl_add_u64 v[26:27], s[66:67], 0, v[26:27]
	flat_load_dwordx2 v[26:27], v[26:27]
.LBB2013_53:
	s_or_b64 exec, exec, s[38:39]
	v_mov_b32_e32 v30, 0
	v_mov_b32_e32 v32, 0
	v_mov_b32_e32 v33, 0
	s_and_saveexec_b64 s[36:37], s[34:35]
	s_cbranch_execz .LBB2013_55
; %bb.54:
	v_lshlrev_b32_e32 v32, 3, v31
	v_mov_b32_e32 v33, 0
	v_lshl_add_u64 v[32:33], s[66:67], 0, v[32:33]
	flat_load_dwordx2 v[32:33], v[32:33]
.LBB2013_55:
	s_or_b64 exec, exec, s[36:37]
	v_mov_b32_e32 v31, 0
	s_and_saveexec_b64 s[34:35], s[30:31]
	s_cbranch_execz .LBB2013_57
; %bb.56:
	v_lshlrev_b32_e32 v30, 3, v34
	v_mov_b32_e32 v31, 0
	v_lshl_add_u64 v[30:31], s[66:67], 0, v[30:31]
	flat_load_dwordx2 v[30:31], v[30:31]
.LBB2013_57:
	;; [unrolled: 22-line block ×9, first 2 shown]
	s_or_b64 exec, exec, s[4:5]
	v_mul_u32_u24_e32 v78, 21, v0
	v_mov_b32_e32 v64, 0
	v_mov_b32_e32 v62, 0
	;; [unrolled: 1-line block ×3, first 2 shown]
	s_and_saveexec_b64 s[4:5], vcc
	s_cbranch_execz .LBB2013_87
; %bb.86:
	v_lshlrev_b32_e32 v62, 3, v65
	v_mov_b32_e32 v63, 0
	v_lshl_add_u64 v[62:63], s[66:67], 0, v[62:63]
	flat_load_dwordx2 v[62:63], v[62:63]
.LBB2013_87:
	s_or_b64 exec, exec, s[4:5]
	v_lshl_add_u32 v80, v0, 2, v66
	s_waitcnt vmcnt(0) lgkmcnt(0)
	ds_write2st64_b64 v80, v[4:5], v[2:3] offset1:4
	ds_write2st64_b64 v80, v[28:29], v[26:27] offset0:8 offset1:12
	ds_write2st64_b64 v80, v[32:33], v[30:31] offset0:16 offset1:20
	;; [unrolled: 1-line block ×9, first 2 shown]
	ds_write_b64 v80, v[62:63] offset:40960
	v_cmp_gt_u32_e32 vcc, s55, v78
	s_mov_b64 s[4:5], 0
	s_mov_b32 s3, 0
	v_mov_b64_e32 v[40:41], 0
	s_mov_b64 s[10:11], 0
	v_mov_b32_e32 v60, 0
	v_mov_b32_e32 v48, 0
	;; [unrolled: 1-line block ×57, first 2 shown]
	s_waitcnt lgkmcnt(0)
	s_barrier
	s_waitcnt lgkmcnt(0)
                                        ; implicit-def: $sgpr8_sgpr9
                                        ; implicit-def: $vgpr2_vgpr3
	s_and_saveexec_b64 s[6:7], vcc
	s_cbranch_execz .LBB2013_129
; %bb.88:
	s_movk_i32 s8, 0xa0
	v_mad_u32_u24 v2, v0, s8, v80
	ds_read_b64 v[2:3], v2
	v_add_u32_e32 v4, 1, v78
	v_mov_b32_e32 v5, s63
	v_mov_b32_e32 v26, s62
	v_cmp_ne_u32_e32 vcc, v79, v24
	v_mov_b32_e32 v60, 0
	v_mov_b32_e32 v48, 0
	s_waitcnt lgkmcnt(0)
	v_cndmask_b32_e32 v41, v3, v5, vcc
	v_cndmask_b32_e32 v40, v2, v26, vcc
	v_cndmask_b32_e64 v64, 0, 1, vcc
	v_cmp_gt_u32_e32 vcc, s55, v4
	v_mov_b32_e32 v103, 0
	v_mov_b32_e32 v120, 0
	;; [unrolled: 1-line block ×55, first 2 shown]
                                        ; implicit-def: $sgpr12_sgpr13
                                        ; implicit-def: $vgpr2_vgpr3
	s_and_saveexec_b64 s[8:9], vcc
	s_cbranch_execz .LBB2013_128
; %bb.89:
	v_mul_u32_u24_e32 v2, 0xa0, v0
	v_add_u32_e32 v26, v80, v2
	ds_read2_b64 v[2:5], v26 offset0:1 offset1:2
	v_cmp_ne_u32_e32 vcc, v24, v25
	v_mov_b32_e32 v24, s62
	v_add_u32_e32 v27, 2, v78
	v_cndmask_b32_e64 v57, 0, 1, vcc
	s_waitcnt lgkmcnt(0)
	v_cndmask_b32_e32 v50, v2, v24, vcc
	v_mov_b32_e32 v2, s63
	v_cndmask_b32_e32 v49, v3, v2, vcc
	v_cmp_gt_u32_e32 vcc, s55, v27
	s_mov_b64 s[14:15], 0
	v_mov_b32_e32 v60, 0
	v_mov_b32_e32 v48, 0
	;; [unrolled: 1-line block ×54, first 2 shown]
                                        ; implicit-def: $sgpr12_sgpr13
                                        ; implicit-def: $vgpr2_vgpr3
	s_and_saveexec_b64 s[10:11], vcc
	s_cbranch_execz .LBB2013_127
; %bb.90:
	v_cmp_ne_u32_e32 vcc, v25, v22
	v_mov_b32_e32 v3, s62
	v_add_u32_e32 v2, 3, v78
	v_cndmask_b32_e32 v52, v4, v3, vcc
	v_mov_b32_e32 v3, s63
	v_cndmask_b32_e64 v61, 0, 1, vcc
	v_cndmask_b32_e32 v51, v5, v3, vcc
	v_cmp_gt_u32_e32 vcc, s55, v2
	v_mov_b32_e32 v60, 0
	v_mov_b32_e32 v48, 0
	;; [unrolled: 1-line block ×51, first 2 shown]
                                        ; implicit-def: $sgpr16_sgpr17
                                        ; implicit-def: $vgpr2_vgpr3
	s_and_saveexec_b64 s[12:13], vcc
	s_cbranch_execz .LBB2013_126
; %bb.91:
	ds_read2_b64 v[2:5], v26 offset0:3 offset1:4
	v_cmp_ne_u32_e32 vcc, v22, v23
	v_mov_b32_e32 v22, s62
	v_add_u32_e32 v24, 4, v78
	v_cndmask_b32_e64 v65, 0, 1, vcc
	s_waitcnt lgkmcnt(0)
	v_cndmask_b32_e32 v54, v2, v22, vcc
	v_mov_b32_e32 v2, s63
	v_cndmask_b32_e32 v53, v3, v2, vcc
	v_cmp_gt_u32_e32 vcc, s55, v24
	s_mov_b64 s[18:19], 0
	v_mov_b32_e32 v60, 0
	v_mov_b32_e32 v48, 0
	;; [unrolled: 1-line block ×48, first 2 shown]
                                        ; implicit-def: $sgpr16_sgpr17
                                        ; implicit-def: $vgpr2_vgpr3
	s_and_saveexec_b64 s[14:15], vcc
	s_cbranch_execz .LBB2013_125
; %bb.92:
	v_cmp_ne_u32_e32 vcc, v23, v20
	v_mov_b32_e32 v3, s62
	v_add_u32_e32 v2, 5, v78
	v_cndmask_b32_e32 v56, v4, v3, vcc
	v_mov_b32_e32 v3, s63
	v_cndmask_b32_e64 v70, 0, 1, vcc
	v_cndmask_b32_e32 v55, v5, v3, vcc
	v_cmp_gt_u32_e32 vcc, s55, v2
	v_mov_b32_e32 v60, 0
	v_mov_b32_e32 v48, 0
	;; [unrolled: 1-line block ×45, first 2 shown]
                                        ; implicit-def: $sgpr20_sgpr21
                                        ; implicit-def: $vgpr2_vgpr3
	s_and_saveexec_b64 s[16:17], vcc
	s_cbranch_execz .LBB2013_124
; %bb.93:
	ds_read2_b64 v[2:5], v26 offset0:5 offset1:6
	v_cmp_ne_u32_e32 vcc, v20, v21
	v_mov_b32_e32 v20, s62
	v_add_u32_e32 v22, 6, v78
	v_cndmask_b32_e64 v73, 0, 1, vcc
	s_waitcnt lgkmcnt(0)
	v_cndmask_b32_e32 v59, v2, v20, vcc
	v_mov_b32_e32 v2, s63
	v_cndmask_b32_e32 v58, v3, v2, vcc
	v_cmp_gt_u32_e32 vcc, s55, v22
	s_mov_b64 s[22:23], 0
	v_mov_b32_e32 v60, 0
	v_mov_b32_e32 v48, 0
	;; [unrolled: 1-line block ×42, first 2 shown]
                                        ; implicit-def: $sgpr20_sgpr21
                                        ; implicit-def: $vgpr2_vgpr3
	s_and_saveexec_b64 s[18:19], vcc
	s_cbranch_execz .LBB2013_123
; %bb.94:
	v_cmp_ne_u32_e32 vcc, v21, v18
	v_mov_b32_e32 v3, s62
	v_add_u32_e32 v2, 7, v78
	v_cndmask_b32_e32 v63, v4, v3, vcc
	v_mov_b32_e32 v3, s63
	v_cndmask_b32_e64 v77, 0, 1, vcc
	v_cndmask_b32_e32 v62, v5, v3, vcc
	v_cmp_gt_u32_e32 vcc, s55, v2
	v_mov_b32_e32 v60, 0
	v_mov_b32_e32 v48, 0
	;; [unrolled: 1-line block ×39, first 2 shown]
                                        ; implicit-def: $sgpr24_sgpr25
                                        ; implicit-def: $vgpr2_vgpr3
	s_and_saveexec_b64 s[20:21], vcc
	s_cbranch_execz .LBB2013_122
; %bb.95:
	ds_read2_b64 v[2:5], v26 offset0:7 offset1:8
	v_cmp_ne_u32_e32 vcc, v18, v19
	v_mov_b32_e32 v18, s62
	v_add_u32_e32 v20, 8, v78
	v_cndmask_b32_e64 v102, 0, 1, vcc
	s_waitcnt lgkmcnt(0)
	v_cndmask_b32_e32 v67, v2, v18, vcc
	v_mov_b32_e32 v2, s63
	v_cndmask_b32_e32 v66, v3, v2, vcc
	v_cmp_gt_u32_e32 vcc, s55, v20
	s_mov_b64 s[26:27], 0
	v_mov_b32_e32 v60, 0
	v_mov_b32_e32 v48, 0
	v_mov_b32_e32 v103, 0
	v_mov_b32_e32 v120, 0
	v_mov_b32_e32 v109, 0
	v_mov_b32_e32 v111, 0
	v_mov_b32_e32 v119, 0
	v_mov_b32_e32 v107, 0
	v_mov_b32_e32 v108, 0
	v_mov_b32_e32 v118, 0
	v_mov_b32_e32 v105, 0
	v_mov_b32_e32 v106, 0
	v_mov_b32_e32 v117, 0
	v_mov_b32_e32 v47, 0
	v_mov_b32_e32 v46, 0
	v_mov_b32_e32 v116, 0
	v_mov_b32_e32 v45, 0
	v_mov_b32_e32 v44, 0
	v_mov_b32_e32 v115, 0
	v_mov_b32_e32 v43, 0
	v_mov_b32_e32 v42, 0
	v_mov_b32_e32 v114, 0
	v_mov_b32_e32 v95, 0
	v_mov_b32_e32 v96, 0
	v_mov_b32_e32 v113, 0
	v_mov_b32_e32 v76, 0
	v_mov_b32_e32 v92, 0
	v_mov_b32_e32 v112, 0
	v_mov_b32_e32 v74, 0
	v_mov_b32_e32 v75, 0
	v_mov_b32_e32 v110, 0
	v_mov_b32_e32 v71, 0
	v_mov_b32_e32 v72, 0
	v_mov_b32_e32 v104, 0
	v_mov_b32_e32 v68, 0
	v_mov_b32_e32 v69, 0
                                        ; implicit-def: $sgpr24_sgpr25
                                        ; implicit-def: $vgpr2_vgpr3
	s_and_saveexec_b64 s[22:23], vcc
	s_cbranch_execz .LBB2013_121
; %bb.96:
	v_cmp_ne_u32_e32 vcc, v19, v16
	v_mov_b32_e32 v3, s62
	v_add_u32_e32 v2, 9, v78
	v_cndmask_b32_e32 v69, v4, v3, vcc
	v_mov_b32_e32 v3, s63
	v_cndmask_b32_e64 v104, 0, 1, vcc
	v_cndmask_b32_e32 v68, v5, v3, vcc
	v_cmp_gt_u32_e32 vcc, s55, v2
	v_mov_b32_e32 v60, 0
	v_mov_b32_e32 v48, 0
	;; [unrolled: 1-line block ×33, first 2 shown]
                                        ; implicit-def: $sgpr28_sgpr29
                                        ; implicit-def: $vgpr2_vgpr3
	s_and_saveexec_b64 s[24:25], vcc
	s_cbranch_execz .LBB2013_120
; %bb.97:
	ds_read2_b64 v[2:5], v26 offset0:9 offset1:10
	v_cmp_ne_u32_e32 vcc, v16, v17
	v_mov_b32_e32 v16, s62
	v_add_u32_e32 v18, 10, v78
	v_cndmask_b32_e64 v110, 0, 1, vcc
	s_waitcnt lgkmcnt(0)
	v_cndmask_b32_e32 v72, v2, v16, vcc
	v_mov_b32_e32 v2, s63
	v_cndmask_b32_e32 v71, v3, v2, vcc
	v_cmp_gt_u32_e32 vcc, s55, v18
	s_mov_b64 s[30:31], 0
	v_mov_b32_e32 v60, 0
	v_mov_b32_e32 v48, 0
	;; [unrolled: 1-line block ×30, first 2 shown]
                                        ; implicit-def: $sgpr28_sgpr29
                                        ; implicit-def: $vgpr2_vgpr3
	s_and_saveexec_b64 s[26:27], vcc
	s_cbranch_execz .LBB2013_119
; %bb.98:
	v_cmp_ne_u32_e32 vcc, v17, v14
	v_mov_b32_e32 v3, s62
	v_add_u32_e32 v2, 11, v78
	v_cndmask_b32_e32 v75, v4, v3, vcc
	v_mov_b32_e32 v3, s63
	v_cndmask_b32_e64 v112, 0, 1, vcc
	v_cndmask_b32_e32 v74, v5, v3, vcc
	v_cmp_gt_u32_e32 vcc, s55, v2
	v_mov_b32_e32 v60, 0
	v_mov_b32_e32 v48, 0
	;; [unrolled: 1-line block ×27, first 2 shown]
                                        ; implicit-def: $sgpr34_sgpr35
                                        ; implicit-def: $vgpr2_vgpr3
	s_and_saveexec_b64 s[28:29], vcc
	s_cbranch_execz .LBB2013_118
; %bb.99:
	ds_read2_b64 v[2:5], v26 offset0:11 offset1:12
	v_cmp_ne_u32_e32 vcc, v14, v15
	v_mov_b32_e32 v14, s62
	v_add_u32_e32 v16, 12, v78
	v_cndmask_b32_e64 v113, 0, 1, vcc
	s_waitcnt lgkmcnt(0)
	v_cndmask_b32_e32 v92, v2, v14, vcc
	v_mov_b32_e32 v2, s63
	v_cndmask_b32_e32 v76, v3, v2, vcc
	v_cmp_gt_u32_e32 vcc, s55, v16
	s_mov_b64 s[36:37], 0
	v_mov_b32_e32 v60, 0
	v_mov_b32_e32 v48, 0
	;; [unrolled: 1-line block ×24, first 2 shown]
                                        ; implicit-def: $sgpr34_sgpr35
                                        ; implicit-def: $vgpr2_vgpr3
	s_and_saveexec_b64 s[30:31], vcc
	s_cbranch_execz .LBB2013_117
; %bb.100:
	v_cmp_ne_u32_e32 vcc, v15, v12
	v_mov_b32_e32 v3, s62
	v_add_u32_e32 v2, 13, v78
	v_cndmask_b32_e32 v96, v4, v3, vcc
	v_mov_b32_e32 v3, s63
	v_cndmask_b32_e64 v114, 0, 1, vcc
	v_cndmask_b32_e32 v95, v5, v3, vcc
	v_cmp_gt_u32_e32 vcc, s55, v2
	v_mov_b32_e32 v60, 0
	v_mov_b32_e32 v48, 0
	;; [unrolled: 1-line block ×21, first 2 shown]
                                        ; implicit-def: $sgpr38_sgpr39
                                        ; implicit-def: $vgpr2_vgpr3
	s_and_saveexec_b64 s[34:35], vcc
	s_cbranch_execz .LBB2013_116
; %bb.101:
	ds_read2_b64 v[2:5], v26 offset0:13 offset1:14
	v_cmp_ne_u32_e32 vcc, v12, v13
	v_mov_b32_e32 v12, s62
	v_add_u32_e32 v14, 14, v78
	v_cndmask_b32_e64 v115, 0, 1, vcc
	s_waitcnt lgkmcnt(0)
	v_cndmask_b32_e32 v42, v2, v12, vcc
	v_mov_b32_e32 v2, s63
	v_cndmask_b32_e32 v43, v3, v2, vcc
	v_cmp_gt_u32_e32 vcc, s55, v14
	s_mov_b64 s[40:41], 0
	v_mov_b32_e32 v60, 0
	v_mov_b32_e32 v48, 0
	;; [unrolled: 1-line block ×18, first 2 shown]
                                        ; implicit-def: $sgpr38_sgpr39
                                        ; implicit-def: $vgpr2_vgpr3
	s_and_saveexec_b64 s[36:37], vcc
	s_cbranch_execz .LBB2013_115
; %bb.102:
	v_cmp_ne_u32_e32 vcc, v13, v10
	v_mov_b32_e32 v3, s62
	v_add_u32_e32 v2, 15, v78
	v_cndmask_b32_e32 v44, v4, v3, vcc
	v_mov_b32_e32 v3, s63
	v_cndmask_b32_e64 v116, 0, 1, vcc
	v_cndmask_b32_e32 v45, v5, v3, vcc
	v_cmp_gt_u32_e32 vcc, s55, v2
	v_mov_b32_e32 v60, 0
	v_mov_b32_e32 v48, 0
	;; [unrolled: 1-line block ×15, first 2 shown]
                                        ; implicit-def: $sgpr42_sgpr43
                                        ; implicit-def: $vgpr2_vgpr3
	s_and_saveexec_b64 s[38:39], vcc
	s_cbranch_execz .LBB2013_114
; %bb.103:
	ds_read2_b64 v[2:5], v26 offset0:15 offset1:16
	v_cmp_ne_u32_e32 vcc, v10, v11
	v_mov_b32_e32 v10, s62
	v_add_u32_e32 v12, 16, v78
	v_cndmask_b32_e64 v117, 0, 1, vcc
	s_waitcnt lgkmcnt(0)
	v_cndmask_b32_e32 v46, v2, v10, vcc
	v_mov_b32_e32 v2, s63
	v_cndmask_b32_e32 v47, v3, v2, vcc
	v_cmp_gt_u32_e32 vcc, s55, v12
	s_mov_b64 s[44:45], 0
	v_mov_b32_e32 v60, 0
	v_mov_b32_e32 v48, 0
	;; [unrolled: 1-line block ×12, first 2 shown]
                                        ; implicit-def: $sgpr42_sgpr43
                                        ; implicit-def: $vgpr2_vgpr3
	s_and_saveexec_b64 s[40:41], vcc
	s_cbranch_execz .LBB2013_113
; %bb.104:
	v_cmp_ne_u32_e32 vcc, v11, v8
	v_mov_b32_e32 v3, s62
	v_add_u32_e32 v2, 17, v78
	v_cndmask_b32_e32 v106, v4, v3, vcc
	v_mov_b32_e32 v3, s63
	v_cndmask_b32_e64 v118, 0, 1, vcc
	v_cndmask_b32_e32 v105, v5, v3, vcc
	v_cmp_gt_u32_e32 vcc, s55, v2
	v_mov_b32_e32 v60, 0
	v_mov_b32_e32 v48, 0
	;; [unrolled: 1-line block ×9, first 2 shown]
                                        ; implicit-def: $sgpr46_sgpr47
                                        ; implicit-def: $vgpr2_vgpr3
	s_and_saveexec_b64 s[42:43], vcc
	s_cbranch_execz .LBB2013_112
; %bb.105:
	ds_read2_b64 v[2:5], v26 offset0:17 offset1:18
	v_cmp_ne_u32_e32 vcc, v8, v9
	v_mov_b32_e32 v8, s62
	v_add_u32_e32 v10, 18, v78
	v_cndmask_b32_e64 v119, 0, 1, vcc
	s_waitcnt lgkmcnt(0)
	v_cndmask_b32_e32 v108, v2, v8, vcc
	v_mov_b32_e32 v2, s63
	v_cndmask_b32_e32 v107, v3, v2, vcc
	v_cmp_gt_u32_e32 vcc, s55, v10
	s_mov_b64 s[56:57], 0
	v_mov_b32_e32 v60, 0
	v_mov_b32_e32 v48, 0
	;; [unrolled: 1-line block ×6, first 2 shown]
                                        ; implicit-def: $sgpr46_sgpr47
                                        ; implicit-def: $vgpr2_vgpr3
	s_and_saveexec_b64 s[44:45], vcc
	s_cbranch_execz .LBB2013_111
; %bb.106:
	v_cmp_ne_u32_e32 vcc, v9, v6
	v_mov_b32_e32 v3, s62
	v_add_u32_e32 v2, 19, v78
	v_cndmask_b32_e32 v111, v4, v3, vcc
	v_mov_b32_e32 v3, s63
	v_cndmask_b32_e64 v120, 0, 1, vcc
	v_cndmask_b32_e32 v109, v5, v3, vcc
	v_cmp_gt_u32_e32 vcc, s55, v2
	v_mov_b32_e32 v60, 0
	v_mov_b32_e32 v48, 0
	v_mov_b32_e32 v103, 0
                                        ; implicit-def: $sgpr70_sgpr71
                                        ; implicit-def: $vgpr2_vgpr3
	s_and_saveexec_b64 s[46:47], vcc
	s_cbranch_execz .LBB2013_110
; %bb.107:
	ds_read2_b64 v[2:5], v26 offset0:19 offset1:20
	v_cmp_ne_u32_e32 vcc, v6, v7
	v_mov_b32_e32 v6, s62
	v_add_u32_e32 v8, 20, v78
	v_cndmask_b32_e64 v60, 0, 1, vcc
	s_waitcnt lgkmcnt(0)
	v_cndmask_b32_e32 v103, v2, v6, vcc
	v_mov_b32_e32 v2, s63
	v_cndmask_b32_e32 v48, v3, v2, vcc
	v_cmp_gt_u32_e32 vcc, s55, v8
                                        ; implicit-def: $sgpr70_sgpr71
                                        ; implicit-def: $vgpr2_vgpr3
	s_and_saveexec_b64 s[72:73], vcc
	s_xor_b64 s[72:73], exec, s[72:73]
; %bb.108:
	v_mov_b32_e32 v2, s63
	v_cmp_ne_u32_e32 vcc, v7, v1
	v_mov_b32_e32 v1, s62
	s_mov_b64 s[56:57], exec
	v_cndmask_b32_e32 v3, v5, v2, vcc
	v_cndmask_b32_e32 v2, v4, v1, vcc
	s_and_b64 s[70:71], vcc, exec
; %bb.109:
	s_or_b64 exec, exec, s[72:73]
	s_and_b64 s[70:71], s[70:71], exec
	s_and_b64 s[56:57], s[56:57], exec
.LBB2013_110:
	s_or_b64 exec, exec, s[46:47]
	s_and_b64 s[46:47], s[70:71], exec
	s_and_b64 s[56:57], s[56:57], exec
.LBB2013_111:
	s_or_b64 exec, exec, s[44:45]
	s_and_b64 s[46:47], s[46:47], exec
	s_and_b64 s[44:45], s[56:57], exec
.LBB2013_112:
	s_or_b64 exec, exec, s[42:43]
	s_and_b64 s[42:43], s[46:47], exec
	s_and_b64 s[44:45], s[44:45], exec
.LBB2013_113:
	s_or_b64 exec, exec, s[40:41]
	s_and_b64 s[42:43], s[42:43], exec
	s_and_b64 s[40:41], s[44:45], exec
.LBB2013_114:
	s_or_b64 exec, exec, s[38:39]
	s_and_b64 s[38:39], s[42:43], exec
	s_and_b64 s[40:41], s[40:41], exec
.LBB2013_115:
	s_or_b64 exec, exec, s[36:37]
	s_and_b64 s[38:39], s[38:39], exec
	s_and_b64 s[36:37], s[40:41], exec
.LBB2013_116:
	s_or_b64 exec, exec, s[34:35]
	s_and_b64 s[34:35], s[38:39], exec
	s_and_b64 s[36:37], s[36:37], exec
.LBB2013_117:
	s_or_b64 exec, exec, s[30:31]
	s_and_b64 s[34:35], s[34:35], exec
	s_and_b64 s[30:31], s[36:37], exec
.LBB2013_118:
	s_or_b64 exec, exec, s[28:29]
	s_and_b64 s[28:29], s[34:35], exec
	s_and_b64 s[30:31], s[30:31], exec
.LBB2013_119:
	s_or_b64 exec, exec, s[26:27]
	s_and_b64 s[28:29], s[28:29], exec
	s_and_b64 s[26:27], s[30:31], exec
.LBB2013_120:
	s_or_b64 exec, exec, s[24:25]
	s_and_b64 s[24:25], s[28:29], exec
	s_and_b64 s[26:27], s[26:27], exec
.LBB2013_121:
	s_or_b64 exec, exec, s[22:23]
	s_and_b64 s[24:25], s[24:25], exec
	s_and_b64 s[22:23], s[26:27], exec
.LBB2013_122:
	s_or_b64 exec, exec, s[20:21]
	s_and_b64 s[20:21], s[24:25], exec
	s_and_b64 s[22:23], s[22:23], exec
.LBB2013_123:
	s_or_b64 exec, exec, s[18:19]
	s_and_b64 s[20:21], s[20:21], exec
	s_and_b64 s[18:19], s[22:23], exec
.LBB2013_124:
	s_or_b64 exec, exec, s[16:17]
	s_and_b64 s[16:17], s[20:21], exec
	s_and_b64 s[18:19], s[18:19], exec
.LBB2013_125:
	s_or_b64 exec, exec, s[14:15]
	s_and_b64 s[16:17], s[16:17], exec
	s_and_b64 s[14:15], s[18:19], exec
.LBB2013_126:
	s_or_b64 exec, exec, s[12:13]
	s_and_b64 s[12:13], s[16:17], exec
	s_and_b64 s[14:15], s[14:15], exec
.LBB2013_127:
	s_or_b64 exec, exec, s[10:11]
	s_and_b64 s[12:13], s[12:13], exec
	s_and_b64 s[10:11], s[14:15], exec
.LBB2013_128:
	s_or_b64 exec, exec, s[8:9]
	s_and_b64 s[8:9], s[12:13], exec
	s_and_b64 s[10:11], s[10:11], exec
.LBB2013_129:
	s_or_b64 exec, exec, s[6:7]
	s_mov_b32 s6, 0
	s_and_b64 vcc, exec, s[4:5]
	s_cbranch_vccnz .LBB2013_131
	s_branch .LBB2013_134
.LBB2013_130:
	s_mov_b64 s[10:11], 0
                                        ; kill: def $vgpr1 killed $sgpr0 killed $exec
                                        ; implicit-def: $sgpr8_sgpr9
                                        ; implicit-def: $vgpr64
                                        ; implicit-def: $vgpr2_vgpr3
                                        ; implicit-def: $vgpr60
                                        ; implicit-def: $vgpr48
                                        ; implicit-def: $vgpr103
                                        ; implicit-def: $vgpr120
                                        ; implicit-def: $vgpr109
                                        ; implicit-def: $vgpr111
                                        ; implicit-def: $vgpr119
                                        ; implicit-def: $vgpr107
                                        ; implicit-def: $vgpr108
                                        ; implicit-def: $vgpr118
                                        ; implicit-def: $vgpr105
                                        ; implicit-def: $vgpr106
                                        ; implicit-def: $vgpr117
                                        ; implicit-def: $vgpr47
                                        ; implicit-def: $vgpr116
                                        ; implicit-def: $vgpr45
                                        ; implicit-def: $vgpr115
                                        ; implicit-def: $vgpr43
                                        ; implicit-def: $vgpr114
                                        ; implicit-def: $vgpr95
                                        ; implicit-def: $vgpr96
                                        ; implicit-def: $vgpr113
                                        ; implicit-def: $vgpr76
                                        ; implicit-def: $vgpr92
                                        ; implicit-def: $vgpr112
                                        ; implicit-def: $vgpr74
                                        ; implicit-def: $vgpr75
                                        ; implicit-def: $vgpr110
                                        ; implicit-def: $vgpr71
                                        ; implicit-def: $vgpr72
                                        ; implicit-def: $vgpr104
                                        ; implicit-def: $vgpr68
                                        ; implicit-def: $vgpr69
                                        ; implicit-def: $vgpr102
                                        ; implicit-def: $vgpr66
                                        ; implicit-def: $vgpr67
                                        ; implicit-def: $vgpr77
                                        ; implicit-def: $vgpr62
                                        ; implicit-def: $vgpr63
                                        ; implicit-def: $vgpr73
                                        ; implicit-def: $vgpr58
                                        ; implicit-def: $vgpr59
                                        ; implicit-def: $vgpr70
                                        ; implicit-def: $vgpr55
                                        ; implicit-def: $vgpr56
                                        ; implicit-def: $vgpr65
                                        ; implicit-def: $vgpr53
                                        ; implicit-def: $vgpr54
                                        ; implicit-def: $vgpr61
                                        ; implicit-def: $vgpr51
                                        ; implicit-def: $vgpr52
                                        ; implicit-def: $vgpr57
                                        ; implicit-def: $vgpr49
                                        ; implicit-def: $vgpr50
                                        ; implicit-def: $vgpr40_vgpr41
                                        ; implicit-def: $sgpr6
                                        ; implicit-def: $sgpr3
	s_and_b64 vcc, exec, s[4:5]
	s_cbranch_vccz .LBB2013_134
.LBB2013_131:
	v_mov_b32_e32 v7, 0
	v_lshlrev_b32_e32 v6, 2, v0
	v_lshl_add_u64 v[2:3], s[68:69], 0, v[6:7]
	v_add_co_u32_e32 v4, vcc, 0x1000, v2
	s_movk_i32 s4, 0x50
	s_nop 0
	v_addc_co_u32_e32 v5, vcc, 0, v3, vcc
	flat_load_dword v1, v[2:3]
	flat_load_dword v10, v[2:3] offset:1024
	flat_load_dword v11, v[2:3] offset:2048
	;; [unrolled: 1-line block ×3, first 2 shown]
	flat_load_dword v13, v[4:5]
	flat_load_dword v14, v[4:5] offset:1024
	flat_load_dword v15, v[4:5] offset:2048
	;; [unrolled: 1-line block ×3, first 2 shown]
	v_add_co_u32_e32 v4, vcc, 0x2000, v2
	s_movk_i32 s9, 0x1000
	s_nop 0
	v_addc_co_u32_e32 v5, vcc, 0, v3, vcc
	v_add_co_u32_e32 v8, vcc, 0x3000, v2
	s_movk_i32 s8, 0x2000
	s_nop 0
	v_addc_co_u32_e32 v9, vcc, 0, v3, vcc
	flat_load_dword v17, v[4:5]
	flat_load_dword v18, v[4:5] offset:1024
	flat_load_dword v19, v[4:5] offset:2048
	;; [unrolled: 1-line block ×3, first 2 shown]
	flat_load_dword v21, v[8:9]
	flat_load_dword v22, v[8:9] offset:1024
	flat_load_dword v23, v[8:9] offset:2048
	;; [unrolled: 1-line block ×3, first 2 shown]
	v_add_co_u32_e32 v4, vcc, 0x4000, v2
	s_movk_i32 s7, 0x3000
	s_nop 0
	v_addc_co_u32_e32 v5, vcc, 0, v3, vcc
	v_add_co_u32_e32 v2, vcc, 0x5000, v2
	s_movk_i32 s6, 0x4000
	s_nop 0
	v_addc_co_u32_e32 v3, vcc, 0, v3, vcc
	flat_load_dword v8, v[4:5]
	flat_load_dword v9, v[4:5] offset:1024
	flat_load_dword v25, v[4:5] offset:2048
	flat_load_dword v26, v[4:5] offset:3072
	flat_load_dword v27, v[2:3]
	v_mov_b32_e32 v2, s68
	v_mov_b32_e32 v3, s69
	v_add_co_u32_e32 v2, vcc, 0x5000, v2
	s_movk_i32 s3, 0x5000
	s_nop 0
	v_addc_co_u32_e32 v3, vcc, 0, v3, vcc
	s_waitcnt vmcnt(0) lgkmcnt(0)
	ds_write2st64_b32 v6, v1, v10 offset1:4
	ds_write2st64_b32 v6, v11, v12 offset0:8 offset1:12
	ds_write2st64_b32 v6, v13, v14 offset0:16 offset1:20
	;; [unrolled: 1-line block ×9, first 2 shown]
	ds_write_b32 v6, v27 offset:20480
	s_waitcnt lgkmcnt(0)
	s_barrier
	flat_load_dword v1, v[2:3] offset:1024
	v_mad_u32_u24 v25, v0, s4, v6
	s_movk_i32 s4, 0xffb0
	ds_read_b32 v24, v25
	ds_read2_b32 v[4:5], v25 offset0:1 offset1:2
	ds_read2_b32 v[22:23], v25 offset0:3 offset1:4
	;; [unrolled: 1-line block ×10, first 2 shown]
	v_mad_i32_i24 v25, v0, s4, v25
	s_movk_i32 s4, 0xff
	v_cmp_ne_u32_e32 vcc, s4, v0
	s_waitcnt lgkmcnt(0)
	ds_write_b32 v25, v24 offset:22528
	s_waitcnt lgkmcnt(0)
	s_barrier
	s_and_saveexec_b64 s[4:5], vcc
	s_cbranch_execz .LBB2013_133
; %bb.132:
	s_waitcnt vmcnt(0)
	ds_read_b32 v1, v6 offset:22532
.LBB2013_133:
	s_or_b64 exec, exec, s[4:5]
	v_lshlrev_b32_e32 v6, 3, v0
	v_lshl_add_u64 v[6:7], s[66:67], 0, v[6:7]
	v_add_co_u32_e32 v26, vcc, s9, v6
	s_waitcnt lgkmcnt(0)
	s_nop 0
	v_addc_co_u32_e32 v27, vcc, 0, v7, vcc
	s_barrier
	flat_load_dwordx2 v[28:29], v[6:7]
	flat_load_dwordx2 v[30:31], v[6:7] offset:2048
	flat_load_dwordx2 v[32:33], v[26:27]
	flat_load_dwordx2 v[34:35], v[26:27] offset:2048
	v_add_co_u32_e32 v26, vcc, s8, v6
	v_cmp_ne_u32_e64 s[38:39], v9, v2
	s_nop 0
	v_addc_co_u32_e32 v27, vcc, 0, v7, vcc
	v_add_co_u32_e32 v36, vcc, s7, v6
	v_cmp_ne_u32_e64 s[40:41], v2, v3
	s_nop 0
	v_addc_co_u32_e32 v37, vcc, 0, v7, vcc
	flat_load_dwordx2 v[38:39], v[26:27]
	flat_load_dwordx2 v[40:41], v[26:27] offset:2048
	flat_load_dwordx2 v[42:43], v[36:37]
	flat_load_dwordx2 v[44:45], v[36:37] offset:2048
	v_add_co_u32_e32 v26, vcc, s6, v6
	v_lshl_add_u32 v2, v0, 2, v25
	s_nop 0
	v_addc_co_u32_e32 v27, vcc, 0, v7, vcc
	v_add_co_u32_e32 v36, vcc, s3, v6
	s_movk_i32 s3, 0x6000
	s_nop 0
	v_addc_co_u32_e32 v37, vcc, 0, v7, vcc
	flat_load_dwordx2 v[46:47], v[26:27]
	flat_load_dwordx2 v[48:49], v[26:27] offset:2048
	flat_load_dwordx2 v[50:51], v[36:37]
	flat_load_dwordx2 v[52:53], v[36:37] offset:2048
	v_add_co_u32_e32 v26, vcc, s3, v6
	s_movk_i32 s3, 0x7000
	s_nop 0
	v_addc_co_u32_e32 v27, vcc, 0, v7, vcc
	v_add_co_u32_e32 v36, vcc, s3, v6
	s_mov_b32 s3, 0x8000
	s_nop 0
	v_addc_co_u32_e32 v37, vcc, 0, v7, vcc
	flat_load_dwordx2 v[54:55], v[26:27]
	flat_load_dwordx2 v[58:59], v[26:27] offset:2048
	flat_load_dwordx2 v[62:63], v[36:37]
	flat_load_dwordx2 v[66:67], v[36:37] offset:2048
	v_add_co_u32_e32 v26, vcc, s3, v6
	s_mov_b32 s3, 0x9000
	s_nop 0
	v_addc_co_u32_e32 v27, vcc, 0, v7, vcc
	v_add_co_u32_e32 v36, vcc, s3, v6
	s_mov_b32 s3, 0xa000
	s_nop 0
	v_addc_co_u32_e32 v37, vcc, 0, v7, vcc
	flat_load_dwordx2 v[68:69], v[26:27]
	flat_load_dwordx2 v[74:75], v[26:27] offset:2048
	flat_load_dwordx2 v[78:79], v[36:37]
	flat_load_dwordx2 v[80:81], v[36:37] offset:2048
	v_add_co_u32_e32 v6, vcc, s3, v6
	s_movk_i32 s3, 0xa0
	s_nop 0
	v_addc_co_u32_e32 v7, vcc, 0, v7, vcc
	flat_load_dwordx2 v[6:7], v[6:7]
	v_cmp_ne_u32_e64 s[4:5], v5, v22
	v_cmp_ne_u32_e64 s[6:7], v22, v23
	;; [unrolled: 1-line block ×16, first 2 shown]
	v_cmp_ne_u32_e32 vcc, v4, v5
	v_cmp_ne_u32_e64 s[42:43], v24, v4
	v_mov_b32_e32 v4, s62
	v_cndmask_b32_e64 v70, 0, 1, s[8:9]
	v_cndmask_b32_e64 v57, 0, 1, vcc
	v_cndmask_b32_e64 v61, 0, 1, s[4:5]
	v_cndmask_b32_e64 v65, 0, 1, s[6:7]
	v_cndmask_b32_e64 v73, 0, 1, s[10:11]
	v_cndmask_b32_e64 v77, 0, 1, s[12:13]
	v_cndmask_b32_e64 v102, 0, 1, s[14:15]
	v_cndmask_b32_e64 v104, 0, 1, s[16:17]
	v_cndmask_b32_e64 v110, 0, 1, s[18:19]
	v_cndmask_b32_e64 v112, 0, 1, s[20:21]
	v_cndmask_b32_e64 v113, 0, 1, s[22:23]
	v_cndmask_b32_e64 v114, 0, 1, s[24:25]
	v_cndmask_b32_e64 v115, 0, 1, s[26:27]
	v_cndmask_b32_e64 v116, 0, 1, s[28:29]
	v_cndmask_b32_e64 v117, 0, 1, s[30:31]
	v_cndmask_b32_e64 v118, 0, 1, s[34:35]
	v_cndmask_b32_e64 v119, 0, 1, s[36:37]
	v_cndmask_b32_e64 v120, 0, 1, s[38:39]
	v_cndmask_b32_e64 v60, 0, 1, s[40:41]
	v_cndmask_b32_e64 v64, 0, 1, s[42:43]
	s_waitcnt vmcnt(0) lgkmcnt(0)
	ds_write2st64_b64 v2, v[28:29], v[30:31] offset1:4
	ds_write2st64_b64 v2, v[32:33], v[34:35] offset0:8 offset1:12
	ds_write2st64_b64 v2, v[38:39], v[40:41] offset0:16 offset1:20
	;; [unrolled: 1-line block ×9, first 2 shown]
	ds_write_b64 v2, v[6:7] offset:40960
	v_mad_u32_u24 v2, v0, s3, v2
	s_waitcnt lgkmcnt(0)
	s_barrier
	ds_read2_b64 v[6:9], v2 offset1:1
	ds_read2_b64 v[10:13], v2 offset0:2 offset1:3
	ds_read2_b64 v[14:17], v2 offset0:4 offset1:5
	;; [unrolled: 1-line block ×9, first 2 shown]
	ds_read_b64 v[22:23], v2 offset:160
	v_mov_b32_e32 v2, s63
	s_waitcnt lgkmcnt(8)
	v_cndmask_b32_e64 v56, v14, v4, s[8:9]
	v_cndmask_b32_e64 v55, v15, v2, s[8:9]
	v_cmp_ne_u32_e64 s[8:9], v3, v1
	v_cndmask_b32_e64 v41, v7, v2, s[42:43]
	v_cndmask_b32_e64 v40, v6, v4, s[42:43]
	v_cndmask_b32_e32 v50, v8, v4, vcc
	v_cndmask_b32_e32 v49, v9, v2, vcc
	v_cndmask_b32_e64 v52, v10, v4, s[4:5]
	v_cndmask_b32_e64 v51, v11, v2, s[4:5]
	;; [unrolled: 1-line block ×6, first 2 shown]
	s_waitcnt lgkmcnt(7)
	v_cndmask_b32_e64 v63, v18, v4, s[12:13]
	v_cndmask_b32_e64 v62, v19, v2, s[12:13]
	v_cndmask_b32_e64 v67, v20, v4, s[14:15]
	v_cndmask_b32_e64 v66, v21, v2, s[14:15]
	s_waitcnt lgkmcnt(6)
	v_cndmask_b32_e64 v69, v26, v4, s[16:17]
	v_cndmask_b32_e64 v68, v27, v2, s[16:17]
	v_cndmask_b32_e64 v72, v28, v4, s[18:19]
	v_cndmask_b32_e64 v71, v29, v2, s[18:19]
	s_waitcnt lgkmcnt(5)
	v_cndmask_b32_e64 v75, v30, v4, s[20:21]
	v_cndmask_b32_e64 v74, v31, v2, s[20:21]
	v_cndmask_b32_e64 v92, v32, v4, s[22:23]
	v_cndmask_b32_e64 v76, v33, v2, s[22:23]
	s_waitcnt lgkmcnt(4)
	v_cndmask_b32_e64 v96, v34, v4, s[24:25]
	v_cndmask_b32_e64 v95, v35, v2, s[24:25]
	v_cndmask_b32_e64 v42, v36, v4, s[26:27]
	v_cndmask_b32_e64 v43, v37, v2, s[26:27]
	s_waitcnt lgkmcnt(3)
	v_cndmask_b32_e64 v44, v44, v4, s[28:29]
	v_cndmask_b32_e64 v45, v45, v2, s[28:29]
	v_cndmask_b32_e64 v46, v46, v4, s[30:31]
	v_cndmask_b32_e64 v47, v47, v2, s[30:31]
	s_waitcnt lgkmcnt(2)
	v_cndmask_b32_e64 v106, v78, v4, s[34:35]
	v_cndmask_b32_e64 v105, v79, v2, s[34:35]
	v_cndmask_b32_e64 v108, v80, v4, s[36:37]
	v_cndmask_b32_e64 v107, v81, v2, s[36:37]
	s_waitcnt lgkmcnt(1)
	v_cndmask_b32_e64 v111, v82, v4, s[38:39]
	v_cndmask_b32_e64 v109, v83, v2, s[38:39]
	v_cndmask_b32_e64 v103, v84, v4, s[40:41]
	v_cndmask_b32_e64 v48, v85, v2, s[40:41]
	s_waitcnt lgkmcnt(0)
	v_cndmask_b32_e64 v3, v23, v2, s[8:9]
	v_cndmask_b32_e64 v2, v22, v4, s[8:9]
	s_mov_b64 s[10:11], -1
                                        ; kill: def $vgpr1 killed $sgpr0 killed $exec
                                        ; implicit-def: $sgpr6
                                        ; implicit-def: $sgpr3
.LBB2013_134:
	v_mov_b32_e32 v122, s3
	v_mov_b32_e32 v123, s3
	;; [unrolled: 1-line block ×3, first 2 shown]
	s_and_saveexec_b64 s[4:5], s[10:11]
; %bb.135:
	v_cndmask_b32_e64 v121, 0, 1, s[8:9]
	v_mov_b32_e32 v122, v2
	v_mov_b32_e32 v123, v3
; %bb.136:
	s_or_b64 exec, exec, s[4:5]
	v_or_b32_e32 v1, v121, v60
	s_cmp_lg_u32 s2, 0
	v_or_b32_e32 v125, v1, v120
	v_mbcnt_lo_u32_b32 v124, -1, 0
	s_barrier
	s_cbranch_scc0 .LBB2013_205
; %bb.137:
	v_mov_b32_e32 v1, 0
	v_cmp_eq_u16_sdwa s[44:45], v57, v1 src0_sel:BYTE_0 src1_sel:DWORD
	v_cmp_eq_u16_sdwa s[4:5], v61, v1 src0_sel:BYTE_0 src1_sel:DWORD
	;; [unrolled: 1-line block ×3, first 2 shown]
	v_cndmask_b32_e64 v2, 0, v40, s[44:45]
	v_add_u32_e32 v2, v2, v50
	v_cndmask_b32_e64 v3, 0, v41, s[44:45]
	v_add_u32_e32 v3, v3, v49
	;; [unrolled: 2-line block ×5, first 2 shown]
	v_cndmask_b32_e64 v3, 0, v3, s[6:7]
	v_cmp_eq_u16_sdwa s[8:9], v70, v1 src0_sel:BYTE_0 src1_sel:DWORD
	v_add_u32_e32 v3, v3, v53
	v_cmp_eq_u16_sdwa s[10:11], v73, v1 src0_sel:BYTE_0 src1_sel:DWORD
	v_cndmask_b32_e64 v2, 0, v2, s[8:9]
	v_add_u32_e32 v2, v2, v56
	v_cndmask_b32_e64 v3, 0, v3, s[8:9]
	v_add_u32_e32 v3, v3, v55
	v_cndmask_b32_e64 v2, 0, v2, s[10:11]
	v_add_u32_e32 v2, v2, v59
	v_cndmask_b32_e64 v3, 0, v3, s[10:11]
	v_cmp_eq_u16_sdwa s[12:13], v77, v1 src0_sel:BYTE_0 src1_sel:DWORD
	v_add_u32_e32 v3, v3, v58
	v_cmp_eq_u16_sdwa s[14:15], v102, v1 src0_sel:BYTE_0 src1_sel:DWORD
	v_cndmask_b32_e64 v2, 0, v2, s[12:13]
	v_add_u32_e32 v2, v2, v63
	v_cndmask_b32_e64 v3, 0, v3, s[12:13]
	v_add_u32_e32 v3, v3, v62
	v_cndmask_b32_e64 v2, 0, v2, s[14:15]
	v_add_u32_e32 v2, v2, v67
	;; [unrolled: 10-line block ×8, first 2 shown]
	v_cndmask_b32_e64 v3, 0, v3, s[40:41]
	v_cmp_eq_u16_sdwa vcc, v121, v1 src0_sel:BYTE_0 src1_sel:DWORD
	v_add_u32_e32 v3, v3, v48
	v_mbcnt_hi_u32_b32 v11, -1, v124
	v_cndmask_b32_e32 v1, 0, v2, vcc
	v_add_u32_e32 v2, v1, v122
	v_cndmask_b32_e32 v1, 0, v3, vcc
	v_or_b32_e32 v3, v125, v119
	v_or_b32_e32 v3, v3, v118
	;; [unrolled: 1-line block ×17, first 2 shown]
	v_and_b32_e32 v3, 1, v3
	v_cmp_eq_u32_e32 vcc, 1, v3
	v_add_u32_e32 v1, v1, v123
	v_and_b32_e32 v4, 15, v11
	v_cndmask_b32_e64 v3, v64, 1, vcc
	v_mov_b32_dpp v5, v2 row_shr:1 row_mask:0xf bank_mask:0xf
	v_mov_b32_dpp v6, v1 row_shr:1 row_mask:0xf bank_mask:0xf
	;; [unrolled: 1-line block ×3, first 2 shown]
	v_cmp_ne_u32_e32 vcc, 0, v4
	s_and_saveexec_b64 s[42:43], vcc
; %bb.138:
	v_cmp_eq_u32_e32 vcc, 0, v3
	v_and_or_b32 v3, v7, 1, v3
	s_nop 0
	v_cndmask_b32_e32 v5, 0, v5, vcc
	v_add_u32_e32 v2, v5, v2
	v_cndmask_b32_e32 v5, 0, v6, vcc
	v_add_u32_e32 v1, v5, v1
; %bb.139:
	s_or_b64 exec, exec, s[42:43]
	v_mov_b32_dpp v6, v2 row_shr:2 row_mask:0xf bank_mask:0xf
	v_mov_b32_dpp v7, v1 row_shr:2 row_mask:0xf bank_mask:0xf
	v_mov_b32_dpp v5, v3 row_shr:2 row_mask:0xf bank_mask:0xf
	v_cmp_lt_u32_e32 vcc, 1, v4
	s_and_saveexec_b64 s[42:43], vcc
; %bb.140:
	v_add_u32_e32 v6, v6, v2
	v_add_u32_e32 v7, v7, v1
	v_cmp_eq_u32_e32 vcc, 0, v3
	v_or_b32_e32 v3, v5, v3
	v_and_b32_e32 v3, 1, v3
	v_cndmask_b32_e32 v2, v2, v6, vcc
	v_cndmask_b32_e32 v1, v1, v7, vcc
; %bb.141:
	s_or_b64 exec, exec, s[42:43]
	v_mov_b32_dpp v6, v2 row_shr:4 row_mask:0xf bank_mask:0xf
	v_mov_b32_dpp v7, v1 row_shr:4 row_mask:0xf bank_mask:0xf
	v_mov_b32_dpp v5, v3 row_shr:4 row_mask:0xf bank_mask:0xf
	v_cmp_lt_u32_e32 vcc, 3, v4
	s_and_saveexec_b64 s[42:43], vcc
; %bb.142:
	v_add_u32_e32 v6, v6, v2
	v_add_u32_e32 v7, v7, v1
	v_cmp_eq_u32_e32 vcc, 0, v3
	v_or_b32_e32 v3, v5, v3
	v_and_b32_e32 v3, 1, v3
	v_cndmask_b32_e32 v2, v2, v6, vcc
	v_cndmask_b32_e32 v1, v1, v7, vcc
	;; [unrolled: 15-line block ×3, first 2 shown]
; %bb.145:
	s_or_b64 exec, exec, s[42:43]
	v_and_b32_e32 v7, 16, v11
	v_mov_b32_dpp v5, v2 row_bcast:15 row_mask:0xf bank_mask:0xf
	v_mov_b32_dpp v6, v1 row_bcast:15 row_mask:0xf bank_mask:0xf
	;; [unrolled: 1-line block ×3, first 2 shown]
	v_cmp_ne_u32_e32 vcc, 0, v7
	s_and_saveexec_b64 s[42:43], vcc
; %bb.146:
	v_add_u32_e32 v5, v5, v2
	v_add_u32_e32 v6, v6, v1
	v_cmp_eq_u32_e32 vcc, 0, v3
	v_or_b32_e32 v3, v4, v3
	v_and_b32_e32 v3, 1, v3
	v_cndmask_b32_e32 v2, v2, v5, vcc
	v_cndmask_b32_e32 v1, v1, v6, vcc
; %bb.147:
	s_or_b64 exec, exec, s[42:43]
	v_mov_b32_dpp v6, v2 row_bcast:31 row_mask:0xf bank_mask:0xf
	v_mov_b32_dpp v7, v1 row_bcast:31 row_mask:0xf bank_mask:0xf
	;; [unrolled: 1-line block ×3, first 2 shown]
	v_cmp_lt_u32_e32 vcc, 31, v11
	v_mov_b32_e32 v4, v3
	s_and_saveexec_b64 s[42:43], vcc
; %bb.148:
	v_add_u32_e32 v4, v6, v2
	v_add_u32_e32 v6, v7, v1
	v_cmp_eq_u32_e32 vcc, 0, v3
	v_or_b32_e32 v3, v5, v3
	s_nop 0
	v_cndmask_b32_e32 v2, v2, v4, vcc
	v_cndmask_b32_e32 v1, v1, v6, vcc
	v_and_b32_e32 v4, 1, v3
	v_and_b32_e32 v3, 1, v3
; %bb.149:
	s_or_b64 exec, exec, s[42:43]
	v_or_b32_e32 v5, 63, v0
	v_lshrrev_b32_e32 v8, 6, v0
	v_cmp_eq_u32_e32 vcc, v5, v0
	s_and_saveexec_b64 s[42:43], vcc
	s_cbranch_execz .LBB2013_151
; %bb.150:
	v_mul_u32_u24_e32 v5, 12, v8
	ds_write2_b32 v5, v2, v1 offset1:1
	ds_write_b8 v5, v4 offset:8
.LBB2013_151:
	s_or_b64 exec, exec, s[42:43]
	v_cmp_gt_u32_e32 vcc, 4, v0
	s_waitcnt lgkmcnt(0)
	s_barrier
	s_and_saveexec_b64 s[42:43], vcc
	s_cbranch_execz .LBB2013_157
; %bb.152:
	v_mul_u32_u24_e32 v6, 12, v0
	ds_read2_b32 v[4:5], v6 offset1:1
	ds_read_b32 v7, v6 offset:8
	v_and_b32_e32 v9, 3, v11
	v_cmp_ne_u32_e32 vcc, 0, v9
	s_waitcnt lgkmcnt(1)
	v_mov_b32_dpp v14, v4 row_shr:1 row_mask:0xf bank_mask:0xf
	v_mov_b32_dpp v12, v5 row_shr:1 row_mask:0xf bank_mask:0xf
	s_waitcnt lgkmcnt(0)
	v_mov_b32_dpp v13, v7 row_shr:1 row_mask:0xf bank_mask:0xf
	v_mov_b32_e32 v10, v7
	s_and_saveexec_b64 s[46:47], vcc
; %bb.153:
	v_mov_b32_e32 v10, 0
	v_cmp_eq_u16_sdwa vcc, v7, v10 src0_sel:BYTE_0 src1_sel:DWORD
	s_movk_i32 s3, 0xff00
	s_nop 0
	v_cndmask_b32_e32 v10, 0, v14, vcc
	v_add_u32_e32 v4, v10, v4
	v_cndmask_b32_e32 v10, 0, v12, vcc
	v_add_u32_e32 v5, v10, v5
	v_or_b32_e32 v10, v13, v7
	v_and_b32_e32 v10, 1, v10
	v_and_or_b32 v7, v7, s3, v10
; %bb.154:
	s_or_b64 exec, exec, s[46:47]
	v_mov_b32_dpp v13, v4 row_shr:2 row_mask:0xf bank_mask:0xf
	v_mov_b32_dpp v14, v5 row_shr:2 row_mask:0xf bank_mask:0xf
	;; [unrolled: 1-line block ×3, first 2 shown]
	v_cmp_lt_u32_e32 vcc, 1, v9
	s_and_saveexec_b64 s[46:47], vcc
; %bb.155:
	v_mov_b32_e32 v7, 0
	v_add_u32_e32 v9, v13, v4
	v_add_u32_e32 v13, v14, v5
	v_cmp_eq_u16_sdwa vcc, v10, v7 src0_sel:BYTE_0 src1_sel:DWORD
	v_or_b32_e32 v7, v12, v10
	v_and_b32_e32 v7, 1, v7
	v_cndmask_b32_e32 v4, v4, v9, vcc
	v_cndmask_b32_e32 v5, v5, v13, vcc
; %bb.156:
	s_or_b64 exec, exec, s[46:47]
	ds_write2_b32 v6, v4, v5 offset1:1
	ds_write_b8 v6, v7 offset:8
.LBB2013_157:
	s_or_b64 exec, exec, s[42:43]
	v_cmp_gt_u32_e32 vcc, 64, v0
	v_cmp_lt_u32_e64 s[42:43], 63, v0
	v_mov_b32_e32 v17, 0
	v_mov_b64_e32 v[6:7], 0
	s_waitcnt lgkmcnt(0)
	s_barrier
	s_and_saveexec_b64 s[46:47], s[42:43]
	s_cbranch_execz .LBB2013_159
; %bb.158:
	v_mad_u32_u24 v4, v8, 12, -12
	ds_read2_b32 v[6:7], v4 offset1:1
	ds_read_u8 v17, v4 offset:8
	v_cmp_eq_u32_e64 s[42:43], 0, v3
	v_and_b32_e32 v3, 1, v3
	s_waitcnt lgkmcnt(1)
	v_cndmask_b32_e64 v4, 0, v6, s[42:43]
	v_cndmask_b32_e64 v5, 0, v7, s[42:43]
	v_add_u32_e32 v2, v4, v2
	s_waitcnt lgkmcnt(0)
	v_and_b32_e32 v4, 1, v17
	v_cmp_eq_u32_e64 s[42:43], 1, v3
	v_add_u32_e32 v1, v5, v1
	s_nop 0
	v_cndmask_b32_e64 v3, v4, 1, s[42:43]
.LBB2013_159:
	s_or_b64 exec, exec, s[46:47]
	v_add_u32_e32 v4, -1, v11
	v_and_b32_e32 v5, 64, v11
	v_cmp_lt_i32_e64 s[42:43], v4, v5
	s_nop 1
	v_cndmask_b32_e64 v4, v4, v11, s[42:43]
	v_lshlrev_b32_e32 v4, 2, v4
	ds_bpermute_b32 v19, v4, v2
	ds_bpermute_b32 v21, v4, v1
	;; [unrolled: 1-line block ×3, first 2 shown]
	v_cmp_eq_u32_e64 s[42:43], 0, v11
	s_and_saveexec_b64 s[56:57], vcc
	s_cbranch_execz .LBB2013_204
; %bb.160:
	v_mov_b32_e32 v13, 0
	ds_read2_b32 v[8:9], v13 offset0:9 offset1:10
	ds_read_b32 v24, v13 offset:44
	s_waitcnt lgkmcnt(1)
	v_readfirstlane_b32 s3, v9
	s_and_saveexec_b64 s[46:47], s[42:43]
	s_cbranch_execz .LBB2013_162
; %bb.161:
	s_add_i32 s66, s2, 64
	s_mov_b32 s67, 0
	s_lshl_b64 s[68:69], s[66:67], 4
	s_add_u32 s68, s52, s68
	s_waitcnt lgkmcnt(0)
	v_and_b32_e32 v3, 0xff00, v24
	s_addc_u32 s69, s53, s69
	v_and_b32_e32 v2, 0xff0000, v24
	v_or_b32_sdwa v3, v3, v24 dst_sel:DWORD dst_unused:UNUSED_PAD src0_sel:DWORD src1_sel:BYTE_0
	s_and_b32 s71, s3, 0xff000000
	s_mov_b32 s70, s67
	s_and_b32 s73, s3, 0xff0000
	s_mov_b32 s72, s67
	v_and_b32_e32 v1, 0xff000000, v24
	v_or_b32_e32 v2, v3, v2
	s_and_b32 s75, s3, 0xff00
	s_mov_b32 s74, s67
	s_and_b32 s55, s3, 0xff
	s_or_b64 s[66:67], s[70:71], s[72:73]
	v_or_b32_e32 v4, v2, v1
	s_or_b64 s[66:67], s[66:67], s[74:75]
	v_mov_b32_e32 v1, s55
	v_or_b32_e32 v2, s66, v8
	v_or_b32_e32 v3, s67, v1
	v_mov_b32_e32 v5, 1
	v_mov_b64_e32 v[14:15], s[68:69]
	;;#ASMSTART
	global_store_dwordx4 v[14:15], v[2:5] off sc1	
s_waitcnt vmcnt(0)
	;;#ASMEND
.LBB2013_162:
	s_or_b64 exec, exec, s[46:47]
	v_xad_u32 v10, v11, -1, s2
	v_add_u32_e32 v12, 64, v10
	v_lshl_add_u64 v[14:15], v[12:13], 4, s[52:53]
	;;#ASMSTART
	global_load_dwordx4 v[2:5], v[14:15] off sc1	
s_waitcnt vmcnt(0)
	;;#ASMEND
	s_nop 0
	v_lshlrev_b64 v[26:27], 24, v[4:5]
	v_lshrrev_b32_e32 v1, 8, v3
	v_or_b32_e32 v16, v1, v26
	v_lshlrev_b64 v[26:27], 16, v[4:5]
	v_or_b32_sdwa v18, v3, v26 dst_sel:DWORD dst_unused:UNUSED_PAD src0_sel:WORD_1 src1_sel:DWORD
	v_lshlrev_b64 v[26:27], 8, v[4:5]
	v_alignbit_b32 v9, v3, v2, 8
	v_alignbit_b32 v25, v3, v2, 16
	;; [unrolled: 1-line block ×3, first 2 shown]
	v_mov_b32_e32 v12, v3
	v_or_b32_sdwa v20, v3, v26 dst_sel:DWORD dst_unused:UNUSED_PAD src0_sel:BYTE_3 src1_sel:DWORD
	v_cmp_eq_u16_sdwa s[66:67], v5, v13 src0_sel:BYTE_0 src1_sel:DWORD
	s_and_saveexec_b64 s[46:47], s[66:67]
	s_cbranch_execz .LBB2013_168
; %bb.163:
	s_mov_b32 s55, 1
	s_mov_b64 s[66:67], 0
	v_mov_b32_e32 v1, 0
.LBB2013_164:                           ; =>This Loop Header: Depth=1
                                        ;     Child Loop BB2013_165 Depth 2
	s_max_u32 s68, s55, 1
.LBB2013_165:                           ;   Parent Loop BB2013_164 Depth=1
                                        ; =>  This Inner Loop Header: Depth=2
	s_add_i32 s68, s68, -1
	s_cmp_eq_u32 s68, 0
	s_sleep 1
	s_cbranch_scc0 .LBB2013_165
; %bb.166:                              ;   in Loop: Header=BB2013_164 Depth=1
	s_cmp_lt_u32 s55, 32
	s_cselect_b64 s[68:69], -1, 0
	s_cmp_lg_u64 s[68:69], 0
	s_addc_u32 s55, s55, 0
	;;#ASMSTART
	global_load_dwordx4 v[2:5], v[14:15] off sc1	
s_waitcnt vmcnt(0)
	;;#ASMEND
	s_nop 0
	v_cmp_ne_u16_sdwa s[68:69], v5, v1 src0_sel:BYTE_0 src1_sel:DWORD
	s_or_b64 s[66:67], s[68:69], s[66:67]
	s_andn2_b64 exec, exec, s[66:67]
	s_cbranch_execnz .LBB2013_164
; %bb.167:
	s_or_b64 exec, exec, s[66:67]
	v_lshlrev_b64 v[14:15], 24, v[4:5]
	v_lshrrev_b32_e32 v1, 8, v3
	v_or_b32_e32 v16, v1, v14
	v_lshlrev_b64 v[14:15], 16, v[4:5]
	v_or_b32_sdwa v18, v3, v14 dst_sel:DWORD dst_unused:UNUSED_PAD src0_sel:WORD_1 src1_sel:DWORD
	v_lshlrev_b64 v[14:15], 8, v[4:5]
	v_alignbit_b32 v9, v3, v2, 8
	v_alignbit_b32 v25, v3, v2, 16
	;; [unrolled: 1-line block ×3, first 2 shown]
	v_mov_b32_e32 v12, v3
	v_or_b32_sdwa v20, v3, v14 dst_sel:DWORD dst_unused:UNUSED_PAD src0_sel:BYTE_3 src1_sel:DWORD
.LBB2013_168:
	s_or_b64 exec, exec, s[46:47]
	v_lshlrev_b32_e32 v3, 16, v18
	v_lshlrev_b32_e32 v1, 24, v20
	v_and_b32_e32 v3, 0xff0000, v3
	v_or_b32_e32 v1, v3, v1
	v_lshlrev_b32_e32 v3, 8, v16
	v_and_b32_e32 v3, 0xff00, v3
	v_and_b32_e32 v12, 0xff, v12
	v_or3_b32 v1, v1, v3, v12
	v_lshlrev_b32_e32 v3, 16, v25
	s_mov_b32 s46, 0x4020c0c
	v_lshlrev_b32_e32 v9, 8, v9
	v_perm_b32 v3, v22, v3, s46
	s_mov_b32 s46, 0xc0c0500
	v_perm_b32 v2, v9, v2, s46
	v_and_b32_e32 v9, 63, v11
	v_or_b32_e32 v2, v2, v3
	v_mov_b32_e32 v3, 2
	v_cmp_ne_u32_e32 vcc, 63, v9
	v_cmp_eq_u16_sdwa s[46:47], v5, v3 src0_sel:BYTE_0 src1_sel:DWORD
	v_lshlrev_b64 v[12:13], v11, -1
	v_addc_co_u32_e32 v15, vcc, 0, v11, vcc
	v_and_b32_e32 v3, s47, v13
	v_and_b32_e32 v14, 0xff, v4
	v_lshlrev_b32_e32 v25, 2, v15
	v_or_b32_e32 v3, 0x80000000, v3
	ds_bpermute_b32 v18, v25, v2
	ds_bpermute_b32 v16, v25, v1
	;; [unrolled: 1-line block ×3, first 2 shown]
	v_and_b32_e32 v20, s46, v12
	v_ffbl_b32_e32 v3, v3
	v_add_u32_e32 v3, 32, v3
	v_ffbl_b32_e32 v20, v20
	v_min_u32_e32 v3, v20, v3
	v_cmp_lt_u32_e32 vcc, v9, v3
	s_and_saveexec_b64 s[46:47], vcc
	s_cbranch_execz .LBB2013_170
; %bb.169:
	v_mov_b32_e32 v14, 0
	v_cmp_eq_u16_sdwa vcc, v4, v14 src0_sel:BYTE_0 src1_sel:DWORD
	s_waitcnt lgkmcnt(0)
	v_or_b32_e32 v4, v4, v15
	v_and_b32_e32 v4, 1, v4
	v_cndmask_b32_e32 v14, 0, v18, vcc
	v_add_u32_e32 v2, v14, v2
	v_cndmask_b32_e32 v14, 0, v16, vcc
	v_add_u32_e32 v1, v14, v1
	v_and_b32_e32 v14, 0xffff, v4
.LBB2013_170:
	s_or_b64 exec, exec, s[46:47]
	v_cmp_gt_u32_e32 vcc, 62, v9
	v_add_u32_e32 v27, 2, v9
	s_waitcnt lgkmcnt(0)
	v_cndmask_b32_e64 v15, 0, 1, vcc
	v_lshlrev_b32_e32 v15, 1, v15
	v_add_lshl_u32 v26, v15, v11, 2
	ds_bpermute_b32 v16, v26, v2
	ds_bpermute_b32 v18, v26, v1
	ds_bpermute_b32 v15, v26, v14
	v_cmp_le_u32_e32 vcc, v27, v3
	s_and_saveexec_b64 s[46:47], vcc
	s_cbranch_execz .LBB2013_172
; %bb.171:
	v_mov_b32_e32 v14, 0
	v_cmp_eq_u16_sdwa vcc, v4, v14 src0_sel:BYTE_0 src1_sel:DWORD
	s_waitcnt lgkmcnt(0)
	v_or_b32_e32 v4, v15, v4
	v_add_u32_e32 v16, v16, v2
	v_add_u32_e32 v18, v18, v1
	v_and_b32_e32 v14, 1, v4
	v_cndmask_b32_e32 v2, v2, v16, vcc
	v_cndmask_b32_e32 v1, v1, v18, vcc
	v_mov_b32_e32 v4, v14
.LBB2013_172:
	s_or_b64 exec, exec, s[46:47]
	v_cmp_gt_u32_e32 vcc, 60, v9
	v_add_u32_e32 v29, 4, v9
	s_waitcnt lgkmcnt(0)
	v_cndmask_b32_e64 v15, 0, 1, vcc
	v_lshlrev_b32_e32 v15, 2, v15
	v_add_lshl_u32 v28, v15, v11, 2
	ds_bpermute_b32 v16, v28, v2
	ds_bpermute_b32 v18, v28, v1
	ds_bpermute_b32 v15, v28, v14
	v_cmp_le_u32_e32 vcc, v29, v3
	s_and_saveexec_b64 s[46:47], vcc
	s_cbranch_execz .LBB2013_174
; %bb.173:
	v_mov_b32_e32 v14, 0
	v_cmp_eq_u16_sdwa vcc, v4, v14 src0_sel:BYTE_0 src1_sel:DWORD
	s_waitcnt lgkmcnt(0)
	v_or_b32_e32 v4, v15, v4
	v_add_u32_e32 v16, v16, v2
	v_add_u32_e32 v18, v18, v1
	v_and_b32_e32 v14, 1, v4
	v_cndmask_b32_e32 v2, v2, v16, vcc
	v_cndmask_b32_e32 v1, v1, v18, vcc
	v_mov_b32_e32 v4, v14
.LBB2013_174:
	;; [unrolled: 25-line block ×4, first 2 shown]
	s_or_b64 exec, exec, s[46:47]
	v_cmp_gt_u32_e32 vcc, 32, v9
	v_add_u32_e32 v38, 32, v9
	s_waitcnt lgkmcnt(0)
	v_cndmask_b32_e64 v15, 0, 1, vcc
	v_lshlrev_b32_e32 v15, 5, v15
	v_add_lshl_u32 v36, v15, v11, 2
	ds_bpermute_b32 v15, v36, v2
	ds_bpermute_b32 v16, v36, v1
	;; [unrolled: 1-line block ×3, first 2 shown]
	v_cmp_le_u32_e32 vcc, v38, v3
	s_and_saveexec_b64 s[46:47], vcc
	s_cbranch_execz .LBB2013_180
; %bb.179:
	v_mov_b32_e32 v3, 0
	s_waitcnt lgkmcnt(2)
	v_add_u32_e32 v14, v15, v2
	s_waitcnt lgkmcnt(1)
	v_add_u32_e32 v15, v16, v1
	v_cmp_eq_u16_sdwa vcc, v4, v3 src0_sel:BYTE_0 src1_sel:DWORD
	s_waitcnt lgkmcnt(0)
	v_or_b32_e32 v3, v11, v4
	v_cndmask_b32_e32 v2, v2, v14, vcc
	v_cndmask_b32_e32 v1, v1, v15, vcc
	v_and_b32_e32 v14, 1, v3
.LBB2013_180:
	s_or_b64 exec, exec, s[46:47]
	s_movk_i32 s55, 0xff
	s_waitcnt lgkmcnt(0)
	v_mov_b32_e32 v11, 0
	s_mov_b32 s68, 0x4020c0c
	s_mov_b32 s69, 0xc0c0500
	v_mov_b32_e32 v39, 2
	s_branch .LBB2013_182
.LBB2013_181:                           ;   in Loop: Header=BB2013_182 Depth=1
	s_or_b64 exec, exec, s[46:47]
	s_waitcnt lgkmcnt(0)
	ds_bpermute_b32 v15, v36, v2
	ds_bpermute_b32 v16, v36, v1
	;; [unrolled: 1-line block ×3, first 2 shown]
	v_cmp_eq_u16_sdwa vcc, v4, v11 src0_sel:BYTE_0 src1_sel:DWORD
	v_subrev_u32_e32 v10, 64, v10
	s_waitcnt lgkmcnt(2)
	v_add_u32_e32 v15, v15, v2
	s_waitcnt lgkmcnt(1)
	v_add_u32_e32 v16, v16, v1
	v_cndmask_b32_e32 v15, v2, v15, vcc
	v_cndmask_b32_e32 v16, v1, v16, vcc
	s_waitcnt lgkmcnt(0)
	v_and_or_b32 v4, v4, s55, v18
	v_cmp_gt_u32_e32 vcc, v38, v3
	s_nop 1
	v_cndmask_b32_e32 v3, v4, v14, vcc
	v_cndmask_b32_e32 v2, v15, v2, vcc
	;; [unrolled: 1-line block ×3, first 2 shown]
	v_cmp_eq_u16_sdwa vcc, v34, v11 src0_sel:BYTE_0 src1_sel:DWORD
	v_and_b32_e32 v4, 1, v34
	v_and_b32_e32 v3, 1, v3
	v_cndmask_b32_e32 v2, 0, v2, vcc
	v_cndmask_b32_e32 v1, 0, v1, vcc
	v_cmp_eq_u32_e32 vcc, 1, v4
	v_cmp_eq_u32_e64 s[46:47], 1, v3
	s_or_b64 s[46:47], vcc, s[46:47]
	v_add_u32_e32 v2, v2, v37
	v_add_u32_e32 v1, v1, v35
	v_cndmask_b32_e64 v14, 0, 1, s[46:47]
.LBB2013_182:                           ; =>This Loop Header: Depth=1
                                        ;     Child Loop BB2013_185 Depth 2
                                        ;       Child Loop BB2013_186 Depth 3
	v_cmp_ne_u16_sdwa s[46:47], v5, v39 src0_sel:BYTE_0 src1_sel:DWORD
	v_mov_b32_e32 v35, v1
	v_mov_b32_e32 v34, v14
	v_cndmask_b32_e64 v1, 0, 1, s[46:47]
	;;#ASMSTART
	;;#ASMEND
	v_mov_b32_e32 v37, v2
	v_cmp_ne_u32_e32 vcc, 0, v1
	s_cmp_lg_u64 vcc, exec
	s_cbranch_scc1 .LBB2013_199
; %bb.183:                              ;   in Loop: Header=BB2013_182 Depth=1
	v_lshl_add_u64 v[14:15], v[10:11], 4, s[52:53]
	;;#ASMSTART
	global_load_dwordx4 v[2:5], v[14:15] off sc1	
s_waitcnt vmcnt(0)
	;;#ASMEND
	s_nop 0
	v_lshlrev_b64 v[82:83], 24, v[4:5]
	v_lshrrev_b32_e32 v1, 8, v3
	v_or_b32_e32 v18, v1, v82
	v_lshlrev_b64 v[82:83], 16, v[4:5]
	v_or_b32_sdwa v20, v3, v82 dst_sel:DWORD dst_unused:UNUSED_PAD src0_sel:WORD_1 src1_sel:DWORD
	v_lshlrev_b64 v[82:83], 8, v[4:5]
	v_alignbit_b32 v78, v3, v2, 8
	v_alignbit_b32 v79, v3, v2, 16
	;; [unrolled: 1-line block ×3, first 2 shown]
	v_mov_b32_e32 v16, v3
	v_or_b32_sdwa v22, v3, v82 dst_sel:DWORD dst_unused:UNUSED_PAD src0_sel:BYTE_3 src1_sel:DWORD
	v_cmp_eq_u16_sdwa s[66:67], v5, v11 src0_sel:BYTE_0 src1_sel:DWORD
	s_and_saveexec_b64 s[46:47], s[66:67]
	s_cbranch_execz .LBB2013_189
; %bb.184:                              ;   in Loop: Header=BB2013_182 Depth=1
	s_mov_b32 s70, 1
	s_mov_b64 s[66:67], 0
.LBB2013_185:                           ;   Parent Loop BB2013_182 Depth=1
                                        ; =>  This Loop Header: Depth=2
                                        ;       Child Loop BB2013_186 Depth 3
	s_max_u32 s71, s70, 1
.LBB2013_186:                           ;   Parent Loop BB2013_182 Depth=1
                                        ;     Parent Loop BB2013_185 Depth=2
                                        ; =>    This Inner Loop Header: Depth=3
	s_add_i32 s71, s71, -1
	s_cmp_eq_u32 s71, 0
	s_sleep 1
	s_cbranch_scc0 .LBB2013_186
; %bb.187:                              ;   in Loop: Header=BB2013_185 Depth=2
	s_cmp_lt_u32 s70, 32
	s_cselect_b64 s[72:73], -1, 0
	s_cmp_lg_u64 s[72:73], 0
	s_addc_u32 s70, s70, 0
	;;#ASMSTART
	global_load_dwordx4 v[2:5], v[14:15] off sc1	
s_waitcnt vmcnt(0)
	;;#ASMEND
	s_nop 0
	v_cmp_ne_u16_sdwa s[72:73], v5, v11 src0_sel:BYTE_0 src1_sel:DWORD
	s_or_b64 s[66:67], s[72:73], s[66:67]
	s_andn2_b64 exec, exec, s[66:67]
	s_cbranch_execnz .LBB2013_185
; %bb.188:                              ;   in Loop: Header=BB2013_182 Depth=1
	s_or_b64 exec, exec, s[66:67]
	v_lshlrev_b64 v[14:15], 24, v[4:5]
	v_lshrrev_b32_e32 v1, 8, v3
	v_or_b32_e32 v18, v1, v14
	v_lshlrev_b64 v[14:15], 16, v[4:5]
	v_or_b32_sdwa v20, v3, v14 dst_sel:DWORD dst_unused:UNUSED_PAD src0_sel:WORD_1 src1_sel:DWORD
	v_lshlrev_b64 v[14:15], 8, v[4:5]
	v_alignbit_b32 v78, v3, v2, 8
	v_alignbit_b32 v79, v3, v2, 16
	;; [unrolled: 1-line block ×3, first 2 shown]
	v_mov_b32_e32 v16, v3
	v_or_b32_sdwa v22, v3, v14 dst_sel:DWORD dst_unused:UNUSED_PAD src0_sel:BYTE_3 src1_sel:DWORD
.LBB2013_189:                           ;   in Loop: Header=BB2013_182 Depth=1
	s_or_b64 exec, exec, s[46:47]
	v_lshlrev_b32_e32 v3, 16, v20
	v_lshlrev_b32_e32 v1, 24, v22
	v_and_b32_e32 v3, 0xff0000, v3
	v_or_b32_e32 v1, v3, v1
	v_lshlrev_b32_e32 v3, 8, v18
	v_and_b32_e32 v3, 0xff00, v3
	v_and_b32_e32 v14, 0xff, v16
	v_or3_b32 v1, v1, v3, v14
	v_lshlrev_b32_e32 v3, 16, v79
	v_lshlrev_b32_e32 v14, 8, v78
	v_perm_b32 v3, v80, v3, s68
	v_perm_b32 v2, v14, v2, s69
	v_cmp_eq_u16_sdwa s[46:47], v5, v39 src0_sel:BYTE_0 src1_sel:DWORD
	v_or_b32_e32 v2, v2, v3
	v_and_b32_e32 v14, 0xff, v4
	v_and_b32_e32 v3, s47, v13
	v_or_b32_e32 v3, 0x80000000, v3
	ds_bpermute_b32 v18, v25, v2
	ds_bpermute_b32 v16, v25, v1
	ds_bpermute_b32 v15, v25, v14
	v_and_b32_e32 v20, s46, v12
	v_ffbl_b32_e32 v3, v3
	v_add_u32_e32 v3, 32, v3
	v_ffbl_b32_e32 v20, v20
	v_min_u32_e32 v3, v20, v3
	v_cmp_lt_u32_e32 vcc, v9, v3
	s_and_saveexec_b64 s[46:47], vcc
	s_cbranch_execz .LBB2013_191
; %bb.190:                              ;   in Loop: Header=BB2013_182 Depth=1
	v_cmp_eq_u16_sdwa vcc, v4, v11 src0_sel:BYTE_0 src1_sel:DWORD
	s_waitcnt lgkmcnt(0)
	v_or_b32_e32 v4, v15, v4
	v_cndmask_b32_e32 v14, 0, v18, vcc
	v_add_u32_e32 v2, v14, v2
	v_cndmask_b32_e32 v14, 0, v16, vcc
	v_add_u32_e32 v1, v14, v1
	v_and_b32_e32 v14, 1, v4
	v_mov_b32_e32 v4, v14
.LBB2013_191:                           ;   in Loop: Header=BB2013_182 Depth=1
	s_or_b64 exec, exec, s[46:47]
	s_waitcnt lgkmcnt(1)
	ds_bpermute_b32 v16, v26, v2
	ds_bpermute_b32 v18, v26, v1
	s_waitcnt lgkmcnt(2)
	ds_bpermute_b32 v15, v26, v14
	v_cmp_le_u32_e32 vcc, v27, v3
	s_and_saveexec_b64 s[46:47], vcc
	s_cbranch_execz .LBB2013_193
; %bb.192:                              ;   in Loop: Header=BB2013_182 Depth=1
	s_waitcnt lgkmcnt(2)
	v_add_u32_e32 v14, v16, v2
	v_cmp_eq_u16_sdwa vcc, v4, v11 src0_sel:BYTE_0 src1_sel:DWORD
	s_waitcnt lgkmcnt(0)
	v_or_b32_e32 v4, v15, v4
	v_add_u32_e32 v16, v18, v1
	v_cndmask_b32_e32 v2, v2, v14, vcc
	v_and_b32_e32 v14, 1, v4
	v_cndmask_b32_e32 v1, v1, v16, vcc
	v_mov_b32_e32 v4, v14
.LBB2013_193:                           ;   in Loop: Header=BB2013_182 Depth=1
	s_or_b64 exec, exec, s[46:47]
	s_waitcnt lgkmcnt(2)
	ds_bpermute_b32 v16, v28, v2
	s_waitcnt lgkmcnt(2)
	ds_bpermute_b32 v18, v28, v1
	s_waitcnt lgkmcnt(2)
	ds_bpermute_b32 v15, v28, v14
	v_cmp_le_u32_e32 vcc, v29, v3
	s_and_saveexec_b64 s[46:47], vcc
	s_cbranch_execz .LBB2013_195
; %bb.194:                              ;   in Loop: Header=BB2013_182 Depth=1
	s_waitcnt lgkmcnt(2)
	v_add_u32_e32 v14, v16, v2
	v_cmp_eq_u16_sdwa vcc, v4, v11 src0_sel:BYTE_0 src1_sel:DWORD
	s_waitcnt lgkmcnt(0)
	v_or_b32_e32 v4, v15, v4
	v_add_u32_e32 v16, v18, v1
	v_cndmask_b32_e32 v2, v2, v14, vcc
	v_and_b32_e32 v14, 1, v4
	v_cndmask_b32_e32 v1, v1, v16, vcc
	v_mov_b32_e32 v4, v14
.LBB2013_195:                           ;   in Loop: Header=BB2013_182 Depth=1
	s_or_b64 exec, exec, s[46:47]
	s_waitcnt lgkmcnt(2)
	ds_bpermute_b32 v16, v30, v2
	s_waitcnt lgkmcnt(2)
	;; [unrolled: 22-line block ×3, first 2 shown]
	ds_bpermute_b32 v18, v32, v1
	s_waitcnt lgkmcnt(2)
	ds_bpermute_b32 v15, v32, v14
	v_cmp_le_u32_e32 vcc, v33, v3
	s_and_saveexec_b64 s[46:47], vcc
	s_cbranch_execz .LBB2013_181
; %bb.198:                              ;   in Loop: Header=BB2013_182 Depth=1
	s_waitcnt lgkmcnt(2)
	v_add_u32_e32 v14, v16, v2
	v_cmp_eq_u16_sdwa vcc, v4, v11 src0_sel:BYTE_0 src1_sel:DWORD
	s_waitcnt lgkmcnt(0)
	v_or_b32_e32 v4, v15, v4
	v_add_u32_e32 v16, v18, v1
	v_cndmask_b32_e32 v2, v2, v14, vcc
	v_and_b32_e32 v14, 1, v4
	v_cndmask_b32_e32 v1, v1, v16, vcc
	v_mov_b32_e32 v4, v14
	s_branch .LBB2013_181
.LBB2013_199:                           ;   in Loop: Header=BB2013_182 Depth=1
                                        ; implicit-def: $vgpr14
                                        ; implicit-def: $vgpr1
                                        ; implicit-def: $vgpr5
                                        ; implicit-def: $vgpr2_vgpr3
	s_cbranch_execz .LBB2013_182
; %bb.200:
	s_and_saveexec_b64 s[46:47], s[42:43]
	s_cbranch_execz .LBB2013_202
; %bb.201:
	v_mov_b32_e32 v1, 0
	v_cmp_eq_u16_sdwa vcc, v24, v1 src0_sel:BYTE_0 src1_sel:DWORD
	s_mov_b32 s67, 0
	v_or_b32_e32 v3, v24, v34
	v_cndmask_b32_e32 v2, 0, v35, vcc
	s_add_i32 s66, s2, 64
	v_add_u32_e32 v2, s3, v2
	v_and_b32_e32 v3, 1, v3
	s_lshl_b64 s[2:3], s[66:67], 4
	v_cndmask_b32_e32 v1, 0, v37, vcc
	s_add_u32 s2, s52, s2
	v_cmp_eq_u32_e32 vcc, 1, v3
	v_and_b32_e32 v3, 0xff000000, v2
	v_and_b32_e32 v5, 0xff0000, v2
	v_add_u32_e32 v1, v1, v8
	s_addc_u32 s3, s53, s3
	v_and_b32_e32 v8, 0xff00, v2
	v_and_b32_e32 v2, 0xff, v2
	v_or_b32_e32 v3, v3, v5
	v_cndmask_b32_e64 v4, 0, 1, vcc
	v_or3_b32 v3, v3, v8, v2
	v_or3_b32 v2, 0, 0, v1
	v_mov_b32_e32 v5, 2
	v_mov_b64_e32 v[8:9], s[2:3]
	;;#ASMSTART
	global_store_dwordx4 v[8:9], v[2:5] off sc1	
s_waitcnt vmcnt(0)
	;;#ASMEND
.LBB2013_202:
	s_or_b64 exec, exec, s[46:47]
	v_cmp_eq_u32_e32 vcc, 0, v0
	s_and_b64 exec, exec, vcc
	s_cbranch_execz .LBB2013_204
; %bb.203:
	v_mov_b32_e32 v1, 0
	ds_write2_b32 v1, v37, v35 offset0:9 offset1:10
	ds_write_b8 v1, v34 offset:44
.LBB2013_204:
	s_or_b64 exec, exec, s[56:57]
	v_mov_b32_e32 v1, 0
	s_waitcnt lgkmcnt(0)
	s_barrier
	ds_read2_b32 v[2:3], v1 offset0:9 offset1:10
	v_cndmask_b32_e64 v4, v23, v17, s[42:43]
	v_cmp_eq_u32_sdwa vcc, v4, v1 src0_sel:BYTE_0 src1_sel:DWORD
	v_cndmask_b32_e64 v5, v19, v6, s[42:43]
	v_cndmask_b32_e64 v6, v21, v7, s[42:43]
	s_waitcnt lgkmcnt(0)
	v_cndmask_b32_e32 v1, 0, v2, vcc
	v_cndmask_b32_e32 v4, 0, v3, vcc
	v_add_u32_e32 v1, v1, v5
	v_add_u32_e32 v4, v4, v6
	v_cmp_eq_u32_e32 vcc, 0, v0
	s_nop 1
	v_cndmask_b32_e32 v9, v4, v3, vcc
	v_cndmask_b32_e32 v8, v1, v2, vcc
	v_cmp_eq_u32_e32 vcc, 0, v64
	s_nop 1
	v_cndmask_b32_e32 v1, 0, v8, vcc
	v_add_u32_e32 v78, v1, v40
	v_cndmask_b32_e32 v1, 0, v9, vcc
	v_add_u32_e32 v79, v1, v41
	v_cndmask_b32_e64 v1, 0, v78, s[44:45]
	v_add_u32_e32 v2, v1, v50
	v_cndmask_b32_e64 v1, 0, v79, s[44:45]
	;; [unrolled: 2-line block ×37, first 2 shown]
	v_cndmask_b32_e64 v126, 0, v101, s[40:41]
	s_branch .LBB2013_237
.LBB2013_205:
                                        ; implicit-def: $vgpr6_vgpr7_vgpr8_vgpr9
                                        ; implicit-def: $vgpr126
                                        ; implicit-def: $vgpr1
                                        ; implicit-def: $vgpr101
                                        ; implicit-def: $vgpr99
                                        ; implicit-def: $vgpr97
                                        ; implicit-def: $vgpr94
                                        ; implicit-def: $vgpr93
                                        ; implicit-def: $vgpr91
                                        ; implicit-def: $vgpr89
                                        ; implicit-def: $vgpr87
                                        ; implicit-def: $vgpr85
                                        ; implicit-def: $vgpr83
                                        ; implicit-def: $vgpr81
                                        ; implicit-def: $vgpr79
                                        ; implicit-def: $vgpr36_vgpr37_vgpr38_vgpr39
                                        ; implicit-def: $vgpr32_vgpr33_vgpr34_vgpr35
                                        ; implicit-def: $vgpr28_vgpr29_vgpr30_vgpr31
                                        ; implicit-def: $vgpr24_vgpr25_vgpr26_vgpr27
                                        ; implicit-def: $vgpr20_vgpr21_vgpr22_vgpr23
                                        ; implicit-def: $vgpr16_vgpr17_vgpr18_vgpr19
                                        ; implicit-def: $vgpr12_vgpr13_vgpr14_vgpr15
                                        ; implicit-def: $vgpr2_vgpr3_vgpr4_vgpr5
                                        ; implicit-def: $vgpr8_vgpr9_vgpr10_vgpr11
	s_cbranch_execz .LBB2013_237
; %bb.206:
	s_cmp_lg_u64 s[64:65], 0
	s_cselect_b32 s3, s59, 0
	s_cselect_b32 s2, s58, 0
	s_cmp_eq_u64 s[2:3], 0
	s_cbranch_scc1 .LBB2013_208
; %bb.207:
	v_mov_b32_e32 v1, 0
	global_load_dwordx2 v[2:3], v1, s[2:3]
	s_waitcnt vmcnt(0)
	v_readfirstlane_b32 s62, v2
	v_readfirstlane_b32 s63, v3
.LBB2013_208:
	v_mov_b32_e32 v1, 0
	v_cmp_eq_u16_sdwa s[4:5], v57, v1 src0_sel:BYTE_0 src1_sel:DWORD
	v_cmp_eq_u16_sdwa s[8:9], v61, v1 src0_sel:BYTE_0 src1_sel:DWORD
	;; [unrolled: 1-line block ×3, first 2 shown]
	v_cndmask_b32_e64 v2, 0, v40, s[4:5]
	v_add_u32_e32 v2, v2, v50
	v_cndmask_b32_e64 v3, 0, v41, s[4:5]
	v_add_u32_e32 v3, v3, v49
	;; [unrolled: 2-line block ×5, first 2 shown]
	v_cndmask_b32_e64 v3, 0, v3, s[12:13]
	v_cmp_eq_u16_sdwa s[16:17], v70, v1 src0_sel:BYTE_0 src1_sel:DWORD
	v_add_u32_e32 v3, v3, v53
	v_cmp_eq_u16_sdwa s[18:19], v73, v1 src0_sel:BYTE_0 src1_sel:DWORD
	v_cndmask_b32_e64 v2, 0, v2, s[16:17]
	v_add_u32_e32 v2, v2, v56
	v_cndmask_b32_e64 v3, 0, v3, s[16:17]
	v_add_u32_e32 v3, v3, v55
	v_cndmask_b32_e64 v2, 0, v2, s[18:19]
	v_add_u32_e32 v2, v2, v59
	v_cndmask_b32_e64 v3, 0, v3, s[18:19]
	v_cmp_eq_u16_sdwa s[20:21], v77, v1 src0_sel:BYTE_0 src1_sel:DWORD
	v_add_u32_e32 v3, v3, v58
	v_cmp_eq_u16_sdwa s[22:23], v102, v1 src0_sel:BYTE_0 src1_sel:DWORD
	v_cndmask_b32_e64 v2, 0, v2, s[20:21]
	v_add_u32_e32 v2, v2, v63
	v_cndmask_b32_e64 v3, 0, v3, s[20:21]
	v_add_u32_e32 v3, v3, v62
	v_cndmask_b32_e64 v2, 0, v2, s[22:23]
	v_add_u32_e32 v2, v2, v67
	;; [unrolled: 10-line block ×7, first 2 shown]
	v_cndmask_b32_e64 v3, 0, v3, s[10:11]
	v_cmp_eq_u16_sdwa s[14:15], v120, v1 src0_sel:BYTE_0 src1_sel:DWORD
	v_add_u32_e32 v3, v3, v107
	v_cmp_eq_u16_sdwa vcc, v60, v1 src0_sel:BYTE_0 src1_sel:DWORD
	v_cndmask_b32_e64 v2, 0, v2, s[14:15]
	v_add_u32_e32 v2, v2, v111
	v_cndmask_b32_e64 v3, 0, v3, s[14:15]
	v_add_u32_e32 v3, v3, v109
	v_cndmask_b32_e32 v2, 0, v2, vcc
	v_add_u32_e32 v2, v2, v103
	v_cndmask_b32_e32 v3, 0, v3, vcc
	v_cmp_eq_u16_sdwa s[40:41], v121, v1 src0_sel:BYTE_0 src1_sel:DWORD
	v_add_u32_e32 v3, v3, v48
	s_nop 0
	v_cndmask_b32_e64 v1, 0, v2, s[40:41]
	v_add_u32_e32 v2, v1, v122
	v_cndmask_b32_e64 v1, 0, v3, s[40:41]
	v_or_b32_e32 v3, v125, v119
	v_or_b32_e32 v3, v3, v118
	;; [unrolled: 1-line block ×17, first 2 shown]
	v_and_b32_e32 v3, 1, v3
	v_cmp_eq_u32_e64 s[40:41], 1, v3
	v_mbcnt_hi_u32_b32 v3, -1, v124
	v_add_u32_e32 v1, v1, v123
	v_cndmask_b32_e64 v7, v64, 1, s[40:41]
	v_and_b32_e32 v4, 15, v3
	v_mov_b32_dpp v5, v2 row_shr:1 row_mask:0xf bank_mask:0xf
	v_mov_b32_dpp v6, v1 row_shr:1 row_mask:0xf bank_mask:0xf
	;; [unrolled: 1-line block ×3, first 2 shown]
	v_cmp_ne_u32_e64 s[40:41], 0, v4
	s_and_saveexec_b64 s[42:43], s[40:41]
; %bb.209:
	v_cmp_eq_u32_e64 s[40:41], 0, v7
	v_and_or_b32 v7, v8, 1, v7
	s_nop 0
	v_cndmask_b32_e64 v5, 0, v5, s[40:41]
	v_add_u32_e32 v2, v5, v2
	v_cndmask_b32_e64 v5, 0, v6, s[40:41]
	v_add_u32_e32 v1, v5, v1
; %bb.210:
	s_or_b64 exec, exec, s[42:43]
	v_mov_b32_dpp v6, v2 row_shr:2 row_mask:0xf bank_mask:0xf
	v_mov_b32_dpp v8, v1 row_shr:2 row_mask:0xf bank_mask:0xf
	;; [unrolled: 1-line block ×3, first 2 shown]
	v_cmp_lt_u32_e64 s[40:41], 1, v4
	s_and_saveexec_b64 s[42:43], s[40:41]
; %bb.211:
	v_add_u32_e32 v6, v6, v2
	v_add_u32_e32 v8, v8, v1
	v_cmp_eq_u32_e64 s[40:41], 0, v7
	v_or_b32_e32 v5, v5, v7
	v_and_b32_e32 v7, 1, v5
	v_cndmask_b32_e64 v2, v2, v6, s[40:41]
	v_cndmask_b32_e64 v1, v1, v8, s[40:41]
; %bb.212:
	s_or_b64 exec, exec, s[42:43]
	v_mov_b32_dpp v6, v2 row_shr:4 row_mask:0xf bank_mask:0xf
	v_mov_b32_dpp v8, v1 row_shr:4 row_mask:0xf bank_mask:0xf
	;; [unrolled: 1-line block ×3, first 2 shown]
	v_cmp_lt_u32_e64 s[40:41], 3, v4
	s_and_saveexec_b64 s[42:43], s[40:41]
; %bb.213:
	v_add_u32_e32 v6, v6, v2
	v_add_u32_e32 v8, v8, v1
	v_cmp_eq_u32_e64 s[40:41], 0, v7
	v_or_b32_e32 v5, v5, v7
	v_and_b32_e32 v7, 1, v5
	v_cndmask_b32_e64 v2, v2, v6, s[40:41]
	v_cndmask_b32_e64 v1, v1, v8, s[40:41]
; %bb.214:
	s_or_b64 exec, exec, s[42:43]
	v_mov_b32_dpp v6, v2 row_shr:8 row_mask:0xf bank_mask:0xf
	v_mov_b32_dpp v8, v1 row_shr:8 row_mask:0xf bank_mask:0xf
	;; [unrolled: 1-line block ×3, first 2 shown]
	v_cmp_lt_u32_e64 s[40:41], 7, v4
	s_and_saveexec_b64 s[42:43], s[40:41]
; %bb.215:
	v_add_u32_e32 v4, v6, v2
	v_cmp_eq_u32_e64 s[40:41], 0, v7
	v_add_u32_e32 v6, v8, v1
	s_nop 0
	v_cndmask_b32_e64 v2, v2, v4, s[40:41]
	v_or_b32_e32 v4, v5, v7
	v_cndmask_b32_e64 v1, v1, v6, s[40:41]
	v_and_b32_e32 v7, 1, v4
; %bb.216:
	s_or_b64 exec, exec, s[42:43]
	v_and_b32_e32 v8, 16, v3
	v_mov_b32_dpp v5, v2 row_bcast:15 row_mask:0xf bank_mask:0xf
	v_mov_b32_dpp v6, v1 row_bcast:15 row_mask:0xf bank_mask:0xf
	;; [unrolled: 1-line block ×3, first 2 shown]
	v_cmp_ne_u32_e64 s[40:41], 0, v8
	s_and_saveexec_b64 s[42:43], s[40:41]
; %bb.217:
	v_add_u32_e32 v5, v5, v2
	v_add_u32_e32 v6, v6, v1
	v_cmp_eq_u32_e64 s[40:41], 0, v7
	v_or_b32_e32 v4, v4, v7
	v_and_b32_e32 v7, 1, v4
	v_cndmask_b32_e64 v2, v2, v5, s[40:41]
	v_cndmask_b32_e64 v1, v1, v6, s[40:41]
; %bb.218:
	s_or_b64 exec, exec, s[42:43]
	v_mov_b32_dpp v6, v2 row_bcast:31 row_mask:0xf bank_mask:0xf
	v_mov_b32_dpp v8, v1 row_bcast:31 row_mask:0xf bank_mask:0xf
	;; [unrolled: 1-line block ×3, first 2 shown]
	v_cmp_lt_u32_e64 s[40:41], 31, v3
	v_mov_b32_e32 v4, v7
	s_and_saveexec_b64 s[42:43], s[40:41]
; %bb.219:
	v_add_u32_e32 v4, v6, v2
	v_add_u32_e32 v6, v8, v1
	v_cmp_eq_u32_e64 s[40:41], 0, v7
	v_or_b32_e32 v5, v5, v7
	v_and_b32_e32 v7, 1, v5
	v_cndmask_b32_e64 v2, v2, v4, s[40:41]
	v_cndmask_b32_e64 v1, v1, v6, s[40:41]
	v_and_b32_e32 v4, 1, v5
; %bb.220:
	s_or_b64 exec, exec, s[42:43]
	v_or_b32_e32 v5, 63, v0
	v_lshrrev_b32_e32 v10, 6, v0
	v_cmp_eq_u32_e64 s[40:41], v5, v0
	s_and_saveexec_b64 s[42:43], s[40:41]
	s_cbranch_execz .LBB2013_222
; %bb.221:
	v_mul_u32_u24_e32 v5, 12, v10
	ds_write2_b32 v5, v2, v1 offset1:1
	ds_write_b8 v5, v4 offset:8
.LBB2013_222:
	s_or_b64 exec, exec, s[42:43]
	v_cmp_gt_u32_e64 s[40:41], 4, v0
	s_waitcnt lgkmcnt(0)
	s_barrier
	s_and_saveexec_b64 s[42:43], s[40:41]
	s_cbranch_execz .LBB2013_228
; %bb.223:
	v_mul_u32_u24_e32 v6, 12, v0
	ds_read2_b32 v[4:5], v6 offset1:1
	ds_read_b32 v8, v6 offset:8
	v_and_b32_e32 v9, 3, v3
	v_cmp_ne_u32_e64 s[40:41], 0, v9
	s_waitcnt lgkmcnt(1)
	v_mov_b32_dpp v14, v4 row_shr:1 row_mask:0xf bank_mask:0xf
	v_mov_b32_dpp v12, v5 row_shr:1 row_mask:0xf bank_mask:0xf
	s_waitcnt lgkmcnt(0)
	v_mov_b32_dpp v13, v8 row_shr:1 row_mask:0xf bank_mask:0xf
	v_mov_b32_e32 v11, v8
	s_and_saveexec_b64 s[44:45], s[40:41]
; %bb.224:
	v_mov_b32_e32 v11, 0
	v_cmp_eq_u16_sdwa s[40:41], v8, v11 src0_sel:BYTE_0 src1_sel:DWORD
	s_nop 1
	v_cndmask_b32_e64 v11, 0, v14, s[40:41]
	v_add_u32_e32 v4, v11, v4
	v_cndmask_b32_e64 v11, 0, v12, s[40:41]
	v_add_u32_e32 v5, v11, v5
	v_or_b32_e32 v11, v13, v8
	v_and_b32_e32 v11, 1, v11
	s_movk_i32 s40, 0xff00
	v_and_or_b32 v8, v8, s40, v11
; %bb.225:
	s_or_b64 exec, exec, s[44:45]
	v_mov_b32_dpp v13, v4 row_shr:2 row_mask:0xf bank_mask:0xf
	v_mov_b32_dpp v14, v5 row_shr:2 row_mask:0xf bank_mask:0xf
	;; [unrolled: 1-line block ×3, first 2 shown]
	v_cmp_lt_u32_e64 s[40:41], 1, v9
	s_and_saveexec_b64 s[44:45], s[40:41]
; %bb.226:
	v_mov_b32_e32 v8, 0
	v_add_u32_e32 v9, v13, v4
	v_add_u32_e32 v13, v14, v5
	v_cmp_eq_u16_sdwa s[40:41], v11, v8 src0_sel:BYTE_0 src1_sel:DWORD
	v_or_b32_e32 v8, v12, v11
	v_and_b32_e32 v8, 1, v8
	v_cndmask_b32_e64 v4, v4, v9, s[40:41]
	v_cndmask_b32_e64 v5, v5, v13, s[40:41]
; %bb.227:
	s_or_b64 exec, exec, s[44:45]
	ds_write2_b32 v6, v4, v5 offset1:1
	ds_write_b8 v6, v8 offset:8
.LBB2013_228:
	s_or_b64 exec, exec, s[42:43]
	v_mov_b32_e32 v6, v41
	v_cmp_lt_u32_e64 s[40:41], 63, v0
	v_mov_b32_e32 v8, s62
	v_mov_b32_e32 v9, s63
	s_waitcnt lgkmcnt(0)
	s_barrier
	s_and_saveexec_b64 s[42:43], s[40:41]
	s_cbranch_execz .LBB2013_234
; %bb.229:
	v_mad_u32_u24 v4, v10, 12, -12
	ds_read_u8 v5, v4 offset:8
                                        ; implicit-def: $vgpr9
	s_waitcnt lgkmcnt(0)
	v_cmp_ne_u16_e64 s[40:41], 0, v5
	s_and_saveexec_b64 s[44:45], s[40:41]
	s_xor_b64 s[40:41], exec, s[44:45]
	s_cbranch_execz .LBB2013_231
; %bb.230:
	ds_read2_b32 v[8:9], v4 offset1:1
                                        ; implicit-def: $vgpr4
.LBB2013_231:
	s_andn2_saveexec_b64 s[40:41], s[40:41]
	s_cbranch_execz .LBB2013_233
; %bb.232:
	ds_read2_b32 v[4:5], v4 offset1:1
	s_waitcnt lgkmcnt(0)
	v_add_u32_e32 v8, s62, v4
	v_add_u32_e32 v9, s63, v5
.LBB2013_233:
	s_or_b64 exec, exec, s[40:41]
.LBB2013_234:
	s_or_b64 exec, exec, s[42:43]
	v_cmp_eq_u32_e64 s[40:41], 0, v7
	v_and_b32_e32 v5, 64, v3
	v_cmp_eq_u32_e64 s[42:43], 0, v64
	s_waitcnt lgkmcnt(0)
	v_cndmask_b32_e64 v4, 0, v8, s[40:41]
	v_add_u32_e32 v2, v4, v2
	v_cndmask_b32_e64 v4, 0, v9, s[40:41]
	v_add_u32_e32 v1, v4, v1
	v_add_u32_e32 v4, -1, v3
	v_cmp_lt_i32_e64 s[40:41], v4, v5
	s_mov_b32 s44, 0
	s_nop 0
	v_cndmask_b32_e64 v4, v4, v3, s[40:41]
	v_lshlrev_b32_e32 v4, 2, v4
	ds_bpermute_b32 v2, v4, v2
	ds_bpermute_b32 v1, v4, v1
	v_cmp_eq_u32_e64 s[40:41], 0, v3
	v_mov_b32_e32 v4, 0
	s_waitcnt lgkmcnt(1)
	v_cndmask_b32_e64 v8, v2, v8, s[40:41]
	s_waitcnt lgkmcnt(0)
	v_cndmask_b32_e64 v9, v1, v9, s[40:41]
	v_cmp_eq_u32_e64 s[40:41], 0, v0
	v_mov_b32_e32 v2, s62
	v_mov_b32_e32 v1, s63
	v_cndmask_b32_e64 v2, v8, v2, s[40:41]
	v_cndmask_b32_e64 v1, v9, v1, s[40:41]
	;; [unrolled: 1-line block ×3, first 2 shown]
	v_add_u32_e32 v78, v2, v40
	v_cndmask_b32_e64 v1, 0, v1, s[42:43]
	v_add_u32_e32 v79, v1, v6
	v_cndmask_b32_e64 v1, 0, v78, s[4:5]
	;; [unrolled: 2-line block ×26, first 2 shown]
	v_cndmask_b32_e64 v1, 0, v90, s[36:37]
	v_lshl_add_u64 v[92:93], v[4:5], 0, v[42:43]
	v_add_u32_e32 v28, v1, v42
	v_cndmask_b32_e64 v5, 0, v93, s[24:25]
	v_cndmask_b32_e64 v1, 0, v28, s[24:25]
	v_lshl_add_u64 v[96:97], v[4:5], 0, v[44:45]
	v_add_u32_e32 v94, v1, v44
	v_cndmask_b32_e64 v5, 0, v97, s[2:3]
	v_lshl_add_u64 v[32:33], v[4:5], 0, v[46:47]
	v_cndmask_b32_e64 v1, 0, v94, s[2:3]
	v_add_u32_e32 v32, v1, v46
	v_cndmask_b32_e64 v1, 0, v32, s[6:7]
	v_add_u32_e32 v98, v1, v106
	v_cndmask_b32_e64 v1, 0, v33, s[6:7]
	v_add_u32_e32 v99, v1, v105
	v_cndmask_b32_e64 v1, 0, v98, s[10:11]
	v_add_u32_e32 v36, v1, v108
	v_cndmask_b32_e64 v1, 0, v99, s[10:11]
	v_add_u32_e32 v37, v1, v107
	v_cndmask_b32_e64 v1, 0, v36, s[14:15]
	v_add_u32_e32 v100, v1, v111
	v_cndmask_b32_e64 v1, 0, v37, s[14:15]
	v_add_u32_e32 v101, v1, v109
	s_and_saveexec_b64 s[4:5], s[40:41]
	s_cbranch_execz .LBB2013_236
; %bb.235:
	ds_read_u8 v1, v4 offset:44
	ds_read2_b32 v[4:5], v4 offset0:9 offset1:10
	s_mov_b32 s8, s44
	v_mov_b32_e32 v11, 2
	s_waitcnt lgkmcnt(1)
	v_cmp_eq_u16_e64 s[2:3], 0, v1
	s_and_b64 s[2:3], s[2:3], exec
	s_waitcnt lgkmcnt(0)
	v_readfirstlane_b32 s6, v5
	s_cselect_b32 s3, s63, 0
	s_cselect_b32 s2, s62, 0
	s_add_i32 s10, s3, s6
	v_add_u32_e32 v4, s2, v4
	s_add_u32 s2, s52, 0x400
	s_addc_u32 s3, s53, 0
	s_and_b32 s45, s10, 0xff000000
	s_and_b32 s7, s10, 0xff0000
	s_mov_b32 s6, s44
	s_and_b32 s9, s10, 0xff00
	s_and_b32 s10, s10, 0xff
	s_or_b64 s[6:7], s[44:45], s[6:7]
	v_and_b32_e32 v10, 0xffff, v1
	s_or_b64 s[6:7], s[6:7], s[8:9]
	v_mov_b32_e32 v1, s10
	v_or_b32_e32 v8, s6, v4
	v_or_b32_e32 v9, s7, v1
	v_mov_b64_e32 v[4:5], s[2:3]
	;;#ASMSTART
	global_store_dwordx4 v[4:5], v[8:11] off sc1	
s_waitcnt vmcnt(0)
	;;#ASMEND
	v_mov_b64_e32 v[8:9], s[62:63]
.LBB2013_236:
	s_or_b64 exec, exec, s[4:5]
	v_cndmask_b32_e32 v1, 0, v100, vcc
	v_cndmask_b32_e32 v126, 0, v101, vcc
.LBB2013_237:
	s_add_u32 s2, s50, s60
	s_addc_u32 s3, s51, s61
	s_add_u32 s2, s2, s48
	v_add_u32_e32 v5, v126, v48
	v_add_u32_e32 v4, v1, v103
	s_addc_u32 s3, s3, s49
	s_and_b64 vcc, exec, s[0:1]
	s_cbranch_vccz .LBB2013_319
; %bb.238:
	s_add_i32 s33, s33, s54
	v_mul_u32_u24_e32 v1, 21, v0
	v_mov_b64_e32 v[22:23], 0
	v_cmp_gt_u32_e32 vcc, s33, v1
	v_mov_b64_e32 v[14:15], v[22:23]
	v_mov_b64_e32 v[10:11], v[22:23]
	;; [unrolled: 1-line block ×20, first 2 shown]
	s_and_saveexec_b64 s[0:1], vcc
	s_cbranch_execz .LBB2013_278
; %bb.239:
	v_add_u32_e32 v10, 1, v1
	v_mov_b64_e32 v[62:63], 0
	v_cmp_gt_u32_e32 vcc, s33, v10
	v_mov_b64_e32 v[60:61], v[62:63]
	v_mov_b64_e32 v[58:59], v[62:63]
	;; [unrolled: 1-line block ×19, first 2 shown]
	s_and_saveexec_b64 s[4:5], vcc
	s_cbranch_execz .LBB2013_277
; %bb.240:
	v_add_u32_e32 v10, 2, v1
	v_mov_b64_e32 v[60:61], 0
	v_cmp_gt_u32_e32 vcc, s33, v10
	v_mov_b64_e32 v[58:59], v[60:61]
	v_mov_b64_e32 v[56:57], v[60:61]
	;; [unrolled: 1-line block ×18, first 2 shown]
	s_and_saveexec_b64 s[6:7], vcc
	s_cbranch_execz .LBB2013_276
; %bb.241:
	v_add_u32_e32 v10, 3, v1
	v_mov_b64_e32 v[58:59], 0
	v_cmp_gt_u32_e32 vcc, s33, v10
	v_mov_b64_e32 v[56:57], v[58:59]
	v_mov_b64_e32 v[54:55], v[58:59]
	;; [unrolled: 1-line block ×17, first 2 shown]
	s_and_saveexec_b64 s[8:9], vcc
	s_cbranch_execz .LBB2013_275
; %bb.242:
	v_add_u32_e32 v10, 4, v1
	v_mov_b64_e32 v[56:57], 0
	v_cmp_gt_u32_e32 vcc, s33, v10
	v_mov_b64_e32 v[54:55], v[56:57]
	v_mov_b64_e32 v[52:53], v[56:57]
	;; [unrolled: 1-line block ×16, first 2 shown]
	s_and_saveexec_b64 s[10:11], vcc
	s_cbranch_execz .LBB2013_274
; %bb.243:
	v_add_u32_e32 v10, 5, v1
	v_mov_b64_e32 v[54:55], 0
	v_cmp_gt_u32_e32 vcc, s33, v10
	v_mov_b64_e32 v[52:53], v[54:55]
	v_mov_b64_e32 v[50:51], v[54:55]
	v_mov_b64_e32 v[48:49], v[54:55]
	v_mov_b64_e32 v[46:47], v[54:55]
	v_mov_b64_e32 v[44:45], v[54:55]
	v_mov_b64_e32 v[42:43], v[54:55]
	v_mov_b64_e32 v[40:41], v[54:55]
	v_mov_b64_e32 v[38:39], v[54:55]
	v_mov_b64_e32 v[34:35], v[54:55]
	v_mov_b64_e32 v[30:31], v[54:55]
	v_mov_b64_e32 v[26:27], v[54:55]
	v_mov_b64_e32 v[18:19], v[54:55]
	v_mov_b64_e32 v[10:11], v[54:55]
	v_mov_b64_e32 v[14:15], v[54:55]
	v_mov_b64_e32 v[22:23], v[54:55]
	s_and_saveexec_b64 s[12:13], vcc
	s_cbranch_execz .LBB2013_273
; %bb.244:
	v_add_u32_e32 v10, 6, v1
	v_mov_b64_e32 v[52:53], 0
	v_cmp_gt_u32_e32 vcc, s33, v10
	v_mov_b64_e32 v[50:51], v[52:53]
	v_mov_b64_e32 v[48:49], v[52:53]
	;; [unrolled: 1-line block ×14, first 2 shown]
	s_and_saveexec_b64 s[14:15], vcc
	s_cbranch_execz .LBB2013_272
; %bb.245:
	v_add_u32_e32 v10, 7, v1
	v_mov_b64_e32 v[50:51], 0
	v_cmp_gt_u32_e32 vcc, s33, v10
	v_mov_b64_e32 v[48:49], v[50:51]
	v_mov_b64_e32 v[46:47], v[50:51]
	;; [unrolled: 1-line block ×13, first 2 shown]
	s_and_saveexec_b64 s[16:17], vcc
	s_cbranch_execz .LBB2013_271
; %bb.246:
	v_add_u32_e32 v10, 8, v1
	v_mov_b64_e32 v[48:49], 0
	v_cmp_gt_u32_e32 vcc, s33, v10
	v_mov_b64_e32 v[46:47], v[48:49]
	v_mov_b64_e32 v[44:45], v[48:49]
	;; [unrolled: 1-line block ×12, first 2 shown]
	s_and_saveexec_b64 s[18:19], vcc
	s_cbranch_execz .LBB2013_270
; %bb.247:
	v_add_u32_e32 v10, 9, v1
	v_mov_b64_e32 v[46:47], 0
	v_cmp_gt_u32_e32 vcc, s33, v10
	v_mov_b64_e32 v[44:45], v[46:47]
	v_mov_b64_e32 v[42:43], v[46:47]
	;; [unrolled: 1-line block ×11, first 2 shown]
	s_and_saveexec_b64 s[20:21], vcc
	s_cbranch_execz .LBB2013_269
; %bb.248:
	v_add_u32_e32 v10, 10, v1
	v_mov_b64_e32 v[44:45], 0
	v_cmp_gt_u32_e32 vcc, s33, v10
	v_mov_b64_e32 v[42:43], v[44:45]
	v_mov_b64_e32 v[40:41], v[44:45]
	;; [unrolled: 1-line block ×10, first 2 shown]
	s_and_saveexec_b64 s[22:23], vcc
	s_cbranch_execz .LBB2013_268
; %bb.249:
	v_add_u32_e32 v10, 11, v1
	v_mov_b64_e32 v[42:43], 0
	v_cmp_gt_u32_e32 vcc, s33, v10
	v_mov_b64_e32 v[40:41], v[42:43]
	v_mov_b64_e32 v[38:39], v[42:43]
	;; [unrolled: 1-line block ×9, first 2 shown]
	s_and_saveexec_b64 s[24:25], vcc
	s_cbranch_execz .LBB2013_267
; %bb.250:
	v_add_u32_e32 v10, 12, v1
	v_mov_b64_e32 v[40:41], 0
	v_cmp_gt_u32_e32 vcc, s33, v10
	v_mov_b64_e32 v[38:39], v[40:41]
	v_mov_b64_e32 v[34:35], v[40:41]
	;; [unrolled: 1-line block ×8, first 2 shown]
	s_and_saveexec_b64 s[26:27], vcc
	s_cbranch_execz .LBB2013_266
; %bb.251:
	v_add_u32_e32 v10, 13, v1
	v_mov_b64_e32 v[38:39], 0
	v_cmp_gt_u32_e32 vcc, s33, v10
	v_mov_b64_e32 v[34:35], v[38:39]
	v_mov_b64_e32 v[30:31], v[38:39]
	;; [unrolled: 1-line block ×7, first 2 shown]
	s_and_saveexec_b64 s[28:29], vcc
	s_cbranch_execz .LBB2013_265
; %bb.252:
	v_add_u32_e32 v10, 14, v1
	v_mov_b64_e32 v[34:35], 0
	v_cmp_gt_u32_e32 vcc, s33, v10
	v_mov_b64_e32 v[30:31], v[34:35]
	v_mov_b64_e32 v[26:27], v[34:35]
	;; [unrolled: 1-line block ×6, first 2 shown]
	s_and_saveexec_b64 s[30:31], vcc
	s_cbranch_execz .LBB2013_264
; %bb.253:
	v_add_u32_e32 v10, 15, v1
	v_mov_b64_e32 v[30:31], 0
	v_cmp_gt_u32_e32 vcc, s33, v10
	v_mov_b64_e32 v[26:27], v[30:31]
	v_mov_b64_e32 v[18:19], v[30:31]
	;; [unrolled: 1-line block ×5, first 2 shown]
	s_and_saveexec_b64 s[34:35], vcc
	s_cbranch_execz .LBB2013_263
; %bb.254:
	v_add_u32_e32 v10, 16, v1
	v_mov_b64_e32 v[26:27], 0
	v_cmp_gt_u32_e32 vcc, s33, v10
	v_mov_b64_e32 v[18:19], v[26:27]
	v_mov_b64_e32 v[10:11], v[26:27]
	;; [unrolled: 1-line block ×4, first 2 shown]
	s_and_saveexec_b64 s[36:37], vcc
	s_cbranch_execz .LBB2013_262
; %bb.255:
	v_add_u32_e32 v10, 17, v1
	v_mov_b64_e32 v[18:19], 0
	v_cmp_gt_u32_e32 vcc, s33, v10
	v_mov_b64_e32 v[10:11], v[18:19]
	v_mov_b64_e32 v[14:15], v[18:19]
	;; [unrolled: 1-line block ×3, first 2 shown]
	s_and_saveexec_b64 s[38:39], vcc
	s_cbranch_execz .LBB2013_261
; %bb.256:
	v_add_u32_e32 v10, 18, v1
	v_cmp_gt_u32_e32 vcc, s33, v10
	v_mov_b64_e32 v[10:11], 0
	v_mov_b64_e32 v[14:15], v[10:11]
	;; [unrolled: 1-line block ×3, first 2 shown]
	s_and_saveexec_b64 s[40:41], vcc
	s_cbranch_execz .LBB2013_260
; %bb.257:
	v_add_u32_e32 v10, 19, v1
	v_mov_b64_e32 v[14:15], 0
	v_cmp_gt_u32_e32 vcc, s33, v10
	v_mov_b64_e32 v[22:23], v[14:15]
	s_and_saveexec_b64 s[42:43], vcc
; %bb.258:
	v_add_u32_e32 v10, 20, v1
	v_cmp_gt_u32_e32 vcc, s33, v10
	v_mov_b64_e32 v[14:15], v[100:101]
	s_nop 0
	v_cndmask_b32_e32 v23, 0, v5, vcc
	v_cndmask_b32_e32 v22, 0, v4, vcc
; %bb.259:
	s_or_b64 exec, exec, s[42:43]
	v_mov_b64_e32 v[10:11], v[36:37]
.LBB2013_260:
	s_or_b64 exec, exec, s[40:41]
	v_mov_b64_e32 v[18:19], v[98:99]
.LBB2013_261:
	s_or_b64 exec, exec, s[38:39]
	v_mov_b64_e32 v[26:27], v[32:33]
.LBB2013_262:
	s_or_b64 exec, exec, s[36:37]
	v_mov_b32_e32 v95, v97
	v_mov_b64_e32 v[30:31], v[94:95]
.LBB2013_263:
	s_or_b64 exec, exec, s[34:35]
	v_mov_b32_e32 v29, v93
	v_mov_b64_e32 v[34:35], v[28:29]
.LBB2013_264:
	s_or_b64 exec, exec, s[30:31]
	v_mov_b64_e32 v[38:39], v[90:91]
.LBB2013_265:
	s_or_b64 exec, exec, s[28:29]
	v_mov_b64_e32 v[40:41], v[24:25]
.LBB2013_266:
	s_or_b64 exec, exec, s[26:27]
	v_mov_b64_e32 v[42:43], v[88:89]
.LBB2013_267:
	s_or_b64 exec, exec, s[24:25]
	v_mov_b64_e32 v[44:45], v[20:21]
.LBB2013_268:
	s_or_b64 exec, exec, s[22:23]
	v_mov_b64_e32 v[46:47], v[86:87]
.LBB2013_269:
	s_or_b64 exec, exec, s[20:21]
	v_mov_b64_e32 v[48:49], v[16:17]
.LBB2013_270:
	s_or_b64 exec, exec, s[18:19]
	v_mov_b64_e32 v[50:51], v[84:85]
.LBB2013_271:
	s_or_b64 exec, exec, s[16:17]
	v_mov_b64_e32 v[52:53], v[12:13]
.LBB2013_272:
	s_or_b64 exec, exec, s[14:15]
	v_mov_b64_e32 v[54:55], v[82:83]
.LBB2013_273:
	s_or_b64 exec, exec, s[12:13]
	v_mov_b64_e32 v[56:57], v[6:7]
.LBB2013_274:
	s_or_b64 exec, exec, s[10:11]
	v_mov_b64_e32 v[58:59], v[80:81]
.LBB2013_275:
	s_or_b64 exec, exec, s[8:9]
	v_mov_b64_e32 v[60:61], v[2:3]
.LBB2013_276:
	s_or_b64 exec, exec, s[6:7]
	v_mov_b64_e32 v[62:63], v[78:79]
.LBB2013_277:
	s_or_b64 exec, exec, s[4:5]
	v_mov_b64_e32 v[64:65], v[8:9]
.LBB2013_278:
	s_or_b64 exec, exec, s[0:1]
	v_lshlrev_b32_e32 v1, 3, v1
	s_movk_i32 s0, 0xff60
	s_barrier
	ds_write2_b64 v1, v[64:65], v[62:63] offset1:1
	ds_write2_b64 v1, v[60:61], v[58:59] offset0:2 offset1:3
	ds_write2_b64 v1, v[56:57], v[54:55] offset0:4 offset1:5
	;; [unrolled: 1-line block ×9, first 2 shown]
	ds_write_b64 v1, v[22:23] offset:160
	v_mad_i32_i24 v10, v0, s0, v1
	s_waitcnt lgkmcnt(0)
	s_barrier
	ds_read2st64_b64 v[74:77], v10 offset0:4 offset1:8
	ds_read2st64_b64 v[70:73], v10 offset0:12 offset1:16
	;; [unrolled: 1-line block ×10, first 2 shown]
	v_mov_b32_e32 v11, 0
	v_lshlrev_b32_e32 v10, 3, v0
	v_lshl_add_u64 v[14:15], s[2:3], 0, v[10:11]
	v_cmp_gt_u32_e32 vcc, s33, v0
	s_and_saveexec_b64 s[0:1], vcc
	s_cbranch_execz .LBB2013_280
; %bb.279:
	v_mul_i32_i24_e32 v10, 0xffffff60, v0
	v_add_u32_e32 v1, v1, v10
	ds_read_b64 v[18:19], v1
	s_waitcnt lgkmcnt(0)
	flat_store_dwordx2 v[14:15], v[18:19]
.LBB2013_280:
	s_or_b64 exec, exec, s[0:1]
	v_or_b32_e32 v1, 0x100, v0
	v_cmp_gt_u32_e32 vcc, s33, v1
	s_and_saveexec_b64 s[0:1], vcc
	s_cbranch_execz .LBB2013_282
; %bb.281:
	s_waitcnt lgkmcnt(0)
	flat_store_dwordx2 v[14:15], v[74:75] offset:2048
.LBB2013_282:
	s_or_b64 exec, exec, s[0:1]
	v_or_b32_e32 v1, 0x200, v0
	v_cmp_gt_u32_e32 vcc, s33, v1
	s_and_saveexec_b64 s[0:1], vcc
	s_cbranch_execz .LBB2013_284
; %bb.283:
	v_add_co_u32_e32 v18, vcc, 0x1000, v14
	s_nop 1
	v_addc_co_u32_e32 v19, vcc, 0, v15, vcc
	s_waitcnt lgkmcnt(0)
	flat_store_dwordx2 v[18:19], v[76:77]
.LBB2013_284:
	s_or_b64 exec, exec, s[0:1]
	v_or_b32_e32 v1, 0x300, v0
	v_cmp_gt_u32_e32 vcc, s33, v1
	s_and_saveexec_b64 s[0:1], vcc
	s_cbranch_execz .LBB2013_286
; %bb.285:
	v_add_co_u32_e32 v18, vcc, 0x1000, v14
	s_nop 1
	v_addc_co_u32_e32 v19, vcc, 0, v15, vcc
	s_waitcnt lgkmcnt(0)
	flat_store_dwordx2 v[18:19], v[70:71] offset:2048
.LBB2013_286:
	s_or_b64 exec, exec, s[0:1]
	v_or_b32_e32 v1, 0x400, v0
	v_cmp_gt_u32_e32 vcc, s33, v1
	s_and_saveexec_b64 s[0:1], vcc
	s_cbranch_execz .LBB2013_288
; %bb.287:
	v_add_co_u32_e32 v18, vcc, 0x2000, v14
	s_nop 1
	v_addc_co_u32_e32 v19, vcc, 0, v15, vcc
	s_waitcnt lgkmcnt(0)
	flat_store_dwordx2 v[18:19], v[72:73]
.LBB2013_288:
	s_or_b64 exec, exec, s[0:1]
	v_or_b32_e32 v1, 0x500, v0
	v_cmp_gt_u32_e32 vcc, s33, v1
	s_and_saveexec_b64 s[0:1], vcc
	s_cbranch_execz .LBB2013_290
; %bb.289:
	v_add_co_u32_e32 v18, vcc, 0x2000, v14
	s_nop 1
	v_addc_co_u32_e32 v19, vcc, 0, v15, vcc
	s_waitcnt lgkmcnt(0)
	flat_store_dwordx2 v[18:19], v[66:67] offset:2048
.LBB2013_290:
	;; [unrolled: 24-line block ×9, first 2 shown]
	s_or_b64 exec, exec, s[0:1]
	v_or_b32_e32 v10, 0x1400, v0
	v_mov_b32_e32 v1, v11
	v_cmp_gt_u32_e64 s[0:1], s33, v10
	s_branch .LBB2013_321
.LBB2013_319:
	s_mov_b64 s[0:1], 0
                                        ; kill: def $vgpr10_vgpr11 killed $sgpr0_sgpr1 killed $exec
                                        ; implicit-def: $vgpr40_vgpr41
	s_cbranch_execz .LBB2013_321
; %bb.320:
	v_mul_u32_u24_e32 v1, 0xa8, v0
	s_waitcnt lgkmcnt(0)
	s_barrier
	s_movk_i32 s4, 0xa8
	ds_write2_b64 v1, v[8:9], v[78:79] offset1:1
	ds_write2_b64 v1, v[2:3], v[80:81] offset0:2 offset1:3
	ds_write2_b64 v1, v[6:7], v[82:83] offset0:4 offset1:5
	;; [unrolled: 1-line block ×6, first 2 shown]
	v_mov_b32_e32 v29, v93
	v_mov_b32_e32 v95, v97
	v_mul_i32_i24_e32 v2, 0xffffff60, v0
	ds_write2_b64 v1, v[28:29], v[94:95] offset0:14 offset1:15
	ds_write2_b64 v1, v[32:33], v[98:99] offset0:16 offset1:17
	;; [unrolled: 1-line block ×3, first 2 shown]
	ds_write_b64 v1, v[4:5] offset:160
	v_mov_b32_e32 v1, 0
	v_mad_u32_u24 v38, v0, s4, v2
	s_waitcnt lgkmcnt(0)
	s_barrier
	ds_read2st64_b64 v[2:5], v38 offset1:4
	ds_read2st64_b64 v[6:9], v38 offset0:8 offset1:12
	ds_read2st64_b64 v[10:13], v38 offset0:16 offset1:20
	;; [unrolled: 1-line block ×9, first 2 shown]
	ds_read_b64 v[40:41], v38 offset:40960
	v_lshlrev_b32_e32 v38, 3, v0
	v_mov_b32_e32 v39, v1
	v_lshl_add_u64 v[38:39], s[2:3], 0, v[38:39]
	s_movk_i32 s4, 0x1000
	s_waitcnt lgkmcnt(0)
	flat_store_dwordx2 v[38:39], v[2:3]
	flat_store_dwordx2 v[38:39], v[4:5] offset:2048
	v_add_co_u32_e32 v2, vcc, s4, v38
	s_movk_i32 s4, 0x2000
	s_nop 0
	v_addc_co_u32_e32 v3, vcc, 0, v39, vcc
	flat_store_dwordx2 v[2:3], v[6:7]
	flat_store_dwordx2 v[2:3], v[8:9] offset:2048
	v_add_co_u32_e32 v2, vcc, s4, v38
	s_movk_i32 s4, 0x3000
	s_nop 0
	v_addc_co_u32_e32 v3, vcc, 0, v39, vcc
	;; [unrolled: 6-line block ×6, first 2 shown]
	flat_store_dwordx2 v[2:3], v[26:27]
	flat_store_dwordx2 v[2:3], v[28:29] offset:2048
	v_add_co_u32_e32 v2, vcc, s4, v38
	s_or_b64 s[0:1], s[0:1], exec
	s_nop 0
	v_addc_co_u32_e32 v3, vcc, 0, v39, vcc
	flat_store_dwordx2 v[2:3], v[30:31]
	flat_store_dwordx2 v[2:3], v[32:33] offset:2048
	v_add_co_u32_e32 v2, vcc, 0x8000, v38
	s_nop 1
	v_addc_co_u32_e32 v3, vcc, 0, v39, vcc
	flat_store_dwordx2 v[2:3], v[34:35]
	flat_store_dwordx2 v[2:3], v[36:37] offset:2048
	v_add_co_u32_e32 v2, vcc, 0x9000, v38
	s_nop 1
	v_addc_co_u32_e32 v3, vcc, 0, v39, vcc
	flat_store_dwordx2 v[2:3], v[42:43]
	flat_store_dwordx2 v[2:3], v[44:45] offset:2048
.LBB2013_321:
	s_and_saveexec_b64 s[4:5], s[0:1]
	s_cbranch_execnz .LBB2013_323
; %bb.322:
	s_endpgm
.LBB2013_323:
	v_lshl_add_u64 v[0:1], v[0:1], 3, s[2:3]
	v_add_co_u32_e32 v0, vcc, 0xa000, v0
	s_nop 1
	v_addc_co_u32_e32 v1, vcc, 0, v1, vcc
	s_waitcnt lgkmcnt(0)
	flat_store_dwordx2 v[0:1], v[40:41]
	s_endpgm
	.section	.rodata,"a",@progbits
	.p2align	6, 0x0
	.amdhsa_kernel _ZN7rocprim17ROCPRIM_400000_NS6detail17trampoline_kernelINS0_14default_configENS1_27scan_by_key_config_selectorIj11FixedVectorIiLj2EEEEZZNS1_16scan_by_key_implILNS1_25lookback_scan_determinismE0ELb1ES3_N6thrust23THRUST_200600_302600_NS6detail15normal_iteratorINSB_10device_ptrIjEEEENSD_INSE_IS6_EEEESI_S6_NSB_4plusIvEENSB_8equal_toIvEES6_EE10hipError_tPvRmT2_T3_T4_T5_mT6_T7_P12ihipStream_tbENKUlT_T0_E_clISt17integral_constantIbLb1EES12_IbLb0EEEEDaSY_SZ_EUlSY_E_NS1_11comp_targetILNS1_3genE5ELNS1_11target_archE942ELNS1_3gpuE9ELNS1_3repE0EEENS1_30default_config_static_selectorELNS0_4arch9wavefront6targetE1EEEvT1_
		.amdhsa_group_segment_fixed_size 43008
		.amdhsa_private_segment_fixed_size 0
		.amdhsa_kernarg_size 120
		.amdhsa_user_sgpr_count 2
		.amdhsa_user_sgpr_dispatch_ptr 0
		.amdhsa_user_sgpr_queue_ptr 0
		.amdhsa_user_sgpr_kernarg_segment_ptr 1
		.amdhsa_user_sgpr_dispatch_id 0
		.amdhsa_user_sgpr_kernarg_preload_length 0
		.amdhsa_user_sgpr_kernarg_preload_offset 0
		.amdhsa_user_sgpr_private_segment_size 0
		.amdhsa_uses_dynamic_stack 0
		.amdhsa_enable_private_segment 0
		.amdhsa_system_sgpr_workgroup_id_x 1
		.amdhsa_system_sgpr_workgroup_id_y 0
		.amdhsa_system_sgpr_workgroup_id_z 0
		.amdhsa_system_sgpr_workgroup_info 0
		.amdhsa_system_vgpr_workitem_id 0
		.amdhsa_next_free_vgpr 127
		.amdhsa_next_free_sgpr 76
		.amdhsa_accum_offset 128
		.amdhsa_reserve_vcc 1
		.amdhsa_float_round_mode_32 0
		.amdhsa_float_round_mode_16_64 0
		.amdhsa_float_denorm_mode_32 3
		.amdhsa_float_denorm_mode_16_64 3
		.amdhsa_dx10_clamp 1
		.amdhsa_ieee_mode 1
		.amdhsa_fp16_overflow 0
		.amdhsa_tg_split 0
		.amdhsa_exception_fp_ieee_invalid_op 0
		.amdhsa_exception_fp_denorm_src 0
		.amdhsa_exception_fp_ieee_div_zero 0
		.amdhsa_exception_fp_ieee_overflow 0
		.amdhsa_exception_fp_ieee_underflow 0
		.amdhsa_exception_fp_ieee_inexact 0
		.amdhsa_exception_int_div_zero 0
	.end_amdhsa_kernel
	.section	.text._ZN7rocprim17ROCPRIM_400000_NS6detail17trampoline_kernelINS0_14default_configENS1_27scan_by_key_config_selectorIj11FixedVectorIiLj2EEEEZZNS1_16scan_by_key_implILNS1_25lookback_scan_determinismE0ELb1ES3_N6thrust23THRUST_200600_302600_NS6detail15normal_iteratorINSB_10device_ptrIjEEEENSD_INSE_IS6_EEEESI_S6_NSB_4plusIvEENSB_8equal_toIvEES6_EE10hipError_tPvRmT2_T3_T4_T5_mT6_T7_P12ihipStream_tbENKUlT_T0_E_clISt17integral_constantIbLb1EES12_IbLb0EEEEDaSY_SZ_EUlSY_E_NS1_11comp_targetILNS1_3genE5ELNS1_11target_archE942ELNS1_3gpuE9ELNS1_3repE0EEENS1_30default_config_static_selectorELNS0_4arch9wavefront6targetE1EEEvT1_,"axG",@progbits,_ZN7rocprim17ROCPRIM_400000_NS6detail17trampoline_kernelINS0_14default_configENS1_27scan_by_key_config_selectorIj11FixedVectorIiLj2EEEEZZNS1_16scan_by_key_implILNS1_25lookback_scan_determinismE0ELb1ES3_N6thrust23THRUST_200600_302600_NS6detail15normal_iteratorINSB_10device_ptrIjEEEENSD_INSE_IS6_EEEESI_S6_NSB_4plusIvEENSB_8equal_toIvEES6_EE10hipError_tPvRmT2_T3_T4_T5_mT6_T7_P12ihipStream_tbENKUlT_T0_E_clISt17integral_constantIbLb1EES12_IbLb0EEEEDaSY_SZ_EUlSY_E_NS1_11comp_targetILNS1_3genE5ELNS1_11target_archE942ELNS1_3gpuE9ELNS1_3repE0EEENS1_30default_config_static_selectorELNS0_4arch9wavefront6targetE1EEEvT1_,comdat
.Lfunc_end2013:
	.size	_ZN7rocprim17ROCPRIM_400000_NS6detail17trampoline_kernelINS0_14default_configENS1_27scan_by_key_config_selectorIj11FixedVectorIiLj2EEEEZZNS1_16scan_by_key_implILNS1_25lookback_scan_determinismE0ELb1ES3_N6thrust23THRUST_200600_302600_NS6detail15normal_iteratorINSB_10device_ptrIjEEEENSD_INSE_IS6_EEEESI_S6_NSB_4plusIvEENSB_8equal_toIvEES6_EE10hipError_tPvRmT2_T3_T4_T5_mT6_T7_P12ihipStream_tbENKUlT_T0_E_clISt17integral_constantIbLb1EES12_IbLb0EEEEDaSY_SZ_EUlSY_E_NS1_11comp_targetILNS1_3genE5ELNS1_11target_archE942ELNS1_3gpuE9ELNS1_3repE0EEENS1_30default_config_static_selectorELNS0_4arch9wavefront6targetE1EEEvT1_, .Lfunc_end2013-_ZN7rocprim17ROCPRIM_400000_NS6detail17trampoline_kernelINS0_14default_configENS1_27scan_by_key_config_selectorIj11FixedVectorIiLj2EEEEZZNS1_16scan_by_key_implILNS1_25lookback_scan_determinismE0ELb1ES3_N6thrust23THRUST_200600_302600_NS6detail15normal_iteratorINSB_10device_ptrIjEEEENSD_INSE_IS6_EEEESI_S6_NSB_4plusIvEENSB_8equal_toIvEES6_EE10hipError_tPvRmT2_T3_T4_T5_mT6_T7_P12ihipStream_tbENKUlT_T0_E_clISt17integral_constantIbLb1EES12_IbLb0EEEEDaSY_SZ_EUlSY_E_NS1_11comp_targetILNS1_3genE5ELNS1_11target_archE942ELNS1_3gpuE9ELNS1_3repE0EEENS1_30default_config_static_selectorELNS0_4arch9wavefront6targetE1EEEvT1_
                                        ; -- End function
	.section	.AMDGPU.csdata,"",@progbits
; Kernel info:
; codeLenInByte = 19188
; NumSgprs: 82
; NumVgprs: 127
; NumAgprs: 0
; TotalNumVgprs: 127
; ScratchSize: 0
; MemoryBound: 0
; FloatMode: 240
; IeeeMode: 1
; LDSByteSize: 43008 bytes/workgroup (compile time only)
; SGPRBlocks: 10
; VGPRBlocks: 15
; NumSGPRsForWavesPerEU: 82
; NumVGPRsForWavesPerEU: 127
; AccumOffset: 128
; Occupancy: 1
; WaveLimiterHint : 1
; COMPUTE_PGM_RSRC2:SCRATCH_EN: 0
; COMPUTE_PGM_RSRC2:USER_SGPR: 2
; COMPUTE_PGM_RSRC2:TRAP_HANDLER: 0
; COMPUTE_PGM_RSRC2:TGID_X_EN: 1
; COMPUTE_PGM_RSRC2:TGID_Y_EN: 0
; COMPUTE_PGM_RSRC2:TGID_Z_EN: 0
; COMPUTE_PGM_RSRC2:TIDIG_COMP_CNT: 0
; COMPUTE_PGM_RSRC3_GFX90A:ACCUM_OFFSET: 31
; COMPUTE_PGM_RSRC3_GFX90A:TG_SPLIT: 0
	.section	.text._ZN7rocprim17ROCPRIM_400000_NS6detail17trampoline_kernelINS0_14default_configENS1_27scan_by_key_config_selectorIj11FixedVectorIiLj2EEEEZZNS1_16scan_by_key_implILNS1_25lookback_scan_determinismE0ELb1ES3_N6thrust23THRUST_200600_302600_NS6detail15normal_iteratorINSB_10device_ptrIjEEEENSD_INSE_IS6_EEEESI_S6_NSB_4plusIvEENSB_8equal_toIvEES6_EE10hipError_tPvRmT2_T3_T4_T5_mT6_T7_P12ihipStream_tbENKUlT_T0_E_clISt17integral_constantIbLb1EES12_IbLb0EEEEDaSY_SZ_EUlSY_E_NS1_11comp_targetILNS1_3genE4ELNS1_11target_archE910ELNS1_3gpuE8ELNS1_3repE0EEENS1_30default_config_static_selectorELNS0_4arch9wavefront6targetE1EEEvT1_,"axG",@progbits,_ZN7rocprim17ROCPRIM_400000_NS6detail17trampoline_kernelINS0_14default_configENS1_27scan_by_key_config_selectorIj11FixedVectorIiLj2EEEEZZNS1_16scan_by_key_implILNS1_25lookback_scan_determinismE0ELb1ES3_N6thrust23THRUST_200600_302600_NS6detail15normal_iteratorINSB_10device_ptrIjEEEENSD_INSE_IS6_EEEESI_S6_NSB_4plusIvEENSB_8equal_toIvEES6_EE10hipError_tPvRmT2_T3_T4_T5_mT6_T7_P12ihipStream_tbENKUlT_T0_E_clISt17integral_constantIbLb1EES12_IbLb0EEEEDaSY_SZ_EUlSY_E_NS1_11comp_targetILNS1_3genE4ELNS1_11target_archE910ELNS1_3gpuE8ELNS1_3repE0EEENS1_30default_config_static_selectorELNS0_4arch9wavefront6targetE1EEEvT1_,comdat
	.protected	_ZN7rocprim17ROCPRIM_400000_NS6detail17trampoline_kernelINS0_14default_configENS1_27scan_by_key_config_selectorIj11FixedVectorIiLj2EEEEZZNS1_16scan_by_key_implILNS1_25lookback_scan_determinismE0ELb1ES3_N6thrust23THRUST_200600_302600_NS6detail15normal_iteratorINSB_10device_ptrIjEEEENSD_INSE_IS6_EEEESI_S6_NSB_4plusIvEENSB_8equal_toIvEES6_EE10hipError_tPvRmT2_T3_T4_T5_mT6_T7_P12ihipStream_tbENKUlT_T0_E_clISt17integral_constantIbLb1EES12_IbLb0EEEEDaSY_SZ_EUlSY_E_NS1_11comp_targetILNS1_3genE4ELNS1_11target_archE910ELNS1_3gpuE8ELNS1_3repE0EEENS1_30default_config_static_selectorELNS0_4arch9wavefront6targetE1EEEvT1_ ; -- Begin function _ZN7rocprim17ROCPRIM_400000_NS6detail17trampoline_kernelINS0_14default_configENS1_27scan_by_key_config_selectorIj11FixedVectorIiLj2EEEEZZNS1_16scan_by_key_implILNS1_25lookback_scan_determinismE0ELb1ES3_N6thrust23THRUST_200600_302600_NS6detail15normal_iteratorINSB_10device_ptrIjEEEENSD_INSE_IS6_EEEESI_S6_NSB_4plusIvEENSB_8equal_toIvEES6_EE10hipError_tPvRmT2_T3_T4_T5_mT6_T7_P12ihipStream_tbENKUlT_T0_E_clISt17integral_constantIbLb1EES12_IbLb0EEEEDaSY_SZ_EUlSY_E_NS1_11comp_targetILNS1_3genE4ELNS1_11target_archE910ELNS1_3gpuE8ELNS1_3repE0EEENS1_30default_config_static_selectorELNS0_4arch9wavefront6targetE1EEEvT1_
	.globl	_ZN7rocprim17ROCPRIM_400000_NS6detail17trampoline_kernelINS0_14default_configENS1_27scan_by_key_config_selectorIj11FixedVectorIiLj2EEEEZZNS1_16scan_by_key_implILNS1_25lookback_scan_determinismE0ELb1ES3_N6thrust23THRUST_200600_302600_NS6detail15normal_iteratorINSB_10device_ptrIjEEEENSD_INSE_IS6_EEEESI_S6_NSB_4plusIvEENSB_8equal_toIvEES6_EE10hipError_tPvRmT2_T3_T4_T5_mT6_T7_P12ihipStream_tbENKUlT_T0_E_clISt17integral_constantIbLb1EES12_IbLb0EEEEDaSY_SZ_EUlSY_E_NS1_11comp_targetILNS1_3genE4ELNS1_11target_archE910ELNS1_3gpuE8ELNS1_3repE0EEENS1_30default_config_static_selectorELNS0_4arch9wavefront6targetE1EEEvT1_
	.p2align	8
	.type	_ZN7rocprim17ROCPRIM_400000_NS6detail17trampoline_kernelINS0_14default_configENS1_27scan_by_key_config_selectorIj11FixedVectorIiLj2EEEEZZNS1_16scan_by_key_implILNS1_25lookback_scan_determinismE0ELb1ES3_N6thrust23THRUST_200600_302600_NS6detail15normal_iteratorINSB_10device_ptrIjEEEENSD_INSE_IS6_EEEESI_S6_NSB_4plusIvEENSB_8equal_toIvEES6_EE10hipError_tPvRmT2_T3_T4_T5_mT6_T7_P12ihipStream_tbENKUlT_T0_E_clISt17integral_constantIbLb1EES12_IbLb0EEEEDaSY_SZ_EUlSY_E_NS1_11comp_targetILNS1_3genE4ELNS1_11target_archE910ELNS1_3gpuE8ELNS1_3repE0EEENS1_30default_config_static_selectorELNS0_4arch9wavefront6targetE1EEEvT1_,@function
_ZN7rocprim17ROCPRIM_400000_NS6detail17trampoline_kernelINS0_14default_configENS1_27scan_by_key_config_selectorIj11FixedVectorIiLj2EEEEZZNS1_16scan_by_key_implILNS1_25lookback_scan_determinismE0ELb1ES3_N6thrust23THRUST_200600_302600_NS6detail15normal_iteratorINSB_10device_ptrIjEEEENSD_INSE_IS6_EEEESI_S6_NSB_4plusIvEENSB_8equal_toIvEES6_EE10hipError_tPvRmT2_T3_T4_T5_mT6_T7_P12ihipStream_tbENKUlT_T0_E_clISt17integral_constantIbLb1EES12_IbLb0EEEEDaSY_SZ_EUlSY_E_NS1_11comp_targetILNS1_3genE4ELNS1_11target_archE910ELNS1_3gpuE8ELNS1_3repE0EEENS1_30default_config_static_selectorELNS0_4arch9wavefront6targetE1EEEvT1_: ; @_ZN7rocprim17ROCPRIM_400000_NS6detail17trampoline_kernelINS0_14default_configENS1_27scan_by_key_config_selectorIj11FixedVectorIiLj2EEEEZZNS1_16scan_by_key_implILNS1_25lookback_scan_determinismE0ELb1ES3_N6thrust23THRUST_200600_302600_NS6detail15normal_iteratorINSB_10device_ptrIjEEEENSD_INSE_IS6_EEEESI_S6_NSB_4plusIvEENSB_8equal_toIvEES6_EE10hipError_tPvRmT2_T3_T4_T5_mT6_T7_P12ihipStream_tbENKUlT_T0_E_clISt17integral_constantIbLb1EES12_IbLb0EEEEDaSY_SZ_EUlSY_E_NS1_11comp_targetILNS1_3genE4ELNS1_11target_archE910ELNS1_3gpuE8ELNS1_3repE0EEENS1_30default_config_static_selectorELNS0_4arch9wavefront6targetE1EEEvT1_
; %bb.0:
	.section	.rodata,"a",@progbits
	.p2align	6, 0x0
	.amdhsa_kernel _ZN7rocprim17ROCPRIM_400000_NS6detail17trampoline_kernelINS0_14default_configENS1_27scan_by_key_config_selectorIj11FixedVectorIiLj2EEEEZZNS1_16scan_by_key_implILNS1_25lookback_scan_determinismE0ELb1ES3_N6thrust23THRUST_200600_302600_NS6detail15normal_iteratorINSB_10device_ptrIjEEEENSD_INSE_IS6_EEEESI_S6_NSB_4plusIvEENSB_8equal_toIvEES6_EE10hipError_tPvRmT2_T3_T4_T5_mT6_T7_P12ihipStream_tbENKUlT_T0_E_clISt17integral_constantIbLb1EES12_IbLb0EEEEDaSY_SZ_EUlSY_E_NS1_11comp_targetILNS1_3genE4ELNS1_11target_archE910ELNS1_3gpuE8ELNS1_3repE0EEENS1_30default_config_static_selectorELNS0_4arch9wavefront6targetE1EEEvT1_
		.amdhsa_group_segment_fixed_size 0
		.amdhsa_private_segment_fixed_size 0
		.amdhsa_kernarg_size 120
		.amdhsa_user_sgpr_count 2
		.amdhsa_user_sgpr_dispatch_ptr 0
		.amdhsa_user_sgpr_queue_ptr 0
		.amdhsa_user_sgpr_kernarg_segment_ptr 1
		.amdhsa_user_sgpr_dispatch_id 0
		.amdhsa_user_sgpr_kernarg_preload_length 0
		.amdhsa_user_sgpr_kernarg_preload_offset 0
		.amdhsa_user_sgpr_private_segment_size 0
		.amdhsa_uses_dynamic_stack 0
		.amdhsa_enable_private_segment 0
		.amdhsa_system_sgpr_workgroup_id_x 1
		.amdhsa_system_sgpr_workgroup_id_y 0
		.amdhsa_system_sgpr_workgroup_id_z 0
		.amdhsa_system_sgpr_workgroup_info 0
		.amdhsa_system_vgpr_workitem_id 0
		.amdhsa_next_free_vgpr 1
		.amdhsa_next_free_sgpr 0
		.amdhsa_accum_offset 4
		.amdhsa_reserve_vcc 0
		.amdhsa_float_round_mode_32 0
		.amdhsa_float_round_mode_16_64 0
		.amdhsa_float_denorm_mode_32 3
		.amdhsa_float_denorm_mode_16_64 3
		.amdhsa_dx10_clamp 1
		.amdhsa_ieee_mode 1
		.amdhsa_fp16_overflow 0
		.amdhsa_tg_split 0
		.amdhsa_exception_fp_ieee_invalid_op 0
		.amdhsa_exception_fp_denorm_src 0
		.amdhsa_exception_fp_ieee_div_zero 0
		.amdhsa_exception_fp_ieee_overflow 0
		.amdhsa_exception_fp_ieee_underflow 0
		.amdhsa_exception_fp_ieee_inexact 0
		.amdhsa_exception_int_div_zero 0
	.end_amdhsa_kernel
	.section	.text._ZN7rocprim17ROCPRIM_400000_NS6detail17trampoline_kernelINS0_14default_configENS1_27scan_by_key_config_selectorIj11FixedVectorIiLj2EEEEZZNS1_16scan_by_key_implILNS1_25lookback_scan_determinismE0ELb1ES3_N6thrust23THRUST_200600_302600_NS6detail15normal_iteratorINSB_10device_ptrIjEEEENSD_INSE_IS6_EEEESI_S6_NSB_4plusIvEENSB_8equal_toIvEES6_EE10hipError_tPvRmT2_T3_T4_T5_mT6_T7_P12ihipStream_tbENKUlT_T0_E_clISt17integral_constantIbLb1EES12_IbLb0EEEEDaSY_SZ_EUlSY_E_NS1_11comp_targetILNS1_3genE4ELNS1_11target_archE910ELNS1_3gpuE8ELNS1_3repE0EEENS1_30default_config_static_selectorELNS0_4arch9wavefront6targetE1EEEvT1_,"axG",@progbits,_ZN7rocprim17ROCPRIM_400000_NS6detail17trampoline_kernelINS0_14default_configENS1_27scan_by_key_config_selectorIj11FixedVectorIiLj2EEEEZZNS1_16scan_by_key_implILNS1_25lookback_scan_determinismE0ELb1ES3_N6thrust23THRUST_200600_302600_NS6detail15normal_iteratorINSB_10device_ptrIjEEEENSD_INSE_IS6_EEEESI_S6_NSB_4plusIvEENSB_8equal_toIvEES6_EE10hipError_tPvRmT2_T3_T4_T5_mT6_T7_P12ihipStream_tbENKUlT_T0_E_clISt17integral_constantIbLb1EES12_IbLb0EEEEDaSY_SZ_EUlSY_E_NS1_11comp_targetILNS1_3genE4ELNS1_11target_archE910ELNS1_3gpuE8ELNS1_3repE0EEENS1_30default_config_static_selectorELNS0_4arch9wavefront6targetE1EEEvT1_,comdat
.Lfunc_end2014:
	.size	_ZN7rocprim17ROCPRIM_400000_NS6detail17trampoline_kernelINS0_14default_configENS1_27scan_by_key_config_selectorIj11FixedVectorIiLj2EEEEZZNS1_16scan_by_key_implILNS1_25lookback_scan_determinismE0ELb1ES3_N6thrust23THRUST_200600_302600_NS6detail15normal_iteratorINSB_10device_ptrIjEEEENSD_INSE_IS6_EEEESI_S6_NSB_4plusIvEENSB_8equal_toIvEES6_EE10hipError_tPvRmT2_T3_T4_T5_mT6_T7_P12ihipStream_tbENKUlT_T0_E_clISt17integral_constantIbLb1EES12_IbLb0EEEEDaSY_SZ_EUlSY_E_NS1_11comp_targetILNS1_3genE4ELNS1_11target_archE910ELNS1_3gpuE8ELNS1_3repE0EEENS1_30default_config_static_selectorELNS0_4arch9wavefront6targetE1EEEvT1_, .Lfunc_end2014-_ZN7rocprim17ROCPRIM_400000_NS6detail17trampoline_kernelINS0_14default_configENS1_27scan_by_key_config_selectorIj11FixedVectorIiLj2EEEEZZNS1_16scan_by_key_implILNS1_25lookback_scan_determinismE0ELb1ES3_N6thrust23THRUST_200600_302600_NS6detail15normal_iteratorINSB_10device_ptrIjEEEENSD_INSE_IS6_EEEESI_S6_NSB_4plusIvEENSB_8equal_toIvEES6_EE10hipError_tPvRmT2_T3_T4_T5_mT6_T7_P12ihipStream_tbENKUlT_T0_E_clISt17integral_constantIbLb1EES12_IbLb0EEEEDaSY_SZ_EUlSY_E_NS1_11comp_targetILNS1_3genE4ELNS1_11target_archE910ELNS1_3gpuE8ELNS1_3repE0EEENS1_30default_config_static_selectorELNS0_4arch9wavefront6targetE1EEEvT1_
                                        ; -- End function
	.section	.AMDGPU.csdata,"",@progbits
; Kernel info:
; codeLenInByte = 0
; NumSgprs: 6
; NumVgprs: 0
; NumAgprs: 0
; TotalNumVgprs: 0
; ScratchSize: 0
; MemoryBound: 0
; FloatMode: 240
; IeeeMode: 1
; LDSByteSize: 0 bytes/workgroup (compile time only)
; SGPRBlocks: 0
; VGPRBlocks: 0
; NumSGPRsForWavesPerEU: 6
; NumVGPRsForWavesPerEU: 1
; AccumOffset: 4
; Occupancy: 8
; WaveLimiterHint : 0
; COMPUTE_PGM_RSRC2:SCRATCH_EN: 0
; COMPUTE_PGM_RSRC2:USER_SGPR: 2
; COMPUTE_PGM_RSRC2:TRAP_HANDLER: 0
; COMPUTE_PGM_RSRC2:TGID_X_EN: 1
; COMPUTE_PGM_RSRC2:TGID_Y_EN: 0
; COMPUTE_PGM_RSRC2:TGID_Z_EN: 0
; COMPUTE_PGM_RSRC2:TIDIG_COMP_CNT: 0
; COMPUTE_PGM_RSRC3_GFX90A:ACCUM_OFFSET: 0
; COMPUTE_PGM_RSRC3_GFX90A:TG_SPLIT: 0
	.section	.text._ZN7rocprim17ROCPRIM_400000_NS6detail17trampoline_kernelINS0_14default_configENS1_27scan_by_key_config_selectorIj11FixedVectorIiLj2EEEEZZNS1_16scan_by_key_implILNS1_25lookback_scan_determinismE0ELb1ES3_N6thrust23THRUST_200600_302600_NS6detail15normal_iteratorINSB_10device_ptrIjEEEENSD_INSE_IS6_EEEESI_S6_NSB_4plusIvEENSB_8equal_toIvEES6_EE10hipError_tPvRmT2_T3_T4_T5_mT6_T7_P12ihipStream_tbENKUlT_T0_E_clISt17integral_constantIbLb1EES12_IbLb0EEEEDaSY_SZ_EUlSY_E_NS1_11comp_targetILNS1_3genE3ELNS1_11target_archE908ELNS1_3gpuE7ELNS1_3repE0EEENS1_30default_config_static_selectorELNS0_4arch9wavefront6targetE1EEEvT1_,"axG",@progbits,_ZN7rocprim17ROCPRIM_400000_NS6detail17trampoline_kernelINS0_14default_configENS1_27scan_by_key_config_selectorIj11FixedVectorIiLj2EEEEZZNS1_16scan_by_key_implILNS1_25lookback_scan_determinismE0ELb1ES3_N6thrust23THRUST_200600_302600_NS6detail15normal_iteratorINSB_10device_ptrIjEEEENSD_INSE_IS6_EEEESI_S6_NSB_4plusIvEENSB_8equal_toIvEES6_EE10hipError_tPvRmT2_T3_T4_T5_mT6_T7_P12ihipStream_tbENKUlT_T0_E_clISt17integral_constantIbLb1EES12_IbLb0EEEEDaSY_SZ_EUlSY_E_NS1_11comp_targetILNS1_3genE3ELNS1_11target_archE908ELNS1_3gpuE7ELNS1_3repE0EEENS1_30default_config_static_selectorELNS0_4arch9wavefront6targetE1EEEvT1_,comdat
	.protected	_ZN7rocprim17ROCPRIM_400000_NS6detail17trampoline_kernelINS0_14default_configENS1_27scan_by_key_config_selectorIj11FixedVectorIiLj2EEEEZZNS1_16scan_by_key_implILNS1_25lookback_scan_determinismE0ELb1ES3_N6thrust23THRUST_200600_302600_NS6detail15normal_iteratorINSB_10device_ptrIjEEEENSD_INSE_IS6_EEEESI_S6_NSB_4plusIvEENSB_8equal_toIvEES6_EE10hipError_tPvRmT2_T3_T4_T5_mT6_T7_P12ihipStream_tbENKUlT_T0_E_clISt17integral_constantIbLb1EES12_IbLb0EEEEDaSY_SZ_EUlSY_E_NS1_11comp_targetILNS1_3genE3ELNS1_11target_archE908ELNS1_3gpuE7ELNS1_3repE0EEENS1_30default_config_static_selectorELNS0_4arch9wavefront6targetE1EEEvT1_ ; -- Begin function _ZN7rocprim17ROCPRIM_400000_NS6detail17trampoline_kernelINS0_14default_configENS1_27scan_by_key_config_selectorIj11FixedVectorIiLj2EEEEZZNS1_16scan_by_key_implILNS1_25lookback_scan_determinismE0ELb1ES3_N6thrust23THRUST_200600_302600_NS6detail15normal_iteratorINSB_10device_ptrIjEEEENSD_INSE_IS6_EEEESI_S6_NSB_4plusIvEENSB_8equal_toIvEES6_EE10hipError_tPvRmT2_T3_T4_T5_mT6_T7_P12ihipStream_tbENKUlT_T0_E_clISt17integral_constantIbLb1EES12_IbLb0EEEEDaSY_SZ_EUlSY_E_NS1_11comp_targetILNS1_3genE3ELNS1_11target_archE908ELNS1_3gpuE7ELNS1_3repE0EEENS1_30default_config_static_selectorELNS0_4arch9wavefront6targetE1EEEvT1_
	.globl	_ZN7rocprim17ROCPRIM_400000_NS6detail17trampoline_kernelINS0_14default_configENS1_27scan_by_key_config_selectorIj11FixedVectorIiLj2EEEEZZNS1_16scan_by_key_implILNS1_25lookback_scan_determinismE0ELb1ES3_N6thrust23THRUST_200600_302600_NS6detail15normal_iteratorINSB_10device_ptrIjEEEENSD_INSE_IS6_EEEESI_S6_NSB_4plusIvEENSB_8equal_toIvEES6_EE10hipError_tPvRmT2_T3_T4_T5_mT6_T7_P12ihipStream_tbENKUlT_T0_E_clISt17integral_constantIbLb1EES12_IbLb0EEEEDaSY_SZ_EUlSY_E_NS1_11comp_targetILNS1_3genE3ELNS1_11target_archE908ELNS1_3gpuE7ELNS1_3repE0EEENS1_30default_config_static_selectorELNS0_4arch9wavefront6targetE1EEEvT1_
	.p2align	8
	.type	_ZN7rocprim17ROCPRIM_400000_NS6detail17trampoline_kernelINS0_14default_configENS1_27scan_by_key_config_selectorIj11FixedVectorIiLj2EEEEZZNS1_16scan_by_key_implILNS1_25lookback_scan_determinismE0ELb1ES3_N6thrust23THRUST_200600_302600_NS6detail15normal_iteratorINSB_10device_ptrIjEEEENSD_INSE_IS6_EEEESI_S6_NSB_4plusIvEENSB_8equal_toIvEES6_EE10hipError_tPvRmT2_T3_T4_T5_mT6_T7_P12ihipStream_tbENKUlT_T0_E_clISt17integral_constantIbLb1EES12_IbLb0EEEEDaSY_SZ_EUlSY_E_NS1_11comp_targetILNS1_3genE3ELNS1_11target_archE908ELNS1_3gpuE7ELNS1_3repE0EEENS1_30default_config_static_selectorELNS0_4arch9wavefront6targetE1EEEvT1_,@function
_ZN7rocprim17ROCPRIM_400000_NS6detail17trampoline_kernelINS0_14default_configENS1_27scan_by_key_config_selectorIj11FixedVectorIiLj2EEEEZZNS1_16scan_by_key_implILNS1_25lookback_scan_determinismE0ELb1ES3_N6thrust23THRUST_200600_302600_NS6detail15normal_iteratorINSB_10device_ptrIjEEEENSD_INSE_IS6_EEEESI_S6_NSB_4plusIvEENSB_8equal_toIvEES6_EE10hipError_tPvRmT2_T3_T4_T5_mT6_T7_P12ihipStream_tbENKUlT_T0_E_clISt17integral_constantIbLb1EES12_IbLb0EEEEDaSY_SZ_EUlSY_E_NS1_11comp_targetILNS1_3genE3ELNS1_11target_archE908ELNS1_3gpuE7ELNS1_3repE0EEENS1_30default_config_static_selectorELNS0_4arch9wavefront6targetE1EEEvT1_: ; @_ZN7rocprim17ROCPRIM_400000_NS6detail17trampoline_kernelINS0_14default_configENS1_27scan_by_key_config_selectorIj11FixedVectorIiLj2EEEEZZNS1_16scan_by_key_implILNS1_25lookback_scan_determinismE0ELb1ES3_N6thrust23THRUST_200600_302600_NS6detail15normal_iteratorINSB_10device_ptrIjEEEENSD_INSE_IS6_EEEESI_S6_NSB_4plusIvEENSB_8equal_toIvEES6_EE10hipError_tPvRmT2_T3_T4_T5_mT6_T7_P12ihipStream_tbENKUlT_T0_E_clISt17integral_constantIbLb1EES12_IbLb0EEEEDaSY_SZ_EUlSY_E_NS1_11comp_targetILNS1_3genE3ELNS1_11target_archE908ELNS1_3gpuE7ELNS1_3repE0EEENS1_30default_config_static_selectorELNS0_4arch9wavefront6targetE1EEEvT1_
; %bb.0:
	.section	.rodata,"a",@progbits
	.p2align	6, 0x0
	.amdhsa_kernel _ZN7rocprim17ROCPRIM_400000_NS6detail17trampoline_kernelINS0_14default_configENS1_27scan_by_key_config_selectorIj11FixedVectorIiLj2EEEEZZNS1_16scan_by_key_implILNS1_25lookback_scan_determinismE0ELb1ES3_N6thrust23THRUST_200600_302600_NS6detail15normal_iteratorINSB_10device_ptrIjEEEENSD_INSE_IS6_EEEESI_S6_NSB_4plusIvEENSB_8equal_toIvEES6_EE10hipError_tPvRmT2_T3_T4_T5_mT6_T7_P12ihipStream_tbENKUlT_T0_E_clISt17integral_constantIbLb1EES12_IbLb0EEEEDaSY_SZ_EUlSY_E_NS1_11comp_targetILNS1_3genE3ELNS1_11target_archE908ELNS1_3gpuE7ELNS1_3repE0EEENS1_30default_config_static_selectorELNS0_4arch9wavefront6targetE1EEEvT1_
		.amdhsa_group_segment_fixed_size 0
		.amdhsa_private_segment_fixed_size 0
		.amdhsa_kernarg_size 120
		.amdhsa_user_sgpr_count 2
		.amdhsa_user_sgpr_dispatch_ptr 0
		.amdhsa_user_sgpr_queue_ptr 0
		.amdhsa_user_sgpr_kernarg_segment_ptr 1
		.amdhsa_user_sgpr_dispatch_id 0
		.amdhsa_user_sgpr_kernarg_preload_length 0
		.amdhsa_user_sgpr_kernarg_preload_offset 0
		.amdhsa_user_sgpr_private_segment_size 0
		.amdhsa_uses_dynamic_stack 0
		.amdhsa_enable_private_segment 0
		.amdhsa_system_sgpr_workgroup_id_x 1
		.amdhsa_system_sgpr_workgroup_id_y 0
		.amdhsa_system_sgpr_workgroup_id_z 0
		.amdhsa_system_sgpr_workgroup_info 0
		.amdhsa_system_vgpr_workitem_id 0
		.amdhsa_next_free_vgpr 1
		.amdhsa_next_free_sgpr 0
		.amdhsa_accum_offset 4
		.amdhsa_reserve_vcc 0
		.amdhsa_float_round_mode_32 0
		.amdhsa_float_round_mode_16_64 0
		.amdhsa_float_denorm_mode_32 3
		.amdhsa_float_denorm_mode_16_64 3
		.amdhsa_dx10_clamp 1
		.amdhsa_ieee_mode 1
		.amdhsa_fp16_overflow 0
		.amdhsa_tg_split 0
		.amdhsa_exception_fp_ieee_invalid_op 0
		.amdhsa_exception_fp_denorm_src 0
		.amdhsa_exception_fp_ieee_div_zero 0
		.amdhsa_exception_fp_ieee_overflow 0
		.amdhsa_exception_fp_ieee_underflow 0
		.amdhsa_exception_fp_ieee_inexact 0
		.amdhsa_exception_int_div_zero 0
	.end_amdhsa_kernel
	.section	.text._ZN7rocprim17ROCPRIM_400000_NS6detail17trampoline_kernelINS0_14default_configENS1_27scan_by_key_config_selectorIj11FixedVectorIiLj2EEEEZZNS1_16scan_by_key_implILNS1_25lookback_scan_determinismE0ELb1ES3_N6thrust23THRUST_200600_302600_NS6detail15normal_iteratorINSB_10device_ptrIjEEEENSD_INSE_IS6_EEEESI_S6_NSB_4plusIvEENSB_8equal_toIvEES6_EE10hipError_tPvRmT2_T3_T4_T5_mT6_T7_P12ihipStream_tbENKUlT_T0_E_clISt17integral_constantIbLb1EES12_IbLb0EEEEDaSY_SZ_EUlSY_E_NS1_11comp_targetILNS1_3genE3ELNS1_11target_archE908ELNS1_3gpuE7ELNS1_3repE0EEENS1_30default_config_static_selectorELNS0_4arch9wavefront6targetE1EEEvT1_,"axG",@progbits,_ZN7rocprim17ROCPRIM_400000_NS6detail17trampoline_kernelINS0_14default_configENS1_27scan_by_key_config_selectorIj11FixedVectorIiLj2EEEEZZNS1_16scan_by_key_implILNS1_25lookback_scan_determinismE0ELb1ES3_N6thrust23THRUST_200600_302600_NS6detail15normal_iteratorINSB_10device_ptrIjEEEENSD_INSE_IS6_EEEESI_S6_NSB_4plusIvEENSB_8equal_toIvEES6_EE10hipError_tPvRmT2_T3_T4_T5_mT6_T7_P12ihipStream_tbENKUlT_T0_E_clISt17integral_constantIbLb1EES12_IbLb0EEEEDaSY_SZ_EUlSY_E_NS1_11comp_targetILNS1_3genE3ELNS1_11target_archE908ELNS1_3gpuE7ELNS1_3repE0EEENS1_30default_config_static_selectorELNS0_4arch9wavefront6targetE1EEEvT1_,comdat
.Lfunc_end2015:
	.size	_ZN7rocprim17ROCPRIM_400000_NS6detail17trampoline_kernelINS0_14default_configENS1_27scan_by_key_config_selectorIj11FixedVectorIiLj2EEEEZZNS1_16scan_by_key_implILNS1_25lookback_scan_determinismE0ELb1ES3_N6thrust23THRUST_200600_302600_NS6detail15normal_iteratorINSB_10device_ptrIjEEEENSD_INSE_IS6_EEEESI_S6_NSB_4plusIvEENSB_8equal_toIvEES6_EE10hipError_tPvRmT2_T3_T4_T5_mT6_T7_P12ihipStream_tbENKUlT_T0_E_clISt17integral_constantIbLb1EES12_IbLb0EEEEDaSY_SZ_EUlSY_E_NS1_11comp_targetILNS1_3genE3ELNS1_11target_archE908ELNS1_3gpuE7ELNS1_3repE0EEENS1_30default_config_static_selectorELNS0_4arch9wavefront6targetE1EEEvT1_, .Lfunc_end2015-_ZN7rocprim17ROCPRIM_400000_NS6detail17trampoline_kernelINS0_14default_configENS1_27scan_by_key_config_selectorIj11FixedVectorIiLj2EEEEZZNS1_16scan_by_key_implILNS1_25lookback_scan_determinismE0ELb1ES3_N6thrust23THRUST_200600_302600_NS6detail15normal_iteratorINSB_10device_ptrIjEEEENSD_INSE_IS6_EEEESI_S6_NSB_4plusIvEENSB_8equal_toIvEES6_EE10hipError_tPvRmT2_T3_T4_T5_mT6_T7_P12ihipStream_tbENKUlT_T0_E_clISt17integral_constantIbLb1EES12_IbLb0EEEEDaSY_SZ_EUlSY_E_NS1_11comp_targetILNS1_3genE3ELNS1_11target_archE908ELNS1_3gpuE7ELNS1_3repE0EEENS1_30default_config_static_selectorELNS0_4arch9wavefront6targetE1EEEvT1_
                                        ; -- End function
	.section	.AMDGPU.csdata,"",@progbits
; Kernel info:
; codeLenInByte = 0
; NumSgprs: 6
; NumVgprs: 0
; NumAgprs: 0
; TotalNumVgprs: 0
; ScratchSize: 0
; MemoryBound: 0
; FloatMode: 240
; IeeeMode: 1
; LDSByteSize: 0 bytes/workgroup (compile time only)
; SGPRBlocks: 0
; VGPRBlocks: 0
; NumSGPRsForWavesPerEU: 6
; NumVGPRsForWavesPerEU: 1
; AccumOffset: 4
; Occupancy: 8
; WaveLimiterHint : 0
; COMPUTE_PGM_RSRC2:SCRATCH_EN: 0
; COMPUTE_PGM_RSRC2:USER_SGPR: 2
; COMPUTE_PGM_RSRC2:TRAP_HANDLER: 0
; COMPUTE_PGM_RSRC2:TGID_X_EN: 1
; COMPUTE_PGM_RSRC2:TGID_Y_EN: 0
; COMPUTE_PGM_RSRC2:TGID_Z_EN: 0
; COMPUTE_PGM_RSRC2:TIDIG_COMP_CNT: 0
; COMPUTE_PGM_RSRC3_GFX90A:ACCUM_OFFSET: 0
; COMPUTE_PGM_RSRC3_GFX90A:TG_SPLIT: 0
	.section	.text._ZN7rocprim17ROCPRIM_400000_NS6detail17trampoline_kernelINS0_14default_configENS1_27scan_by_key_config_selectorIj11FixedVectorIiLj2EEEEZZNS1_16scan_by_key_implILNS1_25lookback_scan_determinismE0ELb1ES3_N6thrust23THRUST_200600_302600_NS6detail15normal_iteratorINSB_10device_ptrIjEEEENSD_INSE_IS6_EEEESI_S6_NSB_4plusIvEENSB_8equal_toIvEES6_EE10hipError_tPvRmT2_T3_T4_T5_mT6_T7_P12ihipStream_tbENKUlT_T0_E_clISt17integral_constantIbLb1EES12_IbLb0EEEEDaSY_SZ_EUlSY_E_NS1_11comp_targetILNS1_3genE2ELNS1_11target_archE906ELNS1_3gpuE6ELNS1_3repE0EEENS1_30default_config_static_selectorELNS0_4arch9wavefront6targetE1EEEvT1_,"axG",@progbits,_ZN7rocprim17ROCPRIM_400000_NS6detail17trampoline_kernelINS0_14default_configENS1_27scan_by_key_config_selectorIj11FixedVectorIiLj2EEEEZZNS1_16scan_by_key_implILNS1_25lookback_scan_determinismE0ELb1ES3_N6thrust23THRUST_200600_302600_NS6detail15normal_iteratorINSB_10device_ptrIjEEEENSD_INSE_IS6_EEEESI_S6_NSB_4plusIvEENSB_8equal_toIvEES6_EE10hipError_tPvRmT2_T3_T4_T5_mT6_T7_P12ihipStream_tbENKUlT_T0_E_clISt17integral_constantIbLb1EES12_IbLb0EEEEDaSY_SZ_EUlSY_E_NS1_11comp_targetILNS1_3genE2ELNS1_11target_archE906ELNS1_3gpuE6ELNS1_3repE0EEENS1_30default_config_static_selectorELNS0_4arch9wavefront6targetE1EEEvT1_,comdat
	.protected	_ZN7rocprim17ROCPRIM_400000_NS6detail17trampoline_kernelINS0_14default_configENS1_27scan_by_key_config_selectorIj11FixedVectorIiLj2EEEEZZNS1_16scan_by_key_implILNS1_25lookback_scan_determinismE0ELb1ES3_N6thrust23THRUST_200600_302600_NS6detail15normal_iteratorINSB_10device_ptrIjEEEENSD_INSE_IS6_EEEESI_S6_NSB_4plusIvEENSB_8equal_toIvEES6_EE10hipError_tPvRmT2_T3_T4_T5_mT6_T7_P12ihipStream_tbENKUlT_T0_E_clISt17integral_constantIbLb1EES12_IbLb0EEEEDaSY_SZ_EUlSY_E_NS1_11comp_targetILNS1_3genE2ELNS1_11target_archE906ELNS1_3gpuE6ELNS1_3repE0EEENS1_30default_config_static_selectorELNS0_4arch9wavefront6targetE1EEEvT1_ ; -- Begin function _ZN7rocprim17ROCPRIM_400000_NS6detail17trampoline_kernelINS0_14default_configENS1_27scan_by_key_config_selectorIj11FixedVectorIiLj2EEEEZZNS1_16scan_by_key_implILNS1_25lookback_scan_determinismE0ELb1ES3_N6thrust23THRUST_200600_302600_NS6detail15normal_iteratorINSB_10device_ptrIjEEEENSD_INSE_IS6_EEEESI_S6_NSB_4plusIvEENSB_8equal_toIvEES6_EE10hipError_tPvRmT2_T3_T4_T5_mT6_T7_P12ihipStream_tbENKUlT_T0_E_clISt17integral_constantIbLb1EES12_IbLb0EEEEDaSY_SZ_EUlSY_E_NS1_11comp_targetILNS1_3genE2ELNS1_11target_archE906ELNS1_3gpuE6ELNS1_3repE0EEENS1_30default_config_static_selectorELNS0_4arch9wavefront6targetE1EEEvT1_
	.globl	_ZN7rocprim17ROCPRIM_400000_NS6detail17trampoline_kernelINS0_14default_configENS1_27scan_by_key_config_selectorIj11FixedVectorIiLj2EEEEZZNS1_16scan_by_key_implILNS1_25lookback_scan_determinismE0ELb1ES3_N6thrust23THRUST_200600_302600_NS6detail15normal_iteratorINSB_10device_ptrIjEEEENSD_INSE_IS6_EEEESI_S6_NSB_4plusIvEENSB_8equal_toIvEES6_EE10hipError_tPvRmT2_T3_T4_T5_mT6_T7_P12ihipStream_tbENKUlT_T0_E_clISt17integral_constantIbLb1EES12_IbLb0EEEEDaSY_SZ_EUlSY_E_NS1_11comp_targetILNS1_3genE2ELNS1_11target_archE906ELNS1_3gpuE6ELNS1_3repE0EEENS1_30default_config_static_selectorELNS0_4arch9wavefront6targetE1EEEvT1_
	.p2align	8
	.type	_ZN7rocprim17ROCPRIM_400000_NS6detail17trampoline_kernelINS0_14default_configENS1_27scan_by_key_config_selectorIj11FixedVectorIiLj2EEEEZZNS1_16scan_by_key_implILNS1_25lookback_scan_determinismE0ELb1ES3_N6thrust23THRUST_200600_302600_NS6detail15normal_iteratorINSB_10device_ptrIjEEEENSD_INSE_IS6_EEEESI_S6_NSB_4plusIvEENSB_8equal_toIvEES6_EE10hipError_tPvRmT2_T3_T4_T5_mT6_T7_P12ihipStream_tbENKUlT_T0_E_clISt17integral_constantIbLb1EES12_IbLb0EEEEDaSY_SZ_EUlSY_E_NS1_11comp_targetILNS1_3genE2ELNS1_11target_archE906ELNS1_3gpuE6ELNS1_3repE0EEENS1_30default_config_static_selectorELNS0_4arch9wavefront6targetE1EEEvT1_,@function
_ZN7rocprim17ROCPRIM_400000_NS6detail17trampoline_kernelINS0_14default_configENS1_27scan_by_key_config_selectorIj11FixedVectorIiLj2EEEEZZNS1_16scan_by_key_implILNS1_25lookback_scan_determinismE0ELb1ES3_N6thrust23THRUST_200600_302600_NS6detail15normal_iteratorINSB_10device_ptrIjEEEENSD_INSE_IS6_EEEESI_S6_NSB_4plusIvEENSB_8equal_toIvEES6_EE10hipError_tPvRmT2_T3_T4_T5_mT6_T7_P12ihipStream_tbENKUlT_T0_E_clISt17integral_constantIbLb1EES12_IbLb0EEEEDaSY_SZ_EUlSY_E_NS1_11comp_targetILNS1_3genE2ELNS1_11target_archE906ELNS1_3gpuE6ELNS1_3repE0EEENS1_30default_config_static_selectorELNS0_4arch9wavefront6targetE1EEEvT1_: ; @_ZN7rocprim17ROCPRIM_400000_NS6detail17trampoline_kernelINS0_14default_configENS1_27scan_by_key_config_selectorIj11FixedVectorIiLj2EEEEZZNS1_16scan_by_key_implILNS1_25lookback_scan_determinismE0ELb1ES3_N6thrust23THRUST_200600_302600_NS6detail15normal_iteratorINSB_10device_ptrIjEEEENSD_INSE_IS6_EEEESI_S6_NSB_4plusIvEENSB_8equal_toIvEES6_EE10hipError_tPvRmT2_T3_T4_T5_mT6_T7_P12ihipStream_tbENKUlT_T0_E_clISt17integral_constantIbLb1EES12_IbLb0EEEEDaSY_SZ_EUlSY_E_NS1_11comp_targetILNS1_3genE2ELNS1_11target_archE906ELNS1_3gpuE6ELNS1_3repE0EEENS1_30default_config_static_selectorELNS0_4arch9wavefront6targetE1EEEvT1_
; %bb.0:
	.section	.rodata,"a",@progbits
	.p2align	6, 0x0
	.amdhsa_kernel _ZN7rocprim17ROCPRIM_400000_NS6detail17trampoline_kernelINS0_14default_configENS1_27scan_by_key_config_selectorIj11FixedVectorIiLj2EEEEZZNS1_16scan_by_key_implILNS1_25lookback_scan_determinismE0ELb1ES3_N6thrust23THRUST_200600_302600_NS6detail15normal_iteratorINSB_10device_ptrIjEEEENSD_INSE_IS6_EEEESI_S6_NSB_4plusIvEENSB_8equal_toIvEES6_EE10hipError_tPvRmT2_T3_T4_T5_mT6_T7_P12ihipStream_tbENKUlT_T0_E_clISt17integral_constantIbLb1EES12_IbLb0EEEEDaSY_SZ_EUlSY_E_NS1_11comp_targetILNS1_3genE2ELNS1_11target_archE906ELNS1_3gpuE6ELNS1_3repE0EEENS1_30default_config_static_selectorELNS0_4arch9wavefront6targetE1EEEvT1_
		.amdhsa_group_segment_fixed_size 0
		.amdhsa_private_segment_fixed_size 0
		.amdhsa_kernarg_size 120
		.amdhsa_user_sgpr_count 2
		.amdhsa_user_sgpr_dispatch_ptr 0
		.amdhsa_user_sgpr_queue_ptr 0
		.amdhsa_user_sgpr_kernarg_segment_ptr 1
		.amdhsa_user_sgpr_dispatch_id 0
		.amdhsa_user_sgpr_kernarg_preload_length 0
		.amdhsa_user_sgpr_kernarg_preload_offset 0
		.amdhsa_user_sgpr_private_segment_size 0
		.amdhsa_uses_dynamic_stack 0
		.amdhsa_enable_private_segment 0
		.amdhsa_system_sgpr_workgroup_id_x 1
		.amdhsa_system_sgpr_workgroup_id_y 0
		.amdhsa_system_sgpr_workgroup_id_z 0
		.amdhsa_system_sgpr_workgroup_info 0
		.amdhsa_system_vgpr_workitem_id 0
		.amdhsa_next_free_vgpr 1
		.amdhsa_next_free_sgpr 0
		.amdhsa_accum_offset 4
		.amdhsa_reserve_vcc 0
		.amdhsa_float_round_mode_32 0
		.amdhsa_float_round_mode_16_64 0
		.amdhsa_float_denorm_mode_32 3
		.amdhsa_float_denorm_mode_16_64 3
		.amdhsa_dx10_clamp 1
		.amdhsa_ieee_mode 1
		.amdhsa_fp16_overflow 0
		.amdhsa_tg_split 0
		.amdhsa_exception_fp_ieee_invalid_op 0
		.amdhsa_exception_fp_denorm_src 0
		.amdhsa_exception_fp_ieee_div_zero 0
		.amdhsa_exception_fp_ieee_overflow 0
		.amdhsa_exception_fp_ieee_underflow 0
		.amdhsa_exception_fp_ieee_inexact 0
		.amdhsa_exception_int_div_zero 0
	.end_amdhsa_kernel
	.section	.text._ZN7rocprim17ROCPRIM_400000_NS6detail17trampoline_kernelINS0_14default_configENS1_27scan_by_key_config_selectorIj11FixedVectorIiLj2EEEEZZNS1_16scan_by_key_implILNS1_25lookback_scan_determinismE0ELb1ES3_N6thrust23THRUST_200600_302600_NS6detail15normal_iteratorINSB_10device_ptrIjEEEENSD_INSE_IS6_EEEESI_S6_NSB_4plusIvEENSB_8equal_toIvEES6_EE10hipError_tPvRmT2_T3_T4_T5_mT6_T7_P12ihipStream_tbENKUlT_T0_E_clISt17integral_constantIbLb1EES12_IbLb0EEEEDaSY_SZ_EUlSY_E_NS1_11comp_targetILNS1_3genE2ELNS1_11target_archE906ELNS1_3gpuE6ELNS1_3repE0EEENS1_30default_config_static_selectorELNS0_4arch9wavefront6targetE1EEEvT1_,"axG",@progbits,_ZN7rocprim17ROCPRIM_400000_NS6detail17trampoline_kernelINS0_14default_configENS1_27scan_by_key_config_selectorIj11FixedVectorIiLj2EEEEZZNS1_16scan_by_key_implILNS1_25lookback_scan_determinismE0ELb1ES3_N6thrust23THRUST_200600_302600_NS6detail15normal_iteratorINSB_10device_ptrIjEEEENSD_INSE_IS6_EEEESI_S6_NSB_4plusIvEENSB_8equal_toIvEES6_EE10hipError_tPvRmT2_T3_T4_T5_mT6_T7_P12ihipStream_tbENKUlT_T0_E_clISt17integral_constantIbLb1EES12_IbLb0EEEEDaSY_SZ_EUlSY_E_NS1_11comp_targetILNS1_3genE2ELNS1_11target_archE906ELNS1_3gpuE6ELNS1_3repE0EEENS1_30default_config_static_selectorELNS0_4arch9wavefront6targetE1EEEvT1_,comdat
.Lfunc_end2016:
	.size	_ZN7rocprim17ROCPRIM_400000_NS6detail17trampoline_kernelINS0_14default_configENS1_27scan_by_key_config_selectorIj11FixedVectorIiLj2EEEEZZNS1_16scan_by_key_implILNS1_25lookback_scan_determinismE0ELb1ES3_N6thrust23THRUST_200600_302600_NS6detail15normal_iteratorINSB_10device_ptrIjEEEENSD_INSE_IS6_EEEESI_S6_NSB_4plusIvEENSB_8equal_toIvEES6_EE10hipError_tPvRmT2_T3_T4_T5_mT6_T7_P12ihipStream_tbENKUlT_T0_E_clISt17integral_constantIbLb1EES12_IbLb0EEEEDaSY_SZ_EUlSY_E_NS1_11comp_targetILNS1_3genE2ELNS1_11target_archE906ELNS1_3gpuE6ELNS1_3repE0EEENS1_30default_config_static_selectorELNS0_4arch9wavefront6targetE1EEEvT1_, .Lfunc_end2016-_ZN7rocprim17ROCPRIM_400000_NS6detail17trampoline_kernelINS0_14default_configENS1_27scan_by_key_config_selectorIj11FixedVectorIiLj2EEEEZZNS1_16scan_by_key_implILNS1_25lookback_scan_determinismE0ELb1ES3_N6thrust23THRUST_200600_302600_NS6detail15normal_iteratorINSB_10device_ptrIjEEEENSD_INSE_IS6_EEEESI_S6_NSB_4plusIvEENSB_8equal_toIvEES6_EE10hipError_tPvRmT2_T3_T4_T5_mT6_T7_P12ihipStream_tbENKUlT_T0_E_clISt17integral_constantIbLb1EES12_IbLb0EEEEDaSY_SZ_EUlSY_E_NS1_11comp_targetILNS1_3genE2ELNS1_11target_archE906ELNS1_3gpuE6ELNS1_3repE0EEENS1_30default_config_static_selectorELNS0_4arch9wavefront6targetE1EEEvT1_
                                        ; -- End function
	.section	.AMDGPU.csdata,"",@progbits
; Kernel info:
; codeLenInByte = 0
; NumSgprs: 6
; NumVgprs: 0
; NumAgprs: 0
; TotalNumVgprs: 0
; ScratchSize: 0
; MemoryBound: 0
; FloatMode: 240
; IeeeMode: 1
; LDSByteSize: 0 bytes/workgroup (compile time only)
; SGPRBlocks: 0
; VGPRBlocks: 0
; NumSGPRsForWavesPerEU: 6
; NumVGPRsForWavesPerEU: 1
; AccumOffset: 4
; Occupancy: 8
; WaveLimiterHint : 0
; COMPUTE_PGM_RSRC2:SCRATCH_EN: 0
; COMPUTE_PGM_RSRC2:USER_SGPR: 2
; COMPUTE_PGM_RSRC2:TRAP_HANDLER: 0
; COMPUTE_PGM_RSRC2:TGID_X_EN: 1
; COMPUTE_PGM_RSRC2:TGID_Y_EN: 0
; COMPUTE_PGM_RSRC2:TGID_Z_EN: 0
; COMPUTE_PGM_RSRC2:TIDIG_COMP_CNT: 0
; COMPUTE_PGM_RSRC3_GFX90A:ACCUM_OFFSET: 0
; COMPUTE_PGM_RSRC3_GFX90A:TG_SPLIT: 0
	.section	.text._ZN7rocprim17ROCPRIM_400000_NS6detail17trampoline_kernelINS0_14default_configENS1_27scan_by_key_config_selectorIj11FixedVectorIiLj2EEEEZZNS1_16scan_by_key_implILNS1_25lookback_scan_determinismE0ELb1ES3_N6thrust23THRUST_200600_302600_NS6detail15normal_iteratorINSB_10device_ptrIjEEEENSD_INSE_IS6_EEEESI_S6_NSB_4plusIvEENSB_8equal_toIvEES6_EE10hipError_tPvRmT2_T3_T4_T5_mT6_T7_P12ihipStream_tbENKUlT_T0_E_clISt17integral_constantIbLb1EES12_IbLb0EEEEDaSY_SZ_EUlSY_E_NS1_11comp_targetILNS1_3genE10ELNS1_11target_archE1200ELNS1_3gpuE4ELNS1_3repE0EEENS1_30default_config_static_selectorELNS0_4arch9wavefront6targetE1EEEvT1_,"axG",@progbits,_ZN7rocprim17ROCPRIM_400000_NS6detail17trampoline_kernelINS0_14default_configENS1_27scan_by_key_config_selectorIj11FixedVectorIiLj2EEEEZZNS1_16scan_by_key_implILNS1_25lookback_scan_determinismE0ELb1ES3_N6thrust23THRUST_200600_302600_NS6detail15normal_iteratorINSB_10device_ptrIjEEEENSD_INSE_IS6_EEEESI_S6_NSB_4plusIvEENSB_8equal_toIvEES6_EE10hipError_tPvRmT2_T3_T4_T5_mT6_T7_P12ihipStream_tbENKUlT_T0_E_clISt17integral_constantIbLb1EES12_IbLb0EEEEDaSY_SZ_EUlSY_E_NS1_11comp_targetILNS1_3genE10ELNS1_11target_archE1200ELNS1_3gpuE4ELNS1_3repE0EEENS1_30default_config_static_selectorELNS0_4arch9wavefront6targetE1EEEvT1_,comdat
	.protected	_ZN7rocprim17ROCPRIM_400000_NS6detail17trampoline_kernelINS0_14default_configENS1_27scan_by_key_config_selectorIj11FixedVectorIiLj2EEEEZZNS1_16scan_by_key_implILNS1_25lookback_scan_determinismE0ELb1ES3_N6thrust23THRUST_200600_302600_NS6detail15normal_iteratorINSB_10device_ptrIjEEEENSD_INSE_IS6_EEEESI_S6_NSB_4plusIvEENSB_8equal_toIvEES6_EE10hipError_tPvRmT2_T3_T4_T5_mT6_T7_P12ihipStream_tbENKUlT_T0_E_clISt17integral_constantIbLb1EES12_IbLb0EEEEDaSY_SZ_EUlSY_E_NS1_11comp_targetILNS1_3genE10ELNS1_11target_archE1200ELNS1_3gpuE4ELNS1_3repE0EEENS1_30default_config_static_selectorELNS0_4arch9wavefront6targetE1EEEvT1_ ; -- Begin function _ZN7rocprim17ROCPRIM_400000_NS6detail17trampoline_kernelINS0_14default_configENS1_27scan_by_key_config_selectorIj11FixedVectorIiLj2EEEEZZNS1_16scan_by_key_implILNS1_25lookback_scan_determinismE0ELb1ES3_N6thrust23THRUST_200600_302600_NS6detail15normal_iteratorINSB_10device_ptrIjEEEENSD_INSE_IS6_EEEESI_S6_NSB_4plusIvEENSB_8equal_toIvEES6_EE10hipError_tPvRmT2_T3_T4_T5_mT6_T7_P12ihipStream_tbENKUlT_T0_E_clISt17integral_constantIbLb1EES12_IbLb0EEEEDaSY_SZ_EUlSY_E_NS1_11comp_targetILNS1_3genE10ELNS1_11target_archE1200ELNS1_3gpuE4ELNS1_3repE0EEENS1_30default_config_static_selectorELNS0_4arch9wavefront6targetE1EEEvT1_
	.globl	_ZN7rocprim17ROCPRIM_400000_NS6detail17trampoline_kernelINS0_14default_configENS1_27scan_by_key_config_selectorIj11FixedVectorIiLj2EEEEZZNS1_16scan_by_key_implILNS1_25lookback_scan_determinismE0ELb1ES3_N6thrust23THRUST_200600_302600_NS6detail15normal_iteratorINSB_10device_ptrIjEEEENSD_INSE_IS6_EEEESI_S6_NSB_4plusIvEENSB_8equal_toIvEES6_EE10hipError_tPvRmT2_T3_T4_T5_mT6_T7_P12ihipStream_tbENKUlT_T0_E_clISt17integral_constantIbLb1EES12_IbLb0EEEEDaSY_SZ_EUlSY_E_NS1_11comp_targetILNS1_3genE10ELNS1_11target_archE1200ELNS1_3gpuE4ELNS1_3repE0EEENS1_30default_config_static_selectorELNS0_4arch9wavefront6targetE1EEEvT1_
	.p2align	8
	.type	_ZN7rocprim17ROCPRIM_400000_NS6detail17trampoline_kernelINS0_14default_configENS1_27scan_by_key_config_selectorIj11FixedVectorIiLj2EEEEZZNS1_16scan_by_key_implILNS1_25lookback_scan_determinismE0ELb1ES3_N6thrust23THRUST_200600_302600_NS6detail15normal_iteratorINSB_10device_ptrIjEEEENSD_INSE_IS6_EEEESI_S6_NSB_4plusIvEENSB_8equal_toIvEES6_EE10hipError_tPvRmT2_T3_T4_T5_mT6_T7_P12ihipStream_tbENKUlT_T0_E_clISt17integral_constantIbLb1EES12_IbLb0EEEEDaSY_SZ_EUlSY_E_NS1_11comp_targetILNS1_3genE10ELNS1_11target_archE1200ELNS1_3gpuE4ELNS1_3repE0EEENS1_30default_config_static_selectorELNS0_4arch9wavefront6targetE1EEEvT1_,@function
_ZN7rocprim17ROCPRIM_400000_NS6detail17trampoline_kernelINS0_14default_configENS1_27scan_by_key_config_selectorIj11FixedVectorIiLj2EEEEZZNS1_16scan_by_key_implILNS1_25lookback_scan_determinismE0ELb1ES3_N6thrust23THRUST_200600_302600_NS6detail15normal_iteratorINSB_10device_ptrIjEEEENSD_INSE_IS6_EEEESI_S6_NSB_4plusIvEENSB_8equal_toIvEES6_EE10hipError_tPvRmT2_T3_T4_T5_mT6_T7_P12ihipStream_tbENKUlT_T0_E_clISt17integral_constantIbLb1EES12_IbLb0EEEEDaSY_SZ_EUlSY_E_NS1_11comp_targetILNS1_3genE10ELNS1_11target_archE1200ELNS1_3gpuE4ELNS1_3repE0EEENS1_30default_config_static_selectorELNS0_4arch9wavefront6targetE1EEEvT1_: ; @_ZN7rocprim17ROCPRIM_400000_NS6detail17trampoline_kernelINS0_14default_configENS1_27scan_by_key_config_selectorIj11FixedVectorIiLj2EEEEZZNS1_16scan_by_key_implILNS1_25lookback_scan_determinismE0ELb1ES3_N6thrust23THRUST_200600_302600_NS6detail15normal_iteratorINSB_10device_ptrIjEEEENSD_INSE_IS6_EEEESI_S6_NSB_4plusIvEENSB_8equal_toIvEES6_EE10hipError_tPvRmT2_T3_T4_T5_mT6_T7_P12ihipStream_tbENKUlT_T0_E_clISt17integral_constantIbLb1EES12_IbLb0EEEEDaSY_SZ_EUlSY_E_NS1_11comp_targetILNS1_3genE10ELNS1_11target_archE1200ELNS1_3gpuE4ELNS1_3repE0EEENS1_30default_config_static_selectorELNS0_4arch9wavefront6targetE1EEEvT1_
; %bb.0:
	.section	.rodata,"a",@progbits
	.p2align	6, 0x0
	.amdhsa_kernel _ZN7rocprim17ROCPRIM_400000_NS6detail17trampoline_kernelINS0_14default_configENS1_27scan_by_key_config_selectorIj11FixedVectorIiLj2EEEEZZNS1_16scan_by_key_implILNS1_25lookback_scan_determinismE0ELb1ES3_N6thrust23THRUST_200600_302600_NS6detail15normal_iteratorINSB_10device_ptrIjEEEENSD_INSE_IS6_EEEESI_S6_NSB_4plusIvEENSB_8equal_toIvEES6_EE10hipError_tPvRmT2_T3_T4_T5_mT6_T7_P12ihipStream_tbENKUlT_T0_E_clISt17integral_constantIbLb1EES12_IbLb0EEEEDaSY_SZ_EUlSY_E_NS1_11comp_targetILNS1_3genE10ELNS1_11target_archE1200ELNS1_3gpuE4ELNS1_3repE0EEENS1_30default_config_static_selectorELNS0_4arch9wavefront6targetE1EEEvT1_
		.amdhsa_group_segment_fixed_size 0
		.amdhsa_private_segment_fixed_size 0
		.amdhsa_kernarg_size 120
		.amdhsa_user_sgpr_count 2
		.amdhsa_user_sgpr_dispatch_ptr 0
		.amdhsa_user_sgpr_queue_ptr 0
		.amdhsa_user_sgpr_kernarg_segment_ptr 1
		.amdhsa_user_sgpr_dispatch_id 0
		.amdhsa_user_sgpr_kernarg_preload_length 0
		.amdhsa_user_sgpr_kernarg_preload_offset 0
		.amdhsa_user_sgpr_private_segment_size 0
		.amdhsa_uses_dynamic_stack 0
		.amdhsa_enable_private_segment 0
		.amdhsa_system_sgpr_workgroup_id_x 1
		.amdhsa_system_sgpr_workgroup_id_y 0
		.amdhsa_system_sgpr_workgroup_id_z 0
		.amdhsa_system_sgpr_workgroup_info 0
		.amdhsa_system_vgpr_workitem_id 0
		.amdhsa_next_free_vgpr 1
		.amdhsa_next_free_sgpr 0
		.amdhsa_accum_offset 4
		.amdhsa_reserve_vcc 0
		.amdhsa_float_round_mode_32 0
		.amdhsa_float_round_mode_16_64 0
		.amdhsa_float_denorm_mode_32 3
		.amdhsa_float_denorm_mode_16_64 3
		.amdhsa_dx10_clamp 1
		.amdhsa_ieee_mode 1
		.amdhsa_fp16_overflow 0
		.amdhsa_tg_split 0
		.amdhsa_exception_fp_ieee_invalid_op 0
		.amdhsa_exception_fp_denorm_src 0
		.amdhsa_exception_fp_ieee_div_zero 0
		.amdhsa_exception_fp_ieee_overflow 0
		.amdhsa_exception_fp_ieee_underflow 0
		.amdhsa_exception_fp_ieee_inexact 0
		.amdhsa_exception_int_div_zero 0
	.end_amdhsa_kernel
	.section	.text._ZN7rocprim17ROCPRIM_400000_NS6detail17trampoline_kernelINS0_14default_configENS1_27scan_by_key_config_selectorIj11FixedVectorIiLj2EEEEZZNS1_16scan_by_key_implILNS1_25lookback_scan_determinismE0ELb1ES3_N6thrust23THRUST_200600_302600_NS6detail15normal_iteratorINSB_10device_ptrIjEEEENSD_INSE_IS6_EEEESI_S6_NSB_4plusIvEENSB_8equal_toIvEES6_EE10hipError_tPvRmT2_T3_T4_T5_mT6_T7_P12ihipStream_tbENKUlT_T0_E_clISt17integral_constantIbLb1EES12_IbLb0EEEEDaSY_SZ_EUlSY_E_NS1_11comp_targetILNS1_3genE10ELNS1_11target_archE1200ELNS1_3gpuE4ELNS1_3repE0EEENS1_30default_config_static_selectorELNS0_4arch9wavefront6targetE1EEEvT1_,"axG",@progbits,_ZN7rocprim17ROCPRIM_400000_NS6detail17trampoline_kernelINS0_14default_configENS1_27scan_by_key_config_selectorIj11FixedVectorIiLj2EEEEZZNS1_16scan_by_key_implILNS1_25lookback_scan_determinismE0ELb1ES3_N6thrust23THRUST_200600_302600_NS6detail15normal_iteratorINSB_10device_ptrIjEEEENSD_INSE_IS6_EEEESI_S6_NSB_4plusIvEENSB_8equal_toIvEES6_EE10hipError_tPvRmT2_T3_T4_T5_mT6_T7_P12ihipStream_tbENKUlT_T0_E_clISt17integral_constantIbLb1EES12_IbLb0EEEEDaSY_SZ_EUlSY_E_NS1_11comp_targetILNS1_3genE10ELNS1_11target_archE1200ELNS1_3gpuE4ELNS1_3repE0EEENS1_30default_config_static_selectorELNS0_4arch9wavefront6targetE1EEEvT1_,comdat
.Lfunc_end2017:
	.size	_ZN7rocprim17ROCPRIM_400000_NS6detail17trampoline_kernelINS0_14default_configENS1_27scan_by_key_config_selectorIj11FixedVectorIiLj2EEEEZZNS1_16scan_by_key_implILNS1_25lookback_scan_determinismE0ELb1ES3_N6thrust23THRUST_200600_302600_NS6detail15normal_iteratorINSB_10device_ptrIjEEEENSD_INSE_IS6_EEEESI_S6_NSB_4plusIvEENSB_8equal_toIvEES6_EE10hipError_tPvRmT2_T3_T4_T5_mT6_T7_P12ihipStream_tbENKUlT_T0_E_clISt17integral_constantIbLb1EES12_IbLb0EEEEDaSY_SZ_EUlSY_E_NS1_11comp_targetILNS1_3genE10ELNS1_11target_archE1200ELNS1_3gpuE4ELNS1_3repE0EEENS1_30default_config_static_selectorELNS0_4arch9wavefront6targetE1EEEvT1_, .Lfunc_end2017-_ZN7rocprim17ROCPRIM_400000_NS6detail17trampoline_kernelINS0_14default_configENS1_27scan_by_key_config_selectorIj11FixedVectorIiLj2EEEEZZNS1_16scan_by_key_implILNS1_25lookback_scan_determinismE0ELb1ES3_N6thrust23THRUST_200600_302600_NS6detail15normal_iteratorINSB_10device_ptrIjEEEENSD_INSE_IS6_EEEESI_S6_NSB_4plusIvEENSB_8equal_toIvEES6_EE10hipError_tPvRmT2_T3_T4_T5_mT6_T7_P12ihipStream_tbENKUlT_T0_E_clISt17integral_constantIbLb1EES12_IbLb0EEEEDaSY_SZ_EUlSY_E_NS1_11comp_targetILNS1_3genE10ELNS1_11target_archE1200ELNS1_3gpuE4ELNS1_3repE0EEENS1_30default_config_static_selectorELNS0_4arch9wavefront6targetE1EEEvT1_
                                        ; -- End function
	.section	.AMDGPU.csdata,"",@progbits
; Kernel info:
; codeLenInByte = 0
; NumSgprs: 6
; NumVgprs: 0
; NumAgprs: 0
; TotalNumVgprs: 0
; ScratchSize: 0
; MemoryBound: 0
; FloatMode: 240
; IeeeMode: 1
; LDSByteSize: 0 bytes/workgroup (compile time only)
; SGPRBlocks: 0
; VGPRBlocks: 0
; NumSGPRsForWavesPerEU: 6
; NumVGPRsForWavesPerEU: 1
; AccumOffset: 4
; Occupancy: 8
; WaveLimiterHint : 0
; COMPUTE_PGM_RSRC2:SCRATCH_EN: 0
; COMPUTE_PGM_RSRC2:USER_SGPR: 2
; COMPUTE_PGM_RSRC2:TRAP_HANDLER: 0
; COMPUTE_PGM_RSRC2:TGID_X_EN: 1
; COMPUTE_PGM_RSRC2:TGID_Y_EN: 0
; COMPUTE_PGM_RSRC2:TGID_Z_EN: 0
; COMPUTE_PGM_RSRC2:TIDIG_COMP_CNT: 0
; COMPUTE_PGM_RSRC3_GFX90A:ACCUM_OFFSET: 0
; COMPUTE_PGM_RSRC3_GFX90A:TG_SPLIT: 0
	.section	.text._ZN7rocprim17ROCPRIM_400000_NS6detail17trampoline_kernelINS0_14default_configENS1_27scan_by_key_config_selectorIj11FixedVectorIiLj2EEEEZZNS1_16scan_by_key_implILNS1_25lookback_scan_determinismE0ELb1ES3_N6thrust23THRUST_200600_302600_NS6detail15normal_iteratorINSB_10device_ptrIjEEEENSD_INSE_IS6_EEEESI_S6_NSB_4plusIvEENSB_8equal_toIvEES6_EE10hipError_tPvRmT2_T3_T4_T5_mT6_T7_P12ihipStream_tbENKUlT_T0_E_clISt17integral_constantIbLb1EES12_IbLb0EEEEDaSY_SZ_EUlSY_E_NS1_11comp_targetILNS1_3genE9ELNS1_11target_archE1100ELNS1_3gpuE3ELNS1_3repE0EEENS1_30default_config_static_selectorELNS0_4arch9wavefront6targetE1EEEvT1_,"axG",@progbits,_ZN7rocprim17ROCPRIM_400000_NS6detail17trampoline_kernelINS0_14default_configENS1_27scan_by_key_config_selectorIj11FixedVectorIiLj2EEEEZZNS1_16scan_by_key_implILNS1_25lookback_scan_determinismE0ELb1ES3_N6thrust23THRUST_200600_302600_NS6detail15normal_iteratorINSB_10device_ptrIjEEEENSD_INSE_IS6_EEEESI_S6_NSB_4plusIvEENSB_8equal_toIvEES6_EE10hipError_tPvRmT2_T3_T4_T5_mT6_T7_P12ihipStream_tbENKUlT_T0_E_clISt17integral_constantIbLb1EES12_IbLb0EEEEDaSY_SZ_EUlSY_E_NS1_11comp_targetILNS1_3genE9ELNS1_11target_archE1100ELNS1_3gpuE3ELNS1_3repE0EEENS1_30default_config_static_selectorELNS0_4arch9wavefront6targetE1EEEvT1_,comdat
	.protected	_ZN7rocprim17ROCPRIM_400000_NS6detail17trampoline_kernelINS0_14default_configENS1_27scan_by_key_config_selectorIj11FixedVectorIiLj2EEEEZZNS1_16scan_by_key_implILNS1_25lookback_scan_determinismE0ELb1ES3_N6thrust23THRUST_200600_302600_NS6detail15normal_iteratorINSB_10device_ptrIjEEEENSD_INSE_IS6_EEEESI_S6_NSB_4plusIvEENSB_8equal_toIvEES6_EE10hipError_tPvRmT2_T3_T4_T5_mT6_T7_P12ihipStream_tbENKUlT_T0_E_clISt17integral_constantIbLb1EES12_IbLb0EEEEDaSY_SZ_EUlSY_E_NS1_11comp_targetILNS1_3genE9ELNS1_11target_archE1100ELNS1_3gpuE3ELNS1_3repE0EEENS1_30default_config_static_selectorELNS0_4arch9wavefront6targetE1EEEvT1_ ; -- Begin function _ZN7rocprim17ROCPRIM_400000_NS6detail17trampoline_kernelINS0_14default_configENS1_27scan_by_key_config_selectorIj11FixedVectorIiLj2EEEEZZNS1_16scan_by_key_implILNS1_25lookback_scan_determinismE0ELb1ES3_N6thrust23THRUST_200600_302600_NS6detail15normal_iteratorINSB_10device_ptrIjEEEENSD_INSE_IS6_EEEESI_S6_NSB_4plusIvEENSB_8equal_toIvEES6_EE10hipError_tPvRmT2_T3_T4_T5_mT6_T7_P12ihipStream_tbENKUlT_T0_E_clISt17integral_constantIbLb1EES12_IbLb0EEEEDaSY_SZ_EUlSY_E_NS1_11comp_targetILNS1_3genE9ELNS1_11target_archE1100ELNS1_3gpuE3ELNS1_3repE0EEENS1_30default_config_static_selectorELNS0_4arch9wavefront6targetE1EEEvT1_
	.globl	_ZN7rocprim17ROCPRIM_400000_NS6detail17trampoline_kernelINS0_14default_configENS1_27scan_by_key_config_selectorIj11FixedVectorIiLj2EEEEZZNS1_16scan_by_key_implILNS1_25lookback_scan_determinismE0ELb1ES3_N6thrust23THRUST_200600_302600_NS6detail15normal_iteratorINSB_10device_ptrIjEEEENSD_INSE_IS6_EEEESI_S6_NSB_4plusIvEENSB_8equal_toIvEES6_EE10hipError_tPvRmT2_T3_T4_T5_mT6_T7_P12ihipStream_tbENKUlT_T0_E_clISt17integral_constantIbLb1EES12_IbLb0EEEEDaSY_SZ_EUlSY_E_NS1_11comp_targetILNS1_3genE9ELNS1_11target_archE1100ELNS1_3gpuE3ELNS1_3repE0EEENS1_30default_config_static_selectorELNS0_4arch9wavefront6targetE1EEEvT1_
	.p2align	8
	.type	_ZN7rocprim17ROCPRIM_400000_NS6detail17trampoline_kernelINS0_14default_configENS1_27scan_by_key_config_selectorIj11FixedVectorIiLj2EEEEZZNS1_16scan_by_key_implILNS1_25lookback_scan_determinismE0ELb1ES3_N6thrust23THRUST_200600_302600_NS6detail15normal_iteratorINSB_10device_ptrIjEEEENSD_INSE_IS6_EEEESI_S6_NSB_4plusIvEENSB_8equal_toIvEES6_EE10hipError_tPvRmT2_T3_T4_T5_mT6_T7_P12ihipStream_tbENKUlT_T0_E_clISt17integral_constantIbLb1EES12_IbLb0EEEEDaSY_SZ_EUlSY_E_NS1_11comp_targetILNS1_3genE9ELNS1_11target_archE1100ELNS1_3gpuE3ELNS1_3repE0EEENS1_30default_config_static_selectorELNS0_4arch9wavefront6targetE1EEEvT1_,@function
_ZN7rocprim17ROCPRIM_400000_NS6detail17trampoline_kernelINS0_14default_configENS1_27scan_by_key_config_selectorIj11FixedVectorIiLj2EEEEZZNS1_16scan_by_key_implILNS1_25lookback_scan_determinismE0ELb1ES3_N6thrust23THRUST_200600_302600_NS6detail15normal_iteratorINSB_10device_ptrIjEEEENSD_INSE_IS6_EEEESI_S6_NSB_4plusIvEENSB_8equal_toIvEES6_EE10hipError_tPvRmT2_T3_T4_T5_mT6_T7_P12ihipStream_tbENKUlT_T0_E_clISt17integral_constantIbLb1EES12_IbLb0EEEEDaSY_SZ_EUlSY_E_NS1_11comp_targetILNS1_3genE9ELNS1_11target_archE1100ELNS1_3gpuE3ELNS1_3repE0EEENS1_30default_config_static_selectorELNS0_4arch9wavefront6targetE1EEEvT1_: ; @_ZN7rocprim17ROCPRIM_400000_NS6detail17trampoline_kernelINS0_14default_configENS1_27scan_by_key_config_selectorIj11FixedVectorIiLj2EEEEZZNS1_16scan_by_key_implILNS1_25lookback_scan_determinismE0ELb1ES3_N6thrust23THRUST_200600_302600_NS6detail15normal_iteratorINSB_10device_ptrIjEEEENSD_INSE_IS6_EEEESI_S6_NSB_4plusIvEENSB_8equal_toIvEES6_EE10hipError_tPvRmT2_T3_T4_T5_mT6_T7_P12ihipStream_tbENKUlT_T0_E_clISt17integral_constantIbLb1EES12_IbLb0EEEEDaSY_SZ_EUlSY_E_NS1_11comp_targetILNS1_3genE9ELNS1_11target_archE1100ELNS1_3gpuE3ELNS1_3repE0EEENS1_30default_config_static_selectorELNS0_4arch9wavefront6targetE1EEEvT1_
; %bb.0:
	.section	.rodata,"a",@progbits
	.p2align	6, 0x0
	.amdhsa_kernel _ZN7rocprim17ROCPRIM_400000_NS6detail17trampoline_kernelINS0_14default_configENS1_27scan_by_key_config_selectorIj11FixedVectorIiLj2EEEEZZNS1_16scan_by_key_implILNS1_25lookback_scan_determinismE0ELb1ES3_N6thrust23THRUST_200600_302600_NS6detail15normal_iteratorINSB_10device_ptrIjEEEENSD_INSE_IS6_EEEESI_S6_NSB_4plusIvEENSB_8equal_toIvEES6_EE10hipError_tPvRmT2_T3_T4_T5_mT6_T7_P12ihipStream_tbENKUlT_T0_E_clISt17integral_constantIbLb1EES12_IbLb0EEEEDaSY_SZ_EUlSY_E_NS1_11comp_targetILNS1_3genE9ELNS1_11target_archE1100ELNS1_3gpuE3ELNS1_3repE0EEENS1_30default_config_static_selectorELNS0_4arch9wavefront6targetE1EEEvT1_
		.amdhsa_group_segment_fixed_size 0
		.amdhsa_private_segment_fixed_size 0
		.amdhsa_kernarg_size 120
		.amdhsa_user_sgpr_count 2
		.amdhsa_user_sgpr_dispatch_ptr 0
		.amdhsa_user_sgpr_queue_ptr 0
		.amdhsa_user_sgpr_kernarg_segment_ptr 1
		.amdhsa_user_sgpr_dispatch_id 0
		.amdhsa_user_sgpr_kernarg_preload_length 0
		.amdhsa_user_sgpr_kernarg_preload_offset 0
		.amdhsa_user_sgpr_private_segment_size 0
		.amdhsa_uses_dynamic_stack 0
		.amdhsa_enable_private_segment 0
		.amdhsa_system_sgpr_workgroup_id_x 1
		.amdhsa_system_sgpr_workgroup_id_y 0
		.amdhsa_system_sgpr_workgroup_id_z 0
		.amdhsa_system_sgpr_workgroup_info 0
		.amdhsa_system_vgpr_workitem_id 0
		.amdhsa_next_free_vgpr 1
		.amdhsa_next_free_sgpr 0
		.amdhsa_accum_offset 4
		.amdhsa_reserve_vcc 0
		.amdhsa_float_round_mode_32 0
		.amdhsa_float_round_mode_16_64 0
		.amdhsa_float_denorm_mode_32 3
		.amdhsa_float_denorm_mode_16_64 3
		.amdhsa_dx10_clamp 1
		.amdhsa_ieee_mode 1
		.amdhsa_fp16_overflow 0
		.amdhsa_tg_split 0
		.amdhsa_exception_fp_ieee_invalid_op 0
		.amdhsa_exception_fp_denorm_src 0
		.amdhsa_exception_fp_ieee_div_zero 0
		.amdhsa_exception_fp_ieee_overflow 0
		.amdhsa_exception_fp_ieee_underflow 0
		.amdhsa_exception_fp_ieee_inexact 0
		.amdhsa_exception_int_div_zero 0
	.end_amdhsa_kernel
	.section	.text._ZN7rocprim17ROCPRIM_400000_NS6detail17trampoline_kernelINS0_14default_configENS1_27scan_by_key_config_selectorIj11FixedVectorIiLj2EEEEZZNS1_16scan_by_key_implILNS1_25lookback_scan_determinismE0ELb1ES3_N6thrust23THRUST_200600_302600_NS6detail15normal_iteratorINSB_10device_ptrIjEEEENSD_INSE_IS6_EEEESI_S6_NSB_4plusIvEENSB_8equal_toIvEES6_EE10hipError_tPvRmT2_T3_T4_T5_mT6_T7_P12ihipStream_tbENKUlT_T0_E_clISt17integral_constantIbLb1EES12_IbLb0EEEEDaSY_SZ_EUlSY_E_NS1_11comp_targetILNS1_3genE9ELNS1_11target_archE1100ELNS1_3gpuE3ELNS1_3repE0EEENS1_30default_config_static_selectorELNS0_4arch9wavefront6targetE1EEEvT1_,"axG",@progbits,_ZN7rocprim17ROCPRIM_400000_NS6detail17trampoline_kernelINS0_14default_configENS1_27scan_by_key_config_selectorIj11FixedVectorIiLj2EEEEZZNS1_16scan_by_key_implILNS1_25lookback_scan_determinismE0ELb1ES3_N6thrust23THRUST_200600_302600_NS6detail15normal_iteratorINSB_10device_ptrIjEEEENSD_INSE_IS6_EEEESI_S6_NSB_4plusIvEENSB_8equal_toIvEES6_EE10hipError_tPvRmT2_T3_T4_T5_mT6_T7_P12ihipStream_tbENKUlT_T0_E_clISt17integral_constantIbLb1EES12_IbLb0EEEEDaSY_SZ_EUlSY_E_NS1_11comp_targetILNS1_3genE9ELNS1_11target_archE1100ELNS1_3gpuE3ELNS1_3repE0EEENS1_30default_config_static_selectorELNS0_4arch9wavefront6targetE1EEEvT1_,comdat
.Lfunc_end2018:
	.size	_ZN7rocprim17ROCPRIM_400000_NS6detail17trampoline_kernelINS0_14default_configENS1_27scan_by_key_config_selectorIj11FixedVectorIiLj2EEEEZZNS1_16scan_by_key_implILNS1_25lookback_scan_determinismE0ELb1ES3_N6thrust23THRUST_200600_302600_NS6detail15normal_iteratorINSB_10device_ptrIjEEEENSD_INSE_IS6_EEEESI_S6_NSB_4plusIvEENSB_8equal_toIvEES6_EE10hipError_tPvRmT2_T3_T4_T5_mT6_T7_P12ihipStream_tbENKUlT_T0_E_clISt17integral_constantIbLb1EES12_IbLb0EEEEDaSY_SZ_EUlSY_E_NS1_11comp_targetILNS1_3genE9ELNS1_11target_archE1100ELNS1_3gpuE3ELNS1_3repE0EEENS1_30default_config_static_selectorELNS0_4arch9wavefront6targetE1EEEvT1_, .Lfunc_end2018-_ZN7rocprim17ROCPRIM_400000_NS6detail17trampoline_kernelINS0_14default_configENS1_27scan_by_key_config_selectorIj11FixedVectorIiLj2EEEEZZNS1_16scan_by_key_implILNS1_25lookback_scan_determinismE0ELb1ES3_N6thrust23THRUST_200600_302600_NS6detail15normal_iteratorINSB_10device_ptrIjEEEENSD_INSE_IS6_EEEESI_S6_NSB_4plusIvEENSB_8equal_toIvEES6_EE10hipError_tPvRmT2_T3_T4_T5_mT6_T7_P12ihipStream_tbENKUlT_T0_E_clISt17integral_constantIbLb1EES12_IbLb0EEEEDaSY_SZ_EUlSY_E_NS1_11comp_targetILNS1_3genE9ELNS1_11target_archE1100ELNS1_3gpuE3ELNS1_3repE0EEENS1_30default_config_static_selectorELNS0_4arch9wavefront6targetE1EEEvT1_
                                        ; -- End function
	.section	.AMDGPU.csdata,"",@progbits
; Kernel info:
; codeLenInByte = 0
; NumSgprs: 6
; NumVgprs: 0
; NumAgprs: 0
; TotalNumVgprs: 0
; ScratchSize: 0
; MemoryBound: 0
; FloatMode: 240
; IeeeMode: 1
; LDSByteSize: 0 bytes/workgroup (compile time only)
; SGPRBlocks: 0
; VGPRBlocks: 0
; NumSGPRsForWavesPerEU: 6
; NumVGPRsForWavesPerEU: 1
; AccumOffset: 4
; Occupancy: 8
; WaveLimiterHint : 0
; COMPUTE_PGM_RSRC2:SCRATCH_EN: 0
; COMPUTE_PGM_RSRC2:USER_SGPR: 2
; COMPUTE_PGM_RSRC2:TRAP_HANDLER: 0
; COMPUTE_PGM_RSRC2:TGID_X_EN: 1
; COMPUTE_PGM_RSRC2:TGID_Y_EN: 0
; COMPUTE_PGM_RSRC2:TGID_Z_EN: 0
; COMPUTE_PGM_RSRC2:TIDIG_COMP_CNT: 0
; COMPUTE_PGM_RSRC3_GFX90A:ACCUM_OFFSET: 0
; COMPUTE_PGM_RSRC3_GFX90A:TG_SPLIT: 0
	.section	.text._ZN7rocprim17ROCPRIM_400000_NS6detail17trampoline_kernelINS0_14default_configENS1_27scan_by_key_config_selectorIj11FixedVectorIiLj2EEEEZZNS1_16scan_by_key_implILNS1_25lookback_scan_determinismE0ELb1ES3_N6thrust23THRUST_200600_302600_NS6detail15normal_iteratorINSB_10device_ptrIjEEEENSD_INSE_IS6_EEEESI_S6_NSB_4plusIvEENSB_8equal_toIvEES6_EE10hipError_tPvRmT2_T3_T4_T5_mT6_T7_P12ihipStream_tbENKUlT_T0_E_clISt17integral_constantIbLb1EES12_IbLb0EEEEDaSY_SZ_EUlSY_E_NS1_11comp_targetILNS1_3genE8ELNS1_11target_archE1030ELNS1_3gpuE2ELNS1_3repE0EEENS1_30default_config_static_selectorELNS0_4arch9wavefront6targetE1EEEvT1_,"axG",@progbits,_ZN7rocprim17ROCPRIM_400000_NS6detail17trampoline_kernelINS0_14default_configENS1_27scan_by_key_config_selectorIj11FixedVectorIiLj2EEEEZZNS1_16scan_by_key_implILNS1_25lookback_scan_determinismE0ELb1ES3_N6thrust23THRUST_200600_302600_NS6detail15normal_iteratorINSB_10device_ptrIjEEEENSD_INSE_IS6_EEEESI_S6_NSB_4plusIvEENSB_8equal_toIvEES6_EE10hipError_tPvRmT2_T3_T4_T5_mT6_T7_P12ihipStream_tbENKUlT_T0_E_clISt17integral_constantIbLb1EES12_IbLb0EEEEDaSY_SZ_EUlSY_E_NS1_11comp_targetILNS1_3genE8ELNS1_11target_archE1030ELNS1_3gpuE2ELNS1_3repE0EEENS1_30default_config_static_selectorELNS0_4arch9wavefront6targetE1EEEvT1_,comdat
	.protected	_ZN7rocprim17ROCPRIM_400000_NS6detail17trampoline_kernelINS0_14default_configENS1_27scan_by_key_config_selectorIj11FixedVectorIiLj2EEEEZZNS1_16scan_by_key_implILNS1_25lookback_scan_determinismE0ELb1ES3_N6thrust23THRUST_200600_302600_NS6detail15normal_iteratorINSB_10device_ptrIjEEEENSD_INSE_IS6_EEEESI_S6_NSB_4plusIvEENSB_8equal_toIvEES6_EE10hipError_tPvRmT2_T3_T4_T5_mT6_T7_P12ihipStream_tbENKUlT_T0_E_clISt17integral_constantIbLb1EES12_IbLb0EEEEDaSY_SZ_EUlSY_E_NS1_11comp_targetILNS1_3genE8ELNS1_11target_archE1030ELNS1_3gpuE2ELNS1_3repE0EEENS1_30default_config_static_selectorELNS0_4arch9wavefront6targetE1EEEvT1_ ; -- Begin function _ZN7rocprim17ROCPRIM_400000_NS6detail17trampoline_kernelINS0_14default_configENS1_27scan_by_key_config_selectorIj11FixedVectorIiLj2EEEEZZNS1_16scan_by_key_implILNS1_25lookback_scan_determinismE0ELb1ES3_N6thrust23THRUST_200600_302600_NS6detail15normal_iteratorINSB_10device_ptrIjEEEENSD_INSE_IS6_EEEESI_S6_NSB_4plusIvEENSB_8equal_toIvEES6_EE10hipError_tPvRmT2_T3_T4_T5_mT6_T7_P12ihipStream_tbENKUlT_T0_E_clISt17integral_constantIbLb1EES12_IbLb0EEEEDaSY_SZ_EUlSY_E_NS1_11comp_targetILNS1_3genE8ELNS1_11target_archE1030ELNS1_3gpuE2ELNS1_3repE0EEENS1_30default_config_static_selectorELNS0_4arch9wavefront6targetE1EEEvT1_
	.globl	_ZN7rocprim17ROCPRIM_400000_NS6detail17trampoline_kernelINS0_14default_configENS1_27scan_by_key_config_selectorIj11FixedVectorIiLj2EEEEZZNS1_16scan_by_key_implILNS1_25lookback_scan_determinismE0ELb1ES3_N6thrust23THRUST_200600_302600_NS6detail15normal_iteratorINSB_10device_ptrIjEEEENSD_INSE_IS6_EEEESI_S6_NSB_4plusIvEENSB_8equal_toIvEES6_EE10hipError_tPvRmT2_T3_T4_T5_mT6_T7_P12ihipStream_tbENKUlT_T0_E_clISt17integral_constantIbLb1EES12_IbLb0EEEEDaSY_SZ_EUlSY_E_NS1_11comp_targetILNS1_3genE8ELNS1_11target_archE1030ELNS1_3gpuE2ELNS1_3repE0EEENS1_30default_config_static_selectorELNS0_4arch9wavefront6targetE1EEEvT1_
	.p2align	8
	.type	_ZN7rocprim17ROCPRIM_400000_NS6detail17trampoline_kernelINS0_14default_configENS1_27scan_by_key_config_selectorIj11FixedVectorIiLj2EEEEZZNS1_16scan_by_key_implILNS1_25lookback_scan_determinismE0ELb1ES3_N6thrust23THRUST_200600_302600_NS6detail15normal_iteratorINSB_10device_ptrIjEEEENSD_INSE_IS6_EEEESI_S6_NSB_4plusIvEENSB_8equal_toIvEES6_EE10hipError_tPvRmT2_T3_T4_T5_mT6_T7_P12ihipStream_tbENKUlT_T0_E_clISt17integral_constantIbLb1EES12_IbLb0EEEEDaSY_SZ_EUlSY_E_NS1_11comp_targetILNS1_3genE8ELNS1_11target_archE1030ELNS1_3gpuE2ELNS1_3repE0EEENS1_30default_config_static_selectorELNS0_4arch9wavefront6targetE1EEEvT1_,@function
_ZN7rocprim17ROCPRIM_400000_NS6detail17trampoline_kernelINS0_14default_configENS1_27scan_by_key_config_selectorIj11FixedVectorIiLj2EEEEZZNS1_16scan_by_key_implILNS1_25lookback_scan_determinismE0ELb1ES3_N6thrust23THRUST_200600_302600_NS6detail15normal_iteratorINSB_10device_ptrIjEEEENSD_INSE_IS6_EEEESI_S6_NSB_4plusIvEENSB_8equal_toIvEES6_EE10hipError_tPvRmT2_T3_T4_T5_mT6_T7_P12ihipStream_tbENKUlT_T0_E_clISt17integral_constantIbLb1EES12_IbLb0EEEEDaSY_SZ_EUlSY_E_NS1_11comp_targetILNS1_3genE8ELNS1_11target_archE1030ELNS1_3gpuE2ELNS1_3repE0EEENS1_30default_config_static_selectorELNS0_4arch9wavefront6targetE1EEEvT1_: ; @_ZN7rocprim17ROCPRIM_400000_NS6detail17trampoline_kernelINS0_14default_configENS1_27scan_by_key_config_selectorIj11FixedVectorIiLj2EEEEZZNS1_16scan_by_key_implILNS1_25lookback_scan_determinismE0ELb1ES3_N6thrust23THRUST_200600_302600_NS6detail15normal_iteratorINSB_10device_ptrIjEEEENSD_INSE_IS6_EEEESI_S6_NSB_4plusIvEENSB_8equal_toIvEES6_EE10hipError_tPvRmT2_T3_T4_T5_mT6_T7_P12ihipStream_tbENKUlT_T0_E_clISt17integral_constantIbLb1EES12_IbLb0EEEEDaSY_SZ_EUlSY_E_NS1_11comp_targetILNS1_3genE8ELNS1_11target_archE1030ELNS1_3gpuE2ELNS1_3repE0EEENS1_30default_config_static_selectorELNS0_4arch9wavefront6targetE1EEEvT1_
; %bb.0:
	.section	.rodata,"a",@progbits
	.p2align	6, 0x0
	.amdhsa_kernel _ZN7rocprim17ROCPRIM_400000_NS6detail17trampoline_kernelINS0_14default_configENS1_27scan_by_key_config_selectorIj11FixedVectorIiLj2EEEEZZNS1_16scan_by_key_implILNS1_25lookback_scan_determinismE0ELb1ES3_N6thrust23THRUST_200600_302600_NS6detail15normal_iteratorINSB_10device_ptrIjEEEENSD_INSE_IS6_EEEESI_S6_NSB_4plusIvEENSB_8equal_toIvEES6_EE10hipError_tPvRmT2_T3_T4_T5_mT6_T7_P12ihipStream_tbENKUlT_T0_E_clISt17integral_constantIbLb1EES12_IbLb0EEEEDaSY_SZ_EUlSY_E_NS1_11comp_targetILNS1_3genE8ELNS1_11target_archE1030ELNS1_3gpuE2ELNS1_3repE0EEENS1_30default_config_static_selectorELNS0_4arch9wavefront6targetE1EEEvT1_
		.amdhsa_group_segment_fixed_size 0
		.amdhsa_private_segment_fixed_size 0
		.amdhsa_kernarg_size 120
		.amdhsa_user_sgpr_count 2
		.amdhsa_user_sgpr_dispatch_ptr 0
		.amdhsa_user_sgpr_queue_ptr 0
		.amdhsa_user_sgpr_kernarg_segment_ptr 1
		.amdhsa_user_sgpr_dispatch_id 0
		.amdhsa_user_sgpr_kernarg_preload_length 0
		.amdhsa_user_sgpr_kernarg_preload_offset 0
		.amdhsa_user_sgpr_private_segment_size 0
		.amdhsa_uses_dynamic_stack 0
		.amdhsa_enable_private_segment 0
		.amdhsa_system_sgpr_workgroup_id_x 1
		.amdhsa_system_sgpr_workgroup_id_y 0
		.amdhsa_system_sgpr_workgroup_id_z 0
		.amdhsa_system_sgpr_workgroup_info 0
		.amdhsa_system_vgpr_workitem_id 0
		.amdhsa_next_free_vgpr 1
		.amdhsa_next_free_sgpr 0
		.amdhsa_accum_offset 4
		.amdhsa_reserve_vcc 0
		.amdhsa_float_round_mode_32 0
		.amdhsa_float_round_mode_16_64 0
		.amdhsa_float_denorm_mode_32 3
		.amdhsa_float_denorm_mode_16_64 3
		.amdhsa_dx10_clamp 1
		.amdhsa_ieee_mode 1
		.amdhsa_fp16_overflow 0
		.amdhsa_tg_split 0
		.amdhsa_exception_fp_ieee_invalid_op 0
		.amdhsa_exception_fp_denorm_src 0
		.amdhsa_exception_fp_ieee_div_zero 0
		.amdhsa_exception_fp_ieee_overflow 0
		.amdhsa_exception_fp_ieee_underflow 0
		.amdhsa_exception_fp_ieee_inexact 0
		.amdhsa_exception_int_div_zero 0
	.end_amdhsa_kernel
	.section	.text._ZN7rocprim17ROCPRIM_400000_NS6detail17trampoline_kernelINS0_14default_configENS1_27scan_by_key_config_selectorIj11FixedVectorIiLj2EEEEZZNS1_16scan_by_key_implILNS1_25lookback_scan_determinismE0ELb1ES3_N6thrust23THRUST_200600_302600_NS6detail15normal_iteratorINSB_10device_ptrIjEEEENSD_INSE_IS6_EEEESI_S6_NSB_4plusIvEENSB_8equal_toIvEES6_EE10hipError_tPvRmT2_T3_T4_T5_mT6_T7_P12ihipStream_tbENKUlT_T0_E_clISt17integral_constantIbLb1EES12_IbLb0EEEEDaSY_SZ_EUlSY_E_NS1_11comp_targetILNS1_3genE8ELNS1_11target_archE1030ELNS1_3gpuE2ELNS1_3repE0EEENS1_30default_config_static_selectorELNS0_4arch9wavefront6targetE1EEEvT1_,"axG",@progbits,_ZN7rocprim17ROCPRIM_400000_NS6detail17trampoline_kernelINS0_14default_configENS1_27scan_by_key_config_selectorIj11FixedVectorIiLj2EEEEZZNS1_16scan_by_key_implILNS1_25lookback_scan_determinismE0ELb1ES3_N6thrust23THRUST_200600_302600_NS6detail15normal_iteratorINSB_10device_ptrIjEEEENSD_INSE_IS6_EEEESI_S6_NSB_4plusIvEENSB_8equal_toIvEES6_EE10hipError_tPvRmT2_T3_T4_T5_mT6_T7_P12ihipStream_tbENKUlT_T0_E_clISt17integral_constantIbLb1EES12_IbLb0EEEEDaSY_SZ_EUlSY_E_NS1_11comp_targetILNS1_3genE8ELNS1_11target_archE1030ELNS1_3gpuE2ELNS1_3repE0EEENS1_30default_config_static_selectorELNS0_4arch9wavefront6targetE1EEEvT1_,comdat
.Lfunc_end2019:
	.size	_ZN7rocprim17ROCPRIM_400000_NS6detail17trampoline_kernelINS0_14default_configENS1_27scan_by_key_config_selectorIj11FixedVectorIiLj2EEEEZZNS1_16scan_by_key_implILNS1_25lookback_scan_determinismE0ELb1ES3_N6thrust23THRUST_200600_302600_NS6detail15normal_iteratorINSB_10device_ptrIjEEEENSD_INSE_IS6_EEEESI_S6_NSB_4plusIvEENSB_8equal_toIvEES6_EE10hipError_tPvRmT2_T3_T4_T5_mT6_T7_P12ihipStream_tbENKUlT_T0_E_clISt17integral_constantIbLb1EES12_IbLb0EEEEDaSY_SZ_EUlSY_E_NS1_11comp_targetILNS1_3genE8ELNS1_11target_archE1030ELNS1_3gpuE2ELNS1_3repE0EEENS1_30default_config_static_selectorELNS0_4arch9wavefront6targetE1EEEvT1_, .Lfunc_end2019-_ZN7rocprim17ROCPRIM_400000_NS6detail17trampoline_kernelINS0_14default_configENS1_27scan_by_key_config_selectorIj11FixedVectorIiLj2EEEEZZNS1_16scan_by_key_implILNS1_25lookback_scan_determinismE0ELb1ES3_N6thrust23THRUST_200600_302600_NS6detail15normal_iteratorINSB_10device_ptrIjEEEENSD_INSE_IS6_EEEESI_S6_NSB_4plusIvEENSB_8equal_toIvEES6_EE10hipError_tPvRmT2_T3_T4_T5_mT6_T7_P12ihipStream_tbENKUlT_T0_E_clISt17integral_constantIbLb1EES12_IbLb0EEEEDaSY_SZ_EUlSY_E_NS1_11comp_targetILNS1_3genE8ELNS1_11target_archE1030ELNS1_3gpuE2ELNS1_3repE0EEENS1_30default_config_static_selectorELNS0_4arch9wavefront6targetE1EEEvT1_
                                        ; -- End function
	.section	.AMDGPU.csdata,"",@progbits
; Kernel info:
; codeLenInByte = 0
; NumSgprs: 6
; NumVgprs: 0
; NumAgprs: 0
; TotalNumVgprs: 0
; ScratchSize: 0
; MemoryBound: 0
; FloatMode: 240
; IeeeMode: 1
; LDSByteSize: 0 bytes/workgroup (compile time only)
; SGPRBlocks: 0
; VGPRBlocks: 0
; NumSGPRsForWavesPerEU: 6
; NumVGPRsForWavesPerEU: 1
; AccumOffset: 4
; Occupancy: 8
; WaveLimiterHint : 0
; COMPUTE_PGM_RSRC2:SCRATCH_EN: 0
; COMPUTE_PGM_RSRC2:USER_SGPR: 2
; COMPUTE_PGM_RSRC2:TRAP_HANDLER: 0
; COMPUTE_PGM_RSRC2:TGID_X_EN: 1
; COMPUTE_PGM_RSRC2:TGID_Y_EN: 0
; COMPUTE_PGM_RSRC2:TGID_Z_EN: 0
; COMPUTE_PGM_RSRC2:TIDIG_COMP_CNT: 0
; COMPUTE_PGM_RSRC3_GFX90A:ACCUM_OFFSET: 0
; COMPUTE_PGM_RSRC3_GFX90A:TG_SPLIT: 0
	.section	.text._ZN7rocprim17ROCPRIM_400000_NS6detail17trampoline_kernelINS0_14default_configENS1_27scan_by_key_config_selectorIj11FixedVectorIiLj2EEEEZZNS1_16scan_by_key_implILNS1_25lookback_scan_determinismE0ELb1ES3_N6thrust23THRUST_200600_302600_NS6detail15normal_iteratorINSB_10device_ptrIjEEEENSD_INSE_IS6_EEEESI_S6_NSB_4plusIvEENSB_8equal_toIvEES6_EE10hipError_tPvRmT2_T3_T4_T5_mT6_T7_P12ihipStream_tbENKUlT_T0_E_clISt17integral_constantIbLb0EES12_IbLb1EEEEDaSY_SZ_EUlSY_E_NS1_11comp_targetILNS1_3genE0ELNS1_11target_archE4294967295ELNS1_3gpuE0ELNS1_3repE0EEENS1_30default_config_static_selectorELNS0_4arch9wavefront6targetE1EEEvT1_,"axG",@progbits,_ZN7rocprim17ROCPRIM_400000_NS6detail17trampoline_kernelINS0_14default_configENS1_27scan_by_key_config_selectorIj11FixedVectorIiLj2EEEEZZNS1_16scan_by_key_implILNS1_25lookback_scan_determinismE0ELb1ES3_N6thrust23THRUST_200600_302600_NS6detail15normal_iteratorINSB_10device_ptrIjEEEENSD_INSE_IS6_EEEESI_S6_NSB_4plusIvEENSB_8equal_toIvEES6_EE10hipError_tPvRmT2_T3_T4_T5_mT6_T7_P12ihipStream_tbENKUlT_T0_E_clISt17integral_constantIbLb0EES12_IbLb1EEEEDaSY_SZ_EUlSY_E_NS1_11comp_targetILNS1_3genE0ELNS1_11target_archE4294967295ELNS1_3gpuE0ELNS1_3repE0EEENS1_30default_config_static_selectorELNS0_4arch9wavefront6targetE1EEEvT1_,comdat
	.protected	_ZN7rocprim17ROCPRIM_400000_NS6detail17trampoline_kernelINS0_14default_configENS1_27scan_by_key_config_selectorIj11FixedVectorIiLj2EEEEZZNS1_16scan_by_key_implILNS1_25lookback_scan_determinismE0ELb1ES3_N6thrust23THRUST_200600_302600_NS6detail15normal_iteratorINSB_10device_ptrIjEEEENSD_INSE_IS6_EEEESI_S6_NSB_4plusIvEENSB_8equal_toIvEES6_EE10hipError_tPvRmT2_T3_T4_T5_mT6_T7_P12ihipStream_tbENKUlT_T0_E_clISt17integral_constantIbLb0EES12_IbLb1EEEEDaSY_SZ_EUlSY_E_NS1_11comp_targetILNS1_3genE0ELNS1_11target_archE4294967295ELNS1_3gpuE0ELNS1_3repE0EEENS1_30default_config_static_selectorELNS0_4arch9wavefront6targetE1EEEvT1_ ; -- Begin function _ZN7rocprim17ROCPRIM_400000_NS6detail17trampoline_kernelINS0_14default_configENS1_27scan_by_key_config_selectorIj11FixedVectorIiLj2EEEEZZNS1_16scan_by_key_implILNS1_25lookback_scan_determinismE0ELb1ES3_N6thrust23THRUST_200600_302600_NS6detail15normal_iteratorINSB_10device_ptrIjEEEENSD_INSE_IS6_EEEESI_S6_NSB_4plusIvEENSB_8equal_toIvEES6_EE10hipError_tPvRmT2_T3_T4_T5_mT6_T7_P12ihipStream_tbENKUlT_T0_E_clISt17integral_constantIbLb0EES12_IbLb1EEEEDaSY_SZ_EUlSY_E_NS1_11comp_targetILNS1_3genE0ELNS1_11target_archE4294967295ELNS1_3gpuE0ELNS1_3repE0EEENS1_30default_config_static_selectorELNS0_4arch9wavefront6targetE1EEEvT1_
	.globl	_ZN7rocprim17ROCPRIM_400000_NS6detail17trampoline_kernelINS0_14default_configENS1_27scan_by_key_config_selectorIj11FixedVectorIiLj2EEEEZZNS1_16scan_by_key_implILNS1_25lookback_scan_determinismE0ELb1ES3_N6thrust23THRUST_200600_302600_NS6detail15normal_iteratorINSB_10device_ptrIjEEEENSD_INSE_IS6_EEEESI_S6_NSB_4plusIvEENSB_8equal_toIvEES6_EE10hipError_tPvRmT2_T3_T4_T5_mT6_T7_P12ihipStream_tbENKUlT_T0_E_clISt17integral_constantIbLb0EES12_IbLb1EEEEDaSY_SZ_EUlSY_E_NS1_11comp_targetILNS1_3genE0ELNS1_11target_archE4294967295ELNS1_3gpuE0ELNS1_3repE0EEENS1_30default_config_static_selectorELNS0_4arch9wavefront6targetE1EEEvT1_
	.p2align	8
	.type	_ZN7rocprim17ROCPRIM_400000_NS6detail17trampoline_kernelINS0_14default_configENS1_27scan_by_key_config_selectorIj11FixedVectorIiLj2EEEEZZNS1_16scan_by_key_implILNS1_25lookback_scan_determinismE0ELb1ES3_N6thrust23THRUST_200600_302600_NS6detail15normal_iteratorINSB_10device_ptrIjEEEENSD_INSE_IS6_EEEESI_S6_NSB_4plusIvEENSB_8equal_toIvEES6_EE10hipError_tPvRmT2_T3_T4_T5_mT6_T7_P12ihipStream_tbENKUlT_T0_E_clISt17integral_constantIbLb0EES12_IbLb1EEEEDaSY_SZ_EUlSY_E_NS1_11comp_targetILNS1_3genE0ELNS1_11target_archE4294967295ELNS1_3gpuE0ELNS1_3repE0EEENS1_30default_config_static_selectorELNS0_4arch9wavefront6targetE1EEEvT1_,@function
_ZN7rocprim17ROCPRIM_400000_NS6detail17trampoline_kernelINS0_14default_configENS1_27scan_by_key_config_selectorIj11FixedVectorIiLj2EEEEZZNS1_16scan_by_key_implILNS1_25lookback_scan_determinismE0ELb1ES3_N6thrust23THRUST_200600_302600_NS6detail15normal_iteratorINSB_10device_ptrIjEEEENSD_INSE_IS6_EEEESI_S6_NSB_4plusIvEENSB_8equal_toIvEES6_EE10hipError_tPvRmT2_T3_T4_T5_mT6_T7_P12ihipStream_tbENKUlT_T0_E_clISt17integral_constantIbLb0EES12_IbLb1EEEEDaSY_SZ_EUlSY_E_NS1_11comp_targetILNS1_3genE0ELNS1_11target_archE4294967295ELNS1_3gpuE0ELNS1_3repE0EEENS1_30default_config_static_selectorELNS0_4arch9wavefront6targetE1EEEvT1_: ; @_ZN7rocprim17ROCPRIM_400000_NS6detail17trampoline_kernelINS0_14default_configENS1_27scan_by_key_config_selectorIj11FixedVectorIiLj2EEEEZZNS1_16scan_by_key_implILNS1_25lookback_scan_determinismE0ELb1ES3_N6thrust23THRUST_200600_302600_NS6detail15normal_iteratorINSB_10device_ptrIjEEEENSD_INSE_IS6_EEEESI_S6_NSB_4plusIvEENSB_8equal_toIvEES6_EE10hipError_tPvRmT2_T3_T4_T5_mT6_T7_P12ihipStream_tbENKUlT_T0_E_clISt17integral_constantIbLb0EES12_IbLb1EEEEDaSY_SZ_EUlSY_E_NS1_11comp_targetILNS1_3genE0ELNS1_11target_archE4294967295ELNS1_3gpuE0ELNS1_3repE0EEENS1_30default_config_static_selectorELNS0_4arch9wavefront6targetE1EEEvT1_
; %bb.0:
	.section	.rodata,"a",@progbits
	.p2align	6, 0x0
	.amdhsa_kernel _ZN7rocprim17ROCPRIM_400000_NS6detail17trampoline_kernelINS0_14default_configENS1_27scan_by_key_config_selectorIj11FixedVectorIiLj2EEEEZZNS1_16scan_by_key_implILNS1_25lookback_scan_determinismE0ELb1ES3_N6thrust23THRUST_200600_302600_NS6detail15normal_iteratorINSB_10device_ptrIjEEEENSD_INSE_IS6_EEEESI_S6_NSB_4plusIvEENSB_8equal_toIvEES6_EE10hipError_tPvRmT2_T3_T4_T5_mT6_T7_P12ihipStream_tbENKUlT_T0_E_clISt17integral_constantIbLb0EES12_IbLb1EEEEDaSY_SZ_EUlSY_E_NS1_11comp_targetILNS1_3genE0ELNS1_11target_archE4294967295ELNS1_3gpuE0ELNS1_3repE0EEENS1_30default_config_static_selectorELNS0_4arch9wavefront6targetE1EEEvT1_
		.amdhsa_group_segment_fixed_size 0
		.amdhsa_private_segment_fixed_size 0
		.amdhsa_kernarg_size 120
		.amdhsa_user_sgpr_count 2
		.amdhsa_user_sgpr_dispatch_ptr 0
		.amdhsa_user_sgpr_queue_ptr 0
		.amdhsa_user_sgpr_kernarg_segment_ptr 1
		.amdhsa_user_sgpr_dispatch_id 0
		.amdhsa_user_sgpr_kernarg_preload_length 0
		.amdhsa_user_sgpr_kernarg_preload_offset 0
		.amdhsa_user_sgpr_private_segment_size 0
		.amdhsa_uses_dynamic_stack 0
		.amdhsa_enable_private_segment 0
		.amdhsa_system_sgpr_workgroup_id_x 1
		.amdhsa_system_sgpr_workgroup_id_y 0
		.amdhsa_system_sgpr_workgroup_id_z 0
		.amdhsa_system_sgpr_workgroup_info 0
		.amdhsa_system_vgpr_workitem_id 0
		.amdhsa_next_free_vgpr 1
		.amdhsa_next_free_sgpr 0
		.amdhsa_accum_offset 4
		.amdhsa_reserve_vcc 0
		.amdhsa_float_round_mode_32 0
		.amdhsa_float_round_mode_16_64 0
		.amdhsa_float_denorm_mode_32 3
		.amdhsa_float_denorm_mode_16_64 3
		.amdhsa_dx10_clamp 1
		.amdhsa_ieee_mode 1
		.amdhsa_fp16_overflow 0
		.amdhsa_tg_split 0
		.amdhsa_exception_fp_ieee_invalid_op 0
		.amdhsa_exception_fp_denorm_src 0
		.amdhsa_exception_fp_ieee_div_zero 0
		.amdhsa_exception_fp_ieee_overflow 0
		.amdhsa_exception_fp_ieee_underflow 0
		.amdhsa_exception_fp_ieee_inexact 0
		.amdhsa_exception_int_div_zero 0
	.end_amdhsa_kernel
	.section	.text._ZN7rocprim17ROCPRIM_400000_NS6detail17trampoline_kernelINS0_14default_configENS1_27scan_by_key_config_selectorIj11FixedVectorIiLj2EEEEZZNS1_16scan_by_key_implILNS1_25lookback_scan_determinismE0ELb1ES3_N6thrust23THRUST_200600_302600_NS6detail15normal_iteratorINSB_10device_ptrIjEEEENSD_INSE_IS6_EEEESI_S6_NSB_4plusIvEENSB_8equal_toIvEES6_EE10hipError_tPvRmT2_T3_T4_T5_mT6_T7_P12ihipStream_tbENKUlT_T0_E_clISt17integral_constantIbLb0EES12_IbLb1EEEEDaSY_SZ_EUlSY_E_NS1_11comp_targetILNS1_3genE0ELNS1_11target_archE4294967295ELNS1_3gpuE0ELNS1_3repE0EEENS1_30default_config_static_selectorELNS0_4arch9wavefront6targetE1EEEvT1_,"axG",@progbits,_ZN7rocprim17ROCPRIM_400000_NS6detail17trampoline_kernelINS0_14default_configENS1_27scan_by_key_config_selectorIj11FixedVectorIiLj2EEEEZZNS1_16scan_by_key_implILNS1_25lookback_scan_determinismE0ELb1ES3_N6thrust23THRUST_200600_302600_NS6detail15normal_iteratorINSB_10device_ptrIjEEEENSD_INSE_IS6_EEEESI_S6_NSB_4plusIvEENSB_8equal_toIvEES6_EE10hipError_tPvRmT2_T3_T4_T5_mT6_T7_P12ihipStream_tbENKUlT_T0_E_clISt17integral_constantIbLb0EES12_IbLb1EEEEDaSY_SZ_EUlSY_E_NS1_11comp_targetILNS1_3genE0ELNS1_11target_archE4294967295ELNS1_3gpuE0ELNS1_3repE0EEENS1_30default_config_static_selectorELNS0_4arch9wavefront6targetE1EEEvT1_,comdat
.Lfunc_end2020:
	.size	_ZN7rocprim17ROCPRIM_400000_NS6detail17trampoline_kernelINS0_14default_configENS1_27scan_by_key_config_selectorIj11FixedVectorIiLj2EEEEZZNS1_16scan_by_key_implILNS1_25lookback_scan_determinismE0ELb1ES3_N6thrust23THRUST_200600_302600_NS6detail15normal_iteratorINSB_10device_ptrIjEEEENSD_INSE_IS6_EEEESI_S6_NSB_4plusIvEENSB_8equal_toIvEES6_EE10hipError_tPvRmT2_T3_T4_T5_mT6_T7_P12ihipStream_tbENKUlT_T0_E_clISt17integral_constantIbLb0EES12_IbLb1EEEEDaSY_SZ_EUlSY_E_NS1_11comp_targetILNS1_3genE0ELNS1_11target_archE4294967295ELNS1_3gpuE0ELNS1_3repE0EEENS1_30default_config_static_selectorELNS0_4arch9wavefront6targetE1EEEvT1_, .Lfunc_end2020-_ZN7rocprim17ROCPRIM_400000_NS6detail17trampoline_kernelINS0_14default_configENS1_27scan_by_key_config_selectorIj11FixedVectorIiLj2EEEEZZNS1_16scan_by_key_implILNS1_25lookback_scan_determinismE0ELb1ES3_N6thrust23THRUST_200600_302600_NS6detail15normal_iteratorINSB_10device_ptrIjEEEENSD_INSE_IS6_EEEESI_S6_NSB_4plusIvEENSB_8equal_toIvEES6_EE10hipError_tPvRmT2_T3_T4_T5_mT6_T7_P12ihipStream_tbENKUlT_T0_E_clISt17integral_constantIbLb0EES12_IbLb1EEEEDaSY_SZ_EUlSY_E_NS1_11comp_targetILNS1_3genE0ELNS1_11target_archE4294967295ELNS1_3gpuE0ELNS1_3repE0EEENS1_30default_config_static_selectorELNS0_4arch9wavefront6targetE1EEEvT1_
                                        ; -- End function
	.section	.AMDGPU.csdata,"",@progbits
; Kernel info:
; codeLenInByte = 0
; NumSgprs: 6
; NumVgprs: 0
; NumAgprs: 0
; TotalNumVgprs: 0
; ScratchSize: 0
; MemoryBound: 0
; FloatMode: 240
; IeeeMode: 1
; LDSByteSize: 0 bytes/workgroup (compile time only)
; SGPRBlocks: 0
; VGPRBlocks: 0
; NumSGPRsForWavesPerEU: 6
; NumVGPRsForWavesPerEU: 1
; AccumOffset: 4
; Occupancy: 8
; WaveLimiterHint : 0
; COMPUTE_PGM_RSRC2:SCRATCH_EN: 0
; COMPUTE_PGM_RSRC2:USER_SGPR: 2
; COMPUTE_PGM_RSRC2:TRAP_HANDLER: 0
; COMPUTE_PGM_RSRC2:TGID_X_EN: 1
; COMPUTE_PGM_RSRC2:TGID_Y_EN: 0
; COMPUTE_PGM_RSRC2:TGID_Z_EN: 0
; COMPUTE_PGM_RSRC2:TIDIG_COMP_CNT: 0
; COMPUTE_PGM_RSRC3_GFX90A:ACCUM_OFFSET: 0
; COMPUTE_PGM_RSRC3_GFX90A:TG_SPLIT: 0
	.section	.text._ZN7rocprim17ROCPRIM_400000_NS6detail17trampoline_kernelINS0_14default_configENS1_27scan_by_key_config_selectorIj11FixedVectorIiLj2EEEEZZNS1_16scan_by_key_implILNS1_25lookback_scan_determinismE0ELb1ES3_N6thrust23THRUST_200600_302600_NS6detail15normal_iteratorINSB_10device_ptrIjEEEENSD_INSE_IS6_EEEESI_S6_NSB_4plusIvEENSB_8equal_toIvEES6_EE10hipError_tPvRmT2_T3_T4_T5_mT6_T7_P12ihipStream_tbENKUlT_T0_E_clISt17integral_constantIbLb0EES12_IbLb1EEEEDaSY_SZ_EUlSY_E_NS1_11comp_targetILNS1_3genE10ELNS1_11target_archE1201ELNS1_3gpuE5ELNS1_3repE0EEENS1_30default_config_static_selectorELNS0_4arch9wavefront6targetE1EEEvT1_,"axG",@progbits,_ZN7rocprim17ROCPRIM_400000_NS6detail17trampoline_kernelINS0_14default_configENS1_27scan_by_key_config_selectorIj11FixedVectorIiLj2EEEEZZNS1_16scan_by_key_implILNS1_25lookback_scan_determinismE0ELb1ES3_N6thrust23THRUST_200600_302600_NS6detail15normal_iteratorINSB_10device_ptrIjEEEENSD_INSE_IS6_EEEESI_S6_NSB_4plusIvEENSB_8equal_toIvEES6_EE10hipError_tPvRmT2_T3_T4_T5_mT6_T7_P12ihipStream_tbENKUlT_T0_E_clISt17integral_constantIbLb0EES12_IbLb1EEEEDaSY_SZ_EUlSY_E_NS1_11comp_targetILNS1_3genE10ELNS1_11target_archE1201ELNS1_3gpuE5ELNS1_3repE0EEENS1_30default_config_static_selectorELNS0_4arch9wavefront6targetE1EEEvT1_,comdat
	.protected	_ZN7rocprim17ROCPRIM_400000_NS6detail17trampoline_kernelINS0_14default_configENS1_27scan_by_key_config_selectorIj11FixedVectorIiLj2EEEEZZNS1_16scan_by_key_implILNS1_25lookback_scan_determinismE0ELb1ES3_N6thrust23THRUST_200600_302600_NS6detail15normal_iteratorINSB_10device_ptrIjEEEENSD_INSE_IS6_EEEESI_S6_NSB_4plusIvEENSB_8equal_toIvEES6_EE10hipError_tPvRmT2_T3_T4_T5_mT6_T7_P12ihipStream_tbENKUlT_T0_E_clISt17integral_constantIbLb0EES12_IbLb1EEEEDaSY_SZ_EUlSY_E_NS1_11comp_targetILNS1_3genE10ELNS1_11target_archE1201ELNS1_3gpuE5ELNS1_3repE0EEENS1_30default_config_static_selectorELNS0_4arch9wavefront6targetE1EEEvT1_ ; -- Begin function _ZN7rocprim17ROCPRIM_400000_NS6detail17trampoline_kernelINS0_14default_configENS1_27scan_by_key_config_selectorIj11FixedVectorIiLj2EEEEZZNS1_16scan_by_key_implILNS1_25lookback_scan_determinismE0ELb1ES3_N6thrust23THRUST_200600_302600_NS6detail15normal_iteratorINSB_10device_ptrIjEEEENSD_INSE_IS6_EEEESI_S6_NSB_4plusIvEENSB_8equal_toIvEES6_EE10hipError_tPvRmT2_T3_T4_T5_mT6_T7_P12ihipStream_tbENKUlT_T0_E_clISt17integral_constantIbLb0EES12_IbLb1EEEEDaSY_SZ_EUlSY_E_NS1_11comp_targetILNS1_3genE10ELNS1_11target_archE1201ELNS1_3gpuE5ELNS1_3repE0EEENS1_30default_config_static_selectorELNS0_4arch9wavefront6targetE1EEEvT1_
	.globl	_ZN7rocprim17ROCPRIM_400000_NS6detail17trampoline_kernelINS0_14default_configENS1_27scan_by_key_config_selectorIj11FixedVectorIiLj2EEEEZZNS1_16scan_by_key_implILNS1_25lookback_scan_determinismE0ELb1ES3_N6thrust23THRUST_200600_302600_NS6detail15normal_iteratorINSB_10device_ptrIjEEEENSD_INSE_IS6_EEEESI_S6_NSB_4plusIvEENSB_8equal_toIvEES6_EE10hipError_tPvRmT2_T3_T4_T5_mT6_T7_P12ihipStream_tbENKUlT_T0_E_clISt17integral_constantIbLb0EES12_IbLb1EEEEDaSY_SZ_EUlSY_E_NS1_11comp_targetILNS1_3genE10ELNS1_11target_archE1201ELNS1_3gpuE5ELNS1_3repE0EEENS1_30default_config_static_selectorELNS0_4arch9wavefront6targetE1EEEvT1_
	.p2align	8
	.type	_ZN7rocprim17ROCPRIM_400000_NS6detail17trampoline_kernelINS0_14default_configENS1_27scan_by_key_config_selectorIj11FixedVectorIiLj2EEEEZZNS1_16scan_by_key_implILNS1_25lookback_scan_determinismE0ELb1ES3_N6thrust23THRUST_200600_302600_NS6detail15normal_iteratorINSB_10device_ptrIjEEEENSD_INSE_IS6_EEEESI_S6_NSB_4plusIvEENSB_8equal_toIvEES6_EE10hipError_tPvRmT2_T3_T4_T5_mT6_T7_P12ihipStream_tbENKUlT_T0_E_clISt17integral_constantIbLb0EES12_IbLb1EEEEDaSY_SZ_EUlSY_E_NS1_11comp_targetILNS1_3genE10ELNS1_11target_archE1201ELNS1_3gpuE5ELNS1_3repE0EEENS1_30default_config_static_selectorELNS0_4arch9wavefront6targetE1EEEvT1_,@function
_ZN7rocprim17ROCPRIM_400000_NS6detail17trampoline_kernelINS0_14default_configENS1_27scan_by_key_config_selectorIj11FixedVectorIiLj2EEEEZZNS1_16scan_by_key_implILNS1_25lookback_scan_determinismE0ELb1ES3_N6thrust23THRUST_200600_302600_NS6detail15normal_iteratorINSB_10device_ptrIjEEEENSD_INSE_IS6_EEEESI_S6_NSB_4plusIvEENSB_8equal_toIvEES6_EE10hipError_tPvRmT2_T3_T4_T5_mT6_T7_P12ihipStream_tbENKUlT_T0_E_clISt17integral_constantIbLb0EES12_IbLb1EEEEDaSY_SZ_EUlSY_E_NS1_11comp_targetILNS1_3genE10ELNS1_11target_archE1201ELNS1_3gpuE5ELNS1_3repE0EEENS1_30default_config_static_selectorELNS0_4arch9wavefront6targetE1EEEvT1_: ; @_ZN7rocprim17ROCPRIM_400000_NS6detail17trampoline_kernelINS0_14default_configENS1_27scan_by_key_config_selectorIj11FixedVectorIiLj2EEEEZZNS1_16scan_by_key_implILNS1_25lookback_scan_determinismE0ELb1ES3_N6thrust23THRUST_200600_302600_NS6detail15normal_iteratorINSB_10device_ptrIjEEEENSD_INSE_IS6_EEEESI_S6_NSB_4plusIvEENSB_8equal_toIvEES6_EE10hipError_tPvRmT2_T3_T4_T5_mT6_T7_P12ihipStream_tbENKUlT_T0_E_clISt17integral_constantIbLb0EES12_IbLb1EEEEDaSY_SZ_EUlSY_E_NS1_11comp_targetILNS1_3genE10ELNS1_11target_archE1201ELNS1_3gpuE5ELNS1_3repE0EEENS1_30default_config_static_selectorELNS0_4arch9wavefront6targetE1EEEvT1_
; %bb.0:
	.section	.rodata,"a",@progbits
	.p2align	6, 0x0
	.amdhsa_kernel _ZN7rocprim17ROCPRIM_400000_NS6detail17trampoline_kernelINS0_14default_configENS1_27scan_by_key_config_selectorIj11FixedVectorIiLj2EEEEZZNS1_16scan_by_key_implILNS1_25lookback_scan_determinismE0ELb1ES3_N6thrust23THRUST_200600_302600_NS6detail15normal_iteratorINSB_10device_ptrIjEEEENSD_INSE_IS6_EEEESI_S6_NSB_4plusIvEENSB_8equal_toIvEES6_EE10hipError_tPvRmT2_T3_T4_T5_mT6_T7_P12ihipStream_tbENKUlT_T0_E_clISt17integral_constantIbLb0EES12_IbLb1EEEEDaSY_SZ_EUlSY_E_NS1_11comp_targetILNS1_3genE10ELNS1_11target_archE1201ELNS1_3gpuE5ELNS1_3repE0EEENS1_30default_config_static_selectorELNS0_4arch9wavefront6targetE1EEEvT1_
		.amdhsa_group_segment_fixed_size 0
		.amdhsa_private_segment_fixed_size 0
		.amdhsa_kernarg_size 120
		.amdhsa_user_sgpr_count 2
		.amdhsa_user_sgpr_dispatch_ptr 0
		.amdhsa_user_sgpr_queue_ptr 0
		.amdhsa_user_sgpr_kernarg_segment_ptr 1
		.amdhsa_user_sgpr_dispatch_id 0
		.amdhsa_user_sgpr_kernarg_preload_length 0
		.amdhsa_user_sgpr_kernarg_preload_offset 0
		.amdhsa_user_sgpr_private_segment_size 0
		.amdhsa_uses_dynamic_stack 0
		.amdhsa_enable_private_segment 0
		.amdhsa_system_sgpr_workgroup_id_x 1
		.amdhsa_system_sgpr_workgroup_id_y 0
		.amdhsa_system_sgpr_workgroup_id_z 0
		.amdhsa_system_sgpr_workgroup_info 0
		.amdhsa_system_vgpr_workitem_id 0
		.amdhsa_next_free_vgpr 1
		.amdhsa_next_free_sgpr 0
		.amdhsa_accum_offset 4
		.amdhsa_reserve_vcc 0
		.amdhsa_float_round_mode_32 0
		.amdhsa_float_round_mode_16_64 0
		.amdhsa_float_denorm_mode_32 3
		.amdhsa_float_denorm_mode_16_64 3
		.amdhsa_dx10_clamp 1
		.amdhsa_ieee_mode 1
		.amdhsa_fp16_overflow 0
		.amdhsa_tg_split 0
		.amdhsa_exception_fp_ieee_invalid_op 0
		.amdhsa_exception_fp_denorm_src 0
		.amdhsa_exception_fp_ieee_div_zero 0
		.amdhsa_exception_fp_ieee_overflow 0
		.amdhsa_exception_fp_ieee_underflow 0
		.amdhsa_exception_fp_ieee_inexact 0
		.amdhsa_exception_int_div_zero 0
	.end_amdhsa_kernel
	.section	.text._ZN7rocprim17ROCPRIM_400000_NS6detail17trampoline_kernelINS0_14default_configENS1_27scan_by_key_config_selectorIj11FixedVectorIiLj2EEEEZZNS1_16scan_by_key_implILNS1_25lookback_scan_determinismE0ELb1ES3_N6thrust23THRUST_200600_302600_NS6detail15normal_iteratorINSB_10device_ptrIjEEEENSD_INSE_IS6_EEEESI_S6_NSB_4plusIvEENSB_8equal_toIvEES6_EE10hipError_tPvRmT2_T3_T4_T5_mT6_T7_P12ihipStream_tbENKUlT_T0_E_clISt17integral_constantIbLb0EES12_IbLb1EEEEDaSY_SZ_EUlSY_E_NS1_11comp_targetILNS1_3genE10ELNS1_11target_archE1201ELNS1_3gpuE5ELNS1_3repE0EEENS1_30default_config_static_selectorELNS0_4arch9wavefront6targetE1EEEvT1_,"axG",@progbits,_ZN7rocprim17ROCPRIM_400000_NS6detail17trampoline_kernelINS0_14default_configENS1_27scan_by_key_config_selectorIj11FixedVectorIiLj2EEEEZZNS1_16scan_by_key_implILNS1_25lookback_scan_determinismE0ELb1ES3_N6thrust23THRUST_200600_302600_NS6detail15normal_iteratorINSB_10device_ptrIjEEEENSD_INSE_IS6_EEEESI_S6_NSB_4plusIvEENSB_8equal_toIvEES6_EE10hipError_tPvRmT2_T3_T4_T5_mT6_T7_P12ihipStream_tbENKUlT_T0_E_clISt17integral_constantIbLb0EES12_IbLb1EEEEDaSY_SZ_EUlSY_E_NS1_11comp_targetILNS1_3genE10ELNS1_11target_archE1201ELNS1_3gpuE5ELNS1_3repE0EEENS1_30default_config_static_selectorELNS0_4arch9wavefront6targetE1EEEvT1_,comdat
.Lfunc_end2021:
	.size	_ZN7rocprim17ROCPRIM_400000_NS6detail17trampoline_kernelINS0_14default_configENS1_27scan_by_key_config_selectorIj11FixedVectorIiLj2EEEEZZNS1_16scan_by_key_implILNS1_25lookback_scan_determinismE0ELb1ES3_N6thrust23THRUST_200600_302600_NS6detail15normal_iteratorINSB_10device_ptrIjEEEENSD_INSE_IS6_EEEESI_S6_NSB_4plusIvEENSB_8equal_toIvEES6_EE10hipError_tPvRmT2_T3_T4_T5_mT6_T7_P12ihipStream_tbENKUlT_T0_E_clISt17integral_constantIbLb0EES12_IbLb1EEEEDaSY_SZ_EUlSY_E_NS1_11comp_targetILNS1_3genE10ELNS1_11target_archE1201ELNS1_3gpuE5ELNS1_3repE0EEENS1_30default_config_static_selectorELNS0_4arch9wavefront6targetE1EEEvT1_, .Lfunc_end2021-_ZN7rocprim17ROCPRIM_400000_NS6detail17trampoline_kernelINS0_14default_configENS1_27scan_by_key_config_selectorIj11FixedVectorIiLj2EEEEZZNS1_16scan_by_key_implILNS1_25lookback_scan_determinismE0ELb1ES3_N6thrust23THRUST_200600_302600_NS6detail15normal_iteratorINSB_10device_ptrIjEEEENSD_INSE_IS6_EEEESI_S6_NSB_4plusIvEENSB_8equal_toIvEES6_EE10hipError_tPvRmT2_T3_T4_T5_mT6_T7_P12ihipStream_tbENKUlT_T0_E_clISt17integral_constantIbLb0EES12_IbLb1EEEEDaSY_SZ_EUlSY_E_NS1_11comp_targetILNS1_3genE10ELNS1_11target_archE1201ELNS1_3gpuE5ELNS1_3repE0EEENS1_30default_config_static_selectorELNS0_4arch9wavefront6targetE1EEEvT1_
                                        ; -- End function
	.section	.AMDGPU.csdata,"",@progbits
; Kernel info:
; codeLenInByte = 0
; NumSgprs: 6
; NumVgprs: 0
; NumAgprs: 0
; TotalNumVgprs: 0
; ScratchSize: 0
; MemoryBound: 0
; FloatMode: 240
; IeeeMode: 1
; LDSByteSize: 0 bytes/workgroup (compile time only)
; SGPRBlocks: 0
; VGPRBlocks: 0
; NumSGPRsForWavesPerEU: 6
; NumVGPRsForWavesPerEU: 1
; AccumOffset: 4
; Occupancy: 8
; WaveLimiterHint : 0
; COMPUTE_PGM_RSRC2:SCRATCH_EN: 0
; COMPUTE_PGM_RSRC2:USER_SGPR: 2
; COMPUTE_PGM_RSRC2:TRAP_HANDLER: 0
; COMPUTE_PGM_RSRC2:TGID_X_EN: 1
; COMPUTE_PGM_RSRC2:TGID_Y_EN: 0
; COMPUTE_PGM_RSRC2:TGID_Z_EN: 0
; COMPUTE_PGM_RSRC2:TIDIG_COMP_CNT: 0
; COMPUTE_PGM_RSRC3_GFX90A:ACCUM_OFFSET: 0
; COMPUTE_PGM_RSRC3_GFX90A:TG_SPLIT: 0
	.section	.text._ZN7rocprim17ROCPRIM_400000_NS6detail17trampoline_kernelINS0_14default_configENS1_27scan_by_key_config_selectorIj11FixedVectorIiLj2EEEEZZNS1_16scan_by_key_implILNS1_25lookback_scan_determinismE0ELb1ES3_N6thrust23THRUST_200600_302600_NS6detail15normal_iteratorINSB_10device_ptrIjEEEENSD_INSE_IS6_EEEESI_S6_NSB_4plusIvEENSB_8equal_toIvEES6_EE10hipError_tPvRmT2_T3_T4_T5_mT6_T7_P12ihipStream_tbENKUlT_T0_E_clISt17integral_constantIbLb0EES12_IbLb1EEEEDaSY_SZ_EUlSY_E_NS1_11comp_targetILNS1_3genE5ELNS1_11target_archE942ELNS1_3gpuE9ELNS1_3repE0EEENS1_30default_config_static_selectorELNS0_4arch9wavefront6targetE1EEEvT1_,"axG",@progbits,_ZN7rocprim17ROCPRIM_400000_NS6detail17trampoline_kernelINS0_14default_configENS1_27scan_by_key_config_selectorIj11FixedVectorIiLj2EEEEZZNS1_16scan_by_key_implILNS1_25lookback_scan_determinismE0ELb1ES3_N6thrust23THRUST_200600_302600_NS6detail15normal_iteratorINSB_10device_ptrIjEEEENSD_INSE_IS6_EEEESI_S6_NSB_4plusIvEENSB_8equal_toIvEES6_EE10hipError_tPvRmT2_T3_T4_T5_mT6_T7_P12ihipStream_tbENKUlT_T0_E_clISt17integral_constantIbLb0EES12_IbLb1EEEEDaSY_SZ_EUlSY_E_NS1_11comp_targetILNS1_3genE5ELNS1_11target_archE942ELNS1_3gpuE9ELNS1_3repE0EEENS1_30default_config_static_selectorELNS0_4arch9wavefront6targetE1EEEvT1_,comdat
	.protected	_ZN7rocprim17ROCPRIM_400000_NS6detail17trampoline_kernelINS0_14default_configENS1_27scan_by_key_config_selectorIj11FixedVectorIiLj2EEEEZZNS1_16scan_by_key_implILNS1_25lookback_scan_determinismE0ELb1ES3_N6thrust23THRUST_200600_302600_NS6detail15normal_iteratorINSB_10device_ptrIjEEEENSD_INSE_IS6_EEEESI_S6_NSB_4plusIvEENSB_8equal_toIvEES6_EE10hipError_tPvRmT2_T3_T4_T5_mT6_T7_P12ihipStream_tbENKUlT_T0_E_clISt17integral_constantIbLb0EES12_IbLb1EEEEDaSY_SZ_EUlSY_E_NS1_11comp_targetILNS1_3genE5ELNS1_11target_archE942ELNS1_3gpuE9ELNS1_3repE0EEENS1_30default_config_static_selectorELNS0_4arch9wavefront6targetE1EEEvT1_ ; -- Begin function _ZN7rocprim17ROCPRIM_400000_NS6detail17trampoline_kernelINS0_14default_configENS1_27scan_by_key_config_selectorIj11FixedVectorIiLj2EEEEZZNS1_16scan_by_key_implILNS1_25lookback_scan_determinismE0ELb1ES3_N6thrust23THRUST_200600_302600_NS6detail15normal_iteratorINSB_10device_ptrIjEEEENSD_INSE_IS6_EEEESI_S6_NSB_4plusIvEENSB_8equal_toIvEES6_EE10hipError_tPvRmT2_T3_T4_T5_mT6_T7_P12ihipStream_tbENKUlT_T0_E_clISt17integral_constantIbLb0EES12_IbLb1EEEEDaSY_SZ_EUlSY_E_NS1_11comp_targetILNS1_3genE5ELNS1_11target_archE942ELNS1_3gpuE9ELNS1_3repE0EEENS1_30default_config_static_selectorELNS0_4arch9wavefront6targetE1EEEvT1_
	.globl	_ZN7rocprim17ROCPRIM_400000_NS6detail17trampoline_kernelINS0_14default_configENS1_27scan_by_key_config_selectorIj11FixedVectorIiLj2EEEEZZNS1_16scan_by_key_implILNS1_25lookback_scan_determinismE0ELb1ES3_N6thrust23THRUST_200600_302600_NS6detail15normal_iteratorINSB_10device_ptrIjEEEENSD_INSE_IS6_EEEESI_S6_NSB_4plusIvEENSB_8equal_toIvEES6_EE10hipError_tPvRmT2_T3_T4_T5_mT6_T7_P12ihipStream_tbENKUlT_T0_E_clISt17integral_constantIbLb0EES12_IbLb1EEEEDaSY_SZ_EUlSY_E_NS1_11comp_targetILNS1_3genE5ELNS1_11target_archE942ELNS1_3gpuE9ELNS1_3repE0EEENS1_30default_config_static_selectorELNS0_4arch9wavefront6targetE1EEEvT1_
	.p2align	8
	.type	_ZN7rocprim17ROCPRIM_400000_NS6detail17trampoline_kernelINS0_14default_configENS1_27scan_by_key_config_selectorIj11FixedVectorIiLj2EEEEZZNS1_16scan_by_key_implILNS1_25lookback_scan_determinismE0ELb1ES3_N6thrust23THRUST_200600_302600_NS6detail15normal_iteratorINSB_10device_ptrIjEEEENSD_INSE_IS6_EEEESI_S6_NSB_4plusIvEENSB_8equal_toIvEES6_EE10hipError_tPvRmT2_T3_T4_T5_mT6_T7_P12ihipStream_tbENKUlT_T0_E_clISt17integral_constantIbLb0EES12_IbLb1EEEEDaSY_SZ_EUlSY_E_NS1_11comp_targetILNS1_3genE5ELNS1_11target_archE942ELNS1_3gpuE9ELNS1_3repE0EEENS1_30default_config_static_selectorELNS0_4arch9wavefront6targetE1EEEvT1_,@function
_ZN7rocprim17ROCPRIM_400000_NS6detail17trampoline_kernelINS0_14default_configENS1_27scan_by_key_config_selectorIj11FixedVectorIiLj2EEEEZZNS1_16scan_by_key_implILNS1_25lookback_scan_determinismE0ELb1ES3_N6thrust23THRUST_200600_302600_NS6detail15normal_iteratorINSB_10device_ptrIjEEEENSD_INSE_IS6_EEEESI_S6_NSB_4plusIvEENSB_8equal_toIvEES6_EE10hipError_tPvRmT2_T3_T4_T5_mT6_T7_P12ihipStream_tbENKUlT_T0_E_clISt17integral_constantIbLb0EES12_IbLb1EEEEDaSY_SZ_EUlSY_E_NS1_11comp_targetILNS1_3genE5ELNS1_11target_archE942ELNS1_3gpuE9ELNS1_3repE0EEENS1_30default_config_static_selectorELNS0_4arch9wavefront6targetE1EEEvT1_: ; @_ZN7rocprim17ROCPRIM_400000_NS6detail17trampoline_kernelINS0_14default_configENS1_27scan_by_key_config_selectorIj11FixedVectorIiLj2EEEEZZNS1_16scan_by_key_implILNS1_25lookback_scan_determinismE0ELb1ES3_N6thrust23THRUST_200600_302600_NS6detail15normal_iteratorINSB_10device_ptrIjEEEENSD_INSE_IS6_EEEESI_S6_NSB_4plusIvEENSB_8equal_toIvEES6_EE10hipError_tPvRmT2_T3_T4_T5_mT6_T7_P12ihipStream_tbENKUlT_T0_E_clISt17integral_constantIbLb0EES12_IbLb1EEEEDaSY_SZ_EUlSY_E_NS1_11comp_targetILNS1_3genE5ELNS1_11target_archE942ELNS1_3gpuE9ELNS1_3repE0EEENS1_30default_config_static_selectorELNS0_4arch9wavefront6targetE1EEEvT1_
; %bb.0:
	s_load_dwordx2 s[62:63], s[0:1], 0x20
	s_load_dwordx4 s[52:55], s[0:1], 0x30
	s_load_dwordx2 s[64:65], s[0:1], 0x40
	v_cmp_eq_u32_e64 s[2:3], 0, v0
	s_and_saveexec_b64 s[4:5], s[2:3]
	s_cbranch_execz .LBB2022_4
; %bb.1:
	s_mov_b64 s[8:9], exec
	v_mbcnt_lo_u32_b32 v1, s8, 0
	v_mbcnt_hi_u32_b32 v1, s9, v1
	v_cmp_eq_u32_e32 vcc, 0, v1
                                        ; implicit-def: $vgpr2
	s_and_saveexec_b64 s[6:7], vcc
	s_cbranch_execz .LBB2022_3
; %bb.2:
	s_load_dwordx2 s[10:11], s[0:1], 0x70
	s_bcnt1_i32_b64 s8, s[8:9]
	v_mov_b32_e32 v2, 0
	v_mov_b32_e32 v3, s8
	s_waitcnt lgkmcnt(0)
	global_atomic_add v2, v2, v3, s[10:11] sc0
.LBB2022_3:
	s_or_b64 exec, exec, s[6:7]
	s_waitcnt vmcnt(0)
	v_readfirstlane_b32 s6, v2
	v_mov_b32_e32 v2, 0
	s_nop 0
	v_add_u32_e32 v1, s6, v1
	ds_write_b32 v2, v1
.LBB2022_4:
	s_or_b64 exec, exec, s[4:5]
	s_load_dwordx8 s[44:51], s[0:1], 0x0
	s_load_dword s4, s[0:1], 0x48
	s_load_dwordx4 s[56:59], s[0:1], 0x50
	v_mov_b32_e32 v3, 0
	s_waitcnt lgkmcnt(0)
	s_lshl_b64 s[0:1], s[46:47], 2
	s_barrier
	ds_read_b32 v2, v3
	s_add_u32 s0, s44, s0
	s_addc_u32 s1, s45, s1
	s_lshl_b64 s[60:61], s[46:47], 3
	s_add_u32 s6, s48, s60
	s_mul_i32 s5, s65, s4
	s_mul_hi_u32 s8, s64, s4
	s_addc_u32 s7, s49, s61
	s_add_i32 s5, s8, s5
	s_movk_i32 s8, 0x1500
	s_waitcnt lgkmcnt(0)
	v_mul_lo_u32 v4, v2, s8
	v_mov_b32_e32 v5, v3
	v_lshlrev_b64 v[6:7], 2, v[4:5]
	v_lshlrev_b64 v[40:41], 3, v[4:5]
	s_mul_i32 s4, s64, s4
	v_lshl_add_u64 v[8:9], s[0:1], 0, v[6:7]
	v_lshl_add_u64 v[6:7], s[6:7], 0, v[40:41]
	s_add_u32 s6, s56, -1
	v_readfirstlane_b32 s55, v2
	v_lshl_add_u64 v[2:3], s[4:5], 0, v[2:3]
	s_addc_u32 s7, s57, -1
	v_cmp_le_u64_e64 s[0:1], s[6:7], v[2:3]
	s_mov_b64 s[4:5], -1
	s_and_b64 vcc, exec, s[0:1]
	s_mul_i32 s33, s6, 0xffffeb00
	s_barrier
	s_barrier
	s_cbranch_vccz .LBB2022_134
; %bb.5:
	flat_load_dword v1, v[8:9]
	s_add_i32 s66, s33, s54
	v_cmp_gt_u32_e64 s[44:45], s66, v0
	s_waitcnt vmcnt(0) lgkmcnt(0)
	v_mov_b32_e32 v4, v1
	s_and_saveexec_b64 s[4:5], s[44:45]
	s_cbranch_execz .LBB2022_7
; %bb.6:
	v_lshlrev_b32_e32 v2, 2, v0
	v_mov_b32_e32 v3, 0
	v_lshl_add_u64 v[2:3], v[8:9], 0, v[2:3]
	flat_load_dword v4, v[2:3]
.LBB2022_7:
	s_or_b64 exec, exec, s[4:5]
	v_or_b32_e32 v2, 0x100, v0
	v_cmp_gt_u32_e64 s[42:43], s66, v2
	v_mov_b32_e32 v5, v1
	s_and_saveexec_b64 s[4:5], s[42:43]
	s_cbranch_execz .LBB2022_9
; %bb.8:
	v_lshlrev_b32_e32 v2, 2, v0
	v_mov_b32_e32 v3, 0
	v_lshl_add_u64 v[2:3], v[8:9], 0, v[2:3]
	flat_load_dword v5, v[2:3] offset:1024
.LBB2022_9:
	s_or_b64 exec, exec, s[4:5]
	v_or_b32_e32 v31, 0x200, v0
	v_cmp_gt_u32_e64 s[40:41], s66, v31
	v_mov_b32_e32 v10, v1
	s_and_saveexec_b64 s[4:5], s[40:41]
	s_cbranch_execz .LBB2022_11
; %bb.10:
	v_lshlrev_b32_e32 v2, 2, v0
	v_mov_b32_e32 v3, 0
	v_lshl_add_u64 v[2:3], v[8:9], 0, v[2:3]
	flat_load_dword v10, v[2:3] offset:2048
.LBB2022_11:
	;; [unrolled: 12-line block ×3, first 2 shown]
	s_or_b64 exec, exec, s[4:5]
	v_or_b32_e32 v35, 0x400, v0
	v_cmp_gt_u32_e64 s[36:37], s66, v35
	v_mov_b32_e32 v12, v1
	s_and_saveexec_b64 s[4:5], s[36:37]
	s_cbranch_execz .LBB2022_15
; %bb.14:
	v_lshlrev_b32_e32 v2, 2, v35
	v_mov_b32_e32 v3, 0
	v_lshl_add_u64 v[2:3], v[8:9], 0, v[2:3]
	flat_load_dword v12, v[2:3]
.LBB2022_15:
	s_or_b64 exec, exec, s[4:5]
	v_or_b32_e32 v38, 0x500, v0
	v_cmp_gt_u32_e64 s[34:35], s66, v38
	v_mov_b32_e32 v13, v1
	s_and_saveexec_b64 s[4:5], s[34:35]
	s_cbranch_execz .LBB2022_17
; %bb.16:
	v_lshlrev_b32_e32 v2, 2, v38
	v_mov_b32_e32 v3, 0
	v_lshl_add_u64 v[2:3], v[8:9], 0, v[2:3]
	flat_load_dword v13, v[2:3]
.LBB2022_17:
	;; [unrolled: 12-line block ×16, first 2 shown]
	s_or_b64 exec, exec, s[46:47]
	v_or_b32_e32 v71, 0x1400, v0
	v_cmp_gt_u32_e32 vcc, s66, v71
	v_mov_b32_e32 v3, 0
	s_and_saveexec_b64 s[46:47], vcc
	s_cbranch_execz .LBB2022_47
; %bb.46:
	v_lshlrev_b32_e32 v2, 2, v71
	v_lshl_add_u64 v[2:3], v[8:9], 0, v[2:3]
	flat_load_dword v1, v[2:3]
.LBB2022_47:
	s_or_b64 exec, exec, s[46:47]
	v_lshlrev_b32_e32 v2, 2, v0
	s_waitcnt vmcnt(0) lgkmcnt(0)
	ds_write2st64_b32 v2, v4, v5 offset1:4
	ds_write2st64_b32 v2, v10, v11 offset0:8 offset1:12
	ds_write2st64_b32 v2, v12, v13 offset0:16 offset1:20
	;; [unrolled: 1-line block ×9, first 2 shown]
	ds_write_b32 v2, v1 offset:20480
	s_waitcnt lgkmcnt(0)
	s_barrier
	flat_load_dword v1, v[8:9]
	s_movk_i32 s46, 0x50
	v_mad_u32_u24 v3, v0, s46, v2
	s_movk_i32 s46, 0xffb0
	v_mad_i32_i24 v72, v0, s46, v3
	s_movk_i32 s46, 0xff
	v_cmp_ne_u32_e64 s[46:47], s46, v0
	ds_read_b32 v79, v3
	ds_read2_b32 v[28:29], v3 offset0:1 offset1:2
	ds_read2_b32 v[26:27], v3 offset0:3 offset1:4
	;; [unrolled: 1-line block ×10, first 2 shown]
	s_waitcnt lgkmcnt(0)
	ds_write_b32 v72, v79 offset:22528
	s_waitcnt lgkmcnt(0)
	s_barrier
	s_and_saveexec_b64 s[48:49], s[46:47]
	s_cbranch_execz .LBB2022_49
; %bb.48:
	s_waitcnt vmcnt(0)
	ds_read_b32 v1, v2 offset:22532
.LBB2022_49:
	s_or_b64 exec, exec, s[48:49]
	v_mov_b32_e32 v2, 0
	v_mov_b32_e32 v4, 0
	;; [unrolled: 1-line block ×3, first 2 shown]
	s_waitcnt lgkmcnt(0)
	s_barrier
	s_and_saveexec_b64 s[46:47], s[44:45]
	s_cbranch_execz .LBB2022_51
; %bb.50:
	v_lshlrev_b32_e32 v4, 3, v0
	v_mov_b32_e32 v5, v2
	v_lshl_add_u64 v[4:5], v[6:7], 0, v[4:5]
	flat_load_dwordx2 v[4:5], v[4:5]
.LBB2022_51:
	s_or_b64 exec, exec, s[46:47]
	v_mov_b32_e32 v3, 0
	s_and_saveexec_b64 s[44:45], s[42:43]
	s_cbranch_execz .LBB2022_53
; %bb.52:
	v_lshlrev_b32_e32 v2, 3, v0
	v_mov_b32_e32 v3, 0
	v_lshl_add_u64 v[2:3], v[6:7], 0, v[2:3]
	flat_load_dwordx2 v[2:3], v[2:3] offset:2048
.LBB2022_53:
	s_or_b64 exec, exec, s[44:45]
	v_mov_b32_e32 v30, 0
	v_mov_b32_e32 v32, 0
	v_mov_b32_e32 v33, 0
	s_and_saveexec_b64 s[42:43], s[40:41]
	s_cbranch_execz .LBB2022_55
; %bb.54:
	v_lshlrev_b32_e32 v32, 3, v31
	v_mov_b32_e32 v33, 0
	v_lshl_add_u64 v[32:33], v[6:7], 0, v[32:33]
	flat_load_dwordx2 v[32:33], v[32:33]
.LBB2022_55:
	s_or_b64 exec, exec, s[42:43]
	v_mov_b32_e32 v31, 0
	s_and_saveexec_b64 s[40:41], s[38:39]
	s_cbranch_execz .LBB2022_57
; %bb.56:
	v_lshlrev_b32_e32 v30, 3, v34
	v_mov_b32_e32 v31, 0
	v_lshl_add_u64 v[30:31], v[6:7], 0, v[30:31]
	flat_load_dwordx2 v[30:31], v[30:31]
.LBB2022_57:
	s_or_b64 exec, exec, s[40:41]
	v_mov_b32_e32 v34, 0
	v_mov_b32_e32 v36, 0
	v_mov_b32_e32 v37, 0
	s_and_saveexec_b64 s[38:39], s[36:37]
	s_cbranch_execz .LBB2022_59
; %bb.58:
	v_lshlrev_b32_e32 v36, 3, v35
	v_mov_b32_e32 v37, 0
	v_lshl_add_u64 v[36:37], v[6:7], 0, v[36:37]
	flat_load_dwordx2 v[36:37], v[36:37]
.LBB2022_59:
	s_or_b64 exec, exec, s[38:39]
	v_mov_b32_e32 v35, 0
	s_and_saveexec_b64 s[36:37], s[34:35]
	s_cbranch_execz .LBB2022_61
; %bb.60:
	v_lshlrev_b32_e32 v34, 3, v38
	v_mov_b32_e32 v35, 0
	v_lshl_add_u64 v[34:35], v[6:7], 0, v[34:35]
	flat_load_dwordx2 v[34:35], v[34:35]
.LBB2022_61:
	;; [unrolled: 22-line block ×9, first 2 shown]
	s_or_b64 exec, exec, s[6:7]
	v_mul_u32_u24_e32 v78, 21, v0
	v_mov_b32_e32 v70, 0
	v_mov_b32_e32 v68, 0
	;; [unrolled: 1-line block ×3, first 2 shown]
	s_and_saveexec_b64 s[4:5], vcc
	s_cbranch_execz .LBB2022_91
; %bb.90:
	v_lshlrev_b32_e32 v68, 3, v71
	v_mov_b32_e32 v69, 0
	v_lshl_add_u64 v[68:69], v[6:7], 0, v[68:69]
	flat_load_dwordx2 v[68:69], v[68:69]
.LBB2022_91:
	s_or_b64 exec, exec, s[4:5]
	v_lshl_add_u32 v80, v0, 2, v72
	s_waitcnt vmcnt(0) lgkmcnt(0)
	ds_write2st64_b64 v80, v[4:5], v[2:3] offset1:4
	ds_write2st64_b64 v80, v[32:33], v[30:31] offset0:8 offset1:12
	ds_write2st64_b64 v80, v[36:37], v[34:35] offset0:16 offset1:20
	;; [unrolled: 1-line block ×9, first 2 shown]
	ds_write_b64 v80, v[68:69] offset:40960
	v_cmp_gt_u32_e32 vcc, s66, v78
	s_mov_b64 s[4:5], 0
	s_mov_b32 s68, 0
	v_mov_b64_e32 v[42:43], 0
	s_mov_b64 s[10:11], 0
	v_mov_b32_e32 v62, 0
	v_mov_b32_e32 v50, 0
	;; [unrolled: 1-line block ×57, first 2 shown]
	s_waitcnt lgkmcnt(0)
	s_barrier
	s_waitcnt lgkmcnt(0)
                                        ; implicit-def: $sgpr8_sgpr9
                                        ; implicit-def: $vgpr2_vgpr3
	s_and_saveexec_b64 s[6:7], vcc
	s_cbranch_execz .LBB2022_133
; %bb.92:
	s_movk_i32 s8, 0xa0
	v_mad_u32_u24 v2, v0, s8, v80
	ds_read_b64 v[2:3], v2
	v_add_u32_e32 v4, 1, v78
	v_mov_b32_e32 v5, s63
	v_mov_b32_e32 v30, s62
	v_cmp_ne_u32_e32 vcc, v79, v28
	v_mov_b32_e32 v62, 0
	v_mov_b32_e32 v50, 0
	s_waitcnt lgkmcnt(0)
	v_cndmask_b32_e32 v43, v3, v5, vcc
	v_cndmask_b32_e32 v42, v2, v30, vcc
	v_cndmask_b32_e64 v70, 0, 1, vcc
	v_cmp_gt_u32_e32 vcc, s66, v4
	v_mov_b32_e32 v105, 0
	v_mov_b32_e32 v122, 0
	v_mov_b32_e32 v111, 0
	v_mov_b32_e32 v113, 0
	v_mov_b32_e32 v121, 0
	v_mov_b32_e32 v109, 0
	v_mov_b32_e32 v110, 0
	v_mov_b32_e32 v120, 0
	v_mov_b32_e32 v107, 0
	v_mov_b32_e32 v108, 0
	v_mov_b32_e32 v119, 0
	v_mov_b32_e32 v49, 0
	v_mov_b32_e32 v48, 0
	v_mov_b32_e32 v118, 0
	v_mov_b32_e32 v47, 0
	v_mov_b32_e32 v46, 0
	v_mov_b32_e32 v117, 0
	v_mov_b32_e32 v45, 0
	v_mov_b32_e32 v44, 0
	v_mov_b32_e32 v116, 0
	v_mov_b32_e32 v102, 0
	v_mov_b32_e32 v103, 0
	v_mov_b32_e32 v115, 0
	v_mov_b32_e32 v92, 0
	v_mov_b32_e32 v96, 0
	v_mov_b32_e32 v114, 0
	v_mov_b32_e32 v76, 0
	v_mov_b32_e32 v77, 0
	v_mov_b32_e32 v112, 0
	v_mov_b32_e32 v73, 0
	v_mov_b32_e32 v74, 0
	v_mov_b32_e32 v106, 0
	v_mov_b32_e32 v69, 0
	v_mov_b32_e32 v71, 0
	v_mov_b32_e32 v104, 0
	v_mov_b32_e32 v67, 0
	v_mov_b32_e32 v68, 0
	v_mov_b32_e32 v95, 0
	v_mov_b32_e32 v64, 0
	v_mov_b32_e32 v65, 0
	v_mov_b32_e32 v75, 0
	v_mov_b32_e32 v60, 0
	v_mov_b32_e32 v61, 0
	v_mov_b32_e32 v72, 0
	v_mov_b32_e32 v57, 0
	v_mov_b32_e32 v58, 0
	v_mov_b32_e32 v66, 0
	v_mov_b32_e32 v55, 0
	v_mov_b32_e32 v56, 0
	v_mov_b32_e32 v63, 0
	v_mov_b32_e32 v53, 0
	v_mov_b32_e32 v54, 0
	v_mov_b32_e32 v59, 0
	v_mov_b32_e32 v51, 0
	v_mov_b32_e32 v52, 0
                                        ; implicit-def: $sgpr12_sgpr13
                                        ; implicit-def: $vgpr2_vgpr3
	s_and_saveexec_b64 s[8:9], vcc
	s_cbranch_execz .LBB2022_132
; %bb.93:
	v_mul_u32_u24_e32 v2, 0xa0, v0
	v_add_u32_e32 v30, v80, v2
	ds_read2_b64 v[2:5], v30 offset0:1 offset1:2
	v_cmp_ne_u32_e32 vcc, v28, v29
	v_mov_b32_e32 v28, s62
	v_add_u32_e32 v31, 2, v78
	v_cndmask_b32_e64 v59, 0, 1, vcc
	s_waitcnt lgkmcnt(0)
	v_cndmask_b32_e32 v52, v2, v28, vcc
	v_mov_b32_e32 v2, s63
	v_cndmask_b32_e32 v51, v3, v2, vcc
	v_cmp_gt_u32_e32 vcc, s66, v31
	s_mov_b64 s[14:15], 0
	v_mov_b32_e32 v62, 0
	v_mov_b32_e32 v50, 0
	;; [unrolled: 1-line block ×54, first 2 shown]
                                        ; implicit-def: $sgpr12_sgpr13
                                        ; implicit-def: $vgpr2_vgpr3
	s_and_saveexec_b64 s[10:11], vcc
	s_cbranch_execz .LBB2022_131
; %bb.94:
	v_cmp_ne_u32_e32 vcc, v29, v26
	v_mov_b32_e32 v3, s62
	v_add_u32_e32 v2, 3, v78
	v_cndmask_b32_e32 v54, v4, v3, vcc
	v_mov_b32_e32 v3, s63
	v_cndmask_b32_e64 v63, 0, 1, vcc
	v_cndmask_b32_e32 v53, v5, v3, vcc
	v_cmp_gt_u32_e32 vcc, s66, v2
	v_mov_b32_e32 v62, 0
	v_mov_b32_e32 v50, 0
	;; [unrolled: 1-line block ×51, first 2 shown]
                                        ; implicit-def: $sgpr16_sgpr17
                                        ; implicit-def: $vgpr2_vgpr3
	s_and_saveexec_b64 s[12:13], vcc
	s_cbranch_execz .LBB2022_130
; %bb.95:
	ds_read2_b64 v[2:5], v30 offset0:3 offset1:4
	v_cmp_ne_u32_e32 vcc, v26, v27
	v_mov_b32_e32 v26, s62
	v_add_u32_e32 v28, 4, v78
	v_cndmask_b32_e64 v66, 0, 1, vcc
	s_waitcnt lgkmcnt(0)
	v_cndmask_b32_e32 v56, v2, v26, vcc
	v_mov_b32_e32 v2, s63
	v_cndmask_b32_e32 v55, v3, v2, vcc
	v_cmp_gt_u32_e32 vcc, s66, v28
	s_mov_b64 s[18:19], 0
	v_mov_b32_e32 v62, 0
	v_mov_b32_e32 v50, 0
	;; [unrolled: 1-line block ×48, first 2 shown]
                                        ; implicit-def: $sgpr16_sgpr17
                                        ; implicit-def: $vgpr2_vgpr3
	s_and_saveexec_b64 s[14:15], vcc
	s_cbranch_execz .LBB2022_129
; %bb.96:
	v_cmp_ne_u32_e32 vcc, v27, v24
	v_mov_b32_e32 v3, s62
	v_add_u32_e32 v2, 5, v78
	v_cndmask_b32_e32 v58, v4, v3, vcc
	v_mov_b32_e32 v3, s63
	v_cndmask_b32_e64 v72, 0, 1, vcc
	v_cndmask_b32_e32 v57, v5, v3, vcc
	v_cmp_gt_u32_e32 vcc, s66, v2
	v_mov_b32_e32 v62, 0
	v_mov_b32_e32 v50, 0
	;; [unrolled: 1-line block ×45, first 2 shown]
                                        ; implicit-def: $sgpr20_sgpr21
                                        ; implicit-def: $vgpr2_vgpr3
	s_and_saveexec_b64 s[16:17], vcc
	s_cbranch_execz .LBB2022_128
; %bb.97:
	ds_read2_b64 v[2:5], v30 offset0:5 offset1:6
	v_cmp_ne_u32_e32 vcc, v24, v25
	v_mov_b32_e32 v24, s62
	v_add_u32_e32 v26, 6, v78
	v_cndmask_b32_e64 v75, 0, 1, vcc
	s_waitcnt lgkmcnt(0)
	v_cndmask_b32_e32 v61, v2, v24, vcc
	v_mov_b32_e32 v2, s63
	v_cndmask_b32_e32 v60, v3, v2, vcc
	v_cmp_gt_u32_e32 vcc, s66, v26
	s_mov_b64 s[22:23], 0
	v_mov_b32_e32 v62, 0
	v_mov_b32_e32 v50, 0
	;; [unrolled: 1-line block ×42, first 2 shown]
                                        ; implicit-def: $sgpr20_sgpr21
                                        ; implicit-def: $vgpr2_vgpr3
	s_and_saveexec_b64 s[18:19], vcc
	s_cbranch_execz .LBB2022_127
; %bb.98:
	v_cmp_ne_u32_e32 vcc, v25, v22
	v_mov_b32_e32 v3, s62
	v_add_u32_e32 v2, 7, v78
	v_cndmask_b32_e32 v65, v4, v3, vcc
	v_mov_b32_e32 v3, s63
	v_cndmask_b32_e64 v95, 0, 1, vcc
	v_cndmask_b32_e32 v64, v5, v3, vcc
	v_cmp_gt_u32_e32 vcc, s66, v2
	v_mov_b32_e32 v62, 0
	v_mov_b32_e32 v50, 0
	;; [unrolled: 1-line block ×39, first 2 shown]
                                        ; implicit-def: $sgpr24_sgpr25
                                        ; implicit-def: $vgpr2_vgpr3
	s_and_saveexec_b64 s[20:21], vcc
	s_cbranch_execz .LBB2022_126
; %bb.99:
	ds_read2_b64 v[2:5], v30 offset0:7 offset1:8
	v_cmp_ne_u32_e32 vcc, v22, v23
	v_mov_b32_e32 v22, s62
	v_add_u32_e32 v24, 8, v78
	v_cndmask_b32_e64 v104, 0, 1, vcc
	s_waitcnt lgkmcnt(0)
	v_cndmask_b32_e32 v68, v2, v22, vcc
	v_mov_b32_e32 v2, s63
	v_cndmask_b32_e32 v67, v3, v2, vcc
	v_cmp_gt_u32_e32 vcc, s66, v24
	s_mov_b64 s[26:27], 0
	v_mov_b32_e32 v62, 0
	v_mov_b32_e32 v50, 0
	;; [unrolled: 1-line block ×36, first 2 shown]
                                        ; implicit-def: $sgpr24_sgpr25
                                        ; implicit-def: $vgpr2_vgpr3
	s_and_saveexec_b64 s[22:23], vcc
	s_cbranch_execz .LBB2022_125
; %bb.100:
	v_cmp_ne_u32_e32 vcc, v23, v20
	v_mov_b32_e32 v3, s62
	v_add_u32_e32 v2, 9, v78
	v_cndmask_b32_e32 v71, v4, v3, vcc
	v_mov_b32_e32 v3, s63
	v_cndmask_b32_e64 v106, 0, 1, vcc
	v_cndmask_b32_e32 v69, v5, v3, vcc
	v_cmp_gt_u32_e32 vcc, s66, v2
	v_mov_b32_e32 v62, 0
	v_mov_b32_e32 v50, 0
	;; [unrolled: 1-line block ×33, first 2 shown]
                                        ; implicit-def: $sgpr28_sgpr29
                                        ; implicit-def: $vgpr2_vgpr3
	s_and_saveexec_b64 s[24:25], vcc
	s_cbranch_execz .LBB2022_124
; %bb.101:
	ds_read2_b64 v[2:5], v30 offset0:9 offset1:10
	v_cmp_ne_u32_e32 vcc, v20, v21
	v_mov_b32_e32 v20, s62
	v_add_u32_e32 v22, 10, v78
	v_cndmask_b32_e64 v112, 0, 1, vcc
	s_waitcnt lgkmcnt(0)
	v_cndmask_b32_e32 v74, v2, v20, vcc
	v_mov_b32_e32 v2, s63
	v_cndmask_b32_e32 v73, v3, v2, vcc
	v_cmp_gt_u32_e32 vcc, s66, v22
	s_mov_b64 s[30:31], 0
	v_mov_b32_e32 v62, 0
	v_mov_b32_e32 v50, 0
	;; [unrolled: 1-line block ×30, first 2 shown]
                                        ; implicit-def: $sgpr28_sgpr29
                                        ; implicit-def: $vgpr2_vgpr3
	s_and_saveexec_b64 s[26:27], vcc
	s_cbranch_execz .LBB2022_123
; %bb.102:
	v_cmp_ne_u32_e32 vcc, v21, v18
	v_mov_b32_e32 v3, s62
	v_add_u32_e32 v2, 11, v78
	v_cndmask_b32_e32 v77, v4, v3, vcc
	v_mov_b32_e32 v3, s63
	v_cndmask_b32_e64 v114, 0, 1, vcc
	v_cndmask_b32_e32 v76, v5, v3, vcc
	v_cmp_gt_u32_e32 vcc, s66, v2
	v_mov_b32_e32 v62, 0
	v_mov_b32_e32 v50, 0
	;; [unrolled: 1-line block ×27, first 2 shown]
                                        ; implicit-def: $sgpr34_sgpr35
                                        ; implicit-def: $vgpr2_vgpr3
	s_and_saveexec_b64 s[28:29], vcc
	s_cbranch_execz .LBB2022_122
; %bb.103:
	ds_read2_b64 v[2:5], v30 offset0:11 offset1:12
	v_cmp_ne_u32_e32 vcc, v18, v19
	v_mov_b32_e32 v18, s62
	v_add_u32_e32 v20, 12, v78
	v_cndmask_b32_e64 v115, 0, 1, vcc
	s_waitcnt lgkmcnt(0)
	v_cndmask_b32_e32 v96, v2, v18, vcc
	v_mov_b32_e32 v2, s63
	v_cndmask_b32_e32 v92, v3, v2, vcc
	v_cmp_gt_u32_e32 vcc, s66, v20
	s_mov_b64 s[36:37], 0
	v_mov_b32_e32 v62, 0
	v_mov_b32_e32 v50, 0
	;; [unrolled: 1-line block ×24, first 2 shown]
                                        ; implicit-def: $sgpr34_sgpr35
                                        ; implicit-def: $vgpr2_vgpr3
	s_and_saveexec_b64 s[30:31], vcc
	s_cbranch_execz .LBB2022_121
; %bb.104:
	v_cmp_ne_u32_e32 vcc, v19, v16
	v_mov_b32_e32 v3, s62
	v_add_u32_e32 v2, 13, v78
	v_cndmask_b32_e32 v103, v4, v3, vcc
	v_mov_b32_e32 v3, s63
	v_cndmask_b32_e64 v116, 0, 1, vcc
	v_cndmask_b32_e32 v102, v5, v3, vcc
	v_cmp_gt_u32_e32 vcc, s66, v2
	v_mov_b32_e32 v62, 0
	v_mov_b32_e32 v50, 0
	;; [unrolled: 1-line block ×21, first 2 shown]
                                        ; implicit-def: $sgpr38_sgpr39
                                        ; implicit-def: $vgpr2_vgpr3
	s_and_saveexec_b64 s[34:35], vcc
	s_cbranch_execz .LBB2022_120
; %bb.105:
	ds_read2_b64 v[2:5], v30 offset0:13 offset1:14
	v_cmp_ne_u32_e32 vcc, v16, v17
	v_mov_b32_e32 v16, s62
	v_add_u32_e32 v18, 14, v78
	v_cndmask_b32_e64 v117, 0, 1, vcc
	s_waitcnt lgkmcnt(0)
	v_cndmask_b32_e32 v44, v2, v16, vcc
	v_mov_b32_e32 v2, s63
	v_cndmask_b32_e32 v45, v3, v2, vcc
	v_cmp_gt_u32_e32 vcc, s66, v18
	s_mov_b64 s[40:41], 0
	v_mov_b32_e32 v62, 0
	v_mov_b32_e32 v50, 0
	;; [unrolled: 1-line block ×18, first 2 shown]
                                        ; implicit-def: $sgpr38_sgpr39
                                        ; implicit-def: $vgpr2_vgpr3
	s_and_saveexec_b64 s[36:37], vcc
	s_cbranch_execz .LBB2022_119
; %bb.106:
	v_cmp_ne_u32_e32 vcc, v17, v14
	v_mov_b32_e32 v3, s62
	v_add_u32_e32 v2, 15, v78
	v_cndmask_b32_e32 v46, v4, v3, vcc
	v_mov_b32_e32 v3, s63
	v_cndmask_b32_e64 v118, 0, 1, vcc
	v_cndmask_b32_e32 v47, v5, v3, vcc
	v_cmp_gt_u32_e32 vcc, s66, v2
	v_mov_b32_e32 v62, 0
	v_mov_b32_e32 v50, 0
	;; [unrolled: 1-line block ×15, first 2 shown]
                                        ; implicit-def: $sgpr42_sgpr43
                                        ; implicit-def: $vgpr2_vgpr3
	s_and_saveexec_b64 s[38:39], vcc
	s_cbranch_execz .LBB2022_118
; %bb.107:
	ds_read2_b64 v[2:5], v30 offset0:15 offset1:16
	v_cmp_ne_u32_e32 vcc, v14, v15
	v_mov_b32_e32 v14, s62
	v_add_u32_e32 v16, 16, v78
	v_cndmask_b32_e64 v119, 0, 1, vcc
	s_waitcnt lgkmcnt(0)
	v_cndmask_b32_e32 v48, v2, v14, vcc
	v_mov_b32_e32 v2, s63
	v_cndmask_b32_e32 v49, v3, v2, vcc
	v_cmp_gt_u32_e32 vcc, s66, v16
	s_mov_b64 s[44:45], 0
	v_mov_b32_e32 v62, 0
	v_mov_b32_e32 v50, 0
	;; [unrolled: 1-line block ×12, first 2 shown]
                                        ; implicit-def: $sgpr42_sgpr43
                                        ; implicit-def: $vgpr2_vgpr3
	s_and_saveexec_b64 s[40:41], vcc
	s_cbranch_execz .LBB2022_117
; %bb.108:
	v_cmp_ne_u32_e32 vcc, v15, v12
	v_mov_b32_e32 v3, s62
	v_add_u32_e32 v2, 17, v78
	v_cndmask_b32_e32 v108, v4, v3, vcc
	v_mov_b32_e32 v3, s63
	v_cndmask_b32_e64 v120, 0, 1, vcc
	v_cndmask_b32_e32 v107, v5, v3, vcc
	v_cmp_gt_u32_e32 vcc, s66, v2
	v_mov_b32_e32 v62, 0
	v_mov_b32_e32 v50, 0
	;; [unrolled: 1-line block ×9, first 2 shown]
                                        ; implicit-def: $sgpr46_sgpr47
                                        ; implicit-def: $vgpr2_vgpr3
	s_and_saveexec_b64 s[42:43], vcc
	s_cbranch_execz .LBB2022_116
; %bb.109:
	ds_read2_b64 v[2:5], v30 offset0:17 offset1:18
	v_cmp_ne_u32_e32 vcc, v12, v13
	v_mov_b32_e32 v12, s62
	v_add_u32_e32 v14, 18, v78
	v_cndmask_b32_e64 v121, 0, 1, vcc
	s_waitcnt lgkmcnt(0)
	v_cndmask_b32_e32 v110, v2, v12, vcc
	v_mov_b32_e32 v2, s63
	v_cndmask_b32_e32 v109, v3, v2, vcc
	v_cmp_gt_u32_e32 vcc, s66, v14
	s_mov_b64 s[48:49], 0
	v_mov_b32_e32 v62, 0
	v_mov_b32_e32 v50, 0
	;; [unrolled: 1-line block ×6, first 2 shown]
                                        ; implicit-def: $sgpr46_sgpr47
                                        ; implicit-def: $vgpr2_vgpr3
	s_and_saveexec_b64 s[44:45], vcc
	s_cbranch_execz .LBB2022_115
; %bb.110:
	v_cmp_ne_u32_e32 vcc, v13, v10
	v_mov_b32_e32 v3, s62
	v_add_u32_e32 v2, 19, v78
	v_cndmask_b32_e32 v113, v4, v3, vcc
	v_mov_b32_e32 v3, s63
	v_cndmask_b32_e64 v122, 0, 1, vcc
	v_cndmask_b32_e32 v111, v5, v3, vcc
	v_cmp_gt_u32_e32 vcc, s66, v2
	v_mov_b32_e32 v62, 0
	v_mov_b32_e32 v50, 0
	;; [unrolled: 1-line block ×3, first 2 shown]
                                        ; implicit-def: $sgpr56_sgpr57
                                        ; implicit-def: $vgpr2_vgpr3
	s_and_saveexec_b64 s[46:47], vcc
	s_cbranch_execz .LBB2022_114
; %bb.111:
	ds_read2_b64 v[2:5], v30 offset0:19 offset1:20
	v_cmp_ne_u32_e32 vcc, v10, v11
	v_mov_b32_e32 v10, s62
	v_add_u32_e32 v12, 20, v78
	v_cndmask_b32_e64 v62, 0, 1, vcc
	s_waitcnt lgkmcnt(0)
	v_cndmask_b32_e32 v105, v2, v10, vcc
	v_mov_b32_e32 v2, s63
	v_cndmask_b32_e32 v50, v3, v2, vcc
	v_cmp_gt_u32_e32 vcc, s66, v12
                                        ; implicit-def: $sgpr56_sgpr57
                                        ; implicit-def: $vgpr2_vgpr3
	s_and_saveexec_b64 s[66:67], vcc
	s_xor_b64 s[66:67], exec, s[66:67]
; %bb.112:
	v_mov_b32_e32 v2, s63
	v_cmp_ne_u32_e32 vcc, v11, v1
	v_mov_b32_e32 v1, s62
	s_mov_b64 s[48:49], exec
	v_cndmask_b32_e32 v3, v5, v2, vcc
	v_cndmask_b32_e32 v2, v4, v1, vcc
	s_and_b64 s[56:57], vcc, exec
; %bb.113:
	s_or_b64 exec, exec, s[66:67]
	s_and_b64 s[56:57], s[56:57], exec
	s_and_b64 s[48:49], s[48:49], exec
.LBB2022_114:
	s_or_b64 exec, exec, s[46:47]
	s_and_b64 s[46:47], s[56:57], exec
	s_and_b64 s[48:49], s[48:49], exec
.LBB2022_115:
	s_or_b64 exec, exec, s[44:45]
	s_and_b64 s[46:47], s[46:47], exec
	s_and_b64 s[44:45], s[48:49], exec
.LBB2022_116:
	s_or_b64 exec, exec, s[42:43]
	s_and_b64 s[42:43], s[46:47], exec
	s_and_b64 s[44:45], s[44:45], exec
.LBB2022_117:
	s_or_b64 exec, exec, s[40:41]
	s_and_b64 s[42:43], s[42:43], exec
	s_and_b64 s[40:41], s[44:45], exec
.LBB2022_118:
	s_or_b64 exec, exec, s[38:39]
	s_and_b64 s[38:39], s[42:43], exec
	s_and_b64 s[40:41], s[40:41], exec
.LBB2022_119:
	s_or_b64 exec, exec, s[36:37]
	s_and_b64 s[38:39], s[38:39], exec
	s_and_b64 s[36:37], s[40:41], exec
.LBB2022_120:
	s_or_b64 exec, exec, s[34:35]
	s_and_b64 s[34:35], s[38:39], exec
	s_and_b64 s[36:37], s[36:37], exec
.LBB2022_121:
	s_or_b64 exec, exec, s[30:31]
	s_and_b64 s[34:35], s[34:35], exec
	s_and_b64 s[30:31], s[36:37], exec
.LBB2022_122:
	s_or_b64 exec, exec, s[28:29]
	s_and_b64 s[28:29], s[34:35], exec
	s_and_b64 s[30:31], s[30:31], exec
.LBB2022_123:
	s_or_b64 exec, exec, s[26:27]
	s_and_b64 s[28:29], s[28:29], exec
	s_and_b64 s[26:27], s[30:31], exec
.LBB2022_124:
	s_or_b64 exec, exec, s[24:25]
	s_and_b64 s[24:25], s[28:29], exec
	s_and_b64 s[26:27], s[26:27], exec
.LBB2022_125:
	s_or_b64 exec, exec, s[22:23]
	s_and_b64 s[24:25], s[24:25], exec
	s_and_b64 s[22:23], s[26:27], exec
.LBB2022_126:
	s_or_b64 exec, exec, s[20:21]
	s_and_b64 s[20:21], s[24:25], exec
	s_and_b64 s[22:23], s[22:23], exec
.LBB2022_127:
	s_or_b64 exec, exec, s[18:19]
	s_and_b64 s[20:21], s[20:21], exec
	s_and_b64 s[18:19], s[22:23], exec
.LBB2022_128:
	s_or_b64 exec, exec, s[16:17]
	s_and_b64 s[16:17], s[20:21], exec
	s_and_b64 s[18:19], s[18:19], exec
.LBB2022_129:
	s_or_b64 exec, exec, s[14:15]
	s_and_b64 s[16:17], s[16:17], exec
	s_and_b64 s[14:15], s[18:19], exec
.LBB2022_130:
	s_or_b64 exec, exec, s[12:13]
	s_and_b64 s[12:13], s[16:17], exec
	s_and_b64 s[14:15], s[14:15], exec
.LBB2022_131:
	s_or_b64 exec, exec, s[10:11]
	s_and_b64 s[12:13], s[12:13], exec
	s_and_b64 s[10:11], s[14:15], exec
.LBB2022_132:
	s_or_b64 exec, exec, s[8:9]
	s_and_b64 s[8:9], s[12:13], exec
	s_and_b64 s[10:11], s[10:11], exec
.LBB2022_133:
	s_or_b64 exec, exec, s[6:7]
	s_mov_b32 s6, 0
	s_and_b64 vcc, exec, s[4:5]
	s_cbranch_vccnz .LBB2022_135
	s_branch .LBB2022_138
.LBB2022_134:
	s_mov_b64 s[10:11], 0
                                        ; kill: def $vgpr1 killed $sgpr0 killed $exec
                                        ; implicit-def: $sgpr8_sgpr9
                                        ; implicit-def: $vgpr70
                                        ; implicit-def: $vgpr2_vgpr3
                                        ; implicit-def: $vgpr62
                                        ; implicit-def: $vgpr50
                                        ; implicit-def: $vgpr105
                                        ; implicit-def: $vgpr122
                                        ; implicit-def: $vgpr111
                                        ; implicit-def: $vgpr113
                                        ; implicit-def: $vgpr121
                                        ; implicit-def: $vgpr109
                                        ; implicit-def: $vgpr110
                                        ; implicit-def: $vgpr120
                                        ; implicit-def: $vgpr107
                                        ; implicit-def: $vgpr108
                                        ; implicit-def: $vgpr119
                                        ; implicit-def: $vgpr49
                                        ; implicit-def: $vgpr118
                                        ; implicit-def: $vgpr47
                                        ; implicit-def: $vgpr117
                                        ; implicit-def: $vgpr45
                                        ; implicit-def: $vgpr116
                                        ; implicit-def: $vgpr102
                                        ; implicit-def: $vgpr103
                                        ; implicit-def: $vgpr115
                                        ; implicit-def: $vgpr92
                                        ; implicit-def: $vgpr96
                                        ; implicit-def: $vgpr114
                                        ; implicit-def: $vgpr76
                                        ; implicit-def: $vgpr77
                                        ; implicit-def: $vgpr112
                                        ; implicit-def: $vgpr73
                                        ; implicit-def: $vgpr74
                                        ; implicit-def: $vgpr106
                                        ; implicit-def: $vgpr69
                                        ; implicit-def: $vgpr71
                                        ; implicit-def: $vgpr104
                                        ; implicit-def: $vgpr67
                                        ; implicit-def: $vgpr68
                                        ; implicit-def: $vgpr95
                                        ; implicit-def: $vgpr64
                                        ; implicit-def: $vgpr65
                                        ; implicit-def: $vgpr75
                                        ; implicit-def: $vgpr60
                                        ; implicit-def: $vgpr61
                                        ; implicit-def: $vgpr72
                                        ; implicit-def: $vgpr57
                                        ; implicit-def: $vgpr58
                                        ; implicit-def: $vgpr66
                                        ; implicit-def: $vgpr55
                                        ; implicit-def: $vgpr56
                                        ; implicit-def: $vgpr63
                                        ; implicit-def: $vgpr53
                                        ; implicit-def: $vgpr54
                                        ; implicit-def: $vgpr59
                                        ; implicit-def: $vgpr51
                                        ; implicit-def: $vgpr52
                                        ; implicit-def: $vgpr42_vgpr43
                                        ; implicit-def: $sgpr6
                                        ; implicit-def: $sgpr68
	s_and_b64 vcc, exec, s[4:5]
	s_cbranch_vccz .LBB2022_138
.LBB2022_135:
	v_mov_b32_e32 v11, 0
	v_lshlrev_b32_e32 v10, 2, v0
	v_lshl_add_u64 v[2:3], v[8:9], 0, v[10:11]
	v_add_co_u32_e32 v4, vcc, 0x1000, v2
	s_movk_i32 s4, 0x50
	s_nop 0
	v_addc_co_u32_e32 v5, vcc, 0, v3, vcc
	flat_load_dword v1, v[2:3]
	flat_load_dword v14, v[2:3] offset:1024
	flat_load_dword v15, v[2:3] offset:2048
	;; [unrolled: 1-line block ×3, first 2 shown]
	flat_load_dword v17, v[4:5]
	flat_load_dword v18, v[4:5] offset:1024
	flat_load_dword v19, v[4:5] offset:2048
	;; [unrolled: 1-line block ×3, first 2 shown]
	v_add_co_u32_e32 v4, vcc, 0x2000, v2
	s_movk_i32 s10, 0x1000
	s_nop 0
	v_addc_co_u32_e32 v5, vcc, 0, v3, vcc
	v_add_co_u32_e32 v12, vcc, 0x3000, v2
	s_movk_i32 s9, 0x2000
	s_nop 0
	v_addc_co_u32_e32 v13, vcc, 0, v3, vcc
	flat_load_dword v21, v[4:5]
	flat_load_dword v22, v[4:5] offset:1024
	flat_load_dword v23, v[4:5] offset:2048
	;; [unrolled: 1-line block ×3, first 2 shown]
	flat_load_dword v25, v[12:13]
	flat_load_dword v26, v[12:13] offset:1024
	flat_load_dword v27, v[12:13] offset:2048
	;; [unrolled: 1-line block ×3, first 2 shown]
	v_add_co_u32_e32 v4, vcc, 0x4000, v2
	s_movk_i32 s8, 0x3000
	s_nop 0
	v_addc_co_u32_e32 v5, vcc, 0, v3, vcc
	v_add_co_u32_e32 v2, vcc, 0x5000, v2
	s_movk_i32 s7, 0x4000
	s_nop 0
	v_addc_co_u32_e32 v3, vcc, 0, v3, vcc
	flat_load_dword v12, v[4:5]
	flat_load_dword v13, v[4:5] offset:1024
	flat_load_dword v29, v[4:5] offset:2048
	;; [unrolled: 1-line block ×3, first 2 shown]
	flat_load_dword v31, v[2:3]
	v_add_co_u32_e32 v2, vcc, 0x5000, v8
	s_movk_i32 s6, 0x5000
	s_nop 0
	v_addc_co_u32_e32 v3, vcc, 0, v9, vcc
	s_waitcnt vmcnt(0) lgkmcnt(0)
	ds_write2st64_b32 v10, v1, v14 offset1:4
	ds_write2st64_b32 v10, v15, v16 offset0:8 offset1:12
	ds_write2st64_b32 v10, v17, v18 offset0:16 offset1:20
	;; [unrolled: 1-line block ×9, first 2 shown]
	ds_write_b32 v10, v31 offset:20480
	s_waitcnt lgkmcnt(0)
	s_barrier
	flat_load_dword v1, v[2:3] offset:1024
	v_mad_u32_u24 v27, v0, s4, v10
	s_movk_i32 s4, 0xffb0
	ds_read_b32 v26, v27
	ds_read2_b32 v[4:5], v27 offset0:1 offset1:2
	ds_read2_b32 v[24:25], v27 offset0:3 offset1:4
	;; [unrolled: 1-line block ×10, first 2 shown]
	v_mad_i32_i24 v27, v0, s4, v27
	s_movk_i32 s4, 0xff
	v_cmp_ne_u32_e32 vcc, s4, v0
	s_waitcnt lgkmcnt(0)
	ds_write_b32 v27, v26 offset:22528
	s_waitcnt lgkmcnt(0)
	s_barrier
	s_and_saveexec_b64 s[4:5], vcc
	s_cbranch_execz .LBB2022_137
; %bb.136:
	s_waitcnt vmcnt(0)
	ds_read_b32 v1, v10 offset:22532
.LBB2022_137:
	s_or_b64 exec, exec, s[4:5]
	v_lshlrev_b32_e32 v10, 3, v0
	v_lshl_add_u64 v[6:7], v[6:7], 0, v[10:11]
	v_add_co_u32_e32 v10, vcc, s10, v6
	s_waitcnt lgkmcnt(0)
	s_nop 0
	v_addc_co_u32_e32 v11, vcc, 0, v7, vcc
	s_barrier
	flat_load_dwordx2 v[28:29], v[6:7]
	flat_load_dwordx2 v[30:31], v[6:7] offset:2048
	flat_load_dwordx2 v[32:33], v[10:11]
	flat_load_dwordx2 v[34:35], v[10:11] offset:2048
	v_add_co_u32_e32 v10, vcc, s9, v6
	s_movk_i32 s4, 0x6000
	s_nop 0
	v_addc_co_u32_e32 v11, vcc, 0, v7, vcc
	v_add_co_u32_e32 v36, vcc, s8, v6
	v_cmp_ne_u32_e64 s[38:39], v9, v2
	s_nop 0
	v_addc_co_u32_e32 v37, vcc, 0, v7, vcc
	flat_load_dwordx2 v[38:39], v[10:11]
	flat_load_dwordx2 v[42:43], v[10:11] offset:2048
	flat_load_dwordx2 v[44:45], v[36:37]
	flat_load_dwordx2 v[46:47], v[36:37] offset:2048
	v_add_co_u32_e32 v10, vcc, s7, v6
	v_cmp_ne_u32_e64 s[40:41], v2, v3
	s_nop 0
	v_addc_co_u32_e32 v11, vcc, 0, v7, vcc
	v_add_co_u32_e32 v36, vcc, s6, v6
	v_lshl_add_u32 v2, v0, 2, v27
	s_nop 0
	v_addc_co_u32_e32 v37, vcc, 0, v7, vcc
	flat_load_dwordx2 v[48:49], v[10:11]
	flat_load_dwordx2 v[50:51], v[10:11] offset:2048
	flat_load_dwordx2 v[52:53], v[36:37]
	flat_load_dwordx2 v[54:55], v[36:37] offset:2048
	v_add_co_u32_e32 v10, vcc, s4, v6
	s_movk_i32 s4, 0x7000
	s_nop 0
	v_addc_co_u32_e32 v11, vcc, 0, v7, vcc
	v_add_co_u32_e32 v36, vcc, s4, v6
	s_mov_b32 s4, 0x8000
	s_nop 0
	v_addc_co_u32_e32 v37, vcc, 0, v7, vcc
	flat_load_dwordx2 v[56:57], v[10:11]
	flat_load_dwordx2 v[60:61], v[10:11] offset:2048
	flat_load_dwordx2 v[64:65], v[36:37]
	flat_load_dwordx2 v[68:69], v[36:37] offset:2048
	v_add_co_u32_e32 v10, vcc, s4, v6
	s_mov_b32 s4, 0x9000
	s_nop 0
	v_addc_co_u32_e32 v11, vcc, 0, v7, vcc
	v_add_co_u32_e32 v36, vcc, s4, v6
	s_mov_b32 s4, 0xa000
	s_nop 0
	v_addc_co_u32_e32 v37, vcc, 0, v7, vcc
	flat_load_dwordx2 v[70:71], v[10:11]
	flat_load_dwordx2 v[76:77], v[10:11] offset:2048
	flat_load_dwordx2 v[78:79], v[36:37]
	flat_load_dwordx2 v[80:81], v[36:37] offset:2048
	v_add_co_u32_e32 v6, vcc, s4, v6
	s_movk_i32 s42, 0xa0
	s_nop 0
	v_addc_co_u32_e32 v7, vcc, 0, v7, vcc
	flat_load_dwordx2 v[6:7], v[6:7]
	v_cmp_ne_u32_e64 s[4:5], v5, v24
	v_cmp_ne_u32_e64 s[6:7], v24, v25
	;; [unrolled: 1-line block ×16, first 2 shown]
	v_cmp_ne_u32_e32 vcc, v4, v5
	v_cndmask_b32_e64 v72, 0, 1, s[8:9]
	v_cndmask_b32_e64 v63, 0, 1, s[4:5]
	v_cndmask_b32_e64 v59, 0, 1, vcc
	v_cndmask_b32_e64 v66, 0, 1, s[6:7]
	v_cndmask_b32_e64 v75, 0, 1, s[10:11]
	;; [unrolled: 1-line block ×16, first 2 shown]
                                        ; implicit-def: $sgpr68
	s_waitcnt vmcnt(0) lgkmcnt(0)
	ds_write2st64_b64 v2, v[28:29], v[30:31] offset1:4
	ds_write2st64_b64 v2, v[32:33], v[34:35] offset0:8 offset1:12
	ds_write2st64_b64 v2, v[38:39], v[42:43] offset0:16 offset1:20
	;; [unrolled: 1-line block ×9, first 2 shown]
	ds_write_b64 v2, v[6:7] offset:40960
	v_mad_u32_u24 v2, v0, s42, v2
	s_waitcnt lgkmcnt(0)
	s_barrier
	ds_read2_b64 v[6:9], v2 offset1:1
	ds_read2_b64 v[10:13], v2 offset0:2 offset1:3
	ds_read2_b64 v[14:17], v2 offset0:4 offset1:5
	;; [unrolled: 1-line block ×9, first 2 shown]
	ds_read_b64 v[86:87], v2 offset:160
	v_mov_b32_e32 v2, s63
	v_cmp_ne_u32_e64 s[42:43], v26, v4
	v_mov_b32_e32 v4, s62
	s_waitcnt lgkmcnt(8)
	v_cndmask_b32_e64 v58, v14, v4, s[8:9]
	v_cndmask_b32_e64 v57, v15, v2, s[8:9]
	v_cmp_ne_u32_e64 s[8:9], v3, v1
	v_cndmask_b32_e64 v43, v7, v2, s[42:43]
	v_cndmask_b32_e64 v42, v6, v4, s[42:43]
	;; [unrolled: 1-line block ×3, first 2 shown]
	v_cndmask_b32_e32 v52, v8, v4, vcc
	v_cndmask_b32_e32 v51, v9, v2, vcc
	v_cndmask_b32_e64 v54, v10, v4, s[4:5]
	v_cndmask_b32_e64 v53, v11, v2, s[4:5]
	;; [unrolled: 1-line block ×6, first 2 shown]
	s_waitcnt lgkmcnt(7)
	v_cndmask_b32_e64 v65, v18, v4, s[12:13]
	v_cndmask_b32_e64 v64, v19, v2, s[12:13]
	v_cndmask_b32_e64 v68, v20, v4, s[14:15]
	v_cndmask_b32_e64 v67, v21, v2, s[14:15]
	s_waitcnt lgkmcnt(6)
	v_cndmask_b32_e64 v71, v22, v4, s[16:17]
	v_cndmask_b32_e64 v69, v23, v2, s[16:17]
	v_cndmask_b32_e64 v74, v24, v4, s[18:19]
	v_cndmask_b32_e64 v73, v25, v2, s[18:19]
	;; [unrolled: 5-line block ×7, first 2 shown]
	s_waitcnt lgkmcnt(0)
	v_cndmask_b32_e64 v3, v87, v2, s[8:9]
	v_cndmask_b32_e64 v2, v86, v4, s[8:9]
	s_mov_b64 s[10:11], -1
                                        ; kill: def $vgpr1 killed $sgpr0 killed $exec
                                        ; implicit-def: $sgpr6
.LBB2022_138:
	v_mov_b32_e32 v124, s68
	v_mov_b32_e32 v125, s68
	;; [unrolled: 1-line block ×3, first 2 shown]
	s_and_saveexec_b64 s[4:5], s[10:11]
; %bb.139:
	v_cndmask_b32_e64 v123, 0, 1, s[8:9]
	v_mov_b32_e32 v124, v2
	v_mov_b32_e32 v125, v3
; %bb.140:
	s_or_b64 exec, exec, s[4:5]
	v_or_b32_e32 v1, v123, v62
	s_cmp_lg_u32 s55, 0
	v_or_b32_e32 v127, v1, v122
	v_mbcnt_lo_u32_b32 v126, -1, 0
	s_barrier
	s_cbranch_scc0 .LBB2022_205
; %bb.141:
	v_mov_b32_e32 v1, 0
	v_cmp_eq_u16_sdwa s[4:5], v59, v1 src0_sel:BYTE_0 src1_sel:DWORD
	v_cmp_eq_u16_sdwa s[6:7], v63, v1 src0_sel:BYTE_0 src1_sel:DWORD
	v_cmp_eq_u16_sdwa s[8:9], v66, v1 src0_sel:BYTE_0 src1_sel:DWORD
	v_cndmask_b32_e64 v2, 0, v42, s[4:5]
	v_add_u32_e32 v2, v2, v52
	v_cndmask_b32_e64 v3, 0, v43, s[4:5]
	v_add_u32_e32 v3, v3, v51
	;; [unrolled: 2-line block ×5, first 2 shown]
	v_cndmask_b32_e64 v3, 0, v3, s[8:9]
	v_cmp_eq_u16_sdwa s[10:11], v72, v1 src0_sel:BYTE_0 src1_sel:DWORD
	v_add_u32_e32 v3, v3, v55
	v_cmp_eq_u16_sdwa s[12:13], v75, v1 src0_sel:BYTE_0 src1_sel:DWORD
	v_cndmask_b32_e64 v2, 0, v2, s[10:11]
	v_add_u32_e32 v2, v2, v58
	v_cndmask_b32_e64 v3, 0, v3, s[10:11]
	v_add_u32_e32 v3, v3, v57
	v_cndmask_b32_e64 v2, 0, v2, s[12:13]
	v_add_u32_e32 v2, v2, v61
	v_cndmask_b32_e64 v3, 0, v3, s[12:13]
	v_cmp_eq_u16_sdwa s[14:15], v95, v1 src0_sel:BYTE_0 src1_sel:DWORD
	v_add_u32_e32 v3, v3, v60
	v_cmp_eq_u16_sdwa s[16:17], v104, v1 src0_sel:BYTE_0 src1_sel:DWORD
	v_cndmask_b32_e64 v2, 0, v2, s[14:15]
	v_add_u32_e32 v2, v2, v65
	v_cndmask_b32_e64 v3, 0, v3, s[14:15]
	v_add_u32_e32 v3, v3, v64
	v_cndmask_b32_e64 v2, 0, v2, s[16:17]
	v_add_u32_e32 v2, v2, v68
	;; [unrolled: 10-line block ×8, first 2 shown]
	v_cndmask_b32_e64 v3, 0, v3, s[42:43]
	v_cmp_eq_u16_sdwa vcc, v123, v1 src0_sel:BYTE_0 src1_sel:DWORD
	v_add_u32_e32 v3, v3, v50
	v_mbcnt_hi_u32_b32 v11, -1, v126
	v_cndmask_b32_e32 v1, 0, v2, vcc
	v_add_u32_e32 v2, v1, v124
	v_cndmask_b32_e32 v1, 0, v3, vcc
	v_or_b32_e32 v3, v127, v121
	v_or_b32_e32 v3, v3, v120
	;; [unrolled: 1-line block ×17, first 2 shown]
	v_and_b32_e32 v3, 1, v3
	v_cmp_eq_u32_e32 vcc, 1, v3
	v_add_u32_e32 v1, v1, v125
	v_and_b32_e32 v4, 15, v11
	v_cndmask_b32_e64 v3, v70, 1, vcc
	v_mov_b32_dpp v5, v2 row_shr:1 row_mask:0xf bank_mask:0xf
	v_mov_b32_dpp v6, v1 row_shr:1 row_mask:0xf bank_mask:0xf
	;; [unrolled: 1-line block ×3, first 2 shown]
	v_cmp_ne_u32_e32 vcc, 0, v4
	s_and_saveexec_b64 s[44:45], vcc
; %bb.142:
	v_cmp_eq_u32_e32 vcc, 0, v3
	v_and_or_b32 v3, v7, 1, v3
	s_nop 0
	v_cndmask_b32_e32 v5, 0, v5, vcc
	v_add_u32_e32 v2, v5, v2
	v_cndmask_b32_e32 v5, 0, v6, vcc
	v_add_u32_e32 v1, v5, v1
; %bb.143:
	s_or_b64 exec, exec, s[44:45]
	v_mov_b32_dpp v6, v2 row_shr:2 row_mask:0xf bank_mask:0xf
	v_mov_b32_dpp v7, v1 row_shr:2 row_mask:0xf bank_mask:0xf
	v_mov_b32_dpp v5, v3 row_shr:2 row_mask:0xf bank_mask:0xf
	v_cmp_lt_u32_e32 vcc, 1, v4
	s_and_saveexec_b64 s[44:45], vcc
; %bb.144:
	v_add_u32_e32 v6, v6, v2
	v_add_u32_e32 v7, v7, v1
	v_cmp_eq_u32_e32 vcc, 0, v3
	v_or_b32_e32 v3, v5, v3
	v_and_b32_e32 v3, 1, v3
	v_cndmask_b32_e32 v2, v2, v6, vcc
	v_cndmask_b32_e32 v1, v1, v7, vcc
; %bb.145:
	s_or_b64 exec, exec, s[44:45]
	v_mov_b32_dpp v6, v2 row_shr:4 row_mask:0xf bank_mask:0xf
	v_mov_b32_dpp v7, v1 row_shr:4 row_mask:0xf bank_mask:0xf
	v_mov_b32_dpp v5, v3 row_shr:4 row_mask:0xf bank_mask:0xf
	v_cmp_lt_u32_e32 vcc, 3, v4
	s_and_saveexec_b64 s[44:45], vcc
; %bb.146:
	v_add_u32_e32 v6, v6, v2
	v_add_u32_e32 v7, v7, v1
	v_cmp_eq_u32_e32 vcc, 0, v3
	v_or_b32_e32 v3, v5, v3
	v_and_b32_e32 v3, 1, v3
	v_cndmask_b32_e32 v2, v2, v6, vcc
	v_cndmask_b32_e32 v1, v1, v7, vcc
	;; [unrolled: 15-line block ×3, first 2 shown]
; %bb.149:
	s_or_b64 exec, exec, s[44:45]
	v_and_b32_e32 v7, 16, v11
	v_mov_b32_dpp v5, v2 row_bcast:15 row_mask:0xf bank_mask:0xf
	v_mov_b32_dpp v6, v1 row_bcast:15 row_mask:0xf bank_mask:0xf
	v_mov_b32_dpp v4, v3 row_bcast:15 row_mask:0xf bank_mask:0xf
	v_cmp_ne_u32_e32 vcc, 0, v7
	s_and_saveexec_b64 s[44:45], vcc
; %bb.150:
	v_add_u32_e32 v5, v5, v2
	v_add_u32_e32 v6, v6, v1
	v_cmp_eq_u32_e32 vcc, 0, v3
	v_or_b32_e32 v3, v4, v3
	v_and_b32_e32 v3, 1, v3
	v_cndmask_b32_e32 v2, v2, v5, vcc
	v_cndmask_b32_e32 v1, v1, v6, vcc
; %bb.151:
	s_or_b64 exec, exec, s[44:45]
	v_mov_b32_dpp v6, v2 row_bcast:31 row_mask:0xf bank_mask:0xf
	v_mov_b32_dpp v7, v1 row_bcast:31 row_mask:0xf bank_mask:0xf
	;; [unrolled: 1-line block ×3, first 2 shown]
	v_cmp_lt_u32_e32 vcc, 31, v11
	v_mov_b32_e32 v4, v3
	s_and_saveexec_b64 s[44:45], vcc
; %bb.152:
	v_add_u32_e32 v4, v6, v2
	v_add_u32_e32 v6, v7, v1
	v_cmp_eq_u32_e32 vcc, 0, v3
	v_or_b32_e32 v3, v5, v3
	s_nop 0
	v_cndmask_b32_e32 v2, v2, v4, vcc
	v_cndmask_b32_e32 v1, v1, v6, vcc
	v_and_b32_e32 v4, 1, v3
	v_and_b32_e32 v3, 1, v3
; %bb.153:
	s_or_b64 exec, exec, s[44:45]
	v_or_b32_e32 v5, 63, v0
	v_lshrrev_b32_e32 v8, 6, v0
	v_cmp_eq_u32_e32 vcc, v5, v0
	s_and_saveexec_b64 s[44:45], vcc
	s_cbranch_execz .LBB2022_155
; %bb.154:
	v_mul_u32_u24_e32 v5, 12, v8
	ds_write2_b32 v5, v2, v1 offset1:1
	ds_write_b8 v5, v4 offset:8
.LBB2022_155:
	s_or_b64 exec, exec, s[44:45]
	v_cmp_gt_u32_e32 vcc, 4, v0
	s_waitcnt lgkmcnt(0)
	s_barrier
	s_and_saveexec_b64 s[44:45], vcc
	s_cbranch_execz .LBB2022_161
; %bb.156:
	v_mul_u32_u24_e32 v6, 12, v0
	ds_read2_b32 v[4:5], v6 offset1:1
	ds_read_b32 v7, v6 offset:8
	v_and_b32_e32 v9, 3, v11
	v_cmp_ne_u32_e32 vcc, 0, v9
	s_waitcnt lgkmcnt(1)
	v_mov_b32_dpp v14, v4 row_shr:1 row_mask:0xf bank_mask:0xf
	v_mov_b32_dpp v12, v5 row_shr:1 row_mask:0xf bank_mask:0xf
	s_waitcnt lgkmcnt(0)
	v_mov_b32_dpp v13, v7 row_shr:1 row_mask:0xf bank_mask:0xf
	v_mov_b32_e32 v10, v7
	s_and_saveexec_b64 s[46:47], vcc
; %bb.157:
	v_mov_b32_e32 v10, 0
	v_cmp_eq_u16_sdwa vcc, v7, v10 src0_sel:BYTE_0 src1_sel:DWORD
	s_movk_i32 s48, 0xff00
	s_nop 0
	v_cndmask_b32_e32 v10, 0, v14, vcc
	v_add_u32_e32 v4, v10, v4
	v_cndmask_b32_e32 v10, 0, v12, vcc
	v_add_u32_e32 v5, v10, v5
	v_or_b32_e32 v10, v13, v7
	v_and_b32_e32 v10, 1, v10
	v_and_or_b32 v7, v7, s48, v10
; %bb.158:
	s_or_b64 exec, exec, s[46:47]
	v_mov_b32_dpp v13, v4 row_shr:2 row_mask:0xf bank_mask:0xf
	v_mov_b32_dpp v14, v5 row_shr:2 row_mask:0xf bank_mask:0xf
	;; [unrolled: 1-line block ×3, first 2 shown]
	v_cmp_lt_u32_e32 vcc, 1, v9
	s_and_saveexec_b64 s[46:47], vcc
; %bb.159:
	v_mov_b32_e32 v7, 0
	v_add_u32_e32 v9, v13, v4
	v_add_u32_e32 v13, v14, v5
	v_cmp_eq_u16_sdwa vcc, v10, v7 src0_sel:BYTE_0 src1_sel:DWORD
	v_or_b32_e32 v7, v12, v10
	v_and_b32_e32 v7, 1, v7
	v_cndmask_b32_e32 v4, v4, v9, vcc
	v_cndmask_b32_e32 v5, v5, v13, vcc
; %bb.160:
	s_or_b64 exec, exec, s[46:47]
	ds_write2_b32 v6, v4, v5 offset1:1
	ds_write_b8 v6, v7 offset:8
.LBB2022_161:
	s_or_b64 exec, exec, s[44:45]
	v_cmp_gt_u32_e32 vcc, 64, v0
	v_cmp_lt_u32_e64 s[44:45], 63, v0
	v_mov_b32_e32 v15, 0
	v_mov_b64_e32 v[6:7], 0
	s_waitcnt lgkmcnt(0)
	s_barrier
	s_and_saveexec_b64 s[46:47], s[44:45]
	s_cbranch_execz .LBB2022_163
; %bb.162:
	v_mad_u32_u24 v4, v8, 12, -12
	ds_read2_b32 v[6:7], v4 offset1:1
	ds_read_u8 v15, v4 offset:8
	v_cmp_eq_u32_e64 s[44:45], 0, v3
	v_and_b32_e32 v3, 1, v3
	s_waitcnt lgkmcnt(1)
	v_cndmask_b32_e64 v4, 0, v6, s[44:45]
	v_cndmask_b32_e64 v5, 0, v7, s[44:45]
	v_add_u32_e32 v2, v4, v2
	s_waitcnt lgkmcnt(0)
	v_and_b32_e32 v4, 1, v15
	v_cmp_eq_u32_e64 s[44:45], 1, v3
	v_add_u32_e32 v1, v5, v1
	s_nop 0
	v_cndmask_b32_e64 v3, v4, 1, s[44:45]
.LBB2022_163:
	s_or_b64 exec, exec, s[46:47]
	v_add_u32_e32 v4, -1, v11
	v_and_b32_e32 v5, 64, v11
	v_cmp_lt_i32_e64 s[44:45], v4, v5
	s_nop 1
	v_cndmask_b32_e64 v4, v4, v11, s[44:45]
	v_lshlrev_b32_e32 v4, 2, v4
	ds_bpermute_b32 v21, v4, v2
	ds_bpermute_b32 v23, v4, v1
	;; [unrolled: 1-line block ×3, first 2 shown]
	v_cmp_eq_u32_e64 s[44:45], 0, v11
	s_and_saveexec_b64 s[48:49], vcc
	s_cbranch_execz .LBB2022_204
; %bb.164:
	v_mov_b32_e32 v13, 0
	ds_read2_b32 v[8:9], v13 offset0:9 offset1:10
	ds_read_b32 v25, v13 offset:44
	s_waitcnt lgkmcnt(1)
	v_readfirstlane_b32 s66, v9
	s_and_saveexec_b64 s[46:47], s[44:45]
	s_cbranch_execz .LBB2022_166
; %bb.165:
	s_add_i32 s56, s55, 64
	s_mov_b32 s57, 0
	s_lshl_b64 s[68:69], s[56:57], 4
	s_add_u32 s68, s52, s68
	s_waitcnt lgkmcnt(0)
	v_and_b32_e32 v3, 0xff00, v25
	s_addc_u32 s69, s53, s69
	v_and_b32_e32 v2, 0xff0000, v25
	v_or_b32_sdwa v3, v3, v25 dst_sel:DWORD dst_unused:UNUSED_PAD src0_sel:DWORD src1_sel:BYTE_0
	s_and_b32 s71, s66, 0xff000000
	s_mov_b32 s70, s57
	s_and_b32 s73, s66, 0xff0000
	s_mov_b32 s72, s57
	v_and_b32_e32 v1, 0xff000000, v25
	v_or_b32_e32 v2, v3, v2
	s_and_b32 s75, s66, 0xff00
	s_mov_b32 s74, s57
	s_and_b32 s67, s66, 0xff
	s_or_b64 s[56:57], s[70:71], s[72:73]
	v_or_b32_e32 v4, v2, v1
	s_or_b64 s[56:57], s[56:57], s[74:75]
	v_mov_b32_e32 v1, s67
	v_or_b32_e32 v2, s56, v8
	v_or_b32_e32 v3, s57, v1
	v_mov_b32_e32 v5, 1
	v_mov_b64_e32 v[16:17], s[68:69]
	;;#ASMSTART
	global_store_dwordx4 v[16:17], v[2:5] off sc1	
s_waitcnt vmcnt(0)
	;;#ASMEND
.LBB2022_166:
	s_or_b64 exec, exec, s[46:47]
	v_xad_u32 v10, v11, -1, s55
	v_add_u32_e32 v12, 64, v10
	v_lshl_add_u64 v[16:17], v[12:13], 4, s[52:53]
	;;#ASMSTART
	global_load_dwordx4 v[2:5], v[16:17] off sc1	
s_waitcnt vmcnt(0)
	;;#ASMEND
	s_nop 0
	v_lshlrev_b64 v[26:27], 24, v[4:5]
	v_lshrrev_b32_e32 v1, 8, v3
	v_or_b32_e32 v14, v1, v26
	v_lshlrev_b64 v[26:27], 16, v[4:5]
	v_or_b32_sdwa v18, v3, v26 dst_sel:DWORD dst_unused:UNUSED_PAD src0_sel:WORD_1 src1_sel:DWORD
	v_lshlrev_b64 v[26:27], 8, v[4:5]
	v_alignbit_b32 v9, v3, v2, 8
	v_alignbit_b32 v22, v3, v2, 16
	;; [unrolled: 1-line block ×3, first 2 shown]
	v_mov_b32_e32 v12, v3
	v_or_b32_sdwa v20, v3, v26 dst_sel:DWORD dst_unused:UNUSED_PAD src0_sel:BYTE_3 src1_sel:DWORD
	v_cmp_eq_u16_sdwa s[56:57], v5, v13 src0_sel:BYTE_0 src1_sel:DWORD
	s_and_saveexec_b64 s[46:47], s[56:57]
	s_cbranch_execz .LBB2022_170
; %bb.167:
	s_mov_b64 s[56:57], 0
	v_mov_b32_e32 v1, 0
.LBB2022_168:                           ; =>This Inner Loop Header: Depth=1
	;;#ASMSTART
	global_load_dwordx4 v[2:5], v[16:17] off sc1	
s_waitcnt vmcnt(0)
	;;#ASMEND
	s_nop 0
	v_cmp_ne_u16_sdwa s[68:69], v5, v1 src0_sel:BYTE_0 src1_sel:DWORD
	s_or_b64 s[56:57], s[68:69], s[56:57]
	s_andn2_b64 exec, exec, s[56:57]
	s_cbranch_execnz .LBB2022_168
; %bb.169:
	s_or_b64 exec, exec, s[56:57]
	v_lshlrev_b64 v[16:17], 24, v[4:5]
	v_lshrrev_b32_e32 v1, 8, v3
	v_or_b32_e32 v14, v1, v16
	v_lshlrev_b64 v[16:17], 16, v[4:5]
	v_or_b32_sdwa v18, v3, v16 dst_sel:DWORD dst_unused:UNUSED_PAD src0_sel:WORD_1 src1_sel:DWORD
	v_lshlrev_b64 v[16:17], 8, v[4:5]
	v_alignbit_b32 v9, v3, v2, 8
	v_alignbit_b32 v22, v3, v2, 16
	;; [unrolled: 1-line block ×3, first 2 shown]
	v_mov_b32_e32 v12, v3
	v_or_b32_sdwa v20, v3, v16 dst_sel:DWORD dst_unused:UNUSED_PAD src0_sel:BYTE_3 src1_sel:DWORD
.LBB2022_170:
	s_or_b64 exec, exec, s[46:47]
	v_lshlrev_b32_e32 v3, 16, v18
	v_lshlrev_b32_e32 v1, 24, v20
	v_and_b32_e32 v3, 0xff0000, v3
	v_or_b32_e32 v1, v3, v1
	v_lshlrev_b32_e32 v3, 8, v14
	v_and_b32_e32 v3, 0xff00, v3
	v_and_b32_e32 v12, 0xff, v12
	v_or3_b32 v1, v1, v3, v12
	v_lshlrev_b32_e32 v3, 16, v22
	s_mov_b32 s46, 0x4020c0c
	v_lshlrev_b32_e32 v9, 8, v9
	v_perm_b32 v3, v19, v3, s46
	s_mov_b32 s46, 0xc0c0500
	v_perm_b32 v2, v9, v2, s46
	v_and_b32_e32 v9, 63, v11
	v_or_b32_e32 v2, v2, v3
	v_mov_b32_e32 v3, 2
	v_cmp_ne_u32_e32 vcc, 63, v9
	v_cmp_eq_u16_sdwa s[46:47], v5, v3 src0_sel:BYTE_0 src1_sel:DWORD
	v_lshlrev_b64 v[12:13], v11, -1
	v_addc_co_u32_e32 v16, vcc, 0, v11, vcc
	v_and_b32_e32 v3, s47, v13
	v_and_b32_e32 v14, 0xff, v4
	v_lshlrev_b32_e32 v17, 2, v16
	v_or_b32_e32 v3, 0x80000000, v3
	ds_bpermute_b32 v19, v17, v2
	ds_bpermute_b32 v18, v17, v1
	;; [unrolled: 1-line block ×3, first 2 shown]
	v_and_b32_e32 v20, s46, v12
	v_ffbl_b32_e32 v3, v3
	v_add_u32_e32 v3, 32, v3
	v_ffbl_b32_e32 v20, v20
	v_min_u32_e32 v3, v20, v3
	v_cmp_lt_u32_e32 vcc, v9, v3
	s_and_saveexec_b64 s[46:47], vcc
	s_cbranch_execz .LBB2022_172
; %bb.171:
	v_mov_b32_e32 v14, 0
	v_cmp_eq_u16_sdwa vcc, v4, v14 src0_sel:BYTE_0 src1_sel:DWORD
	s_waitcnt lgkmcnt(0)
	v_or_b32_e32 v4, v4, v16
	v_and_b32_e32 v4, 1, v4
	v_cndmask_b32_e32 v14, 0, v19, vcc
	v_add_u32_e32 v2, v14, v2
	v_cndmask_b32_e32 v14, 0, v18, vcc
	v_add_u32_e32 v1, v14, v1
	v_and_b32_e32 v14, 0xffff, v4
.LBB2022_172:
	s_or_b64 exec, exec, s[46:47]
	v_cmp_gt_u32_e32 vcc, 62, v9
	v_add_u32_e32 v27, 2, v9
	s_waitcnt lgkmcnt(0)
	v_cndmask_b32_e64 v16, 0, 1, vcc
	v_lshlrev_b32_e32 v16, 1, v16
	v_add_lshl_u32 v26, v16, v11, 2
	ds_bpermute_b32 v18, v26, v2
	ds_bpermute_b32 v19, v26, v1
	ds_bpermute_b32 v16, v26, v14
	v_cmp_le_u32_e32 vcc, v27, v3
	s_and_saveexec_b64 s[46:47], vcc
	s_cbranch_execz .LBB2022_174
; %bb.173:
	v_mov_b32_e32 v14, 0
	v_cmp_eq_u16_sdwa vcc, v4, v14 src0_sel:BYTE_0 src1_sel:DWORD
	s_waitcnt lgkmcnt(0)
	v_or_b32_e32 v4, v16, v4
	v_add_u32_e32 v18, v18, v2
	v_add_u32_e32 v19, v19, v1
	v_and_b32_e32 v14, 1, v4
	v_cndmask_b32_e32 v2, v2, v18, vcc
	v_cndmask_b32_e32 v1, v1, v19, vcc
	v_mov_b32_e32 v4, v14
.LBB2022_174:
	s_or_b64 exec, exec, s[46:47]
	v_cmp_gt_u32_e32 vcc, 60, v9
	v_add_u32_e32 v29, 4, v9
	s_waitcnt lgkmcnt(0)
	v_cndmask_b32_e64 v16, 0, 1, vcc
	v_lshlrev_b32_e32 v16, 2, v16
	v_add_lshl_u32 v28, v16, v11, 2
	ds_bpermute_b32 v18, v28, v2
	ds_bpermute_b32 v19, v28, v1
	ds_bpermute_b32 v16, v28, v14
	v_cmp_le_u32_e32 vcc, v29, v3
	s_and_saveexec_b64 s[46:47], vcc
	s_cbranch_execz .LBB2022_176
; %bb.175:
	v_mov_b32_e32 v14, 0
	v_cmp_eq_u16_sdwa vcc, v4, v14 src0_sel:BYTE_0 src1_sel:DWORD
	s_waitcnt lgkmcnt(0)
	v_or_b32_e32 v4, v16, v4
	v_add_u32_e32 v18, v18, v2
	v_add_u32_e32 v19, v19, v1
	v_and_b32_e32 v14, 1, v4
	v_cndmask_b32_e32 v2, v2, v18, vcc
	v_cndmask_b32_e32 v1, v1, v19, vcc
	v_mov_b32_e32 v4, v14
.LBB2022_176:
	;; [unrolled: 25-line block ×4, first 2 shown]
	s_or_b64 exec, exec, s[46:47]
	v_cmp_gt_u32_e32 vcc, 32, v9
	v_add_u32_e32 v38, 32, v9
	s_waitcnt lgkmcnt(0)
	v_cndmask_b32_e64 v16, 0, 1, vcc
	v_lshlrev_b32_e32 v16, 5, v16
	v_add_lshl_u32 v36, v16, v11, 2
	ds_bpermute_b32 v16, v36, v2
	ds_bpermute_b32 v18, v36, v1
	;; [unrolled: 1-line block ×3, first 2 shown]
	v_cmp_le_u32_e32 vcc, v38, v3
	s_and_saveexec_b64 s[46:47], vcc
	s_cbranch_execz .LBB2022_182
; %bb.181:
	v_mov_b32_e32 v3, 0
	s_waitcnt lgkmcnt(2)
	v_add_u32_e32 v14, v16, v2
	s_waitcnt lgkmcnt(1)
	v_add_u32_e32 v16, v18, v1
	v_cmp_eq_u16_sdwa vcc, v4, v3 src0_sel:BYTE_0 src1_sel:DWORD
	s_waitcnt lgkmcnt(0)
	v_or_b32_e32 v3, v11, v4
	v_cndmask_b32_e32 v2, v2, v14, vcc
	v_cndmask_b32_e32 v1, v1, v16, vcc
	v_and_b32_e32 v14, 1, v3
.LBB2022_182:
	s_or_b64 exec, exec, s[46:47]
	s_movk_i32 s67, 0xff
	s_waitcnt lgkmcnt(0)
	v_mov_b32_e32 v11, 0
	s_mov_b32 s68, 0x4020c0c
	s_mov_b32 s69, 0xc0c0500
	v_mov_b32_e32 v39, 2
	s_branch .LBB2022_184
.LBB2022_183:                           ;   in Loop: Header=BB2022_184 Depth=1
	s_or_b64 exec, exec, s[46:47]
	s_waitcnt lgkmcnt(0)
	ds_bpermute_b32 v16, v36, v2
	ds_bpermute_b32 v18, v36, v1
	;; [unrolled: 1-line block ×3, first 2 shown]
	v_cmp_eq_u16_sdwa vcc, v4, v11 src0_sel:BYTE_0 src1_sel:DWORD
	v_subrev_u32_e32 v10, 64, v10
	s_waitcnt lgkmcnt(2)
	v_add_u32_e32 v16, v16, v2
	s_waitcnt lgkmcnt(1)
	v_add_u32_e32 v18, v18, v1
	v_cndmask_b32_e32 v16, v2, v16, vcc
	v_cndmask_b32_e32 v18, v1, v18, vcc
	s_waitcnt lgkmcnt(0)
	v_and_or_b32 v4, v4, s67, v19
	v_cmp_gt_u32_e32 vcc, v38, v3
	s_nop 1
	v_cndmask_b32_e32 v3, v4, v14, vcc
	v_cndmask_b32_e32 v2, v16, v2, vcc
	;; [unrolled: 1-line block ×3, first 2 shown]
	v_cmp_eq_u16_sdwa vcc, v34, v11 src0_sel:BYTE_0 src1_sel:DWORD
	v_and_b32_e32 v4, 1, v34
	v_and_b32_e32 v3, 1, v3
	v_cndmask_b32_e32 v2, 0, v2, vcc
	v_cndmask_b32_e32 v1, 0, v1, vcc
	v_cmp_eq_u32_e32 vcc, 1, v4
	v_cmp_eq_u32_e64 s[46:47], 1, v3
	s_or_b64 s[46:47], vcc, s[46:47]
	v_add_u32_e32 v2, v2, v37
	v_add_u32_e32 v1, v1, v35
	v_cndmask_b32_e64 v14, 0, 1, s[46:47]
.LBB2022_184:                           ; =>This Loop Header: Depth=1
                                        ;     Child Loop BB2022_187 Depth 2
	v_cmp_ne_u16_sdwa s[46:47], v5, v39 src0_sel:BYTE_0 src1_sel:DWORD
	v_mov_b32_e32 v35, v1
	v_mov_b32_e32 v34, v14
	v_cndmask_b32_e64 v1, 0, 1, s[46:47]
	;;#ASMSTART
	;;#ASMEND
	v_mov_b32_e32 v37, v2
	v_cmp_ne_u32_e32 vcc, 0, v1
	s_cmp_lg_u64 vcc, exec
	s_cbranch_scc1 .LBB2022_199
; %bb.185:                              ;   in Loop: Header=BB2022_184 Depth=1
	v_lshl_add_u64 v[18:19], v[10:11], 4, s[52:53]
	;;#ASMSTART
	global_load_dwordx4 v[2:5], v[18:19] off sc1	
s_waitcnt vmcnt(0)
	;;#ASMEND
	s_nop 0
	v_lshlrev_b64 v[82:83], 24, v[4:5]
	v_lshrrev_b32_e32 v1, 8, v3
	v_or_b32_e32 v16, v1, v82
	v_lshlrev_b64 v[82:83], 16, v[4:5]
	v_or_b32_sdwa v20, v3, v82 dst_sel:DWORD dst_unused:UNUSED_PAD src0_sel:WORD_1 src1_sel:DWORD
	v_lshlrev_b64 v[82:83], 8, v[4:5]
	v_alignbit_b32 v78, v3, v2, 8
	v_alignbit_b32 v79, v3, v2, 16
	;; [unrolled: 1-line block ×3, first 2 shown]
	v_mov_b32_e32 v14, v3
	v_or_b32_sdwa v22, v3, v82 dst_sel:DWORD dst_unused:UNUSED_PAD src0_sel:BYTE_3 src1_sel:DWORD
	v_cmp_eq_u16_sdwa s[56:57], v5, v11 src0_sel:BYTE_0 src1_sel:DWORD
	s_and_saveexec_b64 s[46:47], s[56:57]
	s_cbranch_execz .LBB2022_189
; %bb.186:                              ;   in Loop: Header=BB2022_184 Depth=1
	s_mov_b64 s[56:57], 0
.LBB2022_187:                           ;   Parent Loop BB2022_184 Depth=1
                                        ; =>  This Inner Loop Header: Depth=2
	;;#ASMSTART
	global_load_dwordx4 v[2:5], v[18:19] off sc1	
s_waitcnt vmcnt(0)
	;;#ASMEND
	s_nop 0
	v_cmp_ne_u16_sdwa s[70:71], v5, v11 src0_sel:BYTE_0 src1_sel:DWORD
	s_or_b64 s[56:57], s[70:71], s[56:57]
	s_andn2_b64 exec, exec, s[56:57]
	s_cbranch_execnz .LBB2022_187
; %bb.188:                              ;   in Loop: Header=BB2022_184 Depth=1
	s_or_b64 exec, exec, s[56:57]
	v_lshlrev_b64 v[18:19], 24, v[4:5]
	v_lshrrev_b32_e32 v1, 8, v3
	v_or_b32_e32 v16, v1, v18
	v_lshlrev_b64 v[18:19], 16, v[4:5]
	v_or_b32_sdwa v20, v3, v18 dst_sel:DWORD dst_unused:UNUSED_PAD src0_sel:WORD_1 src1_sel:DWORD
	v_lshlrev_b64 v[18:19], 8, v[4:5]
	v_alignbit_b32 v78, v3, v2, 8
	v_alignbit_b32 v79, v3, v2, 16
	;; [unrolled: 1-line block ×3, first 2 shown]
	v_mov_b32_e32 v14, v3
	v_or_b32_sdwa v22, v3, v18 dst_sel:DWORD dst_unused:UNUSED_PAD src0_sel:BYTE_3 src1_sel:DWORD
.LBB2022_189:                           ;   in Loop: Header=BB2022_184 Depth=1
	s_or_b64 exec, exec, s[46:47]
	v_lshlrev_b32_e32 v3, 16, v20
	v_lshlrev_b32_e32 v1, 24, v22
	v_and_b32_e32 v3, 0xff0000, v3
	v_or_b32_e32 v1, v3, v1
	v_lshlrev_b32_e32 v3, 8, v16
	v_and_b32_e32 v3, 0xff00, v3
	v_and_b32_e32 v14, 0xff, v14
	v_or3_b32 v1, v1, v3, v14
	v_lshlrev_b32_e32 v3, 16, v79
	v_lshlrev_b32_e32 v14, 8, v78
	v_perm_b32 v3, v80, v3, s68
	v_perm_b32 v2, v14, v2, s69
	v_cmp_eq_u16_sdwa s[46:47], v5, v39 src0_sel:BYTE_0 src1_sel:DWORD
	v_or_b32_e32 v2, v2, v3
	v_and_b32_e32 v14, 0xff, v4
	v_and_b32_e32 v3, s47, v13
	v_or_b32_e32 v3, 0x80000000, v3
	ds_bpermute_b32 v19, v17, v2
	ds_bpermute_b32 v18, v17, v1
	;; [unrolled: 1-line block ×3, first 2 shown]
	v_and_b32_e32 v20, s46, v12
	v_ffbl_b32_e32 v3, v3
	v_add_u32_e32 v3, 32, v3
	v_ffbl_b32_e32 v20, v20
	v_min_u32_e32 v3, v20, v3
	v_cmp_lt_u32_e32 vcc, v9, v3
	s_and_saveexec_b64 s[46:47], vcc
	s_cbranch_execz .LBB2022_191
; %bb.190:                              ;   in Loop: Header=BB2022_184 Depth=1
	v_cmp_eq_u16_sdwa vcc, v4, v11 src0_sel:BYTE_0 src1_sel:DWORD
	s_waitcnt lgkmcnt(0)
	v_or_b32_e32 v4, v16, v4
	v_cndmask_b32_e32 v14, 0, v19, vcc
	v_add_u32_e32 v2, v14, v2
	v_cndmask_b32_e32 v14, 0, v18, vcc
	v_add_u32_e32 v1, v14, v1
	v_and_b32_e32 v14, 1, v4
	v_mov_b32_e32 v4, v14
.LBB2022_191:                           ;   in Loop: Header=BB2022_184 Depth=1
	s_or_b64 exec, exec, s[46:47]
	s_waitcnt lgkmcnt(1)
	ds_bpermute_b32 v18, v26, v2
	ds_bpermute_b32 v19, v26, v1
	s_waitcnt lgkmcnt(2)
	ds_bpermute_b32 v16, v26, v14
	v_cmp_le_u32_e32 vcc, v27, v3
	s_and_saveexec_b64 s[46:47], vcc
	s_cbranch_execz .LBB2022_193
; %bb.192:                              ;   in Loop: Header=BB2022_184 Depth=1
	s_waitcnt lgkmcnt(2)
	v_add_u32_e32 v14, v18, v2
	v_cmp_eq_u16_sdwa vcc, v4, v11 src0_sel:BYTE_0 src1_sel:DWORD
	s_waitcnt lgkmcnt(0)
	v_or_b32_e32 v4, v16, v4
	v_add_u32_e32 v18, v19, v1
	v_cndmask_b32_e32 v2, v2, v14, vcc
	v_and_b32_e32 v14, 1, v4
	v_cndmask_b32_e32 v1, v1, v18, vcc
	v_mov_b32_e32 v4, v14
.LBB2022_193:                           ;   in Loop: Header=BB2022_184 Depth=1
	s_or_b64 exec, exec, s[46:47]
	s_waitcnt lgkmcnt(2)
	ds_bpermute_b32 v18, v28, v2
	s_waitcnt lgkmcnt(2)
	ds_bpermute_b32 v19, v28, v1
	s_waitcnt lgkmcnt(2)
	ds_bpermute_b32 v16, v28, v14
	v_cmp_le_u32_e32 vcc, v29, v3
	s_and_saveexec_b64 s[46:47], vcc
	s_cbranch_execz .LBB2022_195
; %bb.194:                              ;   in Loop: Header=BB2022_184 Depth=1
	s_waitcnt lgkmcnt(2)
	v_add_u32_e32 v14, v18, v2
	v_cmp_eq_u16_sdwa vcc, v4, v11 src0_sel:BYTE_0 src1_sel:DWORD
	s_waitcnt lgkmcnt(0)
	v_or_b32_e32 v4, v16, v4
	v_add_u32_e32 v18, v19, v1
	v_cndmask_b32_e32 v2, v2, v14, vcc
	v_and_b32_e32 v14, 1, v4
	v_cndmask_b32_e32 v1, v1, v18, vcc
	v_mov_b32_e32 v4, v14
.LBB2022_195:                           ;   in Loop: Header=BB2022_184 Depth=1
	s_or_b64 exec, exec, s[46:47]
	s_waitcnt lgkmcnt(2)
	ds_bpermute_b32 v18, v30, v2
	s_waitcnt lgkmcnt(2)
	;; [unrolled: 22-line block ×3, first 2 shown]
	ds_bpermute_b32 v19, v32, v1
	s_waitcnt lgkmcnt(2)
	ds_bpermute_b32 v16, v32, v14
	v_cmp_le_u32_e32 vcc, v33, v3
	s_and_saveexec_b64 s[46:47], vcc
	s_cbranch_execz .LBB2022_183
; %bb.198:                              ;   in Loop: Header=BB2022_184 Depth=1
	s_waitcnt lgkmcnt(2)
	v_add_u32_e32 v14, v18, v2
	v_cmp_eq_u16_sdwa vcc, v4, v11 src0_sel:BYTE_0 src1_sel:DWORD
	s_waitcnt lgkmcnt(0)
	v_or_b32_e32 v4, v16, v4
	v_add_u32_e32 v18, v19, v1
	v_cndmask_b32_e32 v2, v2, v14, vcc
	v_and_b32_e32 v14, 1, v4
	v_cndmask_b32_e32 v1, v1, v18, vcc
	v_mov_b32_e32 v4, v14
	s_branch .LBB2022_183
.LBB2022_199:                           ;   in Loop: Header=BB2022_184 Depth=1
                                        ; implicit-def: $vgpr14
                                        ; implicit-def: $vgpr1
                                        ; implicit-def: $vgpr5
                                        ; implicit-def: $vgpr2_vgpr3
	s_cbranch_execz .LBB2022_184
; %bb.200:
	s_and_saveexec_b64 s[46:47], s[44:45]
	s_cbranch_execz .LBB2022_202
; %bb.201:
	v_mov_b32_e32 v1, 0
	v_cmp_eq_u16_sdwa vcc, v25, v1 src0_sel:BYTE_0 src1_sel:DWORD
	s_mov_b32 s57, 0
	v_or_b32_e32 v3, v25, v34
	v_cndmask_b32_e32 v2, 0, v35, vcc
	s_add_i32 s56, s55, 64
	v_add_u32_e32 v2, s66, v2
	v_and_b32_e32 v3, 1, v3
	s_lshl_b64 s[56:57], s[56:57], 4
	v_cndmask_b32_e32 v1, 0, v37, vcc
	s_add_u32 s56, s52, s56
	v_cmp_eq_u32_e32 vcc, 1, v3
	v_and_b32_e32 v3, 0xff000000, v2
	v_and_b32_e32 v5, 0xff0000, v2
	v_add_u32_e32 v1, v1, v8
	s_addc_u32 s57, s53, s57
	v_and_b32_e32 v8, 0xff00, v2
	v_and_b32_e32 v2, 0xff, v2
	v_or_b32_e32 v3, v3, v5
	v_cndmask_b32_e64 v4, 0, 1, vcc
	v_or3_b32 v3, v3, v8, v2
	v_or3_b32 v2, 0, 0, v1
	v_mov_b32_e32 v5, 2
	v_mov_b64_e32 v[8:9], s[56:57]
	;;#ASMSTART
	global_store_dwordx4 v[8:9], v[2:5] off sc1	
s_waitcnt vmcnt(0)
	;;#ASMEND
.LBB2022_202:
	s_or_b64 exec, exec, s[46:47]
	s_and_b64 exec, exec, s[2:3]
	s_cbranch_execz .LBB2022_204
; %bb.203:
	v_mov_b32_e32 v1, 0
	ds_write2_b32 v1, v37, v35 offset0:9 offset1:10
	ds_write_b8 v1, v34 offset:44
.LBB2022_204:
	s_or_b64 exec, exec, s[48:49]
	v_mov_b32_e32 v1, 0
	s_waitcnt lgkmcnt(0)
	s_barrier
	ds_read2_b32 v[2:3], v1 offset0:9 offset1:10
	v_cndmask_b32_e64 v4, v24, v15, s[44:45]
	v_cmp_eq_u32_sdwa vcc, v4, v1 src0_sel:BYTE_0 src1_sel:DWORD
	v_cndmask_b32_e64 v5, v21, v6, s[44:45]
	v_cndmask_b32_e64 v6, v23, v7, s[44:45]
	s_waitcnt lgkmcnt(0)
	v_cndmask_b32_e32 v1, 0, v2, vcc
	v_add_u32_e32 v1, v1, v5
	v_cndmask_b32_e32 v4, 0, v3, vcc
	v_add_u32_e32 v4, v4, v6
	v_cndmask_b32_e64 v12, v1, v2, s[2:3]
	v_cmp_eq_u32_e32 vcc, 0, v70
	v_cndmask_b32_e64 v13, v4, v3, s[2:3]
	s_nop 0
	v_cndmask_b32_e32 v1, 0, v12, vcc
	v_add_u32_e32 v78, v1, v42
	v_cndmask_b32_e32 v1, 0, v13, vcc
	v_add_u32_e32 v79, v1, v43
	v_cndmask_b32_e64 v1, 0, v78, s[4:5]
	v_add_u32_e32 v2, v1, v52
	v_cndmask_b32_e64 v1, 0, v79, s[4:5]
	;; [unrolled: 2-line block ×37, first 2 shown]
	v_cndmask_b32_e64 v128, 0, v101, s[42:43]
	s_branch .LBB2022_237
.LBB2022_205:
                                        ; implicit-def: $vgpr10_vgpr11_vgpr12_vgpr13
                                        ; implicit-def: $vgpr128
                                        ; implicit-def: $vgpr1
                                        ; implicit-def: $vgpr101
                                        ; implicit-def: $vgpr99
                                        ; implicit-def: $vgpr97
                                        ; implicit-def: $vgpr94
                                        ; implicit-def: $vgpr93
                                        ; implicit-def: $vgpr91
                                        ; implicit-def: $vgpr89
                                        ; implicit-def: $vgpr87
                                        ; implicit-def: $vgpr85
                                        ; implicit-def: $vgpr83
                                        ; implicit-def: $vgpr81
                                        ; implicit-def: $vgpr79
                                        ; implicit-def: $vgpr36_vgpr37_vgpr38_vgpr39
                                        ; implicit-def: $vgpr32_vgpr33_vgpr34_vgpr35
                                        ; implicit-def: $vgpr28_vgpr29_vgpr30_vgpr31
                                        ; implicit-def: $vgpr24_vgpr25_vgpr26_vgpr27
                                        ; implicit-def: $vgpr20_vgpr21_vgpr22_vgpr23
                                        ; implicit-def: $vgpr16_vgpr17_vgpr18_vgpr19
                                        ; implicit-def: $vgpr6_vgpr7_vgpr8_vgpr9
                                        ; implicit-def: $vgpr2_vgpr3_vgpr4_vgpr5
                                        ; implicit-def: $vgpr12_vgpr13_vgpr14_vgpr15
	s_cbranch_execz .LBB2022_237
; %bb.206:
	s_cmp_lg_u64 s[64:65], 0
	s_cselect_b32 s5, s59, 0
	s_cselect_b32 s4, s58, 0
	s_cmp_eq_u64 s[4:5], 0
	s_cbranch_scc1 .LBB2022_208
; %bb.207:
	v_mov_b32_e32 v1, 0
	global_load_dwordx2 v[2:3], v1, s[4:5]
	s_waitcnt vmcnt(0)
	v_readfirstlane_b32 s62, v2
	v_readfirstlane_b32 s63, v3
.LBB2022_208:
	v_mov_b32_e32 v1, 0
	v_cmp_eq_u16_sdwa s[6:7], v59, v1 src0_sel:BYTE_0 src1_sel:DWORD
	v_cmp_eq_u16_sdwa s[10:11], v63, v1 src0_sel:BYTE_0 src1_sel:DWORD
	;; [unrolled: 1-line block ×3, first 2 shown]
	v_cndmask_b32_e64 v2, 0, v42, s[6:7]
	v_add_u32_e32 v2, v2, v52
	v_cndmask_b32_e64 v3, 0, v43, s[6:7]
	v_add_u32_e32 v3, v3, v51
	;; [unrolled: 2-line block ×5, first 2 shown]
	v_cndmask_b32_e64 v3, 0, v3, s[14:15]
	v_cmp_eq_u16_sdwa s[18:19], v72, v1 src0_sel:BYTE_0 src1_sel:DWORD
	v_add_u32_e32 v3, v3, v55
	v_cmp_eq_u16_sdwa s[20:21], v75, v1 src0_sel:BYTE_0 src1_sel:DWORD
	v_cndmask_b32_e64 v2, 0, v2, s[18:19]
	v_add_u32_e32 v2, v2, v58
	v_cndmask_b32_e64 v3, 0, v3, s[18:19]
	v_add_u32_e32 v3, v3, v57
	v_cndmask_b32_e64 v2, 0, v2, s[20:21]
	v_add_u32_e32 v2, v2, v61
	v_cndmask_b32_e64 v3, 0, v3, s[20:21]
	v_cmp_eq_u16_sdwa s[22:23], v95, v1 src0_sel:BYTE_0 src1_sel:DWORD
	v_add_u32_e32 v3, v3, v60
	v_cmp_eq_u16_sdwa s[24:25], v104, v1 src0_sel:BYTE_0 src1_sel:DWORD
	v_cndmask_b32_e64 v2, 0, v2, s[22:23]
	v_add_u32_e32 v2, v2, v65
	v_cndmask_b32_e64 v3, 0, v3, s[22:23]
	v_add_u32_e32 v3, v3, v64
	v_cndmask_b32_e64 v2, 0, v2, s[24:25]
	v_add_u32_e32 v2, v2, v68
	;; [unrolled: 10-line block ×7, first 2 shown]
	v_cndmask_b32_e64 v3, 0, v3, s[12:13]
	v_cmp_eq_u16_sdwa s[16:17], v122, v1 src0_sel:BYTE_0 src1_sel:DWORD
	v_add_u32_e32 v3, v3, v109
	v_cmp_eq_u16_sdwa vcc, v62, v1 src0_sel:BYTE_0 src1_sel:DWORD
	v_cndmask_b32_e64 v2, 0, v2, s[16:17]
	v_add_u32_e32 v2, v2, v113
	v_cndmask_b32_e64 v3, 0, v3, s[16:17]
	v_add_u32_e32 v3, v3, v111
	v_cndmask_b32_e32 v2, 0, v2, vcc
	v_add_u32_e32 v2, v2, v105
	v_cndmask_b32_e32 v3, 0, v3, vcc
	v_cmp_eq_u16_sdwa s[42:43], v123, v1 src0_sel:BYTE_0 src1_sel:DWORD
	v_add_u32_e32 v3, v3, v50
	s_nop 0
	v_cndmask_b32_e64 v1, 0, v2, s[42:43]
	v_add_u32_e32 v2, v1, v124
	v_cndmask_b32_e64 v1, 0, v3, s[42:43]
	v_or_b32_e32 v3, v127, v121
	v_or_b32_e32 v3, v3, v120
	;; [unrolled: 1-line block ×17, first 2 shown]
	v_and_b32_e32 v3, 1, v3
	v_cmp_eq_u32_e64 s[42:43], 1, v3
	v_mbcnt_hi_u32_b32 v3, -1, v126
	v_add_u32_e32 v1, v1, v125
	v_cndmask_b32_e64 v7, v70, 1, s[42:43]
	v_and_b32_e32 v4, 15, v3
	v_mov_b32_dpp v5, v2 row_shr:1 row_mask:0xf bank_mask:0xf
	v_mov_b32_dpp v6, v1 row_shr:1 row_mask:0xf bank_mask:0xf
	;; [unrolled: 1-line block ×3, first 2 shown]
	v_cmp_ne_u32_e64 s[42:43], 0, v4
	s_and_saveexec_b64 s[44:45], s[42:43]
; %bb.209:
	v_cmp_eq_u32_e64 s[42:43], 0, v7
	v_and_or_b32 v7, v8, 1, v7
	s_nop 0
	v_cndmask_b32_e64 v5, 0, v5, s[42:43]
	v_add_u32_e32 v2, v5, v2
	v_cndmask_b32_e64 v5, 0, v6, s[42:43]
	v_add_u32_e32 v1, v5, v1
; %bb.210:
	s_or_b64 exec, exec, s[44:45]
	v_mov_b32_dpp v6, v2 row_shr:2 row_mask:0xf bank_mask:0xf
	v_mov_b32_dpp v8, v1 row_shr:2 row_mask:0xf bank_mask:0xf
	v_mov_b32_dpp v5, v7 row_shr:2 row_mask:0xf bank_mask:0xf
	v_cmp_lt_u32_e64 s[42:43], 1, v4
	s_and_saveexec_b64 s[44:45], s[42:43]
; %bb.211:
	v_add_u32_e32 v6, v6, v2
	v_add_u32_e32 v8, v8, v1
	v_cmp_eq_u32_e64 s[42:43], 0, v7
	v_or_b32_e32 v5, v5, v7
	v_and_b32_e32 v7, 1, v5
	v_cndmask_b32_e64 v2, v2, v6, s[42:43]
	v_cndmask_b32_e64 v1, v1, v8, s[42:43]
; %bb.212:
	s_or_b64 exec, exec, s[44:45]
	v_mov_b32_dpp v6, v2 row_shr:4 row_mask:0xf bank_mask:0xf
	v_mov_b32_dpp v8, v1 row_shr:4 row_mask:0xf bank_mask:0xf
	;; [unrolled: 1-line block ×3, first 2 shown]
	v_cmp_lt_u32_e64 s[42:43], 3, v4
	s_and_saveexec_b64 s[44:45], s[42:43]
; %bb.213:
	v_add_u32_e32 v6, v6, v2
	v_add_u32_e32 v8, v8, v1
	v_cmp_eq_u32_e64 s[42:43], 0, v7
	v_or_b32_e32 v5, v5, v7
	v_and_b32_e32 v7, 1, v5
	v_cndmask_b32_e64 v2, v2, v6, s[42:43]
	v_cndmask_b32_e64 v1, v1, v8, s[42:43]
; %bb.214:
	s_or_b64 exec, exec, s[44:45]
	v_mov_b32_dpp v6, v2 row_shr:8 row_mask:0xf bank_mask:0xf
	v_mov_b32_dpp v8, v1 row_shr:8 row_mask:0xf bank_mask:0xf
	;; [unrolled: 1-line block ×3, first 2 shown]
	v_cmp_lt_u32_e64 s[42:43], 7, v4
	s_and_saveexec_b64 s[44:45], s[42:43]
; %bb.215:
	v_add_u32_e32 v4, v6, v2
	v_cmp_eq_u32_e64 s[42:43], 0, v7
	v_add_u32_e32 v6, v8, v1
	s_nop 0
	v_cndmask_b32_e64 v2, v2, v4, s[42:43]
	v_or_b32_e32 v4, v5, v7
	v_cndmask_b32_e64 v1, v1, v6, s[42:43]
	v_and_b32_e32 v7, 1, v4
; %bb.216:
	s_or_b64 exec, exec, s[44:45]
	v_and_b32_e32 v8, 16, v3
	v_mov_b32_dpp v5, v2 row_bcast:15 row_mask:0xf bank_mask:0xf
	v_mov_b32_dpp v6, v1 row_bcast:15 row_mask:0xf bank_mask:0xf
	;; [unrolled: 1-line block ×3, first 2 shown]
	v_cmp_ne_u32_e64 s[42:43], 0, v8
	s_and_saveexec_b64 s[44:45], s[42:43]
; %bb.217:
	v_add_u32_e32 v5, v5, v2
	v_add_u32_e32 v6, v6, v1
	v_cmp_eq_u32_e64 s[42:43], 0, v7
	v_or_b32_e32 v4, v4, v7
	v_and_b32_e32 v7, 1, v4
	v_cndmask_b32_e64 v2, v2, v5, s[42:43]
	v_cndmask_b32_e64 v1, v1, v6, s[42:43]
; %bb.218:
	s_or_b64 exec, exec, s[44:45]
	v_mov_b32_dpp v6, v2 row_bcast:31 row_mask:0xf bank_mask:0xf
	v_mov_b32_dpp v8, v1 row_bcast:31 row_mask:0xf bank_mask:0xf
	;; [unrolled: 1-line block ×3, first 2 shown]
	v_cmp_lt_u32_e64 s[42:43], 31, v3
	v_mov_b32_e32 v4, v7
	s_and_saveexec_b64 s[44:45], s[42:43]
; %bb.219:
	v_add_u32_e32 v4, v6, v2
	v_add_u32_e32 v6, v8, v1
	v_cmp_eq_u32_e64 s[42:43], 0, v7
	v_or_b32_e32 v5, v5, v7
	v_and_b32_e32 v7, 1, v5
	v_cndmask_b32_e64 v2, v2, v4, s[42:43]
	v_cndmask_b32_e64 v1, v1, v6, s[42:43]
	v_and_b32_e32 v4, 1, v5
; %bb.220:
	s_or_b64 exec, exec, s[44:45]
	v_or_b32_e32 v5, 63, v0
	v_lshrrev_b32_e32 v10, 6, v0
	v_cmp_eq_u32_e64 s[42:43], v5, v0
	s_and_saveexec_b64 s[44:45], s[42:43]
	s_cbranch_execz .LBB2022_222
; %bb.221:
	v_mul_u32_u24_e32 v5, 12, v10
	ds_write2_b32 v5, v2, v1 offset1:1
	ds_write_b8 v5, v4 offset:8
.LBB2022_222:
	s_or_b64 exec, exec, s[44:45]
	v_cmp_gt_u32_e64 s[42:43], 4, v0
	s_waitcnt lgkmcnt(0)
	s_barrier
	s_and_saveexec_b64 s[44:45], s[42:43]
	s_cbranch_execz .LBB2022_228
; %bb.223:
	v_mul_u32_u24_e32 v6, 12, v0
	ds_read2_b32 v[4:5], v6 offset1:1
	ds_read_b32 v8, v6 offset:8
	v_and_b32_e32 v9, 3, v3
	v_cmp_ne_u32_e64 s[42:43], 0, v9
	s_waitcnt lgkmcnt(1)
	v_mov_b32_dpp v14, v4 row_shr:1 row_mask:0xf bank_mask:0xf
	v_mov_b32_dpp v12, v5 row_shr:1 row_mask:0xf bank_mask:0xf
	s_waitcnt lgkmcnt(0)
	v_mov_b32_dpp v13, v8 row_shr:1 row_mask:0xf bank_mask:0xf
	v_mov_b32_e32 v11, v8
	s_and_saveexec_b64 s[46:47], s[42:43]
; %bb.224:
	v_mov_b32_e32 v11, 0
	v_cmp_eq_u16_sdwa s[42:43], v8, v11 src0_sel:BYTE_0 src1_sel:DWORD
	s_nop 1
	v_cndmask_b32_e64 v11, 0, v14, s[42:43]
	v_add_u32_e32 v4, v11, v4
	v_cndmask_b32_e64 v11, 0, v12, s[42:43]
	v_add_u32_e32 v5, v11, v5
	v_or_b32_e32 v11, v13, v8
	v_and_b32_e32 v11, 1, v11
	s_movk_i32 s42, 0xff00
	v_and_or_b32 v8, v8, s42, v11
; %bb.225:
	s_or_b64 exec, exec, s[46:47]
	v_mov_b32_dpp v13, v4 row_shr:2 row_mask:0xf bank_mask:0xf
	v_mov_b32_dpp v14, v5 row_shr:2 row_mask:0xf bank_mask:0xf
	;; [unrolled: 1-line block ×3, first 2 shown]
	v_cmp_lt_u32_e64 s[42:43], 1, v9
	s_and_saveexec_b64 s[46:47], s[42:43]
; %bb.226:
	v_mov_b32_e32 v8, 0
	v_add_u32_e32 v9, v13, v4
	v_add_u32_e32 v13, v14, v5
	v_cmp_eq_u16_sdwa s[42:43], v11, v8 src0_sel:BYTE_0 src1_sel:DWORD
	v_or_b32_e32 v8, v12, v11
	v_and_b32_e32 v8, 1, v8
	v_cndmask_b32_e64 v4, v4, v9, s[42:43]
	v_cndmask_b32_e64 v5, v5, v13, s[42:43]
; %bb.227:
	s_or_b64 exec, exec, s[46:47]
	ds_write2_b32 v6, v4, v5 offset1:1
	ds_write_b8 v6, v8 offset:8
.LBB2022_228:
	s_or_b64 exec, exec, s[44:45]
	v_mov_b32_e32 v6, v43
	v_cmp_lt_u32_e64 s[42:43], 63, v0
	v_mov_b32_e32 v8, s62
	v_mov_b32_e32 v9, s63
	s_waitcnt lgkmcnt(0)
	s_barrier
	s_and_saveexec_b64 s[44:45], s[42:43]
	s_cbranch_execz .LBB2022_234
; %bb.229:
	v_mad_u32_u24 v4, v10, 12, -12
	ds_read_u8 v5, v4 offset:8
                                        ; implicit-def: $vgpr9
	s_waitcnt lgkmcnt(0)
	v_cmp_ne_u16_e64 s[42:43], 0, v5
	s_and_saveexec_b64 s[46:47], s[42:43]
	s_xor_b64 s[42:43], exec, s[46:47]
	s_cbranch_execz .LBB2022_231
; %bb.230:
	ds_read2_b32 v[8:9], v4 offset1:1
                                        ; implicit-def: $vgpr4
.LBB2022_231:
	s_andn2_saveexec_b64 s[42:43], s[42:43]
	s_cbranch_execz .LBB2022_233
; %bb.232:
	ds_read2_b32 v[4:5], v4 offset1:1
	s_waitcnt lgkmcnt(0)
	v_add_u32_e32 v8, s62, v4
	v_add_u32_e32 v9, s63, v5
.LBB2022_233:
	s_or_b64 exec, exec, s[42:43]
.LBB2022_234:
	s_or_b64 exec, exec, s[44:45]
	v_cmp_eq_u32_e64 s[42:43], 0, v7
	v_and_b32_e32 v5, 64, v3
	s_mov_b32 s44, 0
	s_waitcnt lgkmcnt(0)
	v_cndmask_b32_e64 v4, 0, v8, s[42:43]
	v_add_u32_e32 v2, v4, v2
	v_cndmask_b32_e64 v4, 0, v9, s[42:43]
	v_add_u32_e32 v1, v4, v1
	v_add_u32_e32 v4, -1, v3
	v_cmp_lt_i32_e64 s[42:43], v4, v5
	s_nop 1
	v_cndmask_b32_e64 v4, v4, v3, s[42:43]
	v_lshlrev_b32_e32 v4, 2, v4
	ds_bpermute_b32 v2, v4, v2
	ds_bpermute_b32 v1, v4, v1
	v_cmp_eq_u32_e64 s[42:43], 0, v3
	v_mov_b32_e32 v4, 0
	s_waitcnt lgkmcnt(1)
	v_cndmask_b32_e64 v12, v2, v8, s[42:43]
	v_mov_b32_e32 v2, s62
	s_waitcnt lgkmcnt(0)
	v_cndmask_b32_e64 v13, v1, v9, s[42:43]
	v_mov_b32_e32 v1, s63
	v_cndmask_b32_e64 v2, v12, v2, s[2:3]
	v_cmp_eq_u32_e64 s[42:43], 0, v70
	v_cndmask_b32_e64 v1, v13, v1, s[2:3]
	s_nop 0
	v_cndmask_b32_e64 v2, 0, v2, s[42:43]
	v_add_u32_e32 v78, v2, v42
	v_cndmask_b32_e64 v1, 0, v1, s[42:43]
	v_add_u32_e32 v79, v1, v6
	;; [unrolled: 2-line block ×26, first 2 shown]
	v_cndmask_b32_e64 v5, 0, v91, s[38:39]
	v_cndmask_b32_e64 v1, 0, v90, s[38:39]
	v_lshl_add_u64 v[92:93], v[4:5], 0, v[44:45]
	v_add_u32_e32 v28, v1, v44
	v_cndmask_b32_e64 v5, 0, v93, s[26:27]
	v_cndmask_b32_e64 v1, 0, v28, s[26:27]
	v_lshl_add_u64 v[96:97], v[4:5], 0, v[46:47]
	v_add_u32_e32 v94, v1, v46
	v_cndmask_b32_e64 v5, 0, v97, s[4:5]
	v_lshl_add_u64 v[32:33], v[4:5], 0, v[48:49]
	v_cndmask_b32_e64 v1, 0, v94, s[4:5]
	v_add_u32_e32 v32, v1, v48
	v_cndmask_b32_e64 v1, 0, v32, s[8:9]
	v_add_u32_e32 v98, v1, v108
	;; [unrolled: 2-line block ×7, first 2 shown]
	s_and_saveexec_b64 s[4:5], s[2:3]
	s_cbranch_execz .LBB2022_236
; %bb.235:
	ds_read_u8 v1, v4 offset:44
	ds_read2_b32 v[4:5], v4 offset0:9 offset1:10
	s_mov_b32 s8, s44
	v_mov_b32_e32 v15, 2
	s_waitcnt lgkmcnt(1)
	v_cmp_eq_u16_e64 s[2:3], 0, v1
	s_and_b64 s[2:3], s[2:3], exec
	s_waitcnt lgkmcnt(0)
	v_readfirstlane_b32 s6, v5
	s_cselect_b32 s3, s63, 0
	s_cselect_b32 s2, s62, 0
	s_add_i32 s10, s3, s6
	v_add_u32_e32 v4, s2, v4
	s_add_u32 s2, s52, 0x400
	s_addc_u32 s3, s53, 0
	s_and_b32 s45, s10, 0xff000000
	s_and_b32 s7, s10, 0xff0000
	s_mov_b32 s6, s44
	s_and_b32 s9, s10, 0xff00
	s_and_b32 s10, s10, 0xff
	s_or_b64 s[6:7], s[44:45], s[6:7]
	v_and_b32_e32 v14, 0xffff, v1
	s_or_b64 s[6:7], s[6:7], s[8:9]
	v_mov_b32_e32 v1, s10
	v_or_b32_e32 v12, s6, v4
	v_or_b32_e32 v13, s7, v1
	v_mov_b64_e32 v[4:5], s[2:3]
	;;#ASMSTART
	global_store_dwordx4 v[4:5], v[12:15] off sc1	
s_waitcnt vmcnt(0)
	;;#ASMEND
	v_mov_b64_e32 v[12:13], s[62:63]
.LBB2022_236:
	s_or_b64 exec, exec, s[4:5]
	v_cndmask_b32_e32 v1, 0, v100, vcc
	v_cndmask_b32_e32 v128, 0, v101, vcc
.LBB2022_237:
	s_add_u32 s2, s50, s60
	s_addc_u32 s3, s51, s61
	v_add_u32_e32 v9, v128, v50
	v_add_u32_e32 v8, v1, v105
	v_lshl_add_u64 v[4:5], s[2:3], 0, v[40:41]
	s_and_b64 vcc, exec, s[0:1]
	s_cbranch_vccz .LBB2022_319
; %bb.238:
	s_add_i32 s33, s33, s54
	v_mul_u32_u24_e32 v1, 21, v0
	v_mov_b64_e32 v[26:27], 0
	v_cmp_gt_u32_e32 vcc, s33, v1
	v_mov_b64_e32 v[18:19], v[26:27]
	v_mov_b64_e32 v[14:15], v[26:27]
	;; [unrolled: 1-line block ×20, first 2 shown]
	s_and_saveexec_b64 s[0:1], vcc
	s_cbranch_execz .LBB2022_278
; %bb.239:
	v_add_u32_e32 v14, 1, v1
	v_mov_b64_e32 v[64:65], 0
	v_cmp_gt_u32_e32 vcc, s33, v14
	v_mov_b64_e32 v[62:63], v[64:65]
	v_mov_b64_e32 v[60:61], v[64:65]
	;; [unrolled: 1-line block ×19, first 2 shown]
	s_and_saveexec_b64 s[2:3], vcc
	s_cbranch_execz .LBB2022_277
; %bb.240:
	v_add_u32_e32 v14, 2, v1
	v_mov_b64_e32 v[62:63], 0
	v_cmp_gt_u32_e32 vcc, s33, v14
	v_mov_b64_e32 v[60:61], v[62:63]
	v_mov_b64_e32 v[58:59], v[62:63]
	;; [unrolled: 1-line block ×18, first 2 shown]
	s_and_saveexec_b64 s[4:5], vcc
	s_cbranch_execz .LBB2022_276
; %bb.241:
	v_add_u32_e32 v14, 3, v1
	v_mov_b64_e32 v[60:61], 0
	v_cmp_gt_u32_e32 vcc, s33, v14
	v_mov_b64_e32 v[58:59], v[60:61]
	v_mov_b64_e32 v[56:57], v[60:61]
	;; [unrolled: 1-line block ×17, first 2 shown]
	s_and_saveexec_b64 s[6:7], vcc
	s_cbranch_execz .LBB2022_275
; %bb.242:
	v_add_u32_e32 v14, 4, v1
	v_mov_b64_e32 v[58:59], 0
	v_cmp_gt_u32_e32 vcc, s33, v14
	v_mov_b64_e32 v[56:57], v[58:59]
	v_mov_b64_e32 v[54:55], v[58:59]
	;; [unrolled: 1-line block ×16, first 2 shown]
	s_and_saveexec_b64 s[8:9], vcc
	s_cbranch_execz .LBB2022_274
; %bb.243:
	v_add_u32_e32 v14, 5, v1
	v_mov_b64_e32 v[56:57], 0
	v_cmp_gt_u32_e32 vcc, s33, v14
	v_mov_b64_e32 v[54:55], v[56:57]
	v_mov_b64_e32 v[52:53], v[56:57]
	;; [unrolled: 1-line block ×15, first 2 shown]
	s_and_saveexec_b64 s[10:11], vcc
	s_cbranch_execz .LBB2022_273
; %bb.244:
	v_add_u32_e32 v14, 6, v1
	v_mov_b64_e32 v[54:55], 0
	v_cmp_gt_u32_e32 vcc, s33, v14
	v_mov_b64_e32 v[52:53], v[54:55]
	v_mov_b64_e32 v[50:51], v[54:55]
	;; [unrolled: 1-line block ×14, first 2 shown]
	s_and_saveexec_b64 s[12:13], vcc
	s_cbranch_execz .LBB2022_272
; %bb.245:
	v_add_u32_e32 v14, 7, v1
	v_mov_b64_e32 v[52:53], 0
	v_cmp_gt_u32_e32 vcc, s33, v14
	v_mov_b64_e32 v[50:51], v[52:53]
	v_mov_b64_e32 v[48:49], v[52:53]
	;; [unrolled: 1-line block ×13, first 2 shown]
	s_and_saveexec_b64 s[14:15], vcc
	s_cbranch_execz .LBB2022_271
; %bb.246:
	v_add_u32_e32 v14, 8, v1
	v_mov_b64_e32 v[50:51], 0
	v_cmp_gt_u32_e32 vcc, s33, v14
	v_mov_b64_e32 v[48:49], v[50:51]
	v_mov_b64_e32 v[46:47], v[50:51]
	;; [unrolled: 1-line block ×12, first 2 shown]
	s_and_saveexec_b64 s[16:17], vcc
	s_cbranch_execz .LBB2022_270
; %bb.247:
	v_add_u32_e32 v14, 9, v1
	v_mov_b64_e32 v[48:49], 0
	v_cmp_gt_u32_e32 vcc, s33, v14
	v_mov_b64_e32 v[46:47], v[48:49]
	v_mov_b64_e32 v[44:45], v[48:49]
	;; [unrolled: 1-line block ×11, first 2 shown]
	s_and_saveexec_b64 s[18:19], vcc
	s_cbranch_execz .LBB2022_269
; %bb.248:
	v_add_u32_e32 v14, 10, v1
	v_mov_b64_e32 v[46:47], 0
	v_cmp_gt_u32_e32 vcc, s33, v14
	v_mov_b64_e32 v[44:45], v[46:47]
	v_mov_b64_e32 v[42:43], v[46:47]
	v_mov_b64_e32 v[40:41], v[46:47]
	v_mov_b64_e32 v[38:39], v[46:47]
	v_mov_b64_e32 v[34:35], v[46:47]
	v_mov_b64_e32 v[30:31], v[46:47]
	v_mov_b64_e32 v[22:23], v[46:47]
	v_mov_b64_e32 v[14:15], v[46:47]
	v_mov_b64_e32 v[18:19], v[46:47]
	v_mov_b64_e32 v[26:27], v[46:47]
	s_and_saveexec_b64 s[20:21], vcc
	s_cbranch_execz .LBB2022_268
; %bb.249:
	v_add_u32_e32 v14, 11, v1
	v_mov_b64_e32 v[44:45], 0
	v_cmp_gt_u32_e32 vcc, s33, v14
	v_mov_b64_e32 v[42:43], v[44:45]
	v_mov_b64_e32 v[40:41], v[44:45]
	;; [unrolled: 1-line block ×9, first 2 shown]
	s_and_saveexec_b64 s[22:23], vcc
	s_cbranch_execz .LBB2022_267
; %bb.250:
	v_add_u32_e32 v14, 12, v1
	v_mov_b64_e32 v[42:43], 0
	v_cmp_gt_u32_e32 vcc, s33, v14
	v_mov_b64_e32 v[40:41], v[42:43]
	v_mov_b64_e32 v[38:39], v[42:43]
	;; [unrolled: 1-line block ×8, first 2 shown]
	s_and_saveexec_b64 s[24:25], vcc
	s_cbranch_execz .LBB2022_266
; %bb.251:
	v_add_u32_e32 v14, 13, v1
	v_mov_b64_e32 v[40:41], 0
	v_cmp_gt_u32_e32 vcc, s33, v14
	v_mov_b64_e32 v[38:39], v[40:41]
	v_mov_b64_e32 v[34:35], v[40:41]
	;; [unrolled: 1-line block ×7, first 2 shown]
	s_and_saveexec_b64 s[26:27], vcc
	s_cbranch_execz .LBB2022_265
; %bb.252:
	v_add_u32_e32 v14, 14, v1
	v_mov_b64_e32 v[38:39], 0
	v_cmp_gt_u32_e32 vcc, s33, v14
	v_mov_b64_e32 v[34:35], v[38:39]
	v_mov_b64_e32 v[30:31], v[38:39]
	;; [unrolled: 1-line block ×6, first 2 shown]
	s_and_saveexec_b64 s[28:29], vcc
	s_cbranch_execz .LBB2022_264
; %bb.253:
	v_add_u32_e32 v14, 15, v1
	v_mov_b64_e32 v[34:35], 0
	v_cmp_gt_u32_e32 vcc, s33, v14
	v_mov_b64_e32 v[30:31], v[34:35]
	v_mov_b64_e32 v[22:23], v[34:35]
	;; [unrolled: 1-line block ×5, first 2 shown]
	s_and_saveexec_b64 s[30:31], vcc
	s_cbranch_execz .LBB2022_263
; %bb.254:
	v_add_u32_e32 v14, 16, v1
	v_mov_b64_e32 v[30:31], 0
	v_cmp_gt_u32_e32 vcc, s33, v14
	v_mov_b64_e32 v[22:23], v[30:31]
	v_mov_b64_e32 v[14:15], v[30:31]
	;; [unrolled: 1-line block ×4, first 2 shown]
	s_and_saveexec_b64 s[34:35], vcc
	s_cbranch_execz .LBB2022_262
; %bb.255:
	v_add_u32_e32 v14, 17, v1
	v_mov_b64_e32 v[22:23], 0
	v_cmp_gt_u32_e32 vcc, s33, v14
	v_mov_b64_e32 v[14:15], v[22:23]
	v_mov_b64_e32 v[18:19], v[22:23]
	;; [unrolled: 1-line block ×3, first 2 shown]
	s_and_saveexec_b64 s[36:37], vcc
	s_cbranch_execz .LBB2022_261
; %bb.256:
	v_add_u32_e32 v14, 18, v1
	v_cmp_gt_u32_e32 vcc, s33, v14
	v_mov_b64_e32 v[14:15], 0
	v_mov_b64_e32 v[18:19], v[14:15]
	;; [unrolled: 1-line block ×3, first 2 shown]
	s_and_saveexec_b64 s[38:39], vcc
	s_cbranch_execz .LBB2022_260
; %bb.257:
	v_add_u32_e32 v14, 19, v1
	v_mov_b64_e32 v[18:19], 0
	v_cmp_gt_u32_e32 vcc, s33, v14
	v_mov_b64_e32 v[26:27], v[18:19]
	s_and_saveexec_b64 s[40:41], vcc
; %bb.258:
	v_add_u32_e32 v14, 20, v1
	v_cmp_gt_u32_e32 vcc, s33, v14
	v_mov_b64_e32 v[18:19], v[100:101]
	s_nop 0
	v_cndmask_b32_e32 v27, 0, v9, vcc
	v_cndmask_b32_e32 v26, 0, v8, vcc
; %bb.259:
	s_or_b64 exec, exec, s[40:41]
	v_mov_b64_e32 v[14:15], v[36:37]
.LBB2022_260:
	s_or_b64 exec, exec, s[38:39]
	v_mov_b64_e32 v[22:23], v[98:99]
.LBB2022_261:
	s_or_b64 exec, exec, s[36:37]
	v_mov_b64_e32 v[30:31], v[32:33]
.LBB2022_262:
	s_or_b64 exec, exec, s[34:35]
	v_mov_b32_e32 v95, v97
	v_mov_b64_e32 v[34:35], v[94:95]
.LBB2022_263:
	s_or_b64 exec, exec, s[30:31]
	v_mov_b32_e32 v29, v93
	v_mov_b64_e32 v[38:39], v[28:29]
.LBB2022_264:
	s_or_b64 exec, exec, s[28:29]
	v_mov_b64_e32 v[40:41], v[90:91]
.LBB2022_265:
	s_or_b64 exec, exec, s[26:27]
	v_mov_b64_e32 v[42:43], v[24:25]
.LBB2022_266:
	s_or_b64 exec, exec, s[24:25]
	v_mov_b64_e32 v[44:45], v[88:89]
.LBB2022_267:
	s_or_b64 exec, exec, s[22:23]
	v_mov_b64_e32 v[46:47], v[20:21]
.LBB2022_268:
	s_or_b64 exec, exec, s[20:21]
	v_mov_b64_e32 v[48:49], v[86:87]
.LBB2022_269:
	s_or_b64 exec, exec, s[18:19]
	v_mov_b64_e32 v[50:51], v[16:17]
.LBB2022_270:
	s_or_b64 exec, exec, s[16:17]
	v_mov_b64_e32 v[52:53], v[84:85]
.LBB2022_271:
	s_or_b64 exec, exec, s[14:15]
	v_mov_b64_e32 v[54:55], v[10:11]
.LBB2022_272:
	s_or_b64 exec, exec, s[12:13]
	v_mov_b64_e32 v[56:57], v[82:83]
.LBB2022_273:
	s_or_b64 exec, exec, s[10:11]
	v_mov_b64_e32 v[58:59], v[6:7]
.LBB2022_274:
	s_or_b64 exec, exec, s[8:9]
	v_mov_b64_e32 v[60:61], v[80:81]
.LBB2022_275:
	s_or_b64 exec, exec, s[6:7]
	v_mov_b64_e32 v[62:63], v[2:3]
.LBB2022_276:
	s_or_b64 exec, exec, s[4:5]
	v_mov_b64_e32 v[64:65], v[78:79]
.LBB2022_277:
	s_or_b64 exec, exec, s[2:3]
	v_mov_b64_e32 v[66:67], v[12:13]
.LBB2022_278:
	s_or_b64 exec, exec, s[0:1]
	v_lshlrev_b32_e32 v1, 3, v1
	s_movk_i32 s0, 0xff60
	s_barrier
	ds_write2_b64 v1, v[66:67], v[64:65] offset1:1
	ds_write2_b64 v1, v[62:63], v[60:61] offset0:2 offset1:3
	ds_write2_b64 v1, v[58:59], v[56:57] offset0:4 offset1:5
	ds_write2_b64 v1, v[54:55], v[52:53] offset0:6 offset1:7
	ds_write2_b64 v1, v[50:51], v[48:49] offset0:8 offset1:9
	ds_write2_b64 v1, v[46:47], v[44:45] offset0:10 offset1:11
	ds_write2_b64 v1, v[42:43], v[40:41] offset0:12 offset1:13
	ds_write2_b64 v1, v[38:39], v[34:35] offset0:14 offset1:15
	ds_write2_b64 v1, v[30:31], v[22:23] offset0:16 offset1:17
	ds_write2_b64 v1, v[14:15], v[18:19] offset0:18 offset1:19
	ds_write_b64 v1, v[26:27] offset:160
	v_mad_i32_i24 v14, v0, s0, v1
	s_waitcnt lgkmcnt(0)
	s_barrier
	ds_read2st64_b64 v[74:77], v14 offset0:4 offset1:8
	ds_read2st64_b64 v[70:73], v14 offset0:12 offset1:16
	;; [unrolled: 1-line block ×10, first 2 shown]
	v_mov_b32_e32 v15, 0
	v_lshlrev_b32_e32 v14, 3, v0
	v_lshl_add_u64 v[18:19], v[4:5], 0, v[14:15]
	v_cmp_gt_u32_e32 vcc, s33, v0
	s_and_saveexec_b64 s[0:1], vcc
	s_cbranch_execz .LBB2022_280
; %bb.279:
	v_mul_i32_i24_e32 v14, 0xffffff60, v0
	v_add_u32_e32 v1, v1, v14
	ds_read_b64 v[22:23], v1
	s_waitcnt lgkmcnt(0)
	flat_store_dwordx2 v[18:19], v[22:23]
.LBB2022_280:
	s_or_b64 exec, exec, s[0:1]
	v_or_b32_e32 v1, 0x100, v0
	v_cmp_gt_u32_e32 vcc, s33, v1
	s_and_saveexec_b64 s[0:1], vcc
	s_cbranch_execz .LBB2022_282
; %bb.281:
	s_waitcnt lgkmcnt(0)
	flat_store_dwordx2 v[18:19], v[74:75] offset:2048
.LBB2022_282:
	s_or_b64 exec, exec, s[0:1]
	v_or_b32_e32 v1, 0x200, v0
	v_cmp_gt_u32_e32 vcc, s33, v1
	s_and_saveexec_b64 s[0:1], vcc
	s_cbranch_execz .LBB2022_284
; %bb.283:
	v_add_co_u32_e32 v22, vcc, 0x1000, v18
	s_nop 1
	v_addc_co_u32_e32 v23, vcc, 0, v19, vcc
	s_waitcnt lgkmcnt(0)
	flat_store_dwordx2 v[22:23], v[76:77]
.LBB2022_284:
	s_or_b64 exec, exec, s[0:1]
	v_or_b32_e32 v1, 0x300, v0
	v_cmp_gt_u32_e32 vcc, s33, v1
	s_and_saveexec_b64 s[0:1], vcc
	s_cbranch_execz .LBB2022_286
; %bb.285:
	v_add_co_u32_e32 v22, vcc, 0x1000, v18
	s_nop 1
	v_addc_co_u32_e32 v23, vcc, 0, v19, vcc
	s_waitcnt lgkmcnt(0)
	flat_store_dwordx2 v[22:23], v[70:71] offset:2048
.LBB2022_286:
	s_or_b64 exec, exec, s[0:1]
	v_or_b32_e32 v1, 0x400, v0
	v_cmp_gt_u32_e32 vcc, s33, v1
	s_and_saveexec_b64 s[0:1], vcc
	s_cbranch_execz .LBB2022_288
; %bb.287:
	v_add_co_u32_e32 v22, vcc, 0x2000, v18
	s_nop 1
	v_addc_co_u32_e32 v23, vcc, 0, v19, vcc
	s_waitcnt lgkmcnt(0)
	flat_store_dwordx2 v[22:23], v[72:73]
.LBB2022_288:
	s_or_b64 exec, exec, s[0:1]
	v_or_b32_e32 v1, 0x500, v0
	v_cmp_gt_u32_e32 vcc, s33, v1
	s_and_saveexec_b64 s[0:1], vcc
	s_cbranch_execz .LBB2022_290
; %bb.289:
	v_add_co_u32_e32 v22, vcc, 0x2000, v18
	s_nop 1
	v_addc_co_u32_e32 v23, vcc, 0, v19, vcc
	s_waitcnt lgkmcnt(0)
	flat_store_dwordx2 v[22:23], v[66:67] offset:2048
.LBB2022_290:
	;; [unrolled: 24-line block ×9, first 2 shown]
	s_or_b64 exec, exec, s[0:1]
	v_or_b32_e32 v14, 0x1400, v0
	v_mov_b32_e32 v1, v15
	v_cmp_gt_u32_e64 s[0:1], s33, v14
	s_branch .LBB2022_321
.LBB2022_319:
	s_mov_b64 s[0:1], 0
                                        ; kill: def $vgpr14_vgpr15 killed $sgpr0_sgpr1 killed $exec
                                        ; implicit-def: $vgpr40_vgpr41
	s_cbranch_execz .LBB2022_321
; %bb.320:
	v_mul_u32_u24_e32 v1, 0xa8, v0
	s_waitcnt lgkmcnt(0)
	s_barrier
	s_movk_i32 s2, 0xa8
	ds_write2_b64 v1, v[12:13], v[78:79] offset1:1
	ds_write2_b64 v1, v[2:3], v[80:81] offset0:2 offset1:3
	ds_write2_b64 v1, v[6:7], v[82:83] offset0:4 offset1:5
	;; [unrolled: 1-line block ×6, first 2 shown]
	v_mov_b32_e32 v29, v93
	v_mov_b32_e32 v95, v97
	v_mul_i32_i24_e32 v2, 0xffffff60, v0
	ds_write2_b64 v1, v[28:29], v[94:95] offset0:14 offset1:15
	ds_write2_b64 v1, v[32:33], v[98:99] offset0:16 offset1:17
	;; [unrolled: 1-line block ×3, first 2 shown]
	ds_write_b64 v1, v[8:9] offset:160
	v_mov_b32_e32 v1, 0
	v_mad_u32_u24 v2, v0, s2, v2
	s_waitcnt lgkmcnt(0)
	s_barrier
	ds_read2st64_b64 v[6:9], v2 offset1:4
	ds_read2st64_b64 v[10:13], v2 offset0:8 offset1:12
	ds_read2st64_b64 v[14:17], v2 offset0:16 offset1:20
	;; [unrolled: 1-line block ×9, first 2 shown]
	ds_read_b64 v[40:41], v2 offset:40960
	v_lshlrev_b32_e32 v2, 3, v0
	v_mov_b32_e32 v3, v1
	v_lshl_add_u64 v[2:3], v[4:5], 0, v[2:3]
	s_movk_i32 s2, 0x1000
	s_waitcnt lgkmcnt(0)
	flat_store_dwordx2 v[2:3], v[6:7]
	flat_store_dwordx2 v[2:3], v[8:9] offset:2048
	v_add_co_u32_e32 v6, vcc, s2, v2
	s_movk_i32 s2, 0x2000
	s_nop 0
	v_addc_co_u32_e32 v7, vcc, 0, v3, vcc
	flat_store_dwordx2 v[6:7], v[10:11]
	flat_store_dwordx2 v[6:7], v[12:13] offset:2048
	v_add_co_u32_e32 v6, vcc, s2, v2
	s_movk_i32 s2, 0x3000
	s_nop 0
	v_addc_co_u32_e32 v7, vcc, 0, v3, vcc
	;; [unrolled: 6-line block ×6, first 2 shown]
	flat_store_dwordx2 v[6:7], v[30:31]
	flat_store_dwordx2 v[6:7], v[32:33] offset:2048
	v_add_co_u32_e32 v6, vcc, s2, v2
	s_or_b64 s[0:1], s[0:1], exec
	s_nop 0
	v_addc_co_u32_e32 v7, vcc, 0, v3, vcc
	flat_store_dwordx2 v[6:7], v[34:35]
	flat_store_dwordx2 v[6:7], v[36:37] offset:2048
	v_add_co_u32_e32 v6, vcc, 0x8000, v2
	s_nop 1
	v_addc_co_u32_e32 v7, vcc, 0, v3, vcc
	v_add_co_u32_e32 v2, vcc, 0x9000, v2
	flat_store_dwordx2 v[6:7], v[42:43]
	flat_store_dwordx2 v[6:7], v[44:45] offset:2048
	v_addc_co_u32_e32 v3, vcc, 0, v3, vcc
	flat_store_dwordx2 v[2:3], v[46:47]
	flat_store_dwordx2 v[2:3], v[48:49] offset:2048
.LBB2022_321:
	s_and_saveexec_b64 s[2:3], s[0:1]
	s_cbranch_execnz .LBB2022_323
; %bb.322:
	s_endpgm
.LBB2022_323:
	v_lshl_add_u64 v[0:1], v[0:1], 3, v[4:5]
	v_add_co_u32_e32 v0, vcc, 0xa000, v0
	s_nop 1
	v_addc_co_u32_e32 v1, vcc, 0, v1, vcc
	s_waitcnt lgkmcnt(0)
	flat_store_dwordx2 v[0:1], v[40:41]
	s_endpgm
	.section	.rodata,"a",@progbits
	.p2align	6, 0x0
	.amdhsa_kernel _ZN7rocprim17ROCPRIM_400000_NS6detail17trampoline_kernelINS0_14default_configENS1_27scan_by_key_config_selectorIj11FixedVectorIiLj2EEEEZZNS1_16scan_by_key_implILNS1_25lookback_scan_determinismE0ELb1ES3_N6thrust23THRUST_200600_302600_NS6detail15normal_iteratorINSB_10device_ptrIjEEEENSD_INSE_IS6_EEEESI_S6_NSB_4plusIvEENSB_8equal_toIvEES6_EE10hipError_tPvRmT2_T3_T4_T5_mT6_T7_P12ihipStream_tbENKUlT_T0_E_clISt17integral_constantIbLb0EES12_IbLb1EEEEDaSY_SZ_EUlSY_E_NS1_11comp_targetILNS1_3genE5ELNS1_11target_archE942ELNS1_3gpuE9ELNS1_3repE0EEENS1_30default_config_static_selectorELNS0_4arch9wavefront6targetE1EEEvT1_
		.amdhsa_group_segment_fixed_size 43008
		.amdhsa_private_segment_fixed_size 0
		.amdhsa_kernarg_size 120
		.amdhsa_user_sgpr_count 2
		.amdhsa_user_sgpr_dispatch_ptr 0
		.amdhsa_user_sgpr_queue_ptr 0
		.amdhsa_user_sgpr_kernarg_segment_ptr 1
		.amdhsa_user_sgpr_dispatch_id 0
		.amdhsa_user_sgpr_kernarg_preload_length 0
		.amdhsa_user_sgpr_kernarg_preload_offset 0
		.amdhsa_user_sgpr_private_segment_size 0
		.amdhsa_uses_dynamic_stack 0
		.amdhsa_enable_private_segment 0
		.amdhsa_system_sgpr_workgroup_id_x 1
		.amdhsa_system_sgpr_workgroup_id_y 0
		.amdhsa_system_sgpr_workgroup_id_z 0
		.amdhsa_system_sgpr_workgroup_info 0
		.amdhsa_system_vgpr_workitem_id 0
		.amdhsa_next_free_vgpr 129
		.amdhsa_next_free_sgpr 76
		.amdhsa_accum_offset 132
		.amdhsa_reserve_vcc 1
		.amdhsa_float_round_mode_32 0
		.amdhsa_float_round_mode_16_64 0
		.amdhsa_float_denorm_mode_32 3
		.amdhsa_float_denorm_mode_16_64 3
		.amdhsa_dx10_clamp 1
		.amdhsa_ieee_mode 1
		.amdhsa_fp16_overflow 0
		.amdhsa_tg_split 0
		.amdhsa_exception_fp_ieee_invalid_op 0
		.amdhsa_exception_fp_denorm_src 0
		.amdhsa_exception_fp_ieee_div_zero 0
		.amdhsa_exception_fp_ieee_overflow 0
		.amdhsa_exception_fp_ieee_underflow 0
		.amdhsa_exception_fp_ieee_inexact 0
		.amdhsa_exception_int_div_zero 0
	.end_amdhsa_kernel
	.section	.text._ZN7rocprim17ROCPRIM_400000_NS6detail17trampoline_kernelINS0_14default_configENS1_27scan_by_key_config_selectorIj11FixedVectorIiLj2EEEEZZNS1_16scan_by_key_implILNS1_25lookback_scan_determinismE0ELb1ES3_N6thrust23THRUST_200600_302600_NS6detail15normal_iteratorINSB_10device_ptrIjEEEENSD_INSE_IS6_EEEESI_S6_NSB_4plusIvEENSB_8equal_toIvEES6_EE10hipError_tPvRmT2_T3_T4_T5_mT6_T7_P12ihipStream_tbENKUlT_T0_E_clISt17integral_constantIbLb0EES12_IbLb1EEEEDaSY_SZ_EUlSY_E_NS1_11comp_targetILNS1_3genE5ELNS1_11target_archE942ELNS1_3gpuE9ELNS1_3repE0EEENS1_30default_config_static_selectorELNS0_4arch9wavefront6targetE1EEEvT1_,"axG",@progbits,_ZN7rocprim17ROCPRIM_400000_NS6detail17trampoline_kernelINS0_14default_configENS1_27scan_by_key_config_selectorIj11FixedVectorIiLj2EEEEZZNS1_16scan_by_key_implILNS1_25lookback_scan_determinismE0ELb1ES3_N6thrust23THRUST_200600_302600_NS6detail15normal_iteratorINSB_10device_ptrIjEEEENSD_INSE_IS6_EEEESI_S6_NSB_4plusIvEENSB_8equal_toIvEES6_EE10hipError_tPvRmT2_T3_T4_T5_mT6_T7_P12ihipStream_tbENKUlT_T0_E_clISt17integral_constantIbLb0EES12_IbLb1EEEEDaSY_SZ_EUlSY_E_NS1_11comp_targetILNS1_3genE5ELNS1_11target_archE942ELNS1_3gpuE9ELNS1_3repE0EEENS1_30default_config_static_selectorELNS0_4arch9wavefront6targetE1EEEvT1_,comdat
.Lfunc_end2022:
	.size	_ZN7rocprim17ROCPRIM_400000_NS6detail17trampoline_kernelINS0_14default_configENS1_27scan_by_key_config_selectorIj11FixedVectorIiLj2EEEEZZNS1_16scan_by_key_implILNS1_25lookback_scan_determinismE0ELb1ES3_N6thrust23THRUST_200600_302600_NS6detail15normal_iteratorINSB_10device_ptrIjEEEENSD_INSE_IS6_EEEESI_S6_NSB_4plusIvEENSB_8equal_toIvEES6_EE10hipError_tPvRmT2_T3_T4_T5_mT6_T7_P12ihipStream_tbENKUlT_T0_E_clISt17integral_constantIbLb0EES12_IbLb1EEEEDaSY_SZ_EUlSY_E_NS1_11comp_targetILNS1_3genE5ELNS1_11target_archE942ELNS1_3gpuE9ELNS1_3repE0EEENS1_30default_config_static_selectorELNS0_4arch9wavefront6targetE1EEEvT1_, .Lfunc_end2022-_ZN7rocprim17ROCPRIM_400000_NS6detail17trampoline_kernelINS0_14default_configENS1_27scan_by_key_config_selectorIj11FixedVectorIiLj2EEEEZZNS1_16scan_by_key_implILNS1_25lookback_scan_determinismE0ELb1ES3_N6thrust23THRUST_200600_302600_NS6detail15normal_iteratorINSB_10device_ptrIjEEEENSD_INSE_IS6_EEEESI_S6_NSB_4plusIvEENSB_8equal_toIvEES6_EE10hipError_tPvRmT2_T3_T4_T5_mT6_T7_P12ihipStream_tbENKUlT_T0_E_clISt17integral_constantIbLb0EES12_IbLb1EEEEDaSY_SZ_EUlSY_E_NS1_11comp_targetILNS1_3genE5ELNS1_11target_archE942ELNS1_3gpuE9ELNS1_3repE0EEENS1_30default_config_static_selectorELNS0_4arch9wavefront6targetE1EEEvT1_
                                        ; -- End function
	.section	.AMDGPU.csdata,"",@progbits
; Kernel info:
; codeLenInByte = 19232
; NumSgprs: 82
; NumVgprs: 129
; NumAgprs: 0
; TotalNumVgprs: 129
; ScratchSize: 0
; MemoryBound: 0
; FloatMode: 240
; IeeeMode: 1
; LDSByteSize: 43008 bytes/workgroup (compile time only)
; SGPRBlocks: 10
; VGPRBlocks: 16
; NumSGPRsForWavesPerEU: 82
; NumVGPRsForWavesPerEU: 129
; AccumOffset: 132
; Occupancy: 1
; WaveLimiterHint : 1
; COMPUTE_PGM_RSRC2:SCRATCH_EN: 0
; COMPUTE_PGM_RSRC2:USER_SGPR: 2
; COMPUTE_PGM_RSRC2:TRAP_HANDLER: 0
; COMPUTE_PGM_RSRC2:TGID_X_EN: 1
; COMPUTE_PGM_RSRC2:TGID_Y_EN: 0
; COMPUTE_PGM_RSRC2:TGID_Z_EN: 0
; COMPUTE_PGM_RSRC2:TIDIG_COMP_CNT: 0
; COMPUTE_PGM_RSRC3_GFX90A:ACCUM_OFFSET: 32
; COMPUTE_PGM_RSRC3_GFX90A:TG_SPLIT: 0
	.section	.text._ZN7rocprim17ROCPRIM_400000_NS6detail17trampoline_kernelINS0_14default_configENS1_27scan_by_key_config_selectorIj11FixedVectorIiLj2EEEEZZNS1_16scan_by_key_implILNS1_25lookback_scan_determinismE0ELb1ES3_N6thrust23THRUST_200600_302600_NS6detail15normal_iteratorINSB_10device_ptrIjEEEENSD_INSE_IS6_EEEESI_S6_NSB_4plusIvEENSB_8equal_toIvEES6_EE10hipError_tPvRmT2_T3_T4_T5_mT6_T7_P12ihipStream_tbENKUlT_T0_E_clISt17integral_constantIbLb0EES12_IbLb1EEEEDaSY_SZ_EUlSY_E_NS1_11comp_targetILNS1_3genE4ELNS1_11target_archE910ELNS1_3gpuE8ELNS1_3repE0EEENS1_30default_config_static_selectorELNS0_4arch9wavefront6targetE1EEEvT1_,"axG",@progbits,_ZN7rocprim17ROCPRIM_400000_NS6detail17trampoline_kernelINS0_14default_configENS1_27scan_by_key_config_selectorIj11FixedVectorIiLj2EEEEZZNS1_16scan_by_key_implILNS1_25lookback_scan_determinismE0ELb1ES3_N6thrust23THRUST_200600_302600_NS6detail15normal_iteratorINSB_10device_ptrIjEEEENSD_INSE_IS6_EEEESI_S6_NSB_4plusIvEENSB_8equal_toIvEES6_EE10hipError_tPvRmT2_T3_T4_T5_mT6_T7_P12ihipStream_tbENKUlT_T0_E_clISt17integral_constantIbLb0EES12_IbLb1EEEEDaSY_SZ_EUlSY_E_NS1_11comp_targetILNS1_3genE4ELNS1_11target_archE910ELNS1_3gpuE8ELNS1_3repE0EEENS1_30default_config_static_selectorELNS0_4arch9wavefront6targetE1EEEvT1_,comdat
	.protected	_ZN7rocprim17ROCPRIM_400000_NS6detail17trampoline_kernelINS0_14default_configENS1_27scan_by_key_config_selectorIj11FixedVectorIiLj2EEEEZZNS1_16scan_by_key_implILNS1_25lookback_scan_determinismE0ELb1ES3_N6thrust23THRUST_200600_302600_NS6detail15normal_iteratorINSB_10device_ptrIjEEEENSD_INSE_IS6_EEEESI_S6_NSB_4plusIvEENSB_8equal_toIvEES6_EE10hipError_tPvRmT2_T3_T4_T5_mT6_T7_P12ihipStream_tbENKUlT_T0_E_clISt17integral_constantIbLb0EES12_IbLb1EEEEDaSY_SZ_EUlSY_E_NS1_11comp_targetILNS1_3genE4ELNS1_11target_archE910ELNS1_3gpuE8ELNS1_3repE0EEENS1_30default_config_static_selectorELNS0_4arch9wavefront6targetE1EEEvT1_ ; -- Begin function _ZN7rocprim17ROCPRIM_400000_NS6detail17trampoline_kernelINS0_14default_configENS1_27scan_by_key_config_selectorIj11FixedVectorIiLj2EEEEZZNS1_16scan_by_key_implILNS1_25lookback_scan_determinismE0ELb1ES3_N6thrust23THRUST_200600_302600_NS6detail15normal_iteratorINSB_10device_ptrIjEEEENSD_INSE_IS6_EEEESI_S6_NSB_4plusIvEENSB_8equal_toIvEES6_EE10hipError_tPvRmT2_T3_T4_T5_mT6_T7_P12ihipStream_tbENKUlT_T0_E_clISt17integral_constantIbLb0EES12_IbLb1EEEEDaSY_SZ_EUlSY_E_NS1_11comp_targetILNS1_3genE4ELNS1_11target_archE910ELNS1_3gpuE8ELNS1_3repE0EEENS1_30default_config_static_selectorELNS0_4arch9wavefront6targetE1EEEvT1_
	.globl	_ZN7rocprim17ROCPRIM_400000_NS6detail17trampoline_kernelINS0_14default_configENS1_27scan_by_key_config_selectorIj11FixedVectorIiLj2EEEEZZNS1_16scan_by_key_implILNS1_25lookback_scan_determinismE0ELb1ES3_N6thrust23THRUST_200600_302600_NS6detail15normal_iteratorINSB_10device_ptrIjEEEENSD_INSE_IS6_EEEESI_S6_NSB_4plusIvEENSB_8equal_toIvEES6_EE10hipError_tPvRmT2_T3_T4_T5_mT6_T7_P12ihipStream_tbENKUlT_T0_E_clISt17integral_constantIbLb0EES12_IbLb1EEEEDaSY_SZ_EUlSY_E_NS1_11comp_targetILNS1_3genE4ELNS1_11target_archE910ELNS1_3gpuE8ELNS1_3repE0EEENS1_30default_config_static_selectorELNS0_4arch9wavefront6targetE1EEEvT1_
	.p2align	8
	.type	_ZN7rocprim17ROCPRIM_400000_NS6detail17trampoline_kernelINS0_14default_configENS1_27scan_by_key_config_selectorIj11FixedVectorIiLj2EEEEZZNS1_16scan_by_key_implILNS1_25lookback_scan_determinismE0ELb1ES3_N6thrust23THRUST_200600_302600_NS6detail15normal_iteratorINSB_10device_ptrIjEEEENSD_INSE_IS6_EEEESI_S6_NSB_4plusIvEENSB_8equal_toIvEES6_EE10hipError_tPvRmT2_T3_T4_T5_mT6_T7_P12ihipStream_tbENKUlT_T0_E_clISt17integral_constantIbLb0EES12_IbLb1EEEEDaSY_SZ_EUlSY_E_NS1_11comp_targetILNS1_3genE4ELNS1_11target_archE910ELNS1_3gpuE8ELNS1_3repE0EEENS1_30default_config_static_selectorELNS0_4arch9wavefront6targetE1EEEvT1_,@function
_ZN7rocprim17ROCPRIM_400000_NS6detail17trampoline_kernelINS0_14default_configENS1_27scan_by_key_config_selectorIj11FixedVectorIiLj2EEEEZZNS1_16scan_by_key_implILNS1_25lookback_scan_determinismE0ELb1ES3_N6thrust23THRUST_200600_302600_NS6detail15normal_iteratorINSB_10device_ptrIjEEEENSD_INSE_IS6_EEEESI_S6_NSB_4plusIvEENSB_8equal_toIvEES6_EE10hipError_tPvRmT2_T3_T4_T5_mT6_T7_P12ihipStream_tbENKUlT_T0_E_clISt17integral_constantIbLb0EES12_IbLb1EEEEDaSY_SZ_EUlSY_E_NS1_11comp_targetILNS1_3genE4ELNS1_11target_archE910ELNS1_3gpuE8ELNS1_3repE0EEENS1_30default_config_static_selectorELNS0_4arch9wavefront6targetE1EEEvT1_: ; @_ZN7rocprim17ROCPRIM_400000_NS6detail17trampoline_kernelINS0_14default_configENS1_27scan_by_key_config_selectorIj11FixedVectorIiLj2EEEEZZNS1_16scan_by_key_implILNS1_25lookback_scan_determinismE0ELb1ES3_N6thrust23THRUST_200600_302600_NS6detail15normal_iteratorINSB_10device_ptrIjEEEENSD_INSE_IS6_EEEESI_S6_NSB_4plusIvEENSB_8equal_toIvEES6_EE10hipError_tPvRmT2_T3_T4_T5_mT6_T7_P12ihipStream_tbENKUlT_T0_E_clISt17integral_constantIbLb0EES12_IbLb1EEEEDaSY_SZ_EUlSY_E_NS1_11comp_targetILNS1_3genE4ELNS1_11target_archE910ELNS1_3gpuE8ELNS1_3repE0EEENS1_30default_config_static_selectorELNS0_4arch9wavefront6targetE1EEEvT1_
; %bb.0:
	.section	.rodata,"a",@progbits
	.p2align	6, 0x0
	.amdhsa_kernel _ZN7rocprim17ROCPRIM_400000_NS6detail17trampoline_kernelINS0_14default_configENS1_27scan_by_key_config_selectorIj11FixedVectorIiLj2EEEEZZNS1_16scan_by_key_implILNS1_25lookback_scan_determinismE0ELb1ES3_N6thrust23THRUST_200600_302600_NS6detail15normal_iteratorINSB_10device_ptrIjEEEENSD_INSE_IS6_EEEESI_S6_NSB_4plusIvEENSB_8equal_toIvEES6_EE10hipError_tPvRmT2_T3_T4_T5_mT6_T7_P12ihipStream_tbENKUlT_T0_E_clISt17integral_constantIbLb0EES12_IbLb1EEEEDaSY_SZ_EUlSY_E_NS1_11comp_targetILNS1_3genE4ELNS1_11target_archE910ELNS1_3gpuE8ELNS1_3repE0EEENS1_30default_config_static_selectorELNS0_4arch9wavefront6targetE1EEEvT1_
		.amdhsa_group_segment_fixed_size 0
		.amdhsa_private_segment_fixed_size 0
		.amdhsa_kernarg_size 120
		.amdhsa_user_sgpr_count 2
		.amdhsa_user_sgpr_dispatch_ptr 0
		.amdhsa_user_sgpr_queue_ptr 0
		.amdhsa_user_sgpr_kernarg_segment_ptr 1
		.amdhsa_user_sgpr_dispatch_id 0
		.amdhsa_user_sgpr_kernarg_preload_length 0
		.amdhsa_user_sgpr_kernarg_preload_offset 0
		.amdhsa_user_sgpr_private_segment_size 0
		.amdhsa_uses_dynamic_stack 0
		.amdhsa_enable_private_segment 0
		.amdhsa_system_sgpr_workgroup_id_x 1
		.amdhsa_system_sgpr_workgroup_id_y 0
		.amdhsa_system_sgpr_workgroup_id_z 0
		.amdhsa_system_sgpr_workgroup_info 0
		.amdhsa_system_vgpr_workitem_id 0
		.amdhsa_next_free_vgpr 1
		.amdhsa_next_free_sgpr 0
		.amdhsa_accum_offset 4
		.amdhsa_reserve_vcc 0
		.amdhsa_float_round_mode_32 0
		.amdhsa_float_round_mode_16_64 0
		.amdhsa_float_denorm_mode_32 3
		.amdhsa_float_denorm_mode_16_64 3
		.amdhsa_dx10_clamp 1
		.amdhsa_ieee_mode 1
		.amdhsa_fp16_overflow 0
		.amdhsa_tg_split 0
		.amdhsa_exception_fp_ieee_invalid_op 0
		.amdhsa_exception_fp_denorm_src 0
		.amdhsa_exception_fp_ieee_div_zero 0
		.amdhsa_exception_fp_ieee_overflow 0
		.amdhsa_exception_fp_ieee_underflow 0
		.amdhsa_exception_fp_ieee_inexact 0
		.amdhsa_exception_int_div_zero 0
	.end_amdhsa_kernel
	.section	.text._ZN7rocprim17ROCPRIM_400000_NS6detail17trampoline_kernelINS0_14default_configENS1_27scan_by_key_config_selectorIj11FixedVectorIiLj2EEEEZZNS1_16scan_by_key_implILNS1_25lookback_scan_determinismE0ELb1ES3_N6thrust23THRUST_200600_302600_NS6detail15normal_iteratorINSB_10device_ptrIjEEEENSD_INSE_IS6_EEEESI_S6_NSB_4plusIvEENSB_8equal_toIvEES6_EE10hipError_tPvRmT2_T3_T4_T5_mT6_T7_P12ihipStream_tbENKUlT_T0_E_clISt17integral_constantIbLb0EES12_IbLb1EEEEDaSY_SZ_EUlSY_E_NS1_11comp_targetILNS1_3genE4ELNS1_11target_archE910ELNS1_3gpuE8ELNS1_3repE0EEENS1_30default_config_static_selectorELNS0_4arch9wavefront6targetE1EEEvT1_,"axG",@progbits,_ZN7rocprim17ROCPRIM_400000_NS6detail17trampoline_kernelINS0_14default_configENS1_27scan_by_key_config_selectorIj11FixedVectorIiLj2EEEEZZNS1_16scan_by_key_implILNS1_25lookback_scan_determinismE0ELb1ES3_N6thrust23THRUST_200600_302600_NS6detail15normal_iteratorINSB_10device_ptrIjEEEENSD_INSE_IS6_EEEESI_S6_NSB_4plusIvEENSB_8equal_toIvEES6_EE10hipError_tPvRmT2_T3_T4_T5_mT6_T7_P12ihipStream_tbENKUlT_T0_E_clISt17integral_constantIbLb0EES12_IbLb1EEEEDaSY_SZ_EUlSY_E_NS1_11comp_targetILNS1_3genE4ELNS1_11target_archE910ELNS1_3gpuE8ELNS1_3repE0EEENS1_30default_config_static_selectorELNS0_4arch9wavefront6targetE1EEEvT1_,comdat
.Lfunc_end2023:
	.size	_ZN7rocprim17ROCPRIM_400000_NS6detail17trampoline_kernelINS0_14default_configENS1_27scan_by_key_config_selectorIj11FixedVectorIiLj2EEEEZZNS1_16scan_by_key_implILNS1_25lookback_scan_determinismE0ELb1ES3_N6thrust23THRUST_200600_302600_NS6detail15normal_iteratorINSB_10device_ptrIjEEEENSD_INSE_IS6_EEEESI_S6_NSB_4plusIvEENSB_8equal_toIvEES6_EE10hipError_tPvRmT2_T3_T4_T5_mT6_T7_P12ihipStream_tbENKUlT_T0_E_clISt17integral_constantIbLb0EES12_IbLb1EEEEDaSY_SZ_EUlSY_E_NS1_11comp_targetILNS1_3genE4ELNS1_11target_archE910ELNS1_3gpuE8ELNS1_3repE0EEENS1_30default_config_static_selectorELNS0_4arch9wavefront6targetE1EEEvT1_, .Lfunc_end2023-_ZN7rocprim17ROCPRIM_400000_NS6detail17trampoline_kernelINS0_14default_configENS1_27scan_by_key_config_selectorIj11FixedVectorIiLj2EEEEZZNS1_16scan_by_key_implILNS1_25lookback_scan_determinismE0ELb1ES3_N6thrust23THRUST_200600_302600_NS6detail15normal_iteratorINSB_10device_ptrIjEEEENSD_INSE_IS6_EEEESI_S6_NSB_4plusIvEENSB_8equal_toIvEES6_EE10hipError_tPvRmT2_T3_T4_T5_mT6_T7_P12ihipStream_tbENKUlT_T0_E_clISt17integral_constantIbLb0EES12_IbLb1EEEEDaSY_SZ_EUlSY_E_NS1_11comp_targetILNS1_3genE4ELNS1_11target_archE910ELNS1_3gpuE8ELNS1_3repE0EEENS1_30default_config_static_selectorELNS0_4arch9wavefront6targetE1EEEvT1_
                                        ; -- End function
	.section	.AMDGPU.csdata,"",@progbits
; Kernel info:
; codeLenInByte = 0
; NumSgprs: 6
; NumVgprs: 0
; NumAgprs: 0
; TotalNumVgprs: 0
; ScratchSize: 0
; MemoryBound: 0
; FloatMode: 240
; IeeeMode: 1
; LDSByteSize: 0 bytes/workgroup (compile time only)
; SGPRBlocks: 0
; VGPRBlocks: 0
; NumSGPRsForWavesPerEU: 6
; NumVGPRsForWavesPerEU: 1
; AccumOffset: 4
; Occupancy: 8
; WaveLimiterHint : 0
; COMPUTE_PGM_RSRC2:SCRATCH_EN: 0
; COMPUTE_PGM_RSRC2:USER_SGPR: 2
; COMPUTE_PGM_RSRC2:TRAP_HANDLER: 0
; COMPUTE_PGM_RSRC2:TGID_X_EN: 1
; COMPUTE_PGM_RSRC2:TGID_Y_EN: 0
; COMPUTE_PGM_RSRC2:TGID_Z_EN: 0
; COMPUTE_PGM_RSRC2:TIDIG_COMP_CNT: 0
; COMPUTE_PGM_RSRC3_GFX90A:ACCUM_OFFSET: 0
; COMPUTE_PGM_RSRC3_GFX90A:TG_SPLIT: 0
	.section	.text._ZN7rocprim17ROCPRIM_400000_NS6detail17trampoline_kernelINS0_14default_configENS1_27scan_by_key_config_selectorIj11FixedVectorIiLj2EEEEZZNS1_16scan_by_key_implILNS1_25lookback_scan_determinismE0ELb1ES3_N6thrust23THRUST_200600_302600_NS6detail15normal_iteratorINSB_10device_ptrIjEEEENSD_INSE_IS6_EEEESI_S6_NSB_4plusIvEENSB_8equal_toIvEES6_EE10hipError_tPvRmT2_T3_T4_T5_mT6_T7_P12ihipStream_tbENKUlT_T0_E_clISt17integral_constantIbLb0EES12_IbLb1EEEEDaSY_SZ_EUlSY_E_NS1_11comp_targetILNS1_3genE3ELNS1_11target_archE908ELNS1_3gpuE7ELNS1_3repE0EEENS1_30default_config_static_selectorELNS0_4arch9wavefront6targetE1EEEvT1_,"axG",@progbits,_ZN7rocprim17ROCPRIM_400000_NS6detail17trampoline_kernelINS0_14default_configENS1_27scan_by_key_config_selectorIj11FixedVectorIiLj2EEEEZZNS1_16scan_by_key_implILNS1_25lookback_scan_determinismE0ELb1ES3_N6thrust23THRUST_200600_302600_NS6detail15normal_iteratorINSB_10device_ptrIjEEEENSD_INSE_IS6_EEEESI_S6_NSB_4plusIvEENSB_8equal_toIvEES6_EE10hipError_tPvRmT2_T3_T4_T5_mT6_T7_P12ihipStream_tbENKUlT_T0_E_clISt17integral_constantIbLb0EES12_IbLb1EEEEDaSY_SZ_EUlSY_E_NS1_11comp_targetILNS1_3genE3ELNS1_11target_archE908ELNS1_3gpuE7ELNS1_3repE0EEENS1_30default_config_static_selectorELNS0_4arch9wavefront6targetE1EEEvT1_,comdat
	.protected	_ZN7rocprim17ROCPRIM_400000_NS6detail17trampoline_kernelINS0_14default_configENS1_27scan_by_key_config_selectorIj11FixedVectorIiLj2EEEEZZNS1_16scan_by_key_implILNS1_25lookback_scan_determinismE0ELb1ES3_N6thrust23THRUST_200600_302600_NS6detail15normal_iteratorINSB_10device_ptrIjEEEENSD_INSE_IS6_EEEESI_S6_NSB_4plusIvEENSB_8equal_toIvEES6_EE10hipError_tPvRmT2_T3_T4_T5_mT6_T7_P12ihipStream_tbENKUlT_T0_E_clISt17integral_constantIbLb0EES12_IbLb1EEEEDaSY_SZ_EUlSY_E_NS1_11comp_targetILNS1_3genE3ELNS1_11target_archE908ELNS1_3gpuE7ELNS1_3repE0EEENS1_30default_config_static_selectorELNS0_4arch9wavefront6targetE1EEEvT1_ ; -- Begin function _ZN7rocprim17ROCPRIM_400000_NS6detail17trampoline_kernelINS0_14default_configENS1_27scan_by_key_config_selectorIj11FixedVectorIiLj2EEEEZZNS1_16scan_by_key_implILNS1_25lookback_scan_determinismE0ELb1ES3_N6thrust23THRUST_200600_302600_NS6detail15normal_iteratorINSB_10device_ptrIjEEEENSD_INSE_IS6_EEEESI_S6_NSB_4plusIvEENSB_8equal_toIvEES6_EE10hipError_tPvRmT2_T3_T4_T5_mT6_T7_P12ihipStream_tbENKUlT_T0_E_clISt17integral_constantIbLb0EES12_IbLb1EEEEDaSY_SZ_EUlSY_E_NS1_11comp_targetILNS1_3genE3ELNS1_11target_archE908ELNS1_3gpuE7ELNS1_3repE0EEENS1_30default_config_static_selectorELNS0_4arch9wavefront6targetE1EEEvT1_
	.globl	_ZN7rocprim17ROCPRIM_400000_NS6detail17trampoline_kernelINS0_14default_configENS1_27scan_by_key_config_selectorIj11FixedVectorIiLj2EEEEZZNS1_16scan_by_key_implILNS1_25lookback_scan_determinismE0ELb1ES3_N6thrust23THRUST_200600_302600_NS6detail15normal_iteratorINSB_10device_ptrIjEEEENSD_INSE_IS6_EEEESI_S6_NSB_4plusIvEENSB_8equal_toIvEES6_EE10hipError_tPvRmT2_T3_T4_T5_mT6_T7_P12ihipStream_tbENKUlT_T0_E_clISt17integral_constantIbLb0EES12_IbLb1EEEEDaSY_SZ_EUlSY_E_NS1_11comp_targetILNS1_3genE3ELNS1_11target_archE908ELNS1_3gpuE7ELNS1_3repE0EEENS1_30default_config_static_selectorELNS0_4arch9wavefront6targetE1EEEvT1_
	.p2align	8
	.type	_ZN7rocprim17ROCPRIM_400000_NS6detail17trampoline_kernelINS0_14default_configENS1_27scan_by_key_config_selectorIj11FixedVectorIiLj2EEEEZZNS1_16scan_by_key_implILNS1_25lookback_scan_determinismE0ELb1ES3_N6thrust23THRUST_200600_302600_NS6detail15normal_iteratorINSB_10device_ptrIjEEEENSD_INSE_IS6_EEEESI_S6_NSB_4plusIvEENSB_8equal_toIvEES6_EE10hipError_tPvRmT2_T3_T4_T5_mT6_T7_P12ihipStream_tbENKUlT_T0_E_clISt17integral_constantIbLb0EES12_IbLb1EEEEDaSY_SZ_EUlSY_E_NS1_11comp_targetILNS1_3genE3ELNS1_11target_archE908ELNS1_3gpuE7ELNS1_3repE0EEENS1_30default_config_static_selectorELNS0_4arch9wavefront6targetE1EEEvT1_,@function
_ZN7rocprim17ROCPRIM_400000_NS6detail17trampoline_kernelINS0_14default_configENS1_27scan_by_key_config_selectorIj11FixedVectorIiLj2EEEEZZNS1_16scan_by_key_implILNS1_25lookback_scan_determinismE0ELb1ES3_N6thrust23THRUST_200600_302600_NS6detail15normal_iteratorINSB_10device_ptrIjEEEENSD_INSE_IS6_EEEESI_S6_NSB_4plusIvEENSB_8equal_toIvEES6_EE10hipError_tPvRmT2_T3_T4_T5_mT6_T7_P12ihipStream_tbENKUlT_T0_E_clISt17integral_constantIbLb0EES12_IbLb1EEEEDaSY_SZ_EUlSY_E_NS1_11comp_targetILNS1_3genE3ELNS1_11target_archE908ELNS1_3gpuE7ELNS1_3repE0EEENS1_30default_config_static_selectorELNS0_4arch9wavefront6targetE1EEEvT1_: ; @_ZN7rocprim17ROCPRIM_400000_NS6detail17trampoline_kernelINS0_14default_configENS1_27scan_by_key_config_selectorIj11FixedVectorIiLj2EEEEZZNS1_16scan_by_key_implILNS1_25lookback_scan_determinismE0ELb1ES3_N6thrust23THRUST_200600_302600_NS6detail15normal_iteratorINSB_10device_ptrIjEEEENSD_INSE_IS6_EEEESI_S6_NSB_4plusIvEENSB_8equal_toIvEES6_EE10hipError_tPvRmT2_T3_T4_T5_mT6_T7_P12ihipStream_tbENKUlT_T0_E_clISt17integral_constantIbLb0EES12_IbLb1EEEEDaSY_SZ_EUlSY_E_NS1_11comp_targetILNS1_3genE3ELNS1_11target_archE908ELNS1_3gpuE7ELNS1_3repE0EEENS1_30default_config_static_selectorELNS0_4arch9wavefront6targetE1EEEvT1_
; %bb.0:
	.section	.rodata,"a",@progbits
	.p2align	6, 0x0
	.amdhsa_kernel _ZN7rocprim17ROCPRIM_400000_NS6detail17trampoline_kernelINS0_14default_configENS1_27scan_by_key_config_selectorIj11FixedVectorIiLj2EEEEZZNS1_16scan_by_key_implILNS1_25lookback_scan_determinismE0ELb1ES3_N6thrust23THRUST_200600_302600_NS6detail15normal_iteratorINSB_10device_ptrIjEEEENSD_INSE_IS6_EEEESI_S6_NSB_4plusIvEENSB_8equal_toIvEES6_EE10hipError_tPvRmT2_T3_T4_T5_mT6_T7_P12ihipStream_tbENKUlT_T0_E_clISt17integral_constantIbLb0EES12_IbLb1EEEEDaSY_SZ_EUlSY_E_NS1_11comp_targetILNS1_3genE3ELNS1_11target_archE908ELNS1_3gpuE7ELNS1_3repE0EEENS1_30default_config_static_selectorELNS0_4arch9wavefront6targetE1EEEvT1_
		.amdhsa_group_segment_fixed_size 0
		.amdhsa_private_segment_fixed_size 0
		.amdhsa_kernarg_size 120
		.amdhsa_user_sgpr_count 2
		.amdhsa_user_sgpr_dispatch_ptr 0
		.amdhsa_user_sgpr_queue_ptr 0
		.amdhsa_user_sgpr_kernarg_segment_ptr 1
		.amdhsa_user_sgpr_dispatch_id 0
		.amdhsa_user_sgpr_kernarg_preload_length 0
		.amdhsa_user_sgpr_kernarg_preload_offset 0
		.amdhsa_user_sgpr_private_segment_size 0
		.amdhsa_uses_dynamic_stack 0
		.amdhsa_enable_private_segment 0
		.amdhsa_system_sgpr_workgroup_id_x 1
		.amdhsa_system_sgpr_workgroup_id_y 0
		.amdhsa_system_sgpr_workgroup_id_z 0
		.amdhsa_system_sgpr_workgroup_info 0
		.amdhsa_system_vgpr_workitem_id 0
		.amdhsa_next_free_vgpr 1
		.amdhsa_next_free_sgpr 0
		.amdhsa_accum_offset 4
		.amdhsa_reserve_vcc 0
		.amdhsa_float_round_mode_32 0
		.amdhsa_float_round_mode_16_64 0
		.amdhsa_float_denorm_mode_32 3
		.amdhsa_float_denorm_mode_16_64 3
		.amdhsa_dx10_clamp 1
		.amdhsa_ieee_mode 1
		.amdhsa_fp16_overflow 0
		.amdhsa_tg_split 0
		.amdhsa_exception_fp_ieee_invalid_op 0
		.amdhsa_exception_fp_denorm_src 0
		.amdhsa_exception_fp_ieee_div_zero 0
		.amdhsa_exception_fp_ieee_overflow 0
		.amdhsa_exception_fp_ieee_underflow 0
		.amdhsa_exception_fp_ieee_inexact 0
		.amdhsa_exception_int_div_zero 0
	.end_amdhsa_kernel
	.section	.text._ZN7rocprim17ROCPRIM_400000_NS6detail17trampoline_kernelINS0_14default_configENS1_27scan_by_key_config_selectorIj11FixedVectorIiLj2EEEEZZNS1_16scan_by_key_implILNS1_25lookback_scan_determinismE0ELb1ES3_N6thrust23THRUST_200600_302600_NS6detail15normal_iteratorINSB_10device_ptrIjEEEENSD_INSE_IS6_EEEESI_S6_NSB_4plusIvEENSB_8equal_toIvEES6_EE10hipError_tPvRmT2_T3_T4_T5_mT6_T7_P12ihipStream_tbENKUlT_T0_E_clISt17integral_constantIbLb0EES12_IbLb1EEEEDaSY_SZ_EUlSY_E_NS1_11comp_targetILNS1_3genE3ELNS1_11target_archE908ELNS1_3gpuE7ELNS1_3repE0EEENS1_30default_config_static_selectorELNS0_4arch9wavefront6targetE1EEEvT1_,"axG",@progbits,_ZN7rocprim17ROCPRIM_400000_NS6detail17trampoline_kernelINS0_14default_configENS1_27scan_by_key_config_selectorIj11FixedVectorIiLj2EEEEZZNS1_16scan_by_key_implILNS1_25lookback_scan_determinismE0ELb1ES3_N6thrust23THRUST_200600_302600_NS6detail15normal_iteratorINSB_10device_ptrIjEEEENSD_INSE_IS6_EEEESI_S6_NSB_4plusIvEENSB_8equal_toIvEES6_EE10hipError_tPvRmT2_T3_T4_T5_mT6_T7_P12ihipStream_tbENKUlT_T0_E_clISt17integral_constantIbLb0EES12_IbLb1EEEEDaSY_SZ_EUlSY_E_NS1_11comp_targetILNS1_3genE3ELNS1_11target_archE908ELNS1_3gpuE7ELNS1_3repE0EEENS1_30default_config_static_selectorELNS0_4arch9wavefront6targetE1EEEvT1_,comdat
.Lfunc_end2024:
	.size	_ZN7rocprim17ROCPRIM_400000_NS6detail17trampoline_kernelINS0_14default_configENS1_27scan_by_key_config_selectorIj11FixedVectorIiLj2EEEEZZNS1_16scan_by_key_implILNS1_25lookback_scan_determinismE0ELb1ES3_N6thrust23THRUST_200600_302600_NS6detail15normal_iteratorINSB_10device_ptrIjEEEENSD_INSE_IS6_EEEESI_S6_NSB_4plusIvEENSB_8equal_toIvEES6_EE10hipError_tPvRmT2_T3_T4_T5_mT6_T7_P12ihipStream_tbENKUlT_T0_E_clISt17integral_constantIbLb0EES12_IbLb1EEEEDaSY_SZ_EUlSY_E_NS1_11comp_targetILNS1_3genE3ELNS1_11target_archE908ELNS1_3gpuE7ELNS1_3repE0EEENS1_30default_config_static_selectorELNS0_4arch9wavefront6targetE1EEEvT1_, .Lfunc_end2024-_ZN7rocprim17ROCPRIM_400000_NS6detail17trampoline_kernelINS0_14default_configENS1_27scan_by_key_config_selectorIj11FixedVectorIiLj2EEEEZZNS1_16scan_by_key_implILNS1_25lookback_scan_determinismE0ELb1ES3_N6thrust23THRUST_200600_302600_NS6detail15normal_iteratorINSB_10device_ptrIjEEEENSD_INSE_IS6_EEEESI_S6_NSB_4plusIvEENSB_8equal_toIvEES6_EE10hipError_tPvRmT2_T3_T4_T5_mT6_T7_P12ihipStream_tbENKUlT_T0_E_clISt17integral_constantIbLb0EES12_IbLb1EEEEDaSY_SZ_EUlSY_E_NS1_11comp_targetILNS1_3genE3ELNS1_11target_archE908ELNS1_3gpuE7ELNS1_3repE0EEENS1_30default_config_static_selectorELNS0_4arch9wavefront6targetE1EEEvT1_
                                        ; -- End function
	.section	.AMDGPU.csdata,"",@progbits
; Kernel info:
; codeLenInByte = 0
; NumSgprs: 6
; NumVgprs: 0
; NumAgprs: 0
; TotalNumVgprs: 0
; ScratchSize: 0
; MemoryBound: 0
; FloatMode: 240
; IeeeMode: 1
; LDSByteSize: 0 bytes/workgroup (compile time only)
; SGPRBlocks: 0
; VGPRBlocks: 0
; NumSGPRsForWavesPerEU: 6
; NumVGPRsForWavesPerEU: 1
; AccumOffset: 4
; Occupancy: 8
; WaveLimiterHint : 0
; COMPUTE_PGM_RSRC2:SCRATCH_EN: 0
; COMPUTE_PGM_RSRC2:USER_SGPR: 2
; COMPUTE_PGM_RSRC2:TRAP_HANDLER: 0
; COMPUTE_PGM_RSRC2:TGID_X_EN: 1
; COMPUTE_PGM_RSRC2:TGID_Y_EN: 0
; COMPUTE_PGM_RSRC2:TGID_Z_EN: 0
; COMPUTE_PGM_RSRC2:TIDIG_COMP_CNT: 0
; COMPUTE_PGM_RSRC3_GFX90A:ACCUM_OFFSET: 0
; COMPUTE_PGM_RSRC3_GFX90A:TG_SPLIT: 0
	.section	.text._ZN7rocprim17ROCPRIM_400000_NS6detail17trampoline_kernelINS0_14default_configENS1_27scan_by_key_config_selectorIj11FixedVectorIiLj2EEEEZZNS1_16scan_by_key_implILNS1_25lookback_scan_determinismE0ELb1ES3_N6thrust23THRUST_200600_302600_NS6detail15normal_iteratorINSB_10device_ptrIjEEEENSD_INSE_IS6_EEEESI_S6_NSB_4plusIvEENSB_8equal_toIvEES6_EE10hipError_tPvRmT2_T3_T4_T5_mT6_T7_P12ihipStream_tbENKUlT_T0_E_clISt17integral_constantIbLb0EES12_IbLb1EEEEDaSY_SZ_EUlSY_E_NS1_11comp_targetILNS1_3genE2ELNS1_11target_archE906ELNS1_3gpuE6ELNS1_3repE0EEENS1_30default_config_static_selectorELNS0_4arch9wavefront6targetE1EEEvT1_,"axG",@progbits,_ZN7rocprim17ROCPRIM_400000_NS6detail17trampoline_kernelINS0_14default_configENS1_27scan_by_key_config_selectorIj11FixedVectorIiLj2EEEEZZNS1_16scan_by_key_implILNS1_25lookback_scan_determinismE0ELb1ES3_N6thrust23THRUST_200600_302600_NS6detail15normal_iteratorINSB_10device_ptrIjEEEENSD_INSE_IS6_EEEESI_S6_NSB_4plusIvEENSB_8equal_toIvEES6_EE10hipError_tPvRmT2_T3_T4_T5_mT6_T7_P12ihipStream_tbENKUlT_T0_E_clISt17integral_constantIbLb0EES12_IbLb1EEEEDaSY_SZ_EUlSY_E_NS1_11comp_targetILNS1_3genE2ELNS1_11target_archE906ELNS1_3gpuE6ELNS1_3repE0EEENS1_30default_config_static_selectorELNS0_4arch9wavefront6targetE1EEEvT1_,comdat
	.protected	_ZN7rocprim17ROCPRIM_400000_NS6detail17trampoline_kernelINS0_14default_configENS1_27scan_by_key_config_selectorIj11FixedVectorIiLj2EEEEZZNS1_16scan_by_key_implILNS1_25lookback_scan_determinismE0ELb1ES3_N6thrust23THRUST_200600_302600_NS6detail15normal_iteratorINSB_10device_ptrIjEEEENSD_INSE_IS6_EEEESI_S6_NSB_4plusIvEENSB_8equal_toIvEES6_EE10hipError_tPvRmT2_T3_T4_T5_mT6_T7_P12ihipStream_tbENKUlT_T0_E_clISt17integral_constantIbLb0EES12_IbLb1EEEEDaSY_SZ_EUlSY_E_NS1_11comp_targetILNS1_3genE2ELNS1_11target_archE906ELNS1_3gpuE6ELNS1_3repE0EEENS1_30default_config_static_selectorELNS0_4arch9wavefront6targetE1EEEvT1_ ; -- Begin function _ZN7rocprim17ROCPRIM_400000_NS6detail17trampoline_kernelINS0_14default_configENS1_27scan_by_key_config_selectorIj11FixedVectorIiLj2EEEEZZNS1_16scan_by_key_implILNS1_25lookback_scan_determinismE0ELb1ES3_N6thrust23THRUST_200600_302600_NS6detail15normal_iteratorINSB_10device_ptrIjEEEENSD_INSE_IS6_EEEESI_S6_NSB_4plusIvEENSB_8equal_toIvEES6_EE10hipError_tPvRmT2_T3_T4_T5_mT6_T7_P12ihipStream_tbENKUlT_T0_E_clISt17integral_constantIbLb0EES12_IbLb1EEEEDaSY_SZ_EUlSY_E_NS1_11comp_targetILNS1_3genE2ELNS1_11target_archE906ELNS1_3gpuE6ELNS1_3repE0EEENS1_30default_config_static_selectorELNS0_4arch9wavefront6targetE1EEEvT1_
	.globl	_ZN7rocprim17ROCPRIM_400000_NS6detail17trampoline_kernelINS0_14default_configENS1_27scan_by_key_config_selectorIj11FixedVectorIiLj2EEEEZZNS1_16scan_by_key_implILNS1_25lookback_scan_determinismE0ELb1ES3_N6thrust23THRUST_200600_302600_NS6detail15normal_iteratorINSB_10device_ptrIjEEEENSD_INSE_IS6_EEEESI_S6_NSB_4plusIvEENSB_8equal_toIvEES6_EE10hipError_tPvRmT2_T3_T4_T5_mT6_T7_P12ihipStream_tbENKUlT_T0_E_clISt17integral_constantIbLb0EES12_IbLb1EEEEDaSY_SZ_EUlSY_E_NS1_11comp_targetILNS1_3genE2ELNS1_11target_archE906ELNS1_3gpuE6ELNS1_3repE0EEENS1_30default_config_static_selectorELNS0_4arch9wavefront6targetE1EEEvT1_
	.p2align	8
	.type	_ZN7rocprim17ROCPRIM_400000_NS6detail17trampoline_kernelINS0_14default_configENS1_27scan_by_key_config_selectorIj11FixedVectorIiLj2EEEEZZNS1_16scan_by_key_implILNS1_25lookback_scan_determinismE0ELb1ES3_N6thrust23THRUST_200600_302600_NS6detail15normal_iteratorINSB_10device_ptrIjEEEENSD_INSE_IS6_EEEESI_S6_NSB_4plusIvEENSB_8equal_toIvEES6_EE10hipError_tPvRmT2_T3_T4_T5_mT6_T7_P12ihipStream_tbENKUlT_T0_E_clISt17integral_constantIbLb0EES12_IbLb1EEEEDaSY_SZ_EUlSY_E_NS1_11comp_targetILNS1_3genE2ELNS1_11target_archE906ELNS1_3gpuE6ELNS1_3repE0EEENS1_30default_config_static_selectorELNS0_4arch9wavefront6targetE1EEEvT1_,@function
_ZN7rocprim17ROCPRIM_400000_NS6detail17trampoline_kernelINS0_14default_configENS1_27scan_by_key_config_selectorIj11FixedVectorIiLj2EEEEZZNS1_16scan_by_key_implILNS1_25lookback_scan_determinismE0ELb1ES3_N6thrust23THRUST_200600_302600_NS6detail15normal_iteratorINSB_10device_ptrIjEEEENSD_INSE_IS6_EEEESI_S6_NSB_4plusIvEENSB_8equal_toIvEES6_EE10hipError_tPvRmT2_T3_T4_T5_mT6_T7_P12ihipStream_tbENKUlT_T0_E_clISt17integral_constantIbLb0EES12_IbLb1EEEEDaSY_SZ_EUlSY_E_NS1_11comp_targetILNS1_3genE2ELNS1_11target_archE906ELNS1_3gpuE6ELNS1_3repE0EEENS1_30default_config_static_selectorELNS0_4arch9wavefront6targetE1EEEvT1_: ; @_ZN7rocprim17ROCPRIM_400000_NS6detail17trampoline_kernelINS0_14default_configENS1_27scan_by_key_config_selectorIj11FixedVectorIiLj2EEEEZZNS1_16scan_by_key_implILNS1_25lookback_scan_determinismE0ELb1ES3_N6thrust23THRUST_200600_302600_NS6detail15normal_iteratorINSB_10device_ptrIjEEEENSD_INSE_IS6_EEEESI_S6_NSB_4plusIvEENSB_8equal_toIvEES6_EE10hipError_tPvRmT2_T3_T4_T5_mT6_T7_P12ihipStream_tbENKUlT_T0_E_clISt17integral_constantIbLb0EES12_IbLb1EEEEDaSY_SZ_EUlSY_E_NS1_11comp_targetILNS1_3genE2ELNS1_11target_archE906ELNS1_3gpuE6ELNS1_3repE0EEENS1_30default_config_static_selectorELNS0_4arch9wavefront6targetE1EEEvT1_
; %bb.0:
	.section	.rodata,"a",@progbits
	.p2align	6, 0x0
	.amdhsa_kernel _ZN7rocprim17ROCPRIM_400000_NS6detail17trampoline_kernelINS0_14default_configENS1_27scan_by_key_config_selectorIj11FixedVectorIiLj2EEEEZZNS1_16scan_by_key_implILNS1_25lookback_scan_determinismE0ELb1ES3_N6thrust23THRUST_200600_302600_NS6detail15normal_iteratorINSB_10device_ptrIjEEEENSD_INSE_IS6_EEEESI_S6_NSB_4plusIvEENSB_8equal_toIvEES6_EE10hipError_tPvRmT2_T3_T4_T5_mT6_T7_P12ihipStream_tbENKUlT_T0_E_clISt17integral_constantIbLb0EES12_IbLb1EEEEDaSY_SZ_EUlSY_E_NS1_11comp_targetILNS1_3genE2ELNS1_11target_archE906ELNS1_3gpuE6ELNS1_3repE0EEENS1_30default_config_static_selectorELNS0_4arch9wavefront6targetE1EEEvT1_
		.amdhsa_group_segment_fixed_size 0
		.amdhsa_private_segment_fixed_size 0
		.amdhsa_kernarg_size 120
		.amdhsa_user_sgpr_count 2
		.amdhsa_user_sgpr_dispatch_ptr 0
		.amdhsa_user_sgpr_queue_ptr 0
		.amdhsa_user_sgpr_kernarg_segment_ptr 1
		.amdhsa_user_sgpr_dispatch_id 0
		.amdhsa_user_sgpr_kernarg_preload_length 0
		.amdhsa_user_sgpr_kernarg_preload_offset 0
		.amdhsa_user_sgpr_private_segment_size 0
		.amdhsa_uses_dynamic_stack 0
		.amdhsa_enable_private_segment 0
		.amdhsa_system_sgpr_workgroup_id_x 1
		.amdhsa_system_sgpr_workgroup_id_y 0
		.amdhsa_system_sgpr_workgroup_id_z 0
		.amdhsa_system_sgpr_workgroup_info 0
		.amdhsa_system_vgpr_workitem_id 0
		.amdhsa_next_free_vgpr 1
		.amdhsa_next_free_sgpr 0
		.amdhsa_accum_offset 4
		.amdhsa_reserve_vcc 0
		.amdhsa_float_round_mode_32 0
		.amdhsa_float_round_mode_16_64 0
		.amdhsa_float_denorm_mode_32 3
		.amdhsa_float_denorm_mode_16_64 3
		.amdhsa_dx10_clamp 1
		.amdhsa_ieee_mode 1
		.amdhsa_fp16_overflow 0
		.amdhsa_tg_split 0
		.amdhsa_exception_fp_ieee_invalid_op 0
		.amdhsa_exception_fp_denorm_src 0
		.amdhsa_exception_fp_ieee_div_zero 0
		.amdhsa_exception_fp_ieee_overflow 0
		.amdhsa_exception_fp_ieee_underflow 0
		.amdhsa_exception_fp_ieee_inexact 0
		.amdhsa_exception_int_div_zero 0
	.end_amdhsa_kernel
	.section	.text._ZN7rocprim17ROCPRIM_400000_NS6detail17trampoline_kernelINS0_14default_configENS1_27scan_by_key_config_selectorIj11FixedVectorIiLj2EEEEZZNS1_16scan_by_key_implILNS1_25lookback_scan_determinismE0ELb1ES3_N6thrust23THRUST_200600_302600_NS6detail15normal_iteratorINSB_10device_ptrIjEEEENSD_INSE_IS6_EEEESI_S6_NSB_4plusIvEENSB_8equal_toIvEES6_EE10hipError_tPvRmT2_T3_T4_T5_mT6_T7_P12ihipStream_tbENKUlT_T0_E_clISt17integral_constantIbLb0EES12_IbLb1EEEEDaSY_SZ_EUlSY_E_NS1_11comp_targetILNS1_3genE2ELNS1_11target_archE906ELNS1_3gpuE6ELNS1_3repE0EEENS1_30default_config_static_selectorELNS0_4arch9wavefront6targetE1EEEvT1_,"axG",@progbits,_ZN7rocprim17ROCPRIM_400000_NS6detail17trampoline_kernelINS0_14default_configENS1_27scan_by_key_config_selectorIj11FixedVectorIiLj2EEEEZZNS1_16scan_by_key_implILNS1_25lookback_scan_determinismE0ELb1ES3_N6thrust23THRUST_200600_302600_NS6detail15normal_iteratorINSB_10device_ptrIjEEEENSD_INSE_IS6_EEEESI_S6_NSB_4plusIvEENSB_8equal_toIvEES6_EE10hipError_tPvRmT2_T3_T4_T5_mT6_T7_P12ihipStream_tbENKUlT_T0_E_clISt17integral_constantIbLb0EES12_IbLb1EEEEDaSY_SZ_EUlSY_E_NS1_11comp_targetILNS1_3genE2ELNS1_11target_archE906ELNS1_3gpuE6ELNS1_3repE0EEENS1_30default_config_static_selectorELNS0_4arch9wavefront6targetE1EEEvT1_,comdat
.Lfunc_end2025:
	.size	_ZN7rocprim17ROCPRIM_400000_NS6detail17trampoline_kernelINS0_14default_configENS1_27scan_by_key_config_selectorIj11FixedVectorIiLj2EEEEZZNS1_16scan_by_key_implILNS1_25lookback_scan_determinismE0ELb1ES3_N6thrust23THRUST_200600_302600_NS6detail15normal_iteratorINSB_10device_ptrIjEEEENSD_INSE_IS6_EEEESI_S6_NSB_4plusIvEENSB_8equal_toIvEES6_EE10hipError_tPvRmT2_T3_T4_T5_mT6_T7_P12ihipStream_tbENKUlT_T0_E_clISt17integral_constantIbLb0EES12_IbLb1EEEEDaSY_SZ_EUlSY_E_NS1_11comp_targetILNS1_3genE2ELNS1_11target_archE906ELNS1_3gpuE6ELNS1_3repE0EEENS1_30default_config_static_selectorELNS0_4arch9wavefront6targetE1EEEvT1_, .Lfunc_end2025-_ZN7rocprim17ROCPRIM_400000_NS6detail17trampoline_kernelINS0_14default_configENS1_27scan_by_key_config_selectorIj11FixedVectorIiLj2EEEEZZNS1_16scan_by_key_implILNS1_25lookback_scan_determinismE0ELb1ES3_N6thrust23THRUST_200600_302600_NS6detail15normal_iteratorINSB_10device_ptrIjEEEENSD_INSE_IS6_EEEESI_S6_NSB_4plusIvEENSB_8equal_toIvEES6_EE10hipError_tPvRmT2_T3_T4_T5_mT6_T7_P12ihipStream_tbENKUlT_T0_E_clISt17integral_constantIbLb0EES12_IbLb1EEEEDaSY_SZ_EUlSY_E_NS1_11comp_targetILNS1_3genE2ELNS1_11target_archE906ELNS1_3gpuE6ELNS1_3repE0EEENS1_30default_config_static_selectorELNS0_4arch9wavefront6targetE1EEEvT1_
                                        ; -- End function
	.section	.AMDGPU.csdata,"",@progbits
; Kernel info:
; codeLenInByte = 0
; NumSgprs: 6
; NumVgprs: 0
; NumAgprs: 0
; TotalNumVgprs: 0
; ScratchSize: 0
; MemoryBound: 0
; FloatMode: 240
; IeeeMode: 1
; LDSByteSize: 0 bytes/workgroup (compile time only)
; SGPRBlocks: 0
; VGPRBlocks: 0
; NumSGPRsForWavesPerEU: 6
; NumVGPRsForWavesPerEU: 1
; AccumOffset: 4
; Occupancy: 8
; WaveLimiterHint : 0
; COMPUTE_PGM_RSRC2:SCRATCH_EN: 0
; COMPUTE_PGM_RSRC2:USER_SGPR: 2
; COMPUTE_PGM_RSRC2:TRAP_HANDLER: 0
; COMPUTE_PGM_RSRC2:TGID_X_EN: 1
; COMPUTE_PGM_RSRC2:TGID_Y_EN: 0
; COMPUTE_PGM_RSRC2:TGID_Z_EN: 0
; COMPUTE_PGM_RSRC2:TIDIG_COMP_CNT: 0
; COMPUTE_PGM_RSRC3_GFX90A:ACCUM_OFFSET: 0
; COMPUTE_PGM_RSRC3_GFX90A:TG_SPLIT: 0
	.section	.text._ZN7rocprim17ROCPRIM_400000_NS6detail17trampoline_kernelINS0_14default_configENS1_27scan_by_key_config_selectorIj11FixedVectorIiLj2EEEEZZNS1_16scan_by_key_implILNS1_25lookback_scan_determinismE0ELb1ES3_N6thrust23THRUST_200600_302600_NS6detail15normal_iteratorINSB_10device_ptrIjEEEENSD_INSE_IS6_EEEESI_S6_NSB_4plusIvEENSB_8equal_toIvEES6_EE10hipError_tPvRmT2_T3_T4_T5_mT6_T7_P12ihipStream_tbENKUlT_T0_E_clISt17integral_constantIbLb0EES12_IbLb1EEEEDaSY_SZ_EUlSY_E_NS1_11comp_targetILNS1_3genE10ELNS1_11target_archE1200ELNS1_3gpuE4ELNS1_3repE0EEENS1_30default_config_static_selectorELNS0_4arch9wavefront6targetE1EEEvT1_,"axG",@progbits,_ZN7rocprim17ROCPRIM_400000_NS6detail17trampoline_kernelINS0_14default_configENS1_27scan_by_key_config_selectorIj11FixedVectorIiLj2EEEEZZNS1_16scan_by_key_implILNS1_25lookback_scan_determinismE0ELb1ES3_N6thrust23THRUST_200600_302600_NS6detail15normal_iteratorINSB_10device_ptrIjEEEENSD_INSE_IS6_EEEESI_S6_NSB_4plusIvEENSB_8equal_toIvEES6_EE10hipError_tPvRmT2_T3_T4_T5_mT6_T7_P12ihipStream_tbENKUlT_T0_E_clISt17integral_constantIbLb0EES12_IbLb1EEEEDaSY_SZ_EUlSY_E_NS1_11comp_targetILNS1_3genE10ELNS1_11target_archE1200ELNS1_3gpuE4ELNS1_3repE0EEENS1_30default_config_static_selectorELNS0_4arch9wavefront6targetE1EEEvT1_,comdat
	.protected	_ZN7rocprim17ROCPRIM_400000_NS6detail17trampoline_kernelINS0_14default_configENS1_27scan_by_key_config_selectorIj11FixedVectorIiLj2EEEEZZNS1_16scan_by_key_implILNS1_25lookback_scan_determinismE0ELb1ES3_N6thrust23THRUST_200600_302600_NS6detail15normal_iteratorINSB_10device_ptrIjEEEENSD_INSE_IS6_EEEESI_S6_NSB_4plusIvEENSB_8equal_toIvEES6_EE10hipError_tPvRmT2_T3_T4_T5_mT6_T7_P12ihipStream_tbENKUlT_T0_E_clISt17integral_constantIbLb0EES12_IbLb1EEEEDaSY_SZ_EUlSY_E_NS1_11comp_targetILNS1_3genE10ELNS1_11target_archE1200ELNS1_3gpuE4ELNS1_3repE0EEENS1_30default_config_static_selectorELNS0_4arch9wavefront6targetE1EEEvT1_ ; -- Begin function _ZN7rocprim17ROCPRIM_400000_NS6detail17trampoline_kernelINS0_14default_configENS1_27scan_by_key_config_selectorIj11FixedVectorIiLj2EEEEZZNS1_16scan_by_key_implILNS1_25lookback_scan_determinismE0ELb1ES3_N6thrust23THRUST_200600_302600_NS6detail15normal_iteratorINSB_10device_ptrIjEEEENSD_INSE_IS6_EEEESI_S6_NSB_4plusIvEENSB_8equal_toIvEES6_EE10hipError_tPvRmT2_T3_T4_T5_mT6_T7_P12ihipStream_tbENKUlT_T0_E_clISt17integral_constantIbLb0EES12_IbLb1EEEEDaSY_SZ_EUlSY_E_NS1_11comp_targetILNS1_3genE10ELNS1_11target_archE1200ELNS1_3gpuE4ELNS1_3repE0EEENS1_30default_config_static_selectorELNS0_4arch9wavefront6targetE1EEEvT1_
	.globl	_ZN7rocprim17ROCPRIM_400000_NS6detail17trampoline_kernelINS0_14default_configENS1_27scan_by_key_config_selectorIj11FixedVectorIiLj2EEEEZZNS1_16scan_by_key_implILNS1_25lookback_scan_determinismE0ELb1ES3_N6thrust23THRUST_200600_302600_NS6detail15normal_iteratorINSB_10device_ptrIjEEEENSD_INSE_IS6_EEEESI_S6_NSB_4plusIvEENSB_8equal_toIvEES6_EE10hipError_tPvRmT2_T3_T4_T5_mT6_T7_P12ihipStream_tbENKUlT_T0_E_clISt17integral_constantIbLb0EES12_IbLb1EEEEDaSY_SZ_EUlSY_E_NS1_11comp_targetILNS1_3genE10ELNS1_11target_archE1200ELNS1_3gpuE4ELNS1_3repE0EEENS1_30default_config_static_selectorELNS0_4arch9wavefront6targetE1EEEvT1_
	.p2align	8
	.type	_ZN7rocprim17ROCPRIM_400000_NS6detail17trampoline_kernelINS0_14default_configENS1_27scan_by_key_config_selectorIj11FixedVectorIiLj2EEEEZZNS1_16scan_by_key_implILNS1_25lookback_scan_determinismE0ELb1ES3_N6thrust23THRUST_200600_302600_NS6detail15normal_iteratorINSB_10device_ptrIjEEEENSD_INSE_IS6_EEEESI_S6_NSB_4plusIvEENSB_8equal_toIvEES6_EE10hipError_tPvRmT2_T3_T4_T5_mT6_T7_P12ihipStream_tbENKUlT_T0_E_clISt17integral_constantIbLb0EES12_IbLb1EEEEDaSY_SZ_EUlSY_E_NS1_11comp_targetILNS1_3genE10ELNS1_11target_archE1200ELNS1_3gpuE4ELNS1_3repE0EEENS1_30default_config_static_selectorELNS0_4arch9wavefront6targetE1EEEvT1_,@function
_ZN7rocprim17ROCPRIM_400000_NS6detail17trampoline_kernelINS0_14default_configENS1_27scan_by_key_config_selectorIj11FixedVectorIiLj2EEEEZZNS1_16scan_by_key_implILNS1_25lookback_scan_determinismE0ELb1ES3_N6thrust23THRUST_200600_302600_NS6detail15normal_iteratorINSB_10device_ptrIjEEEENSD_INSE_IS6_EEEESI_S6_NSB_4plusIvEENSB_8equal_toIvEES6_EE10hipError_tPvRmT2_T3_T4_T5_mT6_T7_P12ihipStream_tbENKUlT_T0_E_clISt17integral_constantIbLb0EES12_IbLb1EEEEDaSY_SZ_EUlSY_E_NS1_11comp_targetILNS1_3genE10ELNS1_11target_archE1200ELNS1_3gpuE4ELNS1_3repE0EEENS1_30default_config_static_selectorELNS0_4arch9wavefront6targetE1EEEvT1_: ; @_ZN7rocprim17ROCPRIM_400000_NS6detail17trampoline_kernelINS0_14default_configENS1_27scan_by_key_config_selectorIj11FixedVectorIiLj2EEEEZZNS1_16scan_by_key_implILNS1_25lookback_scan_determinismE0ELb1ES3_N6thrust23THRUST_200600_302600_NS6detail15normal_iteratorINSB_10device_ptrIjEEEENSD_INSE_IS6_EEEESI_S6_NSB_4plusIvEENSB_8equal_toIvEES6_EE10hipError_tPvRmT2_T3_T4_T5_mT6_T7_P12ihipStream_tbENKUlT_T0_E_clISt17integral_constantIbLb0EES12_IbLb1EEEEDaSY_SZ_EUlSY_E_NS1_11comp_targetILNS1_3genE10ELNS1_11target_archE1200ELNS1_3gpuE4ELNS1_3repE0EEENS1_30default_config_static_selectorELNS0_4arch9wavefront6targetE1EEEvT1_
; %bb.0:
	.section	.rodata,"a",@progbits
	.p2align	6, 0x0
	.amdhsa_kernel _ZN7rocprim17ROCPRIM_400000_NS6detail17trampoline_kernelINS0_14default_configENS1_27scan_by_key_config_selectorIj11FixedVectorIiLj2EEEEZZNS1_16scan_by_key_implILNS1_25lookback_scan_determinismE0ELb1ES3_N6thrust23THRUST_200600_302600_NS6detail15normal_iteratorINSB_10device_ptrIjEEEENSD_INSE_IS6_EEEESI_S6_NSB_4plusIvEENSB_8equal_toIvEES6_EE10hipError_tPvRmT2_T3_T4_T5_mT6_T7_P12ihipStream_tbENKUlT_T0_E_clISt17integral_constantIbLb0EES12_IbLb1EEEEDaSY_SZ_EUlSY_E_NS1_11comp_targetILNS1_3genE10ELNS1_11target_archE1200ELNS1_3gpuE4ELNS1_3repE0EEENS1_30default_config_static_selectorELNS0_4arch9wavefront6targetE1EEEvT1_
		.amdhsa_group_segment_fixed_size 0
		.amdhsa_private_segment_fixed_size 0
		.amdhsa_kernarg_size 120
		.amdhsa_user_sgpr_count 2
		.amdhsa_user_sgpr_dispatch_ptr 0
		.amdhsa_user_sgpr_queue_ptr 0
		.amdhsa_user_sgpr_kernarg_segment_ptr 1
		.amdhsa_user_sgpr_dispatch_id 0
		.amdhsa_user_sgpr_kernarg_preload_length 0
		.amdhsa_user_sgpr_kernarg_preload_offset 0
		.amdhsa_user_sgpr_private_segment_size 0
		.amdhsa_uses_dynamic_stack 0
		.amdhsa_enable_private_segment 0
		.amdhsa_system_sgpr_workgroup_id_x 1
		.amdhsa_system_sgpr_workgroup_id_y 0
		.amdhsa_system_sgpr_workgroup_id_z 0
		.amdhsa_system_sgpr_workgroup_info 0
		.amdhsa_system_vgpr_workitem_id 0
		.amdhsa_next_free_vgpr 1
		.amdhsa_next_free_sgpr 0
		.amdhsa_accum_offset 4
		.amdhsa_reserve_vcc 0
		.amdhsa_float_round_mode_32 0
		.amdhsa_float_round_mode_16_64 0
		.amdhsa_float_denorm_mode_32 3
		.amdhsa_float_denorm_mode_16_64 3
		.amdhsa_dx10_clamp 1
		.amdhsa_ieee_mode 1
		.amdhsa_fp16_overflow 0
		.amdhsa_tg_split 0
		.amdhsa_exception_fp_ieee_invalid_op 0
		.amdhsa_exception_fp_denorm_src 0
		.amdhsa_exception_fp_ieee_div_zero 0
		.amdhsa_exception_fp_ieee_overflow 0
		.amdhsa_exception_fp_ieee_underflow 0
		.amdhsa_exception_fp_ieee_inexact 0
		.amdhsa_exception_int_div_zero 0
	.end_amdhsa_kernel
	.section	.text._ZN7rocprim17ROCPRIM_400000_NS6detail17trampoline_kernelINS0_14default_configENS1_27scan_by_key_config_selectorIj11FixedVectorIiLj2EEEEZZNS1_16scan_by_key_implILNS1_25lookback_scan_determinismE0ELb1ES3_N6thrust23THRUST_200600_302600_NS6detail15normal_iteratorINSB_10device_ptrIjEEEENSD_INSE_IS6_EEEESI_S6_NSB_4plusIvEENSB_8equal_toIvEES6_EE10hipError_tPvRmT2_T3_T4_T5_mT6_T7_P12ihipStream_tbENKUlT_T0_E_clISt17integral_constantIbLb0EES12_IbLb1EEEEDaSY_SZ_EUlSY_E_NS1_11comp_targetILNS1_3genE10ELNS1_11target_archE1200ELNS1_3gpuE4ELNS1_3repE0EEENS1_30default_config_static_selectorELNS0_4arch9wavefront6targetE1EEEvT1_,"axG",@progbits,_ZN7rocprim17ROCPRIM_400000_NS6detail17trampoline_kernelINS0_14default_configENS1_27scan_by_key_config_selectorIj11FixedVectorIiLj2EEEEZZNS1_16scan_by_key_implILNS1_25lookback_scan_determinismE0ELb1ES3_N6thrust23THRUST_200600_302600_NS6detail15normal_iteratorINSB_10device_ptrIjEEEENSD_INSE_IS6_EEEESI_S6_NSB_4plusIvEENSB_8equal_toIvEES6_EE10hipError_tPvRmT2_T3_T4_T5_mT6_T7_P12ihipStream_tbENKUlT_T0_E_clISt17integral_constantIbLb0EES12_IbLb1EEEEDaSY_SZ_EUlSY_E_NS1_11comp_targetILNS1_3genE10ELNS1_11target_archE1200ELNS1_3gpuE4ELNS1_3repE0EEENS1_30default_config_static_selectorELNS0_4arch9wavefront6targetE1EEEvT1_,comdat
.Lfunc_end2026:
	.size	_ZN7rocprim17ROCPRIM_400000_NS6detail17trampoline_kernelINS0_14default_configENS1_27scan_by_key_config_selectorIj11FixedVectorIiLj2EEEEZZNS1_16scan_by_key_implILNS1_25lookback_scan_determinismE0ELb1ES3_N6thrust23THRUST_200600_302600_NS6detail15normal_iteratorINSB_10device_ptrIjEEEENSD_INSE_IS6_EEEESI_S6_NSB_4plusIvEENSB_8equal_toIvEES6_EE10hipError_tPvRmT2_T3_T4_T5_mT6_T7_P12ihipStream_tbENKUlT_T0_E_clISt17integral_constantIbLb0EES12_IbLb1EEEEDaSY_SZ_EUlSY_E_NS1_11comp_targetILNS1_3genE10ELNS1_11target_archE1200ELNS1_3gpuE4ELNS1_3repE0EEENS1_30default_config_static_selectorELNS0_4arch9wavefront6targetE1EEEvT1_, .Lfunc_end2026-_ZN7rocprim17ROCPRIM_400000_NS6detail17trampoline_kernelINS0_14default_configENS1_27scan_by_key_config_selectorIj11FixedVectorIiLj2EEEEZZNS1_16scan_by_key_implILNS1_25lookback_scan_determinismE0ELb1ES3_N6thrust23THRUST_200600_302600_NS6detail15normal_iteratorINSB_10device_ptrIjEEEENSD_INSE_IS6_EEEESI_S6_NSB_4plusIvEENSB_8equal_toIvEES6_EE10hipError_tPvRmT2_T3_T4_T5_mT6_T7_P12ihipStream_tbENKUlT_T0_E_clISt17integral_constantIbLb0EES12_IbLb1EEEEDaSY_SZ_EUlSY_E_NS1_11comp_targetILNS1_3genE10ELNS1_11target_archE1200ELNS1_3gpuE4ELNS1_3repE0EEENS1_30default_config_static_selectorELNS0_4arch9wavefront6targetE1EEEvT1_
                                        ; -- End function
	.section	.AMDGPU.csdata,"",@progbits
; Kernel info:
; codeLenInByte = 0
; NumSgprs: 6
; NumVgprs: 0
; NumAgprs: 0
; TotalNumVgprs: 0
; ScratchSize: 0
; MemoryBound: 0
; FloatMode: 240
; IeeeMode: 1
; LDSByteSize: 0 bytes/workgroup (compile time only)
; SGPRBlocks: 0
; VGPRBlocks: 0
; NumSGPRsForWavesPerEU: 6
; NumVGPRsForWavesPerEU: 1
; AccumOffset: 4
; Occupancy: 8
; WaveLimiterHint : 0
; COMPUTE_PGM_RSRC2:SCRATCH_EN: 0
; COMPUTE_PGM_RSRC2:USER_SGPR: 2
; COMPUTE_PGM_RSRC2:TRAP_HANDLER: 0
; COMPUTE_PGM_RSRC2:TGID_X_EN: 1
; COMPUTE_PGM_RSRC2:TGID_Y_EN: 0
; COMPUTE_PGM_RSRC2:TGID_Z_EN: 0
; COMPUTE_PGM_RSRC2:TIDIG_COMP_CNT: 0
; COMPUTE_PGM_RSRC3_GFX90A:ACCUM_OFFSET: 0
; COMPUTE_PGM_RSRC3_GFX90A:TG_SPLIT: 0
	.section	.text._ZN7rocprim17ROCPRIM_400000_NS6detail17trampoline_kernelINS0_14default_configENS1_27scan_by_key_config_selectorIj11FixedVectorIiLj2EEEEZZNS1_16scan_by_key_implILNS1_25lookback_scan_determinismE0ELb1ES3_N6thrust23THRUST_200600_302600_NS6detail15normal_iteratorINSB_10device_ptrIjEEEENSD_INSE_IS6_EEEESI_S6_NSB_4plusIvEENSB_8equal_toIvEES6_EE10hipError_tPvRmT2_T3_T4_T5_mT6_T7_P12ihipStream_tbENKUlT_T0_E_clISt17integral_constantIbLb0EES12_IbLb1EEEEDaSY_SZ_EUlSY_E_NS1_11comp_targetILNS1_3genE9ELNS1_11target_archE1100ELNS1_3gpuE3ELNS1_3repE0EEENS1_30default_config_static_selectorELNS0_4arch9wavefront6targetE1EEEvT1_,"axG",@progbits,_ZN7rocprim17ROCPRIM_400000_NS6detail17trampoline_kernelINS0_14default_configENS1_27scan_by_key_config_selectorIj11FixedVectorIiLj2EEEEZZNS1_16scan_by_key_implILNS1_25lookback_scan_determinismE0ELb1ES3_N6thrust23THRUST_200600_302600_NS6detail15normal_iteratorINSB_10device_ptrIjEEEENSD_INSE_IS6_EEEESI_S6_NSB_4plusIvEENSB_8equal_toIvEES6_EE10hipError_tPvRmT2_T3_T4_T5_mT6_T7_P12ihipStream_tbENKUlT_T0_E_clISt17integral_constantIbLb0EES12_IbLb1EEEEDaSY_SZ_EUlSY_E_NS1_11comp_targetILNS1_3genE9ELNS1_11target_archE1100ELNS1_3gpuE3ELNS1_3repE0EEENS1_30default_config_static_selectorELNS0_4arch9wavefront6targetE1EEEvT1_,comdat
	.protected	_ZN7rocprim17ROCPRIM_400000_NS6detail17trampoline_kernelINS0_14default_configENS1_27scan_by_key_config_selectorIj11FixedVectorIiLj2EEEEZZNS1_16scan_by_key_implILNS1_25lookback_scan_determinismE0ELb1ES3_N6thrust23THRUST_200600_302600_NS6detail15normal_iteratorINSB_10device_ptrIjEEEENSD_INSE_IS6_EEEESI_S6_NSB_4plusIvEENSB_8equal_toIvEES6_EE10hipError_tPvRmT2_T3_T4_T5_mT6_T7_P12ihipStream_tbENKUlT_T0_E_clISt17integral_constantIbLb0EES12_IbLb1EEEEDaSY_SZ_EUlSY_E_NS1_11comp_targetILNS1_3genE9ELNS1_11target_archE1100ELNS1_3gpuE3ELNS1_3repE0EEENS1_30default_config_static_selectorELNS0_4arch9wavefront6targetE1EEEvT1_ ; -- Begin function _ZN7rocprim17ROCPRIM_400000_NS6detail17trampoline_kernelINS0_14default_configENS1_27scan_by_key_config_selectorIj11FixedVectorIiLj2EEEEZZNS1_16scan_by_key_implILNS1_25lookback_scan_determinismE0ELb1ES3_N6thrust23THRUST_200600_302600_NS6detail15normal_iteratorINSB_10device_ptrIjEEEENSD_INSE_IS6_EEEESI_S6_NSB_4plusIvEENSB_8equal_toIvEES6_EE10hipError_tPvRmT2_T3_T4_T5_mT6_T7_P12ihipStream_tbENKUlT_T0_E_clISt17integral_constantIbLb0EES12_IbLb1EEEEDaSY_SZ_EUlSY_E_NS1_11comp_targetILNS1_3genE9ELNS1_11target_archE1100ELNS1_3gpuE3ELNS1_3repE0EEENS1_30default_config_static_selectorELNS0_4arch9wavefront6targetE1EEEvT1_
	.globl	_ZN7rocprim17ROCPRIM_400000_NS6detail17trampoline_kernelINS0_14default_configENS1_27scan_by_key_config_selectorIj11FixedVectorIiLj2EEEEZZNS1_16scan_by_key_implILNS1_25lookback_scan_determinismE0ELb1ES3_N6thrust23THRUST_200600_302600_NS6detail15normal_iteratorINSB_10device_ptrIjEEEENSD_INSE_IS6_EEEESI_S6_NSB_4plusIvEENSB_8equal_toIvEES6_EE10hipError_tPvRmT2_T3_T4_T5_mT6_T7_P12ihipStream_tbENKUlT_T0_E_clISt17integral_constantIbLb0EES12_IbLb1EEEEDaSY_SZ_EUlSY_E_NS1_11comp_targetILNS1_3genE9ELNS1_11target_archE1100ELNS1_3gpuE3ELNS1_3repE0EEENS1_30default_config_static_selectorELNS0_4arch9wavefront6targetE1EEEvT1_
	.p2align	8
	.type	_ZN7rocprim17ROCPRIM_400000_NS6detail17trampoline_kernelINS0_14default_configENS1_27scan_by_key_config_selectorIj11FixedVectorIiLj2EEEEZZNS1_16scan_by_key_implILNS1_25lookback_scan_determinismE0ELb1ES3_N6thrust23THRUST_200600_302600_NS6detail15normal_iteratorINSB_10device_ptrIjEEEENSD_INSE_IS6_EEEESI_S6_NSB_4plusIvEENSB_8equal_toIvEES6_EE10hipError_tPvRmT2_T3_T4_T5_mT6_T7_P12ihipStream_tbENKUlT_T0_E_clISt17integral_constantIbLb0EES12_IbLb1EEEEDaSY_SZ_EUlSY_E_NS1_11comp_targetILNS1_3genE9ELNS1_11target_archE1100ELNS1_3gpuE3ELNS1_3repE0EEENS1_30default_config_static_selectorELNS0_4arch9wavefront6targetE1EEEvT1_,@function
_ZN7rocprim17ROCPRIM_400000_NS6detail17trampoline_kernelINS0_14default_configENS1_27scan_by_key_config_selectorIj11FixedVectorIiLj2EEEEZZNS1_16scan_by_key_implILNS1_25lookback_scan_determinismE0ELb1ES3_N6thrust23THRUST_200600_302600_NS6detail15normal_iteratorINSB_10device_ptrIjEEEENSD_INSE_IS6_EEEESI_S6_NSB_4plusIvEENSB_8equal_toIvEES6_EE10hipError_tPvRmT2_T3_T4_T5_mT6_T7_P12ihipStream_tbENKUlT_T0_E_clISt17integral_constantIbLb0EES12_IbLb1EEEEDaSY_SZ_EUlSY_E_NS1_11comp_targetILNS1_3genE9ELNS1_11target_archE1100ELNS1_3gpuE3ELNS1_3repE0EEENS1_30default_config_static_selectorELNS0_4arch9wavefront6targetE1EEEvT1_: ; @_ZN7rocprim17ROCPRIM_400000_NS6detail17trampoline_kernelINS0_14default_configENS1_27scan_by_key_config_selectorIj11FixedVectorIiLj2EEEEZZNS1_16scan_by_key_implILNS1_25lookback_scan_determinismE0ELb1ES3_N6thrust23THRUST_200600_302600_NS6detail15normal_iteratorINSB_10device_ptrIjEEEENSD_INSE_IS6_EEEESI_S6_NSB_4plusIvEENSB_8equal_toIvEES6_EE10hipError_tPvRmT2_T3_T4_T5_mT6_T7_P12ihipStream_tbENKUlT_T0_E_clISt17integral_constantIbLb0EES12_IbLb1EEEEDaSY_SZ_EUlSY_E_NS1_11comp_targetILNS1_3genE9ELNS1_11target_archE1100ELNS1_3gpuE3ELNS1_3repE0EEENS1_30default_config_static_selectorELNS0_4arch9wavefront6targetE1EEEvT1_
; %bb.0:
	.section	.rodata,"a",@progbits
	.p2align	6, 0x0
	.amdhsa_kernel _ZN7rocprim17ROCPRIM_400000_NS6detail17trampoline_kernelINS0_14default_configENS1_27scan_by_key_config_selectorIj11FixedVectorIiLj2EEEEZZNS1_16scan_by_key_implILNS1_25lookback_scan_determinismE0ELb1ES3_N6thrust23THRUST_200600_302600_NS6detail15normal_iteratorINSB_10device_ptrIjEEEENSD_INSE_IS6_EEEESI_S6_NSB_4plusIvEENSB_8equal_toIvEES6_EE10hipError_tPvRmT2_T3_T4_T5_mT6_T7_P12ihipStream_tbENKUlT_T0_E_clISt17integral_constantIbLb0EES12_IbLb1EEEEDaSY_SZ_EUlSY_E_NS1_11comp_targetILNS1_3genE9ELNS1_11target_archE1100ELNS1_3gpuE3ELNS1_3repE0EEENS1_30default_config_static_selectorELNS0_4arch9wavefront6targetE1EEEvT1_
		.amdhsa_group_segment_fixed_size 0
		.amdhsa_private_segment_fixed_size 0
		.amdhsa_kernarg_size 120
		.amdhsa_user_sgpr_count 2
		.amdhsa_user_sgpr_dispatch_ptr 0
		.amdhsa_user_sgpr_queue_ptr 0
		.amdhsa_user_sgpr_kernarg_segment_ptr 1
		.amdhsa_user_sgpr_dispatch_id 0
		.amdhsa_user_sgpr_kernarg_preload_length 0
		.amdhsa_user_sgpr_kernarg_preload_offset 0
		.amdhsa_user_sgpr_private_segment_size 0
		.amdhsa_uses_dynamic_stack 0
		.amdhsa_enable_private_segment 0
		.amdhsa_system_sgpr_workgroup_id_x 1
		.amdhsa_system_sgpr_workgroup_id_y 0
		.amdhsa_system_sgpr_workgroup_id_z 0
		.amdhsa_system_sgpr_workgroup_info 0
		.amdhsa_system_vgpr_workitem_id 0
		.amdhsa_next_free_vgpr 1
		.amdhsa_next_free_sgpr 0
		.amdhsa_accum_offset 4
		.amdhsa_reserve_vcc 0
		.amdhsa_float_round_mode_32 0
		.amdhsa_float_round_mode_16_64 0
		.amdhsa_float_denorm_mode_32 3
		.amdhsa_float_denorm_mode_16_64 3
		.amdhsa_dx10_clamp 1
		.amdhsa_ieee_mode 1
		.amdhsa_fp16_overflow 0
		.amdhsa_tg_split 0
		.amdhsa_exception_fp_ieee_invalid_op 0
		.amdhsa_exception_fp_denorm_src 0
		.amdhsa_exception_fp_ieee_div_zero 0
		.amdhsa_exception_fp_ieee_overflow 0
		.amdhsa_exception_fp_ieee_underflow 0
		.amdhsa_exception_fp_ieee_inexact 0
		.amdhsa_exception_int_div_zero 0
	.end_amdhsa_kernel
	.section	.text._ZN7rocprim17ROCPRIM_400000_NS6detail17trampoline_kernelINS0_14default_configENS1_27scan_by_key_config_selectorIj11FixedVectorIiLj2EEEEZZNS1_16scan_by_key_implILNS1_25lookback_scan_determinismE0ELb1ES3_N6thrust23THRUST_200600_302600_NS6detail15normal_iteratorINSB_10device_ptrIjEEEENSD_INSE_IS6_EEEESI_S6_NSB_4plusIvEENSB_8equal_toIvEES6_EE10hipError_tPvRmT2_T3_T4_T5_mT6_T7_P12ihipStream_tbENKUlT_T0_E_clISt17integral_constantIbLb0EES12_IbLb1EEEEDaSY_SZ_EUlSY_E_NS1_11comp_targetILNS1_3genE9ELNS1_11target_archE1100ELNS1_3gpuE3ELNS1_3repE0EEENS1_30default_config_static_selectorELNS0_4arch9wavefront6targetE1EEEvT1_,"axG",@progbits,_ZN7rocprim17ROCPRIM_400000_NS6detail17trampoline_kernelINS0_14default_configENS1_27scan_by_key_config_selectorIj11FixedVectorIiLj2EEEEZZNS1_16scan_by_key_implILNS1_25lookback_scan_determinismE0ELb1ES3_N6thrust23THRUST_200600_302600_NS6detail15normal_iteratorINSB_10device_ptrIjEEEENSD_INSE_IS6_EEEESI_S6_NSB_4plusIvEENSB_8equal_toIvEES6_EE10hipError_tPvRmT2_T3_T4_T5_mT6_T7_P12ihipStream_tbENKUlT_T0_E_clISt17integral_constantIbLb0EES12_IbLb1EEEEDaSY_SZ_EUlSY_E_NS1_11comp_targetILNS1_3genE9ELNS1_11target_archE1100ELNS1_3gpuE3ELNS1_3repE0EEENS1_30default_config_static_selectorELNS0_4arch9wavefront6targetE1EEEvT1_,comdat
.Lfunc_end2027:
	.size	_ZN7rocprim17ROCPRIM_400000_NS6detail17trampoline_kernelINS0_14default_configENS1_27scan_by_key_config_selectorIj11FixedVectorIiLj2EEEEZZNS1_16scan_by_key_implILNS1_25lookback_scan_determinismE0ELb1ES3_N6thrust23THRUST_200600_302600_NS6detail15normal_iteratorINSB_10device_ptrIjEEEENSD_INSE_IS6_EEEESI_S6_NSB_4plusIvEENSB_8equal_toIvEES6_EE10hipError_tPvRmT2_T3_T4_T5_mT6_T7_P12ihipStream_tbENKUlT_T0_E_clISt17integral_constantIbLb0EES12_IbLb1EEEEDaSY_SZ_EUlSY_E_NS1_11comp_targetILNS1_3genE9ELNS1_11target_archE1100ELNS1_3gpuE3ELNS1_3repE0EEENS1_30default_config_static_selectorELNS0_4arch9wavefront6targetE1EEEvT1_, .Lfunc_end2027-_ZN7rocprim17ROCPRIM_400000_NS6detail17trampoline_kernelINS0_14default_configENS1_27scan_by_key_config_selectorIj11FixedVectorIiLj2EEEEZZNS1_16scan_by_key_implILNS1_25lookback_scan_determinismE0ELb1ES3_N6thrust23THRUST_200600_302600_NS6detail15normal_iteratorINSB_10device_ptrIjEEEENSD_INSE_IS6_EEEESI_S6_NSB_4plusIvEENSB_8equal_toIvEES6_EE10hipError_tPvRmT2_T3_T4_T5_mT6_T7_P12ihipStream_tbENKUlT_T0_E_clISt17integral_constantIbLb0EES12_IbLb1EEEEDaSY_SZ_EUlSY_E_NS1_11comp_targetILNS1_3genE9ELNS1_11target_archE1100ELNS1_3gpuE3ELNS1_3repE0EEENS1_30default_config_static_selectorELNS0_4arch9wavefront6targetE1EEEvT1_
                                        ; -- End function
	.section	.AMDGPU.csdata,"",@progbits
; Kernel info:
; codeLenInByte = 0
; NumSgprs: 6
; NumVgprs: 0
; NumAgprs: 0
; TotalNumVgprs: 0
; ScratchSize: 0
; MemoryBound: 0
; FloatMode: 240
; IeeeMode: 1
; LDSByteSize: 0 bytes/workgroup (compile time only)
; SGPRBlocks: 0
; VGPRBlocks: 0
; NumSGPRsForWavesPerEU: 6
; NumVGPRsForWavesPerEU: 1
; AccumOffset: 4
; Occupancy: 8
; WaveLimiterHint : 0
; COMPUTE_PGM_RSRC2:SCRATCH_EN: 0
; COMPUTE_PGM_RSRC2:USER_SGPR: 2
; COMPUTE_PGM_RSRC2:TRAP_HANDLER: 0
; COMPUTE_PGM_RSRC2:TGID_X_EN: 1
; COMPUTE_PGM_RSRC2:TGID_Y_EN: 0
; COMPUTE_PGM_RSRC2:TGID_Z_EN: 0
; COMPUTE_PGM_RSRC2:TIDIG_COMP_CNT: 0
; COMPUTE_PGM_RSRC3_GFX90A:ACCUM_OFFSET: 0
; COMPUTE_PGM_RSRC3_GFX90A:TG_SPLIT: 0
	.section	.text._ZN7rocprim17ROCPRIM_400000_NS6detail17trampoline_kernelINS0_14default_configENS1_27scan_by_key_config_selectorIj11FixedVectorIiLj2EEEEZZNS1_16scan_by_key_implILNS1_25lookback_scan_determinismE0ELb1ES3_N6thrust23THRUST_200600_302600_NS6detail15normal_iteratorINSB_10device_ptrIjEEEENSD_INSE_IS6_EEEESI_S6_NSB_4plusIvEENSB_8equal_toIvEES6_EE10hipError_tPvRmT2_T3_T4_T5_mT6_T7_P12ihipStream_tbENKUlT_T0_E_clISt17integral_constantIbLb0EES12_IbLb1EEEEDaSY_SZ_EUlSY_E_NS1_11comp_targetILNS1_3genE8ELNS1_11target_archE1030ELNS1_3gpuE2ELNS1_3repE0EEENS1_30default_config_static_selectorELNS0_4arch9wavefront6targetE1EEEvT1_,"axG",@progbits,_ZN7rocprim17ROCPRIM_400000_NS6detail17trampoline_kernelINS0_14default_configENS1_27scan_by_key_config_selectorIj11FixedVectorIiLj2EEEEZZNS1_16scan_by_key_implILNS1_25lookback_scan_determinismE0ELb1ES3_N6thrust23THRUST_200600_302600_NS6detail15normal_iteratorINSB_10device_ptrIjEEEENSD_INSE_IS6_EEEESI_S6_NSB_4plusIvEENSB_8equal_toIvEES6_EE10hipError_tPvRmT2_T3_T4_T5_mT6_T7_P12ihipStream_tbENKUlT_T0_E_clISt17integral_constantIbLb0EES12_IbLb1EEEEDaSY_SZ_EUlSY_E_NS1_11comp_targetILNS1_3genE8ELNS1_11target_archE1030ELNS1_3gpuE2ELNS1_3repE0EEENS1_30default_config_static_selectorELNS0_4arch9wavefront6targetE1EEEvT1_,comdat
	.protected	_ZN7rocprim17ROCPRIM_400000_NS6detail17trampoline_kernelINS0_14default_configENS1_27scan_by_key_config_selectorIj11FixedVectorIiLj2EEEEZZNS1_16scan_by_key_implILNS1_25lookback_scan_determinismE0ELb1ES3_N6thrust23THRUST_200600_302600_NS6detail15normal_iteratorINSB_10device_ptrIjEEEENSD_INSE_IS6_EEEESI_S6_NSB_4plusIvEENSB_8equal_toIvEES6_EE10hipError_tPvRmT2_T3_T4_T5_mT6_T7_P12ihipStream_tbENKUlT_T0_E_clISt17integral_constantIbLb0EES12_IbLb1EEEEDaSY_SZ_EUlSY_E_NS1_11comp_targetILNS1_3genE8ELNS1_11target_archE1030ELNS1_3gpuE2ELNS1_3repE0EEENS1_30default_config_static_selectorELNS0_4arch9wavefront6targetE1EEEvT1_ ; -- Begin function _ZN7rocprim17ROCPRIM_400000_NS6detail17trampoline_kernelINS0_14default_configENS1_27scan_by_key_config_selectorIj11FixedVectorIiLj2EEEEZZNS1_16scan_by_key_implILNS1_25lookback_scan_determinismE0ELb1ES3_N6thrust23THRUST_200600_302600_NS6detail15normal_iteratorINSB_10device_ptrIjEEEENSD_INSE_IS6_EEEESI_S6_NSB_4plusIvEENSB_8equal_toIvEES6_EE10hipError_tPvRmT2_T3_T4_T5_mT6_T7_P12ihipStream_tbENKUlT_T0_E_clISt17integral_constantIbLb0EES12_IbLb1EEEEDaSY_SZ_EUlSY_E_NS1_11comp_targetILNS1_3genE8ELNS1_11target_archE1030ELNS1_3gpuE2ELNS1_3repE0EEENS1_30default_config_static_selectorELNS0_4arch9wavefront6targetE1EEEvT1_
	.globl	_ZN7rocprim17ROCPRIM_400000_NS6detail17trampoline_kernelINS0_14default_configENS1_27scan_by_key_config_selectorIj11FixedVectorIiLj2EEEEZZNS1_16scan_by_key_implILNS1_25lookback_scan_determinismE0ELb1ES3_N6thrust23THRUST_200600_302600_NS6detail15normal_iteratorINSB_10device_ptrIjEEEENSD_INSE_IS6_EEEESI_S6_NSB_4plusIvEENSB_8equal_toIvEES6_EE10hipError_tPvRmT2_T3_T4_T5_mT6_T7_P12ihipStream_tbENKUlT_T0_E_clISt17integral_constantIbLb0EES12_IbLb1EEEEDaSY_SZ_EUlSY_E_NS1_11comp_targetILNS1_3genE8ELNS1_11target_archE1030ELNS1_3gpuE2ELNS1_3repE0EEENS1_30default_config_static_selectorELNS0_4arch9wavefront6targetE1EEEvT1_
	.p2align	8
	.type	_ZN7rocprim17ROCPRIM_400000_NS6detail17trampoline_kernelINS0_14default_configENS1_27scan_by_key_config_selectorIj11FixedVectorIiLj2EEEEZZNS1_16scan_by_key_implILNS1_25lookback_scan_determinismE0ELb1ES3_N6thrust23THRUST_200600_302600_NS6detail15normal_iteratorINSB_10device_ptrIjEEEENSD_INSE_IS6_EEEESI_S6_NSB_4plusIvEENSB_8equal_toIvEES6_EE10hipError_tPvRmT2_T3_T4_T5_mT6_T7_P12ihipStream_tbENKUlT_T0_E_clISt17integral_constantIbLb0EES12_IbLb1EEEEDaSY_SZ_EUlSY_E_NS1_11comp_targetILNS1_3genE8ELNS1_11target_archE1030ELNS1_3gpuE2ELNS1_3repE0EEENS1_30default_config_static_selectorELNS0_4arch9wavefront6targetE1EEEvT1_,@function
_ZN7rocprim17ROCPRIM_400000_NS6detail17trampoline_kernelINS0_14default_configENS1_27scan_by_key_config_selectorIj11FixedVectorIiLj2EEEEZZNS1_16scan_by_key_implILNS1_25lookback_scan_determinismE0ELb1ES3_N6thrust23THRUST_200600_302600_NS6detail15normal_iteratorINSB_10device_ptrIjEEEENSD_INSE_IS6_EEEESI_S6_NSB_4plusIvEENSB_8equal_toIvEES6_EE10hipError_tPvRmT2_T3_T4_T5_mT6_T7_P12ihipStream_tbENKUlT_T0_E_clISt17integral_constantIbLb0EES12_IbLb1EEEEDaSY_SZ_EUlSY_E_NS1_11comp_targetILNS1_3genE8ELNS1_11target_archE1030ELNS1_3gpuE2ELNS1_3repE0EEENS1_30default_config_static_selectorELNS0_4arch9wavefront6targetE1EEEvT1_: ; @_ZN7rocprim17ROCPRIM_400000_NS6detail17trampoline_kernelINS0_14default_configENS1_27scan_by_key_config_selectorIj11FixedVectorIiLj2EEEEZZNS1_16scan_by_key_implILNS1_25lookback_scan_determinismE0ELb1ES3_N6thrust23THRUST_200600_302600_NS6detail15normal_iteratorINSB_10device_ptrIjEEEENSD_INSE_IS6_EEEESI_S6_NSB_4plusIvEENSB_8equal_toIvEES6_EE10hipError_tPvRmT2_T3_T4_T5_mT6_T7_P12ihipStream_tbENKUlT_T0_E_clISt17integral_constantIbLb0EES12_IbLb1EEEEDaSY_SZ_EUlSY_E_NS1_11comp_targetILNS1_3genE8ELNS1_11target_archE1030ELNS1_3gpuE2ELNS1_3repE0EEENS1_30default_config_static_selectorELNS0_4arch9wavefront6targetE1EEEvT1_
; %bb.0:
	.section	.rodata,"a",@progbits
	.p2align	6, 0x0
	.amdhsa_kernel _ZN7rocprim17ROCPRIM_400000_NS6detail17trampoline_kernelINS0_14default_configENS1_27scan_by_key_config_selectorIj11FixedVectorIiLj2EEEEZZNS1_16scan_by_key_implILNS1_25lookback_scan_determinismE0ELb1ES3_N6thrust23THRUST_200600_302600_NS6detail15normal_iteratorINSB_10device_ptrIjEEEENSD_INSE_IS6_EEEESI_S6_NSB_4plusIvEENSB_8equal_toIvEES6_EE10hipError_tPvRmT2_T3_T4_T5_mT6_T7_P12ihipStream_tbENKUlT_T0_E_clISt17integral_constantIbLb0EES12_IbLb1EEEEDaSY_SZ_EUlSY_E_NS1_11comp_targetILNS1_3genE8ELNS1_11target_archE1030ELNS1_3gpuE2ELNS1_3repE0EEENS1_30default_config_static_selectorELNS0_4arch9wavefront6targetE1EEEvT1_
		.amdhsa_group_segment_fixed_size 0
		.amdhsa_private_segment_fixed_size 0
		.amdhsa_kernarg_size 120
		.amdhsa_user_sgpr_count 2
		.amdhsa_user_sgpr_dispatch_ptr 0
		.amdhsa_user_sgpr_queue_ptr 0
		.amdhsa_user_sgpr_kernarg_segment_ptr 1
		.amdhsa_user_sgpr_dispatch_id 0
		.amdhsa_user_sgpr_kernarg_preload_length 0
		.amdhsa_user_sgpr_kernarg_preload_offset 0
		.amdhsa_user_sgpr_private_segment_size 0
		.amdhsa_uses_dynamic_stack 0
		.amdhsa_enable_private_segment 0
		.amdhsa_system_sgpr_workgroup_id_x 1
		.amdhsa_system_sgpr_workgroup_id_y 0
		.amdhsa_system_sgpr_workgroup_id_z 0
		.amdhsa_system_sgpr_workgroup_info 0
		.amdhsa_system_vgpr_workitem_id 0
		.amdhsa_next_free_vgpr 1
		.amdhsa_next_free_sgpr 0
		.amdhsa_accum_offset 4
		.amdhsa_reserve_vcc 0
		.amdhsa_float_round_mode_32 0
		.amdhsa_float_round_mode_16_64 0
		.amdhsa_float_denorm_mode_32 3
		.amdhsa_float_denorm_mode_16_64 3
		.amdhsa_dx10_clamp 1
		.amdhsa_ieee_mode 1
		.amdhsa_fp16_overflow 0
		.amdhsa_tg_split 0
		.amdhsa_exception_fp_ieee_invalid_op 0
		.amdhsa_exception_fp_denorm_src 0
		.amdhsa_exception_fp_ieee_div_zero 0
		.amdhsa_exception_fp_ieee_overflow 0
		.amdhsa_exception_fp_ieee_underflow 0
		.amdhsa_exception_fp_ieee_inexact 0
		.amdhsa_exception_int_div_zero 0
	.end_amdhsa_kernel
	.section	.text._ZN7rocprim17ROCPRIM_400000_NS6detail17trampoline_kernelINS0_14default_configENS1_27scan_by_key_config_selectorIj11FixedVectorIiLj2EEEEZZNS1_16scan_by_key_implILNS1_25lookback_scan_determinismE0ELb1ES3_N6thrust23THRUST_200600_302600_NS6detail15normal_iteratorINSB_10device_ptrIjEEEENSD_INSE_IS6_EEEESI_S6_NSB_4plusIvEENSB_8equal_toIvEES6_EE10hipError_tPvRmT2_T3_T4_T5_mT6_T7_P12ihipStream_tbENKUlT_T0_E_clISt17integral_constantIbLb0EES12_IbLb1EEEEDaSY_SZ_EUlSY_E_NS1_11comp_targetILNS1_3genE8ELNS1_11target_archE1030ELNS1_3gpuE2ELNS1_3repE0EEENS1_30default_config_static_selectorELNS0_4arch9wavefront6targetE1EEEvT1_,"axG",@progbits,_ZN7rocprim17ROCPRIM_400000_NS6detail17trampoline_kernelINS0_14default_configENS1_27scan_by_key_config_selectorIj11FixedVectorIiLj2EEEEZZNS1_16scan_by_key_implILNS1_25lookback_scan_determinismE0ELb1ES3_N6thrust23THRUST_200600_302600_NS6detail15normal_iteratorINSB_10device_ptrIjEEEENSD_INSE_IS6_EEEESI_S6_NSB_4plusIvEENSB_8equal_toIvEES6_EE10hipError_tPvRmT2_T3_T4_T5_mT6_T7_P12ihipStream_tbENKUlT_T0_E_clISt17integral_constantIbLb0EES12_IbLb1EEEEDaSY_SZ_EUlSY_E_NS1_11comp_targetILNS1_3genE8ELNS1_11target_archE1030ELNS1_3gpuE2ELNS1_3repE0EEENS1_30default_config_static_selectorELNS0_4arch9wavefront6targetE1EEEvT1_,comdat
.Lfunc_end2028:
	.size	_ZN7rocprim17ROCPRIM_400000_NS6detail17trampoline_kernelINS0_14default_configENS1_27scan_by_key_config_selectorIj11FixedVectorIiLj2EEEEZZNS1_16scan_by_key_implILNS1_25lookback_scan_determinismE0ELb1ES3_N6thrust23THRUST_200600_302600_NS6detail15normal_iteratorINSB_10device_ptrIjEEEENSD_INSE_IS6_EEEESI_S6_NSB_4plusIvEENSB_8equal_toIvEES6_EE10hipError_tPvRmT2_T3_T4_T5_mT6_T7_P12ihipStream_tbENKUlT_T0_E_clISt17integral_constantIbLb0EES12_IbLb1EEEEDaSY_SZ_EUlSY_E_NS1_11comp_targetILNS1_3genE8ELNS1_11target_archE1030ELNS1_3gpuE2ELNS1_3repE0EEENS1_30default_config_static_selectorELNS0_4arch9wavefront6targetE1EEEvT1_, .Lfunc_end2028-_ZN7rocprim17ROCPRIM_400000_NS6detail17trampoline_kernelINS0_14default_configENS1_27scan_by_key_config_selectorIj11FixedVectorIiLj2EEEEZZNS1_16scan_by_key_implILNS1_25lookback_scan_determinismE0ELb1ES3_N6thrust23THRUST_200600_302600_NS6detail15normal_iteratorINSB_10device_ptrIjEEEENSD_INSE_IS6_EEEESI_S6_NSB_4plusIvEENSB_8equal_toIvEES6_EE10hipError_tPvRmT2_T3_T4_T5_mT6_T7_P12ihipStream_tbENKUlT_T0_E_clISt17integral_constantIbLb0EES12_IbLb1EEEEDaSY_SZ_EUlSY_E_NS1_11comp_targetILNS1_3genE8ELNS1_11target_archE1030ELNS1_3gpuE2ELNS1_3repE0EEENS1_30default_config_static_selectorELNS0_4arch9wavefront6targetE1EEEvT1_
                                        ; -- End function
	.section	.AMDGPU.csdata,"",@progbits
; Kernel info:
; codeLenInByte = 0
; NumSgprs: 6
; NumVgprs: 0
; NumAgprs: 0
; TotalNumVgprs: 0
; ScratchSize: 0
; MemoryBound: 0
; FloatMode: 240
; IeeeMode: 1
; LDSByteSize: 0 bytes/workgroup (compile time only)
; SGPRBlocks: 0
; VGPRBlocks: 0
; NumSGPRsForWavesPerEU: 6
; NumVGPRsForWavesPerEU: 1
; AccumOffset: 4
; Occupancy: 8
; WaveLimiterHint : 0
; COMPUTE_PGM_RSRC2:SCRATCH_EN: 0
; COMPUTE_PGM_RSRC2:USER_SGPR: 2
; COMPUTE_PGM_RSRC2:TRAP_HANDLER: 0
; COMPUTE_PGM_RSRC2:TGID_X_EN: 1
; COMPUTE_PGM_RSRC2:TGID_Y_EN: 0
; COMPUTE_PGM_RSRC2:TGID_Z_EN: 0
; COMPUTE_PGM_RSRC2:TIDIG_COMP_CNT: 0
; COMPUTE_PGM_RSRC3_GFX90A:ACCUM_OFFSET: 0
; COMPUTE_PGM_RSRC3_GFX90A:TG_SPLIT: 0
	.section	.text._ZN6thrust23THRUST_200600_302600_NS11hip_rocprim14__parallel_for6kernelILj256ENS1_10for_each_fINS0_10device_ptrI11FixedVectorIiLj4EEEENS0_6detail16wrapped_functionINS9_23allocator_traits_detail5gozerEvEEEElLj1EEEvT0_T1_SG_,"axG",@progbits,_ZN6thrust23THRUST_200600_302600_NS11hip_rocprim14__parallel_for6kernelILj256ENS1_10for_each_fINS0_10device_ptrI11FixedVectorIiLj4EEEENS0_6detail16wrapped_functionINS9_23allocator_traits_detail5gozerEvEEEElLj1EEEvT0_T1_SG_,comdat
	.protected	_ZN6thrust23THRUST_200600_302600_NS11hip_rocprim14__parallel_for6kernelILj256ENS1_10for_each_fINS0_10device_ptrI11FixedVectorIiLj4EEEENS0_6detail16wrapped_functionINS9_23allocator_traits_detail5gozerEvEEEElLj1EEEvT0_T1_SG_ ; -- Begin function _ZN6thrust23THRUST_200600_302600_NS11hip_rocprim14__parallel_for6kernelILj256ENS1_10for_each_fINS0_10device_ptrI11FixedVectorIiLj4EEEENS0_6detail16wrapped_functionINS9_23allocator_traits_detail5gozerEvEEEElLj1EEEvT0_T1_SG_
	.globl	_ZN6thrust23THRUST_200600_302600_NS11hip_rocprim14__parallel_for6kernelILj256ENS1_10for_each_fINS0_10device_ptrI11FixedVectorIiLj4EEEENS0_6detail16wrapped_functionINS9_23allocator_traits_detail5gozerEvEEEElLj1EEEvT0_T1_SG_
	.p2align	8
	.type	_ZN6thrust23THRUST_200600_302600_NS11hip_rocprim14__parallel_for6kernelILj256ENS1_10for_each_fINS0_10device_ptrI11FixedVectorIiLj4EEEENS0_6detail16wrapped_functionINS9_23allocator_traits_detail5gozerEvEEEElLj1EEEvT0_T1_SG_,@function
_ZN6thrust23THRUST_200600_302600_NS11hip_rocprim14__parallel_for6kernelILj256ENS1_10for_each_fINS0_10device_ptrI11FixedVectorIiLj4EEEENS0_6detail16wrapped_functionINS9_23allocator_traits_detail5gozerEvEEEElLj1EEEvT0_T1_SG_: ; @_ZN6thrust23THRUST_200600_302600_NS11hip_rocprim14__parallel_for6kernelILj256ENS1_10for_each_fINS0_10device_ptrI11FixedVectorIiLj4EEEENS0_6detail16wrapped_functionINS9_23allocator_traits_detail5gozerEvEEEElLj1EEEvT0_T1_SG_
; %bb.0:
	s_endpgm
	.section	.rodata,"a",@progbits
	.p2align	6, 0x0
	.amdhsa_kernel _ZN6thrust23THRUST_200600_302600_NS11hip_rocprim14__parallel_for6kernelILj256ENS1_10for_each_fINS0_10device_ptrI11FixedVectorIiLj4EEEENS0_6detail16wrapped_functionINS9_23allocator_traits_detail5gozerEvEEEElLj1EEEvT0_T1_SG_
		.amdhsa_group_segment_fixed_size 0
		.amdhsa_private_segment_fixed_size 0
		.amdhsa_kernarg_size 32
		.amdhsa_user_sgpr_count 2
		.amdhsa_user_sgpr_dispatch_ptr 0
		.amdhsa_user_sgpr_queue_ptr 0
		.amdhsa_user_sgpr_kernarg_segment_ptr 1
		.amdhsa_user_sgpr_dispatch_id 0
		.amdhsa_user_sgpr_kernarg_preload_length 0
		.amdhsa_user_sgpr_kernarg_preload_offset 0
		.amdhsa_user_sgpr_private_segment_size 0
		.amdhsa_uses_dynamic_stack 0
		.amdhsa_enable_private_segment 0
		.amdhsa_system_sgpr_workgroup_id_x 1
		.amdhsa_system_sgpr_workgroup_id_y 0
		.amdhsa_system_sgpr_workgroup_id_z 0
		.amdhsa_system_sgpr_workgroup_info 0
		.amdhsa_system_vgpr_workitem_id 0
		.amdhsa_next_free_vgpr 1
		.amdhsa_next_free_sgpr 0
		.amdhsa_accum_offset 4
		.amdhsa_reserve_vcc 0
		.amdhsa_float_round_mode_32 0
		.amdhsa_float_round_mode_16_64 0
		.amdhsa_float_denorm_mode_32 3
		.amdhsa_float_denorm_mode_16_64 3
		.amdhsa_dx10_clamp 1
		.amdhsa_ieee_mode 1
		.amdhsa_fp16_overflow 0
		.amdhsa_tg_split 0
		.amdhsa_exception_fp_ieee_invalid_op 0
		.amdhsa_exception_fp_denorm_src 0
		.amdhsa_exception_fp_ieee_div_zero 0
		.amdhsa_exception_fp_ieee_overflow 0
		.amdhsa_exception_fp_ieee_underflow 0
		.amdhsa_exception_fp_ieee_inexact 0
		.amdhsa_exception_int_div_zero 0
	.end_amdhsa_kernel
	.section	.text._ZN6thrust23THRUST_200600_302600_NS11hip_rocprim14__parallel_for6kernelILj256ENS1_10for_each_fINS0_10device_ptrI11FixedVectorIiLj4EEEENS0_6detail16wrapped_functionINS9_23allocator_traits_detail5gozerEvEEEElLj1EEEvT0_T1_SG_,"axG",@progbits,_ZN6thrust23THRUST_200600_302600_NS11hip_rocprim14__parallel_for6kernelILj256ENS1_10for_each_fINS0_10device_ptrI11FixedVectorIiLj4EEEENS0_6detail16wrapped_functionINS9_23allocator_traits_detail5gozerEvEEEElLj1EEEvT0_T1_SG_,comdat
.Lfunc_end2029:
	.size	_ZN6thrust23THRUST_200600_302600_NS11hip_rocprim14__parallel_for6kernelILj256ENS1_10for_each_fINS0_10device_ptrI11FixedVectorIiLj4EEEENS0_6detail16wrapped_functionINS9_23allocator_traits_detail5gozerEvEEEElLj1EEEvT0_T1_SG_, .Lfunc_end2029-_ZN6thrust23THRUST_200600_302600_NS11hip_rocprim14__parallel_for6kernelILj256ENS1_10for_each_fINS0_10device_ptrI11FixedVectorIiLj4EEEENS0_6detail16wrapped_functionINS9_23allocator_traits_detail5gozerEvEEEElLj1EEEvT0_T1_SG_
                                        ; -- End function
	.section	.AMDGPU.csdata,"",@progbits
; Kernel info:
; codeLenInByte = 4
; NumSgprs: 6
; NumVgprs: 0
; NumAgprs: 0
; TotalNumVgprs: 0
; ScratchSize: 0
; MemoryBound: 0
; FloatMode: 240
; IeeeMode: 1
; LDSByteSize: 0 bytes/workgroup (compile time only)
; SGPRBlocks: 0
; VGPRBlocks: 0
; NumSGPRsForWavesPerEU: 6
; NumVGPRsForWavesPerEU: 1
; AccumOffset: 4
; Occupancy: 8
; WaveLimiterHint : 0
; COMPUTE_PGM_RSRC2:SCRATCH_EN: 0
; COMPUTE_PGM_RSRC2:USER_SGPR: 2
; COMPUTE_PGM_RSRC2:TRAP_HANDLER: 0
; COMPUTE_PGM_RSRC2:TGID_X_EN: 1
; COMPUTE_PGM_RSRC2:TGID_Y_EN: 0
; COMPUTE_PGM_RSRC2:TGID_Z_EN: 0
; COMPUTE_PGM_RSRC2:TIDIG_COMP_CNT: 0
; COMPUTE_PGM_RSRC3_GFX90A:ACCUM_OFFSET: 0
; COMPUTE_PGM_RSRC3_GFX90A:TG_SPLIT: 0
	.section	.text._ZN6thrust23THRUST_200600_302600_NS11hip_rocprim14__parallel_for6kernelILj256ENS1_10for_each_fINS0_10device_ptrI11FixedVectorIiLj4EEEENS0_6detail16wrapped_functionINS9_23allocator_traits_detail24construct1_via_allocatorINS0_16device_allocatorIS7_EEEEvEEEEmLj1EEEvT0_T1_SJ_,"axG",@progbits,_ZN6thrust23THRUST_200600_302600_NS11hip_rocprim14__parallel_for6kernelILj256ENS1_10for_each_fINS0_10device_ptrI11FixedVectorIiLj4EEEENS0_6detail16wrapped_functionINS9_23allocator_traits_detail24construct1_via_allocatorINS0_16device_allocatorIS7_EEEEvEEEEmLj1EEEvT0_T1_SJ_,comdat
	.protected	_ZN6thrust23THRUST_200600_302600_NS11hip_rocprim14__parallel_for6kernelILj256ENS1_10for_each_fINS0_10device_ptrI11FixedVectorIiLj4EEEENS0_6detail16wrapped_functionINS9_23allocator_traits_detail24construct1_via_allocatorINS0_16device_allocatorIS7_EEEEvEEEEmLj1EEEvT0_T1_SJ_ ; -- Begin function _ZN6thrust23THRUST_200600_302600_NS11hip_rocprim14__parallel_for6kernelILj256ENS1_10for_each_fINS0_10device_ptrI11FixedVectorIiLj4EEEENS0_6detail16wrapped_functionINS9_23allocator_traits_detail24construct1_via_allocatorINS0_16device_allocatorIS7_EEEEvEEEEmLj1EEEvT0_T1_SJ_
	.globl	_ZN6thrust23THRUST_200600_302600_NS11hip_rocprim14__parallel_for6kernelILj256ENS1_10for_each_fINS0_10device_ptrI11FixedVectorIiLj4EEEENS0_6detail16wrapped_functionINS9_23allocator_traits_detail24construct1_via_allocatorINS0_16device_allocatorIS7_EEEEvEEEEmLj1EEEvT0_T1_SJ_
	.p2align	8
	.type	_ZN6thrust23THRUST_200600_302600_NS11hip_rocprim14__parallel_for6kernelILj256ENS1_10for_each_fINS0_10device_ptrI11FixedVectorIiLj4EEEENS0_6detail16wrapped_functionINS9_23allocator_traits_detail24construct1_via_allocatorINS0_16device_allocatorIS7_EEEEvEEEEmLj1EEEvT0_T1_SJ_,@function
_ZN6thrust23THRUST_200600_302600_NS11hip_rocprim14__parallel_for6kernelILj256ENS1_10for_each_fINS0_10device_ptrI11FixedVectorIiLj4EEEENS0_6detail16wrapped_functionINS9_23allocator_traits_detail24construct1_via_allocatorINS0_16device_allocatorIS7_EEEEvEEEEmLj1EEEvT0_T1_SJ_: ; @_ZN6thrust23THRUST_200600_302600_NS11hip_rocprim14__parallel_for6kernelILj256ENS1_10for_each_fINS0_10device_ptrI11FixedVectorIiLj4EEEENS0_6detail16wrapped_functionINS9_23allocator_traits_detail24construct1_via_allocatorINS0_16device_allocatorIS7_EEEEvEEEEmLj1EEEvT0_T1_SJ_
; %bb.0:
	s_load_dwordx4 s[8:11], s[0:1], 0x10
	s_load_dwordx2 s[4:5], s[0:1], 0x0
	s_lshl_b32 s0, s2, 8
	v_mov_b64_e32 v[2:3], 0x100
	s_mov_b64 s[6:7], -1
	s_waitcnt lgkmcnt(0)
	s_add_u32 s0, s0, s10
	s_addc_u32 s1, 0, s11
	s_sub_u32 s2, s8, s0
	s_subb_u32 s3, s9, s1
	v_cmp_lt_u64_e32 vcc, s[2:3], v[2:3]
	s_cbranch_vccz .LBB2030_5
; %bb.1:
	v_cmp_gt_u32_e32 vcc, s2, v0
	s_and_saveexec_b64 s[2:3], vcc
	s_cbranch_execz .LBB2030_4
; %bb.2:
	s_lshl_b64 s[6:7], s[0:1], 4
	s_add_u32 s6, s4, s6
	s_addc_u32 s7, s5, s7
	v_lshlrev_b32_e32 v2, 4, v0
	v_mov_b32_e32 v3, 0
	v_lshl_add_u64 v[4:5], s[6:7], 0, v[2:3]
	s_mov_b64 s[6:7], 0
	v_mov_b32_e32 v2, v3
.LBB2030_3:                             ; =>This Inner Loop Header: Depth=1
	v_lshl_add_u64 v[6:7], v[4:5], 0, s[6:7]
	s_add_u32 s6, s6, 8
	s_addc_u32 s7, s7, 0
	s_cmp_lg_u32 s6, 16
	flat_store_dwordx2 v[6:7], v[2:3]
	s_cbranch_scc1 .LBB2030_3
.LBB2030_4:
	s_or_b64 exec, exec, s[2:3]
	s_mov_b64 s[6:7], 0
.LBB2030_5:
	s_andn2_b64 vcc, exec, s[6:7]
	s_cbranch_vccnz .LBB2030_8
; %bb.6:
	s_lshl_b64 s[0:1], s[0:1], 4
	s_add_u32 s0, s4, s0
	s_addc_u32 s1, s5, s1
	v_lshlrev_b32_e32 v0, 4, v0
	v_mov_b32_e32 v1, 0
	v_lshl_add_u64 v[2:3], s[0:1], 0, v[0:1]
	s_mov_b64 s[0:1], 0
	v_mov_b32_e32 v0, v1
.LBB2030_7:                             ; =>This Inner Loop Header: Depth=1
	v_lshl_add_u64 v[4:5], v[2:3], 0, s[0:1]
	s_add_u32 s0, s0, 8
	s_addc_u32 s1, s1, 0
	s_cmp_eq_u32 s0, 16
	flat_store_dwordx2 v[4:5], v[0:1]
	s_cbranch_scc0 .LBB2030_7
.LBB2030_8:
	s_endpgm
	.section	.rodata,"a",@progbits
	.p2align	6, 0x0
	.amdhsa_kernel _ZN6thrust23THRUST_200600_302600_NS11hip_rocprim14__parallel_for6kernelILj256ENS1_10for_each_fINS0_10device_ptrI11FixedVectorIiLj4EEEENS0_6detail16wrapped_functionINS9_23allocator_traits_detail24construct1_via_allocatorINS0_16device_allocatorIS7_EEEEvEEEEmLj1EEEvT0_T1_SJ_
		.amdhsa_group_segment_fixed_size 0
		.amdhsa_private_segment_fixed_size 0
		.amdhsa_kernarg_size 32
		.amdhsa_user_sgpr_count 2
		.amdhsa_user_sgpr_dispatch_ptr 0
		.amdhsa_user_sgpr_queue_ptr 0
		.amdhsa_user_sgpr_kernarg_segment_ptr 1
		.amdhsa_user_sgpr_dispatch_id 0
		.amdhsa_user_sgpr_kernarg_preload_length 0
		.amdhsa_user_sgpr_kernarg_preload_offset 0
		.amdhsa_user_sgpr_private_segment_size 0
		.amdhsa_uses_dynamic_stack 0
		.amdhsa_enable_private_segment 0
		.amdhsa_system_sgpr_workgroup_id_x 1
		.amdhsa_system_sgpr_workgroup_id_y 0
		.amdhsa_system_sgpr_workgroup_id_z 0
		.amdhsa_system_sgpr_workgroup_info 0
		.amdhsa_system_vgpr_workitem_id 0
		.amdhsa_next_free_vgpr 8
		.amdhsa_next_free_sgpr 12
		.amdhsa_accum_offset 8
		.amdhsa_reserve_vcc 1
		.amdhsa_float_round_mode_32 0
		.amdhsa_float_round_mode_16_64 0
		.amdhsa_float_denorm_mode_32 3
		.amdhsa_float_denorm_mode_16_64 3
		.amdhsa_dx10_clamp 1
		.amdhsa_ieee_mode 1
		.amdhsa_fp16_overflow 0
		.amdhsa_tg_split 0
		.amdhsa_exception_fp_ieee_invalid_op 0
		.amdhsa_exception_fp_denorm_src 0
		.amdhsa_exception_fp_ieee_div_zero 0
		.amdhsa_exception_fp_ieee_overflow 0
		.amdhsa_exception_fp_ieee_underflow 0
		.amdhsa_exception_fp_ieee_inexact 0
		.amdhsa_exception_int_div_zero 0
	.end_amdhsa_kernel
	.section	.text._ZN6thrust23THRUST_200600_302600_NS11hip_rocprim14__parallel_for6kernelILj256ENS1_10for_each_fINS0_10device_ptrI11FixedVectorIiLj4EEEENS0_6detail16wrapped_functionINS9_23allocator_traits_detail24construct1_via_allocatorINS0_16device_allocatorIS7_EEEEvEEEEmLj1EEEvT0_T1_SJ_,"axG",@progbits,_ZN6thrust23THRUST_200600_302600_NS11hip_rocprim14__parallel_for6kernelILj256ENS1_10for_each_fINS0_10device_ptrI11FixedVectorIiLj4EEEENS0_6detail16wrapped_functionINS9_23allocator_traits_detail24construct1_via_allocatorINS0_16device_allocatorIS7_EEEEvEEEEmLj1EEEvT0_T1_SJ_,comdat
.Lfunc_end2030:
	.size	_ZN6thrust23THRUST_200600_302600_NS11hip_rocprim14__parallel_for6kernelILj256ENS1_10for_each_fINS0_10device_ptrI11FixedVectorIiLj4EEEENS0_6detail16wrapped_functionINS9_23allocator_traits_detail24construct1_via_allocatorINS0_16device_allocatorIS7_EEEEvEEEEmLj1EEEvT0_T1_SJ_, .Lfunc_end2030-_ZN6thrust23THRUST_200600_302600_NS11hip_rocprim14__parallel_for6kernelILj256ENS1_10for_each_fINS0_10device_ptrI11FixedVectorIiLj4EEEENS0_6detail16wrapped_functionINS9_23allocator_traits_detail24construct1_via_allocatorINS0_16device_allocatorIS7_EEEEvEEEEmLj1EEEvT0_T1_SJ_
                                        ; -- End function
	.section	.AMDGPU.csdata,"",@progbits
; Kernel info:
; codeLenInByte = 228
; NumSgprs: 18
; NumVgprs: 8
; NumAgprs: 0
; TotalNumVgprs: 8
; ScratchSize: 0
; MemoryBound: 0
; FloatMode: 240
; IeeeMode: 1
; LDSByteSize: 0 bytes/workgroup (compile time only)
; SGPRBlocks: 2
; VGPRBlocks: 0
; NumSGPRsForWavesPerEU: 18
; NumVGPRsForWavesPerEU: 8
; AccumOffset: 8
; Occupancy: 8
; WaveLimiterHint : 0
; COMPUTE_PGM_RSRC2:SCRATCH_EN: 0
; COMPUTE_PGM_RSRC2:USER_SGPR: 2
; COMPUTE_PGM_RSRC2:TRAP_HANDLER: 0
; COMPUTE_PGM_RSRC2:TGID_X_EN: 1
; COMPUTE_PGM_RSRC2:TGID_Y_EN: 0
; COMPUTE_PGM_RSRC2:TGID_Z_EN: 0
; COMPUTE_PGM_RSRC2:TIDIG_COMP_CNT: 0
; COMPUTE_PGM_RSRC3_GFX90A:ACCUM_OFFSET: 1
; COMPUTE_PGM_RSRC3_GFX90A:TG_SPLIT: 0
	.section	.text._ZN7rocprim17ROCPRIM_400000_NS6detail30init_device_scan_by_key_kernelINS1_19lookback_scan_stateINS0_5tupleIJ11FixedVectorIiLj4EEbEEELb0ELb0EEEN6thrust23THRUST_200600_302600_NS6detail15normal_iteratorINSA_10device_ptrIjEEEEjNS1_16block_id_wrapperIjLb0EEEEEvT_jjPNSI_10value_typeET0_PNSt15iterator_traitsISL_E10value_typeEmT1_T2_,"axG",@progbits,_ZN7rocprim17ROCPRIM_400000_NS6detail30init_device_scan_by_key_kernelINS1_19lookback_scan_stateINS0_5tupleIJ11FixedVectorIiLj4EEbEEELb0ELb0EEEN6thrust23THRUST_200600_302600_NS6detail15normal_iteratorINSA_10device_ptrIjEEEEjNS1_16block_id_wrapperIjLb0EEEEEvT_jjPNSI_10value_typeET0_PNSt15iterator_traitsISL_E10value_typeEmT1_T2_,comdat
	.protected	_ZN7rocprim17ROCPRIM_400000_NS6detail30init_device_scan_by_key_kernelINS1_19lookback_scan_stateINS0_5tupleIJ11FixedVectorIiLj4EEbEEELb0ELb0EEEN6thrust23THRUST_200600_302600_NS6detail15normal_iteratorINSA_10device_ptrIjEEEEjNS1_16block_id_wrapperIjLb0EEEEEvT_jjPNSI_10value_typeET0_PNSt15iterator_traitsISL_E10value_typeEmT1_T2_ ; -- Begin function _ZN7rocprim17ROCPRIM_400000_NS6detail30init_device_scan_by_key_kernelINS1_19lookback_scan_stateINS0_5tupleIJ11FixedVectorIiLj4EEbEEELb0ELb0EEEN6thrust23THRUST_200600_302600_NS6detail15normal_iteratorINSA_10device_ptrIjEEEEjNS1_16block_id_wrapperIjLb0EEEEEvT_jjPNSI_10value_typeET0_PNSt15iterator_traitsISL_E10value_typeEmT1_T2_
	.globl	_ZN7rocprim17ROCPRIM_400000_NS6detail30init_device_scan_by_key_kernelINS1_19lookback_scan_stateINS0_5tupleIJ11FixedVectorIiLj4EEbEEELb0ELb0EEEN6thrust23THRUST_200600_302600_NS6detail15normal_iteratorINSA_10device_ptrIjEEEEjNS1_16block_id_wrapperIjLb0EEEEEvT_jjPNSI_10value_typeET0_PNSt15iterator_traitsISL_E10value_typeEmT1_T2_
	.p2align	8
	.type	_ZN7rocprim17ROCPRIM_400000_NS6detail30init_device_scan_by_key_kernelINS1_19lookback_scan_stateINS0_5tupleIJ11FixedVectorIiLj4EEbEEELb0ELb0EEEN6thrust23THRUST_200600_302600_NS6detail15normal_iteratorINSA_10device_ptrIjEEEEjNS1_16block_id_wrapperIjLb0EEEEEvT_jjPNSI_10value_typeET0_PNSt15iterator_traitsISL_E10value_typeEmT1_T2_,@function
_ZN7rocprim17ROCPRIM_400000_NS6detail30init_device_scan_by_key_kernelINS1_19lookback_scan_stateINS0_5tupleIJ11FixedVectorIiLj4EEbEEELb0ELb0EEEN6thrust23THRUST_200600_302600_NS6detail15normal_iteratorINSA_10device_ptrIjEEEEjNS1_16block_id_wrapperIjLb0EEEEEvT_jjPNSI_10value_typeET0_PNSt15iterator_traitsISL_E10value_typeEmT1_T2_: ; @_ZN7rocprim17ROCPRIM_400000_NS6detail30init_device_scan_by_key_kernelINS1_19lookback_scan_stateINS0_5tupleIJ11FixedVectorIiLj4EEbEEELb0ELb0EEEN6thrust23THRUST_200600_302600_NS6detail15normal_iteratorINSA_10device_ptrIjEEEEjNS1_16block_id_wrapperIjLb0EEEEEvT_jjPNSI_10value_typeET0_PNSt15iterator_traitsISL_E10value_typeEmT1_T2_
; %bb.0:
	s_load_dword s3, s[0:1], 0x54
	s_load_dwordx8 s[4:11], s[0:1], 0x10
	s_load_dword s18, s[0:1], 0x48
	s_waitcnt lgkmcnt(0)
	s_and_b32 s19, s3, 0xffff
	s_mul_i32 s2, s2, s19
	s_cmp_eq_u64 s[8:9], 0
	v_add_u32_e32 v0, s2, v0
	s_cbranch_scc1 .LBB2031_7
; %bb.1:
	s_cmp_lt_u32 s7, s6
	s_cselect_b32 s2, s7, 0
	v_cmp_eq_u32_e32 vcc, s2, v0
	s_and_saveexec_b64 s[2:3], vcc
	s_cbranch_execz .LBB2031_6
; %bb.2:
	s_add_i32 s7, s7, 64
	v_mov_b32_e32 v1, s7
	global_load_ubyte v1, v1, s[4:5] sc1
	s_load_dwordx4 s[12:15], s[0:1], 0x0
	s_add_u32 s16, s4, s7
	s_addc_u32 s17, s5, 0
	s_waitcnt vmcnt(0)
	v_cmp_ne_u16_e32 vcc, 0, v1
	v_readfirstlane_b32 s20, v1
	s_cbranch_vccnz .LBB2031_5
; %bb.3:
	v_mov_b32_e32 v1, 0
.LBB2031_4:                             ; =>This Inner Loop Header: Depth=1
	global_load_ubyte v2, v1, s[16:17] sc1
	s_waitcnt vmcnt(0)
	v_cmp_eq_u16_e32 vcc, 0, v2
	v_readfirstlane_b32 s20, v2
	s_cbranch_vccnz .LBB2031_4
.LBB2031_5:
	s_and_b32 s16, 0xffff, s20
	s_cmp_eq_u32 s16, 1
	s_waitcnt lgkmcnt(0)
	s_cselect_b32 s12, s12, s14
	s_mul_hi_u32 s14, s7, 20
	s_mul_i32 s7, s7, 20
	s_cselect_b32 s13, s13, s15
	s_add_u32 s12, s12, s7
	s_addc_u32 s13, s13, s14
	v_mov_b32_e32 v1, 0
	s_waitcnt vmcnt(0)
	global_load_dword v2, v1, s[12:13] sc1
	global_load_dword v3, v1, s[12:13] offset:4 sc1
	global_load_dword v4, v1, s[12:13] offset:8 sc1
	;; [unrolled: 1-line block ×4, first 2 shown]
	s_waitcnt vmcnt(1)
	global_store_dwordx4 v1, v[2:5], s[8:9]
	s_waitcnt vmcnt(1)
	global_store_byte v1, v6, s[8:9] offset:16
.LBB2031_6:
	s_or_b64 exec, exec, s[2:3]
.LBB2031_7:
	v_cmp_gt_u32_e32 vcc, s6, v0
	s_and_saveexec_b64 s[2:3], vcc
	s_cbranch_execz .LBB2031_9
; %bb.8:
	v_add_u32_e32 v1, 64, v0
	v_mov_b32_e32 v2, 0
	global_store_byte v1, v2, s[4:5]
.LBB2031_9:
	s_or_b64 exec, exec, s[2:3]
	v_cmp_gt_u32_e32 vcc, 64, v0
	v_mov_b32_e32 v1, 0
	s_and_saveexec_b64 s[2:3], vcc
	s_cbranch_execz .LBB2031_11
; %bb.10:
	v_lshl_add_u64 v[2:3], s[4:5], 0, v[0:1]
	v_mov_b32_e32 v4, 0xff
	global_store_byte v[2:3], v4, off
.LBB2031_11:
	s_or_b64 exec, exec, s[2:3]
	s_load_dwordx2 s[2:3], s[0:1], 0x38
	s_waitcnt lgkmcnt(0)
	v_cmp_gt_u64_e32 vcc, s[2:3], v[0:1]
	s_and_saveexec_b64 s[4:5], vcc
	s_cbranch_execz .LBB2031_14
; %bb.12:
	s_load_dword s12, s[0:1], 0x40
	s_load_dwordx2 s[6:7], s[0:1], 0x30
	s_mov_b32 s5, 0
	s_mov_b32 s1, s5
	s_mul_i32 s0, s18, s19
	s_waitcnt lgkmcnt(0)
	s_add_i32 s4, s12, -1
	s_lshl_b64 s[4:5], s[4:5], 2
	s_add_u32 s4, s10, s4
	v_mad_u64_u32 v[2:3], s[8:9], s12, v0, 0
	s_addc_u32 s5, s11, s5
	v_lshl_add_u64 v[2:3], v[2:3], 2, s[4:5]
	s_mul_hi_u32 s5, s12, s0
	s_mul_i32 s4, s12, s0
	s_lshl_b64 s[4:5], s[4:5], 2
	v_lshl_add_u64 v[4:5], v[0:1], 2, s[6:7]
	s_lshl_b64 s[6:7], s[0:1], 2
	s_mov_b64 s[8:9], 0
.LBB2031_13:                            ; =>This Inner Loop Header: Depth=1
	global_load_dword v6, v[2:3], off
	v_lshl_add_u64 v[0:1], v[0:1], 0, s[0:1]
	v_cmp_le_u64_e32 vcc, s[2:3], v[0:1]
	v_lshl_add_u64 v[2:3], v[2:3], 0, s[4:5]
	s_or_b64 s[8:9], vcc, s[8:9]
	s_waitcnt vmcnt(0)
	global_store_dword v[4:5], v6, off
	v_lshl_add_u64 v[4:5], v[4:5], 0, s[6:7]
	s_andn2_b64 exec, exec, s[8:9]
	s_cbranch_execnz .LBB2031_13
.LBB2031_14:
	s_endpgm
	.section	.rodata,"a",@progbits
	.p2align	6, 0x0
	.amdhsa_kernel _ZN7rocprim17ROCPRIM_400000_NS6detail30init_device_scan_by_key_kernelINS1_19lookback_scan_stateINS0_5tupleIJ11FixedVectorIiLj4EEbEEELb0ELb0EEEN6thrust23THRUST_200600_302600_NS6detail15normal_iteratorINSA_10device_ptrIjEEEEjNS1_16block_id_wrapperIjLb0EEEEEvT_jjPNSI_10value_typeET0_PNSt15iterator_traitsISL_E10value_typeEmT1_T2_
		.amdhsa_group_segment_fixed_size 0
		.amdhsa_private_segment_fixed_size 0
		.amdhsa_kernarg_size 328
		.amdhsa_user_sgpr_count 2
		.amdhsa_user_sgpr_dispatch_ptr 0
		.amdhsa_user_sgpr_queue_ptr 0
		.amdhsa_user_sgpr_kernarg_segment_ptr 1
		.amdhsa_user_sgpr_dispatch_id 0
		.amdhsa_user_sgpr_kernarg_preload_length 0
		.amdhsa_user_sgpr_kernarg_preload_offset 0
		.amdhsa_user_sgpr_private_segment_size 0
		.amdhsa_uses_dynamic_stack 0
		.amdhsa_enable_private_segment 0
		.amdhsa_system_sgpr_workgroup_id_x 1
		.amdhsa_system_sgpr_workgroup_id_y 0
		.amdhsa_system_sgpr_workgroup_id_z 0
		.amdhsa_system_sgpr_workgroup_info 0
		.amdhsa_system_vgpr_workitem_id 0
		.amdhsa_next_free_vgpr 7
		.amdhsa_next_free_sgpr 21
		.amdhsa_accum_offset 8
		.amdhsa_reserve_vcc 1
		.amdhsa_float_round_mode_32 0
		.amdhsa_float_round_mode_16_64 0
		.amdhsa_float_denorm_mode_32 3
		.amdhsa_float_denorm_mode_16_64 3
		.amdhsa_dx10_clamp 1
		.amdhsa_ieee_mode 1
		.amdhsa_fp16_overflow 0
		.amdhsa_tg_split 0
		.amdhsa_exception_fp_ieee_invalid_op 0
		.amdhsa_exception_fp_denorm_src 0
		.amdhsa_exception_fp_ieee_div_zero 0
		.amdhsa_exception_fp_ieee_overflow 0
		.amdhsa_exception_fp_ieee_underflow 0
		.amdhsa_exception_fp_ieee_inexact 0
		.amdhsa_exception_int_div_zero 0
	.end_amdhsa_kernel
	.section	.text._ZN7rocprim17ROCPRIM_400000_NS6detail30init_device_scan_by_key_kernelINS1_19lookback_scan_stateINS0_5tupleIJ11FixedVectorIiLj4EEbEEELb0ELb0EEEN6thrust23THRUST_200600_302600_NS6detail15normal_iteratorINSA_10device_ptrIjEEEEjNS1_16block_id_wrapperIjLb0EEEEEvT_jjPNSI_10value_typeET0_PNSt15iterator_traitsISL_E10value_typeEmT1_T2_,"axG",@progbits,_ZN7rocprim17ROCPRIM_400000_NS6detail30init_device_scan_by_key_kernelINS1_19lookback_scan_stateINS0_5tupleIJ11FixedVectorIiLj4EEbEEELb0ELb0EEEN6thrust23THRUST_200600_302600_NS6detail15normal_iteratorINSA_10device_ptrIjEEEEjNS1_16block_id_wrapperIjLb0EEEEEvT_jjPNSI_10value_typeET0_PNSt15iterator_traitsISL_E10value_typeEmT1_T2_,comdat
.Lfunc_end2031:
	.size	_ZN7rocprim17ROCPRIM_400000_NS6detail30init_device_scan_by_key_kernelINS1_19lookback_scan_stateINS0_5tupleIJ11FixedVectorIiLj4EEbEEELb0ELb0EEEN6thrust23THRUST_200600_302600_NS6detail15normal_iteratorINSA_10device_ptrIjEEEEjNS1_16block_id_wrapperIjLb0EEEEEvT_jjPNSI_10value_typeET0_PNSt15iterator_traitsISL_E10value_typeEmT1_T2_, .Lfunc_end2031-_ZN7rocprim17ROCPRIM_400000_NS6detail30init_device_scan_by_key_kernelINS1_19lookback_scan_stateINS0_5tupleIJ11FixedVectorIiLj4EEbEEELb0ELb0EEEN6thrust23THRUST_200600_302600_NS6detail15normal_iteratorINSA_10device_ptrIjEEEEjNS1_16block_id_wrapperIjLb0EEEEEvT_jjPNSI_10value_typeET0_PNSt15iterator_traitsISL_E10value_typeEmT1_T2_
                                        ; -- End function
	.section	.AMDGPU.csdata,"",@progbits
; Kernel info:
; codeLenInByte = 520
; NumSgprs: 27
; NumVgprs: 7
; NumAgprs: 0
; TotalNumVgprs: 7
; ScratchSize: 0
; MemoryBound: 0
; FloatMode: 240
; IeeeMode: 1
; LDSByteSize: 0 bytes/workgroup (compile time only)
; SGPRBlocks: 3
; VGPRBlocks: 0
; NumSGPRsForWavesPerEU: 27
; NumVGPRsForWavesPerEU: 7
; AccumOffset: 8
; Occupancy: 8
; WaveLimiterHint : 0
; COMPUTE_PGM_RSRC2:SCRATCH_EN: 0
; COMPUTE_PGM_RSRC2:USER_SGPR: 2
; COMPUTE_PGM_RSRC2:TRAP_HANDLER: 0
; COMPUTE_PGM_RSRC2:TGID_X_EN: 1
; COMPUTE_PGM_RSRC2:TGID_Y_EN: 0
; COMPUTE_PGM_RSRC2:TGID_Z_EN: 0
; COMPUTE_PGM_RSRC2:TIDIG_COMP_CNT: 0
; COMPUTE_PGM_RSRC3_GFX90A:ACCUM_OFFSET: 1
; COMPUTE_PGM_RSRC3_GFX90A:TG_SPLIT: 0
	.section	.text._ZN7rocprim17ROCPRIM_400000_NS6detail30init_device_scan_by_key_kernelINS1_19lookback_scan_stateINS0_5tupleIJ11FixedVectorIiLj4EEbEEELb0ELb0EEENS1_16block_id_wrapperIjLb0EEEEEvT_jjPNSB_10value_typeET0_,"axG",@progbits,_ZN7rocprim17ROCPRIM_400000_NS6detail30init_device_scan_by_key_kernelINS1_19lookback_scan_stateINS0_5tupleIJ11FixedVectorIiLj4EEbEEELb0ELb0EEENS1_16block_id_wrapperIjLb0EEEEEvT_jjPNSB_10value_typeET0_,comdat
	.protected	_ZN7rocprim17ROCPRIM_400000_NS6detail30init_device_scan_by_key_kernelINS1_19lookback_scan_stateINS0_5tupleIJ11FixedVectorIiLj4EEbEEELb0ELb0EEENS1_16block_id_wrapperIjLb0EEEEEvT_jjPNSB_10value_typeET0_ ; -- Begin function _ZN7rocprim17ROCPRIM_400000_NS6detail30init_device_scan_by_key_kernelINS1_19lookback_scan_stateINS0_5tupleIJ11FixedVectorIiLj4EEbEEELb0ELb0EEENS1_16block_id_wrapperIjLb0EEEEEvT_jjPNSB_10value_typeET0_
	.globl	_ZN7rocprim17ROCPRIM_400000_NS6detail30init_device_scan_by_key_kernelINS1_19lookback_scan_stateINS0_5tupleIJ11FixedVectorIiLj4EEbEEELb0ELb0EEENS1_16block_id_wrapperIjLb0EEEEEvT_jjPNSB_10value_typeET0_
	.p2align	8
	.type	_ZN7rocprim17ROCPRIM_400000_NS6detail30init_device_scan_by_key_kernelINS1_19lookback_scan_stateINS0_5tupleIJ11FixedVectorIiLj4EEbEEELb0ELb0EEENS1_16block_id_wrapperIjLb0EEEEEvT_jjPNSB_10value_typeET0_,@function
_ZN7rocprim17ROCPRIM_400000_NS6detail30init_device_scan_by_key_kernelINS1_19lookback_scan_stateINS0_5tupleIJ11FixedVectorIiLj4EEbEEELb0ELb0EEENS1_16block_id_wrapperIjLb0EEEEEvT_jjPNSB_10value_typeET0_: ; @_ZN7rocprim17ROCPRIM_400000_NS6detail30init_device_scan_by_key_kernelINS1_19lookback_scan_stateINS0_5tupleIJ11FixedVectorIiLj4EEbEEELb0ELb0EEENS1_16block_id_wrapperIjLb0EEEEEvT_jjPNSB_10value_typeET0_
; %bb.0:
	s_load_dword s3, s[0:1], 0x3c
	s_load_dwordx2 s[8:9], s[0:1], 0x20
	s_load_dwordx4 s[4:7], s[0:1], 0x10
	s_waitcnt lgkmcnt(0)
	s_and_b32 s3, s3, 0xffff
	s_mul_i32 s2, s2, s3
	s_cmp_eq_u64 s[8:9], 0
	v_add_u32_e32 v0, s2, v0
	s_cbranch_scc1 .LBB2032_7
; %bb.1:
	s_cmp_lt_u32 s7, s6
	s_cselect_b32 s2, s7, 0
	v_cmp_eq_u32_e32 vcc, s2, v0
	s_and_saveexec_b64 s[10:11], vcc
	s_cbranch_execz .LBB2032_6
; %bb.2:
	s_add_i32 s7, s7, 64
	v_mov_b32_e32 v1, s7
	global_load_ubyte v1, v1, s[4:5] sc1
	s_load_dwordx4 s[0:3], s[0:1], 0x0
	s_add_u32 s12, s4, s7
	s_addc_u32 s13, s5, 0
	s_waitcnt vmcnt(0)
	v_cmp_ne_u16_e32 vcc, 0, v1
	v_readfirstlane_b32 s14, v1
	s_cbranch_vccnz .LBB2032_5
; %bb.3:
	v_mov_b32_e32 v1, 0
.LBB2032_4:                             ; =>This Inner Loop Header: Depth=1
	global_load_ubyte v2, v1, s[12:13] sc1
	s_waitcnt vmcnt(0)
	v_cmp_eq_u16_e32 vcc, 0, v2
	v_readfirstlane_b32 s14, v2
	s_cbranch_vccnz .LBB2032_4
.LBB2032_5:
	s_and_b32 s12, 0xffff, s14
	s_cmp_eq_u32 s12, 1
	s_waitcnt lgkmcnt(0)
	s_cselect_b32 s1, s1, s3
	s_cselect_b32 s0, s0, s2
	s_mul_i32 s3, s7, 20
	s_mul_hi_u32 s2, s7, 20
	s_add_u32 s0, s0, s3
	s_addc_u32 s1, s1, s2
	v_mov_b32_e32 v1, 0
	s_waitcnt vmcnt(0)
	global_load_dword v2, v1, s[0:1] sc1
	global_load_dword v3, v1, s[0:1] offset:4 sc1
	global_load_dword v4, v1, s[0:1] offset:8 sc1
	;; [unrolled: 1-line block ×4, first 2 shown]
	s_waitcnt vmcnt(1)
	global_store_dwordx4 v1, v[2:5], s[8:9]
	s_waitcnt vmcnt(1)
	global_store_byte v1, v6, s[8:9] offset:16
.LBB2032_6:
	s_or_b64 exec, exec, s[10:11]
.LBB2032_7:
	v_cmp_gt_u32_e32 vcc, s6, v0
	s_and_saveexec_b64 s[0:1], vcc
	s_cbranch_execnz .LBB2032_10
; %bb.8:
	s_or_b64 exec, exec, s[0:1]
	v_cmp_gt_u32_e32 vcc, 64, v0
	s_and_saveexec_b64 s[0:1], vcc
	s_cbranch_execnz .LBB2032_11
.LBB2032_9:
	s_endpgm
.LBB2032_10:
	v_add_u32_e32 v1, 64, v0
	v_mov_b32_e32 v2, 0
	global_store_byte v1, v2, s[4:5]
	s_or_b64 exec, exec, s[0:1]
	v_cmp_gt_u32_e32 vcc, 64, v0
	s_and_saveexec_b64 s[0:1], vcc
	s_cbranch_execz .LBB2032_9
.LBB2032_11:
	v_mov_b32_e32 v1, 0xff
	global_store_byte v0, v1, s[4:5]
	s_endpgm
	.section	.rodata,"a",@progbits
	.p2align	6, 0x0
	.amdhsa_kernel _ZN7rocprim17ROCPRIM_400000_NS6detail30init_device_scan_by_key_kernelINS1_19lookback_scan_stateINS0_5tupleIJ11FixedVectorIiLj4EEbEEELb0ELb0EEENS1_16block_id_wrapperIjLb0EEEEEvT_jjPNSB_10value_typeET0_
		.amdhsa_group_segment_fixed_size 0
		.amdhsa_private_segment_fixed_size 0
		.amdhsa_kernarg_size 304
		.amdhsa_user_sgpr_count 2
		.amdhsa_user_sgpr_dispatch_ptr 0
		.amdhsa_user_sgpr_queue_ptr 0
		.amdhsa_user_sgpr_kernarg_segment_ptr 1
		.amdhsa_user_sgpr_dispatch_id 0
		.amdhsa_user_sgpr_kernarg_preload_length 0
		.amdhsa_user_sgpr_kernarg_preload_offset 0
		.amdhsa_user_sgpr_private_segment_size 0
		.amdhsa_uses_dynamic_stack 0
		.amdhsa_enable_private_segment 0
		.amdhsa_system_sgpr_workgroup_id_x 1
		.amdhsa_system_sgpr_workgroup_id_y 0
		.amdhsa_system_sgpr_workgroup_id_z 0
		.amdhsa_system_sgpr_workgroup_info 0
		.amdhsa_system_vgpr_workitem_id 0
		.amdhsa_next_free_vgpr 7
		.amdhsa_next_free_sgpr 15
		.amdhsa_accum_offset 8
		.amdhsa_reserve_vcc 1
		.amdhsa_float_round_mode_32 0
		.amdhsa_float_round_mode_16_64 0
		.amdhsa_float_denorm_mode_32 3
		.amdhsa_float_denorm_mode_16_64 3
		.amdhsa_dx10_clamp 1
		.amdhsa_ieee_mode 1
		.amdhsa_fp16_overflow 0
		.amdhsa_tg_split 0
		.amdhsa_exception_fp_ieee_invalid_op 0
		.amdhsa_exception_fp_denorm_src 0
		.amdhsa_exception_fp_ieee_div_zero 0
		.amdhsa_exception_fp_ieee_overflow 0
		.amdhsa_exception_fp_ieee_underflow 0
		.amdhsa_exception_fp_ieee_inexact 0
		.amdhsa_exception_int_div_zero 0
	.end_amdhsa_kernel
	.section	.text._ZN7rocprim17ROCPRIM_400000_NS6detail30init_device_scan_by_key_kernelINS1_19lookback_scan_stateINS0_5tupleIJ11FixedVectorIiLj4EEbEEELb0ELb0EEENS1_16block_id_wrapperIjLb0EEEEEvT_jjPNSB_10value_typeET0_,"axG",@progbits,_ZN7rocprim17ROCPRIM_400000_NS6detail30init_device_scan_by_key_kernelINS1_19lookback_scan_stateINS0_5tupleIJ11FixedVectorIiLj4EEbEEELb0ELb0EEENS1_16block_id_wrapperIjLb0EEEEEvT_jjPNSB_10value_typeET0_,comdat
.Lfunc_end2032:
	.size	_ZN7rocprim17ROCPRIM_400000_NS6detail30init_device_scan_by_key_kernelINS1_19lookback_scan_stateINS0_5tupleIJ11FixedVectorIiLj4EEbEEELb0ELb0EEENS1_16block_id_wrapperIjLb0EEEEEvT_jjPNSB_10value_typeET0_, .Lfunc_end2032-_ZN7rocprim17ROCPRIM_400000_NS6detail30init_device_scan_by_key_kernelINS1_19lookback_scan_stateINS0_5tupleIJ11FixedVectorIiLj4EEbEEELb0ELb0EEENS1_16block_id_wrapperIjLb0EEEEEvT_jjPNSB_10value_typeET0_
                                        ; -- End function
	.section	.AMDGPU.csdata,"",@progbits
; Kernel info:
; codeLenInByte = 348
; NumSgprs: 21
; NumVgprs: 7
; NumAgprs: 0
; TotalNumVgprs: 7
; ScratchSize: 0
; MemoryBound: 0
; FloatMode: 240
; IeeeMode: 1
; LDSByteSize: 0 bytes/workgroup (compile time only)
; SGPRBlocks: 2
; VGPRBlocks: 0
; NumSGPRsForWavesPerEU: 21
; NumVGPRsForWavesPerEU: 7
; AccumOffset: 8
; Occupancy: 8
; WaveLimiterHint : 0
; COMPUTE_PGM_RSRC2:SCRATCH_EN: 0
; COMPUTE_PGM_RSRC2:USER_SGPR: 2
; COMPUTE_PGM_RSRC2:TRAP_HANDLER: 0
; COMPUTE_PGM_RSRC2:TGID_X_EN: 1
; COMPUTE_PGM_RSRC2:TGID_Y_EN: 0
; COMPUTE_PGM_RSRC2:TGID_Z_EN: 0
; COMPUTE_PGM_RSRC2:TIDIG_COMP_CNT: 0
; COMPUTE_PGM_RSRC3_GFX90A:ACCUM_OFFSET: 1
; COMPUTE_PGM_RSRC3_GFX90A:TG_SPLIT: 0
	.section	.text._ZN7rocprim17ROCPRIM_400000_NS6detail17trampoline_kernelINS0_14default_configENS1_27scan_by_key_config_selectorIj11FixedVectorIiLj4EEEEZZNS1_16scan_by_key_implILNS1_25lookback_scan_determinismE0ELb0ES3_N6thrust23THRUST_200600_302600_NS6detail15normal_iteratorINSB_10device_ptrIjEEEENSD_INSE_IS6_EEEESI_S6_NSB_4plusIvEENSB_8equal_toIvEES6_EE10hipError_tPvRmT2_T3_T4_T5_mT6_T7_P12ihipStream_tbENKUlT_T0_E_clISt17integral_constantIbLb0EES13_EEDaSY_SZ_EUlSY_E_NS1_11comp_targetILNS1_3genE0ELNS1_11target_archE4294967295ELNS1_3gpuE0ELNS1_3repE0EEENS1_30default_config_static_selectorELNS0_4arch9wavefront6targetE1EEEvT1_,"axG",@progbits,_ZN7rocprim17ROCPRIM_400000_NS6detail17trampoline_kernelINS0_14default_configENS1_27scan_by_key_config_selectorIj11FixedVectorIiLj4EEEEZZNS1_16scan_by_key_implILNS1_25lookback_scan_determinismE0ELb0ES3_N6thrust23THRUST_200600_302600_NS6detail15normal_iteratorINSB_10device_ptrIjEEEENSD_INSE_IS6_EEEESI_S6_NSB_4plusIvEENSB_8equal_toIvEES6_EE10hipError_tPvRmT2_T3_T4_T5_mT6_T7_P12ihipStream_tbENKUlT_T0_E_clISt17integral_constantIbLb0EES13_EEDaSY_SZ_EUlSY_E_NS1_11comp_targetILNS1_3genE0ELNS1_11target_archE4294967295ELNS1_3gpuE0ELNS1_3repE0EEENS1_30default_config_static_selectorELNS0_4arch9wavefront6targetE1EEEvT1_,comdat
	.protected	_ZN7rocprim17ROCPRIM_400000_NS6detail17trampoline_kernelINS0_14default_configENS1_27scan_by_key_config_selectorIj11FixedVectorIiLj4EEEEZZNS1_16scan_by_key_implILNS1_25lookback_scan_determinismE0ELb0ES3_N6thrust23THRUST_200600_302600_NS6detail15normal_iteratorINSB_10device_ptrIjEEEENSD_INSE_IS6_EEEESI_S6_NSB_4plusIvEENSB_8equal_toIvEES6_EE10hipError_tPvRmT2_T3_T4_T5_mT6_T7_P12ihipStream_tbENKUlT_T0_E_clISt17integral_constantIbLb0EES13_EEDaSY_SZ_EUlSY_E_NS1_11comp_targetILNS1_3genE0ELNS1_11target_archE4294967295ELNS1_3gpuE0ELNS1_3repE0EEENS1_30default_config_static_selectorELNS0_4arch9wavefront6targetE1EEEvT1_ ; -- Begin function _ZN7rocprim17ROCPRIM_400000_NS6detail17trampoline_kernelINS0_14default_configENS1_27scan_by_key_config_selectorIj11FixedVectorIiLj4EEEEZZNS1_16scan_by_key_implILNS1_25lookback_scan_determinismE0ELb0ES3_N6thrust23THRUST_200600_302600_NS6detail15normal_iteratorINSB_10device_ptrIjEEEENSD_INSE_IS6_EEEESI_S6_NSB_4plusIvEENSB_8equal_toIvEES6_EE10hipError_tPvRmT2_T3_T4_T5_mT6_T7_P12ihipStream_tbENKUlT_T0_E_clISt17integral_constantIbLb0EES13_EEDaSY_SZ_EUlSY_E_NS1_11comp_targetILNS1_3genE0ELNS1_11target_archE4294967295ELNS1_3gpuE0ELNS1_3repE0EEENS1_30default_config_static_selectorELNS0_4arch9wavefront6targetE1EEEvT1_
	.globl	_ZN7rocprim17ROCPRIM_400000_NS6detail17trampoline_kernelINS0_14default_configENS1_27scan_by_key_config_selectorIj11FixedVectorIiLj4EEEEZZNS1_16scan_by_key_implILNS1_25lookback_scan_determinismE0ELb0ES3_N6thrust23THRUST_200600_302600_NS6detail15normal_iteratorINSB_10device_ptrIjEEEENSD_INSE_IS6_EEEESI_S6_NSB_4plusIvEENSB_8equal_toIvEES6_EE10hipError_tPvRmT2_T3_T4_T5_mT6_T7_P12ihipStream_tbENKUlT_T0_E_clISt17integral_constantIbLb0EES13_EEDaSY_SZ_EUlSY_E_NS1_11comp_targetILNS1_3genE0ELNS1_11target_archE4294967295ELNS1_3gpuE0ELNS1_3repE0EEENS1_30default_config_static_selectorELNS0_4arch9wavefront6targetE1EEEvT1_
	.p2align	8
	.type	_ZN7rocprim17ROCPRIM_400000_NS6detail17trampoline_kernelINS0_14default_configENS1_27scan_by_key_config_selectorIj11FixedVectorIiLj4EEEEZZNS1_16scan_by_key_implILNS1_25lookback_scan_determinismE0ELb0ES3_N6thrust23THRUST_200600_302600_NS6detail15normal_iteratorINSB_10device_ptrIjEEEENSD_INSE_IS6_EEEESI_S6_NSB_4plusIvEENSB_8equal_toIvEES6_EE10hipError_tPvRmT2_T3_T4_T5_mT6_T7_P12ihipStream_tbENKUlT_T0_E_clISt17integral_constantIbLb0EES13_EEDaSY_SZ_EUlSY_E_NS1_11comp_targetILNS1_3genE0ELNS1_11target_archE4294967295ELNS1_3gpuE0ELNS1_3repE0EEENS1_30default_config_static_selectorELNS0_4arch9wavefront6targetE1EEEvT1_,@function
_ZN7rocprim17ROCPRIM_400000_NS6detail17trampoline_kernelINS0_14default_configENS1_27scan_by_key_config_selectorIj11FixedVectorIiLj4EEEEZZNS1_16scan_by_key_implILNS1_25lookback_scan_determinismE0ELb0ES3_N6thrust23THRUST_200600_302600_NS6detail15normal_iteratorINSB_10device_ptrIjEEEENSD_INSE_IS6_EEEESI_S6_NSB_4plusIvEENSB_8equal_toIvEES6_EE10hipError_tPvRmT2_T3_T4_T5_mT6_T7_P12ihipStream_tbENKUlT_T0_E_clISt17integral_constantIbLb0EES13_EEDaSY_SZ_EUlSY_E_NS1_11comp_targetILNS1_3genE0ELNS1_11target_archE4294967295ELNS1_3gpuE0ELNS1_3repE0EEENS1_30default_config_static_selectorELNS0_4arch9wavefront6targetE1EEEvT1_: ; @_ZN7rocprim17ROCPRIM_400000_NS6detail17trampoline_kernelINS0_14default_configENS1_27scan_by_key_config_selectorIj11FixedVectorIiLj4EEEEZZNS1_16scan_by_key_implILNS1_25lookback_scan_determinismE0ELb0ES3_N6thrust23THRUST_200600_302600_NS6detail15normal_iteratorINSB_10device_ptrIjEEEENSD_INSE_IS6_EEEESI_S6_NSB_4plusIvEENSB_8equal_toIvEES6_EE10hipError_tPvRmT2_T3_T4_T5_mT6_T7_P12ihipStream_tbENKUlT_T0_E_clISt17integral_constantIbLb0EES13_EEDaSY_SZ_EUlSY_E_NS1_11comp_targetILNS1_3genE0ELNS1_11target_archE4294967295ELNS1_3gpuE0ELNS1_3repE0EEENS1_30default_config_static_selectorELNS0_4arch9wavefront6targetE1EEEvT1_
; %bb.0:
	.section	.rodata,"a",@progbits
	.p2align	6, 0x0
	.amdhsa_kernel _ZN7rocprim17ROCPRIM_400000_NS6detail17trampoline_kernelINS0_14default_configENS1_27scan_by_key_config_selectorIj11FixedVectorIiLj4EEEEZZNS1_16scan_by_key_implILNS1_25lookback_scan_determinismE0ELb0ES3_N6thrust23THRUST_200600_302600_NS6detail15normal_iteratorINSB_10device_ptrIjEEEENSD_INSE_IS6_EEEESI_S6_NSB_4plusIvEENSB_8equal_toIvEES6_EE10hipError_tPvRmT2_T3_T4_T5_mT6_T7_P12ihipStream_tbENKUlT_T0_E_clISt17integral_constantIbLb0EES13_EEDaSY_SZ_EUlSY_E_NS1_11comp_targetILNS1_3genE0ELNS1_11target_archE4294967295ELNS1_3gpuE0ELNS1_3repE0EEENS1_30default_config_static_selectorELNS0_4arch9wavefront6targetE1EEEvT1_
		.amdhsa_group_segment_fixed_size 0
		.amdhsa_private_segment_fixed_size 0
		.amdhsa_kernarg_size 144
		.amdhsa_user_sgpr_count 2
		.amdhsa_user_sgpr_dispatch_ptr 0
		.amdhsa_user_sgpr_queue_ptr 0
		.amdhsa_user_sgpr_kernarg_segment_ptr 1
		.amdhsa_user_sgpr_dispatch_id 0
		.amdhsa_user_sgpr_kernarg_preload_length 0
		.amdhsa_user_sgpr_kernarg_preload_offset 0
		.amdhsa_user_sgpr_private_segment_size 0
		.amdhsa_uses_dynamic_stack 0
		.amdhsa_enable_private_segment 0
		.amdhsa_system_sgpr_workgroup_id_x 1
		.amdhsa_system_sgpr_workgroup_id_y 0
		.amdhsa_system_sgpr_workgroup_id_z 0
		.amdhsa_system_sgpr_workgroup_info 0
		.amdhsa_system_vgpr_workitem_id 0
		.amdhsa_next_free_vgpr 1
		.amdhsa_next_free_sgpr 0
		.amdhsa_accum_offset 4
		.amdhsa_reserve_vcc 0
		.amdhsa_float_round_mode_32 0
		.amdhsa_float_round_mode_16_64 0
		.amdhsa_float_denorm_mode_32 3
		.amdhsa_float_denorm_mode_16_64 3
		.amdhsa_dx10_clamp 1
		.amdhsa_ieee_mode 1
		.amdhsa_fp16_overflow 0
		.amdhsa_tg_split 0
		.amdhsa_exception_fp_ieee_invalid_op 0
		.amdhsa_exception_fp_denorm_src 0
		.amdhsa_exception_fp_ieee_div_zero 0
		.amdhsa_exception_fp_ieee_overflow 0
		.amdhsa_exception_fp_ieee_underflow 0
		.amdhsa_exception_fp_ieee_inexact 0
		.amdhsa_exception_int_div_zero 0
	.end_amdhsa_kernel
	.section	.text._ZN7rocprim17ROCPRIM_400000_NS6detail17trampoline_kernelINS0_14default_configENS1_27scan_by_key_config_selectorIj11FixedVectorIiLj4EEEEZZNS1_16scan_by_key_implILNS1_25lookback_scan_determinismE0ELb0ES3_N6thrust23THRUST_200600_302600_NS6detail15normal_iteratorINSB_10device_ptrIjEEEENSD_INSE_IS6_EEEESI_S6_NSB_4plusIvEENSB_8equal_toIvEES6_EE10hipError_tPvRmT2_T3_T4_T5_mT6_T7_P12ihipStream_tbENKUlT_T0_E_clISt17integral_constantIbLb0EES13_EEDaSY_SZ_EUlSY_E_NS1_11comp_targetILNS1_3genE0ELNS1_11target_archE4294967295ELNS1_3gpuE0ELNS1_3repE0EEENS1_30default_config_static_selectorELNS0_4arch9wavefront6targetE1EEEvT1_,"axG",@progbits,_ZN7rocprim17ROCPRIM_400000_NS6detail17trampoline_kernelINS0_14default_configENS1_27scan_by_key_config_selectorIj11FixedVectorIiLj4EEEEZZNS1_16scan_by_key_implILNS1_25lookback_scan_determinismE0ELb0ES3_N6thrust23THRUST_200600_302600_NS6detail15normal_iteratorINSB_10device_ptrIjEEEENSD_INSE_IS6_EEEESI_S6_NSB_4plusIvEENSB_8equal_toIvEES6_EE10hipError_tPvRmT2_T3_T4_T5_mT6_T7_P12ihipStream_tbENKUlT_T0_E_clISt17integral_constantIbLb0EES13_EEDaSY_SZ_EUlSY_E_NS1_11comp_targetILNS1_3genE0ELNS1_11target_archE4294967295ELNS1_3gpuE0ELNS1_3repE0EEENS1_30default_config_static_selectorELNS0_4arch9wavefront6targetE1EEEvT1_,comdat
.Lfunc_end2033:
	.size	_ZN7rocprim17ROCPRIM_400000_NS6detail17trampoline_kernelINS0_14default_configENS1_27scan_by_key_config_selectorIj11FixedVectorIiLj4EEEEZZNS1_16scan_by_key_implILNS1_25lookback_scan_determinismE0ELb0ES3_N6thrust23THRUST_200600_302600_NS6detail15normal_iteratorINSB_10device_ptrIjEEEENSD_INSE_IS6_EEEESI_S6_NSB_4plusIvEENSB_8equal_toIvEES6_EE10hipError_tPvRmT2_T3_T4_T5_mT6_T7_P12ihipStream_tbENKUlT_T0_E_clISt17integral_constantIbLb0EES13_EEDaSY_SZ_EUlSY_E_NS1_11comp_targetILNS1_3genE0ELNS1_11target_archE4294967295ELNS1_3gpuE0ELNS1_3repE0EEENS1_30default_config_static_selectorELNS0_4arch9wavefront6targetE1EEEvT1_, .Lfunc_end2033-_ZN7rocprim17ROCPRIM_400000_NS6detail17trampoline_kernelINS0_14default_configENS1_27scan_by_key_config_selectorIj11FixedVectorIiLj4EEEEZZNS1_16scan_by_key_implILNS1_25lookback_scan_determinismE0ELb0ES3_N6thrust23THRUST_200600_302600_NS6detail15normal_iteratorINSB_10device_ptrIjEEEENSD_INSE_IS6_EEEESI_S6_NSB_4plusIvEENSB_8equal_toIvEES6_EE10hipError_tPvRmT2_T3_T4_T5_mT6_T7_P12ihipStream_tbENKUlT_T0_E_clISt17integral_constantIbLb0EES13_EEDaSY_SZ_EUlSY_E_NS1_11comp_targetILNS1_3genE0ELNS1_11target_archE4294967295ELNS1_3gpuE0ELNS1_3repE0EEENS1_30default_config_static_selectorELNS0_4arch9wavefront6targetE1EEEvT1_
                                        ; -- End function
	.section	.AMDGPU.csdata,"",@progbits
; Kernel info:
; codeLenInByte = 0
; NumSgprs: 6
; NumVgprs: 0
; NumAgprs: 0
; TotalNumVgprs: 0
; ScratchSize: 0
; MemoryBound: 0
; FloatMode: 240
; IeeeMode: 1
; LDSByteSize: 0 bytes/workgroup (compile time only)
; SGPRBlocks: 0
; VGPRBlocks: 0
; NumSGPRsForWavesPerEU: 6
; NumVGPRsForWavesPerEU: 1
; AccumOffset: 4
; Occupancy: 8
; WaveLimiterHint : 0
; COMPUTE_PGM_RSRC2:SCRATCH_EN: 0
; COMPUTE_PGM_RSRC2:USER_SGPR: 2
; COMPUTE_PGM_RSRC2:TRAP_HANDLER: 0
; COMPUTE_PGM_RSRC2:TGID_X_EN: 1
; COMPUTE_PGM_RSRC2:TGID_Y_EN: 0
; COMPUTE_PGM_RSRC2:TGID_Z_EN: 0
; COMPUTE_PGM_RSRC2:TIDIG_COMP_CNT: 0
; COMPUTE_PGM_RSRC3_GFX90A:ACCUM_OFFSET: 0
; COMPUTE_PGM_RSRC3_GFX90A:TG_SPLIT: 0
	.section	.text._ZN7rocprim17ROCPRIM_400000_NS6detail17trampoline_kernelINS0_14default_configENS1_27scan_by_key_config_selectorIj11FixedVectorIiLj4EEEEZZNS1_16scan_by_key_implILNS1_25lookback_scan_determinismE0ELb0ES3_N6thrust23THRUST_200600_302600_NS6detail15normal_iteratorINSB_10device_ptrIjEEEENSD_INSE_IS6_EEEESI_S6_NSB_4plusIvEENSB_8equal_toIvEES6_EE10hipError_tPvRmT2_T3_T4_T5_mT6_T7_P12ihipStream_tbENKUlT_T0_E_clISt17integral_constantIbLb0EES13_EEDaSY_SZ_EUlSY_E_NS1_11comp_targetILNS1_3genE10ELNS1_11target_archE1201ELNS1_3gpuE5ELNS1_3repE0EEENS1_30default_config_static_selectorELNS0_4arch9wavefront6targetE1EEEvT1_,"axG",@progbits,_ZN7rocprim17ROCPRIM_400000_NS6detail17trampoline_kernelINS0_14default_configENS1_27scan_by_key_config_selectorIj11FixedVectorIiLj4EEEEZZNS1_16scan_by_key_implILNS1_25lookback_scan_determinismE0ELb0ES3_N6thrust23THRUST_200600_302600_NS6detail15normal_iteratorINSB_10device_ptrIjEEEENSD_INSE_IS6_EEEESI_S6_NSB_4plusIvEENSB_8equal_toIvEES6_EE10hipError_tPvRmT2_T3_T4_T5_mT6_T7_P12ihipStream_tbENKUlT_T0_E_clISt17integral_constantIbLb0EES13_EEDaSY_SZ_EUlSY_E_NS1_11comp_targetILNS1_3genE10ELNS1_11target_archE1201ELNS1_3gpuE5ELNS1_3repE0EEENS1_30default_config_static_selectorELNS0_4arch9wavefront6targetE1EEEvT1_,comdat
	.protected	_ZN7rocprim17ROCPRIM_400000_NS6detail17trampoline_kernelINS0_14default_configENS1_27scan_by_key_config_selectorIj11FixedVectorIiLj4EEEEZZNS1_16scan_by_key_implILNS1_25lookback_scan_determinismE0ELb0ES3_N6thrust23THRUST_200600_302600_NS6detail15normal_iteratorINSB_10device_ptrIjEEEENSD_INSE_IS6_EEEESI_S6_NSB_4plusIvEENSB_8equal_toIvEES6_EE10hipError_tPvRmT2_T3_T4_T5_mT6_T7_P12ihipStream_tbENKUlT_T0_E_clISt17integral_constantIbLb0EES13_EEDaSY_SZ_EUlSY_E_NS1_11comp_targetILNS1_3genE10ELNS1_11target_archE1201ELNS1_3gpuE5ELNS1_3repE0EEENS1_30default_config_static_selectorELNS0_4arch9wavefront6targetE1EEEvT1_ ; -- Begin function _ZN7rocprim17ROCPRIM_400000_NS6detail17trampoline_kernelINS0_14default_configENS1_27scan_by_key_config_selectorIj11FixedVectorIiLj4EEEEZZNS1_16scan_by_key_implILNS1_25lookback_scan_determinismE0ELb0ES3_N6thrust23THRUST_200600_302600_NS6detail15normal_iteratorINSB_10device_ptrIjEEEENSD_INSE_IS6_EEEESI_S6_NSB_4plusIvEENSB_8equal_toIvEES6_EE10hipError_tPvRmT2_T3_T4_T5_mT6_T7_P12ihipStream_tbENKUlT_T0_E_clISt17integral_constantIbLb0EES13_EEDaSY_SZ_EUlSY_E_NS1_11comp_targetILNS1_3genE10ELNS1_11target_archE1201ELNS1_3gpuE5ELNS1_3repE0EEENS1_30default_config_static_selectorELNS0_4arch9wavefront6targetE1EEEvT1_
	.globl	_ZN7rocprim17ROCPRIM_400000_NS6detail17trampoline_kernelINS0_14default_configENS1_27scan_by_key_config_selectorIj11FixedVectorIiLj4EEEEZZNS1_16scan_by_key_implILNS1_25lookback_scan_determinismE0ELb0ES3_N6thrust23THRUST_200600_302600_NS6detail15normal_iteratorINSB_10device_ptrIjEEEENSD_INSE_IS6_EEEESI_S6_NSB_4plusIvEENSB_8equal_toIvEES6_EE10hipError_tPvRmT2_T3_T4_T5_mT6_T7_P12ihipStream_tbENKUlT_T0_E_clISt17integral_constantIbLb0EES13_EEDaSY_SZ_EUlSY_E_NS1_11comp_targetILNS1_3genE10ELNS1_11target_archE1201ELNS1_3gpuE5ELNS1_3repE0EEENS1_30default_config_static_selectorELNS0_4arch9wavefront6targetE1EEEvT1_
	.p2align	8
	.type	_ZN7rocprim17ROCPRIM_400000_NS6detail17trampoline_kernelINS0_14default_configENS1_27scan_by_key_config_selectorIj11FixedVectorIiLj4EEEEZZNS1_16scan_by_key_implILNS1_25lookback_scan_determinismE0ELb0ES3_N6thrust23THRUST_200600_302600_NS6detail15normal_iteratorINSB_10device_ptrIjEEEENSD_INSE_IS6_EEEESI_S6_NSB_4plusIvEENSB_8equal_toIvEES6_EE10hipError_tPvRmT2_T3_T4_T5_mT6_T7_P12ihipStream_tbENKUlT_T0_E_clISt17integral_constantIbLb0EES13_EEDaSY_SZ_EUlSY_E_NS1_11comp_targetILNS1_3genE10ELNS1_11target_archE1201ELNS1_3gpuE5ELNS1_3repE0EEENS1_30default_config_static_selectorELNS0_4arch9wavefront6targetE1EEEvT1_,@function
_ZN7rocprim17ROCPRIM_400000_NS6detail17trampoline_kernelINS0_14default_configENS1_27scan_by_key_config_selectorIj11FixedVectorIiLj4EEEEZZNS1_16scan_by_key_implILNS1_25lookback_scan_determinismE0ELb0ES3_N6thrust23THRUST_200600_302600_NS6detail15normal_iteratorINSB_10device_ptrIjEEEENSD_INSE_IS6_EEEESI_S6_NSB_4plusIvEENSB_8equal_toIvEES6_EE10hipError_tPvRmT2_T3_T4_T5_mT6_T7_P12ihipStream_tbENKUlT_T0_E_clISt17integral_constantIbLb0EES13_EEDaSY_SZ_EUlSY_E_NS1_11comp_targetILNS1_3genE10ELNS1_11target_archE1201ELNS1_3gpuE5ELNS1_3repE0EEENS1_30default_config_static_selectorELNS0_4arch9wavefront6targetE1EEEvT1_: ; @_ZN7rocprim17ROCPRIM_400000_NS6detail17trampoline_kernelINS0_14default_configENS1_27scan_by_key_config_selectorIj11FixedVectorIiLj4EEEEZZNS1_16scan_by_key_implILNS1_25lookback_scan_determinismE0ELb0ES3_N6thrust23THRUST_200600_302600_NS6detail15normal_iteratorINSB_10device_ptrIjEEEENSD_INSE_IS6_EEEESI_S6_NSB_4plusIvEENSB_8equal_toIvEES6_EE10hipError_tPvRmT2_T3_T4_T5_mT6_T7_P12ihipStream_tbENKUlT_T0_E_clISt17integral_constantIbLb0EES13_EEDaSY_SZ_EUlSY_E_NS1_11comp_targetILNS1_3genE10ELNS1_11target_archE1201ELNS1_3gpuE5ELNS1_3repE0EEENS1_30default_config_static_selectorELNS0_4arch9wavefront6targetE1EEEvT1_
; %bb.0:
	.section	.rodata,"a",@progbits
	.p2align	6, 0x0
	.amdhsa_kernel _ZN7rocprim17ROCPRIM_400000_NS6detail17trampoline_kernelINS0_14default_configENS1_27scan_by_key_config_selectorIj11FixedVectorIiLj4EEEEZZNS1_16scan_by_key_implILNS1_25lookback_scan_determinismE0ELb0ES3_N6thrust23THRUST_200600_302600_NS6detail15normal_iteratorINSB_10device_ptrIjEEEENSD_INSE_IS6_EEEESI_S6_NSB_4plusIvEENSB_8equal_toIvEES6_EE10hipError_tPvRmT2_T3_T4_T5_mT6_T7_P12ihipStream_tbENKUlT_T0_E_clISt17integral_constantIbLb0EES13_EEDaSY_SZ_EUlSY_E_NS1_11comp_targetILNS1_3genE10ELNS1_11target_archE1201ELNS1_3gpuE5ELNS1_3repE0EEENS1_30default_config_static_selectorELNS0_4arch9wavefront6targetE1EEEvT1_
		.amdhsa_group_segment_fixed_size 0
		.amdhsa_private_segment_fixed_size 0
		.amdhsa_kernarg_size 144
		.amdhsa_user_sgpr_count 2
		.amdhsa_user_sgpr_dispatch_ptr 0
		.amdhsa_user_sgpr_queue_ptr 0
		.amdhsa_user_sgpr_kernarg_segment_ptr 1
		.amdhsa_user_sgpr_dispatch_id 0
		.amdhsa_user_sgpr_kernarg_preload_length 0
		.amdhsa_user_sgpr_kernarg_preload_offset 0
		.amdhsa_user_sgpr_private_segment_size 0
		.amdhsa_uses_dynamic_stack 0
		.amdhsa_enable_private_segment 0
		.amdhsa_system_sgpr_workgroup_id_x 1
		.amdhsa_system_sgpr_workgroup_id_y 0
		.amdhsa_system_sgpr_workgroup_id_z 0
		.amdhsa_system_sgpr_workgroup_info 0
		.amdhsa_system_vgpr_workitem_id 0
		.amdhsa_next_free_vgpr 1
		.amdhsa_next_free_sgpr 0
		.amdhsa_accum_offset 4
		.amdhsa_reserve_vcc 0
		.amdhsa_float_round_mode_32 0
		.amdhsa_float_round_mode_16_64 0
		.amdhsa_float_denorm_mode_32 3
		.amdhsa_float_denorm_mode_16_64 3
		.amdhsa_dx10_clamp 1
		.amdhsa_ieee_mode 1
		.amdhsa_fp16_overflow 0
		.amdhsa_tg_split 0
		.amdhsa_exception_fp_ieee_invalid_op 0
		.amdhsa_exception_fp_denorm_src 0
		.amdhsa_exception_fp_ieee_div_zero 0
		.amdhsa_exception_fp_ieee_overflow 0
		.amdhsa_exception_fp_ieee_underflow 0
		.amdhsa_exception_fp_ieee_inexact 0
		.amdhsa_exception_int_div_zero 0
	.end_amdhsa_kernel
	.section	.text._ZN7rocprim17ROCPRIM_400000_NS6detail17trampoline_kernelINS0_14default_configENS1_27scan_by_key_config_selectorIj11FixedVectorIiLj4EEEEZZNS1_16scan_by_key_implILNS1_25lookback_scan_determinismE0ELb0ES3_N6thrust23THRUST_200600_302600_NS6detail15normal_iteratorINSB_10device_ptrIjEEEENSD_INSE_IS6_EEEESI_S6_NSB_4plusIvEENSB_8equal_toIvEES6_EE10hipError_tPvRmT2_T3_T4_T5_mT6_T7_P12ihipStream_tbENKUlT_T0_E_clISt17integral_constantIbLb0EES13_EEDaSY_SZ_EUlSY_E_NS1_11comp_targetILNS1_3genE10ELNS1_11target_archE1201ELNS1_3gpuE5ELNS1_3repE0EEENS1_30default_config_static_selectorELNS0_4arch9wavefront6targetE1EEEvT1_,"axG",@progbits,_ZN7rocprim17ROCPRIM_400000_NS6detail17trampoline_kernelINS0_14default_configENS1_27scan_by_key_config_selectorIj11FixedVectorIiLj4EEEEZZNS1_16scan_by_key_implILNS1_25lookback_scan_determinismE0ELb0ES3_N6thrust23THRUST_200600_302600_NS6detail15normal_iteratorINSB_10device_ptrIjEEEENSD_INSE_IS6_EEEESI_S6_NSB_4plusIvEENSB_8equal_toIvEES6_EE10hipError_tPvRmT2_T3_T4_T5_mT6_T7_P12ihipStream_tbENKUlT_T0_E_clISt17integral_constantIbLb0EES13_EEDaSY_SZ_EUlSY_E_NS1_11comp_targetILNS1_3genE10ELNS1_11target_archE1201ELNS1_3gpuE5ELNS1_3repE0EEENS1_30default_config_static_selectorELNS0_4arch9wavefront6targetE1EEEvT1_,comdat
.Lfunc_end2034:
	.size	_ZN7rocprim17ROCPRIM_400000_NS6detail17trampoline_kernelINS0_14default_configENS1_27scan_by_key_config_selectorIj11FixedVectorIiLj4EEEEZZNS1_16scan_by_key_implILNS1_25lookback_scan_determinismE0ELb0ES3_N6thrust23THRUST_200600_302600_NS6detail15normal_iteratorINSB_10device_ptrIjEEEENSD_INSE_IS6_EEEESI_S6_NSB_4plusIvEENSB_8equal_toIvEES6_EE10hipError_tPvRmT2_T3_T4_T5_mT6_T7_P12ihipStream_tbENKUlT_T0_E_clISt17integral_constantIbLb0EES13_EEDaSY_SZ_EUlSY_E_NS1_11comp_targetILNS1_3genE10ELNS1_11target_archE1201ELNS1_3gpuE5ELNS1_3repE0EEENS1_30default_config_static_selectorELNS0_4arch9wavefront6targetE1EEEvT1_, .Lfunc_end2034-_ZN7rocprim17ROCPRIM_400000_NS6detail17trampoline_kernelINS0_14default_configENS1_27scan_by_key_config_selectorIj11FixedVectorIiLj4EEEEZZNS1_16scan_by_key_implILNS1_25lookback_scan_determinismE0ELb0ES3_N6thrust23THRUST_200600_302600_NS6detail15normal_iteratorINSB_10device_ptrIjEEEENSD_INSE_IS6_EEEESI_S6_NSB_4plusIvEENSB_8equal_toIvEES6_EE10hipError_tPvRmT2_T3_T4_T5_mT6_T7_P12ihipStream_tbENKUlT_T0_E_clISt17integral_constantIbLb0EES13_EEDaSY_SZ_EUlSY_E_NS1_11comp_targetILNS1_3genE10ELNS1_11target_archE1201ELNS1_3gpuE5ELNS1_3repE0EEENS1_30default_config_static_selectorELNS0_4arch9wavefront6targetE1EEEvT1_
                                        ; -- End function
	.section	.AMDGPU.csdata,"",@progbits
; Kernel info:
; codeLenInByte = 0
; NumSgprs: 6
; NumVgprs: 0
; NumAgprs: 0
; TotalNumVgprs: 0
; ScratchSize: 0
; MemoryBound: 0
; FloatMode: 240
; IeeeMode: 1
; LDSByteSize: 0 bytes/workgroup (compile time only)
; SGPRBlocks: 0
; VGPRBlocks: 0
; NumSGPRsForWavesPerEU: 6
; NumVGPRsForWavesPerEU: 1
; AccumOffset: 4
; Occupancy: 8
; WaveLimiterHint : 0
; COMPUTE_PGM_RSRC2:SCRATCH_EN: 0
; COMPUTE_PGM_RSRC2:USER_SGPR: 2
; COMPUTE_PGM_RSRC2:TRAP_HANDLER: 0
; COMPUTE_PGM_RSRC2:TGID_X_EN: 1
; COMPUTE_PGM_RSRC2:TGID_Y_EN: 0
; COMPUTE_PGM_RSRC2:TGID_Z_EN: 0
; COMPUTE_PGM_RSRC2:TIDIG_COMP_CNT: 0
; COMPUTE_PGM_RSRC3_GFX90A:ACCUM_OFFSET: 0
; COMPUTE_PGM_RSRC3_GFX90A:TG_SPLIT: 0
	.section	.text._ZN7rocprim17ROCPRIM_400000_NS6detail17trampoline_kernelINS0_14default_configENS1_27scan_by_key_config_selectorIj11FixedVectorIiLj4EEEEZZNS1_16scan_by_key_implILNS1_25lookback_scan_determinismE0ELb0ES3_N6thrust23THRUST_200600_302600_NS6detail15normal_iteratorINSB_10device_ptrIjEEEENSD_INSE_IS6_EEEESI_S6_NSB_4plusIvEENSB_8equal_toIvEES6_EE10hipError_tPvRmT2_T3_T4_T5_mT6_T7_P12ihipStream_tbENKUlT_T0_E_clISt17integral_constantIbLb0EES13_EEDaSY_SZ_EUlSY_E_NS1_11comp_targetILNS1_3genE5ELNS1_11target_archE942ELNS1_3gpuE9ELNS1_3repE0EEENS1_30default_config_static_selectorELNS0_4arch9wavefront6targetE1EEEvT1_,"axG",@progbits,_ZN7rocprim17ROCPRIM_400000_NS6detail17trampoline_kernelINS0_14default_configENS1_27scan_by_key_config_selectorIj11FixedVectorIiLj4EEEEZZNS1_16scan_by_key_implILNS1_25lookback_scan_determinismE0ELb0ES3_N6thrust23THRUST_200600_302600_NS6detail15normal_iteratorINSB_10device_ptrIjEEEENSD_INSE_IS6_EEEESI_S6_NSB_4plusIvEENSB_8equal_toIvEES6_EE10hipError_tPvRmT2_T3_T4_T5_mT6_T7_P12ihipStream_tbENKUlT_T0_E_clISt17integral_constantIbLb0EES13_EEDaSY_SZ_EUlSY_E_NS1_11comp_targetILNS1_3genE5ELNS1_11target_archE942ELNS1_3gpuE9ELNS1_3repE0EEENS1_30default_config_static_selectorELNS0_4arch9wavefront6targetE1EEEvT1_,comdat
	.protected	_ZN7rocprim17ROCPRIM_400000_NS6detail17trampoline_kernelINS0_14default_configENS1_27scan_by_key_config_selectorIj11FixedVectorIiLj4EEEEZZNS1_16scan_by_key_implILNS1_25lookback_scan_determinismE0ELb0ES3_N6thrust23THRUST_200600_302600_NS6detail15normal_iteratorINSB_10device_ptrIjEEEENSD_INSE_IS6_EEEESI_S6_NSB_4plusIvEENSB_8equal_toIvEES6_EE10hipError_tPvRmT2_T3_T4_T5_mT6_T7_P12ihipStream_tbENKUlT_T0_E_clISt17integral_constantIbLb0EES13_EEDaSY_SZ_EUlSY_E_NS1_11comp_targetILNS1_3genE5ELNS1_11target_archE942ELNS1_3gpuE9ELNS1_3repE0EEENS1_30default_config_static_selectorELNS0_4arch9wavefront6targetE1EEEvT1_ ; -- Begin function _ZN7rocprim17ROCPRIM_400000_NS6detail17trampoline_kernelINS0_14default_configENS1_27scan_by_key_config_selectorIj11FixedVectorIiLj4EEEEZZNS1_16scan_by_key_implILNS1_25lookback_scan_determinismE0ELb0ES3_N6thrust23THRUST_200600_302600_NS6detail15normal_iteratorINSB_10device_ptrIjEEEENSD_INSE_IS6_EEEESI_S6_NSB_4plusIvEENSB_8equal_toIvEES6_EE10hipError_tPvRmT2_T3_T4_T5_mT6_T7_P12ihipStream_tbENKUlT_T0_E_clISt17integral_constantIbLb0EES13_EEDaSY_SZ_EUlSY_E_NS1_11comp_targetILNS1_3genE5ELNS1_11target_archE942ELNS1_3gpuE9ELNS1_3repE0EEENS1_30default_config_static_selectorELNS0_4arch9wavefront6targetE1EEEvT1_
	.globl	_ZN7rocprim17ROCPRIM_400000_NS6detail17trampoline_kernelINS0_14default_configENS1_27scan_by_key_config_selectorIj11FixedVectorIiLj4EEEEZZNS1_16scan_by_key_implILNS1_25lookback_scan_determinismE0ELb0ES3_N6thrust23THRUST_200600_302600_NS6detail15normal_iteratorINSB_10device_ptrIjEEEENSD_INSE_IS6_EEEESI_S6_NSB_4plusIvEENSB_8equal_toIvEES6_EE10hipError_tPvRmT2_T3_T4_T5_mT6_T7_P12ihipStream_tbENKUlT_T0_E_clISt17integral_constantIbLb0EES13_EEDaSY_SZ_EUlSY_E_NS1_11comp_targetILNS1_3genE5ELNS1_11target_archE942ELNS1_3gpuE9ELNS1_3repE0EEENS1_30default_config_static_selectorELNS0_4arch9wavefront6targetE1EEEvT1_
	.p2align	8
	.type	_ZN7rocprim17ROCPRIM_400000_NS6detail17trampoline_kernelINS0_14default_configENS1_27scan_by_key_config_selectorIj11FixedVectorIiLj4EEEEZZNS1_16scan_by_key_implILNS1_25lookback_scan_determinismE0ELb0ES3_N6thrust23THRUST_200600_302600_NS6detail15normal_iteratorINSB_10device_ptrIjEEEENSD_INSE_IS6_EEEESI_S6_NSB_4plusIvEENSB_8equal_toIvEES6_EE10hipError_tPvRmT2_T3_T4_T5_mT6_T7_P12ihipStream_tbENKUlT_T0_E_clISt17integral_constantIbLb0EES13_EEDaSY_SZ_EUlSY_E_NS1_11comp_targetILNS1_3genE5ELNS1_11target_archE942ELNS1_3gpuE9ELNS1_3repE0EEENS1_30default_config_static_selectorELNS0_4arch9wavefront6targetE1EEEvT1_,@function
_ZN7rocprim17ROCPRIM_400000_NS6detail17trampoline_kernelINS0_14default_configENS1_27scan_by_key_config_selectorIj11FixedVectorIiLj4EEEEZZNS1_16scan_by_key_implILNS1_25lookback_scan_determinismE0ELb0ES3_N6thrust23THRUST_200600_302600_NS6detail15normal_iteratorINSB_10device_ptrIjEEEENSD_INSE_IS6_EEEESI_S6_NSB_4plusIvEENSB_8equal_toIvEES6_EE10hipError_tPvRmT2_T3_T4_T5_mT6_T7_P12ihipStream_tbENKUlT_T0_E_clISt17integral_constantIbLb0EES13_EEDaSY_SZ_EUlSY_E_NS1_11comp_targetILNS1_3genE5ELNS1_11target_archE942ELNS1_3gpuE9ELNS1_3repE0EEENS1_30default_config_static_selectorELNS0_4arch9wavefront6targetE1EEEvT1_: ; @_ZN7rocprim17ROCPRIM_400000_NS6detail17trampoline_kernelINS0_14default_configENS1_27scan_by_key_config_selectorIj11FixedVectorIiLj4EEEEZZNS1_16scan_by_key_implILNS1_25lookback_scan_determinismE0ELb0ES3_N6thrust23THRUST_200600_302600_NS6detail15normal_iteratorINSB_10device_ptrIjEEEENSD_INSE_IS6_EEEESI_S6_NSB_4plusIvEENSB_8equal_toIvEES6_EE10hipError_tPvRmT2_T3_T4_T5_mT6_T7_P12ihipStream_tbENKUlT_T0_E_clISt17integral_constantIbLb0EES13_EEDaSY_SZ_EUlSY_E_NS1_11comp_targetILNS1_3genE5ELNS1_11target_archE942ELNS1_3gpuE9ELNS1_3repE0EEENS1_30default_config_static_selectorELNS0_4arch9wavefront6targetE1EEEvT1_
; %bb.0:
	s_load_dwordx8 s[4:11], s[0:1], 0x0
                                        ; implicit-def: $vgpr200 : SGPR spill to VGPR lane
	v_mov_b32_e32 v2, 0
	v_mov_b32_e32 v3, v2
	;; [unrolled: 1-line block ×4, first 2 shown]
	s_waitcnt lgkmcnt(0)
	v_writelane_b32 v200, s4, 0
	s_nop 1
	v_writelane_b32 v200, s5, 1
	v_writelane_b32 v200, s6, 2
	;; [unrolled: 1-line block ×7, first 2 shown]
	s_load_dwordx8 s[52:59], s[0:1], 0x38
	s_load_dwordx2 s[8:9], s[0:1], 0x58
	s_load_dword s3, s[0:1], 0x60
	s_load_dwordx8 s[68:75], s[0:1], 0x68
	s_mov_b32 s0, 0
	s_waitcnt lgkmcnt(0)
	s_barrier
	scratch_store_dword off, v2, off offset:496
	scratch_store_dwordx4 off, v[2:5], off offset:480
.LBB2035_1:                             ; =>This Inner Loop Header: Depth=1
	s_add_i32 s1, s0, 0x1e0
	s_add_i32 s0, s0, 8
	s_cmp_lg_u32 s0, 16
	scratch_store_dwordx2 off, v[2:3], s1
	s_cbranch_scc1 .LBB2035_1
; %bb.2:
	v_mov_b32_e32 v2, 0
	s_mov_b32 s0, 20
	s_add_i32 s33, 0x1e0, 20
	v_mov_b32_e32 v3, v2
	v_mov_b32_e32 v4, v2
	v_mov_b32_e32 v5, v2
	scratch_store_byte off, v2, off offset:496
	scratch_store_dword off, v2, off offset:516
	scratch_store_dwordx4 off, v[2:5], off offset:500
.LBB2035_3:                             ; =>This Inner Loop Header: Depth=1
	s_add_i32 s1, s0, 0x1e0
	s_add_i32 s0, s0, 8
	s_cmp_lg_u32 s0, 36
	scratch_store_dwordx2 off, v[2:3], s1
	s_cbranch_scc1 .LBB2035_3
; %bb.4:
	v_mov_b32_e32 v2, 0
	s_mov_b32 s0, 40
	s_add_i32 s59, 0x1e0, 40
	v_mov_b32_e32 v3, v2
	v_mov_b32_e32 v4, v2
	v_mov_b32_e32 v5, v2
	scratch_store_byte off, v2, off offset:516
	;; [unrolled: 16-line block ×3, first 2 shown]
	scratch_store_dword off, v2, off offset:556
	scratch_store_dwordx4 off, v[2:5], off offset:540
.LBB2035_7:                             ; =>This Inner Loop Header: Depth=1
	s_add_i32 s1, s0, 0x1e0
	s_add_i32 s0, s0, 8
	s_cmpk_lg_i32 s0, 0x4c
	scratch_store_dwordx2 off, v[2:3], s1
	s_cbranch_scc1 .LBB2035_7
; %bb.8:
	v_mov_b32_e32 v2, 0
	s_movk_i32 s85, 0x1e0
	s_movk_i32 s0, 0x50
	s_addk_i32 s85, 0x50
	v_mov_b32_e32 v3, v2
	v_mov_b32_e32 v4, v2
	;; [unrolled: 1-line block ×3, first 2 shown]
	scratch_store_byte off, v2, off offset:556
	scratch_store_dword off, v2, off offset:576
	scratch_store_dwordx4 off, v[2:5], off offset:560
.LBB2035_9:                             ; =>This Inner Loop Header: Depth=1
	s_add_i32 s1, s0, 0x1e0
	s_add_i32 s0, s0, 8
	s_cmpk_lg_i32 s0, 0x60
	scratch_store_dwordx2 off, v[2:3], s1
	s_cbranch_scc1 .LBB2035_9
; %bb.10:
	v_mov_b32_e32 v2, 0
	s_movk_i32 s86, 0x1e0
	s_movk_i32 s0, 0x64
	s_addk_i32 s86, 0x64
	v_mov_b32_e32 v3, v2
	v_mov_b32_e32 v4, v2
	v_mov_b32_e32 v5, v2
	scratch_store_byte off, v2, off offset:576
	scratch_store_dword off, v2, off offset:596
	scratch_store_dwordx4 off, v[2:5], off offset:580
.LBB2035_11:                            ; =>This Inner Loop Header: Depth=1
	s_add_i32 s1, s0, 0x1e0
	s_add_i32 s0, s0, 8
	s_cmpk_lg_i32 s0, 0x74
	scratch_store_dwordx2 off, v[2:3], s1
	s_cbranch_scc1 .LBB2035_11
; %bb.12:
	v_mov_b32_e32 v2, 0
	s_movk_i32 s87, 0x1e0
	s_movk_i32 s0, 0x78
	s_addk_i32 s87, 0x78
	v_mov_b32_e32 v3, v2
	v_mov_b32_e32 v4, v2
	v_mov_b32_e32 v5, v2
	scratch_store_byte off, v2, off offset:596
	scratch_store_dword off, v2, off offset:616
	scratch_store_dwordx4 off, v[2:5], off offset:600
.LBB2035_13:                            ; =>This Inner Loop Header: Depth=1
	s_add_i32 s1, s0, 0x1e0
	s_add_i32 s0, s0, 8
	s_cmpk_lg_i32 s0, 0x88
	scratch_store_dwordx2 off, v[2:3], s1
	s_cbranch_scc1 .LBB2035_13
	;; [unrolled: 17-line block ×18, first 2 shown]
; %bb.46:
	v_mov_b32_e32 v2, 0
	s_mov_b32 s0, 0
	v_mov_b32_e32 v3, v2
	scratch_store_byte off, v2, off offset:936
.LBB2035_47:                            ; =>This Inner Loop Header: Depth=1
	s_add_i32 s1, s0, 0x50
	s_add_i32 s0, s0, 8
	s_cmp_lg_u32 s0, 16
	scratch_store_dwordx2 off, v[2:3], s1
	s_cbranch_scc1 .LBB2035_47
; %bb.48:
	v_mov_b32_e32 v2, 0
	s_mov_b32 s0, 16
	v_mov_b32_e32 v3, v2
.LBB2035_49:                            ; =>This Inner Loop Header: Depth=1
	s_add_i32 s1, s0, 0x50
	s_add_i32 s0, s0, 8
	s_cmp_lg_u32 s0, 32
	scratch_store_dwordx2 off, v[2:3], s1
	s_cbranch_scc1 .LBB2035_49
; %bb.50:
	v_mov_b32_e32 v2, 0
	s_mov_b32 s0, 32
	v_mov_b32_e32 v3, v2
	;; [unrolled: 10-line block ×4, first 2 shown]
.LBB2035_55:                            ; =>This Inner Loop Header: Depth=1
	s_add_i32 s1, s0, 0x50
	s_add_i32 s0, s0, 8
	s_cmpk_lg_i32 s0, 0x50
	scratch_store_dwordx2 off, v[2:3], s1
	s_cbranch_scc1 .LBB2035_55
; %bb.56:
	v_mov_b32_e32 v2, 0
	s_movk_i32 s0, 0x50
	v_mov_b32_e32 v3, v2
.LBB2035_57:                            ; =>This Inner Loop Header: Depth=1
	s_add_i32 s1, s0, 0x50
	s_add_i32 s0, s0, 8
	s_cmpk_lg_i32 s0, 0x60
	scratch_store_dwordx2 off, v[2:3], s1
	s_cbranch_scc1 .LBB2035_57
; %bb.58:
	v_mov_b32_e32 v2, 0
	s_movk_i32 s0, 0x60
	v_mov_b32_e32 v3, v2
	;; [unrolled: 10-line block ×18, first 2 shown]
.LBB2035_91:                            ; =>This Inner Loop Header: Depth=1
	s_add_i32 s1, s0, 0x50
	s_add_i32 s0, s0, 8
	s_cmpk_lg_i32 s0, 0x170
	scratch_store_dwordx2 off, v[2:3], s1
	s_cbranch_scc1 .LBB2035_91
; %bb.92:
	s_mul_i32 s1, s9, s3
	s_mul_hi_u32 s4, s8, s3
	v_writelane_b32 v200, s8, 8
	s_cmp_lg_u64 s[72:73], 0
	s_cselect_b64 s[78:79], -1, 0
	v_writelane_b32 v200, s9, 9
	s_add_i32 s6, s4, s1
	v_readlane_b32 s12, v200, 0
	v_readlane_b32 s14, v200, 2
	;; [unrolled: 1-line block ×4, first 2 shown]
	s_lshl_b64 s[72:73], s[14:15], 4
	v_readlane_b32 s17, v200, 5
	s_add_u32 s7, s16, s72
	s_mul_i32 s3, s8, s3
	s_addc_u32 s8, s17, s73
	s_lshl_b64 s[4:5], s[14:15], 2
	s_mul_i32 s0, s2, 0xb80
	v_readlane_b32 s13, v200, 1
	s_add_u32 s9, s12, s4
	s_mov_b32 s1, 0
	s_addc_u32 s12, s13, s5
	s_lshl_b64 s[4:5], s[0:1], 2
	s_add_u32 s64, s9, s4
	s_addc_u32 s65, s12, s5
	s_lshl_b64 s[60:61], s[0:1], 4
	s_add_u32 s62, s7, s60
	s_addc_u32 s63, s8, s61
	s_add_u32 s80, s3, s2
	s_addc_u32 s81, s6, 0
	s_add_u32 s4, s68, -1
	v_mov_b32_e32 v2, 0x50
	s_addc_u32 s5, s69, -1
	v_add_u32_e32 v1, 0x160, v2
	v_add_u32_e32 v26, 0x150, v2
	;; [unrolled: 1-line block ×22, first 2 shown]
	v_mov_b64_e32 v[2:3], s[4:5]
	v_cmp_ge_u64_e64 s[0:1], s[80:81], v[2:3]
	s_mov_b64 s[10:11], 0
	s_mov_b64 s[6:7], -1
	s_and_b64 vcc, exec, s[0:1]
	s_mul_i32 s3, s4, 0xfffff480
	v_readlane_b32 s18, v200, 6
	v_readlane_b32 s19, v200, 7
	v_writelane_b32 v200, s3, 10
                                        ; implicit-def: $sgpr4_sgpr5
	s_cbranch_vccnz .LBB2035_685
; %bb.93:
	s_and_b64 vcc, exec, s[6:7]
	s_cbranch_vccnz .LBB2035_806
.LBB2035_94:
	s_and_saveexec_b64 s[6:7], s[10:11]
	s_cbranch_execz .LBB2035_96
.LBB2035_95:
	scratch_load_dwordx4 v[2:5], v1, off
	v_cndmask_b32_e64 v1, 0, 1, s[4:5]
	s_waitcnt vmcnt(0)
	scratch_store_dwordx4 off, v[2:5], s67
	scratch_store_byte off, v1, off offset:936
.LBB2035_96:
	s_or_b64 exec, exec, s[6:7]
	s_cmp_lg_u32 s2, 0
	s_mov_b32 s3, 0
	s_waitcnt vmcnt(63) expcnt(7) lgkmcnt(15)
	s_barrier
	s_cbranch_scc0 .LBB2035_814
; %bb.97:
	v_mov_b32_e32 v2, 0
	v_mov_b32_e32 v3, v2
	scratch_store_dword off, v2, off offset:96
.LBB2035_98:                            ; =>This Inner Loop Header: Depth=1
	s_add_i32 s4, s3, 0x50
	s_add_i32 s3, s3, 8
	s_cmp_lg_u32 s3, 16
	scratch_store_dwordx2 off, v[2:3], s4
	s_cbranch_scc1 .LBB2035_98
; %bb.99:
	scratch_load_dwordx4 v[2:5], off, off offset:480
	scratch_load_ubyte v1, off, off offset:496
	scratch_load_ubyte v6, off, off offset:516
	s_waitcnt vmcnt(2)
	scratch_store_dwordx4 off, v[2:5], off offset:80
	s_waitcnt vmcnt(2)
	scratch_store_byte off, v1, off offset:96
	s_waitcnt vmcnt(2)
	v_cmp_ne_u16_e32 vcc, 0, v6
                                        ; implicit-def: $vgpr4_vgpr5
	s_and_saveexec_b64 s[4:5], vcc
	s_xor_b64 s[4:5], exec, s[4:5]
	s_cbranch_execz .LBB2035_101
; %bb.100:
	scratch_load_dwordx4 v[2:5], off, off offset:500
.LBB2035_101:
	s_andn2_saveexec_b64 s[4:5], s[4:5]
	s_cbranch_execz .LBB2035_107
; %bb.102:
	s_waitcnt vmcnt(0)
	v_mov_b32_e32 v2, 0
	s_mov_b32 s3, 0
	v_mov_b32_e32 v3, v2
.LBB2035_103:                           ; =>This Inner Loop Header: Depth=1
	s_add_i32 s6, s3, 16
	s_add_i32 s3, s3, 8
	s_cmp_lg_u32 s3, 16
	scratch_store_dwordx2 off, v[2:3], s6
	s_cbranch_scc1 .LBB2035_103
; %bb.104:
	s_mov_b32 s3, 0
.LBB2035_105:                           ; =>This Inner Loop Header: Depth=1
	s_add_i32 s6, s3, 0x50
	s_add_i32 s7, s33, s3
	scratch_load_dwordx2 v[2:3], off, s6
	scratch_load_dwordx2 v[4:5], off, s7
	s_add_i32 s6, s3, 16
	s_add_i32 s3, s3, 8
	s_cmp_lg_u32 s3, 16
	s_waitcnt vmcnt(0)
	v_add_u32_e32 v3, v5, v3
	v_add_u32_e32 v2, v4, v2
	scratch_store_dwordx2 off, v[2:3], s6
	s_cbranch_scc1 .LBB2035_105
; %bb.106:
	scratch_load_dwordx4 v[2:5], off, off offset:16
.LBB2035_107:
	s_or_b64 exec, exec, s[4:5]
	scratch_load_ubyte v7, off, off offset:536
	s_waitcnt vmcnt(0)
	v_cmp_ne_u16_e32 vcc, 0, v7
	scratch_store_dwordx4 off, v[2:5], off offset:80
                                        ; implicit-def: $vgpr4_vgpr5
	s_and_saveexec_b64 s[4:5], vcc
	s_xor_b64 s[4:5], exec, s[4:5]
	s_cbranch_execz .LBB2035_109
; %bb.108:
	scratch_load_dwordx4 v[2:5], off, off offset:520
.LBB2035_109:
	s_andn2_saveexec_b64 s[4:5], s[4:5]
	s_cbranch_execz .LBB2035_115
; %bb.110:
	s_waitcnt vmcnt(0)
	v_mov_b32_e32 v2, 0
	s_mov_b32 s3, 0
	v_mov_b32_e32 v3, v2
.LBB2035_111:                           ; =>This Inner Loop Header: Depth=1
	s_add_i32 s6, s3, 16
	s_add_i32 s3, s3, 8
	s_cmp_lg_u32 s3, 16
	scratch_store_dwordx2 off, v[2:3], s6
	s_cbranch_scc1 .LBB2035_111
; %bb.112:
	s_mov_b32 s3, 0
.LBB2035_113:                           ; =>This Inner Loop Header: Depth=1
	s_add_i32 s6, s3, 0x50
	s_add_i32 s7, s59, s3
	scratch_load_dwordx2 v[2:3], off, s6
	scratch_load_dwordx2 v[4:5], off, s7
	s_add_i32 s6, s3, 16
	s_add_i32 s3, s3, 8
	s_cmp_lg_u32 s3, 16
	s_waitcnt vmcnt(0)
	v_add_u32_e32 v3, v5, v3
	v_add_u32_e32 v2, v4, v2
	scratch_store_dwordx2 off, v[2:3], s6
	s_cbranch_scc1 .LBB2035_113
; %bb.114:
	scratch_load_dwordx4 v[2:5], off, off offset:16
.LBB2035_115:
	s_or_b64 exec, exec, s[4:5]
	scratch_load_ubyte v8, off, off offset:556
	s_waitcnt vmcnt(0)
	v_cmp_ne_u16_e32 vcc, 0, v8
	scratch_store_dwordx4 off, v[2:5], off offset:80
                                        ; implicit-def: $vgpr4_vgpr5
	s_and_saveexec_b64 s[4:5], vcc
	s_xor_b64 s[4:5], exec, s[4:5]
	s_cbranch_execz .LBB2035_117
; %bb.116:
	scratch_load_dwordx4 v[2:5], off, off offset:540
.LBB2035_117:
	s_andn2_saveexec_b64 s[4:5], s[4:5]
	s_cbranch_execz .LBB2035_123
; %bb.118:
	s_waitcnt vmcnt(0)
	v_mov_b32_e32 v2, 0
	s_mov_b32 s3, 0
	v_mov_b32_e32 v3, v2
.LBB2035_119:                           ; =>This Inner Loop Header: Depth=1
	s_add_i32 s6, s3, 16
	s_add_i32 s3, s3, 8
	s_cmp_lg_u32 s3, 16
	scratch_store_dwordx2 off, v[2:3], s6
	s_cbranch_scc1 .LBB2035_119
; %bb.120:
	s_mov_b32 s3, 0
.LBB2035_121:                           ; =>This Inner Loop Header: Depth=1
	s_add_i32 s6, s3, 0x50
	s_add_i32 s7, s84, s3
	scratch_load_dwordx2 v[2:3], off, s6
	scratch_load_dwordx2 v[4:5], off, s7
	s_add_i32 s6, s3, 16
	s_add_i32 s3, s3, 8
	s_cmp_lg_u32 s3, 16
	s_waitcnt vmcnt(0)
	v_add_u32_e32 v3, v5, v3
	v_add_u32_e32 v2, v4, v2
	scratch_store_dwordx2 off, v[2:3], s6
	s_cbranch_scc1 .LBB2035_121
; %bb.122:
	scratch_load_dwordx4 v[2:5], off, off offset:16
.LBB2035_123:
	s_or_b64 exec, exec, s[4:5]
	scratch_load_ubyte v9, off, off offset:576
	s_waitcnt vmcnt(0)
	v_cmp_ne_u16_e32 vcc, 0, v9
	scratch_store_dwordx4 off, v[2:5], off offset:80
                                        ; implicit-def: $vgpr4_vgpr5
	s_and_saveexec_b64 s[4:5], vcc
	s_xor_b64 s[4:5], exec, s[4:5]
	s_cbranch_execz .LBB2035_125
; %bb.124:
	scratch_load_dwordx4 v[2:5], off, off offset:560
.LBB2035_125:
	s_andn2_saveexec_b64 s[4:5], s[4:5]
	s_cbranch_execz .LBB2035_131
; %bb.126:
	s_waitcnt vmcnt(0)
	v_mov_b32_e32 v2, 0
	s_mov_b32 s3, 0
	v_mov_b32_e32 v3, v2
.LBB2035_127:                           ; =>This Inner Loop Header: Depth=1
	s_add_i32 s6, s3, 16
	s_add_i32 s3, s3, 8
	s_cmp_lg_u32 s3, 16
	scratch_store_dwordx2 off, v[2:3], s6
	s_cbranch_scc1 .LBB2035_127
; %bb.128:
	s_mov_b32 s3, 0
.LBB2035_129:                           ; =>This Inner Loop Header: Depth=1
	s_add_i32 s6, s3, 0x50
	s_add_i32 s7, s85, s3
	scratch_load_dwordx2 v[2:3], off, s6
	scratch_load_dwordx2 v[4:5], off, s7
	s_add_i32 s6, s3, 16
	s_add_i32 s3, s3, 8
	s_cmp_lg_u32 s3, 16
	s_waitcnt vmcnt(0)
	v_add_u32_e32 v3, v5, v3
	v_add_u32_e32 v2, v4, v2
	scratch_store_dwordx2 off, v[2:3], s6
	s_cbranch_scc1 .LBB2035_129
; %bb.130:
	scratch_load_dwordx4 v[2:5], off, off offset:16
.LBB2035_131:
	s_or_b64 exec, exec, s[4:5]
	scratch_load_ubyte v10, off, off offset:596
	s_waitcnt vmcnt(0)
	v_cmp_ne_u16_e32 vcc, 0, v10
	scratch_store_dwordx4 off, v[2:5], off offset:80
                                        ; implicit-def: $vgpr4_vgpr5
	s_and_saveexec_b64 s[4:5], vcc
	s_xor_b64 s[4:5], exec, s[4:5]
	s_cbranch_execz .LBB2035_133
; %bb.132:
	scratch_load_dwordx4 v[2:5], off, off offset:580
.LBB2035_133:
	s_andn2_saveexec_b64 s[4:5], s[4:5]
	s_cbranch_execz .LBB2035_139
; %bb.134:
	s_waitcnt vmcnt(0)
	v_mov_b32_e32 v2, 0
	s_mov_b32 s3, 0
	v_mov_b32_e32 v3, v2
.LBB2035_135:                           ; =>This Inner Loop Header: Depth=1
	s_add_i32 s6, s3, 16
	s_add_i32 s3, s3, 8
	s_cmp_lg_u32 s3, 16
	scratch_store_dwordx2 off, v[2:3], s6
	s_cbranch_scc1 .LBB2035_135
; %bb.136:
	s_mov_b32 s3, 0
.LBB2035_137:                           ; =>This Inner Loop Header: Depth=1
	s_add_i32 s6, s3, 0x50
	s_add_i32 s7, s86, s3
	scratch_load_dwordx2 v[2:3], off, s6
	scratch_load_dwordx2 v[4:5], off, s7
	s_add_i32 s6, s3, 16
	s_add_i32 s3, s3, 8
	s_cmp_lg_u32 s3, 16
	s_waitcnt vmcnt(0)
	v_add_u32_e32 v3, v5, v3
	v_add_u32_e32 v2, v4, v2
	scratch_store_dwordx2 off, v[2:3], s6
	s_cbranch_scc1 .LBB2035_137
; %bb.138:
	scratch_load_dwordx4 v[2:5], off, off offset:16
.LBB2035_139:
	s_or_b64 exec, exec, s[4:5]
	scratch_load_ubyte v11, off, off offset:616
	s_waitcnt vmcnt(0)
	v_cmp_ne_u16_e32 vcc, 0, v11
	scratch_store_dwordx4 off, v[2:5], off offset:80
                                        ; implicit-def: $vgpr4_vgpr5
	s_and_saveexec_b64 s[4:5], vcc
	s_xor_b64 s[4:5], exec, s[4:5]
	s_cbranch_execz .LBB2035_141
; %bb.140:
	scratch_load_dwordx4 v[2:5], off, off offset:600
.LBB2035_141:
	s_andn2_saveexec_b64 s[4:5], s[4:5]
	s_cbranch_execz .LBB2035_147
; %bb.142:
	s_waitcnt vmcnt(0)
	v_mov_b32_e32 v2, 0
	s_mov_b32 s3, 0
	v_mov_b32_e32 v3, v2
.LBB2035_143:                           ; =>This Inner Loop Header: Depth=1
	s_add_i32 s6, s3, 16
	s_add_i32 s3, s3, 8
	s_cmp_lg_u32 s3, 16
	scratch_store_dwordx2 off, v[2:3], s6
	s_cbranch_scc1 .LBB2035_143
; %bb.144:
	s_mov_b32 s3, 0
.LBB2035_145:                           ; =>This Inner Loop Header: Depth=1
	s_add_i32 s6, s3, 0x50
	s_add_i32 s7, s87, s3
	scratch_load_dwordx2 v[2:3], off, s6
	scratch_load_dwordx2 v[4:5], off, s7
	s_add_i32 s6, s3, 16
	s_add_i32 s3, s3, 8
	s_cmp_lg_u32 s3, 16
	s_waitcnt vmcnt(0)
	v_add_u32_e32 v3, v5, v3
	v_add_u32_e32 v2, v4, v2
	scratch_store_dwordx2 off, v[2:3], s6
	s_cbranch_scc1 .LBB2035_145
; %bb.146:
	scratch_load_dwordx4 v[2:5], off, off offset:16
.LBB2035_147:
	s_or_b64 exec, exec, s[4:5]
	scratch_load_ubyte v12, off, off offset:636
	s_waitcnt vmcnt(0)
	v_cmp_ne_u16_e32 vcc, 0, v12
	scratch_store_dwordx4 off, v[2:5], off offset:80
                                        ; implicit-def: $vgpr4_vgpr5
	s_and_saveexec_b64 s[4:5], vcc
	s_xor_b64 s[4:5], exec, s[4:5]
	s_cbranch_execz .LBB2035_149
; %bb.148:
	scratch_load_dwordx4 v[2:5], off, off offset:620
.LBB2035_149:
	s_andn2_saveexec_b64 s[4:5], s[4:5]
	s_cbranch_execz .LBB2035_155
; %bb.150:
	s_waitcnt vmcnt(0)
	v_mov_b32_e32 v2, 0
	s_mov_b32 s3, 0
	v_mov_b32_e32 v3, v2
.LBB2035_151:                           ; =>This Inner Loop Header: Depth=1
	s_add_i32 s6, s3, 16
	s_add_i32 s3, s3, 8
	s_cmp_lg_u32 s3, 16
	scratch_store_dwordx2 off, v[2:3], s6
	s_cbranch_scc1 .LBB2035_151
; %bb.152:
	s_mov_b32 s3, 0
.LBB2035_153:                           ; =>This Inner Loop Header: Depth=1
	s_add_i32 s6, s3, 0x50
	s_add_i32 s7, s88, s3
	scratch_load_dwordx2 v[2:3], off, s6
	scratch_load_dwordx2 v[4:5], off, s7
	s_add_i32 s6, s3, 16
	s_add_i32 s3, s3, 8
	s_cmp_lg_u32 s3, 16
	s_waitcnt vmcnt(0)
	v_add_u32_e32 v3, v5, v3
	v_add_u32_e32 v2, v4, v2
	scratch_store_dwordx2 off, v[2:3], s6
	s_cbranch_scc1 .LBB2035_153
; %bb.154:
	scratch_load_dwordx4 v[2:5], off, off offset:16
.LBB2035_155:
	s_or_b64 exec, exec, s[4:5]
	scratch_load_ubyte v13, off, off offset:656
	s_waitcnt vmcnt(0)
	v_cmp_ne_u16_e32 vcc, 0, v13
	scratch_store_dwordx4 off, v[2:5], off offset:80
                                        ; implicit-def: $vgpr4_vgpr5
	s_and_saveexec_b64 s[4:5], vcc
	s_xor_b64 s[4:5], exec, s[4:5]
	s_cbranch_execz .LBB2035_157
; %bb.156:
	scratch_load_dwordx4 v[2:5], off, off offset:640
.LBB2035_157:
	s_andn2_saveexec_b64 s[4:5], s[4:5]
	s_cbranch_execz .LBB2035_163
; %bb.158:
	s_waitcnt vmcnt(0)
	v_mov_b32_e32 v2, 0
	s_mov_b32 s3, 0
	v_mov_b32_e32 v3, v2
.LBB2035_159:                           ; =>This Inner Loop Header: Depth=1
	s_add_i32 s6, s3, 16
	s_add_i32 s3, s3, 8
	s_cmp_lg_u32 s3, 16
	scratch_store_dwordx2 off, v[2:3], s6
	s_cbranch_scc1 .LBB2035_159
; %bb.160:
	s_mov_b32 s3, 0
.LBB2035_161:                           ; =>This Inner Loop Header: Depth=1
	s_add_i32 s6, s3, 0x50
	s_add_i32 s7, s89, s3
	scratch_load_dwordx2 v[2:3], off, s6
	scratch_load_dwordx2 v[4:5], off, s7
	s_add_i32 s6, s3, 16
	s_add_i32 s3, s3, 8
	s_cmp_lg_u32 s3, 16
	s_waitcnt vmcnt(0)
	v_add_u32_e32 v3, v5, v3
	v_add_u32_e32 v2, v4, v2
	scratch_store_dwordx2 off, v[2:3], s6
	s_cbranch_scc1 .LBB2035_161
; %bb.162:
	scratch_load_dwordx4 v[2:5], off, off offset:16
.LBB2035_163:
	s_or_b64 exec, exec, s[4:5]
	scratch_load_ubyte v14, off, off offset:676
	s_waitcnt vmcnt(0)
	v_cmp_ne_u16_e32 vcc, 0, v14
	scratch_store_dwordx4 off, v[2:5], off offset:80
                                        ; implicit-def: $vgpr4_vgpr5
	s_and_saveexec_b64 s[4:5], vcc
	s_xor_b64 s[4:5], exec, s[4:5]
	s_cbranch_execz .LBB2035_165
; %bb.164:
	scratch_load_dwordx4 v[2:5], off, off offset:660
.LBB2035_165:
	s_andn2_saveexec_b64 s[4:5], s[4:5]
	s_cbranch_execz .LBB2035_171
; %bb.166:
	s_waitcnt vmcnt(0)
	v_mov_b32_e32 v2, 0
	s_mov_b32 s3, 0
	v_mov_b32_e32 v3, v2
.LBB2035_167:                           ; =>This Inner Loop Header: Depth=1
	s_add_i32 s6, s3, 16
	s_add_i32 s3, s3, 8
	s_cmp_lg_u32 s3, 16
	scratch_store_dwordx2 off, v[2:3], s6
	s_cbranch_scc1 .LBB2035_167
; %bb.168:
	s_mov_b32 s3, 0
.LBB2035_169:                           ; =>This Inner Loop Header: Depth=1
	s_add_i32 s6, s3, 0x50
	s_add_i32 s7, s90, s3
	scratch_load_dwordx2 v[2:3], off, s6
	scratch_load_dwordx2 v[4:5], off, s7
	s_add_i32 s6, s3, 16
	s_add_i32 s3, s3, 8
	s_cmp_lg_u32 s3, 16
	s_waitcnt vmcnt(0)
	v_add_u32_e32 v3, v5, v3
	v_add_u32_e32 v2, v4, v2
	scratch_store_dwordx2 off, v[2:3], s6
	s_cbranch_scc1 .LBB2035_169
; %bb.170:
	scratch_load_dwordx4 v[2:5], off, off offset:16
.LBB2035_171:
	s_or_b64 exec, exec, s[4:5]
	scratch_load_ubyte v15, off, off offset:696
	s_waitcnt vmcnt(0)
	v_cmp_ne_u16_e32 vcc, 0, v15
	scratch_store_dwordx4 off, v[2:5], off offset:80
                                        ; implicit-def: $vgpr4_vgpr5
	s_and_saveexec_b64 s[4:5], vcc
	s_xor_b64 s[4:5], exec, s[4:5]
	s_cbranch_execz .LBB2035_173
; %bb.172:
	scratch_load_dwordx4 v[2:5], off, off offset:680
.LBB2035_173:
	s_andn2_saveexec_b64 s[4:5], s[4:5]
	s_cbranch_execz .LBB2035_179
; %bb.174:
	s_waitcnt vmcnt(0)
	v_mov_b32_e32 v2, 0
	s_mov_b32 s3, 0
	v_mov_b32_e32 v3, v2
.LBB2035_175:                           ; =>This Inner Loop Header: Depth=1
	s_add_i32 s6, s3, 16
	s_add_i32 s3, s3, 8
	s_cmp_lg_u32 s3, 16
	scratch_store_dwordx2 off, v[2:3], s6
	s_cbranch_scc1 .LBB2035_175
; %bb.176:
	s_mov_b32 s3, 0
.LBB2035_177:                           ; =>This Inner Loop Header: Depth=1
	s_add_i32 s6, s3, 0x50
	s_add_i32 s7, s91, s3
	scratch_load_dwordx2 v[2:3], off, s6
	scratch_load_dwordx2 v[4:5], off, s7
	s_add_i32 s6, s3, 16
	s_add_i32 s3, s3, 8
	s_cmp_lg_u32 s3, 16
	s_waitcnt vmcnt(0)
	v_add_u32_e32 v3, v5, v3
	v_add_u32_e32 v2, v4, v2
	scratch_store_dwordx2 off, v[2:3], s6
	s_cbranch_scc1 .LBB2035_177
; %bb.178:
	scratch_load_dwordx4 v[2:5], off, off offset:16
.LBB2035_179:
	s_or_b64 exec, exec, s[4:5]
	scratch_load_ubyte v16, off, off offset:716
	s_waitcnt vmcnt(0)
	v_cmp_ne_u16_e32 vcc, 0, v16
	scratch_store_dwordx4 off, v[2:5], off offset:80
                                        ; implicit-def: $vgpr4_vgpr5
	s_and_saveexec_b64 s[4:5], vcc
	s_xor_b64 s[4:5], exec, s[4:5]
	s_cbranch_execz .LBB2035_181
; %bb.180:
	scratch_load_dwordx4 v[2:5], off, off offset:700
.LBB2035_181:
	s_andn2_saveexec_b64 s[4:5], s[4:5]
	s_cbranch_execz .LBB2035_187
; %bb.182:
	s_waitcnt vmcnt(0)
	v_mov_b32_e32 v2, 0
	s_mov_b32 s3, 0
	v_mov_b32_e32 v3, v2
.LBB2035_183:                           ; =>This Inner Loop Header: Depth=1
	s_add_i32 s6, s3, 16
	s_add_i32 s3, s3, 8
	s_cmp_lg_u32 s3, 16
	scratch_store_dwordx2 off, v[2:3], s6
	s_cbranch_scc1 .LBB2035_183
; %bb.184:
	s_mov_b32 s3, 0
.LBB2035_185:                           ; =>This Inner Loop Header: Depth=1
	s_add_i32 s6, s3, 0x50
	s_add_i32 s7, s92, s3
	scratch_load_dwordx2 v[2:3], off, s6
	scratch_load_dwordx2 v[4:5], off, s7
	s_add_i32 s6, s3, 16
	s_add_i32 s3, s3, 8
	s_cmp_lg_u32 s3, 16
	s_waitcnt vmcnt(0)
	v_add_u32_e32 v3, v5, v3
	v_add_u32_e32 v2, v4, v2
	scratch_store_dwordx2 off, v[2:3], s6
	s_cbranch_scc1 .LBB2035_185
; %bb.186:
	scratch_load_dwordx4 v[2:5], off, off offset:16
.LBB2035_187:
	s_or_b64 exec, exec, s[4:5]
	scratch_load_ubyte v17, off, off offset:736
	s_waitcnt vmcnt(0)
	v_cmp_ne_u16_e32 vcc, 0, v17
	scratch_store_dwordx4 off, v[2:5], off offset:80
                                        ; implicit-def: $vgpr4_vgpr5
	s_and_saveexec_b64 s[4:5], vcc
	s_xor_b64 s[4:5], exec, s[4:5]
	s_cbranch_execz .LBB2035_189
; %bb.188:
	scratch_load_dwordx4 v[2:5], off, off offset:720
.LBB2035_189:
	s_andn2_saveexec_b64 s[4:5], s[4:5]
	s_cbranch_execz .LBB2035_195
; %bb.190:
	s_waitcnt vmcnt(0)
	v_mov_b32_e32 v2, 0
	s_mov_b32 s3, 0
	v_mov_b32_e32 v3, v2
.LBB2035_191:                           ; =>This Inner Loop Header: Depth=1
	s_add_i32 s6, s3, 16
	s_add_i32 s3, s3, 8
	s_cmp_lg_u32 s3, 16
	scratch_store_dwordx2 off, v[2:3], s6
	s_cbranch_scc1 .LBB2035_191
; %bb.192:
	s_mov_b32 s3, 0
.LBB2035_193:                           ; =>This Inner Loop Header: Depth=1
	s_add_i32 s6, s3, 0x50
	s_add_i32 s7, s93, s3
	scratch_load_dwordx2 v[2:3], off, s6
	scratch_load_dwordx2 v[4:5], off, s7
	s_add_i32 s6, s3, 16
	s_add_i32 s3, s3, 8
	s_cmp_lg_u32 s3, 16
	s_waitcnt vmcnt(0)
	v_add_u32_e32 v3, v5, v3
	v_add_u32_e32 v2, v4, v2
	scratch_store_dwordx2 off, v[2:3], s6
	s_cbranch_scc1 .LBB2035_193
; %bb.194:
	scratch_load_dwordx4 v[2:5], off, off offset:16
.LBB2035_195:
	s_or_b64 exec, exec, s[4:5]
	scratch_load_ubyte v18, off, off offset:756
	s_waitcnt vmcnt(0)
	v_cmp_ne_u16_e32 vcc, 0, v18
	scratch_store_dwordx4 off, v[2:5], off offset:80
                                        ; implicit-def: $vgpr4_vgpr5
	s_and_saveexec_b64 s[4:5], vcc
	s_xor_b64 s[4:5], exec, s[4:5]
	s_cbranch_execz .LBB2035_197
; %bb.196:
	scratch_load_dwordx4 v[2:5], off, off offset:740
.LBB2035_197:
	s_andn2_saveexec_b64 s[4:5], s[4:5]
	s_cbranch_execz .LBB2035_203
; %bb.198:
	s_waitcnt vmcnt(0)
	v_mov_b32_e32 v2, 0
	s_mov_b32 s3, 0
	v_mov_b32_e32 v3, v2
.LBB2035_199:                           ; =>This Inner Loop Header: Depth=1
	s_add_i32 s6, s3, 16
	s_add_i32 s3, s3, 8
	s_cmp_lg_u32 s3, 16
	scratch_store_dwordx2 off, v[2:3], s6
	s_cbranch_scc1 .LBB2035_199
; %bb.200:
	s_mov_b32 s3, 0
.LBB2035_201:                           ; =>This Inner Loop Header: Depth=1
	s_add_i32 s6, s3, 0x50
	s_add_i32 s7, s94, s3
	scratch_load_dwordx2 v[2:3], off, s6
	scratch_load_dwordx2 v[4:5], off, s7
	s_add_i32 s6, s3, 16
	s_add_i32 s3, s3, 8
	s_cmp_lg_u32 s3, 16
	s_waitcnt vmcnt(0)
	v_add_u32_e32 v3, v5, v3
	v_add_u32_e32 v2, v4, v2
	scratch_store_dwordx2 off, v[2:3], s6
	s_cbranch_scc1 .LBB2035_201
; %bb.202:
	scratch_load_dwordx4 v[2:5], off, off offset:16
.LBB2035_203:
	s_or_b64 exec, exec, s[4:5]
	scratch_load_ubyte v19, off, off offset:776
	s_waitcnt vmcnt(0)
	v_cmp_ne_u16_e32 vcc, 0, v19
	scratch_store_dwordx4 off, v[2:5], off offset:80
                                        ; implicit-def: $vgpr4_vgpr5
	s_and_saveexec_b64 s[4:5], vcc
	s_xor_b64 s[4:5], exec, s[4:5]
	s_cbranch_execz .LBB2035_205
; %bb.204:
	scratch_load_dwordx4 v[2:5], off, off offset:760
.LBB2035_205:
	s_andn2_saveexec_b64 s[4:5], s[4:5]
	s_cbranch_execz .LBB2035_211
; %bb.206:
	s_waitcnt vmcnt(0)
	v_mov_b32_e32 v2, 0
	s_mov_b32 s3, 0
	v_mov_b32_e32 v3, v2
.LBB2035_207:                           ; =>This Inner Loop Header: Depth=1
	s_add_i32 s6, s3, 16
	s_add_i32 s3, s3, 8
	s_cmp_lg_u32 s3, 16
	scratch_store_dwordx2 off, v[2:3], s6
	s_cbranch_scc1 .LBB2035_207
; %bb.208:
	s_mov_b32 s3, 0
.LBB2035_209:                           ; =>This Inner Loop Header: Depth=1
	s_add_i32 s6, s3, 0x50
	s_add_i32 s7, s95, s3
	scratch_load_dwordx2 v[2:3], off, s6
	scratch_load_dwordx2 v[4:5], off, s7
	s_add_i32 s6, s3, 16
	s_add_i32 s3, s3, 8
	s_cmp_lg_u32 s3, 16
	s_waitcnt vmcnt(0)
	v_add_u32_e32 v3, v5, v3
	v_add_u32_e32 v2, v4, v2
	scratch_store_dwordx2 off, v[2:3], s6
	s_cbranch_scc1 .LBB2035_209
; %bb.210:
	scratch_load_dwordx4 v[2:5], off, off offset:16
.LBB2035_211:
	s_or_b64 exec, exec, s[4:5]
	scratch_load_ubyte v20, off, off offset:796
	s_waitcnt vmcnt(0)
	v_cmp_ne_u16_e32 vcc, 0, v20
	scratch_store_dwordx4 off, v[2:5], off offset:80
                                        ; implicit-def: $vgpr4_vgpr5
	s_and_saveexec_b64 s[4:5], vcc
	s_xor_b64 s[4:5], exec, s[4:5]
	s_cbranch_execz .LBB2035_213
; %bb.212:
	scratch_load_dwordx4 v[2:5], off, off offset:780
.LBB2035_213:
	s_andn2_saveexec_b64 s[4:5], s[4:5]
	s_cbranch_execz .LBB2035_219
; %bb.214:
	s_waitcnt vmcnt(0)
	v_mov_b32_e32 v2, 0
	s_mov_b32 s3, 0
	v_mov_b32_e32 v3, v2
.LBB2035_215:                           ; =>This Inner Loop Header: Depth=1
	s_add_i32 s6, s3, 16
	s_add_i32 s3, s3, 8
	s_cmp_lg_u32 s3, 16
	scratch_store_dwordx2 off, v[2:3], s6
	s_cbranch_scc1 .LBB2035_215
; %bb.216:
	s_mov_b32 s3, 0
.LBB2035_217:                           ; =>This Inner Loop Header: Depth=1
	s_add_i32 s6, s3, 0x50
	s_add_i32 s7, s97, s3
	scratch_load_dwordx2 v[2:3], off, s6
	scratch_load_dwordx2 v[4:5], off, s7
	s_add_i32 s6, s3, 16
	s_add_i32 s3, s3, 8
	s_cmp_lg_u32 s3, 16
	s_waitcnt vmcnt(0)
	v_add_u32_e32 v3, v5, v3
	v_add_u32_e32 v2, v4, v2
	scratch_store_dwordx2 off, v[2:3], s6
	s_cbranch_scc1 .LBB2035_217
; %bb.218:
	scratch_load_dwordx4 v[2:5], off, off offset:16
.LBB2035_219:
	s_or_b64 exec, exec, s[4:5]
	scratch_load_ubyte v21, off, off offset:816
	s_waitcnt vmcnt(0)
	v_cmp_ne_u16_e32 vcc, 0, v21
	scratch_store_dwordx4 off, v[2:5], off offset:80
                                        ; implicit-def: $vgpr4_vgpr5
	s_and_saveexec_b64 s[4:5], vcc
	s_xor_b64 s[4:5], exec, s[4:5]
	s_cbranch_execz .LBB2035_221
; %bb.220:
	scratch_load_dwordx4 v[2:5], off, off offset:800
.LBB2035_221:
	s_andn2_saveexec_b64 s[4:5], s[4:5]
	s_cbranch_execz .LBB2035_227
; %bb.222:
	s_waitcnt vmcnt(0)
	v_mov_b32_e32 v2, 0
	s_mov_b32 s3, 0
	v_mov_b32_e32 v3, v2
.LBB2035_223:                           ; =>This Inner Loop Header: Depth=1
	s_add_i32 s6, s3, 16
	s_add_i32 s3, s3, 8
	s_cmp_lg_u32 s3, 16
	scratch_store_dwordx2 off, v[2:3], s6
	s_cbranch_scc1 .LBB2035_223
; %bb.224:
	s_mov_b32 s3, 0
.LBB2035_225:                           ; =>This Inner Loop Header: Depth=1
	s_add_i32 s6, s3, 0x50
	s_add_i32 s7, s96, s3
	scratch_load_dwordx2 v[2:3], off, s6
	scratch_load_dwordx2 v[4:5], off, s7
	s_add_i32 s6, s3, 16
	s_add_i32 s3, s3, 8
	s_cmp_lg_u32 s3, 16
	s_waitcnt vmcnt(0)
	v_add_u32_e32 v3, v5, v3
	v_add_u32_e32 v2, v4, v2
	scratch_store_dwordx2 off, v[2:3], s6
	s_cbranch_scc1 .LBB2035_225
; %bb.226:
	scratch_load_dwordx4 v[2:5], off, off offset:16
.LBB2035_227:
	s_or_b64 exec, exec, s[4:5]
	scratch_load_ubyte v22, off, off offset:836
	s_waitcnt vmcnt(0)
	v_cmp_ne_u16_e32 vcc, 0, v22
	scratch_store_dwordx4 off, v[2:5], off offset:80
                                        ; implicit-def: $vgpr4_vgpr5
	s_and_saveexec_b64 s[4:5], vcc
	s_xor_b64 s[4:5], exec, s[4:5]
	s_cbranch_execz .LBB2035_229
; %bb.228:
	scratch_load_dwordx4 v[2:5], off, off offset:820
.LBB2035_229:
	s_andn2_saveexec_b64 s[4:5], s[4:5]
	s_cbranch_execz .LBB2035_235
; %bb.230:
	s_waitcnt vmcnt(0)
	v_mov_b32_e32 v2, 0
	s_mov_b32 s3, 0
	v_mov_b32_e32 v3, v2
.LBB2035_231:                           ; =>This Inner Loop Header: Depth=1
	s_add_i32 s6, s3, 16
	s_add_i32 s3, s3, 8
	s_cmp_lg_u32 s3, 16
	scratch_store_dwordx2 off, v[2:3], s6
	s_cbranch_scc1 .LBB2035_231
; %bb.232:
	s_mov_b32 s3, 0
.LBB2035_233:                           ; =>This Inner Loop Header: Depth=1
	s_add_i32 s6, s3, 0x50
	s_add_i32 s7, s98, s3
	scratch_load_dwordx2 v[2:3], off, s6
	scratch_load_dwordx2 v[4:5], off, s7
	s_add_i32 s6, s3, 16
	s_add_i32 s3, s3, 8
	s_cmp_lg_u32 s3, 16
	s_waitcnt vmcnt(0)
	v_add_u32_e32 v3, v5, v3
	v_add_u32_e32 v2, v4, v2
	scratch_store_dwordx2 off, v[2:3], s6
	s_cbranch_scc1 .LBB2035_233
; %bb.234:
	scratch_load_dwordx4 v[2:5], off, off offset:16
.LBB2035_235:
	s_or_b64 exec, exec, s[4:5]
	scratch_load_ubyte v23, off, off offset:856
	s_waitcnt vmcnt(0)
	v_cmp_ne_u16_e32 vcc, 0, v23
	scratch_store_dwordx4 off, v[2:5], off offset:80
                                        ; implicit-def: $vgpr4_vgpr5
	s_and_saveexec_b64 s[4:5], vcc
	s_xor_b64 s[4:5], exec, s[4:5]
	s_cbranch_execz .LBB2035_237
; %bb.236:
	scratch_load_dwordx4 v[2:5], off, off offset:840
.LBB2035_237:
	s_andn2_saveexec_b64 s[4:5], s[4:5]
	s_cbranch_execz .LBB2035_243
; %bb.238:
	s_waitcnt vmcnt(0)
	v_mov_b32_e32 v2, 0
	s_mov_b32 s3, 0
	v_mov_b32_e32 v3, v2
.LBB2035_239:                           ; =>This Inner Loop Header: Depth=1
	s_add_i32 s6, s3, 16
	s_add_i32 s3, s3, 8
	s_cmp_lg_u32 s3, 16
	scratch_store_dwordx2 off, v[2:3], s6
	s_cbranch_scc1 .LBB2035_239
; %bb.240:
	s_mov_b32 s3, 0
.LBB2035_241:                           ; =>This Inner Loop Header: Depth=1
	s_add_i32 s6, s3, 0x50
	s_add_i32 s7, s99, s3
	scratch_load_dwordx2 v[2:3], off, s6
	scratch_load_dwordx2 v[4:5], off, s7
	s_add_i32 s6, s3, 16
	s_add_i32 s3, s3, 8
	s_cmp_lg_u32 s3, 16
	s_waitcnt vmcnt(0)
	v_add_u32_e32 v3, v5, v3
	v_add_u32_e32 v2, v4, v2
	scratch_store_dwordx2 off, v[2:3], s6
	s_cbranch_scc1 .LBB2035_241
; %bb.242:
	scratch_load_dwordx4 v[2:5], off, off offset:16
.LBB2035_243:
	s_or_b64 exec, exec, s[4:5]
	scratch_load_ubyte v24, off, off offset:876
	s_waitcnt vmcnt(0)
	v_cmp_ne_u16_e32 vcc, 0, v24
	scratch_store_dwordx4 off, v[2:5], off offset:80
                                        ; implicit-def: $vgpr4_vgpr5
	s_and_saveexec_b64 s[4:5], vcc
	s_xor_b64 s[4:5], exec, s[4:5]
	s_cbranch_execz .LBB2035_245
; %bb.244:
	scratch_load_dwordx4 v[2:5], off, off offset:860
.LBB2035_245:
	s_andn2_saveexec_b64 s[4:5], s[4:5]
	s_cbranch_execz .LBB2035_251
; %bb.246:
	s_waitcnt vmcnt(0)
	v_mov_b32_e32 v2, 0
	s_mov_b32 s3, 0
	v_mov_b32_e32 v3, v2
.LBB2035_247:                           ; =>This Inner Loop Header: Depth=1
	s_add_i32 s6, s3, 16
	s_add_i32 s3, s3, 8
	s_cmp_lg_u32 s3, 16
	scratch_store_dwordx2 off, v[2:3], s6
	s_cbranch_scc1 .LBB2035_247
; %bb.248:
	s_mov_b32 s3, 0
.LBB2035_249:                           ; =>This Inner Loop Header: Depth=1
	s_add_i32 s6, s3, 0x50
	s_add_i32 s7, s76, s3
	scratch_load_dwordx2 v[2:3], off, s6
	scratch_load_dwordx2 v[4:5], off, s7
	s_add_i32 s6, s3, 16
	s_add_i32 s3, s3, 8
	s_cmp_lg_u32 s3, 16
	s_waitcnt vmcnt(0)
	v_add_u32_e32 v3, v5, v3
	v_add_u32_e32 v2, v4, v2
	scratch_store_dwordx2 off, v[2:3], s6
	s_cbranch_scc1 .LBB2035_249
; %bb.250:
	scratch_load_dwordx4 v[2:5], off, off offset:16
.LBB2035_251:
	s_or_b64 exec, exec, s[4:5]
	scratch_load_ubyte v25, off, off offset:896
	s_waitcnt vmcnt(0)
	v_cmp_ne_u16_e32 vcc, 0, v25
	scratch_store_dwordx4 off, v[2:5], off offset:80
                                        ; implicit-def: $vgpr4_vgpr5
	s_and_saveexec_b64 s[4:5], vcc
	s_xor_b64 s[4:5], exec, s[4:5]
	s_cbranch_execz .LBB2035_253
; %bb.252:
	scratch_load_dwordx4 v[2:5], off, off offset:880
.LBB2035_253:
	s_andn2_saveexec_b64 s[4:5], s[4:5]
	s_cbranch_execz .LBB2035_259
; %bb.254:
	s_waitcnt vmcnt(0)
	v_mov_b32_e32 v2, 0
	s_mov_b32 s3, 0
	v_mov_b32_e32 v3, v2
.LBB2035_255:                           ; =>This Inner Loop Header: Depth=1
	s_add_i32 s6, s3, 16
	s_add_i32 s3, s3, 8
	s_cmp_lg_u32 s3, 16
	scratch_store_dwordx2 off, v[2:3], s6
	s_cbranch_scc1 .LBB2035_255
; %bb.256:
	s_mov_b32 s3, 0
.LBB2035_257:                           ; =>This Inner Loop Header: Depth=1
	s_add_i32 s6, s3, 0x50
	s_add_i32 s7, s77, s3
	scratch_load_dwordx2 v[2:3], off, s6
	scratch_load_dwordx2 v[4:5], off, s7
	s_add_i32 s6, s3, 16
	s_add_i32 s3, s3, 8
	s_cmp_lg_u32 s3, 16
	s_waitcnt vmcnt(0)
	v_add_u32_e32 v3, v5, v3
	v_add_u32_e32 v2, v4, v2
	scratch_store_dwordx2 off, v[2:3], s6
	s_cbranch_scc1 .LBB2035_257
; %bb.258:
	scratch_load_dwordx4 v[2:5], off, off offset:16
.LBB2035_259:
	s_or_b64 exec, exec, s[4:5]
	scratch_load_ubyte v26, off, off offset:916
	s_waitcnt vmcnt(0)
	v_cmp_ne_u16_e32 vcc, 0, v26
	scratch_store_dwordx4 off, v[2:5], off offset:80
                                        ; implicit-def: $vgpr4_vgpr5
	s_and_saveexec_b64 s[4:5], vcc
	s_xor_b64 s[4:5], exec, s[4:5]
	s_cbranch_execz .LBB2035_261
; %bb.260:
	scratch_load_dwordx4 v[2:5], off, off offset:900
.LBB2035_261:
	s_andn2_saveexec_b64 s[4:5], s[4:5]
	s_cbranch_execz .LBB2035_267
; %bb.262:
	s_waitcnt vmcnt(0)
	v_mov_b32_e32 v2, 0
	s_mov_b32 s3, 0
	v_mov_b32_e32 v3, v2
.LBB2035_263:                           ; =>This Inner Loop Header: Depth=1
	s_add_i32 s6, s3, 16
	s_add_i32 s3, s3, 8
	s_cmp_lg_u32 s3, 16
	scratch_store_dwordx2 off, v[2:3], s6
	s_cbranch_scc1 .LBB2035_263
; %bb.264:
	s_mov_b32 s3, 0
.LBB2035_265:                           ; =>This Inner Loop Header: Depth=1
	s_add_i32 s6, s3, 0x50
	s_add_i32 s7, s66, s3
	scratch_load_dwordx2 v[2:3], off, s6
	scratch_load_dwordx2 v[4:5], off, s7
	s_add_i32 s6, s3, 16
	s_add_i32 s3, s3, 8
	s_cmp_lg_u32 s3, 16
	s_waitcnt vmcnt(0)
	v_add_u32_e32 v3, v5, v3
	v_add_u32_e32 v2, v4, v2
	scratch_store_dwordx2 off, v[2:3], s6
	s_cbranch_scc1 .LBB2035_265
; %bb.266:
	scratch_load_dwordx4 v[2:5], off, off offset:16
.LBB2035_267:
	s_or_b64 exec, exec, s[4:5]
	scratch_load_ubyte v27, off, off offset:936
	s_waitcnt vmcnt(0)
	v_cmp_ne_u16_e32 vcc, 0, v27
	scratch_store_dwordx4 off, v[2:5], off offset:80
                                        ; implicit-def: $vgpr4_vgpr5
	s_and_saveexec_b64 s[4:5], vcc
	s_xor_b64 s[4:5], exec, s[4:5]
	s_cbranch_execz .LBB2035_269
; %bb.268:
	scratch_load_dwordx4 v[2:5], off, off offset:920
.LBB2035_269:
	s_andn2_saveexec_b64 s[4:5], s[4:5]
	s_cbranch_execz .LBB2035_275
; %bb.270:
	s_waitcnt vmcnt(0)
	v_mov_b32_e32 v2, 0
	s_mov_b32 s3, 0
	v_mov_b32_e32 v3, v2
.LBB2035_271:                           ; =>This Inner Loop Header: Depth=1
	s_add_i32 s6, s3, 16
	s_add_i32 s3, s3, 8
	s_cmp_lg_u32 s3, 16
	scratch_store_dwordx2 off, v[2:3], s6
	s_cbranch_scc1 .LBB2035_271
; %bb.272:
	s_mov_b32 s3, 0
.LBB2035_273:                           ; =>This Inner Loop Header: Depth=1
	s_add_i32 s6, s3, 0x50
	s_add_i32 s7, s67, s3
	scratch_load_dwordx2 v[2:3], off, s6
	scratch_load_dwordx2 v[4:5], off, s7
	s_add_i32 s6, s3, 16
	s_add_i32 s3, s3, 8
	s_cmp_lg_u32 s3, 16
	s_waitcnt vmcnt(0)
	v_add_u32_e32 v3, v5, v3
	v_add_u32_e32 v2, v4, v2
	scratch_store_dwordx2 off, v[2:3], s6
	s_cbranch_scc1 .LBB2035_273
; %bb.274:
	scratch_load_dwordx4 v[2:5], off, off offset:16
.LBB2035_275:
	s_or_b64 exec, exec, s[4:5]
	scratch_load_ushort v28, off, off offset:97
	scratch_load_sbyte v29, off, off offset:99
	v_or_b32_e32 v26, v27, v26
	v_or_b32_e32 v25, v26, v25
	;; [unrolled: 1-line block ×22, first 2 shown]
	v_lshrrev_b32_e32 v27, 5, v0
	v_and_b32_e32 v12, 1, v1
	v_add_u32_e32 v26, v27, v0
	v_mul_u32_u24_e32 v25, 20, v26
	v_cmp_gt_u32_e32 vcc, 64, v0
	s_waitcnt vmcnt(2)
	scratch_store_dwordx4 off, v[2:5], off offset:448
	ds_write2_b32 v25, v2, v3 offset1:1
	ds_write2_b32 v25, v4, v5 offset0:2 offset1:3
	ds_write_b8 v25, v12 offset:16
	s_waitcnt vmcnt(2)
	v_lshrrev_b32_e32 v1, 8, v28
	v_lshlrev_b16_e32 v6, 8, v28
	s_waitcnt vmcnt(1)
	v_lshlrev_b16_e32 v7, 8, v29
	v_or_b32_e32 v6, v12, v6
	v_or_b32_sdwa v1, v1, v7 dst_sel:WORD_1 dst_unused:UNUSED_PAD src0_sel:BYTE_0 src1_sel:DWORD
	s_nop 0
	v_or_b32_sdwa v1, v6, v1 dst_sel:DWORD dst_unused:UNUSED_PAD src0_sel:WORD_0 src1_sel:DWORD
	scratch_store_dword off, v1, off offset:464
	s_waitcnt lgkmcnt(0)
	s_barrier
	s_and_saveexec_b64 s[8:9], vcc
	s_cbranch_execz .LBB2035_351
; %bb.276:
	v_lshrrev_b32_e32 v1, 4, v0
	v_lshl_add_u32 v1, v0, 1, v1
	v_mul_u32_u24_e32 v13, 20, v1
	ds_read_u8 v10, v13 offset:36
	ds_read_b32 v11, v13 offset:16
	ds_read2_b32 v[8:9], v13 offset0:2 offset1:3
	ds_read2_b32 v[6:7], v13 offset1:1
	v_mad_u32_u24 v1, v1, 20, 20
	s_waitcnt lgkmcnt(3)
	v_cmp_ne_u16_e64 s[4:5], 0, v10
	s_waitcnt lgkmcnt(2)
	scratch_store_dword off, v11, off offset:32
	s_waitcnt lgkmcnt(0)
	scratch_store_dwordx4 off, v[6:9], off offset:16
                                        ; implicit-def: $vgpr6_vgpr7
	s_and_saveexec_b64 s[6:7], s[4:5]
	s_xor_b64 s[4:5], exec, s[6:7]
	s_cbranch_execz .LBB2035_278
; %bb.277:
	ds_read2_b32 v[6:7], v1 offset1:1
	ds_read2_b32 v[8:9], v1 offset0:2 offset1:3
.LBB2035_278:
	s_andn2_saveexec_b64 s[4:5], s[4:5]
	s_cbranch_execz .LBB2035_284
; %bb.279:
	s_waitcnt lgkmcnt(1)
	v_mov_b32_e32 v6, 0
	s_mov_b32 s3, 0
	v_mov_b32_e32 v7, v6
.LBB2035_280:                           ; =>This Inner Loop Header: Depth=1
	s_add_i32 s6, s3, 0x50
	s_add_i32 s3, s3, 8
	s_cmp_lg_u32 s3, 16
	scratch_store_dwordx2 off, v[6:7], s6
	s_cbranch_scc1 .LBB2035_280
; %bb.281:
	s_mov_b32 s3, 0
.LBB2035_282:                           ; =>This Inner Loop Header: Depth=1
	s_add_i32 s6, s3, 16
	scratch_load_dwordx2 v[6:7], off, s6
	s_waitcnt lgkmcnt(0)
	v_add_u32_e32 v8, s3, v1
	ds_read2_b32 v[8:9], v8 offset1:1
	s_add_i32 s6, s3, 0x50
	s_add_i32 s3, s3, 8
	s_cmp_lg_u32 s3, 16
	s_waitcnt vmcnt(0) lgkmcnt(0)
	v_add_u32_e32 v7, v9, v7
	v_add_u32_e32 v6, v8, v6
	scratch_store_dwordx2 off, v[6:7], s6
	s_cbranch_scc1 .LBB2035_282
; %bb.283:
	scratch_load_dwordx4 v[6:9], off, off offset:80
.LBB2035_284:
	s_or_b64 exec, exec, s[4:5]
	scratch_load_ubyte v11, off, off offset:32
	s_waitcnt vmcnt(1) lgkmcnt(1)
	v_mov_b32_dpp v16, v6 row_shr:1 row_mask:0xf bank_mask:0xf
	v_mov_b32_dpp v17, v7 row_shr:1 row_mask:0xf bank_mask:0xf
	s_waitcnt lgkmcnt(0)
	v_mov_b32_dpp v18, v8 row_shr:1 row_mask:0xf bank_mask:0xf
	v_mov_b32_dpp v19, v9 row_shr:1 row_mask:0xf bank_mask:0xf
	scratch_store_dwordx4 off, v[16:19], off offset:80
	scratch_store_dwordx4 off, v[6:9], off offset:16
	s_waitcnt vmcnt(2)
	v_or_b32_e32 v10, v10, v11
	v_and_b32_e32 v10, 1, v10
	scratch_store_byte off, v10, off offset:32
	scratch_load_dword v15, off, off offset:32
	v_mbcnt_lo_u32_b32 v10, -1, 0
	v_mbcnt_hi_u32_b32 v14, -1, v10
	v_and_b32_e32 v16, 15, v14
	v_cmp_ne_u32_e64 s[4:5], 0, v16
	s_waitcnt vmcnt(0)
	v_mov_b32_dpp v17, v15 row_shr:1 row_mask:0xf bank_mask:0xf
	scratch_store_dword off, v17, off offset:96
	s_and_saveexec_b64 s[6:7], s[4:5]
	s_cbranch_execz .LBB2035_292
; %bb.285:
	v_mov_b32_e32 v10, 0
	v_cmp_eq_u16_sdwa s[10:11], v15, v10 src0_sel:BYTE_0 src1_sel:DWORD
	s_and_saveexec_b64 s[4:5], s[10:11]
	s_cbranch_execz .LBB2035_291
; %bb.286:
	s_mov_b32 s3, 0
	v_mov_b32_e32 v11, v10
.LBB2035_287:                           ; =>This Inner Loop Header: Depth=1
	s_add_i32 s10, s3, 36
	s_add_i32 s3, s3, 8
	s_cmp_lg_u32 s3, 16
	scratch_store_dwordx2 off, v[10:11], s10
	s_cbranch_scc1 .LBB2035_287
; %bb.288:
	s_mov_b32 s3, 0
.LBB2035_289:                           ; =>This Inner Loop Header: Depth=1
	s_add_i32 s10, s3, 0x50
	s_add_i32 s11, s3, 16
	scratch_load_dwordx2 v[6:7], off, s10
	scratch_load_dwordx2 v[8:9], off, s11
	s_add_i32 s10, s3, 36
	s_add_i32 s3, s3, 8
	s_cmp_lg_u32 s3, 16
	s_waitcnt vmcnt(0)
	v_add_u32_e32 v7, v9, v7
	v_add_u32_e32 v6, v8, v6
	scratch_store_dwordx2 off, v[6:7], s10
	s_cbranch_scc1 .LBB2035_289
; %bb.290:
	scratch_load_dwordx4 v[6:9], off, off offset:36
.LBB2035_291:
	s_or_b64 exec, exec, s[4:5]
	v_or_b32_e32 v10, v17, v15
	v_and_b32_e32 v10, 1, v10
	scratch_store_byte off, v10, off offset:32
	scratch_load_dword v15, off, off offset:32
	s_waitcnt vmcnt(2)
	scratch_store_dwordx4 off, v[6:9], off offset:16
.LBB2035_292:
	s_or_b64 exec, exec, s[6:7]
	v_mov_b32_dpp v18, v6 row_shr:2 row_mask:0xf bank_mask:0xf
	v_mov_b32_dpp v19, v7 row_shr:2 row_mask:0xf bank_mask:0xf
	v_mov_b32_dpp v20, v8 row_shr:2 row_mask:0xf bank_mask:0xf
	v_mov_b32_dpp v21, v9 row_shr:2 row_mask:0xf bank_mask:0xf
	s_waitcnt vmcnt(1)
	v_mov_b32_dpp v17, v15 row_shr:2 row_mask:0xf bank_mask:0xf
	v_cmp_lt_u32_e64 s[4:5], 1, v16
	scratch_store_dwordx4 off, v[18:21], off offset:80
	scratch_store_dword off, v17, off offset:96
	s_and_saveexec_b64 s[10:11], s[4:5]
	s_cbranch_execz .LBB2035_300
; %bb.293:
	v_mov_b32_e32 v10, 0
	s_mov_b32 s3, 0
	v_cmp_eq_u16_sdwa s[6:7], v15, v10 src0_sel:BYTE_0 src1_sel:DWORD
	s_and_saveexec_b64 s[4:5], s[6:7]
	s_cbranch_execz .LBB2035_299
; %bb.294:
	v_mov_b32_e32 v11, v10
.LBB2035_295:                           ; =>This Inner Loop Header: Depth=1
	s_add_i32 s6, s3, 36
	s_add_i32 s3, s3, 8
	s_cmp_lg_u32 s3, 16
	scratch_store_dwordx2 off, v[10:11], s6
	s_cbranch_scc1 .LBB2035_295
; %bb.296:
	s_mov_b32 s3, 0
.LBB2035_297:                           ; =>This Inner Loop Header: Depth=1
	s_add_i32 s6, s3, 0x50
	s_add_i32 s7, s3, 16
	scratch_load_dwordx2 v[6:7], off, s6
	scratch_load_dwordx2 v[8:9], off, s7
	s_add_i32 s6, s3, 36
	s_add_i32 s3, s3, 8
	s_cmp_lg_u32 s3, 16
	s_waitcnt vmcnt(0)
	v_add_u32_e32 v7, v9, v7
	v_add_u32_e32 v6, v8, v6
	scratch_store_dwordx2 off, v[6:7], s6
	s_cbranch_scc1 .LBB2035_297
; %bb.298:
	scratch_load_dwordx4 v[6:9], off, off offset:36
.LBB2035_299:
	s_or_b64 exec, exec, s[4:5]
	v_and_b32_e32 v10, 1, v15
	v_cmp_eq_u32_e64 s[4:5], 1, v10
	v_and_b32_e32 v10, 1, v17
	v_cmp_eq_u32_e64 s[6:7], 1, v10
	s_or_b64 s[4:5], s[4:5], s[6:7]
	v_cndmask_b32_e64 v10, 0, 1, s[4:5]
	scratch_store_byte off, v10, off offset:32
	scratch_load_dword v15, off, off offset:32
	s_waitcnt vmcnt(2)
	scratch_store_dwordx4 off, v[6:9], off offset:16
.LBB2035_300:
	s_or_b64 exec, exec, s[10:11]
	v_mov_b32_dpp v18, v6 row_shr:4 row_mask:0xf bank_mask:0xf
	v_mov_b32_dpp v19, v7 row_shr:4 row_mask:0xf bank_mask:0xf
	v_mov_b32_dpp v20, v8 row_shr:4 row_mask:0xf bank_mask:0xf
	v_mov_b32_dpp v21, v9 row_shr:4 row_mask:0xf bank_mask:0xf
	s_waitcnt vmcnt(1)
	v_mov_b32_dpp v17, v15 row_shr:4 row_mask:0xf bank_mask:0xf
	v_cmp_lt_u32_e64 s[4:5], 3, v16
	scratch_store_dwordx4 off, v[18:21], off offset:80
	scratch_store_dword off, v17, off offset:96
	s_and_saveexec_b64 s[10:11], s[4:5]
	s_cbranch_execz .LBB2035_308
; %bb.301:
	v_mov_b32_e32 v10, 0
	s_mov_b32 s3, 0
	v_cmp_eq_u16_sdwa s[6:7], v15, v10 src0_sel:BYTE_0 src1_sel:DWORD
	s_and_saveexec_b64 s[4:5], s[6:7]
	s_cbranch_execz .LBB2035_307
; %bb.302:
	v_mov_b32_e32 v11, v10
.LBB2035_303:                           ; =>This Inner Loop Header: Depth=1
	s_add_i32 s6, s3, 36
	s_add_i32 s3, s3, 8
	s_cmp_lg_u32 s3, 16
	scratch_store_dwordx2 off, v[10:11], s6
	s_cbranch_scc1 .LBB2035_303
; %bb.304:
	s_mov_b32 s3, 0
.LBB2035_305:                           ; =>This Inner Loop Header: Depth=1
	s_add_i32 s6, s3, 0x50
	s_add_i32 s7, s3, 16
	scratch_load_dwordx2 v[6:7], off, s6
	scratch_load_dwordx2 v[8:9], off, s7
	s_add_i32 s6, s3, 36
	s_add_i32 s3, s3, 8
	s_cmp_lg_u32 s3, 16
	s_waitcnt vmcnt(0)
	v_add_u32_e32 v7, v9, v7
	v_add_u32_e32 v6, v8, v6
	scratch_store_dwordx2 off, v[6:7], s6
	s_cbranch_scc1 .LBB2035_305
; %bb.306:
	scratch_load_dwordx4 v[6:9], off, off offset:36
.LBB2035_307:
	s_or_b64 exec, exec, s[4:5]
	v_and_b32_e32 v10, 1, v15
	v_cmp_eq_u32_e64 s[4:5], 1, v10
	v_and_b32_e32 v10, 1, v17
	v_cmp_eq_u32_e64 s[6:7], 1, v10
	s_or_b64 s[4:5], s[4:5], s[6:7]
	v_cndmask_b32_e64 v10, 0, 1, s[4:5]
	scratch_store_byte off, v10, off offset:32
	scratch_load_dword v15, off, off offset:32
	s_waitcnt vmcnt(2)
	scratch_store_dwordx4 off, v[6:9], off offset:16
.LBB2035_308:
	;; [unrolled: 56-line block ×3, first 2 shown]
	s_or_b64 exec, exec, s[10:11]
	v_and_b32_e32 v10, 16, v14
	v_mov_b32_dpp v18, v6 row_bcast:15 row_mask:0xf bank_mask:0xf
	v_mov_b32_dpp v19, v7 row_bcast:15 row_mask:0xf bank_mask:0xf
	;; [unrolled: 1-line block ×4, first 2 shown]
	s_waitcnt vmcnt(1)
	v_mov_b32_dpp v16, v15 row_bcast:15 row_mask:0xf bank_mask:0xf
	v_cmp_ne_u32_e64 s[4:5], 0, v10
	scratch_store_dwordx4 off, v[18:21], off offset:80
	scratch_store_dword off, v16, off offset:96
	s_and_saveexec_b64 s[10:11], s[4:5]
	s_cbranch_execz .LBB2035_324
; %bb.317:
	v_mov_b32_e32 v10, 0
	s_mov_b32 s3, 0
	v_cmp_eq_u16_sdwa s[6:7], v15, v10 src0_sel:BYTE_0 src1_sel:DWORD
	s_and_saveexec_b64 s[4:5], s[6:7]
	s_cbranch_execz .LBB2035_323
; %bb.318:
	v_mov_b32_e32 v11, v10
.LBB2035_319:                           ; =>This Inner Loop Header: Depth=1
	s_add_i32 s6, s3, 36
	s_add_i32 s3, s3, 8
	s_cmp_lg_u32 s3, 16
	scratch_store_dwordx2 off, v[10:11], s6
	s_cbranch_scc1 .LBB2035_319
; %bb.320:
	s_mov_b32 s3, 0
.LBB2035_321:                           ; =>This Inner Loop Header: Depth=1
	s_add_i32 s6, s3, 0x50
	s_add_i32 s7, s3, 16
	scratch_load_dwordx2 v[6:7], off, s6
	scratch_load_dwordx2 v[8:9], off, s7
	s_add_i32 s6, s3, 36
	s_add_i32 s3, s3, 8
	s_cmp_lg_u32 s3, 16
	s_waitcnt vmcnt(0)
	v_add_u32_e32 v7, v9, v7
	v_add_u32_e32 v6, v8, v6
	scratch_store_dwordx2 off, v[6:7], s6
	s_cbranch_scc1 .LBB2035_321
; %bb.322:
	scratch_load_dwordx4 v[6:9], off, off offset:36
.LBB2035_323:
	s_or_b64 exec, exec, s[4:5]
	v_and_b32_e32 v10, 1, v15
	v_cmp_eq_u32_e64 s[4:5], 1, v10
	v_and_b32_e32 v10, 1, v16
	v_cmp_eq_u32_e64 s[6:7], 1, v10
	s_or_b64 s[4:5], s[4:5], s[6:7]
	v_cndmask_b32_e64 v10, 0, 1, s[4:5]
	scratch_store_byte off, v10, off offset:32
	scratch_load_dword v15, off, off offset:32
	s_waitcnt vmcnt(2)
	scratch_store_dwordx4 off, v[6:9], off offset:16
.LBB2035_324:
	s_or_b64 exec, exec, s[10:11]
	v_mov_b32_dpp v18, v6 row_bcast:31 row_mask:0xf bank_mask:0xf
	v_mov_b32_dpp v19, v7 row_bcast:31 row_mask:0xf bank_mask:0xf
	;; [unrolled: 1-line block ×4, first 2 shown]
	s_waitcnt vmcnt(1)
	v_mov_b32_dpp v16, v15 row_bcast:31 row_mask:0xf bank_mask:0xf
	v_cmp_lt_u32_e64 s[4:5], 31, v14
	scratch_store_dwordx4 off, v[18:21], off offset:80
	scratch_store_dword off, v16, off offset:96
	s_and_saveexec_b64 s[10:11], s[4:5]
	s_cbranch_execz .LBB2035_332
; %bb.325:
	v_mov_b32_e32 v10, 0
	s_mov_b32 s3, 0
	v_cmp_eq_u16_sdwa s[6:7], v15, v10 src0_sel:BYTE_0 src1_sel:DWORD
	s_and_saveexec_b64 s[4:5], s[6:7]
	s_cbranch_execz .LBB2035_331
; %bb.326:
	v_mov_b32_e32 v11, v10
.LBB2035_327:                           ; =>This Inner Loop Header: Depth=1
	s_add_i32 s6, s3, 36
	s_add_i32 s3, s3, 8
	s_cmp_lg_u32 s3, 16
	scratch_store_dwordx2 off, v[10:11], s6
	s_cbranch_scc1 .LBB2035_327
; %bb.328:
	s_mov_b32 s3, 0
.LBB2035_329:                           ; =>This Inner Loop Header: Depth=1
	s_add_i32 s6, s3, 0x50
	s_add_i32 s7, s3, 16
	scratch_load_dwordx2 v[6:7], off, s6
	scratch_load_dwordx2 v[8:9], off, s7
	s_add_i32 s6, s3, 36
	s_add_i32 s3, s3, 8
	s_cmp_lg_u32 s3, 16
	s_waitcnt vmcnt(0)
	v_add_u32_e32 v7, v9, v7
	v_add_u32_e32 v6, v8, v6
	scratch_store_dwordx2 off, v[6:7], s6
	s_cbranch_scc1 .LBB2035_329
; %bb.330:
	scratch_load_dwordx4 v[6:9], off, off offset:36
.LBB2035_331:
	s_or_b64 exec, exec, s[4:5]
	v_and_b32_e32 v10, 1, v15
	v_cmp_eq_u32_e64 s[4:5], 1, v10
	v_and_b32_e32 v10, 1, v16
	v_cmp_eq_u32_e64 s[6:7], 1, v10
	s_or_b64 s[4:5], s[4:5], s[6:7]
	v_cndmask_b32_e64 v10, 0, 1, s[4:5]
	scratch_store_byte off, v10, off offset:32
	scratch_load_dword v15, off, off offset:32
.LBB2035_332:
	s_or_b64 exec, exec, s[10:11]
	v_add_u32_e32 v10, -1, v14
	v_and_b32_e32 v11, 64, v14
	v_cmp_lt_i32_e64 s[4:5], v10, v11
	ds_read_u8 v11, v13 offset:16
	s_nop 0
	v_cndmask_b32_e64 v10, v10, v14, s[4:5]
	v_lshlrev_b32_e32 v10, 2, v10
	s_waitcnt vmcnt(2)
	ds_bpermute_b32 v6, v10, v6
	ds_bpermute_b32 v7, v10, v7
	;; [unrolled: 1-line block ×4, first 2 shown]
	s_waitcnt vmcnt(0)
	ds_bpermute_b32 v10, v10, v15
	s_waitcnt lgkmcnt(5)
	v_cmp_ne_u16_e64 s[4:5], 0, v11
	s_waitcnt lgkmcnt(1)
	scratch_store_dwordx4 off, v[6:9], off offset:16
                                        ; implicit-def: $vgpr8_vgpr9
	s_and_saveexec_b64 s[6:7], s[4:5]
	s_xor_b64 s[4:5], exec, s[6:7]
	s_cbranch_execz .LBB2035_334
; %bb.333:
	ds_read2_b32 v[6:7], v13 offset1:1
	ds_read2_b32 v[8:9], v13 offset0:2 offset1:3
.LBB2035_334:
	s_andn2_saveexec_b64 s[4:5], s[4:5]
	s_cbranch_execz .LBB2035_340
; %bb.335:
	s_waitcnt lgkmcnt(1)
	v_mov_b32_e32 v6, 0
	s_mov_b32 s3, 0
	v_mov_b32_e32 v7, v6
.LBB2035_336:                           ; =>This Inner Loop Header: Depth=1
	s_add_i32 s6, s3, 0x50
	s_add_i32 s3, s3, 8
	s_cmp_lg_u32 s3, 16
	scratch_store_dwordx2 off, v[6:7], s6
	s_cbranch_scc1 .LBB2035_336
; %bb.337:
	s_mov_b32 s3, 0
.LBB2035_338:                           ; =>This Inner Loop Header: Depth=1
	s_add_i32 s6, s3, 16
	scratch_load_dwordx2 v[6:7], off, s6
	s_waitcnt lgkmcnt(0)
	v_add_u32_e32 v8, s3, v13
	ds_read2_b32 v[8:9], v8 offset1:1
	s_add_i32 s6, s3, 0x50
	s_add_i32 s3, s3, 8
	s_cmp_lg_u32 s3, 16
	s_waitcnt vmcnt(0) lgkmcnt(0)
	v_add_u32_e32 v7, v9, v7
	v_add_u32_e32 v6, v8, v6
	scratch_store_dwordx2 off, v[6:7], s6
	s_cbranch_scc1 .LBB2035_338
; %bb.339:
	scratch_load_dwordx4 v[6:9], off, off offset:80
.LBB2035_340:
	s_or_b64 exec, exec, s[4:5]
	v_and_b32_e32 v11, 1, v11
	s_waitcnt lgkmcnt(0)
	v_and_b32_e32 v10, 1, v10
	v_cmp_eq_u32_e64 s[4:5], 1, v11
	v_cmp_eq_u32_e64 s[6:7], 1, v10
	s_or_b64 s[4:5], s[6:7], s[4:5]
	v_cndmask_b32_e64 v10, 0, 1, s[4:5]
	v_cmp_eq_u32_e64 s[4:5], 0, v0
	s_waitcnt vmcnt(0)
	scratch_store_dwordx4 off, v[6:9], off offset:16
	scratch_store_byte off, v10, off offset:32
	s_and_saveexec_b64 s[6:7], s[4:5]
	s_cbranch_execz .LBB2035_342
; %bb.341:
	scratch_store_dwordx4 off, v[2:5], off offset:16
	scratch_store_byte off, v12, off offset:32
.LBB2035_342:
	s_or_b64 exec, exec, s[6:7]
	; wave barrier
	scratch_load_dwordx4 v[2:5], off, off offset:16
	scratch_load_ubyte v6, off, off offset:32
	s_waitcnt vmcnt(1)
	ds_write2_b32 v13, v4, v5 offset0:2 offset1:3
	ds_write2_b32 v13, v2, v3 offset1:1
	s_waitcnt vmcnt(0)
	ds_write_b8 v13, v6 offset:16
	; wave barrier
	ds_read_u8 v6, v13 offset:36
                                        ; implicit-def: $vgpr4_vgpr5
	s_waitcnt lgkmcnt(0)
	v_cmp_ne_u16_e64 s[4:5], 0, v6
	s_and_saveexec_b64 s[6:7], s[4:5]
	s_xor_b64 s[4:5], exec, s[6:7]
	s_cbranch_execz .LBB2035_344
; %bb.343:
	ds_read2_b32 v[2:3], v1 offset1:1
	ds_read2_b32 v[4:5], v1 offset0:2 offset1:3
.LBB2035_344:
	s_andn2_saveexec_b64 s[4:5], s[4:5]
	s_cbranch_execz .LBB2035_350
; %bb.345:
	s_waitcnt lgkmcnt(1)
	v_mov_b32_e32 v2, 0
	s_mov_b32 s3, 0
	v_mov_b32_e32 v3, v2
.LBB2035_346:                           ; =>This Inner Loop Header: Depth=1
	s_add_i32 s6, s3, 0x50
	s_add_i32 s3, s3, 8
	s_cmp_lg_u32 s3, 16
	scratch_store_dwordx2 off, v[2:3], s6
	s_cbranch_scc1 .LBB2035_346
; %bb.347:
	s_mov_b32 s3, 0
.LBB2035_348:                           ; =>This Inner Loop Header: Depth=1
	s_add_i32 s6, s3, 16
	scratch_load_dwordx2 v[2:3], off, s6
	s_waitcnt lgkmcnt(0)
	v_add_u32_e32 v4, s3, v1
	ds_read2_b32 v[4:5], v4 offset1:1
	s_add_i32 s6, s3, 0x50
	s_add_i32 s3, s3, 8
	s_cmp_lg_u32 s3, 16
	s_waitcnt vmcnt(0) lgkmcnt(0)
	v_add_u32_e32 v3, v5, v3
	v_add_u32_e32 v2, v4, v2
	scratch_store_dwordx2 off, v[2:3], s6
	s_cbranch_scc1 .LBB2035_348
; %bb.349:
	scratch_load_dwordx4 v[2:5], off, off offset:80
.LBB2035_350:
	s_or_b64 exec, exec, s[4:5]
	scratch_load_ubyte v7, off, off offset:32
	s_waitcnt vmcnt(1) lgkmcnt(0)
	ds_write2_b32 v1, v4, v5 offset0:2 offset1:3
	s_waitcnt vmcnt(0)
	v_or_b32_e32 v4, v6, v7
	v_and_b32_e32 v4, 1, v4
	ds_write2_b32 v1, v2, v3 offset1:1
	ds_write_b8 v1, v4 offset:16
.LBB2035_351:
	s_or_b64 exec, exec, s[8:9]
	v_cmp_eq_u32_e64 s[4:5], 0, v0
	v_cmp_ne_u32_e64 s[8:9], 0, v0
	s_waitcnt lgkmcnt(0)
	s_barrier
	s_and_saveexec_b64 s[6:7], s[8:9]
	s_cbranch_execz .LBB2035_353
; %bb.352:
	v_add_u32_e32 v1, -1, v0
	v_lshrrev_b32_e32 v2, 5, v1
	v_add_u32_e32 v1, v2, v1
	v_mul_lo_u32 v1, v1, 20
	ds_read_u8 v6, v1 offset:16
	ds_read2_b32 v[4:5], v1 offset0:2 offset1:3
	ds_read2_b32 v[2:3], v1 offset1:1
	s_waitcnt lgkmcnt(0)
	scratch_store_dwordx4 off, v[2:5], off offset:448
	scratch_store_byte off, v6, off offset:464
.LBB2035_353:
	s_or_b64 exec, exec, s[6:7]
	s_and_saveexec_b64 s[12:13], vcc
	s_cbranch_execz .LBB2035_490
; %bb.354:
	v_mov_b32_e32 v1, 0xa28
	v_mov_b32_e32 v2, 0
	ds_read2_b64 v[4:7], v1 offset1:1
	ds_read_b32 v1, v2 offset:2616
	v_mbcnt_lo_u32_b32 v3, -1, 0
	v_mbcnt_hi_u32_b32 v22, -1, v3
	v_cmp_eq_u32_e64 s[6:7], 0, v22
	s_waitcnt lgkmcnt(1)
	scratch_store_dwordx4 off, v[4:7], off offset:56
	s_waitcnt lgkmcnt(0)
	scratch_store_dword off, v1, off offset:72
	s_and_saveexec_b64 s[10:11], s[6:7]
	s_cbranch_execz .LBB2035_356
; %bb.355:
	v_lshrrev_b32_e32 v3, 8, v1
	s_movk_i32 s3, 0xff
	v_mov_b32_e32 v10, 8
	v_and_b32_sdwa v9, v1, s3 dst_sel:DWORD dst_unused:UNUSED_PAD src0_sel:WORD_1 src1_sel:DWORD
	v_lshlrev_b32_sdwa v3, v10, v3 dst_sel:DWORD dst_unused:UNUSED_PAD src0_sel:DWORD src1_sel:BYTE_0
	s_add_i32 s3, s2, 64
	v_lshrrev_b32_e32 v8, 24, v1
	v_or_b32_sdwa v1, v3, v1 dst_sel:DWORD dst_unused:UNUSED_PAD src0_sel:DWORD src1_sel:BYTE_0
	v_lshlrev_b32_e32 v3, 16, v9
	s_mul_i32 s14, s3, 20
	v_or_b32_e32 v1, v1, v3
	v_lshlrev_b32_e32 v3, 24, v8
	s_mul_hi_u32 s15, s3, 20
	s_add_u32 s14, s52, s14
	v_or_b32_e32 v1, v1, v3
	s_addc_u32 s15, s53, s15
	global_store_dword v2, v4, s[14:15] sc1
	global_store_dword v2, v5, s[14:15] offset:4 sc1
	global_store_dword v2, v6, s[14:15] offset:8 sc1
	;; [unrolled: 1-line block ×4, first 2 shown]
	v_mov_b32_e32 v1, s3
	v_mov_b32_e32 v3, 1
	s_waitcnt vmcnt(0)
	global_store_byte v1, v3, s[56:57] sc1
.LBB2035_356:
	s_or_b64 exec, exec, s[10:11]
	s_mov_b32 s3, 0
	v_mov_b32_e32 v3, v2
	v_mov_b32_e32 v4, v2
	;; [unrolled: 1-line block ×3, first 2 shown]
	scratch_store_dword off, v2, off offset:52
	scratch_store_dwordx4 off, v[2:5], off offset:36
.LBB2035_357:                           ; =>This Inner Loop Header: Depth=1
	s_add_i32 s10, s3, 36
	s_add_i32 s3, s3, 8
	s_cmp_lg_u32 s3, 16
	scratch_store_dwordx2 off, v[2:3], s10
	s_cbranch_scc1 .LBB2035_357
; %bb.358:
	v_mov_b32_e32 v3, 0
	v_xad_u32 v6, v22, -1, s2
	scratch_store_byte off, v3, off offset:52
	v_add_u32_e32 v2, 64, v6
	global_load_ubyte v1, v2, s[56:57] sc1
	s_waitcnt vmcnt(0)
	v_cmp_eq_u16_e32 vcc, 0, v1
	s_and_saveexec_b64 s[10:11], vcc
	s_cbranch_execz .LBB2035_362
; %bb.359:
	v_lshl_add_u64 v[4:5], s[56:57], 0, v[2:3]
	s_mov_b64 s[14:15], 0
.LBB2035_360:                           ; =>This Inner Loop Header: Depth=1
	global_load_ubyte v1, v[4:5], off sc1
	s_waitcnt vmcnt(0)
	v_cmp_ne_u16_e32 vcc, 0, v1
	s_or_b64 s[14:15], vcc, s[14:15]
	s_andn2_b64 exec, exec, s[14:15]
	s_cbranch_execnz .LBB2035_360
; %bb.361:
	s_or_b64 exec, exec, s[14:15]
.LBB2035_362:
	s_or_b64 exec, exec, s[10:11]
	v_mov_b32_e32 v3, s55
	v_mov_b32_e32 v4, s53
	v_cmp_eq_u16_e32 vcc, 1, v1
	s_waitcnt vmcnt(0)
	s_nop 0
	v_cndmask_b32_e32 v5, v3, v4, vcc
	v_mov_b32_e32 v3, s54
	v_mov_b32_e32 v4, s52
	v_cndmask_b32_e32 v4, v3, v4, vcc
	v_mad_u64_u32 v[8:9], s[10:11], v2, 20, v[4:5]
	global_load_dword v2, v[8:9], off sc1
	global_load_dword v3, v[8:9], off offset:4 sc1
	global_load_dword v4, v[8:9], off offset:8 sc1
	;; [unrolled: 1-line block ×4, first 2 shown]
	v_mov_b32_e32 v8, 0
	s_mov_b32 s3, 0
	v_mov_b32_e32 v9, v8
	scratch_store_dword off, v8, off offset:96
	s_waitcnt vmcnt(2)
	scratch_store_dwordx4 off, v[2:5], off offset:36
	s_waitcnt vmcnt(2)
	scratch_store_byte off, v7, off offset:52
.LBB2035_363:                           ; =>This Inner Loop Header: Depth=1
	s_add_i32 s10, s3, 0x50
	s_add_i32 s3, s3, 8
	s_cmp_lg_u32 s3, 16
	scratch_store_dwordx2 off, v[8:9], s10
	s_cbranch_scc1 .LBB2035_363
; %bb.364:
	scratch_load_dword v7, off, off offset:52
	v_lshlrev_b64 v[8:9], v22, -1
	v_cmp_eq_u16_e32 vcc, 2, v1
	v_and_b32_e32 v12, 63, v22
	s_nop 0
	v_and_b32_e32 v10, vcc_hi, v9
	v_and_b32_e32 v11, vcc_lo, v8
	v_cmp_ne_u32_e32 vcc, 63, v12
	v_or_b32_e32 v10, 0x80000000, v10
	v_ffbl_b32_e32 v10, v10
	v_addc_co_u32_e32 v13, vcc, 0, v22, vcc
	v_lshlrev_b32_e32 v13, 2, v13
	ds_bpermute_b32 v16, v13, v2
	ds_bpermute_b32 v17, v13, v3
	ds_bpermute_b32 v18, v13, v4
	ds_bpermute_b32 v19, v13, v5
	v_add_u32_e32 v10, 32, v10
	v_ffbl_b32_e32 v11, v11
	v_min_u32_e32 v24, v11, v10
	v_cmp_lt_u32_e32 vcc, v12, v24
	s_waitcnt lgkmcnt(0)
	scratch_store_dwordx4 off, v[16:19], off offset:80
	s_waitcnt vmcnt(1)
	ds_bpermute_b32 v14, v13, v7
	s_and_saveexec_b64 s[10:11], vcc
	s_cbranch_execz .LBB2035_372
; %bb.365:
	v_mov_b32_e32 v10, 0
	v_cmp_eq_u16_sdwa s[16:17], v7, v10 src0_sel:BYTE_0 src1_sel:DWORD
	s_and_saveexec_b64 s[14:15], s[16:17]
	s_cbranch_execz .LBB2035_371
; %bb.366:
	s_mov_b32 s3, 0
	v_mov_b32_e32 v11, v10
.LBB2035_367:                           ; =>This Inner Loop Header: Depth=1
	s_add_i32 s16, s3, 16
	s_add_i32 s3, s3, 8
	s_cmp_lg_u32 s3, 16
	scratch_store_dwordx2 off, v[10:11], s16
	s_cbranch_scc1 .LBB2035_367
; %bb.368:
	s_mov_b32 s3, 0
.LBB2035_369:                           ; =>This Inner Loop Header: Depth=1
	s_add_i32 s16, s3, 0x50
	s_add_i32 s17, s3, 36
	scratch_load_dwordx2 v[2:3], off, s16
	scratch_load_dwordx2 v[4:5], off, s17
	s_add_i32 s16, s3, 16
	s_add_i32 s3, s3, 8
	s_cmp_lg_u32 s3, 16
	s_waitcnt vmcnt(0)
	v_add_u32_e32 v3, v5, v3
	v_add_u32_e32 v2, v4, v2
	scratch_store_dwordx2 off, v[2:3], s16
	s_cbranch_scc1 .LBB2035_369
; %bb.370:
	scratch_load_dwordx4 v[2:5], off, off offset:16
.LBB2035_371:
	s_or_b64 exec, exec, s[14:15]
	s_waitcnt lgkmcnt(0)
	v_or_b32_e32 v7, v14, v7
	v_and_b32_e32 v7, 1, v7
	scratch_store_byte off, v7, off offset:52
	scratch_load_dword v7, off, off offset:52
	s_waitcnt vmcnt(2)
	scratch_store_dwordx4 off, v[2:5], off offset:36
.LBB2035_372:
	s_or_b64 exec, exec, s[10:11]
	v_cmp_gt_u32_e32 vcc, 62, v12
	v_add_u32_e32 v15, 2, v12
	s_nop 0
	v_cndmask_b32_e64 v10, 0, 1, vcc
	v_lshlrev_b32_e32 v10, 1, v10
	s_waitcnt lgkmcnt(0)
	v_add_lshl_u32 v14, v10, v22, 2
	ds_bpermute_b32 v18, v14, v2
	ds_bpermute_b32 v19, v14, v3
	ds_bpermute_b32 v20, v14, v4
	ds_bpermute_b32 v21, v14, v5
	s_waitcnt vmcnt(1)
	ds_bpermute_b32 v16, v14, v7
	v_cmp_le_u32_e32 vcc, v15, v24
	s_waitcnt lgkmcnt(1)
	scratch_store_dwordx4 off, v[18:21], off offset:80
	s_and_saveexec_b64 s[14:15], vcc
	s_cbranch_execz .LBB2035_380
; %bb.373:
	v_mov_b32_e32 v10, 0
	s_mov_b32 s3, 0
	v_cmp_eq_u16_sdwa s[16:17], v7, v10 src0_sel:BYTE_0 src1_sel:DWORD
	s_and_saveexec_b64 s[10:11], s[16:17]
	s_cbranch_execz .LBB2035_379
; %bb.374:
	v_mov_b32_e32 v11, v10
.LBB2035_375:                           ; =>This Inner Loop Header: Depth=1
	s_add_i32 s16, s3, 16
	s_add_i32 s3, s3, 8
	s_cmp_lg_u32 s3, 16
	scratch_store_dwordx2 off, v[10:11], s16
	s_cbranch_scc1 .LBB2035_375
; %bb.376:
	s_mov_b32 s3, 0
.LBB2035_377:                           ; =>This Inner Loop Header: Depth=1
	s_add_i32 s16, s3, 0x50
	s_add_i32 s17, s3, 36
	scratch_load_dwordx2 v[2:3], off, s16
	scratch_load_dwordx2 v[4:5], off, s17
	s_add_i32 s16, s3, 16
	s_add_i32 s3, s3, 8
	s_cmp_lg_u32 s3, 16
	s_waitcnt vmcnt(0)
	v_add_u32_e32 v3, v5, v3
	v_add_u32_e32 v2, v4, v2
	scratch_store_dwordx2 off, v[2:3], s16
	s_cbranch_scc1 .LBB2035_377
; %bb.378:
	scratch_load_dwordx4 v[2:5], off, off offset:16
.LBB2035_379:
	s_or_b64 exec, exec, s[10:11]
	v_and_b32_e32 v7, 1, v7
	v_cmp_eq_u32_e32 vcc, 1, v7
	s_waitcnt lgkmcnt(0)
	v_and_b32_e32 v7, 1, v16
	v_cmp_eq_u32_e64 s[10:11], 1, v7
	s_or_b64 s[10:11], vcc, s[10:11]
	s_waitcnt vmcnt(0)
	scratch_store_dwordx4 off, v[2:5], off offset:36
	v_cndmask_b32_e64 v7, 0, 1, s[10:11]
	scratch_store_byte off, v7, off offset:52
	scratch_load_dword v7, off, off offset:52
.LBB2035_380:
	s_or_b64 exec, exec, s[14:15]
	v_cmp_gt_u32_e32 vcc, 60, v12
	v_add_u32_e32 v17, 4, v12
	s_nop 0
	v_cndmask_b32_e64 v10, 0, 1, vcc
	v_lshlrev_b32_e32 v10, 2, v10
	s_waitcnt lgkmcnt(0)
	v_add_lshl_u32 v16, v10, v22, 2
	ds_bpermute_b32 v26, v16, v2
	ds_bpermute_b32 v27, v16, v3
	ds_bpermute_b32 v28, v16, v4
	ds_bpermute_b32 v29, v16, v5
	s_waitcnt vmcnt(0)
	ds_bpermute_b32 v18, v16, v7
	v_cmp_le_u32_e32 vcc, v17, v24
	s_waitcnt lgkmcnt(1)
	scratch_store_dwordx4 off, v[26:29], off offset:80
	s_and_saveexec_b64 s[14:15], vcc
	s_cbranch_execz .LBB2035_388
; %bb.381:
	v_mov_b32_e32 v10, 0
	s_mov_b32 s3, 0
	v_cmp_eq_u16_sdwa s[16:17], v7, v10 src0_sel:BYTE_0 src1_sel:DWORD
	s_and_saveexec_b64 s[10:11], s[16:17]
	s_cbranch_execz .LBB2035_387
; %bb.382:
	v_mov_b32_e32 v11, v10
.LBB2035_383:                           ; =>This Inner Loop Header: Depth=1
	s_add_i32 s16, s3, 16
	s_add_i32 s3, s3, 8
	s_cmp_lg_u32 s3, 16
	scratch_store_dwordx2 off, v[10:11], s16
	s_cbranch_scc1 .LBB2035_383
; %bb.384:
	s_mov_b32 s3, 0
.LBB2035_385:                           ; =>This Inner Loop Header: Depth=1
	s_add_i32 s16, s3, 0x50
	s_add_i32 s17, s3, 36
	scratch_load_dwordx2 v[2:3], off, s16
	scratch_load_dwordx2 v[4:5], off, s17
	s_add_i32 s16, s3, 16
	s_add_i32 s3, s3, 8
	s_cmp_lg_u32 s3, 16
	s_waitcnt vmcnt(0)
	v_add_u32_e32 v3, v5, v3
	v_add_u32_e32 v2, v4, v2
	scratch_store_dwordx2 off, v[2:3], s16
	s_cbranch_scc1 .LBB2035_385
; %bb.386:
	scratch_load_dwordx4 v[2:5], off, off offset:16
.LBB2035_387:
	s_or_b64 exec, exec, s[10:11]
	v_and_b32_e32 v7, 1, v7
	v_cmp_eq_u32_e32 vcc, 1, v7
	s_waitcnt lgkmcnt(0)
	v_and_b32_e32 v7, 1, v18
	v_cmp_eq_u32_e64 s[10:11], 1, v7
	s_or_b64 s[10:11], vcc, s[10:11]
	s_waitcnt vmcnt(0)
	scratch_store_dwordx4 off, v[2:5], off offset:36
	v_cndmask_b32_e64 v7, 0, 1, s[10:11]
	scratch_store_byte off, v7, off offset:52
	scratch_load_dword v7, off, off offset:52
.LBB2035_388:
	;; [unrolled: 64-line block ×4, first 2 shown]
	s_or_b64 exec, exec, s[14:15]
	v_cmp_gt_u32_e32 vcc, 32, v12
	s_waitcnt lgkmcnt(0)
	v_add_u32_e32 v23, 32, v12
	v_cndmask_b32_e64 v10, 0, 1, vcc
	v_lshlrev_b32_e32 v10, 5, v10
	v_add_lshl_u32 v22, v10, v22, 2
	ds_bpermute_b32 v26, v22, v2
	ds_bpermute_b32 v27, v22, v3
	;; [unrolled: 1-line block ×4, first 2 shown]
	s_waitcnt vmcnt(0)
	ds_bpermute_b32 v25, v22, v7
	v_cmp_le_u32_e32 vcc, v23, v24
	s_waitcnt lgkmcnt(1)
	scratch_store_dwordx4 off, v[26:29], off offset:80
	s_and_saveexec_b64 s[14:15], vcc
	s_cbranch_execz .LBB2035_412
; %bb.405:
	v_mov_b32_e32 v10, 0
	s_mov_b32 s3, 0
	v_cmp_eq_u16_sdwa s[16:17], v7, v10 src0_sel:BYTE_0 src1_sel:DWORD
	s_and_saveexec_b64 s[10:11], s[16:17]
	s_cbranch_execz .LBB2035_411
; %bb.406:
	v_mov_b32_e32 v11, v10
.LBB2035_407:                           ; =>This Inner Loop Header: Depth=1
	s_add_i32 s16, s3, 16
	s_add_i32 s3, s3, 8
	s_cmp_lg_u32 s3, 16
	scratch_store_dwordx2 off, v[10:11], s16
	s_cbranch_scc1 .LBB2035_407
; %bb.408:
	s_mov_b32 s3, 0
.LBB2035_409:                           ; =>This Inner Loop Header: Depth=1
	s_add_i32 s16, s3, 0x50
	s_add_i32 s17, s3, 36
	scratch_load_dwordx2 v[2:3], off, s16
	scratch_load_dwordx2 v[4:5], off, s17
	s_add_i32 s16, s3, 16
	s_add_i32 s3, s3, 8
	s_cmp_lg_u32 s3, 16
	s_waitcnt vmcnt(0)
	v_add_u32_e32 v3, v5, v3
	v_add_u32_e32 v2, v4, v2
	scratch_store_dwordx2 off, v[2:3], s16
	s_cbranch_scc1 .LBB2035_409
; %bb.410:
	scratch_load_dwordx4 v[2:5], off, off offset:16
.LBB2035_411:
	s_or_b64 exec, exec, s[10:11]
	v_and_b32_e32 v7, 1, v7
	v_cmp_eq_u32_e32 vcc, 1, v7
	s_waitcnt lgkmcnt(0)
	v_and_b32_e32 v7, 1, v25
	v_cmp_eq_u32_e64 s[10:11], 1, v7
	s_or_b64 s[10:11], vcc, s[10:11]
	s_nop 0
	v_cndmask_b32_e64 v7, 0, 1, s[10:11]
	s_waitcnt vmcnt(0)
	scratch_store_dwordx4 off, v[2:5], off offset:36
	scratch_store_byte off, v7, off offset:52
.LBB2035_412:
	s_or_b64 exec, exec, s[14:15]
	scratch_load_dwordx4 v[2:5], off, off offset:36
	scratch_load_dword v7, off, off offset:52
	v_mov_b32_e32 v10, 0
	v_mov_b32_e32 v24, 2
	s_waitcnt vmcnt(1)
	scratch_store_dwordx4 off, v[2:5], off offset:16
	s_waitcnt vmcnt(1)
	scratch_store_dword off, v7, off offset:32
	s_branch .LBB2035_414
.LBB2035_413:                           ;   in Loop: Header=BB2035_414 Depth=1
	s_or_b64 exec, exec, s[14:15]
	v_and_b32_e32 v7, 1, v7
	v_cmp_eq_u32_e32 vcc, 1, v7
	s_or_b64 s[10:11], vcc, s[10:11]
	v_subrev_u32_e32 v6, 64, v6
	v_cndmask_b32_e64 v7, 0, 1, s[10:11]
	s_waitcnt vmcnt(0)
	scratch_store_dwordx4 off, v[2:5], off offset:16
	scratch_store_byte off, v7, off offset:32
.LBB2035_414:                           ; =>This Loop Header: Depth=1
                                        ;     Child Loop BB2035_417 Depth 2
                                        ;     Child Loop BB2035_420 Depth 2
	;; [unrolled: 1-line block ×16, first 2 shown]
	v_cmp_ne_u16_sdwa s[10:11], v1, v24 src0_sel:BYTE_0 src1_sel:DWORD
	s_nop 1
	v_cndmask_b32_e64 v1, 0, 1, s[10:11]
	;;#ASMSTART
	;;#ASMEND
	s_nop 0
	v_cmp_ne_u32_e32 vcc, 0, v1
	s_cmp_lg_u64 vcc, exec
	s_cbranch_scc1 .LBB2035_477
; %bb.415:                              ;   in Loop: Header=BB2035_414 Depth=1
	global_load_ubyte v1, v6, s[56:57] sc1
	v_mov_b32_e32 v7, v10
	s_waitcnt vmcnt(0)
	v_cmp_eq_u16_e32 vcc, 0, v1
	s_and_saveexec_b64 s[10:11], vcc
	s_cbranch_execz .LBB2035_419
; %bb.416:                              ;   in Loop: Header=BB2035_414 Depth=1
	v_lshl_add_u64 v[2:3], s[56:57], 0, v[6:7]
	s_mov_b64 s[14:15], 0
.LBB2035_417:                           ;   Parent Loop BB2035_414 Depth=1
                                        ; =>  This Inner Loop Header: Depth=2
	global_load_ubyte v1, v[2:3], off sc1
	s_waitcnt vmcnt(0)
	v_cmp_ne_u16_e32 vcc, 0, v1
	s_or_b64 s[14:15], vcc, s[14:15]
	s_andn2_b64 exec, exec, s[14:15]
	s_cbranch_execnz .LBB2035_417
; %bb.418:                              ;   in Loop: Header=BB2035_414 Depth=1
	s_or_b64 exec, exec, s[14:15]
.LBB2035_419:                           ;   in Loop: Header=BB2035_414 Depth=1
	s_or_b64 exec, exec, s[10:11]
	v_mov_b32_e32 v2, s55
	v_mov_b32_e32 v3, s53
	v_cmp_eq_u16_e32 vcc, 1, v1
	v_mov_b32_e32 v4, s52
	s_waitcnt vmcnt(0)
	v_cndmask_b32_e32 v3, v2, v3, vcc
	v_mov_b32_e32 v2, s54
	v_cndmask_b32_e32 v2, v2, v4, vcc
	s_waitcnt lgkmcnt(0)
	v_mad_u64_u32 v[26:27], s[10:11], v6, 20, v[2:3]
	s_waitcnt lgkmcnt(0)
	global_load_dword v2, v[26:27], off sc1
	global_load_dword v3, v[26:27], off offset:4 sc1
	global_load_dword v4, v[26:27], off offset:8 sc1
	;; [unrolled: 1-line block ×4, first 2 shown]
	s_mov_b32 s3, 0
	scratch_store_dword off, v10, off offset:96
	s_waitcnt vmcnt(2)
	scratch_store_dwordx4 off, v[2:5], off offset:36
	s_waitcnt vmcnt(2)
	scratch_store_byte off, v7, off offset:52
.LBB2035_420:                           ;   Parent Loop BB2035_414 Depth=1
                                        ; =>  This Inner Loop Header: Depth=2
	s_add_i32 s10, s3, 0x50
	s_add_i32 s3, s3, 8
	v_mov_b32_e32 v11, v10
	s_cmp_lg_u32 s3, 16
	scratch_store_dwordx2 off, v[10:11], s10
	s_cbranch_scc1 .LBB2035_420
; %bb.421:                              ;   in Loop: Header=BB2035_414 Depth=1
	scratch_load_dword v25, off, off offset:52
	v_cmp_eq_u16_e32 vcc, 2, v1
	ds_bpermute_b32 v28, v13, v2
	ds_bpermute_b32 v29, v13, v3
	v_and_b32_e32 v7, vcc_hi, v9
	v_or_b32_e32 v7, 0x80000000, v7
	ds_bpermute_b32 v30, v13, v4
	ds_bpermute_b32 v31, v13, v5
	v_and_b32_e32 v11, vcc_lo, v8
	v_ffbl_b32_e32 v7, v7
	v_add_u32_e32 v7, 32, v7
	v_ffbl_b32_e32 v11, v11
	v_min_u32_e32 v7, v11, v7
	v_cmp_lt_u32_e32 vcc, v12, v7
	s_waitcnt lgkmcnt(0)
	scratch_store_dwordx4 off, v[28:31], off offset:80
	s_waitcnt vmcnt(1)
	ds_bpermute_b32 v26, v13, v25
	s_and_saveexec_b64 s[10:11], vcc
	s_cbranch_execz .LBB2035_429
; %bb.422:                              ;   in Loop: Header=BB2035_414 Depth=1
	v_cmp_eq_u16_sdwa s[16:17], v25, v10 src0_sel:BYTE_0 src1_sel:DWORD
	s_and_saveexec_b64 s[14:15], s[16:17]
	s_cbranch_execz .LBB2035_428
; %bb.423:                              ;   in Loop: Header=BB2035_414 Depth=1
	s_mov_b32 s3, 0
.LBB2035_424:                           ;   Parent Loop BB2035_414 Depth=1
                                        ; =>  This Inner Loop Header: Depth=2
	s_add_i32 s16, s3, 0
	s_add_i32 s3, s3, 8
	v_mov_b32_e32 v11, v10
	s_cmp_lg_u32 s3, 16
	scratch_store_dwordx2 off, v[10:11], s16
	s_cbranch_scc1 .LBB2035_424
; %bb.425:                              ;   in Loop: Header=BB2035_414 Depth=1
	s_mov_b32 s3, 0
.LBB2035_426:                           ;   Parent Loop BB2035_414 Depth=1
                                        ; =>  This Inner Loop Header: Depth=2
	s_add_i32 s16, s3, 0x50
	s_add_i32 s17, s3, 36
	scratch_load_dwordx2 v[2:3], off, s16
	scratch_load_dwordx2 v[4:5], off, s17
	s_add_i32 s16, s3, 0
	s_add_i32 s3, s3, 8
	s_cmp_lg_u32 s3, 16
	s_waitcnt vmcnt(0)
	v_add_u32_e32 v3, v5, v3
	v_add_u32_e32 v2, v4, v2
	scratch_store_dwordx2 off, v[2:3], s16
	s_cbranch_scc1 .LBB2035_426
; %bb.427:                              ;   in Loop: Header=BB2035_414 Depth=1
	scratch_load_dwordx4 v[2:5], off, off
.LBB2035_428:                           ;   in Loop: Header=BB2035_414 Depth=1
	s_or_b64 exec, exec, s[14:15]
	s_waitcnt lgkmcnt(0)
	v_or_b32_e32 v11, v26, v25
	v_and_b32_e32 v11, 1, v11
	scratch_store_byte off, v11, off offset:52
	scratch_load_dword v25, off, off offset:52
	s_waitcnt vmcnt(2)
	scratch_store_dwordx4 off, v[2:5], off offset:36
.LBB2035_429:                           ;   in Loop: Header=BB2035_414 Depth=1
	s_or_b64 exec, exec, s[10:11]
	ds_bpermute_b32 v28, v14, v2
	ds_bpermute_b32 v29, v14, v3
	ds_bpermute_b32 v30, v14, v4
	ds_bpermute_b32 v31, v14, v5
	s_waitcnt vmcnt(1) lgkmcnt(4)
	ds_bpermute_b32 v26, v14, v25
	v_cmp_le_u32_e32 vcc, v15, v7
	s_waitcnt lgkmcnt(1)
	scratch_store_dwordx4 off, v[28:31], off offset:80
	s_and_saveexec_b64 s[14:15], vcc
	s_cbranch_execz .LBB2035_437
; %bb.430:                              ;   in Loop: Header=BB2035_414 Depth=1
	v_cmp_eq_u16_sdwa s[16:17], v25, v10 src0_sel:BYTE_0 src1_sel:DWORD
	s_and_saveexec_b64 s[10:11], s[16:17]
	s_cbranch_execz .LBB2035_436
; %bb.431:                              ;   in Loop: Header=BB2035_414 Depth=1
	s_mov_b32 s3, 0
.LBB2035_432:                           ;   Parent Loop BB2035_414 Depth=1
                                        ; =>  This Inner Loop Header: Depth=2
	s_add_i32 s16, s3, 0
	s_add_i32 s3, s3, 8
	v_mov_b32_e32 v11, v10
	s_cmp_lg_u32 s3, 16
	scratch_store_dwordx2 off, v[10:11], s16
	s_cbranch_scc1 .LBB2035_432
; %bb.433:                              ;   in Loop: Header=BB2035_414 Depth=1
	s_mov_b32 s3, 0
.LBB2035_434:                           ;   Parent Loop BB2035_414 Depth=1
                                        ; =>  This Inner Loop Header: Depth=2
	s_add_i32 s16, s3, 0x50
	s_add_i32 s17, s3, 36
	scratch_load_dwordx2 v[2:3], off, s16
	scratch_load_dwordx2 v[4:5], off, s17
	s_add_i32 s16, s3, 0
	s_add_i32 s3, s3, 8
	s_cmp_lg_u32 s3, 16
	s_waitcnt vmcnt(0)
	v_add_u32_e32 v3, v5, v3
	v_add_u32_e32 v2, v4, v2
	scratch_store_dwordx2 off, v[2:3], s16
	s_cbranch_scc1 .LBB2035_434
; %bb.435:                              ;   in Loop: Header=BB2035_414 Depth=1
	scratch_load_dwordx4 v[2:5], off, off
.LBB2035_436:                           ;   in Loop: Header=BB2035_414 Depth=1
	s_or_b64 exec, exec, s[10:11]
	v_and_b32_e32 v11, 1, v25
	v_cmp_eq_u32_e32 vcc, 1, v11
	s_waitcnt lgkmcnt(0)
	v_and_b32_e32 v11, 1, v26
	v_cmp_eq_u32_e64 s[10:11], 1, v11
	s_or_b64 s[10:11], vcc, s[10:11]
	s_waitcnt vmcnt(0)
	scratch_store_dwordx4 off, v[2:5], off offset:36
	v_cndmask_b32_e64 v11, 0, 1, s[10:11]
	scratch_store_byte off, v11, off offset:52
	scratch_load_dword v25, off, off offset:52
.LBB2035_437:                           ;   in Loop: Header=BB2035_414 Depth=1
	s_or_b64 exec, exec, s[14:15]
	ds_bpermute_b32 v28, v16, v2
	ds_bpermute_b32 v29, v16, v3
	ds_bpermute_b32 v30, v16, v4
	ds_bpermute_b32 v31, v16, v5
	s_waitcnt vmcnt(0) lgkmcnt(4)
	ds_bpermute_b32 v26, v16, v25
	v_cmp_le_u32_e32 vcc, v17, v7
	s_waitcnt lgkmcnt(1)
	scratch_store_dwordx4 off, v[28:31], off offset:80
	s_and_saveexec_b64 s[14:15], vcc
	s_cbranch_execz .LBB2035_445
; %bb.438:                              ;   in Loop: Header=BB2035_414 Depth=1
	v_cmp_eq_u16_sdwa s[16:17], v25, v10 src0_sel:BYTE_0 src1_sel:DWORD
	s_and_saveexec_b64 s[10:11], s[16:17]
	s_cbranch_execz .LBB2035_444
; %bb.439:                              ;   in Loop: Header=BB2035_414 Depth=1
	s_mov_b32 s3, 0
.LBB2035_440:                           ;   Parent Loop BB2035_414 Depth=1
                                        ; =>  This Inner Loop Header: Depth=2
	s_add_i32 s16, s3, 0
	s_add_i32 s3, s3, 8
	v_mov_b32_e32 v11, v10
	s_cmp_lg_u32 s3, 16
	scratch_store_dwordx2 off, v[10:11], s16
	s_cbranch_scc1 .LBB2035_440
; %bb.441:                              ;   in Loop: Header=BB2035_414 Depth=1
	s_mov_b32 s3, 0
.LBB2035_442:                           ;   Parent Loop BB2035_414 Depth=1
                                        ; =>  This Inner Loop Header: Depth=2
	s_add_i32 s16, s3, 0x50
	s_add_i32 s17, s3, 36
	scratch_load_dwordx2 v[2:3], off, s16
	scratch_load_dwordx2 v[4:5], off, s17
	s_add_i32 s16, s3, 0
	s_add_i32 s3, s3, 8
	s_cmp_lg_u32 s3, 16
	s_waitcnt vmcnt(0)
	v_add_u32_e32 v3, v5, v3
	v_add_u32_e32 v2, v4, v2
	scratch_store_dwordx2 off, v[2:3], s16
	s_cbranch_scc1 .LBB2035_442
; %bb.443:                              ;   in Loop: Header=BB2035_414 Depth=1
	scratch_load_dwordx4 v[2:5], off, off
.LBB2035_444:                           ;   in Loop: Header=BB2035_414 Depth=1
	s_or_b64 exec, exec, s[10:11]
	v_and_b32_e32 v11, 1, v25
	v_cmp_eq_u32_e32 vcc, 1, v11
	s_waitcnt lgkmcnt(0)
	v_and_b32_e32 v11, 1, v26
	v_cmp_eq_u32_e64 s[10:11], 1, v11
	s_or_b64 s[10:11], vcc, s[10:11]
	s_waitcnt vmcnt(0)
	scratch_store_dwordx4 off, v[2:5], off offset:36
	v_cndmask_b32_e64 v11, 0, 1, s[10:11]
	scratch_store_byte off, v11, off offset:52
	scratch_load_dword v25, off, off offset:52
.LBB2035_445:                           ;   in Loop: Header=BB2035_414 Depth=1
	s_or_b64 exec, exec, s[14:15]
	ds_bpermute_b32 v28, v18, v2
	ds_bpermute_b32 v29, v18, v3
	ds_bpermute_b32 v30, v18, v4
	ds_bpermute_b32 v31, v18, v5
	s_waitcnt vmcnt(0) lgkmcnt(4)
	ds_bpermute_b32 v26, v18, v25
	v_cmp_le_u32_e32 vcc, v19, v7
	s_waitcnt lgkmcnt(1)
	scratch_store_dwordx4 off, v[28:31], off offset:80
	s_and_saveexec_b64 s[14:15], vcc
	s_cbranch_execz .LBB2035_453
; %bb.446:                              ;   in Loop: Header=BB2035_414 Depth=1
	v_cmp_eq_u16_sdwa s[16:17], v25, v10 src0_sel:BYTE_0 src1_sel:DWORD
	s_and_saveexec_b64 s[10:11], s[16:17]
	s_cbranch_execz .LBB2035_452
; %bb.447:                              ;   in Loop: Header=BB2035_414 Depth=1
	s_mov_b32 s3, 0
.LBB2035_448:                           ;   Parent Loop BB2035_414 Depth=1
                                        ; =>  This Inner Loop Header: Depth=2
	s_add_i32 s16, s3, 0
	s_add_i32 s3, s3, 8
	v_mov_b32_e32 v11, v10
	s_cmp_lg_u32 s3, 16
	scratch_store_dwordx2 off, v[10:11], s16
	s_cbranch_scc1 .LBB2035_448
; %bb.449:                              ;   in Loop: Header=BB2035_414 Depth=1
	s_mov_b32 s3, 0
.LBB2035_450:                           ;   Parent Loop BB2035_414 Depth=1
                                        ; =>  This Inner Loop Header: Depth=2
	s_add_i32 s16, s3, 0x50
	s_add_i32 s17, s3, 36
	scratch_load_dwordx2 v[2:3], off, s16
	scratch_load_dwordx2 v[4:5], off, s17
	s_add_i32 s16, s3, 0
	s_add_i32 s3, s3, 8
	s_cmp_lg_u32 s3, 16
	s_waitcnt vmcnt(0)
	v_add_u32_e32 v3, v5, v3
	v_add_u32_e32 v2, v4, v2
	scratch_store_dwordx2 off, v[2:3], s16
	s_cbranch_scc1 .LBB2035_450
; %bb.451:                              ;   in Loop: Header=BB2035_414 Depth=1
	scratch_load_dwordx4 v[2:5], off, off
.LBB2035_452:                           ;   in Loop: Header=BB2035_414 Depth=1
	s_or_b64 exec, exec, s[10:11]
	v_and_b32_e32 v11, 1, v25
	v_cmp_eq_u32_e32 vcc, 1, v11
	s_waitcnt lgkmcnt(0)
	v_and_b32_e32 v11, 1, v26
	v_cmp_eq_u32_e64 s[10:11], 1, v11
	s_or_b64 s[10:11], vcc, s[10:11]
	s_waitcnt vmcnt(0)
	scratch_store_dwordx4 off, v[2:5], off offset:36
	v_cndmask_b32_e64 v11, 0, 1, s[10:11]
	scratch_store_byte off, v11, off offset:52
	scratch_load_dword v25, off, off offset:52
.LBB2035_453:                           ;   in Loop: Header=BB2035_414 Depth=1
	s_or_b64 exec, exec, s[14:15]
	ds_bpermute_b32 v28, v20, v2
	ds_bpermute_b32 v29, v20, v3
	ds_bpermute_b32 v30, v20, v4
	ds_bpermute_b32 v31, v20, v5
	s_waitcnt vmcnt(0) lgkmcnt(4)
	ds_bpermute_b32 v26, v20, v25
	v_cmp_le_u32_e32 vcc, v21, v7
	s_waitcnt lgkmcnt(1)
	scratch_store_dwordx4 off, v[28:31], off offset:80
	s_and_saveexec_b64 s[14:15], vcc
	s_cbranch_execz .LBB2035_461
; %bb.454:                              ;   in Loop: Header=BB2035_414 Depth=1
	v_cmp_eq_u16_sdwa s[16:17], v25, v10 src0_sel:BYTE_0 src1_sel:DWORD
	s_and_saveexec_b64 s[10:11], s[16:17]
	s_cbranch_execz .LBB2035_460
; %bb.455:                              ;   in Loop: Header=BB2035_414 Depth=1
	s_mov_b32 s3, 0
.LBB2035_456:                           ;   Parent Loop BB2035_414 Depth=1
                                        ; =>  This Inner Loop Header: Depth=2
	s_add_i32 s16, s3, 0
	s_add_i32 s3, s3, 8
	v_mov_b32_e32 v11, v10
	s_cmp_lg_u32 s3, 16
	scratch_store_dwordx2 off, v[10:11], s16
	s_cbranch_scc1 .LBB2035_456
; %bb.457:                              ;   in Loop: Header=BB2035_414 Depth=1
	s_mov_b32 s3, 0
.LBB2035_458:                           ;   Parent Loop BB2035_414 Depth=1
                                        ; =>  This Inner Loop Header: Depth=2
	s_add_i32 s16, s3, 0x50
	s_add_i32 s17, s3, 36
	scratch_load_dwordx2 v[2:3], off, s16
	scratch_load_dwordx2 v[4:5], off, s17
	s_add_i32 s16, s3, 0
	s_add_i32 s3, s3, 8
	s_cmp_lg_u32 s3, 16
	s_waitcnt vmcnt(0)
	v_add_u32_e32 v3, v5, v3
	v_add_u32_e32 v2, v4, v2
	scratch_store_dwordx2 off, v[2:3], s16
	s_cbranch_scc1 .LBB2035_458
; %bb.459:                              ;   in Loop: Header=BB2035_414 Depth=1
	scratch_load_dwordx4 v[2:5], off, off
.LBB2035_460:                           ;   in Loop: Header=BB2035_414 Depth=1
	s_or_b64 exec, exec, s[10:11]
	v_and_b32_e32 v11, 1, v25
	v_cmp_eq_u32_e32 vcc, 1, v11
	s_waitcnt lgkmcnt(0)
	v_and_b32_e32 v11, 1, v26
	v_cmp_eq_u32_e64 s[10:11], 1, v11
	s_or_b64 s[10:11], vcc, s[10:11]
	s_waitcnt vmcnt(0)
	scratch_store_dwordx4 off, v[2:5], off offset:36
	v_cndmask_b32_e64 v11, 0, 1, s[10:11]
	scratch_store_byte off, v11, off offset:52
	scratch_load_dword v25, off, off offset:52
.LBB2035_461:                           ;   in Loop: Header=BB2035_414 Depth=1
	s_or_b64 exec, exec, s[14:15]
	ds_bpermute_b32 v28, v22, v2
	ds_bpermute_b32 v29, v22, v3
	;; [unrolled: 1-line block ×4, first 2 shown]
	s_waitcnt vmcnt(0) lgkmcnt(4)
	ds_bpermute_b32 v26, v22, v25
	v_cmp_le_u32_e32 vcc, v23, v7
	v_and_b32_e32 v7, 1, v25
	v_cmp_eq_u32_e64 s[10:11], 1, v7
	s_waitcnt lgkmcnt(1)
	scratch_store_dwordx4 off, v[28:31], off offset:80
	s_and_saveexec_b64 s[14:15], vcc
	s_cbranch_execz .LBB2035_469
; %bb.462:                              ;   in Loop: Header=BB2035_414 Depth=1
	v_cmp_eq_u16_sdwa s[18:19], v25, v10 src0_sel:BYTE_0 src1_sel:DWORD
	s_and_saveexec_b64 s[16:17], s[18:19]
	s_cbranch_execz .LBB2035_468
; %bb.463:                              ;   in Loop: Header=BB2035_414 Depth=1
	s_mov_b32 s3, 0
.LBB2035_464:                           ;   Parent Loop BB2035_414 Depth=1
                                        ; =>  This Inner Loop Header: Depth=2
	s_add_i32 s18, s3, 0
	s_add_i32 s3, s3, 8
	v_mov_b32_e32 v11, v10
	s_cmp_lg_u32 s3, 16
	scratch_store_dwordx2 off, v[10:11], s18
	s_cbranch_scc1 .LBB2035_464
; %bb.465:                              ;   in Loop: Header=BB2035_414 Depth=1
	s_mov_b32 s3, 0
.LBB2035_466:                           ;   Parent Loop BB2035_414 Depth=1
                                        ; =>  This Inner Loop Header: Depth=2
	s_add_i32 s18, s3, 0x50
	s_add_i32 s19, s3, 36
	scratch_load_dwordx2 v[2:3], off, s18
	scratch_load_dwordx2 v[4:5], off, s19
	s_add_i32 s18, s3, 0
	s_add_i32 s3, s3, 8
	s_cmp_lg_u32 s3, 16
	s_waitcnt vmcnt(0)
	v_add_u32_e32 v3, v5, v3
	v_add_u32_e32 v2, v4, v2
	scratch_store_dwordx2 off, v[2:3], s18
	s_cbranch_scc1 .LBB2035_466
; %bb.467:                              ;   in Loop: Header=BB2035_414 Depth=1
	scratch_load_dwordx4 v[2:5], off, off
.LBB2035_468:                           ;   in Loop: Header=BB2035_414 Depth=1
	s_or_b64 exec, exec, s[16:17]
	s_waitcnt lgkmcnt(0)
	v_and_b32_e32 v7, 1, v26
	v_cmp_eq_u32_e32 vcc, 1, v7
	s_or_b64 s[16:17], s[10:11], vcc
	v_cndmask_b32_e64 v7, 0, 1, s[16:17]
	s_andn2_b64 s[10:11], s[10:11], exec
	s_and_b64 s[16:17], s[16:17], exec
	s_or_b64 s[10:11], s[10:11], s[16:17]
	s_waitcnt vmcnt(0)
	scratch_store_dwordx4 off, v[2:5], off offset:36
	scratch_store_byte off, v7, off offset:52
.LBB2035_469:                           ;   in Loop: Header=BB2035_414 Depth=1
	s_or_b64 exec, exec, s[14:15]
	scratch_load_ubyte v7, off, off offset:32
                                        ; implicit-def: $vgpr4_vgpr5
	s_waitcnt vmcnt(0)
	v_cmp_ne_u16_e32 vcc, 0, v7
	s_and_saveexec_b64 s[14:15], vcc
	s_xor_b64 s[14:15], exec, s[14:15]
	s_cbranch_execz .LBB2035_471
; %bb.470:                              ;   in Loop: Header=BB2035_414 Depth=1
	scratch_load_dwordx4 v[2:5], off, off offset:16
.LBB2035_471:                           ;   in Loop: Header=BB2035_414 Depth=1
	s_andn2_saveexec_b64 s[14:15], s[14:15]
	s_cbranch_execz .LBB2035_413
; %bb.472:                              ;   in Loop: Header=BB2035_414 Depth=1
	s_mov_b32 s3, 0
.LBB2035_473:                           ;   Parent Loop BB2035_414 Depth=1
                                        ; =>  This Inner Loop Header: Depth=2
	s_add_i32 s16, s3, 0x50
	s_add_i32 s3, s3, 8
	v_mov_b32_e32 v11, v10
	s_cmp_lg_u32 s3, 16
	scratch_store_dwordx2 off, v[10:11], s16
	s_cbranch_scc1 .LBB2035_473
; %bb.474:                              ;   in Loop: Header=BB2035_414 Depth=1
	s_mov_b32 s3, 0
.LBB2035_475:                           ;   Parent Loop BB2035_414 Depth=1
                                        ; =>  This Inner Loop Header: Depth=2
	s_add_i32 s16, s3, 36
	s_add_i32 s17, s3, 16
	scratch_load_dwordx2 v[2:3], off, s16
	scratch_load_dwordx2 v[4:5], off, s17
	s_add_i32 s16, s3, 0x50
	s_add_i32 s3, s3, 8
	s_cmp_lg_u32 s3, 16
	s_waitcnt vmcnt(0)
	v_add_u32_e32 v3, v5, v3
	v_add_u32_e32 v2, v4, v2
	scratch_store_dwordx2 off, v[2:3], s16
	s_cbranch_scc1 .LBB2035_475
; %bb.476:                              ;   in Loop: Header=BB2035_414 Depth=1
	scratch_load_dwordx4 v[2:5], off, off offset:80
	s_branch .LBB2035_413
.LBB2035_477:                           ;   in Loop: Header=BB2035_414 Depth=1
                                        ; implicit-def: $vgpr6
                                        ; implicit-def: $vgpr1
	s_cbranch_execz .LBB2035_414
; %bb.478:
	scratch_load_dwordx4 v[2:5], off, off offset:16
	scratch_load_dword v1, off, off offset:32
	s_waitcnt vmcnt(1)
	scratch_store_dwordx4 off, v[2:5], off offset:80
	s_waitcnt vmcnt(1)
	scratch_store_dword off, v1, off offset:96
	s_and_saveexec_b64 s[10:11], s[6:7]
	s_cbranch_execz .LBB2035_488
; %bb.479:
	scratch_load_ubyte v12, off, off offset:72
                                        ; implicit-def: $vgpr10_vgpr11
                                        ; implicit-def: $vgpr9
	s_waitcnt vmcnt(0)
	v_cmp_ne_u16_e32 vcc, 0, v12
	s_and_saveexec_b64 s[6:7], vcc
	s_xor_b64 s[6:7], exec, s[6:7]
	s_cbranch_execz .LBB2035_481
; %bb.480:
	scratch_load_dwordx4 v[6:9], off, off offset:56
	s_waitcnt vmcnt(0)
	v_mov_b32_e32 v10, v7
	v_mov_b32_e32 v11, v8
.LBB2035_481:
	s_andn2_saveexec_b64 s[6:7], s[6:7]
	s_cbranch_execz .LBB2035_487
; %bb.482:
	v_mov_b32_e32 v6, 0
	s_mov_b32 s3, 0
	v_mov_b32_e32 v7, v6
.LBB2035_483:                           ; =>This Inner Loop Header: Depth=1
	s_add_i32 s14, s3, 16
	s_add_i32 s3, s3, 8
	s_cmp_lg_u32 s3, 16
	scratch_store_dwordx2 off, v[6:7], s14
	s_cbranch_scc1 .LBB2035_483
; %bb.484:
	s_mov_b32 s3, 0
.LBB2035_485:                           ; =>This Inner Loop Header: Depth=1
	s_add_i32 s14, s3, 0x50
	s_add_i32 s15, s3, 56
	scratch_load_dwordx2 v[6:7], off, s14
	scratch_load_dwordx2 v[8:9], off, s15
	s_add_i32 s14, s3, 16
	s_add_i32 s3, s3, 8
	s_cmp_lg_u32 s3, 16
	s_waitcnt vmcnt(0)
	v_add_u32_e32 v7, v9, v7
	v_add_u32_e32 v6, v8, v6
	scratch_store_dwordx2 off, v[6:7], s14
	s_cbranch_scc1 .LBB2035_485
; %bb.486:
	scratch_load_dwordx4 v[6:9], off, off offset:16
	s_waitcnt vmcnt(0)
	v_mov_b32_e32 v10, v7
	v_mov_b32_e32 v11, v8
.LBB2035_487:
	s_or_b64 exec, exec, s[6:7]
	s_add_i32 s6, s2, 64
	v_and_b32_e32 v7, 1, v12
	s_mul_i32 s2, s6, 20
	v_and_b32_e32 v8, 1, v1
	v_cmp_eq_u32_e32 vcc, 1, v7
	s_mul_hi_u32 s3, s6, 20
	s_add_u32 s2, s54, s2
	v_cndmask_b32_e64 v7, v8, 1, vcc
	s_addc_u32 s3, s55, s3
	v_mov_b32_e32 v8, 0
	global_store_dword v8, v6, s[2:3] sc1
	global_store_dword v8, v10, s[2:3] offset:4 sc1
	global_store_dword v8, v11, s[2:3] offset:8 sc1
	;; [unrolled: 1-line block ×4, first 2 shown]
	v_mov_b32_e32 v6, s6
	v_mov_b32_e32 v7, 2
	s_waitcnt vmcnt(0) lgkmcnt(0)
	global_store_byte v6, v7, s[56:57] sc1
.LBB2035_488:
	s_or_b64 exec, exec, s[10:11]
	s_and_b64 exec, exec, s[4:5]
	s_cbranch_execz .LBB2035_490
; %bb.489:
	v_mov_b32_e32 v6, 0
	ds_write_b128 v6, v[2:5]
	ds_write_b8 v6, v1 offset:16
.LBB2035_490:
	s_or_b64 exec, exec, s[12:13]
	s_waitcnt lgkmcnt(0)
	s_barrier
	scratch_load_ubyte v1, off, off offset:496
	v_mov_b32_e32 v2, 0
	ds_read_b128 v[8:11], v2
	ds_read_b32 v6, v2 offset:16
	s_waitcnt lgkmcnt(1)
	scratch_store_dwordx4 off, v[8:11], off offset:80
	s_waitcnt lgkmcnt(0)
	scratch_store_dword off, v6, off offset:96
	s_and_saveexec_b64 s[2:3], s[8:9]
	s_cbranch_execz .LBB2035_500
; %bb.491:
	s_waitcnt vmcnt(2)
	v_cmp_ne_u16_sdwa s[4:5], v1, v2 src0_sel:BYTE_0 src1_sel:DWORD
                                        ; implicit-def: $vgpr4_vgpr5
	s_and_saveexec_b64 s[6:7], s[4:5]
	s_xor_b64 s[4:5], exec, s[6:7]
	s_cbranch_execz .LBB2035_493
; %bb.492:
	scratch_load_dwordx4 v[2:5], off, off offset:480
.LBB2035_493:
	s_andn2_saveexec_b64 s[4:5], s[4:5]
	s_cbranch_execz .LBB2035_499
; %bb.494:
	s_waitcnt vmcnt(0)
	v_mov_b32_e32 v2, 0
	s_mov_b32 s6, 0
	v_mov_b32_e32 v3, v2
.LBB2035_495:                           ; =>This Inner Loop Header: Depth=1
	s_add_i32 s7, s6, 16
	s_add_i32 s6, s6, 8
	s_cmp_lg_u32 s6, 16
	scratch_store_dwordx2 off, v[2:3], s7
	s_cbranch_scc1 .LBB2035_495
; %bb.496:
	s_mov_b32 s6, 0
.LBB2035_497:                           ; =>This Inner Loop Header: Depth=1
	s_add_i32 s7, s6, 0x1c0
	s_add_i32 s8, s6, 0x1e0
	scratch_load_dwordx2 v[2:3], off, s7
	scratch_load_dwordx2 v[4:5], off, s8
	s_add_i32 s7, s6, 16
	s_add_i32 s6, s6, 8
	s_cmp_lg_u32 s6, 16
	s_waitcnt vmcnt(0)
	v_add_u32_e32 v3, v5, v3
	v_add_u32_e32 v2, v4, v2
	scratch_store_dwordx2 off, v[2:3], s7
	s_cbranch_scc1 .LBB2035_497
; %bb.498:
	scratch_load_dwordx4 v[2:5], off, off offset:16
.LBB2035_499:
	s_or_b64 exec, exec, s[4:5]
	scratch_load_ubyte v7, off, off offset:464
	s_waitcnt vmcnt(0)
	v_or_b32_e32 v1, v1, v7
	v_and_b32_e32 v1, 1, v1
	scratch_store_dwordx4 off, v[2:5], off offset:480
.LBB2035_500:
	s_or_b64 exec, exec, s[2:3]
	s_nop 0
	v_mov_b32_e32 v2, 0
	s_waitcnt vmcnt(2)
	v_cmp_ne_u16_sdwa s[2:3], v1, v2 src0_sel:BYTE_0 src1_sel:DWORD
                                        ; implicit-def: $vgpr4_vgpr5
	s_and_saveexec_b64 s[4:5], s[2:3]
	s_xor_b64 s[2:3], exec, s[4:5]
	s_cbranch_execz .LBB2035_502
; %bb.501:
	scratch_load_dwordx4 v[2:5], off, off offset:480
.LBB2035_502:
	s_andn2_saveexec_b64 s[2:3], s[2:3]
	s_cbranch_execz .LBB2035_508
; %bb.503:
	s_waitcnt vmcnt(0)
	v_mov_b32_e32 v2, 0
	s_mov_b32 s4, 0
	v_mov_b32_e32 v3, v2
.LBB2035_504:                           ; =>This Inner Loop Header: Depth=1
	s_add_i32 s5, s4, 16
	s_add_i32 s4, s4, 8
	s_cmp_lg_u32 s4, 16
	scratch_store_dwordx2 off, v[2:3], s5
	s_cbranch_scc1 .LBB2035_504
; %bb.505:
	s_mov_b32 s4, 0
.LBB2035_506:                           ; =>This Inner Loop Header: Depth=1
	s_add_i32 s5, s4, 0x50
	s_add_i32 s6, s4, 0x1e0
	scratch_load_dwordx2 v[2:3], off, s5
	scratch_load_dwordx2 v[4:5], off, s6
	s_add_i32 s5, s4, 16
	s_add_i32 s4, s4, 8
	s_cmp_lg_u32 s4, 16
	s_waitcnt vmcnt(0)
	v_add_u32_e32 v3, v5, v3
	v_add_u32_e32 v2, v4, v2
	scratch_store_dwordx2 off, v[2:3], s5
	s_cbranch_scc1 .LBB2035_506
; %bb.507:
	scratch_load_dwordx4 v[2:5], off, off offset:16
.LBB2035_508:
	s_or_b64 exec, exec, s[2:3]
	scratch_load_ubyte v7, off, off offset:516
	v_or_b32_e32 v1, v1, v6
	v_and_b32_e32 v1, 1, v1
	v_cmp_eq_u32_e32 vcc, 1, v1
	s_waitcnt vmcnt(1)
	scratch_store_dwordx4 off, v[2:5], off offset:480
	scratch_store_byte off, v1, off offset:496
                                        ; implicit-def: $vgpr4_vgpr5
	s_waitcnt vmcnt(2)
	v_cmp_ne_u16_e64 s[2:3], 0, v7
	s_and_saveexec_b64 s[4:5], s[2:3]
	s_xor_b64 s[2:3], exec, s[4:5]
	s_cbranch_execz .LBB2035_510
; %bb.509:
	scratch_load_dwordx4 v[2:5], off, off offset:500
.LBB2035_510:
	s_andn2_saveexec_b64 s[2:3], s[2:3]
	s_cbranch_execz .LBB2035_516
; %bb.511:
	s_waitcnt vmcnt(0)
	v_mov_b32_e32 v2, 0
	s_mov_b32 s4, 0
	v_mov_b32_e32 v3, v2
.LBB2035_512:                           ; =>This Inner Loop Header: Depth=1
	s_add_i32 s5, s4, 16
	s_add_i32 s4, s4, 8
	s_cmp_lg_u32 s4, 16
	scratch_store_dwordx2 off, v[2:3], s5
	s_cbranch_scc1 .LBB2035_512
; %bb.513:
	s_mov_b32 s4, 0
	v_mov_b32_e32 v1, 0x1e0
.LBB2035_514:                           ; =>This Inner Loop Header: Depth=1
	v_add_u32_e32 v2, s4, v1
	s_add_i32 s5, s4, 0x1e0
	v_add_u32_e32 v6, 20, v2
	scratch_load_dwordx2 v[2:3], off, s5
	scratch_load_dwordx2 v[4:5], v6, off
	s_add_i32 s5, s4, 16
	s_add_i32 s4, s4, 8
	s_cmp_lg_u32 s4, 16
	s_waitcnt vmcnt(0)
	v_add_u32_e32 v3, v5, v3
	v_add_u32_e32 v2, v4, v2
	scratch_store_dwordx2 off, v[2:3], s5
	s_cbranch_scc1 .LBB2035_514
; %bb.515:
	scratch_load_dwordx4 v[2:5], off, off offset:16
.LBB2035_516:
	s_or_b64 exec, exec, s[2:3]
	scratch_load_ubyte v1, off, off offset:536
	v_and_b32_e32 v6, 1, v7
	v_cmp_eq_u32_e64 s[2:3], 1, v6
	s_or_b64 s[2:3], s[2:3], vcc
	s_waitcnt vmcnt(0)
	v_cmp_ne_u16_e32 vcc, 0, v1
	v_cndmask_b32_e64 v6, 0, 1, s[2:3]
	scratch_store_dwordx4 off, v[2:5], off offset:500
	scratch_store_byte off, v6, off offset:516
                                        ; implicit-def: $vgpr4_vgpr5
	s_and_saveexec_b64 s[4:5], vcc
	s_xor_b64 s[4:5], exec, s[4:5]
	s_cbranch_execz .LBB2035_518
; %bb.517:
	scratch_load_dwordx4 v[2:5], off, off offset:520
.LBB2035_518:
	s_andn2_saveexec_b64 s[4:5], s[4:5]
	s_cbranch_execz .LBB2035_524
; %bb.519:
	s_waitcnt vmcnt(0)
	v_mov_b32_e32 v2, 0
	s_mov_b32 s6, 0
	v_mov_b32_e32 v3, v2
.LBB2035_520:                           ; =>This Inner Loop Header: Depth=1
	s_add_i32 s7, s6, 16
	s_add_i32 s6, s6, 8
	s_cmp_lg_u32 s6, 16
	scratch_store_dwordx2 off, v[2:3], s7
	s_cbranch_scc1 .LBB2035_520
; %bb.521:
	s_mov_b32 s6, 0
	v_mov_b32_e32 v2, 0x1e0
.LBB2035_522:                           ; =>This Inner Loop Header: Depth=1
	v_add_u32_e32 v3, s6, v2
	v_add_u32_e32 v8, 20, v3
	v_add_u32_e32 v3, 40, v3
	scratch_load_dwordx2 v[4:5], v8, off
	scratch_load_dwordx2 v[6:7], v3, off
	s_add_i32 s7, s6, 16
	s_add_i32 s6, s6, 8
	s_cmp_lg_u32 s6, 16
	s_waitcnt vmcnt(0)
	v_add_u32_e32 v5, v7, v5
	v_add_u32_e32 v4, v6, v4
	scratch_store_dwordx2 off, v[4:5], s7
	s_cbranch_scc1 .LBB2035_522
; %bb.523:
	scratch_load_dwordx4 v[2:5], off, off offset:16
.LBB2035_524:
	s_or_b64 exec, exec, s[4:5]
	scratch_load_ubyte v6, off, off offset:556
	v_and_b32_e32 v1, 1, v1
	v_cmp_eq_u32_e32 vcc, 1, v1
	s_or_b64 s[2:3], vcc, s[2:3]
	v_cndmask_b32_e64 v1, 0, 1, s[2:3]
	s_waitcnt vmcnt(1)
	scratch_store_dwordx4 off, v[2:5], off offset:520
	scratch_store_byte off, v1, off offset:536
                                        ; implicit-def: $vgpr4_vgpr5
	s_waitcnt vmcnt(2)
	v_cmp_ne_u16_e32 vcc, 0, v6
	s_and_saveexec_b64 s[4:5], vcc
	s_xor_b64 s[4:5], exec, s[4:5]
	s_cbranch_execz .LBB2035_526
; %bb.525:
	scratch_load_dwordx4 v[2:5], off, off offset:540
.LBB2035_526:
	s_andn2_saveexec_b64 s[4:5], s[4:5]
	s_cbranch_execz .LBB2035_532
; %bb.527:
	s_waitcnt vmcnt(0)
	v_mov_b32_e32 v2, 0
	s_mov_b32 s6, 0
	v_mov_b32_e32 v3, v2
.LBB2035_528:                           ; =>This Inner Loop Header: Depth=1
	s_add_i32 s7, s6, 16
	s_add_i32 s6, s6, 8
	s_cmp_lg_u32 s6, 16
	scratch_store_dwordx2 off, v[2:3], s7
	s_cbranch_scc1 .LBB2035_528
; %bb.529:
	s_mov_b32 s6, 0
	v_mov_b32_e32 v1, 0x1e0
.LBB2035_530:                           ; =>This Inner Loop Header: Depth=1
	v_add_u32_e32 v2, s6, v1
	v_add_u32_e32 v7, 40, v2
	v_add_u32_e32 v8, 60, v2
	scratch_load_dwordx2 v[2:3], v7, off
	scratch_load_dwordx2 v[4:5], v8, off
	s_add_i32 s7, s6, 16
	s_add_i32 s6, s6, 8
	s_cmp_lg_u32 s6, 16
	s_waitcnt vmcnt(0)
	v_add_u32_e32 v3, v5, v3
	v_add_u32_e32 v2, v4, v2
	scratch_store_dwordx2 off, v[2:3], s7
	s_cbranch_scc1 .LBB2035_530
; %bb.531:
	scratch_load_dwordx4 v[2:5], off, off offset:16
.LBB2035_532:
	s_or_b64 exec, exec, s[4:5]
	scratch_load_ubyte v1, off, off offset:576
	v_and_b32_e32 v6, 1, v6
	v_cmp_eq_u32_e32 vcc, 1, v6
	s_or_b64 s[2:3], vcc, s[2:3]
	v_cndmask_b32_e64 v6, 0, 1, s[2:3]
	s_waitcnt vmcnt(1)
	scratch_store_dwordx4 off, v[2:5], off offset:540
	scratch_store_byte off, v6, off offset:556
                                        ; implicit-def: $vgpr4_vgpr5
	s_waitcnt vmcnt(2)
	v_cmp_ne_u16_e32 vcc, 0, v1
	;; [unrolled: 51-line block ×20, first 2 shown]
	s_and_saveexec_b64 s[4:5], vcc
	s_xor_b64 s[4:5], exec, s[4:5]
	s_cbranch_execz .LBB2035_678
; %bb.677:
	scratch_load_dwordx4 v[2:5], off, off offset:920
.LBB2035_678:
	s_andn2_saveexec_b64 s[4:5], s[4:5]
	s_cbranch_execz .LBB2035_684
; %bb.679:
	s_waitcnt vmcnt(0)
	v_mov_b32_e32 v2, 0
	s_mov_b32 s6, 0
	v_mov_b32_e32 v3, v2
.LBB2035_680:                           ; =>This Inner Loop Header: Depth=1
	s_add_i32 s7, s6, 16
	s_add_i32 s6, s6, 8
	s_cmp_lg_u32 s6, 16
	scratch_store_dwordx2 off, v[2:3], s7
	s_cbranch_scc1 .LBB2035_680
; %bb.681:
	s_mov_b32 s6, 0
	v_mov_b32_e32 v2, 0x1e0
.LBB2035_682:                           ; =>This Inner Loop Header: Depth=1
	v_add_u32_e32 v3, s6, v2
	v_add_u32_e32 v8, 0x1a4, v3
	;; [unrolled: 1-line block ×3, first 2 shown]
	scratch_load_dwordx2 v[4:5], v8, off
	scratch_load_dwordx2 v[6:7], v3, off
	s_add_i32 s7, s6, 16
	s_add_i32 s6, s6, 8
	s_cmp_lg_u32 s6, 16
	s_waitcnt vmcnt(0)
	v_add_u32_e32 v5, v7, v5
	v_add_u32_e32 v4, v6, v4
	scratch_store_dwordx2 off, v[4:5], s7
	s_cbranch_scc1 .LBB2035_682
; %bb.683:
	scratch_load_dwordx4 v[2:5], off, off offset:16
.LBB2035_684:
	s_or_b64 exec, exec, s[4:5]
	v_and_b32_e32 v1, 1, v1
	v_cmp_eq_u32_e32 vcc, 1, v1
	s_or_b64 s[2:3], vcc, s[2:3]
	v_cndmask_b32_e64 v1, 0, 1, s[2:3]
	s_waitcnt vmcnt(0)
	scratch_store_dwordx4 off, v[2:5], off offset:920
	scratch_store_byte off, v1, off offset:936
	s_branch .LBB2035_1274
.LBB2035_685:
	v_mov_b64_e32 v[2:3], s[64:65]
	flat_load_dword v2, v[2:3]
	v_readlane_b32 s3, v200, 10
	s_add_i32 s3, s3, s58
	s_waitcnt vmcnt(0) lgkmcnt(0)
	v_mov_b32_e32 v3, v2
	v_cmp_gt_u32_e64 s[50:51], s3, v0
	s_and_saveexec_b64 s[4:5], s[50:51]
	s_cbranch_execz .LBB2035_687
; %bb.686:
	v_lshlrev_b32_e32 v4, 2, v0
	v_mov_b32_e32 v5, 0
	v_lshl_add_u64 v[4:5], s[64:65], 0, v[4:5]
	flat_load_dword v3, v[4:5]
.LBB2035_687:
	s_or_b64 exec, exec, s[4:5]
	v_or_b32_e32 v4, 0x80, v0
	v_cmp_gt_u32_e64 s[4:5], s3, v4
	v_mov_b32_e32 v4, v2
	s_and_saveexec_b64 s[6:7], s[4:5]
	s_cbranch_execz .LBB2035_689
; %bb.688:
	v_lshlrev_b32_e32 v4, 2, v0
	v_mov_b32_e32 v5, 0
	v_lshl_add_u64 v[4:5], s[64:65], 0, v[4:5]
	flat_load_dword v4, v[4:5] offset:512
.LBB2035_689:
	s_or_b64 exec, exec, s[6:7]
	v_or_b32_e32 v48, 0x100, v0
	v_cmp_gt_u32_e64 s[6:7], s3, v48
	v_mov_b32_e32 v5, v2
	s_and_saveexec_b64 s[8:9], s[6:7]
	s_cbranch_execz .LBB2035_691
; %bb.690:
	v_lshlrev_b32_e32 v6, 2, v0
	v_mov_b32_e32 v7, 0
	v_lshl_add_u64 v[6:7], s[64:65], 0, v[6:7]
	flat_load_dword v5, v[6:7] offset:1024
.LBB2035_691:
	;; [unrolled: 12-line block ×7, first 2 shown]
	s_or_b64 exec, exec, s[18:19]
	v_or_b32_e32 v55, 0x400, v0
	v_cmp_gt_u32_e64 s[18:19], s3, v55
	v_mov_b32_e32 v11, v2
	s_and_saveexec_b64 s[20:21], s[18:19]
	s_cbranch_execz .LBB2035_703
; %bb.702:
	v_lshlrev_b32_e32 v12, 2, v55
	v_mov_b32_e32 v13, 0
	v_lshl_add_u64 v[12:13], s[64:65], 0, v[12:13]
	flat_load_dword v11, v[12:13]
.LBB2035_703:
	s_or_b64 exec, exec, s[20:21]
	v_or_b32_e32 v56, 0x480, v0
	v_cmp_gt_u32_e64 s[20:21], s3, v56
	v_mov_b32_e32 v12, v2
	s_and_saveexec_b64 s[22:23], s[20:21]
	s_cbranch_execz .LBB2035_705
; %bb.704:
	v_lshlrev_b32_e32 v12, 2, v56
	v_mov_b32_e32 v13, 0
	v_lshl_add_u64 v[12:13], s[64:65], 0, v[12:13]
	flat_load_dword v12, v[12:13]
.LBB2035_705:
	;; [unrolled: 12-line block ×14, first 2 shown]
	s_or_b64 exec, exec, s[48:49]
	v_or_b32_e32 v69, 0xb00, v0
	v_cmp_gt_u32_e64 s[48:49], s3, v69
	s_and_saveexec_b64 s[68:69], s[48:49]
	s_cbranch_execz .LBB2035_731
; %bb.730:
	v_lshlrev_b32_e32 v70, 2, v69
	v_mov_b32_e32 v71, 0
	v_lshl_add_u64 v[70:71], s[64:65], 0, v[70:71]
	flat_load_dword v2, v[70:71]
.LBB2035_731:
	s_or_b64 exec, exec, s[68:69]
	v_lshlrev_b32_e32 v25, 2, v0
	s_movk_i32 s68, 0x58
	s_waitcnt vmcnt(0) lgkmcnt(0)
	ds_write2st64_b32 v25, v3, v4 offset1:2
	ds_write2st64_b32 v25, v5, v6 offset0:4 offset1:6
	ds_write2st64_b32 v25, v7, v8 offset0:8 offset1:10
	ds_write2st64_b32 v25, v9, v10 offset0:12 offset1:14
	ds_write2st64_b32 v25, v11, v12 offset0:16 offset1:18
	ds_write2st64_b32 v25, v13, v14 offset0:20 offset1:22
	ds_write2st64_b32 v25, v15, v16 offset0:24 offset1:26
	ds_write2st64_b32 v25, v17, v18 offset0:28 offset1:30
	ds_write2st64_b32 v25, v19, v20 offset0:32 offset1:34
	ds_write2st64_b32 v25, v21, v22 offset0:36 offset1:38
	ds_write2st64_b32 v25, v23, v24 offset0:40 offset1:42
	ds_write_b32 v25, v2 offset:11264
	v_mad_u32_u24 v24, v0, s68, v25
	s_waitcnt lgkmcnt(0)
	s_barrier
	ds_read2_b32 v[22:23], v24 offset1:1
	ds_read2_b32 v[20:21], v24 offset0:2 offset1:3
	ds_read2_b32 v[18:19], v24 offset0:4 offset1:5
	;; [unrolled: 1-line block ×10, first 2 shown]
	ds_read_b32 v47, v24 offset:88
	s_cmp_eq_u64 s[80:81], 0
	s_mov_b64 s[68:69], s[64:65]
	s_cbranch_scc1 .LBB2035_735
; %bb.732:
	s_andn2_b64 vcc, exec, s[78:79]
	s_cbranch_vccnz .LBB2035_1417
; %bb.733:
	s_lshl_b64 s[68:69], s[80:81], 2
	s_add_u32 s68, s74, s68
	s_addc_u32 s69, s75, s69
	s_add_u32 s68, s68, -4
	s_addc_u32 s69, s69, -1
	s_cbranch_execnz .LBB2035_735
.LBB2035_734:
	s_add_u32 s68, s64, -4
	s_addc_u32 s69, s65, -1
.LBB2035_735:
	v_mov_b64_e32 v[70:71], s[68:69]
	flat_load_dword v51, v[70:71]
	s_movk_i32 s68, 0xffa8
	v_mad_i32_i24 v25, v0, s68, v24
	v_cmp_ne_u32_e32 vcc, 0, v0
	s_waitcnt lgkmcnt(0)
	ds_write_b32 v25, v47 offset:11776
	s_waitcnt lgkmcnt(0)
	s_barrier
	s_and_saveexec_b64 s[68:69], vcc
	s_cbranch_execz .LBB2035_737
; %bb.736:
	v_mul_i32_i24_e32 v25, 0xffffffa8, v0
	v_add_u32_e32 v24, v24, v25
	s_waitcnt vmcnt(0)
	ds_read_b32 v51, v24 offset:11772
.LBB2035_737:
	s_or_b64 exec, exec, s[68:69]
	v_mov_b32_e32 v25, 0
	s_waitcnt lgkmcnt(0)
	s_barrier
	s_and_saveexec_b64 s[68:69], s[50:51]
	s_cbranch_execnz .LBB2035_1395
; %bb.738:
	s_or_b64 exec, exec, s[68:69]
	s_and_saveexec_b64 s[50:51], s[4:5]
	s_cbranch_execnz .LBB2035_1396
.LBB2035_739:
	s_or_b64 exec, exec, s[50:51]
	s_and_saveexec_b64 s[4:5], s[6:7]
	s_cbranch_execnz .LBB2035_1397
.LBB2035_740:
	s_or_b64 exec, exec, s[4:5]
	s_and_saveexec_b64 s[4:5], s[8:9]
	s_cbranch_execnz .LBB2035_1398
.LBB2035_741:
	s_or_b64 exec, exec, s[4:5]
	s_and_saveexec_b64 s[4:5], s[10:11]
	s_cbranch_execnz .LBB2035_1399
.LBB2035_742:
	s_or_b64 exec, exec, s[4:5]
	s_and_saveexec_b64 s[4:5], s[12:13]
	s_cbranch_execnz .LBB2035_1400
.LBB2035_743:
	s_or_b64 exec, exec, s[4:5]
	s_and_saveexec_b64 s[4:5], s[14:15]
	s_cbranch_execnz .LBB2035_1401
.LBB2035_744:
	s_or_b64 exec, exec, s[4:5]
	s_and_saveexec_b64 s[4:5], s[16:17]
	s_cbranch_execnz .LBB2035_1402
.LBB2035_745:
	s_or_b64 exec, exec, s[4:5]
	s_and_saveexec_b64 s[4:5], s[18:19]
	s_cbranch_execnz .LBB2035_1403
.LBB2035_746:
	s_or_b64 exec, exec, s[4:5]
	s_and_saveexec_b64 s[4:5], s[20:21]
	s_cbranch_execnz .LBB2035_1404
.LBB2035_747:
	s_or_b64 exec, exec, s[4:5]
	s_and_saveexec_b64 s[4:5], s[22:23]
	s_cbranch_execnz .LBB2035_1405
.LBB2035_748:
	s_or_b64 exec, exec, s[4:5]
	s_and_saveexec_b64 s[4:5], s[24:25]
	s_cbranch_execnz .LBB2035_1406
.LBB2035_749:
	s_or_b64 exec, exec, s[4:5]
	s_and_saveexec_b64 s[4:5], s[26:27]
	s_cbranch_execnz .LBB2035_1407
.LBB2035_750:
	s_or_b64 exec, exec, s[4:5]
	s_and_saveexec_b64 s[4:5], s[28:29]
	s_cbranch_execnz .LBB2035_1408
.LBB2035_751:
	s_or_b64 exec, exec, s[4:5]
	s_and_saveexec_b64 s[4:5], s[30:31]
	s_cbranch_execnz .LBB2035_1409
.LBB2035_752:
	s_or_b64 exec, exec, s[4:5]
	s_and_saveexec_b64 s[4:5], s[34:35]
	s_cbranch_execnz .LBB2035_1410
.LBB2035_753:
	s_or_b64 exec, exec, s[4:5]
	s_and_saveexec_b64 s[4:5], s[36:37]
	s_cbranch_execnz .LBB2035_1411
.LBB2035_754:
	s_or_b64 exec, exec, s[4:5]
	s_and_saveexec_b64 s[4:5], s[38:39]
	s_cbranch_execnz .LBB2035_1412
.LBB2035_755:
	s_or_b64 exec, exec, s[4:5]
	s_and_saveexec_b64 s[4:5], s[40:41]
	s_cbranch_execnz .LBB2035_1413
.LBB2035_756:
	s_or_b64 exec, exec, s[4:5]
	s_and_saveexec_b64 s[4:5], s[42:43]
	s_cbranch_execnz .LBB2035_1414
.LBB2035_757:
	s_or_b64 exec, exec, s[4:5]
	s_and_saveexec_b64 s[4:5], s[44:45]
	s_cbranch_execnz .LBB2035_1415
.LBB2035_758:
	s_or_b64 exec, exec, s[4:5]
	s_and_saveexec_b64 s[4:5], s[46:47]
	s_cbranch_execnz .LBB2035_1416
.LBB2035_759:
	s_or_b64 exec, exec, s[4:5]
	s_and_saveexec_b64 s[4:5], s[48:49]
	s_cbranch_execz .LBB2035_761
.LBB2035_760:
	v_lshlrev_b32_e32 v24, 4, v69
	v_mov_b32_e32 v25, 0
	v_lshl_add_u64 v[24:25], s[62:63], 0, v[24:25]
	flat_load_dwordx4 v[52:55], v[24:25]
	s_waitcnt vmcnt(0) lgkmcnt(0)
	scratch_store_dwordx4 off, v[52:55], off offset:432
.LBB2035_761:
	s_or_b64 exec, exec, s[4:5]
	scratch_load_dwordx4 v[52:55], off, off offset:80
	scratch_load_dwordx4 v[56:59], v46, off
	scratch_load_dwordx4 v[60:63], v45, off
	;; [unrolled: 1-line block ×22, first 2 shown]
	v_lshlrev_b32_e32 v48, 4, v0
	s_movk_i32 s4, 0x160
	v_mad_u32_u24 v25, v0, s4, v48
	v_mul_u32_u24_e32 v24, 23, v0
	v_cmp_gt_u32_e32 vcc, s3, v24
	s_mov_b64 s[6:7], 0
	s_mov_b64 s[10:11], 0
                                        ; implicit-def: $sgpr4_sgpr5
	s_waitcnt vmcnt(0)
	ds_write_b128 v48, v[52:55]
	ds_write_b128 v48, v[56:59] offset:2048
	ds_write_b128 v48, v[60:63] offset:4096
	;; [unrolled: 1-line block ×22, first 2 shown]
	s_waitcnt lgkmcnt(0)
	s_barrier
	ds_read_b128 v[52:55], v25 offset:16
	ds_read_b128 v[56:59], v25 offset:32
	;; [unrolled: 1-line block ×16, first 2 shown]
	s_waitcnt lgkmcnt(14)
	scratch_store_dwordx4 v46, v[52:55], off
	scratch_store_dwordx4 v45, v[56:59], off
	s_waitcnt lgkmcnt(13)
	scratch_store_dwordx4 v44, v[60:63], off
	s_waitcnt lgkmcnt(12)
	;; [unrolled: 2-line block ×11, first 2 shown]
	scratch_store_dwordx4 v34, v[100:103], off
	ds_read_b128 v[52:55], v25 offset:272
	s_waitcnt lgkmcnt(3)
	scratch_store_dwordx4 v33, v[104:107], off
	s_waitcnt lgkmcnt(2)
	scratch_store_dwordx4 v32, v[108:111], off
	;; [unrolled: 2-line block ×3, first 2 shown]
	ds_read_b128 v[56:59], v25 offset:288
	s_waitcnt lgkmcnt(1)
	scratch_store_dwordx4 v30, v[52:55], off
	ds_read_b128 v[52:55], v25 offset:304
	ds_read_b128 v[60:63], v25 offset:320
	;; [unrolled: 1-line block ×4, first 2 shown]
	s_waitcnt lgkmcnt(4)
	scratch_store_dwordx4 v29, v[56:59], off
	s_waitcnt lgkmcnt(3)
	scratch_store_dwordx4 v28, v[52:55], off
	;; [unrolled: 2-line block ×5, first 2 shown]
	s_and_saveexec_b64 s[8:9], vcc
	s_cbranch_execz .LBB2035_805
; %bb.762:
	ds_read_b128 v[52:55], v25
	v_cmp_ne_u32_e32 vcc, v51, v22
	v_add_u32_e32 v49, 1, v24
	s_mov_b64 s[12:13], 0
	v_cndmask_b32_e64 v48, 0, 1, vcc
	v_cmp_gt_u32_e32 vcc, s3, v49
	scratch_store_byte off, v48, off offset:496
	s_waitcnt lgkmcnt(0)
	scratch_store_dwordx4 off, v[52:55], off offset:480
                                        ; implicit-def: $sgpr14_sgpr15
	s_and_saveexec_b64 s[10:11], vcc
	s_cbranch_execz .LBB2035_804
; %bb.763:
	v_add_u32_e32 v48, 16, v25
	ds_read2_b32 v[50:51], v48 offset0:2 offset1:3
	ds_read2_b32 v[48:49], v48 offset1:1
	v_cmp_ne_u32_e32 vcc, v22, v23
	v_add_u32_e32 v52, 2, v24
	s_mov_b64 s[4:5], 0
	v_cndmask_b32_e64 v22, 0, 1, vcc
	v_cmp_gt_u32_e32 vcc, s3, v52
	s_waitcnt lgkmcnt(0)
	scratch_store_dwordx4 off, v[48:51], s33
	scratch_store_byte off, v22, off offset:516
                                        ; implicit-def: $sgpr14_sgpr15
	s_and_saveexec_b64 s[12:13], vcc
	s_cbranch_execz .LBB2035_803
; %bb.764:
	v_add_u32_e32 v22, 32, v25
	ds_read2_b64 v[48:51], v22 offset1:1
	v_cmp_ne_u32_e32 vcc, v23, v20
	v_add_u32_e32 v23, 3, v24
                                        ; implicit-def: $sgpr16_sgpr17
	s_nop 0
	v_cndmask_b32_e64 v22, 0, 1, vcc
	v_cmp_gt_u32_e32 vcc, s3, v23
	scratch_store_byte off, v22, off offset:536
	s_waitcnt lgkmcnt(0)
	scratch_store_dwordx4 off, v[48:51], s59
	s_and_saveexec_b64 s[14:15], vcc
	s_cbranch_execz .LBB2035_802
; %bb.765:
	v_add_u32_e32 v22, 48, v25
	ds_read2_b32 v[50:51], v22 offset0:2 offset1:3
	ds_read2_b32 v[48:49], v22 offset1:1
	v_cmp_ne_u32_e32 vcc, v20, v21
	v_add_u32_e32 v22, 4, v24
                                        ; implicit-def: $sgpr18_sgpr19
	s_nop 0
	v_cndmask_b32_e64 v20, 0, 1, vcc
	v_cmp_gt_u32_e32 vcc, s3, v22
	s_waitcnt lgkmcnt(0)
	scratch_store_dwordx4 off, v[48:51], s84
	scratch_store_byte off, v20, off offset:556
	s_and_saveexec_b64 s[16:17], vcc
	s_cbranch_execz .LBB2035_801
; %bb.766:
	v_add_u32_e32 v20, 64, v25
	ds_read_b128 v[48:51], v20
	v_cmp_ne_u32_e32 vcc, v21, v18
	v_add_u32_e32 v21, 5, v24
                                        ; implicit-def: $sgpr20_sgpr21
	s_nop 0
	v_cndmask_b32_e64 v20, 0, 1, vcc
	v_cmp_gt_u32_e32 vcc, s3, v21
	scratch_store_byte off, v20, off offset:576
	s_waitcnt lgkmcnt(0)
	scratch_store_dwordx4 off, v[48:51], s85
	s_and_saveexec_b64 s[18:19], vcc
	s_cbranch_execz .LBB2035_800
; %bb.767:
	v_add_u32_e32 v20, 0x50, v25
	ds_read2_b32 v[22:23], v20 offset0:2 offset1:3
	ds_read2_b32 v[20:21], v20 offset1:1
	v_cmp_ne_u32_e32 vcc, v18, v19
	v_add_u32_e32 v48, 6, v24
                                        ; implicit-def: $sgpr22_sgpr23
	s_nop 0
	v_cndmask_b32_e64 v18, 0, 1, vcc
	v_cmp_gt_u32_e32 vcc, s3, v48
	s_waitcnt lgkmcnt(0)
	scratch_store_dwordx4 off, v[20:23], s86
	scratch_store_byte off, v18, off offset:596
	s_and_saveexec_b64 s[20:21], vcc
	s_cbranch_execz .LBB2035_799
; %bb.768:
	v_add_u32_e32 v18, 0x60, v25
	ds_read2_b64 v[20:23], v18 offset1:1
	v_cmp_ne_u32_e32 vcc, v19, v16
	v_add_u32_e32 v19, 7, v24
                                        ; implicit-def: $sgpr24_sgpr25
	s_nop 0
	v_cndmask_b32_e64 v18, 0, 1, vcc
	v_cmp_gt_u32_e32 vcc, s3, v19
	scratch_store_byte off, v18, off offset:616
	s_waitcnt lgkmcnt(0)
	scratch_store_dwordx4 off, v[20:23], s87
	s_and_saveexec_b64 s[22:23], vcc
	s_cbranch_execz .LBB2035_798
; %bb.769:
	v_add_u32_e32 v18, 0x70, v25
	ds_read2_b32 v[20:21], v18 offset0:2 offset1:3
	ds_read2_b32 v[18:19], v18 offset1:1
	v_cmp_ne_u32_e32 vcc, v16, v17
	v_add_u32_e32 v22, 8, v24
                                        ; implicit-def: $sgpr26_sgpr27
	s_nop 0
	v_cndmask_b32_e64 v16, 0, 1, vcc
	v_cmp_gt_u32_e32 vcc, s3, v22
	s_waitcnt lgkmcnt(0)
	scratch_store_dwordx4 off, v[18:21], s88
	scratch_store_byte off, v16, off offset:636
	s_and_saveexec_b64 s[24:25], vcc
	s_cbranch_execz .LBB2035_797
; %bb.770:
	v_add_u32_e32 v16, 0x80, v25
	ds_read_b128 v[18:21], v16
	v_cmp_ne_u32_e32 vcc, v17, v14
	v_add_u32_e32 v17, 9, v24
                                        ; implicit-def: $sgpr28_sgpr29
	s_nop 0
	v_cndmask_b32_e64 v16, 0, 1, vcc
	v_cmp_gt_u32_e32 vcc, s3, v17
	scratch_store_byte off, v16, off offset:656
	s_waitcnt lgkmcnt(0)
	scratch_store_dwordx4 off, v[18:21], s89
	s_and_saveexec_b64 s[26:27], vcc
	s_cbranch_execz .LBB2035_796
; %bb.771:
	v_add_u32_e32 v16, 0x90, v25
	ds_read2_b32 v[18:19], v16 offset0:2 offset1:3
	ds_read2_b32 v[16:17], v16 offset1:1
	v_cmp_ne_u32_e32 vcc, v14, v15
	v_add_u32_e32 v20, 10, v24
                                        ; implicit-def: $sgpr30_sgpr31
	s_nop 0
	v_cndmask_b32_e64 v14, 0, 1, vcc
	v_cmp_gt_u32_e32 vcc, s3, v20
	s_waitcnt lgkmcnt(0)
	scratch_store_dwordx4 off, v[16:19], s90
	scratch_store_byte off, v14, off offset:676
	s_and_saveexec_b64 s[28:29], vcc
	s_cbranch_execz .LBB2035_795
; %bb.772:
	v_add_u32_e32 v14, 0xa0, v25
	ds_read2_b64 v[16:19], v14 offset1:1
	v_cmp_ne_u32_e32 vcc, v15, v12
	v_add_u32_e32 v15, 11, v24
                                        ; implicit-def: $sgpr34_sgpr35
	s_nop 0
	v_cndmask_b32_e64 v14, 0, 1, vcc
	v_cmp_gt_u32_e32 vcc, s3, v15
	scratch_store_byte off, v14, off offset:696
	s_waitcnt lgkmcnt(0)
	scratch_store_dwordx4 off, v[16:19], s91
	s_and_saveexec_b64 s[30:31], vcc
	s_cbranch_execz .LBB2035_794
; %bb.773:
	v_add_u32_e32 v14, 0xb0, v25
	ds_read2_b32 v[16:17], v14 offset0:2 offset1:3
	ds_read2_b32 v[14:15], v14 offset1:1
	v_cmp_ne_u32_e32 vcc, v12, v13
	v_add_u32_e32 v18, 12, v24
                                        ; implicit-def: $sgpr36_sgpr37
	s_nop 0
	v_cndmask_b32_e64 v12, 0, 1, vcc
	v_cmp_gt_u32_e32 vcc, s3, v18
	s_waitcnt lgkmcnt(0)
	scratch_store_dwordx4 off, v[14:17], s92
	scratch_store_byte off, v12, off offset:716
	s_and_saveexec_b64 s[34:35], vcc
	s_cbranch_execz .LBB2035_793
; %bb.774:
	v_add_u32_e32 v12, 0xc0, v25
	ds_read_b128 v[14:17], v12
	v_cmp_ne_u32_e32 vcc, v13, v10
	v_add_u32_e32 v13, 13, v24
                                        ; implicit-def: $sgpr38_sgpr39
	s_nop 0
	v_cndmask_b32_e64 v12, 0, 1, vcc
	v_cmp_gt_u32_e32 vcc, s3, v13
	scratch_store_byte off, v12, off offset:736
	s_waitcnt lgkmcnt(0)
	scratch_store_dwordx4 off, v[14:17], s93
	s_and_saveexec_b64 s[36:37], vcc
	s_cbranch_execz .LBB2035_792
; %bb.775:
	v_add_u32_e32 v12, 0xd0, v25
	ds_read2_b32 v[14:15], v12 offset0:2 offset1:3
	ds_read2_b32 v[12:13], v12 offset1:1
	v_cmp_ne_u32_e32 vcc, v10, v11
	v_add_u32_e32 v16, 14, v24
                                        ; implicit-def: $sgpr40_sgpr41
	s_nop 0
	v_cndmask_b32_e64 v10, 0, 1, vcc
	v_cmp_gt_u32_e32 vcc, s3, v16
	s_waitcnt lgkmcnt(0)
	scratch_store_dwordx4 off, v[12:15], s94
	scratch_store_byte off, v10, off offset:756
	s_and_saveexec_b64 s[38:39], vcc
	s_cbranch_execz .LBB2035_791
; %bb.776:
	v_add_u32_e32 v10, 0xe0, v25
	ds_read2_b64 v[12:15], v10 offset1:1
	v_cmp_ne_u32_e32 vcc, v11, v8
	v_add_u32_e32 v11, 15, v24
                                        ; implicit-def: $sgpr42_sgpr43
	s_nop 0
	v_cndmask_b32_e64 v10, 0, 1, vcc
	v_cmp_gt_u32_e32 vcc, s3, v11
	scratch_store_byte off, v10, off offset:776
	s_waitcnt lgkmcnt(0)
	scratch_store_dwordx4 off, v[12:15], s95
	s_and_saveexec_b64 s[40:41], vcc
	s_cbranch_execz .LBB2035_790
; %bb.777:
	v_add_u32_e32 v10, 0xf0, v25
	ds_read2_b32 v[12:13], v10 offset0:2 offset1:3
	ds_read2_b32 v[10:11], v10 offset1:1
	v_cmp_ne_u32_e32 vcc, v8, v9
	v_add_u32_e32 v14, 16, v24
                                        ; implicit-def: $sgpr44_sgpr45
	s_nop 0
	v_cndmask_b32_e64 v8, 0, 1, vcc
	v_cmp_gt_u32_e32 vcc, s3, v14
	s_waitcnt lgkmcnt(0)
	scratch_store_dwordx4 off, v[10:13], s97
	scratch_store_byte off, v8, off offset:796
	s_and_saveexec_b64 s[42:43], vcc
	s_cbranch_execz .LBB2035_789
; %bb.778:
	v_add_u32_e32 v8, 0x100, v25
	ds_read_b128 v[10:13], v8
	v_cmp_ne_u32_e32 vcc, v9, v6
	v_add_u32_e32 v9, 17, v24
                                        ; implicit-def: $sgpr46_sgpr47
	s_nop 0
	v_cndmask_b32_e64 v8, 0, 1, vcc
	v_cmp_gt_u32_e32 vcc, s3, v9
	scratch_store_byte off, v8, off offset:816
	s_waitcnt lgkmcnt(0)
	scratch_store_dwordx4 off, v[10:13], s96
	s_and_saveexec_b64 s[44:45], vcc
	s_cbranch_execz .LBB2035_788
; %bb.779:
	v_add_u32_e32 v8, 0x110, v25
	ds_read2_b32 v[10:11], v8 offset0:2 offset1:3
	ds_read2_b32 v[8:9], v8 offset1:1
	v_cmp_ne_u32_e32 vcc, v6, v7
	v_add_u32_e32 v12, 18, v24
                                        ; implicit-def: $sgpr48_sgpr49
	s_nop 0
	v_cndmask_b32_e64 v6, 0, 1, vcc
	v_cmp_gt_u32_e32 vcc, s3, v12
	s_waitcnt lgkmcnt(0)
	scratch_store_dwordx4 off, v[8:11], s98
	scratch_store_byte off, v6, off offset:836
	s_and_saveexec_b64 s[46:47], vcc
	s_cbranch_execz .LBB2035_787
; %bb.780:
	v_add_u32_e32 v6, 0x120, v25
	ds_read2_b64 v[8:11], v6 offset1:1
	v_cmp_ne_u32_e32 vcc, v7, v4
	v_add_u32_e32 v7, 19, v24
                                        ; implicit-def: $sgpr50_sgpr51
	s_nop 0
	v_cndmask_b32_e64 v6, 0, 1, vcc
	v_cmp_gt_u32_e32 vcc, s3, v7
	scratch_store_byte off, v6, off offset:856
	s_waitcnt lgkmcnt(0)
	scratch_store_dwordx4 off, v[8:11], s99
	s_and_saveexec_b64 s[48:49], vcc
	s_cbranch_execz .LBB2035_786
; %bb.781:
	v_add_u32_e32 v6, 0x130, v25
	ds_read2_b32 v[8:9], v6 offset0:2 offset1:3
	ds_read2_b32 v[6:7], v6 offset1:1
	v_cmp_ne_u32_e32 vcc, v4, v5
	v_add_u32_e32 v10, 20, v24
                                        ; implicit-def: $sgpr68_sgpr69
	s_nop 0
	v_cndmask_b32_e64 v4, 0, 1, vcc
	v_cmp_gt_u32_e32 vcc, s3, v10
	s_waitcnt lgkmcnt(0)
	scratch_store_dwordx4 off, v[6:9], s76
	scratch_store_byte off, v4, off offset:876
	s_and_saveexec_b64 s[50:51], vcc
	s_cbranch_execz .LBB2035_785
; %bb.782:
	v_add_u32_e32 v4, 0x140, v25
	v_cmp_ne_u32_e32 vcc, v5, v2
	ds_read_b128 v[4:7], v4
	v_add_u32_e32 v9, 21, v24
	v_cndmask_b32_e64 v8, 0, 1, vcc
	v_cmp_gt_u32_e32 vcc, s3, v9
	s_waitcnt lgkmcnt(0)
	scratch_store_dwordx4 off, v[4:7], s77
	scratch_store_byte off, v8, off offset:896
                                        ; implicit-def: $sgpr82_sgpr83
	s_and_saveexec_b64 s[68:69], vcc
	s_xor_b64 s[68:69], exec, s[68:69]
	s_cbranch_execz .LBB2035_784
; %bb.783:
	v_add_u32_e32 v6, 0x150, v25
	v_cmp_ne_u32_e32 vcc, v3, v47
	v_cmp_ne_u32_e64 s[4:5], v2, v3
	ds_read2_b32 v[4:5], v6 offset0:2 offset1:3
	ds_read2_b32 v[2:3], v6 offset1:1
	v_add_u32_e32 v8, 22, v24
	v_cndmask_b32_e64 v7, 0, 1, s[4:5]
	v_cmp_gt_u32_e64 s[4:5], s3, v8
	s_and_b64 s[82:83], vcc, exec
	s_and_b64 s[4:5], s[4:5], exec
	s_waitcnt lgkmcnt(0)
	scratch_store_dwordx4 off, v[2:5], s66
	scratch_store_byte off, v7, off offset:916
.LBB2035_784:
	s_or_b64 exec, exec, s[68:69]
	s_and_b64 s[68:69], s[82:83], exec
	s_and_b64 s[4:5], s[4:5], exec
.LBB2035_785:
	s_or_b64 exec, exec, s[50:51]
	s_and_b64 s[50:51], s[68:69], exec
	s_and_b64 s[4:5], s[4:5], exec
.LBB2035_786:
	s_or_b64 exec, exec, s[48:49]
	s_and_b64 s[48:49], s[50:51], exec
	s_and_b64 s[4:5], s[4:5], exec
.LBB2035_787:
	s_or_b64 exec, exec, s[46:47]
	s_and_b64 s[46:47], s[48:49], exec
	s_and_b64 s[4:5], s[4:5], exec
.LBB2035_788:
	s_or_b64 exec, exec, s[44:45]
	s_and_b64 s[44:45], s[46:47], exec
	s_and_b64 s[4:5], s[4:5], exec
.LBB2035_789:
	s_or_b64 exec, exec, s[42:43]
	s_and_b64 s[42:43], s[44:45], exec
	s_and_b64 s[4:5], s[4:5], exec
.LBB2035_790:
	s_or_b64 exec, exec, s[40:41]
	s_and_b64 s[40:41], s[42:43], exec
	s_and_b64 s[4:5], s[4:5], exec
.LBB2035_791:
	s_or_b64 exec, exec, s[38:39]
	s_and_b64 s[38:39], s[40:41], exec
	s_and_b64 s[4:5], s[4:5], exec
.LBB2035_792:
	s_or_b64 exec, exec, s[36:37]
	s_and_b64 s[36:37], s[38:39], exec
	s_and_b64 s[4:5], s[4:5], exec
.LBB2035_793:
	s_or_b64 exec, exec, s[34:35]
	s_and_b64 s[34:35], s[36:37], exec
	s_and_b64 s[4:5], s[4:5], exec
.LBB2035_794:
	s_or_b64 exec, exec, s[30:31]
	s_and_b64 s[30:31], s[34:35], exec
	s_and_b64 s[4:5], s[4:5], exec
.LBB2035_795:
	s_or_b64 exec, exec, s[28:29]
	s_and_b64 s[28:29], s[30:31], exec
	s_and_b64 s[4:5], s[4:5], exec
.LBB2035_796:
	s_or_b64 exec, exec, s[26:27]
	s_and_b64 s[26:27], s[28:29], exec
	s_and_b64 s[4:5], s[4:5], exec
.LBB2035_797:
	s_or_b64 exec, exec, s[24:25]
	s_and_b64 s[24:25], s[26:27], exec
	s_and_b64 s[4:5], s[4:5], exec
.LBB2035_798:
	s_or_b64 exec, exec, s[22:23]
	s_and_b64 s[22:23], s[24:25], exec
	s_and_b64 s[4:5], s[4:5], exec
.LBB2035_799:
	s_or_b64 exec, exec, s[20:21]
	s_and_b64 s[20:21], s[22:23], exec
	s_and_b64 s[4:5], s[4:5], exec
.LBB2035_800:
	s_or_b64 exec, exec, s[18:19]
	s_and_b64 s[18:19], s[20:21], exec
	s_and_b64 s[4:5], s[4:5], exec
.LBB2035_801:
	s_or_b64 exec, exec, s[16:17]
	s_and_b64 s[16:17], s[18:19], exec
	s_and_b64 s[4:5], s[4:5], exec
.LBB2035_802:
	s_or_b64 exec, exec, s[14:15]
	s_and_b64 s[14:15], s[16:17], exec
	s_and_b64 s[4:5], s[4:5], exec
.LBB2035_803:
	s_or_b64 exec, exec, s[12:13]
	s_and_b64 s[14:15], s[14:15], exec
	s_and_b64 s[12:13], s[4:5], exec
.LBB2035_804:
	s_or_b64 exec, exec, s[10:11]
	s_and_b64 s[4:5], s[14:15], exec
	s_and_b64 s[10:11], s[12:13], exec
.LBB2035_805:
	s_or_b64 exec, exec, s[8:9]
	s_and_b64 vcc, exec, s[6:7]
	s_cbranch_vccz .LBB2035_94
.LBB2035_806:
	v_mov_b32_e32 v3, 0
	v_lshlrev_b32_e32 v2, 2, v0
	v_lshl_add_u64 v[4:5], s[64:65], 0, v[2:3]
	v_add_co_u32_e32 v6, vcc, 0x1000, v4
	flat_load_dword v3, v[4:5]
	flat_load_dword v8, v[4:5] offset:512
	flat_load_dword v9, v[4:5] offset:1024
	;; [unrolled: 1-line block ×7, first 2 shown]
	v_addc_co_u32_e32 v7, vcc, 0, v5, vcc
	v_add_co_u32_e32 v4, vcc, 0x2000, v4
	flat_load_dword v15, v[6:7]
	flat_load_dword v16, v[6:7] offset:512
	flat_load_dword v17, v[6:7] offset:1024
	;; [unrolled: 1-line block ×6, first 2 shown]
	s_nop 0
	flat_load_dword v6, v[6:7] offset:3584
	v_addc_co_u32_e32 v5, vcc, 0, v5, vcc
	flat_load_dword v7, v[4:5]
	flat_load_dword v22, v[4:5] offset:512
	flat_load_dword v23, v[4:5] offset:1024
	;; [unrolled: 1-line block ×5, first 2 shown]
	s_nop 0
	flat_load_dword v4, v[4:5] offset:3072
	s_movk_i32 s3, 0x58
	v_mad_u32_u24 v47, v0, s3, v2
	s_cmp_eq_u64 s[80:81], 0
	s_waitcnt vmcnt(0) lgkmcnt(0)
	ds_write2st64_b32 v2, v3, v8 offset1:2
	ds_write2st64_b32 v2, v9, v10 offset0:4 offset1:6
	ds_write2st64_b32 v2, v11, v12 offset0:8 offset1:10
	;; [unrolled: 1-line block ×10, first 2 shown]
	ds_write_b32 v2, v4 offset:11264
	s_waitcnt lgkmcnt(0)
	s_barrier
	ds_read2_b32 v[2:3], v47 offset1:1
	ds_read2_b32 v[4:5], v47 offset0:2 offset1:3
	ds_read2_b32 v[6:7], v47 offset0:4 offset1:5
	ds_read2_b32 v[8:9], v47 offset0:6 offset1:7
	ds_read2_b32 v[10:11], v47 offset0:8 offset1:9
	ds_read2_b32 v[12:13], v47 offset0:10 offset1:11
	ds_read2_b32 v[14:15], v47 offset0:12 offset1:13
	ds_read2_b32 v[16:17], v47 offset0:14 offset1:15
	ds_read2_b32 v[18:19], v47 offset0:16 offset1:17
	ds_read2_b32 v[20:21], v47 offset0:18 offset1:19
	ds_read2_b32 v[22:23], v47 offset0:20 offset1:21
	ds_read_b32 v24, v47 offset:88
	s_cbranch_scc1 .LBB2035_811
; %bb.807:
	s_andn2_b64 vcc, exec, s[78:79]
	s_cbranch_vccnz .LBB2035_1418
; %bb.808:
	s_lshl_b64 s[4:5], s[80:81], 2
	s_add_u32 s3, s74, s4
	s_addc_u32 s5, s75, s5
	s_add_u32 s4, s3, -4
	s_addc_u32 s5, s5, -1
	s_cbranch_execnz .LBB2035_810
.LBB2035_809:
	s_add_u32 s4, s64, -4
	s_addc_u32 s5, s65, -1
.LBB2035_810:
	s_mov_b64 s[64:65], s[4:5]
.LBB2035_811:
	v_mov_b64_e32 v[48:49], s[64:65]
	flat_load_dword v25, v[48:49]
	s_movk_i32 s3, 0xffa8
	v_mad_i32_i24 v48, v0, s3, v47
	v_cmp_ne_u32_e32 vcc, 0, v0
	s_waitcnt lgkmcnt(0)
	ds_write_b32 v48, v24 offset:11776
	s_waitcnt lgkmcnt(0)
	s_barrier
	s_and_saveexec_b64 s[4:5], vcc
	s_cbranch_execz .LBB2035_813
; %bb.812:
	s_waitcnt vmcnt(0)
	v_mul_i32_i24_e32 v25, 0xffffffa8, v0
	v_add_u32_e32 v25, v47, v25
	ds_read_b32 v25, v25 offset:11772
.LBB2035_813:
	s_or_b64 exec, exec, s[4:5]
	v_lshlrev_b32_e32 v140, 4, v0
	v_mov_b32_e32 v141, 0
	v_lshl_add_u64 v[52:53], s[62:63], 0, v[140:141]
	s_waitcnt lgkmcnt(0)
	s_barrier
	flat_load_dwordx4 v[48:51], v[52:53]
	s_movk_i32 s3, 0x1000
	v_add_co_u32_e32 v54, vcc, s3, v52
	s_movk_i32 s3, 0x2000
	s_nop 0
	v_addc_co_u32_e32 v55, vcc, 0, v53, vcc
	v_cmp_ne_u32_e64 s[4:5], v23, v24
	s_mov_b64 s[10:11], -1
	s_waitcnt vmcnt(0) lgkmcnt(0)
	scratch_store_dwordx4 off, v[48:51], off offset:80
	flat_load_dwordx4 v[48:51], v[52:53] offset:2048
	s_waitcnt vmcnt(0) lgkmcnt(0)
	scratch_store_dwordx4 off, v[48:51], off offset:96
	flat_load_dwordx4 v[48:51], v[54:55]
	s_waitcnt vmcnt(0) lgkmcnt(0)
	scratch_store_dwordx4 off, v[48:51], off offset:112
	flat_load_dwordx4 v[48:51], v[54:55] offset:2048
	v_add_co_u32_e32 v54, vcc, s3, v52
	s_movk_i32 s3, 0x3000
	s_nop 0
	v_addc_co_u32_e32 v55, vcc, 0, v53, vcc
	s_waitcnt vmcnt(0) lgkmcnt(0)
	scratch_store_dwordx4 off, v[48:51], off offset:128
	flat_load_dwordx4 v[48:51], v[54:55]
	s_waitcnt vmcnt(0) lgkmcnt(0)
	scratch_store_dwordx4 off, v[48:51], off offset:144
	flat_load_dwordx4 v[48:51], v[54:55] offset:2048
	v_add_co_u32_e32 v54, vcc, s3, v52
	s_movk_i32 s3, 0x4000
	s_nop 0
	v_addc_co_u32_e32 v55, vcc, 0, v53, vcc
	;; [unrolled: 10-line block ×5, first 2 shown]
	s_waitcnt vmcnt(0) lgkmcnt(0)
	scratch_store_dwordx4 off, v[48:51], off offset:256
	flat_load_dwordx4 v[48:51], v[54:55]
	s_waitcnt vmcnt(0) lgkmcnt(0)
	scratch_store_dwordx4 off, v[48:51], off offset:272
	flat_load_dwordx4 v[48:51], v[54:55] offset:2048
	v_add_co_u32_e32 v54, vcc, s3, v52
	s_mov_b32 s3, 0x8000
	s_nop 0
	v_addc_co_u32_e32 v55, vcc, 0, v53, vcc
	s_waitcnt vmcnt(0) lgkmcnt(0)
	scratch_store_dwordx4 off, v[48:51], off offset:288
	flat_load_dwordx4 v[48:51], v[54:55]
	s_waitcnt vmcnt(0) lgkmcnt(0)
	scratch_store_dwordx4 off, v[48:51], off offset:304
	flat_load_dwordx4 v[48:51], v[54:55] offset:2048
	v_add_co_u32_e32 v54, vcc, s3, v52
	s_mov_b32 s3, 0x9000
	s_nop 0
	v_addc_co_u32_e32 v55, vcc, 0, v53, vcc
	;; [unrolled: 10-line block ×4, first 2 shown]
	v_add_co_u32_e32 v52, vcc, s3, v52
	s_movk_i32 s3, 0x160
	s_nop 0
	v_addc_co_u32_e32 v53, vcc, 0, v53, vcc
	v_cmp_ne_u32_e32 vcc, v22, v23
	v_mad_u32_u24 v197, v0, s3, v140
	s_waitcnt vmcnt(0) lgkmcnt(0)
	scratch_store_dwordx4 off, v[48:51], off offset:384
	flat_load_dwordx4 v[48:51], v[54:55]
	v_cndmask_b32_e64 v47, 0, 1, vcc
	v_cmp_ne_u32_e32 vcc, v21, v22
	s_waitcnt vmcnt(0) lgkmcnt(0)
	scratch_store_dwordx4 off, v[48:51], off offset:400
	flat_load_dwordx4 v[48:51], v[54:55] offset:2048
	v_cndmask_b32_e64 v196, 0, 1, vcc
	v_cmp_ne_u32_e32 vcc, v20, v21
	s_waitcnt vmcnt(0) lgkmcnt(0)
	scratch_store_dwordx4 off, v[48:51], off offset:416
	flat_load_dwordx4 v[48:51], v[52:53]
	s_nop 0
	scratch_load_dwordx4 v[52:55], off, off offset:80
	scratch_load_dwordx4 v[56:59], v46, off
	scratch_load_dwordx4 v[60:63], v45, off
	;; [unrolled: 1-line block ×20, first 2 shown]
	v_cndmask_b32_e64 v188, 0, 1, vcc
	v_cmp_ne_u32_e32 vcc, v19, v20
	s_waitcnt vmcnt(0) lgkmcnt(0)
	scratch_store_dwordx4 off, v[48:51], off offset:432
	scratch_load_dwordx4 v[48:51], v26, off
	s_nop 0
	scratch_load_dwordx4 v[136:139], v1, off
	v_cndmask_b32_e64 v176, 0, 1, vcc
	v_cmp_ne_u32_e32 vcc, v18, v19
	ds_write_b128 v140, v[52:55]
	ds_write_b128 v140, v[56:59] offset:2048
	ds_write_b128 v140, v[60:63] offset:4096
	;; [unrolled: 1-line block ×20, first 2 shown]
	s_waitcnt vmcnt(1)
	ds_write_b128 v140, v[48:51] offset:43008
	s_waitcnt vmcnt(0)
	ds_write_b128 v140, v[136:139] offset:45056
	v_cndmask_b32_e64 v168, 0, 1, vcc
	v_cmp_ne_u32_e32 vcc, v17, v18
	s_waitcnt lgkmcnt(0)
	s_barrier
	v_cndmask_b32_e64 v164, 0, 1, vcc
	v_cmp_ne_u32_e32 vcc, v16, v17
	s_nop 1
	v_cndmask_b32_e64 v156, 0, 1, vcc
	v_cmp_ne_u32_e32 vcc, v15, v16
	s_nop 1
	;; [unrolled: 3-line block ×15, first 2 shown]
	v_cndmask_b32_e64 v18, 0, 1, vcc
	v_cmp_ne_u32_e32 vcc, v25, v2
	ds_read_b128 v[2:5], v197 offset:352
	ds_read_b128 v[6:9], v197 offset:16
	ds_read_b128 v[10:13], v197
	v_cndmask_b32_e64 v14, 0, 1, vcc
	scratch_store_byte off, v14, off offset:496
	ds_read2_b32 v[16:17], v197 offset0:6 offset1:7
	ds_read2_b32 v[14:15], v197 offset0:4 offset1:5
	scratch_store_byte off, v18, off offset:516
	ds_read_b128 v[18:21], v197 offset:32
	ds_read2_b64 v[22:25], v197 offset0:4 offset1:5
	scratch_store_byte off, v153, off offset:536
	ds_read_b128 v[48:51], v197 offset:64
	ds_read2_b32 v[54:55], v197 offset0:14 offset1:15
	ds_read_b128 v[56:59], v197 offset:48
	ds_read2_b32 v[52:53], v197 offset0:12 offset1:13
	scratch_store_byte off, v152, off offset:556
	ds_read_b128 v[60:63], v197 offset:80
	ds_read_b128 v[64:67], v197 offset:64
	scratch_store_byte off, v151, off offset:576
	ds_read2_b32 v[70:71], v197 offset0:22 offset1:23
	ds_read2_b32 v[68:69], v197 offset0:20 offset1:21
	scratch_store_byte off, v150, off offset:596
	ds_read_b128 v[72:75], v197 offset:96
	ds_read2_b64 v[76:79], v197 offset0:12 offset1:13
	scratch_store_byte off, v149, off offset:616
	ds_read_b128 v[80:83], v197 offset:128
	ds_read2_b32 v[86:87], v197 offset0:30 offset1:31
	ds_read_b128 v[88:91], v197 offset:112
	ds_read2_b32 v[84:85], v197 offset0:28 offset1:29
	scratch_store_byte off, v148, off offset:636
	ds_read_b128 v[92:95], v197 offset:144
	ds_read_b128 v[96:99], v197 offset:128
	;; [unrolled: 14-line block ×5, first 2 shown]
	scratch_store_byte off, v196, off offset:896
	ds_read2_b32 v[198:199], v197 offset0:86 offset1:87
	ds_read2_b32 v[196:197], v197 offset0:84 offset1:85
	scratch_store_byte off, v47, off offset:916
	s_waitcnt lgkmcnt(14)
	scratch_store_dwordx4 v46, v[6:9], off
	scratch_store_dwordx4 v45, v[18:21], off
	;; [unrolled: 1-line block ×16, first 2 shown]
	s_waitcnt lgkmcnt(13)
	scratch_store_dwordx4 v30, v[156:159], off
	s_waitcnt lgkmcnt(9)
	scratch_store_dwordx4 v29, v[168:171], off
	;; [unrolled: 2-line block ×3, first 2 shown]
	scratch_store_dwordx4 v27, v[176:179], off
	s_waitcnt lgkmcnt(3)
	scratch_store_dwordx4 v26, v[188:191], off
	scratch_store_dwordx4 v1, v[2:5], off
	scratch_store_dwordx4 off, v[10:13], off offset:480
	scratch_store_dwordx4 off, v[14:17], s33
	scratch_store_dwordx4 off, v[22:25], s59
	;; [unrolled: 1-line block ×19, first 2 shown]
	s_waitcnt lgkmcnt(2)
	scratch_store_dwordx4 off, v[192:195], s77
	s_waitcnt lgkmcnt(0)
	scratch_store_dwordx4 off, v[196:199], s66
	s_and_saveexec_b64 s[6:7], s[10:11]
	s_cbranch_execnz .LBB2035_95
	s_branch .LBB2035_96
.LBB2035_814:
	s_cbranch_execz .LBB2035_1274
; %bb.815:
	v_readlane_b32 s2, v200, 8
	v_readlane_b32 s3, v200, 9
	s_cmp_lg_u64 s[2:3], 0
	s_cselect_b32 s9, s71, 0
	s_cselect_b32 s8, s70, 0
	s_cmp_lg_u64 s[8:9], 0
	s_cselect_b64 s[4:5], -1, 0
	v_cmp_eq_u32_e32 vcc, 0, v0
	v_cmp_ne_u32_e64 s[2:3], 0, v0
	s_and_b64 s[4:5], vcc, s[4:5]
	s_and_saveexec_b64 s[6:7], s[4:5]
	s_cbranch_execz .LBB2035_825
; %bb.816:
	scratch_load_ubyte v1, off, off offset:496
                                        ; implicit-def: $vgpr4_vgpr5
	s_waitcnt vmcnt(0)
	v_cmp_ne_u16_e64 s[4:5], 0, v1
	s_and_saveexec_b64 s[10:11], s[4:5]
	s_xor_b64 s[4:5], exec, s[10:11]
	s_cbranch_execz .LBB2035_818
; %bb.817:
	scratch_load_dwordx4 v[2:5], off, off offset:480
.LBB2035_818:
	s_andn2_saveexec_b64 s[4:5], s[4:5]
	s_cbranch_execz .LBB2035_824
; %bb.819:
	s_waitcnt vmcnt(0)
	v_mov_b32_e32 v2, 0
	s_mov_b32 s10, 0
	v_mov_b32_e32 v3, v2
.LBB2035_820:                           ; =>This Inner Loop Header: Depth=1
	s_add_i32 s11, s10, 0x50
	s_add_i32 s10, s10, 8
	s_cmp_lg_u32 s10, 16
	scratch_store_dwordx2 off, v[2:3], s11
	s_cbranch_scc1 .LBB2035_820
; %bb.821:
	s_mov_b32 s12, 0
	v_mov_b32_e32 v2, 0
	s_mov_b64 s[10:11], s[8:9]
.LBB2035_822:                           ; =>This Inner Loop Header: Depth=1
	s_add_i32 s13, s12, 0x1e0
	global_load_dwordx2 v[4:5], v2, s[10:11]
	scratch_load_dwordx2 v[6:7], off, s13
	s_add_i32 s13, s12, 0x50
	s_add_u32 s10, s10, 8
	s_addc_u32 s11, s11, 0
	s_add_i32 s12, s12, 8
	s_cmp_lg_u32 s12, 16
	s_waitcnt vmcnt(0)
	v_add_u32_e32 v5, v7, v5
	v_add_u32_e32 v4, v6, v4
	scratch_store_dwordx2 off, v[4:5], s13
	s_cbranch_scc1 .LBB2035_822
; %bb.823:
	scratch_load_dwordx4 v[2:5], off, off offset:80
.LBB2035_824:
	s_or_b64 exec, exec, s[4:5]
	v_mov_b32_e32 v6, 0
	global_load_ubyte v6, v6, s[8:9] offset:16
	s_waitcnt vmcnt(0)
	v_or_b32_e32 v1, v1, v6
	v_and_b32_e32 v1, 1, v1
	scratch_store_dwordx4 off, v[2:5], off offset:480
	scratch_store_byte off, v1, off offset:496
.LBB2035_825:
	s_or_b64 exec, exec, s[6:7]
	v_mov_b32_e32 v2, 0
	s_mov_b32 s4, 0
	v_mov_b32_e32 v3, v2
	v_mov_b32_e32 v4, v2
	v_mov_b32_e32 v5, v2
	scratch_store_dword off, v2, off offset:72
	scratch_store_dwordx4 off, v[2:5], off offset:56
.LBB2035_826:                           ; =>This Inner Loop Header: Depth=1
	s_add_i32 s5, s4, 56
	s_add_i32 s4, s4, 8
	s_cmp_lg_u32 s4, 16
	scratch_store_dwordx2 off, v[2:3], s5
	s_cbranch_scc1 .LBB2035_826
; %bb.827:
	v_mov_b32_e32 v2, 0
	s_mov_b32 s4, 0
	v_mov_b32_e32 v3, v2
	scratch_store_byte off, v2, off offset:72
	scratch_store_dword off, v2, off offset:96
.LBB2035_828:                           ; =>This Inner Loop Header: Depth=1
	s_add_i32 s5, s4, 0x50
	s_add_i32 s4, s4, 8
	s_cmp_lg_u32 s4, 16
	scratch_store_dwordx2 off, v[2:3], s5
	s_cbranch_scc1 .LBB2035_828
; %bb.829:
	scratch_load_dwordx4 v[2:5], off, off offset:480
	scratch_load_ubyte v1, off, off offset:496
	scratch_load_ubyte v6, off, off offset:516
	s_waitcnt vmcnt(2)
	scratch_store_dwordx4 off, v[2:5], off offset:80
	s_waitcnt vmcnt(2)
	scratch_store_byte off, v1, off offset:96
	s_waitcnt vmcnt(2)
	v_cmp_ne_u16_e64 s[4:5], 0, v6
                                        ; implicit-def: $vgpr4_vgpr5
	s_and_saveexec_b64 s[6:7], s[4:5]
	s_xor_b64 s[4:5], exec, s[6:7]
	s_cbranch_execz .LBB2035_831
; %bb.830:
	scratch_load_dwordx4 v[2:5], off, off offset:500
.LBB2035_831:
	s_andn2_saveexec_b64 s[4:5], s[4:5]
	s_cbranch_execz .LBB2035_837
; %bb.832:
	s_waitcnt vmcnt(0)
	v_mov_b32_e32 v2, 0
	s_mov_b32 s6, 0
	v_mov_b32_e32 v3, v2
.LBB2035_833:                           ; =>This Inner Loop Header: Depth=1
	s_add_i32 s7, s6, 16
	s_add_i32 s6, s6, 8
	s_cmp_lg_u32 s6, 16
	scratch_store_dwordx2 off, v[2:3], s7
	s_cbranch_scc1 .LBB2035_833
; %bb.834:
	s_mov_b32 s6, 0
.LBB2035_835:                           ; =>This Inner Loop Header: Depth=1
	s_add_i32 s7, s6, 0x50
	s_add_i32 s8, s33, s6
	scratch_load_dwordx2 v[2:3], off, s7
	scratch_load_dwordx2 v[4:5], off, s8
	s_add_i32 s7, s6, 16
	s_add_i32 s6, s6, 8
	s_cmp_lg_u32 s6, 16
	s_waitcnt vmcnt(0)
	v_add_u32_e32 v3, v5, v3
	v_add_u32_e32 v2, v4, v2
	scratch_store_dwordx2 off, v[2:3], s7
	s_cbranch_scc1 .LBB2035_835
; %bb.836:
	scratch_load_dwordx4 v[2:5], off, off offset:16
.LBB2035_837:
	s_or_b64 exec, exec, s[4:5]
	scratch_load_ubyte v7, off, off offset:536
	s_waitcnt vmcnt(0)
	v_cmp_ne_u16_e64 s[4:5], 0, v7
	scratch_store_dwordx4 off, v[2:5], off offset:80
                                        ; implicit-def: $vgpr4_vgpr5
	s_and_saveexec_b64 s[6:7], s[4:5]
	s_xor_b64 s[4:5], exec, s[6:7]
	s_cbranch_execz .LBB2035_839
; %bb.838:
	scratch_load_dwordx4 v[2:5], off, off offset:520
.LBB2035_839:
	s_andn2_saveexec_b64 s[4:5], s[4:5]
	s_cbranch_execz .LBB2035_845
; %bb.840:
	s_waitcnt vmcnt(0)
	v_mov_b32_e32 v2, 0
	s_mov_b32 s6, 0
	v_mov_b32_e32 v3, v2
.LBB2035_841:                           ; =>This Inner Loop Header: Depth=1
	s_add_i32 s7, s6, 16
	s_add_i32 s6, s6, 8
	s_cmp_lg_u32 s6, 16
	scratch_store_dwordx2 off, v[2:3], s7
	s_cbranch_scc1 .LBB2035_841
; %bb.842:
	s_mov_b32 s6, 0
.LBB2035_843:                           ; =>This Inner Loop Header: Depth=1
	s_add_i32 s7, s6, 0x50
	s_add_i32 s8, s59, s6
	scratch_load_dwordx2 v[2:3], off, s7
	scratch_load_dwordx2 v[4:5], off, s8
	s_add_i32 s7, s6, 16
	s_add_i32 s6, s6, 8
	s_cmp_lg_u32 s6, 16
	s_waitcnt vmcnt(0)
	v_add_u32_e32 v3, v5, v3
	v_add_u32_e32 v2, v4, v2
	scratch_store_dwordx2 off, v[2:3], s7
	s_cbranch_scc1 .LBB2035_843
; %bb.844:
	scratch_load_dwordx4 v[2:5], off, off offset:16
.LBB2035_845:
	s_or_b64 exec, exec, s[4:5]
	scratch_load_ubyte v8, off, off offset:556
	s_waitcnt vmcnt(0)
	v_cmp_ne_u16_e64 s[4:5], 0, v8
	scratch_store_dwordx4 off, v[2:5], off offset:80
	;; [unrolled: 43-line block ×21, first 2 shown]
                                        ; implicit-def: $vgpr4_vgpr5
	s_and_saveexec_b64 s[6:7], s[4:5]
	s_xor_b64 s[4:5], exec, s[6:7]
	s_cbranch_execz .LBB2035_999
; %bb.998:
	scratch_load_dwordx4 v[2:5], off, off offset:920
.LBB2035_999:
	s_andn2_saveexec_b64 s[4:5], s[4:5]
	s_cbranch_execz .LBB2035_1005
; %bb.1000:
	s_waitcnt vmcnt(0)
	v_mov_b32_e32 v2, 0
	s_mov_b32 s6, 0
	v_mov_b32_e32 v3, v2
.LBB2035_1001:                          ; =>This Inner Loop Header: Depth=1
	s_add_i32 s7, s6, 16
	s_add_i32 s6, s6, 8
	s_cmp_lg_u32 s6, 16
	scratch_store_dwordx2 off, v[2:3], s7
	s_cbranch_scc1 .LBB2035_1001
; %bb.1002:
	s_mov_b32 s6, 0
.LBB2035_1003:                          ; =>This Inner Loop Header: Depth=1
	s_add_i32 s7, s6, 0x50
	s_add_i32 s8, s67, s6
	scratch_load_dwordx2 v[2:3], off, s7
	scratch_load_dwordx2 v[4:5], off, s8
	s_add_i32 s7, s6, 16
	s_add_i32 s6, s6, 8
	s_cmp_lg_u32 s6, 16
	s_waitcnt vmcnt(0)
	v_add_u32_e32 v3, v5, v3
	v_add_u32_e32 v2, v4, v2
	scratch_store_dwordx2 off, v[2:3], s7
	s_cbranch_scc1 .LBB2035_1003
; %bb.1004:
	scratch_load_dwordx4 v[2:5], off, off offset:16
.LBB2035_1005:
	s_or_b64 exec, exec, s[4:5]
	scratch_load_ushort v29, off, off offset:97
	scratch_load_ubyte v17, off, off offset:99
	v_or_b32_e32 v27, v28, v27
	v_or_b32_e32 v26, v27, v26
	;; [unrolled: 1-line block ×20, first 2 shown]
	v_mov_b32_e32 v28, 8
	v_or_b32_e32 v6, v7, v6
	v_lshrrev_b32_e32 v30, 5, v0
	v_or_b32_e32 v1, v6, v1
	v_add_u32_e32 v27, v30, v0
	v_mul_u32_u24_e32 v26, 20, v27
	v_and_b32_e32 v1, 1, v1
	v_cmp_gt_u32_e64 s[4:5], 64, v0
	s_waitcnt vmcnt(2)
	ds_write2_b32 v26, v2, v3 offset1:1
	ds_write2_b32 v26, v4, v5 offset0:2 offset1:3
	ds_write_b8 v26, v1 offset:16
	s_waitcnt lgkmcnt(0)
	s_barrier
	s_waitcnt vmcnt(1)
	v_lshrrev_b32_sdwa v6, v28, v29 dst_sel:BYTE_1 dst_unused:UNUSED_PAD src0_sel:DWORD src1_sel:DWORD
	s_nop 0
	v_or_b32_sdwa v6, v29, v6 dst_sel:DWORD dst_unused:UNUSED_PAD src0_sel:BYTE_0 src1_sel:DWORD
	v_and_b32_e32 v12, 0xffff, v6
	s_and_saveexec_b64 s[8:9], s[4:5]
	s_cbranch_execz .LBB2035_1081
; %bb.1006:
	v_lshrrev_b32_e32 v6, 4, v0
	v_lshl_add_u32 v11, v0, 1, v6
	v_mul_u32_u24_e32 v14, 20, v11
	ds_read_u8 v10, v14 offset:36
	ds_read_b32 v13, v14 offset:16
	ds_read2_b32 v[8:9], v14 offset0:2 offset1:3
	ds_read2_b32 v[6:7], v14 offset1:1
	s_waitcnt lgkmcnt(2)
	scratch_store_dword off, v13, off offset:32
	s_waitcnt lgkmcnt(0)
	scratch_store_dwordx4 off, v[6:9], off offset:16
	v_mad_u32_u24 v13, v11, 20, 20
	v_cmp_ne_u16_e64 s[4:5], 0, v10
                                        ; implicit-def: $vgpr6_vgpr7
	s_and_saveexec_b64 s[6:7], s[4:5]
	s_xor_b64 s[4:5], exec, s[6:7]
	s_cbranch_execz .LBB2035_1008
; %bb.1007:
	ds_read2_b32 v[6:7], v13 offset1:1
	ds_read2_b32 v[8:9], v13 offset0:2 offset1:3
.LBB2035_1008:
	s_andn2_saveexec_b64 s[4:5], s[4:5]
	s_cbranch_execz .LBB2035_1014
; %bb.1009:
	s_waitcnt lgkmcnt(1)
	v_mov_b32_e32 v6, 0
	s_mov_b32 s6, 0
	v_mov_b32_e32 v7, v6
.LBB2035_1010:                          ; =>This Inner Loop Header: Depth=1
	s_add_i32 s7, s6, 0x50
	s_add_i32 s6, s6, 8
	s_cmp_lg_u32 s6, 16
	scratch_store_dwordx2 off, v[6:7], s7
	s_cbranch_scc1 .LBB2035_1010
; %bb.1011:
	s_mov_b32 s6, 0
.LBB2035_1012:                          ; =>This Inner Loop Header: Depth=1
	s_add_i32 s7, s6, 16
	scratch_load_dwordx2 v[6:7], off, s7
	s_waitcnt lgkmcnt(0)
	v_add_u32_e32 v8, s6, v13
	ds_read2_b32 v[8:9], v8 offset1:1
	s_add_i32 s7, s6, 0x50
	s_add_i32 s6, s6, 8
	s_cmp_lg_u32 s6, 16
	s_waitcnt vmcnt(0) lgkmcnt(0)
	v_add_u32_e32 v7, v9, v7
	v_add_u32_e32 v6, v8, v6
	scratch_store_dwordx2 off, v[6:7], s7
	s_cbranch_scc1 .LBB2035_1012
; %bb.1013:
	scratch_load_dwordx4 v[6:9], off, off offset:80
.LBB2035_1014:
	s_or_b64 exec, exec, s[4:5]
	scratch_load_ubyte v11, off, off offset:32
	s_waitcnt vmcnt(1) lgkmcnt(1)
	v_mov_b32_dpp v18, v6 row_shr:1 row_mask:0xf bank_mask:0xf
	v_mov_b32_dpp v19, v7 row_shr:1 row_mask:0xf bank_mask:0xf
	s_waitcnt lgkmcnt(0)
	v_mov_b32_dpp v20, v8 row_shr:1 row_mask:0xf bank_mask:0xf
	v_mov_b32_dpp v21, v9 row_shr:1 row_mask:0xf bank_mask:0xf
	scratch_store_dwordx4 off, v[18:21], off offset:80
	scratch_store_dwordx4 off, v[6:9], off offset:16
	s_waitcnt vmcnt(2)
	v_or_b32_e32 v10, v10, v11
	v_and_b32_e32 v10, 1, v10
	scratch_store_byte off, v10, off offset:32
	scratch_load_dword v16, off, off offset:32
	v_mbcnt_lo_u32_b32 v10, -1, 0
	v_mbcnt_hi_u32_b32 v15, -1, v10
	v_and_b32_e32 v18, 15, v15
	v_cmp_ne_u32_e64 s[4:5], 0, v18
	s_waitcnt vmcnt(0)
	v_mov_b32_dpp v19, v16 row_shr:1 row_mask:0xf bank_mask:0xf
	scratch_store_dword off, v19, off offset:96
	s_and_saveexec_b64 s[6:7], s[4:5]
	s_cbranch_execz .LBB2035_1022
; %bb.1015:
	v_mov_b32_e32 v10, 0
	v_cmp_eq_u16_sdwa s[10:11], v16, v10 src0_sel:BYTE_0 src1_sel:DWORD
	s_and_saveexec_b64 s[4:5], s[10:11]
	s_cbranch_execz .LBB2035_1021
; %bb.1016:
	s_mov_b32 s10, 0
	v_mov_b32_e32 v11, v10
.LBB2035_1017:                          ; =>This Inner Loop Header: Depth=1
	s_add_i32 s11, s10, 36
	s_add_i32 s10, s10, 8
	s_cmp_lg_u32 s10, 16
	scratch_store_dwordx2 off, v[10:11], s11
	s_cbranch_scc1 .LBB2035_1017
; %bb.1018:
	s_mov_b32 s10, 0
.LBB2035_1019:                          ; =>This Inner Loop Header: Depth=1
	s_add_i32 s11, s10, 0x50
	s_add_i32 s12, s10, 16
	scratch_load_dwordx2 v[6:7], off, s11
	scratch_load_dwordx2 v[8:9], off, s12
	s_add_i32 s11, s10, 36
	s_add_i32 s10, s10, 8
	s_cmp_lg_u32 s10, 16
	s_waitcnt vmcnt(0)
	v_add_u32_e32 v7, v9, v7
	v_add_u32_e32 v6, v8, v6
	scratch_store_dwordx2 off, v[6:7], s11
	s_cbranch_scc1 .LBB2035_1019
; %bb.1020:
	scratch_load_dwordx4 v[6:9], off, off offset:36
.LBB2035_1021:
	s_or_b64 exec, exec, s[4:5]
	v_or_b32_e32 v10, v19, v16
	v_and_b32_e32 v10, 1, v10
	scratch_store_byte off, v10, off offset:32
	scratch_load_dword v16, off, off offset:32
	s_waitcnt vmcnt(2)
	scratch_store_dwordx4 off, v[6:9], off offset:16
.LBB2035_1022:
	s_or_b64 exec, exec, s[6:7]
	v_mov_b32_dpp v20, v6 row_shr:2 row_mask:0xf bank_mask:0xf
	v_mov_b32_dpp v21, v7 row_shr:2 row_mask:0xf bank_mask:0xf
	v_mov_b32_dpp v22, v8 row_shr:2 row_mask:0xf bank_mask:0xf
	v_mov_b32_dpp v23, v9 row_shr:2 row_mask:0xf bank_mask:0xf
	s_waitcnt vmcnt(1)
	v_mov_b32_dpp v19, v16 row_shr:2 row_mask:0xf bank_mask:0xf
	v_cmp_lt_u32_e64 s[4:5], 1, v18
	scratch_store_dwordx4 off, v[20:23], off offset:80
	scratch_store_dword off, v19, off offset:96
	s_and_saveexec_b64 s[10:11], s[4:5]
	s_cbranch_execz .LBB2035_1030
; %bb.1023:
	v_mov_b32_e32 v10, 0
	s_mov_b32 s6, 0
	v_cmp_eq_u16_sdwa s[12:13], v16, v10 src0_sel:BYTE_0 src1_sel:DWORD
	s_and_saveexec_b64 s[4:5], s[12:13]
	s_cbranch_execz .LBB2035_1029
; %bb.1024:
	v_mov_b32_e32 v11, v10
.LBB2035_1025:                          ; =>This Inner Loop Header: Depth=1
	s_add_i32 s7, s6, 36
	s_add_i32 s6, s6, 8
	s_cmp_lg_u32 s6, 16
	scratch_store_dwordx2 off, v[10:11], s7
	s_cbranch_scc1 .LBB2035_1025
; %bb.1026:
	s_mov_b32 s6, 0
.LBB2035_1027:                          ; =>This Inner Loop Header: Depth=1
	s_add_i32 s7, s6, 0x50
	s_add_i32 s12, s6, 16
	scratch_load_dwordx2 v[6:7], off, s7
	scratch_load_dwordx2 v[8:9], off, s12
	s_add_i32 s7, s6, 36
	s_add_i32 s6, s6, 8
	s_cmp_lg_u32 s6, 16
	s_waitcnt vmcnt(0)
	v_add_u32_e32 v7, v9, v7
	v_add_u32_e32 v6, v8, v6
	scratch_store_dwordx2 off, v[6:7], s7
	s_cbranch_scc1 .LBB2035_1027
; %bb.1028:
	scratch_load_dwordx4 v[6:9], off, off offset:36
.LBB2035_1029:
	s_or_b64 exec, exec, s[4:5]
	v_and_b32_e32 v10, 1, v16
	v_cmp_eq_u32_e64 s[4:5], 1, v10
	v_and_b32_e32 v10, 1, v19
	v_cmp_eq_u32_e64 s[6:7], 1, v10
	s_or_b64 s[4:5], s[4:5], s[6:7]
	v_cndmask_b32_e64 v10, 0, 1, s[4:5]
	scratch_store_byte off, v10, off offset:32
	scratch_load_dword v16, off, off offset:32
	s_waitcnt vmcnt(2)
	scratch_store_dwordx4 off, v[6:9], off offset:16
.LBB2035_1030:
	s_or_b64 exec, exec, s[10:11]
	v_mov_b32_dpp v20, v6 row_shr:4 row_mask:0xf bank_mask:0xf
	v_mov_b32_dpp v21, v7 row_shr:4 row_mask:0xf bank_mask:0xf
	v_mov_b32_dpp v22, v8 row_shr:4 row_mask:0xf bank_mask:0xf
	v_mov_b32_dpp v23, v9 row_shr:4 row_mask:0xf bank_mask:0xf
	s_waitcnt vmcnt(1)
	v_mov_b32_dpp v19, v16 row_shr:4 row_mask:0xf bank_mask:0xf
	v_cmp_lt_u32_e64 s[4:5], 3, v18
	scratch_store_dwordx4 off, v[20:23], off offset:80
	scratch_store_dword off, v19, off offset:96
	s_and_saveexec_b64 s[10:11], s[4:5]
	s_cbranch_execz .LBB2035_1038
; %bb.1031:
	v_mov_b32_e32 v10, 0
	s_mov_b32 s6, 0
	v_cmp_eq_u16_sdwa s[12:13], v16, v10 src0_sel:BYTE_0 src1_sel:DWORD
	s_and_saveexec_b64 s[4:5], s[12:13]
	s_cbranch_execz .LBB2035_1037
; %bb.1032:
	v_mov_b32_e32 v11, v10
.LBB2035_1033:                          ; =>This Inner Loop Header: Depth=1
	s_add_i32 s7, s6, 36
	s_add_i32 s6, s6, 8
	s_cmp_lg_u32 s6, 16
	scratch_store_dwordx2 off, v[10:11], s7
	s_cbranch_scc1 .LBB2035_1033
; %bb.1034:
	s_mov_b32 s6, 0
.LBB2035_1035:                          ; =>This Inner Loop Header: Depth=1
	s_add_i32 s7, s6, 0x50
	s_add_i32 s12, s6, 16
	scratch_load_dwordx2 v[6:7], off, s7
	scratch_load_dwordx2 v[8:9], off, s12
	s_add_i32 s7, s6, 36
	s_add_i32 s6, s6, 8
	s_cmp_lg_u32 s6, 16
	s_waitcnt vmcnt(0)
	v_add_u32_e32 v7, v9, v7
	v_add_u32_e32 v6, v8, v6
	scratch_store_dwordx2 off, v[6:7], s7
	s_cbranch_scc1 .LBB2035_1035
; %bb.1036:
	scratch_load_dwordx4 v[6:9], off, off offset:36
.LBB2035_1037:
	s_or_b64 exec, exec, s[4:5]
	v_and_b32_e32 v10, 1, v16
	v_cmp_eq_u32_e64 s[4:5], 1, v10
	v_and_b32_e32 v10, 1, v19
	v_cmp_eq_u32_e64 s[6:7], 1, v10
	s_or_b64 s[4:5], s[4:5], s[6:7]
	v_cndmask_b32_e64 v10, 0, 1, s[4:5]
	scratch_store_byte off, v10, off offset:32
	scratch_load_dword v16, off, off offset:32
	s_waitcnt vmcnt(2)
	scratch_store_dwordx4 off, v[6:9], off offset:16
.LBB2035_1038:
	;; [unrolled: 56-line block ×3, first 2 shown]
	s_or_b64 exec, exec, s[10:11]
	v_and_b32_e32 v10, 16, v15
	v_mov_b32_dpp v20, v6 row_bcast:15 row_mask:0xf bank_mask:0xf
	v_mov_b32_dpp v21, v7 row_bcast:15 row_mask:0xf bank_mask:0xf
	;; [unrolled: 1-line block ×4, first 2 shown]
	s_waitcnt vmcnt(1)
	v_mov_b32_dpp v18, v16 row_bcast:15 row_mask:0xf bank_mask:0xf
	v_cmp_ne_u32_e64 s[4:5], 0, v10
	scratch_store_dwordx4 off, v[20:23], off offset:80
	scratch_store_dword off, v18, off offset:96
	s_and_saveexec_b64 s[10:11], s[4:5]
	s_cbranch_execz .LBB2035_1054
; %bb.1047:
	v_mov_b32_e32 v10, 0
	s_mov_b32 s6, 0
	v_cmp_eq_u16_sdwa s[12:13], v16, v10 src0_sel:BYTE_0 src1_sel:DWORD
	s_and_saveexec_b64 s[4:5], s[12:13]
	s_cbranch_execz .LBB2035_1053
; %bb.1048:
	v_mov_b32_e32 v11, v10
.LBB2035_1049:                          ; =>This Inner Loop Header: Depth=1
	s_add_i32 s7, s6, 36
	s_add_i32 s6, s6, 8
	s_cmp_lg_u32 s6, 16
	scratch_store_dwordx2 off, v[10:11], s7
	s_cbranch_scc1 .LBB2035_1049
; %bb.1050:
	s_mov_b32 s6, 0
.LBB2035_1051:                          ; =>This Inner Loop Header: Depth=1
	s_add_i32 s7, s6, 0x50
	s_add_i32 s12, s6, 16
	scratch_load_dwordx2 v[6:7], off, s7
	scratch_load_dwordx2 v[8:9], off, s12
	s_add_i32 s7, s6, 36
	s_add_i32 s6, s6, 8
	s_cmp_lg_u32 s6, 16
	s_waitcnt vmcnt(0)
	v_add_u32_e32 v7, v9, v7
	v_add_u32_e32 v6, v8, v6
	scratch_store_dwordx2 off, v[6:7], s7
	s_cbranch_scc1 .LBB2035_1051
; %bb.1052:
	scratch_load_dwordx4 v[6:9], off, off offset:36
.LBB2035_1053:
	s_or_b64 exec, exec, s[4:5]
	v_and_b32_e32 v10, 1, v16
	v_cmp_eq_u32_e64 s[4:5], 1, v10
	v_and_b32_e32 v10, 1, v18
	v_cmp_eq_u32_e64 s[6:7], 1, v10
	s_or_b64 s[4:5], s[4:5], s[6:7]
	v_cndmask_b32_e64 v10, 0, 1, s[4:5]
	scratch_store_byte off, v10, off offset:32
	scratch_load_dword v16, off, off offset:32
	s_waitcnt vmcnt(2)
	scratch_store_dwordx4 off, v[6:9], off offset:16
.LBB2035_1054:
	s_or_b64 exec, exec, s[10:11]
	v_mov_b32_dpp v20, v6 row_bcast:31 row_mask:0xf bank_mask:0xf
	v_mov_b32_dpp v21, v7 row_bcast:31 row_mask:0xf bank_mask:0xf
	;; [unrolled: 1-line block ×4, first 2 shown]
	s_waitcnt vmcnt(1)
	v_mov_b32_dpp v18, v16 row_bcast:31 row_mask:0xf bank_mask:0xf
	v_cmp_lt_u32_e64 s[4:5], 31, v15
	scratch_store_dwordx4 off, v[20:23], off offset:80
	scratch_store_dword off, v18, off offset:96
	s_and_saveexec_b64 s[10:11], s[4:5]
	s_cbranch_execz .LBB2035_1062
; %bb.1055:
	v_mov_b32_e32 v10, 0
	s_mov_b32 s6, 0
	v_cmp_eq_u16_sdwa s[12:13], v16, v10 src0_sel:BYTE_0 src1_sel:DWORD
	s_and_saveexec_b64 s[4:5], s[12:13]
	s_cbranch_execz .LBB2035_1061
; %bb.1056:
	v_mov_b32_e32 v11, v10
.LBB2035_1057:                          ; =>This Inner Loop Header: Depth=1
	s_add_i32 s7, s6, 36
	s_add_i32 s6, s6, 8
	s_cmp_lg_u32 s6, 16
	scratch_store_dwordx2 off, v[10:11], s7
	s_cbranch_scc1 .LBB2035_1057
; %bb.1058:
	s_mov_b32 s6, 0
.LBB2035_1059:                          ; =>This Inner Loop Header: Depth=1
	s_add_i32 s7, s6, 0x50
	s_add_i32 s12, s6, 16
	scratch_load_dwordx2 v[6:7], off, s7
	scratch_load_dwordx2 v[8:9], off, s12
	s_add_i32 s7, s6, 36
	s_add_i32 s6, s6, 8
	s_cmp_lg_u32 s6, 16
	s_waitcnt vmcnt(0)
	v_add_u32_e32 v7, v9, v7
	v_add_u32_e32 v6, v8, v6
	scratch_store_dwordx2 off, v[6:7], s7
	s_cbranch_scc1 .LBB2035_1059
; %bb.1060:
	scratch_load_dwordx4 v[6:9], off, off offset:36
.LBB2035_1061:
	s_or_b64 exec, exec, s[4:5]
	v_and_b32_e32 v10, 1, v16
	v_cmp_eq_u32_e64 s[4:5], 1, v10
	v_and_b32_e32 v10, 1, v18
	v_cmp_eq_u32_e64 s[6:7], 1, v10
	s_or_b64 s[4:5], s[4:5], s[6:7]
	v_cndmask_b32_e64 v10, 0, 1, s[4:5]
	scratch_store_byte off, v10, off offset:32
	scratch_load_dword v16, off, off offset:32
.LBB2035_1062:
	s_or_b64 exec, exec, s[10:11]
	v_add_u32_e32 v10, -1, v15
	v_and_b32_e32 v11, 64, v15
	v_cmp_lt_i32_e64 s[4:5], v10, v11
	ds_read_u8 v11, v14 offset:16
	s_nop 0
	v_cndmask_b32_e64 v10, v10, v15, s[4:5]
	v_lshlrev_b32_e32 v10, 2, v10
	s_waitcnt vmcnt(2)
	ds_bpermute_b32 v6, v10, v6
	ds_bpermute_b32 v7, v10, v7
	;; [unrolled: 1-line block ×4, first 2 shown]
	s_waitcnt vmcnt(0)
	ds_bpermute_b32 v10, v10, v16
	s_waitcnt lgkmcnt(5)
	v_cmp_ne_u16_e64 s[4:5], 0, v11
	s_waitcnt lgkmcnt(1)
	scratch_store_dwordx4 off, v[6:9], off offset:16
                                        ; implicit-def: $vgpr8_vgpr9
	s_and_saveexec_b64 s[6:7], s[4:5]
	s_xor_b64 s[4:5], exec, s[6:7]
	s_cbranch_execz .LBB2035_1064
; %bb.1063:
	ds_read2_b32 v[6:7], v14 offset1:1
	ds_read2_b32 v[8:9], v14 offset0:2 offset1:3
.LBB2035_1064:
	s_andn2_saveexec_b64 s[4:5], s[4:5]
	s_cbranch_execz .LBB2035_1070
; %bb.1065:
	s_waitcnt lgkmcnt(1)
	v_mov_b32_e32 v6, 0
	s_mov_b32 s6, 0
	v_mov_b32_e32 v7, v6
.LBB2035_1066:                          ; =>This Inner Loop Header: Depth=1
	s_add_i32 s7, s6, 0x50
	s_add_i32 s6, s6, 8
	s_cmp_lg_u32 s6, 16
	scratch_store_dwordx2 off, v[6:7], s7
	s_cbranch_scc1 .LBB2035_1066
; %bb.1067:
	s_mov_b32 s6, 0
.LBB2035_1068:                          ; =>This Inner Loop Header: Depth=1
	s_add_i32 s7, s6, 16
	scratch_load_dwordx2 v[6:7], off, s7
	s_waitcnt lgkmcnt(0)
	v_add_u32_e32 v8, s6, v14
	ds_read2_b32 v[8:9], v8 offset1:1
	s_add_i32 s7, s6, 0x50
	s_add_i32 s6, s6, 8
	s_cmp_lg_u32 s6, 16
	s_waitcnt vmcnt(0) lgkmcnt(0)
	v_add_u32_e32 v7, v9, v7
	v_add_u32_e32 v6, v8, v6
	scratch_store_dwordx2 off, v[6:7], s7
	s_cbranch_scc1 .LBB2035_1068
; %bb.1069:
	scratch_load_dwordx4 v[6:9], off, off offset:80
.LBB2035_1070:
	s_or_b64 exec, exec, s[4:5]
	v_and_b32_e32 v11, 1, v11
	s_waitcnt lgkmcnt(0)
	v_and_b32_e32 v10, 1, v10
	v_cmp_eq_u32_e64 s[4:5], 1, v11
	v_cmp_eq_u32_e64 s[6:7], 1, v10
	s_or_b64 s[4:5], s[6:7], s[4:5]
	v_cndmask_b32_e64 v10, 0, 1, s[4:5]
	s_waitcnt vmcnt(0)
	scratch_store_dwordx4 off, v[6:9], off offset:16
	scratch_store_byte off, v10, off offset:32
	s_and_saveexec_b64 s[4:5], vcc
	s_cbranch_execz .LBB2035_1072
; %bb.1071:
	scratch_store_dwordx4 off, v[2:5], off offset:16
	scratch_store_byte off, v1, off offset:32
.LBB2035_1072:
	s_or_b64 exec, exec, s[4:5]
	; wave barrier
	scratch_load_dwordx4 v[6:9], off, off offset:16
	scratch_load_ubyte v10, off, off offset:32
	s_waitcnt vmcnt(1)
	ds_write2_b32 v14, v8, v9 offset0:2 offset1:3
	ds_write2_b32 v14, v6, v7 offset1:1
	s_waitcnt vmcnt(0)
	ds_write_b8 v14, v10 offset:16
	; wave barrier
	ds_read_u8 v10, v14 offset:36
                                        ; implicit-def: $vgpr8_vgpr9
	s_waitcnt lgkmcnt(0)
	v_cmp_ne_u16_e64 s[4:5], 0, v10
	s_and_saveexec_b64 s[6:7], s[4:5]
	s_xor_b64 s[4:5], exec, s[6:7]
	s_cbranch_execz .LBB2035_1074
; %bb.1073:
	ds_read2_b32 v[6:7], v13 offset1:1
	ds_read2_b32 v[8:9], v13 offset0:2 offset1:3
.LBB2035_1074:
	s_andn2_saveexec_b64 s[4:5], s[4:5]
	s_cbranch_execz .LBB2035_1080
; %bb.1075:
	s_waitcnt lgkmcnt(1)
	v_mov_b32_e32 v6, 0
	s_mov_b32 s6, 0
	v_mov_b32_e32 v7, v6
.LBB2035_1076:                          ; =>This Inner Loop Header: Depth=1
	s_add_i32 s7, s6, 0x50
	s_add_i32 s6, s6, 8
	s_cmp_lg_u32 s6, 16
	scratch_store_dwordx2 off, v[6:7], s7
	s_cbranch_scc1 .LBB2035_1076
; %bb.1077:
	s_mov_b32 s6, 0
.LBB2035_1078:                          ; =>This Inner Loop Header: Depth=1
	s_add_i32 s7, s6, 16
	scratch_load_dwordx2 v[6:7], off, s7
	s_waitcnt lgkmcnt(0)
	v_add_u32_e32 v8, s6, v13
	ds_read2_b32 v[8:9], v8 offset1:1
	s_add_i32 s7, s6, 0x50
	s_add_i32 s6, s6, 8
	s_cmp_lg_u32 s6, 16
	s_waitcnt vmcnt(0) lgkmcnt(0)
	v_add_u32_e32 v7, v9, v7
	v_add_u32_e32 v6, v8, v6
	scratch_store_dwordx2 off, v[6:7], s7
	s_cbranch_scc1 .LBB2035_1078
; %bb.1079:
	scratch_load_dwordx4 v[6:9], off, off offset:80
.LBB2035_1080:
	s_or_b64 exec, exec, s[4:5]
	scratch_load_ubyte v11, off, off offset:32
	s_waitcnt vmcnt(1) lgkmcnt(0)
	ds_write2_b32 v13, v8, v9 offset0:2 offset1:3
	s_waitcnt vmcnt(0)
	v_or_b32_e32 v8, v10, v11
	v_and_b32_e32 v8, 1, v8
	ds_write2_b32 v13, v6, v7 offset1:1
	ds_write_b8 v13, v8 offset:16
.LBB2035_1081:
	s_or_b64 exec, exec, s[8:9]
	s_waitcnt vmcnt(0)
	v_lshl_or_b32 v7, v17, 16, v12
	s_waitcnt lgkmcnt(0)
	s_barrier
	s_and_saveexec_b64 s[4:5], s[2:3]
	s_cbranch_execz .LBB2035_1083
; %bb.1082:
	v_add_u32_e32 v1, -1, v0
	v_lshrrev_b32_e32 v2, 5, v1
	v_add_u32_e32 v1, v2, v1
	v_mul_lo_u32 v1, v1, 20
	ds_read2_b32 v[2:3], v1 offset1:1
	ds_read2_b32 v[4:5], v1 offset0:2 offset1:3
	ds_read_u8 v1, v1 offset:16
.LBB2035_1083:
	s_or_b64 exec, exec, s[4:5]
	scratch_load_dwordx4 v[8:11], off, off offset:480
	scratch_load_dword v6, off, off offset:496
	v_lshrrev_b32_e32 v12, 16, v7
	v_lshrrev_b32_e32 v13, 8, v7
	s_waitcnt lgkmcnt(1)
	scratch_store_dwordx4 off, v[2:5], off offset:16
                                        ; implicit-def: $vgpr4_vgpr5
	s_nop 1
	v_lshlrev_b16_e32 v2, 8, v7
	v_lshlrev_b16_e32 v3, 8, v12
	s_waitcnt lgkmcnt(0)
	v_or_b32_sdwa v2, v1, v2 dst_sel:DWORD dst_unused:UNUSED_PAD src0_sel:BYTE_0 src1_sel:DWORD
	v_or_b32_sdwa v3, v13, v3 dst_sel:WORD_1 dst_unused:UNUSED_PAD src0_sel:BYTE_0 src1_sel:DWORD
	s_nop 0
	v_or_b32_sdwa v2, v2, v3 dst_sel:DWORD dst_unused:UNUSED_PAD src0_sel:WORD_0 src1_sel:DWORD
	scratch_store_dword off, v2, off offset:32
	s_waitcnt vmcnt(3)
	scratch_store_dwordx4 off, v[8:11], off offset:36
	s_waitcnt vmcnt(3)
	scratch_store_dword off, v6, off offset:52
	s_and_saveexec_b64 s[4:5], s[2:3]
	s_xor_b64 s[2:3], exec, s[4:5]
	s_cbranch_execz .LBB2035_1093
; %bb.1084:
	v_mov_b32_e32 v2, 0
	v_cmp_ne_u16_sdwa s[4:5], v6, v2 src0_sel:BYTE_0 src1_sel:DWORD
                                        ; implicit-def: $vgpr4_vgpr5
	s_and_saveexec_b64 s[6:7], s[4:5]
	s_xor_b64 s[4:5], exec, s[6:7]
	s_cbranch_execz .LBB2035_1086
; %bb.1085:
	scratch_load_dwordx4 v[2:5], off, off offset:36
.LBB2035_1086:
	s_andn2_saveexec_b64 s[4:5], s[4:5]
	s_cbranch_execz .LBB2035_1092
; %bb.1087:
	s_waitcnt vmcnt(0)
	v_mov_b32_e32 v2, 0
	s_mov_b32 s6, 0
	v_mov_b32_e32 v3, v2
.LBB2035_1088:                          ; =>This Inner Loop Header: Depth=1
	s_add_i32 s7, s6, 0x50
	s_add_i32 s6, s6, 8
	s_cmp_lg_u32 s6, 16
	scratch_store_dwordx2 off, v[2:3], s7
	s_cbranch_scc1 .LBB2035_1088
; %bb.1089:
	s_mov_b32 s6, 0
.LBB2035_1090:                          ; =>This Inner Loop Header: Depth=1
	s_add_i32 s7, s6, 16
	s_add_i32 s8, s6, 36
	scratch_load_dwordx2 v[2:3], off, s7
	scratch_load_dwordx2 v[4:5], off, s8
	s_add_i32 s7, s6, 0x50
	s_add_i32 s6, s6, 8
	s_cmp_lg_u32 s6, 16
	s_waitcnt vmcnt(0)
	v_add_u32_e32 v3, v5, v3
	v_add_u32_e32 v2, v4, v2
	scratch_store_dwordx2 off, v[2:3], s7
	s_cbranch_scc1 .LBB2035_1090
; %bb.1091:
	scratch_load_dwordx4 v[2:5], off, off offset:80
.LBB2035_1092:
	s_or_b64 exec, exec, s[4:5]
	v_or_b32_e32 v1, v6, v1
	v_and_b32_e32 v6, 1, v1
	s_waitcnt vmcnt(0)
	scratch_store_dwordx4 off, v[2:5], off offset:36
	scratch_store_byte off, v6, off offset:52
	;;#ASMSTART
	;;#ASMEND
.LBB2035_1093:
	s_andn2_saveexec_b64 s[2:3], s[2:3]
	s_cbranch_execz .LBB2035_1095
; %bb.1094:
	scratch_load_dwordx4 v[2:5], off, off offset:36
.LBB2035_1095:
	s_or_b64 exec, exec, s[2:3]
	scratch_load_dwordx4 v[8:11], off, off offset:36
	scratch_load_ushort v7, off, off offset:53
	scratch_load_ubyte v12, off, off offset:55
	scratch_load_ubyte v1, off, off offset:516
	s_nop 0
	scratch_store_byte off, v6, off offset:496
	s_waitcnt vmcnt(5)
	scratch_store_dwordx4 off, v[2:5], off offset:80
	s_waitcnt vmcnt(5)
	scratch_store_dwordx4 off, v[8:11], off offset:480
	s_waitcnt vmcnt(5)
	v_lshrrev_b32_e32 v2, 8, v7
	v_lshlrev_b16_e32 v3, 8, v7
	s_waitcnt vmcnt(4)
	v_lshlrev_b16_e32 v4, 8, v12
	v_or_b32_sdwa v3, v6, v3 dst_sel:DWORD dst_unused:UNUSED_PAD src0_sel:BYTE_0 src1_sel:DWORD
	v_or_b32_sdwa v2, v2, v4 dst_sel:WORD_1 dst_unused:UNUSED_PAD src0_sel:BYTE_0 src1_sel:DWORD
	s_waitcnt vmcnt(3)
	v_cmp_ne_u16_e64 s[2:3], 0, v1
	v_or_b32_sdwa v2, v3, v2 dst_sel:DWORD dst_unused:UNUSED_PAD src0_sel:WORD_0 src1_sel:DWORD
	scratch_store_dword off, v2, off offset:96
                                        ; implicit-def: $vgpr4_vgpr5
	s_and_saveexec_b64 s[4:5], s[2:3]
	s_xor_b64 s[2:3], exec, s[4:5]
	s_cbranch_execz .LBB2035_1097
; %bb.1096:
	scratch_load_dwordx4 v[2:5], off, off offset:500
.LBB2035_1097:
	s_andn2_saveexec_b64 s[2:3], s[2:3]
	s_cbranch_execz .LBB2035_1103
; %bb.1098:
	s_waitcnt vmcnt(0)
	v_mov_b32_e32 v2, 0
	s_mov_b32 s4, 0
	v_mov_b32_e32 v3, v2
.LBB2035_1099:                          ; =>This Inner Loop Header: Depth=1
	s_add_i32 s5, s4, 0x1c0
	s_add_i32 s4, s4, 8
	s_cmp_lg_u32 s4, 16
	scratch_store_dwordx2 off, v[2:3], s5
	s_cbranch_scc1 .LBB2035_1099
; %bb.1100:
	s_mov_b32 s4, 0
.LBB2035_1101:                          ; =>This Inner Loop Header: Depth=1
	s_add_i32 s5, s4, 0x50
	s_add_i32 s6, s33, s4
	scratch_load_dwordx2 v[2:3], off, s5
	scratch_load_dwordx2 v[4:5], off, s6
	s_add_i32 s5, s4, 0x1c0
	s_add_i32 s4, s4, 8
	s_cmp_lg_u32 s4, 16
	s_waitcnt vmcnt(0)
	v_add_u32_e32 v3, v5, v3
	v_add_u32_e32 v2, v4, v2
	scratch_store_dwordx2 off, v[2:3], s5
	s_cbranch_scc1 .LBB2035_1101
; %bb.1102:
	scratch_load_dwordx4 v[2:5], off, off offset:448
.LBB2035_1103:
	s_or_b64 exec, exec, s[2:3]
	scratch_load_ubyte v7, off, off offset:536
	v_or_b32_e32 v1, v1, v6
	v_and_b32_e32 v1, 1, v1
	v_cmp_eq_u32_e64 s[2:3], 1, v1
	s_waitcnt vmcnt(1)
	scratch_store_dwordx4 off, v[2:5], off offset:80
	scratch_store_dwordx4 off, v[2:5], s33
	scratch_store_byte off, v1, off offset:516
                                        ; implicit-def: $vgpr4_vgpr5
	s_waitcnt vmcnt(3)
	v_cmp_ne_u16_e64 s[4:5], 0, v7
	s_and_saveexec_b64 s[6:7], s[4:5]
	s_xor_b64 s[4:5], exec, s[6:7]
	s_cbranch_execz .LBB2035_1105
; %bb.1104:
	scratch_load_dwordx4 v[2:5], off, off offset:520
.LBB2035_1105:
	s_andn2_saveexec_b64 s[4:5], s[4:5]
	s_cbranch_execz .LBB2035_1111
; %bb.1106:
	s_waitcnt vmcnt(0)
	v_mov_b32_e32 v2, 0
	s_mov_b32 s6, 0
	v_mov_b32_e32 v3, v2
.LBB2035_1107:                          ; =>This Inner Loop Header: Depth=1
	s_add_i32 s7, s6, 0x1c0
	s_add_i32 s6, s6, 8
	s_cmp_lg_u32 s6, 16
	scratch_store_dwordx2 off, v[2:3], s7
	s_cbranch_scc1 .LBB2035_1107
; %bb.1108:
	s_mov_b32 s6, 0
.LBB2035_1109:                          ; =>This Inner Loop Header: Depth=1
	s_add_i32 s7, s6, 0x50
	s_add_i32 s8, s59, s6
	scratch_load_dwordx2 v[2:3], off, s7
	scratch_load_dwordx2 v[4:5], off, s8
	s_add_i32 s7, s6, 0x1c0
	s_add_i32 s6, s6, 8
	s_cmp_lg_u32 s6, 16
	s_waitcnt vmcnt(0)
	v_add_u32_e32 v3, v5, v3
	v_add_u32_e32 v2, v4, v2
	scratch_store_dwordx2 off, v[2:3], s7
	s_cbranch_scc1 .LBB2035_1109
; %bb.1110:
	scratch_load_dwordx4 v[2:5], off, off offset:448
.LBB2035_1111:
	s_or_b64 exec, exec, s[4:5]
	scratch_load_ubyte v1, off, off offset:556
	v_and_b32_e32 v6, 1, v7
	v_cmp_eq_u32_e64 s[4:5], 1, v6
	s_or_b64 s[4:5], s[4:5], s[2:3]
	s_waitcnt vmcnt(0)
	v_cmp_ne_u16_e64 s[2:3], 0, v1
	v_cndmask_b32_e64 v6, 0, 1, s[4:5]
	scratch_store_dwordx4 off, v[2:5], off offset:80
	scratch_store_dwordx4 off, v[2:5], s59
	scratch_store_byte off, v6, off offset:536
                                        ; implicit-def: $vgpr4_vgpr5
	s_and_saveexec_b64 s[6:7], s[2:3]
	s_xor_b64 s[2:3], exec, s[6:7]
	s_cbranch_execz .LBB2035_1113
; %bb.1112:
	scratch_load_dwordx4 v[2:5], off, off offset:540
.LBB2035_1113:
	s_andn2_saveexec_b64 s[2:3], s[2:3]
	s_cbranch_execz .LBB2035_1119
; %bb.1114:
	s_waitcnt vmcnt(0)
	v_mov_b32_e32 v2, 0
	s_mov_b32 s6, 0
	v_mov_b32_e32 v3, v2
.LBB2035_1115:                          ; =>This Inner Loop Header: Depth=1
	s_add_i32 s7, s6, 0x1c0
	s_add_i32 s6, s6, 8
	s_cmp_lg_u32 s6, 16
	scratch_store_dwordx2 off, v[2:3], s7
	s_cbranch_scc1 .LBB2035_1115
; %bb.1116:
	s_mov_b32 s6, 0
.LBB2035_1117:                          ; =>This Inner Loop Header: Depth=1
	s_add_i32 s7, s6, 0x50
	s_add_i32 s8, s84, s6
	scratch_load_dwordx2 v[2:3], off, s7
	scratch_load_dwordx2 v[4:5], off, s8
	s_add_i32 s7, s6, 0x1c0
	s_add_i32 s6, s6, 8
	s_cmp_lg_u32 s6, 16
	s_waitcnt vmcnt(0)
	v_add_u32_e32 v3, v5, v3
	v_add_u32_e32 v2, v4, v2
	scratch_store_dwordx2 off, v[2:3], s7
	s_cbranch_scc1 .LBB2035_1117
; %bb.1118:
	scratch_load_dwordx4 v[2:5], off, off offset:448
.LBB2035_1119:
	s_or_b64 exec, exec, s[2:3]
	scratch_load_ubyte v6, off, off offset:576
	v_and_b32_e32 v1, 1, v1
	v_cmp_eq_u32_e64 s[2:3], 1, v1
	s_or_b64 s[4:5], s[2:3], s[4:5]
	v_cndmask_b32_e64 v1, 0, 1, s[4:5]
	s_waitcnt vmcnt(1)
	scratch_store_dwordx4 off, v[2:5], off offset:80
	scratch_store_dwordx4 off, v[2:5], s84
	scratch_store_byte off, v1, off offset:556
                                        ; implicit-def: $vgpr4_vgpr5
	s_waitcnt vmcnt(3)
	v_cmp_ne_u16_e64 s[2:3], 0, v6
	s_and_saveexec_b64 s[6:7], s[2:3]
	s_xor_b64 s[2:3], exec, s[6:7]
	s_cbranch_execz .LBB2035_1121
; %bb.1120:
	scratch_load_dwordx4 v[2:5], off, off offset:560
.LBB2035_1121:
	s_andn2_saveexec_b64 s[2:3], s[2:3]
	s_cbranch_execz .LBB2035_1127
; %bb.1122:
	s_waitcnt vmcnt(0)
	v_mov_b32_e32 v2, 0
	s_mov_b32 s6, 0
	v_mov_b32_e32 v3, v2
.LBB2035_1123:                          ; =>This Inner Loop Header: Depth=1
	s_add_i32 s7, s6, 0x1c0
	s_add_i32 s6, s6, 8
	s_cmp_lg_u32 s6, 16
	scratch_store_dwordx2 off, v[2:3], s7
	s_cbranch_scc1 .LBB2035_1123
; %bb.1124:
	s_mov_b32 s6, 0
.LBB2035_1125:                          ; =>This Inner Loop Header: Depth=1
	s_add_i32 s7, s6, 0x50
	s_add_i32 s8, s85, s6
	scratch_load_dwordx2 v[2:3], off, s7
	scratch_load_dwordx2 v[4:5], off, s8
	s_add_i32 s7, s6, 0x1c0
	s_add_i32 s6, s6, 8
	s_cmp_lg_u32 s6, 16
	s_waitcnt vmcnt(0)
	v_add_u32_e32 v3, v5, v3
	v_add_u32_e32 v2, v4, v2
	scratch_store_dwordx2 off, v[2:3], s7
	s_cbranch_scc1 .LBB2035_1125
; %bb.1126:
	scratch_load_dwordx4 v[2:5], off, off offset:448
.LBB2035_1127:
	s_or_b64 exec, exec, s[2:3]
	scratch_load_ubyte v1, off, off offset:596
	v_and_b32_e32 v6, 1, v6
	v_cmp_eq_u32_e64 s[2:3], 1, v6
	s_or_b64 s[4:5], s[2:3], s[4:5]
	v_cndmask_b32_e64 v6, 0, 1, s[4:5]
	s_waitcnt vmcnt(1)
	scratch_store_dwordx4 off, v[2:5], off offset:80
	scratch_store_dwordx4 off, v[2:5], s85
	scratch_store_byte off, v6, off offset:576
                                        ; implicit-def: $vgpr4_vgpr5
	s_waitcnt vmcnt(3)
	v_cmp_ne_u16_e64 s[2:3], 0, v1
	;; [unrolled: 50-line block ×19, first 2 shown]
	s_and_saveexec_b64 s[6:7], s[2:3]
	s_xor_b64 s[2:3], exec, s[6:7]
	s_cbranch_execz .LBB2035_1265
; %bb.1264:
	scratch_load_dwordx4 v[2:5], off, off offset:920
.LBB2035_1265:
	s_andn2_saveexec_b64 s[2:3], s[2:3]
	s_cbranch_execz .LBB2035_1271
; %bb.1266:
	s_waitcnt vmcnt(0)
	v_mov_b32_e32 v2, 0
	s_mov_b32 s6, 0
	v_mov_b32_e32 v3, v2
.LBB2035_1267:                          ; =>This Inner Loop Header: Depth=1
	s_add_i32 s7, s6, 0x1c0
	s_add_i32 s6, s6, 8
	s_cmp_lg_u32 s6, 16
	scratch_store_dwordx2 off, v[2:3], s7
	s_cbranch_scc1 .LBB2035_1267
; %bb.1268:
	s_mov_b32 s6, 0
.LBB2035_1269:                          ; =>This Inner Loop Header: Depth=1
	s_add_i32 s7, s6, 0x50
	s_add_i32 s8, s67, s6
	scratch_load_dwordx2 v[2:3], off, s7
	scratch_load_dwordx2 v[4:5], off, s8
	s_add_i32 s7, s6, 0x1c0
	s_add_i32 s6, s6, 8
	s_cmp_lg_u32 s6, 16
	s_waitcnt vmcnt(0)
	v_add_u32_e32 v3, v5, v3
	v_add_u32_e32 v2, v4, v2
	scratch_store_dwordx2 off, v[2:3], s7
	s_cbranch_scc1 .LBB2035_1269
; %bb.1270:
	scratch_load_dwordx4 v[2:5], off, off offset:448
.LBB2035_1271:
	s_or_b64 exec, exec, s[2:3]
	v_and_b32_e32 v1, 1, v6
	v_mov_b32_e32 v6, 0xa28
	v_cmp_eq_u32_e64 s[2:3], 1, v1
	v_mov_b32_e32 v1, 0
	ds_read2_b64 v[8:11], v6 offset1:1
	ds_read_u8 v6, v1 offset:2616
	s_or_b64 s[2:3], s[2:3], s[4:5]
	v_cndmask_b32_e64 v7, 0, 1, s[2:3]
	s_waitcnt vmcnt(0)
	scratch_store_dwordx4 off, v[2:5], s67
	scratch_store_byte off, v7, off offset:936
	s_waitcnt lgkmcnt(1)
	scratch_store_dwordx4 off, v[8:11], off offset:56
	s_waitcnt lgkmcnt(0)
	scratch_store_byte off, v6, off offset:72
	s_and_saveexec_b64 s[2:3], vcc
	s_cbranch_execz .LBB2035_1273
; %bb.1272:
	scratch_load_ushort v7, off, off offset:73
	scratch_load_ubyte v8, off, off offset:75
	scratch_load_dwordx4 v[2:5], off, off offset:56
	s_mov_b32 s4, 0x2010004
	v_mov_b32_e32 v9, 2
	s_waitcnt vmcnt(0)
	global_store_dword v1, v2, s[54:55] offset:1280 sc1
	global_store_dword v1, v3, s[54:55] offset:1284 sc1
	;; [unrolled: 1-line block ×4, first 2 shown]
	v_lshl_or_b32 v7, v8, 16, v7
	v_perm_b32 v2, v6, v7, s4
	global_store_dword v1, v2, s[54:55] offset:1296 sc1
	s_waitcnt vmcnt(0)
	global_store_byte v1, v9, s[56:57] offset:64 sc1
.LBB2035_1273:
	s_or_b64 exec, exec, s[2:3]
.LBB2035_1274:
	v_mov_b32_e32 v2, 0
	s_mov_b32 s2, 0
	v_mov_b32_e32 v3, v2
.LBB2035_1275:                          ; =>This Inner Loop Header: Depth=1
	s_add_i32 s3, s2, 0x50
	s_add_i32 s2, s2, 8
	s_cmp_lg_u32 s2, 16
	scratch_store_dwordx2 off, v[2:3], s3
	s_cbranch_scc1 .LBB2035_1275
; %bb.1276:
	v_mov_b32_e32 v2, 0
	s_mov_b32 s2, 16
	v_mov_b32_e32 v3, v2
.LBB2035_1277:                          ; =>This Inner Loop Header: Depth=1
	s_add_i32 s3, s2, 0x50
	s_add_i32 s2, s2, 8
	s_cmp_lg_u32 s2, 32
	scratch_store_dwordx2 off, v[2:3], s3
	s_cbranch_scc1 .LBB2035_1277
; %bb.1278:
	;; [unrolled: 10-line block ×4, first 2 shown]
	v_mov_b32_e32 v2, 0
	s_mov_b32 s2, 64
	v_mov_b32_e32 v3, v2
.LBB2035_1283:                          ; =>This Inner Loop Header: Depth=1
	s_add_i32 s3, s2, 0x50
	s_add_i32 s2, s2, 8
	s_cmpk_lg_i32 s2, 0x50
	scratch_store_dwordx2 off, v[2:3], s3
	s_cbranch_scc1 .LBB2035_1283
; %bb.1284:
	v_mov_b32_e32 v2, 0
	s_movk_i32 s2, 0x50
	v_mov_b32_e32 v3, v2
.LBB2035_1285:                          ; =>This Inner Loop Header: Depth=1
	s_add_i32 s3, s2, 0x50
	s_add_i32 s2, s2, 8
	s_cmpk_lg_i32 s2, 0x60
	scratch_store_dwordx2 off, v[2:3], s3
	s_cbranch_scc1 .LBB2035_1285
; %bb.1286:
	v_mov_b32_e32 v2, 0
	s_movk_i32 s2, 0x60
	;; [unrolled: 10-line block ×18, first 2 shown]
	v_mov_b32_e32 v3, v2
.LBB2035_1319:                          ; =>This Inner Loop Header: Depth=1
	s_add_i32 s3, s2, 0x50
	s_add_i32 s2, s2, 8
	s_cmpk_lg_i32 s2, 0x170
	scratch_store_dwordx2 off, v[2:3], s3
	s_cbranch_scc1 .LBB2035_1319
; %bb.1320:
	v_readlane_b32 s4, v200, 0
	v_readlane_b32 s6, v200, 2
	;; [unrolled: 1-line block ×5, first 2 shown]
	s_mov_b64 s[6:7], s[10:11]
	s_add_u32 s2, s6, s72
	s_addc_u32 s3, s7, s73
	v_mov_b32_e32 v1, 0x50
	s_add_u32 s2, s2, s60
	v_add_u32_e32 v6, 0x160, v1
	v_add_u32_e32 v7, 0x150, v1
	v_add_u32_e32 v8, 0x140, v1
	v_add_u32_e32 v9, 0x130, v1
	v_add_u32_e32 v10, 0x120, v1
	v_add_u32_e32 v11, 0x110, v1
	v_add_u32_e32 v12, 0x100, v1
	v_add_u32_e32 v13, 0xf0, v1
	v_add_u32_e32 v14, 0xe0, v1
	v_add_u32_e32 v15, 0xd0, v1
	v_add_u32_e32 v16, 0xc0, v1
	v_add_u32_e32 v17, 0xb0, v1
	v_add_u32_e32 v18, 0xa0, v1
	v_add_u32_e32 v19, 0x90, v1
	v_add_u32_e32 v20, 0x80, v1
	v_add_u32_e32 v21, 0x70, v1
	v_add_u32_e32 v22, 0x60, v1
	v_add_u32_e32 v23, 0x50, v1
	v_add_u32_e32 v24, 64, v1
	v_add_u32_e32 v25, 48, v1
	v_add_u32_e32 v26, 32, v1
	v_add_u32_e32 v27, 16, v1
	s_addc_u32 s3, s3, s61
	s_and_b64 vcc, exec, s[0:1]
	v_readlane_b32 s5, v200, 1
	v_readlane_b32 s8, v200, 4
	;; [unrolled: 1-line block ×3, first 2 shown]
	s_cbranch_vccz .LBB2035_1390
; %bb.1321:
	v_readlane_b32 s0, v200, 10
	s_add_i32 s4, s0, s58
	v_mul_u32_u24_e32 v1, 23, v0
	v_cmp_gt_u32_e32 vcc, s4, v1
	s_and_saveexec_b64 s[0:1], vcc
	s_cbranch_execz .LBB2035_1345
; %bb.1322:
	scratch_load_dwordx4 v[2:5], off, off offset:480
	v_add_u32_e32 v28, 1, v1
	v_cmp_gt_u32_e32 vcc, s4, v28
	s_waitcnt vmcnt(0)
	scratch_store_dwordx4 off, v[2:5], off offset:80
	s_and_b64 exec, exec, vcc
	s_cbranch_execz .LBB2035_1345
; %bb.1323:
	scratch_load_dwordx4 v[2:5], off, s33
	v_add_u32_e32 v28, 2, v1
	v_cmp_gt_u32_e32 vcc, s4, v28
	s_waitcnt vmcnt(0)
	scratch_store_dwordx4 v27, v[2:5], off
	s_and_b64 exec, exec, vcc
	s_cbranch_execz .LBB2035_1345
; %bb.1324:
	scratch_load_dwordx4 v[2:5], off, s59
	v_add_u32_e32 v28, 3, v1
	v_cmp_gt_u32_e32 vcc, s4, v28
	s_waitcnt vmcnt(0)
	scratch_store_dwordx4 v26, v[2:5], off
	;; [unrolled: 8-line block ×21, first 2 shown]
	s_and_b64 exec, exec, vcc
	s_cbranch_execz .LBB2035_1345
; %bb.1344:
	scratch_load_dwordx4 v[2:5], off, s67
	s_waitcnt vmcnt(0)
	scratch_store_dwordx4 v6, v[2:5], off
.LBB2035_1345:
	s_or_b64 exec, exec, s[0:1]
	s_waitcnt vmcnt(63) expcnt(7) lgkmcnt(15)
	s_barrier
	scratch_load_dwordx4 v[28:31], off, off offset:80
	scratch_load_dwordx4 v[32:35], v27, off
	scratch_load_dwordx4 v[36:39], v26, off
	;; [unrolled: 1-line block ×22, first 2 shown]
	v_lshlrev_b32_e32 v2, 4, v1
	s_movk_i32 s0, 0xfea0
	v_mad_i32_i24 v1, v0, s0, v2
	v_mov_b32_e32 v3, 0
	v_cmp_gt_u32_e32 vcc, s4, v0
	s_waitcnt vmcnt(22)
	ds_write_b128 v2, v[28:31]
	s_waitcnt vmcnt(21)
	ds_write_b128 v2, v[32:35] offset:16
	s_waitcnt vmcnt(20)
	ds_write_b128 v2, v[36:39] offset:32
	;; [unrolled: 2-line block ×22, first 2 shown]
	s_waitcnt lgkmcnt(0)
	s_barrier
	ds_read_b128 v[28:31], v1 offset:2048
	ds_read_b128 v[32:35], v1 offset:4096
	;; [unrolled: 1-line block ×16, first 2 shown]
	s_waitcnt lgkmcnt(14)
	scratch_store_dwordx4 v27, v[28:31], off
	scratch_store_dwordx4 v26, v[32:35], off
	s_waitcnt lgkmcnt(13)
	scratch_store_dwordx4 v25, v[36:39], off
	s_waitcnt lgkmcnt(12)
	;; [unrolled: 2-line block ×10, first 2 shown]
	scratch_store_dwordx4 v16, v[72:75], off
	ds_read_b128 v[28:31], v1 offset:32768
	s_waitcnt lgkmcnt(4)
	scratch_store_dwordx4 v15, v[76:79], off
	s_waitcnt lgkmcnt(3)
	scratch_store_dwordx4 v14, v[80:83], off
	;; [unrolled: 2-line block ×3, first 2 shown]
	ds_read_b128 v[32:35], v1 offset:34816
	v_lshlrev_b32_e32 v2, 4, v0
	s_waitcnt lgkmcnt(1)
	scratch_store_dwordx4 v12, v[28:31], off
	ds_read_b128 v[28:31], v1 offset:36864
	ds_read_b128 v[36:39], v1 offset:38912
	;; [unrolled: 1-line block ×4, first 2 shown]
	v_lshl_add_u64 v[4:5], s[2:3], 0, v[2:3]
	s_waitcnt lgkmcnt(4)
	scratch_store_dwordx4 v11, v[32:35], off
	s_waitcnt lgkmcnt(3)
	scratch_store_dwordx4 v10, v[28:31], off
	;; [unrolled: 2-line block ×5, first 2 shown]
	scratch_store_dwordx4 v6, v[88:91], off
	s_and_saveexec_b64 s[0:1], vcc
	s_cbranch_execz .LBB2035_1347
; %bb.1346:
	ds_read2_b32 v[30:31], v1 offset0:2 offset1:3
	ds_read2_b32 v[28:29], v1 offset1:1
	s_waitcnt lgkmcnt(0)
	flat_store_dwordx4 v[4:5], v[28:31]
.LBB2035_1347:
	s_or_b64 exec, exec, s[0:1]
	v_or_b32_e32 v1, 0x80, v0
	v_cmp_gt_u32_e32 vcc, s4, v1
	s_and_saveexec_b64 s[0:1], vcc
	s_cbranch_execz .LBB2035_1349
; %bb.1348:
	scratch_load_dwordx4 v[28:31], v27, off
	s_waitcnt vmcnt(0)
	flat_store_dwordx4 v[4:5], v[28:31] offset:2048
.LBB2035_1349:
	s_or_b64 exec, exec, s[0:1]
	v_or_b32_e32 v1, 0x100, v0
	v_cmp_gt_u32_e32 vcc, s4, v1
	s_and_saveexec_b64 s[0:1], vcc
	s_cbranch_execz .LBB2035_1351
; %bb.1350:
	scratch_load_dwordx4 v[28:31], v26, off
	v_add_co_u32_e32 v32, vcc, 0x1000, v4
	s_nop 1
	v_addc_co_u32_e32 v33, vcc, 0, v5, vcc
	s_waitcnt vmcnt(0)
	flat_store_dwordx4 v[32:33], v[28:31]
.LBB2035_1351:
	s_or_b64 exec, exec, s[0:1]
	v_or_b32_e32 v1, 0x180, v0
	v_cmp_gt_u32_e32 vcc, s4, v1
	s_and_saveexec_b64 s[0:1], vcc
	s_cbranch_execz .LBB2035_1353
; %bb.1352:
	scratch_load_dwordx4 v[28:31], v25, off
	v_add_co_u32_e32 v32, vcc, 0x1000, v4
	s_nop 1
	v_addc_co_u32_e32 v33, vcc, 0, v5, vcc
	s_waitcnt vmcnt(0)
	flat_store_dwordx4 v[32:33], v[28:31] offset:2048
.LBB2035_1353:
	s_or_b64 exec, exec, s[0:1]
	v_or_b32_e32 v1, 0x200, v0
	v_cmp_gt_u32_e32 vcc, s4, v1
	s_and_saveexec_b64 s[0:1], vcc
	s_cbranch_execz .LBB2035_1355
; %bb.1354:
	scratch_load_dwordx4 v[28:31], v24, off
	v_add_co_u32_e32 v32, vcc, 0x2000, v4
	s_nop 1
	v_addc_co_u32_e32 v33, vcc, 0, v5, vcc
	s_waitcnt vmcnt(0)
	flat_store_dwordx4 v[32:33], v[28:31]
.LBB2035_1355:
	s_or_b64 exec, exec, s[0:1]
	v_or_b32_e32 v1, 0x280, v0
	v_cmp_gt_u32_e32 vcc, s4, v1
	s_and_saveexec_b64 s[0:1], vcc
	s_cbranch_execz .LBB2035_1357
; %bb.1356:
	scratch_load_dwordx4 v[28:31], v23, off
	v_add_co_u32_e32 v32, vcc, 0x2000, v4
	s_nop 1
	v_addc_co_u32_e32 v33, vcc, 0, v5, vcc
	s_waitcnt vmcnt(0)
	flat_store_dwordx4 v[32:33], v[28:31] offset:2048
.LBB2035_1357:
	;; [unrolled: 26-line block ×10, first 2 shown]
	s_or_b64 exec, exec, s[0:1]
	v_or_b32_e32 v2, 0xb00, v0
	v_mov_b32_e32 v1, v3
	v_cmp_gt_u32_e64 s[0:1], s4, v2
	s_branch .LBB2035_1392
.LBB2035_1390:
	s_mov_b64 s[0:1], 0
	s_cbranch_execz .LBB2035_1392
; %bb.1391:
	scratch_load_dwordx4 v[2:5], off, off offset:480
	scratch_load_dwordx4 v[28:31], off, s33
	scratch_load_dwordx4 v[32:35], off, s59
	scratch_load_dwordx4 v[36:39], off, s84
	scratch_load_dwordx4 v[40:43], off, s85
	scratch_load_dwordx4 v[44:47], off, s86
	scratch_load_dwordx4 v[48:51], off, s87
	scratch_load_dwordx4 v[52:55], off, s88
	scratch_load_dwordx4 v[56:59], off, s89
	scratch_load_dwordx4 v[60:63], off, s90
	scratch_load_dwordx4 v[64:67], off, s91
	scratch_load_dwordx4 v[68:71], off, s92
	scratch_load_dwordx4 v[72:75], off, s93
	scratch_load_dwordx4 v[76:79], off, s94
	scratch_load_dwordx4 v[80:83], off, s95
	scratch_load_dwordx4 v[84:87], off, s97
                                        ; kill: killed $sgpr84
                                        ; kill: killed $sgpr88
                                        ; kill: killed $sgpr92
                                        ; kill: killed $sgpr97
                                        ; kill: killed $sgpr85
                                        ; kill: killed $sgpr89
                                        ; kill: killed $sgpr93
                                        ; kill: killed $sgpr33
                                        ; kill: killed $sgpr86
                                        ; kill: killed $sgpr90
                                        ; kill: killed $sgpr94
                                        ; kill: killed $sgpr59
                                        ; kill: killed $sgpr87
                                        ; kill: killed $sgpr91
                                        ; kill: killed $sgpr95
	scratch_load_dwordx4 v[88:91], off, s96
	scratch_load_dwordx4 v[92:95], off, s98
	;; [unrolled: 1-line block ×7, first 2 shown]
	s_movk_i32 s4, 0x170
	v_mul_i32_i24_e32 v117, 0xfffffea0, v0
	v_mul_u32_u24_e32 v118, 0x170, v0
	v_mad_u32_u24 v119, v0, s4, v117
	v_mov_b32_e32 v1, 0
	v_lshlrev_b32_e32 v116, 4, v0
	v_mov_b32_e32 v117, v1
	v_lshl_add_u64 v[116:117], s[2:3], 0, v[116:117]
	s_movk_i32 s4, 0x1000
	s_or_b64 s[0:1], s[0:1], exec
	s_waitcnt vmcnt(0)
	scratch_store_dwordx4 off, v[2:5], off offset:80
	scratch_store_dwordx4 v27, v[28:31], off
	scratch_store_dwordx4 v26, v[32:35], off
	;; [unrolled: 1-line block ×22, first 2 shown]
	s_waitcnt lgkmcnt(0)
	s_barrier
	scratch_load_dwordx4 v[2:5], off, off offset:80
	scratch_load_dwordx4 v[28:31], v27, off
	scratch_load_dwordx4 v[32:35], v26, off
	;; [unrolled: 1-line block ×22, first 2 shown]
	s_waitcnt vmcnt(22)
	ds_write_b128 v118, v[2:5]
	s_waitcnt vmcnt(21)
	ds_write_b128 v118, v[28:31] offset:16
	s_waitcnt vmcnt(20)
	ds_write_b128 v118, v[32:35] offset:32
	;; [unrolled: 2-line block ×22, first 2 shown]
	s_waitcnt lgkmcnt(0)
	s_barrier
	ds_read_b128 v[2:5], v119 offset:2048
	ds_read_b128 v[28:31], v119 offset:4096
	ds_read_b128 v[32:35], v119 offset:6144
	ds_read_b128 v[36:39], v119 offset:8192
	ds_read_b128 v[40:43], v119 offset:10240
	ds_read_b128 v[44:47], v119 offset:12288
	ds_read_b128 v[48:51], v119 offset:14336
	ds_read_b128 v[52:55], v119 offset:16384
	ds_read_b128 v[56:59], v119 offset:18432
	ds_read_b128 v[60:63], v119 offset:20480
	ds_read_b128 v[64:67], v119 offset:22528
	ds_read_b128 v[68:71], v119 offset:24576
	ds_read_b128 v[72:75], v119 offset:26624
	ds_read_b128 v[76:79], v119 offset:28672
	ds_read_b128 v[80:83], v119 offset:30720
	ds_read_b128 v[84:87], v119 offset:32768
	ds_read_b128 v[88:91], v119 offset:34816
	ds_read_b128 v[92:95], v119 offset:36864
	ds_read_b128 v[96:99], v119 offset:38912
	ds_read_b128 v[100:103], v119 offset:40960
	ds_read_b128 v[104:107], v119 offset:43008
	ds_read2_b32 v[110:111], v119 offset0:2 offset1:3
	ds_read_b128 v[112:115], v119 offset:45056
	ds_read2_b32 v[108:109], v119 offset1:1
	s_waitcnt lgkmcnt(14)
	scratch_store_dwordx4 v27, v[2:5], off
	scratch_store_dwordx4 v26, v[28:31], off
	;; [unrolled: 1-line block ×10, first 2 shown]
	s_waitcnt lgkmcnt(13)
	scratch_store_dwordx4 v17, v[64:67], off
	s_waitcnt lgkmcnt(12)
	scratch_store_dwordx4 v16, v[68:71], off
	;; [unrolled: 2-line block ×12, first 2 shown]
	s_waitcnt lgkmcnt(0)
	flat_store_dwordx4 v[116:117], v[108:111]
	scratch_load_dwordx4 v[2:5], v27, off
	s_waitcnt vmcnt(0)
	flat_store_dwordx4 v[116:117], v[2:5] offset:2048
	scratch_load_dwordx4 v[2:5], v26, off
	v_add_co_u32_e32 v26, vcc, s4, v116
	s_movk_i32 s4, 0x2000
	s_nop 0
	v_addc_co_u32_e32 v27, vcc, 0, v117, vcc
	s_waitcnt vmcnt(0)
	flat_store_dwordx4 v[26:27], v[2:5]
	scratch_load_dwordx4 v[2:5], v25, off
	s_waitcnt vmcnt(0)
	flat_store_dwordx4 v[26:27], v[2:5] offset:2048
	scratch_load_dwordx4 v[2:5], v24, off
	v_add_co_u32_e32 v24, vcc, s4, v116
	s_movk_i32 s4, 0x3000
	s_nop 0
	v_addc_co_u32_e32 v25, vcc, 0, v117, vcc
	s_waitcnt vmcnt(0)
	;; [unrolled: 10-line block ×6, first 2 shown]
	flat_store_dwordx4 v[16:17], v[2:5]
	scratch_load_dwordx4 v[2:5], v15, off
	s_waitcnt vmcnt(0)
	flat_store_dwordx4 v[16:17], v[2:5] offset:2048
	scratch_load_dwordx4 v[2:5], v14, off
	v_add_co_u32_e32 v14, vcc, s4, v116
	s_mov_b32 s4, 0x8000
	s_nop 0
	v_addc_co_u32_e32 v15, vcc, 0, v117, vcc
	s_waitcnt vmcnt(0)
	flat_store_dwordx4 v[14:15], v[2:5]
	scratch_load_dwordx4 v[2:5], v13, off
	s_waitcnt vmcnt(0)
	flat_store_dwordx4 v[14:15], v[2:5] offset:2048
	scratch_load_dwordx4 v[2:5], v12, off
	v_add_co_u32_e32 v12, vcc, s4, v116
	s_mov_b32 s4, 0x9000
	s_nop 0
	v_addc_co_u32_e32 v13, vcc, 0, v117, vcc
	s_waitcnt vmcnt(0)
	flat_store_dwordx4 v[12:13], v[2:5]
	scratch_load_dwordx4 v[2:5], v11, off
	s_waitcnt vmcnt(0)
	flat_store_dwordx4 v[12:13], v[2:5] offset:2048
	scratch_load_dwordx4 v[2:5], v10, off
	v_add_co_u32_e32 v10, vcc, s4, v116
	s_nop 1
	v_addc_co_u32_e32 v11, vcc, 0, v117, vcc
	s_waitcnt vmcnt(0)
	flat_store_dwordx4 v[10:11], v[2:5]
	scratch_load_dwordx4 v[2:5], v9, off
	s_waitcnt vmcnt(0)
	flat_store_dwordx4 v[10:11], v[2:5] offset:2048
	scratch_load_dwordx4 v[2:5], v8, off
	v_add_co_u32_e32 v8, vcc, 0xa000, v116
	s_nop 1
	v_addc_co_u32_e32 v9, vcc, 0, v117, vcc
	s_waitcnt vmcnt(0)
	flat_store_dwordx4 v[8:9], v[2:5]
	scratch_load_dwordx4 v[2:5], v7, off
	s_waitcnt vmcnt(0)
	flat_store_dwordx4 v[8:9], v[2:5] offset:2048
.LBB2035_1392:
	s_and_saveexec_b64 s[4:5], s[0:1]
	s_cbranch_execnz .LBB2035_1394
; %bb.1393:
	s_endpgm
.LBB2035_1394:
	scratch_load_dwordx4 v[2:5], v6, off
	v_lshl_add_u64 v[0:1], v[0:1], 4, s[2:3]
	v_add_co_u32_e32 v0, vcc, 0xb000, v0
	s_nop 1
	v_addc_co_u32_e32 v1, vcc, 0, v1, vcc
	s_waitcnt vmcnt(0)
	flat_store_dwordx4 v[0:1], v[2:5]
	s_endpgm
.LBB2035_1395:
	v_lshlrev_b32_e32 v24, 4, v0
	v_lshl_add_u64 v[24:25], s[62:63], 0, v[24:25]
	flat_load_dwordx4 v[70:73], v[24:25]
	s_waitcnt vmcnt(0) lgkmcnt(0)
	scratch_store_dwordx4 off, v[70:73], off offset:80
	s_or_b64 exec, exec, s[68:69]
	s_and_saveexec_b64 s[50:51], s[4:5]
	s_cbranch_execz .LBB2035_739
.LBB2035_1396:
	v_lshlrev_b32_e32 v24, 4, v0
	v_mov_b32_e32 v25, 0
	v_lshl_add_u64 v[24:25], s[62:63], 0, v[24:25]
	flat_load_dwordx4 v[70:73], v[24:25] offset:2048
	s_waitcnt vmcnt(0) lgkmcnt(0)
	scratch_store_dwordx4 off, v[70:73], off offset:96
	s_or_b64 exec, exec, s[50:51]
	s_and_saveexec_b64 s[4:5], s[6:7]
	s_cbranch_execz .LBB2035_740
.LBB2035_1397:
	v_lshlrev_b32_e32 v24, 4, v48
	v_mov_b32_e32 v25, 0
	v_lshl_add_u64 v[24:25], s[62:63], 0, v[24:25]
	flat_load_dwordx4 v[70:73], v[24:25]
	s_waitcnt vmcnt(0) lgkmcnt(0)
	scratch_store_dwordx4 off, v[70:73], off offset:112
	s_or_b64 exec, exec, s[4:5]
	s_and_saveexec_b64 s[4:5], s[8:9]
	s_cbranch_execz .LBB2035_741
.LBB2035_1398:
	v_lshlrev_b32_e32 v24, 4, v49
	v_mov_b32_e32 v25, 0
	v_lshl_add_u64 v[24:25], s[62:63], 0, v[24:25]
	flat_load_dwordx4 v[70:73], v[24:25]
	s_waitcnt vmcnt(0) lgkmcnt(0)
	scratch_store_dwordx4 off, v[70:73], off offset:128
	s_or_b64 exec, exec, s[4:5]
	s_and_saveexec_b64 s[4:5], s[10:11]
	s_cbranch_execz .LBB2035_742
.LBB2035_1399:
	v_lshlrev_b32_e32 v24, 4, v50
	v_mov_b32_e32 v25, 0
	v_lshl_add_u64 v[24:25], s[62:63], 0, v[24:25]
	flat_load_dwordx4 v[70:73], v[24:25]
	s_waitcnt vmcnt(0) lgkmcnt(0)
	scratch_store_dwordx4 off, v[70:73], off offset:144
	s_or_b64 exec, exec, s[4:5]
	s_and_saveexec_b64 s[4:5], s[12:13]
	s_cbranch_execz .LBB2035_743
.LBB2035_1400:
	v_lshlrev_b32_e32 v24, 4, v52
	v_mov_b32_e32 v25, 0
	v_lshl_add_u64 v[24:25], s[62:63], 0, v[24:25]
	flat_load_dwordx4 v[70:73], v[24:25]
	s_waitcnt vmcnt(0) lgkmcnt(0)
	scratch_store_dwordx4 off, v[70:73], off offset:160
	s_or_b64 exec, exec, s[4:5]
	s_and_saveexec_b64 s[4:5], s[14:15]
	s_cbranch_execz .LBB2035_744
.LBB2035_1401:
	v_lshlrev_b32_e32 v24, 4, v53
	v_mov_b32_e32 v25, 0
	v_lshl_add_u64 v[24:25], s[62:63], 0, v[24:25]
	flat_load_dwordx4 v[70:73], v[24:25]
	s_waitcnt vmcnt(0) lgkmcnt(0)
	scratch_store_dwordx4 off, v[70:73], off offset:176
	s_or_b64 exec, exec, s[4:5]
	s_and_saveexec_b64 s[4:5], s[16:17]
	s_cbranch_execz .LBB2035_745
.LBB2035_1402:
	v_lshlrev_b32_e32 v24, 4, v54
	v_mov_b32_e32 v25, 0
	v_lshl_add_u64 v[24:25], s[62:63], 0, v[24:25]
	flat_load_dwordx4 v[70:73], v[24:25]
	s_waitcnt vmcnt(0) lgkmcnt(0)
	scratch_store_dwordx4 off, v[70:73], off offset:192
	s_or_b64 exec, exec, s[4:5]
	s_and_saveexec_b64 s[4:5], s[18:19]
	s_cbranch_execz .LBB2035_746
.LBB2035_1403:
	v_lshlrev_b32_e32 v24, 4, v55
	v_mov_b32_e32 v25, 0
	v_lshl_add_u64 v[24:25], s[62:63], 0, v[24:25]
	flat_load_dwordx4 v[52:55], v[24:25]
	s_waitcnt vmcnt(0) lgkmcnt(0)
	scratch_store_dwordx4 off, v[52:55], off offset:208
	s_or_b64 exec, exec, s[4:5]
	s_and_saveexec_b64 s[4:5], s[20:21]
	s_cbranch_execz .LBB2035_747
.LBB2035_1404:
	v_lshlrev_b32_e32 v24, 4, v56
	v_mov_b32_e32 v25, 0
	v_lshl_add_u64 v[24:25], s[62:63], 0, v[24:25]
	flat_load_dwordx4 v[52:55], v[24:25]
	s_waitcnt vmcnt(0) lgkmcnt(0)
	scratch_store_dwordx4 off, v[52:55], off offset:224
	s_or_b64 exec, exec, s[4:5]
	s_and_saveexec_b64 s[4:5], s[22:23]
	s_cbranch_execz .LBB2035_748
.LBB2035_1405:
	v_lshlrev_b32_e32 v24, 4, v57
	v_mov_b32_e32 v25, 0
	v_lshl_add_u64 v[24:25], s[62:63], 0, v[24:25]
	flat_load_dwordx4 v[52:55], v[24:25]
	s_waitcnt vmcnt(0) lgkmcnt(0)
	scratch_store_dwordx4 off, v[52:55], off offset:240
	s_or_b64 exec, exec, s[4:5]
	s_and_saveexec_b64 s[4:5], s[24:25]
	s_cbranch_execz .LBB2035_749
.LBB2035_1406:
	v_lshlrev_b32_e32 v24, 4, v58
	v_mov_b32_e32 v25, 0
	v_lshl_add_u64 v[24:25], s[62:63], 0, v[24:25]
	flat_load_dwordx4 v[52:55], v[24:25]
	s_waitcnt vmcnt(0) lgkmcnt(0)
	scratch_store_dwordx4 off, v[52:55], off offset:256
	s_or_b64 exec, exec, s[4:5]
	s_and_saveexec_b64 s[4:5], s[26:27]
	s_cbranch_execz .LBB2035_750
.LBB2035_1407:
	v_lshlrev_b32_e32 v24, 4, v59
	v_mov_b32_e32 v25, 0
	v_lshl_add_u64 v[24:25], s[62:63], 0, v[24:25]
	flat_load_dwordx4 v[52:55], v[24:25]
	s_waitcnt vmcnt(0) lgkmcnt(0)
	scratch_store_dwordx4 off, v[52:55], off offset:272
	s_or_b64 exec, exec, s[4:5]
	s_and_saveexec_b64 s[4:5], s[28:29]
	s_cbranch_execz .LBB2035_751
.LBB2035_1408:
	v_lshlrev_b32_e32 v24, 4, v60
	v_mov_b32_e32 v25, 0
	v_lshl_add_u64 v[24:25], s[62:63], 0, v[24:25]
	flat_load_dwordx4 v[52:55], v[24:25]
	s_waitcnt vmcnt(0) lgkmcnt(0)
	scratch_store_dwordx4 off, v[52:55], off offset:288
	s_or_b64 exec, exec, s[4:5]
	s_and_saveexec_b64 s[4:5], s[30:31]
	s_cbranch_execz .LBB2035_752
.LBB2035_1409:
	v_lshlrev_b32_e32 v24, 4, v61
	v_mov_b32_e32 v25, 0
	v_lshl_add_u64 v[24:25], s[62:63], 0, v[24:25]
	flat_load_dwordx4 v[52:55], v[24:25]
	s_waitcnt vmcnt(0) lgkmcnt(0)
	scratch_store_dwordx4 off, v[52:55], off offset:304
	s_or_b64 exec, exec, s[4:5]
	s_and_saveexec_b64 s[4:5], s[34:35]
	s_cbranch_execz .LBB2035_753
.LBB2035_1410:
	v_lshlrev_b32_e32 v24, 4, v62
	v_mov_b32_e32 v25, 0
	v_lshl_add_u64 v[24:25], s[62:63], 0, v[24:25]
	flat_load_dwordx4 v[52:55], v[24:25]
	s_waitcnt vmcnt(0) lgkmcnt(0)
	scratch_store_dwordx4 off, v[52:55], off offset:320
	s_or_b64 exec, exec, s[4:5]
	s_and_saveexec_b64 s[4:5], s[36:37]
	s_cbranch_execz .LBB2035_754
.LBB2035_1411:
	v_lshlrev_b32_e32 v24, 4, v63
	v_mov_b32_e32 v25, 0
	v_lshl_add_u64 v[24:25], s[62:63], 0, v[24:25]
	flat_load_dwordx4 v[52:55], v[24:25]
	s_waitcnt vmcnt(0) lgkmcnt(0)
	scratch_store_dwordx4 off, v[52:55], off offset:336
	s_or_b64 exec, exec, s[4:5]
	s_and_saveexec_b64 s[4:5], s[38:39]
	s_cbranch_execz .LBB2035_755
.LBB2035_1412:
	v_lshlrev_b32_e32 v24, 4, v64
	v_mov_b32_e32 v25, 0
	v_lshl_add_u64 v[24:25], s[62:63], 0, v[24:25]
	flat_load_dwordx4 v[52:55], v[24:25]
	s_waitcnt vmcnt(0) lgkmcnt(0)
	scratch_store_dwordx4 off, v[52:55], off offset:352
	s_or_b64 exec, exec, s[4:5]
	s_and_saveexec_b64 s[4:5], s[40:41]
	s_cbranch_execz .LBB2035_756
.LBB2035_1413:
	v_lshlrev_b32_e32 v24, 4, v65
	v_mov_b32_e32 v25, 0
	v_lshl_add_u64 v[24:25], s[62:63], 0, v[24:25]
	flat_load_dwordx4 v[52:55], v[24:25]
	s_waitcnt vmcnt(0) lgkmcnt(0)
	scratch_store_dwordx4 off, v[52:55], off offset:368
	s_or_b64 exec, exec, s[4:5]
	s_and_saveexec_b64 s[4:5], s[42:43]
	s_cbranch_execz .LBB2035_757
.LBB2035_1414:
	v_lshlrev_b32_e32 v24, 4, v66
	v_mov_b32_e32 v25, 0
	v_lshl_add_u64 v[24:25], s[62:63], 0, v[24:25]
	flat_load_dwordx4 v[52:55], v[24:25]
	s_waitcnt vmcnt(0) lgkmcnt(0)
	scratch_store_dwordx4 off, v[52:55], off offset:384
	s_or_b64 exec, exec, s[4:5]
	s_and_saveexec_b64 s[4:5], s[44:45]
	s_cbranch_execz .LBB2035_758
.LBB2035_1415:
	v_lshlrev_b32_e32 v24, 4, v67
	v_mov_b32_e32 v25, 0
	v_lshl_add_u64 v[24:25], s[62:63], 0, v[24:25]
	flat_load_dwordx4 v[52:55], v[24:25]
	s_waitcnt vmcnt(0) lgkmcnt(0)
	scratch_store_dwordx4 off, v[52:55], off offset:400
	s_or_b64 exec, exec, s[4:5]
	s_and_saveexec_b64 s[4:5], s[46:47]
	s_cbranch_execz .LBB2035_759
.LBB2035_1416:
	v_lshlrev_b32_e32 v24, 4, v68
	v_mov_b32_e32 v25, 0
	v_lshl_add_u64 v[24:25], s[62:63], 0, v[24:25]
	flat_load_dwordx4 v[52:55], v[24:25]
	s_waitcnt vmcnt(0) lgkmcnt(0)
	scratch_store_dwordx4 off, v[52:55], off offset:416
	s_or_b64 exec, exec, s[4:5]
	s_and_saveexec_b64 s[4:5], s[48:49]
	s_cbranch_execnz .LBB2035_760
	s_branch .LBB2035_761
.LBB2035_1417:
                                        ; implicit-def: $sgpr68_sgpr69
	s_branch .LBB2035_734
.LBB2035_1418:
                                        ; implicit-def: $sgpr4_sgpr5
	s_branch .LBB2035_809
	.section	.rodata,"a",@progbits
	.p2align	6, 0x0
	.amdhsa_kernel _ZN7rocprim17ROCPRIM_400000_NS6detail17trampoline_kernelINS0_14default_configENS1_27scan_by_key_config_selectorIj11FixedVectorIiLj4EEEEZZNS1_16scan_by_key_implILNS1_25lookback_scan_determinismE0ELb0ES3_N6thrust23THRUST_200600_302600_NS6detail15normal_iteratorINSB_10device_ptrIjEEEENSD_INSE_IS6_EEEESI_S6_NSB_4plusIvEENSB_8equal_toIvEES6_EE10hipError_tPvRmT2_T3_T4_T5_mT6_T7_P12ihipStream_tbENKUlT_T0_E_clISt17integral_constantIbLb0EES13_EEDaSY_SZ_EUlSY_E_NS1_11comp_targetILNS1_3genE5ELNS1_11target_archE942ELNS1_3gpuE9ELNS1_3repE0EEENS1_30default_config_static_selectorELNS0_4arch9wavefront6targetE1EEEvT1_
		.amdhsa_group_segment_fixed_size 47104
		.amdhsa_private_segment_fixed_size 944
		.amdhsa_kernarg_size 144
		.amdhsa_user_sgpr_count 2
		.amdhsa_user_sgpr_dispatch_ptr 0
		.amdhsa_user_sgpr_queue_ptr 0
		.amdhsa_user_sgpr_kernarg_segment_ptr 1
		.amdhsa_user_sgpr_dispatch_id 0
		.amdhsa_user_sgpr_kernarg_preload_length 0
		.amdhsa_user_sgpr_kernarg_preload_offset 0
		.amdhsa_user_sgpr_private_segment_size 0
		.amdhsa_uses_dynamic_stack 0
		.amdhsa_enable_private_segment 1
		.amdhsa_system_sgpr_workgroup_id_x 1
		.amdhsa_system_sgpr_workgroup_id_y 0
		.amdhsa_system_sgpr_workgroup_id_z 0
		.amdhsa_system_sgpr_workgroup_info 0
		.amdhsa_system_vgpr_workitem_id 0
		.amdhsa_next_free_vgpr 201
		.amdhsa_next_free_sgpr 100
		.amdhsa_accum_offset 204
		.amdhsa_reserve_vcc 1
		.amdhsa_float_round_mode_32 0
		.amdhsa_float_round_mode_16_64 0
		.amdhsa_float_denorm_mode_32 3
		.amdhsa_float_denorm_mode_16_64 3
		.amdhsa_dx10_clamp 1
		.amdhsa_ieee_mode 1
		.amdhsa_fp16_overflow 0
		.amdhsa_tg_split 0
		.amdhsa_exception_fp_ieee_invalid_op 0
		.amdhsa_exception_fp_denorm_src 0
		.amdhsa_exception_fp_ieee_div_zero 0
		.amdhsa_exception_fp_ieee_overflow 0
		.amdhsa_exception_fp_ieee_underflow 0
		.amdhsa_exception_fp_ieee_inexact 0
		.amdhsa_exception_int_div_zero 0
	.end_amdhsa_kernel
	.section	.text._ZN7rocprim17ROCPRIM_400000_NS6detail17trampoline_kernelINS0_14default_configENS1_27scan_by_key_config_selectorIj11FixedVectorIiLj4EEEEZZNS1_16scan_by_key_implILNS1_25lookback_scan_determinismE0ELb0ES3_N6thrust23THRUST_200600_302600_NS6detail15normal_iteratorINSB_10device_ptrIjEEEENSD_INSE_IS6_EEEESI_S6_NSB_4plusIvEENSB_8equal_toIvEES6_EE10hipError_tPvRmT2_T3_T4_T5_mT6_T7_P12ihipStream_tbENKUlT_T0_E_clISt17integral_constantIbLb0EES13_EEDaSY_SZ_EUlSY_E_NS1_11comp_targetILNS1_3genE5ELNS1_11target_archE942ELNS1_3gpuE9ELNS1_3repE0EEENS1_30default_config_static_selectorELNS0_4arch9wavefront6targetE1EEEvT1_,"axG",@progbits,_ZN7rocprim17ROCPRIM_400000_NS6detail17trampoline_kernelINS0_14default_configENS1_27scan_by_key_config_selectorIj11FixedVectorIiLj4EEEEZZNS1_16scan_by_key_implILNS1_25lookback_scan_determinismE0ELb0ES3_N6thrust23THRUST_200600_302600_NS6detail15normal_iteratorINSB_10device_ptrIjEEEENSD_INSE_IS6_EEEESI_S6_NSB_4plusIvEENSB_8equal_toIvEES6_EE10hipError_tPvRmT2_T3_T4_T5_mT6_T7_P12ihipStream_tbENKUlT_T0_E_clISt17integral_constantIbLb0EES13_EEDaSY_SZ_EUlSY_E_NS1_11comp_targetILNS1_3genE5ELNS1_11target_archE942ELNS1_3gpuE9ELNS1_3repE0EEENS1_30default_config_static_selectorELNS0_4arch9wavefront6targetE1EEEvT1_,comdat
.Lfunc_end2035:
	.size	_ZN7rocprim17ROCPRIM_400000_NS6detail17trampoline_kernelINS0_14default_configENS1_27scan_by_key_config_selectorIj11FixedVectorIiLj4EEEEZZNS1_16scan_by_key_implILNS1_25lookback_scan_determinismE0ELb0ES3_N6thrust23THRUST_200600_302600_NS6detail15normal_iteratorINSB_10device_ptrIjEEEENSD_INSE_IS6_EEEESI_S6_NSB_4plusIvEENSB_8equal_toIvEES6_EE10hipError_tPvRmT2_T3_T4_T5_mT6_T7_P12ihipStream_tbENKUlT_T0_E_clISt17integral_constantIbLb0EES13_EEDaSY_SZ_EUlSY_E_NS1_11comp_targetILNS1_3genE5ELNS1_11target_archE942ELNS1_3gpuE9ELNS1_3repE0EEENS1_30default_config_static_selectorELNS0_4arch9wavefront6targetE1EEEvT1_, .Lfunc_end2035-_ZN7rocprim17ROCPRIM_400000_NS6detail17trampoline_kernelINS0_14default_configENS1_27scan_by_key_config_selectorIj11FixedVectorIiLj4EEEEZZNS1_16scan_by_key_implILNS1_25lookback_scan_determinismE0ELb0ES3_N6thrust23THRUST_200600_302600_NS6detail15normal_iteratorINSB_10device_ptrIjEEEENSD_INSE_IS6_EEEESI_S6_NSB_4plusIvEENSB_8equal_toIvEES6_EE10hipError_tPvRmT2_T3_T4_T5_mT6_T7_P12ihipStream_tbENKUlT_T0_E_clISt17integral_constantIbLb0EES13_EEDaSY_SZ_EUlSY_E_NS1_11comp_targetILNS1_3genE5ELNS1_11target_archE942ELNS1_3gpuE9ELNS1_3repE0EEENS1_30default_config_static_selectorELNS0_4arch9wavefront6targetE1EEEvT1_
                                        ; -- End function
	.section	.AMDGPU.csdata,"",@progbits
; Kernel info:
; codeLenInByte = 48120
; NumSgprs: 106
; NumVgprs: 201
; NumAgprs: 0
; TotalNumVgprs: 201
; ScratchSize: 944
; MemoryBound: 0
; FloatMode: 240
; IeeeMode: 1
; LDSByteSize: 47104 bytes/workgroup (compile time only)
; SGPRBlocks: 13
; VGPRBlocks: 25
; NumSGPRsForWavesPerEU: 106
; NumVGPRsForWavesPerEU: 201
; AccumOffset: 204
; Occupancy: 1
; WaveLimiterHint : 1
; COMPUTE_PGM_RSRC2:SCRATCH_EN: 1
; COMPUTE_PGM_RSRC2:USER_SGPR: 2
; COMPUTE_PGM_RSRC2:TRAP_HANDLER: 0
; COMPUTE_PGM_RSRC2:TGID_X_EN: 1
; COMPUTE_PGM_RSRC2:TGID_Y_EN: 0
; COMPUTE_PGM_RSRC2:TGID_Z_EN: 0
; COMPUTE_PGM_RSRC2:TIDIG_COMP_CNT: 0
; COMPUTE_PGM_RSRC3_GFX90A:ACCUM_OFFSET: 50
; COMPUTE_PGM_RSRC3_GFX90A:TG_SPLIT: 0
	.section	.text._ZN7rocprim17ROCPRIM_400000_NS6detail17trampoline_kernelINS0_14default_configENS1_27scan_by_key_config_selectorIj11FixedVectorIiLj4EEEEZZNS1_16scan_by_key_implILNS1_25lookback_scan_determinismE0ELb0ES3_N6thrust23THRUST_200600_302600_NS6detail15normal_iteratorINSB_10device_ptrIjEEEENSD_INSE_IS6_EEEESI_S6_NSB_4plusIvEENSB_8equal_toIvEES6_EE10hipError_tPvRmT2_T3_T4_T5_mT6_T7_P12ihipStream_tbENKUlT_T0_E_clISt17integral_constantIbLb0EES13_EEDaSY_SZ_EUlSY_E_NS1_11comp_targetILNS1_3genE4ELNS1_11target_archE910ELNS1_3gpuE8ELNS1_3repE0EEENS1_30default_config_static_selectorELNS0_4arch9wavefront6targetE1EEEvT1_,"axG",@progbits,_ZN7rocprim17ROCPRIM_400000_NS6detail17trampoline_kernelINS0_14default_configENS1_27scan_by_key_config_selectorIj11FixedVectorIiLj4EEEEZZNS1_16scan_by_key_implILNS1_25lookback_scan_determinismE0ELb0ES3_N6thrust23THRUST_200600_302600_NS6detail15normal_iteratorINSB_10device_ptrIjEEEENSD_INSE_IS6_EEEESI_S6_NSB_4plusIvEENSB_8equal_toIvEES6_EE10hipError_tPvRmT2_T3_T4_T5_mT6_T7_P12ihipStream_tbENKUlT_T0_E_clISt17integral_constantIbLb0EES13_EEDaSY_SZ_EUlSY_E_NS1_11comp_targetILNS1_3genE4ELNS1_11target_archE910ELNS1_3gpuE8ELNS1_3repE0EEENS1_30default_config_static_selectorELNS0_4arch9wavefront6targetE1EEEvT1_,comdat
	.protected	_ZN7rocprim17ROCPRIM_400000_NS6detail17trampoline_kernelINS0_14default_configENS1_27scan_by_key_config_selectorIj11FixedVectorIiLj4EEEEZZNS1_16scan_by_key_implILNS1_25lookback_scan_determinismE0ELb0ES3_N6thrust23THRUST_200600_302600_NS6detail15normal_iteratorINSB_10device_ptrIjEEEENSD_INSE_IS6_EEEESI_S6_NSB_4plusIvEENSB_8equal_toIvEES6_EE10hipError_tPvRmT2_T3_T4_T5_mT6_T7_P12ihipStream_tbENKUlT_T0_E_clISt17integral_constantIbLb0EES13_EEDaSY_SZ_EUlSY_E_NS1_11comp_targetILNS1_3genE4ELNS1_11target_archE910ELNS1_3gpuE8ELNS1_3repE0EEENS1_30default_config_static_selectorELNS0_4arch9wavefront6targetE1EEEvT1_ ; -- Begin function _ZN7rocprim17ROCPRIM_400000_NS6detail17trampoline_kernelINS0_14default_configENS1_27scan_by_key_config_selectorIj11FixedVectorIiLj4EEEEZZNS1_16scan_by_key_implILNS1_25lookback_scan_determinismE0ELb0ES3_N6thrust23THRUST_200600_302600_NS6detail15normal_iteratorINSB_10device_ptrIjEEEENSD_INSE_IS6_EEEESI_S6_NSB_4plusIvEENSB_8equal_toIvEES6_EE10hipError_tPvRmT2_T3_T4_T5_mT6_T7_P12ihipStream_tbENKUlT_T0_E_clISt17integral_constantIbLb0EES13_EEDaSY_SZ_EUlSY_E_NS1_11comp_targetILNS1_3genE4ELNS1_11target_archE910ELNS1_3gpuE8ELNS1_3repE0EEENS1_30default_config_static_selectorELNS0_4arch9wavefront6targetE1EEEvT1_
	.globl	_ZN7rocprim17ROCPRIM_400000_NS6detail17trampoline_kernelINS0_14default_configENS1_27scan_by_key_config_selectorIj11FixedVectorIiLj4EEEEZZNS1_16scan_by_key_implILNS1_25lookback_scan_determinismE0ELb0ES3_N6thrust23THRUST_200600_302600_NS6detail15normal_iteratorINSB_10device_ptrIjEEEENSD_INSE_IS6_EEEESI_S6_NSB_4plusIvEENSB_8equal_toIvEES6_EE10hipError_tPvRmT2_T3_T4_T5_mT6_T7_P12ihipStream_tbENKUlT_T0_E_clISt17integral_constantIbLb0EES13_EEDaSY_SZ_EUlSY_E_NS1_11comp_targetILNS1_3genE4ELNS1_11target_archE910ELNS1_3gpuE8ELNS1_3repE0EEENS1_30default_config_static_selectorELNS0_4arch9wavefront6targetE1EEEvT1_
	.p2align	8
	.type	_ZN7rocprim17ROCPRIM_400000_NS6detail17trampoline_kernelINS0_14default_configENS1_27scan_by_key_config_selectorIj11FixedVectorIiLj4EEEEZZNS1_16scan_by_key_implILNS1_25lookback_scan_determinismE0ELb0ES3_N6thrust23THRUST_200600_302600_NS6detail15normal_iteratorINSB_10device_ptrIjEEEENSD_INSE_IS6_EEEESI_S6_NSB_4plusIvEENSB_8equal_toIvEES6_EE10hipError_tPvRmT2_T3_T4_T5_mT6_T7_P12ihipStream_tbENKUlT_T0_E_clISt17integral_constantIbLb0EES13_EEDaSY_SZ_EUlSY_E_NS1_11comp_targetILNS1_3genE4ELNS1_11target_archE910ELNS1_3gpuE8ELNS1_3repE0EEENS1_30default_config_static_selectorELNS0_4arch9wavefront6targetE1EEEvT1_,@function
_ZN7rocprim17ROCPRIM_400000_NS6detail17trampoline_kernelINS0_14default_configENS1_27scan_by_key_config_selectorIj11FixedVectorIiLj4EEEEZZNS1_16scan_by_key_implILNS1_25lookback_scan_determinismE0ELb0ES3_N6thrust23THRUST_200600_302600_NS6detail15normal_iteratorINSB_10device_ptrIjEEEENSD_INSE_IS6_EEEESI_S6_NSB_4plusIvEENSB_8equal_toIvEES6_EE10hipError_tPvRmT2_T3_T4_T5_mT6_T7_P12ihipStream_tbENKUlT_T0_E_clISt17integral_constantIbLb0EES13_EEDaSY_SZ_EUlSY_E_NS1_11comp_targetILNS1_3genE4ELNS1_11target_archE910ELNS1_3gpuE8ELNS1_3repE0EEENS1_30default_config_static_selectorELNS0_4arch9wavefront6targetE1EEEvT1_: ; @_ZN7rocprim17ROCPRIM_400000_NS6detail17trampoline_kernelINS0_14default_configENS1_27scan_by_key_config_selectorIj11FixedVectorIiLj4EEEEZZNS1_16scan_by_key_implILNS1_25lookback_scan_determinismE0ELb0ES3_N6thrust23THRUST_200600_302600_NS6detail15normal_iteratorINSB_10device_ptrIjEEEENSD_INSE_IS6_EEEESI_S6_NSB_4plusIvEENSB_8equal_toIvEES6_EE10hipError_tPvRmT2_T3_T4_T5_mT6_T7_P12ihipStream_tbENKUlT_T0_E_clISt17integral_constantIbLb0EES13_EEDaSY_SZ_EUlSY_E_NS1_11comp_targetILNS1_3genE4ELNS1_11target_archE910ELNS1_3gpuE8ELNS1_3repE0EEENS1_30default_config_static_selectorELNS0_4arch9wavefront6targetE1EEEvT1_
; %bb.0:
	.section	.rodata,"a",@progbits
	.p2align	6, 0x0
	.amdhsa_kernel _ZN7rocprim17ROCPRIM_400000_NS6detail17trampoline_kernelINS0_14default_configENS1_27scan_by_key_config_selectorIj11FixedVectorIiLj4EEEEZZNS1_16scan_by_key_implILNS1_25lookback_scan_determinismE0ELb0ES3_N6thrust23THRUST_200600_302600_NS6detail15normal_iteratorINSB_10device_ptrIjEEEENSD_INSE_IS6_EEEESI_S6_NSB_4plusIvEENSB_8equal_toIvEES6_EE10hipError_tPvRmT2_T3_T4_T5_mT6_T7_P12ihipStream_tbENKUlT_T0_E_clISt17integral_constantIbLb0EES13_EEDaSY_SZ_EUlSY_E_NS1_11comp_targetILNS1_3genE4ELNS1_11target_archE910ELNS1_3gpuE8ELNS1_3repE0EEENS1_30default_config_static_selectorELNS0_4arch9wavefront6targetE1EEEvT1_
		.amdhsa_group_segment_fixed_size 0
		.amdhsa_private_segment_fixed_size 0
		.amdhsa_kernarg_size 144
		.amdhsa_user_sgpr_count 2
		.amdhsa_user_sgpr_dispatch_ptr 0
		.amdhsa_user_sgpr_queue_ptr 0
		.amdhsa_user_sgpr_kernarg_segment_ptr 1
		.amdhsa_user_sgpr_dispatch_id 0
		.amdhsa_user_sgpr_kernarg_preload_length 0
		.amdhsa_user_sgpr_kernarg_preload_offset 0
		.amdhsa_user_sgpr_private_segment_size 0
		.amdhsa_uses_dynamic_stack 0
		.amdhsa_enable_private_segment 0
		.amdhsa_system_sgpr_workgroup_id_x 1
		.amdhsa_system_sgpr_workgroup_id_y 0
		.amdhsa_system_sgpr_workgroup_id_z 0
		.amdhsa_system_sgpr_workgroup_info 0
		.amdhsa_system_vgpr_workitem_id 0
		.amdhsa_next_free_vgpr 1
		.amdhsa_next_free_sgpr 0
		.amdhsa_accum_offset 4
		.amdhsa_reserve_vcc 0
		.amdhsa_float_round_mode_32 0
		.amdhsa_float_round_mode_16_64 0
		.amdhsa_float_denorm_mode_32 3
		.amdhsa_float_denorm_mode_16_64 3
		.amdhsa_dx10_clamp 1
		.amdhsa_ieee_mode 1
		.amdhsa_fp16_overflow 0
		.amdhsa_tg_split 0
		.amdhsa_exception_fp_ieee_invalid_op 0
		.amdhsa_exception_fp_denorm_src 0
		.amdhsa_exception_fp_ieee_div_zero 0
		.amdhsa_exception_fp_ieee_overflow 0
		.amdhsa_exception_fp_ieee_underflow 0
		.amdhsa_exception_fp_ieee_inexact 0
		.amdhsa_exception_int_div_zero 0
	.end_amdhsa_kernel
	.section	.text._ZN7rocprim17ROCPRIM_400000_NS6detail17trampoline_kernelINS0_14default_configENS1_27scan_by_key_config_selectorIj11FixedVectorIiLj4EEEEZZNS1_16scan_by_key_implILNS1_25lookback_scan_determinismE0ELb0ES3_N6thrust23THRUST_200600_302600_NS6detail15normal_iteratorINSB_10device_ptrIjEEEENSD_INSE_IS6_EEEESI_S6_NSB_4plusIvEENSB_8equal_toIvEES6_EE10hipError_tPvRmT2_T3_T4_T5_mT6_T7_P12ihipStream_tbENKUlT_T0_E_clISt17integral_constantIbLb0EES13_EEDaSY_SZ_EUlSY_E_NS1_11comp_targetILNS1_3genE4ELNS1_11target_archE910ELNS1_3gpuE8ELNS1_3repE0EEENS1_30default_config_static_selectorELNS0_4arch9wavefront6targetE1EEEvT1_,"axG",@progbits,_ZN7rocprim17ROCPRIM_400000_NS6detail17trampoline_kernelINS0_14default_configENS1_27scan_by_key_config_selectorIj11FixedVectorIiLj4EEEEZZNS1_16scan_by_key_implILNS1_25lookback_scan_determinismE0ELb0ES3_N6thrust23THRUST_200600_302600_NS6detail15normal_iteratorINSB_10device_ptrIjEEEENSD_INSE_IS6_EEEESI_S6_NSB_4plusIvEENSB_8equal_toIvEES6_EE10hipError_tPvRmT2_T3_T4_T5_mT6_T7_P12ihipStream_tbENKUlT_T0_E_clISt17integral_constantIbLb0EES13_EEDaSY_SZ_EUlSY_E_NS1_11comp_targetILNS1_3genE4ELNS1_11target_archE910ELNS1_3gpuE8ELNS1_3repE0EEENS1_30default_config_static_selectorELNS0_4arch9wavefront6targetE1EEEvT1_,comdat
.Lfunc_end2036:
	.size	_ZN7rocprim17ROCPRIM_400000_NS6detail17trampoline_kernelINS0_14default_configENS1_27scan_by_key_config_selectorIj11FixedVectorIiLj4EEEEZZNS1_16scan_by_key_implILNS1_25lookback_scan_determinismE0ELb0ES3_N6thrust23THRUST_200600_302600_NS6detail15normal_iteratorINSB_10device_ptrIjEEEENSD_INSE_IS6_EEEESI_S6_NSB_4plusIvEENSB_8equal_toIvEES6_EE10hipError_tPvRmT2_T3_T4_T5_mT6_T7_P12ihipStream_tbENKUlT_T0_E_clISt17integral_constantIbLb0EES13_EEDaSY_SZ_EUlSY_E_NS1_11comp_targetILNS1_3genE4ELNS1_11target_archE910ELNS1_3gpuE8ELNS1_3repE0EEENS1_30default_config_static_selectorELNS0_4arch9wavefront6targetE1EEEvT1_, .Lfunc_end2036-_ZN7rocprim17ROCPRIM_400000_NS6detail17trampoline_kernelINS0_14default_configENS1_27scan_by_key_config_selectorIj11FixedVectorIiLj4EEEEZZNS1_16scan_by_key_implILNS1_25lookback_scan_determinismE0ELb0ES3_N6thrust23THRUST_200600_302600_NS6detail15normal_iteratorINSB_10device_ptrIjEEEENSD_INSE_IS6_EEEESI_S6_NSB_4plusIvEENSB_8equal_toIvEES6_EE10hipError_tPvRmT2_T3_T4_T5_mT6_T7_P12ihipStream_tbENKUlT_T0_E_clISt17integral_constantIbLb0EES13_EEDaSY_SZ_EUlSY_E_NS1_11comp_targetILNS1_3genE4ELNS1_11target_archE910ELNS1_3gpuE8ELNS1_3repE0EEENS1_30default_config_static_selectorELNS0_4arch9wavefront6targetE1EEEvT1_
                                        ; -- End function
	.section	.AMDGPU.csdata,"",@progbits
; Kernel info:
; codeLenInByte = 0
; NumSgprs: 6
; NumVgprs: 0
; NumAgprs: 0
; TotalNumVgprs: 0
; ScratchSize: 0
; MemoryBound: 0
; FloatMode: 240
; IeeeMode: 1
; LDSByteSize: 0 bytes/workgroup (compile time only)
; SGPRBlocks: 0
; VGPRBlocks: 0
; NumSGPRsForWavesPerEU: 6
; NumVGPRsForWavesPerEU: 1
; AccumOffset: 4
; Occupancy: 8
; WaveLimiterHint : 0
; COMPUTE_PGM_RSRC2:SCRATCH_EN: 0
; COMPUTE_PGM_RSRC2:USER_SGPR: 2
; COMPUTE_PGM_RSRC2:TRAP_HANDLER: 0
; COMPUTE_PGM_RSRC2:TGID_X_EN: 1
; COMPUTE_PGM_RSRC2:TGID_Y_EN: 0
; COMPUTE_PGM_RSRC2:TGID_Z_EN: 0
; COMPUTE_PGM_RSRC2:TIDIG_COMP_CNT: 0
; COMPUTE_PGM_RSRC3_GFX90A:ACCUM_OFFSET: 0
; COMPUTE_PGM_RSRC3_GFX90A:TG_SPLIT: 0
	.section	.text._ZN7rocprim17ROCPRIM_400000_NS6detail17trampoline_kernelINS0_14default_configENS1_27scan_by_key_config_selectorIj11FixedVectorIiLj4EEEEZZNS1_16scan_by_key_implILNS1_25lookback_scan_determinismE0ELb0ES3_N6thrust23THRUST_200600_302600_NS6detail15normal_iteratorINSB_10device_ptrIjEEEENSD_INSE_IS6_EEEESI_S6_NSB_4plusIvEENSB_8equal_toIvEES6_EE10hipError_tPvRmT2_T3_T4_T5_mT6_T7_P12ihipStream_tbENKUlT_T0_E_clISt17integral_constantIbLb0EES13_EEDaSY_SZ_EUlSY_E_NS1_11comp_targetILNS1_3genE3ELNS1_11target_archE908ELNS1_3gpuE7ELNS1_3repE0EEENS1_30default_config_static_selectorELNS0_4arch9wavefront6targetE1EEEvT1_,"axG",@progbits,_ZN7rocprim17ROCPRIM_400000_NS6detail17trampoline_kernelINS0_14default_configENS1_27scan_by_key_config_selectorIj11FixedVectorIiLj4EEEEZZNS1_16scan_by_key_implILNS1_25lookback_scan_determinismE0ELb0ES3_N6thrust23THRUST_200600_302600_NS6detail15normal_iteratorINSB_10device_ptrIjEEEENSD_INSE_IS6_EEEESI_S6_NSB_4plusIvEENSB_8equal_toIvEES6_EE10hipError_tPvRmT2_T3_T4_T5_mT6_T7_P12ihipStream_tbENKUlT_T0_E_clISt17integral_constantIbLb0EES13_EEDaSY_SZ_EUlSY_E_NS1_11comp_targetILNS1_3genE3ELNS1_11target_archE908ELNS1_3gpuE7ELNS1_3repE0EEENS1_30default_config_static_selectorELNS0_4arch9wavefront6targetE1EEEvT1_,comdat
	.protected	_ZN7rocprim17ROCPRIM_400000_NS6detail17trampoline_kernelINS0_14default_configENS1_27scan_by_key_config_selectorIj11FixedVectorIiLj4EEEEZZNS1_16scan_by_key_implILNS1_25lookback_scan_determinismE0ELb0ES3_N6thrust23THRUST_200600_302600_NS6detail15normal_iteratorINSB_10device_ptrIjEEEENSD_INSE_IS6_EEEESI_S6_NSB_4plusIvEENSB_8equal_toIvEES6_EE10hipError_tPvRmT2_T3_T4_T5_mT6_T7_P12ihipStream_tbENKUlT_T0_E_clISt17integral_constantIbLb0EES13_EEDaSY_SZ_EUlSY_E_NS1_11comp_targetILNS1_3genE3ELNS1_11target_archE908ELNS1_3gpuE7ELNS1_3repE0EEENS1_30default_config_static_selectorELNS0_4arch9wavefront6targetE1EEEvT1_ ; -- Begin function _ZN7rocprim17ROCPRIM_400000_NS6detail17trampoline_kernelINS0_14default_configENS1_27scan_by_key_config_selectorIj11FixedVectorIiLj4EEEEZZNS1_16scan_by_key_implILNS1_25lookback_scan_determinismE0ELb0ES3_N6thrust23THRUST_200600_302600_NS6detail15normal_iteratorINSB_10device_ptrIjEEEENSD_INSE_IS6_EEEESI_S6_NSB_4plusIvEENSB_8equal_toIvEES6_EE10hipError_tPvRmT2_T3_T4_T5_mT6_T7_P12ihipStream_tbENKUlT_T0_E_clISt17integral_constantIbLb0EES13_EEDaSY_SZ_EUlSY_E_NS1_11comp_targetILNS1_3genE3ELNS1_11target_archE908ELNS1_3gpuE7ELNS1_3repE0EEENS1_30default_config_static_selectorELNS0_4arch9wavefront6targetE1EEEvT1_
	.globl	_ZN7rocprim17ROCPRIM_400000_NS6detail17trampoline_kernelINS0_14default_configENS1_27scan_by_key_config_selectorIj11FixedVectorIiLj4EEEEZZNS1_16scan_by_key_implILNS1_25lookback_scan_determinismE0ELb0ES3_N6thrust23THRUST_200600_302600_NS6detail15normal_iteratorINSB_10device_ptrIjEEEENSD_INSE_IS6_EEEESI_S6_NSB_4plusIvEENSB_8equal_toIvEES6_EE10hipError_tPvRmT2_T3_T4_T5_mT6_T7_P12ihipStream_tbENKUlT_T0_E_clISt17integral_constantIbLb0EES13_EEDaSY_SZ_EUlSY_E_NS1_11comp_targetILNS1_3genE3ELNS1_11target_archE908ELNS1_3gpuE7ELNS1_3repE0EEENS1_30default_config_static_selectorELNS0_4arch9wavefront6targetE1EEEvT1_
	.p2align	8
	.type	_ZN7rocprim17ROCPRIM_400000_NS6detail17trampoline_kernelINS0_14default_configENS1_27scan_by_key_config_selectorIj11FixedVectorIiLj4EEEEZZNS1_16scan_by_key_implILNS1_25lookback_scan_determinismE0ELb0ES3_N6thrust23THRUST_200600_302600_NS6detail15normal_iteratorINSB_10device_ptrIjEEEENSD_INSE_IS6_EEEESI_S6_NSB_4plusIvEENSB_8equal_toIvEES6_EE10hipError_tPvRmT2_T3_T4_T5_mT6_T7_P12ihipStream_tbENKUlT_T0_E_clISt17integral_constantIbLb0EES13_EEDaSY_SZ_EUlSY_E_NS1_11comp_targetILNS1_3genE3ELNS1_11target_archE908ELNS1_3gpuE7ELNS1_3repE0EEENS1_30default_config_static_selectorELNS0_4arch9wavefront6targetE1EEEvT1_,@function
_ZN7rocprim17ROCPRIM_400000_NS6detail17trampoline_kernelINS0_14default_configENS1_27scan_by_key_config_selectorIj11FixedVectorIiLj4EEEEZZNS1_16scan_by_key_implILNS1_25lookback_scan_determinismE0ELb0ES3_N6thrust23THRUST_200600_302600_NS6detail15normal_iteratorINSB_10device_ptrIjEEEENSD_INSE_IS6_EEEESI_S6_NSB_4plusIvEENSB_8equal_toIvEES6_EE10hipError_tPvRmT2_T3_T4_T5_mT6_T7_P12ihipStream_tbENKUlT_T0_E_clISt17integral_constantIbLb0EES13_EEDaSY_SZ_EUlSY_E_NS1_11comp_targetILNS1_3genE3ELNS1_11target_archE908ELNS1_3gpuE7ELNS1_3repE0EEENS1_30default_config_static_selectorELNS0_4arch9wavefront6targetE1EEEvT1_: ; @_ZN7rocprim17ROCPRIM_400000_NS6detail17trampoline_kernelINS0_14default_configENS1_27scan_by_key_config_selectorIj11FixedVectorIiLj4EEEEZZNS1_16scan_by_key_implILNS1_25lookback_scan_determinismE0ELb0ES3_N6thrust23THRUST_200600_302600_NS6detail15normal_iteratorINSB_10device_ptrIjEEEENSD_INSE_IS6_EEEESI_S6_NSB_4plusIvEENSB_8equal_toIvEES6_EE10hipError_tPvRmT2_T3_T4_T5_mT6_T7_P12ihipStream_tbENKUlT_T0_E_clISt17integral_constantIbLb0EES13_EEDaSY_SZ_EUlSY_E_NS1_11comp_targetILNS1_3genE3ELNS1_11target_archE908ELNS1_3gpuE7ELNS1_3repE0EEENS1_30default_config_static_selectorELNS0_4arch9wavefront6targetE1EEEvT1_
; %bb.0:
	.section	.rodata,"a",@progbits
	.p2align	6, 0x0
	.amdhsa_kernel _ZN7rocprim17ROCPRIM_400000_NS6detail17trampoline_kernelINS0_14default_configENS1_27scan_by_key_config_selectorIj11FixedVectorIiLj4EEEEZZNS1_16scan_by_key_implILNS1_25lookback_scan_determinismE0ELb0ES3_N6thrust23THRUST_200600_302600_NS6detail15normal_iteratorINSB_10device_ptrIjEEEENSD_INSE_IS6_EEEESI_S6_NSB_4plusIvEENSB_8equal_toIvEES6_EE10hipError_tPvRmT2_T3_T4_T5_mT6_T7_P12ihipStream_tbENKUlT_T0_E_clISt17integral_constantIbLb0EES13_EEDaSY_SZ_EUlSY_E_NS1_11comp_targetILNS1_3genE3ELNS1_11target_archE908ELNS1_3gpuE7ELNS1_3repE0EEENS1_30default_config_static_selectorELNS0_4arch9wavefront6targetE1EEEvT1_
		.amdhsa_group_segment_fixed_size 0
		.amdhsa_private_segment_fixed_size 0
		.amdhsa_kernarg_size 144
		.amdhsa_user_sgpr_count 2
		.amdhsa_user_sgpr_dispatch_ptr 0
		.amdhsa_user_sgpr_queue_ptr 0
		.amdhsa_user_sgpr_kernarg_segment_ptr 1
		.amdhsa_user_sgpr_dispatch_id 0
		.amdhsa_user_sgpr_kernarg_preload_length 0
		.amdhsa_user_sgpr_kernarg_preload_offset 0
		.amdhsa_user_sgpr_private_segment_size 0
		.amdhsa_uses_dynamic_stack 0
		.amdhsa_enable_private_segment 0
		.amdhsa_system_sgpr_workgroup_id_x 1
		.amdhsa_system_sgpr_workgroup_id_y 0
		.amdhsa_system_sgpr_workgroup_id_z 0
		.amdhsa_system_sgpr_workgroup_info 0
		.amdhsa_system_vgpr_workitem_id 0
		.amdhsa_next_free_vgpr 1
		.amdhsa_next_free_sgpr 0
		.amdhsa_accum_offset 4
		.amdhsa_reserve_vcc 0
		.amdhsa_float_round_mode_32 0
		.amdhsa_float_round_mode_16_64 0
		.amdhsa_float_denorm_mode_32 3
		.amdhsa_float_denorm_mode_16_64 3
		.amdhsa_dx10_clamp 1
		.amdhsa_ieee_mode 1
		.amdhsa_fp16_overflow 0
		.amdhsa_tg_split 0
		.amdhsa_exception_fp_ieee_invalid_op 0
		.amdhsa_exception_fp_denorm_src 0
		.amdhsa_exception_fp_ieee_div_zero 0
		.amdhsa_exception_fp_ieee_overflow 0
		.amdhsa_exception_fp_ieee_underflow 0
		.amdhsa_exception_fp_ieee_inexact 0
		.amdhsa_exception_int_div_zero 0
	.end_amdhsa_kernel
	.section	.text._ZN7rocprim17ROCPRIM_400000_NS6detail17trampoline_kernelINS0_14default_configENS1_27scan_by_key_config_selectorIj11FixedVectorIiLj4EEEEZZNS1_16scan_by_key_implILNS1_25lookback_scan_determinismE0ELb0ES3_N6thrust23THRUST_200600_302600_NS6detail15normal_iteratorINSB_10device_ptrIjEEEENSD_INSE_IS6_EEEESI_S6_NSB_4plusIvEENSB_8equal_toIvEES6_EE10hipError_tPvRmT2_T3_T4_T5_mT6_T7_P12ihipStream_tbENKUlT_T0_E_clISt17integral_constantIbLb0EES13_EEDaSY_SZ_EUlSY_E_NS1_11comp_targetILNS1_3genE3ELNS1_11target_archE908ELNS1_3gpuE7ELNS1_3repE0EEENS1_30default_config_static_selectorELNS0_4arch9wavefront6targetE1EEEvT1_,"axG",@progbits,_ZN7rocprim17ROCPRIM_400000_NS6detail17trampoline_kernelINS0_14default_configENS1_27scan_by_key_config_selectorIj11FixedVectorIiLj4EEEEZZNS1_16scan_by_key_implILNS1_25lookback_scan_determinismE0ELb0ES3_N6thrust23THRUST_200600_302600_NS6detail15normal_iteratorINSB_10device_ptrIjEEEENSD_INSE_IS6_EEEESI_S6_NSB_4plusIvEENSB_8equal_toIvEES6_EE10hipError_tPvRmT2_T3_T4_T5_mT6_T7_P12ihipStream_tbENKUlT_T0_E_clISt17integral_constantIbLb0EES13_EEDaSY_SZ_EUlSY_E_NS1_11comp_targetILNS1_3genE3ELNS1_11target_archE908ELNS1_3gpuE7ELNS1_3repE0EEENS1_30default_config_static_selectorELNS0_4arch9wavefront6targetE1EEEvT1_,comdat
.Lfunc_end2037:
	.size	_ZN7rocprim17ROCPRIM_400000_NS6detail17trampoline_kernelINS0_14default_configENS1_27scan_by_key_config_selectorIj11FixedVectorIiLj4EEEEZZNS1_16scan_by_key_implILNS1_25lookback_scan_determinismE0ELb0ES3_N6thrust23THRUST_200600_302600_NS6detail15normal_iteratorINSB_10device_ptrIjEEEENSD_INSE_IS6_EEEESI_S6_NSB_4plusIvEENSB_8equal_toIvEES6_EE10hipError_tPvRmT2_T3_T4_T5_mT6_T7_P12ihipStream_tbENKUlT_T0_E_clISt17integral_constantIbLb0EES13_EEDaSY_SZ_EUlSY_E_NS1_11comp_targetILNS1_3genE3ELNS1_11target_archE908ELNS1_3gpuE7ELNS1_3repE0EEENS1_30default_config_static_selectorELNS0_4arch9wavefront6targetE1EEEvT1_, .Lfunc_end2037-_ZN7rocprim17ROCPRIM_400000_NS6detail17trampoline_kernelINS0_14default_configENS1_27scan_by_key_config_selectorIj11FixedVectorIiLj4EEEEZZNS1_16scan_by_key_implILNS1_25lookback_scan_determinismE0ELb0ES3_N6thrust23THRUST_200600_302600_NS6detail15normal_iteratorINSB_10device_ptrIjEEEENSD_INSE_IS6_EEEESI_S6_NSB_4plusIvEENSB_8equal_toIvEES6_EE10hipError_tPvRmT2_T3_T4_T5_mT6_T7_P12ihipStream_tbENKUlT_T0_E_clISt17integral_constantIbLb0EES13_EEDaSY_SZ_EUlSY_E_NS1_11comp_targetILNS1_3genE3ELNS1_11target_archE908ELNS1_3gpuE7ELNS1_3repE0EEENS1_30default_config_static_selectorELNS0_4arch9wavefront6targetE1EEEvT1_
                                        ; -- End function
	.section	.AMDGPU.csdata,"",@progbits
; Kernel info:
; codeLenInByte = 0
; NumSgprs: 6
; NumVgprs: 0
; NumAgprs: 0
; TotalNumVgprs: 0
; ScratchSize: 0
; MemoryBound: 0
; FloatMode: 240
; IeeeMode: 1
; LDSByteSize: 0 bytes/workgroup (compile time only)
; SGPRBlocks: 0
; VGPRBlocks: 0
; NumSGPRsForWavesPerEU: 6
; NumVGPRsForWavesPerEU: 1
; AccumOffset: 4
; Occupancy: 8
; WaveLimiterHint : 0
; COMPUTE_PGM_RSRC2:SCRATCH_EN: 0
; COMPUTE_PGM_RSRC2:USER_SGPR: 2
; COMPUTE_PGM_RSRC2:TRAP_HANDLER: 0
; COMPUTE_PGM_RSRC2:TGID_X_EN: 1
; COMPUTE_PGM_RSRC2:TGID_Y_EN: 0
; COMPUTE_PGM_RSRC2:TGID_Z_EN: 0
; COMPUTE_PGM_RSRC2:TIDIG_COMP_CNT: 0
; COMPUTE_PGM_RSRC3_GFX90A:ACCUM_OFFSET: 0
; COMPUTE_PGM_RSRC3_GFX90A:TG_SPLIT: 0
	.section	.text._ZN7rocprim17ROCPRIM_400000_NS6detail17trampoline_kernelINS0_14default_configENS1_27scan_by_key_config_selectorIj11FixedVectorIiLj4EEEEZZNS1_16scan_by_key_implILNS1_25lookback_scan_determinismE0ELb0ES3_N6thrust23THRUST_200600_302600_NS6detail15normal_iteratorINSB_10device_ptrIjEEEENSD_INSE_IS6_EEEESI_S6_NSB_4plusIvEENSB_8equal_toIvEES6_EE10hipError_tPvRmT2_T3_T4_T5_mT6_T7_P12ihipStream_tbENKUlT_T0_E_clISt17integral_constantIbLb0EES13_EEDaSY_SZ_EUlSY_E_NS1_11comp_targetILNS1_3genE2ELNS1_11target_archE906ELNS1_3gpuE6ELNS1_3repE0EEENS1_30default_config_static_selectorELNS0_4arch9wavefront6targetE1EEEvT1_,"axG",@progbits,_ZN7rocprim17ROCPRIM_400000_NS6detail17trampoline_kernelINS0_14default_configENS1_27scan_by_key_config_selectorIj11FixedVectorIiLj4EEEEZZNS1_16scan_by_key_implILNS1_25lookback_scan_determinismE0ELb0ES3_N6thrust23THRUST_200600_302600_NS6detail15normal_iteratorINSB_10device_ptrIjEEEENSD_INSE_IS6_EEEESI_S6_NSB_4plusIvEENSB_8equal_toIvEES6_EE10hipError_tPvRmT2_T3_T4_T5_mT6_T7_P12ihipStream_tbENKUlT_T0_E_clISt17integral_constantIbLb0EES13_EEDaSY_SZ_EUlSY_E_NS1_11comp_targetILNS1_3genE2ELNS1_11target_archE906ELNS1_3gpuE6ELNS1_3repE0EEENS1_30default_config_static_selectorELNS0_4arch9wavefront6targetE1EEEvT1_,comdat
	.protected	_ZN7rocprim17ROCPRIM_400000_NS6detail17trampoline_kernelINS0_14default_configENS1_27scan_by_key_config_selectorIj11FixedVectorIiLj4EEEEZZNS1_16scan_by_key_implILNS1_25lookback_scan_determinismE0ELb0ES3_N6thrust23THRUST_200600_302600_NS6detail15normal_iteratorINSB_10device_ptrIjEEEENSD_INSE_IS6_EEEESI_S6_NSB_4plusIvEENSB_8equal_toIvEES6_EE10hipError_tPvRmT2_T3_T4_T5_mT6_T7_P12ihipStream_tbENKUlT_T0_E_clISt17integral_constantIbLb0EES13_EEDaSY_SZ_EUlSY_E_NS1_11comp_targetILNS1_3genE2ELNS1_11target_archE906ELNS1_3gpuE6ELNS1_3repE0EEENS1_30default_config_static_selectorELNS0_4arch9wavefront6targetE1EEEvT1_ ; -- Begin function _ZN7rocprim17ROCPRIM_400000_NS6detail17trampoline_kernelINS0_14default_configENS1_27scan_by_key_config_selectorIj11FixedVectorIiLj4EEEEZZNS1_16scan_by_key_implILNS1_25lookback_scan_determinismE0ELb0ES3_N6thrust23THRUST_200600_302600_NS6detail15normal_iteratorINSB_10device_ptrIjEEEENSD_INSE_IS6_EEEESI_S6_NSB_4plusIvEENSB_8equal_toIvEES6_EE10hipError_tPvRmT2_T3_T4_T5_mT6_T7_P12ihipStream_tbENKUlT_T0_E_clISt17integral_constantIbLb0EES13_EEDaSY_SZ_EUlSY_E_NS1_11comp_targetILNS1_3genE2ELNS1_11target_archE906ELNS1_3gpuE6ELNS1_3repE0EEENS1_30default_config_static_selectorELNS0_4arch9wavefront6targetE1EEEvT1_
	.globl	_ZN7rocprim17ROCPRIM_400000_NS6detail17trampoline_kernelINS0_14default_configENS1_27scan_by_key_config_selectorIj11FixedVectorIiLj4EEEEZZNS1_16scan_by_key_implILNS1_25lookback_scan_determinismE0ELb0ES3_N6thrust23THRUST_200600_302600_NS6detail15normal_iteratorINSB_10device_ptrIjEEEENSD_INSE_IS6_EEEESI_S6_NSB_4plusIvEENSB_8equal_toIvEES6_EE10hipError_tPvRmT2_T3_T4_T5_mT6_T7_P12ihipStream_tbENKUlT_T0_E_clISt17integral_constantIbLb0EES13_EEDaSY_SZ_EUlSY_E_NS1_11comp_targetILNS1_3genE2ELNS1_11target_archE906ELNS1_3gpuE6ELNS1_3repE0EEENS1_30default_config_static_selectorELNS0_4arch9wavefront6targetE1EEEvT1_
	.p2align	8
	.type	_ZN7rocprim17ROCPRIM_400000_NS6detail17trampoline_kernelINS0_14default_configENS1_27scan_by_key_config_selectorIj11FixedVectorIiLj4EEEEZZNS1_16scan_by_key_implILNS1_25lookback_scan_determinismE0ELb0ES3_N6thrust23THRUST_200600_302600_NS6detail15normal_iteratorINSB_10device_ptrIjEEEENSD_INSE_IS6_EEEESI_S6_NSB_4plusIvEENSB_8equal_toIvEES6_EE10hipError_tPvRmT2_T3_T4_T5_mT6_T7_P12ihipStream_tbENKUlT_T0_E_clISt17integral_constantIbLb0EES13_EEDaSY_SZ_EUlSY_E_NS1_11comp_targetILNS1_3genE2ELNS1_11target_archE906ELNS1_3gpuE6ELNS1_3repE0EEENS1_30default_config_static_selectorELNS0_4arch9wavefront6targetE1EEEvT1_,@function
_ZN7rocprim17ROCPRIM_400000_NS6detail17trampoline_kernelINS0_14default_configENS1_27scan_by_key_config_selectorIj11FixedVectorIiLj4EEEEZZNS1_16scan_by_key_implILNS1_25lookback_scan_determinismE0ELb0ES3_N6thrust23THRUST_200600_302600_NS6detail15normal_iteratorINSB_10device_ptrIjEEEENSD_INSE_IS6_EEEESI_S6_NSB_4plusIvEENSB_8equal_toIvEES6_EE10hipError_tPvRmT2_T3_T4_T5_mT6_T7_P12ihipStream_tbENKUlT_T0_E_clISt17integral_constantIbLb0EES13_EEDaSY_SZ_EUlSY_E_NS1_11comp_targetILNS1_3genE2ELNS1_11target_archE906ELNS1_3gpuE6ELNS1_3repE0EEENS1_30default_config_static_selectorELNS0_4arch9wavefront6targetE1EEEvT1_: ; @_ZN7rocprim17ROCPRIM_400000_NS6detail17trampoline_kernelINS0_14default_configENS1_27scan_by_key_config_selectorIj11FixedVectorIiLj4EEEEZZNS1_16scan_by_key_implILNS1_25lookback_scan_determinismE0ELb0ES3_N6thrust23THRUST_200600_302600_NS6detail15normal_iteratorINSB_10device_ptrIjEEEENSD_INSE_IS6_EEEESI_S6_NSB_4plusIvEENSB_8equal_toIvEES6_EE10hipError_tPvRmT2_T3_T4_T5_mT6_T7_P12ihipStream_tbENKUlT_T0_E_clISt17integral_constantIbLb0EES13_EEDaSY_SZ_EUlSY_E_NS1_11comp_targetILNS1_3genE2ELNS1_11target_archE906ELNS1_3gpuE6ELNS1_3repE0EEENS1_30default_config_static_selectorELNS0_4arch9wavefront6targetE1EEEvT1_
; %bb.0:
	.section	.rodata,"a",@progbits
	.p2align	6, 0x0
	.amdhsa_kernel _ZN7rocprim17ROCPRIM_400000_NS6detail17trampoline_kernelINS0_14default_configENS1_27scan_by_key_config_selectorIj11FixedVectorIiLj4EEEEZZNS1_16scan_by_key_implILNS1_25lookback_scan_determinismE0ELb0ES3_N6thrust23THRUST_200600_302600_NS6detail15normal_iteratorINSB_10device_ptrIjEEEENSD_INSE_IS6_EEEESI_S6_NSB_4plusIvEENSB_8equal_toIvEES6_EE10hipError_tPvRmT2_T3_T4_T5_mT6_T7_P12ihipStream_tbENKUlT_T0_E_clISt17integral_constantIbLb0EES13_EEDaSY_SZ_EUlSY_E_NS1_11comp_targetILNS1_3genE2ELNS1_11target_archE906ELNS1_3gpuE6ELNS1_3repE0EEENS1_30default_config_static_selectorELNS0_4arch9wavefront6targetE1EEEvT1_
		.amdhsa_group_segment_fixed_size 0
		.amdhsa_private_segment_fixed_size 0
		.amdhsa_kernarg_size 144
		.amdhsa_user_sgpr_count 2
		.amdhsa_user_sgpr_dispatch_ptr 0
		.amdhsa_user_sgpr_queue_ptr 0
		.amdhsa_user_sgpr_kernarg_segment_ptr 1
		.amdhsa_user_sgpr_dispatch_id 0
		.amdhsa_user_sgpr_kernarg_preload_length 0
		.amdhsa_user_sgpr_kernarg_preload_offset 0
		.amdhsa_user_sgpr_private_segment_size 0
		.amdhsa_uses_dynamic_stack 0
		.amdhsa_enable_private_segment 0
		.amdhsa_system_sgpr_workgroup_id_x 1
		.amdhsa_system_sgpr_workgroup_id_y 0
		.amdhsa_system_sgpr_workgroup_id_z 0
		.amdhsa_system_sgpr_workgroup_info 0
		.amdhsa_system_vgpr_workitem_id 0
		.amdhsa_next_free_vgpr 1
		.amdhsa_next_free_sgpr 0
		.amdhsa_accum_offset 4
		.amdhsa_reserve_vcc 0
		.amdhsa_float_round_mode_32 0
		.amdhsa_float_round_mode_16_64 0
		.amdhsa_float_denorm_mode_32 3
		.amdhsa_float_denorm_mode_16_64 3
		.amdhsa_dx10_clamp 1
		.amdhsa_ieee_mode 1
		.amdhsa_fp16_overflow 0
		.amdhsa_tg_split 0
		.amdhsa_exception_fp_ieee_invalid_op 0
		.amdhsa_exception_fp_denorm_src 0
		.amdhsa_exception_fp_ieee_div_zero 0
		.amdhsa_exception_fp_ieee_overflow 0
		.amdhsa_exception_fp_ieee_underflow 0
		.amdhsa_exception_fp_ieee_inexact 0
		.amdhsa_exception_int_div_zero 0
	.end_amdhsa_kernel
	.section	.text._ZN7rocprim17ROCPRIM_400000_NS6detail17trampoline_kernelINS0_14default_configENS1_27scan_by_key_config_selectorIj11FixedVectorIiLj4EEEEZZNS1_16scan_by_key_implILNS1_25lookback_scan_determinismE0ELb0ES3_N6thrust23THRUST_200600_302600_NS6detail15normal_iteratorINSB_10device_ptrIjEEEENSD_INSE_IS6_EEEESI_S6_NSB_4plusIvEENSB_8equal_toIvEES6_EE10hipError_tPvRmT2_T3_T4_T5_mT6_T7_P12ihipStream_tbENKUlT_T0_E_clISt17integral_constantIbLb0EES13_EEDaSY_SZ_EUlSY_E_NS1_11comp_targetILNS1_3genE2ELNS1_11target_archE906ELNS1_3gpuE6ELNS1_3repE0EEENS1_30default_config_static_selectorELNS0_4arch9wavefront6targetE1EEEvT1_,"axG",@progbits,_ZN7rocprim17ROCPRIM_400000_NS6detail17trampoline_kernelINS0_14default_configENS1_27scan_by_key_config_selectorIj11FixedVectorIiLj4EEEEZZNS1_16scan_by_key_implILNS1_25lookback_scan_determinismE0ELb0ES3_N6thrust23THRUST_200600_302600_NS6detail15normal_iteratorINSB_10device_ptrIjEEEENSD_INSE_IS6_EEEESI_S6_NSB_4plusIvEENSB_8equal_toIvEES6_EE10hipError_tPvRmT2_T3_T4_T5_mT6_T7_P12ihipStream_tbENKUlT_T0_E_clISt17integral_constantIbLb0EES13_EEDaSY_SZ_EUlSY_E_NS1_11comp_targetILNS1_3genE2ELNS1_11target_archE906ELNS1_3gpuE6ELNS1_3repE0EEENS1_30default_config_static_selectorELNS0_4arch9wavefront6targetE1EEEvT1_,comdat
.Lfunc_end2038:
	.size	_ZN7rocprim17ROCPRIM_400000_NS6detail17trampoline_kernelINS0_14default_configENS1_27scan_by_key_config_selectorIj11FixedVectorIiLj4EEEEZZNS1_16scan_by_key_implILNS1_25lookback_scan_determinismE0ELb0ES3_N6thrust23THRUST_200600_302600_NS6detail15normal_iteratorINSB_10device_ptrIjEEEENSD_INSE_IS6_EEEESI_S6_NSB_4plusIvEENSB_8equal_toIvEES6_EE10hipError_tPvRmT2_T3_T4_T5_mT6_T7_P12ihipStream_tbENKUlT_T0_E_clISt17integral_constantIbLb0EES13_EEDaSY_SZ_EUlSY_E_NS1_11comp_targetILNS1_3genE2ELNS1_11target_archE906ELNS1_3gpuE6ELNS1_3repE0EEENS1_30default_config_static_selectorELNS0_4arch9wavefront6targetE1EEEvT1_, .Lfunc_end2038-_ZN7rocprim17ROCPRIM_400000_NS6detail17trampoline_kernelINS0_14default_configENS1_27scan_by_key_config_selectorIj11FixedVectorIiLj4EEEEZZNS1_16scan_by_key_implILNS1_25lookback_scan_determinismE0ELb0ES3_N6thrust23THRUST_200600_302600_NS6detail15normal_iteratorINSB_10device_ptrIjEEEENSD_INSE_IS6_EEEESI_S6_NSB_4plusIvEENSB_8equal_toIvEES6_EE10hipError_tPvRmT2_T3_T4_T5_mT6_T7_P12ihipStream_tbENKUlT_T0_E_clISt17integral_constantIbLb0EES13_EEDaSY_SZ_EUlSY_E_NS1_11comp_targetILNS1_3genE2ELNS1_11target_archE906ELNS1_3gpuE6ELNS1_3repE0EEENS1_30default_config_static_selectorELNS0_4arch9wavefront6targetE1EEEvT1_
                                        ; -- End function
	.section	.AMDGPU.csdata,"",@progbits
; Kernel info:
; codeLenInByte = 0
; NumSgprs: 6
; NumVgprs: 0
; NumAgprs: 0
; TotalNumVgprs: 0
; ScratchSize: 0
; MemoryBound: 0
; FloatMode: 240
; IeeeMode: 1
; LDSByteSize: 0 bytes/workgroup (compile time only)
; SGPRBlocks: 0
; VGPRBlocks: 0
; NumSGPRsForWavesPerEU: 6
; NumVGPRsForWavesPerEU: 1
; AccumOffset: 4
; Occupancy: 8
; WaveLimiterHint : 0
; COMPUTE_PGM_RSRC2:SCRATCH_EN: 0
; COMPUTE_PGM_RSRC2:USER_SGPR: 2
; COMPUTE_PGM_RSRC2:TRAP_HANDLER: 0
; COMPUTE_PGM_RSRC2:TGID_X_EN: 1
; COMPUTE_PGM_RSRC2:TGID_Y_EN: 0
; COMPUTE_PGM_RSRC2:TGID_Z_EN: 0
; COMPUTE_PGM_RSRC2:TIDIG_COMP_CNT: 0
; COMPUTE_PGM_RSRC3_GFX90A:ACCUM_OFFSET: 0
; COMPUTE_PGM_RSRC3_GFX90A:TG_SPLIT: 0
	.section	.text._ZN7rocprim17ROCPRIM_400000_NS6detail17trampoline_kernelINS0_14default_configENS1_27scan_by_key_config_selectorIj11FixedVectorIiLj4EEEEZZNS1_16scan_by_key_implILNS1_25lookback_scan_determinismE0ELb0ES3_N6thrust23THRUST_200600_302600_NS6detail15normal_iteratorINSB_10device_ptrIjEEEENSD_INSE_IS6_EEEESI_S6_NSB_4plusIvEENSB_8equal_toIvEES6_EE10hipError_tPvRmT2_T3_T4_T5_mT6_T7_P12ihipStream_tbENKUlT_T0_E_clISt17integral_constantIbLb0EES13_EEDaSY_SZ_EUlSY_E_NS1_11comp_targetILNS1_3genE10ELNS1_11target_archE1200ELNS1_3gpuE4ELNS1_3repE0EEENS1_30default_config_static_selectorELNS0_4arch9wavefront6targetE1EEEvT1_,"axG",@progbits,_ZN7rocprim17ROCPRIM_400000_NS6detail17trampoline_kernelINS0_14default_configENS1_27scan_by_key_config_selectorIj11FixedVectorIiLj4EEEEZZNS1_16scan_by_key_implILNS1_25lookback_scan_determinismE0ELb0ES3_N6thrust23THRUST_200600_302600_NS6detail15normal_iteratorINSB_10device_ptrIjEEEENSD_INSE_IS6_EEEESI_S6_NSB_4plusIvEENSB_8equal_toIvEES6_EE10hipError_tPvRmT2_T3_T4_T5_mT6_T7_P12ihipStream_tbENKUlT_T0_E_clISt17integral_constantIbLb0EES13_EEDaSY_SZ_EUlSY_E_NS1_11comp_targetILNS1_3genE10ELNS1_11target_archE1200ELNS1_3gpuE4ELNS1_3repE0EEENS1_30default_config_static_selectorELNS0_4arch9wavefront6targetE1EEEvT1_,comdat
	.protected	_ZN7rocprim17ROCPRIM_400000_NS6detail17trampoline_kernelINS0_14default_configENS1_27scan_by_key_config_selectorIj11FixedVectorIiLj4EEEEZZNS1_16scan_by_key_implILNS1_25lookback_scan_determinismE0ELb0ES3_N6thrust23THRUST_200600_302600_NS6detail15normal_iteratorINSB_10device_ptrIjEEEENSD_INSE_IS6_EEEESI_S6_NSB_4plusIvEENSB_8equal_toIvEES6_EE10hipError_tPvRmT2_T3_T4_T5_mT6_T7_P12ihipStream_tbENKUlT_T0_E_clISt17integral_constantIbLb0EES13_EEDaSY_SZ_EUlSY_E_NS1_11comp_targetILNS1_3genE10ELNS1_11target_archE1200ELNS1_3gpuE4ELNS1_3repE0EEENS1_30default_config_static_selectorELNS0_4arch9wavefront6targetE1EEEvT1_ ; -- Begin function _ZN7rocprim17ROCPRIM_400000_NS6detail17trampoline_kernelINS0_14default_configENS1_27scan_by_key_config_selectorIj11FixedVectorIiLj4EEEEZZNS1_16scan_by_key_implILNS1_25lookback_scan_determinismE0ELb0ES3_N6thrust23THRUST_200600_302600_NS6detail15normal_iteratorINSB_10device_ptrIjEEEENSD_INSE_IS6_EEEESI_S6_NSB_4plusIvEENSB_8equal_toIvEES6_EE10hipError_tPvRmT2_T3_T4_T5_mT6_T7_P12ihipStream_tbENKUlT_T0_E_clISt17integral_constantIbLb0EES13_EEDaSY_SZ_EUlSY_E_NS1_11comp_targetILNS1_3genE10ELNS1_11target_archE1200ELNS1_3gpuE4ELNS1_3repE0EEENS1_30default_config_static_selectorELNS0_4arch9wavefront6targetE1EEEvT1_
	.globl	_ZN7rocprim17ROCPRIM_400000_NS6detail17trampoline_kernelINS0_14default_configENS1_27scan_by_key_config_selectorIj11FixedVectorIiLj4EEEEZZNS1_16scan_by_key_implILNS1_25lookback_scan_determinismE0ELb0ES3_N6thrust23THRUST_200600_302600_NS6detail15normal_iteratorINSB_10device_ptrIjEEEENSD_INSE_IS6_EEEESI_S6_NSB_4plusIvEENSB_8equal_toIvEES6_EE10hipError_tPvRmT2_T3_T4_T5_mT6_T7_P12ihipStream_tbENKUlT_T0_E_clISt17integral_constantIbLb0EES13_EEDaSY_SZ_EUlSY_E_NS1_11comp_targetILNS1_3genE10ELNS1_11target_archE1200ELNS1_3gpuE4ELNS1_3repE0EEENS1_30default_config_static_selectorELNS0_4arch9wavefront6targetE1EEEvT1_
	.p2align	8
	.type	_ZN7rocprim17ROCPRIM_400000_NS6detail17trampoline_kernelINS0_14default_configENS1_27scan_by_key_config_selectorIj11FixedVectorIiLj4EEEEZZNS1_16scan_by_key_implILNS1_25lookback_scan_determinismE0ELb0ES3_N6thrust23THRUST_200600_302600_NS6detail15normal_iteratorINSB_10device_ptrIjEEEENSD_INSE_IS6_EEEESI_S6_NSB_4plusIvEENSB_8equal_toIvEES6_EE10hipError_tPvRmT2_T3_T4_T5_mT6_T7_P12ihipStream_tbENKUlT_T0_E_clISt17integral_constantIbLb0EES13_EEDaSY_SZ_EUlSY_E_NS1_11comp_targetILNS1_3genE10ELNS1_11target_archE1200ELNS1_3gpuE4ELNS1_3repE0EEENS1_30default_config_static_selectorELNS0_4arch9wavefront6targetE1EEEvT1_,@function
_ZN7rocprim17ROCPRIM_400000_NS6detail17trampoline_kernelINS0_14default_configENS1_27scan_by_key_config_selectorIj11FixedVectorIiLj4EEEEZZNS1_16scan_by_key_implILNS1_25lookback_scan_determinismE0ELb0ES3_N6thrust23THRUST_200600_302600_NS6detail15normal_iteratorINSB_10device_ptrIjEEEENSD_INSE_IS6_EEEESI_S6_NSB_4plusIvEENSB_8equal_toIvEES6_EE10hipError_tPvRmT2_T3_T4_T5_mT6_T7_P12ihipStream_tbENKUlT_T0_E_clISt17integral_constantIbLb0EES13_EEDaSY_SZ_EUlSY_E_NS1_11comp_targetILNS1_3genE10ELNS1_11target_archE1200ELNS1_3gpuE4ELNS1_3repE0EEENS1_30default_config_static_selectorELNS0_4arch9wavefront6targetE1EEEvT1_: ; @_ZN7rocprim17ROCPRIM_400000_NS6detail17trampoline_kernelINS0_14default_configENS1_27scan_by_key_config_selectorIj11FixedVectorIiLj4EEEEZZNS1_16scan_by_key_implILNS1_25lookback_scan_determinismE0ELb0ES3_N6thrust23THRUST_200600_302600_NS6detail15normal_iteratorINSB_10device_ptrIjEEEENSD_INSE_IS6_EEEESI_S6_NSB_4plusIvEENSB_8equal_toIvEES6_EE10hipError_tPvRmT2_T3_T4_T5_mT6_T7_P12ihipStream_tbENKUlT_T0_E_clISt17integral_constantIbLb0EES13_EEDaSY_SZ_EUlSY_E_NS1_11comp_targetILNS1_3genE10ELNS1_11target_archE1200ELNS1_3gpuE4ELNS1_3repE0EEENS1_30default_config_static_selectorELNS0_4arch9wavefront6targetE1EEEvT1_
; %bb.0:
	.section	.rodata,"a",@progbits
	.p2align	6, 0x0
	.amdhsa_kernel _ZN7rocprim17ROCPRIM_400000_NS6detail17trampoline_kernelINS0_14default_configENS1_27scan_by_key_config_selectorIj11FixedVectorIiLj4EEEEZZNS1_16scan_by_key_implILNS1_25lookback_scan_determinismE0ELb0ES3_N6thrust23THRUST_200600_302600_NS6detail15normal_iteratorINSB_10device_ptrIjEEEENSD_INSE_IS6_EEEESI_S6_NSB_4plusIvEENSB_8equal_toIvEES6_EE10hipError_tPvRmT2_T3_T4_T5_mT6_T7_P12ihipStream_tbENKUlT_T0_E_clISt17integral_constantIbLb0EES13_EEDaSY_SZ_EUlSY_E_NS1_11comp_targetILNS1_3genE10ELNS1_11target_archE1200ELNS1_3gpuE4ELNS1_3repE0EEENS1_30default_config_static_selectorELNS0_4arch9wavefront6targetE1EEEvT1_
		.amdhsa_group_segment_fixed_size 0
		.amdhsa_private_segment_fixed_size 0
		.amdhsa_kernarg_size 144
		.amdhsa_user_sgpr_count 2
		.amdhsa_user_sgpr_dispatch_ptr 0
		.amdhsa_user_sgpr_queue_ptr 0
		.amdhsa_user_sgpr_kernarg_segment_ptr 1
		.amdhsa_user_sgpr_dispatch_id 0
		.amdhsa_user_sgpr_kernarg_preload_length 0
		.amdhsa_user_sgpr_kernarg_preload_offset 0
		.amdhsa_user_sgpr_private_segment_size 0
		.amdhsa_uses_dynamic_stack 0
		.amdhsa_enable_private_segment 0
		.amdhsa_system_sgpr_workgroup_id_x 1
		.amdhsa_system_sgpr_workgroup_id_y 0
		.amdhsa_system_sgpr_workgroup_id_z 0
		.amdhsa_system_sgpr_workgroup_info 0
		.amdhsa_system_vgpr_workitem_id 0
		.amdhsa_next_free_vgpr 1
		.amdhsa_next_free_sgpr 0
		.amdhsa_accum_offset 4
		.amdhsa_reserve_vcc 0
		.amdhsa_float_round_mode_32 0
		.amdhsa_float_round_mode_16_64 0
		.amdhsa_float_denorm_mode_32 3
		.amdhsa_float_denorm_mode_16_64 3
		.amdhsa_dx10_clamp 1
		.amdhsa_ieee_mode 1
		.amdhsa_fp16_overflow 0
		.amdhsa_tg_split 0
		.amdhsa_exception_fp_ieee_invalid_op 0
		.amdhsa_exception_fp_denorm_src 0
		.amdhsa_exception_fp_ieee_div_zero 0
		.amdhsa_exception_fp_ieee_overflow 0
		.amdhsa_exception_fp_ieee_underflow 0
		.amdhsa_exception_fp_ieee_inexact 0
		.amdhsa_exception_int_div_zero 0
	.end_amdhsa_kernel
	.section	.text._ZN7rocprim17ROCPRIM_400000_NS6detail17trampoline_kernelINS0_14default_configENS1_27scan_by_key_config_selectorIj11FixedVectorIiLj4EEEEZZNS1_16scan_by_key_implILNS1_25lookback_scan_determinismE0ELb0ES3_N6thrust23THRUST_200600_302600_NS6detail15normal_iteratorINSB_10device_ptrIjEEEENSD_INSE_IS6_EEEESI_S6_NSB_4plusIvEENSB_8equal_toIvEES6_EE10hipError_tPvRmT2_T3_T4_T5_mT6_T7_P12ihipStream_tbENKUlT_T0_E_clISt17integral_constantIbLb0EES13_EEDaSY_SZ_EUlSY_E_NS1_11comp_targetILNS1_3genE10ELNS1_11target_archE1200ELNS1_3gpuE4ELNS1_3repE0EEENS1_30default_config_static_selectorELNS0_4arch9wavefront6targetE1EEEvT1_,"axG",@progbits,_ZN7rocprim17ROCPRIM_400000_NS6detail17trampoline_kernelINS0_14default_configENS1_27scan_by_key_config_selectorIj11FixedVectorIiLj4EEEEZZNS1_16scan_by_key_implILNS1_25lookback_scan_determinismE0ELb0ES3_N6thrust23THRUST_200600_302600_NS6detail15normal_iteratorINSB_10device_ptrIjEEEENSD_INSE_IS6_EEEESI_S6_NSB_4plusIvEENSB_8equal_toIvEES6_EE10hipError_tPvRmT2_T3_T4_T5_mT6_T7_P12ihipStream_tbENKUlT_T0_E_clISt17integral_constantIbLb0EES13_EEDaSY_SZ_EUlSY_E_NS1_11comp_targetILNS1_3genE10ELNS1_11target_archE1200ELNS1_3gpuE4ELNS1_3repE0EEENS1_30default_config_static_selectorELNS0_4arch9wavefront6targetE1EEEvT1_,comdat
.Lfunc_end2039:
	.size	_ZN7rocprim17ROCPRIM_400000_NS6detail17trampoline_kernelINS0_14default_configENS1_27scan_by_key_config_selectorIj11FixedVectorIiLj4EEEEZZNS1_16scan_by_key_implILNS1_25lookback_scan_determinismE0ELb0ES3_N6thrust23THRUST_200600_302600_NS6detail15normal_iteratorINSB_10device_ptrIjEEEENSD_INSE_IS6_EEEESI_S6_NSB_4plusIvEENSB_8equal_toIvEES6_EE10hipError_tPvRmT2_T3_T4_T5_mT6_T7_P12ihipStream_tbENKUlT_T0_E_clISt17integral_constantIbLb0EES13_EEDaSY_SZ_EUlSY_E_NS1_11comp_targetILNS1_3genE10ELNS1_11target_archE1200ELNS1_3gpuE4ELNS1_3repE0EEENS1_30default_config_static_selectorELNS0_4arch9wavefront6targetE1EEEvT1_, .Lfunc_end2039-_ZN7rocprim17ROCPRIM_400000_NS6detail17trampoline_kernelINS0_14default_configENS1_27scan_by_key_config_selectorIj11FixedVectorIiLj4EEEEZZNS1_16scan_by_key_implILNS1_25lookback_scan_determinismE0ELb0ES3_N6thrust23THRUST_200600_302600_NS6detail15normal_iteratorINSB_10device_ptrIjEEEENSD_INSE_IS6_EEEESI_S6_NSB_4plusIvEENSB_8equal_toIvEES6_EE10hipError_tPvRmT2_T3_T4_T5_mT6_T7_P12ihipStream_tbENKUlT_T0_E_clISt17integral_constantIbLb0EES13_EEDaSY_SZ_EUlSY_E_NS1_11comp_targetILNS1_3genE10ELNS1_11target_archE1200ELNS1_3gpuE4ELNS1_3repE0EEENS1_30default_config_static_selectorELNS0_4arch9wavefront6targetE1EEEvT1_
                                        ; -- End function
	.section	.AMDGPU.csdata,"",@progbits
; Kernel info:
; codeLenInByte = 0
; NumSgprs: 6
; NumVgprs: 0
; NumAgprs: 0
; TotalNumVgprs: 0
; ScratchSize: 0
; MemoryBound: 0
; FloatMode: 240
; IeeeMode: 1
; LDSByteSize: 0 bytes/workgroup (compile time only)
; SGPRBlocks: 0
; VGPRBlocks: 0
; NumSGPRsForWavesPerEU: 6
; NumVGPRsForWavesPerEU: 1
; AccumOffset: 4
; Occupancy: 8
; WaveLimiterHint : 0
; COMPUTE_PGM_RSRC2:SCRATCH_EN: 0
; COMPUTE_PGM_RSRC2:USER_SGPR: 2
; COMPUTE_PGM_RSRC2:TRAP_HANDLER: 0
; COMPUTE_PGM_RSRC2:TGID_X_EN: 1
; COMPUTE_PGM_RSRC2:TGID_Y_EN: 0
; COMPUTE_PGM_RSRC2:TGID_Z_EN: 0
; COMPUTE_PGM_RSRC2:TIDIG_COMP_CNT: 0
; COMPUTE_PGM_RSRC3_GFX90A:ACCUM_OFFSET: 0
; COMPUTE_PGM_RSRC3_GFX90A:TG_SPLIT: 0
	.section	.text._ZN7rocprim17ROCPRIM_400000_NS6detail17trampoline_kernelINS0_14default_configENS1_27scan_by_key_config_selectorIj11FixedVectorIiLj4EEEEZZNS1_16scan_by_key_implILNS1_25lookback_scan_determinismE0ELb0ES3_N6thrust23THRUST_200600_302600_NS6detail15normal_iteratorINSB_10device_ptrIjEEEENSD_INSE_IS6_EEEESI_S6_NSB_4plusIvEENSB_8equal_toIvEES6_EE10hipError_tPvRmT2_T3_T4_T5_mT6_T7_P12ihipStream_tbENKUlT_T0_E_clISt17integral_constantIbLb0EES13_EEDaSY_SZ_EUlSY_E_NS1_11comp_targetILNS1_3genE9ELNS1_11target_archE1100ELNS1_3gpuE3ELNS1_3repE0EEENS1_30default_config_static_selectorELNS0_4arch9wavefront6targetE1EEEvT1_,"axG",@progbits,_ZN7rocprim17ROCPRIM_400000_NS6detail17trampoline_kernelINS0_14default_configENS1_27scan_by_key_config_selectorIj11FixedVectorIiLj4EEEEZZNS1_16scan_by_key_implILNS1_25lookback_scan_determinismE0ELb0ES3_N6thrust23THRUST_200600_302600_NS6detail15normal_iteratorINSB_10device_ptrIjEEEENSD_INSE_IS6_EEEESI_S6_NSB_4plusIvEENSB_8equal_toIvEES6_EE10hipError_tPvRmT2_T3_T4_T5_mT6_T7_P12ihipStream_tbENKUlT_T0_E_clISt17integral_constantIbLb0EES13_EEDaSY_SZ_EUlSY_E_NS1_11comp_targetILNS1_3genE9ELNS1_11target_archE1100ELNS1_3gpuE3ELNS1_3repE0EEENS1_30default_config_static_selectorELNS0_4arch9wavefront6targetE1EEEvT1_,comdat
	.protected	_ZN7rocprim17ROCPRIM_400000_NS6detail17trampoline_kernelINS0_14default_configENS1_27scan_by_key_config_selectorIj11FixedVectorIiLj4EEEEZZNS1_16scan_by_key_implILNS1_25lookback_scan_determinismE0ELb0ES3_N6thrust23THRUST_200600_302600_NS6detail15normal_iteratorINSB_10device_ptrIjEEEENSD_INSE_IS6_EEEESI_S6_NSB_4plusIvEENSB_8equal_toIvEES6_EE10hipError_tPvRmT2_T3_T4_T5_mT6_T7_P12ihipStream_tbENKUlT_T0_E_clISt17integral_constantIbLb0EES13_EEDaSY_SZ_EUlSY_E_NS1_11comp_targetILNS1_3genE9ELNS1_11target_archE1100ELNS1_3gpuE3ELNS1_3repE0EEENS1_30default_config_static_selectorELNS0_4arch9wavefront6targetE1EEEvT1_ ; -- Begin function _ZN7rocprim17ROCPRIM_400000_NS6detail17trampoline_kernelINS0_14default_configENS1_27scan_by_key_config_selectorIj11FixedVectorIiLj4EEEEZZNS1_16scan_by_key_implILNS1_25lookback_scan_determinismE0ELb0ES3_N6thrust23THRUST_200600_302600_NS6detail15normal_iteratorINSB_10device_ptrIjEEEENSD_INSE_IS6_EEEESI_S6_NSB_4plusIvEENSB_8equal_toIvEES6_EE10hipError_tPvRmT2_T3_T4_T5_mT6_T7_P12ihipStream_tbENKUlT_T0_E_clISt17integral_constantIbLb0EES13_EEDaSY_SZ_EUlSY_E_NS1_11comp_targetILNS1_3genE9ELNS1_11target_archE1100ELNS1_3gpuE3ELNS1_3repE0EEENS1_30default_config_static_selectorELNS0_4arch9wavefront6targetE1EEEvT1_
	.globl	_ZN7rocprim17ROCPRIM_400000_NS6detail17trampoline_kernelINS0_14default_configENS1_27scan_by_key_config_selectorIj11FixedVectorIiLj4EEEEZZNS1_16scan_by_key_implILNS1_25lookback_scan_determinismE0ELb0ES3_N6thrust23THRUST_200600_302600_NS6detail15normal_iteratorINSB_10device_ptrIjEEEENSD_INSE_IS6_EEEESI_S6_NSB_4plusIvEENSB_8equal_toIvEES6_EE10hipError_tPvRmT2_T3_T4_T5_mT6_T7_P12ihipStream_tbENKUlT_T0_E_clISt17integral_constantIbLb0EES13_EEDaSY_SZ_EUlSY_E_NS1_11comp_targetILNS1_3genE9ELNS1_11target_archE1100ELNS1_3gpuE3ELNS1_3repE0EEENS1_30default_config_static_selectorELNS0_4arch9wavefront6targetE1EEEvT1_
	.p2align	8
	.type	_ZN7rocprim17ROCPRIM_400000_NS6detail17trampoline_kernelINS0_14default_configENS1_27scan_by_key_config_selectorIj11FixedVectorIiLj4EEEEZZNS1_16scan_by_key_implILNS1_25lookback_scan_determinismE0ELb0ES3_N6thrust23THRUST_200600_302600_NS6detail15normal_iteratorINSB_10device_ptrIjEEEENSD_INSE_IS6_EEEESI_S6_NSB_4plusIvEENSB_8equal_toIvEES6_EE10hipError_tPvRmT2_T3_T4_T5_mT6_T7_P12ihipStream_tbENKUlT_T0_E_clISt17integral_constantIbLb0EES13_EEDaSY_SZ_EUlSY_E_NS1_11comp_targetILNS1_3genE9ELNS1_11target_archE1100ELNS1_3gpuE3ELNS1_3repE0EEENS1_30default_config_static_selectorELNS0_4arch9wavefront6targetE1EEEvT1_,@function
_ZN7rocprim17ROCPRIM_400000_NS6detail17trampoline_kernelINS0_14default_configENS1_27scan_by_key_config_selectorIj11FixedVectorIiLj4EEEEZZNS1_16scan_by_key_implILNS1_25lookback_scan_determinismE0ELb0ES3_N6thrust23THRUST_200600_302600_NS6detail15normal_iteratorINSB_10device_ptrIjEEEENSD_INSE_IS6_EEEESI_S6_NSB_4plusIvEENSB_8equal_toIvEES6_EE10hipError_tPvRmT2_T3_T4_T5_mT6_T7_P12ihipStream_tbENKUlT_T0_E_clISt17integral_constantIbLb0EES13_EEDaSY_SZ_EUlSY_E_NS1_11comp_targetILNS1_3genE9ELNS1_11target_archE1100ELNS1_3gpuE3ELNS1_3repE0EEENS1_30default_config_static_selectorELNS0_4arch9wavefront6targetE1EEEvT1_: ; @_ZN7rocprim17ROCPRIM_400000_NS6detail17trampoline_kernelINS0_14default_configENS1_27scan_by_key_config_selectorIj11FixedVectorIiLj4EEEEZZNS1_16scan_by_key_implILNS1_25lookback_scan_determinismE0ELb0ES3_N6thrust23THRUST_200600_302600_NS6detail15normal_iteratorINSB_10device_ptrIjEEEENSD_INSE_IS6_EEEESI_S6_NSB_4plusIvEENSB_8equal_toIvEES6_EE10hipError_tPvRmT2_T3_T4_T5_mT6_T7_P12ihipStream_tbENKUlT_T0_E_clISt17integral_constantIbLb0EES13_EEDaSY_SZ_EUlSY_E_NS1_11comp_targetILNS1_3genE9ELNS1_11target_archE1100ELNS1_3gpuE3ELNS1_3repE0EEENS1_30default_config_static_selectorELNS0_4arch9wavefront6targetE1EEEvT1_
; %bb.0:
	.section	.rodata,"a",@progbits
	.p2align	6, 0x0
	.amdhsa_kernel _ZN7rocprim17ROCPRIM_400000_NS6detail17trampoline_kernelINS0_14default_configENS1_27scan_by_key_config_selectorIj11FixedVectorIiLj4EEEEZZNS1_16scan_by_key_implILNS1_25lookback_scan_determinismE0ELb0ES3_N6thrust23THRUST_200600_302600_NS6detail15normal_iteratorINSB_10device_ptrIjEEEENSD_INSE_IS6_EEEESI_S6_NSB_4plusIvEENSB_8equal_toIvEES6_EE10hipError_tPvRmT2_T3_T4_T5_mT6_T7_P12ihipStream_tbENKUlT_T0_E_clISt17integral_constantIbLb0EES13_EEDaSY_SZ_EUlSY_E_NS1_11comp_targetILNS1_3genE9ELNS1_11target_archE1100ELNS1_3gpuE3ELNS1_3repE0EEENS1_30default_config_static_selectorELNS0_4arch9wavefront6targetE1EEEvT1_
		.amdhsa_group_segment_fixed_size 0
		.amdhsa_private_segment_fixed_size 0
		.amdhsa_kernarg_size 144
		.amdhsa_user_sgpr_count 2
		.amdhsa_user_sgpr_dispatch_ptr 0
		.amdhsa_user_sgpr_queue_ptr 0
		.amdhsa_user_sgpr_kernarg_segment_ptr 1
		.amdhsa_user_sgpr_dispatch_id 0
		.amdhsa_user_sgpr_kernarg_preload_length 0
		.amdhsa_user_sgpr_kernarg_preload_offset 0
		.amdhsa_user_sgpr_private_segment_size 0
		.amdhsa_uses_dynamic_stack 0
		.amdhsa_enable_private_segment 0
		.amdhsa_system_sgpr_workgroup_id_x 1
		.amdhsa_system_sgpr_workgroup_id_y 0
		.amdhsa_system_sgpr_workgroup_id_z 0
		.amdhsa_system_sgpr_workgroup_info 0
		.amdhsa_system_vgpr_workitem_id 0
		.amdhsa_next_free_vgpr 1
		.amdhsa_next_free_sgpr 0
		.amdhsa_accum_offset 4
		.amdhsa_reserve_vcc 0
		.amdhsa_float_round_mode_32 0
		.amdhsa_float_round_mode_16_64 0
		.amdhsa_float_denorm_mode_32 3
		.amdhsa_float_denorm_mode_16_64 3
		.amdhsa_dx10_clamp 1
		.amdhsa_ieee_mode 1
		.amdhsa_fp16_overflow 0
		.amdhsa_tg_split 0
		.amdhsa_exception_fp_ieee_invalid_op 0
		.amdhsa_exception_fp_denorm_src 0
		.amdhsa_exception_fp_ieee_div_zero 0
		.amdhsa_exception_fp_ieee_overflow 0
		.amdhsa_exception_fp_ieee_underflow 0
		.amdhsa_exception_fp_ieee_inexact 0
		.amdhsa_exception_int_div_zero 0
	.end_amdhsa_kernel
	.section	.text._ZN7rocprim17ROCPRIM_400000_NS6detail17trampoline_kernelINS0_14default_configENS1_27scan_by_key_config_selectorIj11FixedVectorIiLj4EEEEZZNS1_16scan_by_key_implILNS1_25lookback_scan_determinismE0ELb0ES3_N6thrust23THRUST_200600_302600_NS6detail15normal_iteratorINSB_10device_ptrIjEEEENSD_INSE_IS6_EEEESI_S6_NSB_4plusIvEENSB_8equal_toIvEES6_EE10hipError_tPvRmT2_T3_T4_T5_mT6_T7_P12ihipStream_tbENKUlT_T0_E_clISt17integral_constantIbLb0EES13_EEDaSY_SZ_EUlSY_E_NS1_11comp_targetILNS1_3genE9ELNS1_11target_archE1100ELNS1_3gpuE3ELNS1_3repE0EEENS1_30default_config_static_selectorELNS0_4arch9wavefront6targetE1EEEvT1_,"axG",@progbits,_ZN7rocprim17ROCPRIM_400000_NS6detail17trampoline_kernelINS0_14default_configENS1_27scan_by_key_config_selectorIj11FixedVectorIiLj4EEEEZZNS1_16scan_by_key_implILNS1_25lookback_scan_determinismE0ELb0ES3_N6thrust23THRUST_200600_302600_NS6detail15normal_iteratorINSB_10device_ptrIjEEEENSD_INSE_IS6_EEEESI_S6_NSB_4plusIvEENSB_8equal_toIvEES6_EE10hipError_tPvRmT2_T3_T4_T5_mT6_T7_P12ihipStream_tbENKUlT_T0_E_clISt17integral_constantIbLb0EES13_EEDaSY_SZ_EUlSY_E_NS1_11comp_targetILNS1_3genE9ELNS1_11target_archE1100ELNS1_3gpuE3ELNS1_3repE0EEENS1_30default_config_static_selectorELNS0_4arch9wavefront6targetE1EEEvT1_,comdat
.Lfunc_end2040:
	.size	_ZN7rocprim17ROCPRIM_400000_NS6detail17trampoline_kernelINS0_14default_configENS1_27scan_by_key_config_selectorIj11FixedVectorIiLj4EEEEZZNS1_16scan_by_key_implILNS1_25lookback_scan_determinismE0ELb0ES3_N6thrust23THRUST_200600_302600_NS6detail15normal_iteratorINSB_10device_ptrIjEEEENSD_INSE_IS6_EEEESI_S6_NSB_4plusIvEENSB_8equal_toIvEES6_EE10hipError_tPvRmT2_T3_T4_T5_mT6_T7_P12ihipStream_tbENKUlT_T0_E_clISt17integral_constantIbLb0EES13_EEDaSY_SZ_EUlSY_E_NS1_11comp_targetILNS1_3genE9ELNS1_11target_archE1100ELNS1_3gpuE3ELNS1_3repE0EEENS1_30default_config_static_selectorELNS0_4arch9wavefront6targetE1EEEvT1_, .Lfunc_end2040-_ZN7rocprim17ROCPRIM_400000_NS6detail17trampoline_kernelINS0_14default_configENS1_27scan_by_key_config_selectorIj11FixedVectorIiLj4EEEEZZNS1_16scan_by_key_implILNS1_25lookback_scan_determinismE0ELb0ES3_N6thrust23THRUST_200600_302600_NS6detail15normal_iteratorINSB_10device_ptrIjEEEENSD_INSE_IS6_EEEESI_S6_NSB_4plusIvEENSB_8equal_toIvEES6_EE10hipError_tPvRmT2_T3_T4_T5_mT6_T7_P12ihipStream_tbENKUlT_T0_E_clISt17integral_constantIbLb0EES13_EEDaSY_SZ_EUlSY_E_NS1_11comp_targetILNS1_3genE9ELNS1_11target_archE1100ELNS1_3gpuE3ELNS1_3repE0EEENS1_30default_config_static_selectorELNS0_4arch9wavefront6targetE1EEEvT1_
                                        ; -- End function
	.section	.AMDGPU.csdata,"",@progbits
; Kernel info:
; codeLenInByte = 0
; NumSgprs: 6
; NumVgprs: 0
; NumAgprs: 0
; TotalNumVgprs: 0
; ScratchSize: 0
; MemoryBound: 0
; FloatMode: 240
; IeeeMode: 1
; LDSByteSize: 0 bytes/workgroup (compile time only)
; SGPRBlocks: 0
; VGPRBlocks: 0
; NumSGPRsForWavesPerEU: 6
; NumVGPRsForWavesPerEU: 1
; AccumOffset: 4
; Occupancy: 8
; WaveLimiterHint : 0
; COMPUTE_PGM_RSRC2:SCRATCH_EN: 0
; COMPUTE_PGM_RSRC2:USER_SGPR: 2
; COMPUTE_PGM_RSRC2:TRAP_HANDLER: 0
; COMPUTE_PGM_RSRC2:TGID_X_EN: 1
; COMPUTE_PGM_RSRC2:TGID_Y_EN: 0
; COMPUTE_PGM_RSRC2:TGID_Z_EN: 0
; COMPUTE_PGM_RSRC2:TIDIG_COMP_CNT: 0
; COMPUTE_PGM_RSRC3_GFX90A:ACCUM_OFFSET: 0
; COMPUTE_PGM_RSRC3_GFX90A:TG_SPLIT: 0
	.section	.text._ZN7rocprim17ROCPRIM_400000_NS6detail17trampoline_kernelINS0_14default_configENS1_27scan_by_key_config_selectorIj11FixedVectorIiLj4EEEEZZNS1_16scan_by_key_implILNS1_25lookback_scan_determinismE0ELb0ES3_N6thrust23THRUST_200600_302600_NS6detail15normal_iteratorINSB_10device_ptrIjEEEENSD_INSE_IS6_EEEESI_S6_NSB_4plusIvEENSB_8equal_toIvEES6_EE10hipError_tPvRmT2_T3_T4_T5_mT6_T7_P12ihipStream_tbENKUlT_T0_E_clISt17integral_constantIbLb0EES13_EEDaSY_SZ_EUlSY_E_NS1_11comp_targetILNS1_3genE8ELNS1_11target_archE1030ELNS1_3gpuE2ELNS1_3repE0EEENS1_30default_config_static_selectorELNS0_4arch9wavefront6targetE1EEEvT1_,"axG",@progbits,_ZN7rocprim17ROCPRIM_400000_NS6detail17trampoline_kernelINS0_14default_configENS1_27scan_by_key_config_selectorIj11FixedVectorIiLj4EEEEZZNS1_16scan_by_key_implILNS1_25lookback_scan_determinismE0ELb0ES3_N6thrust23THRUST_200600_302600_NS6detail15normal_iteratorINSB_10device_ptrIjEEEENSD_INSE_IS6_EEEESI_S6_NSB_4plusIvEENSB_8equal_toIvEES6_EE10hipError_tPvRmT2_T3_T4_T5_mT6_T7_P12ihipStream_tbENKUlT_T0_E_clISt17integral_constantIbLb0EES13_EEDaSY_SZ_EUlSY_E_NS1_11comp_targetILNS1_3genE8ELNS1_11target_archE1030ELNS1_3gpuE2ELNS1_3repE0EEENS1_30default_config_static_selectorELNS0_4arch9wavefront6targetE1EEEvT1_,comdat
	.protected	_ZN7rocprim17ROCPRIM_400000_NS6detail17trampoline_kernelINS0_14default_configENS1_27scan_by_key_config_selectorIj11FixedVectorIiLj4EEEEZZNS1_16scan_by_key_implILNS1_25lookback_scan_determinismE0ELb0ES3_N6thrust23THRUST_200600_302600_NS6detail15normal_iteratorINSB_10device_ptrIjEEEENSD_INSE_IS6_EEEESI_S6_NSB_4plusIvEENSB_8equal_toIvEES6_EE10hipError_tPvRmT2_T3_T4_T5_mT6_T7_P12ihipStream_tbENKUlT_T0_E_clISt17integral_constantIbLb0EES13_EEDaSY_SZ_EUlSY_E_NS1_11comp_targetILNS1_3genE8ELNS1_11target_archE1030ELNS1_3gpuE2ELNS1_3repE0EEENS1_30default_config_static_selectorELNS0_4arch9wavefront6targetE1EEEvT1_ ; -- Begin function _ZN7rocprim17ROCPRIM_400000_NS6detail17trampoline_kernelINS0_14default_configENS1_27scan_by_key_config_selectorIj11FixedVectorIiLj4EEEEZZNS1_16scan_by_key_implILNS1_25lookback_scan_determinismE0ELb0ES3_N6thrust23THRUST_200600_302600_NS6detail15normal_iteratorINSB_10device_ptrIjEEEENSD_INSE_IS6_EEEESI_S6_NSB_4plusIvEENSB_8equal_toIvEES6_EE10hipError_tPvRmT2_T3_T4_T5_mT6_T7_P12ihipStream_tbENKUlT_T0_E_clISt17integral_constantIbLb0EES13_EEDaSY_SZ_EUlSY_E_NS1_11comp_targetILNS1_3genE8ELNS1_11target_archE1030ELNS1_3gpuE2ELNS1_3repE0EEENS1_30default_config_static_selectorELNS0_4arch9wavefront6targetE1EEEvT1_
	.globl	_ZN7rocprim17ROCPRIM_400000_NS6detail17trampoline_kernelINS0_14default_configENS1_27scan_by_key_config_selectorIj11FixedVectorIiLj4EEEEZZNS1_16scan_by_key_implILNS1_25lookback_scan_determinismE0ELb0ES3_N6thrust23THRUST_200600_302600_NS6detail15normal_iteratorINSB_10device_ptrIjEEEENSD_INSE_IS6_EEEESI_S6_NSB_4plusIvEENSB_8equal_toIvEES6_EE10hipError_tPvRmT2_T3_T4_T5_mT6_T7_P12ihipStream_tbENKUlT_T0_E_clISt17integral_constantIbLb0EES13_EEDaSY_SZ_EUlSY_E_NS1_11comp_targetILNS1_3genE8ELNS1_11target_archE1030ELNS1_3gpuE2ELNS1_3repE0EEENS1_30default_config_static_selectorELNS0_4arch9wavefront6targetE1EEEvT1_
	.p2align	8
	.type	_ZN7rocprim17ROCPRIM_400000_NS6detail17trampoline_kernelINS0_14default_configENS1_27scan_by_key_config_selectorIj11FixedVectorIiLj4EEEEZZNS1_16scan_by_key_implILNS1_25lookback_scan_determinismE0ELb0ES3_N6thrust23THRUST_200600_302600_NS6detail15normal_iteratorINSB_10device_ptrIjEEEENSD_INSE_IS6_EEEESI_S6_NSB_4plusIvEENSB_8equal_toIvEES6_EE10hipError_tPvRmT2_T3_T4_T5_mT6_T7_P12ihipStream_tbENKUlT_T0_E_clISt17integral_constantIbLb0EES13_EEDaSY_SZ_EUlSY_E_NS1_11comp_targetILNS1_3genE8ELNS1_11target_archE1030ELNS1_3gpuE2ELNS1_3repE0EEENS1_30default_config_static_selectorELNS0_4arch9wavefront6targetE1EEEvT1_,@function
_ZN7rocprim17ROCPRIM_400000_NS6detail17trampoline_kernelINS0_14default_configENS1_27scan_by_key_config_selectorIj11FixedVectorIiLj4EEEEZZNS1_16scan_by_key_implILNS1_25lookback_scan_determinismE0ELb0ES3_N6thrust23THRUST_200600_302600_NS6detail15normal_iteratorINSB_10device_ptrIjEEEENSD_INSE_IS6_EEEESI_S6_NSB_4plusIvEENSB_8equal_toIvEES6_EE10hipError_tPvRmT2_T3_T4_T5_mT6_T7_P12ihipStream_tbENKUlT_T0_E_clISt17integral_constantIbLb0EES13_EEDaSY_SZ_EUlSY_E_NS1_11comp_targetILNS1_3genE8ELNS1_11target_archE1030ELNS1_3gpuE2ELNS1_3repE0EEENS1_30default_config_static_selectorELNS0_4arch9wavefront6targetE1EEEvT1_: ; @_ZN7rocprim17ROCPRIM_400000_NS6detail17trampoline_kernelINS0_14default_configENS1_27scan_by_key_config_selectorIj11FixedVectorIiLj4EEEEZZNS1_16scan_by_key_implILNS1_25lookback_scan_determinismE0ELb0ES3_N6thrust23THRUST_200600_302600_NS6detail15normal_iteratorINSB_10device_ptrIjEEEENSD_INSE_IS6_EEEESI_S6_NSB_4plusIvEENSB_8equal_toIvEES6_EE10hipError_tPvRmT2_T3_T4_T5_mT6_T7_P12ihipStream_tbENKUlT_T0_E_clISt17integral_constantIbLb0EES13_EEDaSY_SZ_EUlSY_E_NS1_11comp_targetILNS1_3genE8ELNS1_11target_archE1030ELNS1_3gpuE2ELNS1_3repE0EEENS1_30default_config_static_selectorELNS0_4arch9wavefront6targetE1EEEvT1_
; %bb.0:
	.section	.rodata,"a",@progbits
	.p2align	6, 0x0
	.amdhsa_kernel _ZN7rocprim17ROCPRIM_400000_NS6detail17trampoline_kernelINS0_14default_configENS1_27scan_by_key_config_selectorIj11FixedVectorIiLj4EEEEZZNS1_16scan_by_key_implILNS1_25lookback_scan_determinismE0ELb0ES3_N6thrust23THRUST_200600_302600_NS6detail15normal_iteratorINSB_10device_ptrIjEEEENSD_INSE_IS6_EEEESI_S6_NSB_4plusIvEENSB_8equal_toIvEES6_EE10hipError_tPvRmT2_T3_T4_T5_mT6_T7_P12ihipStream_tbENKUlT_T0_E_clISt17integral_constantIbLb0EES13_EEDaSY_SZ_EUlSY_E_NS1_11comp_targetILNS1_3genE8ELNS1_11target_archE1030ELNS1_3gpuE2ELNS1_3repE0EEENS1_30default_config_static_selectorELNS0_4arch9wavefront6targetE1EEEvT1_
		.amdhsa_group_segment_fixed_size 0
		.amdhsa_private_segment_fixed_size 0
		.amdhsa_kernarg_size 144
		.amdhsa_user_sgpr_count 2
		.amdhsa_user_sgpr_dispatch_ptr 0
		.amdhsa_user_sgpr_queue_ptr 0
		.amdhsa_user_sgpr_kernarg_segment_ptr 1
		.amdhsa_user_sgpr_dispatch_id 0
		.amdhsa_user_sgpr_kernarg_preload_length 0
		.amdhsa_user_sgpr_kernarg_preload_offset 0
		.amdhsa_user_sgpr_private_segment_size 0
		.amdhsa_uses_dynamic_stack 0
		.amdhsa_enable_private_segment 0
		.amdhsa_system_sgpr_workgroup_id_x 1
		.amdhsa_system_sgpr_workgroup_id_y 0
		.amdhsa_system_sgpr_workgroup_id_z 0
		.amdhsa_system_sgpr_workgroup_info 0
		.amdhsa_system_vgpr_workitem_id 0
		.amdhsa_next_free_vgpr 1
		.amdhsa_next_free_sgpr 0
		.amdhsa_accum_offset 4
		.amdhsa_reserve_vcc 0
		.amdhsa_float_round_mode_32 0
		.amdhsa_float_round_mode_16_64 0
		.amdhsa_float_denorm_mode_32 3
		.amdhsa_float_denorm_mode_16_64 3
		.amdhsa_dx10_clamp 1
		.amdhsa_ieee_mode 1
		.amdhsa_fp16_overflow 0
		.amdhsa_tg_split 0
		.amdhsa_exception_fp_ieee_invalid_op 0
		.amdhsa_exception_fp_denorm_src 0
		.amdhsa_exception_fp_ieee_div_zero 0
		.amdhsa_exception_fp_ieee_overflow 0
		.amdhsa_exception_fp_ieee_underflow 0
		.amdhsa_exception_fp_ieee_inexact 0
		.amdhsa_exception_int_div_zero 0
	.end_amdhsa_kernel
	.section	.text._ZN7rocprim17ROCPRIM_400000_NS6detail17trampoline_kernelINS0_14default_configENS1_27scan_by_key_config_selectorIj11FixedVectorIiLj4EEEEZZNS1_16scan_by_key_implILNS1_25lookback_scan_determinismE0ELb0ES3_N6thrust23THRUST_200600_302600_NS6detail15normal_iteratorINSB_10device_ptrIjEEEENSD_INSE_IS6_EEEESI_S6_NSB_4plusIvEENSB_8equal_toIvEES6_EE10hipError_tPvRmT2_T3_T4_T5_mT6_T7_P12ihipStream_tbENKUlT_T0_E_clISt17integral_constantIbLb0EES13_EEDaSY_SZ_EUlSY_E_NS1_11comp_targetILNS1_3genE8ELNS1_11target_archE1030ELNS1_3gpuE2ELNS1_3repE0EEENS1_30default_config_static_selectorELNS0_4arch9wavefront6targetE1EEEvT1_,"axG",@progbits,_ZN7rocprim17ROCPRIM_400000_NS6detail17trampoline_kernelINS0_14default_configENS1_27scan_by_key_config_selectorIj11FixedVectorIiLj4EEEEZZNS1_16scan_by_key_implILNS1_25lookback_scan_determinismE0ELb0ES3_N6thrust23THRUST_200600_302600_NS6detail15normal_iteratorINSB_10device_ptrIjEEEENSD_INSE_IS6_EEEESI_S6_NSB_4plusIvEENSB_8equal_toIvEES6_EE10hipError_tPvRmT2_T3_T4_T5_mT6_T7_P12ihipStream_tbENKUlT_T0_E_clISt17integral_constantIbLb0EES13_EEDaSY_SZ_EUlSY_E_NS1_11comp_targetILNS1_3genE8ELNS1_11target_archE1030ELNS1_3gpuE2ELNS1_3repE0EEENS1_30default_config_static_selectorELNS0_4arch9wavefront6targetE1EEEvT1_,comdat
.Lfunc_end2041:
	.size	_ZN7rocprim17ROCPRIM_400000_NS6detail17trampoline_kernelINS0_14default_configENS1_27scan_by_key_config_selectorIj11FixedVectorIiLj4EEEEZZNS1_16scan_by_key_implILNS1_25lookback_scan_determinismE0ELb0ES3_N6thrust23THRUST_200600_302600_NS6detail15normal_iteratorINSB_10device_ptrIjEEEENSD_INSE_IS6_EEEESI_S6_NSB_4plusIvEENSB_8equal_toIvEES6_EE10hipError_tPvRmT2_T3_T4_T5_mT6_T7_P12ihipStream_tbENKUlT_T0_E_clISt17integral_constantIbLb0EES13_EEDaSY_SZ_EUlSY_E_NS1_11comp_targetILNS1_3genE8ELNS1_11target_archE1030ELNS1_3gpuE2ELNS1_3repE0EEENS1_30default_config_static_selectorELNS0_4arch9wavefront6targetE1EEEvT1_, .Lfunc_end2041-_ZN7rocprim17ROCPRIM_400000_NS6detail17trampoline_kernelINS0_14default_configENS1_27scan_by_key_config_selectorIj11FixedVectorIiLj4EEEEZZNS1_16scan_by_key_implILNS1_25lookback_scan_determinismE0ELb0ES3_N6thrust23THRUST_200600_302600_NS6detail15normal_iteratorINSB_10device_ptrIjEEEENSD_INSE_IS6_EEEESI_S6_NSB_4plusIvEENSB_8equal_toIvEES6_EE10hipError_tPvRmT2_T3_T4_T5_mT6_T7_P12ihipStream_tbENKUlT_T0_E_clISt17integral_constantIbLb0EES13_EEDaSY_SZ_EUlSY_E_NS1_11comp_targetILNS1_3genE8ELNS1_11target_archE1030ELNS1_3gpuE2ELNS1_3repE0EEENS1_30default_config_static_selectorELNS0_4arch9wavefront6targetE1EEEvT1_
                                        ; -- End function
	.section	.AMDGPU.csdata,"",@progbits
; Kernel info:
; codeLenInByte = 0
; NumSgprs: 6
; NumVgprs: 0
; NumAgprs: 0
; TotalNumVgprs: 0
; ScratchSize: 0
; MemoryBound: 0
; FloatMode: 240
; IeeeMode: 1
; LDSByteSize: 0 bytes/workgroup (compile time only)
; SGPRBlocks: 0
; VGPRBlocks: 0
; NumSGPRsForWavesPerEU: 6
; NumVGPRsForWavesPerEU: 1
; AccumOffset: 4
; Occupancy: 8
; WaveLimiterHint : 0
; COMPUTE_PGM_RSRC2:SCRATCH_EN: 0
; COMPUTE_PGM_RSRC2:USER_SGPR: 2
; COMPUTE_PGM_RSRC2:TRAP_HANDLER: 0
; COMPUTE_PGM_RSRC2:TGID_X_EN: 1
; COMPUTE_PGM_RSRC2:TGID_Y_EN: 0
; COMPUTE_PGM_RSRC2:TGID_Z_EN: 0
; COMPUTE_PGM_RSRC2:TIDIG_COMP_CNT: 0
; COMPUTE_PGM_RSRC3_GFX90A:ACCUM_OFFSET: 0
; COMPUTE_PGM_RSRC3_GFX90A:TG_SPLIT: 0
	.section	.text._ZN7rocprim17ROCPRIM_400000_NS6detail30init_device_scan_by_key_kernelINS1_19lookback_scan_stateINS0_5tupleIJ11FixedVectorIiLj4EEbEEELb1ELb0EEEN6thrust23THRUST_200600_302600_NS6detail15normal_iteratorINSA_10device_ptrIjEEEEjNS1_16block_id_wrapperIjLb1EEEEEvT_jjPNSI_10value_typeET0_PNSt15iterator_traitsISL_E10value_typeEmT1_T2_,"axG",@progbits,_ZN7rocprim17ROCPRIM_400000_NS6detail30init_device_scan_by_key_kernelINS1_19lookback_scan_stateINS0_5tupleIJ11FixedVectorIiLj4EEbEEELb1ELb0EEEN6thrust23THRUST_200600_302600_NS6detail15normal_iteratorINSA_10device_ptrIjEEEEjNS1_16block_id_wrapperIjLb1EEEEEvT_jjPNSI_10value_typeET0_PNSt15iterator_traitsISL_E10value_typeEmT1_T2_,comdat
	.protected	_ZN7rocprim17ROCPRIM_400000_NS6detail30init_device_scan_by_key_kernelINS1_19lookback_scan_stateINS0_5tupleIJ11FixedVectorIiLj4EEbEEELb1ELb0EEEN6thrust23THRUST_200600_302600_NS6detail15normal_iteratorINSA_10device_ptrIjEEEEjNS1_16block_id_wrapperIjLb1EEEEEvT_jjPNSI_10value_typeET0_PNSt15iterator_traitsISL_E10value_typeEmT1_T2_ ; -- Begin function _ZN7rocprim17ROCPRIM_400000_NS6detail30init_device_scan_by_key_kernelINS1_19lookback_scan_stateINS0_5tupleIJ11FixedVectorIiLj4EEbEEELb1ELb0EEEN6thrust23THRUST_200600_302600_NS6detail15normal_iteratorINSA_10device_ptrIjEEEEjNS1_16block_id_wrapperIjLb1EEEEEvT_jjPNSI_10value_typeET0_PNSt15iterator_traitsISL_E10value_typeEmT1_T2_
	.globl	_ZN7rocprim17ROCPRIM_400000_NS6detail30init_device_scan_by_key_kernelINS1_19lookback_scan_stateINS0_5tupleIJ11FixedVectorIiLj4EEbEEELb1ELb0EEEN6thrust23THRUST_200600_302600_NS6detail15normal_iteratorINSA_10device_ptrIjEEEEjNS1_16block_id_wrapperIjLb1EEEEEvT_jjPNSI_10value_typeET0_PNSt15iterator_traitsISL_E10value_typeEmT1_T2_
	.p2align	8
	.type	_ZN7rocprim17ROCPRIM_400000_NS6detail30init_device_scan_by_key_kernelINS1_19lookback_scan_stateINS0_5tupleIJ11FixedVectorIiLj4EEbEEELb1ELb0EEEN6thrust23THRUST_200600_302600_NS6detail15normal_iteratorINSA_10device_ptrIjEEEEjNS1_16block_id_wrapperIjLb1EEEEEvT_jjPNSI_10value_typeET0_PNSt15iterator_traitsISL_E10value_typeEmT1_T2_,@function
_ZN7rocprim17ROCPRIM_400000_NS6detail30init_device_scan_by_key_kernelINS1_19lookback_scan_stateINS0_5tupleIJ11FixedVectorIiLj4EEbEEELb1ELb0EEEN6thrust23THRUST_200600_302600_NS6detail15normal_iteratorINSA_10device_ptrIjEEEEjNS1_16block_id_wrapperIjLb1EEEEEvT_jjPNSI_10value_typeET0_PNSt15iterator_traitsISL_E10value_typeEmT1_T2_: ; @_ZN7rocprim17ROCPRIM_400000_NS6detail30init_device_scan_by_key_kernelINS1_19lookback_scan_stateINS0_5tupleIJ11FixedVectorIiLj4EEbEEELb1ELb0EEEN6thrust23THRUST_200600_302600_NS6detail15normal_iteratorINSA_10device_ptrIjEEEEjNS1_16block_id_wrapperIjLb1EEEEEvT_jjPNSI_10value_typeET0_PNSt15iterator_traitsISL_E10value_typeEmT1_T2_
; %bb.0:
	s_load_dword s3, s[0:1], 0x5c
	s_load_dwordx8 s[4:11], s[0:1], 0x10
	s_load_dword s18, s[0:1], 0x50
	s_waitcnt lgkmcnt(0)
	s_and_b32 s19, s3, 0xffff
	s_mul_i32 s2, s2, s19
	s_cmp_eq_u64 s[8:9], 0
	v_add_u32_e32 v0, s2, v0
	s_cbranch_scc1 .LBB2042_11
; %bb.1:
	s_cmp_lt_u32 s7, s6
	s_cselect_b32 s2, s7, 0
	v_cmp_eq_u32_e32 vcc, s2, v0
	s_and_saveexec_b64 s[2:3], vcc
	s_cbranch_execz .LBB2042_10
; %bb.2:
	s_add_i32 s7, s7, 64
	v_mov_b32_e32 v1, s7
	global_load_ubyte v1, v1, s[4:5] sc1
	s_load_dwordx4 s[12:15], s[0:1], 0x0
	s_add_u32 s16, s4, s7
	s_addc_u32 s17, s5, 0
	s_waitcnt vmcnt(0)
	v_cmp_ne_u16_e32 vcc, 0, v1
	v_readfirstlane_b32 s20, v1
	s_cbranch_vccz .LBB2042_4
; %bb.3:
	s_and_b32 s16, 0xffff, s20
	s_branch .LBB2042_9
.LBB2042_4:
	s_mov_b32 s20, 1
	v_mov_b32_e32 v1, 0
.LBB2042_5:                             ; =>This Loop Header: Depth=1
                                        ;     Child Loop BB2042_6 Depth 2
	s_max_u32 s21, s20, 1
.LBB2042_6:                             ;   Parent Loop BB2042_5 Depth=1
                                        ; =>  This Inner Loop Header: Depth=2
	s_add_i32 s21, s21, -1
	s_cmp_eq_u32 s21, 0
	s_sleep 1
	s_cbranch_scc0 .LBB2042_6
; %bb.7:                                ;   in Loop: Header=BB2042_5 Depth=1
	global_load_ubyte v2, v1, s[16:17] sc1
	s_cmp_lt_u32 s20, 32
	s_cselect_b64 s[22:23], -1, 0
	s_cmp_lg_u64 s[22:23], 0
	s_addc_u32 s20, s20, 0
	s_waitcnt vmcnt(0)
	v_cmp_ne_u16_e32 vcc, 0, v2
	v_readfirstlane_b32 s21, v2
	s_cbranch_vccz .LBB2042_5
; %bb.8:
	s_and_b32 s16, 0xffff, s21
.LBB2042_9:
	s_cmp_eq_u32 s16, 1
	s_waitcnt lgkmcnt(0)
	s_cselect_b32 s12, s12, s14
	s_mul_hi_u32 s14, s7, 20
	s_mul_i32 s7, s7, 20
	s_cselect_b32 s13, s13, s15
	s_add_u32 s12, s12, s7
	s_addc_u32 s13, s13, s14
	v_mov_b32_e32 v1, 0
	s_waitcnt vmcnt(0)
	global_load_dword v2, v1, s[12:13] sc1
	global_load_dword v3, v1, s[12:13] offset:4 sc1
	global_load_dword v4, v1, s[12:13] offset:8 sc1
	;; [unrolled: 1-line block ×4, first 2 shown]
	s_waitcnt vmcnt(1)
	global_store_dwordx4 v1, v[2:5], s[8:9]
	s_waitcnt vmcnt(1)
	global_store_byte v1, v6, s[8:9] offset:16
.LBB2042_10:
	s_or_b64 exec, exec, s[2:3]
.LBB2042_11:
	v_cmp_eq_u32_e32 vcc, 0, v0
	s_and_saveexec_b64 s[2:3], vcc
	s_cbranch_execz .LBB2042_13
; %bb.12:
	s_load_dwordx2 s[8:9], s[0:1], 0x48
	v_mov_b32_e32 v1, 0
	s_waitcnt lgkmcnt(0)
	global_store_dword v1, v1, s[8:9]
.LBB2042_13:
	s_or_b64 exec, exec, s[2:3]
	v_cmp_gt_u32_e32 vcc, s6, v0
	s_and_saveexec_b64 s[2:3], vcc
	s_cbranch_execz .LBB2042_15
; %bb.14:
	v_add_u32_e32 v1, 64, v0
	v_mov_b32_e32 v2, 0
	global_store_byte v1, v2, s[4:5]
.LBB2042_15:
	s_or_b64 exec, exec, s[2:3]
	v_cmp_gt_u32_e32 vcc, 64, v0
	v_mov_b32_e32 v1, 0
	s_and_saveexec_b64 s[2:3], vcc
	s_cbranch_execz .LBB2042_17
; %bb.16:
	v_lshl_add_u64 v[2:3], s[4:5], 0, v[0:1]
	v_mov_b32_e32 v4, 0xff
	global_store_byte v[2:3], v4, off
.LBB2042_17:
	s_or_b64 exec, exec, s[2:3]
	s_load_dwordx2 s[2:3], s[0:1], 0x38
	s_waitcnt lgkmcnt(0)
	v_cmp_gt_u64_e32 vcc, s[2:3], v[0:1]
	s_and_saveexec_b64 s[4:5], vcc
	s_cbranch_execz .LBB2042_20
; %bb.18:
	s_load_dword s12, s[0:1], 0x40
	s_load_dwordx2 s[6:7], s[0:1], 0x30
	s_mov_b32 s5, 0
	s_mov_b32 s1, s5
	s_mul_i32 s0, s18, s19
	s_waitcnt lgkmcnt(0)
	s_add_i32 s4, s12, -1
	s_lshl_b64 s[4:5], s[4:5], 2
	s_add_u32 s4, s10, s4
	v_mad_u64_u32 v[2:3], s[8:9], s12, v0, 0
	s_addc_u32 s5, s11, s5
	v_lshl_add_u64 v[2:3], v[2:3], 2, s[4:5]
	s_mul_hi_u32 s5, s12, s0
	s_mul_i32 s4, s12, s0
	s_lshl_b64 s[4:5], s[4:5], 2
	v_lshl_add_u64 v[4:5], v[0:1], 2, s[6:7]
	s_lshl_b64 s[6:7], s[0:1], 2
	s_mov_b64 s[8:9], 0
.LBB2042_19:                            ; =>This Inner Loop Header: Depth=1
	global_load_dword v6, v[2:3], off
	v_lshl_add_u64 v[0:1], v[0:1], 0, s[0:1]
	v_cmp_le_u64_e32 vcc, s[2:3], v[0:1]
	v_lshl_add_u64 v[2:3], v[2:3], 0, s[4:5]
	s_or_b64 s[8:9], vcc, s[8:9]
	s_waitcnt vmcnt(0)
	global_store_dword v[4:5], v6, off
	v_lshl_add_u64 v[4:5], v[4:5], 0, s[6:7]
	s_andn2_b64 exec, exec, s[8:9]
	s_cbranch_execnz .LBB2042_19
.LBB2042_20:
	s_endpgm
	.section	.rodata,"a",@progbits
	.p2align	6, 0x0
	.amdhsa_kernel _ZN7rocprim17ROCPRIM_400000_NS6detail30init_device_scan_by_key_kernelINS1_19lookback_scan_stateINS0_5tupleIJ11FixedVectorIiLj4EEbEEELb1ELb0EEEN6thrust23THRUST_200600_302600_NS6detail15normal_iteratorINSA_10device_ptrIjEEEEjNS1_16block_id_wrapperIjLb1EEEEEvT_jjPNSI_10value_typeET0_PNSt15iterator_traitsISL_E10value_typeEmT1_T2_
		.amdhsa_group_segment_fixed_size 0
		.amdhsa_private_segment_fixed_size 0
		.amdhsa_kernarg_size 336
		.amdhsa_user_sgpr_count 2
		.amdhsa_user_sgpr_dispatch_ptr 0
		.amdhsa_user_sgpr_queue_ptr 0
		.amdhsa_user_sgpr_kernarg_segment_ptr 1
		.amdhsa_user_sgpr_dispatch_id 0
		.amdhsa_user_sgpr_kernarg_preload_length 0
		.amdhsa_user_sgpr_kernarg_preload_offset 0
		.amdhsa_user_sgpr_private_segment_size 0
		.amdhsa_uses_dynamic_stack 0
		.amdhsa_enable_private_segment 0
		.amdhsa_system_sgpr_workgroup_id_x 1
		.amdhsa_system_sgpr_workgroup_id_y 0
		.amdhsa_system_sgpr_workgroup_id_z 0
		.amdhsa_system_sgpr_workgroup_info 0
		.amdhsa_system_vgpr_workitem_id 0
		.amdhsa_next_free_vgpr 7
		.amdhsa_next_free_sgpr 24
		.amdhsa_accum_offset 8
		.amdhsa_reserve_vcc 1
		.amdhsa_float_round_mode_32 0
		.amdhsa_float_round_mode_16_64 0
		.amdhsa_float_denorm_mode_32 3
		.amdhsa_float_denorm_mode_16_64 3
		.amdhsa_dx10_clamp 1
		.amdhsa_ieee_mode 1
		.amdhsa_fp16_overflow 0
		.amdhsa_tg_split 0
		.amdhsa_exception_fp_ieee_invalid_op 0
		.amdhsa_exception_fp_denorm_src 0
		.amdhsa_exception_fp_ieee_div_zero 0
		.amdhsa_exception_fp_ieee_overflow 0
		.amdhsa_exception_fp_ieee_underflow 0
		.amdhsa_exception_fp_ieee_inexact 0
		.amdhsa_exception_int_div_zero 0
	.end_amdhsa_kernel
	.section	.text._ZN7rocprim17ROCPRIM_400000_NS6detail30init_device_scan_by_key_kernelINS1_19lookback_scan_stateINS0_5tupleIJ11FixedVectorIiLj4EEbEEELb1ELb0EEEN6thrust23THRUST_200600_302600_NS6detail15normal_iteratorINSA_10device_ptrIjEEEEjNS1_16block_id_wrapperIjLb1EEEEEvT_jjPNSI_10value_typeET0_PNSt15iterator_traitsISL_E10value_typeEmT1_T2_,"axG",@progbits,_ZN7rocprim17ROCPRIM_400000_NS6detail30init_device_scan_by_key_kernelINS1_19lookback_scan_stateINS0_5tupleIJ11FixedVectorIiLj4EEbEEELb1ELb0EEEN6thrust23THRUST_200600_302600_NS6detail15normal_iteratorINSA_10device_ptrIjEEEEjNS1_16block_id_wrapperIjLb1EEEEEvT_jjPNSI_10value_typeET0_PNSt15iterator_traitsISL_E10value_typeEmT1_T2_,comdat
.Lfunc_end2042:
	.size	_ZN7rocprim17ROCPRIM_400000_NS6detail30init_device_scan_by_key_kernelINS1_19lookback_scan_stateINS0_5tupleIJ11FixedVectorIiLj4EEbEEELb1ELb0EEEN6thrust23THRUST_200600_302600_NS6detail15normal_iteratorINSA_10device_ptrIjEEEEjNS1_16block_id_wrapperIjLb1EEEEEvT_jjPNSI_10value_typeET0_PNSt15iterator_traitsISL_E10value_typeEmT1_T2_, .Lfunc_end2042-_ZN7rocprim17ROCPRIM_400000_NS6detail30init_device_scan_by_key_kernelINS1_19lookback_scan_stateINS0_5tupleIJ11FixedVectorIiLj4EEbEEELb1ELb0EEEN6thrust23THRUST_200600_302600_NS6detail15normal_iteratorINSA_10device_ptrIjEEEEjNS1_16block_id_wrapperIjLb1EEEEEvT_jjPNSI_10value_typeET0_PNSt15iterator_traitsISL_E10value_typeEmT1_T2_
                                        ; -- End function
	.section	.AMDGPU.csdata,"",@progbits
; Kernel info:
; codeLenInByte = 612
; NumSgprs: 30
; NumVgprs: 7
; NumAgprs: 0
; TotalNumVgprs: 7
; ScratchSize: 0
; MemoryBound: 0
; FloatMode: 240
; IeeeMode: 1
; LDSByteSize: 0 bytes/workgroup (compile time only)
; SGPRBlocks: 3
; VGPRBlocks: 0
; NumSGPRsForWavesPerEU: 30
; NumVGPRsForWavesPerEU: 7
; AccumOffset: 8
; Occupancy: 8
; WaveLimiterHint : 0
; COMPUTE_PGM_RSRC2:SCRATCH_EN: 0
; COMPUTE_PGM_RSRC2:USER_SGPR: 2
; COMPUTE_PGM_RSRC2:TRAP_HANDLER: 0
; COMPUTE_PGM_RSRC2:TGID_X_EN: 1
; COMPUTE_PGM_RSRC2:TGID_Y_EN: 0
; COMPUTE_PGM_RSRC2:TGID_Z_EN: 0
; COMPUTE_PGM_RSRC2:TIDIG_COMP_CNT: 0
; COMPUTE_PGM_RSRC3_GFX90A:ACCUM_OFFSET: 1
; COMPUTE_PGM_RSRC3_GFX90A:TG_SPLIT: 0
	.section	.text._ZN7rocprim17ROCPRIM_400000_NS6detail30init_device_scan_by_key_kernelINS1_19lookback_scan_stateINS0_5tupleIJ11FixedVectorIiLj4EEbEEELb1ELb0EEENS1_16block_id_wrapperIjLb1EEEEEvT_jjPNSB_10value_typeET0_,"axG",@progbits,_ZN7rocprim17ROCPRIM_400000_NS6detail30init_device_scan_by_key_kernelINS1_19lookback_scan_stateINS0_5tupleIJ11FixedVectorIiLj4EEbEEELb1ELb0EEENS1_16block_id_wrapperIjLb1EEEEEvT_jjPNSB_10value_typeET0_,comdat
	.protected	_ZN7rocprim17ROCPRIM_400000_NS6detail30init_device_scan_by_key_kernelINS1_19lookback_scan_stateINS0_5tupleIJ11FixedVectorIiLj4EEbEEELb1ELb0EEENS1_16block_id_wrapperIjLb1EEEEEvT_jjPNSB_10value_typeET0_ ; -- Begin function _ZN7rocprim17ROCPRIM_400000_NS6detail30init_device_scan_by_key_kernelINS1_19lookback_scan_stateINS0_5tupleIJ11FixedVectorIiLj4EEbEEELb1ELb0EEENS1_16block_id_wrapperIjLb1EEEEEvT_jjPNSB_10value_typeET0_
	.globl	_ZN7rocprim17ROCPRIM_400000_NS6detail30init_device_scan_by_key_kernelINS1_19lookback_scan_stateINS0_5tupleIJ11FixedVectorIiLj4EEbEEELb1ELb0EEENS1_16block_id_wrapperIjLb1EEEEEvT_jjPNSB_10value_typeET0_
	.p2align	8
	.type	_ZN7rocprim17ROCPRIM_400000_NS6detail30init_device_scan_by_key_kernelINS1_19lookback_scan_stateINS0_5tupleIJ11FixedVectorIiLj4EEbEEELb1ELb0EEENS1_16block_id_wrapperIjLb1EEEEEvT_jjPNSB_10value_typeET0_,@function
_ZN7rocprim17ROCPRIM_400000_NS6detail30init_device_scan_by_key_kernelINS1_19lookback_scan_stateINS0_5tupleIJ11FixedVectorIiLj4EEbEEELb1ELb0EEENS1_16block_id_wrapperIjLb1EEEEEvT_jjPNSB_10value_typeET0_: ; @_ZN7rocprim17ROCPRIM_400000_NS6detail30init_device_scan_by_key_kernelINS1_19lookback_scan_stateINS0_5tupleIJ11FixedVectorIiLj4EEbEEELb1ELb0EEENS1_16block_id_wrapperIjLb1EEEEEvT_jjPNSB_10value_typeET0_
; %bb.0:
	s_load_dword s3, s[0:1], 0x3c
	s_load_dwordx8 s[4:11], s[0:1], 0x10
	s_waitcnt lgkmcnt(0)
	s_and_b32 s3, s3, 0xffff
	s_mul_i32 s2, s2, s3
	s_cmp_eq_u64 s[8:9], 0
	v_add_u32_e32 v0, s2, v0
	s_cbranch_scc1 .LBB2043_11
; %bb.1:
	s_cmp_lt_u32 s7, s6
	s_cselect_b32 s2, s7, 0
	v_cmp_eq_u32_e32 vcc, s2, v0
	s_and_saveexec_b64 s[12:13], vcc
	s_cbranch_execz .LBB2043_10
; %bb.2:
	s_add_i32 s7, s7, 64
	v_mov_b32_e32 v1, s7
	global_load_ubyte v1, v1, s[4:5] sc1
	s_load_dwordx4 s[0:3], s[0:1], 0x0
	s_add_u32 s14, s4, s7
	s_addc_u32 s15, s5, 0
	s_waitcnt vmcnt(0)
	v_cmp_ne_u16_e32 vcc, 0, v1
	v_readfirstlane_b32 s16, v1
	s_cbranch_vccz .LBB2043_4
; %bb.3:
	s_and_b32 s14, 0xffff, s16
	s_branch .LBB2043_9
.LBB2043_4:
	s_mov_b32 s16, 1
	v_mov_b32_e32 v1, 0
.LBB2043_5:                             ; =>This Loop Header: Depth=1
                                        ;     Child Loop BB2043_6 Depth 2
	s_max_u32 s17, s16, 1
.LBB2043_6:                             ;   Parent Loop BB2043_5 Depth=1
                                        ; =>  This Inner Loop Header: Depth=2
	s_add_i32 s17, s17, -1
	s_cmp_eq_u32 s17, 0
	s_sleep 1
	s_cbranch_scc0 .LBB2043_6
; %bb.7:                                ;   in Loop: Header=BB2043_5 Depth=1
	global_load_ubyte v2, v1, s[14:15] sc1
	s_cmp_lt_u32 s16, 32
	s_cselect_b64 s[18:19], -1, 0
	s_cmp_lg_u64 s[18:19], 0
	s_addc_u32 s16, s16, 0
	s_waitcnt vmcnt(0)
	v_cmp_ne_u16_e32 vcc, 0, v2
	v_readfirstlane_b32 s17, v2
	s_cbranch_vccz .LBB2043_5
; %bb.8:
	s_and_b32 s14, 0xffff, s17
.LBB2043_9:
	s_cmp_eq_u32 s14, 1
	s_waitcnt lgkmcnt(0)
	s_cselect_b32 s1, s1, s3
	s_cselect_b32 s0, s0, s2
	s_mul_i32 s3, s7, 20
	s_mul_hi_u32 s2, s7, 20
	s_add_u32 s0, s0, s3
	s_addc_u32 s1, s1, s2
	v_mov_b32_e32 v1, 0
	s_waitcnt vmcnt(0)
	global_load_dword v2, v1, s[0:1] sc1
	global_load_dword v3, v1, s[0:1] offset:4 sc1
	global_load_dword v4, v1, s[0:1] offset:8 sc1
	;; [unrolled: 1-line block ×4, first 2 shown]
	s_waitcnt vmcnt(1)
	global_store_dwordx4 v1, v[2:5], s[8:9]
	s_waitcnt vmcnt(1)
	global_store_byte v1, v6, s[8:9] offset:16
.LBB2043_10:
	s_or_b64 exec, exec, s[12:13]
.LBB2043_11:
	v_cmp_eq_u32_e32 vcc, 0, v0
	s_and_saveexec_b64 s[0:1], vcc
	s_cbranch_execnz .LBB2043_15
; %bb.12:
	s_or_b64 exec, exec, s[0:1]
	v_cmp_gt_u32_e32 vcc, s6, v0
	s_and_saveexec_b64 s[0:1], vcc
	s_cbranch_execnz .LBB2043_16
.LBB2043_13:
	s_or_b64 exec, exec, s[0:1]
	v_cmp_gt_u32_e32 vcc, 64, v0
	s_and_saveexec_b64 s[0:1], vcc
	s_cbranch_execnz .LBB2043_17
.LBB2043_14:
	s_endpgm
.LBB2043_15:
	v_mov_b32_e32 v1, 0
	global_store_dword v1, v1, s[10:11]
	s_or_b64 exec, exec, s[0:1]
	v_cmp_gt_u32_e32 vcc, s6, v0
	s_and_saveexec_b64 s[0:1], vcc
	s_cbranch_execz .LBB2043_13
.LBB2043_16:
	v_add_u32_e32 v1, 64, v0
	v_mov_b32_e32 v2, 0
	global_store_byte v1, v2, s[4:5]
	s_or_b64 exec, exec, s[0:1]
	v_cmp_gt_u32_e32 vcc, 64, v0
	s_and_saveexec_b64 s[0:1], vcc
	s_cbranch_execz .LBB2043_14
.LBB2043_17:
	v_mov_b32_e32 v1, 0xff
	global_store_byte v0, v1, s[4:5]
	s_endpgm
	.section	.rodata,"a",@progbits
	.p2align	6, 0x0
	.amdhsa_kernel _ZN7rocprim17ROCPRIM_400000_NS6detail30init_device_scan_by_key_kernelINS1_19lookback_scan_stateINS0_5tupleIJ11FixedVectorIiLj4EEbEEELb1ELb0EEENS1_16block_id_wrapperIjLb1EEEEEvT_jjPNSB_10value_typeET0_
		.amdhsa_group_segment_fixed_size 0
		.amdhsa_private_segment_fixed_size 0
		.amdhsa_kernarg_size 304
		.amdhsa_user_sgpr_count 2
		.amdhsa_user_sgpr_dispatch_ptr 0
		.amdhsa_user_sgpr_queue_ptr 0
		.amdhsa_user_sgpr_kernarg_segment_ptr 1
		.amdhsa_user_sgpr_dispatch_id 0
		.amdhsa_user_sgpr_kernarg_preload_length 0
		.amdhsa_user_sgpr_kernarg_preload_offset 0
		.amdhsa_user_sgpr_private_segment_size 0
		.amdhsa_uses_dynamic_stack 0
		.amdhsa_enable_private_segment 0
		.amdhsa_system_sgpr_workgroup_id_x 1
		.amdhsa_system_sgpr_workgroup_id_y 0
		.amdhsa_system_sgpr_workgroup_id_z 0
		.amdhsa_system_sgpr_workgroup_info 0
		.amdhsa_system_vgpr_workitem_id 0
		.amdhsa_next_free_vgpr 7
		.amdhsa_next_free_sgpr 20
		.amdhsa_accum_offset 8
		.amdhsa_reserve_vcc 1
		.amdhsa_float_round_mode_32 0
		.amdhsa_float_round_mode_16_64 0
		.amdhsa_float_denorm_mode_32 3
		.amdhsa_float_denorm_mode_16_64 3
		.amdhsa_dx10_clamp 1
		.amdhsa_ieee_mode 1
		.amdhsa_fp16_overflow 0
		.amdhsa_tg_split 0
		.amdhsa_exception_fp_ieee_invalid_op 0
		.amdhsa_exception_fp_denorm_src 0
		.amdhsa_exception_fp_ieee_div_zero 0
		.amdhsa_exception_fp_ieee_overflow 0
		.amdhsa_exception_fp_ieee_underflow 0
		.amdhsa_exception_fp_ieee_inexact 0
		.amdhsa_exception_int_div_zero 0
	.end_amdhsa_kernel
	.section	.text._ZN7rocprim17ROCPRIM_400000_NS6detail30init_device_scan_by_key_kernelINS1_19lookback_scan_stateINS0_5tupleIJ11FixedVectorIiLj4EEbEEELb1ELb0EEENS1_16block_id_wrapperIjLb1EEEEEvT_jjPNSB_10value_typeET0_,"axG",@progbits,_ZN7rocprim17ROCPRIM_400000_NS6detail30init_device_scan_by_key_kernelINS1_19lookback_scan_stateINS0_5tupleIJ11FixedVectorIiLj4EEbEEELb1ELb0EEENS1_16block_id_wrapperIjLb1EEEEEvT_jjPNSB_10value_typeET0_,comdat
.Lfunc_end2043:
	.size	_ZN7rocprim17ROCPRIM_400000_NS6detail30init_device_scan_by_key_kernelINS1_19lookback_scan_stateINS0_5tupleIJ11FixedVectorIiLj4EEbEEELb1ELb0EEENS1_16block_id_wrapperIjLb1EEEEEvT_jjPNSB_10value_typeET0_, .Lfunc_end2043-_ZN7rocprim17ROCPRIM_400000_NS6detail30init_device_scan_by_key_kernelINS1_19lookback_scan_stateINS0_5tupleIJ11FixedVectorIiLj4EEbEEELb1ELb0EEENS1_16block_id_wrapperIjLb1EEEEEvT_jjPNSB_10value_typeET0_
                                        ; -- End function
	.section	.AMDGPU.csdata,"",@progbits
; Kernel info:
; codeLenInByte = 436
; NumSgprs: 26
; NumVgprs: 7
; NumAgprs: 0
; TotalNumVgprs: 7
; ScratchSize: 0
; MemoryBound: 0
; FloatMode: 240
; IeeeMode: 1
; LDSByteSize: 0 bytes/workgroup (compile time only)
; SGPRBlocks: 3
; VGPRBlocks: 0
; NumSGPRsForWavesPerEU: 26
; NumVGPRsForWavesPerEU: 7
; AccumOffset: 8
; Occupancy: 8
; WaveLimiterHint : 0
; COMPUTE_PGM_RSRC2:SCRATCH_EN: 0
; COMPUTE_PGM_RSRC2:USER_SGPR: 2
; COMPUTE_PGM_RSRC2:TRAP_HANDLER: 0
; COMPUTE_PGM_RSRC2:TGID_X_EN: 1
; COMPUTE_PGM_RSRC2:TGID_Y_EN: 0
; COMPUTE_PGM_RSRC2:TGID_Z_EN: 0
; COMPUTE_PGM_RSRC2:TIDIG_COMP_CNT: 0
; COMPUTE_PGM_RSRC3_GFX90A:ACCUM_OFFSET: 1
; COMPUTE_PGM_RSRC3_GFX90A:TG_SPLIT: 0
	.section	.text._ZN7rocprim17ROCPRIM_400000_NS6detail17trampoline_kernelINS0_14default_configENS1_27scan_by_key_config_selectorIj11FixedVectorIiLj4EEEEZZNS1_16scan_by_key_implILNS1_25lookback_scan_determinismE0ELb0ES3_N6thrust23THRUST_200600_302600_NS6detail15normal_iteratorINSB_10device_ptrIjEEEENSD_INSE_IS6_EEEESI_S6_NSB_4plusIvEENSB_8equal_toIvEES6_EE10hipError_tPvRmT2_T3_T4_T5_mT6_T7_P12ihipStream_tbENKUlT_T0_E_clISt17integral_constantIbLb1EES13_EEDaSY_SZ_EUlSY_E_NS1_11comp_targetILNS1_3genE0ELNS1_11target_archE4294967295ELNS1_3gpuE0ELNS1_3repE0EEENS1_30default_config_static_selectorELNS0_4arch9wavefront6targetE1EEEvT1_,"axG",@progbits,_ZN7rocprim17ROCPRIM_400000_NS6detail17trampoline_kernelINS0_14default_configENS1_27scan_by_key_config_selectorIj11FixedVectorIiLj4EEEEZZNS1_16scan_by_key_implILNS1_25lookback_scan_determinismE0ELb0ES3_N6thrust23THRUST_200600_302600_NS6detail15normal_iteratorINSB_10device_ptrIjEEEENSD_INSE_IS6_EEEESI_S6_NSB_4plusIvEENSB_8equal_toIvEES6_EE10hipError_tPvRmT2_T3_T4_T5_mT6_T7_P12ihipStream_tbENKUlT_T0_E_clISt17integral_constantIbLb1EES13_EEDaSY_SZ_EUlSY_E_NS1_11comp_targetILNS1_3genE0ELNS1_11target_archE4294967295ELNS1_3gpuE0ELNS1_3repE0EEENS1_30default_config_static_selectorELNS0_4arch9wavefront6targetE1EEEvT1_,comdat
	.protected	_ZN7rocprim17ROCPRIM_400000_NS6detail17trampoline_kernelINS0_14default_configENS1_27scan_by_key_config_selectorIj11FixedVectorIiLj4EEEEZZNS1_16scan_by_key_implILNS1_25lookback_scan_determinismE0ELb0ES3_N6thrust23THRUST_200600_302600_NS6detail15normal_iteratorINSB_10device_ptrIjEEEENSD_INSE_IS6_EEEESI_S6_NSB_4plusIvEENSB_8equal_toIvEES6_EE10hipError_tPvRmT2_T3_T4_T5_mT6_T7_P12ihipStream_tbENKUlT_T0_E_clISt17integral_constantIbLb1EES13_EEDaSY_SZ_EUlSY_E_NS1_11comp_targetILNS1_3genE0ELNS1_11target_archE4294967295ELNS1_3gpuE0ELNS1_3repE0EEENS1_30default_config_static_selectorELNS0_4arch9wavefront6targetE1EEEvT1_ ; -- Begin function _ZN7rocprim17ROCPRIM_400000_NS6detail17trampoline_kernelINS0_14default_configENS1_27scan_by_key_config_selectorIj11FixedVectorIiLj4EEEEZZNS1_16scan_by_key_implILNS1_25lookback_scan_determinismE0ELb0ES3_N6thrust23THRUST_200600_302600_NS6detail15normal_iteratorINSB_10device_ptrIjEEEENSD_INSE_IS6_EEEESI_S6_NSB_4plusIvEENSB_8equal_toIvEES6_EE10hipError_tPvRmT2_T3_T4_T5_mT6_T7_P12ihipStream_tbENKUlT_T0_E_clISt17integral_constantIbLb1EES13_EEDaSY_SZ_EUlSY_E_NS1_11comp_targetILNS1_3genE0ELNS1_11target_archE4294967295ELNS1_3gpuE0ELNS1_3repE0EEENS1_30default_config_static_selectorELNS0_4arch9wavefront6targetE1EEEvT1_
	.globl	_ZN7rocprim17ROCPRIM_400000_NS6detail17trampoline_kernelINS0_14default_configENS1_27scan_by_key_config_selectorIj11FixedVectorIiLj4EEEEZZNS1_16scan_by_key_implILNS1_25lookback_scan_determinismE0ELb0ES3_N6thrust23THRUST_200600_302600_NS6detail15normal_iteratorINSB_10device_ptrIjEEEENSD_INSE_IS6_EEEESI_S6_NSB_4plusIvEENSB_8equal_toIvEES6_EE10hipError_tPvRmT2_T3_T4_T5_mT6_T7_P12ihipStream_tbENKUlT_T0_E_clISt17integral_constantIbLb1EES13_EEDaSY_SZ_EUlSY_E_NS1_11comp_targetILNS1_3genE0ELNS1_11target_archE4294967295ELNS1_3gpuE0ELNS1_3repE0EEENS1_30default_config_static_selectorELNS0_4arch9wavefront6targetE1EEEvT1_
	.p2align	8
	.type	_ZN7rocprim17ROCPRIM_400000_NS6detail17trampoline_kernelINS0_14default_configENS1_27scan_by_key_config_selectorIj11FixedVectorIiLj4EEEEZZNS1_16scan_by_key_implILNS1_25lookback_scan_determinismE0ELb0ES3_N6thrust23THRUST_200600_302600_NS6detail15normal_iteratorINSB_10device_ptrIjEEEENSD_INSE_IS6_EEEESI_S6_NSB_4plusIvEENSB_8equal_toIvEES6_EE10hipError_tPvRmT2_T3_T4_T5_mT6_T7_P12ihipStream_tbENKUlT_T0_E_clISt17integral_constantIbLb1EES13_EEDaSY_SZ_EUlSY_E_NS1_11comp_targetILNS1_3genE0ELNS1_11target_archE4294967295ELNS1_3gpuE0ELNS1_3repE0EEENS1_30default_config_static_selectorELNS0_4arch9wavefront6targetE1EEEvT1_,@function
_ZN7rocprim17ROCPRIM_400000_NS6detail17trampoline_kernelINS0_14default_configENS1_27scan_by_key_config_selectorIj11FixedVectorIiLj4EEEEZZNS1_16scan_by_key_implILNS1_25lookback_scan_determinismE0ELb0ES3_N6thrust23THRUST_200600_302600_NS6detail15normal_iteratorINSB_10device_ptrIjEEEENSD_INSE_IS6_EEEESI_S6_NSB_4plusIvEENSB_8equal_toIvEES6_EE10hipError_tPvRmT2_T3_T4_T5_mT6_T7_P12ihipStream_tbENKUlT_T0_E_clISt17integral_constantIbLb1EES13_EEDaSY_SZ_EUlSY_E_NS1_11comp_targetILNS1_3genE0ELNS1_11target_archE4294967295ELNS1_3gpuE0ELNS1_3repE0EEENS1_30default_config_static_selectorELNS0_4arch9wavefront6targetE1EEEvT1_: ; @_ZN7rocprim17ROCPRIM_400000_NS6detail17trampoline_kernelINS0_14default_configENS1_27scan_by_key_config_selectorIj11FixedVectorIiLj4EEEEZZNS1_16scan_by_key_implILNS1_25lookback_scan_determinismE0ELb0ES3_N6thrust23THRUST_200600_302600_NS6detail15normal_iteratorINSB_10device_ptrIjEEEENSD_INSE_IS6_EEEESI_S6_NSB_4plusIvEENSB_8equal_toIvEES6_EE10hipError_tPvRmT2_T3_T4_T5_mT6_T7_P12ihipStream_tbENKUlT_T0_E_clISt17integral_constantIbLb1EES13_EEDaSY_SZ_EUlSY_E_NS1_11comp_targetILNS1_3genE0ELNS1_11target_archE4294967295ELNS1_3gpuE0ELNS1_3repE0EEENS1_30default_config_static_selectorELNS0_4arch9wavefront6targetE1EEEvT1_
; %bb.0:
	.section	.rodata,"a",@progbits
	.p2align	6, 0x0
	.amdhsa_kernel _ZN7rocprim17ROCPRIM_400000_NS6detail17trampoline_kernelINS0_14default_configENS1_27scan_by_key_config_selectorIj11FixedVectorIiLj4EEEEZZNS1_16scan_by_key_implILNS1_25lookback_scan_determinismE0ELb0ES3_N6thrust23THRUST_200600_302600_NS6detail15normal_iteratorINSB_10device_ptrIjEEEENSD_INSE_IS6_EEEESI_S6_NSB_4plusIvEENSB_8equal_toIvEES6_EE10hipError_tPvRmT2_T3_T4_T5_mT6_T7_P12ihipStream_tbENKUlT_T0_E_clISt17integral_constantIbLb1EES13_EEDaSY_SZ_EUlSY_E_NS1_11comp_targetILNS1_3genE0ELNS1_11target_archE4294967295ELNS1_3gpuE0ELNS1_3repE0EEENS1_30default_config_static_selectorELNS0_4arch9wavefront6targetE1EEEvT1_
		.amdhsa_group_segment_fixed_size 0
		.amdhsa_private_segment_fixed_size 0
		.amdhsa_kernarg_size 144
		.amdhsa_user_sgpr_count 2
		.amdhsa_user_sgpr_dispatch_ptr 0
		.amdhsa_user_sgpr_queue_ptr 0
		.amdhsa_user_sgpr_kernarg_segment_ptr 1
		.amdhsa_user_sgpr_dispatch_id 0
		.amdhsa_user_sgpr_kernarg_preload_length 0
		.amdhsa_user_sgpr_kernarg_preload_offset 0
		.amdhsa_user_sgpr_private_segment_size 0
		.amdhsa_uses_dynamic_stack 0
		.amdhsa_enable_private_segment 0
		.amdhsa_system_sgpr_workgroup_id_x 1
		.amdhsa_system_sgpr_workgroup_id_y 0
		.amdhsa_system_sgpr_workgroup_id_z 0
		.amdhsa_system_sgpr_workgroup_info 0
		.amdhsa_system_vgpr_workitem_id 0
		.amdhsa_next_free_vgpr 1
		.amdhsa_next_free_sgpr 0
		.amdhsa_accum_offset 4
		.amdhsa_reserve_vcc 0
		.amdhsa_float_round_mode_32 0
		.amdhsa_float_round_mode_16_64 0
		.amdhsa_float_denorm_mode_32 3
		.amdhsa_float_denorm_mode_16_64 3
		.amdhsa_dx10_clamp 1
		.amdhsa_ieee_mode 1
		.amdhsa_fp16_overflow 0
		.amdhsa_tg_split 0
		.amdhsa_exception_fp_ieee_invalid_op 0
		.amdhsa_exception_fp_denorm_src 0
		.amdhsa_exception_fp_ieee_div_zero 0
		.amdhsa_exception_fp_ieee_overflow 0
		.amdhsa_exception_fp_ieee_underflow 0
		.amdhsa_exception_fp_ieee_inexact 0
		.amdhsa_exception_int_div_zero 0
	.end_amdhsa_kernel
	.section	.text._ZN7rocprim17ROCPRIM_400000_NS6detail17trampoline_kernelINS0_14default_configENS1_27scan_by_key_config_selectorIj11FixedVectorIiLj4EEEEZZNS1_16scan_by_key_implILNS1_25lookback_scan_determinismE0ELb0ES3_N6thrust23THRUST_200600_302600_NS6detail15normal_iteratorINSB_10device_ptrIjEEEENSD_INSE_IS6_EEEESI_S6_NSB_4plusIvEENSB_8equal_toIvEES6_EE10hipError_tPvRmT2_T3_T4_T5_mT6_T7_P12ihipStream_tbENKUlT_T0_E_clISt17integral_constantIbLb1EES13_EEDaSY_SZ_EUlSY_E_NS1_11comp_targetILNS1_3genE0ELNS1_11target_archE4294967295ELNS1_3gpuE0ELNS1_3repE0EEENS1_30default_config_static_selectorELNS0_4arch9wavefront6targetE1EEEvT1_,"axG",@progbits,_ZN7rocprim17ROCPRIM_400000_NS6detail17trampoline_kernelINS0_14default_configENS1_27scan_by_key_config_selectorIj11FixedVectorIiLj4EEEEZZNS1_16scan_by_key_implILNS1_25lookback_scan_determinismE0ELb0ES3_N6thrust23THRUST_200600_302600_NS6detail15normal_iteratorINSB_10device_ptrIjEEEENSD_INSE_IS6_EEEESI_S6_NSB_4plusIvEENSB_8equal_toIvEES6_EE10hipError_tPvRmT2_T3_T4_T5_mT6_T7_P12ihipStream_tbENKUlT_T0_E_clISt17integral_constantIbLb1EES13_EEDaSY_SZ_EUlSY_E_NS1_11comp_targetILNS1_3genE0ELNS1_11target_archE4294967295ELNS1_3gpuE0ELNS1_3repE0EEENS1_30default_config_static_selectorELNS0_4arch9wavefront6targetE1EEEvT1_,comdat
.Lfunc_end2044:
	.size	_ZN7rocprim17ROCPRIM_400000_NS6detail17trampoline_kernelINS0_14default_configENS1_27scan_by_key_config_selectorIj11FixedVectorIiLj4EEEEZZNS1_16scan_by_key_implILNS1_25lookback_scan_determinismE0ELb0ES3_N6thrust23THRUST_200600_302600_NS6detail15normal_iteratorINSB_10device_ptrIjEEEENSD_INSE_IS6_EEEESI_S6_NSB_4plusIvEENSB_8equal_toIvEES6_EE10hipError_tPvRmT2_T3_T4_T5_mT6_T7_P12ihipStream_tbENKUlT_T0_E_clISt17integral_constantIbLb1EES13_EEDaSY_SZ_EUlSY_E_NS1_11comp_targetILNS1_3genE0ELNS1_11target_archE4294967295ELNS1_3gpuE0ELNS1_3repE0EEENS1_30default_config_static_selectorELNS0_4arch9wavefront6targetE1EEEvT1_, .Lfunc_end2044-_ZN7rocprim17ROCPRIM_400000_NS6detail17trampoline_kernelINS0_14default_configENS1_27scan_by_key_config_selectorIj11FixedVectorIiLj4EEEEZZNS1_16scan_by_key_implILNS1_25lookback_scan_determinismE0ELb0ES3_N6thrust23THRUST_200600_302600_NS6detail15normal_iteratorINSB_10device_ptrIjEEEENSD_INSE_IS6_EEEESI_S6_NSB_4plusIvEENSB_8equal_toIvEES6_EE10hipError_tPvRmT2_T3_T4_T5_mT6_T7_P12ihipStream_tbENKUlT_T0_E_clISt17integral_constantIbLb1EES13_EEDaSY_SZ_EUlSY_E_NS1_11comp_targetILNS1_3genE0ELNS1_11target_archE4294967295ELNS1_3gpuE0ELNS1_3repE0EEENS1_30default_config_static_selectorELNS0_4arch9wavefront6targetE1EEEvT1_
                                        ; -- End function
	.section	.AMDGPU.csdata,"",@progbits
; Kernel info:
; codeLenInByte = 0
; NumSgprs: 6
; NumVgprs: 0
; NumAgprs: 0
; TotalNumVgprs: 0
; ScratchSize: 0
; MemoryBound: 0
; FloatMode: 240
; IeeeMode: 1
; LDSByteSize: 0 bytes/workgroup (compile time only)
; SGPRBlocks: 0
; VGPRBlocks: 0
; NumSGPRsForWavesPerEU: 6
; NumVGPRsForWavesPerEU: 1
; AccumOffset: 4
; Occupancy: 8
; WaveLimiterHint : 0
; COMPUTE_PGM_RSRC2:SCRATCH_EN: 0
; COMPUTE_PGM_RSRC2:USER_SGPR: 2
; COMPUTE_PGM_RSRC2:TRAP_HANDLER: 0
; COMPUTE_PGM_RSRC2:TGID_X_EN: 1
; COMPUTE_PGM_RSRC2:TGID_Y_EN: 0
; COMPUTE_PGM_RSRC2:TGID_Z_EN: 0
; COMPUTE_PGM_RSRC2:TIDIG_COMP_CNT: 0
; COMPUTE_PGM_RSRC3_GFX90A:ACCUM_OFFSET: 0
; COMPUTE_PGM_RSRC3_GFX90A:TG_SPLIT: 0
	.section	.text._ZN7rocprim17ROCPRIM_400000_NS6detail17trampoline_kernelINS0_14default_configENS1_27scan_by_key_config_selectorIj11FixedVectorIiLj4EEEEZZNS1_16scan_by_key_implILNS1_25lookback_scan_determinismE0ELb0ES3_N6thrust23THRUST_200600_302600_NS6detail15normal_iteratorINSB_10device_ptrIjEEEENSD_INSE_IS6_EEEESI_S6_NSB_4plusIvEENSB_8equal_toIvEES6_EE10hipError_tPvRmT2_T3_T4_T5_mT6_T7_P12ihipStream_tbENKUlT_T0_E_clISt17integral_constantIbLb1EES13_EEDaSY_SZ_EUlSY_E_NS1_11comp_targetILNS1_3genE10ELNS1_11target_archE1201ELNS1_3gpuE5ELNS1_3repE0EEENS1_30default_config_static_selectorELNS0_4arch9wavefront6targetE1EEEvT1_,"axG",@progbits,_ZN7rocprim17ROCPRIM_400000_NS6detail17trampoline_kernelINS0_14default_configENS1_27scan_by_key_config_selectorIj11FixedVectorIiLj4EEEEZZNS1_16scan_by_key_implILNS1_25lookback_scan_determinismE0ELb0ES3_N6thrust23THRUST_200600_302600_NS6detail15normal_iteratorINSB_10device_ptrIjEEEENSD_INSE_IS6_EEEESI_S6_NSB_4plusIvEENSB_8equal_toIvEES6_EE10hipError_tPvRmT2_T3_T4_T5_mT6_T7_P12ihipStream_tbENKUlT_T0_E_clISt17integral_constantIbLb1EES13_EEDaSY_SZ_EUlSY_E_NS1_11comp_targetILNS1_3genE10ELNS1_11target_archE1201ELNS1_3gpuE5ELNS1_3repE0EEENS1_30default_config_static_selectorELNS0_4arch9wavefront6targetE1EEEvT1_,comdat
	.protected	_ZN7rocprim17ROCPRIM_400000_NS6detail17trampoline_kernelINS0_14default_configENS1_27scan_by_key_config_selectorIj11FixedVectorIiLj4EEEEZZNS1_16scan_by_key_implILNS1_25lookback_scan_determinismE0ELb0ES3_N6thrust23THRUST_200600_302600_NS6detail15normal_iteratorINSB_10device_ptrIjEEEENSD_INSE_IS6_EEEESI_S6_NSB_4plusIvEENSB_8equal_toIvEES6_EE10hipError_tPvRmT2_T3_T4_T5_mT6_T7_P12ihipStream_tbENKUlT_T0_E_clISt17integral_constantIbLb1EES13_EEDaSY_SZ_EUlSY_E_NS1_11comp_targetILNS1_3genE10ELNS1_11target_archE1201ELNS1_3gpuE5ELNS1_3repE0EEENS1_30default_config_static_selectorELNS0_4arch9wavefront6targetE1EEEvT1_ ; -- Begin function _ZN7rocprim17ROCPRIM_400000_NS6detail17trampoline_kernelINS0_14default_configENS1_27scan_by_key_config_selectorIj11FixedVectorIiLj4EEEEZZNS1_16scan_by_key_implILNS1_25lookback_scan_determinismE0ELb0ES3_N6thrust23THRUST_200600_302600_NS6detail15normal_iteratorINSB_10device_ptrIjEEEENSD_INSE_IS6_EEEESI_S6_NSB_4plusIvEENSB_8equal_toIvEES6_EE10hipError_tPvRmT2_T3_T4_T5_mT6_T7_P12ihipStream_tbENKUlT_T0_E_clISt17integral_constantIbLb1EES13_EEDaSY_SZ_EUlSY_E_NS1_11comp_targetILNS1_3genE10ELNS1_11target_archE1201ELNS1_3gpuE5ELNS1_3repE0EEENS1_30default_config_static_selectorELNS0_4arch9wavefront6targetE1EEEvT1_
	.globl	_ZN7rocprim17ROCPRIM_400000_NS6detail17trampoline_kernelINS0_14default_configENS1_27scan_by_key_config_selectorIj11FixedVectorIiLj4EEEEZZNS1_16scan_by_key_implILNS1_25lookback_scan_determinismE0ELb0ES3_N6thrust23THRUST_200600_302600_NS6detail15normal_iteratorINSB_10device_ptrIjEEEENSD_INSE_IS6_EEEESI_S6_NSB_4plusIvEENSB_8equal_toIvEES6_EE10hipError_tPvRmT2_T3_T4_T5_mT6_T7_P12ihipStream_tbENKUlT_T0_E_clISt17integral_constantIbLb1EES13_EEDaSY_SZ_EUlSY_E_NS1_11comp_targetILNS1_3genE10ELNS1_11target_archE1201ELNS1_3gpuE5ELNS1_3repE0EEENS1_30default_config_static_selectorELNS0_4arch9wavefront6targetE1EEEvT1_
	.p2align	8
	.type	_ZN7rocprim17ROCPRIM_400000_NS6detail17trampoline_kernelINS0_14default_configENS1_27scan_by_key_config_selectorIj11FixedVectorIiLj4EEEEZZNS1_16scan_by_key_implILNS1_25lookback_scan_determinismE0ELb0ES3_N6thrust23THRUST_200600_302600_NS6detail15normal_iteratorINSB_10device_ptrIjEEEENSD_INSE_IS6_EEEESI_S6_NSB_4plusIvEENSB_8equal_toIvEES6_EE10hipError_tPvRmT2_T3_T4_T5_mT6_T7_P12ihipStream_tbENKUlT_T0_E_clISt17integral_constantIbLb1EES13_EEDaSY_SZ_EUlSY_E_NS1_11comp_targetILNS1_3genE10ELNS1_11target_archE1201ELNS1_3gpuE5ELNS1_3repE0EEENS1_30default_config_static_selectorELNS0_4arch9wavefront6targetE1EEEvT1_,@function
_ZN7rocprim17ROCPRIM_400000_NS6detail17trampoline_kernelINS0_14default_configENS1_27scan_by_key_config_selectorIj11FixedVectorIiLj4EEEEZZNS1_16scan_by_key_implILNS1_25lookback_scan_determinismE0ELb0ES3_N6thrust23THRUST_200600_302600_NS6detail15normal_iteratorINSB_10device_ptrIjEEEENSD_INSE_IS6_EEEESI_S6_NSB_4plusIvEENSB_8equal_toIvEES6_EE10hipError_tPvRmT2_T3_T4_T5_mT6_T7_P12ihipStream_tbENKUlT_T0_E_clISt17integral_constantIbLb1EES13_EEDaSY_SZ_EUlSY_E_NS1_11comp_targetILNS1_3genE10ELNS1_11target_archE1201ELNS1_3gpuE5ELNS1_3repE0EEENS1_30default_config_static_selectorELNS0_4arch9wavefront6targetE1EEEvT1_: ; @_ZN7rocprim17ROCPRIM_400000_NS6detail17trampoline_kernelINS0_14default_configENS1_27scan_by_key_config_selectorIj11FixedVectorIiLj4EEEEZZNS1_16scan_by_key_implILNS1_25lookback_scan_determinismE0ELb0ES3_N6thrust23THRUST_200600_302600_NS6detail15normal_iteratorINSB_10device_ptrIjEEEENSD_INSE_IS6_EEEESI_S6_NSB_4plusIvEENSB_8equal_toIvEES6_EE10hipError_tPvRmT2_T3_T4_T5_mT6_T7_P12ihipStream_tbENKUlT_T0_E_clISt17integral_constantIbLb1EES13_EEDaSY_SZ_EUlSY_E_NS1_11comp_targetILNS1_3genE10ELNS1_11target_archE1201ELNS1_3gpuE5ELNS1_3repE0EEENS1_30default_config_static_selectorELNS0_4arch9wavefront6targetE1EEEvT1_
; %bb.0:
	.section	.rodata,"a",@progbits
	.p2align	6, 0x0
	.amdhsa_kernel _ZN7rocprim17ROCPRIM_400000_NS6detail17trampoline_kernelINS0_14default_configENS1_27scan_by_key_config_selectorIj11FixedVectorIiLj4EEEEZZNS1_16scan_by_key_implILNS1_25lookback_scan_determinismE0ELb0ES3_N6thrust23THRUST_200600_302600_NS6detail15normal_iteratorINSB_10device_ptrIjEEEENSD_INSE_IS6_EEEESI_S6_NSB_4plusIvEENSB_8equal_toIvEES6_EE10hipError_tPvRmT2_T3_T4_T5_mT6_T7_P12ihipStream_tbENKUlT_T0_E_clISt17integral_constantIbLb1EES13_EEDaSY_SZ_EUlSY_E_NS1_11comp_targetILNS1_3genE10ELNS1_11target_archE1201ELNS1_3gpuE5ELNS1_3repE0EEENS1_30default_config_static_selectorELNS0_4arch9wavefront6targetE1EEEvT1_
		.amdhsa_group_segment_fixed_size 0
		.amdhsa_private_segment_fixed_size 0
		.amdhsa_kernarg_size 144
		.amdhsa_user_sgpr_count 2
		.amdhsa_user_sgpr_dispatch_ptr 0
		.amdhsa_user_sgpr_queue_ptr 0
		.amdhsa_user_sgpr_kernarg_segment_ptr 1
		.amdhsa_user_sgpr_dispatch_id 0
		.amdhsa_user_sgpr_kernarg_preload_length 0
		.amdhsa_user_sgpr_kernarg_preload_offset 0
		.amdhsa_user_sgpr_private_segment_size 0
		.amdhsa_uses_dynamic_stack 0
		.amdhsa_enable_private_segment 0
		.amdhsa_system_sgpr_workgroup_id_x 1
		.amdhsa_system_sgpr_workgroup_id_y 0
		.amdhsa_system_sgpr_workgroup_id_z 0
		.amdhsa_system_sgpr_workgroup_info 0
		.amdhsa_system_vgpr_workitem_id 0
		.amdhsa_next_free_vgpr 1
		.amdhsa_next_free_sgpr 0
		.amdhsa_accum_offset 4
		.amdhsa_reserve_vcc 0
		.amdhsa_float_round_mode_32 0
		.amdhsa_float_round_mode_16_64 0
		.amdhsa_float_denorm_mode_32 3
		.amdhsa_float_denorm_mode_16_64 3
		.amdhsa_dx10_clamp 1
		.amdhsa_ieee_mode 1
		.amdhsa_fp16_overflow 0
		.amdhsa_tg_split 0
		.amdhsa_exception_fp_ieee_invalid_op 0
		.amdhsa_exception_fp_denorm_src 0
		.amdhsa_exception_fp_ieee_div_zero 0
		.amdhsa_exception_fp_ieee_overflow 0
		.amdhsa_exception_fp_ieee_underflow 0
		.amdhsa_exception_fp_ieee_inexact 0
		.amdhsa_exception_int_div_zero 0
	.end_amdhsa_kernel
	.section	.text._ZN7rocprim17ROCPRIM_400000_NS6detail17trampoline_kernelINS0_14default_configENS1_27scan_by_key_config_selectorIj11FixedVectorIiLj4EEEEZZNS1_16scan_by_key_implILNS1_25lookback_scan_determinismE0ELb0ES3_N6thrust23THRUST_200600_302600_NS6detail15normal_iteratorINSB_10device_ptrIjEEEENSD_INSE_IS6_EEEESI_S6_NSB_4plusIvEENSB_8equal_toIvEES6_EE10hipError_tPvRmT2_T3_T4_T5_mT6_T7_P12ihipStream_tbENKUlT_T0_E_clISt17integral_constantIbLb1EES13_EEDaSY_SZ_EUlSY_E_NS1_11comp_targetILNS1_3genE10ELNS1_11target_archE1201ELNS1_3gpuE5ELNS1_3repE0EEENS1_30default_config_static_selectorELNS0_4arch9wavefront6targetE1EEEvT1_,"axG",@progbits,_ZN7rocprim17ROCPRIM_400000_NS6detail17trampoline_kernelINS0_14default_configENS1_27scan_by_key_config_selectorIj11FixedVectorIiLj4EEEEZZNS1_16scan_by_key_implILNS1_25lookback_scan_determinismE0ELb0ES3_N6thrust23THRUST_200600_302600_NS6detail15normal_iteratorINSB_10device_ptrIjEEEENSD_INSE_IS6_EEEESI_S6_NSB_4plusIvEENSB_8equal_toIvEES6_EE10hipError_tPvRmT2_T3_T4_T5_mT6_T7_P12ihipStream_tbENKUlT_T0_E_clISt17integral_constantIbLb1EES13_EEDaSY_SZ_EUlSY_E_NS1_11comp_targetILNS1_3genE10ELNS1_11target_archE1201ELNS1_3gpuE5ELNS1_3repE0EEENS1_30default_config_static_selectorELNS0_4arch9wavefront6targetE1EEEvT1_,comdat
.Lfunc_end2045:
	.size	_ZN7rocprim17ROCPRIM_400000_NS6detail17trampoline_kernelINS0_14default_configENS1_27scan_by_key_config_selectorIj11FixedVectorIiLj4EEEEZZNS1_16scan_by_key_implILNS1_25lookback_scan_determinismE0ELb0ES3_N6thrust23THRUST_200600_302600_NS6detail15normal_iteratorINSB_10device_ptrIjEEEENSD_INSE_IS6_EEEESI_S6_NSB_4plusIvEENSB_8equal_toIvEES6_EE10hipError_tPvRmT2_T3_T4_T5_mT6_T7_P12ihipStream_tbENKUlT_T0_E_clISt17integral_constantIbLb1EES13_EEDaSY_SZ_EUlSY_E_NS1_11comp_targetILNS1_3genE10ELNS1_11target_archE1201ELNS1_3gpuE5ELNS1_3repE0EEENS1_30default_config_static_selectorELNS0_4arch9wavefront6targetE1EEEvT1_, .Lfunc_end2045-_ZN7rocprim17ROCPRIM_400000_NS6detail17trampoline_kernelINS0_14default_configENS1_27scan_by_key_config_selectorIj11FixedVectorIiLj4EEEEZZNS1_16scan_by_key_implILNS1_25lookback_scan_determinismE0ELb0ES3_N6thrust23THRUST_200600_302600_NS6detail15normal_iteratorINSB_10device_ptrIjEEEENSD_INSE_IS6_EEEESI_S6_NSB_4plusIvEENSB_8equal_toIvEES6_EE10hipError_tPvRmT2_T3_T4_T5_mT6_T7_P12ihipStream_tbENKUlT_T0_E_clISt17integral_constantIbLb1EES13_EEDaSY_SZ_EUlSY_E_NS1_11comp_targetILNS1_3genE10ELNS1_11target_archE1201ELNS1_3gpuE5ELNS1_3repE0EEENS1_30default_config_static_selectorELNS0_4arch9wavefront6targetE1EEEvT1_
                                        ; -- End function
	.section	.AMDGPU.csdata,"",@progbits
; Kernel info:
; codeLenInByte = 0
; NumSgprs: 6
; NumVgprs: 0
; NumAgprs: 0
; TotalNumVgprs: 0
; ScratchSize: 0
; MemoryBound: 0
; FloatMode: 240
; IeeeMode: 1
; LDSByteSize: 0 bytes/workgroup (compile time only)
; SGPRBlocks: 0
; VGPRBlocks: 0
; NumSGPRsForWavesPerEU: 6
; NumVGPRsForWavesPerEU: 1
; AccumOffset: 4
; Occupancy: 8
; WaveLimiterHint : 0
; COMPUTE_PGM_RSRC2:SCRATCH_EN: 0
; COMPUTE_PGM_RSRC2:USER_SGPR: 2
; COMPUTE_PGM_RSRC2:TRAP_HANDLER: 0
; COMPUTE_PGM_RSRC2:TGID_X_EN: 1
; COMPUTE_PGM_RSRC2:TGID_Y_EN: 0
; COMPUTE_PGM_RSRC2:TGID_Z_EN: 0
; COMPUTE_PGM_RSRC2:TIDIG_COMP_CNT: 0
; COMPUTE_PGM_RSRC3_GFX90A:ACCUM_OFFSET: 0
; COMPUTE_PGM_RSRC3_GFX90A:TG_SPLIT: 0
	.section	.text._ZN7rocprim17ROCPRIM_400000_NS6detail17trampoline_kernelINS0_14default_configENS1_27scan_by_key_config_selectorIj11FixedVectorIiLj4EEEEZZNS1_16scan_by_key_implILNS1_25lookback_scan_determinismE0ELb0ES3_N6thrust23THRUST_200600_302600_NS6detail15normal_iteratorINSB_10device_ptrIjEEEENSD_INSE_IS6_EEEESI_S6_NSB_4plusIvEENSB_8equal_toIvEES6_EE10hipError_tPvRmT2_T3_T4_T5_mT6_T7_P12ihipStream_tbENKUlT_T0_E_clISt17integral_constantIbLb1EES13_EEDaSY_SZ_EUlSY_E_NS1_11comp_targetILNS1_3genE5ELNS1_11target_archE942ELNS1_3gpuE9ELNS1_3repE0EEENS1_30default_config_static_selectorELNS0_4arch9wavefront6targetE1EEEvT1_,"axG",@progbits,_ZN7rocprim17ROCPRIM_400000_NS6detail17trampoline_kernelINS0_14default_configENS1_27scan_by_key_config_selectorIj11FixedVectorIiLj4EEEEZZNS1_16scan_by_key_implILNS1_25lookback_scan_determinismE0ELb0ES3_N6thrust23THRUST_200600_302600_NS6detail15normal_iteratorINSB_10device_ptrIjEEEENSD_INSE_IS6_EEEESI_S6_NSB_4plusIvEENSB_8equal_toIvEES6_EE10hipError_tPvRmT2_T3_T4_T5_mT6_T7_P12ihipStream_tbENKUlT_T0_E_clISt17integral_constantIbLb1EES13_EEDaSY_SZ_EUlSY_E_NS1_11comp_targetILNS1_3genE5ELNS1_11target_archE942ELNS1_3gpuE9ELNS1_3repE0EEENS1_30default_config_static_selectorELNS0_4arch9wavefront6targetE1EEEvT1_,comdat
	.protected	_ZN7rocprim17ROCPRIM_400000_NS6detail17trampoline_kernelINS0_14default_configENS1_27scan_by_key_config_selectorIj11FixedVectorIiLj4EEEEZZNS1_16scan_by_key_implILNS1_25lookback_scan_determinismE0ELb0ES3_N6thrust23THRUST_200600_302600_NS6detail15normal_iteratorINSB_10device_ptrIjEEEENSD_INSE_IS6_EEEESI_S6_NSB_4plusIvEENSB_8equal_toIvEES6_EE10hipError_tPvRmT2_T3_T4_T5_mT6_T7_P12ihipStream_tbENKUlT_T0_E_clISt17integral_constantIbLb1EES13_EEDaSY_SZ_EUlSY_E_NS1_11comp_targetILNS1_3genE5ELNS1_11target_archE942ELNS1_3gpuE9ELNS1_3repE0EEENS1_30default_config_static_selectorELNS0_4arch9wavefront6targetE1EEEvT1_ ; -- Begin function _ZN7rocprim17ROCPRIM_400000_NS6detail17trampoline_kernelINS0_14default_configENS1_27scan_by_key_config_selectorIj11FixedVectorIiLj4EEEEZZNS1_16scan_by_key_implILNS1_25lookback_scan_determinismE0ELb0ES3_N6thrust23THRUST_200600_302600_NS6detail15normal_iteratorINSB_10device_ptrIjEEEENSD_INSE_IS6_EEEESI_S6_NSB_4plusIvEENSB_8equal_toIvEES6_EE10hipError_tPvRmT2_T3_T4_T5_mT6_T7_P12ihipStream_tbENKUlT_T0_E_clISt17integral_constantIbLb1EES13_EEDaSY_SZ_EUlSY_E_NS1_11comp_targetILNS1_3genE5ELNS1_11target_archE942ELNS1_3gpuE9ELNS1_3repE0EEENS1_30default_config_static_selectorELNS0_4arch9wavefront6targetE1EEEvT1_
	.globl	_ZN7rocprim17ROCPRIM_400000_NS6detail17trampoline_kernelINS0_14default_configENS1_27scan_by_key_config_selectorIj11FixedVectorIiLj4EEEEZZNS1_16scan_by_key_implILNS1_25lookback_scan_determinismE0ELb0ES3_N6thrust23THRUST_200600_302600_NS6detail15normal_iteratorINSB_10device_ptrIjEEEENSD_INSE_IS6_EEEESI_S6_NSB_4plusIvEENSB_8equal_toIvEES6_EE10hipError_tPvRmT2_T3_T4_T5_mT6_T7_P12ihipStream_tbENKUlT_T0_E_clISt17integral_constantIbLb1EES13_EEDaSY_SZ_EUlSY_E_NS1_11comp_targetILNS1_3genE5ELNS1_11target_archE942ELNS1_3gpuE9ELNS1_3repE0EEENS1_30default_config_static_selectorELNS0_4arch9wavefront6targetE1EEEvT1_
	.p2align	8
	.type	_ZN7rocprim17ROCPRIM_400000_NS6detail17trampoline_kernelINS0_14default_configENS1_27scan_by_key_config_selectorIj11FixedVectorIiLj4EEEEZZNS1_16scan_by_key_implILNS1_25lookback_scan_determinismE0ELb0ES3_N6thrust23THRUST_200600_302600_NS6detail15normal_iteratorINSB_10device_ptrIjEEEENSD_INSE_IS6_EEEESI_S6_NSB_4plusIvEENSB_8equal_toIvEES6_EE10hipError_tPvRmT2_T3_T4_T5_mT6_T7_P12ihipStream_tbENKUlT_T0_E_clISt17integral_constantIbLb1EES13_EEDaSY_SZ_EUlSY_E_NS1_11comp_targetILNS1_3genE5ELNS1_11target_archE942ELNS1_3gpuE9ELNS1_3repE0EEENS1_30default_config_static_selectorELNS0_4arch9wavefront6targetE1EEEvT1_,@function
_ZN7rocprim17ROCPRIM_400000_NS6detail17trampoline_kernelINS0_14default_configENS1_27scan_by_key_config_selectorIj11FixedVectorIiLj4EEEEZZNS1_16scan_by_key_implILNS1_25lookback_scan_determinismE0ELb0ES3_N6thrust23THRUST_200600_302600_NS6detail15normal_iteratorINSB_10device_ptrIjEEEENSD_INSE_IS6_EEEESI_S6_NSB_4plusIvEENSB_8equal_toIvEES6_EE10hipError_tPvRmT2_T3_T4_T5_mT6_T7_P12ihipStream_tbENKUlT_T0_E_clISt17integral_constantIbLb1EES13_EEDaSY_SZ_EUlSY_E_NS1_11comp_targetILNS1_3genE5ELNS1_11target_archE942ELNS1_3gpuE9ELNS1_3repE0EEENS1_30default_config_static_selectorELNS0_4arch9wavefront6targetE1EEEvT1_: ; @_ZN7rocprim17ROCPRIM_400000_NS6detail17trampoline_kernelINS0_14default_configENS1_27scan_by_key_config_selectorIj11FixedVectorIiLj4EEEEZZNS1_16scan_by_key_implILNS1_25lookback_scan_determinismE0ELb0ES3_N6thrust23THRUST_200600_302600_NS6detail15normal_iteratorINSB_10device_ptrIjEEEENSD_INSE_IS6_EEEESI_S6_NSB_4plusIvEENSB_8equal_toIvEES6_EE10hipError_tPvRmT2_T3_T4_T5_mT6_T7_P12ihipStream_tbENKUlT_T0_E_clISt17integral_constantIbLb1EES13_EEDaSY_SZ_EUlSY_E_NS1_11comp_targetILNS1_3genE5ELNS1_11target_archE942ELNS1_3gpuE9ELNS1_3repE0EEENS1_30default_config_static_selectorELNS0_4arch9wavefront6targetE1EEEvT1_
; %bb.0:
	s_load_dwordx8 s[56:63], s[0:1], 0x38
	s_load_dwordx2 s[16:17], s[0:1], 0x58
	v_cmp_ne_u32_e64 s[4:5], 0, v0
	v_cmp_eq_u32_e64 s[74:75], 0, v0
	s_and_saveexec_b64 s[2:3], s[74:75]
	s_cbranch_execz .LBB2046_4
; %bb.1:
	s_mov_b64 s[8:9], exec
	v_mbcnt_lo_u32_b32 v1, s8, 0
	v_mbcnt_hi_u32_b32 v1, s9, v1
	v_cmp_eq_u32_e32 vcc, 0, v1
                                        ; implicit-def: $vgpr2
	s_and_saveexec_b64 s[6:7], vcc
	s_cbranch_execz .LBB2046_3
; %bb.2:
	s_load_dwordx2 s[10:11], s[0:1], 0x88
	s_bcnt1_i32_b64 s8, s[8:9]
	v_mov_b32_e32 v2, 0
	v_mov_b32_e32 v3, s8
	s_waitcnt lgkmcnt(0)
	global_atomic_add v2, v2, v3, s[10:11] sc0
.LBB2046_3:
	s_or_b64 exec, exec, s[6:7]
	s_waitcnt vmcnt(0)
	v_readfirstlane_b32 s6, v2
	v_mov_b32_e32 v2, 0
	s_nop 0
	v_add_u32_e32 v1, s6, v1
	ds_write_b32 v2, v1
.LBB2046_4:
	s_or_b64 exec, exec, s[2:3]
	s_load_dwordx8 s[8:15], s[0:1], 0x0
                                        ; implicit-def: $vgpr200 : SGPR spill to VGPR lane
	v_mov_b32_e32 v2, 0
                                        ; kill: killed $sgpr0_sgpr1
	v_mov_b32_e32 v3, v2
	v_mov_b32_e32 v4, v2
	;; [unrolled: 1-line block ×3, first 2 shown]
	s_waitcnt lgkmcnt(0)
	v_writelane_b32 v200, s8, 0
	s_nop 1
	v_writelane_b32 v200, s9, 1
	v_writelane_b32 v200, s10, 2
	;; [unrolled: 1-line block ×7, first 2 shown]
	s_load_dword s3, s[0:1], 0x60
	s_load_dwordx8 s[8:15], s[0:1], 0x68
	s_waitcnt lgkmcnt(0)
	s_barrier
	ds_read_b32 v1, v2
	v_writelane_b32 v200, s8, 8
	s_mov_b32 s0, 0
	s_waitcnt lgkmcnt(0)
	v_writelane_b32 v200, s9, 9
	v_writelane_b32 v200, s10, 10
	;; [unrolled: 1-line block ×6, first 2 shown]
	v_readfirstlane_b32 s2, v1
	v_writelane_b32 v200, s15, 15
	s_barrier
	s_barrier
	scratch_store_dword off, v2, off offset:496
	scratch_store_dwordx4 off, v[2:5], off offset:480
.LBB2046_5:                             ; =>This Inner Loop Header: Depth=1
	s_add_i32 s1, s0, 0x1e0
	s_add_i32 s0, s0, 8
	s_cmp_lg_u32 s0, 16
	scratch_store_dwordx2 off, v[2:3], s1
	s_cbranch_scc1 .LBB2046_5
; %bb.6:
	v_mov_b32_e32 v2, 0
	s_mov_b32 s0, 20
	s_add_i32 s33, 0x1e0, 20
	v_mov_b32_e32 v3, v2
	v_mov_b32_e32 v4, v2
	v_mov_b32_e32 v5, v2
	scratch_store_byte off, v2, off offset:496
	scratch_store_dword off, v2, off offset:516
	scratch_store_dwordx4 off, v[2:5], off offset:500
.LBB2046_7:                             ; =>This Inner Loop Header: Depth=1
	s_add_i32 s1, s0, 0x1e0
	s_add_i32 s0, s0, 8
	s_cmp_lg_u32 s0, 36
	scratch_store_dwordx2 off, v[2:3], s1
	s_cbranch_scc1 .LBB2046_7
; %bb.8:
	v_mov_b32_e32 v2, 0
	s_mov_b32 s0, 40
	s_add_i32 s78, 0x1e0, 40
	v_mov_b32_e32 v3, v2
	v_mov_b32_e32 v4, v2
	v_mov_b32_e32 v5, v2
	scratch_store_byte off, v2, off offset:516
	;; [unrolled: 16-line block ×3, first 2 shown]
	scratch_store_dword off, v2, off offset:556
	scratch_store_dwordx4 off, v[2:5], off offset:540
.LBB2046_11:                            ; =>This Inner Loop Header: Depth=1
	s_add_i32 s1, s0, 0x1e0
	s_add_i32 s0, s0, 8
	s_cmpk_lg_i32 s0, 0x4c
	scratch_store_dwordx2 off, v[2:3], s1
	s_cbranch_scc1 .LBB2046_11
; %bb.12:
	v_mov_b32_e32 v2, 0
	s_movk_i32 s87, 0x1e0
	s_movk_i32 s0, 0x50
	s_addk_i32 s87, 0x50
	v_mov_b32_e32 v3, v2
	v_mov_b32_e32 v4, v2
	v_mov_b32_e32 v5, v2
	scratch_store_byte off, v2, off offset:556
	scratch_store_dword off, v2, off offset:576
	scratch_store_dwordx4 off, v[2:5], off offset:560
.LBB2046_13:                            ; =>This Inner Loop Header: Depth=1
	s_add_i32 s1, s0, 0x1e0
	s_add_i32 s0, s0, 8
	s_cmpk_lg_i32 s0, 0x60
	scratch_store_dwordx2 off, v[2:3], s1
	s_cbranch_scc1 .LBB2046_13
; %bb.14:
	v_mov_b32_e32 v2, 0
	s_movk_i32 s88, 0x1e0
	s_movk_i32 s0, 0x64
	s_add_i32 s79, s88, 0x64
	v_mov_b32_e32 v3, v2
	v_mov_b32_e32 v4, v2
	v_mov_b32_e32 v5, v2
	scratch_store_byte off, v2, off offset:576
	scratch_store_dword off, v2, off offset:596
	scratch_store_dwordx4 off, v[2:5], off offset:580
.LBB2046_15:                            ; =>This Inner Loop Header: Depth=1
	s_add_i32 s1, s0, 0x1e0
	s_add_i32 s0, s0, 8
	s_cmpk_lg_i32 s0, 0x74
	scratch_store_dwordx2 off, v[2:3], s1
	s_cbranch_scc1 .LBB2046_15
; %bb.16:
	v_mov_b32_e32 v2, 0
	s_movk_i32 s89, 0x1e0
	s_movk_i32 s0, 0x78
	s_add_i32 s64, s89, 0x78
	;; [unrolled: 17-line block ×7, first 2 shown]
	v_mov_b32_e32 v3, v2
	v_mov_b32_e32 v4, v2
	;; [unrolled: 1-line block ×3, first 2 shown]
	s_mov_b64 s[92:93], s[4:5]
	scratch_store_byte off, v2, off offset:696
	scratch_store_dword off, v2, off offset:716
	scratch_store_dwordx4 off, v[2:5], off offset:700
.LBB2046_27:                            ; =>This Inner Loop Header: Depth=1
	s_add_i32 s1, s0, 0x1e0
	s_add_i32 s0, s0, 8
	s_cmpk_lg_i32 s0, 0xec
	scratch_store_dwordx2 off, v[2:3], s1
	s_cbranch_scc1 .LBB2046_27
; %bb.28:
	v_mov_b32_e32 v2, 0
	s_movk_i32 s95, 0x1e0
	s_movk_i32 s0, 0xf0
	s_addk_i32 s95, 0xf0
	v_mov_b32_e32 v3, v2
	v_mov_b32_e32 v4, v2
	v_mov_b32_e32 v5, v2
	scratch_store_byte off, v2, off offset:716
	scratch_store_dword off, v2, off offset:736
	scratch_store_dwordx4 off, v[2:5], off offset:720
.LBB2046_29:                            ; =>This Inner Loop Header: Depth=1
	s_add_i32 s1, s0, 0x1e0
	s_add_i32 s0, s0, 8
	s_cmpk_lg_i32 s0, 0x100
	scratch_store_dwordx2 off, v[2:3], s1
	s_cbranch_scc1 .LBB2046_29
; %bb.30:
	v_mov_b32_e32 v2, 0
	s_movk_i32 s96, 0x1e0
	s_movk_i32 s0, 0x104
	s_addk_i32 s96, 0x104
	v_mov_b32_e32 v3, v2
	v_mov_b32_e32 v4, v2
	v_mov_b32_e32 v5, v2
	;; [unrolled: 17-line block ×11, first 2 shown]
	scratch_store_byte off, v2, off offset:916
	scratch_store_dword off, v2, off offset:936
	scratch_store_dwordx4 off, v[2:5], off offset:920
.LBB2046_49:                            ; =>This Inner Loop Header: Depth=1
	s_add_i32 s1, s0, 0x1e0
	s_add_i32 s0, s0, 8
	s_cmpk_lg_i32 s0, 0x1c8
	scratch_store_dwordx2 off, v[2:3], s1
	s_cbranch_scc1 .LBB2046_49
; %bb.50:
	v_mov_b32_e32 v2, 0
	s_mov_b32 s0, 0
	v_mov_b32_e32 v3, v2
	scratch_store_byte off, v2, off offset:936
.LBB2046_51:                            ; =>This Inner Loop Header: Depth=1
	s_add_i32 s1, s0, 0x50
	s_add_i32 s0, s0, 8
	s_cmp_lg_u32 s0, 16
	scratch_store_dwordx2 off, v[2:3], s1
	s_cbranch_scc1 .LBB2046_51
; %bb.52:
	v_mov_b32_e32 v2, 0
	s_mov_b32 s0, 16
	v_mov_b32_e32 v3, v2
.LBB2046_53:                            ; =>This Inner Loop Header: Depth=1
	s_add_i32 s1, s0, 0x50
	s_add_i32 s0, s0, 8
	s_cmp_lg_u32 s0, 32
	scratch_store_dwordx2 off, v[2:3], s1
	s_cbranch_scc1 .LBB2046_53
; %bb.54:
	v_mov_b32_e32 v2, 0
	s_mov_b32 s0, 32
	v_mov_b32_e32 v3, v2
	;; [unrolled: 10-line block ×4, first 2 shown]
.LBB2046_59:                            ; =>This Inner Loop Header: Depth=1
	s_add_i32 s1, s0, 0x50
	s_add_i32 s0, s0, 8
	s_cmpk_lg_i32 s0, 0x50
	scratch_store_dwordx2 off, v[2:3], s1
	s_cbranch_scc1 .LBB2046_59
; %bb.60:
	v_mov_b32_e32 v2, 0
	s_movk_i32 s0, 0x50
	v_mov_b32_e32 v3, v2
.LBB2046_61:                            ; =>This Inner Loop Header: Depth=1
	s_add_i32 s1, s0, 0x50
	s_add_i32 s0, s0, 8
	s_cmpk_lg_i32 s0, 0x60
	scratch_store_dwordx2 off, v[2:3], s1
	s_cbranch_scc1 .LBB2046_61
; %bb.62:
	v_mov_b32_e32 v2, 0
	s_movk_i32 s0, 0x60
	v_mov_b32_e32 v3, v2
	;; [unrolled: 10-line block ×17, first 2 shown]
.LBB2046_93:                            ; =>This Inner Loop Header: Depth=1
	s_add_i32 s1, s0, 0x50
	s_add_i32 s0, s0, 8
	s_cmpk_lg_i32 s0, 0x160
	scratch_store_dwordx2 off, v[2:3], s1
	s_cbranch_scc1 .LBB2046_93
; %bb.94:
	v_mov_b32_e32 v2, 0
	v_writelane_b32 v200, s74, 16
	s_movk_i32 s0, 0x160
	v_mov_b32_e32 v3, v2
	v_writelane_b32 v200, s75, 17
.LBB2046_95:                            ; =>This Inner Loop Header: Depth=1
	s_add_i32 s1, s0, 0x50
	s_add_i32 s0, s0, 8
	s_cmpk_lg_i32 s0, 0x170
	scratch_store_dwordx2 off, v[2:3], s1
	s_cbranch_scc1 .LBB2046_95
; %bb.96:
	v_readlane_b32 s8, v200, 0
	v_readlane_b32 s10, v200, 2
	;; [unrolled: 1-line block ×3, first 2 shown]
	s_lshl_b64 s[0:1], s[10:11], 2
	v_readlane_b32 s9, v200, 1
	s_add_u32 s8, s8, s0
	v_readlane_b32 s12, v200, 4
	v_readlane_b32 s13, v200, 5
	;; [unrolled: 1-line block ×4, first 2 shown]
	s_addc_u32 s9, s9, s1
	s_mul_i32 s0, s17, s3
	s_mul_hi_u32 s1, s16, s3
	v_writelane_b32 v200, s16, 18
	s_lshl_b64 s[88:89], s[10:11], 4
	s_add_u32 s12, s12, s88
	v_writelane_b32 v200, s17, 19
	s_mul_i32 s3, s16, s3
	v_readlane_b32 s16, v200, 8
	s_addc_u32 s13, s13, s89
	s_add_i32 s14, s1, s0
	v_readlane_b32 s20, v200, 12
	v_readlane_b32 s21, v200, 13
	s_cmp_lg_u64 s[20:21], 0
	s_mul_i32 s0, s2, 0xb80
	s_mov_b32 s1, 0
	s_cselect_b64 s[74:75], -1, 0
	s_lshl_b64 s[6:7], s[0:1], 2
	s_add_u32 s76, s8, s6
	s_addc_u32 s77, s9, s7
	s_lshl_b64 s[90:91], s[0:1], 4
	s_add_u32 s68, s12, s90
	s_addc_u32 s69, s13, s91
	s_add_u32 s84, s3, s2
	s_addc_u32 s85, s14, 0
	v_readlane_b32 s17, v200, 9
	s_add_u32 s0, s16, -1
	v_mov_b32_e32 v2, 0x50
	s_addc_u32 s1, s17, -1
	v_add_u32_e32 v1, 0x160, v2
	v_add_u32_e32 v26, 0x150, v2
	;; [unrolled: 1-line block ×22, first 2 shown]
	v_mov_b64_e32 v[2:3], s[0:1]
	v_cmp_ge_u64_e64 s[8:9], s[84:85], v[2:3]
	v_readlane_b32 s18, v200, 10
	v_readlane_b32 s19, v200, 11
	;; [unrolled: 1-line block ×4, first 2 shown]
	v_writelane_b32 v200, s8, 20
	s_mov_b64 s[10:11], 0
	s_mov_b64 s[6:7], -1
	v_writelane_b32 v200, s9, 21
	s_and_b64 vcc, exec, s[8:9]
	s_mulk_i32 s0, 0xf480
	v_writelane_b32 v200, s0, 22
                                        ; implicit-def: $sgpr0_sgpr1
	s_cbranch_vccnz .LBB2046_693
; %bb.97:
	s_and_b64 vcc, exec, s[6:7]
	s_cbranch_vccnz .LBB2046_814
.LBB2046_98:
	s_and_saveexec_b64 s[6:7], s[10:11]
	s_cbranch_execz .LBB2046_100
.LBB2046_99:
	scratch_load_dwordx4 v[2:5], v1, off
	v_cndmask_b32_e64 v1, 0, 1, s[0:1]
	s_waitcnt vmcnt(0)
	scratch_store_dwordx4 off, v[2:5], s71
	scratch_store_byte off, v1, off offset:936
.LBB2046_100:
	s_or_b64 exec, exec, s[6:7]
	v_readlane_b32 s16, v200, 16
	s_cmp_lg_u32 s2, 0
	s_mov_b32 s0, 0
	v_readlane_b32 s17, v200, 17
	s_waitcnt vmcnt(63) expcnt(7) lgkmcnt(15)
	s_barrier
	s_cbranch_scc0 .LBB2046_822
; %bb.101:
	v_mov_b32_e32 v2, 0
	v_mov_b32_e32 v3, v2
	scratch_store_dword off, v2, off offset:96
.LBB2046_102:                           ; =>This Inner Loop Header: Depth=1
	s_add_i32 s1, s0, 0x50
	s_add_i32 s0, s0, 8
	s_cmp_lg_u32 s0, 16
	scratch_store_dwordx2 off, v[2:3], s1
	s_cbranch_scc1 .LBB2046_102
; %bb.103:
	scratch_load_dwordx4 v[2:5], off, off offset:480
	scratch_load_ubyte v1, off, off offset:496
	scratch_load_ubyte v6, off, off offset:516
	s_waitcnt vmcnt(2)
	scratch_store_dwordx4 off, v[2:5], off offset:80
	s_waitcnt vmcnt(2)
	scratch_store_byte off, v1, off offset:96
	s_waitcnt vmcnt(2)
	v_cmp_ne_u16_e32 vcc, 0, v6
                                        ; implicit-def: $vgpr4_vgpr5
	s_and_saveexec_b64 s[0:1], vcc
	s_xor_b64 s[0:1], exec, s[0:1]
	s_cbranch_execz .LBB2046_105
; %bb.104:
	scratch_load_dwordx4 v[2:5], off, off offset:500
.LBB2046_105:
	s_andn2_saveexec_b64 s[0:1], s[0:1]
	s_cbranch_execz .LBB2046_111
; %bb.106:
	s_waitcnt vmcnt(0)
	v_mov_b32_e32 v2, 0
	s_mov_b32 s3, 0
	v_mov_b32_e32 v3, v2
.LBB2046_107:                           ; =>This Inner Loop Header: Depth=1
	s_add_i32 s6, s3, 16
	s_add_i32 s3, s3, 8
	s_cmp_lg_u32 s3, 16
	scratch_store_dwordx2 off, v[2:3], s6
	s_cbranch_scc1 .LBB2046_107
; %bb.108:
	s_mov_b32 s3, 0
.LBB2046_109:                           ; =>This Inner Loop Header: Depth=1
	s_add_i32 s6, s3, 0x50
	s_add_i32 s7, s33, s3
	scratch_load_dwordx2 v[2:3], off, s6
	scratch_load_dwordx2 v[4:5], off, s7
	s_add_i32 s6, s3, 16
	s_add_i32 s3, s3, 8
	s_cmp_lg_u32 s3, 16
	s_waitcnt vmcnt(0)
	v_add_u32_e32 v3, v5, v3
	v_add_u32_e32 v2, v4, v2
	scratch_store_dwordx2 off, v[2:3], s6
	s_cbranch_scc1 .LBB2046_109
; %bb.110:
	scratch_load_dwordx4 v[2:5], off, off offset:16
.LBB2046_111:
	s_or_b64 exec, exec, s[0:1]
	scratch_load_ubyte v7, off, off offset:536
	s_waitcnt vmcnt(0)
	v_cmp_ne_u16_e32 vcc, 0, v7
	scratch_store_dwordx4 off, v[2:5], off offset:80
                                        ; implicit-def: $vgpr4_vgpr5
	s_and_saveexec_b64 s[0:1], vcc
	s_xor_b64 s[0:1], exec, s[0:1]
	s_cbranch_execz .LBB2046_113
; %bb.112:
	scratch_load_dwordx4 v[2:5], off, off offset:520
.LBB2046_113:
	s_andn2_saveexec_b64 s[0:1], s[0:1]
	s_cbranch_execz .LBB2046_119
; %bb.114:
	s_waitcnt vmcnt(0)
	v_mov_b32_e32 v2, 0
	s_mov_b32 s3, 0
	v_mov_b32_e32 v3, v2
.LBB2046_115:                           ; =>This Inner Loop Header: Depth=1
	s_add_i32 s6, s3, 16
	s_add_i32 s3, s3, 8
	s_cmp_lg_u32 s3, 16
	scratch_store_dwordx2 off, v[2:3], s6
	s_cbranch_scc1 .LBB2046_115
; %bb.116:
	s_mov_b32 s3, 0
.LBB2046_117:                           ; =>This Inner Loop Header: Depth=1
	s_add_i32 s6, s3, 0x50
	s_add_i32 s7, s78, s3
	scratch_load_dwordx2 v[2:3], off, s6
	scratch_load_dwordx2 v[4:5], off, s7
	s_add_i32 s6, s3, 16
	s_add_i32 s3, s3, 8
	s_cmp_lg_u32 s3, 16
	s_waitcnt vmcnt(0)
	v_add_u32_e32 v3, v5, v3
	v_add_u32_e32 v2, v4, v2
	scratch_store_dwordx2 off, v[2:3], s6
	s_cbranch_scc1 .LBB2046_117
; %bb.118:
	scratch_load_dwordx4 v[2:5], off, off offset:16
.LBB2046_119:
	s_or_b64 exec, exec, s[0:1]
	scratch_load_ubyte v8, off, off offset:556
	s_waitcnt vmcnt(0)
	v_cmp_ne_u16_e32 vcc, 0, v8
	scratch_store_dwordx4 off, v[2:5], off offset:80
	;; [unrolled: 43-line block ×21, first 2 shown]
                                        ; implicit-def: $vgpr4_vgpr5
	s_and_saveexec_b64 s[0:1], vcc
	s_xor_b64 s[0:1], exec, s[0:1]
	s_cbranch_execz .LBB2046_273
; %bb.272:
	scratch_load_dwordx4 v[2:5], off, off offset:920
.LBB2046_273:
	s_andn2_saveexec_b64 s[0:1], s[0:1]
	s_cbranch_execz .LBB2046_279
; %bb.274:
	s_waitcnt vmcnt(0)
	v_mov_b32_e32 v2, 0
	s_mov_b32 s3, 0
	v_mov_b32_e32 v3, v2
.LBB2046_275:                           ; =>This Inner Loop Header: Depth=1
	s_add_i32 s6, s3, 16
	s_add_i32 s3, s3, 8
	s_cmp_lg_u32 s3, 16
	scratch_store_dwordx2 off, v[2:3], s6
	s_cbranch_scc1 .LBB2046_275
; %bb.276:
	s_mov_b32 s3, 0
.LBB2046_277:                           ; =>This Inner Loop Header: Depth=1
	s_add_i32 s6, s3, 0x50
	s_add_i32 s7, s71, s3
	scratch_load_dwordx2 v[2:3], off, s6
	scratch_load_dwordx2 v[4:5], off, s7
	s_add_i32 s6, s3, 16
	s_add_i32 s3, s3, 8
	s_cmp_lg_u32 s3, 16
	s_waitcnt vmcnt(0)
	v_add_u32_e32 v3, v5, v3
	v_add_u32_e32 v2, v4, v2
	scratch_store_dwordx2 off, v[2:3], s6
	s_cbranch_scc1 .LBB2046_277
; %bb.278:
	scratch_load_dwordx4 v[2:5], off, off offset:16
.LBB2046_279:
	s_or_b64 exec, exec, s[0:1]
	scratch_load_ushort v28, off, off offset:97
	scratch_load_sbyte v29, off, off offset:99
	v_or_b32_e32 v26, v27, v26
	v_or_b32_e32 v25, v26, v25
	;; [unrolled: 1-line block ×22, first 2 shown]
	v_lshrrev_b32_e32 v27, 5, v0
	v_and_b32_e32 v12, 1, v1
	v_add_u32_e32 v26, v27, v0
	v_mul_u32_u24_e32 v25, 20, v26
	v_cmp_gt_u32_e32 vcc, 64, v0
	s_waitcnt vmcnt(2)
	scratch_store_dwordx4 off, v[2:5], off offset:448
	ds_write2_b32 v25, v2, v3 offset1:1
	ds_write2_b32 v25, v4, v5 offset0:2 offset1:3
	ds_write_b8 v25, v12 offset:16
	s_waitcnt vmcnt(2)
	v_lshrrev_b32_e32 v1, 8, v28
	v_lshlrev_b16_e32 v6, 8, v28
	s_waitcnt vmcnt(1)
	v_lshlrev_b16_e32 v7, 8, v29
	v_or_b32_e32 v6, v12, v6
	v_or_b32_sdwa v1, v1, v7 dst_sel:WORD_1 dst_unused:UNUSED_PAD src0_sel:BYTE_0 src1_sel:DWORD
	s_nop 0
	v_or_b32_sdwa v1, v6, v1 dst_sel:DWORD dst_unused:UNUSED_PAD src0_sel:WORD_0 src1_sel:DWORD
	scratch_store_dword off, v1, off offset:464
	s_waitcnt lgkmcnt(0)
	s_barrier
	s_and_saveexec_b64 s[8:9], vcc
	s_cbranch_execz .LBB2046_355
; %bb.280:
	v_lshrrev_b32_e32 v1, 4, v0
	v_lshl_add_u32 v1, v0, 1, v1
	v_mul_u32_u24_e32 v13, 20, v1
	ds_read_u8 v10, v13 offset:36
	ds_read_b32 v11, v13 offset:16
	ds_read2_b32 v[8:9], v13 offset0:2 offset1:3
	ds_read2_b32 v[6:7], v13 offset1:1
	v_mad_u32_u24 v1, v1, 20, 20
	s_waitcnt lgkmcnt(3)
	v_cmp_ne_u16_e64 s[0:1], 0, v10
	s_waitcnt lgkmcnt(2)
	scratch_store_dword off, v11, off offset:32
	s_waitcnt lgkmcnt(0)
	scratch_store_dwordx4 off, v[6:9], off offset:16
                                        ; implicit-def: $vgpr6_vgpr7
	s_and_saveexec_b64 s[6:7], s[0:1]
	s_xor_b64 s[0:1], exec, s[6:7]
	s_cbranch_execz .LBB2046_282
; %bb.281:
	ds_read2_b32 v[6:7], v1 offset1:1
	ds_read2_b32 v[8:9], v1 offset0:2 offset1:3
.LBB2046_282:
	s_andn2_saveexec_b64 s[0:1], s[0:1]
	s_cbranch_execz .LBB2046_288
; %bb.283:
	s_waitcnt lgkmcnt(1)
	v_mov_b32_e32 v6, 0
	s_mov_b32 s3, 0
	v_mov_b32_e32 v7, v6
.LBB2046_284:                           ; =>This Inner Loop Header: Depth=1
	s_add_i32 s6, s3, 0x50
	s_add_i32 s3, s3, 8
	s_cmp_lg_u32 s3, 16
	scratch_store_dwordx2 off, v[6:7], s6
	s_cbranch_scc1 .LBB2046_284
; %bb.285:
	s_mov_b32 s3, 0
.LBB2046_286:                           ; =>This Inner Loop Header: Depth=1
	s_add_i32 s6, s3, 16
	scratch_load_dwordx2 v[6:7], off, s6
	s_waitcnt lgkmcnt(0)
	v_add_u32_e32 v8, s3, v1
	ds_read2_b32 v[8:9], v8 offset1:1
	s_add_i32 s6, s3, 0x50
	s_add_i32 s3, s3, 8
	s_cmp_lg_u32 s3, 16
	s_waitcnt vmcnt(0) lgkmcnt(0)
	v_add_u32_e32 v7, v9, v7
	v_add_u32_e32 v6, v8, v6
	scratch_store_dwordx2 off, v[6:7], s6
	s_cbranch_scc1 .LBB2046_286
; %bb.287:
	scratch_load_dwordx4 v[6:9], off, off offset:80
.LBB2046_288:
	s_or_b64 exec, exec, s[0:1]
	scratch_load_ubyte v11, off, off offset:32
	s_waitcnt vmcnt(1) lgkmcnt(1)
	v_mov_b32_dpp v16, v6 row_shr:1 row_mask:0xf bank_mask:0xf
	v_mov_b32_dpp v17, v7 row_shr:1 row_mask:0xf bank_mask:0xf
	s_waitcnt lgkmcnt(0)
	v_mov_b32_dpp v18, v8 row_shr:1 row_mask:0xf bank_mask:0xf
	v_mov_b32_dpp v19, v9 row_shr:1 row_mask:0xf bank_mask:0xf
	scratch_store_dwordx4 off, v[16:19], off offset:80
	scratch_store_dwordx4 off, v[6:9], off offset:16
	s_waitcnt vmcnt(2)
	v_or_b32_e32 v10, v10, v11
	v_and_b32_e32 v10, 1, v10
	scratch_store_byte off, v10, off offset:32
	scratch_load_dword v15, off, off offset:32
	v_mbcnt_lo_u32_b32 v10, -1, 0
	v_mbcnt_hi_u32_b32 v14, -1, v10
	v_and_b32_e32 v16, 15, v14
	v_cmp_ne_u32_e64 s[0:1], 0, v16
	s_waitcnt vmcnt(0)
	v_mov_b32_dpp v17, v15 row_shr:1 row_mask:0xf bank_mask:0xf
	scratch_store_dword off, v17, off offset:96
	s_and_saveexec_b64 s[6:7], s[0:1]
	s_cbranch_execz .LBB2046_296
; %bb.289:
	v_mov_b32_e32 v10, 0
	v_cmp_eq_u16_sdwa s[10:11], v15, v10 src0_sel:BYTE_0 src1_sel:DWORD
	s_and_saveexec_b64 s[0:1], s[10:11]
	s_cbranch_execz .LBB2046_295
; %bb.290:
	s_mov_b32 s3, 0
	v_mov_b32_e32 v11, v10
.LBB2046_291:                           ; =>This Inner Loop Header: Depth=1
	s_add_i32 s10, s3, 36
	s_add_i32 s3, s3, 8
	s_cmp_lg_u32 s3, 16
	scratch_store_dwordx2 off, v[10:11], s10
	s_cbranch_scc1 .LBB2046_291
; %bb.292:
	s_mov_b32 s3, 0
.LBB2046_293:                           ; =>This Inner Loop Header: Depth=1
	s_add_i32 s10, s3, 0x50
	s_add_i32 s11, s3, 16
	scratch_load_dwordx2 v[6:7], off, s10
	scratch_load_dwordx2 v[8:9], off, s11
	s_add_i32 s10, s3, 36
	s_add_i32 s3, s3, 8
	s_cmp_lg_u32 s3, 16
	s_waitcnt vmcnt(0)
	v_add_u32_e32 v7, v9, v7
	v_add_u32_e32 v6, v8, v6
	scratch_store_dwordx2 off, v[6:7], s10
	s_cbranch_scc1 .LBB2046_293
; %bb.294:
	scratch_load_dwordx4 v[6:9], off, off offset:36
.LBB2046_295:
	s_or_b64 exec, exec, s[0:1]
	v_or_b32_e32 v10, v17, v15
	v_and_b32_e32 v10, 1, v10
	scratch_store_byte off, v10, off offset:32
	scratch_load_dword v15, off, off offset:32
	s_waitcnt vmcnt(2)
	scratch_store_dwordx4 off, v[6:9], off offset:16
.LBB2046_296:
	s_or_b64 exec, exec, s[6:7]
	v_mov_b32_dpp v18, v6 row_shr:2 row_mask:0xf bank_mask:0xf
	v_mov_b32_dpp v19, v7 row_shr:2 row_mask:0xf bank_mask:0xf
	v_mov_b32_dpp v20, v8 row_shr:2 row_mask:0xf bank_mask:0xf
	v_mov_b32_dpp v21, v9 row_shr:2 row_mask:0xf bank_mask:0xf
	s_waitcnt vmcnt(1)
	v_mov_b32_dpp v17, v15 row_shr:2 row_mask:0xf bank_mask:0xf
	v_cmp_lt_u32_e64 s[0:1], 1, v16
	scratch_store_dwordx4 off, v[18:21], off offset:80
	scratch_store_dword off, v17, off offset:96
	s_and_saveexec_b64 s[10:11], s[0:1]
	s_cbranch_execz .LBB2046_304
; %bb.297:
	v_mov_b32_e32 v10, 0
	s_mov_b32 s3, 0
	v_cmp_eq_u16_sdwa s[6:7], v15, v10 src0_sel:BYTE_0 src1_sel:DWORD
	s_and_saveexec_b64 s[0:1], s[6:7]
	s_cbranch_execz .LBB2046_303
; %bb.298:
	v_mov_b32_e32 v11, v10
.LBB2046_299:                           ; =>This Inner Loop Header: Depth=1
	s_add_i32 s6, s3, 36
	s_add_i32 s3, s3, 8
	s_cmp_lg_u32 s3, 16
	scratch_store_dwordx2 off, v[10:11], s6
	s_cbranch_scc1 .LBB2046_299
; %bb.300:
	s_mov_b32 s3, 0
.LBB2046_301:                           ; =>This Inner Loop Header: Depth=1
	s_add_i32 s6, s3, 0x50
	s_add_i32 s7, s3, 16
	scratch_load_dwordx2 v[6:7], off, s6
	scratch_load_dwordx2 v[8:9], off, s7
	s_add_i32 s6, s3, 36
	s_add_i32 s3, s3, 8
	s_cmp_lg_u32 s3, 16
	s_waitcnt vmcnt(0)
	v_add_u32_e32 v7, v9, v7
	v_add_u32_e32 v6, v8, v6
	scratch_store_dwordx2 off, v[6:7], s6
	s_cbranch_scc1 .LBB2046_301
; %bb.302:
	scratch_load_dwordx4 v[6:9], off, off offset:36
.LBB2046_303:
	s_or_b64 exec, exec, s[0:1]
	v_and_b32_e32 v10, 1, v15
	v_cmp_eq_u32_e64 s[0:1], 1, v10
	v_and_b32_e32 v10, 1, v17
	v_cmp_eq_u32_e64 s[6:7], 1, v10
	s_or_b64 s[0:1], s[0:1], s[6:7]
	v_cndmask_b32_e64 v10, 0, 1, s[0:1]
	scratch_store_byte off, v10, off offset:32
	scratch_load_dword v15, off, off offset:32
	s_waitcnt vmcnt(2)
	scratch_store_dwordx4 off, v[6:9], off offset:16
.LBB2046_304:
	s_or_b64 exec, exec, s[10:11]
	v_mov_b32_dpp v18, v6 row_shr:4 row_mask:0xf bank_mask:0xf
	v_mov_b32_dpp v19, v7 row_shr:4 row_mask:0xf bank_mask:0xf
	v_mov_b32_dpp v20, v8 row_shr:4 row_mask:0xf bank_mask:0xf
	v_mov_b32_dpp v21, v9 row_shr:4 row_mask:0xf bank_mask:0xf
	s_waitcnt vmcnt(1)
	v_mov_b32_dpp v17, v15 row_shr:4 row_mask:0xf bank_mask:0xf
	v_cmp_lt_u32_e64 s[0:1], 3, v16
	scratch_store_dwordx4 off, v[18:21], off offset:80
	scratch_store_dword off, v17, off offset:96
	s_and_saveexec_b64 s[10:11], s[0:1]
	s_cbranch_execz .LBB2046_312
; %bb.305:
	v_mov_b32_e32 v10, 0
	s_mov_b32 s3, 0
	v_cmp_eq_u16_sdwa s[6:7], v15, v10 src0_sel:BYTE_0 src1_sel:DWORD
	s_and_saveexec_b64 s[0:1], s[6:7]
	s_cbranch_execz .LBB2046_311
; %bb.306:
	v_mov_b32_e32 v11, v10
.LBB2046_307:                           ; =>This Inner Loop Header: Depth=1
	s_add_i32 s6, s3, 36
	s_add_i32 s3, s3, 8
	s_cmp_lg_u32 s3, 16
	scratch_store_dwordx2 off, v[10:11], s6
	s_cbranch_scc1 .LBB2046_307
; %bb.308:
	s_mov_b32 s3, 0
.LBB2046_309:                           ; =>This Inner Loop Header: Depth=1
	s_add_i32 s6, s3, 0x50
	s_add_i32 s7, s3, 16
	scratch_load_dwordx2 v[6:7], off, s6
	scratch_load_dwordx2 v[8:9], off, s7
	s_add_i32 s6, s3, 36
	s_add_i32 s3, s3, 8
	s_cmp_lg_u32 s3, 16
	s_waitcnt vmcnt(0)
	v_add_u32_e32 v7, v9, v7
	v_add_u32_e32 v6, v8, v6
	scratch_store_dwordx2 off, v[6:7], s6
	s_cbranch_scc1 .LBB2046_309
; %bb.310:
	scratch_load_dwordx4 v[6:9], off, off offset:36
.LBB2046_311:
	s_or_b64 exec, exec, s[0:1]
	v_and_b32_e32 v10, 1, v15
	v_cmp_eq_u32_e64 s[0:1], 1, v10
	v_and_b32_e32 v10, 1, v17
	v_cmp_eq_u32_e64 s[6:7], 1, v10
	s_or_b64 s[0:1], s[0:1], s[6:7]
	v_cndmask_b32_e64 v10, 0, 1, s[0:1]
	scratch_store_byte off, v10, off offset:32
	scratch_load_dword v15, off, off offset:32
	s_waitcnt vmcnt(2)
	scratch_store_dwordx4 off, v[6:9], off offset:16
.LBB2046_312:
	s_or_b64 exec, exec, s[10:11]
	v_mov_b32_dpp v18, v6 row_shr:8 row_mask:0xf bank_mask:0xf
	v_mov_b32_dpp v19, v7 row_shr:8 row_mask:0xf bank_mask:0xf
	v_mov_b32_dpp v20, v8 row_shr:8 row_mask:0xf bank_mask:0xf
	v_mov_b32_dpp v21, v9 row_shr:8 row_mask:0xf bank_mask:0xf
	s_waitcnt vmcnt(1)
	v_mov_b32_dpp v17, v15 row_shr:8 row_mask:0xf bank_mask:0xf
	v_cmp_lt_u32_e64 s[0:1], 7, v16
	scratch_store_dwordx4 off, v[18:21], off offset:80
	scratch_store_dword off, v17, off offset:96
	s_and_saveexec_b64 s[10:11], s[0:1]
	s_cbranch_execz .LBB2046_320
; %bb.313:
	v_mov_b32_e32 v10, 0
	s_mov_b32 s3, 0
	v_cmp_eq_u16_sdwa s[6:7], v15, v10 src0_sel:BYTE_0 src1_sel:DWORD
	s_and_saveexec_b64 s[0:1], s[6:7]
	s_cbranch_execz .LBB2046_319
; %bb.314:
	v_mov_b32_e32 v11, v10
.LBB2046_315:                           ; =>This Inner Loop Header: Depth=1
	s_add_i32 s6, s3, 36
	s_add_i32 s3, s3, 8
	s_cmp_lg_u32 s3, 16
	scratch_store_dwordx2 off, v[10:11], s6
	s_cbranch_scc1 .LBB2046_315
; %bb.316:
	s_mov_b32 s3, 0
.LBB2046_317:                           ; =>This Inner Loop Header: Depth=1
	s_add_i32 s6, s3, 0x50
	s_add_i32 s7, s3, 16
	scratch_load_dwordx2 v[6:7], off, s6
	scratch_load_dwordx2 v[8:9], off, s7
	s_add_i32 s6, s3, 36
	s_add_i32 s3, s3, 8
	s_cmp_lg_u32 s3, 16
	s_waitcnt vmcnt(0)
	v_add_u32_e32 v7, v9, v7
	v_add_u32_e32 v6, v8, v6
	scratch_store_dwordx2 off, v[6:7], s6
	s_cbranch_scc1 .LBB2046_317
; %bb.318:
	scratch_load_dwordx4 v[6:9], off, off offset:36
.LBB2046_319:
	s_or_b64 exec, exec, s[0:1]
	v_and_b32_e32 v10, 1, v15
	v_cmp_eq_u32_e64 s[0:1], 1, v10
	v_and_b32_e32 v10, 1, v17
	v_cmp_eq_u32_e64 s[6:7], 1, v10
	s_or_b64 s[0:1], s[0:1], s[6:7]
	v_cndmask_b32_e64 v10, 0, 1, s[0:1]
	scratch_store_byte off, v10, off offset:32
	scratch_load_dword v15, off, off offset:32
	s_waitcnt vmcnt(2)
	scratch_store_dwordx4 off, v[6:9], off offset:16
.LBB2046_320:
	s_or_b64 exec, exec, s[10:11]
	v_and_b32_e32 v10, 16, v14
	v_mov_b32_dpp v18, v6 row_bcast:15 row_mask:0xf bank_mask:0xf
	v_mov_b32_dpp v19, v7 row_bcast:15 row_mask:0xf bank_mask:0xf
	;; [unrolled: 1-line block ×4, first 2 shown]
	s_waitcnt vmcnt(1)
	v_mov_b32_dpp v16, v15 row_bcast:15 row_mask:0xf bank_mask:0xf
	v_cmp_ne_u32_e64 s[0:1], 0, v10
	scratch_store_dwordx4 off, v[18:21], off offset:80
	scratch_store_dword off, v16, off offset:96
	s_and_saveexec_b64 s[10:11], s[0:1]
	s_cbranch_execz .LBB2046_328
; %bb.321:
	v_mov_b32_e32 v10, 0
	s_mov_b32 s3, 0
	v_cmp_eq_u16_sdwa s[6:7], v15, v10 src0_sel:BYTE_0 src1_sel:DWORD
	s_and_saveexec_b64 s[0:1], s[6:7]
	s_cbranch_execz .LBB2046_327
; %bb.322:
	v_mov_b32_e32 v11, v10
.LBB2046_323:                           ; =>This Inner Loop Header: Depth=1
	s_add_i32 s6, s3, 36
	s_add_i32 s3, s3, 8
	s_cmp_lg_u32 s3, 16
	scratch_store_dwordx2 off, v[10:11], s6
	s_cbranch_scc1 .LBB2046_323
; %bb.324:
	s_mov_b32 s3, 0
.LBB2046_325:                           ; =>This Inner Loop Header: Depth=1
	s_add_i32 s6, s3, 0x50
	s_add_i32 s7, s3, 16
	scratch_load_dwordx2 v[6:7], off, s6
	scratch_load_dwordx2 v[8:9], off, s7
	s_add_i32 s6, s3, 36
	s_add_i32 s3, s3, 8
	s_cmp_lg_u32 s3, 16
	s_waitcnt vmcnt(0)
	v_add_u32_e32 v7, v9, v7
	v_add_u32_e32 v6, v8, v6
	scratch_store_dwordx2 off, v[6:7], s6
	s_cbranch_scc1 .LBB2046_325
; %bb.326:
	scratch_load_dwordx4 v[6:9], off, off offset:36
.LBB2046_327:
	s_or_b64 exec, exec, s[0:1]
	v_and_b32_e32 v10, 1, v15
	v_cmp_eq_u32_e64 s[0:1], 1, v10
	v_and_b32_e32 v10, 1, v16
	v_cmp_eq_u32_e64 s[6:7], 1, v10
	s_or_b64 s[0:1], s[0:1], s[6:7]
	v_cndmask_b32_e64 v10, 0, 1, s[0:1]
	scratch_store_byte off, v10, off offset:32
	scratch_load_dword v15, off, off offset:32
	s_waitcnt vmcnt(2)
	scratch_store_dwordx4 off, v[6:9], off offset:16
.LBB2046_328:
	s_or_b64 exec, exec, s[10:11]
	v_mov_b32_dpp v18, v6 row_bcast:31 row_mask:0xf bank_mask:0xf
	v_mov_b32_dpp v19, v7 row_bcast:31 row_mask:0xf bank_mask:0xf
	;; [unrolled: 1-line block ×4, first 2 shown]
	s_waitcnt vmcnt(1)
	v_mov_b32_dpp v16, v15 row_bcast:31 row_mask:0xf bank_mask:0xf
	v_cmp_lt_u32_e64 s[0:1], 31, v14
	scratch_store_dwordx4 off, v[18:21], off offset:80
	scratch_store_dword off, v16, off offset:96
	s_and_saveexec_b64 s[10:11], s[0:1]
	s_cbranch_execz .LBB2046_336
; %bb.329:
	v_mov_b32_e32 v10, 0
	s_mov_b32 s3, 0
	v_cmp_eq_u16_sdwa s[6:7], v15, v10 src0_sel:BYTE_0 src1_sel:DWORD
	s_and_saveexec_b64 s[0:1], s[6:7]
	s_cbranch_execz .LBB2046_335
; %bb.330:
	v_mov_b32_e32 v11, v10
.LBB2046_331:                           ; =>This Inner Loop Header: Depth=1
	s_add_i32 s6, s3, 36
	s_add_i32 s3, s3, 8
	s_cmp_lg_u32 s3, 16
	scratch_store_dwordx2 off, v[10:11], s6
	s_cbranch_scc1 .LBB2046_331
; %bb.332:
	s_mov_b32 s3, 0
.LBB2046_333:                           ; =>This Inner Loop Header: Depth=1
	s_add_i32 s6, s3, 0x50
	s_add_i32 s7, s3, 16
	scratch_load_dwordx2 v[6:7], off, s6
	scratch_load_dwordx2 v[8:9], off, s7
	s_add_i32 s6, s3, 36
	s_add_i32 s3, s3, 8
	s_cmp_lg_u32 s3, 16
	s_waitcnt vmcnt(0)
	v_add_u32_e32 v7, v9, v7
	v_add_u32_e32 v6, v8, v6
	scratch_store_dwordx2 off, v[6:7], s6
	s_cbranch_scc1 .LBB2046_333
; %bb.334:
	scratch_load_dwordx4 v[6:9], off, off offset:36
.LBB2046_335:
	s_or_b64 exec, exec, s[0:1]
	v_and_b32_e32 v10, 1, v15
	v_cmp_eq_u32_e64 s[0:1], 1, v10
	v_and_b32_e32 v10, 1, v16
	v_cmp_eq_u32_e64 s[6:7], 1, v10
	s_or_b64 s[0:1], s[0:1], s[6:7]
	v_cndmask_b32_e64 v10, 0, 1, s[0:1]
	scratch_store_byte off, v10, off offset:32
	scratch_load_dword v15, off, off offset:32
.LBB2046_336:
	s_or_b64 exec, exec, s[10:11]
	v_add_u32_e32 v10, -1, v14
	v_and_b32_e32 v11, 64, v14
	v_cmp_lt_i32_e64 s[0:1], v10, v11
	ds_read_u8 v11, v13 offset:16
	s_nop 0
	v_cndmask_b32_e64 v10, v10, v14, s[0:1]
	v_lshlrev_b32_e32 v10, 2, v10
	s_waitcnt vmcnt(2)
	ds_bpermute_b32 v6, v10, v6
	ds_bpermute_b32 v7, v10, v7
	;; [unrolled: 1-line block ×4, first 2 shown]
	s_waitcnt vmcnt(0)
	ds_bpermute_b32 v10, v10, v15
	s_waitcnt lgkmcnt(5)
	v_cmp_ne_u16_e64 s[0:1], 0, v11
	s_waitcnt lgkmcnt(1)
	scratch_store_dwordx4 off, v[6:9], off offset:16
                                        ; implicit-def: $vgpr8_vgpr9
	s_and_saveexec_b64 s[6:7], s[0:1]
	s_xor_b64 s[0:1], exec, s[6:7]
	s_cbranch_execz .LBB2046_338
; %bb.337:
	ds_read2_b32 v[6:7], v13 offset1:1
	ds_read2_b32 v[8:9], v13 offset0:2 offset1:3
.LBB2046_338:
	s_andn2_saveexec_b64 s[0:1], s[0:1]
	s_cbranch_execz .LBB2046_344
; %bb.339:
	s_waitcnt lgkmcnt(1)
	v_mov_b32_e32 v6, 0
	s_mov_b32 s3, 0
	v_mov_b32_e32 v7, v6
.LBB2046_340:                           ; =>This Inner Loop Header: Depth=1
	s_add_i32 s6, s3, 0x50
	s_add_i32 s3, s3, 8
	s_cmp_lg_u32 s3, 16
	scratch_store_dwordx2 off, v[6:7], s6
	s_cbranch_scc1 .LBB2046_340
; %bb.341:
	s_mov_b32 s3, 0
.LBB2046_342:                           ; =>This Inner Loop Header: Depth=1
	s_add_i32 s6, s3, 16
	scratch_load_dwordx2 v[6:7], off, s6
	s_waitcnt lgkmcnt(0)
	v_add_u32_e32 v8, s3, v13
	ds_read2_b32 v[8:9], v8 offset1:1
	s_add_i32 s6, s3, 0x50
	s_add_i32 s3, s3, 8
	s_cmp_lg_u32 s3, 16
	s_waitcnt vmcnt(0) lgkmcnt(0)
	v_add_u32_e32 v7, v9, v7
	v_add_u32_e32 v6, v8, v6
	scratch_store_dwordx2 off, v[6:7], s6
	s_cbranch_scc1 .LBB2046_342
; %bb.343:
	scratch_load_dwordx4 v[6:9], off, off offset:80
.LBB2046_344:
	s_or_b64 exec, exec, s[0:1]
	v_and_b32_e32 v11, 1, v11
	s_waitcnt lgkmcnt(0)
	v_and_b32_e32 v10, 1, v10
	v_cmp_eq_u32_e64 s[0:1], 1, v11
	v_cmp_eq_u32_e64 s[6:7], 1, v10
	s_or_b64 s[0:1], s[6:7], s[0:1]
	v_cndmask_b32_e64 v10, 0, 1, s[0:1]
	s_waitcnt vmcnt(0)
	scratch_store_dwordx4 off, v[6:9], off offset:16
	scratch_store_byte off, v10, off offset:32
	s_and_saveexec_b64 s[0:1], s[16:17]
	s_cbranch_execz .LBB2046_346
; %bb.345:
	scratch_store_dwordx4 off, v[2:5], off offset:16
	scratch_store_byte off, v12, off offset:32
.LBB2046_346:
	s_or_b64 exec, exec, s[0:1]
	; wave barrier
	scratch_load_dwordx4 v[2:5], off, off offset:16
	scratch_load_ubyte v6, off, off offset:32
	s_waitcnt vmcnt(1)
	ds_write2_b32 v13, v4, v5 offset0:2 offset1:3
	ds_write2_b32 v13, v2, v3 offset1:1
	s_waitcnt vmcnt(0)
	ds_write_b8 v13, v6 offset:16
	; wave barrier
	ds_read_u8 v6, v13 offset:36
                                        ; implicit-def: $vgpr4_vgpr5
	s_waitcnt lgkmcnt(0)
	v_cmp_ne_u16_e64 s[0:1], 0, v6
	s_and_saveexec_b64 s[6:7], s[0:1]
	s_xor_b64 s[0:1], exec, s[6:7]
	s_cbranch_execz .LBB2046_348
; %bb.347:
	ds_read2_b32 v[2:3], v1 offset1:1
	ds_read2_b32 v[4:5], v1 offset0:2 offset1:3
.LBB2046_348:
	s_andn2_saveexec_b64 s[0:1], s[0:1]
	s_cbranch_execz .LBB2046_354
; %bb.349:
	s_waitcnt lgkmcnt(1)
	v_mov_b32_e32 v2, 0
	s_mov_b32 s3, 0
	v_mov_b32_e32 v3, v2
.LBB2046_350:                           ; =>This Inner Loop Header: Depth=1
	s_add_i32 s6, s3, 0x50
	s_add_i32 s3, s3, 8
	s_cmp_lg_u32 s3, 16
	scratch_store_dwordx2 off, v[2:3], s6
	s_cbranch_scc1 .LBB2046_350
; %bb.351:
	s_mov_b32 s3, 0
.LBB2046_352:                           ; =>This Inner Loop Header: Depth=1
	s_add_i32 s6, s3, 16
	scratch_load_dwordx2 v[2:3], off, s6
	s_waitcnt lgkmcnt(0)
	v_add_u32_e32 v4, s3, v1
	ds_read2_b32 v[4:5], v4 offset1:1
	s_add_i32 s6, s3, 0x50
	s_add_i32 s3, s3, 8
	s_cmp_lg_u32 s3, 16
	s_waitcnt vmcnt(0) lgkmcnt(0)
	v_add_u32_e32 v3, v5, v3
	v_add_u32_e32 v2, v4, v2
	scratch_store_dwordx2 off, v[2:3], s6
	s_cbranch_scc1 .LBB2046_352
; %bb.353:
	scratch_load_dwordx4 v[2:5], off, off offset:80
.LBB2046_354:
	s_or_b64 exec, exec, s[0:1]
	scratch_load_ubyte v7, off, off offset:32
	s_waitcnt vmcnt(1) lgkmcnt(0)
	ds_write2_b32 v1, v4, v5 offset0:2 offset1:3
	s_waitcnt vmcnt(0)
	v_or_b32_e32 v4, v6, v7
	v_and_b32_e32 v4, 1, v4
	ds_write2_b32 v1, v2, v3 offset1:1
	ds_write_b8 v1, v4 offset:16
.LBB2046_355:
	s_or_b64 exec, exec, s[8:9]
	s_waitcnt lgkmcnt(0)
	s_barrier
	s_and_saveexec_b64 s[0:1], s[92:93]
	s_cbranch_execz .LBB2046_357
; %bb.356:
	v_add_u32_e32 v1, -1, v0
	v_lshrrev_b32_e32 v2, 5, v1
	v_add_u32_e32 v1, v2, v1
	v_mul_lo_u32 v1, v1, 20
	ds_read_u8 v6, v1 offset:16
	ds_read2_b32 v[4:5], v1 offset0:2 offset1:3
	ds_read2_b32 v[2:3], v1 offset1:1
	s_waitcnt lgkmcnt(0)
	scratch_store_dwordx4 off, v[2:5], off offset:448
	scratch_store_byte off, v6, off offset:464
.LBB2046_357:
	s_or_b64 exec, exec, s[0:1]
	s_and_saveexec_b64 s[8:9], vcc
	s_cbranch_execz .LBB2046_498
; %bb.358:
	v_mov_b32_e32 v1, 0xa28
	v_mov_b32_e32 v2, 0
	ds_read2_b64 v[4:7], v1 offset1:1
	ds_read_b32 v1, v2 offset:2616
	v_mbcnt_lo_u32_b32 v3, -1, 0
	v_mbcnt_hi_u32_b32 v22, -1, v3
	v_cmp_eq_u32_e64 s[6:7], 0, v22
	s_waitcnt lgkmcnt(1)
	scratch_store_dwordx4 off, v[4:7], off offset:56
	s_waitcnt lgkmcnt(0)
	scratch_store_dword off, v1, off offset:72
	s_and_saveexec_b64 s[0:1], s[6:7]
	s_cbranch_execz .LBB2046_360
; %bb.359:
	v_lshrrev_b32_e32 v3, 8, v1
	s_movk_i32 s3, 0xff
	v_mov_b32_e32 v10, 8
	v_and_b32_sdwa v9, v1, s3 dst_sel:DWORD dst_unused:UNUSED_PAD src0_sel:WORD_1 src1_sel:DWORD
	v_lshlrev_b32_sdwa v3, v10, v3 dst_sel:DWORD dst_unused:UNUSED_PAD src0_sel:DWORD src1_sel:BYTE_0
	s_add_i32 s3, s2, 64
	v_lshrrev_b32_e32 v8, 24, v1
	v_or_b32_sdwa v1, v3, v1 dst_sel:DWORD dst_unused:UNUSED_PAD src0_sel:DWORD src1_sel:BYTE_0
	v_lshlrev_b32_e32 v3, 16, v9
	s_mul_i32 s10, s3, 20
	v_or_b32_e32 v1, v1, v3
	v_lshlrev_b32_e32 v3, 24, v8
	s_mul_hi_u32 s11, s3, 20
	s_add_u32 s10, s56, s10
	v_or_b32_e32 v1, v1, v3
	s_addc_u32 s11, s57, s11
	global_store_dword v2, v4, s[10:11] sc1
	global_store_dword v2, v5, s[10:11] offset:4 sc1
	global_store_dword v2, v6, s[10:11] offset:8 sc1
	global_store_dword v2, v7, s[10:11] offset:12 sc1
	global_store_dword v2, v1, s[10:11] offset:16 sc1
	v_mov_b32_e32 v1, s3
	v_mov_b32_e32 v3, 1
	s_waitcnt vmcnt(0)
	global_store_byte v1, v3, s[60:61] sc1
.LBB2046_360:
	s_or_b64 exec, exec, s[0:1]
	s_mov_b32 s0, 0
	v_mov_b32_e32 v3, v2
	v_mov_b32_e32 v4, v2
	;; [unrolled: 1-line block ×3, first 2 shown]
	scratch_store_dword off, v2, off offset:52
	scratch_store_dwordx4 off, v[2:5], off offset:36
.LBB2046_361:                           ; =>This Inner Loop Header: Depth=1
	s_add_i32 s1, s0, 36
	s_add_i32 s0, s0, 8
	s_cmp_lg_u32 s0, 16
	scratch_store_dwordx2 off, v[2:3], s1
	s_cbranch_scc1 .LBB2046_361
; %bb.362:
	v_mov_b32_e32 v3, 0
	v_xad_u32 v6, v22, -1, s2
	scratch_store_byte off, v3, off offset:52
	v_add_u32_e32 v2, 64, v6
	global_load_ubyte v1, v2, s[60:61] sc1
	s_waitcnt vmcnt(0)
	v_cmp_eq_u16_e32 vcc, 0, v1
	s_and_saveexec_b64 s[0:1], vcc
	s_cbranch_execz .LBB2046_368
; %bb.363:
	v_lshl_add_u64 v[4:5], s[60:61], 0, v[2:3]
	s_mov_b32 s3, 1
	s_mov_b64 s[10:11], 0
.LBB2046_364:                           ; =>This Loop Header: Depth=1
                                        ;     Child Loop BB2046_365 Depth 2
	s_max_u32 s12, s3, 1
.LBB2046_365:                           ;   Parent Loop BB2046_364 Depth=1
                                        ; =>  This Inner Loop Header: Depth=2
	s_add_i32 s12, s12, -1
	s_cmp_eq_u32 s12, 0
	s_sleep 1
	s_cbranch_scc0 .LBB2046_365
; %bb.366:                              ;   in Loop: Header=BB2046_364 Depth=1
	global_load_ubyte v1, v[4:5], off sc1
	s_cmp_lt_u32 s3, 32
	s_cselect_b64 s[12:13], -1, 0
	s_cmp_lg_u64 s[12:13], 0
	s_addc_u32 s3, s3, 0
	s_waitcnt vmcnt(0)
	v_cmp_ne_u16_e32 vcc, 0, v1
	s_or_b64 s[10:11], vcc, s[10:11]
	s_andn2_b64 exec, exec, s[10:11]
	s_cbranch_execnz .LBB2046_364
; %bb.367:
	s_or_b64 exec, exec, s[10:11]
.LBB2046_368:
	s_or_b64 exec, exec, s[0:1]
	v_mov_b32_e32 v3, s59
	v_mov_b32_e32 v4, s57
	v_cmp_eq_u16_e32 vcc, 1, v1
	s_waitcnt vmcnt(0)
	s_nop 0
	v_cndmask_b32_e32 v5, v3, v4, vcc
	v_mov_b32_e32 v3, s58
	v_mov_b32_e32 v4, s56
	v_cndmask_b32_e32 v4, v3, v4, vcc
	v_mad_u64_u32 v[8:9], s[0:1], v2, 20, v[4:5]
	global_load_dword v2, v[8:9], off sc1
	global_load_dword v3, v[8:9], off offset:4 sc1
	global_load_dword v4, v[8:9], off offset:8 sc1
	;; [unrolled: 1-line block ×4, first 2 shown]
	v_mov_b32_e32 v8, 0
	s_mov_b32 s0, 0
	v_mov_b32_e32 v9, v8
	scratch_store_dword off, v8, off offset:96
	s_waitcnt vmcnt(2)
	scratch_store_dwordx4 off, v[2:5], off offset:36
	s_waitcnt vmcnt(2)
	scratch_store_byte off, v7, off offset:52
.LBB2046_369:                           ; =>This Inner Loop Header: Depth=1
	s_add_i32 s1, s0, 0x50
	s_add_i32 s0, s0, 8
	s_cmp_lg_u32 s0, 16
	scratch_store_dwordx2 off, v[8:9], s1
	s_cbranch_scc1 .LBB2046_369
; %bb.370:
	scratch_load_dword v7, off, off offset:52
	v_lshlrev_b64 v[8:9], v22, -1
	v_cmp_eq_u16_e32 vcc, 2, v1
	v_and_b32_e32 v12, 63, v22
	s_nop 0
	v_and_b32_e32 v10, vcc_hi, v9
	v_and_b32_e32 v11, vcc_lo, v8
	v_cmp_ne_u32_e32 vcc, 63, v12
	v_or_b32_e32 v10, 0x80000000, v10
	v_ffbl_b32_e32 v10, v10
	v_addc_co_u32_e32 v13, vcc, 0, v22, vcc
	v_lshlrev_b32_e32 v13, 2, v13
	ds_bpermute_b32 v16, v13, v2
	ds_bpermute_b32 v17, v13, v3
	;; [unrolled: 1-line block ×4, first 2 shown]
	v_add_u32_e32 v10, 32, v10
	v_ffbl_b32_e32 v11, v11
	v_min_u32_e32 v24, v11, v10
	v_cmp_lt_u32_e32 vcc, v12, v24
	s_waitcnt lgkmcnt(0)
	scratch_store_dwordx4 off, v[16:19], off offset:80
	s_waitcnt vmcnt(1)
	ds_bpermute_b32 v14, v13, v7
	s_and_saveexec_b64 s[0:1], vcc
	s_cbranch_execz .LBB2046_378
; %bb.371:
	v_mov_b32_e32 v10, 0
	v_cmp_eq_u16_sdwa s[12:13], v7, v10 src0_sel:BYTE_0 src1_sel:DWORD
	s_and_saveexec_b64 s[10:11], s[12:13]
	s_cbranch_execz .LBB2046_377
; %bb.372:
	s_mov_b32 s3, 0
	v_mov_b32_e32 v11, v10
.LBB2046_373:                           ; =>This Inner Loop Header: Depth=1
	s_add_i32 s12, s3, 16
	s_add_i32 s3, s3, 8
	s_cmp_lg_u32 s3, 16
	scratch_store_dwordx2 off, v[10:11], s12
	s_cbranch_scc1 .LBB2046_373
; %bb.374:
	s_mov_b32 s3, 0
.LBB2046_375:                           ; =>This Inner Loop Header: Depth=1
	s_add_i32 s12, s3, 0x50
	s_add_i32 s13, s3, 36
	scratch_load_dwordx2 v[2:3], off, s12
	scratch_load_dwordx2 v[4:5], off, s13
	s_add_i32 s12, s3, 16
	s_add_i32 s3, s3, 8
	s_cmp_lg_u32 s3, 16
	s_waitcnt vmcnt(0)
	v_add_u32_e32 v3, v5, v3
	v_add_u32_e32 v2, v4, v2
	scratch_store_dwordx2 off, v[2:3], s12
	s_cbranch_scc1 .LBB2046_375
; %bb.376:
	scratch_load_dwordx4 v[2:5], off, off offset:16
.LBB2046_377:
	s_or_b64 exec, exec, s[10:11]
	s_waitcnt lgkmcnt(0)
	v_or_b32_e32 v7, v14, v7
	v_and_b32_e32 v7, 1, v7
	scratch_store_byte off, v7, off offset:52
	scratch_load_dword v7, off, off offset:52
	s_waitcnt vmcnt(2)
	scratch_store_dwordx4 off, v[2:5], off offset:36
.LBB2046_378:
	s_or_b64 exec, exec, s[0:1]
	v_cmp_gt_u32_e32 vcc, 62, v12
	v_add_u32_e32 v15, 2, v12
	s_nop 0
	v_cndmask_b32_e64 v10, 0, 1, vcc
	v_lshlrev_b32_e32 v10, 1, v10
	s_waitcnt lgkmcnt(0)
	v_add_lshl_u32 v14, v10, v22, 2
	ds_bpermute_b32 v18, v14, v2
	ds_bpermute_b32 v19, v14, v3
	ds_bpermute_b32 v20, v14, v4
	ds_bpermute_b32 v21, v14, v5
	s_waitcnt vmcnt(1)
	ds_bpermute_b32 v16, v14, v7
	v_cmp_le_u32_e32 vcc, v15, v24
	s_waitcnt lgkmcnt(1)
	scratch_store_dwordx4 off, v[18:21], off offset:80
	s_and_saveexec_b64 s[10:11], vcc
	s_cbranch_execz .LBB2046_386
; %bb.379:
	v_mov_b32_e32 v10, 0
	s_mov_b32 s3, 0
	v_cmp_eq_u16_sdwa s[12:13], v7, v10 src0_sel:BYTE_0 src1_sel:DWORD
	s_and_saveexec_b64 s[0:1], s[12:13]
	s_cbranch_execz .LBB2046_385
; %bb.380:
	v_mov_b32_e32 v11, v10
.LBB2046_381:                           ; =>This Inner Loop Header: Depth=1
	s_add_i32 s12, s3, 16
	s_add_i32 s3, s3, 8
	s_cmp_lg_u32 s3, 16
	scratch_store_dwordx2 off, v[10:11], s12
	s_cbranch_scc1 .LBB2046_381
; %bb.382:
	s_mov_b32 s3, 0
.LBB2046_383:                           ; =>This Inner Loop Header: Depth=1
	s_add_i32 s12, s3, 0x50
	s_add_i32 s13, s3, 36
	scratch_load_dwordx2 v[2:3], off, s12
	scratch_load_dwordx2 v[4:5], off, s13
	s_add_i32 s12, s3, 16
	s_add_i32 s3, s3, 8
	s_cmp_lg_u32 s3, 16
	s_waitcnt vmcnt(0)
	v_add_u32_e32 v3, v5, v3
	v_add_u32_e32 v2, v4, v2
	scratch_store_dwordx2 off, v[2:3], s12
	s_cbranch_scc1 .LBB2046_383
; %bb.384:
	scratch_load_dwordx4 v[2:5], off, off offset:16
.LBB2046_385:
	s_or_b64 exec, exec, s[0:1]
	v_and_b32_e32 v7, 1, v7
	v_cmp_eq_u32_e32 vcc, 1, v7
	s_waitcnt lgkmcnt(0)
	v_and_b32_e32 v7, 1, v16
	v_cmp_eq_u32_e64 s[0:1], 1, v7
	s_or_b64 s[0:1], vcc, s[0:1]
	s_waitcnt vmcnt(0)
	scratch_store_dwordx4 off, v[2:5], off offset:36
	v_cndmask_b32_e64 v7, 0, 1, s[0:1]
	scratch_store_byte off, v7, off offset:52
	scratch_load_dword v7, off, off offset:52
.LBB2046_386:
	s_or_b64 exec, exec, s[10:11]
	v_cmp_gt_u32_e32 vcc, 60, v12
	v_add_u32_e32 v17, 4, v12
	s_nop 0
	v_cndmask_b32_e64 v10, 0, 1, vcc
	v_lshlrev_b32_e32 v10, 2, v10
	s_waitcnt lgkmcnt(0)
	v_add_lshl_u32 v16, v10, v22, 2
	ds_bpermute_b32 v26, v16, v2
	ds_bpermute_b32 v27, v16, v3
	ds_bpermute_b32 v28, v16, v4
	ds_bpermute_b32 v29, v16, v5
	s_waitcnt vmcnt(0)
	ds_bpermute_b32 v18, v16, v7
	v_cmp_le_u32_e32 vcc, v17, v24
	s_waitcnt lgkmcnt(1)
	scratch_store_dwordx4 off, v[26:29], off offset:80
	s_and_saveexec_b64 s[10:11], vcc
	s_cbranch_execz .LBB2046_394
; %bb.387:
	v_mov_b32_e32 v10, 0
	s_mov_b32 s3, 0
	v_cmp_eq_u16_sdwa s[12:13], v7, v10 src0_sel:BYTE_0 src1_sel:DWORD
	s_and_saveexec_b64 s[0:1], s[12:13]
	s_cbranch_execz .LBB2046_393
; %bb.388:
	v_mov_b32_e32 v11, v10
.LBB2046_389:                           ; =>This Inner Loop Header: Depth=1
	s_add_i32 s12, s3, 16
	s_add_i32 s3, s3, 8
	s_cmp_lg_u32 s3, 16
	scratch_store_dwordx2 off, v[10:11], s12
	s_cbranch_scc1 .LBB2046_389
; %bb.390:
	s_mov_b32 s3, 0
.LBB2046_391:                           ; =>This Inner Loop Header: Depth=1
	s_add_i32 s12, s3, 0x50
	s_add_i32 s13, s3, 36
	scratch_load_dwordx2 v[2:3], off, s12
	scratch_load_dwordx2 v[4:5], off, s13
	s_add_i32 s12, s3, 16
	s_add_i32 s3, s3, 8
	s_cmp_lg_u32 s3, 16
	s_waitcnt vmcnt(0)
	v_add_u32_e32 v3, v5, v3
	v_add_u32_e32 v2, v4, v2
	scratch_store_dwordx2 off, v[2:3], s12
	s_cbranch_scc1 .LBB2046_391
; %bb.392:
	scratch_load_dwordx4 v[2:5], off, off offset:16
.LBB2046_393:
	s_or_b64 exec, exec, s[0:1]
	v_and_b32_e32 v7, 1, v7
	v_cmp_eq_u32_e32 vcc, 1, v7
	s_waitcnt lgkmcnt(0)
	v_and_b32_e32 v7, 1, v18
	v_cmp_eq_u32_e64 s[0:1], 1, v7
	s_or_b64 s[0:1], vcc, s[0:1]
	s_waitcnt vmcnt(0)
	scratch_store_dwordx4 off, v[2:5], off offset:36
	v_cndmask_b32_e64 v7, 0, 1, s[0:1]
	scratch_store_byte off, v7, off offset:52
	scratch_load_dword v7, off, off offset:52
.LBB2046_394:
	;; [unrolled: 64-line block ×4, first 2 shown]
	s_or_b64 exec, exec, s[10:11]
	v_cmp_gt_u32_e32 vcc, 32, v12
	s_waitcnt lgkmcnt(0)
	v_add_u32_e32 v23, 32, v12
	v_cndmask_b32_e64 v10, 0, 1, vcc
	v_lshlrev_b32_e32 v10, 5, v10
	v_add_lshl_u32 v22, v10, v22, 2
	ds_bpermute_b32 v26, v22, v2
	ds_bpermute_b32 v27, v22, v3
	;; [unrolled: 1-line block ×4, first 2 shown]
	s_waitcnt vmcnt(0)
	ds_bpermute_b32 v25, v22, v7
	v_cmp_le_u32_e32 vcc, v23, v24
	s_waitcnt lgkmcnt(1)
	scratch_store_dwordx4 off, v[26:29], off offset:80
	s_and_saveexec_b64 s[10:11], vcc
	s_cbranch_execz .LBB2046_418
; %bb.411:
	v_mov_b32_e32 v10, 0
	s_mov_b32 s3, 0
	v_cmp_eq_u16_sdwa s[12:13], v7, v10 src0_sel:BYTE_0 src1_sel:DWORD
	s_and_saveexec_b64 s[0:1], s[12:13]
	s_cbranch_execz .LBB2046_417
; %bb.412:
	v_mov_b32_e32 v11, v10
.LBB2046_413:                           ; =>This Inner Loop Header: Depth=1
	s_add_i32 s12, s3, 16
	s_add_i32 s3, s3, 8
	s_cmp_lg_u32 s3, 16
	scratch_store_dwordx2 off, v[10:11], s12
	s_cbranch_scc1 .LBB2046_413
; %bb.414:
	s_mov_b32 s3, 0
.LBB2046_415:                           ; =>This Inner Loop Header: Depth=1
	s_add_i32 s12, s3, 0x50
	s_add_i32 s13, s3, 36
	scratch_load_dwordx2 v[2:3], off, s12
	scratch_load_dwordx2 v[4:5], off, s13
	s_add_i32 s12, s3, 16
	s_add_i32 s3, s3, 8
	s_cmp_lg_u32 s3, 16
	s_waitcnt vmcnt(0)
	v_add_u32_e32 v3, v5, v3
	v_add_u32_e32 v2, v4, v2
	scratch_store_dwordx2 off, v[2:3], s12
	s_cbranch_scc1 .LBB2046_415
; %bb.416:
	scratch_load_dwordx4 v[2:5], off, off offset:16
.LBB2046_417:
	s_or_b64 exec, exec, s[0:1]
	v_and_b32_e32 v7, 1, v7
	v_cmp_eq_u32_e32 vcc, 1, v7
	s_waitcnt lgkmcnt(0)
	v_and_b32_e32 v7, 1, v25
	v_cmp_eq_u32_e64 s[0:1], 1, v7
	s_or_b64 s[0:1], vcc, s[0:1]
	s_nop 0
	v_cndmask_b32_e64 v7, 0, 1, s[0:1]
	s_waitcnt vmcnt(0)
	scratch_store_dwordx4 off, v[2:5], off offset:36
	scratch_store_byte off, v7, off offset:52
.LBB2046_418:
	s_or_b64 exec, exec, s[10:11]
	scratch_load_dwordx4 v[2:5], off, off offset:36
	scratch_load_dword v7, off, off offset:52
	v_mov_b32_e32 v10, 0
	v_mov_b32_e32 v24, 2
	s_waitcnt vmcnt(1)
	scratch_store_dwordx4 off, v[2:5], off offset:16
	s_waitcnt vmcnt(1)
	scratch_store_dword off, v7, off offset:32
	s_branch .LBB2046_420
.LBB2046_419:                           ;   in Loop: Header=BB2046_420 Depth=1
	s_or_b64 exec, exec, s[10:11]
	v_and_b32_e32 v7, 1, v7
	v_cmp_eq_u32_e32 vcc, 1, v7
	s_or_b64 s[0:1], vcc, s[0:1]
	v_subrev_u32_e32 v6, 64, v6
	v_cndmask_b32_e64 v7, 0, 1, s[0:1]
	s_waitcnt vmcnt(0)
	scratch_store_dwordx4 off, v[2:5], off offset:16
	scratch_store_byte off, v7, off offset:32
.LBB2046_420:                           ; =>This Loop Header: Depth=1
                                        ;     Child Loop BB2046_423 Depth 2
                                        ;       Child Loop BB2046_424 Depth 3
                                        ;     Child Loop BB2046_428 Depth 2
                                        ;     Child Loop BB2046_432 Depth 2
	;; [unrolled: 1-line block ×15, first 2 shown]
	v_cmp_ne_u16_sdwa s[0:1], v1, v24 src0_sel:BYTE_0 src1_sel:DWORD
	s_nop 1
	v_cndmask_b32_e64 v1, 0, 1, s[0:1]
	;;#ASMSTART
	;;#ASMEND
	s_nop 0
	v_cmp_ne_u32_e32 vcc, 0, v1
	s_cmp_lg_u64 vcc, exec
	s_cbranch_scc1 .LBB2046_485
; %bb.421:                              ;   in Loop: Header=BB2046_420 Depth=1
	global_load_ubyte v1, v6, s[60:61] sc1
	v_mov_b32_e32 v7, v10
	s_waitcnt vmcnt(0)
	v_cmp_eq_u16_e32 vcc, 0, v1
	s_and_saveexec_b64 s[0:1], vcc
	s_cbranch_execz .LBB2046_427
; %bb.422:                              ;   in Loop: Header=BB2046_420 Depth=1
	v_lshl_add_u64 v[2:3], s[60:61], 0, v[6:7]
	s_mov_b32 s3, 1
	s_mov_b64 s[10:11], 0
.LBB2046_423:                           ;   Parent Loop BB2046_420 Depth=1
                                        ; =>  This Loop Header: Depth=2
                                        ;       Child Loop BB2046_424 Depth 3
	s_max_u32 s12, s3, 1
.LBB2046_424:                           ;   Parent Loop BB2046_420 Depth=1
                                        ;     Parent Loop BB2046_423 Depth=2
                                        ; =>    This Inner Loop Header: Depth=3
	s_add_i32 s12, s12, -1
	s_cmp_eq_u32 s12, 0
	s_sleep 1
	s_cbranch_scc0 .LBB2046_424
; %bb.425:                              ;   in Loop: Header=BB2046_423 Depth=2
	global_load_ubyte v1, v[2:3], off sc1
	s_cmp_lt_u32 s3, 32
	s_cselect_b64 s[12:13], -1, 0
	s_cmp_lg_u64 s[12:13], 0
	s_addc_u32 s3, s3, 0
	s_waitcnt vmcnt(0)
	v_cmp_ne_u16_e32 vcc, 0, v1
	s_or_b64 s[10:11], vcc, s[10:11]
	s_andn2_b64 exec, exec, s[10:11]
	s_cbranch_execnz .LBB2046_423
; %bb.426:                              ;   in Loop: Header=BB2046_420 Depth=1
	s_or_b64 exec, exec, s[10:11]
.LBB2046_427:                           ;   in Loop: Header=BB2046_420 Depth=1
	s_or_b64 exec, exec, s[0:1]
	v_mov_b32_e32 v2, s59
	v_mov_b32_e32 v3, s57
	v_cmp_eq_u16_e32 vcc, 1, v1
	v_mov_b32_e32 v4, s56
	s_waitcnt vmcnt(0)
	v_cndmask_b32_e32 v3, v2, v3, vcc
	v_mov_b32_e32 v2, s58
	v_cndmask_b32_e32 v2, v2, v4, vcc
	s_waitcnt lgkmcnt(0)
	v_mad_u64_u32 v[26:27], s[0:1], v6, 20, v[2:3]
	s_waitcnt lgkmcnt(0)
	global_load_dword v2, v[26:27], off sc1
	global_load_dword v3, v[26:27], off offset:4 sc1
	global_load_dword v4, v[26:27], off offset:8 sc1
	;; [unrolled: 1-line block ×4, first 2 shown]
	s_mov_b32 s0, 0
	scratch_store_dword off, v10, off offset:96
	s_waitcnt vmcnt(2)
	scratch_store_dwordx4 off, v[2:5], off offset:36
	s_waitcnt vmcnt(2)
	scratch_store_byte off, v7, off offset:52
.LBB2046_428:                           ;   Parent Loop BB2046_420 Depth=1
                                        ; =>  This Inner Loop Header: Depth=2
	s_add_i32 s1, s0, 0x50
	s_add_i32 s0, s0, 8
	v_mov_b32_e32 v11, v10
	s_cmp_lg_u32 s0, 16
	scratch_store_dwordx2 off, v[10:11], s1
	s_cbranch_scc1 .LBB2046_428
; %bb.429:                              ;   in Loop: Header=BB2046_420 Depth=1
	scratch_load_dword v25, off, off offset:52
	v_cmp_eq_u16_e32 vcc, 2, v1
	ds_bpermute_b32 v28, v13, v2
	ds_bpermute_b32 v29, v13, v3
	v_and_b32_e32 v7, vcc_hi, v9
	v_or_b32_e32 v7, 0x80000000, v7
	ds_bpermute_b32 v30, v13, v4
	ds_bpermute_b32 v31, v13, v5
	v_and_b32_e32 v11, vcc_lo, v8
	v_ffbl_b32_e32 v7, v7
	v_add_u32_e32 v7, 32, v7
	v_ffbl_b32_e32 v11, v11
	v_min_u32_e32 v7, v11, v7
	v_cmp_lt_u32_e32 vcc, v12, v7
	s_waitcnt lgkmcnt(0)
	scratch_store_dwordx4 off, v[28:31], off offset:80
	s_waitcnt vmcnt(1)
	ds_bpermute_b32 v26, v13, v25
	s_and_saveexec_b64 s[0:1], vcc
	s_cbranch_execz .LBB2046_437
; %bb.430:                              ;   in Loop: Header=BB2046_420 Depth=1
	v_cmp_eq_u16_sdwa s[12:13], v25, v10 src0_sel:BYTE_0 src1_sel:DWORD
	s_and_saveexec_b64 s[10:11], s[12:13]
	s_cbranch_execz .LBB2046_436
; %bb.431:                              ;   in Loop: Header=BB2046_420 Depth=1
	s_mov_b32 s3, 0
.LBB2046_432:                           ;   Parent Loop BB2046_420 Depth=1
                                        ; =>  This Inner Loop Header: Depth=2
	s_add_i32 s12, s3, 0
	s_add_i32 s3, s3, 8
	v_mov_b32_e32 v11, v10
	s_cmp_lg_u32 s3, 16
	scratch_store_dwordx2 off, v[10:11], s12
	s_cbranch_scc1 .LBB2046_432
; %bb.433:                              ;   in Loop: Header=BB2046_420 Depth=1
	s_mov_b32 s3, 0
.LBB2046_434:                           ;   Parent Loop BB2046_420 Depth=1
                                        ; =>  This Inner Loop Header: Depth=2
	s_add_i32 s12, s3, 0x50
	s_add_i32 s13, s3, 36
	scratch_load_dwordx2 v[2:3], off, s12
	scratch_load_dwordx2 v[4:5], off, s13
	s_add_i32 s12, s3, 0
	s_add_i32 s3, s3, 8
	s_cmp_lg_u32 s3, 16
	s_waitcnt vmcnt(0)
	v_add_u32_e32 v3, v5, v3
	v_add_u32_e32 v2, v4, v2
	scratch_store_dwordx2 off, v[2:3], s12
	s_cbranch_scc1 .LBB2046_434
; %bb.435:                              ;   in Loop: Header=BB2046_420 Depth=1
	scratch_load_dwordx4 v[2:5], off, off
.LBB2046_436:                           ;   in Loop: Header=BB2046_420 Depth=1
	s_or_b64 exec, exec, s[10:11]
	s_waitcnt lgkmcnt(0)
	v_or_b32_e32 v11, v26, v25
	v_and_b32_e32 v11, 1, v11
	scratch_store_byte off, v11, off offset:52
	scratch_load_dword v25, off, off offset:52
	s_waitcnt vmcnt(2)
	scratch_store_dwordx4 off, v[2:5], off offset:36
.LBB2046_437:                           ;   in Loop: Header=BB2046_420 Depth=1
	s_or_b64 exec, exec, s[0:1]
	ds_bpermute_b32 v28, v14, v2
	ds_bpermute_b32 v29, v14, v3
	ds_bpermute_b32 v30, v14, v4
	ds_bpermute_b32 v31, v14, v5
	s_waitcnt vmcnt(1) lgkmcnt(4)
	ds_bpermute_b32 v26, v14, v25
	v_cmp_le_u32_e32 vcc, v15, v7
	s_waitcnt lgkmcnt(1)
	scratch_store_dwordx4 off, v[28:31], off offset:80
	s_and_saveexec_b64 s[10:11], vcc
	s_cbranch_execz .LBB2046_445
; %bb.438:                              ;   in Loop: Header=BB2046_420 Depth=1
	v_cmp_eq_u16_sdwa s[12:13], v25, v10 src0_sel:BYTE_0 src1_sel:DWORD
	s_and_saveexec_b64 s[0:1], s[12:13]
	s_cbranch_execz .LBB2046_444
; %bb.439:                              ;   in Loop: Header=BB2046_420 Depth=1
	s_mov_b32 s3, 0
.LBB2046_440:                           ;   Parent Loop BB2046_420 Depth=1
                                        ; =>  This Inner Loop Header: Depth=2
	s_add_i32 s12, s3, 0
	s_add_i32 s3, s3, 8
	v_mov_b32_e32 v11, v10
	s_cmp_lg_u32 s3, 16
	scratch_store_dwordx2 off, v[10:11], s12
	s_cbranch_scc1 .LBB2046_440
; %bb.441:                              ;   in Loop: Header=BB2046_420 Depth=1
	s_mov_b32 s3, 0
.LBB2046_442:                           ;   Parent Loop BB2046_420 Depth=1
                                        ; =>  This Inner Loop Header: Depth=2
	s_add_i32 s12, s3, 0x50
	s_add_i32 s13, s3, 36
	scratch_load_dwordx2 v[2:3], off, s12
	scratch_load_dwordx2 v[4:5], off, s13
	s_add_i32 s12, s3, 0
	s_add_i32 s3, s3, 8
	s_cmp_lg_u32 s3, 16
	s_waitcnt vmcnt(0)
	v_add_u32_e32 v3, v5, v3
	v_add_u32_e32 v2, v4, v2
	scratch_store_dwordx2 off, v[2:3], s12
	s_cbranch_scc1 .LBB2046_442
; %bb.443:                              ;   in Loop: Header=BB2046_420 Depth=1
	scratch_load_dwordx4 v[2:5], off, off
.LBB2046_444:                           ;   in Loop: Header=BB2046_420 Depth=1
	s_or_b64 exec, exec, s[0:1]
	v_and_b32_e32 v11, 1, v25
	v_cmp_eq_u32_e32 vcc, 1, v11
	s_waitcnt lgkmcnt(0)
	v_and_b32_e32 v11, 1, v26
	v_cmp_eq_u32_e64 s[0:1], 1, v11
	s_or_b64 s[0:1], vcc, s[0:1]
	s_waitcnt vmcnt(0)
	scratch_store_dwordx4 off, v[2:5], off offset:36
	v_cndmask_b32_e64 v11, 0, 1, s[0:1]
	scratch_store_byte off, v11, off offset:52
	scratch_load_dword v25, off, off offset:52
.LBB2046_445:                           ;   in Loop: Header=BB2046_420 Depth=1
	s_or_b64 exec, exec, s[10:11]
	ds_bpermute_b32 v28, v16, v2
	ds_bpermute_b32 v29, v16, v3
	ds_bpermute_b32 v30, v16, v4
	ds_bpermute_b32 v31, v16, v5
	s_waitcnt vmcnt(0) lgkmcnt(4)
	ds_bpermute_b32 v26, v16, v25
	v_cmp_le_u32_e32 vcc, v17, v7
	s_waitcnt lgkmcnt(1)
	scratch_store_dwordx4 off, v[28:31], off offset:80
	s_and_saveexec_b64 s[10:11], vcc
	s_cbranch_execz .LBB2046_453
; %bb.446:                              ;   in Loop: Header=BB2046_420 Depth=1
	v_cmp_eq_u16_sdwa s[12:13], v25, v10 src0_sel:BYTE_0 src1_sel:DWORD
	s_and_saveexec_b64 s[0:1], s[12:13]
	s_cbranch_execz .LBB2046_452
; %bb.447:                              ;   in Loop: Header=BB2046_420 Depth=1
	s_mov_b32 s3, 0
.LBB2046_448:                           ;   Parent Loop BB2046_420 Depth=1
                                        ; =>  This Inner Loop Header: Depth=2
	s_add_i32 s12, s3, 0
	s_add_i32 s3, s3, 8
	v_mov_b32_e32 v11, v10
	s_cmp_lg_u32 s3, 16
	scratch_store_dwordx2 off, v[10:11], s12
	s_cbranch_scc1 .LBB2046_448
; %bb.449:                              ;   in Loop: Header=BB2046_420 Depth=1
	s_mov_b32 s3, 0
.LBB2046_450:                           ;   Parent Loop BB2046_420 Depth=1
                                        ; =>  This Inner Loop Header: Depth=2
	s_add_i32 s12, s3, 0x50
	s_add_i32 s13, s3, 36
	scratch_load_dwordx2 v[2:3], off, s12
	scratch_load_dwordx2 v[4:5], off, s13
	s_add_i32 s12, s3, 0
	s_add_i32 s3, s3, 8
	s_cmp_lg_u32 s3, 16
	s_waitcnt vmcnt(0)
	v_add_u32_e32 v3, v5, v3
	v_add_u32_e32 v2, v4, v2
	scratch_store_dwordx2 off, v[2:3], s12
	s_cbranch_scc1 .LBB2046_450
; %bb.451:                              ;   in Loop: Header=BB2046_420 Depth=1
	scratch_load_dwordx4 v[2:5], off, off
.LBB2046_452:                           ;   in Loop: Header=BB2046_420 Depth=1
	s_or_b64 exec, exec, s[0:1]
	v_and_b32_e32 v11, 1, v25
	v_cmp_eq_u32_e32 vcc, 1, v11
	s_waitcnt lgkmcnt(0)
	v_and_b32_e32 v11, 1, v26
	v_cmp_eq_u32_e64 s[0:1], 1, v11
	s_or_b64 s[0:1], vcc, s[0:1]
	s_waitcnt vmcnt(0)
	scratch_store_dwordx4 off, v[2:5], off offset:36
	v_cndmask_b32_e64 v11, 0, 1, s[0:1]
	scratch_store_byte off, v11, off offset:52
	scratch_load_dword v25, off, off offset:52
.LBB2046_453:                           ;   in Loop: Header=BB2046_420 Depth=1
	;; [unrolled: 58-line block ×4, first 2 shown]
	s_or_b64 exec, exec, s[10:11]
	ds_bpermute_b32 v28, v22, v2
	ds_bpermute_b32 v29, v22, v3
	;; [unrolled: 1-line block ×4, first 2 shown]
	s_waitcnt vmcnt(0) lgkmcnt(4)
	ds_bpermute_b32 v26, v22, v25
	v_cmp_le_u32_e32 vcc, v23, v7
	v_and_b32_e32 v7, 1, v25
	v_cmp_eq_u32_e64 s[0:1], 1, v7
	s_waitcnt lgkmcnt(1)
	scratch_store_dwordx4 off, v[28:31], off offset:80
	s_and_saveexec_b64 s[10:11], vcc
	s_cbranch_execz .LBB2046_477
; %bb.470:                              ;   in Loop: Header=BB2046_420 Depth=1
	v_cmp_eq_u16_sdwa s[14:15], v25, v10 src0_sel:BYTE_0 src1_sel:DWORD
	s_and_saveexec_b64 s[12:13], s[14:15]
	s_cbranch_execz .LBB2046_476
; %bb.471:                              ;   in Loop: Header=BB2046_420 Depth=1
	s_mov_b32 s3, 0
.LBB2046_472:                           ;   Parent Loop BB2046_420 Depth=1
                                        ; =>  This Inner Loop Header: Depth=2
	s_add_i32 s14, s3, 0
	s_add_i32 s3, s3, 8
	v_mov_b32_e32 v11, v10
	s_cmp_lg_u32 s3, 16
	scratch_store_dwordx2 off, v[10:11], s14
	s_cbranch_scc1 .LBB2046_472
; %bb.473:                              ;   in Loop: Header=BB2046_420 Depth=1
	s_mov_b32 s3, 0
.LBB2046_474:                           ;   Parent Loop BB2046_420 Depth=1
                                        ; =>  This Inner Loop Header: Depth=2
	s_add_i32 s14, s3, 0x50
	s_add_i32 s15, s3, 36
	scratch_load_dwordx2 v[2:3], off, s14
	scratch_load_dwordx2 v[4:5], off, s15
	s_add_i32 s14, s3, 0
	s_add_i32 s3, s3, 8
	s_cmp_lg_u32 s3, 16
	s_waitcnt vmcnt(0)
	v_add_u32_e32 v3, v5, v3
	v_add_u32_e32 v2, v4, v2
	scratch_store_dwordx2 off, v[2:3], s14
	s_cbranch_scc1 .LBB2046_474
; %bb.475:                              ;   in Loop: Header=BB2046_420 Depth=1
	scratch_load_dwordx4 v[2:5], off, off
.LBB2046_476:                           ;   in Loop: Header=BB2046_420 Depth=1
	s_or_b64 exec, exec, s[12:13]
	s_waitcnt lgkmcnt(0)
	v_and_b32_e32 v7, 1, v26
	v_cmp_eq_u32_e32 vcc, 1, v7
	s_or_b64 s[12:13], s[0:1], vcc
	v_cndmask_b32_e64 v7, 0, 1, s[12:13]
	s_andn2_b64 s[0:1], s[0:1], exec
	s_and_b64 s[12:13], s[12:13], exec
	s_or_b64 s[0:1], s[0:1], s[12:13]
	s_waitcnt vmcnt(0)
	scratch_store_dwordx4 off, v[2:5], off offset:36
	scratch_store_byte off, v7, off offset:52
.LBB2046_477:                           ;   in Loop: Header=BB2046_420 Depth=1
	s_or_b64 exec, exec, s[10:11]
	scratch_load_ubyte v7, off, off offset:32
                                        ; implicit-def: $vgpr4_vgpr5
	s_waitcnt vmcnt(0)
	v_cmp_ne_u16_e32 vcc, 0, v7
	s_and_saveexec_b64 s[10:11], vcc
	s_xor_b64 s[10:11], exec, s[10:11]
	s_cbranch_execz .LBB2046_479
; %bb.478:                              ;   in Loop: Header=BB2046_420 Depth=1
	scratch_load_dwordx4 v[2:5], off, off offset:16
.LBB2046_479:                           ;   in Loop: Header=BB2046_420 Depth=1
	s_andn2_saveexec_b64 s[10:11], s[10:11]
	s_cbranch_execz .LBB2046_419
; %bb.480:                              ;   in Loop: Header=BB2046_420 Depth=1
	s_mov_b32 s3, 0
.LBB2046_481:                           ;   Parent Loop BB2046_420 Depth=1
                                        ; =>  This Inner Loop Header: Depth=2
	s_add_i32 s12, s3, 0x50
	s_add_i32 s3, s3, 8
	v_mov_b32_e32 v11, v10
	s_cmp_lg_u32 s3, 16
	scratch_store_dwordx2 off, v[10:11], s12
	s_cbranch_scc1 .LBB2046_481
; %bb.482:                              ;   in Loop: Header=BB2046_420 Depth=1
	s_mov_b32 s3, 0
.LBB2046_483:                           ;   Parent Loop BB2046_420 Depth=1
                                        ; =>  This Inner Loop Header: Depth=2
	s_add_i32 s12, s3, 36
	s_add_i32 s13, s3, 16
	scratch_load_dwordx2 v[2:3], off, s12
	scratch_load_dwordx2 v[4:5], off, s13
	s_add_i32 s12, s3, 0x50
	s_add_i32 s3, s3, 8
	s_cmp_lg_u32 s3, 16
	s_waitcnt vmcnt(0)
	v_add_u32_e32 v3, v5, v3
	v_add_u32_e32 v2, v4, v2
	scratch_store_dwordx2 off, v[2:3], s12
	s_cbranch_scc1 .LBB2046_483
; %bb.484:                              ;   in Loop: Header=BB2046_420 Depth=1
	scratch_load_dwordx4 v[2:5], off, off offset:80
	s_branch .LBB2046_419
.LBB2046_485:                           ;   in Loop: Header=BB2046_420 Depth=1
                                        ; implicit-def: $vgpr6
                                        ; implicit-def: $vgpr1
	s_cbranch_execz .LBB2046_420
; %bb.486:
	scratch_load_dwordx4 v[2:5], off, off offset:16
	scratch_load_dword v1, off, off offset:32
	s_waitcnt vmcnt(1)
	scratch_store_dwordx4 off, v[2:5], off offset:80
	s_waitcnt vmcnt(1)
	scratch_store_dword off, v1, off offset:96
	s_and_saveexec_b64 s[0:1], s[6:7]
	s_cbranch_execz .LBB2046_496
; %bb.487:
	scratch_load_ubyte v12, off, off offset:72
                                        ; implicit-def: $vgpr10_vgpr11
                                        ; implicit-def: $vgpr9
	s_waitcnt vmcnt(0)
	v_cmp_ne_u16_e32 vcc, 0, v12
	s_and_saveexec_b64 s[6:7], vcc
	s_xor_b64 s[6:7], exec, s[6:7]
	s_cbranch_execz .LBB2046_489
; %bb.488:
	scratch_load_dwordx4 v[6:9], off, off offset:56
	s_waitcnt vmcnt(0)
	v_mov_b32_e32 v10, v7
	v_mov_b32_e32 v11, v8
.LBB2046_489:
	s_andn2_saveexec_b64 s[6:7], s[6:7]
	s_cbranch_execz .LBB2046_495
; %bb.490:
	v_mov_b32_e32 v6, 0
	s_mov_b32 s3, 0
	v_mov_b32_e32 v7, v6
.LBB2046_491:                           ; =>This Inner Loop Header: Depth=1
	s_add_i32 s10, s3, 16
	s_add_i32 s3, s3, 8
	s_cmp_lg_u32 s3, 16
	scratch_store_dwordx2 off, v[6:7], s10
	s_cbranch_scc1 .LBB2046_491
; %bb.492:
	s_mov_b32 s3, 0
.LBB2046_493:                           ; =>This Inner Loop Header: Depth=1
	s_add_i32 s10, s3, 0x50
	s_add_i32 s11, s3, 56
	scratch_load_dwordx2 v[6:7], off, s10
	scratch_load_dwordx2 v[8:9], off, s11
	s_add_i32 s10, s3, 16
	s_add_i32 s3, s3, 8
	s_cmp_lg_u32 s3, 16
	s_waitcnt vmcnt(0)
	v_add_u32_e32 v7, v9, v7
	v_add_u32_e32 v6, v8, v6
	scratch_store_dwordx2 off, v[6:7], s10
	s_cbranch_scc1 .LBB2046_493
; %bb.494:
	scratch_load_dwordx4 v[6:9], off, off offset:16
	s_waitcnt vmcnt(0)
	v_mov_b32_e32 v10, v7
	v_mov_b32_e32 v11, v8
.LBB2046_495:
	s_or_b64 exec, exec, s[6:7]
	s_add_i32 s6, s2, 64
	v_and_b32_e32 v7, 1, v12
	s_mul_i32 s2, s6, 20
	v_and_b32_e32 v8, 1, v1
	v_cmp_eq_u32_e32 vcc, 1, v7
	s_mul_hi_u32 s3, s6, 20
	s_add_u32 s2, s58, s2
	v_cndmask_b32_e64 v7, v8, 1, vcc
	s_addc_u32 s3, s59, s3
	v_mov_b32_e32 v8, 0
	global_store_dword v8, v6, s[2:3] sc1
	global_store_dword v8, v10, s[2:3] offset:4 sc1
	global_store_dword v8, v11, s[2:3] offset:8 sc1
	;; [unrolled: 1-line block ×4, first 2 shown]
	v_mov_b32_e32 v6, s6
	v_mov_b32_e32 v7, 2
	s_waitcnt vmcnt(0) lgkmcnt(0)
	global_store_byte v6, v7, s[60:61] sc1
.LBB2046_496:
	s_or_b64 exec, exec, s[0:1]
	s_and_b64 exec, exec, s[16:17]
	s_cbranch_execz .LBB2046_498
; %bb.497:
	v_mov_b32_e32 v6, 0
	ds_write_b128 v6, v[2:5]
	ds_write_b8 v6, v1 offset:16
.LBB2046_498:
	s_or_b64 exec, exec, s[8:9]
	s_waitcnt lgkmcnt(0)
	s_barrier
	scratch_load_ubyte v1, off, off offset:496
	v_mov_b32_e32 v2, 0
	ds_read_b128 v[8:11], v2
	ds_read_b32 v6, v2 offset:16
	s_waitcnt lgkmcnt(1)
	scratch_store_dwordx4 off, v[8:11], off offset:80
	s_waitcnt lgkmcnt(0)
	scratch_store_dword off, v6, off offset:96
	s_and_saveexec_b64 s[0:1], s[92:93]
	s_cbranch_execz .LBB2046_508
; %bb.499:
	s_waitcnt vmcnt(2)
	v_cmp_ne_u16_sdwa s[2:3], v1, v2 src0_sel:BYTE_0 src1_sel:DWORD
                                        ; implicit-def: $vgpr4_vgpr5
	s_and_saveexec_b64 s[6:7], s[2:3]
	s_xor_b64 s[6:7], exec, s[6:7]
	s_cbranch_execz .LBB2046_501
; %bb.500:
	scratch_load_dwordx4 v[2:5], off, off offset:480
.LBB2046_501:
	s_andn2_saveexec_b64 s[6:7], s[6:7]
	s_cbranch_execz .LBB2046_507
; %bb.502:
	s_waitcnt vmcnt(0)
	v_mov_b32_e32 v2, 0
	s_mov_b32 s2, 0
	v_mov_b32_e32 v3, v2
.LBB2046_503:                           ; =>This Inner Loop Header: Depth=1
	s_add_i32 s3, s2, 16
	s_add_i32 s2, s2, 8
	s_cmp_lg_u32 s2, 16
	scratch_store_dwordx2 off, v[2:3], s3
	s_cbranch_scc1 .LBB2046_503
; %bb.504:
	s_mov_b32 s2, 0
.LBB2046_505:                           ; =>This Inner Loop Header: Depth=1
	s_add_i32 s3, s2, 0x1c0
	s_add_i32 s8, s2, 0x1e0
	scratch_load_dwordx2 v[2:3], off, s3
	scratch_load_dwordx2 v[4:5], off, s8
	s_add_i32 s3, s2, 16
	s_add_i32 s2, s2, 8
	s_cmp_lg_u32 s2, 16
	s_waitcnt vmcnt(0)
	v_add_u32_e32 v3, v5, v3
	v_add_u32_e32 v2, v4, v2
	scratch_store_dwordx2 off, v[2:3], s3
	s_cbranch_scc1 .LBB2046_505
; %bb.506:
	scratch_load_dwordx4 v[2:5], off, off offset:16
.LBB2046_507:
	s_or_b64 exec, exec, s[6:7]
	scratch_load_ubyte v7, off, off offset:464
	s_waitcnt vmcnt(0)
	v_or_b32_e32 v1, v1, v7
	v_and_b32_e32 v1, 1, v1
	scratch_store_dwordx4 off, v[2:5], off offset:480
.LBB2046_508:
	s_or_b64 exec, exec, s[0:1]
	s_nop 0
	v_mov_b32_e32 v2, 0
	s_waitcnt vmcnt(2)
	v_cmp_ne_u16_sdwa s[0:1], v1, v2 src0_sel:BYTE_0 src1_sel:DWORD
                                        ; implicit-def: $vgpr4_vgpr5
	s_and_saveexec_b64 s[2:3], s[0:1]
	s_xor_b64 s[0:1], exec, s[2:3]
	s_cbranch_execz .LBB2046_510
; %bb.509:
	scratch_load_dwordx4 v[2:5], off, off offset:480
.LBB2046_510:
	s_andn2_saveexec_b64 s[0:1], s[0:1]
	s_cbranch_execz .LBB2046_516
; %bb.511:
	s_waitcnt vmcnt(0)
	v_mov_b32_e32 v2, 0
	s_mov_b32 s2, 0
	v_mov_b32_e32 v3, v2
.LBB2046_512:                           ; =>This Inner Loop Header: Depth=1
	s_add_i32 s3, s2, 16
	s_add_i32 s2, s2, 8
	s_cmp_lg_u32 s2, 16
	scratch_store_dwordx2 off, v[2:3], s3
	s_cbranch_scc1 .LBB2046_512
; %bb.513:
	s_mov_b32 s2, 0
.LBB2046_514:                           ; =>This Inner Loop Header: Depth=1
	s_add_i32 s3, s2, 0x50
	s_add_i32 s6, s2, 0x1e0
	scratch_load_dwordx2 v[2:3], off, s3
	scratch_load_dwordx2 v[4:5], off, s6
	s_add_i32 s3, s2, 16
	s_add_i32 s2, s2, 8
	s_cmp_lg_u32 s2, 16
	s_waitcnt vmcnt(0)
	v_add_u32_e32 v3, v5, v3
	v_add_u32_e32 v2, v4, v2
	scratch_store_dwordx2 off, v[2:3], s3
	s_cbranch_scc1 .LBB2046_514
; %bb.515:
	scratch_load_dwordx4 v[2:5], off, off offset:16
.LBB2046_516:
	s_or_b64 exec, exec, s[0:1]
	scratch_load_ubyte v7, off, off offset:516
	v_or_b32_e32 v1, v1, v6
	v_and_b32_e32 v1, 1, v1
	v_cmp_eq_u32_e32 vcc, 1, v1
	s_waitcnt vmcnt(1)
	scratch_store_dwordx4 off, v[2:5], off offset:480
	scratch_store_byte off, v1, off offset:496
                                        ; implicit-def: $vgpr4_vgpr5
	s_waitcnt vmcnt(2)
	v_cmp_ne_u16_e64 s[0:1], 0, v7
	s_and_saveexec_b64 s[2:3], s[0:1]
	s_xor_b64 s[0:1], exec, s[2:3]
	s_cbranch_execz .LBB2046_518
; %bb.517:
	scratch_load_dwordx4 v[2:5], off, off offset:500
.LBB2046_518:
	s_andn2_saveexec_b64 s[0:1], s[0:1]
	s_cbranch_execz .LBB2046_524
; %bb.519:
	s_waitcnt vmcnt(0)
	v_mov_b32_e32 v2, 0
	s_mov_b32 s2, 0
	v_mov_b32_e32 v3, v2
.LBB2046_520:                           ; =>This Inner Loop Header: Depth=1
	s_add_i32 s3, s2, 16
	s_add_i32 s2, s2, 8
	s_cmp_lg_u32 s2, 16
	scratch_store_dwordx2 off, v[2:3], s3
	s_cbranch_scc1 .LBB2046_520
; %bb.521:
	s_mov_b32 s2, 0
	v_mov_b32_e32 v1, 0x1e0
.LBB2046_522:                           ; =>This Inner Loop Header: Depth=1
	v_add_u32_e32 v2, s2, v1
	s_add_i32 s3, s2, 0x1e0
	v_add_u32_e32 v4, 20, v2
	scratch_load_dwordx2 v[2:3], off, s3
	s_nop 0
	scratch_load_dwordx2 v[4:5], v4, off
	s_add_i32 s3, s2, 16
	s_add_i32 s2, s2, 8
	s_cmp_lg_u32 s2, 16
	s_waitcnt vmcnt(0)
	v_add_u32_e32 v3, v5, v3
	v_add_u32_e32 v2, v4, v2
	scratch_store_dwordx2 off, v[2:3], s3
	s_cbranch_scc1 .LBB2046_522
; %bb.523:
	scratch_load_dwordx4 v[2:5], off, off offset:16
.LBB2046_524:
	s_or_b64 exec, exec, s[0:1]
	scratch_load_ubyte v1, off, off offset:536
	v_and_b32_e32 v6, 1, v7
	v_cmp_eq_u32_e64 s[0:1], 1, v6
	s_or_b64 s[0:1], s[0:1], vcc
	s_waitcnt vmcnt(0)
	v_cmp_ne_u16_e32 vcc, 0, v1
	v_cndmask_b32_e64 v6, 0, 1, s[0:1]
	scratch_store_dwordx4 off, v[2:5], off offset:500
	scratch_store_byte off, v6, off offset:516
                                        ; implicit-def: $vgpr4_vgpr5
	s_and_saveexec_b64 s[2:3], vcc
	s_xor_b64 s[6:7], exec, s[2:3]
	s_cbranch_execz .LBB2046_526
; %bb.525:
	scratch_load_dwordx4 v[2:5], off, off offset:520
.LBB2046_526:
	s_andn2_saveexec_b64 s[6:7], s[6:7]
	s_cbranch_execz .LBB2046_532
; %bb.527:
	s_waitcnt vmcnt(0)
	v_mov_b32_e32 v2, 0
	s_mov_b32 s2, 0
	v_mov_b32_e32 v3, v2
.LBB2046_528:                           ; =>This Inner Loop Header: Depth=1
	s_add_i32 s3, s2, 16
	s_add_i32 s2, s2, 8
	s_cmp_lg_u32 s2, 16
	scratch_store_dwordx2 off, v[2:3], s3
	s_cbranch_scc1 .LBB2046_528
; %bb.529:
	s_mov_b32 s2, 0
	v_mov_b32_e32 v2, 0x1e0
.LBB2046_530:                           ; =>This Inner Loop Header: Depth=1
	v_add_u32_e32 v3, s2, v2
	v_add_u32_e32 v8, 20, v3
	v_add_u32_e32 v3, 40, v3
	scratch_load_dwordx2 v[4:5], v8, off
	scratch_load_dwordx2 v[6:7], v3, off
	s_add_i32 s3, s2, 16
	s_add_i32 s2, s2, 8
	s_cmp_lg_u32 s2, 16
	s_waitcnt vmcnt(0)
	v_add_u32_e32 v5, v7, v5
	v_add_u32_e32 v4, v6, v4
	scratch_store_dwordx2 off, v[4:5], s3
	s_cbranch_scc1 .LBB2046_530
; %bb.531:
	scratch_load_dwordx4 v[2:5], off, off offset:16
.LBB2046_532:
	s_or_b64 exec, exec, s[6:7]
	scratch_load_ubyte v6, off, off offset:556
	v_and_b32_e32 v1, 1, v1
	v_cmp_eq_u32_e32 vcc, 1, v1
	s_or_b64 s[0:1], vcc, s[0:1]
	v_cndmask_b32_e64 v1, 0, 1, s[0:1]
	s_waitcnt vmcnt(1)
	scratch_store_dwordx4 off, v[2:5], off offset:520
	scratch_store_byte off, v1, off offset:536
                                        ; implicit-def: $vgpr4_vgpr5
	s_waitcnt vmcnt(2)
	v_cmp_ne_u16_e32 vcc, 0, v6
	s_and_saveexec_b64 s[2:3], vcc
	s_xor_b64 s[6:7], exec, s[2:3]
	s_cbranch_execz .LBB2046_534
; %bb.533:
	scratch_load_dwordx4 v[2:5], off, off offset:540
.LBB2046_534:
	s_andn2_saveexec_b64 s[6:7], s[6:7]
	s_cbranch_execz .LBB2046_540
; %bb.535:
	s_waitcnt vmcnt(0)
	v_mov_b32_e32 v2, 0
	s_mov_b32 s2, 0
	v_mov_b32_e32 v3, v2
.LBB2046_536:                           ; =>This Inner Loop Header: Depth=1
	s_add_i32 s3, s2, 16
	s_add_i32 s2, s2, 8
	s_cmp_lg_u32 s2, 16
	scratch_store_dwordx2 off, v[2:3], s3
	s_cbranch_scc1 .LBB2046_536
; %bb.537:
	s_mov_b32 s2, 0
	v_mov_b32_e32 v1, 0x1e0
.LBB2046_538:                           ; =>This Inner Loop Header: Depth=1
	v_add_u32_e32 v2, s2, v1
	v_add_u32_e32 v7, 40, v2
	v_add_u32_e32 v8, 60, v2
	scratch_load_dwordx2 v[2:3], v7, off
	scratch_load_dwordx2 v[4:5], v8, off
	s_add_i32 s3, s2, 16
	s_add_i32 s2, s2, 8
	s_cmp_lg_u32 s2, 16
	s_waitcnt vmcnt(0)
	v_add_u32_e32 v3, v5, v3
	v_add_u32_e32 v2, v4, v2
	scratch_store_dwordx2 off, v[2:3], s3
	s_cbranch_scc1 .LBB2046_538
; %bb.539:
	scratch_load_dwordx4 v[2:5], off, off offset:16
.LBB2046_540:
	s_or_b64 exec, exec, s[6:7]
	scratch_load_ubyte v1, off, off offset:576
	v_and_b32_e32 v6, 1, v6
	v_cmp_eq_u32_e32 vcc, 1, v6
	s_or_b64 s[0:1], vcc, s[0:1]
	v_cndmask_b32_e64 v6, 0, 1, s[0:1]
	s_waitcnt vmcnt(1)
	scratch_store_dwordx4 off, v[2:5], off offset:540
	scratch_store_byte off, v6, off offset:556
                                        ; implicit-def: $vgpr4_vgpr5
	s_waitcnt vmcnt(2)
	v_cmp_ne_u16_e32 vcc, 0, v1
	;; [unrolled: 51-line block ×20, first 2 shown]
	s_and_saveexec_b64 s[2:3], vcc
	s_xor_b64 s[6:7], exec, s[2:3]
	s_cbranch_execz .LBB2046_686
; %bb.685:
	scratch_load_dwordx4 v[2:5], off, off offset:920
.LBB2046_686:
	s_andn2_saveexec_b64 s[6:7], s[6:7]
	s_cbranch_execz .LBB2046_692
; %bb.687:
	s_waitcnt vmcnt(0)
	v_mov_b32_e32 v2, 0
	s_mov_b32 s2, 0
	v_mov_b32_e32 v3, v2
.LBB2046_688:                           ; =>This Inner Loop Header: Depth=1
	s_add_i32 s3, s2, 16
	s_add_i32 s2, s2, 8
	s_cmp_lg_u32 s2, 16
	scratch_store_dwordx2 off, v[2:3], s3
	s_cbranch_scc1 .LBB2046_688
; %bb.689:
	s_mov_b32 s2, 0
	v_mov_b32_e32 v2, 0x1e0
.LBB2046_690:                           ; =>This Inner Loop Header: Depth=1
	v_add_u32_e32 v3, s2, v2
	v_add_u32_e32 v8, 0x1a4, v3
	v_add_u32_e32 v3, 0x1b8, v3
	scratch_load_dwordx2 v[4:5], v8, off
	scratch_load_dwordx2 v[6:7], v3, off
	s_add_i32 s3, s2, 16
	s_add_i32 s2, s2, 8
	s_cmp_lg_u32 s2, 16
	s_waitcnt vmcnt(0)
	v_add_u32_e32 v5, v7, v5
	v_add_u32_e32 v4, v6, v4
	scratch_store_dwordx2 off, v[4:5], s3
	s_cbranch_scc1 .LBB2046_690
; %bb.691:
	scratch_load_dwordx4 v[2:5], off, off offset:16
.LBB2046_692:
	s_or_b64 exec, exec, s[6:7]
	v_and_b32_e32 v1, 1, v1
	v_cmp_eq_u32_e32 vcc, 1, v1
	s_or_b64 s[0:1], vcc, s[0:1]
	v_cndmask_b32_e64 v1, 0, 1, s[0:1]
	s_waitcnt vmcnt(0)
	scratch_store_dwordx4 off, v[2:5], off offset:920
	scratch_store_byte off, v1, off offset:936
	s_branch .LBB2046_1282
.LBB2046_693:
	v_mov_b64_e32 v[2:3], s[76:77]
	flat_load_dword v2, v[2:3]
	v_readlane_b32 s0, v200, 22
	s_add_i32 s3, s0, s62
	v_cmp_gt_u32_e64 s[6:7], s3, v0
	s_waitcnt vmcnt(0) lgkmcnt(0)
	v_mov_b32_e32 v3, v2
	s_and_saveexec_b64 s[0:1], s[6:7]
	s_cbranch_execz .LBB2046_695
; %bb.694:
	v_lshlrev_b32_e32 v4, 2, v0
	v_mov_b32_e32 v5, 0
	v_lshl_add_u64 v[4:5], s[76:77], 0, v[4:5]
	flat_load_dword v3, v[4:5]
.LBB2046_695:
	s_or_b64 exec, exec, s[0:1]
	v_or_b32_e32 v4, 0x80, v0
	v_cmp_gt_u32_e64 s[8:9], s3, v4
	v_mov_b32_e32 v4, v2
	s_and_saveexec_b64 s[0:1], s[8:9]
	s_cbranch_execz .LBB2046_697
; %bb.696:
	v_lshlrev_b32_e32 v4, 2, v0
	v_mov_b32_e32 v5, 0
	v_lshl_add_u64 v[4:5], s[76:77], 0, v[4:5]
	flat_load_dword v4, v[4:5] offset:512
.LBB2046_697:
	s_or_b64 exec, exec, s[0:1]
	v_or_b32_e32 v48, 0x100, v0
	v_cmp_gt_u32_e64 s[10:11], s3, v48
	v_mov_b32_e32 v5, v2
	s_and_saveexec_b64 s[0:1], s[10:11]
	s_cbranch_execz .LBB2046_699
; %bb.698:
	v_lshlrev_b32_e32 v6, 2, v0
	v_mov_b32_e32 v7, 0
	v_lshl_add_u64 v[6:7], s[76:77], 0, v[6:7]
	flat_load_dword v5, v[6:7] offset:1024
.LBB2046_699:
	;; [unrolled: 12-line block ×7, first 2 shown]
	s_or_b64 exec, exec, s[0:1]
	v_or_b32_e32 v54, 0x400, v0
	v_cmp_gt_u32_e64 s[22:23], s3, v54
	v_mov_b32_e32 v11, v2
	s_and_saveexec_b64 s[0:1], s[22:23]
	s_cbranch_execz .LBB2046_711
; %bb.710:
	v_lshlrev_b32_e32 v12, 2, v54
	v_mov_b32_e32 v13, 0
	v_lshl_add_u64 v[12:13], s[76:77], 0, v[12:13]
	flat_load_dword v11, v[12:13]
.LBB2046_711:
	s_or_b64 exec, exec, s[0:1]
	v_or_b32_e32 v56, 0x480, v0
	v_cmp_gt_u32_e64 s[24:25], s3, v56
	v_mov_b32_e32 v12, v2
	s_and_saveexec_b64 s[0:1], s[24:25]
	s_cbranch_execz .LBB2046_713
; %bb.712:
	v_lshlrev_b32_e32 v12, 2, v56
	v_mov_b32_e32 v13, 0
	v_lshl_add_u64 v[12:13], s[76:77], 0, v[12:13]
	flat_load_dword v12, v[12:13]
.LBB2046_713:
	;; [unrolled: 12-line block ×14, first 2 shown]
	s_or_b64 exec, exec, s[0:1]
	v_or_b32_e32 v69, 0xb00, v0
	v_cmp_gt_u32_e64 s[52:53], s3, v69
	s_and_saveexec_b64 s[0:1], s[52:53]
	s_cbranch_execz .LBB2046_739
; %bb.738:
	v_lshlrev_b32_e32 v70, 2, v69
	v_mov_b32_e32 v71, 0
	v_lshl_add_u64 v[70:71], s[76:77], 0, v[70:71]
	flat_load_dword v2, v[70:71]
.LBB2046_739:
	s_or_b64 exec, exec, s[0:1]
	v_lshlrev_b32_e32 v25, 2, v0
	s_movk_i32 s0, 0x58
	s_waitcnt vmcnt(0) lgkmcnt(0)
	ds_write2st64_b32 v25, v3, v4 offset1:2
	ds_write2st64_b32 v25, v5, v6 offset0:4 offset1:6
	ds_write2st64_b32 v25, v7, v8 offset0:8 offset1:10
	;; [unrolled: 1-line block ×10, first 2 shown]
	ds_write_b32 v25, v2 offset:11264
	v_mad_u32_u24 v24, v0, s0, v25
	s_waitcnt lgkmcnt(0)
	s_barrier
	ds_read2_b32 v[22:23], v24 offset1:1
	ds_read2_b32 v[20:21], v24 offset0:2 offset1:3
	ds_read2_b32 v[18:19], v24 offset0:4 offset1:5
	ds_read2_b32 v[16:17], v24 offset0:6 offset1:7
	ds_read2_b32 v[14:15], v24 offset0:8 offset1:9
	ds_read2_b32 v[12:13], v24 offset0:10 offset1:11
	ds_read2_b32 v[10:11], v24 offset0:12 offset1:13
	ds_read2_b32 v[8:9], v24 offset0:14 offset1:15
	ds_read2_b32 v[6:7], v24 offset0:16 offset1:17
	ds_read2_b32 v[4:5], v24 offset0:18 offset1:19
	ds_read2_b32 v[2:3], v24 offset0:20 offset1:21
	ds_read_b32 v47, v24 offset:88
	s_cmp_eq_u64 s[84:85], 0
	s_mov_b64 s[0:1], s[76:77]
	s_cbranch_scc1 .LBB2046_743
; %bb.740:
	s_andn2_b64 vcc, exec, s[74:75]
	s_cbranch_vccnz .LBB2046_1425
; %bb.741:
	s_mov_b64 s[72:73], s[88:89]
	s_mov_b64 vcc, s[90:91]
	s_mov_b32 s94, s62
	s_mov_b64 s[92:93], s[60:61]
	s_mov_b64 s[90:91], s[58:59]
	;; [unrolled: 1-line block ×3, first 2 shown]
	v_readlane_b32 s56, v200, 8
	s_lshl_b64 s[0:1], s[84:85], 2
	v_readlane_b32 s62, v200, 14
	v_readlane_b32 s63, v200, 15
	s_add_u32 s0, s62, s0
	v_readlane_b32 s57, v200, 9
	v_readlane_b32 s58, v200, 10
	;; [unrolled: 1-line block ×5, first 2 shown]
	s_addc_u32 s1, s63, s1
	s_mov_b64 s[56:57], s[88:89]
	s_add_u32 s0, s0, -4
	s_mov_b64 s[58:59], s[90:91]
	s_mov_b64 s[60:61], s[92:93]
	s_mov_b32 s62, s94
	s_mov_b64 s[92:93], s[4:5]
	s_mov_b64 s[90:91], vcc
	s_mov_b64 s[88:89], s[72:73]
	s_addc_u32 s1, s1, -1
	s_cbranch_execnz .LBB2046_743
.LBB2046_742:
	s_add_u32 s0, s76, -4
	s_addc_u32 s1, s77, -1
.LBB2046_743:
	v_mov_b64_e32 v[70:71], s[0:1]
	flat_load_dword v55, v[70:71]
	s_movk_i32 s0, 0xffa8
	v_mad_i32_i24 v25, v0, s0, v24
	s_waitcnt lgkmcnt(0)
	ds_write_b32 v25, v47 offset:11776
	s_waitcnt lgkmcnt(0)
	s_barrier
	s_and_saveexec_b64 s[0:1], s[92:93]
	s_cbranch_execz .LBB2046_745
; %bb.744:
	v_mul_i32_i24_e32 v25, 0xffffffa8, v0
	v_add_u32_e32 v24, v24, v25
	s_waitcnt vmcnt(0)
	ds_read_b32 v55, v24 offset:11772
.LBB2046_745:
	s_or_b64 exec, exec, s[0:1]
	v_mov_b32_e32 v25, 0
	s_waitcnt lgkmcnt(0)
	s_barrier
	s_and_saveexec_b64 s[0:1], s[6:7]
	s_cbranch_execnz .LBB2046_1403
; %bb.746:
	s_or_b64 exec, exec, s[0:1]
	s_and_saveexec_b64 s[0:1], s[8:9]
	s_cbranch_execnz .LBB2046_1404
.LBB2046_747:
	s_or_b64 exec, exec, s[0:1]
	s_and_saveexec_b64 s[0:1], s[10:11]
	s_cbranch_execnz .LBB2046_1405
.LBB2046_748:
	s_or_b64 exec, exec, s[0:1]
	s_and_saveexec_b64 s[0:1], s[12:13]
	s_cbranch_execnz .LBB2046_1406
.LBB2046_749:
	s_or_b64 exec, exec, s[0:1]
	s_and_saveexec_b64 s[0:1], s[14:15]
	s_cbranch_execnz .LBB2046_1407
.LBB2046_750:
	s_or_b64 exec, exec, s[0:1]
	s_and_saveexec_b64 s[0:1], s[16:17]
	s_cbranch_execnz .LBB2046_1408
.LBB2046_751:
	s_or_b64 exec, exec, s[0:1]
	s_and_saveexec_b64 s[0:1], s[18:19]
	s_cbranch_execnz .LBB2046_1409
.LBB2046_752:
	s_or_b64 exec, exec, s[0:1]
	s_and_saveexec_b64 s[0:1], s[20:21]
	s_cbranch_execnz .LBB2046_1410
.LBB2046_753:
	s_or_b64 exec, exec, s[0:1]
	s_and_saveexec_b64 s[0:1], s[22:23]
	s_cbranch_execnz .LBB2046_1411
.LBB2046_754:
	s_or_b64 exec, exec, s[0:1]
	s_and_saveexec_b64 s[0:1], s[24:25]
	s_cbranch_execnz .LBB2046_1412
.LBB2046_755:
	s_or_b64 exec, exec, s[0:1]
	s_and_saveexec_b64 s[0:1], s[26:27]
	s_cbranch_execnz .LBB2046_1413
.LBB2046_756:
	s_or_b64 exec, exec, s[0:1]
	s_and_saveexec_b64 s[0:1], s[28:29]
	s_cbranch_execnz .LBB2046_1414
.LBB2046_757:
	s_or_b64 exec, exec, s[0:1]
	s_and_saveexec_b64 s[0:1], s[30:31]
	s_cbranch_execnz .LBB2046_1415
.LBB2046_758:
	s_or_b64 exec, exec, s[0:1]
	s_and_saveexec_b64 s[0:1], s[34:35]
	s_cbranch_execnz .LBB2046_1416
.LBB2046_759:
	s_or_b64 exec, exec, s[0:1]
	s_and_saveexec_b64 s[0:1], s[36:37]
	s_cbranch_execnz .LBB2046_1417
.LBB2046_760:
	s_or_b64 exec, exec, s[0:1]
	s_and_saveexec_b64 s[0:1], s[38:39]
	s_cbranch_execnz .LBB2046_1418
.LBB2046_761:
	s_or_b64 exec, exec, s[0:1]
	s_and_saveexec_b64 s[0:1], s[40:41]
	s_cbranch_execnz .LBB2046_1419
.LBB2046_762:
	s_or_b64 exec, exec, s[0:1]
	s_and_saveexec_b64 s[0:1], s[42:43]
	s_cbranch_execnz .LBB2046_1420
.LBB2046_763:
	s_or_b64 exec, exec, s[0:1]
	s_and_saveexec_b64 s[0:1], s[44:45]
	s_cbranch_execnz .LBB2046_1421
.LBB2046_764:
	s_or_b64 exec, exec, s[0:1]
	s_and_saveexec_b64 s[0:1], s[46:47]
	s_cbranch_execnz .LBB2046_1422
.LBB2046_765:
	s_or_b64 exec, exec, s[0:1]
	s_and_saveexec_b64 s[0:1], s[48:49]
	s_cbranch_execnz .LBB2046_1423
.LBB2046_766:
	s_or_b64 exec, exec, s[0:1]
	s_and_saveexec_b64 s[0:1], s[50:51]
	s_cbranch_execnz .LBB2046_1424
.LBB2046_767:
	s_or_b64 exec, exec, s[0:1]
	s_and_saveexec_b64 s[0:1], s[52:53]
	s_cbranch_execz .LBB2046_769
.LBB2046_768:
	v_lshlrev_b32_e32 v24, 4, v69
	v_mov_b32_e32 v25, 0
	v_lshl_add_u64 v[24:25], s[68:69], 0, v[24:25]
	flat_load_dwordx4 v[48:51], v[24:25]
	s_waitcnt vmcnt(0) lgkmcnt(0)
	scratch_store_dwordx4 off, v[48:51], off offset:432
.LBB2046_769:
	s_or_b64 exec, exec, s[0:1]
	scratch_load_dwordx4 v[48:51], off, off offset:80
	scratch_load_dwordx4 v[56:59], v46, off
	scratch_load_dwordx4 v[60:63], v45, off
	scratch_load_dwordx4 v[64:67], v44, off
	scratch_load_dwordx4 v[68:71], v43, off
	scratch_load_dwordx4 v[72:75], v42, off
	scratch_load_dwordx4 v[76:79], v41, off
	scratch_load_dwordx4 v[80:83], v40, off
	scratch_load_dwordx4 v[84:87], v39, off
	scratch_load_dwordx4 v[88:91], v38, off
	scratch_load_dwordx4 v[92:95], v37, off
	scratch_load_dwordx4 v[96:99], v36, off
	scratch_load_dwordx4 v[100:103], v35, off
	scratch_load_dwordx4 v[104:107], v34, off
	scratch_load_dwordx4 v[108:111], v33, off
	scratch_load_dwordx4 v[112:115], v32, off
	scratch_load_dwordx4 v[116:119], v31, off
	scratch_load_dwordx4 v[120:123], v30, off
	scratch_load_dwordx4 v[124:127], v29, off
	scratch_load_dwordx4 v[128:131], v28, off
	scratch_load_dwordx4 v[132:135], v27, off
	scratch_load_dwordx4 v[136:139], v26, off
	scratch_load_dwordx4 v[140:143], v1, off
	v_lshlrev_b32_e32 v52, 4, v0
	s_movk_i32 s0, 0x160
	v_mad_u32_u24 v25, v0, s0, v52
	v_mul_u32_u24_e32 v24, 23, v0
	v_cmp_gt_u32_e32 vcc, s3, v24
	s_mov_b64 s[6:7], 0
	s_mov_b64 s[10:11], 0
                                        ; implicit-def: $sgpr0_sgpr1
	s_waitcnt vmcnt(0)
	ds_write_b128 v52, v[48:51]
	ds_write_b128 v52, v[56:59] offset:2048
	ds_write_b128 v52, v[60:63] offset:4096
	ds_write_b128 v52, v[64:67] offset:6144
	ds_write_b128 v52, v[68:71] offset:8192
	ds_write_b128 v52, v[72:75] offset:10240
	ds_write_b128 v52, v[76:79] offset:12288
	ds_write_b128 v52, v[80:83] offset:14336
	ds_write_b128 v52, v[84:87] offset:16384
	ds_write_b128 v52, v[88:91] offset:18432
	ds_write_b128 v52, v[92:95] offset:20480
	ds_write_b128 v52, v[96:99] offset:22528
	ds_write_b128 v52, v[100:103] offset:24576
	ds_write_b128 v52, v[104:107] offset:26624
	ds_write_b128 v52, v[108:111] offset:28672
	ds_write_b128 v52, v[112:115] offset:30720
	ds_write_b128 v52, v[116:119] offset:32768
	ds_write_b128 v52, v[120:123] offset:34816
	ds_write_b128 v52, v[124:127] offset:36864
	ds_write_b128 v52, v[128:131] offset:38912
	ds_write_b128 v52, v[132:135] offset:40960
	ds_write_b128 v52, v[136:139] offset:43008
	ds_write_b128 v52, v[140:143] offset:45056
	s_waitcnt lgkmcnt(0)
	s_barrier
	ds_read_b128 v[48:51], v25 offset:16
	ds_read_b128 v[56:59], v25 offset:32
	;; [unrolled: 1-line block ×16, first 2 shown]
	s_waitcnt lgkmcnt(14)
	scratch_store_dwordx4 v46, v[48:51], off
	scratch_store_dwordx4 v45, v[56:59], off
	s_waitcnt lgkmcnt(13)
	scratch_store_dwordx4 v44, v[60:63], off
	s_waitcnt lgkmcnt(12)
	;; [unrolled: 2-line block ×11, first 2 shown]
	scratch_store_dwordx4 v34, v[100:103], off
	ds_read_b128 v[48:51], v25 offset:272
	s_waitcnt lgkmcnt(3)
	scratch_store_dwordx4 v33, v[104:107], off
	s_waitcnt lgkmcnt(2)
	scratch_store_dwordx4 v32, v[108:111], off
	;; [unrolled: 2-line block ×3, first 2 shown]
	ds_read_b128 v[56:59], v25 offset:288
	s_waitcnt lgkmcnt(1)
	scratch_store_dwordx4 v30, v[48:51], off
	ds_read_b128 v[48:51], v25 offset:304
	ds_read_b128 v[60:63], v25 offset:320
	;; [unrolled: 1-line block ×4, first 2 shown]
	s_waitcnt lgkmcnt(4)
	scratch_store_dwordx4 v29, v[56:59], off
	s_waitcnt lgkmcnt(3)
	scratch_store_dwordx4 v28, v[48:51], off
	;; [unrolled: 2-line block ×5, first 2 shown]
	s_and_saveexec_b64 s[8:9], vcc
	s_cbranch_execz .LBB2046_813
; %bb.770:
	ds_read_b128 v[48:51], v25
	v_cmp_ne_u32_e32 vcc, v55, v22
	v_add_u32_e32 v53, 1, v24
	s_mov_b64 s[12:13], 0
	v_cndmask_b32_e64 v52, 0, 1, vcc
	v_cmp_gt_u32_e32 vcc, s3, v53
	scratch_store_byte off, v52, off offset:496
	s_waitcnt lgkmcnt(0)
	scratch_store_dwordx4 off, v[48:51], off offset:480
                                        ; implicit-def: $sgpr14_sgpr15
	s_and_saveexec_b64 s[10:11], vcc
	s_cbranch_execz .LBB2046_812
; %bb.771:
	v_add_u32_e32 v48, 16, v25
	ds_read2_b32 v[50:51], v48 offset0:2 offset1:3
	ds_read2_b32 v[48:49], v48 offset1:1
	v_cmp_ne_u32_e32 vcc, v22, v23
	v_add_u32_e32 v52, 2, v24
	s_mov_b64 s[0:1], 0
	v_cndmask_b32_e64 v22, 0, 1, vcc
	v_cmp_gt_u32_e32 vcc, s3, v52
	s_waitcnt lgkmcnt(0)
	scratch_store_dwordx4 off, v[48:51], s33
	scratch_store_byte off, v22, off offset:516
                                        ; implicit-def: $sgpr14_sgpr15
	s_and_saveexec_b64 s[12:13], vcc
	s_cbranch_execz .LBB2046_811
; %bb.772:
	v_add_u32_e32 v22, 32, v25
	ds_read2_b64 v[48:51], v22 offset1:1
	v_cmp_ne_u32_e32 vcc, v23, v20
	v_add_u32_e32 v23, 3, v24
                                        ; implicit-def: $sgpr16_sgpr17
	s_nop 0
	v_cndmask_b32_e64 v22, 0, 1, vcc
	v_cmp_gt_u32_e32 vcc, s3, v23
	scratch_store_byte off, v22, off offset:536
	s_waitcnt lgkmcnt(0)
	scratch_store_dwordx4 off, v[48:51], s78
	s_and_saveexec_b64 s[14:15], vcc
	s_cbranch_execz .LBB2046_810
; %bb.773:
	v_add_u32_e32 v22, 48, v25
	ds_read2_b32 v[50:51], v22 offset0:2 offset1:3
	ds_read2_b32 v[48:49], v22 offset1:1
	v_cmp_ne_u32_e32 vcc, v20, v21
	v_add_u32_e32 v22, 4, v24
                                        ; implicit-def: $sgpr18_sgpr19
	s_nop 0
	v_cndmask_b32_e64 v20, 0, 1, vcc
	v_cmp_gt_u32_e32 vcc, s3, v22
	s_waitcnt lgkmcnt(0)
	scratch_store_dwordx4 off, v[48:51], s86
	scratch_store_byte off, v20, off offset:556
	s_and_saveexec_b64 s[16:17], vcc
	s_cbranch_execz .LBB2046_809
; %bb.774:
	v_add_u32_e32 v20, 64, v25
	ds_read_b128 v[48:51], v20
	v_cmp_ne_u32_e32 vcc, v21, v18
	v_add_u32_e32 v21, 5, v24
                                        ; implicit-def: $sgpr20_sgpr21
	s_nop 0
	v_cndmask_b32_e64 v20, 0, 1, vcc
	v_cmp_gt_u32_e32 vcc, s3, v21
	scratch_store_byte off, v20, off offset:576
	s_waitcnt lgkmcnt(0)
	scratch_store_dwordx4 off, v[48:51], s87
	s_and_saveexec_b64 s[18:19], vcc
	s_cbranch_execz .LBB2046_808
; %bb.775:
	v_add_u32_e32 v20, 0x50, v25
	ds_read2_b32 v[22:23], v20 offset0:2 offset1:3
	ds_read2_b32 v[20:21], v20 offset1:1
	v_cmp_ne_u32_e32 vcc, v18, v19
	v_add_u32_e32 v48, 6, v24
                                        ; implicit-def: $sgpr22_sgpr23
	s_nop 0
	v_cndmask_b32_e64 v18, 0, 1, vcc
	v_cmp_gt_u32_e32 vcc, s3, v48
	s_waitcnt lgkmcnt(0)
	scratch_store_dwordx4 off, v[20:23], s79
	scratch_store_byte off, v18, off offset:596
	s_and_saveexec_b64 s[20:21], vcc
	s_cbranch_execz .LBB2046_807
; %bb.776:
	v_add_u32_e32 v18, 0x60, v25
	ds_read2_b64 v[20:23], v18 offset1:1
	v_cmp_ne_u32_e32 vcc, v19, v16
	v_add_u32_e32 v19, 7, v24
                                        ; implicit-def: $sgpr24_sgpr25
	s_nop 0
	v_cndmask_b32_e64 v18, 0, 1, vcc
	v_cmp_gt_u32_e32 vcc, s3, v19
	scratch_store_byte off, v18, off offset:616
	s_waitcnt lgkmcnt(0)
	scratch_store_dwordx4 off, v[20:23], s64
	s_and_saveexec_b64 s[22:23], vcc
	s_cbranch_execz .LBB2046_806
; %bb.777:
	v_add_u32_e32 v18, 0x70, v25
	ds_read2_b32 v[20:21], v18 offset0:2 offset1:3
	ds_read2_b32 v[18:19], v18 offset1:1
	v_cmp_ne_u32_e32 vcc, v16, v17
	v_add_u32_e32 v22, 8, v24
                                        ; implicit-def: $sgpr26_sgpr27
	s_nop 0
	v_cndmask_b32_e64 v16, 0, 1, vcc
	v_cmp_gt_u32_e32 vcc, s3, v22
	s_waitcnt lgkmcnt(0)
	scratch_store_dwordx4 off, v[18:21], s65
	scratch_store_byte off, v16, off offset:636
	s_and_saveexec_b64 s[24:25], vcc
	s_cbranch_execz .LBB2046_805
; %bb.778:
	v_add_u32_e32 v16, 0x80, v25
	ds_read_b128 v[18:21], v16
	v_cmp_ne_u32_e32 vcc, v17, v14
	v_add_u32_e32 v17, 9, v24
                                        ; implicit-def: $sgpr28_sgpr29
	s_nop 0
	v_cndmask_b32_e64 v16, 0, 1, vcc
	v_cmp_gt_u32_e32 vcc, s3, v17
	scratch_store_byte off, v16, off offset:656
	s_waitcnt lgkmcnt(0)
	scratch_store_dwordx4 off, v[18:21], s66
	s_and_saveexec_b64 s[26:27], vcc
	s_cbranch_execz .LBB2046_804
; %bb.779:
	v_add_u32_e32 v16, 0x90, v25
	ds_read2_b32 v[18:19], v16 offset0:2 offset1:3
	ds_read2_b32 v[16:17], v16 offset1:1
	v_cmp_ne_u32_e32 vcc, v14, v15
	v_add_u32_e32 v20, 10, v24
                                        ; implicit-def: $sgpr30_sgpr31
	s_nop 0
	v_cndmask_b32_e64 v14, 0, 1, vcc
	v_cmp_gt_u32_e32 vcc, s3, v20
	s_waitcnt lgkmcnt(0)
	scratch_store_dwordx4 off, v[16:19], s67
	scratch_store_byte off, v14, off offset:676
	s_and_saveexec_b64 s[28:29], vcc
	s_cbranch_execz .LBB2046_803
; %bb.780:
	v_add_u32_e32 v14, 0xa0, v25
	ds_read2_b64 v[16:19], v14 offset1:1
	v_cmp_ne_u32_e32 vcc, v15, v12
	v_add_u32_e32 v15, 11, v24
                                        ; implicit-def: $sgpr34_sgpr35
	s_nop 0
	v_cndmask_b32_e64 v14, 0, 1, vcc
	v_cmp_gt_u32_e32 vcc, s3, v15
	scratch_store_byte off, v14, off offset:696
	s_waitcnt lgkmcnt(0)
	scratch_store_dwordx4 off, v[16:19], s82
	s_and_saveexec_b64 s[30:31], vcc
	s_cbranch_execz .LBB2046_802
; %bb.781:
	v_add_u32_e32 v14, 0xb0, v25
	ds_read2_b32 v[16:17], v14 offset0:2 offset1:3
	ds_read2_b32 v[14:15], v14 offset1:1
	v_cmp_ne_u32_e32 vcc, v12, v13
	v_add_u32_e32 v18, 12, v24
                                        ; implicit-def: $sgpr36_sgpr37
	s_nop 0
	v_cndmask_b32_e64 v12, 0, 1, vcc
	v_cmp_gt_u32_e32 vcc, s3, v18
	s_waitcnt lgkmcnt(0)
	scratch_store_dwordx4 off, v[14:17], s83
	scratch_store_byte off, v12, off offset:716
	s_and_saveexec_b64 s[34:35], vcc
	s_cbranch_execz .LBB2046_801
; %bb.782:
	v_add_u32_e32 v12, 0xc0, v25
	ds_read_b128 v[14:17], v12
	v_cmp_ne_u32_e32 vcc, v13, v10
	v_add_u32_e32 v13, 13, v24
                                        ; implicit-def: $sgpr38_sgpr39
	s_nop 0
	v_cndmask_b32_e64 v12, 0, 1, vcc
	v_cmp_gt_u32_e32 vcc, s3, v13
	scratch_store_byte off, v12, off offset:736
	s_waitcnt lgkmcnt(0)
	scratch_store_dwordx4 off, v[14:17], s95
	s_and_saveexec_b64 s[36:37], vcc
	s_cbranch_execz .LBB2046_800
; %bb.783:
	v_add_u32_e32 v12, 0xd0, v25
	ds_read2_b32 v[14:15], v12 offset0:2 offset1:3
	ds_read2_b32 v[12:13], v12 offset1:1
	v_cmp_ne_u32_e32 vcc, v10, v11
	v_add_u32_e32 v16, 14, v24
                                        ; implicit-def: $sgpr40_sgpr41
	s_nop 0
	v_cndmask_b32_e64 v10, 0, 1, vcc
	v_cmp_gt_u32_e32 vcc, s3, v16
	s_waitcnt lgkmcnt(0)
	scratch_store_dwordx4 off, v[12:15], s96
	scratch_store_byte off, v10, off offset:756
	s_and_saveexec_b64 s[38:39], vcc
	s_cbranch_execz .LBB2046_799
; %bb.784:
	v_add_u32_e32 v10, 0xe0, v25
	ds_read2_b64 v[12:15], v10 offset1:1
	v_cmp_ne_u32_e32 vcc, v11, v8
	v_add_u32_e32 v11, 15, v24
                                        ; implicit-def: $sgpr42_sgpr43
	s_nop 0
	v_cndmask_b32_e64 v10, 0, 1, vcc
	v_cmp_gt_u32_e32 vcc, s3, v11
	scratch_store_byte off, v10, off offset:776
	s_waitcnt lgkmcnt(0)
	scratch_store_dwordx4 off, v[12:15], s97
	s_and_saveexec_b64 s[40:41], vcc
	s_cbranch_execz .LBB2046_798
; %bb.785:
	v_add_u32_e32 v10, 0xf0, v25
	ds_read2_b32 v[12:13], v10 offset0:2 offset1:3
	ds_read2_b32 v[10:11], v10 offset1:1
	v_cmp_ne_u32_e32 vcc, v8, v9
	v_add_u32_e32 v14, 16, v24
                                        ; implicit-def: $sgpr44_sgpr45
	s_nop 0
	v_cndmask_b32_e64 v8, 0, 1, vcc
	v_cmp_gt_u32_e32 vcc, s3, v14
	s_waitcnt lgkmcnt(0)
	scratch_store_dwordx4 off, v[10:13], s98
	scratch_store_byte off, v8, off offset:796
	s_and_saveexec_b64 s[42:43], vcc
	s_cbranch_execz .LBB2046_797
; %bb.786:
	v_add_u32_e32 v8, 0x100, v25
	ds_read_b128 v[10:13], v8
	v_cmp_ne_u32_e32 vcc, v9, v6
	v_add_u32_e32 v9, 17, v24
                                        ; implicit-def: $sgpr46_sgpr47
	s_nop 0
	v_cndmask_b32_e64 v8, 0, 1, vcc
	v_cmp_gt_u32_e32 vcc, s3, v9
	scratch_store_byte off, v8, off offset:816
	s_waitcnt lgkmcnt(0)
	scratch_store_dwordx4 off, v[10:13], s99
	s_and_saveexec_b64 s[44:45], vcc
	s_cbranch_execz .LBB2046_796
; %bb.787:
	v_add_u32_e32 v8, 0x110, v25
	ds_read2_b32 v[10:11], v8 offset0:2 offset1:3
	ds_read2_b32 v[8:9], v8 offset1:1
	v_cmp_ne_u32_e32 vcc, v6, v7
	v_add_u32_e32 v12, 18, v24
                                        ; implicit-def: $sgpr48_sgpr49
	s_nop 0
	v_cndmask_b32_e64 v6, 0, 1, vcc
	v_cmp_gt_u32_e32 vcc, s3, v12
	s_waitcnt lgkmcnt(0)
	scratch_store_dwordx4 off, v[8:11], s80
	scratch_store_byte off, v6, off offset:836
	s_and_saveexec_b64 s[46:47], vcc
	s_cbranch_execz .LBB2046_795
; %bb.788:
	v_add_u32_e32 v6, 0x120, v25
	v_cmp_ne_u32_e32 vcc, v7, v4
	ds_read2_b64 v[6:9], v6 offset1:1
	v_add_u32_e32 v11, 19, v24
	v_cndmask_b32_e64 v10, 0, 1, vcc
	v_cmp_gt_u32_e32 vcc, s3, v11
	s_waitcnt lgkmcnt(0)
	scratch_store_dwordx4 off, v[6:9], s81
	scratch_store_byte off, v10, off offset:856
                                        ; implicit-def: $sgpr50_sgpr51
	s_and_saveexec_b64 s[48:49], vcc
	s_cbranch_execz .LBB2046_794
; %bb.789:
	v_add_u32_e32 v6, 0x130, v25
	ds_read2_b32 v[8:9], v6 offset0:2 offset1:3
	ds_read2_b32 v[6:7], v6 offset1:1
	v_cmp_ne_u32_e32 vcc, v4, v5
	v_add_u32_e32 v10, 20, v24
                                        ; implicit-def: $sgpr52_sgpr53
	s_nop 0
	v_cndmask_b32_e64 v4, 0, 1, vcc
	v_cmp_gt_u32_e32 vcc, s3, v10
	s_waitcnt lgkmcnt(0)
	scratch_store_dwordx4 off, v[6:9], s54
	scratch_store_byte off, v4, off offset:876
	s_and_saveexec_b64 s[50:51], vcc
	s_cbranch_execz .LBB2046_793
; %bb.790:
	v_add_u32_e32 v4, 0x140, v25
	v_cmp_ne_u32_e32 vcc, v5, v2
	ds_read_b128 v[4:7], v4
	v_add_u32_e32 v9, 21, v24
	v_cndmask_b32_e64 v8, 0, 1, vcc
	v_cmp_gt_u32_e32 vcc, s3, v9
	s_waitcnt lgkmcnt(0)
	scratch_store_dwordx4 off, v[4:7], s55
	scratch_store_byte off, v8, off offset:896
                                        ; implicit-def: $sgpr72_sgpr73
	s_and_saveexec_b64 s[52:53], vcc
	s_xor_b64 s[52:53], exec, s[52:53]
	s_cbranch_execz .LBB2046_792
; %bb.791:
	v_add_u32_e32 v6, 0x150, v25
	v_cmp_ne_u32_e32 vcc, v3, v47
	v_cmp_ne_u32_e64 s[0:1], v2, v3
	ds_read2_b32 v[4:5], v6 offset0:2 offset1:3
	ds_read2_b32 v[2:3], v6 offset1:1
	v_add_u32_e32 v8, 22, v24
	v_cndmask_b32_e64 v7, 0, 1, s[0:1]
	v_cmp_gt_u32_e64 s[0:1], s3, v8
	s_and_b64 s[72:73], vcc, exec
	s_and_b64 s[0:1], s[0:1], exec
	s_waitcnt lgkmcnt(0)
	scratch_store_dwordx4 off, v[2:5], s70
	scratch_store_byte off, v7, off offset:916
.LBB2046_792:
	s_or_b64 exec, exec, s[52:53]
	s_and_b64 s[52:53], s[72:73], exec
	s_and_b64 s[0:1], s[0:1], exec
.LBB2046_793:
	s_or_b64 exec, exec, s[50:51]
	s_and_b64 s[50:51], s[52:53], exec
	s_and_b64 s[0:1], s[0:1], exec
.LBB2046_794:
	s_or_b64 exec, exec, s[48:49]
	s_and_b64 s[48:49], s[50:51], exec
	s_and_b64 s[0:1], s[0:1], exec
.LBB2046_795:
	s_or_b64 exec, exec, s[46:47]
	s_and_b64 s[46:47], s[48:49], exec
	s_and_b64 s[0:1], s[0:1], exec
.LBB2046_796:
	s_or_b64 exec, exec, s[44:45]
	s_and_b64 s[44:45], s[46:47], exec
	s_and_b64 s[0:1], s[0:1], exec
.LBB2046_797:
	s_or_b64 exec, exec, s[42:43]
	s_and_b64 s[42:43], s[44:45], exec
	s_and_b64 s[0:1], s[0:1], exec
.LBB2046_798:
	s_or_b64 exec, exec, s[40:41]
	s_and_b64 s[40:41], s[42:43], exec
	s_and_b64 s[0:1], s[0:1], exec
.LBB2046_799:
	s_or_b64 exec, exec, s[38:39]
	s_and_b64 s[38:39], s[40:41], exec
	s_and_b64 s[0:1], s[0:1], exec
.LBB2046_800:
	s_or_b64 exec, exec, s[36:37]
	s_and_b64 s[36:37], s[38:39], exec
	s_and_b64 s[0:1], s[0:1], exec
	s_mov_b64 s[92:93], s[4:5]
.LBB2046_801:
	s_or_b64 exec, exec, s[34:35]
	s_and_b64 s[34:35], s[36:37], exec
	s_and_b64 s[0:1], s[0:1], exec
.LBB2046_802:
	s_or_b64 exec, exec, s[30:31]
	s_and_b64 s[30:31], s[34:35], exec
	s_and_b64 s[0:1], s[0:1], exec
.LBB2046_803:
	s_or_b64 exec, exec, s[28:29]
	s_and_b64 s[28:29], s[30:31], exec
	s_and_b64 s[0:1], s[0:1], exec
.LBB2046_804:
	s_or_b64 exec, exec, s[26:27]
	s_and_b64 s[26:27], s[28:29], exec
	s_and_b64 s[0:1], s[0:1], exec
.LBB2046_805:
	s_or_b64 exec, exec, s[24:25]
	s_and_b64 s[24:25], s[26:27], exec
	s_and_b64 s[0:1], s[0:1], exec
.LBB2046_806:
	s_or_b64 exec, exec, s[22:23]
	s_and_b64 s[22:23], s[24:25], exec
	s_and_b64 s[0:1], s[0:1], exec
.LBB2046_807:
	s_or_b64 exec, exec, s[20:21]
	s_and_b64 s[20:21], s[22:23], exec
	s_and_b64 s[0:1], s[0:1], exec
.LBB2046_808:
	s_or_b64 exec, exec, s[18:19]
	s_and_b64 s[18:19], s[20:21], exec
	s_and_b64 s[0:1], s[0:1], exec
.LBB2046_809:
	s_or_b64 exec, exec, s[16:17]
	s_and_b64 s[16:17], s[18:19], exec
	s_and_b64 s[0:1], s[0:1], exec
.LBB2046_810:
	s_or_b64 exec, exec, s[14:15]
	s_and_b64 s[14:15], s[16:17], exec
	s_and_b64 s[0:1], s[0:1], exec
.LBB2046_811:
	s_or_b64 exec, exec, s[12:13]
	s_and_b64 s[14:15], s[14:15], exec
	s_and_b64 s[12:13], s[0:1], exec
.LBB2046_812:
	s_or_b64 exec, exec, s[10:11]
	s_and_b64 s[0:1], s[14:15], exec
	s_and_b64 s[10:11], s[12:13], exec
.LBB2046_813:
	s_or_b64 exec, exec, s[8:9]
	s_and_b64 vcc, exec, s[6:7]
	s_cbranch_vccz .LBB2046_98
.LBB2046_814:
	v_mov_b32_e32 v3, 0
	v_lshlrev_b32_e32 v2, 2, v0
	v_lshl_add_u64 v[4:5], s[76:77], 0, v[2:3]
	v_add_co_u32_e32 v6, vcc, 0x1000, v4
	flat_load_dword v3, v[4:5]
	flat_load_dword v8, v[4:5] offset:512
	flat_load_dword v9, v[4:5] offset:1024
	;; [unrolled: 1-line block ×7, first 2 shown]
	v_addc_co_u32_e32 v7, vcc, 0, v5, vcc
	v_add_co_u32_e32 v4, vcc, 0x2000, v4
	flat_load_dword v15, v[6:7]
	flat_load_dword v16, v[6:7] offset:512
	flat_load_dword v17, v[6:7] offset:1024
	;; [unrolled: 1-line block ×6, first 2 shown]
	s_nop 0
	flat_load_dword v6, v[6:7] offset:3584
	v_addc_co_u32_e32 v5, vcc, 0, v5, vcc
	flat_load_dword v7, v[4:5]
	flat_load_dword v22, v[4:5] offset:512
	flat_load_dword v23, v[4:5] offset:1024
	;; [unrolled: 1-line block ×5, first 2 shown]
	s_nop 0
	flat_load_dword v4, v[4:5] offset:3072
	s_movk_i32 s0, 0x58
	v_mad_u32_u24 v47, v0, s0, v2
	s_cmp_eq_u64 s[84:85], 0
	s_waitcnt vmcnt(0) lgkmcnt(0)
	ds_write2st64_b32 v2, v3, v8 offset1:2
	ds_write2st64_b32 v2, v9, v10 offset0:4 offset1:6
	ds_write2st64_b32 v2, v11, v12 offset0:8 offset1:10
	;; [unrolled: 1-line block ×10, first 2 shown]
	ds_write_b32 v2, v4 offset:11264
	s_waitcnt lgkmcnt(0)
	s_barrier
	ds_read2_b32 v[2:3], v47 offset1:1
	ds_read2_b32 v[4:5], v47 offset0:2 offset1:3
	ds_read2_b32 v[6:7], v47 offset0:4 offset1:5
	;; [unrolled: 1-line block ×10, first 2 shown]
	ds_read_b32 v24, v47 offset:88
	s_cbranch_scc1 .LBB2046_819
; %bb.815:
	s_andn2_b64 vcc, exec, s[74:75]
	s_cbranch_vccnz .LBB2046_1426
; %bb.816:
	v_readlane_b32 s8, v200, 8
	v_readlane_b32 s10, v200, 10
	;; [unrolled: 1-line block ×5, first 2 shown]
	s_lshl_b64 s[0:1], s[84:85], 2
	s_mov_b64 s[10:11], s[14:15]
	s_add_u32 s0, s10, s0
	s_addc_u32 s1, s11, s1
	s_add_u32 s0, s0, -4
	s_addc_u32 s1, s1, -1
	v_readlane_b32 s9, v200, 9
	v_readlane_b32 s12, v200, 12
	;; [unrolled: 1-line block ×3, first 2 shown]
	s_cbranch_execnz .LBB2046_818
.LBB2046_817:
	s_add_u32 s0, s76, -4
	s_addc_u32 s1, s77, -1
.LBB2046_818:
	s_mov_b64 s[76:77], s[0:1]
.LBB2046_819:
	v_mov_b64_e32 v[48:49], s[76:77]
	flat_load_dword v25, v[48:49]
	s_movk_i32 s0, 0xffa8
	v_mad_i32_i24 v48, v0, s0, v47
	s_waitcnt lgkmcnt(0)
	ds_write_b32 v48, v24 offset:11776
	s_waitcnt lgkmcnt(0)
	s_barrier
	s_and_saveexec_b64 s[0:1], s[92:93]
	s_cbranch_execz .LBB2046_821
; %bb.820:
	s_waitcnt vmcnt(0)
	v_mul_i32_i24_e32 v25, 0xffffffa8, v0
	v_add_u32_e32 v25, v47, v25
	ds_read_b32 v25, v25 offset:11772
.LBB2046_821:
	s_or_b64 exec, exec, s[0:1]
	v_lshlrev_b32_e32 v140, 4, v0
	v_mov_b32_e32 v141, 0
	v_lshl_add_u64 v[52:53], s[68:69], 0, v[140:141]
	s_waitcnt lgkmcnt(0)
	s_barrier
	flat_load_dwordx4 v[48:51], v[52:53]
	s_movk_i32 s0, 0x1000
	v_add_co_u32_e32 v54, vcc, s0, v52
	s_movk_i32 s0, 0x2000
	s_nop 0
	v_addc_co_u32_e32 v55, vcc, 0, v53, vcc
	s_movk_i32 s3, 0x160
	v_mad_u32_u24 v197, v0, s3, v140
	s_mov_b64 s[10:11], -1
	s_waitcnt vmcnt(0) lgkmcnt(0)
	scratch_store_dwordx4 off, v[48:51], off offset:80
	flat_load_dwordx4 v[48:51], v[52:53] offset:2048
	s_waitcnt vmcnt(0) lgkmcnt(0)
	scratch_store_dwordx4 off, v[48:51], off offset:96
	flat_load_dwordx4 v[48:51], v[54:55]
	s_waitcnt vmcnt(0) lgkmcnt(0)
	scratch_store_dwordx4 off, v[48:51], off offset:112
	flat_load_dwordx4 v[48:51], v[54:55] offset:2048
	v_add_co_u32_e32 v54, vcc, s0, v52
	s_movk_i32 s0, 0x3000
	s_nop 0
	v_addc_co_u32_e32 v55, vcc, 0, v53, vcc
	s_waitcnt vmcnt(0) lgkmcnt(0)
	scratch_store_dwordx4 off, v[48:51], off offset:128
	flat_load_dwordx4 v[48:51], v[54:55]
	s_waitcnt vmcnt(0) lgkmcnt(0)
	scratch_store_dwordx4 off, v[48:51], off offset:144
	flat_load_dwordx4 v[48:51], v[54:55] offset:2048
	v_add_co_u32_e32 v54, vcc, s0, v52
	s_movk_i32 s0, 0x4000
	s_nop 0
	v_addc_co_u32_e32 v55, vcc, 0, v53, vcc
	;; [unrolled: 10-line block ×5, first 2 shown]
	s_waitcnt vmcnt(0) lgkmcnt(0)
	scratch_store_dwordx4 off, v[48:51], off offset:256
	flat_load_dwordx4 v[48:51], v[54:55]
	s_waitcnt vmcnt(0) lgkmcnt(0)
	scratch_store_dwordx4 off, v[48:51], off offset:272
	flat_load_dwordx4 v[48:51], v[54:55] offset:2048
	v_add_co_u32_e32 v54, vcc, s0, v52
	s_mov_b32 s0, 0x8000
	s_nop 0
	v_addc_co_u32_e32 v55, vcc, 0, v53, vcc
	s_waitcnt vmcnt(0) lgkmcnt(0)
	scratch_store_dwordx4 off, v[48:51], off offset:288
	flat_load_dwordx4 v[48:51], v[54:55]
	s_waitcnt vmcnt(0) lgkmcnt(0)
	scratch_store_dwordx4 off, v[48:51], off offset:304
	flat_load_dwordx4 v[48:51], v[54:55] offset:2048
	v_add_co_u32_e32 v54, vcc, s0, v52
	s_mov_b32 s0, 0x9000
	s_nop 0
	v_addc_co_u32_e32 v55, vcc, 0, v53, vcc
	;; [unrolled: 10-line block ×4, first 2 shown]
	v_add_co_u32_e32 v52, vcc, s0, v52
	v_cmp_ne_u32_e64 s[0:1], v23, v24
	s_nop 0
	v_addc_co_u32_e32 v53, vcc, 0, v53, vcc
	v_cmp_ne_u32_e32 vcc, v22, v23
	s_waitcnt vmcnt(0) lgkmcnt(0)
	scratch_store_dwordx4 off, v[48:51], off offset:384
	flat_load_dwordx4 v[48:51], v[54:55]
	v_cndmask_b32_e64 v47, 0, 1, vcc
	v_cmp_ne_u32_e32 vcc, v21, v22
	s_waitcnt vmcnt(0) lgkmcnt(0)
	scratch_store_dwordx4 off, v[48:51], off offset:400
	flat_load_dwordx4 v[48:51], v[54:55] offset:2048
	v_cndmask_b32_e64 v196, 0, 1, vcc
	v_cmp_ne_u32_e32 vcc, v20, v21
	s_waitcnt vmcnt(0) lgkmcnt(0)
	scratch_store_dwordx4 off, v[48:51], off offset:416
	flat_load_dwordx4 v[48:51], v[52:53]
	s_nop 0
	scratch_load_dwordx4 v[52:55], off, off offset:80
	scratch_load_dwordx4 v[56:59], v46, off
	scratch_load_dwordx4 v[60:63], v45, off
	scratch_load_dwordx4 v[64:67], v44, off
	scratch_load_dwordx4 v[68:71], v43, off
	scratch_load_dwordx4 v[72:75], v42, off
	scratch_load_dwordx4 v[76:79], v41, off
	scratch_load_dwordx4 v[80:83], v40, off
	scratch_load_dwordx4 v[84:87], v39, off
	scratch_load_dwordx4 v[88:91], v38, off
	scratch_load_dwordx4 v[92:95], v37, off
	scratch_load_dwordx4 v[96:99], v36, off
	scratch_load_dwordx4 v[100:103], v35, off
	scratch_load_dwordx4 v[104:107], v34, off
	scratch_load_dwordx4 v[108:111], v33, off
	scratch_load_dwordx4 v[112:115], v32, off
	scratch_load_dwordx4 v[116:119], v31, off
	scratch_load_dwordx4 v[120:123], v30, off
	scratch_load_dwordx4 v[124:127], v29, off
	scratch_load_dwordx4 v[128:131], v28, off
	scratch_load_dwordx4 v[132:135], v27, off
	v_cndmask_b32_e64 v188, 0, 1, vcc
	v_cmp_ne_u32_e32 vcc, v19, v20
	s_waitcnt vmcnt(0) lgkmcnt(0)
	scratch_store_dwordx4 off, v[48:51], off offset:432
	scratch_load_dwordx4 v[48:51], v26, off
	s_nop 0
	scratch_load_dwordx4 v[136:139], v1, off
	v_cndmask_b32_e64 v176, 0, 1, vcc
	v_cmp_ne_u32_e32 vcc, v18, v19
	ds_write_b128 v140, v[52:55]
	ds_write_b128 v140, v[56:59] offset:2048
	ds_write_b128 v140, v[60:63] offset:4096
	;; [unrolled: 1-line block ×20, first 2 shown]
	s_waitcnt vmcnt(1)
	ds_write_b128 v140, v[48:51] offset:43008
	s_waitcnt vmcnt(0)
	ds_write_b128 v140, v[136:139] offset:45056
	v_cndmask_b32_e64 v168, 0, 1, vcc
	v_cmp_ne_u32_e32 vcc, v17, v18
	s_waitcnt lgkmcnt(0)
	s_barrier
	v_cndmask_b32_e64 v164, 0, 1, vcc
	v_cmp_ne_u32_e32 vcc, v16, v17
	s_nop 1
	v_cndmask_b32_e64 v156, 0, 1, vcc
	v_cmp_ne_u32_e32 vcc, v15, v16
	s_nop 1
	;; [unrolled: 3-line block ×15, first 2 shown]
	v_cndmask_b32_e64 v18, 0, 1, vcc
	v_cmp_ne_u32_e32 vcc, v25, v2
	ds_read_b128 v[2:5], v197 offset:352
	ds_read_b128 v[6:9], v197 offset:16
	ds_read_b128 v[10:13], v197
	v_cndmask_b32_e64 v14, 0, 1, vcc
	scratch_store_byte off, v14, off offset:496
	ds_read2_b32 v[16:17], v197 offset0:6 offset1:7
	ds_read2_b32 v[14:15], v197 offset0:4 offset1:5
	scratch_store_byte off, v18, off offset:516
	ds_read_b128 v[18:21], v197 offset:32
	ds_read2_b64 v[22:25], v197 offset0:4 offset1:5
	scratch_store_byte off, v153, off offset:536
	ds_read_b128 v[48:51], v197 offset:64
	ds_read2_b32 v[54:55], v197 offset0:14 offset1:15
	ds_read_b128 v[56:59], v197 offset:48
	ds_read2_b32 v[52:53], v197 offset0:12 offset1:13
	scratch_store_byte off, v152, off offset:556
	ds_read_b128 v[60:63], v197 offset:80
	ds_read_b128 v[64:67], v197 offset:64
	scratch_store_byte off, v151, off offset:576
	ds_read2_b32 v[70:71], v197 offset0:22 offset1:23
	ds_read2_b32 v[68:69], v197 offset0:20 offset1:21
	scratch_store_byte off, v150, off offset:596
	ds_read_b128 v[72:75], v197 offset:96
	ds_read2_b64 v[76:79], v197 offset0:12 offset1:13
	scratch_store_byte off, v149, off offset:616
	ds_read_b128 v[80:83], v197 offset:128
	ds_read2_b32 v[86:87], v197 offset0:30 offset1:31
	ds_read_b128 v[88:91], v197 offset:112
	ds_read2_b32 v[84:85], v197 offset0:28 offset1:29
	scratch_store_byte off, v148, off offset:636
	ds_read_b128 v[92:95], v197 offset:144
	ds_read_b128 v[96:99], v197 offset:128
	;; [unrolled: 14-line block ×5, first 2 shown]
	scratch_store_byte off, v196, off offset:896
	ds_read2_b32 v[198:199], v197 offset0:86 offset1:87
	ds_read2_b32 v[196:197], v197 offset0:84 offset1:85
	scratch_store_byte off, v47, off offset:916
	s_waitcnt lgkmcnt(14)
	scratch_store_dwordx4 v46, v[6:9], off
	scratch_store_dwordx4 v45, v[18:21], off
	;; [unrolled: 1-line block ×16, first 2 shown]
	s_waitcnt lgkmcnt(13)
	scratch_store_dwordx4 v30, v[156:159], off
	s_waitcnt lgkmcnt(9)
	scratch_store_dwordx4 v29, v[168:171], off
	;; [unrolled: 2-line block ×3, first 2 shown]
	scratch_store_dwordx4 v27, v[176:179], off
	s_waitcnt lgkmcnt(3)
	scratch_store_dwordx4 v26, v[188:191], off
	scratch_store_dwordx4 v1, v[2:5], off
	scratch_store_dwordx4 off, v[10:13], off offset:480
	scratch_store_dwordx4 off, v[14:17], s33
	scratch_store_dwordx4 off, v[22:25], s78
	;; [unrolled: 1-line block ×19, first 2 shown]
	s_waitcnt lgkmcnt(2)
	scratch_store_dwordx4 off, v[192:195], s55
	s_waitcnt lgkmcnt(0)
	scratch_store_dwordx4 off, v[196:199], s70
	s_and_saveexec_b64 s[6:7], s[10:11]
	s_cbranch_execnz .LBB2046_99
	s_branch .LBB2046_100
.LBB2046_822:
	s_cbranch_execz .LBB2046_1282
; %bb.823:
	v_readlane_b32 s0, v200, 18
	v_readlane_b32 s8, v200, 8
	;; [unrolled: 1-line block ×5, first 2 shown]
	s_cmp_lg_u64 s[0:1], 0
	s_mov_b64 s[2:3], s[10:11]
	s_cselect_b32 s7, s3, 0
	s_cselect_b32 s6, s2, 0
	s_cmp_lg_u64 s[6:7], 0
	s_cselect_b64 s[0:1], -1, 0
	s_and_b64 s[2:3], s[16:17], s[0:1]
	v_readlane_b32 s9, v200, 9
	v_readlane_b32 s12, v200, 12
	;; [unrolled: 1-line block ×5, first 2 shown]
	s_and_saveexec_b64 s[0:1], s[2:3]
	s_cbranch_execz .LBB2046_833
; %bb.824:
	scratch_load_ubyte v1, off, off offset:496
                                        ; implicit-def: $vgpr4_vgpr5
	s_waitcnt vmcnt(0)
	v_cmp_ne_u16_e32 vcc, 0, v1
	s_and_saveexec_b64 s[2:3], vcc
	s_xor_b64 s[8:9], exec, s[2:3]
	s_cbranch_execz .LBB2046_826
; %bb.825:
	scratch_load_dwordx4 v[2:5], off, off offset:480
.LBB2046_826:
	s_andn2_saveexec_b64 s[8:9], s[8:9]
	s_cbranch_execz .LBB2046_832
; %bb.827:
	s_waitcnt vmcnt(0)
	v_mov_b32_e32 v2, 0
	s_mov_b32 s2, 0
	v_mov_b32_e32 v3, v2
.LBB2046_828:                           ; =>This Inner Loop Header: Depth=1
	s_add_i32 s3, s2, 0x50
	s_add_i32 s2, s2, 8
	s_cmp_lg_u32 s2, 16
	scratch_store_dwordx2 off, v[2:3], s3
	s_cbranch_scc1 .LBB2046_828
; %bb.829:
	s_mov_b32 s2, 0
	v_mov_b32_e32 v2, 0
	s_mov_b64 s[10:11], s[6:7]
.LBB2046_830:                           ; =>This Inner Loop Header: Depth=1
	s_add_i32 s3, s2, 0x1e0
	global_load_dwordx2 v[4:5], v2, s[10:11]
	scratch_load_dwordx2 v[6:7], off, s3
	s_add_i32 s3, s2, 0x50
	s_add_u32 s10, s10, 8
	s_addc_u32 s11, s11, 0
	s_add_i32 s2, s2, 8
	s_cmp_lg_u32 s2, 16
	s_waitcnt vmcnt(0)
	v_add_u32_e32 v5, v7, v5
	v_add_u32_e32 v4, v6, v4
	scratch_store_dwordx2 off, v[4:5], s3
	s_cbranch_scc1 .LBB2046_830
; %bb.831:
	scratch_load_dwordx4 v[2:5], off, off offset:80
.LBB2046_832:
	s_or_b64 exec, exec, s[8:9]
	v_mov_b32_e32 v6, 0
	global_load_ubyte v6, v6, s[6:7] offset:16
	s_waitcnt vmcnt(0)
	v_or_b32_e32 v1, v1, v6
	v_and_b32_e32 v1, 1, v1
	scratch_store_dwordx4 off, v[2:5], off offset:480
	scratch_store_byte off, v1, off offset:496
.LBB2046_833:
	s_or_b64 exec, exec, s[0:1]
	v_mov_b32_e32 v2, 0
	s_mov_b32 s0, 0
	v_mov_b32_e32 v3, v2
	v_mov_b32_e32 v4, v2
	;; [unrolled: 1-line block ×3, first 2 shown]
	scratch_store_dword off, v2, off offset:72
	scratch_store_dwordx4 off, v[2:5], off offset:56
.LBB2046_834:                           ; =>This Inner Loop Header: Depth=1
	s_add_i32 s1, s0, 56
	s_add_i32 s0, s0, 8
	s_cmp_lg_u32 s0, 16
	scratch_store_dwordx2 off, v[2:3], s1
	s_cbranch_scc1 .LBB2046_834
; %bb.835:
	v_mov_b32_e32 v2, 0
	s_mov_b32 s0, 0
	v_mov_b32_e32 v3, v2
	scratch_store_byte off, v2, off offset:72
	scratch_store_dword off, v2, off offset:96
.LBB2046_836:                           ; =>This Inner Loop Header: Depth=1
	s_add_i32 s1, s0, 0x50
	s_add_i32 s0, s0, 8
	s_cmp_lg_u32 s0, 16
	scratch_store_dwordx2 off, v[2:3], s1
	s_cbranch_scc1 .LBB2046_836
; %bb.837:
	scratch_load_dwordx4 v[2:5], off, off offset:480
	scratch_load_ubyte v1, off, off offset:496
	scratch_load_ubyte v6, off, off offset:516
	s_waitcnt vmcnt(2)
	scratch_store_dwordx4 off, v[2:5], off offset:80
	s_waitcnt vmcnt(2)
	scratch_store_byte off, v1, off offset:96
	s_waitcnt vmcnt(2)
	v_cmp_ne_u16_e32 vcc, 0, v6
                                        ; implicit-def: $vgpr4_vgpr5
	s_and_saveexec_b64 s[0:1], vcc
	s_xor_b64 s[0:1], exec, s[0:1]
	s_cbranch_execz .LBB2046_839
; %bb.838:
	scratch_load_dwordx4 v[2:5], off, off offset:500
.LBB2046_839:
	s_andn2_saveexec_b64 s[0:1], s[0:1]
	s_cbranch_execz .LBB2046_845
; %bb.840:
	s_waitcnt vmcnt(0)
	v_mov_b32_e32 v2, 0
	s_mov_b32 s2, 0
	v_mov_b32_e32 v3, v2
.LBB2046_841:                           ; =>This Inner Loop Header: Depth=1
	s_add_i32 s3, s2, 16
	s_add_i32 s2, s2, 8
	s_cmp_lg_u32 s2, 16
	scratch_store_dwordx2 off, v[2:3], s3
	s_cbranch_scc1 .LBB2046_841
; %bb.842:
	s_mov_b32 s2, 0
.LBB2046_843:                           ; =>This Inner Loop Header: Depth=1
	s_add_i32 s3, s2, 0x50
	s_add_i32 s6, s33, s2
	scratch_load_dwordx2 v[2:3], off, s3
	scratch_load_dwordx2 v[4:5], off, s6
	s_add_i32 s3, s2, 16
	s_add_i32 s2, s2, 8
	s_cmp_lg_u32 s2, 16
	s_waitcnt vmcnt(0)
	v_add_u32_e32 v3, v5, v3
	v_add_u32_e32 v2, v4, v2
	scratch_store_dwordx2 off, v[2:3], s3
	s_cbranch_scc1 .LBB2046_843
; %bb.844:
	scratch_load_dwordx4 v[2:5], off, off offset:16
.LBB2046_845:
	s_or_b64 exec, exec, s[0:1]
	scratch_load_ubyte v7, off, off offset:536
	s_waitcnt vmcnt(0)
	v_cmp_ne_u16_e32 vcc, 0, v7
	scratch_store_dwordx4 off, v[2:5], off offset:80
                                        ; implicit-def: $vgpr4_vgpr5
	s_and_saveexec_b64 s[0:1], vcc
	s_xor_b64 s[0:1], exec, s[0:1]
	s_cbranch_execz .LBB2046_847
; %bb.846:
	scratch_load_dwordx4 v[2:5], off, off offset:520
.LBB2046_847:
	s_andn2_saveexec_b64 s[0:1], s[0:1]
	s_cbranch_execz .LBB2046_853
; %bb.848:
	s_waitcnt vmcnt(0)
	v_mov_b32_e32 v2, 0
	s_mov_b32 s2, 0
	v_mov_b32_e32 v3, v2
.LBB2046_849:                           ; =>This Inner Loop Header: Depth=1
	s_add_i32 s3, s2, 16
	s_add_i32 s2, s2, 8
	s_cmp_lg_u32 s2, 16
	scratch_store_dwordx2 off, v[2:3], s3
	s_cbranch_scc1 .LBB2046_849
; %bb.850:
	s_mov_b32 s2, 0
.LBB2046_851:                           ; =>This Inner Loop Header: Depth=1
	s_add_i32 s3, s2, 0x50
	s_add_i32 s6, s78, s2
	scratch_load_dwordx2 v[2:3], off, s3
	scratch_load_dwordx2 v[4:5], off, s6
	s_add_i32 s3, s2, 16
	s_add_i32 s2, s2, 8
	s_cmp_lg_u32 s2, 16
	s_waitcnt vmcnt(0)
	v_add_u32_e32 v3, v5, v3
	v_add_u32_e32 v2, v4, v2
	scratch_store_dwordx2 off, v[2:3], s3
	s_cbranch_scc1 .LBB2046_851
; %bb.852:
	scratch_load_dwordx4 v[2:5], off, off offset:16
.LBB2046_853:
	s_or_b64 exec, exec, s[0:1]
	scratch_load_ubyte v8, off, off offset:556
	s_waitcnt vmcnt(0)
	v_cmp_ne_u16_e32 vcc, 0, v8
	scratch_store_dwordx4 off, v[2:5], off offset:80
	;; [unrolled: 43-line block ×20, first 2 shown]
                                        ; implicit-def: $vgpr4_vgpr5
	s_and_saveexec_b64 s[0:1], vcc
	s_xor_b64 s[0:1], exec, s[0:1]
	s_cbranch_execz .LBB2046_999
; %bb.998:
	scratch_load_dwordx4 v[2:5], off, off offset:900
.LBB2046_999:
	s_andn2_saveexec_b64 s[0:1], s[0:1]
	s_cbranch_execz .LBB2046_1005
; %bb.1000:
	s_waitcnt vmcnt(0)
	v_mov_b32_e32 v2, 0
	s_mov_b32 s2, 0
	v_mov_b32_e32 v3, v2
.LBB2046_1001:                          ; =>This Inner Loop Header: Depth=1
	s_add_i32 s3, s2, 16
	s_add_i32 s2, s2, 8
	s_cmp_lg_u32 s2, 16
	scratch_store_dwordx2 off, v[2:3], s3
	s_cbranch_scc1 .LBB2046_1001
; %bb.1002:
	s_mov_b32 s2, 0
.LBB2046_1003:                          ; =>This Inner Loop Header: Depth=1
	s_add_i32 s3, s2, 0x50
	s_add_i32 s6, s70, s2
	scratch_load_dwordx2 v[2:3], off, s3
	scratch_load_dwordx2 v[4:5], off, s6
	s_add_i32 s3, s2, 16
	s_add_i32 s2, s2, 8
	s_cmp_lg_u32 s2, 16
	s_waitcnt vmcnt(0)
	v_add_u32_e32 v3, v5, v3
	v_add_u32_e32 v2, v4, v2
	scratch_store_dwordx2 off, v[2:3], s3
	s_cbranch_scc1 .LBB2046_1003
; %bb.1004:
	scratch_load_dwordx4 v[2:5], off, off offset:16
.LBB2046_1005:
	s_or_b64 exec, exec, s[0:1]
	scratch_load_ubyte v28, off, off offset:936
	s_waitcnt vmcnt(0)
	v_cmp_ne_u16_e32 vcc, 0, v28
	scratch_store_dwordx4 off, v[2:5], off offset:80
                                        ; implicit-def: $vgpr4_vgpr5
	s_and_saveexec_b64 s[0:1], vcc
	s_xor_b64 s[0:1], exec, s[0:1]
	s_cbranch_execz .LBB2046_1007
; %bb.1006:
	scratch_load_dwordx4 v[2:5], off, off offset:920
.LBB2046_1007:
	s_andn2_saveexec_b64 s[0:1], s[0:1]
	s_cbranch_execz .LBB2046_1013
; %bb.1008:
	s_waitcnt vmcnt(0)
	v_mov_b32_e32 v2, 0
	s_mov_b32 s2, 0
	v_mov_b32_e32 v3, v2
.LBB2046_1009:                          ; =>This Inner Loop Header: Depth=1
	s_add_i32 s3, s2, 16
	s_add_i32 s2, s2, 8
	s_cmp_lg_u32 s2, 16
	scratch_store_dwordx2 off, v[2:3], s3
	s_cbranch_scc1 .LBB2046_1009
; %bb.1010:
	s_mov_b32 s2, 0
.LBB2046_1011:                          ; =>This Inner Loop Header: Depth=1
	s_add_i32 s3, s2, 0x50
	s_add_i32 s6, s71, s2
	scratch_load_dwordx2 v[2:3], off, s3
	scratch_load_dwordx2 v[4:5], off, s6
	s_add_i32 s3, s2, 16
	s_add_i32 s2, s2, 8
	s_cmp_lg_u32 s2, 16
	s_waitcnt vmcnt(0)
	v_add_u32_e32 v3, v5, v3
	v_add_u32_e32 v2, v4, v2
	scratch_store_dwordx2 off, v[2:3], s3
	s_cbranch_scc1 .LBB2046_1011
; %bb.1012:
	scratch_load_dwordx4 v[2:5], off, off offset:16
.LBB2046_1013:
	s_or_b64 exec, exec, s[0:1]
	scratch_load_ushort v29, off, off offset:97
	scratch_load_ubyte v17, off, off offset:99
	v_or_b32_e32 v27, v28, v27
	v_or_b32_e32 v26, v27, v26
	;; [unrolled: 1-line block ×20, first 2 shown]
	v_mov_b32_e32 v28, 8
	v_or_b32_e32 v6, v7, v6
	v_lshrrev_b32_e32 v30, 5, v0
	v_or_b32_e32 v1, v6, v1
	v_add_u32_e32 v27, v30, v0
	v_mul_u32_u24_e32 v26, 20, v27
	v_and_b32_e32 v1, 1, v1
	v_cmp_gt_u32_e32 vcc, 64, v0
	s_waitcnt vmcnt(2)
	ds_write2_b32 v26, v2, v3 offset1:1
	ds_write2_b32 v26, v4, v5 offset0:2 offset1:3
	ds_write_b8 v26, v1 offset:16
	s_waitcnt lgkmcnt(0)
	s_barrier
	s_waitcnt vmcnt(1)
	v_lshrrev_b32_sdwa v6, v28, v29 dst_sel:BYTE_1 dst_unused:UNUSED_PAD src0_sel:DWORD src1_sel:DWORD
	s_nop 0
	v_or_b32_sdwa v6, v29, v6 dst_sel:DWORD dst_unused:UNUSED_PAD src0_sel:BYTE_0 src1_sel:DWORD
	v_and_b32_e32 v12, 0xffff, v6
	s_and_saveexec_b64 s[6:7], vcc
	s_cbranch_execz .LBB2046_1089
; %bb.1014:
	v_lshrrev_b32_e32 v6, 4, v0
	v_lshl_add_u32 v11, v0, 1, v6
	v_mul_u32_u24_e32 v14, 20, v11
	ds_read_u8 v10, v14 offset:36
	ds_read_b32 v13, v14 offset:16
	ds_read2_b32 v[8:9], v14 offset0:2 offset1:3
	ds_read2_b32 v[6:7], v14 offset1:1
	s_waitcnt lgkmcnt(2)
	scratch_store_dword off, v13, off offset:32
	s_waitcnt lgkmcnt(0)
	scratch_store_dwordx4 off, v[6:9], off offset:16
	v_mad_u32_u24 v13, v11, 20, 20
	v_cmp_ne_u16_e32 vcc, 0, v10
                                        ; implicit-def: $vgpr6_vgpr7
	s_and_saveexec_b64 s[0:1], vcc
	s_xor_b64 s[0:1], exec, s[0:1]
	s_cbranch_execz .LBB2046_1016
; %bb.1015:
	ds_read2_b32 v[6:7], v13 offset1:1
	ds_read2_b32 v[8:9], v13 offset0:2 offset1:3
.LBB2046_1016:
	s_andn2_saveexec_b64 s[0:1], s[0:1]
	s_cbranch_execz .LBB2046_1022
; %bb.1017:
	s_waitcnt lgkmcnt(1)
	v_mov_b32_e32 v6, 0
	s_mov_b32 s2, 0
	v_mov_b32_e32 v7, v6
.LBB2046_1018:                          ; =>This Inner Loop Header: Depth=1
	s_add_i32 s3, s2, 0x50
	s_add_i32 s2, s2, 8
	s_cmp_lg_u32 s2, 16
	scratch_store_dwordx2 off, v[6:7], s3
	s_cbranch_scc1 .LBB2046_1018
; %bb.1019:
	s_mov_b32 s2, 0
.LBB2046_1020:                          ; =>This Inner Loop Header: Depth=1
	s_add_i32 s3, s2, 16
	scratch_load_dwordx2 v[6:7], off, s3
	s_waitcnt lgkmcnt(0)
	v_add_u32_e32 v8, s2, v13
	ds_read2_b32 v[8:9], v8 offset1:1
	s_add_i32 s3, s2, 0x50
	s_add_i32 s2, s2, 8
	s_cmp_lg_u32 s2, 16
	s_waitcnt vmcnt(0) lgkmcnt(0)
	v_add_u32_e32 v7, v9, v7
	v_add_u32_e32 v6, v8, v6
	scratch_store_dwordx2 off, v[6:7], s3
	s_cbranch_scc1 .LBB2046_1020
; %bb.1021:
	scratch_load_dwordx4 v[6:9], off, off offset:80
.LBB2046_1022:
	s_or_b64 exec, exec, s[0:1]
	scratch_load_ubyte v11, off, off offset:32
	s_waitcnt vmcnt(1) lgkmcnt(1)
	v_mov_b32_dpp v18, v6 row_shr:1 row_mask:0xf bank_mask:0xf
	v_mov_b32_dpp v19, v7 row_shr:1 row_mask:0xf bank_mask:0xf
	s_waitcnt lgkmcnt(0)
	v_mov_b32_dpp v20, v8 row_shr:1 row_mask:0xf bank_mask:0xf
	v_mov_b32_dpp v21, v9 row_shr:1 row_mask:0xf bank_mask:0xf
	scratch_store_dwordx4 off, v[18:21], off offset:80
	scratch_store_dwordx4 off, v[6:9], off offset:16
	s_waitcnt vmcnt(2)
	v_or_b32_e32 v10, v10, v11
	v_and_b32_e32 v10, 1, v10
	scratch_store_byte off, v10, off offset:32
	scratch_load_dword v16, off, off offset:32
	v_mbcnt_lo_u32_b32 v10, -1, 0
	v_mbcnt_hi_u32_b32 v15, -1, v10
	v_and_b32_e32 v18, 15, v15
	v_cmp_ne_u32_e32 vcc, 0, v18
	s_waitcnt vmcnt(0)
	v_mov_b32_dpp v19, v16 row_shr:1 row_mask:0xf bank_mask:0xf
	scratch_store_dword off, v19, off offset:96
	s_and_saveexec_b64 s[0:1], vcc
	s_cbranch_execz .LBB2046_1030
; %bb.1023:
	v_mov_b32_e32 v10, 0
	v_cmp_eq_u16_sdwa s[2:3], v16, v10 src0_sel:BYTE_0 src1_sel:DWORD
	s_and_saveexec_b64 s[8:9], s[2:3]
	s_cbranch_execz .LBB2046_1029
; %bb.1024:
	s_mov_b32 s2, 0
	v_mov_b32_e32 v11, v10
.LBB2046_1025:                          ; =>This Inner Loop Header: Depth=1
	s_add_i32 s3, s2, 36
	s_add_i32 s2, s2, 8
	s_cmp_lg_u32 s2, 16
	scratch_store_dwordx2 off, v[10:11], s3
	s_cbranch_scc1 .LBB2046_1025
; %bb.1026:
	s_mov_b32 s2, 0
.LBB2046_1027:                          ; =>This Inner Loop Header: Depth=1
	s_add_i32 s3, s2, 0x50
	s_add_i32 s10, s2, 16
	scratch_load_dwordx2 v[6:7], off, s3
	scratch_load_dwordx2 v[8:9], off, s10
	s_add_i32 s3, s2, 36
	s_add_i32 s2, s2, 8
	s_cmp_lg_u32 s2, 16
	s_waitcnt vmcnt(0)
	v_add_u32_e32 v7, v9, v7
	v_add_u32_e32 v6, v8, v6
	scratch_store_dwordx2 off, v[6:7], s3
	s_cbranch_scc1 .LBB2046_1027
; %bb.1028:
	scratch_load_dwordx4 v[6:9], off, off offset:36
.LBB2046_1029:
	s_or_b64 exec, exec, s[8:9]
	v_or_b32_e32 v10, v19, v16
	v_and_b32_e32 v10, 1, v10
	scratch_store_byte off, v10, off offset:32
	scratch_load_dword v16, off, off offset:32
	s_waitcnt vmcnt(2)
	scratch_store_dwordx4 off, v[6:9], off offset:16
.LBB2046_1030:
	s_or_b64 exec, exec, s[0:1]
	v_mov_b32_dpp v20, v6 row_shr:2 row_mask:0xf bank_mask:0xf
	v_mov_b32_dpp v21, v7 row_shr:2 row_mask:0xf bank_mask:0xf
	v_mov_b32_dpp v22, v8 row_shr:2 row_mask:0xf bank_mask:0xf
	v_mov_b32_dpp v23, v9 row_shr:2 row_mask:0xf bank_mask:0xf
	s_waitcnt vmcnt(1)
	v_mov_b32_dpp v19, v16 row_shr:2 row_mask:0xf bank_mask:0xf
	v_cmp_lt_u32_e32 vcc, 1, v18
	scratch_store_dwordx4 off, v[20:23], off offset:80
	scratch_store_dword off, v19, off offset:96
	s_and_saveexec_b64 s[8:9], vcc
	s_cbranch_execz .LBB2046_1038
; %bb.1031:
	v_mov_b32_e32 v10, 0
	s_mov_b32 s2, 0
	v_cmp_eq_u16_sdwa s[10:11], v16, v10 src0_sel:BYTE_0 src1_sel:DWORD
	s_and_saveexec_b64 s[0:1], s[10:11]
	s_cbranch_execz .LBB2046_1037
; %bb.1032:
	v_mov_b32_e32 v11, v10
.LBB2046_1033:                          ; =>This Inner Loop Header: Depth=1
	s_add_i32 s3, s2, 36
	s_add_i32 s2, s2, 8
	s_cmp_lg_u32 s2, 16
	scratch_store_dwordx2 off, v[10:11], s3
	s_cbranch_scc1 .LBB2046_1033
; %bb.1034:
	s_mov_b32 s2, 0
.LBB2046_1035:                          ; =>This Inner Loop Header: Depth=1
	s_add_i32 s3, s2, 0x50
	s_add_i32 s10, s2, 16
	scratch_load_dwordx2 v[6:7], off, s3
	scratch_load_dwordx2 v[8:9], off, s10
	s_add_i32 s3, s2, 36
	s_add_i32 s2, s2, 8
	s_cmp_lg_u32 s2, 16
	s_waitcnt vmcnt(0)
	v_add_u32_e32 v7, v9, v7
	v_add_u32_e32 v6, v8, v6
	scratch_store_dwordx2 off, v[6:7], s3
	s_cbranch_scc1 .LBB2046_1035
; %bb.1036:
	scratch_load_dwordx4 v[6:9], off, off offset:36
.LBB2046_1037:
	s_or_b64 exec, exec, s[0:1]
	v_and_b32_e32 v10, 1, v16
	v_cmp_eq_u32_e32 vcc, 1, v10
	v_and_b32_e32 v10, 1, v19
	v_cmp_eq_u32_e64 s[0:1], 1, v10
	s_or_b64 s[0:1], vcc, s[0:1]
	s_waitcnt vmcnt(0)
	scratch_store_dwordx4 off, v[6:9], off offset:16
	v_cndmask_b32_e64 v10, 0, 1, s[0:1]
	scratch_store_byte off, v10, off offset:32
	scratch_load_dword v16, off, off offset:32
.LBB2046_1038:
	s_or_b64 exec, exec, s[8:9]
	v_mov_b32_dpp v20, v6 row_shr:4 row_mask:0xf bank_mask:0xf
	v_mov_b32_dpp v21, v7 row_shr:4 row_mask:0xf bank_mask:0xf
	v_mov_b32_dpp v22, v8 row_shr:4 row_mask:0xf bank_mask:0xf
	v_mov_b32_dpp v23, v9 row_shr:4 row_mask:0xf bank_mask:0xf
	s_waitcnt vmcnt(0)
	v_mov_b32_dpp v19, v16 row_shr:4 row_mask:0xf bank_mask:0xf
	v_cmp_lt_u32_e32 vcc, 3, v18
	scratch_store_dwordx4 off, v[20:23], off offset:80
	scratch_store_dword off, v19, off offset:96
	s_and_saveexec_b64 s[8:9], vcc
	s_cbranch_execz .LBB2046_1046
; %bb.1039:
	v_mov_b32_e32 v10, 0
	s_mov_b32 s2, 0
	v_cmp_eq_u16_sdwa s[10:11], v16, v10 src0_sel:BYTE_0 src1_sel:DWORD
	s_and_saveexec_b64 s[0:1], s[10:11]
	s_cbranch_execz .LBB2046_1045
; %bb.1040:
	v_mov_b32_e32 v11, v10
.LBB2046_1041:                          ; =>This Inner Loop Header: Depth=1
	s_add_i32 s3, s2, 36
	s_add_i32 s2, s2, 8
	s_cmp_lg_u32 s2, 16
	scratch_store_dwordx2 off, v[10:11], s3
	s_cbranch_scc1 .LBB2046_1041
; %bb.1042:
	s_mov_b32 s2, 0
.LBB2046_1043:                          ; =>This Inner Loop Header: Depth=1
	s_add_i32 s3, s2, 0x50
	s_add_i32 s10, s2, 16
	scratch_load_dwordx2 v[6:7], off, s3
	scratch_load_dwordx2 v[8:9], off, s10
	s_add_i32 s3, s2, 36
	s_add_i32 s2, s2, 8
	s_cmp_lg_u32 s2, 16
	s_waitcnt vmcnt(0)
	v_add_u32_e32 v7, v9, v7
	v_add_u32_e32 v6, v8, v6
	scratch_store_dwordx2 off, v[6:7], s3
	s_cbranch_scc1 .LBB2046_1043
; %bb.1044:
	scratch_load_dwordx4 v[6:9], off, off offset:36
.LBB2046_1045:
	s_or_b64 exec, exec, s[0:1]
	v_and_b32_e32 v10, 1, v16
	v_cmp_eq_u32_e32 vcc, 1, v10
	v_and_b32_e32 v10, 1, v19
	v_cmp_eq_u32_e64 s[0:1], 1, v10
	s_or_b64 s[0:1], vcc, s[0:1]
	s_waitcnt vmcnt(0)
	scratch_store_dwordx4 off, v[6:9], off offset:16
	v_cndmask_b32_e64 v10, 0, 1, s[0:1]
	scratch_store_byte off, v10, off offset:32
	scratch_load_dword v16, off, off offset:32
.LBB2046_1046:
	;; [unrolled: 56-line block ×3, first 2 shown]
	s_or_b64 exec, exec, s[8:9]
	v_and_b32_e32 v10, 16, v15
	v_mov_b32_dpp v20, v6 row_bcast:15 row_mask:0xf bank_mask:0xf
	v_mov_b32_dpp v21, v7 row_bcast:15 row_mask:0xf bank_mask:0xf
	;; [unrolled: 1-line block ×4, first 2 shown]
	s_waitcnt vmcnt(0)
	v_mov_b32_dpp v18, v16 row_bcast:15 row_mask:0xf bank_mask:0xf
	v_cmp_ne_u32_e32 vcc, 0, v10
	scratch_store_dwordx4 off, v[20:23], off offset:80
	scratch_store_dword off, v18, off offset:96
	s_and_saveexec_b64 s[8:9], vcc
	s_cbranch_execz .LBB2046_1062
; %bb.1055:
	v_mov_b32_e32 v10, 0
	s_mov_b32 s2, 0
	v_cmp_eq_u16_sdwa s[10:11], v16, v10 src0_sel:BYTE_0 src1_sel:DWORD
	s_and_saveexec_b64 s[0:1], s[10:11]
	s_cbranch_execz .LBB2046_1061
; %bb.1056:
	v_mov_b32_e32 v11, v10
.LBB2046_1057:                          ; =>This Inner Loop Header: Depth=1
	s_add_i32 s3, s2, 36
	s_add_i32 s2, s2, 8
	s_cmp_lg_u32 s2, 16
	scratch_store_dwordx2 off, v[10:11], s3
	s_cbranch_scc1 .LBB2046_1057
; %bb.1058:
	s_mov_b32 s2, 0
.LBB2046_1059:                          ; =>This Inner Loop Header: Depth=1
	s_add_i32 s3, s2, 0x50
	s_add_i32 s10, s2, 16
	scratch_load_dwordx2 v[6:7], off, s3
	scratch_load_dwordx2 v[8:9], off, s10
	s_add_i32 s3, s2, 36
	s_add_i32 s2, s2, 8
	s_cmp_lg_u32 s2, 16
	s_waitcnt vmcnt(0)
	v_add_u32_e32 v7, v9, v7
	v_add_u32_e32 v6, v8, v6
	scratch_store_dwordx2 off, v[6:7], s3
	s_cbranch_scc1 .LBB2046_1059
; %bb.1060:
	scratch_load_dwordx4 v[6:9], off, off offset:36
.LBB2046_1061:
	s_or_b64 exec, exec, s[0:1]
	v_and_b32_e32 v10, 1, v16
	v_cmp_eq_u32_e32 vcc, 1, v10
	v_and_b32_e32 v10, 1, v18
	v_cmp_eq_u32_e64 s[0:1], 1, v10
	s_or_b64 s[0:1], vcc, s[0:1]
	s_waitcnt vmcnt(0)
	scratch_store_dwordx4 off, v[6:9], off offset:16
	v_cndmask_b32_e64 v10, 0, 1, s[0:1]
	scratch_store_byte off, v10, off offset:32
	scratch_load_dword v16, off, off offset:32
.LBB2046_1062:
	s_or_b64 exec, exec, s[8:9]
	v_mov_b32_dpp v20, v6 row_bcast:31 row_mask:0xf bank_mask:0xf
	v_mov_b32_dpp v21, v7 row_bcast:31 row_mask:0xf bank_mask:0xf
	;; [unrolled: 1-line block ×4, first 2 shown]
	s_waitcnt vmcnt(0)
	v_mov_b32_dpp v18, v16 row_bcast:31 row_mask:0xf bank_mask:0xf
	v_cmp_lt_u32_e32 vcc, 31, v15
	scratch_store_dwordx4 off, v[20:23], off offset:80
	scratch_store_dword off, v18, off offset:96
	s_and_saveexec_b64 s[8:9], vcc
	s_cbranch_execz .LBB2046_1070
; %bb.1063:
	v_mov_b32_e32 v10, 0
	s_mov_b32 s2, 0
	v_cmp_eq_u16_sdwa s[10:11], v16, v10 src0_sel:BYTE_0 src1_sel:DWORD
	s_and_saveexec_b64 s[0:1], s[10:11]
	s_cbranch_execz .LBB2046_1069
; %bb.1064:
	v_mov_b32_e32 v11, v10
.LBB2046_1065:                          ; =>This Inner Loop Header: Depth=1
	s_add_i32 s3, s2, 36
	s_add_i32 s2, s2, 8
	s_cmp_lg_u32 s2, 16
	scratch_store_dwordx2 off, v[10:11], s3
	s_cbranch_scc1 .LBB2046_1065
; %bb.1066:
	s_mov_b32 s2, 0
.LBB2046_1067:                          ; =>This Inner Loop Header: Depth=1
	s_add_i32 s3, s2, 0x50
	s_add_i32 s10, s2, 16
	scratch_load_dwordx2 v[6:7], off, s3
	scratch_load_dwordx2 v[8:9], off, s10
	s_add_i32 s3, s2, 36
	s_add_i32 s2, s2, 8
	s_cmp_lg_u32 s2, 16
	s_waitcnt vmcnt(0)
	v_add_u32_e32 v7, v9, v7
	v_add_u32_e32 v6, v8, v6
	scratch_store_dwordx2 off, v[6:7], s3
	s_cbranch_scc1 .LBB2046_1067
; %bb.1068:
	scratch_load_dwordx4 v[6:9], off, off offset:36
.LBB2046_1069:
	s_or_b64 exec, exec, s[0:1]
	v_and_b32_e32 v10, 1, v16
	v_cmp_eq_u32_e32 vcc, 1, v10
	v_and_b32_e32 v10, 1, v18
	v_cmp_eq_u32_e64 s[0:1], 1, v10
	s_or_b64 s[0:1], vcc, s[0:1]
	s_nop 0
	v_cndmask_b32_e64 v10, 0, 1, s[0:1]
	scratch_store_byte off, v10, off offset:32
	scratch_load_dword v16, off, off offset:32
.LBB2046_1070:
	s_or_b64 exec, exec, s[8:9]
	v_add_u32_e32 v10, -1, v15
	v_and_b32_e32 v11, 64, v15
	v_cmp_lt_i32_e32 vcc, v10, v11
	ds_read_u8 v11, v14 offset:16
	s_nop 0
	v_cndmask_b32_e32 v10, v10, v15, vcc
	v_lshlrev_b32_e32 v10, 2, v10
	s_waitcnt vmcnt(2)
	ds_bpermute_b32 v6, v10, v6
	ds_bpermute_b32 v7, v10, v7
	;; [unrolled: 1-line block ×4, first 2 shown]
	s_waitcnt vmcnt(0)
	ds_bpermute_b32 v10, v10, v16
	s_waitcnt lgkmcnt(5)
	v_cmp_ne_u16_e32 vcc, 0, v11
	s_waitcnt lgkmcnt(1)
	scratch_store_dwordx4 off, v[6:9], off offset:16
                                        ; implicit-def: $vgpr8_vgpr9
	s_and_saveexec_b64 s[0:1], vcc
	s_xor_b64 s[0:1], exec, s[0:1]
	s_cbranch_execz .LBB2046_1072
; %bb.1071:
	ds_read2_b32 v[6:7], v14 offset1:1
	ds_read2_b32 v[8:9], v14 offset0:2 offset1:3
.LBB2046_1072:
	s_andn2_saveexec_b64 s[0:1], s[0:1]
	s_cbranch_execz .LBB2046_1078
; %bb.1073:
	s_waitcnt lgkmcnt(1)
	v_mov_b32_e32 v6, 0
	s_mov_b32 s2, 0
	v_mov_b32_e32 v7, v6
.LBB2046_1074:                          ; =>This Inner Loop Header: Depth=1
	s_add_i32 s3, s2, 0x50
	s_add_i32 s2, s2, 8
	s_cmp_lg_u32 s2, 16
	scratch_store_dwordx2 off, v[6:7], s3
	s_cbranch_scc1 .LBB2046_1074
; %bb.1075:
	s_mov_b32 s2, 0
.LBB2046_1076:                          ; =>This Inner Loop Header: Depth=1
	s_add_i32 s3, s2, 16
	scratch_load_dwordx2 v[6:7], off, s3
	s_waitcnt lgkmcnt(0)
	v_add_u32_e32 v8, s2, v14
	ds_read2_b32 v[8:9], v8 offset1:1
	s_add_i32 s3, s2, 0x50
	s_add_i32 s2, s2, 8
	s_cmp_lg_u32 s2, 16
	s_waitcnt vmcnt(0) lgkmcnt(0)
	v_add_u32_e32 v7, v9, v7
	v_add_u32_e32 v6, v8, v6
	scratch_store_dwordx2 off, v[6:7], s3
	s_cbranch_scc1 .LBB2046_1076
; %bb.1077:
	scratch_load_dwordx4 v[6:9], off, off offset:80
.LBB2046_1078:
	s_or_b64 exec, exec, s[0:1]
	v_and_b32_e32 v11, 1, v11
	s_waitcnt lgkmcnt(0)
	v_and_b32_e32 v10, 1, v10
	v_cmp_eq_u32_e32 vcc, 1, v11
	v_cmp_eq_u32_e64 s[0:1], 1, v10
	s_or_b64 s[0:1], s[0:1], vcc
	s_nop 0
	v_cndmask_b32_e64 v10, 0, 1, s[0:1]
	s_waitcnt vmcnt(0)
	scratch_store_dwordx4 off, v[6:9], off offset:16
	scratch_store_byte off, v10, off offset:32
	s_and_saveexec_b64 s[0:1], s[16:17]
	s_cbranch_execz .LBB2046_1080
; %bb.1079:
	scratch_store_dwordx4 off, v[2:5], off offset:16
	scratch_store_byte off, v1, off offset:32
.LBB2046_1080:
	s_or_b64 exec, exec, s[0:1]
	; wave barrier
	scratch_load_dwordx4 v[6:9], off, off offset:16
	scratch_load_ubyte v10, off, off offset:32
	s_waitcnt vmcnt(1)
	ds_write2_b32 v14, v8, v9 offset0:2 offset1:3
	ds_write2_b32 v14, v6, v7 offset1:1
	s_waitcnt vmcnt(0)
	ds_write_b8 v14, v10 offset:16
	; wave barrier
	ds_read_u8 v10, v14 offset:36
                                        ; implicit-def: $vgpr8_vgpr9
	s_waitcnt lgkmcnt(0)
	v_cmp_ne_u16_e32 vcc, 0, v10
	s_and_saveexec_b64 s[0:1], vcc
	s_xor_b64 s[0:1], exec, s[0:1]
	s_cbranch_execz .LBB2046_1082
; %bb.1081:
	ds_read2_b32 v[6:7], v13 offset1:1
	ds_read2_b32 v[8:9], v13 offset0:2 offset1:3
.LBB2046_1082:
	s_andn2_saveexec_b64 s[0:1], s[0:1]
	s_cbranch_execz .LBB2046_1088
; %bb.1083:
	s_waitcnt lgkmcnt(1)
	v_mov_b32_e32 v6, 0
	s_mov_b32 s2, 0
	v_mov_b32_e32 v7, v6
.LBB2046_1084:                          ; =>This Inner Loop Header: Depth=1
	s_add_i32 s3, s2, 0x50
	s_add_i32 s2, s2, 8
	s_cmp_lg_u32 s2, 16
	scratch_store_dwordx2 off, v[6:7], s3
	s_cbranch_scc1 .LBB2046_1084
; %bb.1085:
	s_mov_b32 s2, 0
.LBB2046_1086:                          ; =>This Inner Loop Header: Depth=1
	s_add_i32 s3, s2, 16
	scratch_load_dwordx2 v[6:7], off, s3
	s_waitcnt lgkmcnt(0)
	v_add_u32_e32 v8, s2, v13
	ds_read2_b32 v[8:9], v8 offset1:1
	s_add_i32 s3, s2, 0x50
	s_add_i32 s2, s2, 8
	s_cmp_lg_u32 s2, 16
	s_waitcnt vmcnt(0) lgkmcnt(0)
	v_add_u32_e32 v7, v9, v7
	v_add_u32_e32 v6, v8, v6
	scratch_store_dwordx2 off, v[6:7], s3
	s_cbranch_scc1 .LBB2046_1086
; %bb.1087:
	scratch_load_dwordx4 v[6:9], off, off offset:80
.LBB2046_1088:
	s_or_b64 exec, exec, s[0:1]
	scratch_load_ubyte v11, off, off offset:32
	s_waitcnt vmcnt(1) lgkmcnt(0)
	ds_write2_b32 v13, v8, v9 offset0:2 offset1:3
	s_waitcnt vmcnt(0)
	v_or_b32_e32 v8, v10, v11
	v_and_b32_e32 v8, 1, v8
	ds_write2_b32 v13, v6, v7 offset1:1
	ds_write_b8 v13, v8 offset:16
.LBB2046_1089:
	s_or_b64 exec, exec, s[6:7]
	s_waitcnt vmcnt(0)
	v_lshl_or_b32 v7, v17, 16, v12
	s_waitcnt lgkmcnt(0)
	s_barrier
	s_and_saveexec_b64 s[0:1], s[92:93]
	s_cbranch_execz .LBB2046_1091
; %bb.1090:
	v_add_u32_e32 v1, -1, v0
	v_lshrrev_b32_e32 v2, 5, v1
	v_add_u32_e32 v1, v2, v1
	v_mul_lo_u32 v1, v1, 20
	ds_read2_b32 v[2:3], v1 offset1:1
	ds_read2_b32 v[4:5], v1 offset0:2 offset1:3
	ds_read_u8 v1, v1 offset:16
.LBB2046_1091:
	s_or_b64 exec, exec, s[0:1]
	scratch_load_dwordx4 v[8:11], off, off offset:480
	scratch_load_dword v6, off, off offset:496
	v_lshrrev_b32_e32 v12, 16, v7
	v_lshrrev_b32_e32 v13, 8, v7
	s_waitcnt lgkmcnt(1)
	scratch_store_dwordx4 off, v[2:5], off offset:16
                                        ; implicit-def: $vgpr4_vgpr5
	s_nop 1
	v_lshlrev_b16_e32 v2, 8, v7
	v_lshlrev_b16_e32 v3, 8, v12
	s_waitcnt lgkmcnt(0)
	v_or_b32_sdwa v2, v1, v2 dst_sel:DWORD dst_unused:UNUSED_PAD src0_sel:BYTE_0 src1_sel:DWORD
	v_or_b32_sdwa v3, v13, v3 dst_sel:WORD_1 dst_unused:UNUSED_PAD src0_sel:BYTE_0 src1_sel:DWORD
	s_nop 0
	v_or_b32_sdwa v2, v2, v3 dst_sel:DWORD dst_unused:UNUSED_PAD src0_sel:WORD_0 src1_sel:DWORD
	scratch_store_dword off, v2, off offset:32
	s_waitcnt vmcnt(3)
	scratch_store_dwordx4 off, v[8:11], off offset:36
	s_waitcnt vmcnt(3)
	scratch_store_dword off, v6, off offset:52
	s_and_saveexec_b64 s[0:1], s[92:93]
	s_xor_b64 s[0:1], exec, s[0:1]
	s_cbranch_execz .LBB2046_1101
; %bb.1092:
	v_mov_b32_e32 v2, 0
	v_cmp_ne_u16_sdwa s[2:3], v6, v2 src0_sel:BYTE_0 src1_sel:DWORD
                                        ; implicit-def: $vgpr4_vgpr5
	s_and_saveexec_b64 s[4:5], s[2:3]
	s_xor_b64 s[4:5], exec, s[4:5]
	s_cbranch_execz .LBB2046_1094
; %bb.1093:
	scratch_load_dwordx4 v[2:5], off, off offset:36
.LBB2046_1094:
	s_andn2_saveexec_b64 s[4:5], s[4:5]
	s_cbranch_execz .LBB2046_1100
; %bb.1095:
	s_waitcnt vmcnt(0)
	v_mov_b32_e32 v2, 0
	s_mov_b32 s2, 0
	v_mov_b32_e32 v3, v2
.LBB2046_1096:                          ; =>This Inner Loop Header: Depth=1
	s_add_i32 s3, s2, 0x50
	s_add_i32 s2, s2, 8
	s_cmp_lg_u32 s2, 16
	scratch_store_dwordx2 off, v[2:3], s3
	s_cbranch_scc1 .LBB2046_1096
; %bb.1097:
	s_mov_b32 s2, 0
.LBB2046_1098:                          ; =>This Inner Loop Header: Depth=1
	s_add_i32 s3, s2, 16
	s_add_i32 s6, s2, 36
	scratch_load_dwordx2 v[2:3], off, s3
	scratch_load_dwordx2 v[4:5], off, s6
	s_add_i32 s3, s2, 0x50
	s_add_i32 s2, s2, 8
	s_cmp_lg_u32 s2, 16
	s_waitcnt vmcnt(0)
	v_add_u32_e32 v3, v5, v3
	v_add_u32_e32 v2, v4, v2
	scratch_store_dwordx2 off, v[2:3], s3
	s_cbranch_scc1 .LBB2046_1098
; %bb.1099:
	scratch_load_dwordx4 v[2:5], off, off offset:80
.LBB2046_1100:
	s_or_b64 exec, exec, s[4:5]
	v_or_b32_e32 v1, v6, v1
	v_and_b32_e32 v6, 1, v1
	s_waitcnt vmcnt(0)
	scratch_store_dwordx4 off, v[2:5], off offset:36
	scratch_store_byte off, v6, off offset:52
	;;#ASMSTART
	;;#ASMEND
.LBB2046_1101:
	s_andn2_saveexec_b64 s[0:1], s[0:1]
	s_cbranch_execz .LBB2046_1103
; %bb.1102:
	scratch_load_dwordx4 v[2:5], off, off offset:36
.LBB2046_1103:
	s_or_b64 exec, exec, s[0:1]
	scratch_load_dwordx4 v[8:11], off, off offset:36
	scratch_load_ushort v7, off, off offset:53
	scratch_load_ubyte v12, off, off offset:55
	scratch_load_ubyte v1, off, off offset:516
	s_nop 0
	scratch_store_byte off, v6, off offset:496
	s_waitcnt vmcnt(5)
	scratch_store_dwordx4 off, v[2:5], off offset:80
	s_waitcnt vmcnt(5)
	scratch_store_dwordx4 off, v[8:11], off offset:480
	s_waitcnt vmcnt(5)
	v_lshrrev_b32_e32 v2, 8, v7
	v_lshlrev_b16_e32 v3, 8, v7
	s_waitcnt vmcnt(4)
	v_lshlrev_b16_e32 v4, 8, v12
	v_or_b32_sdwa v3, v6, v3 dst_sel:DWORD dst_unused:UNUSED_PAD src0_sel:BYTE_0 src1_sel:DWORD
	v_or_b32_sdwa v2, v2, v4 dst_sel:WORD_1 dst_unused:UNUSED_PAD src0_sel:BYTE_0 src1_sel:DWORD
	s_waitcnt vmcnt(3)
	v_cmp_ne_u16_e32 vcc, 0, v1
	v_or_b32_sdwa v2, v3, v2 dst_sel:DWORD dst_unused:UNUSED_PAD src0_sel:WORD_0 src1_sel:DWORD
	scratch_store_dword off, v2, off offset:96
                                        ; implicit-def: $vgpr4_vgpr5
	s_and_saveexec_b64 s[0:1], vcc
	s_xor_b64 s[0:1], exec, s[0:1]
	s_cbranch_execz .LBB2046_1105
; %bb.1104:
	scratch_load_dwordx4 v[2:5], off, off offset:500
.LBB2046_1105:
	s_andn2_saveexec_b64 s[0:1], s[0:1]
	s_cbranch_execz .LBB2046_1111
; %bb.1106:
	s_waitcnt vmcnt(0)
	v_mov_b32_e32 v2, 0
	s_mov_b32 s2, 0
	v_mov_b32_e32 v3, v2
.LBB2046_1107:                          ; =>This Inner Loop Header: Depth=1
	s_add_i32 s3, s2, 0x1c0
	s_add_i32 s2, s2, 8
	s_cmp_lg_u32 s2, 16
	scratch_store_dwordx2 off, v[2:3], s3
	s_cbranch_scc1 .LBB2046_1107
; %bb.1108:
	s_mov_b32 s2, 0
.LBB2046_1109:                          ; =>This Inner Loop Header: Depth=1
	s_add_i32 s3, s2, 0x50
	s_add_i32 s4, s33, s2
	scratch_load_dwordx2 v[2:3], off, s3
	scratch_load_dwordx2 v[4:5], off, s4
	s_add_i32 s3, s2, 0x1c0
	s_add_i32 s2, s2, 8
	s_cmp_lg_u32 s2, 16
	s_waitcnt vmcnt(0)
	v_add_u32_e32 v3, v5, v3
	v_add_u32_e32 v2, v4, v2
	scratch_store_dwordx2 off, v[2:3], s3
	s_cbranch_scc1 .LBB2046_1109
; %bb.1110:
	scratch_load_dwordx4 v[2:5], off, off offset:448
.LBB2046_1111:
	s_or_b64 exec, exec, s[0:1]
	scratch_load_ubyte v7, off, off offset:536
	v_or_b32_e32 v1, v1, v6
	v_and_b32_e32 v1, 1, v1
	v_cmp_eq_u32_e32 vcc, 1, v1
	s_waitcnt vmcnt(1)
	scratch_store_dwordx4 off, v[2:5], off offset:80
	scratch_store_dwordx4 off, v[2:5], s33
	scratch_store_byte off, v1, off offset:516
                                        ; implicit-def: $vgpr4_vgpr5
	s_waitcnt vmcnt(3)
	v_cmp_ne_u16_e64 s[0:1], 0, v7
	s_and_saveexec_b64 s[2:3], s[0:1]
	s_xor_b64 s[0:1], exec, s[2:3]
	s_cbranch_execz .LBB2046_1113
; %bb.1112:
	scratch_load_dwordx4 v[2:5], off, off offset:520
.LBB2046_1113:
	s_andn2_saveexec_b64 s[0:1], s[0:1]
	s_cbranch_execz .LBB2046_1119
; %bb.1114:
	s_waitcnt vmcnt(0)
	v_mov_b32_e32 v2, 0
	s_mov_b32 s2, 0
	v_mov_b32_e32 v3, v2
.LBB2046_1115:                          ; =>This Inner Loop Header: Depth=1
	s_add_i32 s3, s2, 0x1c0
	s_add_i32 s2, s2, 8
	s_cmp_lg_u32 s2, 16
	scratch_store_dwordx2 off, v[2:3], s3
	s_cbranch_scc1 .LBB2046_1115
; %bb.1116:
	s_mov_b32 s2, 0
.LBB2046_1117:                          ; =>This Inner Loop Header: Depth=1
	s_add_i32 s3, s2, 0x50
	s_add_i32 s4, s78, s2
	scratch_load_dwordx2 v[2:3], off, s3
	scratch_load_dwordx2 v[4:5], off, s4
	s_add_i32 s3, s2, 0x1c0
	s_add_i32 s2, s2, 8
	s_cmp_lg_u32 s2, 16
	s_waitcnt vmcnt(0)
	v_add_u32_e32 v3, v5, v3
	v_add_u32_e32 v2, v4, v2
	scratch_store_dwordx2 off, v[2:3], s3
	s_cbranch_scc1 .LBB2046_1117
; %bb.1118:
	scratch_load_dwordx4 v[2:5], off, off offset:448
.LBB2046_1119:
	s_or_b64 exec, exec, s[0:1]
	scratch_load_ubyte v1, off, off offset:556
	v_and_b32_e32 v6, 1, v7
	v_cmp_eq_u32_e64 s[0:1], 1, v6
	s_or_b64 s[0:1], s[0:1], vcc
	s_waitcnt vmcnt(0)
	v_cmp_ne_u16_e32 vcc, 0, v1
	v_cndmask_b32_e64 v6, 0, 1, s[0:1]
	scratch_store_dwordx4 off, v[2:5], off offset:80
	scratch_store_dwordx4 off, v[2:5], s78
	scratch_store_byte off, v6, off offset:536
                                        ; implicit-def: $vgpr4_vgpr5
	s_and_saveexec_b64 s[2:3], vcc
	s_xor_b64 s[4:5], exec, s[2:3]
	s_cbranch_execz .LBB2046_1121
; %bb.1120:
	scratch_load_dwordx4 v[2:5], off, off offset:540
.LBB2046_1121:
	s_andn2_saveexec_b64 s[4:5], s[4:5]
	s_cbranch_execz .LBB2046_1127
; %bb.1122:
	s_waitcnt vmcnt(0)
	v_mov_b32_e32 v2, 0
	s_mov_b32 s2, 0
	v_mov_b32_e32 v3, v2
.LBB2046_1123:                          ; =>This Inner Loop Header: Depth=1
	s_add_i32 s3, s2, 0x1c0
	s_add_i32 s2, s2, 8
	s_cmp_lg_u32 s2, 16
	scratch_store_dwordx2 off, v[2:3], s3
	s_cbranch_scc1 .LBB2046_1123
; %bb.1124:
	s_mov_b32 s2, 0
.LBB2046_1125:                          ; =>This Inner Loop Header: Depth=1
	s_add_i32 s3, s2, 0x50
	s_add_i32 s6, s86, s2
	scratch_load_dwordx2 v[2:3], off, s3
	scratch_load_dwordx2 v[4:5], off, s6
	s_add_i32 s3, s2, 0x1c0
	s_add_i32 s2, s2, 8
	s_cmp_lg_u32 s2, 16
	s_waitcnt vmcnt(0)
	v_add_u32_e32 v3, v5, v3
	v_add_u32_e32 v2, v4, v2
	scratch_store_dwordx2 off, v[2:3], s3
	s_cbranch_scc1 .LBB2046_1125
; %bb.1126:
	scratch_load_dwordx4 v[2:5], off, off offset:448
.LBB2046_1127:
	s_or_b64 exec, exec, s[4:5]
	scratch_load_ubyte v6, off, off offset:576
	v_and_b32_e32 v1, 1, v1
	v_cmp_eq_u32_e32 vcc, 1, v1
	s_or_b64 s[0:1], vcc, s[0:1]
	v_cndmask_b32_e64 v1, 0, 1, s[0:1]
	s_waitcnt vmcnt(1)
	scratch_store_dwordx4 off, v[2:5], off offset:80
	scratch_store_dwordx4 off, v[2:5], s86
	scratch_store_byte off, v1, off offset:556
                                        ; implicit-def: $vgpr4_vgpr5
	s_waitcnt vmcnt(3)
	v_cmp_ne_u16_e32 vcc, 0, v6
	s_and_saveexec_b64 s[2:3], vcc
	s_xor_b64 s[4:5], exec, s[2:3]
	s_cbranch_execz .LBB2046_1129
; %bb.1128:
	scratch_load_dwordx4 v[2:5], off, off offset:560
.LBB2046_1129:
	s_andn2_saveexec_b64 s[4:5], s[4:5]
	s_cbranch_execz .LBB2046_1135
; %bb.1130:
	s_waitcnt vmcnt(0)
	v_mov_b32_e32 v2, 0
	s_mov_b32 s2, 0
	v_mov_b32_e32 v3, v2
.LBB2046_1131:                          ; =>This Inner Loop Header: Depth=1
	s_add_i32 s3, s2, 0x1c0
	s_add_i32 s2, s2, 8
	s_cmp_lg_u32 s2, 16
	scratch_store_dwordx2 off, v[2:3], s3
	s_cbranch_scc1 .LBB2046_1131
; %bb.1132:
	s_mov_b32 s2, 0
.LBB2046_1133:                          ; =>This Inner Loop Header: Depth=1
	s_add_i32 s3, s2, 0x50
	s_add_i32 s6, s87, s2
	scratch_load_dwordx2 v[2:3], off, s3
	scratch_load_dwordx2 v[4:5], off, s6
	s_add_i32 s3, s2, 0x1c0
	s_add_i32 s2, s2, 8
	s_cmp_lg_u32 s2, 16
	s_waitcnt vmcnt(0)
	v_add_u32_e32 v3, v5, v3
	v_add_u32_e32 v2, v4, v2
	scratch_store_dwordx2 off, v[2:3], s3
	s_cbranch_scc1 .LBB2046_1133
; %bb.1134:
	scratch_load_dwordx4 v[2:5], off, off offset:448
.LBB2046_1135:
	s_or_b64 exec, exec, s[4:5]
	scratch_load_ubyte v1, off, off offset:596
	v_and_b32_e32 v6, 1, v6
	v_cmp_eq_u32_e32 vcc, 1, v6
	s_or_b64 s[0:1], vcc, s[0:1]
	v_cndmask_b32_e64 v6, 0, 1, s[0:1]
	s_waitcnt vmcnt(1)
	scratch_store_dwordx4 off, v[2:5], off offset:80
	scratch_store_dwordx4 off, v[2:5], s87
	scratch_store_byte off, v6, off offset:576
                                        ; implicit-def: $vgpr4_vgpr5
	s_waitcnt vmcnt(3)
	v_cmp_ne_u16_e32 vcc, 0, v1
	;; [unrolled: 50-line block ×19, first 2 shown]
	s_and_saveexec_b64 s[2:3], vcc
	s_xor_b64 s[4:5], exec, s[2:3]
	s_cbranch_execz .LBB2046_1273
; %bb.1272:
	scratch_load_dwordx4 v[2:5], off, off offset:920
.LBB2046_1273:
	s_andn2_saveexec_b64 s[4:5], s[4:5]
	s_cbranch_execz .LBB2046_1279
; %bb.1274:
	s_waitcnt vmcnt(0)
	v_mov_b32_e32 v2, 0
	s_mov_b32 s2, 0
	v_mov_b32_e32 v3, v2
.LBB2046_1275:                          ; =>This Inner Loop Header: Depth=1
	s_add_i32 s3, s2, 0x1c0
	s_add_i32 s2, s2, 8
	s_cmp_lg_u32 s2, 16
	scratch_store_dwordx2 off, v[2:3], s3
	s_cbranch_scc1 .LBB2046_1275
; %bb.1276:
	s_mov_b32 s2, 0
.LBB2046_1277:                          ; =>This Inner Loop Header: Depth=1
	s_add_i32 s3, s2, 0x50
	s_add_i32 s6, s71, s2
	scratch_load_dwordx2 v[2:3], off, s3
	scratch_load_dwordx2 v[4:5], off, s6
	s_add_i32 s3, s2, 0x1c0
	s_add_i32 s2, s2, 8
	s_cmp_lg_u32 s2, 16
	s_waitcnt vmcnt(0)
	v_add_u32_e32 v3, v5, v3
	v_add_u32_e32 v2, v4, v2
	scratch_store_dwordx2 off, v[2:3], s3
	s_cbranch_scc1 .LBB2046_1277
; %bb.1278:
	scratch_load_dwordx4 v[2:5], off, off offset:448
.LBB2046_1279:
	s_or_b64 exec, exec, s[4:5]
	v_and_b32_e32 v1, 1, v6
	v_mov_b32_e32 v6, 0xa28
	v_cmp_eq_u32_e32 vcc, 1, v1
	v_mov_b32_e32 v1, 0
	ds_read2_b64 v[8:11], v6 offset1:1
	ds_read_u8 v6, v1 offset:2616
	s_or_b64 s[0:1], vcc, s[0:1]
	v_cndmask_b32_e64 v7, 0, 1, s[0:1]
	s_waitcnt vmcnt(0)
	scratch_store_dwordx4 off, v[2:5], s71
	scratch_store_byte off, v7, off offset:936
	s_waitcnt lgkmcnt(1)
	scratch_store_dwordx4 off, v[8:11], off offset:56
	s_waitcnt lgkmcnt(0)
	scratch_store_byte off, v6, off offset:72
	s_and_saveexec_b64 s[0:1], s[16:17]
	s_cbranch_execz .LBB2046_1281
; %bb.1280:
	scratch_load_ushort v7, off, off offset:73
	scratch_load_ubyte v8, off, off offset:75
	scratch_load_dwordx4 v[2:5], off, off offset:56
	s_mov_b32 s2, 0x2010004
	v_mov_b32_e32 v9, 2
	s_waitcnt vmcnt(0)
	global_store_dword v1, v2, s[58:59] offset:1280 sc1
	global_store_dword v1, v3, s[58:59] offset:1284 sc1
	;; [unrolled: 1-line block ×4, first 2 shown]
	v_lshl_or_b32 v7, v8, 16, v7
	v_perm_b32 v2, v6, v7, s2
	global_store_dword v1, v2, s[58:59] offset:1296 sc1
	s_waitcnt vmcnt(0)
	global_store_byte v1, v9, s[60:61] offset:64 sc1
.LBB2046_1281:
	s_or_b64 exec, exec, s[0:1]
.LBB2046_1282:
	v_mov_b32_e32 v2, 0
	s_mov_b32 s0, 0
	v_mov_b32_e32 v3, v2
.LBB2046_1283:                          ; =>This Inner Loop Header: Depth=1
	s_add_i32 s1, s0, 0x50
	s_add_i32 s0, s0, 8
	s_cmp_lg_u32 s0, 16
	scratch_store_dwordx2 off, v[2:3], s1
	s_cbranch_scc1 .LBB2046_1283
; %bb.1284:
	v_mov_b32_e32 v2, 0
	s_mov_b32 s0, 16
	v_mov_b32_e32 v3, v2
.LBB2046_1285:                          ; =>This Inner Loop Header: Depth=1
	s_add_i32 s1, s0, 0x50
	s_add_i32 s0, s0, 8
	s_cmp_lg_u32 s0, 32
	scratch_store_dwordx2 off, v[2:3], s1
	s_cbranch_scc1 .LBB2046_1285
; %bb.1286:
	;; [unrolled: 10-line block ×4, first 2 shown]
	v_mov_b32_e32 v2, 0
	s_mov_b32 s0, 64
	v_mov_b32_e32 v3, v2
.LBB2046_1291:                          ; =>This Inner Loop Header: Depth=1
	s_add_i32 s1, s0, 0x50
	s_add_i32 s0, s0, 8
	s_cmpk_lg_i32 s0, 0x50
	scratch_store_dwordx2 off, v[2:3], s1
	s_cbranch_scc1 .LBB2046_1291
; %bb.1292:
	v_mov_b32_e32 v2, 0
	s_movk_i32 s0, 0x50
	v_mov_b32_e32 v3, v2
.LBB2046_1293:                          ; =>This Inner Loop Header: Depth=1
	s_add_i32 s1, s0, 0x50
	s_add_i32 s0, s0, 8
	s_cmpk_lg_i32 s0, 0x60
	scratch_store_dwordx2 off, v[2:3], s1
	s_cbranch_scc1 .LBB2046_1293
; %bb.1294:
	v_mov_b32_e32 v2, 0
	s_movk_i32 s0, 0x60
	;; [unrolled: 10-line block ×18, first 2 shown]
	v_mov_b32_e32 v3, v2
.LBB2046_1327:                          ; =>This Inner Loop Header: Depth=1
	s_add_i32 s1, s0, 0x50
	s_add_i32 s0, s0, 8
	s_cmpk_lg_i32 s0, 0x170
	scratch_store_dwordx2 off, v[2:3], s1
	s_cbranch_scc1 .LBB2046_1327
; %bb.1328:
	v_readlane_b32 s0, v200, 0
	v_readlane_b32 s6, v200, 6
	;; [unrolled: 1-line block ×6, first 2 shown]
	s_add_u32 s0, s6, s88
	s_addc_u32 s1, s7, s89
	v_readlane_b32 s2, v200, 20
	v_mov_b32_e32 v1, 0x50
	s_add_u32 s0, s0, s90
	v_readlane_b32 s3, v200, 21
	v_add_u32_e32 v6, 0x160, v1
	v_add_u32_e32 v7, 0x150, v1
	;; [unrolled: 1-line block ×22, first 2 shown]
	s_addc_u32 s1, s1, s91
	s_and_b64 vcc, exec, s[2:3]
	v_readlane_b32 s4, v200, 4
	v_readlane_b32 s5, v200, 5
	s_cbranch_vccz .LBB2046_1398
; %bb.1329:
	v_readlane_b32 s2, v200, 22
	s_add_i32 s4, s2, s62
	v_mul_u32_u24_e32 v1, 23, v0
	v_cmp_gt_u32_e32 vcc, s4, v1
	s_and_saveexec_b64 s[2:3], vcc
	s_cbranch_execz .LBB2046_1353
; %bb.1330:
	scratch_load_dwordx4 v[2:5], off, off offset:480
	v_add_u32_e32 v28, 1, v1
	v_cmp_gt_u32_e32 vcc, s4, v28
	s_waitcnt vmcnt(0)
	scratch_store_dwordx4 off, v[2:5], off offset:80
	s_and_b64 exec, exec, vcc
	s_cbranch_execz .LBB2046_1353
; %bb.1331:
	scratch_load_dwordx4 v[2:5], off, s33
	v_add_u32_e32 v28, 2, v1
	v_cmp_gt_u32_e32 vcc, s4, v28
	s_waitcnt vmcnt(0)
	scratch_store_dwordx4 v27, v[2:5], off
	s_and_b64 exec, exec, vcc
	s_cbranch_execz .LBB2046_1353
; %bb.1332:
	scratch_load_dwordx4 v[2:5], off, s78
	v_add_u32_e32 v28, 3, v1
	v_cmp_gt_u32_e32 vcc, s4, v28
	s_waitcnt vmcnt(0)
	scratch_store_dwordx4 v26, v[2:5], off
	;; [unrolled: 8-line block ×21, first 2 shown]
	s_and_b64 exec, exec, vcc
	s_cbranch_execz .LBB2046_1353
; %bb.1352:
	scratch_load_dwordx4 v[2:5], off, s71
	s_waitcnt vmcnt(0)
	scratch_store_dwordx4 v6, v[2:5], off
.LBB2046_1353:
	s_or_b64 exec, exec, s[2:3]
	s_waitcnt vmcnt(63) expcnt(7) lgkmcnt(15)
	s_barrier
	scratch_load_dwordx4 v[28:31], off, off offset:80
	scratch_load_dwordx4 v[32:35], v27, off
	scratch_load_dwordx4 v[36:39], v26, off
	scratch_load_dwordx4 v[40:43], v25, off
	scratch_load_dwordx4 v[44:47], v24, off
	scratch_load_dwordx4 v[48:51], v23, off
	scratch_load_dwordx4 v[52:55], v22, off
	scratch_load_dwordx4 v[56:59], v21, off
	scratch_load_dwordx4 v[60:63], v20, off
	scratch_load_dwordx4 v[64:67], v19, off
	scratch_load_dwordx4 v[68:71], v18, off
	scratch_load_dwordx4 v[72:75], v17, off
	scratch_load_dwordx4 v[76:79], v16, off
	scratch_load_dwordx4 v[80:83], v15, off
	scratch_load_dwordx4 v[84:87], v14, off
	scratch_load_dwordx4 v[88:91], v13, off
	scratch_load_dwordx4 v[92:95], v12, off
	scratch_load_dwordx4 v[96:99], v11, off
	scratch_load_dwordx4 v[100:103], v10, off
	scratch_load_dwordx4 v[104:107], v9, off
	scratch_load_dwordx4 v[108:111], v8, off
	scratch_load_dwordx4 v[112:115], v7, off
	scratch_load_dwordx4 v[116:119], v6, off
	v_lshlrev_b32_e32 v2, 4, v1
	s_movk_i32 s2, 0xfea0
	v_mad_i32_i24 v1, v0, s2, v2
	v_mov_b32_e32 v3, 0
	v_cmp_gt_u32_e32 vcc, s4, v0
	s_waitcnt vmcnt(22)
	ds_write_b128 v2, v[28:31]
	s_waitcnt vmcnt(21)
	ds_write_b128 v2, v[32:35] offset:16
	s_waitcnt vmcnt(20)
	ds_write_b128 v2, v[36:39] offset:32
	;; [unrolled: 2-line block ×22, first 2 shown]
	s_waitcnt lgkmcnt(0)
	s_barrier
	ds_read_b128 v[28:31], v1 offset:2048
	ds_read_b128 v[32:35], v1 offset:4096
	;; [unrolled: 1-line block ×16, first 2 shown]
	s_waitcnt lgkmcnt(14)
	scratch_store_dwordx4 v27, v[28:31], off
	scratch_store_dwordx4 v26, v[32:35], off
	s_waitcnt lgkmcnt(13)
	scratch_store_dwordx4 v25, v[36:39], off
	s_waitcnt lgkmcnt(12)
	;; [unrolled: 2-line block ×10, first 2 shown]
	scratch_store_dwordx4 v16, v[72:75], off
	ds_read_b128 v[28:31], v1 offset:32768
	s_waitcnt lgkmcnt(4)
	scratch_store_dwordx4 v15, v[76:79], off
	s_waitcnt lgkmcnt(3)
	scratch_store_dwordx4 v14, v[80:83], off
	;; [unrolled: 2-line block ×3, first 2 shown]
	ds_read_b128 v[32:35], v1 offset:34816
	v_lshlrev_b32_e32 v2, 4, v0
	s_waitcnt lgkmcnt(1)
	scratch_store_dwordx4 v12, v[28:31], off
	ds_read_b128 v[28:31], v1 offset:36864
	ds_read_b128 v[36:39], v1 offset:38912
	;; [unrolled: 1-line block ×4, first 2 shown]
	v_lshl_add_u64 v[4:5], s[0:1], 0, v[2:3]
	s_waitcnt lgkmcnt(4)
	scratch_store_dwordx4 v11, v[32:35], off
	s_waitcnt lgkmcnt(3)
	scratch_store_dwordx4 v10, v[28:31], off
	;; [unrolled: 2-line block ×5, first 2 shown]
	scratch_store_dwordx4 v6, v[88:91], off
	s_and_saveexec_b64 s[2:3], vcc
	s_cbranch_execz .LBB2046_1355
; %bb.1354:
	ds_read2_b32 v[30:31], v1 offset0:2 offset1:3
	ds_read2_b32 v[28:29], v1 offset1:1
	s_waitcnt lgkmcnt(0)
	flat_store_dwordx4 v[4:5], v[28:31]
.LBB2046_1355:
	s_or_b64 exec, exec, s[2:3]
	v_or_b32_e32 v1, 0x80, v0
	v_cmp_gt_u32_e32 vcc, s4, v1
	s_and_saveexec_b64 s[2:3], vcc
	s_cbranch_execz .LBB2046_1357
; %bb.1356:
	scratch_load_dwordx4 v[28:31], v27, off
	s_waitcnt vmcnt(0)
	flat_store_dwordx4 v[4:5], v[28:31] offset:2048
.LBB2046_1357:
	s_or_b64 exec, exec, s[2:3]
	v_or_b32_e32 v1, 0x100, v0
	v_cmp_gt_u32_e32 vcc, s4, v1
	s_and_saveexec_b64 s[2:3], vcc
	s_cbranch_execz .LBB2046_1359
; %bb.1358:
	scratch_load_dwordx4 v[28:31], v26, off
	v_add_co_u32_e32 v32, vcc, 0x1000, v4
	s_nop 1
	v_addc_co_u32_e32 v33, vcc, 0, v5, vcc
	s_waitcnt vmcnt(0)
	flat_store_dwordx4 v[32:33], v[28:31]
.LBB2046_1359:
	s_or_b64 exec, exec, s[2:3]
	v_or_b32_e32 v1, 0x180, v0
	v_cmp_gt_u32_e32 vcc, s4, v1
	s_and_saveexec_b64 s[2:3], vcc
	s_cbranch_execz .LBB2046_1361
; %bb.1360:
	scratch_load_dwordx4 v[28:31], v25, off
	v_add_co_u32_e32 v32, vcc, 0x1000, v4
	s_nop 1
	v_addc_co_u32_e32 v33, vcc, 0, v5, vcc
	s_waitcnt vmcnt(0)
	flat_store_dwordx4 v[32:33], v[28:31] offset:2048
.LBB2046_1361:
	s_or_b64 exec, exec, s[2:3]
	v_or_b32_e32 v1, 0x200, v0
	v_cmp_gt_u32_e32 vcc, s4, v1
	s_and_saveexec_b64 s[2:3], vcc
	s_cbranch_execz .LBB2046_1363
; %bb.1362:
	scratch_load_dwordx4 v[28:31], v24, off
	v_add_co_u32_e32 v32, vcc, 0x2000, v4
	s_nop 1
	v_addc_co_u32_e32 v33, vcc, 0, v5, vcc
	s_waitcnt vmcnt(0)
	flat_store_dwordx4 v[32:33], v[28:31]
.LBB2046_1363:
	s_or_b64 exec, exec, s[2:3]
	v_or_b32_e32 v1, 0x280, v0
	v_cmp_gt_u32_e32 vcc, s4, v1
	s_and_saveexec_b64 s[2:3], vcc
	s_cbranch_execz .LBB2046_1365
; %bb.1364:
	scratch_load_dwordx4 v[28:31], v23, off
	v_add_co_u32_e32 v32, vcc, 0x2000, v4
	s_nop 1
	v_addc_co_u32_e32 v33, vcc, 0, v5, vcc
	s_waitcnt vmcnt(0)
	flat_store_dwordx4 v[32:33], v[28:31] offset:2048
.LBB2046_1365:
	;; [unrolled: 26-line block ×10, first 2 shown]
	s_or_b64 exec, exec, s[2:3]
	v_or_b32_e32 v2, 0xb00, v0
	v_mov_b32_e32 v1, v3
	v_cmp_gt_u32_e64 s[2:3], s4, v2
	s_branch .LBB2046_1400
.LBB2046_1398:
	s_mov_b64 s[2:3], 0
	s_cbranch_execz .LBB2046_1400
; %bb.1399:
	scratch_load_dwordx4 v[2:5], off, off offset:480
	scratch_load_dwordx4 v[28:31], off, s33
	scratch_load_dwordx4 v[32:35], off, s78
	;; [unrolled: 1-line block ×15, first 2 shown]
                                        ; kill: killed $sgpr66
                                        ; kill: killed $sgpr95
                                        ; kill: killed $sgpr33
                                        ; kill: killed $sgpr79
                                        ; kill: killed $sgpr67
                                        ; kill: killed $sgpr96
                                        ; kill: killed $sgpr78
                                        ; kill: killed $sgpr64
                                        ; kill: killed $sgpr82
                                        ; kill: killed $sgpr97
                                        ; kill: killed $sgpr86
                                        ; kill: killed $sgpr65
                                        ; kill: killed $sgpr83
                                        ; kill: killed $sgpr98
                                        ; kill: killed $sgpr87
	scratch_load_dwordx4 v[88:91], off, s99
	scratch_load_dwordx4 v[92:95], off, s80
	;; [unrolled: 1-line block ×7, first 2 shown]
	s_movk_i32 s4, 0x170
	v_mul_i32_i24_e32 v117, 0xfffffea0, v0
	v_mul_u32_u24_e32 v118, 0x170, v0
	v_mad_u32_u24 v119, v0, s4, v117
	v_mov_b32_e32 v1, 0
	v_lshlrev_b32_e32 v116, 4, v0
	v_mov_b32_e32 v117, v1
	v_lshl_add_u64 v[116:117], s[0:1], 0, v[116:117]
	s_movk_i32 s4, 0x1000
	s_or_b64 s[2:3], s[2:3], exec
	s_waitcnt vmcnt(0)
	scratch_store_dwordx4 off, v[2:5], off offset:80
	scratch_store_dwordx4 v27, v[28:31], off
	scratch_store_dwordx4 v26, v[32:35], off
	;; [unrolled: 1-line block ×22, first 2 shown]
	s_waitcnt lgkmcnt(0)
	s_barrier
	scratch_load_dwordx4 v[2:5], off, off offset:80
	scratch_load_dwordx4 v[28:31], v27, off
	scratch_load_dwordx4 v[32:35], v26, off
	scratch_load_dwordx4 v[36:39], v25, off
	scratch_load_dwordx4 v[40:43], v24, off
	scratch_load_dwordx4 v[44:47], v23, off
	scratch_load_dwordx4 v[48:51], v22, off
	scratch_load_dwordx4 v[52:55], v21, off
	scratch_load_dwordx4 v[56:59], v20, off
	scratch_load_dwordx4 v[60:63], v19, off
	scratch_load_dwordx4 v[64:67], v18, off
	scratch_load_dwordx4 v[68:71], v17, off
	scratch_load_dwordx4 v[72:75], v16, off
	scratch_load_dwordx4 v[76:79], v15, off
	scratch_load_dwordx4 v[80:83], v14, off
	scratch_load_dwordx4 v[84:87], v13, off
	scratch_load_dwordx4 v[88:91], v12, off
	scratch_load_dwordx4 v[92:95], v11, off
	scratch_load_dwordx4 v[96:99], v10, off
	scratch_load_dwordx4 v[100:103], v9, off
	scratch_load_dwordx4 v[104:107], v8, off
	scratch_load_dwordx4 v[108:111], v7, off
	scratch_load_dwordx4 v[112:115], v6, off
	s_waitcnt vmcnt(22)
	ds_write_b128 v118, v[2:5]
	s_waitcnt vmcnt(21)
	ds_write_b128 v118, v[28:31] offset:16
	s_waitcnt vmcnt(20)
	ds_write_b128 v118, v[32:35] offset:32
	;; [unrolled: 2-line block ×22, first 2 shown]
	s_waitcnt lgkmcnt(0)
	s_barrier
	ds_read_b128 v[2:5], v119 offset:2048
	ds_read_b128 v[28:31], v119 offset:4096
	;; [unrolled: 1-line block ×21, first 2 shown]
	ds_read2_b32 v[110:111], v119 offset0:2 offset1:3
	ds_read_b128 v[112:115], v119 offset:45056
	ds_read2_b32 v[108:109], v119 offset1:1
	s_waitcnt lgkmcnt(14)
	scratch_store_dwordx4 v27, v[2:5], off
	scratch_store_dwordx4 v26, v[28:31], off
	;; [unrolled: 1-line block ×10, first 2 shown]
	s_waitcnt lgkmcnt(13)
	scratch_store_dwordx4 v17, v[64:67], off
	s_waitcnt lgkmcnt(12)
	scratch_store_dwordx4 v16, v[68:71], off
	;; [unrolled: 2-line block ×12, first 2 shown]
	s_waitcnt lgkmcnt(0)
	flat_store_dwordx4 v[116:117], v[108:111]
	scratch_load_dwordx4 v[2:5], v27, off
	s_waitcnt vmcnt(0)
	flat_store_dwordx4 v[116:117], v[2:5] offset:2048
	scratch_load_dwordx4 v[2:5], v26, off
	v_add_co_u32_e32 v26, vcc, s4, v116
	s_movk_i32 s4, 0x2000
	s_nop 0
	v_addc_co_u32_e32 v27, vcc, 0, v117, vcc
	s_waitcnt vmcnt(0)
	flat_store_dwordx4 v[26:27], v[2:5]
	scratch_load_dwordx4 v[2:5], v25, off
	s_waitcnt vmcnt(0)
	flat_store_dwordx4 v[26:27], v[2:5] offset:2048
	scratch_load_dwordx4 v[2:5], v24, off
	v_add_co_u32_e32 v24, vcc, s4, v116
	s_movk_i32 s4, 0x3000
	s_nop 0
	v_addc_co_u32_e32 v25, vcc, 0, v117, vcc
	s_waitcnt vmcnt(0)
	flat_store_dwordx4 v[24:25], v[2:5]
	scratch_load_dwordx4 v[2:5], v23, off
	s_waitcnt vmcnt(0)
	flat_store_dwordx4 v[24:25], v[2:5] offset:2048
	scratch_load_dwordx4 v[2:5], v22, off
	v_add_co_u32_e32 v22, vcc, s4, v116
	s_movk_i32 s4, 0x4000
	s_nop 0
	v_addc_co_u32_e32 v23, vcc, 0, v117, vcc
	s_waitcnt vmcnt(0)
	flat_store_dwordx4 v[22:23], v[2:5]
	scratch_load_dwordx4 v[2:5], v21, off
	s_waitcnt vmcnt(0)
	flat_store_dwordx4 v[22:23], v[2:5] offset:2048
	scratch_load_dwordx4 v[2:5], v20, off
	v_add_co_u32_e32 v20, vcc, s4, v116
	s_movk_i32 s4, 0x5000
	s_nop 0
	v_addc_co_u32_e32 v21, vcc, 0, v117, vcc
	s_waitcnt vmcnt(0)
	flat_store_dwordx4 v[20:21], v[2:5]
	scratch_load_dwordx4 v[2:5], v19, off
	s_waitcnt vmcnt(0)
	flat_store_dwordx4 v[20:21], v[2:5] offset:2048
	scratch_load_dwordx4 v[2:5], v18, off
	v_add_co_u32_e32 v18, vcc, s4, v116
	s_movk_i32 s4, 0x6000
	s_nop 0
	v_addc_co_u32_e32 v19, vcc, 0, v117, vcc
	s_waitcnt vmcnt(0)
	flat_store_dwordx4 v[18:19], v[2:5]
	scratch_load_dwordx4 v[2:5], v17, off
	s_waitcnt vmcnt(0)
	flat_store_dwordx4 v[18:19], v[2:5] offset:2048
	scratch_load_dwordx4 v[2:5], v16, off
	v_add_co_u32_e32 v16, vcc, s4, v116
	s_movk_i32 s4, 0x7000
	s_nop 0
	v_addc_co_u32_e32 v17, vcc, 0, v117, vcc
	s_waitcnt vmcnt(0)
	flat_store_dwordx4 v[16:17], v[2:5]
	scratch_load_dwordx4 v[2:5], v15, off
	s_waitcnt vmcnt(0)
	flat_store_dwordx4 v[16:17], v[2:5] offset:2048
	scratch_load_dwordx4 v[2:5], v14, off
	v_add_co_u32_e32 v14, vcc, s4, v116
	s_mov_b32 s4, 0x8000
	s_nop 0
	v_addc_co_u32_e32 v15, vcc, 0, v117, vcc
	s_waitcnt vmcnt(0)
	flat_store_dwordx4 v[14:15], v[2:5]
	scratch_load_dwordx4 v[2:5], v13, off
	s_waitcnt vmcnt(0)
	flat_store_dwordx4 v[14:15], v[2:5] offset:2048
	scratch_load_dwordx4 v[2:5], v12, off
	v_add_co_u32_e32 v12, vcc, s4, v116
	s_mov_b32 s4, 0x9000
	s_nop 0
	v_addc_co_u32_e32 v13, vcc, 0, v117, vcc
	s_waitcnt vmcnt(0)
	flat_store_dwordx4 v[12:13], v[2:5]
	scratch_load_dwordx4 v[2:5], v11, off
	s_waitcnt vmcnt(0)
	flat_store_dwordx4 v[12:13], v[2:5] offset:2048
	scratch_load_dwordx4 v[2:5], v10, off
	v_add_co_u32_e32 v10, vcc, s4, v116
	s_nop 1
	v_addc_co_u32_e32 v11, vcc, 0, v117, vcc
	s_waitcnt vmcnt(0)
	flat_store_dwordx4 v[10:11], v[2:5]
	scratch_load_dwordx4 v[2:5], v9, off
	s_waitcnt vmcnt(0)
	flat_store_dwordx4 v[10:11], v[2:5] offset:2048
	scratch_load_dwordx4 v[2:5], v8, off
	v_add_co_u32_e32 v8, vcc, 0xa000, v116
	s_nop 1
	v_addc_co_u32_e32 v9, vcc, 0, v117, vcc
	s_waitcnt vmcnt(0)
	flat_store_dwordx4 v[8:9], v[2:5]
	scratch_load_dwordx4 v[2:5], v7, off
	s_waitcnt vmcnt(0)
	flat_store_dwordx4 v[8:9], v[2:5] offset:2048
.LBB2046_1400:
	s_and_saveexec_b64 s[4:5], s[2:3]
	s_cbranch_execnz .LBB2046_1402
; %bb.1401:
	s_endpgm
.LBB2046_1402:
	scratch_load_dwordx4 v[2:5], v6, off
	v_lshl_add_u64 v[0:1], v[0:1], 4, s[0:1]
	v_add_co_u32_e32 v0, vcc, 0xb000, v0
	s_nop 1
	v_addc_co_u32_e32 v1, vcc, 0, v1, vcc
	s_waitcnt vmcnt(0)
	flat_store_dwordx4 v[0:1], v[2:5]
	s_endpgm
.LBB2046_1403:
	v_lshlrev_b32_e32 v24, 4, v0
	v_lshl_add_u64 v[24:25], s[68:69], 0, v[24:25]
	flat_load_dwordx4 v[70:73], v[24:25]
	s_waitcnt vmcnt(0) lgkmcnt(0)
	scratch_store_dwordx4 off, v[70:73], off offset:80
	s_or_b64 exec, exec, s[0:1]
	s_and_saveexec_b64 s[0:1], s[8:9]
	s_cbranch_execz .LBB2046_747
.LBB2046_1404:
	v_lshlrev_b32_e32 v24, 4, v0
	v_mov_b32_e32 v25, 0
	v_lshl_add_u64 v[24:25], s[68:69], 0, v[24:25]
	flat_load_dwordx4 v[70:73], v[24:25] offset:2048
	s_waitcnt vmcnt(0) lgkmcnt(0)
	scratch_store_dwordx4 off, v[70:73], off offset:96
	s_or_b64 exec, exec, s[0:1]
	s_and_saveexec_b64 s[0:1], s[10:11]
	s_cbranch_execz .LBB2046_748
.LBB2046_1405:
	v_lshlrev_b32_e32 v24, 4, v48
	v_mov_b32_e32 v25, 0
	v_lshl_add_u64 v[24:25], s[68:69], 0, v[24:25]
	flat_load_dwordx4 v[70:73], v[24:25]
	s_waitcnt vmcnt(0) lgkmcnt(0)
	scratch_store_dwordx4 off, v[70:73], off offset:112
	s_or_b64 exec, exec, s[0:1]
	s_and_saveexec_b64 s[0:1], s[12:13]
	s_cbranch_execz .LBB2046_749
.LBB2046_1406:
	v_lshlrev_b32_e32 v24, 4, v49
	v_mov_b32_e32 v25, 0
	v_lshl_add_u64 v[24:25], s[68:69], 0, v[24:25]
	flat_load_dwordx4 v[70:73], v[24:25]
	s_waitcnt vmcnt(0) lgkmcnt(0)
	scratch_store_dwordx4 off, v[70:73], off offset:128
	s_or_b64 exec, exec, s[0:1]
	s_and_saveexec_b64 s[0:1], s[14:15]
	s_cbranch_execz .LBB2046_750
.LBB2046_1407:
	v_lshlrev_b32_e32 v24, 4, v50
	v_mov_b32_e32 v25, 0
	v_lshl_add_u64 v[24:25], s[68:69], 0, v[24:25]
	flat_load_dwordx4 v[70:73], v[24:25]
	s_waitcnt vmcnt(0) lgkmcnt(0)
	scratch_store_dwordx4 off, v[70:73], off offset:144
	s_or_b64 exec, exec, s[0:1]
	s_and_saveexec_b64 s[0:1], s[16:17]
	s_cbranch_execz .LBB2046_751
.LBB2046_1408:
	v_lshlrev_b32_e32 v24, 4, v51
	v_mov_b32_e32 v25, 0
	v_lshl_add_u64 v[24:25], s[68:69], 0, v[24:25]
	flat_load_dwordx4 v[48:51], v[24:25]
	s_waitcnt vmcnt(0) lgkmcnt(0)
	scratch_store_dwordx4 off, v[48:51], off offset:160
	s_or_b64 exec, exec, s[0:1]
	s_and_saveexec_b64 s[0:1], s[18:19]
	s_cbranch_execz .LBB2046_752
.LBB2046_1409:
	v_lshlrev_b32_e32 v24, 4, v52
	v_mov_b32_e32 v25, 0
	v_lshl_add_u64 v[24:25], s[68:69], 0, v[24:25]
	flat_load_dwordx4 v[48:51], v[24:25]
	s_waitcnt vmcnt(0) lgkmcnt(0)
	scratch_store_dwordx4 off, v[48:51], off offset:176
	s_or_b64 exec, exec, s[0:1]
	s_and_saveexec_b64 s[0:1], s[20:21]
	s_cbranch_execz .LBB2046_753
.LBB2046_1410:
	v_lshlrev_b32_e32 v24, 4, v53
	v_mov_b32_e32 v25, 0
	v_lshl_add_u64 v[24:25], s[68:69], 0, v[24:25]
	flat_load_dwordx4 v[48:51], v[24:25]
	s_waitcnt vmcnt(0) lgkmcnt(0)
	scratch_store_dwordx4 off, v[48:51], off offset:192
	s_or_b64 exec, exec, s[0:1]
	s_and_saveexec_b64 s[0:1], s[22:23]
	s_cbranch_execz .LBB2046_754
.LBB2046_1411:
	v_lshlrev_b32_e32 v24, 4, v54
	v_mov_b32_e32 v25, 0
	v_lshl_add_u64 v[24:25], s[68:69], 0, v[24:25]
	flat_load_dwordx4 v[48:51], v[24:25]
	s_waitcnt vmcnt(0) lgkmcnt(0)
	scratch_store_dwordx4 off, v[48:51], off offset:208
	s_or_b64 exec, exec, s[0:1]
	s_and_saveexec_b64 s[0:1], s[24:25]
	s_cbranch_execz .LBB2046_755
.LBB2046_1412:
	v_lshlrev_b32_e32 v24, 4, v56
	v_mov_b32_e32 v25, 0
	v_lshl_add_u64 v[24:25], s[68:69], 0, v[24:25]
	flat_load_dwordx4 v[48:51], v[24:25]
	s_waitcnt vmcnt(0) lgkmcnt(0)
	scratch_store_dwordx4 off, v[48:51], off offset:224
	s_or_b64 exec, exec, s[0:1]
	s_and_saveexec_b64 s[0:1], s[26:27]
	s_cbranch_execz .LBB2046_756
.LBB2046_1413:
	v_lshlrev_b32_e32 v24, 4, v57
	v_mov_b32_e32 v25, 0
	v_lshl_add_u64 v[24:25], s[68:69], 0, v[24:25]
	flat_load_dwordx4 v[48:51], v[24:25]
	s_waitcnt vmcnt(0) lgkmcnt(0)
	scratch_store_dwordx4 off, v[48:51], off offset:240
	s_or_b64 exec, exec, s[0:1]
	s_and_saveexec_b64 s[0:1], s[28:29]
	s_cbranch_execz .LBB2046_757
.LBB2046_1414:
	v_lshlrev_b32_e32 v24, 4, v58
	v_mov_b32_e32 v25, 0
	v_lshl_add_u64 v[24:25], s[68:69], 0, v[24:25]
	flat_load_dwordx4 v[48:51], v[24:25]
	s_waitcnt vmcnt(0) lgkmcnt(0)
	scratch_store_dwordx4 off, v[48:51], off offset:256
	s_or_b64 exec, exec, s[0:1]
	s_and_saveexec_b64 s[0:1], s[30:31]
	s_cbranch_execz .LBB2046_758
.LBB2046_1415:
	v_lshlrev_b32_e32 v24, 4, v59
	v_mov_b32_e32 v25, 0
	v_lshl_add_u64 v[24:25], s[68:69], 0, v[24:25]
	flat_load_dwordx4 v[48:51], v[24:25]
	s_waitcnt vmcnt(0) lgkmcnt(0)
	scratch_store_dwordx4 off, v[48:51], off offset:272
	s_or_b64 exec, exec, s[0:1]
	s_and_saveexec_b64 s[0:1], s[34:35]
	s_cbranch_execz .LBB2046_759
.LBB2046_1416:
	v_lshlrev_b32_e32 v24, 4, v60
	v_mov_b32_e32 v25, 0
	v_lshl_add_u64 v[24:25], s[68:69], 0, v[24:25]
	flat_load_dwordx4 v[48:51], v[24:25]
	s_waitcnt vmcnt(0) lgkmcnt(0)
	scratch_store_dwordx4 off, v[48:51], off offset:288
	s_or_b64 exec, exec, s[0:1]
	s_and_saveexec_b64 s[0:1], s[36:37]
	s_cbranch_execz .LBB2046_760
.LBB2046_1417:
	v_lshlrev_b32_e32 v24, 4, v61
	v_mov_b32_e32 v25, 0
	v_lshl_add_u64 v[24:25], s[68:69], 0, v[24:25]
	flat_load_dwordx4 v[48:51], v[24:25]
	s_waitcnt vmcnt(0) lgkmcnt(0)
	scratch_store_dwordx4 off, v[48:51], off offset:304
	s_or_b64 exec, exec, s[0:1]
	s_and_saveexec_b64 s[0:1], s[38:39]
	s_cbranch_execz .LBB2046_761
.LBB2046_1418:
	v_lshlrev_b32_e32 v24, 4, v62
	v_mov_b32_e32 v25, 0
	v_lshl_add_u64 v[24:25], s[68:69], 0, v[24:25]
	flat_load_dwordx4 v[48:51], v[24:25]
	s_waitcnt vmcnt(0) lgkmcnt(0)
	scratch_store_dwordx4 off, v[48:51], off offset:320
	s_or_b64 exec, exec, s[0:1]
	s_and_saveexec_b64 s[0:1], s[40:41]
	s_cbranch_execz .LBB2046_762
.LBB2046_1419:
	v_lshlrev_b32_e32 v24, 4, v63
	v_mov_b32_e32 v25, 0
	v_lshl_add_u64 v[24:25], s[68:69], 0, v[24:25]
	flat_load_dwordx4 v[48:51], v[24:25]
	s_waitcnt vmcnt(0) lgkmcnt(0)
	scratch_store_dwordx4 off, v[48:51], off offset:336
	s_or_b64 exec, exec, s[0:1]
	s_and_saveexec_b64 s[0:1], s[42:43]
	s_cbranch_execz .LBB2046_763
.LBB2046_1420:
	v_lshlrev_b32_e32 v24, 4, v64
	v_mov_b32_e32 v25, 0
	v_lshl_add_u64 v[24:25], s[68:69], 0, v[24:25]
	flat_load_dwordx4 v[48:51], v[24:25]
	s_waitcnt vmcnt(0) lgkmcnt(0)
	scratch_store_dwordx4 off, v[48:51], off offset:352
	s_or_b64 exec, exec, s[0:1]
	s_and_saveexec_b64 s[0:1], s[44:45]
	s_cbranch_execz .LBB2046_764
.LBB2046_1421:
	v_lshlrev_b32_e32 v24, 4, v65
	v_mov_b32_e32 v25, 0
	v_lshl_add_u64 v[24:25], s[68:69], 0, v[24:25]
	flat_load_dwordx4 v[48:51], v[24:25]
	s_waitcnt vmcnt(0) lgkmcnt(0)
	scratch_store_dwordx4 off, v[48:51], off offset:368
	s_or_b64 exec, exec, s[0:1]
	s_and_saveexec_b64 s[0:1], s[46:47]
	s_cbranch_execz .LBB2046_765
.LBB2046_1422:
	v_lshlrev_b32_e32 v24, 4, v66
	v_mov_b32_e32 v25, 0
	v_lshl_add_u64 v[24:25], s[68:69], 0, v[24:25]
	flat_load_dwordx4 v[48:51], v[24:25]
	s_waitcnt vmcnt(0) lgkmcnt(0)
	scratch_store_dwordx4 off, v[48:51], off offset:384
	s_or_b64 exec, exec, s[0:1]
	s_and_saveexec_b64 s[0:1], s[48:49]
	s_cbranch_execz .LBB2046_766
.LBB2046_1423:
	v_lshlrev_b32_e32 v24, 4, v67
	v_mov_b32_e32 v25, 0
	v_lshl_add_u64 v[24:25], s[68:69], 0, v[24:25]
	flat_load_dwordx4 v[48:51], v[24:25]
	s_waitcnt vmcnt(0) lgkmcnt(0)
	scratch_store_dwordx4 off, v[48:51], off offset:400
	s_or_b64 exec, exec, s[0:1]
	s_and_saveexec_b64 s[0:1], s[50:51]
	s_cbranch_execz .LBB2046_767
.LBB2046_1424:
	v_lshlrev_b32_e32 v24, 4, v68
	v_mov_b32_e32 v25, 0
	v_lshl_add_u64 v[24:25], s[68:69], 0, v[24:25]
	flat_load_dwordx4 v[48:51], v[24:25]
	s_waitcnt vmcnt(0) lgkmcnt(0)
	scratch_store_dwordx4 off, v[48:51], off offset:416
	s_or_b64 exec, exec, s[0:1]
	s_and_saveexec_b64 s[0:1], s[52:53]
	s_cbranch_execnz .LBB2046_768
	s_branch .LBB2046_769
.LBB2046_1425:
                                        ; implicit-def: $sgpr0_sgpr1
	s_branch .LBB2046_742
.LBB2046_1426:
                                        ; implicit-def: $sgpr0_sgpr1
	s_branch .LBB2046_817
	.section	.rodata,"a",@progbits
	.p2align	6, 0x0
	.amdhsa_kernel _ZN7rocprim17ROCPRIM_400000_NS6detail17trampoline_kernelINS0_14default_configENS1_27scan_by_key_config_selectorIj11FixedVectorIiLj4EEEEZZNS1_16scan_by_key_implILNS1_25lookback_scan_determinismE0ELb0ES3_N6thrust23THRUST_200600_302600_NS6detail15normal_iteratorINSB_10device_ptrIjEEEENSD_INSE_IS6_EEEESI_S6_NSB_4plusIvEENSB_8equal_toIvEES6_EE10hipError_tPvRmT2_T3_T4_T5_mT6_T7_P12ihipStream_tbENKUlT_T0_E_clISt17integral_constantIbLb1EES13_EEDaSY_SZ_EUlSY_E_NS1_11comp_targetILNS1_3genE5ELNS1_11target_archE942ELNS1_3gpuE9ELNS1_3repE0EEENS1_30default_config_static_selectorELNS0_4arch9wavefront6targetE1EEEvT1_
		.amdhsa_group_segment_fixed_size 47104
		.amdhsa_private_segment_fixed_size 944
		.amdhsa_kernarg_size 144
		.amdhsa_user_sgpr_count 2
		.amdhsa_user_sgpr_dispatch_ptr 0
		.amdhsa_user_sgpr_queue_ptr 0
		.amdhsa_user_sgpr_kernarg_segment_ptr 1
		.amdhsa_user_sgpr_dispatch_id 0
		.amdhsa_user_sgpr_kernarg_preload_length 0
		.amdhsa_user_sgpr_kernarg_preload_offset 0
		.amdhsa_user_sgpr_private_segment_size 0
		.amdhsa_uses_dynamic_stack 0
		.amdhsa_enable_private_segment 1
		.amdhsa_system_sgpr_workgroup_id_x 1
		.amdhsa_system_sgpr_workgroup_id_y 0
		.amdhsa_system_sgpr_workgroup_id_z 0
		.amdhsa_system_sgpr_workgroup_info 0
		.amdhsa_system_vgpr_workitem_id 0
		.amdhsa_next_free_vgpr 201
		.amdhsa_next_free_sgpr 100
		.amdhsa_accum_offset 204
		.amdhsa_reserve_vcc 1
		.amdhsa_float_round_mode_32 0
		.amdhsa_float_round_mode_16_64 0
		.amdhsa_float_denorm_mode_32 3
		.amdhsa_float_denorm_mode_16_64 3
		.amdhsa_dx10_clamp 1
		.amdhsa_ieee_mode 1
		.amdhsa_fp16_overflow 0
		.amdhsa_tg_split 0
		.amdhsa_exception_fp_ieee_invalid_op 0
		.amdhsa_exception_fp_denorm_src 0
		.amdhsa_exception_fp_ieee_div_zero 0
		.amdhsa_exception_fp_ieee_overflow 0
		.amdhsa_exception_fp_ieee_underflow 0
		.amdhsa_exception_fp_ieee_inexact 0
		.amdhsa_exception_int_div_zero 0
	.end_amdhsa_kernel
	.section	.text._ZN7rocprim17ROCPRIM_400000_NS6detail17trampoline_kernelINS0_14default_configENS1_27scan_by_key_config_selectorIj11FixedVectorIiLj4EEEEZZNS1_16scan_by_key_implILNS1_25lookback_scan_determinismE0ELb0ES3_N6thrust23THRUST_200600_302600_NS6detail15normal_iteratorINSB_10device_ptrIjEEEENSD_INSE_IS6_EEEESI_S6_NSB_4plusIvEENSB_8equal_toIvEES6_EE10hipError_tPvRmT2_T3_T4_T5_mT6_T7_P12ihipStream_tbENKUlT_T0_E_clISt17integral_constantIbLb1EES13_EEDaSY_SZ_EUlSY_E_NS1_11comp_targetILNS1_3genE5ELNS1_11target_archE942ELNS1_3gpuE9ELNS1_3repE0EEENS1_30default_config_static_selectorELNS0_4arch9wavefront6targetE1EEEvT1_,"axG",@progbits,_ZN7rocprim17ROCPRIM_400000_NS6detail17trampoline_kernelINS0_14default_configENS1_27scan_by_key_config_selectorIj11FixedVectorIiLj4EEEEZZNS1_16scan_by_key_implILNS1_25lookback_scan_determinismE0ELb0ES3_N6thrust23THRUST_200600_302600_NS6detail15normal_iteratorINSB_10device_ptrIjEEEENSD_INSE_IS6_EEEESI_S6_NSB_4plusIvEENSB_8equal_toIvEES6_EE10hipError_tPvRmT2_T3_T4_T5_mT6_T7_P12ihipStream_tbENKUlT_T0_E_clISt17integral_constantIbLb1EES13_EEDaSY_SZ_EUlSY_E_NS1_11comp_targetILNS1_3genE5ELNS1_11target_archE942ELNS1_3gpuE9ELNS1_3repE0EEENS1_30default_config_static_selectorELNS0_4arch9wavefront6targetE1EEEvT1_,comdat
.Lfunc_end2046:
	.size	_ZN7rocprim17ROCPRIM_400000_NS6detail17trampoline_kernelINS0_14default_configENS1_27scan_by_key_config_selectorIj11FixedVectorIiLj4EEEEZZNS1_16scan_by_key_implILNS1_25lookback_scan_determinismE0ELb0ES3_N6thrust23THRUST_200600_302600_NS6detail15normal_iteratorINSB_10device_ptrIjEEEENSD_INSE_IS6_EEEESI_S6_NSB_4plusIvEENSB_8equal_toIvEES6_EE10hipError_tPvRmT2_T3_T4_T5_mT6_T7_P12ihipStream_tbENKUlT_T0_E_clISt17integral_constantIbLb1EES13_EEDaSY_SZ_EUlSY_E_NS1_11comp_targetILNS1_3genE5ELNS1_11target_archE942ELNS1_3gpuE9ELNS1_3repE0EEENS1_30default_config_static_selectorELNS0_4arch9wavefront6targetE1EEEvT1_, .Lfunc_end2046-_ZN7rocprim17ROCPRIM_400000_NS6detail17trampoline_kernelINS0_14default_configENS1_27scan_by_key_config_selectorIj11FixedVectorIiLj4EEEEZZNS1_16scan_by_key_implILNS1_25lookback_scan_determinismE0ELb0ES3_N6thrust23THRUST_200600_302600_NS6detail15normal_iteratorINSB_10device_ptrIjEEEENSD_INSE_IS6_EEEESI_S6_NSB_4plusIvEENSB_8equal_toIvEES6_EE10hipError_tPvRmT2_T3_T4_T5_mT6_T7_P12ihipStream_tbENKUlT_T0_E_clISt17integral_constantIbLb1EES13_EEDaSY_SZ_EUlSY_E_NS1_11comp_targetILNS1_3genE5ELNS1_11target_archE942ELNS1_3gpuE9ELNS1_3repE0EEENS1_30default_config_static_selectorELNS0_4arch9wavefront6targetE1EEEvT1_
                                        ; -- End function
	.section	.AMDGPU.csdata,"",@progbits
; Kernel info:
; codeLenInByte = 48452
; NumSgprs: 106
; NumVgprs: 201
; NumAgprs: 0
; TotalNumVgprs: 201
; ScratchSize: 944
; MemoryBound: 0
; FloatMode: 240
; IeeeMode: 1
; LDSByteSize: 47104 bytes/workgroup (compile time only)
; SGPRBlocks: 13
; VGPRBlocks: 25
; NumSGPRsForWavesPerEU: 106
; NumVGPRsForWavesPerEU: 201
; AccumOffset: 204
; Occupancy: 1
; WaveLimiterHint : 1
; COMPUTE_PGM_RSRC2:SCRATCH_EN: 1
; COMPUTE_PGM_RSRC2:USER_SGPR: 2
; COMPUTE_PGM_RSRC2:TRAP_HANDLER: 0
; COMPUTE_PGM_RSRC2:TGID_X_EN: 1
; COMPUTE_PGM_RSRC2:TGID_Y_EN: 0
; COMPUTE_PGM_RSRC2:TGID_Z_EN: 0
; COMPUTE_PGM_RSRC2:TIDIG_COMP_CNT: 0
; COMPUTE_PGM_RSRC3_GFX90A:ACCUM_OFFSET: 50
; COMPUTE_PGM_RSRC3_GFX90A:TG_SPLIT: 0
	.section	.text._ZN7rocprim17ROCPRIM_400000_NS6detail17trampoline_kernelINS0_14default_configENS1_27scan_by_key_config_selectorIj11FixedVectorIiLj4EEEEZZNS1_16scan_by_key_implILNS1_25lookback_scan_determinismE0ELb0ES3_N6thrust23THRUST_200600_302600_NS6detail15normal_iteratorINSB_10device_ptrIjEEEENSD_INSE_IS6_EEEESI_S6_NSB_4plusIvEENSB_8equal_toIvEES6_EE10hipError_tPvRmT2_T3_T4_T5_mT6_T7_P12ihipStream_tbENKUlT_T0_E_clISt17integral_constantIbLb1EES13_EEDaSY_SZ_EUlSY_E_NS1_11comp_targetILNS1_3genE4ELNS1_11target_archE910ELNS1_3gpuE8ELNS1_3repE0EEENS1_30default_config_static_selectorELNS0_4arch9wavefront6targetE1EEEvT1_,"axG",@progbits,_ZN7rocprim17ROCPRIM_400000_NS6detail17trampoline_kernelINS0_14default_configENS1_27scan_by_key_config_selectorIj11FixedVectorIiLj4EEEEZZNS1_16scan_by_key_implILNS1_25lookback_scan_determinismE0ELb0ES3_N6thrust23THRUST_200600_302600_NS6detail15normal_iteratorINSB_10device_ptrIjEEEENSD_INSE_IS6_EEEESI_S6_NSB_4plusIvEENSB_8equal_toIvEES6_EE10hipError_tPvRmT2_T3_T4_T5_mT6_T7_P12ihipStream_tbENKUlT_T0_E_clISt17integral_constantIbLb1EES13_EEDaSY_SZ_EUlSY_E_NS1_11comp_targetILNS1_3genE4ELNS1_11target_archE910ELNS1_3gpuE8ELNS1_3repE0EEENS1_30default_config_static_selectorELNS0_4arch9wavefront6targetE1EEEvT1_,comdat
	.protected	_ZN7rocprim17ROCPRIM_400000_NS6detail17trampoline_kernelINS0_14default_configENS1_27scan_by_key_config_selectorIj11FixedVectorIiLj4EEEEZZNS1_16scan_by_key_implILNS1_25lookback_scan_determinismE0ELb0ES3_N6thrust23THRUST_200600_302600_NS6detail15normal_iteratorINSB_10device_ptrIjEEEENSD_INSE_IS6_EEEESI_S6_NSB_4plusIvEENSB_8equal_toIvEES6_EE10hipError_tPvRmT2_T3_T4_T5_mT6_T7_P12ihipStream_tbENKUlT_T0_E_clISt17integral_constantIbLb1EES13_EEDaSY_SZ_EUlSY_E_NS1_11comp_targetILNS1_3genE4ELNS1_11target_archE910ELNS1_3gpuE8ELNS1_3repE0EEENS1_30default_config_static_selectorELNS0_4arch9wavefront6targetE1EEEvT1_ ; -- Begin function _ZN7rocprim17ROCPRIM_400000_NS6detail17trampoline_kernelINS0_14default_configENS1_27scan_by_key_config_selectorIj11FixedVectorIiLj4EEEEZZNS1_16scan_by_key_implILNS1_25lookback_scan_determinismE0ELb0ES3_N6thrust23THRUST_200600_302600_NS6detail15normal_iteratorINSB_10device_ptrIjEEEENSD_INSE_IS6_EEEESI_S6_NSB_4plusIvEENSB_8equal_toIvEES6_EE10hipError_tPvRmT2_T3_T4_T5_mT6_T7_P12ihipStream_tbENKUlT_T0_E_clISt17integral_constantIbLb1EES13_EEDaSY_SZ_EUlSY_E_NS1_11comp_targetILNS1_3genE4ELNS1_11target_archE910ELNS1_3gpuE8ELNS1_3repE0EEENS1_30default_config_static_selectorELNS0_4arch9wavefront6targetE1EEEvT1_
	.globl	_ZN7rocprim17ROCPRIM_400000_NS6detail17trampoline_kernelINS0_14default_configENS1_27scan_by_key_config_selectorIj11FixedVectorIiLj4EEEEZZNS1_16scan_by_key_implILNS1_25lookback_scan_determinismE0ELb0ES3_N6thrust23THRUST_200600_302600_NS6detail15normal_iteratorINSB_10device_ptrIjEEEENSD_INSE_IS6_EEEESI_S6_NSB_4plusIvEENSB_8equal_toIvEES6_EE10hipError_tPvRmT2_T3_T4_T5_mT6_T7_P12ihipStream_tbENKUlT_T0_E_clISt17integral_constantIbLb1EES13_EEDaSY_SZ_EUlSY_E_NS1_11comp_targetILNS1_3genE4ELNS1_11target_archE910ELNS1_3gpuE8ELNS1_3repE0EEENS1_30default_config_static_selectorELNS0_4arch9wavefront6targetE1EEEvT1_
	.p2align	8
	.type	_ZN7rocprim17ROCPRIM_400000_NS6detail17trampoline_kernelINS0_14default_configENS1_27scan_by_key_config_selectorIj11FixedVectorIiLj4EEEEZZNS1_16scan_by_key_implILNS1_25lookback_scan_determinismE0ELb0ES3_N6thrust23THRUST_200600_302600_NS6detail15normal_iteratorINSB_10device_ptrIjEEEENSD_INSE_IS6_EEEESI_S6_NSB_4plusIvEENSB_8equal_toIvEES6_EE10hipError_tPvRmT2_T3_T4_T5_mT6_T7_P12ihipStream_tbENKUlT_T0_E_clISt17integral_constantIbLb1EES13_EEDaSY_SZ_EUlSY_E_NS1_11comp_targetILNS1_3genE4ELNS1_11target_archE910ELNS1_3gpuE8ELNS1_3repE0EEENS1_30default_config_static_selectorELNS0_4arch9wavefront6targetE1EEEvT1_,@function
_ZN7rocprim17ROCPRIM_400000_NS6detail17trampoline_kernelINS0_14default_configENS1_27scan_by_key_config_selectorIj11FixedVectorIiLj4EEEEZZNS1_16scan_by_key_implILNS1_25lookback_scan_determinismE0ELb0ES3_N6thrust23THRUST_200600_302600_NS6detail15normal_iteratorINSB_10device_ptrIjEEEENSD_INSE_IS6_EEEESI_S6_NSB_4plusIvEENSB_8equal_toIvEES6_EE10hipError_tPvRmT2_T3_T4_T5_mT6_T7_P12ihipStream_tbENKUlT_T0_E_clISt17integral_constantIbLb1EES13_EEDaSY_SZ_EUlSY_E_NS1_11comp_targetILNS1_3genE4ELNS1_11target_archE910ELNS1_3gpuE8ELNS1_3repE0EEENS1_30default_config_static_selectorELNS0_4arch9wavefront6targetE1EEEvT1_: ; @_ZN7rocprim17ROCPRIM_400000_NS6detail17trampoline_kernelINS0_14default_configENS1_27scan_by_key_config_selectorIj11FixedVectorIiLj4EEEEZZNS1_16scan_by_key_implILNS1_25lookback_scan_determinismE0ELb0ES3_N6thrust23THRUST_200600_302600_NS6detail15normal_iteratorINSB_10device_ptrIjEEEENSD_INSE_IS6_EEEESI_S6_NSB_4plusIvEENSB_8equal_toIvEES6_EE10hipError_tPvRmT2_T3_T4_T5_mT6_T7_P12ihipStream_tbENKUlT_T0_E_clISt17integral_constantIbLb1EES13_EEDaSY_SZ_EUlSY_E_NS1_11comp_targetILNS1_3genE4ELNS1_11target_archE910ELNS1_3gpuE8ELNS1_3repE0EEENS1_30default_config_static_selectorELNS0_4arch9wavefront6targetE1EEEvT1_
; %bb.0:
	.section	.rodata,"a",@progbits
	.p2align	6, 0x0
	.amdhsa_kernel _ZN7rocprim17ROCPRIM_400000_NS6detail17trampoline_kernelINS0_14default_configENS1_27scan_by_key_config_selectorIj11FixedVectorIiLj4EEEEZZNS1_16scan_by_key_implILNS1_25lookback_scan_determinismE0ELb0ES3_N6thrust23THRUST_200600_302600_NS6detail15normal_iteratorINSB_10device_ptrIjEEEENSD_INSE_IS6_EEEESI_S6_NSB_4plusIvEENSB_8equal_toIvEES6_EE10hipError_tPvRmT2_T3_T4_T5_mT6_T7_P12ihipStream_tbENKUlT_T0_E_clISt17integral_constantIbLb1EES13_EEDaSY_SZ_EUlSY_E_NS1_11comp_targetILNS1_3genE4ELNS1_11target_archE910ELNS1_3gpuE8ELNS1_3repE0EEENS1_30default_config_static_selectorELNS0_4arch9wavefront6targetE1EEEvT1_
		.amdhsa_group_segment_fixed_size 0
		.amdhsa_private_segment_fixed_size 0
		.amdhsa_kernarg_size 144
		.amdhsa_user_sgpr_count 2
		.amdhsa_user_sgpr_dispatch_ptr 0
		.amdhsa_user_sgpr_queue_ptr 0
		.amdhsa_user_sgpr_kernarg_segment_ptr 1
		.amdhsa_user_sgpr_dispatch_id 0
		.amdhsa_user_sgpr_kernarg_preload_length 0
		.amdhsa_user_sgpr_kernarg_preload_offset 0
		.amdhsa_user_sgpr_private_segment_size 0
		.amdhsa_uses_dynamic_stack 0
		.amdhsa_enable_private_segment 0
		.amdhsa_system_sgpr_workgroup_id_x 1
		.amdhsa_system_sgpr_workgroup_id_y 0
		.amdhsa_system_sgpr_workgroup_id_z 0
		.amdhsa_system_sgpr_workgroup_info 0
		.amdhsa_system_vgpr_workitem_id 0
		.amdhsa_next_free_vgpr 1
		.amdhsa_next_free_sgpr 0
		.amdhsa_accum_offset 4
		.amdhsa_reserve_vcc 0
		.amdhsa_float_round_mode_32 0
		.amdhsa_float_round_mode_16_64 0
		.amdhsa_float_denorm_mode_32 3
		.amdhsa_float_denorm_mode_16_64 3
		.amdhsa_dx10_clamp 1
		.amdhsa_ieee_mode 1
		.amdhsa_fp16_overflow 0
		.amdhsa_tg_split 0
		.amdhsa_exception_fp_ieee_invalid_op 0
		.amdhsa_exception_fp_denorm_src 0
		.amdhsa_exception_fp_ieee_div_zero 0
		.amdhsa_exception_fp_ieee_overflow 0
		.amdhsa_exception_fp_ieee_underflow 0
		.amdhsa_exception_fp_ieee_inexact 0
		.amdhsa_exception_int_div_zero 0
	.end_amdhsa_kernel
	.section	.text._ZN7rocprim17ROCPRIM_400000_NS6detail17trampoline_kernelINS0_14default_configENS1_27scan_by_key_config_selectorIj11FixedVectorIiLj4EEEEZZNS1_16scan_by_key_implILNS1_25lookback_scan_determinismE0ELb0ES3_N6thrust23THRUST_200600_302600_NS6detail15normal_iteratorINSB_10device_ptrIjEEEENSD_INSE_IS6_EEEESI_S6_NSB_4plusIvEENSB_8equal_toIvEES6_EE10hipError_tPvRmT2_T3_T4_T5_mT6_T7_P12ihipStream_tbENKUlT_T0_E_clISt17integral_constantIbLb1EES13_EEDaSY_SZ_EUlSY_E_NS1_11comp_targetILNS1_3genE4ELNS1_11target_archE910ELNS1_3gpuE8ELNS1_3repE0EEENS1_30default_config_static_selectorELNS0_4arch9wavefront6targetE1EEEvT1_,"axG",@progbits,_ZN7rocprim17ROCPRIM_400000_NS6detail17trampoline_kernelINS0_14default_configENS1_27scan_by_key_config_selectorIj11FixedVectorIiLj4EEEEZZNS1_16scan_by_key_implILNS1_25lookback_scan_determinismE0ELb0ES3_N6thrust23THRUST_200600_302600_NS6detail15normal_iteratorINSB_10device_ptrIjEEEENSD_INSE_IS6_EEEESI_S6_NSB_4plusIvEENSB_8equal_toIvEES6_EE10hipError_tPvRmT2_T3_T4_T5_mT6_T7_P12ihipStream_tbENKUlT_T0_E_clISt17integral_constantIbLb1EES13_EEDaSY_SZ_EUlSY_E_NS1_11comp_targetILNS1_3genE4ELNS1_11target_archE910ELNS1_3gpuE8ELNS1_3repE0EEENS1_30default_config_static_selectorELNS0_4arch9wavefront6targetE1EEEvT1_,comdat
.Lfunc_end2047:
	.size	_ZN7rocprim17ROCPRIM_400000_NS6detail17trampoline_kernelINS0_14default_configENS1_27scan_by_key_config_selectorIj11FixedVectorIiLj4EEEEZZNS1_16scan_by_key_implILNS1_25lookback_scan_determinismE0ELb0ES3_N6thrust23THRUST_200600_302600_NS6detail15normal_iteratorINSB_10device_ptrIjEEEENSD_INSE_IS6_EEEESI_S6_NSB_4plusIvEENSB_8equal_toIvEES6_EE10hipError_tPvRmT2_T3_T4_T5_mT6_T7_P12ihipStream_tbENKUlT_T0_E_clISt17integral_constantIbLb1EES13_EEDaSY_SZ_EUlSY_E_NS1_11comp_targetILNS1_3genE4ELNS1_11target_archE910ELNS1_3gpuE8ELNS1_3repE0EEENS1_30default_config_static_selectorELNS0_4arch9wavefront6targetE1EEEvT1_, .Lfunc_end2047-_ZN7rocprim17ROCPRIM_400000_NS6detail17trampoline_kernelINS0_14default_configENS1_27scan_by_key_config_selectorIj11FixedVectorIiLj4EEEEZZNS1_16scan_by_key_implILNS1_25lookback_scan_determinismE0ELb0ES3_N6thrust23THRUST_200600_302600_NS6detail15normal_iteratorINSB_10device_ptrIjEEEENSD_INSE_IS6_EEEESI_S6_NSB_4plusIvEENSB_8equal_toIvEES6_EE10hipError_tPvRmT2_T3_T4_T5_mT6_T7_P12ihipStream_tbENKUlT_T0_E_clISt17integral_constantIbLb1EES13_EEDaSY_SZ_EUlSY_E_NS1_11comp_targetILNS1_3genE4ELNS1_11target_archE910ELNS1_3gpuE8ELNS1_3repE0EEENS1_30default_config_static_selectorELNS0_4arch9wavefront6targetE1EEEvT1_
                                        ; -- End function
	.section	.AMDGPU.csdata,"",@progbits
; Kernel info:
; codeLenInByte = 0
; NumSgprs: 6
; NumVgprs: 0
; NumAgprs: 0
; TotalNumVgprs: 0
; ScratchSize: 0
; MemoryBound: 0
; FloatMode: 240
; IeeeMode: 1
; LDSByteSize: 0 bytes/workgroup (compile time only)
; SGPRBlocks: 0
; VGPRBlocks: 0
; NumSGPRsForWavesPerEU: 6
; NumVGPRsForWavesPerEU: 1
; AccumOffset: 4
; Occupancy: 8
; WaveLimiterHint : 0
; COMPUTE_PGM_RSRC2:SCRATCH_EN: 0
; COMPUTE_PGM_RSRC2:USER_SGPR: 2
; COMPUTE_PGM_RSRC2:TRAP_HANDLER: 0
; COMPUTE_PGM_RSRC2:TGID_X_EN: 1
; COMPUTE_PGM_RSRC2:TGID_Y_EN: 0
; COMPUTE_PGM_RSRC2:TGID_Z_EN: 0
; COMPUTE_PGM_RSRC2:TIDIG_COMP_CNT: 0
; COMPUTE_PGM_RSRC3_GFX90A:ACCUM_OFFSET: 0
; COMPUTE_PGM_RSRC3_GFX90A:TG_SPLIT: 0
	.section	.text._ZN7rocprim17ROCPRIM_400000_NS6detail17trampoline_kernelINS0_14default_configENS1_27scan_by_key_config_selectorIj11FixedVectorIiLj4EEEEZZNS1_16scan_by_key_implILNS1_25lookback_scan_determinismE0ELb0ES3_N6thrust23THRUST_200600_302600_NS6detail15normal_iteratorINSB_10device_ptrIjEEEENSD_INSE_IS6_EEEESI_S6_NSB_4plusIvEENSB_8equal_toIvEES6_EE10hipError_tPvRmT2_T3_T4_T5_mT6_T7_P12ihipStream_tbENKUlT_T0_E_clISt17integral_constantIbLb1EES13_EEDaSY_SZ_EUlSY_E_NS1_11comp_targetILNS1_3genE3ELNS1_11target_archE908ELNS1_3gpuE7ELNS1_3repE0EEENS1_30default_config_static_selectorELNS0_4arch9wavefront6targetE1EEEvT1_,"axG",@progbits,_ZN7rocprim17ROCPRIM_400000_NS6detail17trampoline_kernelINS0_14default_configENS1_27scan_by_key_config_selectorIj11FixedVectorIiLj4EEEEZZNS1_16scan_by_key_implILNS1_25lookback_scan_determinismE0ELb0ES3_N6thrust23THRUST_200600_302600_NS6detail15normal_iteratorINSB_10device_ptrIjEEEENSD_INSE_IS6_EEEESI_S6_NSB_4plusIvEENSB_8equal_toIvEES6_EE10hipError_tPvRmT2_T3_T4_T5_mT6_T7_P12ihipStream_tbENKUlT_T0_E_clISt17integral_constantIbLb1EES13_EEDaSY_SZ_EUlSY_E_NS1_11comp_targetILNS1_3genE3ELNS1_11target_archE908ELNS1_3gpuE7ELNS1_3repE0EEENS1_30default_config_static_selectorELNS0_4arch9wavefront6targetE1EEEvT1_,comdat
	.protected	_ZN7rocprim17ROCPRIM_400000_NS6detail17trampoline_kernelINS0_14default_configENS1_27scan_by_key_config_selectorIj11FixedVectorIiLj4EEEEZZNS1_16scan_by_key_implILNS1_25lookback_scan_determinismE0ELb0ES3_N6thrust23THRUST_200600_302600_NS6detail15normal_iteratorINSB_10device_ptrIjEEEENSD_INSE_IS6_EEEESI_S6_NSB_4plusIvEENSB_8equal_toIvEES6_EE10hipError_tPvRmT2_T3_T4_T5_mT6_T7_P12ihipStream_tbENKUlT_T0_E_clISt17integral_constantIbLb1EES13_EEDaSY_SZ_EUlSY_E_NS1_11comp_targetILNS1_3genE3ELNS1_11target_archE908ELNS1_3gpuE7ELNS1_3repE0EEENS1_30default_config_static_selectorELNS0_4arch9wavefront6targetE1EEEvT1_ ; -- Begin function _ZN7rocprim17ROCPRIM_400000_NS6detail17trampoline_kernelINS0_14default_configENS1_27scan_by_key_config_selectorIj11FixedVectorIiLj4EEEEZZNS1_16scan_by_key_implILNS1_25lookback_scan_determinismE0ELb0ES3_N6thrust23THRUST_200600_302600_NS6detail15normal_iteratorINSB_10device_ptrIjEEEENSD_INSE_IS6_EEEESI_S6_NSB_4plusIvEENSB_8equal_toIvEES6_EE10hipError_tPvRmT2_T3_T4_T5_mT6_T7_P12ihipStream_tbENKUlT_T0_E_clISt17integral_constantIbLb1EES13_EEDaSY_SZ_EUlSY_E_NS1_11comp_targetILNS1_3genE3ELNS1_11target_archE908ELNS1_3gpuE7ELNS1_3repE0EEENS1_30default_config_static_selectorELNS0_4arch9wavefront6targetE1EEEvT1_
	.globl	_ZN7rocprim17ROCPRIM_400000_NS6detail17trampoline_kernelINS0_14default_configENS1_27scan_by_key_config_selectorIj11FixedVectorIiLj4EEEEZZNS1_16scan_by_key_implILNS1_25lookback_scan_determinismE0ELb0ES3_N6thrust23THRUST_200600_302600_NS6detail15normal_iteratorINSB_10device_ptrIjEEEENSD_INSE_IS6_EEEESI_S6_NSB_4plusIvEENSB_8equal_toIvEES6_EE10hipError_tPvRmT2_T3_T4_T5_mT6_T7_P12ihipStream_tbENKUlT_T0_E_clISt17integral_constantIbLb1EES13_EEDaSY_SZ_EUlSY_E_NS1_11comp_targetILNS1_3genE3ELNS1_11target_archE908ELNS1_3gpuE7ELNS1_3repE0EEENS1_30default_config_static_selectorELNS0_4arch9wavefront6targetE1EEEvT1_
	.p2align	8
	.type	_ZN7rocprim17ROCPRIM_400000_NS6detail17trampoline_kernelINS0_14default_configENS1_27scan_by_key_config_selectorIj11FixedVectorIiLj4EEEEZZNS1_16scan_by_key_implILNS1_25lookback_scan_determinismE0ELb0ES3_N6thrust23THRUST_200600_302600_NS6detail15normal_iteratorINSB_10device_ptrIjEEEENSD_INSE_IS6_EEEESI_S6_NSB_4plusIvEENSB_8equal_toIvEES6_EE10hipError_tPvRmT2_T3_T4_T5_mT6_T7_P12ihipStream_tbENKUlT_T0_E_clISt17integral_constantIbLb1EES13_EEDaSY_SZ_EUlSY_E_NS1_11comp_targetILNS1_3genE3ELNS1_11target_archE908ELNS1_3gpuE7ELNS1_3repE0EEENS1_30default_config_static_selectorELNS0_4arch9wavefront6targetE1EEEvT1_,@function
_ZN7rocprim17ROCPRIM_400000_NS6detail17trampoline_kernelINS0_14default_configENS1_27scan_by_key_config_selectorIj11FixedVectorIiLj4EEEEZZNS1_16scan_by_key_implILNS1_25lookback_scan_determinismE0ELb0ES3_N6thrust23THRUST_200600_302600_NS6detail15normal_iteratorINSB_10device_ptrIjEEEENSD_INSE_IS6_EEEESI_S6_NSB_4plusIvEENSB_8equal_toIvEES6_EE10hipError_tPvRmT2_T3_T4_T5_mT6_T7_P12ihipStream_tbENKUlT_T0_E_clISt17integral_constantIbLb1EES13_EEDaSY_SZ_EUlSY_E_NS1_11comp_targetILNS1_3genE3ELNS1_11target_archE908ELNS1_3gpuE7ELNS1_3repE0EEENS1_30default_config_static_selectorELNS0_4arch9wavefront6targetE1EEEvT1_: ; @_ZN7rocprim17ROCPRIM_400000_NS6detail17trampoline_kernelINS0_14default_configENS1_27scan_by_key_config_selectorIj11FixedVectorIiLj4EEEEZZNS1_16scan_by_key_implILNS1_25lookback_scan_determinismE0ELb0ES3_N6thrust23THRUST_200600_302600_NS6detail15normal_iteratorINSB_10device_ptrIjEEEENSD_INSE_IS6_EEEESI_S6_NSB_4plusIvEENSB_8equal_toIvEES6_EE10hipError_tPvRmT2_T3_T4_T5_mT6_T7_P12ihipStream_tbENKUlT_T0_E_clISt17integral_constantIbLb1EES13_EEDaSY_SZ_EUlSY_E_NS1_11comp_targetILNS1_3genE3ELNS1_11target_archE908ELNS1_3gpuE7ELNS1_3repE0EEENS1_30default_config_static_selectorELNS0_4arch9wavefront6targetE1EEEvT1_
; %bb.0:
	.section	.rodata,"a",@progbits
	.p2align	6, 0x0
	.amdhsa_kernel _ZN7rocprim17ROCPRIM_400000_NS6detail17trampoline_kernelINS0_14default_configENS1_27scan_by_key_config_selectorIj11FixedVectorIiLj4EEEEZZNS1_16scan_by_key_implILNS1_25lookback_scan_determinismE0ELb0ES3_N6thrust23THRUST_200600_302600_NS6detail15normal_iteratorINSB_10device_ptrIjEEEENSD_INSE_IS6_EEEESI_S6_NSB_4plusIvEENSB_8equal_toIvEES6_EE10hipError_tPvRmT2_T3_T4_T5_mT6_T7_P12ihipStream_tbENKUlT_T0_E_clISt17integral_constantIbLb1EES13_EEDaSY_SZ_EUlSY_E_NS1_11comp_targetILNS1_3genE3ELNS1_11target_archE908ELNS1_3gpuE7ELNS1_3repE0EEENS1_30default_config_static_selectorELNS0_4arch9wavefront6targetE1EEEvT1_
		.amdhsa_group_segment_fixed_size 0
		.amdhsa_private_segment_fixed_size 0
		.amdhsa_kernarg_size 144
		.amdhsa_user_sgpr_count 2
		.amdhsa_user_sgpr_dispatch_ptr 0
		.amdhsa_user_sgpr_queue_ptr 0
		.amdhsa_user_sgpr_kernarg_segment_ptr 1
		.amdhsa_user_sgpr_dispatch_id 0
		.amdhsa_user_sgpr_kernarg_preload_length 0
		.amdhsa_user_sgpr_kernarg_preload_offset 0
		.amdhsa_user_sgpr_private_segment_size 0
		.amdhsa_uses_dynamic_stack 0
		.amdhsa_enable_private_segment 0
		.amdhsa_system_sgpr_workgroup_id_x 1
		.amdhsa_system_sgpr_workgroup_id_y 0
		.amdhsa_system_sgpr_workgroup_id_z 0
		.amdhsa_system_sgpr_workgroup_info 0
		.amdhsa_system_vgpr_workitem_id 0
		.amdhsa_next_free_vgpr 1
		.amdhsa_next_free_sgpr 0
		.amdhsa_accum_offset 4
		.amdhsa_reserve_vcc 0
		.amdhsa_float_round_mode_32 0
		.amdhsa_float_round_mode_16_64 0
		.amdhsa_float_denorm_mode_32 3
		.amdhsa_float_denorm_mode_16_64 3
		.amdhsa_dx10_clamp 1
		.amdhsa_ieee_mode 1
		.amdhsa_fp16_overflow 0
		.amdhsa_tg_split 0
		.amdhsa_exception_fp_ieee_invalid_op 0
		.amdhsa_exception_fp_denorm_src 0
		.amdhsa_exception_fp_ieee_div_zero 0
		.amdhsa_exception_fp_ieee_overflow 0
		.amdhsa_exception_fp_ieee_underflow 0
		.amdhsa_exception_fp_ieee_inexact 0
		.amdhsa_exception_int_div_zero 0
	.end_amdhsa_kernel
	.section	.text._ZN7rocprim17ROCPRIM_400000_NS6detail17trampoline_kernelINS0_14default_configENS1_27scan_by_key_config_selectorIj11FixedVectorIiLj4EEEEZZNS1_16scan_by_key_implILNS1_25lookback_scan_determinismE0ELb0ES3_N6thrust23THRUST_200600_302600_NS6detail15normal_iteratorINSB_10device_ptrIjEEEENSD_INSE_IS6_EEEESI_S6_NSB_4plusIvEENSB_8equal_toIvEES6_EE10hipError_tPvRmT2_T3_T4_T5_mT6_T7_P12ihipStream_tbENKUlT_T0_E_clISt17integral_constantIbLb1EES13_EEDaSY_SZ_EUlSY_E_NS1_11comp_targetILNS1_3genE3ELNS1_11target_archE908ELNS1_3gpuE7ELNS1_3repE0EEENS1_30default_config_static_selectorELNS0_4arch9wavefront6targetE1EEEvT1_,"axG",@progbits,_ZN7rocprim17ROCPRIM_400000_NS6detail17trampoline_kernelINS0_14default_configENS1_27scan_by_key_config_selectorIj11FixedVectorIiLj4EEEEZZNS1_16scan_by_key_implILNS1_25lookback_scan_determinismE0ELb0ES3_N6thrust23THRUST_200600_302600_NS6detail15normal_iteratorINSB_10device_ptrIjEEEENSD_INSE_IS6_EEEESI_S6_NSB_4plusIvEENSB_8equal_toIvEES6_EE10hipError_tPvRmT2_T3_T4_T5_mT6_T7_P12ihipStream_tbENKUlT_T0_E_clISt17integral_constantIbLb1EES13_EEDaSY_SZ_EUlSY_E_NS1_11comp_targetILNS1_3genE3ELNS1_11target_archE908ELNS1_3gpuE7ELNS1_3repE0EEENS1_30default_config_static_selectorELNS0_4arch9wavefront6targetE1EEEvT1_,comdat
.Lfunc_end2048:
	.size	_ZN7rocprim17ROCPRIM_400000_NS6detail17trampoline_kernelINS0_14default_configENS1_27scan_by_key_config_selectorIj11FixedVectorIiLj4EEEEZZNS1_16scan_by_key_implILNS1_25lookback_scan_determinismE0ELb0ES3_N6thrust23THRUST_200600_302600_NS6detail15normal_iteratorINSB_10device_ptrIjEEEENSD_INSE_IS6_EEEESI_S6_NSB_4plusIvEENSB_8equal_toIvEES6_EE10hipError_tPvRmT2_T3_T4_T5_mT6_T7_P12ihipStream_tbENKUlT_T0_E_clISt17integral_constantIbLb1EES13_EEDaSY_SZ_EUlSY_E_NS1_11comp_targetILNS1_3genE3ELNS1_11target_archE908ELNS1_3gpuE7ELNS1_3repE0EEENS1_30default_config_static_selectorELNS0_4arch9wavefront6targetE1EEEvT1_, .Lfunc_end2048-_ZN7rocprim17ROCPRIM_400000_NS6detail17trampoline_kernelINS0_14default_configENS1_27scan_by_key_config_selectorIj11FixedVectorIiLj4EEEEZZNS1_16scan_by_key_implILNS1_25lookback_scan_determinismE0ELb0ES3_N6thrust23THRUST_200600_302600_NS6detail15normal_iteratorINSB_10device_ptrIjEEEENSD_INSE_IS6_EEEESI_S6_NSB_4plusIvEENSB_8equal_toIvEES6_EE10hipError_tPvRmT2_T3_T4_T5_mT6_T7_P12ihipStream_tbENKUlT_T0_E_clISt17integral_constantIbLb1EES13_EEDaSY_SZ_EUlSY_E_NS1_11comp_targetILNS1_3genE3ELNS1_11target_archE908ELNS1_3gpuE7ELNS1_3repE0EEENS1_30default_config_static_selectorELNS0_4arch9wavefront6targetE1EEEvT1_
                                        ; -- End function
	.section	.AMDGPU.csdata,"",@progbits
; Kernel info:
; codeLenInByte = 0
; NumSgprs: 6
; NumVgprs: 0
; NumAgprs: 0
; TotalNumVgprs: 0
; ScratchSize: 0
; MemoryBound: 0
; FloatMode: 240
; IeeeMode: 1
; LDSByteSize: 0 bytes/workgroup (compile time only)
; SGPRBlocks: 0
; VGPRBlocks: 0
; NumSGPRsForWavesPerEU: 6
; NumVGPRsForWavesPerEU: 1
; AccumOffset: 4
; Occupancy: 8
; WaveLimiterHint : 0
; COMPUTE_PGM_RSRC2:SCRATCH_EN: 0
; COMPUTE_PGM_RSRC2:USER_SGPR: 2
; COMPUTE_PGM_RSRC2:TRAP_HANDLER: 0
; COMPUTE_PGM_RSRC2:TGID_X_EN: 1
; COMPUTE_PGM_RSRC2:TGID_Y_EN: 0
; COMPUTE_PGM_RSRC2:TGID_Z_EN: 0
; COMPUTE_PGM_RSRC2:TIDIG_COMP_CNT: 0
; COMPUTE_PGM_RSRC3_GFX90A:ACCUM_OFFSET: 0
; COMPUTE_PGM_RSRC3_GFX90A:TG_SPLIT: 0
	.section	.text._ZN7rocprim17ROCPRIM_400000_NS6detail17trampoline_kernelINS0_14default_configENS1_27scan_by_key_config_selectorIj11FixedVectorIiLj4EEEEZZNS1_16scan_by_key_implILNS1_25lookback_scan_determinismE0ELb0ES3_N6thrust23THRUST_200600_302600_NS6detail15normal_iteratorINSB_10device_ptrIjEEEENSD_INSE_IS6_EEEESI_S6_NSB_4plusIvEENSB_8equal_toIvEES6_EE10hipError_tPvRmT2_T3_T4_T5_mT6_T7_P12ihipStream_tbENKUlT_T0_E_clISt17integral_constantIbLb1EES13_EEDaSY_SZ_EUlSY_E_NS1_11comp_targetILNS1_3genE2ELNS1_11target_archE906ELNS1_3gpuE6ELNS1_3repE0EEENS1_30default_config_static_selectorELNS0_4arch9wavefront6targetE1EEEvT1_,"axG",@progbits,_ZN7rocprim17ROCPRIM_400000_NS6detail17trampoline_kernelINS0_14default_configENS1_27scan_by_key_config_selectorIj11FixedVectorIiLj4EEEEZZNS1_16scan_by_key_implILNS1_25lookback_scan_determinismE0ELb0ES3_N6thrust23THRUST_200600_302600_NS6detail15normal_iteratorINSB_10device_ptrIjEEEENSD_INSE_IS6_EEEESI_S6_NSB_4plusIvEENSB_8equal_toIvEES6_EE10hipError_tPvRmT2_T3_T4_T5_mT6_T7_P12ihipStream_tbENKUlT_T0_E_clISt17integral_constantIbLb1EES13_EEDaSY_SZ_EUlSY_E_NS1_11comp_targetILNS1_3genE2ELNS1_11target_archE906ELNS1_3gpuE6ELNS1_3repE0EEENS1_30default_config_static_selectorELNS0_4arch9wavefront6targetE1EEEvT1_,comdat
	.protected	_ZN7rocprim17ROCPRIM_400000_NS6detail17trampoline_kernelINS0_14default_configENS1_27scan_by_key_config_selectorIj11FixedVectorIiLj4EEEEZZNS1_16scan_by_key_implILNS1_25lookback_scan_determinismE0ELb0ES3_N6thrust23THRUST_200600_302600_NS6detail15normal_iteratorINSB_10device_ptrIjEEEENSD_INSE_IS6_EEEESI_S6_NSB_4plusIvEENSB_8equal_toIvEES6_EE10hipError_tPvRmT2_T3_T4_T5_mT6_T7_P12ihipStream_tbENKUlT_T0_E_clISt17integral_constantIbLb1EES13_EEDaSY_SZ_EUlSY_E_NS1_11comp_targetILNS1_3genE2ELNS1_11target_archE906ELNS1_3gpuE6ELNS1_3repE0EEENS1_30default_config_static_selectorELNS0_4arch9wavefront6targetE1EEEvT1_ ; -- Begin function _ZN7rocprim17ROCPRIM_400000_NS6detail17trampoline_kernelINS0_14default_configENS1_27scan_by_key_config_selectorIj11FixedVectorIiLj4EEEEZZNS1_16scan_by_key_implILNS1_25lookback_scan_determinismE0ELb0ES3_N6thrust23THRUST_200600_302600_NS6detail15normal_iteratorINSB_10device_ptrIjEEEENSD_INSE_IS6_EEEESI_S6_NSB_4plusIvEENSB_8equal_toIvEES6_EE10hipError_tPvRmT2_T3_T4_T5_mT6_T7_P12ihipStream_tbENKUlT_T0_E_clISt17integral_constantIbLb1EES13_EEDaSY_SZ_EUlSY_E_NS1_11comp_targetILNS1_3genE2ELNS1_11target_archE906ELNS1_3gpuE6ELNS1_3repE0EEENS1_30default_config_static_selectorELNS0_4arch9wavefront6targetE1EEEvT1_
	.globl	_ZN7rocprim17ROCPRIM_400000_NS6detail17trampoline_kernelINS0_14default_configENS1_27scan_by_key_config_selectorIj11FixedVectorIiLj4EEEEZZNS1_16scan_by_key_implILNS1_25lookback_scan_determinismE0ELb0ES3_N6thrust23THRUST_200600_302600_NS6detail15normal_iteratorINSB_10device_ptrIjEEEENSD_INSE_IS6_EEEESI_S6_NSB_4plusIvEENSB_8equal_toIvEES6_EE10hipError_tPvRmT2_T3_T4_T5_mT6_T7_P12ihipStream_tbENKUlT_T0_E_clISt17integral_constantIbLb1EES13_EEDaSY_SZ_EUlSY_E_NS1_11comp_targetILNS1_3genE2ELNS1_11target_archE906ELNS1_3gpuE6ELNS1_3repE0EEENS1_30default_config_static_selectorELNS0_4arch9wavefront6targetE1EEEvT1_
	.p2align	8
	.type	_ZN7rocprim17ROCPRIM_400000_NS6detail17trampoline_kernelINS0_14default_configENS1_27scan_by_key_config_selectorIj11FixedVectorIiLj4EEEEZZNS1_16scan_by_key_implILNS1_25lookback_scan_determinismE0ELb0ES3_N6thrust23THRUST_200600_302600_NS6detail15normal_iteratorINSB_10device_ptrIjEEEENSD_INSE_IS6_EEEESI_S6_NSB_4plusIvEENSB_8equal_toIvEES6_EE10hipError_tPvRmT2_T3_T4_T5_mT6_T7_P12ihipStream_tbENKUlT_T0_E_clISt17integral_constantIbLb1EES13_EEDaSY_SZ_EUlSY_E_NS1_11comp_targetILNS1_3genE2ELNS1_11target_archE906ELNS1_3gpuE6ELNS1_3repE0EEENS1_30default_config_static_selectorELNS0_4arch9wavefront6targetE1EEEvT1_,@function
_ZN7rocprim17ROCPRIM_400000_NS6detail17trampoline_kernelINS0_14default_configENS1_27scan_by_key_config_selectorIj11FixedVectorIiLj4EEEEZZNS1_16scan_by_key_implILNS1_25lookback_scan_determinismE0ELb0ES3_N6thrust23THRUST_200600_302600_NS6detail15normal_iteratorINSB_10device_ptrIjEEEENSD_INSE_IS6_EEEESI_S6_NSB_4plusIvEENSB_8equal_toIvEES6_EE10hipError_tPvRmT2_T3_T4_T5_mT6_T7_P12ihipStream_tbENKUlT_T0_E_clISt17integral_constantIbLb1EES13_EEDaSY_SZ_EUlSY_E_NS1_11comp_targetILNS1_3genE2ELNS1_11target_archE906ELNS1_3gpuE6ELNS1_3repE0EEENS1_30default_config_static_selectorELNS0_4arch9wavefront6targetE1EEEvT1_: ; @_ZN7rocprim17ROCPRIM_400000_NS6detail17trampoline_kernelINS0_14default_configENS1_27scan_by_key_config_selectorIj11FixedVectorIiLj4EEEEZZNS1_16scan_by_key_implILNS1_25lookback_scan_determinismE0ELb0ES3_N6thrust23THRUST_200600_302600_NS6detail15normal_iteratorINSB_10device_ptrIjEEEENSD_INSE_IS6_EEEESI_S6_NSB_4plusIvEENSB_8equal_toIvEES6_EE10hipError_tPvRmT2_T3_T4_T5_mT6_T7_P12ihipStream_tbENKUlT_T0_E_clISt17integral_constantIbLb1EES13_EEDaSY_SZ_EUlSY_E_NS1_11comp_targetILNS1_3genE2ELNS1_11target_archE906ELNS1_3gpuE6ELNS1_3repE0EEENS1_30default_config_static_selectorELNS0_4arch9wavefront6targetE1EEEvT1_
; %bb.0:
	.section	.rodata,"a",@progbits
	.p2align	6, 0x0
	.amdhsa_kernel _ZN7rocprim17ROCPRIM_400000_NS6detail17trampoline_kernelINS0_14default_configENS1_27scan_by_key_config_selectorIj11FixedVectorIiLj4EEEEZZNS1_16scan_by_key_implILNS1_25lookback_scan_determinismE0ELb0ES3_N6thrust23THRUST_200600_302600_NS6detail15normal_iteratorINSB_10device_ptrIjEEEENSD_INSE_IS6_EEEESI_S6_NSB_4plusIvEENSB_8equal_toIvEES6_EE10hipError_tPvRmT2_T3_T4_T5_mT6_T7_P12ihipStream_tbENKUlT_T0_E_clISt17integral_constantIbLb1EES13_EEDaSY_SZ_EUlSY_E_NS1_11comp_targetILNS1_3genE2ELNS1_11target_archE906ELNS1_3gpuE6ELNS1_3repE0EEENS1_30default_config_static_selectorELNS0_4arch9wavefront6targetE1EEEvT1_
		.amdhsa_group_segment_fixed_size 0
		.amdhsa_private_segment_fixed_size 0
		.amdhsa_kernarg_size 144
		.amdhsa_user_sgpr_count 2
		.amdhsa_user_sgpr_dispatch_ptr 0
		.amdhsa_user_sgpr_queue_ptr 0
		.amdhsa_user_sgpr_kernarg_segment_ptr 1
		.amdhsa_user_sgpr_dispatch_id 0
		.amdhsa_user_sgpr_kernarg_preload_length 0
		.amdhsa_user_sgpr_kernarg_preload_offset 0
		.amdhsa_user_sgpr_private_segment_size 0
		.amdhsa_uses_dynamic_stack 0
		.amdhsa_enable_private_segment 0
		.amdhsa_system_sgpr_workgroup_id_x 1
		.amdhsa_system_sgpr_workgroup_id_y 0
		.amdhsa_system_sgpr_workgroup_id_z 0
		.amdhsa_system_sgpr_workgroup_info 0
		.amdhsa_system_vgpr_workitem_id 0
		.amdhsa_next_free_vgpr 1
		.amdhsa_next_free_sgpr 0
		.amdhsa_accum_offset 4
		.amdhsa_reserve_vcc 0
		.amdhsa_float_round_mode_32 0
		.amdhsa_float_round_mode_16_64 0
		.amdhsa_float_denorm_mode_32 3
		.amdhsa_float_denorm_mode_16_64 3
		.amdhsa_dx10_clamp 1
		.amdhsa_ieee_mode 1
		.amdhsa_fp16_overflow 0
		.amdhsa_tg_split 0
		.amdhsa_exception_fp_ieee_invalid_op 0
		.amdhsa_exception_fp_denorm_src 0
		.amdhsa_exception_fp_ieee_div_zero 0
		.amdhsa_exception_fp_ieee_overflow 0
		.amdhsa_exception_fp_ieee_underflow 0
		.amdhsa_exception_fp_ieee_inexact 0
		.amdhsa_exception_int_div_zero 0
	.end_amdhsa_kernel
	.section	.text._ZN7rocprim17ROCPRIM_400000_NS6detail17trampoline_kernelINS0_14default_configENS1_27scan_by_key_config_selectorIj11FixedVectorIiLj4EEEEZZNS1_16scan_by_key_implILNS1_25lookback_scan_determinismE0ELb0ES3_N6thrust23THRUST_200600_302600_NS6detail15normal_iteratorINSB_10device_ptrIjEEEENSD_INSE_IS6_EEEESI_S6_NSB_4plusIvEENSB_8equal_toIvEES6_EE10hipError_tPvRmT2_T3_T4_T5_mT6_T7_P12ihipStream_tbENKUlT_T0_E_clISt17integral_constantIbLb1EES13_EEDaSY_SZ_EUlSY_E_NS1_11comp_targetILNS1_3genE2ELNS1_11target_archE906ELNS1_3gpuE6ELNS1_3repE0EEENS1_30default_config_static_selectorELNS0_4arch9wavefront6targetE1EEEvT1_,"axG",@progbits,_ZN7rocprim17ROCPRIM_400000_NS6detail17trampoline_kernelINS0_14default_configENS1_27scan_by_key_config_selectorIj11FixedVectorIiLj4EEEEZZNS1_16scan_by_key_implILNS1_25lookback_scan_determinismE0ELb0ES3_N6thrust23THRUST_200600_302600_NS6detail15normal_iteratorINSB_10device_ptrIjEEEENSD_INSE_IS6_EEEESI_S6_NSB_4plusIvEENSB_8equal_toIvEES6_EE10hipError_tPvRmT2_T3_T4_T5_mT6_T7_P12ihipStream_tbENKUlT_T0_E_clISt17integral_constantIbLb1EES13_EEDaSY_SZ_EUlSY_E_NS1_11comp_targetILNS1_3genE2ELNS1_11target_archE906ELNS1_3gpuE6ELNS1_3repE0EEENS1_30default_config_static_selectorELNS0_4arch9wavefront6targetE1EEEvT1_,comdat
.Lfunc_end2049:
	.size	_ZN7rocprim17ROCPRIM_400000_NS6detail17trampoline_kernelINS0_14default_configENS1_27scan_by_key_config_selectorIj11FixedVectorIiLj4EEEEZZNS1_16scan_by_key_implILNS1_25lookback_scan_determinismE0ELb0ES3_N6thrust23THRUST_200600_302600_NS6detail15normal_iteratorINSB_10device_ptrIjEEEENSD_INSE_IS6_EEEESI_S6_NSB_4plusIvEENSB_8equal_toIvEES6_EE10hipError_tPvRmT2_T3_T4_T5_mT6_T7_P12ihipStream_tbENKUlT_T0_E_clISt17integral_constantIbLb1EES13_EEDaSY_SZ_EUlSY_E_NS1_11comp_targetILNS1_3genE2ELNS1_11target_archE906ELNS1_3gpuE6ELNS1_3repE0EEENS1_30default_config_static_selectorELNS0_4arch9wavefront6targetE1EEEvT1_, .Lfunc_end2049-_ZN7rocprim17ROCPRIM_400000_NS6detail17trampoline_kernelINS0_14default_configENS1_27scan_by_key_config_selectorIj11FixedVectorIiLj4EEEEZZNS1_16scan_by_key_implILNS1_25lookback_scan_determinismE0ELb0ES3_N6thrust23THRUST_200600_302600_NS6detail15normal_iteratorINSB_10device_ptrIjEEEENSD_INSE_IS6_EEEESI_S6_NSB_4plusIvEENSB_8equal_toIvEES6_EE10hipError_tPvRmT2_T3_T4_T5_mT6_T7_P12ihipStream_tbENKUlT_T0_E_clISt17integral_constantIbLb1EES13_EEDaSY_SZ_EUlSY_E_NS1_11comp_targetILNS1_3genE2ELNS1_11target_archE906ELNS1_3gpuE6ELNS1_3repE0EEENS1_30default_config_static_selectorELNS0_4arch9wavefront6targetE1EEEvT1_
                                        ; -- End function
	.section	.AMDGPU.csdata,"",@progbits
; Kernel info:
; codeLenInByte = 0
; NumSgprs: 6
; NumVgprs: 0
; NumAgprs: 0
; TotalNumVgprs: 0
; ScratchSize: 0
; MemoryBound: 0
; FloatMode: 240
; IeeeMode: 1
; LDSByteSize: 0 bytes/workgroup (compile time only)
; SGPRBlocks: 0
; VGPRBlocks: 0
; NumSGPRsForWavesPerEU: 6
; NumVGPRsForWavesPerEU: 1
; AccumOffset: 4
; Occupancy: 8
; WaveLimiterHint : 0
; COMPUTE_PGM_RSRC2:SCRATCH_EN: 0
; COMPUTE_PGM_RSRC2:USER_SGPR: 2
; COMPUTE_PGM_RSRC2:TRAP_HANDLER: 0
; COMPUTE_PGM_RSRC2:TGID_X_EN: 1
; COMPUTE_PGM_RSRC2:TGID_Y_EN: 0
; COMPUTE_PGM_RSRC2:TGID_Z_EN: 0
; COMPUTE_PGM_RSRC2:TIDIG_COMP_CNT: 0
; COMPUTE_PGM_RSRC3_GFX90A:ACCUM_OFFSET: 0
; COMPUTE_PGM_RSRC3_GFX90A:TG_SPLIT: 0
	.section	.text._ZN7rocprim17ROCPRIM_400000_NS6detail17trampoline_kernelINS0_14default_configENS1_27scan_by_key_config_selectorIj11FixedVectorIiLj4EEEEZZNS1_16scan_by_key_implILNS1_25lookback_scan_determinismE0ELb0ES3_N6thrust23THRUST_200600_302600_NS6detail15normal_iteratorINSB_10device_ptrIjEEEENSD_INSE_IS6_EEEESI_S6_NSB_4plusIvEENSB_8equal_toIvEES6_EE10hipError_tPvRmT2_T3_T4_T5_mT6_T7_P12ihipStream_tbENKUlT_T0_E_clISt17integral_constantIbLb1EES13_EEDaSY_SZ_EUlSY_E_NS1_11comp_targetILNS1_3genE10ELNS1_11target_archE1200ELNS1_3gpuE4ELNS1_3repE0EEENS1_30default_config_static_selectorELNS0_4arch9wavefront6targetE1EEEvT1_,"axG",@progbits,_ZN7rocprim17ROCPRIM_400000_NS6detail17trampoline_kernelINS0_14default_configENS1_27scan_by_key_config_selectorIj11FixedVectorIiLj4EEEEZZNS1_16scan_by_key_implILNS1_25lookback_scan_determinismE0ELb0ES3_N6thrust23THRUST_200600_302600_NS6detail15normal_iteratorINSB_10device_ptrIjEEEENSD_INSE_IS6_EEEESI_S6_NSB_4plusIvEENSB_8equal_toIvEES6_EE10hipError_tPvRmT2_T3_T4_T5_mT6_T7_P12ihipStream_tbENKUlT_T0_E_clISt17integral_constantIbLb1EES13_EEDaSY_SZ_EUlSY_E_NS1_11comp_targetILNS1_3genE10ELNS1_11target_archE1200ELNS1_3gpuE4ELNS1_3repE0EEENS1_30default_config_static_selectorELNS0_4arch9wavefront6targetE1EEEvT1_,comdat
	.protected	_ZN7rocprim17ROCPRIM_400000_NS6detail17trampoline_kernelINS0_14default_configENS1_27scan_by_key_config_selectorIj11FixedVectorIiLj4EEEEZZNS1_16scan_by_key_implILNS1_25lookback_scan_determinismE0ELb0ES3_N6thrust23THRUST_200600_302600_NS6detail15normal_iteratorINSB_10device_ptrIjEEEENSD_INSE_IS6_EEEESI_S6_NSB_4plusIvEENSB_8equal_toIvEES6_EE10hipError_tPvRmT2_T3_T4_T5_mT6_T7_P12ihipStream_tbENKUlT_T0_E_clISt17integral_constantIbLb1EES13_EEDaSY_SZ_EUlSY_E_NS1_11comp_targetILNS1_3genE10ELNS1_11target_archE1200ELNS1_3gpuE4ELNS1_3repE0EEENS1_30default_config_static_selectorELNS0_4arch9wavefront6targetE1EEEvT1_ ; -- Begin function _ZN7rocprim17ROCPRIM_400000_NS6detail17trampoline_kernelINS0_14default_configENS1_27scan_by_key_config_selectorIj11FixedVectorIiLj4EEEEZZNS1_16scan_by_key_implILNS1_25lookback_scan_determinismE0ELb0ES3_N6thrust23THRUST_200600_302600_NS6detail15normal_iteratorINSB_10device_ptrIjEEEENSD_INSE_IS6_EEEESI_S6_NSB_4plusIvEENSB_8equal_toIvEES6_EE10hipError_tPvRmT2_T3_T4_T5_mT6_T7_P12ihipStream_tbENKUlT_T0_E_clISt17integral_constantIbLb1EES13_EEDaSY_SZ_EUlSY_E_NS1_11comp_targetILNS1_3genE10ELNS1_11target_archE1200ELNS1_3gpuE4ELNS1_3repE0EEENS1_30default_config_static_selectorELNS0_4arch9wavefront6targetE1EEEvT1_
	.globl	_ZN7rocprim17ROCPRIM_400000_NS6detail17trampoline_kernelINS0_14default_configENS1_27scan_by_key_config_selectorIj11FixedVectorIiLj4EEEEZZNS1_16scan_by_key_implILNS1_25lookback_scan_determinismE0ELb0ES3_N6thrust23THRUST_200600_302600_NS6detail15normal_iteratorINSB_10device_ptrIjEEEENSD_INSE_IS6_EEEESI_S6_NSB_4plusIvEENSB_8equal_toIvEES6_EE10hipError_tPvRmT2_T3_T4_T5_mT6_T7_P12ihipStream_tbENKUlT_T0_E_clISt17integral_constantIbLb1EES13_EEDaSY_SZ_EUlSY_E_NS1_11comp_targetILNS1_3genE10ELNS1_11target_archE1200ELNS1_3gpuE4ELNS1_3repE0EEENS1_30default_config_static_selectorELNS0_4arch9wavefront6targetE1EEEvT1_
	.p2align	8
	.type	_ZN7rocprim17ROCPRIM_400000_NS6detail17trampoline_kernelINS0_14default_configENS1_27scan_by_key_config_selectorIj11FixedVectorIiLj4EEEEZZNS1_16scan_by_key_implILNS1_25lookback_scan_determinismE0ELb0ES3_N6thrust23THRUST_200600_302600_NS6detail15normal_iteratorINSB_10device_ptrIjEEEENSD_INSE_IS6_EEEESI_S6_NSB_4plusIvEENSB_8equal_toIvEES6_EE10hipError_tPvRmT2_T3_T4_T5_mT6_T7_P12ihipStream_tbENKUlT_T0_E_clISt17integral_constantIbLb1EES13_EEDaSY_SZ_EUlSY_E_NS1_11comp_targetILNS1_3genE10ELNS1_11target_archE1200ELNS1_3gpuE4ELNS1_3repE0EEENS1_30default_config_static_selectorELNS0_4arch9wavefront6targetE1EEEvT1_,@function
_ZN7rocprim17ROCPRIM_400000_NS6detail17trampoline_kernelINS0_14default_configENS1_27scan_by_key_config_selectorIj11FixedVectorIiLj4EEEEZZNS1_16scan_by_key_implILNS1_25lookback_scan_determinismE0ELb0ES3_N6thrust23THRUST_200600_302600_NS6detail15normal_iteratorINSB_10device_ptrIjEEEENSD_INSE_IS6_EEEESI_S6_NSB_4plusIvEENSB_8equal_toIvEES6_EE10hipError_tPvRmT2_T3_T4_T5_mT6_T7_P12ihipStream_tbENKUlT_T0_E_clISt17integral_constantIbLb1EES13_EEDaSY_SZ_EUlSY_E_NS1_11comp_targetILNS1_3genE10ELNS1_11target_archE1200ELNS1_3gpuE4ELNS1_3repE0EEENS1_30default_config_static_selectorELNS0_4arch9wavefront6targetE1EEEvT1_: ; @_ZN7rocprim17ROCPRIM_400000_NS6detail17trampoline_kernelINS0_14default_configENS1_27scan_by_key_config_selectorIj11FixedVectorIiLj4EEEEZZNS1_16scan_by_key_implILNS1_25lookback_scan_determinismE0ELb0ES3_N6thrust23THRUST_200600_302600_NS6detail15normal_iteratorINSB_10device_ptrIjEEEENSD_INSE_IS6_EEEESI_S6_NSB_4plusIvEENSB_8equal_toIvEES6_EE10hipError_tPvRmT2_T3_T4_T5_mT6_T7_P12ihipStream_tbENKUlT_T0_E_clISt17integral_constantIbLb1EES13_EEDaSY_SZ_EUlSY_E_NS1_11comp_targetILNS1_3genE10ELNS1_11target_archE1200ELNS1_3gpuE4ELNS1_3repE0EEENS1_30default_config_static_selectorELNS0_4arch9wavefront6targetE1EEEvT1_
; %bb.0:
	.section	.rodata,"a",@progbits
	.p2align	6, 0x0
	.amdhsa_kernel _ZN7rocprim17ROCPRIM_400000_NS6detail17trampoline_kernelINS0_14default_configENS1_27scan_by_key_config_selectorIj11FixedVectorIiLj4EEEEZZNS1_16scan_by_key_implILNS1_25lookback_scan_determinismE0ELb0ES3_N6thrust23THRUST_200600_302600_NS6detail15normal_iteratorINSB_10device_ptrIjEEEENSD_INSE_IS6_EEEESI_S6_NSB_4plusIvEENSB_8equal_toIvEES6_EE10hipError_tPvRmT2_T3_T4_T5_mT6_T7_P12ihipStream_tbENKUlT_T0_E_clISt17integral_constantIbLb1EES13_EEDaSY_SZ_EUlSY_E_NS1_11comp_targetILNS1_3genE10ELNS1_11target_archE1200ELNS1_3gpuE4ELNS1_3repE0EEENS1_30default_config_static_selectorELNS0_4arch9wavefront6targetE1EEEvT1_
		.amdhsa_group_segment_fixed_size 0
		.amdhsa_private_segment_fixed_size 0
		.amdhsa_kernarg_size 144
		.amdhsa_user_sgpr_count 2
		.amdhsa_user_sgpr_dispatch_ptr 0
		.amdhsa_user_sgpr_queue_ptr 0
		.amdhsa_user_sgpr_kernarg_segment_ptr 1
		.amdhsa_user_sgpr_dispatch_id 0
		.amdhsa_user_sgpr_kernarg_preload_length 0
		.amdhsa_user_sgpr_kernarg_preload_offset 0
		.amdhsa_user_sgpr_private_segment_size 0
		.amdhsa_uses_dynamic_stack 0
		.amdhsa_enable_private_segment 0
		.amdhsa_system_sgpr_workgroup_id_x 1
		.amdhsa_system_sgpr_workgroup_id_y 0
		.amdhsa_system_sgpr_workgroup_id_z 0
		.amdhsa_system_sgpr_workgroup_info 0
		.amdhsa_system_vgpr_workitem_id 0
		.amdhsa_next_free_vgpr 1
		.amdhsa_next_free_sgpr 0
		.amdhsa_accum_offset 4
		.amdhsa_reserve_vcc 0
		.amdhsa_float_round_mode_32 0
		.amdhsa_float_round_mode_16_64 0
		.amdhsa_float_denorm_mode_32 3
		.amdhsa_float_denorm_mode_16_64 3
		.amdhsa_dx10_clamp 1
		.amdhsa_ieee_mode 1
		.amdhsa_fp16_overflow 0
		.amdhsa_tg_split 0
		.amdhsa_exception_fp_ieee_invalid_op 0
		.amdhsa_exception_fp_denorm_src 0
		.amdhsa_exception_fp_ieee_div_zero 0
		.amdhsa_exception_fp_ieee_overflow 0
		.amdhsa_exception_fp_ieee_underflow 0
		.amdhsa_exception_fp_ieee_inexact 0
		.amdhsa_exception_int_div_zero 0
	.end_amdhsa_kernel
	.section	.text._ZN7rocprim17ROCPRIM_400000_NS6detail17trampoline_kernelINS0_14default_configENS1_27scan_by_key_config_selectorIj11FixedVectorIiLj4EEEEZZNS1_16scan_by_key_implILNS1_25lookback_scan_determinismE0ELb0ES3_N6thrust23THRUST_200600_302600_NS6detail15normal_iteratorINSB_10device_ptrIjEEEENSD_INSE_IS6_EEEESI_S6_NSB_4plusIvEENSB_8equal_toIvEES6_EE10hipError_tPvRmT2_T3_T4_T5_mT6_T7_P12ihipStream_tbENKUlT_T0_E_clISt17integral_constantIbLb1EES13_EEDaSY_SZ_EUlSY_E_NS1_11comp_targetILNS1_3genE10ELNS1_11target_archE1200ELNS1_3gpuE4ELNS1_3repE0EEENS1_30default_config_static_selectorELNS0_4arch9wavefront6targetE1EEEvT1_,"axG",@progbits,_ZN7rocprim17ROCPRIM_400000_NS6detail17trampoline_kernelINS0_14default_configENS1_27scan_by_key_config_selectorIj11FixedVectorIiLj4EEEEZZNS1_16scan_by_key_implILNS1_25lookback_scan_determinismE0ELb0ES3_N6thrust23THRUST_200600_302600_NS6detail15normal_iteratorINSB_10device_ptrIjEEEENSD_INSE_IS6_EEEESI_S6_NSB_4plusIvEENSB_8equal_toIvEES6_EE10hipError_tPvRmT2_T3_T4_T5_mT6_T7_P12ihipStream_tbENKUlT_T0_E_clISt17integral_constantIbLb1EES13_EEDaSY_SZ_EUlSY_E_NS1_11comp_targetILNS1_3genE10ELNS1_11target_archE1200ELNS1_3gpuE4ELNS1_3repE0EEENS1_30default_config_static_selectorELNS0_4arch9wavefront6targetE1EEEvT1_,comdat
.Lfunc_end2050:
	.size	_ZN7rocprim17ROCPRIM_400000_NS6detail17trampoline_kernelINS0_14default_configENS1_27scan_by_key_config_selectorIj11FixedVectorIiLj4EEEEZZNS1_16scan_by_key_implILNS1_25lookback_scan_determinismE0ELb0ES3_N6thrust23THRUST_200600_302600_NS6detail15normal_iteratorINSB_10device_ptrIjEEEENSD_INSE_IS6_EEEESI_S6_NSB_4plusIvEENSB_8equal_toIvEES6_EE10hipError_tPvRmT2_T3_T4_T5_mT6_T7_P12ihipStream_tbENKUlT_T0_E_clISt17integral_constantIbLb1EES13_EEDaSY_SZ_EUlSY_E_NS1_11comp_targetILNS1_3genE10ELNS1_11target_archE1200ELNS1_3gpuE4ELNS1_3repE0EEENS1_30default_config_static_selectorELNS0_4arch9wavefront6targetE1EEEvT1_, .Lfunc_end2050-_ZN7rocprim17ROCPRIM_400000_NS6detail17trampoline_kernelINS0_14default_configENS1_27scan_by_key_config_selectorIj11FixedVectorIiLj4EEEEZZNS1_16scan_by_key_implILNS1_25lookback_scan_determinismE0ELb0ES3_N6thrust23THRUST_200600_302600_NS6detail15normal_iteratorINSB_10device_ptrIjEEEENSD_INSE_IS6_EEEESI_S6_NSB_4plusIvEENSB_8equal_toIvEES6_EE10hipError_tPvRmT2_T3_T4_T5_mT6_T7_P12ihipStream_tbENKUlT_T0_E_clISt17integral_constantIbLb1EES13_EEDaSY_SZ_EUlSY_E_NS1_11comp_targetILNS1_3genE10ELNS1_11target_archE1200ELNS1_3gpuE4ELNS1_3repE0EEENS1_30default_config_static_selectorELNS0_4arch9wavefront6targetE1EEEvT1_
                                        ; -- End function
	.section	.AMDGPU.csdata,"",@progbits
; Kernel info:
; codeLenInByte = 0
; NumSgprs: 6
; NumVgprs: 0
; NumAgprs: 0
; TotalNumVgprs: 0
; ScratchSize: 0
; MemoryBound: 0
; FloatMode: 240
; IeeeMode: 1
; LDSByteSize: 0 bytes/workgroup (compile time only)
; SGPRBlocks: 0
; VGPRBlocks: 0
; NumSGPRsForWavesPerEU: 6
; NumVGPRsForWavesPerEU: 1
; AccumOffset: 4
; Occupancy: 8
; WaveLimiterHint : 0
; COMPUTE_PGM_RSRC2:SCRATCH_EN: 0
; COMPUTE_PGM_RSRC2:USER_SGPR: 2
; COMPUTE_PGM_RSRC2:TRAP_HANDLER: 0
; COMPUTE_PGM_RSRC2:TGID_X_EN: 1
; COMPUTE_PGM_RSRC2:TGID_Y_EN: 0
; COMPUTE_PGM_RSRC2:TGID_Z_EN: 0
; COMPUTE_PGM_RSRC2:TIDIG_COMP_CNT: 0
; COMPUTE_PGM_RSRC3_GFX90A:ACCUM_OFFSET: 0
; COMPUTE_PGM_RSRC3_GFX90A:TG_SPLIT: 0
	.section	.text._ZN7rocprim17ROCPRIM_400000_NS6detail17trampoline_kernelINS0_14default_configENS1_27scan_by_key_config_selectorIj11FixedVectorIiLj4EEEEZZNS1_16scan_by_key_implILNS1_25lookback_scan_determinismE0ELb0ES3_N6thrust23THRUST_200600_302600_NS6detail15normal_iteratorINSB_10device_ptrIjEEEENSD_INSE_IS6_EEEESI_S6_NSB_4plusIvEENSB_8equal_toIvEES6_EE10hipError_tPvRmT2_T3_T4_T5_mT6_T7_P12ihipStream_tbENKUlT_T0_E_clISt17integral_constantIbLb1EES13_EEDaSY_SZ_EUlSY_E_NS1_11comp_targetILNS1_3genE9ELNS1_11target_archE1100ELNS1_3gpuE3ELNS1_3repE0EEENS1_30default_config_static_selectorELNS0_4arch9wavefront6targetE1EEEvT1_,"axG",@progbits,_ZN7rocprim17ROCPRIM_400000_NS6detail17trampoline_kernelINS0_14default_configENS1_27scan_by_key_config_selectorIj11FixedVectorIiLj4EEEEZZNS1_16scan_by_key_implILNS1_25lookback_scan_determinismE0ELb0ES3_N6thrust23THRUST_200600_302600_NS6detail15normal_iteratorINSB_10device_ptrIjEEEENSD_INSE_IS6_EEEESI_S6_NSB_4plusIvEENSB_8equal_toIvEES6_EE10hipError_tPvRmT2_T3_T4_T5_mT6_T7_P12ihipStream_tbENKUlT_T0_E_clISt17integral_constantIbLb1EES13_EEDaSY_SZ_EUlSY_E_NS1_11comp_targetILNS1_3genE9ELNS1_11target_archE1100ELNS1_3gpuE3ELNS1_3repE0EEENS1_30default_config_static_selectorELNS0_4arch9wavefront6targetE1EEEvT1_,comdat
	.protected	_ZN7rocprim17ROCPRIM_400000_NS6detail17trampoline_kernelINS0_14default_configENS1_27scan_by_key_config_selectorIj11FixedVectorIiLj4EEEEZZNS1_16scan_by_key_implILNS1_25lookback_scan_determinismE0ELb0ES3_N6thrust23THRUST_200600_302600_NS6detail15normal_iteratorINSB_10device_ptrIjEEEENSD_INSE_IS6_EEEESI_S6_NSB_4plusIvEENSB_8equal_toIvEES6_EE10hipError_tPvRmT2_T3_T4_T5_mT6_T7_P12ihipStream_tbENKUlT_T0_E_clISt17integral_constantIbLb1EES13_EEDaSY_SZ_EUlSY_E_NS1_11comp_targetILNS1_3genE9ELNS1_11target_archE1100ELNS1_3gpuE3ELNS1_3repE0EEENS1_30default_config_static_selectorELNS0_4arch9wavefront6targetE1EEEvT1_ ; -- Begin function _ZN7rocprim17ROCPRIM_400000_NS6detail17trampoline_kernelINS0_14default_configENS1_27scan_by_key_config_selectorIj11FixedVectorIiLj4EEEEZZNS1_16scan_by_key_implILNS1_25lookback_scan_determinismE0ELb0ES3_N6thrust23THRUST_200600_302600_NS6detail15normal_iteratorINSB_10device_ptrIjEEEENSD_INSE_IS6_EEEESI_S6_NSB_4plusIvEENSB_8equal_toIvEES6_EE10hipError_tPvRmT2_T3_T4_T5_mT6_T7_P12ihipStream_tbENKUlT_T0_E_clISt17integral_constantIbLb1EES13_EEDaSY_SZ_EUlSY_E_NS1_11comp_targetILNS1_3genE9ELNS1_11target_archE1100ELNS1_3gpuE3ELNS1_3repE0EEENS1_30default_config_static_selectorELNS0_4arch9wavefront6targetE1EEEvT1_
	.globl	_ZN7rocprim17ROCPRIM_400000_NS6detail17trampoline_kernelINS0_14default_configENS1_27scan_by_key_config_selectorIj11FixedVectorIiLj4EEEEZZNS1_16scan_by_key_implILNS1_25lookback_scan_determinismE0ELb0ES3_N6thrust23THRUST_200600_302600_NS6detail15normal_iteratorINSB_10device_ptrIjEEEENSD_INSE_IS6_EEEESI_S6_NSB_4plusIvEENSB_8equal_toIvEES6_EE10hipError_tPvRmT2_T3_T4_T5_mT6_T7_P12ihipStream_tbENKUlT_T0_E_clISt17integral_constantIbLb1EES13_EEDaSY_SZ_EUlSY_E_NS1_11comp_targetILNS1_3genE9ELNS1_11target_archE1100ELNS1_3gpuE3ELNS1_3repE0EEENS1_30default_config_static_selectorELNS0_4arch9wavefront6targetE1EEEvT1_
	.p2align	8
	.type	_ZN7rocprim17ROCPRIM_400000_NS6detail17trampoline_kernelINS0_14default_configENS1_27scan_by_key_config_selectorIj11FixedVectorIiLj4EEEEZZNS1_16scan_by_key_implILNS1_25lookback_scan_determinismE0ELb0ES3_N6thrust23THRUST_200600_302600_NS6detail15normal_iteratorINSB_10device_ptrIjEEEENSD_INSE_IS6_EEEESI_S6_NSB_4plusIvEENSB_8equal_toIvEES6_EE10hipError_tPvRmT2_T3_T4_T5_mT6_T7_P12ihipStream_tbENKUlT_T0_E_clISt17integral_constantIbLb1EES13_EEDaSY_SZ_EUlSY_E_NS1_11comp_targetILNS1_3genE9ELNS1_11target_archE1100ELNS1_3gpuE3ELNS1_3repE0EEENS1_30default_config_static_selectorELNS0_4arch9wavefront6targetE1EEEvT1_,@function
_ZN7rocprim17ROCPRIM_400000_NS6detail17trampoline_kernelINS0_14default_configENS1_27scan_by_key_config_selectorIj11FixedVectorIiLj4EEEEZZNS1_16scan_by_key_implILNS1_25lookback_scan_determinismE0ELb0ES3_N6thrust23THRUST_200600_302600_NS6detail15normal_iteratorINSB_10device_ptrIjEEEENSD_INSE_IS6_EEEESI_S6_NSB_4plusIvEENSB_8equal_toIvEES6_EE10hipError_tPvRmT2_T3_T4_T5_mT6_T7_P12ihipStream_tbENKUlT_T0_E_clISt17integral_constantIbLb1EES13_EEDaSY_SZ_EUlSY_E_NS1_11comp_targetILNS1_3genE9ELNS1_11target_archE1100ELNS1_3gpuE3ELNS1_3repE0EEENS1_30default_config_static_selectorELNS0_4arch9wavefront6targetE1EEEvT1_: ; @_ZN7rocprim17ROCPRIM_400000_NS6detail17trampoline_kernelINS0_14default_configENS1_27scan_by_key_config_selectorIj11FixedVectorIiLj4EEEEZZNS1_16scan_by_key_implILNS1_25lookback_scan_determinismE0ELb0ES3_N6thrust23THRUST_200600_302600_NS6detail15normal_iteratorINSB_10device_ptrIjEEEENSD_INSE_IS6_EEEESI_S6_NSB_4plusIvEENSB_8equal_toIvEES6_EE10hipError_tPvRmT2_T3_T4_T5_mT6_T7_P12ihipStream_tbENKUlT_T0_E_clISt17integral_constantIbLb1EES13_EEDaSY_SZ_EUlSY_E_NS1_11comp_targetILNS1_3genE9ELNS1_11target_archE1100ELNS1_3gpuE3ELNS1_3repE0EEENS1_30default_config_static_selectorELNS0_4arch9wavefront6targetE1EEEvT1_
; %bb.0:
	.section	.rodata,"a",@progbits
	.p2align	6, 0x0
	.amdhsa_kernel _ZN7rocprim17ROCPRIM_400000_NS6detail17trampoline_kernelINS0_14default_configENS1_27scan_by_key_config_selectorIj11FixedVectorIiLj4EEEEZZNS1_16scan_by_key_implILNS1_25lookback_scan_determinismE0ELb0ES3_N6thrust23THRUST_200600_302600_NS6detail15normal_iteratorINSB_10device_ptrIjEEEENSD_INSE_IS6_EEEESI_S6_NSB_4plusIvEENSB_8equal_toIvEES6_EE10hipError_tPvRmT2_T3_T4_T5_mT6_T7_P12ihipStream_tbENKUlT_T0_E_clISt17integral_constantIbLb1EES13_EEDaSY_SZ_EUlSY_E_NS1_11comp_targetILNS1_3genE9ELNS1_11target_archE1100ELNS1_3gpuE3ELNS1_3repE0EEENS1_30default_config_static_selectorELNS0_4arch9wavefront6targetE1EEEvT1_
		.amdhsa_group_segment_fixed_size 0
		.amdhsa_private_segment_fixed_size 0
		.amdhsa_kernarg_size 144
		.amdhsa_user_sgpr_count 2
		.amdhsa_user_sgpr_dispatch_ptr 0
		.amdhsa_user_sgpr_queue_ptr 0
		.amdhsa_user_sgpr_kernarg_segment_ptr 1
		.amdhsa_user_sgpr_dispatch_id 0
		.amdhsa_user_sgpr_kernarg_preload_length 0
		.amdhsa_user_sgpr_kernarg_preload_offset 0
		.amdhsa_user_sgpr_private_segment_size 0
		.amdhsa_uses_dynamic_stack 0
		.amdhsa_enable_private_segment 0
		.amdhsa_system_sgpr_workgroup_id_x 1
		.amdhsa_system_sgpr_workgroup_id_y 0
		.amdhsa_system_sgpr_workgroup_id_z 0
		.amdhsa_system_sgpr_workgroup_info 0
		.amdhsa_system_vgpr_workitem_id 0
		.amdhsa_next_free_vgpr 1
		.amdhsa_next_free_sgpr 0
		.amdhsa_accum_offset 4
		.amdhsa_reserve_vcc 0
		.amdhsa_float_round_mode_32 0
		.amdhsa_float_round_mode_16_64 0
		.amdhsa_float_denorm_mode_32 3
		.amdhsa_float_denorm_mode_16_64 3
		.amdhsa_dx10_clamp 1
		.amdhsa_ieee_mode 1
		.amdhsa_fp16_overflow 0
		.amdhsa_tg_split 0
		.amdhsa_exception_fp_ieee_invalid_op 0
		.amdhsa_exception_fp_denorm_src 0
		.amdhsa_exception_fp_ieee_div_zero 0
		.amdhsa_exception_fp_ieee_overflow 0
		.amdhsa_exception_fp_ieee_underflow 0
		.amdhsa_exception_fp_ieee_inexact 0
		.amdhsa_exception_int_div_zero 0
	.end_amdhsa_kernel
	.section	.text._ZN7rocprim17ROCPRIM_400000_NS6detail17trampoline_kernelINS0_14default_configENS1_27scan_by_key_config_selectorIj11FixedVectorIiLj4EEEEZZNS1_16scan_by_key_implILNS1_25lookback_scan_determinismE0ELb0ES3_N6thrust23THRUST_200600_302600_NS6detail15normal_iteratorINSB_10device_ptrIjEEEENSD_INSE_IS6_EEEESI_S6_NSB_4plusIvEENSB_8equal_toIvEES6_EE10hipError_tPvRmT2_T3_T4_T5_mT6_T7_P12ihipStream_tbENKUlT_T0_E_clISt17integral_constantIbLb1EES13_EEDaSY_SZ_EUlSY_E_NS1_11comp_targetILNS1_3genE9ELNS1_11target_archE1100ELNS1_3gpuE3ELNS1_3repE0EEENS1_30default_config_static_selectorELNS0_4arch9wavefront6targetE1EEEvT1_,"axG",@progbits,_ZN7rocprim17ROCPRIM_400000_NS6detail17trampoline_kernelINS0_14default_configENS1_27scan_by_key_config_selectorIj11FixedVectorIiLj4EEEEZZNS1_16scan_by_key_implILNS1_25lookback_scan_determinismE0ELb0ES3_N6thrust23THRUST_200600_302600_NS6detail15normal_iteratorINSB_10device_ptrIjEEEENSD_INSE_IS6_EEEESI_S6_NSB_4plusIvEENSB_8equal_toIvEES6_EE10hipError_tPvRmT2_T3_T4_T5_mT6_T7_P12ihipStream_tbENKUlT_T0_E_clISt17integral_constantIbLb1EES13_EEDaSY_SZ_EUlSY_E_NS1_11comp_targetILNS1_3genE9ELNS1_11target_archE1100ELNS1_3gpuE3ELNS1_3repE0EEENS1_30default_config_static_selectorELNS0_4arch9wavefront6targetE1EEEvT1_,comdat
.Lfunc_end2051:
	.size	_ZN7rocprim17ROCPRIM_400000_NS6detail17trampoline_kernelINS0_14default_configENS1_27scan_by_key_config_selectorIj11FixedVectorIiLj4EEEEZZNS1_16scan_by_key_implILNS1_25lookback_scan_determinismE0ELb0ES3_N6thrust23THRUST_200600_302600_NS6detail15normal_iteratorINSB_10device_ptrIjEEEENSD_INSE_IS6_EEEESI_S6_NSB_4plusIvEENSB_8equal_toIvEES6_EE10hipError_tPvRmT2_T3_T4_T5_mT6_T7_P12ihipStream_tbENKUlT_T0_E_clISt17integral_constantIbLb1EES13_EEDaSY_SZ_EUlSY_E_NS1_11comp_targetILNS1_3genE9ELNS1_11target_archE1100ELNS1_3gpuE3ELNS1_3repE0EEENS1_30default_config_static_selectorELNS0_4arch9wavefront6targetE1EEEvT1_, .Lfunc_end2051-_ZN7rocprim17ROCPRIM_400000_NS6detail17trampoline_kernelINS0_14default_configENS1_27scan_by_key_config_selectorIj11FixedVectorIiLj4EEEEZZNS1_16scan_by_key_implILNS1_25lookback_scan_determinismE0ELb0ES3_N6thrust23THRUST_200600_302600_NS6detail15normal_iteratorINSB_10device_ptrIjEEEENSD_INSE_IS6_EEEESI_S6_NSB_4plusIvEENSB_8equal_toIvEES6_EE10hipError_tPvRmT2_T3_T4_T5_mT6_T7_P12ihipStream_tbENKUlT_T0_E_clISt17integral_constantIbLb1EES13_EEDaSY_SZ_EUlSY_E_NS1_11comp_targetILNS1_3genE9ELNS1_11target_archE1100ELNS1_3gpuE3ELNS1_3repE0EEENS1_30default_config_static_selectorELNS0_4arch9wavefront6targetE1EEEvT1_
                                        ; -- End function
	.section	.AMDGPU.csdata,"",@progbits
; Kernel info:
; codeLenInByte = 0
; NumSgprs: 6
; NumVgprs: 0
; NumAgprs: 0
; TotalNumVgprs: 0
; ScratchSize: 0
; MemoryBound: 0
; FloatMode: 240
; IeeeMode: 1
; LDSByteSize: 0 bytes/workgroup (compile time only)
; SGPRBlocks: 0
; VGPRBlocks: 0
; NumSGPRsForWavesPerEU: 6
; NumVGPRsForWavesPerEU: 1
; AccumOffset: 4
; Occupancy: 8
; WaveLimiterHint : 0
; COMPUTE_PGM_RSRC2:SCRATCH_EN: 0
; COMPUTE_PGM_RSRC2:USER_SGPR: 2
; COMPUTE_PGM_RSRC2:TRAP_HANDLER: 0
; COMPUTE_PGM_RSRC2:TGID_X_EN: 1
; COMPUTE_PGM_RSRC2:TGID_Y_EN: 0
; COMPUTE_PGM_RSRC2:TGID_Z_EN: 0
; COMPUTE_PGM_RSRC2:TIDIG_COMP_CNT: 0
; COMPUTE_PGM_RSRC3_GFX90A:ACCUM_OFFSET: 0
; COMPUTE_PGM_RSRC3_GFX90A:TG_SPLIT: 0
	.section	.text._ZN7rocprim17ROCPRIM_400000_NS6detail17trampoline_kernelINS0_14default_configENS1_27scan_by_key_config_selectorIj11FixedVectorIiLj4EEEEZZNS1_16scan_by_key_implILNS1_25lookback_scan_determinismE0ELb0ES3_N6thrust23THRUST_200600_302600_NS6detail15normal_iteratorINSB_10device_ptrIjEEEENSD_INSE_IS6_EEEESI_S6_NSB_4plusIvEENSB_8equal_toIvEES6_EE10hipError_tPvRmT2_T3_T4_T5_mT6_T7_P12ihipStream_tbENKUlT_T0_E_clISt17integral_constantIbLb1EES13_EEDaSY_SZ_EUlSY_E_NS1_11comp_targetILNS1_3genE8ELNS1_11target_archE1030ELNS1_3gpuE2ELNS1_3repE0EEENS1_30default_config_static_selectorELNS0_4arch9wavefront6targetE1EEEvT1_,"axG",@progbits,_ZN7rocprim17ROCPRIM_400000_NS6detail17trampoline_kernelINS0_14default_configENS1_27scan_by_key_config_selectorIj11FixedVectorIiLj4EEEEZZNS1_16scan_by_key_implILNS1_25lookback_scan_determinismE0ELb0ES3_N6thrust23THRUST_200600_302600_NS6detail15normal_iteratorINSB_10device_ptrIjEEEENSD_INSE_IS6_EEEESI_S6_NSB_4plusIvEENSB_8equal_toIvEES6_EE10hipError_tPvRmT2_T3_T4_T5_mT6_T7_P12ihipStream_tbENKUlT_T0_E_clISt17integral_constantIbLb1EES13_EEDaSY_SZ_EUlSY_E_NS1_11comp_targetILNS1_3genE8ELNS1_11target_archE1030ELNS1_3gpuE2ELNS1_3repE0EEENS1_30default_config_static_selectorELNS0_4arch9wavefront6targetE1EEEvT1_,comdat
	.protected	_ZN7rocprim17ROCPRIM_400000_NS6detail17trampoline_kernelINS0_14default_configENS1_27scan_by_key_config_selectorIj11FixedVectorIiLj4EEEEZZNS1_16scan_by_key_implILNS1_25lookback_scan_determinismE0ELb0ES3_N6thrust23THRUST_200600_302600_NS6detail15normal_iteratorINSB_10device_ptrIjEEEENSD_INSE_IS6_EEEESI_S6_NSB_4plusIvEENSB_8equal_toIvEES6_EE10hipError_tPvRmT2_T3_T4_T5_mT6_T7_P12ihipStream_tbENKUlT_T0_E_clISt17integral_constantIbLb1EES13_EEDaSY_SZ_EUlSY_E_NS1_11comp_targetILNS1_3genE8ELNS1_11target_archE1030ELNS1_3gpuE2ELNS1_3repE0EEENS1_30default_config_static_selectorELNS0_4arch9wavefront6targetE1EEEvT1_ ; -- Begin function _ZN7rocprim17ROCPRIM_400000_NS6detail17trampoline_kernelINS0_14default_configENS1_27scan_by_key_config_selectorIj11FixedVectorIiLj4EEEEZZNS1_16scan_by_key_implILNS1_25lookback_scan_determinismE0ELb0ES3_N6thrust23THRUST_200600_302600_NS6detail15normal_iteratorINSB_10device_ptrIjEEEENSD_INSE_IS6_EEEESI_S6_NSB_4plusIvEENSB_8equal_toIvEES6_EE10hipError_tPvRmT2_T3_T4_T5_mT6_T7_P12ihipStream_tbENKUlT_T0_E_clISt17integral_constantIbLb1EES13_EEDaSY_SZ_EUlSY_E_NS1_11comp_targetILNS1_3genE8ELNS1_11target_archE1030ELNS1_3gpuE2ELNS1_3repE0EEENS1_30default_config_static_selectorELNS0_4arch9wavefront6targetE1EEEvT1_
	.globl	_ZN7rocprim17ROCPRIM_400000_NS6detail17trampoline_kernelINS0_14default_configENS1_27scan_by_key_config_selectorIj11FixedVectorIiLj4EEEEZZNS1_16scan_by_key_implILNS1_25lookback_scan_determinismE0ELb0ES3_N6thrust23THRUST_200600_302600_NS6detail15normal_iteratorINSB_10device_ptrIjEEEENSD_INSE_IS6_EEEESI_S6_NSB_4plusIvEENSB_8equal_toIvEES6_EE10hipError_tPvRmT2_T3_T4_T5_mT6_T7_P12ihipStream_tbENKUlT_T0_E_clISt17integral_constantIbLb1EES13_EEDaSY_SZ_EUlSY_E_NS1_11comp_targetILNS1_3genE8ELNS1_11target_archE1030ELNS1_3gpuE2ELNS1_3repE0EEENS1_30default_config_static_selectorELNS0_4arch9wavefront6targetE1EEEvT1_
	.p2align	8
	.type	_ZN7rocprim17ROCPRIM_400000_NS6detail17trampoline_kernelINS0_14default_configENS1_27scan_by_key_config_selectorIj11FixedVectorIiLj4EEEEZZNS1_16scan_by_key_implILNS1_25lookback_scan_determinismE0ELb0ES3_N6thrust23THRUST_200600_302600_NS6detail15normal_iteratorINSB_10device_ptrIjEEEENSD_INSE_IS6_EEEESI_S6_NSB_4plusIvEENSB_8equal_toIvEES6_EE10hipError_tPvRmT2_T3_T4_T5_mT6_T7_P12ihipStream_tbENKUlT_T0_E_clISt17integral_constantIbLb1EES13_EEDaSY_SZ_EUlSY_E_NS1_11comp_targetILNS1_3genE8ELNS1_11target_archE1030ELNS1_3gpuE2ELNS1_3repE0EEENS1_30default_config_static_selectorELNS0_4arch9wavefront6targetE1EEEvT1_,@function
_ZN7rocprim17ROCPRIM_400000_NS6detail17trampoline_kernelINS0_14default_configENS1_27scan_by_key_config_selectorIj11FixedVectorIiLj4EEEEZZNS1_16scan_by_key_implILNS1_25lookback_scan_determinismE0ELb0ES3_N6thrust23THRUST_200600_302600_NS6detail15normal_iteratorINSB_10device_ptrIjEEEENSD_INSE_IS6_EEEESI_S6_NSB_4plusIvEENSB_8equal_toIvEES6_EE10hipError_tPvRmT2_T3_T4_T5_mT6_T7_P12ihipStream_tbENKUlT_T0_E_clISt17integral_constantIbLb1EES13_EEDaSY_SZ_EUlSY_E_NS1_11comp_targetILNS1_3genE8ELNS1_11target_archE1030ELNS1_3gpuE2ELNS1_3repE0EEENS1_30default_config_static_selectorELNS0_4arch9wavefront6targetE1EEEvT1_: ; @_ZN7rocprim17ROCPRIM_400000_NS6detail17trampoline_kernelINS0_14default_configENS1_27scan_by_key_config_selectorIj11FixedVectorIiLj4EEEEZZNS1_16scan_by_key_implILNS1_25lookback_scan_determinismE0ELb0ES3_N6thrust23THRUST_200600_302600_NS6detail15normal_iteratorINSB_10device_ptrIjEEEENSD_INSE_IS6_EEEESI_S6_NSB_4plusIvEENSB_8equal_toIvEES6_EE10hipError_tPvRmT2_T3_T4_T5_mT6_T7_P12ihipStream_tbENKUlT_T0_E_clISt17integral_constantIbLb1EES13_EEDaSY_SZ_EUlSY_E_NS1_11comp_targetILNS1_3genE8ELNS1_11target_archE1030ELNS1_3gpuE2ELNS1_3repE0EEENS1_30default_config_static_selectorELNS0_4arch9wavefront6targetE1EEEvT1_
; %bb.0:
	.section	.rodata,"a",@progbits
	.p2align	6, 0x0
	.amdhsa_kernel _ZN7rocprim17ROCPRIM_400000_NS6detail17trampoline_kernelINS0_14default_configENS1_27scan_by_key_config_selectorIj11FixedVectorIiLj4EEEEZZNS1_16scan_by_key_implILNS1_25lookback_scan_determinismE0ELb0ES3_N6thrust23THRUST_200600_302600_NS6detail15normal_iteratorINSB_10device_ptrIjEEEENSD_INSE_IS6_EEEESI_S6_NSB_4plusIvEENSB_8equal_toIvEES6_EE10hipError_tPvRmT2_T3_T4_T5_mT6_T7_P12ihipStream_tbENKUlT_T0_E_clISt17integral_constantIbLb1EES13_EEDaSY_SZ_EUlSY_E_NS1_11comp_targetILNS1_3genE8ELNS1_11target_archE1030ELNS1_3gpuE2ELNS1_3repE0EEENS1_30default_config_static_selectorELNS0_4arch9wavefront6targetE1EEEvT1_
		.amdhsa_group_segment_fixed_size 0
		.amdhsa_private_segment_fixed_size 0
		.amdhsa_kernarg_size 144
		.amdhsa_user_sgpr_count 2
		.amdhsa_user_sgpr_dispatch_ptr 0
		.amdhsa_user_sgpr_queue_ptr 0
		.amdhsa_user_sgpr_kernarg_segment_ptr 1
		.amdhsa_user_sgpr_dispatch_id 0
		.amdhsa_user_sgpr_kernarg_preload_length 0
		.amdhsa_user_sgpr_kernarg_preload_offset 0
		.amdhsa_user_sgpr_private_segment_size 0
		.amdhsa_uses_dynamic_stack 0
		.amdhsa_enable_private_segment 0
		.amdhsa_system_sgpr_workgroup_id_x 1
		.amdhsa_system_sgpr_workgroup_id_y 0
		.amdhsa_system_sgpr_workgroup_id_z 0
		.amdhsa_system_sgpr_workgroup_info 0
		.amdhsa_system_vgpr_workitem_id 0
		.amdhsa_next_free_vgpr 1
		.amdhsa_next_free_sgpr 0
		.amdhsa_accum_offset 4
		.amdhsa_reserve_vcc 0
		.amdhsa_float_round_mode_32 0
		.amdhsa_float_round_mode_16_64 0
		.amdhsa_float_denorm_mode_32 3
		.amdhsa_float_denorm_mode_16_64 3
		.amdhsa_dx10_clamp 1
		.amdhsa_ieee_mode 1
		.amdhsa_fp16_overflow 0
		.amdhsa_tg_split 0
		.amdhsa_exception_fp_ieee_invalid_op 0
		.amdhsa_exception_fp_denorm_src 0
		.amdhsa_exception_fp_ieee_div_zero 0
		.amdhsa_exception_fp_ieee_overflow 0
		.amdhsa_exception_fp_ieee_underflow 0
		.amdhsa_exception_fp_ieee_inexact 0
		.amdhsa_exception_int_div_zero 0
	.end_amdhsa_kernel
	.section	.text._ZN7rocprim17ROCPRIM_400000_NS6detail17trampoline_kernelINS0_14default_configENS1_27scan_by_key_config_selectorIj11FixedVectorIiLj4EEEEZZNS1_16scan_by_key_implILNS1_25lookback_scan_determinismE0ELb0ES3_N6thrust23THRUST_200600_302600_NS6detail15normal_iteratorINSB_10device_ptrIjEEEENSD_INSE_IS6_EEEESI_S6_NSB_4plusIvEENSB_8equal_toIvEES6_EE10hipError_tPvRmT2_T3_T4_T5_mT6_T7_P12ihipStream_tbENKUlT_T0_E_clISt17integral_constantIbLb1EES13_EEDaSY_SZ_EUlSY_E_NS1_11comp_targetILNS1_3genE8ELNS1_11target_archE1030ELNS1_3gpuE2ELNS1_3repE0EEENS1_30default_config_static_selectorELNS0_4arch9wavefront6targetE1EEEvT1_,"axG",@progbits,_ZN7rocprim17ROCPRIM_400000_NS6detail17trampoline_kernelINS0_14default_configENS1_27scan_by_key_config_selectorIj11FixedVectorIiLj4EEEEZZNS1_16scan_by_key_implILNS1_25lookback_scan_determinismE0ELb0ES3_N6thrust23THRUST_200600_302600_NS6detail15normal_iteratorINSB_10device_ptrIjEEEENSD_INSE_IS6_EEEESI_S6_NSB_4plusIvEENSB_8equal_toIvEES6_EE10hipError_tPvRmT2_T3_T4_T5_mT6_T7_P12ihipStream_tbENKUlT_T0_E_clISt17integral_constantIbLb1EES13_EEDaSY_SZ_EUlSY_E_NS1_11comp_targetILNS1_3genE8ELNS1_11target_archE1030ELNS1_3gpuE2ELNS1_3repE0EEENS1_30default_config_static_selectorELNS0_4arch9wavefront6targetE1EEEvT1_,comdat
.Lfunc_end2052:
	.size	_ZN7rocprim17ROCPRIM_400000_NS6detail17trampoline_kernelINS0_14default_configENS1_27scan_by_key_config_selectorIj11FixedVectorIiLj4EEEEZZNS1_16scan_by_key_implILNS1_25lookback_scan_determinismE0ELb0ES3_N6thrust23THRUST_200600_302600_NS6detail15normal_iteratorINSB_10device_ptrIjEEEENSD_INSE_IS6_EEEESI_S6_NSB_4plusIvEENSB_8equal_toIvEES6_EE10hipError_tPvRmT2_T3_T4_T5_mT6_T7_P12ihipStream_tbENKUlT_T0_E_clISt17integral_constantIbLb1EES13_EEDaSY_SZ_EUlSY_E_NS1_11comp_targetILNS1_3genE8ELNS1_11target_archE1030ELNS1_3gpuE2ELNS1_3repE0EEENS1_30default_config_static_selectorELNS0_4arch9wavefront6targetE1EEEvT1_, .Lfunc_end2052-_ZN7rocprim17ROCPRIM_400000_NS6detail17trampoline_kernelINS0_14default_configENS1_27scan_by_key_config_selectorIj11FixedVectorIiLj4EEEEZZNS1_16scan_by_key_implILNS1_25lookback_scan_determinismE0ELb0ES3_N6thrust23THRUST_200600_302600_NS6detail15normal_iteratorINSB_10device_ptrIjEEEENSD_INSE_IS6_EEEESI_S6_NSB_4plusIvEENSB_8equal_toIvEES6_EE10hipError_tPvRmT2_T3_T4_T5_mT6_T7_P12ihipStream_tbENKUlT_T0_E_clISt17integral_constantIbLb1EES13_EEDaSY_SZ_EUlSY_E_NS1_11comp_targetILNS1_3genE8ELNS1_11target_archE1030ELNS1_3gpuE2ELNS1_3repE0EEENS1_30default_config_static_selectorELNS0_4arch9wavefront6targetE1EEEvT1_
                                        ; -- End function
	.section	.AMDGPU.csdata,"",@progbits
; Kernel info:
; codeLenInByte = 0
; NumSgprs: 6
; NumVgprs: 0
; NumAgprs: 0
; TotalNumVgprs: 0
; ScratchSize: 0
; MemoryBound: 0
; FloatMode: 240
; IeeeMode: 1
; LDSByteSize: 0 bytes/workgroup (compile time only)
; SGPRBlocks: 0
; VGPRBlocks: 0
; NumSGPRsForWavesPerEU: 6
; NumVGPRsForWavesPerEU: 1
; AccumOffset: 4
; Occupancy: 8
; WaveLimiterHint : 0
; COMPUTE_PGM_RSRC2:SCRATCH_EN: 0
; COMPUTE_PGM_RSRC2:USER_SGPR: 2
; COMPUTE_PGM_RSRC2:TRAP_HANDLER: 0
; COMPUTE_PGM_RSRC2:TGID_X_EN: 1
; COMPUTE_PGM_RSRC2:TGID_Y_EN: 0
; COMPUTE_PGM_RSRC2:TGID_Z_EN: 0
; COMPUTE_PGM_RSRC2:TIDIG_COMP_CNT: 0
; COMPUTE_PGM_RSRC3_GFX90A:ACCUM_OFFSET: 0
; COMPUTE_PGM_RSRC3_GFX90A:TG_SPLIT: 0
	.section	.text._ZN7rocprim17ROCPRIM_400000_NS6detail30init_device_scan_by_key_kernelINS1_19lookback_scan_stateINS0_5tupleIJ11FixedVectorIiLj4EEbEEELb1ELb0EEEN6thrust23THRUST_200600_302600_NS6detail15normal_iteratorINSA_10device_ptrIjEEEEjNS1_16block_id_wrapperIjLb0EEEEEvT_jjPNSI_10value_typeET0_PNSt15iterator_traitsISL_E10value_typeEmT1_T2_,"axG",@progbits,_ZN7rocprim17ROCPRIM_400000_NS6detail30init_device_scan_by_key_kernelINS1_19lookback_scan_stateINS0_5tupleIJ11FixedVectorIiLj4EEbEEELb1ELb0EEEN6thrust23THRUST_200600_302600_NS6detail15normal_iteratorINSA_10device_ptrIjEEEEjNS1_16block_id_wrapperIjLb0EEEEEvT_jjPNSI_10value_typeET0_PNSt15iterator_traitsISL_E10value_typeEmT1_T2_,comdat
	.protected	_ZN7rocprim17ROCPRIM_400000_NS6detail30init_device_scan_by_key_kernelINS1_19lookback_scan_stateINS0_5tupleIJ11FixedVectorIiLj4EEbEEELb1ELb0EEEN6thrust23THRUST_200600_302600_NS6detail15normal_iteratorINSA_10device_ptrIjEEEEjNS1_16block_id_wrapperIjLb0EEEEEvT_jjPNSI_10value_typeET0_PNSt15iterator_traitsISL_E10value_typeEmT1_T2_ ; -- Begin function _ZN7rocprim17ROCPRIM_400000_NS6detail30init_device_scan_by_key_kernelINS1_19lookback_scan_stateINS0_5tupleIJ11FixedVectorIiLj4EEbEEELb1ELb0EEEN6thrust23THRUST_200600_302600_NS6detail15normal_iteratorINSA_10device_ptrIjEEEEjNS1_16block_id_wrapperIjLb0EEEEEvT_jjPNSI_10value_typeET0_PNSt15iterator_traitsISL_E10value_typeEmT1_T2_
	.globl	_ZN7rocprim17ROCPRIM_400000_NS6detail30init_device_scan_by_key_kernelINS1_19lookback_scan_stateINS0_5tupleIJ11FixedVectorIiLj4EEbEEELb1ELb0EEEN6thrust23THRUST_200600_302600_NS6detail15normal_iteratorINSA_10device_ptrIjEEEEjNS1_16block_id_wrapperIjLb0EEEEEvT_jjPNSI_10value_typeET0_PNSt15iterator_traitsISL_E10value_typeEmT1_T2_
	.p2align	8
	.type	_ZN7rocprim17ROCPRIM_400000_NS6detail30init_device_scan_by_key_kernelINS1_19lookback_scan_stateINS0_5tupleIJ11FixedVectorIiLj4EEbEEELb1ELb0EEEN6thrust23THRUST_200600_302600_NS6detail15normal_iteratorINSA_10device_ptrIjEEEEjNS1_16block_id_wrapperIjLb0EEEEEvT_jjPNSI_10value_typeET0_PNSt15iterator_traitsISL_E10value_typeEmT1_T2_,@function
_ZN7rocprim17ROCPRIM_400000_NS6detail30init_device_scan_by_key_kernelINS1_19lookback_scan_stateINS0_5tupleIJ11FixedVectorIiLj4EEbEEELb1ELb0EEEN6thrust23THRUST_200600_302600_NS6detail15normal_iteratorINSA_10device_ptrIjEEEEjNS1_16block_id_wrapperIjLb0EEEEEvT_jjPNSI_10value_typeET0_PNSt15iterator_traitsISL_E10value_typeEmT1_T2_: ; @_ZN7rocprim17ROCPRIM_400000_NS6detail30init_device_scan_by_key_kernelINS1_19lookback_scan_stateINS0_5tupleIJ11FixedVectorIiLj4EEbEEELb1ELb0EEEN6thrust23THRUST_200600_302600_NS6detail15normal_iteratorINSA_10device_ptrIjEEEEjNS1_16block_id_wrapperIjLb0EEEEEvT_jjPNSI_10value_typeET0_PNSt15iterator_traitsISL_E10value_typeEmT1_T2_
; %bb.0:
	s_load_dword s3, s[0:1], 0x54
	s_load_dwordx8 s[4:11], s[0:1], 0x10
	s_load_dword s18, s[0:1], 0x48
	s_waitcnt lgkmcnt(0)
	s_and_b32 s19, s3, 0xffff
	s_mul_i32 s2, s2, s19
	s_cmp_eq_u64 s[8:9], 0
	v_add_u32_e32 v0, s2, v0
	s_cbranch_scc1 .LBB2053_11
; %bb.1:
	s_cmp_lt_u32 s7, s6
	s_cselect_b32 s2, s7, 0
	v_cmp_eq_u32_e32 vcc, s2, v0
	s_and_saveexec_b64 s[2:3], vcc
	s_cbranch_execz .LBB2053_10
; %bb.2:
	s_add_i32 s7, s7, 64
	v_mov_b32_e32 v1, s7
	global_load_ubyte v1, v1, s[4:5] sc1
	s_load_dwordx4 s[12:15], s[0:1], 0x0
	s_add_u32 s16, s4, s7
	s_addc_u32 s17, s5, 0
	s_waitcnt vmcnt(0)
	v_cmp_ne_u16_e32 vcc, 0, v1
	v_readfirstlane_b32 s20, v1
	s_cbranch_vccz .LBB2053_4
; %bb.3:
	s_and_b32 s16, 0xffff, s20
	s_branch .LBB2053_9
.LBB2053_4:
	s_mov_b32 s20, 1
	v_mov_b32_e32 v1, 0
.LBB2053_5:                             ; =>This Loop Header: Depth=1
                                        ;     Child Loop BB2053_6 Depth 2
	s_max_u32 s21, s20, 1
.LBB2053_6:                             ;   Parent Loop BB2053_5 Depth=1
                                        ; =>  This Inner Loop Header: Depth=2
	s_add_i32 s21, s21, -1
	s_cmp_eq_u32 s21, 0
	s_sleep 1
	s_cbranch_scc0 .LBB2053_6
; %bb.7:                                ;   in Loop: Header=BB2053_5 Depth=1
	global_load_ubyte v2, v1, s[16:17] sc1
	s_cmp_lt_u32 s20, 32
	s_cselect_b64 s[22:23], -1, 0
	s_cmp_lg_u64 s[22:23], 0
	s_addc_u32 s20, s20, 0
	s_waitcnt vmcnt(0)
	v_cmp_ne_u16_e32 vcc, 0, v2
	v_readfirstlane_b32 s21, v2
	s_cbranch_vccz .LBB2053_5
; %bb.8:
	s_and_b32 s16, 0xffff, s21
.LBB2053_9:
	s_cmp_eq_u32 s16, 1
	s_waitcnt lgkmcnt(0)
	s_cselect_b32 s12, s12, s14
	s_mul_hi_u32 s14, s7, 20
	s_mul_i32 s7, s7, 20
	s_cselect_b32 s13, s13, s15
	s_add_u32 s12, s12, s7
	s_addc_u32 s13, s13, s14
	v_mov_b32_e32 v1, 0
	s_waitcnt vmcnt(0)
	global_load_dword v2, v1, s[12:13] sc1
	global_load_dword v3, v1, s[12:13] offset:4 sc1
	global_load_dword v4, v1, s[12:13] offset:8 sc1
	;; [unrolled: 1-line block ×4, first 2 shown]
	s_waitcnt vmcnt(1)
	global_store_dwordx4 v1, v[2:5], s[8:9]
	s_waitcnt vmcnt(1)
	global_store_byte v1, v6, s[8:9] offset:16
.LBB2053_10:
	s_or_b64 exec, exec, s[2:3]
.LBB2053_11:
	v_cmp_gt_u32_e32 vcc, s6, v0
	s_and_saveexec_b64 s[2:3], vcc
	s_cbranch_execz .LBB2053_13
; %bb.12:
	v_add_u32_e32 v1, 64, v0
	v_mov_b32_e32 v2, 0
	global_store_byte v1, v2, s[4:5]
.LBB2053_13:
	s_or_b64 exec, exec, s[2:3]
	v_cmp_gt_u32_e32 vcc, 64, v0
	v_mov_b32_e32 v1, 0
	s_and_saveexec_b64 s[2:3], vcc
	s_cbranch_execz .LBB2053_15
; %bb.14:
	v_lshl_add_u64 v[2:3], s[4:5], 0, v[0:1]
	v_mov_b32_e32 v4, 0xff
	global_store_byte v[2:3], v4, off
.LBB2053_15:
	s_or_b64 exec, exec, s[2:3]
	s_load_dwordx2 s[2:3], s[0:1], 0x38
	s_waitcnt lgkmcnt(0)
	v_cmp_gt_u64_e32 vcc, s[2:3], v[0:1]
	s_and_saveexec_b64 s[4:5], vcc
	s_cbranch_execz .LBB2053_18
; %bb.16:
	s_load_dword s12, s[0:1], 0x40
	s_load_dwordx2 s[6:7], s[0:1], 0x30
	s_mov_b32 s5, 0
	s_mov_b32 s1, s5
	s_mul_i32 s0, s18, s19
	s_waitcnt lgkmcnt(0)
	s_add_i32 s4, s12, -1
	s_lshl_b64 s[4:5], s[4:5], 2
	s_add_u32 s4, s10, s4
	v_mad_u64_u32 v[2:3], s[8:9], s12, v0, 0
	s_addc_u32 s5, s11, s5
	v_lshl_add_u64 v[2:3], v[2:3], 2, s[4:5]
	s_mul_hi_u32 s5, s12, s0
	s_mul_i32 s4, s12, s0
	s_lshl_b64 s[4:5], s[4:5], 2
	v_lshl_add_u64 v[4:5], v[0:1], 2, s[6:7]
	s_lshl_b64 s[6:7], s[0:1], 2
	s_mov_b64 s[8:9], 0
.LBB2053_17:                            ; =>This Inner Loop Header: Depth=1
	global_load_dword v6, v[2:3], off
	v_lshl_add_u64 v[0:1], v[0:1], 0, s[0:1]
	v_cmp_le_u64_e32 vcc, s[2:3], v[0:1]
	v_lshl_add_u64 v[2:3], v[2:3], 0, s[4:5]
	s_or_b64 s[8:9], vcc, s[8:9]
	s_waitcnt vmcnt(0)
	global_store_dword v[4:5], v6, off
	v_lshl_add_u64 v[4:5], v[4:5], 0, s[6:7]
	s_andn2_b64 exec, exec, s[8:9]
	s_cbranch_execnz .LBB2053_17
.LBB2053_18:
	s_endpgm
	.section	.rodata,"a",@progbits
	.p2align	6, 0x0
	.amdhsa_kernel _ZN7rocprim17ROCPRIM_400000_NS6detail30init_device_scan_by_key_kernelINS1_19lookback_scan_stateINS0_5tupleIJ11FixedVectorIiLj4EEbEEELb1ELb0EEEN6thrust23THRUST_200600_302600_NS6detail15normal_iteratorINSA_10device_ptrIjEEEEjNS1_16block_id_wrapperIjLb0EEEEEvT_jjPNSI_10value_typeET0_PNSt15iterator_traitsISL_E10value_typeEmT1_T2_
		.amdhsa_group_segment_fixed_size 0
		.amdhsa_private_segment_fixed_size 0
		.amdhsa_kernarg_size 328
		.amdhsa_user_sgpr_count 2
		.amdhsa_user_sgpr_dispatch_ptr 0
		.amdhsa_user_sgpr_queue_ptr 0
		.amdhsa_user_sgpr_kernarg_segment_ptr 1
		.amdhsa_user_sgpr_dispatch_id 0
		.amdhsa_user_sgpr_kernarg_preload_length 0
		.amdhsa_user_sgpr_kernarg_preload_offset 0
		.amdhsa_user_sgpr_private_segment_size 0
		.amdhsa_uses_dynamic_stack 0
		.amdhsa_enable_private_segment 0
		.amdhsa_system_sgpr_workgroup_id_x 1
		.amdhsa_system_sgpr_workgroup_id_y 0
		.amdhsa_system_sgpr_workgroup_id_z 0
		.amdhsa_system_sgpr_workgroup_info 0
		.amdhsa_system_vgpr_workitem_id 0
		.amdhsa_next_free_vgpr 7
		.amdhsa_next_free_sgpr 24
		.amdhsa_accum_offset 8
		.amdhsa_reserve_vcc 1
		.amdhsa_float_round_mode_32 0
		.amdhsa_float_round_mode_16_64 0
		.amdhsa_float_denorm_mode_32 3
		.amdhsa_float_denorm_mode_16_64 3
		.amdhsa_dx10_clamp 1
		.amdhsa_ieee_mode 1
		.amdhsa_fp16_overflow 0
		.amdhsa_tg_split 0
		.amdhsa_exception_fp_ieee_invalid_op 0
		.amdhsa_exception_fp_denorm_src 0
		.amdhsa_exception_fp_ieee_div_zero 0
		.amdhsa_exception_fp_ieee_overflow 0
		.amdhsa_exception_fp_ieee_underflow 0
		.amdhsa_exception_fp_ieee_inexact 0
		.amdhsa_exception_int_div_zero 0
	.end_amdhsa_kernel
	.section	.text._ZN7rocprim17ROCPRIM_400000_NS6detail30init_device_scan_by_key_kernelINS1_19lookback_scan_stateINS0_5tupleIJ11FixedVectorIiLj4EEbEEELb1ELb0EEEN6thrust23THRUST_200600_302600_NS6detail15normal_iteratorINSA_10device_ptrIjEEEEjNS1_16block_id_wrapperIjLb0EEEEEvT_jjPNSI_10value_typeET0_PNSt15iterator_traitsISL_E10value_typeEmT1_T2_,"axG",@progbits,_ZN7rocprim17ROCPRIM_400000_NS6detail30init_device_scan_by_key_kernelINS1_19lookback_scan_stateINS0_5tupleIJ11FixedVectorIiLj4EEbEEELb1ELb0EEEN6thrust23THRUST_200600_302600_NS6detail15normal_iteratorINSA_10device_ptrIjEEEEjNS1_16block_id_wrapperIjLb0EEEEEvT_jjPNSI_10value_typeET0_PNSt15iterator_traitsISL_E10value_typeEmT1_T2_,comdat
.Lfunc_end2053:
	.size	_ZN7rocprim17ROCPRIM_400000_NS6detail30init_device_scan_by_key_kernelINS1_19lookback_scan_stateINS0_5tupleIJ11FixedVectorIiLj4EEbEEELb1ELb0EEEN6thrust23THRUST_200600_302600_NS6detail15normal_iteratorINSA_10device_ptrIjEEEEjNS1_16block_id_wrapperIjLb0EEEEEvT_jjPNSI_10value_typeET0_PNSt15iterator_traitsISL_E10value_typeEmT1_T2_, .Lfunc_end2053-_ZN7rocprim17ROCPRIM_400000_NS6detail30init_device_scan_by_key_kernelINS1_19lookback_scan_stateINS0_5tupleIJ11FixedVectorIiLj4EEbEEELb1ELb0EEEN6thrust23THRUST_200600_302600_NS6detail15normal_iteratorINSA_10device_ptrIjEEEEjNS1_16block_id_wrapperIjLb0EEEEEvT_jjPNSI_10value_typeET0_PNSt15iterator_traitsISL_E10value_typeEmT1_T2_
                                        ; -- End function
	.section	.AMDGPU.csdata,"",@progbits
; Kernel info:
; codeLenInByte = 572
; NumSgprs: 30
; NumVgprs: 7
; NumAgprs: 0
; TotalNumVgprs: 7
; ScratchSize: 0
; MemoryBound: 0
; FloatMode: 240
; IeeeMode: 1
; LDSByteSize: 0 bytes/workgroup (compile time only)
; SGPRBlocks: 3
; VGPRBlocks: 0
; NumSGPRsForWavesPerEU: 30
; NumVGPRsForWavesPerEU: 7
; AccumOffset: 8
; Occupancy: 8
; WaveLimiterHint : 0
; COMPUTE_PGM_RSRC2:SCRATCH_EN: 0
; COMPUTE_PGM_RSRC2:USER_SGPR: 2
; COMPUTE_PGM_RSRC2:TRAP_HANDLER: 0
; COMPUTE_PGM_RSRC2:TGID_X_EN: 1
; COMPUTE_PGM_RSRC2:TGID_Y_EN: 0
; COMPUTE_PGM_RSRC2:TGID_Z_EN: 0
; COMPUTE_PGM_RSRC2:TIDIG_COMP_CNT: 0
; COMPUTE_PGM_RSRC3_GFX90A:ACCUM_OFFSET: 1
; COMPUTE_PGM_RSRC3_GFX90A:TG_SPLIT: 0
	.section	.text._ZN7rocprim17ROCPRIM_400000_NS6detail30init_device_scan_by_key_kernelINS1_19lookback_scan_stateINS0_5tupleIJ11FixedVectorIiLj4EEbEEELb1ELb0EEENS1_16block_id_wrapperIjLb0EEEEEvT_jjPNSB_10value_typeET0_,"axG",@progbits,_ZN7rocprim17ROCPRIM_400000_NS6detail30init_device_scan_by_key_kernelINS1_19lookback_scan_stateINS0_5tupleIJ11FixedVectorIiLj4EEbEEELb1ELb0EEENS1_16block_id_wrapperIjLb0EEEEEvT_jjPNSB_10value_typeET0_,comdat
	.protected	_ZN7rocprim17ROCPRIM_400000_NS6detail30init_device_scan_by_key_kernelINS1_19lookback_scan_stateINS0_5tupleIJ11FixedVectorIiLj4EEbEEELb1ELb0EEENS1_16block_id_wrapperIjLb0EEEEEvT_jjPNSB_10value_typeET0_ ; -- Begin function _ZN7rocprim17ROCPRIM_400000_NS6detail30init_device_scan_by_key_kernelINS1_19lookback_scan_stateINS0_5tupleIJ11FixedVectorIiLj4EEbEEELb1ELb0EEENS1_16block_id_wrapperIjLb0EEEEEvT_jjPNSB_10value_typeET0_
	.globl	_ZN7rocprim17ROCPRIM_400000_NS6detail30init_device_scan_by_key_kernelINS1_19lookback_scan_stateINS0_5tupleIJ11FixedVectorIiLj4EEbEEELb1ELb0EEENS1_16block_id_wrapperIjLb0EEEEEvT_jjPNSB_10value_typeET0_
	.p2align	8
	.type	_ZN7rocprim17ROCPRIM_400000_NS6detail30init_device_scan_by_key_kernelINS1_19lookback_scan_stateINS0_5tupleIJ11FixedVectorIiLj4EEbEEELb1ELb0EEENS1_16block_id_wrapperIjLb0EEEEEvT_jjPNSB_10value_typeET0_,@function
_ZN7rocprim17ROCPRIM_400000_NS6detail30init_device_scan_by_key_kernelINS1_19lookback_scan_stateINS0_5tupleIJ11FixedVectorIiLj4EEbEEELb1ELb0EEENS1_16block_id_wrapperIjLb0EEEEEvT_jjPNSB_10value_typeET0_: ; @_ZN7rocprim17ROCPRIM_400000_NS6detail30init_device_scan_by_key_kernelINS1_19lookback_scan_stateINS0_5tupleIJ11FixedVectorIiLj4EEbEEELb1ELb0EEENS1_16block_id_wrapperIjLb0EEEEEvT_jjPNSB_10value_typeET0_
; %bb.0:
	s_load_dword s3, s[0:1], 0x3c
	s_load_dwordx2 s[8:9], s[0:1], 0x20
	s_load_dwordx4 s[4:7], s[0:1], 0x10
	s_waitcnt lgkmcnt(0)
	s_and_b32 s3, s3, 0xffff
	s_mul_i32 s2, s2, s3
	s_cmp_eq_u64 s[8:9], 0
	v_add_u32_e32 v0, s2, v0
	s_cbranch_scc1 .LBB2054_11
; %bb.1:
	s_cmp_lt_u32 s7, s6
	s_cselect_b32 s2, s7, 0
	v_cmp_eq_u32_e32 vcc, s2, v0
	s_and_saveexec_b64 s[10:11], vcc
	s_cbranch_execz .LBB2054_10
; %bb.2:
	s_add_i32 s7, s7, 64
	v_mov_b32_e32 v1, s7
	global_load_ubyte v1, v1, s[4:5] sc1
	s_load_dwordx4 s[0:3], s[0:1], 0x0
	s_add_u32 s12, s4, s7
	s_addc_u32 s13, s5, 0
	s_waitcnt vmcnt(0)
	v_cmp_ne_u16_e32 vcc, 0, v1
	v_readfirstlane_b32 s14, v1
	s_cbranch_vccz .LBB2054_4
; %bb.3:
	s_and_b32 s12, 0xffff, s14
	s_branch .LBB2054_9
.LBB2054_4:
	s_mov_b32 s14, 1
	v_mov_b32_e32 v1, 0
.LBB2054_5:                             ; =>This Loop Header: Depth=1
                                        ;     Child Loop BB2054_6 Depth 2
	s_max_u32 s15, s14, 1
.LBB2054_6:                             ;   Parent Loop BB2054_5 Depth=1
                                        ; =>  This Inner Loop Header: Depth=2
	s_add_i32 s15, s15, -1
	s_cmp_eq_u32 s15, 0
	s_sleep 1
	s_cbranch_scc0 .LBB2054_6
; %bb.7:                                ;   in Loop: Header=BB2054_5 Depth=1
	global_load_ubyte v2, v1, s[12:13] sc1
	s_cmp_lt_u32 s14, 32
	s_cselect_b64 s[16:17], -1, 0
	s_cmp_lg_u64 s[16:17], 0
	s_addc_u32 s14, s14, 0
	s_waitcnt vmcnt(0)
	v_cmp_ne_u16_e32 vcc, 0, v2
	v_readfirstlane_b32 s15, v2
	s_cbranch_vccz .LBB2054_5
; %bb.8:
	s_and_b32 s12, 0xffff, s15
.LBB2054_9:
	s_cmp_eq_u32 s12, 1
	s_waitcnt lgkmcnt(0)
	s_cselect_b32 s1, s1, s3
	s_cselect_b32 s0, s0, s2
	s_mul_i32 s3, s7, 20
	s_mul_hi_u32 s2, s7, 20
	s_add_u32 s0, s0, s3
	s_addc_u32 s1, s1, s2
	v_mov_b32_e32 v1, 0
	s_waitcnt vmcnt(0)
	global_load_dword v2, v1, s[0:1] sc1
	global_load_dword v3, v1, s[0:1] offset:4 sc1
	global_load_dword v4, v1, s[0:1] offset:8 sc1
	;; [unrolled: 1-line block ×4, first 2 shown]
	s_waitcnt vmcnt(1)
	global_store_dwordx4 v1, v[2:5], s[8:9]
	s_waitcnt vmcnt(1)
	global_store_byte v1, v6, s[8:9] offset:16
.LBB2054_10:
	s_or_b64 exec, exec, s[10:11]
.LBB2054_11:
	v_cmp_gt_u32_e32 vcc, s6, v0
	s_and_saveexec_b64 s[0:1], vcc
	s_cbranch_execnz .LBB2054_14
; %bb.12:
	s_or_b64 exec, exec, s[0:1]
	v_cmp_gt_u32_e32 vcc, 64, v0
	s_and_saveexec_b64 s[0:1], vcc
	s_cbranch_execnz .LBB2054_15
.LBB2054_13:
	s_endpgm
.LBB2054_14:
	v_add_u32_e32 v1, 64, v0
	v_mov_b32_e32 v2, 0
	global_store_byte v1, v2, s[4:5]
	s_or_b64 exec, exec, s[0:1]
	v_cmp_gt_u32_e32 vcc, 64, v0
	s_and_saveexec_b64 s[0:1], vcc
	s_cbranch_execz .LBB2054_13
.LBB2054_15:
	v_mov_b32_e32 v1, 0xff
	global_store_byte v0, v1, s[4:5]
	s_endpgm
	.section	.rodata,"a",@progbits
	.p2align	6, 0x0
	.amdhsa_kernel _ZN7rocprim17ROCPRIM_400000_NS6detail30init_device_scan_by_key_kernelINS1_19lookback_scan_stateINS0_5tupleIJ11FixedVectorIiLj4EEbEEELb1ELb0EEENS1_16block_id_wrapperIjLb0EEEEEvT_jjPNSB_10value_typeET0_
		.amdhsa_group_segment_fixed_size 0
		.amdhsa_private_segment_fixed_size 0
		.amdhsa_kernarg_size 304
		.amdhsa_user_sgpr_count 2
		.amdhsa_user_sgpr_dispatch_ptr 0
		.amdhsa_user_sgpr_queue_ptr 0
		.amdhsa_user_sgpr_kernarg_segment_ptr 1
		.amdhsa_user_sgpr_dispatch_id 0
		.amdhsa_user_sgpr_kernarg_preload_length 0
		.amdhsa_user_sgpr_kernarg_preload_offset 0
		.amdhsa_user_sgpr_private_segment_size 0
		.amdhsa_uses_dynamic_stack 0
		.amdhsa_enable_private_segment 0
		.amdhsa_system_sgpr_workgroup_id_x 1
		.amdhsa_system_sgpr_workgroup_id_y 0
		.amdhsa_system_sgpr_workgroup_id_z 0
		.amdhsa_system_sgpr_workgroup_info 0
		.amdhsa_system_vgpr_workitem_id 0
		.amdhsa_next_free_vgpr 7
		.amdhsa_next_free_sgpr 18
		.amdhsa_accum_offset 8
		.amdhsa_reserve_vcc 1
		.amdhsa_float_round_mode_32 0
		.amdhsa_float_round_mode_16_64 0
		.amdhsa_float_denorm_mode_32 3
		.amdhsa_float_denorm_mode_16_64 3
		.amdhsa_dx10_clamp 1
		.amdhsa_ieee_mode 1
		.amdhsa_fp16_overflow 0
		.amdhsa_tg_split 0
		.amdhsa_exception_fp_ieee_invalid_op 0
		.amdhsa_exception_fp_denorm_src 0
		.amdhsa_exception_fp_ieee_div_zero 0
		.amdhsa_exception_fp_ieee_overflow 0
		.amdhsa_exception_fp_ieee_underflow 0
		.amdhsa_exception_fp_ieee_inexact 0
		.amdhsa_exception_int_div_zero 0
	.end_amdhsa_kernel
	.section	.text._ZN7rocprim17ROCPRIM_400000_NS6detail30init_device_scan_by_key_kernelINS1_19lookback_scan_stateINS0_5tupleIJ11FixedVectorIiLj4EEbEEELb1ELb0EEENS1_16block_id_wrapperIjLb0EEEEEvT_jjPNSB_10value_typeET0_,"axG",@progbits,_ZN7rocprim17ROCPRIM_400000_NS6detail30init_device_scan_by_key_kernelINS1_19lookback_scan_stateINS0_5tupleIJ11FixedVectorIiLj4EEbEEELb1ELb0EEENS1_16block_id_wrapperIjLb0EEEEEvT_jjPNSB_10value_typeET0_,comdat
.Lfunc_end2054:
	.size	_ZN7rocprim17ROCPRIM_400000_NS6detail30init_device_scan_by_key_kernelINS1_19lookback_scan_stateINS0_5tupleIJ11FixedVectorIiLj4EEbEEELb1ELb0EEENS1_16block_id_wrapperIjLb0EEEEEvT_jjPNSB_10value_typeET0_, .Lfunc_end2054-_ZN7rocprim17ROCPRIM_400000_NS6detail30init_device_scan_by_key_kernelINS1_19lookback_scan_stateINS0_5tupleIJ11FixedVectorIiLj4EEbEEELb1ELb0EEENS1_16block_id_wrapperIjLb0EEEEEvT_jjPNSB_10value_typeET0_
                                        ; -- End function
	.section	.AMDGPU.csdata,"",@progbits
; Kernel info:
; codeLenInByte = 400
; NumSgprs: 24
; NumVgprs: 7
; NumAgprs: 0
; TotalNumVgprs: 7
; ScratchSize: 0
; MemoryBound: 0
; FloatMode: 240
; IeeeMode: 1
; LDSByteSize: 0 bytes/workgroup (compile time only)
; SGPRBlocks: 2
; VGPRBlocks: 0
; NumSGPRsForWavesPerEU: 24
; NumVGPRsForWavesPerEU: 7
; AccumOffset: 8
; Occupancy: 8
; WaveLimiterHint : 0
; COMPUTE_PGM_RSRC2:SCRATCH_EN: 0
; COMPUTE_PGM_RSRC2:USER_SGPR: 2
; COMPUTE_PGM_RSRC2:TRAP_HANDLER: 0
; COMPUTE_PGM_RSRC2:TGID_X_EN: 1
; COMPUTE_PGM_RSRC2:TGID_Y_EN: 0
; COMPUTE_PGM_RSRC2:TGID_Z_EN: 0
; COMPUTE_PGM_RSRC2:TIDIG_COMP_CNT: 0
; COMPUTE_PGM_RSRC3_GFX90A:ACCUM_OFFSET: 1
; COMPUTE_PGM_RSRC3_GFX90A:TG_SPLIT: 0
	.section	.text._ZN7rocprim17ROCPRIM_400000_NS6detail17trampoline_kernelINS0_14default_configENS1_27scan_by_key_config_selectorIj11FixedVectorIiLj4EEEEZZNS1_16scan_by_key_implILNS1_25lookback_scan_determinismE0ELb0ES3_N6thrust23THRUST_200600_302600_NS6detail15normal_iteratorINSB_10device_ptrIjEEEENSD_INSE_IS6_EEEESI_S6_NSB_4plusIvEENSB_8equal_toIvEES6_EE10hipError_tPvRmT2_T3_T4_T5_mT6_T7_P12ihipStream_tbENKUlT_T0_E_clISt17integral_constantIbLb1EES12_IbLb0EEEEDaSY_SZ_EUlSY_E_NS1_11comp_targetILNS1_3genE0ELNS1_11target_archE4294967295ELNS1_3gpuE0ELNS1_3repE0EEENS1_30default_config_static_selectorELNS0_4arch9wavefront6targetE1EEEvT1_,"axG",@progbits,_ZN7rocprim17ROCPRIM_400000_NS6detail17trampoline_kernelINS0_14default_configENS1_27scan_by_key_config_selectorIj11FixedVectorIiLj4EEEEZZNS1_16scan_by_key_implILNS1_25lookback_scan_determinismE0ELb0ES3_N6thrust23THRUST_200600_302600_NS6detail15normal_iteratorINSB_10device_ptrIjEEEENSD_INSE_IS6_EEEESI_S6_NSB_4plusIvEENSB_8equal_toIvEES6_EE10hipError_tPvRmT2_T3_T4_T5_mT6_T7_P12ihipStream_tbENKUlT_T0_E_clISt17integral_constantIbLb1EES12_IbLb0EEEEDaSY_SZ_EUlSY_E_NS1_11comp_targetILNS1_3genE0ELNS1_11target_archE4294967295ELNS1_3gpuE0ELNS1_3repE0EEENS1_30default_config_static_selectorELNS0_4arch9wavefront6targetE1EEEvT1_,comdat
	.protected	_ZN7rocprim17ROCPRIM_400000_NS6detail17trampoline_kernelINS0_14default_configENS1_27scan_by_key_config_selectorIj11FixedVectorIiLj4EEEEZZNS1_16scan_by_key_implILNS1_25lookback_scan_determinismE0ELb0ES3_N6thrust23THRUST_200600_302600_NS6detail15normal_iteratorINSB_10device_ptrIjEEEENSD_INSE_IS6_EEEESI_S6_NSB_4plusIvEENSB_8equal_toIvEES6_EE10hipError_tPvRmT2_T3_T4_T5_mT6_T7_P12ihipStream_tbENKUlT_T0_E_clISt17integral_constantIbLb1EES12_IbLb0EEEEDaSY_SZ_EUlSY_E_NS1_11comp_targetILNS1_3genE0ELNS1_11target_archE4294967295ELNS1_3gpuE0ELNS1_3repE0EEENS1_30default_config_static_selectorELNS0_4arch9wavefront6targetE1EEEvT1_ ; -- Begin function _ZN7rocprim17ROCPRIM_400000_NS6detail17trampoline_kernelINS0_14default_configENS1_27scan_by_key_config_selectorIj11FixedVectorIiLj4EEEEZZNS1_16scan_by_key_implILNS1_25lookback_scan_determinismE0ELb0ES3_N6thrust23THRUST_200600_302600_NS6detail15normal_iteratorINSB_10device_ptrIjEEEENSD_INSE_IS6_EEEESI_S6_NSB_4plusIvEENSB_8equal_toIvEES6_EE10hipError_tPvRmT2_T3_T4_T5_mT6_T7_P12ihipStream_tbENKUlT_T0_E_clISt17integral_constantIbLb1EES12_IbLb0EEEEDaSY_SZ_EUlSY_E_NS1_11comp_targetILNS1_3genE0ELNS1_11target_archE4294967295ELNS1_3gpuE0ELNS1_3repE0EEENS1_30default_config_static_selectorELNS0_4arch9wavefront6targetE1EEEvT1_
	.globl	_ZN7rocprim17ROCPRIM_400000_NS6detail17trampoline_kernelINS0_14default_configENS1_27scan_by_key_config_selectorIj11FixedVectorIiLj4EEEEZZNS1_16scan_by_key_implILNS1_25lookback_scan_determinismE0ELb0ES3_N6thrust23THRUST_200600_302600_NS6detail15normal_iteratorINSB_10device_ptrIjEEEENSD_INSE_IS6_EEEESI_S6_NSB_4plusIvEENSB_8equal_toIvEES6_EE10hipError_tPvRmT2_T3_T4_T5_mT6_T7_P12ihipStream_tbENKUlT_T0_E_clISt17integral_constantIbLb1EES12_IbLb0EEEEDaSY_SZ_EUlSY_E_NS1_11comp_targetILNS1_3genE0ELNS1_11target_archE4294967295ELNS1_3gpuE0ELNS1_3repE0EEENS1_30default_config_static_selectorELNS0_4arch9wavefront6targetE1EEEvT1_
	.p2align	8
	.type	_ZN7rocprim17ROCPRIM_400000_NS6detail17trampoline_kernelINS0_14default_configENS1_27scan_by_key_config_selectorIj11FixedVectorIiLj4EEEEZZNS1_16scan_by_key_implILNS1_25lookback_scan_determinismE0ELb0ES3_N6thrust23THRUST_200600_302600_NS6detail15normal_iteratorINSB_10device_ptrIjEEEENSD_INSE_IS6_EEEESI_S6_NSB_4plusIvEENSB_8equal_toIvEES6_EE10hipError_tPvRmT2_T3_T4_T5_mT6_T7_P12ihipStream_tbENKUlT_T0_E_clISt17integral_constantIbLb1EES12_IbLb0EEEEDaSY_SZ_EUlSY_E_NS1_11comp_targetILNS1_3genE0ELNS1_11target_archE4294967295ELNS1_3gpuE0ELNS1_3repE0EEENS1_30default_config_static_selectorELNS0_4arch9wavefront6targetE1EEEvT1_,@function
_ZN7rocprim17ROCPRIM_400000_NS6detail17trampoline_kernelINS0_14default_configENS1_27scan_by_key_config_selectorIj11FixedVectorIiLj4EEEEZZNS1_16scan_by_key_implILNS1_25lookback_scan_determinismE0ELb0ES3_N6thrust23THRUST_200600_302600_NS6detail15normal_iteratorINSB_10device_ptrIjEEEENSD_INSE_IS6_EEEESI_S6_NSB_4plusIvEENSB_8equal_toIvEES6_EE10hipError_tPvRmT2_T3_T4_T5_mT6_T7_P12ihipStream_tbENKUlT_T0_E_clISt17integral_constantIbLb1EES12_IbLb0EEEEDaSY_SZ_EUlSY_E_NS1_11comp_targetILNS1_3genE0ELNS1_11target_archE4294967295ELNS1_3gpuE0ELNS1_3repE0EEENS1_30default_config_static_selectorELNS0_4arch9wavefront6targetE1EEEvT1_: ; @_ZN7rocprim17ROCPRIM_400000_NS6detail17trampoline_kernelINS0_14default_configENS1_27scan_by_key_config_selectorIj11FixedVectorIiLj4EEEEZZNS1_16scan_by_key_implILNS1_25lookback_scan_determinismE0ELb0ES3_N6thrust23THRUST_200600_302600_NS6detail15normal_iteratorINSB_10device_ptrIjEEEENSD_INSE_IS6_EEEESI_S6_NSB_4plusIvEENSB_8equal_toIvEES6_EE10hipError_tPvRmT2_T3_T4_T5_mT6_T7_P12ihipStream_tbENKUlT_T0_E_clISt17integral_constantIbLb1EES12_IbLb0EEEEDaSY_SZ_EUlSY_E_NS1_11comp_targetILNS1_3genE0ELNS1_11target_archE4294967295ELNS1_3gpuE0ELNS1_3repE0EEENS1_30default_config_static_selectorELNS0_4arch9wavefront6targetE1EEEvT1_
; %bb.0:
	.section	.rodata,"a",@progbits
	.p2align	6, 0x0
	.amdhsa_kernel _ZN7rocprim17ROCPRIM_400000_NS6detail17trampoline_kernelINS0_14default_configENS1_27scan_by_key_config_selectorIj11FixedVectorIiLj4EEEEZZNS1_16scan_by_key_implILNS1_25lookback_scan_determinismE0ELb0ES3_N6thrust23THRUST_200600_302600_NS6detail15normal_iteratorINSB_10device_ptrIjEEEENSD_INSE_IS6_EEEESI_S6_NSB_4plusIvEENSB_8equal_toIvEES6_EE10hipError_tPvRmT2_T3_T4_T5_mT6_T7_P12ihipStream_tbENKUlT_T0_E_clISt17integral_constantIbLb1EES12_IbLb0EEEEDaSY_SZ_EUlSY_E_NS1_11comp_targetILNS1_3genE0ELNS1_11target_archE4294967295ELNS1_3gpuE0ELNS1_3repE0EEENS1_30default_config_static_selectorELNS0_4arch9wavefront6targetE1EEEvT1_
		.amdhsa_group_segment_fixed_size 0
		.amdhsa_private_segment_fixed_size 0
		.amdhsa_kernarg_size 144
		.amdhsa_user_sgpr_count 2
		.amdhsa_user_sgpr_dispatch_ptr 0
		.amdhsa_user_sgpr_queue_ptr 0
		.amdhsa_user_sgpr_kernarg_segment_ptr 1
		.amdhsa_user_sgpr_dispatch_id 0
		.amdhsa_user_sgpr_kernarg_preload_length 0
		.amdhsa_user_sgpr_kernarg_preload_offset 0
		.amdhsa_user_sgpr_private_segment_size 0
		.amdhsa_uses_dynamic_stack 0
		.amdhsa_enable_private_segment 0
		.amdhsa_system_sgpr_workgroup_id_x 1
		.amdhsa_system_sgpr_workgroup_id_y 0
		.amdhsa_system_sgpr_workgroup_id_z 0
		.amdhsa_system_sgpr_workgroup_info 0
		.amdhsa_system_vgpr_workitem_id 0
		.amdhsa_next_free_vgpr 1
		.amdhsa_next_free_sgpr 0
		.amdhsa_accum_offset 4
		.amdhsa_reserve_vcc 0
		.amdhsa_float_round_mode_32 0
		.amdhsa_float_round_mode_16_64 0
		.amdhsa_float_denorm_mode_32 3
		.amdhsa_float_denorm_mode_16_64 3
		.amdhsa_dx10_clamp 1
		.amdhsa_ieee_mode 1
		.amdhsa_fp16_overflow 0
		.amdhsa_tg_split 0
		.amdhsa_exception_fp_ieee_invalid_op 0
		.amdhsa_exception_fp_denorm_src 0
		.amdhsa_exception_fp_ieee_div_zero 0
		.amdhsa_exception_fp_ieee_overflow 0
		.amdhsa_exception_fp_ieee_underflow 0
		.amdhsa_exception_fp_ieee_inexact 0
		.amdhsa_exception_int_div_zero 0
	.end_amdhsa_kernel
	.section	.text._ZN7rocprim17ROCPRIM_400000_NS6detail17trampoline_kernelINS0_14default_configENS1_27scan_by_key_config_selectorIj11FixedVectorIiLj4EEEEZZNS1_16scan_by_key_implILNS1_25lookback_scan_determinismE0ELb0ES3_N6thrust23THRUST_200600_302600_NS6detail15normal_iteratorINSB_10device_ptrIjEEEENSD_INSE_IS6_EEEESI_S6_NSB_4plusIvEENSB_8equal_toIvEES6_EE10hipError_tPvRmT2_T3_T4_T5_mT6_T7_P12ihipStream_tbENKUlT_T0_E_clISt17integral_constantIbLb1EES12_IbLb0EEEEDaSY_SZ_EUlSY_E_NS1_11comp_targetILNS1_3genE0ELNS1_11target_archE4294967295ELNS1_3gpuE0ELNS1_3repE0EEENS1_30default_config_static_selectorELNS0_4arch9wavefront6targetE1EEEvT1_,"axG",@progbits,_ZN7rocprim17ROCPRIM_400000_NS6detail17trampoline_kernelINS0_14default_configENS1_27scan_by_key_config_selectorIj11FixedVectorIiLj4EEEEZZNS1_16scan_by_key_implILNS1_25lookback_scan_determinismE0ELb0ES3_N6thrust23THRUST_200600_302600_NS6detail15normal_iteratorINSB_10device_ptrIjEEEENSD_INSE_IS6_EEEESI_S6_NSB_4plusIvEENSB_8equal_toIvEES6_EE10hipError_tPvRmT2_T3_T4_T5_mT6_T7_P12ihipStream_tbENKUlT_T0_E_clISt17integral_constantIbLb1EES12_IbLb0EEEEDaSY_SZ_EUlSY_E_NS1_11comp_targetILNS1_3genE0ELNS1_11target_archE4294967295ELNS1_3gpuE0ELNS1_3repE0EEENS1_30default_config_static_selectorELNS0_4arch9wavefront6targetE1EEEvT1_,comdat
.Lfunc_end2055:
	.size	_ZN7rocprim17ROCPRIM_400000_NS6detail17trampoline_kernelINS0_14default_configENS1_27scan_by_key_config_selectorIj11FixedVectorIiLj4EEEEZZNS1_16scan_by_key_implILNS1_25lookback_scan_determinismE0ELb0ES3_N6thrust23THRUST_200600_302600_NS6detail15normal_iteratorINSB_10device_ptrIjEEEENSD_INSE_IS6_EEEESI_S6_NSB_4plusIvEENSB_8equal_toIvEES6_EE10hipError_tPvRmT2_T3_T4_T5_mT6_T7_P12ihipStream_tbENKUlT_T0_E_clISt17integral_constantIbLb1EES12_IbLb0EEEEDaSY_SZ_EUlSY_E_NS1_11comp_targetILNS1_3genE0ELNS1_11target_archE4294967295ELNS1_3gpuE0ELNS1_3repE0EEENS1_30default_config_static_selectorELNS0_4arch9wavefront6targetE1EEEvT1_, .Lfunc_end2055-_ZN7rocprim17ROCPRIM_400000_NS6detail17trampoline_kernelINS0_14default_configENS1_27scan_by_key_config_selectorIj11FixedVectorIiLj4EEEEZZNS1_16scan_by_key_implILNS1_25lookback_scan_determinismE0ELb0ES3_N6thrust23THRUST_200600_302600_NS6detail15normal_iteratorINSB_10device_ptrIjEEEENSD_INSE_IS6_EEEESI_S6_NSB_4plusIvEENSB_8equal_toIvEES6_EE10hipError_tPvRmT2_T3_T4_T5_mT6_T7_P12ihipStream_tbENKUlT_T0_E_clISt17integral_constantIbLb1EES12_IbLb0EEEEDaSY_SZ_EUlSY_E_NS1_11comp_targetILNS1_3genE0ELNS1_11target_archE4294967295ELNS1_3gpuE0ELNS1_3repE0EEENS1_30default_config_static_selectorELNS0_4arch9wavefront6targetE1EEEvT1_
                                        ; -- End function
	.section	.AMDGPU.csdata,"",@progbits
; Kernel info:
; codeLenInByte = 0
; NumSgprs: 6
; NumVgprs: 0
; NumAgprs: 0
; TotalNumVgprs: 0
; ScratchSize: 0
; MemoryBound: 0
; FloatMode: 240
; IeeeMode: 1
; LDSByteSize: 0 bytes/workgroup (compile time only)
; SGPRBlocks: 0
; VGPRBlocks: 0
; NumSGPRsForWavesPerEU: 6
; NumVGPRsForWavesPerEU: 1
; AccumOffset: 4
; Occupancy: 8
; WaveLimiterHint : 0
; COMPUTE_PGM_RSRC2:SCRATCH_EN: 0
; COMPUTE_PGM_RSRC2:USER_SGPR: 2
; COMPUTE_PGM_RSRC2:TRAP_HANDLER: 0
; COMPUTE_PGM_RSRC2:TGID_X_EN: 1
; COMPUTE_PGM_RSRC2:TGID_Y_EN: 0
; COMPUTE_PGM_RSRC2:TGID_Z_EN: 0
; COMPUTE_PGM_RSRC2:TIDIG_COMP_CNT: 0
; COMPUTE_PGM_RSRC3_GFX90A:ACCUM_OFFSET: 0
; COMPUTE_PGM_RSRC3_GFX90A:TG_SPLIT: 0
	.section	.text._ZN7rocprim17ROCPRIM_400000_NS6detail17trampoline_kernelINS0_14default_configENS1_27scan_by_key_config_selectorIj11FixedVectorIiLj4EEEEZZNS1_16scan_by_key_implILNS1_25lookback_scan_determinismE0ELb0ES3_N6thrust23THRUST_200600_302600_NS6detail15normal_iteratorINSB_10device_ptrIjEEEENSD_INSE_IS6_EEEESI_S6_NSB_4plusIvEENSB_8equal_toIvEES6_EE10hipError_tPvRmT2_T3_T4_T5_mT6_T7_P12ihipStream_tbENKUlT_T0_E_clISt17integral_constantIbLb1EES12_IbLb0EEEEDaSY_SZ_EUlSY_E_NS1_11comp_targetILNS1_3genE10ELNS1_11target_archE1201ELNS1_3gpuE5ELNS1_3repE0EEENS1_30default_config_static_selectorELNS0_4arch9wavefront6targetE1EEEvT1_,"axG",@progbits,_ZN7rocprim17ROCPRIM_400000_NS6detail17trampoline_kernelINS0_14default_configENS1_27scan_by_key_config_selectorIj11FixedVectorIiLj4EEEEZZNS1_16scan_by_key_implILNS1_25lookback_scan_determinismE0ELb0ES3_N6thrust23THRUST_200600_302600_NS6detail15normal_iteratorINSB_10device_ptrIjEEEENSD_INSE_IS6_EEEESI_S6_NSB_4plusIvEENSB_8equal_toIvEES6_EE10hipError_tPvRmT2_T3_T4_T5_mT6_T7_P12ihipStream_tbENKUlT_T0_E_clISt17integral_constantIbLb1EES12_IbLb0EEEEDaSY_SZ_EUlSY_E_NS1_11comp_targetILNS1_3genE10ELNS1_11target_archE1201ELNS1_3gpuE5ELNS1_3repE0EEENS1_30default_config_static_selectorELNS0_4arch9wavefront6targetE1EEEvT1_,comdat
	.protected	_ZN7rocprim17ROCPRIM_400000_NS6detail17trampoline_kernelINS0_14default_configENS1_27scan_by_key_config_selectorIj11FixedVectorIiLj4EEEEZZNS1_16scan_by_key_implILNS1_25lookback_scan_determinismE0ELb0ES3_N6thrust23THRUST_200600_302600_NS6detail15normal_iteratorINSB_10device_ptrIjEEEENSD_INSE_IS6_EEEESI_S6_NSB_4plusIvEENSB_8equal_toIvEES6_EE10hipError_tPvRmT2_T3_T4_T5_mT6_T7_P12ihipStream_tbENKUlT_T0_E_clISt17integral_constantIbLb1EES12_IbLb0EEEEDaSY_SZ_EUlSY_E_NS1_11comp_targetILNS1_3genE10ELNS1_11target_archE1201ELNS1_3gpuE5ELNS1_3repE0EEENS1_30default_config_static_selectorELNS0_4arch9wavefront6targetE1EEEvT1_ ; -- Begin function _ZN7rocprim17ROCPRIM_400000_NS6detail17trampoline_kernelINS0_14default_configENS1_27scan_by_key_config_selectorIj11FixedVectorIiLj4EEEEZZNS1_16scan_by_key_implILNS1_25lookback_scan_determinismE0ELb0ES3_N6thrust23THRUST_200600_302600_NS6detail15normal_iteratorINSB_10device_ptrIjEEEENSD_INSE_IS6_EEEESI_S6_NSB_4plusIvEENSB_8equal_toIvEES6_EE10hipError_tPvRmT2_T3_T4_T5_mT6_T7_P12ihipStream_tbENKUlT_T0_E_clISt17integral_constantIbLb1EES12_IbLb0EEEEDaSY_SZ_EUlSY_E_NS1_11comp_targetILNS1_3genE10ELNS1_11target_archE1201ELNS1_3gpuE5ELNS1_3repE0EEENS1_30default_config_static_selectorELNS0_4arch9wavefront6targetE1EEEvT1_
	.globl	_ZN7rocprim17ROCPRIM_400000_NS6detail17trampoline_kernelINS0_14default_configENS1_27scan_by_key_config_selectorIj11FixedVectorIiLj4EEEEZZNS1_16scan_by_key_implILNS1_25lookback_scan_determinismE0ELb0ES3_N6thrust23THRUST_200600_302600_NS6detail15normal_iteratorINSB_10device_ptrIjEEEENSD_INSE_IS6_EEEESI_S6_NSB_4plusIvEENSB_8equal_toIvEES6_EE10hipError_tPvRmT2_T3_T4_T5_mT6_T7_P12ihipStream_tbENKUlT_T0_E_clISt17integral_constantIbLb1EES12_IbLb0EEEEDaSY_SZ_EUlSY_E_NS1_11comp_targetILNS1_3genE10ELNS1_11target_archE1201ELNS1_3gpuE5ELNS1_3repE0EEENS1_30default_config_static_selectorELNS0_4arch9wavefront6targetE1EEEvT1_
	.p2align	8
	.type	_ZN7rocprim17ROCPRIM_400000_NS6detail17trampoline_kernelINS0_14default_configENS1_27scan_by_key_config_selectorIj11FixedVectorIiLj4EEEEZZNS1_16scan_by_key_implILNS1_25lookback_scan_determinismE0ELb0ES3_N6thrust23THRUST_200600_302600_NS6detail15normal_iteratorINSB_10device_ptrIjEEEENSD_INSE_IS6_EEEESI_S6_NSB_4plusIvEENSB_8equal_toIvEES6_EE10hipError_tPvRmT2_T3_T4_T5_mT6_T7_P12ihipStream_tbENKUlT_T0_E_clISt17integral_constantIbLb1EES12_IbLb0EEEEDaSY_SZ_EUlSY_E_NS1_11comp_targetILNS1_3genE10ELNS1_11target_archE1201ELNS1_3gpuE5ELNS1_3repE0EEENS1_30default_config_static_selectorELNS0_4arch9wavefront6targetE1EEEvT1_,@function
_ZN7rocprim17ROCPRIM_400000_NS6detail17trampoline_kernelINS0_14default_configENS1_27scan_by_key_config_selectorIj11FixedVectorIiLj4EEEEZZNS1_16scan_by_key_implILNS1_25lookback_scan_determinismE0ELb0ES3_N6thrust23THRUST_200600_302600_NS6detail15normal_iteratorINSB_10device_ptrIjEEEENSD_INSE_IS6_EEEESI_S6_NSB_4plusIvEENSB_8equal_toIvEES6_EE10hipError_tPvRmT2_T3_T4_T5_mT6_T7_P12ihipStream_tbENKUlT_T0_E_clISt17integral_constantIbLb1EES12_IbLb0EEEEDaSY_SZ_EUlSY_E_NS1_11comp_targetILNS1_3genE10ELNS1_11target_archE1201ELNS1_3gpuE5ELNS1_3repE0EEENS1_30default_config_static_selectorELNS0_4arch9wavefront6targetE1EEEvT1_: ; @_ZN7rocprim17ROCPRIM_400000_NS6detail17trampoline_kernelINS0_14default_configENS1_27scan_by_key_config_selectorIj11FixedVectorIiLj4EEEEZZNS1_16scan_by_key_implILNS1_25lookback_scan_determinismE0ELb0ES3_N6thrust23THRUST_200600_302600_NS6detail15normal_iteratorINSB_10device_ptrIjEEEENSD_INSE_IS6_EEEESI_S6_NSB_4plusIvEENSB_8equal_toIvEES6_EE10hipError_tPvRmT2_T3_T4_T5_mT6_T7_P12ihipStream_tbENKUlT_T0_E_clISt17integral_constantIbLb1EES12_IbLb0EEEEDaSY_SZ_EUlSY_E_NS1_11comp_targetILNS1_3genE10ELNS1_11target_archE1201ELNS1_3gpuE5ELNS1_3repE0EEENS1_30default_config_static_selectorELNS0_4arch9wavefront6targetE1EEEvT1_
; %bb.0:
	.section	.rodata,"a",@progbits
	.p2align	6, 0x0
	.amdhsa_kernel _ZN7rocprim17ROCPRIM_400000_NS6detail17trampoline_kernelINS0_14default_configENS1_27scan_by_key_config_selectorIj11FixedVectorIiLj4EEEEZZNS1_16scan_by_key_implILNS1_25lookback_scan_determinismE0ELb0ES3_N6thrust23THRUST_200600_302600_NS6detail15normal_iteratorINSB_10device_ptrIjEEEENSD_INSE_IS6_EEEESI_S6_NSB_4plusIvEENSB_8equal_toIvEES6_EE10hipError_tPvRmT2_T3_T4_T5_mT6_T7_P12ihipStream_tbENKUlT_T0_E_clISt17integral_constantIbLb1EES12_IbLb0EEEEDaSY_SZ_EUlSY_E_NS1_11comp_targetILNS1_3genE10ELNS1_11target_archE1201ELNS1_3gpuE5ELNS1_3repE0EEENS1_30default_config_static_selectorELNS0_4arch9wavefront6targetE1EEEvT1_
		.amdhsa_group_segment_fixed_size 0
		.amdhsa_private_segment_fixed_size 0
		.amdhsa_kernarg_size 144
		.amdhsa_user_sgpr_count 2
		.amdhsa_user_sgpr_dispatch_ptr 0
		.amdhsa_user_sgpr_queue_ptr 0
		.amdhsa_user_sgpr_kernarg_segment_ptr 1
		.amdhsa_user_sgpr_dispatch_id 0
		.amdhsa_user_sgpr_kernarg_preload_length 0
		.amdhsa_user_sgpr_kernarg_preload_offset 0
		.amdhsa_user_sgpr_private_segment_size 0
		.amdhsa_uses_dynamic_stack 0
		.amdhsa_enable_private_segment 0
		.amdhsa_system_sgpr_workgroup_id_x 1
		.amdhsa_system_sgpr_workgroup_id_y 0
		.amdhsa_system_sgpr_workgroup_id_z 0
		.amdhsa_system_sgpr_workgroup_info 0
		.amdhsa_system_vgpr_workitem_id 0
		.amdhsa_next_free_vgpr 1
		.amdhsa_next_free_sgpr 0
		.amdhsa_accum_offset 4
		.amdhsa_reserve_vcc 0
		.amdhsa_float_round_mode_32 0
		.amdhsa_float_round_mode_16_64 0
		.amdhsa_float_denorm_mode_32 3
		.amdhsa_float_denorm_mode_16_64 3
		.amdhsa_dx10_clamp 1
		.amdhsa_ieee_mode 1
		.amdhsa_fp16_overflow 0
		.amdhsa_tg_split 0
		.amdhsa_exception_fp_ieee_invalid_op 0
		.amdhsa_exception_fp_denorm_src 0
		.amdhsa_exception_fp_ieee_div_zero 0
		.amdhsa_exception_fp_ieee_overflow 0
		.amdhsa_exception_fp_ieee_underflow 0
		.amdhsa_exception_fp_ieee_inexact 0
		.amdhsa_exception_int_div_zero 0
	.end_amdhsa_kernel
	.section	.text._ZN7rocprim17ROCPRIM_400000_NS6detail17trampoline_kernelINS0_14default_configENS1_27scan_by_key_config_selectorIj11FixedVectorIiLj4EEEEZZNS1_16scan_by_key_implILNS1_25lookback_scan_determinismE0ELb0ES3_N6thrust23THRUST_200600_302600_NS6detail15normal_iteratorINSB_10device_ptrIjEEEENSD_INSE_IS6_EEEESI_S6_NSB_4plusIvEENSB_8equal_toIvEES6_EE10hipError_tPvRmT2_T3_T4_T5_mT6_T7_P12ihipStream_tbENKUlT_T0_E_clISt17integral_constantIbLb1EES12_IbLb0EEEEDaSY_SZ_EUlSY_E_NS1_11comp_targetILNS1_3genE10ELNS1_11target_archE1201ELNS1_3gpuE5ELNS1_3repE0EEENS1_30default_config_static_selectorELNS0_4arch9wavefront6targetE1EEEvT1_,"axG",@progbits,_ZN7rocprim17ROCPRIM_400000_NS6detail17trampoline_kernelINS0_14default_configENS1_27scan_by_key_config_selectorIj11FixedVectorIiLj4EEEEZZNS1_16scan_by_key_implILNS1_25lookback_scan_determinismE0ELb0ES3_N6thrust23THRUST_200600_302600_NS6detail15normal_iteratorINSB_10device_ptrIjEEEENSD_INSE_IS6_EEEESI_S6_NSB_4plusIvEENSB_8equal_toIvEES6_EE10hipError_tPvRmT2_T3_T4_T5_mT6_T7_P12ihipStream_tbENKUlT_T0_E_clISt17integral_constantIbLb1EES12_IbLb0EEEEDaSY_SZ_EUlSY_E_NS1_11comp_targetILNS1_3genE10ELNS1_11target_archE1201ELNS1_3gpuE5ELNS1_3repE0EEENS1_30default_config_static_selectorELNS0_4arch9wavefront6targetE1EEEvT1_,comdat
.Lfunc_end2056:
	.size	_ZN7rocprim17ROCPRIM_400000_NS6detail17trampoline_kernelINS0_14default_configENS1_27scan_by_key_config_selectorIj11FixedVectorIiLj4EEEEZZNS1_16scan_by_key_implILNS1_25lookback_scan_determinismE0ELb0ES3_N6thrust23THRUST_200600_302600_NS6detail15normal_iteratorINSB_10device_ptrIjEEEENSD_INSE_IS6_EEEESI_S6_NSB_4plusIvEENSB_8equal_toIvEES6_EE10hipError_tPvRmT2_T3_T4_T5_mT6_T7_P12ihipStream_tbENKUlT_T0_E_clISt17integral_constantIbLb1EES12_IbLb0EEEEDaSY_SZ_EUlSY_E_NS1_11comp_targetILNS1_3genE10ELNS1_11target_archE1201ELNS1_3gpuE5ELNS1_3repE0EEENS1_30default_config_static_selectorELNS0_4arch9wavefront6targetE1EEEvT1_, .Lfunc_end2056-_ZN7rocprim17ROCPRIM_400000_NS6detail17trampoline_kernelINS0_14default_configENS1_27scan_by_key_config_selectorIj11FixedVectorIiLj4EEEEZZNS1_16scan_by_key_implILNS1_25lookback_scan_determinismE0ELb0ES3_N6thrust23THRUST_200600_302600_NS6detail15normal_iteratorINSB_10device_ptrIjEEEENSD_INSE_IS6_EEEESI_S6_NSB_4plusIvEENSB_8equal_toIvEES6_EE10hipError_tPvRmT2_T3_T4_T5_mT6_T7_P12ihipStream_tbENKUlT_T0_E_clISt17integral_constantIbLb1EES12_IbLb0EEEEDaSY_SZ_EUlSY_E_NS1_11comp_targetILNS1_3genE10ELNS1_11target_archE1201ELNS1_3gpuE5ELNS1_3repE0EEENS1_30default_config_static_selectorELNS0_4arch9wavefront6targetE1EEEvT1_
                                        ; -- End function
	.section	.AMDGPU.csdata,"",@progbits
; Kernel info:
; codeLenInByte = 0
; NumSgprs: 6
; NumVgprs: 0
; NumAgprs: 0
; TotalNumVgprs: 0
; ScratchSize: 0
; MemoryBound: 0
; FloatMode: 240
; IeeeMode: 1
; LDSByteSize: 0 bytes/workgroup (compile time only)
; SGPRBlocks: 0
; VGPRBlocks: 0
; NumSGPRsForWavesPerEU: 6
; NumVGPRsForWavesPerEU: 1
; AccumOffset: 4
; Occupancy: 8
; WaveLimiterHint : 0
; COMPUTE_PGM_RSRC2:SCRATCH_EN: 0
; COMPUTE_PGM_RSRC2:USER_SGPR: 2
; COMPUTE_PGM_RSRC2:TRAP_HANDLER: 0
; COMPUTE_PGM_RSRC2:TGID_X_EN: 1
; COMPUTE_PGM_RSRC2:TGID_Y_EN: 0
; COMPUTE_PGM_RSRC2:TGID_Z_EN: 0
; COMPUTE_PGM_RSRC2:TIDIG_COMP_CNT: 0
; COMPUTE_PGM_RSRC3_GFX90A:ACCUM_OFFSET: 0
; COMPUTE_PGM_RSRC3_GFX90A:TG_SPLIT: 0
	.section	.text._ZN7rocprim17ROCPRIM_400000_NS6detail17trampoline_kernelINS0_14default_configENS1_27scan_by_key_config_selectorIj11FixedVectorIiLj4EEEEZZNS1_16scan_by_key_implILNS1_25lookback_scan_determinismE0ELb0ES3_N6thrust23THRUST_200600_302600_NS6detail15normal_iteratorINSB_10device_ptrIjEEEENSD_INSE_IS6_EEEESI_S6_NSB_4plusIvEENSB_8equal_toIvEES6_EE10hipError_tPvRmT2_T3_T4_T5_mT6_T7_P12ihipStream_tbENKUlT_T0_E_clISt17integral_constantIbLb1EES12_IbLb0EEEEDaSY_SZ_EUlSY_E_NS1_11comp_targetILNS1_3genE5ELNS1_11target_archE942ELNS1_3gpuE9ELNS1_3repE0EEENS1_30default_config_static_selectorELNS0_4arch9wavefront6targetE1EEEvT1_,"axG",@progbits,_ZN7rocprim17ROCPRIM_400000_NS6detail17trampoline_kernelINS0_14default_configENS1_27scan_by_key_config_selectorIj11FixedVectorIiLj4EEEEZZNS1_16scan_by_key_implILNS1_25lookback_scan_determinismE0ELb0ES3_N6thrust23THRUST_200600_302600_NS6detail15normal_iteratorINSB_10device_ptrIjEEEENSD_INSE_IS6_EEEESI_S6_NSB_4plusIvEENSB_8equal_toIvEES6_EE10hipError_tPvRmT2_T3_T4_T5_mT6_T7_P12ihipStream_tbENKUlT_T0_E_clISt17integral_constantIbLb1EES12_IbLb0EEEEDaSY_SZ_EUlSY_E_NS1_11comp_targetILNS1_3genE5ELNS1_11target_archE942ELNS1_3gpuE9ELNS1_3repE0EEENS1_30default_config_static_selectorELNS0_4arch9wavefront6targetE1EEEvT1_,comdat
	.protected	_ZN7rocprim17ROCPRIM_400000_NS6detail17trampoline_kernelINS0_14default_configENS1_27scan_by_key_config_selectorIj11FixedVectorIiLj4EEEEZZNS1_16scan_by_key_implILNS1_25lookback_scan_determinismE0ELb0ES3_N6thrust23THRUST_200600_302600_NS6detail15normal_iteratorINSB_10device_ptrIjEEEENSD_INSE_IS6_EEEESI_S6_NSB_4plusIvEENSB_8equal_toIvEES6_EE10hipError_tPvRmT2_T3_T4_T5_mT6_T7_P12ihipStream_tbENKUlT_T0_E_clISt17integral_constantIbLb1EES12_IbLb0EEEEDaSY_SZ_EUlSY_E_NS1_11comp_targetILNS1_3genE5ELNS1_11target_archE942ELNS1_3gpuE9ELNS1_3repE0EEENS1_30default_config_static_selectorELNS0_4arch9wavefront6targetE1EEEvT1_ ; -- Begin function _ZN7rocprim17ROCPRIM_400000_NS6detail17trampoline_kernelINS0_14default_configENS1_27scan_by_key_config_selectorIj11FixedVectorIiLj4EEEEZZNS1_16scan_by_key_implILNS1_25lookback_scan_determinismE0ELb0ES3_N6thrust23THRUST_200600_302600_NS6detail15normal_iteratorINSB_10device_ptrIjEEEENSD_INSE_IS6_EEEESI_S6_NSB_4plusIvEENSB_8equal_toIvEES6_EE10hipError_tPvRmT2_T3_T4_T5_mT6_T7_P12ihipStream_tbENKUlT_T0_E_clISt17integral_constantIbLb1EES12_IbLb0EEEEDaSY_SZ_EUlSY_E_NS1_11comp_targetILNS1_3genE5ELNS1_11target_archE942ELNS1_3gpuE9ELNS1_3repE0EEENS1_30default_config_static_selectorELNS0_4arch9wavefront6targetE1EEEvT1_
	.globl	_ZN7rocprim17ROCPRIM_400000_NS6detail17trampoline_kernelINS0_14default_configENS1_27scan_by_key_config_selectorIj11FixedVectorIiLj4EEEEZZNS1_16scan_by_key_implILNS1_25lookback_scan_determinismE0ELb0ES3_N6thrust23THRUST_200600_302600_NS6detail15normal_iteratorINSB_10device_ptrIjEEEENSD_INSE_IS6_EEEESI_S6_NSB_4plusIvEENSB_8equal_toIvEES6_EE10hipError_tPvRmT2_T3_T4_T5_mT6_T7_P12ihipStream_tbENKUlT_T0_E_clISt17integral_constantIbLb1EES12_IbLb0EEEEDaSY_SZ_EUlSY_E_NS1_11comp_targetILNS1_3genE5ELNS1_11target_archE942ELNS1_3gpuE9ELNS1_3repE0EEENS1_30default_config_static_selectorELNS0_4arch9wavefront6targetE1EEEvT1_
	.p2align	8
	.type	_ZN7rocprim17ROCPRIM_400000_NS6detail17trampoline_kernelINS0_14default_configENS1_27scan_by_key_config_selectorIj11FixedVectorIiLj4EEEEZZNS1_16scan_by_key_implILNS1_25lookback_scan_determinismE0ELb0ES3_N6thrust23THRUST_200600_302600_NS6detail15normal_iteratorINSB_10device_ptrIjEEEENSD_INSE_IS6_EEEESI_S6_NSB_4plusIvEENSB_8equal_toIvEES6_EE10hipError_tPvRmT2_T3_T4_T5_mT6_T7_P12ihipStream_tbENKUlT_T0_E_clISt17integral_constantIbLb1EES12_IbLb0EEEEDaSY_SZ_EUlSY_E_NS1_11comp_targetILNS1_3genE5ELNS1_11target_archE942ELNS1_3gpuE9ELNS1_3repE0EEENS1_30default_config_static_selectorELNS0_4arch9wavefront6targetE1EEEvT1_,@function
_ZN7rocprim17ROCPRIM_400000_NS6detail17trampoline_kernelINS0_14default_configENS1_27scan_by_key_config_selectorIj11FixedVectorIiLj4EEEEZZNS1_16scan_by_key_implILNS1_25lookback_scan_determinismE0ELb0ES3_N6thrust23THRUST_200600_302600_NS6detail15normal_iteratorINSB_10device_ptrIjEEEENSD_INSE_IS6_EEEESI_S6_NSB_4plusIvEENSB_8equal_toIvEES6_EE10hipError_tPvRmT2_T3_T4_T5_mT6_T7_P12ihipStream_tbENKUlT_T0_E_clISt17integral_constantIbLb1EES12_IbLb0EEEEDaSY_SZ_EUlSY_E_NS1_11comp_targetILNS1_3genE5ELNS1_11target_archE942ELNS1_3gpuE9ELNS1_3repE0EEENS1_30default_config_static_selectorELNS0_4arch9wavefront6targetE1EEEvT1_: ; @_ZN7rocprim17ROCPRIM_400000_NS6detail17trampoline_kernelINS0_14default_configENS1_27scan_by_key_config_selectorIj11FixedVectorIiLj4EEEEZZNS1_16scan_by_key_implILNS1_25lookback_scan_determinismE0ELb0ES3_N6thrust23THRUST_200600_302600_NS6detail15normal_iteratorINSB_10device_ptrIjEEEENSD_INSE_IS6_EEEESI_S6_NSB_4plusIvEENSB_8equal_toIvEES6_EE10hipError_tPvRmT2_T3_T4_T5_mT6_T7_P12ihipStream_tbENKUlT_T0_E_clISt17integral_constantIbLb1EES12_IbLb0EEEEDaSY_SZ_EUlSY_E_NS1_11comp_targetILNS1_3genE5ELNS1_11target_archE942ELNS1_3gpuE9ELNS1_3repE0EEENS1_30default_config_static_selectorELNS0_4arch9wavefront6targetE1EEEvT1_
; %bb.0:
	s_load_dwordx8 s[4:11], s[0:1], 0x0
                                        ; implicit-def: $vgpr200 : SGPR spill to VGPR lane
	v_mov_b32_e32 v2, 0
	v_mov_b32_e32 v3, v2
	;; [unrolled: 1-line block ×4, first 2 shown]
	s_waitcnt lgkmcnt(0)
	v_writelane_b32 v200, s4, 0
	s_nop 1
	v_writelane_b32 v200, s5, 1
	v_writelane_b32 v200, s6, 2
	;; [unrolled: 1-line block ×7, first 2 shown]
	s_load_dwordx8 s[52:59], s[0:1], 0x38
	s_load_dwordx2 s[8:9], s[0:1], 0x58
	s_load_dword s3, s[0:1], 0x60
	s_load_dwordx8 s[68:75], s[0:1], 0x68
	s_mov_b32 s0, 0
	s_waitcnt lgkmcnt(0)
	s_barrier
	scratch_store_dword off, v2, off offset:496
	scratch_store_dwordx4 off, v[2:5], off offset:480
.LBB2057_1:                             ; =>This Inner Loop Header: Depth=1
	s_add_i32 s1, s0, 0x1e0
	s_add_i32 s0, s0, 8
	s_cmp_lg_u32 s0, 16
	scratch_store_dwordx2 off, v[2:3], s1
	s_cbranch_scc1 .LBB2057_1
; %bb.2:
	v_mov_b32_e32 v2, 0
	s_mov_b32 s0, 20
	s_add_i32 s33, 0x1e0, 20
	v_mov_b32_e32 v3, v2
	v_mov_b32_e32 v4, v2
	v_mov_b32_e32 v5, v2
	scratch_store_byte off, v2, off offset:496
	scratch_store_dword off, v2, off offset:516
	scratch_store_dwordx4 off, v[2:5], off offset:500
.LBB2057_3:                             ; =>This Inner Loop Header: Depth=1
	s_add_i32 s1, s0, 0x1e0
	s_add_i32 s0, s0, 8
	s_cmp_lg_u32 s0, 36
	scratch_store_dwordx2 off, v[2:3], s1
	s_cbranch_scc1 .LBB2057_3
; %bb.4:
	v_mov_b32_e32 v2, 0
	s_mov_b32 s0, 40
	s_add_i32 s59, 0x1e0, 40
	v_mov_b32_e32 v3, v2
	v_mov_b32_e32 v4, v2
	v_mov_b32_e32 v5, v2
	scratch_store_byte off, v2, off offset:516
	;; [unrolled: 16-line block ×3, first 2 shown]
	scratch_store_dword off, v2, off offset:556
	scratch_store_dwordx4 off, v[2:5], off offset:540
.LBB2057_7:                             ; =>This Inner Loop Header: Depth=1
	s_add_i32 s1, s0, 0x1e0
	s_add_i32 s0, s0, 8
	s_cmpk_lg_i32 s0, 0x4c
	scratch_store_dwordx2 off, v[2:3], s1
	s_cbranch_scc1 .LBB2057_7
; %bb.8:
	v_mov_b32_e32 v2, 0
	s_movk_i32 s85, 0x1e0
	s_movk_i32 s0, 0x50
	s_addk_i32 s85, 0x50
	v_mov_b32_e32 v3, v2
	v_mov_b32_e32 v4, v2
	;; [unrolled: 1-line block ×3, first 2 shown]
	scratch_store_byte off, v2, off offset:556
	scratch_store_dword off, v2, off offset:576
	scratch_store_dwordx4 off, v[2:5], off offset:560
.LBB2057_9:                             ; =>This Inner Loop Header: Depth=1
	s_add_i32 s1, s0, 0x1e0
	s_add_i32 s0, s0, 8
	s_cmpk_lg_i32 s0, 0x60
	scratch_store_dwordx2 off, v[2:3], s1
	s_cbranch_scc1 .LBB2057_9
; %bb.10:
	v_mov_b32_e32 v2, 0
	s_movk_i32 s86, 0x1e0
	s_movk_i32 s0, 0x64
	s_addk_i32 s86, 0x64
	v_mov_b32_e32 v3, v2
	v_mov_b32_e32 v4, v2
	v_mov_b32_e32 v5, v2
	scratch_store_byte off, v2, off offset:576
	scratch_store_dword off, v2, off offset:596
	scratch_store_dwordx4 off, v[2:5], off offset:580
.LBB2057_11:                            ; =>This Inner Loop Header: Depth=1
	s_add_i32 s1, s0, 0x1e0
	s_add_i32 s0, s0, 8
	s_cmpk_lg_i32 s0, 0x74
	scratch_store_dwordx2 off, v[2:3], s1
	s_cbranch_scc1 .LBB2057_11
; %bb.12:
	v_mov_b32_e32 v2, 0
	s_movk_i32 s87, 0x1e0
	s_movk_i32 s0, 0x78
	s_addk_i32 s87, 0x78
	v_mov_b32_e32 v3, v2
	v_mov_b32_e32 v4, v2
	v_mov_b32_e32 v5, v2
	scratch_store_byte off, v2, off offset:596
	scratch_store_dword off, v2, off offset:616
	scratch_store_dwordx4 off, v[2:5], off offset:600
.LBB2057_13:                            ; =>This Inner Loop Header: Depth=1
	s_add_i32 s1, s0, 0x1e0
	s_add_i32 s0, s0, 8
	s_cmpk_lg_i32 s0, 0x88
	scratch_store_dwordx2 off, v[2:3], s1
	s_cbranch_scc1 .LBB2057_13
	;; [unrolled: 17-line block ×18, first 2 shown]
; %bb.46:
	v_mov_b32_e32 v2, 0
	s_mov_b32 s0, 0
	v_mov_b32_e32 v3, v2
	scratch_store_byte off, v2, off offset:936
.LBB2057_47:                            ; =>This Inner Loop Header: Depth=1
	s_add_i32 s1, s0, 0x50
	s_add_i32 s0, s0, 8
	s_cmp_lg_u32 s0, 16
	scratch_store_dwordx2 off, v[2:3], s1
	s_cbranch_scc1 .LBB2057_47
; %bb.48:
	v_mov_b32_e32 v2, 0
	s_mov_b32 s0, 16
	v_mov_b32_e32 v3, v2
.LBB2057_49:                            ; =>This Inner Loop Header: Depth=1
	s_add_i32 s1, s0, 0x50
	s_add_i32 s0, s0, 8
	s_cmp_lg_u32 s0, 32
	scratch_store_dwordx2 off, v[2:3], s1
	s_cbranch_scc1 .LBB2057_49
; %bb.50:
	v_mov_b32_e32 v2, 0
	s_mov_b32 s0, 32
	v_mov_b32_e32 v3, v2
	;; [unrolled: 10-line block ×4, first 2 shown]
.LBB2057_55:                            ; =>This Inner Loop Header: Depth=1
	s_add_i32 s1, s0, 0x50
	s_add_i32 s0, s0, 8
	s_cmpk_lg_i32 s0, 0x50
	scratch_store_dwordx2 off, v[2:3], s1
	s_cbranch_scc1 .LBB2057_55
; %bb.56:
	v_mov_b32_e32 v2, 0
	s_movk_i32 s0, 0x50
	v_mov_b32_e32 v3, v2
.LBB2057_57:                            ; =>This Inner Loop Header: Depth=1
	s_add_i32 s1, s0, 0x50
	s_add_i32 s0, s0, 8
	s_cmpk_lg_i32 s0, 0x60
	scratch_store_dwordx2 off, v[2:3], s1
	s_cbranch_scc1 .LBB2057_57
; %bb.58:
	v_mov_b32_e32 v2, 0
	s_movk_i32 s0, 0x60
	v_mov_b32_e32 v3, v2
.LBB2057_59:                            ; =>This Inner Loop Header: Depth=1
	s_add_i32 s1, s0, 0x50
	s_add_i32 s0, s0, 8
	s_cmpk_lg_i32 s0, 0x70
	scratch_store_dwordx2 off, v[2:3], s1
	s_cbranch_scc1 .LBB2057_59
; %bb.60:
	v_mov_b32_e32 v2, 0
	s_movk_i32 s0, 0x70
	v_mov_b32_e32 v3, v2
.LBB2057_61:                            ; =>This Inner Loop Header: Depth=1
	s_add_i32 s1, s0, 0x50
	s_add_i32 s0, s0, 8
	s_cmpk_lg_i32 s0, 0x80
	scratch_store_dwordx2 off, v[2:3], s1
	s_cbranch_scc1 .LBB2057_61
; %bb.62:
	v_mov_b32_e32 v2, 0
	s_movk_i32 s0, 0x80
	v_mov_b32_e32 v3, v2
.LBB2057_63:                            ; =>This Inner Loop Header: Depth=1
	s_add_i32 s1, s0, 0x50
	s_add_i32 s0, s0, 8
	s_cmpk_lg_i32 s0, 0x90
	scratch_store_dwordx2 off, v[2:3], s1
	s_cbranch_scc1 .LBB2057_63
; %bb.64:
	v_mov_b32_e32 v2, 0
	s_movk_i32 s0, 0x90
	v_mov_b32_e32 v3, v2
.LBB2057_65:                            ; =>This Inner Loop Header: Depth=1
	s_add_i32 s1, s0, 0x50
	s_add_i32 s0, s0, 8
	s_cmpk_lg_i32 s0, 0xa0
	scratch_store_dwordx2 off, v[2:3], s1
	s_cbranch_scc1 .LBB2057_65
; %bb.66:
	v_mov_b32_e32 v2, 0
	s_movk_i32 s0, 0xa0
	v_mov_b32_e32 v3, v2
.LBB2057_67:                            ; =>This Inner Loop Header: Depth=1
	s_add_i32 s1, s0, 0x50
	s_add_i32 s0, s0, 8
	s_cmpk_lg_i32 s0, 0xb0
	scratch_store_dwordx2 off, v[2:3], s1
	s_cbranch_scc1 .LBB2057_67
; %bb.68:
	v_mov_b32_e32 v2, 0
	s_movk_i32 s0, 0xb0
	v_mov_b32_e32 v3, v2
.LBB2057_69:                            ; =>This Inner Loop Header: Depth=1
	s_add_i32 s1, s0, 0x50
	s_add_i32 s0, s0, 8
	s_cmpk_lg_i32 s0, 0xc0
	scratch_store_dwordx2 off, v[2:3], s1
	s_cbranch_scc1 .LBB2057_69
; %bb.70:
	v_mov_b32_e32 v2, 0
	s_movk_i32 s0, 0xc0
	v_mov_b32_e32 v3, v2
.LBB2057_71:                            ; =>This Inner Loop Header: Depth=1
	s_add_i32 s1, s0, 0x50
	s_add_i32 s0, s0, 8
	s_cmpk_lg_i32 s0, 0xd0
	scratch_store_dwordx2 off, v[2:3], s1
	s_cbranch_scc1 .LBB2057_71
; %bb.72:
	v_mov_b32_e32 v2, 0
	s_movk_i32 s0, 0xd0
	v_mov_b32_e32 v3, v2
.LBB2057_73:                            ; =>This Inner Loop Header: Depth=1
	s_add_i32 s1, s0, 0x50
	s_add_i32 s0, s0, 8
	s_cmpk_lg_i32 s0, 0xe0
	scratch_store_dwordx2 off, v[2:3], s1
	s_cbranch_scc1 .LBB2057_73
; %bb.74:
	v_mov_b32_e32 v2, 0
	s_movk_i32 s0, 0xe0
	v_mov_b32_e32 v3, v2
.LBB2057_75:                            ; =>This Inner Loop Header: Depth=1
	s_add_i32 s1, s0, 0x50
	s_add_i32 s0, s0, 8
	s_cmpk_lg_i32 s0, 0xf0
	scratch_store_dwordx2 off, v[2:3], s1
	s_cbranch_scc1 .LBB2057_75
; %bb.76:
	v_mov_b32_e32 v2, 0
	s_movk_i32 s0, 0xf0
	v_mov_b32_e32 v3, v2
.LBB2057_77:                            ; =>This Inner Loop Header: Depth=1
	s_add_i32 s1, s0, 0x50
	s_add_i32 s0, s0, 8
	s_cmpk_lg_i32 s0, 0x100
	scratch_store_dwordx2 off, v[2:3], s1
	s_cbranch_scc1 .LBB2057_77
; %bb.78:
	v_mov_b32_e32 v2, 0
	s_movk_i32 s0, 0x100
	v_mov_b32_e32 v3, v2
.LBB2057_79:                            ; =>This Inner Loop Header: Depth=1
	s_add_i32 s1, s0, 0x50
	s_add_i32 s0, s0, 8
	s_cmpk_lg_i32 s0, 0x110
	scratch_store_dwordx2 off, v[2:3], s1
	s_cbranch_scc1 .LBB2057_79
; %bb.80:
	v_mov_b32_e32 v2, 0
	s_movk_i32 s0, 0x110
	v_mov_b32_e32 v3, v2
.LBB2057_81:                            ; =>This Inner Loop Header: Depth=1
	s_add_i32 s1, s0, 0x50
	s_add_i32 s0, s0, 8
	s_cmpk_lg_i32 s0, 0x120
	scratch_store_dwordx2 off, v[2:3], s1
	s_cbranch_scc1 .LBB2057_81
; %bb.82:
	v_mov_b32_e32 v2, 0
	s_movk_i32 s0, 0x120
	v_mov_b32_e32 v3, v2
.LBB2057_83:                            ; =>This Inner Loop Header: Depth=1
	s_add_i32 s1, s0, 0x50
	s_add_i32 s0, s0, 8
	s_cmpk_lg_i32 s0, 0x130
	scratch_store_dwordx2 off, v[2:3], s1
	s_cbranch_scc1 .LBB2057_83
; %bb.84:
	v_mov_b32_e32 v2, 0
	s_movk_i32 s0, 0x130
	v_mov_b32_e32 v3, v2
.LBB2057_85:                            ; =>This Inner Loop Header: Depth=1
	s_add_i32 s1, s0, 0x50
	s_add_i32 s0, s0, 8
	s_cmpk_lg_i32 s0, 0x140
	scratch_store_dwordx2 off, v[2:3], s1
	s_cbranch_scc1 .LBB2057_85
; %bb.86:
	v_mov_b32_e32 v2, 0
	s_movk_i32 s0, 0x140
	v_mov_b32_e32 v3, v2
.LBB2057_87:                            ; =>This Inner Loop Header: Depth=1
	s_add_i32 s1, s0, 0x50
	s_add_i32 s0, s0, 8
	s_cmpk_lg_i32 s0, 0x150
	scratch_store_dwordx2 off, v[2:3], s1
	s_cbranch_scc1 .LBB2057_87
; %bb.88:
	v_mov_b32_e32 v2, 0
	s_movk_i32 s0, 0x150
	v_mov_b32_e32 v3, v2
.LBB2057_89:                            ; =>This Inner Loop Header: Depth=1
	s_add_i32 s1, s0, 0x50
	s_add_i32 s0, s0, 8
	s_cmpk_lg_i32 s0, 0x160
	scratch_store_dwordx2 off, v[2:3], s1
	s_cbranch_scc1 .LBB2057_89
; %bb.90:
	v_mov_b32_e32 v2, 0
	s_movk_i32 s0, 0x160
	v_mov_b32_e32 v3, v2
.LBB2057_91:                            ; =>This Inner Loop Header: Depth=1
	s_add_i32 s1, s0, 0x50
	s_add_i32 s0, s0, 8
	s_cmpk_lg_i32 s0, 0x170
	scratch_store_dwordx2 off, v[2:3], s1
	s_cbranch_scc1 .LBB2057_91
; %bb.92:
	s_mul_i32 s1, s9, s3
	s_mul_hi_u32 s4, s8, s3
	v_writelane_b32 v200, s8, 8
	s_cmp_lg_u64 s[72:73], 0
	s_cselect_b64 s[78:79], -1, 0
	v_writelane_b32 v200, s9, 9
	s_add_i32 s6, s4, s1
	v_readlane_b32 s12, v200, 0
	v_readlane_b32 s14, v200, 2
	;; [unrolled: 1-line block ×4, first 2 shown]
	s_lshl_b64 s[72:73], s[14:15], 4
	v_readlane_b32 s17, v200, 5
	s_add_u32 s7, s16, s72
	s_mul_i32 s3, s8, s3
	s_addc_u32 s8, s17, s73
	s_lshl_b64 s[4:5], s[14:15], 2
	s_mul_i32 s0, s2, 0xb80
	v_readlane_b32 s13, v200, 1
	s_add_u32 s9, s12, s4
	s_mov_b32 s1, 0
	s_addc_u32 s12, s13, s5
	s_lshl_b64 s[4:5], s[0:1], 2
	s_add_u32 s64, s9, s4
	s_addc_u32 s65, s12, s5
	s_lshl_b64 s[60:61], s[0:1], 4
	s_add_u32 s62, s7, s60
	s_addc_u32 s63, s8, s61
	s_add_u32 s80, s3, s2
	s_addc_u32 s81, s6, 0
	s_add_u32 s4, s68, -1
	v_mov_b32_e32 v2, 0x50
	s_addc_u32 s5, s69, -1
	v_add_u32_e32 v1, 0x160, v2
	v_add_u32_e32 v26, 0x150, v2
	;; [unrolled: 1-line block ×22, first 2 shown]
	v_mov_b64_e32 v[2:3], s[4:5]
	v_cmp_ge_u64_e64 s[0:1], s[80:81], v[2:3]
	s_mov_b64 s[10:11], 0
	s_mov_b64 s[6:7], -1
	s_and_b64 vcc, exec, s[0:1]
	s_mul_i32 s3, s4, 0xfffff480
	v_readlane_b32 s18, v200, 6
	v_readlane_b32 s19, v200, 7
	v_writelane_b32 v200, s3, 10
                                        ; implicit-def: $sgpr4_sgpr5
	s_cbranch_vccnz .LBB2057_689
; %bb.93:
	s_and_b64 vcc, exec, s[6:7]
	s_cbranch_vccnz .LBB2057_810
.LBB2057_94:
	s_and_saveexec_b64 s[6:7], s[10:11]
	s_cbranch_execz .LBB2057_96
.LBB2057_95:
	scratch_load_dwordx4 v[2:5], v1, off
	v_cndmask_b32_e64 v1, 0, 1, s[4:5]
	s_waitcnt vmcnt(0)
	scratch_store_dwordx4 off, v[2:5], s67
	scratch_store_byte off, v1, off offset:936
.LBB2057_96:
	s_or_b64 exec, exec, s[6:7]
	s_cmp_lg_u32 s2, 0
	s_mov_b32 s3, 0
	s_waitcnt vmcnt(63) expcnt(7) lgkmcnt(15)
	s_barrier
	s_cbranch_scc0 .LBB2057_818
; %bb.97:
	v_mov_b32_e32 v2, 0
	v_mov_b32_e32 v3, v2
	scratch_store_dword off, v2, off offset:96
.LBB2057_98:                            ; =>This Inner Loop Header: Depth=1
	s_add_i32 s4, s3, 0x50
	s_add_i32 s3, s3, 8
	s_cmp_lg_u32 s3, 16
	scratch_store_dwordx2 off, v[2:3], s4
	s_cbranch_scc1 .LBB2057_98
; %bb.99:
	scratch_load_dwordx4 v[2:5], off, off offset:480
	scratch_load_ubyte v1, off, off offset:496
	scratch_load_ubyte v6, off, off offset:516
	s_waitcnt vmcnt(2)
	scratch_store_dwordx4 off, v[2:5], off offset:80
	s_waitcnt vmcnt(2)
	scratch_store_byte off, v1, off offset:96
	s_waitcnt vmcnt(2)
	v_cmp_ne_u16_e32 vcc, 0, v6
                                        ; implicit-def: $vgpr4_vgpr5
	s_and_saveexec_b64 s[4:5], vcc
	s_xor_b64 s[4:5], exec, s[4:5]
	s_cbranch_execz .LBB2057_101
; %bb.100:
	scratch_load_dwordx4 v[2:5], off, off offset:500
.LBB2057_101:
	s_andn2_saveexec_b64 s[4:5], s[4:5]
	s_cbranch_execz .LBB2057_107
; %bb.102:
	s_waitcnt vmcnt(0)
	v_mov_b32_e32 v2, 0
	s_mov_b32 s3, 0
	v_mov_b32_e32 v3, v2
.LBB2057_103:                           ; =>This Inner Loop Header: Depth=1
	s_add_i32 s6, s3, 16
	s_add_i32 s3, s3, 8
	s_cmp_lg_u32 s3, 16
	scratch_store_dwordx2 off, v[2:3], s6
	s_cbranch_scc1 .LBB2057_103
; %bb.104:
	s_mov_b32 s3, 0
.LBB2057_105:                           ; =>This Inner Loop Header: Depth=1
	s_add_i32 s6, s3, 0x50
	s_add_i32 s7, s33, s3
	scratch_load_dwordx2 v[2:3], off, s6
	scratch_load_dwordx2 v[4:5], off, s7
	s_add_i32 s6, s3, 16
	s_add_i32 s3, s3, 8
	s_cmp_lg_u32 s3, 16
	s_waitcnt vmcnt(0)
	v_add_u32_e32 v3, v5, v3
	v_add_u32_e32 v2, v4, v2
	scratch_store_dwordx2 off, v[2:3], s6
	s_cbranch_scc1 .LBB2057_105
; %bb.106:
	scratch_load_dwordx4 v[2:5], off, off offset:16
.LBB2057_107:
	s_or_b64 exec, exec, s[4:5]
	scratch_load_ubyte v7, off, off offset:536
	s_waitcnt vmcnt(0)
	v_cmp_ne_u16_e32 vcc, 0, v7
	scratch_store_dwordx4 off, v[2:5], off offset:80
                                        ; implicit-def: $vgpr4_vgpr5
	s_and_saveexec_b64 s[4:5], vcc
	s_xor_b64 s[4:5], exec, s[4:5]
	s_cbranch_execz .LBB2057_109
; %bb.108:
	scratch_load_dwordx4 v[2:5], off, off offset:520
.LBB2057_109:
	s_andn2_saveexec_b64 s[4:5], s[4:5]
	s_cbranch_execz .LBB2057_115
; %bb.110:
	s_waitcnt vmcnt(0)
	v_mov_b32_e32 v2, 0
	s_mov_b32 s3, 0
	v_mov_b32_e32 v3, v2
.LBB2057_111:                           ; =>This Inner Loop Header: Depth=1
	s_add_i32 s6, s3, 16
	s_add_i32 s3, s3, 8
	s_cmp_lg_u32 s3, 16
	scratch_store_dwordx2 off, v[2:3], s6
	s_cbranch_scc1 .LBB2057_111
; %bb.112:
	s_mov_b32 s3, 0
.LBB2057_113:                           ; =>This Inner Loop Header: Depth=1
	s_add_i32 s6, s3, 0x50
	s_add_i32 s7, s59, s3
	scratch_load_dwordx2 v[2:3], off, s6
	scratch_load_dwordx2 v[4:5], off, s7
	s_add_i32 s6, s3, 16
	s_add_i32 s3, s3, 8
	s_cmp_lg_u32 s3, 16
	s_waitcnt vmcnt(0)
	v_add_u32_e32 v3, v5, v3
	v_add_u32_e32 v2, v4, v2
	scratch_store_dwordx2 off, v[2:3], s6
	s_cbranch_scc1 .LBB2057_113
; %bb.114:
	scratch_load_dwordx4 v[2:5], off, off offset:16
.LBB2057_115:
	s_or_b64 exec, exec, s[4:5]
	scratch_load_ubyte v8, off, off offset:556
	s_waitcnt vmcnt(0)
	v_cmp_ne_u16_e32 vcc, 0, v8
	scratch_store_dwordx4 off, v[2:5], off offset:80
	;; [unrolled: 43-line block ×21, first 2 shown]
                                        ; implicit-def: $vgpr4_vgpr5
	s_and_saveexec_b64 s[4:5], vcc
	s_xor_b64 s[4:5], exec, s[4:5]
	s_cbranch_execz .LBB2057_269
; %bb.268:
	scratch_load_dwordx4 v[2:5], off, off offset:920
.LBB2057_269:
	s_andn2_saveexec_b64 s[4:5], s[4:5]
	s_cbranch_execz .LBB2057_275
; %bb.270:
	s_waitcnt vmcnt(0)
	v_mov_b32_e32 v2, 0
	s_mov_b32 s3, 0
	v_mov_b32_e32 v3, v2
.LBB2057_271:                           ; =>This Inner Loop Header: Depth=1
	s_add_i32 s6, s3, 16
	s_add_i32 s3, s3, 8
	s_cmp_lg_u32 s3, 16
	scratch_store_dwordx2 off, v[2:3], s6
	s_cbranch_scc1 .LBB2057_271
; %bb.272:
	s_mov_b32 s3, 0
.LBB2057_273:                           ; =>This Inner Loop Header: Depth=1
	s_add_i32 s6, s3, 0x50
	s_add_i32 s7, s67, s3
	scratch_load_dwordx2 v[2:3], off, s6
	scratch_load_dwordx2 v[4:5], off, s7
	s_add_i32 s6, s3, 16
	s_add_i32 s3, s3, 8
	s_cmp_lg_u32 s3, 16
	s_waitcnt vmcnt(0)
	v_add_u32_e32 v3, v5, v3
	v_add_u32_e32 v2, v4, v2
	scratch_store_dwordx2 off, v[2:3], s6
	s_cbranch_scc1 .LBB2057_273
; %bb.274:
	scratch_load_dwordx4 v[2:5], off, off offset:16
.LBB2057_275:
	s_or_b64 exec, exec, s[4:5]
	scratch_load_ushort v28, off, off offset:97
	scratch_load_sbyte v29, off, off offset:99
	v_or_b32_e32 v26, v27, v26
	v_or_b32_e32 v25, v26, v25
	;; [unrolled: 1-line block ×22, first 2 shown]
	v_lshrrev_b32_e32 v27, 5, v0
	v_and_b32_e32 v12, 1, v1
	v_add_u32_e32 v26, v27, v0
	v_mul_u32_u24_e32 v25, 20, v26
	v_cmp_gt_u32_e32 vcc, 64, v0
	s_waitcnt vmcnt(2)
	scratch_store_dwordx4 off, v[2:5], off offset:448
	ds_write2_b32 v25, v2, v3 offset1:1
	ds_write2_b32 v25, v4, v5 offset0:2 offset1:3
	ds_write_b8 v25, v12 offset:16
	s_waitcnt vmcnt(2)
	v_lshrrev_b32_e32 v1, 8, v28
	v_lshlrev_b16_e32 v6, 8, v28
	s_waitcnt vmcnt(1)
	v_lshlrev_b16_e32 v7, 8, v29
	v_or_b32_e32 v6, v12, v6
	v_or_b32_sdwa v1, v1, v7 dst_sel:WORD_1 dst_unused:UNUSED_PAD src0_sel:BYTE_0 src1_sel:DWORD
	s_nop 0
	v_or_b32_sdwa v1, v6, v1 dst_sel:DWORD dst_unused:UNUSED_PAD src0_sel:WORD_0 src1_sel:DWORD
	scratch_store_dword off, v1, off offset:464
	s_waitcnt lgkmcnt(0)
	s_barrier
	s_and_saveexec_b64 s[8:9], vcc
	s_cbranch_execz .LBB2057_351
; %bb.276:
	v_lshrrev_b32_e32 v1, 4, v0
	v_lshl_add_u32 v1, v0, 1, v1
	v_mul_u32_u24_e32 v13, 20, v1
	ds_read_u8 v10, v13 offset:36
	ds_read_b32 v11, v13 offset:16
	ds_read2_b32 v[8:9], v13 offset0:2 offset1:3
	ds_read2_b32 v[6:7], v13 offset1:1
	v_mad_u32_u24 v1, v1, 20, 20
	s_waitcnt lgkmcnt(3)
	v_cmp_ne_u16_e64 s[4:5], 0, v10
	s_waitcnt lgkmcnt(2)
	scratch_store_dword off, v11, off offset:32
	s_waitcnt lgkmcnt(0)
	scratch_store_dwordx4 off, v[6:9], off offset:16
                                        ; implicit-def: $vgpr6_vgpr7
	s_and_saveexec_b64 s[6:7], s[4:5]
	s_xor_b64 s[4:5], exec, s[6:7]
	s_cbranch_execz .LBB2057_278
; %bb.277:
	ds_read2_b32 v[6:7], v1 offset1:1
	ds_read2_b32 v[8:9], v1 offset0:2 offset1:3
.LBB2057_278:
	s_andn2_saveexec_b64 s[4:5], s[4:5]
	s_cbranch_execz .LBB2057_284
; %bb.279:
	s_waitcnt lgkmcnt(1)
	v_mov_b32_e32 v6, 0
	s_mov_b32 s3, 0
	v_mov_b32_e32 v7, v6
.LBB2057_280:                           ; =>This Inner Loop Header: Depth=1
	s_add_i32 s6, s3, 0x50
	s_add_i32 s3, s3, 8
	s_cmp_lg_u32 s3, 16
	scratch_store_dwordx2 off, v[6:7], s6
	s_cbranch_scc1 .LBB2057_280
; %bb.281:
	s_mov_b32 s3, 0
.LBB2057_282:                           ; =>This Inner Loop Header: Depth=1
	s_add_i32 s6, s3, 16
	scratch_load_dwordx2 v[6:7], off, s6
	s_waitcnt lgkmcnt(0)
	v_add_u32_e32 v8, s3, v1
	ds_read2_b32 v[8:9], v8 offset1:1
	s_add_i32 s6, s3, 0x50
	s_add_i32 s3, s3, 8
	s_cmp_lg_u32 s3, 16
	s_waitcnt vmcnt(0) lgkmcnt(0)
	v_add_u32_e32 v7, v9, v7
	v_add_u32_e32 v6, v8, v6
	scratch_store_dwordx2 off, v[6:7], s6
	s_cbranch_scc1 .LBB2057_282
; %bb.283:
	scratch_load_dwordx4 v[6:9], off, off offset:80
.LBB2057_284:
	s_or_b64 exec, exec, s[4:5]
	scratch_load_ubyte v11, off, off offset:32
	s_waitcnt vmcnt(1) lgkmcnt(1)
	v_mov_b32_dpp v16, v6 row_shr:1 row_mask:0xf bank_mask:0xf
	v_mov_b32_dpp v17, v7 row_shr:1 row_mask:0xf bank_mask:0xf
	s_waitcnt lgkmcnt(0)
	v_mov_b32_dpp v18, v8 row_shr:1 row_mask:0xf bank_mask:0xf
	v_mov_b32_dpp v19, v9 row_shr:1 row_mask:0xf bank_mask:0xf
	scratch_store_dwordx4 off, v[16:19], off offset:80
	scratch_store_dwordx4 off, v[6:9], off offset:16
	s_waitcnt vmcnt(2)
	v_or_b32_e32 v10, v10, v11
	v_and_b32_e32 v10, 1, v10
	scratch_store_byte off, v10, off offset:32
	scratch_load_dword v15, off, off offset:32
	v_mbcnt_lo_u32_b32 v10, -1, 0
	v_mbcnt_hi_u32_b32 v14, -1, v10
	v_and_b32_e32 v16, 15, v14
	v_cmp_ne_u32_e64 s[4:5], 0, v16
	s_waitcnt vmcnt(0)
	v_mov_b32_dpp v17, v15 row_shr:1 row_mask:0xf bank_mask:0xf
	scratch_store_dword off, v17, off offset:96
	s_and_saveexec_b64 s[6:7], s[4:5]
	s_cbranch_execz .LBB2057_292
; %bb.285:
	v_mov_b32_e32 v10, 0
	v_cmp_eq_u16_sdwa s[10:11], v15, v10 src0_sel:BYTE_0 src1_sel:DWORD
	s_and_saveexec_b64 s[4:5], s[10:11]
	s_cbranch_execz .LBB2057_291
; %bb.286:
	s_mov_b32 s3, 0
	v_mov_b32_e32 v11, v10
.LBB2057_287:                           ; =>This Inner Loop Header: Depth=1
	s_add_i32 s10, s3, 36
	s_add_i32 s3, s3, 8
	s_cmp_lg_u32 s3, 16
	scratch_store_dwordx2 off, v[10:11], s10
	s_cbranch_scc1 .LBB2057_287
; %bb.288:
	s_mov_b32 s3, 0
.LBB2057_289:                           ; =>This Inner Loop Header: Depth=1
	s_add_i32 s10, s3, 0x50
	s_add_i32 s11, s3, 16
	scratch_load_dwordx2 v[6:7], off, s10
	scratch_load_dwordx2 v[8:9], off, s11
	s_add_i32 s10, s3, 36
	s_add_i32 s3, s3, 8
	s_cmp_lg_u32 s3, 16
	s_waitcnt vmcnt(0)
	v_add_u32_e32 v7, v9, v7
	v_add_u32_e32 v6, v8, v6
	scratch_store_dwordx2 off, v[6:7], s10
	s_cbranch_scc1 .LBB2057_289
; %bb.290:
	scratch_load_dwordx4 v[6:9], off, off offset:36
.LBB2057_291:
	s_or_b64 exec, exec, s[4:5]
	v_or_b32_e32 v10, v17, v15
	v_and_b32_e32 v10, 1, v10
	scratch_store_byte off, v10, off offset:32
	scratch_load_dword v15, off, off offset:32
	s_waitcnt vmcnt(2)
	scratch_store_dwordx4 off, v[6:9], off offset:16
.LBB2057_292:
	s_or_b64 exec, exec, s[6:7]
	v_mov_b32_dpp v18, v6 row_shr:2 row_mask:0xf bank_mask:0xf
	v_mov_b32_dpp v19, v7 row_shr:2 row_mask:0xf bank_mask:0xf
	v_mov_b32_dpp v20, v8 row_shr:2 row_mask:0xf bank_mask:0xf
	v_mov_b32_dpp v21, v9 row_shr:2 row_mask:0xf bank_mask:0xf
	s_waitcnt vmcnt(1)
	v_mov_b32_dpp v17, v15 row_shr:2 row_mask:0xf bank_mask:0xf
	v_cmp_lt_u32_e64 s[4:5], 1, v16
	scratch_store_dwordx4 off, v[18:21], off offset:80
	scratch_store_dword off, v17, off offset:96
	s_and_saveexec_b64 s[10:11], s[4:5]
	s_cbranch_execz .LBB2057_300
; %bb.293:
	v_mov_b32_e32 v10, 0
	s_mov_b32 s3, 0
	v_cmp_eq_u16_sdwa s[6:7], v15, v10 src0_sel:BYTE_0 src1_sel:DWORD
	s_and_saveexec_b64 s[4:5], s[6:7]
	s_cbranch_execz .LBB2057_299
; %bb.294:
	v_mov_b32_e32 v11, v10
.LBB2057_295:                           ; =>This Inner Loop Header: Depth=1
	s_add_i32 s6, s3, 36
	s_add_i32 s3, s3, 8
	s_cmp_lg_u32 s3, 16
	scratch_store_dwordx2 off, v[10:11], s6
	s_cbranch_scc1 .LBB2057_295
; %bb.296:
	s_mov_b32 s3, 0
.LBB2057_297:                           ; =>This Inner Loop Header: Depth=1
	s_add_i32 s6, s3, 0x50
	s_add_i32 s7, s3, 16
	scratch_load_dwordx2 v[6:7], off, s6
	scratch_load_dwordx2 v[8:9], off, s7
	s_add_i32 s6, s3, 36
	s_add_i32 s3, s3, 8
	s_cmp_lg_u32 s3, 16
	s_waitcnt vmcnt(0)
	v_add_u32_e32 v7, v9, v7
	v_add_u32_e32 v6, v8, v6
	scratch_store_dwordx2 off, v[6:7], s6
	s_cbranch_scc1 .LBB2057_297
; %bb.298:
	scratch_load_dwordx4 v[6:9], off, off offset:36
.LBB2057_299:
	s_or_b64 exec, exec, s[4:5]
	v_and_b32_e32 v10, 1, v15
	v_cmp_eq_u32_e64 s[4:5], 1, v10
	v_and_b32_e32 v10, 1, v17
	v_cmp_eq_u32_e64 s[6:7], 1, v10
	s_or_b64 s[4:5], s[4:5], s[6:7]
	v_cndmask_b32_e64 v10, 0, 1, s[4:5]
	scratch_store_byte off, v10, off offset:32
	scratch_load_dword v15, off, off offset:32
	s_waitcnt vmcnt(2)
	scratch_store_dwordx4 off, v[6:9], off offset:16
.LBB2057_300:
	s_or_b64 exec, exec, s[10:11]
	v_mov_b32_dpp v18, v6 row_shr:4 row_mask:0xf bank_mask:0xf
	v_mov_b32_dpp v19, v7 row_shr:4 row_mask:0xf bank_mask:0xf
	v_mov_b32_dpp v20, v8 row_shr:4 row_mask:0xf bank_mask:0xf
	v_mov_b32_dpp v21, v9 row_shr:4 row_mask:0xf bank_mask:0xf
	s_waitcnt vmcnt(1)
	v_mov_b32_dpp v17, v15 row_shr:4 row_mask:0xf bank_mask:0xf
	v_cmp_lt_u32_e64 s[4:5], 3, v16
	scratch_store_dwordx4 off, v[18:21], off offset:80
	scratch_store_dword off, v17, off offset:96
	s_and_saveexec_b64 s[10:11], s[4:5]
	s_cbranch_execz .LBB2057_308
; %bb.301:
	v_mov_b32_e32 v10, 0
	s_mov_b32 s3, 0
	v_cmp_eq_u16_sdwa s[6:7], v15, v10 src0_sel:BYTE_0 src1_sel:DWORD
	s_and_saveexec_b64 s[4:5], s[6:7]
	s_cbranch_execz .LBB2057_307
; %bb.302:
	v_mov_b32_e32 v11, v10
.LBB2057_303:                           ; =>This Inner Loop Header: Depth=1
	s_add_i32 s6, s3, 36
	s_add_i32 s3, s3, 8
	s_cmp_lg_u32 s3, 16
	scratch_store_dwordx2 off, v[10:11], s6
	s_cbranch_scc1 .LBB2057_303
; %bb.304:
	s_mov_b32 s3, 0
.LBB2057_305:                           ; =>This Inner Loop Header: Depth=1
	s_add_i32 s6, s3, 0x50
	s_add_i32 s7, s3, 16
	scratch_load_dwordx2 v[6:7], off, s6
	scratch_load_dwordx2 v[8:9], off, s7
	s_add_i32 s6, s3, 36
	s_add_i32 s3, s3, 8
	s_cmp_lg_u32 s3, 16
	s_waitcnt vmcnt(0)
	v_add_u32_e32 v7, v9, v7
	v_add_u32_e32 v6, v8, v6
	scratch_store_dwordx2 off, v[6:7], s6
	s_cbranch_scc1 .LBB2057_305
; %bb.306:
	scratch_load_dwordx4 v[6:9], off, off offset:36
.LBB2057_307:
	s_or_b64 exec, exec, s[4:5]
	v_and_b32_e32 v10, 1, v15
	v_cmp_eq_u32_e64 s[4:5], 1, v10
	v_and_b32_e32 v10, 1, v17
	v_cmp_eq_u32_e64 s[6:7], 1, v10
	s_or_b64 s[4:5], s[4:5], s[6:7]
	v_cndmask_b32_e64 v10, 0, 1, s[4:5]
	scratch_store_byte off, v10, off offset:32
	scratch_load_dword v15, off, off offset:32
	s_waitcnt vmcnt(2)
	scratch_store_dwordx4 off, v[6:9], off offset:16
.LBB2057_308:
	;; [unrolled: 56-line block ×3, first 2 shown]
	s_or_b64 exec, exec, s[10:11]
	v_and_b32_e32 v10, 16, v14
	v_mov_b32_dpp v18, v6 row_bcast:15 row_mask:0xf bank_mask:0xf
	v_mov_b32_dpp v19, v7 row_bcast:15 row_mask:0xf bank_mask:0xf
	;; [unrolled: 1-line block ×4, first 2 shown]
	s_waitcnt vmcnt(1)
	v_mov_b32_dpp v16, v15 row_bcast:15 row_mask:0xf bank_mask:0xf
	v_cmp_ne_u32_e64 s[4:5], 0, v10
	scratch_store_dwordx4 off, v[18:21], off offset:80
	scratch_store_dword off, v16, off offset:96
	s_and_saveexec_b64 s[10:11], s[4:5]
	s_cbranch_execz .LBB2057_324
; %bb.317:
	v_mov_b32_e32 v10, 0
	s_mov_b32 s3, 0
	v_cmp_eq_u16_sdwa s[6:7], v15, v10 src0_sel:BYTE_0 src1_sel:DWORD
	s_and_saveexec_b64 s[4:5], s[6:7]
	s_cbranch_execz .LBB2057_323
; %bb.318:
	v_mov_b32_e32 v11, v10
.LBB2057_319:                           ; =>This Inner Loop Header: Depth=1
	s_add_i32 s6, s3, 36
	s_add_i32 s3, s3, 8
	s_cmp_lg_u32 s3, 16
	scratch_store_dwordx2 off, v[10:11], s6
	s_cbranch_scc1 .LBB2057_319
; %bb.320:
	s_mov_b32 s3, 0
.LBB2057_321:                           ; =>This Inner Loop Header: Depth=1
	s_add_i32 s6, s3, 0x50
	s_add_i32 s7, s3, 16
	scratch_load_dwordx2 v[6:7], off, s6
	scratch_load_dwordx2 v[8:9], off, s7
	s_add_i32 s6, s3, 36
	s_add_i32 s3, s3, 8
	s_cmp_lg_u32 s3, 16
	s_waitcnt vmcnt(0)
	v_add_u32_e32 v7, v9, v7
	v_add_u32_e32 v6, v8, v6
	scratch_store_dwordx2 off, v[6:7], s6
	s_cbranch_scc1 .LBB2057_321
; %bb.322:
	scratch_load_dwordx4 v[6:9], off, off offset:36
.LBB2057_323:
	s_or_b64 exec, exec, s[4:5]
	v_and_b32_e32 v10, 1, v15
	v_cmp_eq_u32_e64 s[4:5], 1, v10
	v_and_b32_e32 v10, 1, v16
	v_cmp_eq_u32_e64 s[6:7], 1, v10
	s_or_b64 s[4:5], s[4:5], s[6:7]
	v_cndmask_b32_e64 v10, 0, 1, s[4:5]
	scratch_store_byte off, v10, off offset:32
	scratch_load_dword v15, off, off offset:32
	s_waitcnt vmcnt(2)
	scratch_store_dwordx4 off, v[6:9], off offset:16
.LBB2057_324:
	s_or_b64 exec, exec, s[10:11]
	v_mov_b32_dpp v18, v6 row_bcast:31 row_mask:0xf bank_mask:0xf
	v_mov_b32_dpp v19, v7 row_bcast:31 row_mask:0xf bank_mask:0xf
	;; [unrolled: 1-line block ×4, first 2 shown]
	s_waitcnt vmcnt(1)
	v_mov_b32_dpp v16, v15 row_bcast:31 row_mask:0xf bank_mask:0xf
	v_cmp_lt_u32_e64 s[4:5], 31, v14
	scratch_store_dwordx4 off, v[18:21], off offset:80
	scratch_store_dword off, v16, off offset:96
	s_and_saveexec_b64 s[10:11], s[4:5]
	s_cbranch_execz .LBB2057_332
; %bb.325:
	v_mov_b32_e32 v10, 0
	s_mov_b32 s3, 0
	v_cmp_eq_u16_sdwa s[6:7], v15, v10 src0_sel:BYTE_0 src1_sel:DWORD
	s_and_saveexec_b64 s[4:5], s[6:7]
	s_cbranch_execz .LBB2057_331
; %bb.326:
	v_mov_b32_e32 v11, v10
.LBB2057_327:                           ; =>This Inner Loop Header: Depth=1
	s_add_i32 s6, s3, 36
	s_add_i32 s3, s3, 8
	s_cmp_lg_u32 s3, 16
	scratch_store_dwordx2 off, v[10:11], s6
	s_cbranch_scc1 .LBB2057_327
; %bb.328:
	s_mov_b32 s3, 0
.LBB2057_329:                           ; =>This Inner Loop Header: Depth=1
	s_add_i32 s6, s3, 0x50
	s_add_i32 s7, s3, 16
	scratch_load_dwordx2 v[6:7], off, s6
	scratch_load_dwordx2 v[8:9], off, s7
	s_add_i32 s6, s3, 36
	s_add_i32 s3, s3, 8
	s_cmp_lg_u32 s3, 16
	s_waitcnt vmcnt(0)
	v_add_u32_e32 v7, v9, v7
	v_add_u32_e32 v6, v8, v6
	scratch_store_dwordx2 off, v[6:7], s6
	s_cbranch_scc1 .LBB2057_329
; %bb.330:
	scratch_load_dwordx4 v[6:9], off, off offset:36
.LBB2057_331:
	s_or_b64 exec, exec, s[4:5]
	v_and_b32_e32 v10, 1, v15
	v_cmp_eq_u32_e64 s[4:5], 1, v10
	v_and_b32_e32 v10, 1, v16
	v_cmp_eq_u32_e64 s[6:7], 1, v10
	s_or_b64 s[4:5], s[4:5], s[6:7]
	v_cndmask_b32_e64 v10, 0, 1, s[4:5]
	scratch_store_byte off, v10, off offset:32
	scratch_load_dword v15, off, off offset:32
.LBB2057_332:
	s_or_b64 exec, exec, s[10:11]
	v_add_u32_e32 v10, -1, v14
	v_and_b32_e32 v11, 64, v14
	v_cmp_lt_i32_e64 s[4:5], v10, v11
	ds_read_u8 v11, v13 offset:16
	s_nop 0
	v_cndmask_b32_e64 v10, v10, v14, s[4:5]
	v_lshlrev_b32_e32 v10, 2, v10
	s_waitcnt vmcnt(2)
	ds_bpermute_b32 v6, v10, v6
	ds_bpermute_b32 v7, v10, v7
	ds_bpermute_b32 v8, v10, v8
	ds_bpermute_b32 v9, v10, v9
	s_waitcnt vmcnt(0)
	ds_bpermute_b32 v10, v10, v15
	s_waitcnt lgkmcnt(5)
	v_cmp_ne_u16_e64 s[4:5], 0, v11
	s_waitcnt lgkmcnt(1)
	scratch_store_dwordx4 off, v[6:9], off offset:16
                                        ; implicit-def: $vgpr8_vgpr9
	s_and_saveexec_b64 s[6:7], s[4:5]
	s_xor_b64 s[4:5], exec, s[6:7]
	s_cbranch_execz .LBB2057_334
; %bb.333:
	ds_read2_b32 v[6:7], v13 offset1:1
	ds_read2_b32 v[8:9], v13 offset0:2 offset1:3
.LBB2057_334:
	s_andn2_saveexec_b64 s[4:5], s[4:5]
	s_cbranch_execz .LBB2057_340
; %bb.335:
	s_waitcnt lgkmcnt(1)
	v_mov_b32_e32 v6, 0
	s_mov_b32 s3, 0
	v_mov_b32_e32 v7, v6
.LBB2057_336:                           ; =>This Inner Loop Header: Depth=1
	s_add_i32 s6, s3, 0x50
	s_add_i32 s3, s3, 8
	s_cmp_lg_u32 s3, 16
	scratch_store_dwordx2 off, v[6:7], s6
	s_cbranch_scc1 .LBB2057_336
; %bb.337:
	s_mov_b32 s3, 0
.LBB2057_338:                           ; =>This Inner Loop Header: Depth=1
	s_add_i32 s6, s3, 16
	scratch_load_dwordx2 v[6:7], off, s6
	s_waitcnt lgkmcnt(0)
	v_add_u32_e32 v8, s3, v13
	ds_read2_b32 v[8:9], v8 offset1:1
	s_add_i32 s6, s3, 0x50
	s_add_i32 s3, s3, 8
	s_cmp_lg_u32 s3, 16
	s_waitcnt vmcnt(0) lgkmcnt(0)
	v_add_u32_e32 v7, v9, v7
	v_add_u32_e32 v6, v8, v6
	scratch_store_dwordx2 off, v[6:7], s6
	s_cbranch_scc1 .LBB2057_338
; %bb.339:
	scratch_load_dwordx4 v[6:9], off, off offset:80
.LBB2057_340:
	s_or_b64 exec, exec, s[4:5]
	v_and_b32_e32 v11, 1, v11
	s_waitcnt lgkmcnt(0)
	v_and_b32_e32 v10, 1, v10
	v_cmp_eq_u32_e64 s[4:5], 1, v11
	v_cmp_eq_u32_e64 s[6:7], 1, v10
	s_or_b64 s[4:5], s[6:7], s[4:5]
	v_cndmask_b32_e64 v10, 0, 1, s[4:5]
	v_cmp_eq_u32_e64 s[4:5], 0, v0
	s_waitcnt vmcnt(0)
	scratch_store_dwordx4 off, v[6:9], off offset:16
	scratch_store_byte off, v10, off offset:32
	s_and_saveexec_b64 s[6:7], s[4:5]
	s_cbranch_execz .LBB2057_342
; %bb.341:
	scratch_store_dwordx4 off, v[2:5], off offset:16
	scratch_store_byte off, v12, off offset:32
.LBB2057_342:
	s_or_b64 exec, exec, s[6:7]
	; wave barrier
	scratch_load_dwordx4 v[2:5], off, off offset:16
	scratch_load_ubyte v6, off, off offset:32
	s_waitcnt vmcnt(1)
	ds_write2_b32 v13, v4, v5 offset0:2 offset1:3
	ds_write2_b32 v13, v2, v3 offset1:1
	s_waitcnt vmcnt(0)
	ds_write_b8 v13, v6 offset:16
	; wave barrier
	ds_read_u8 v6, v13 offset:36
                                        ; implicit-def: $vgpr4_vgpr5
	s_waitcnt lgkmcnt(0)
	v_cmp_ne_u16_e64 s[4:5], 0, v6
	s_and_saveexec_b64 s[6:7], s[4:5]
	s_xor_b64 s[4:5], exec, s[6:7]
	s_cbranch_execz .LBB2057_344
; %bb.343:
	ds_read2_b32 v[2:3], v1 offset1:1
	ds_read2_b32 v[4:5], v1 offset0:2 offset1:3
.LBB2057_344:
	s_andn2_saveexec_b64 s[4:5], s[4:5]
	s_cbranch_execz .LBB2057_350
; %bb.345:
	s_waitcnt lgkmcnt(1)
	v_mov_b32_e32 v2, 0
	s_mov_b32 s3, 0
	v_mov_b32_e32 v3, v2
.LBB2057_346:                           ; =>This Inner Loop Header: Depth=1
	s_add_i32 s6, s3, 0x50
	s_add_i32 s3, s3, 8
	s_cmp_lg_u32 s3, 16
	scratch_store_dwordx2 off, v[2:3], s6
	s_cbranch_scc1 .LBB2057_346
; %bb.347:
	s_mov_b32 s3, 0
.LBB2057_348:                           ; =>This Inner Loop Header: Depth=1
	s_add_i32 s6, s3, 16
	scratch_load_dwordx2 v[2:3], off, s6
	s_waitcnt lgkmcnt(0)
	v_add_u32_e32 v4, s3, v1
	ds_read2_b32 v[4:5], v4 offset1:1
	s_add_i32 s6, s3, 0x50
	s_add_i32 s3, s3, 8
	s_cmp_lg_u32 s3, 16
	s_waitcnt vmcnt(0) lgkmcnt(0)
	v_add_u32_e32 v3, v5, v3
	v_add_u32_e32 v2, v4, v2
	scratch_store_dwordx2 off, v[2:3], s6
	s_cbranch_scc1 .LBB2057_348
; %bb.349:
	scratch_load_dwordx4 v[2:5], off, off offset:80
.LBB2057_350:
	s_or_b64 exec, exec, s[4:5]
	scratch_load_ubyte v7, off, off offset:32
	s_waitcnt vmcnt(1) lgkmcnt(0)
	ds_write2_b32 v1, v4, v5 offset0:2 offset1:3
	s_waitcnt vmcnt(0)
	v_or_b32_e32 v4, v6, v7
	v_and_b32_e32 v4, 1, v4
	ds_write2_b32 v1, v2, v3 offset1:1
	ds_write_b8 v1, v4 offset:16
.LBB2057_351:
	s_or_b64 exec, exec, s[8:9]
	v_cmp_eq_u32_e64 s[4:5], 0, v0
	v_cmp_ne_u32_e64 s[8:9], 0, v0
	s_waitcnt lgkmcnt(0)
	s_barrier
	s_and_saveexec_b64 s[6:7], s[8:9]
	s_cbranch_execz .LBB2057_353
; %bb.352:
	v_add_u32_e32 v1, -1, v0
	v_lshrrev_b32_e32 v2, 5, v1
	v_add_u32_e32 v1, v2, v1
	v_mul_lo_u32 v1, v1, 20
	ds_read_u8 v6, v1 offset:16
	ds_read2_b32 v[4:5], v1 offset0:2 offset1:3
	ds_read2_b32 v[2:3], v1 offset1:1
	s_waitcnt lgkmcnt(0)
	scratch_store_dwordx4 off, v[2:5], off offset:448
	scratch_store_byte off, v6, off offset:464
.LBB2057_353:
	s_or_b64 exec, exec, s[6:7]
	s_and_saveexec_b64 s[12:13], vcc
	s_cbranch_execz .LBB2057_494
; %bb.354:
	v_mov_b32_e32 v1, 0xa28
	v_mov_b32_e32 v2, 0
	ds_read2_b64 v[4:7], v1 offset1:1
	ds_read_b32 v1, v2 offset:2616
	v_mbcnt_lo_u32_b32 v3, -1, 0
	v_mbcnt_hi_u32_b32 v22, -1, v3
	v_cmp_eq_u32_e64 s[6:7], 0, v22
	s_waitcnt lgkmcnt(1)
	scratch_store_dwordx4 off, v[4:7], off offset:56
	s_waitcnt lgkmcnt(0)
	scratch_store_dword off, v1, off offset:72
	s_and_saveexec_b64 s[10:11], s[6:7]
	s_cbranch_execz .LBB2057_356
; %bb.355:
	v_lshrrev_b32_e32 v3, 8, v1
	s_movk_i32 s3, 0xff
	v_mov_b32_e32 v10, 8
	v_and_b32_sdwa v9, v1, s3 dst_sel:DWORD dst_unused:UNUSED_PAD src0_sel:WORD_1 src1_sel:DWORD
	v_lshlrev_b32_sdwa v3, v10, v3 dst_sel:DWORD dst_unused:UNUSED_PAD src0_sel:DWORD src1_sel:BYTE_0
	s_add_i32 s3, s2, 64
	v_lshrrev_b32_e32 v8, 24, v1
	v_or_b32_sdwa v1, v3, v1 dst_sel:DWORD dst_unused:UNUSED_PAD src0_sel:DWORD src1_sel:BYTE_0
	v_lshlrev_b32_e32 v3, 16, v9
	s_mul_i32 s14, s3, 20
	v_or_b32_e32 v1, v1, v3
	v_lshlrev_b32_e32 v3, 24, v8
	s_mul_hi_u32 s15, s3, 20
	s_add_u32 s14, s52, s14
	v_or_b32_e32 v1, v1, v3
	s_addc_u32 s15, s53, s15
	global_store_dword v2, v4, s[14:15] sc1
	global_store_dword v2, v5, s[14:15] offset:4 sc1
	global_store_dword v2, v6, s[14:15] offset:8 sc1
	;; [unrolled: 1-line block ×4, first 2 shown]
	v_mov_b32_e32 v1, s3
	v_mov_b32_e32 v3, 1
	s_waitcnt vmcnt(0)
	global_store_byte v1, v3, s[56:57] sc1
.LBB2057_356:
	s_or_b64 exec, exec, s[10:11]
	s_mov_b32 s3, 0
	v_mov_b32_e32 v3, v2
	v_mov_b32_e32 v4, v2
	;; [unrolled: 1-line block ×3, first 2 shown]
	scratch_store_dword off, v2, off offset:52
	scratch_store_dwordx4 off, v[2:5], off offset:36
.LBB2057_357:                           ; =>This Inner Loop Header: Depth=1
	s_add_i32 s10, s3, 36
	s_add_i32 s3, s3, 8
	s_cmp_lg_u32 s3, 16
	scratch_store_dwordx2 off, v[2:3], s10
	s_cbranch_scc1 .LBB2057_357
; %bb.358:
	v_mov_b32_e32 v3, 0
	v_xad_u32 v6, v22, -1, s2
	scratch_store_byte off, v3, off offset:52
	v_add_u32_e32 v2, 64, v6
	global_load_ubyte v1, v2, s[56:57] sc1
	s_waitcnt vmcnt(0)
	v_cmp_eq_u16_e32 vcc, 0, v1
	s_and_saveexec_b64 s[10:11], vcc
	s_cbranch_execz .LBB2057_364
; %bb.359:
	v_lshl_add_u64 v[4:5], s[56:57], 0, v[2:3]
	s_mov_b32 s3, 1
	s_mov_b64 s[14:15], 0
.LBB2057_360:                           ; =>This Loop Header: Depth=1
                                        ;     Child Loop BB2057_361 Depth 2
	s_max_u32 s16, s3, 1
.LBB2057_361:                           ;   Parent Loop BB2057_360 Depth=1
                                        ; =>  This Inner Loop Header: Depth=2
	s_add_i32 s16, s16, -1
	s_cmp_eq_u32 s16, 0
	s_sleep 1
	s_cbranch_scc0 .LBB2057_361
; %bb.362:                              ;   in Loop: Header=BB2057_360 Depth=1
	global_load_ubyte v1, v[4:5], off sc1
	s_cmp_lt_u32 s3, 32
	s_cselect_b64 s[16:17], -1, 0
	s_cmp_lg_u64 s[16:17], 0
	s_addc_u32 s3, s3, 0
	s_waitcnt vmcnt(0)
	v_cmp_ne_u16_e32 vcc, 0, v1
	s_or_b64 s[14:15], vcc, s[14:15]
	s_andn2_b64 exec, exec, s[14:15]
	s_cbranch_execnz .LBB2057_360
; %bb.363:
	s_or_b64 exec, exec, s[14:15]
.LBB2057_364:
	s_or_b64 exec, exec, s[10:11]
	v_mov_b32_e32 v3, s55
	v_mov_b32_e32 v4, s53
	v_cmp_eq_u16_e32 vcc, 1, v1
	s_waitcnt vmcnt(0)
	s_nop 0
	v_cndmask_b32_e32 v5, v3, v4, vcc
	v_mov_b32_e32 v3, s54
	v_mov_b32_e32 v4, s52
	v_cndmask_b32_e32 v4, v3, v4, vcc
	v_mad_u64_u32 v[8:9], s[10:11], v2, 20, v[4:5]
	global_load_dword v2, v[8:9], off sc1
	global_load_dword v3, v[8:9], off offset:4 sc1
	global_load_dword v4, v[8:9], off offset:8 sc1
	;; [unrolled: 1-line block ×4, first 2 shown]
	v_mov_b32_e32 v8, 0
	s_mov_b32 s3, 0
	v_mov_b32_e32 v9, v8
	scratch_store_dword off, v8, off offset:96
	s_waitcnt vmcnt(2)
	scratch_store_dwordx4 off, v[2:5], off offset:36
	s_waitcnt vmcnt(2)
	scratch_store_byte off, v7, off offset:52
.LBB2057_365:                           ; =>This Inner Loop Header: Depth=1
	s_add_i32 s10, s3, 0x50
	s_add_i32 s3, s3, 8
	s_cmp_lg_u32 s3, 16
	scratch_store_dwordx2 off, v[8:9], s10
	s_cbranch_scc1 .LBB2057_365
; %bb.366:
	scratch_load_dword v7, off, off offset:52
	v_lshlrev_b64 v[8:9], v22, -1
	v_cmp_eq_u16_e32 vcc, 2, v1
	v_and_b32_e32 v12, 63, v22
	s_nop 0
	v_and_b32_e32 v10, vcc_hi, v9
	v_and_b32_e32 v11, vcc_lo, v8
	v_cmp_ne_u32_e32 vcc, 63, v12
	v_or_b32_e32 v10, 0x80000000, v10
	v_ffbl_b32_e32 v10, v10
	v_addc_co_u32_e32 v13, vcc, 0, v22, vcc
	v_lshlrev_b32_e32 v13, 2, v13
	ds_bpermute_b32 v16, v13, v2
	ds_bpermute_b32 v17, v13, v3
	ds_bpermute_b32 v18, v13, v4
	ds_bpermute_b32 v19, v13, v5
	v_add_u32_e32 v10, 32, v10
	v_ffbl_b32_e32 v11, v11
	v_min_u32_e32 v24, v11, v10
	v_cmp_lt_u32_e32 vcc, v12, v24
	s_waitcnt lgkmcnt(0)
	scratch_store_dwordx4 off, v[16:19], off offset:80
	s_waitcnt vmcnt(1)
	ds_bpermute_b32 v14, v13, v7
	s_and_saveexec_b64 s[10:11], vcc
	s_cbranch_execz .LBB2057_374
; %bb.367:
	v_mov_b32_e32 v10, 0
	v_cmp_eq_u16_sdwa s[16:17], v7, v10 src0_sel:BYTE_0 src1_sel:DWORD
	s_and_saveexec_b64 s[14:15], s[16:17]
	s_cbranch_execz .LBB2057_373
; %bb.368:
	s_mov_b32 s3, 0
	v_mov_b32_e32 v11, v10
.LBB2057_369:                           ; =>This Inner Loop Header: Depth=1
	s_add_i32 s16, s3, 16
	s_add_i32 s3, s3, 8
	s_cmp_lg_u32 s3, 16
	scratch_store_dwordx2 off, v[10:11], s16
	s_cbranch_scc1 .LBB2057_369
; %bb.370:
	s_mov_b32 s3, 0
.LBB2057_371:                           ; =>This Inner Loop Header: Depth=1
	s_add_i32 s16, s3, 0x50
	s_add_i32 s17, s3, 36
	scratch_load_dwordx2 v[2:3], off, s16
	scratch_load_dwordx2 v[4:5], off, s17
	s_add_i32 s16, s3, 16
	s_add_i32 s3, s3, 8
	s_cmp_lg_u32 s3, 16
	s_waitcnt vmcnt(0)
	v_add_u32_e32 v3, v5, v3
	v_add_u32_e32 v2, v4, v2
	scratch_store_dwordx2 off, v[2:3], s16
	s_cbranch_scc1 .LBB2057_371
; %bb.372:
	scratch_load_dwordx4 v[2:5], off, off offset:16
.LBB2057_373:
	s_or_b64 exec, exec, s[14:15]
	s_waitcnt lgkmcnt(0)
	v_or_b32_e32 v7, v14, v7
	v_and_b32_e32 v7, 1, v7
	scratch_store_byte off, v7, off offset:52
	scratch_load_dword v7, off, off offset:52
	s_waitcnt vmcnt(2)
	scratch_store_dwordx4 off, v[2:5], off offset:36
.LBB2057_374:
	s_or_b64 exec, exec, s[10:11]
	v_cmp_gt_u32_e32 vcc, 62, v12
	v_add_u32_e32 v15, 2, v12
	s_nop 0
	v_cndmask_b32_e64 v10, 0, 1, vcc
	v_lshlrev_b32_e32 v10, 1, v10
	s_waitcnt lgkmcnt(0)
	v_add_lshl_u32 v14, v10, v22, 2
	ds_bpermute_b32 v18, v14, v2
	ds_bpermute_b32 v19, v14, v3
	ds_bpermute_b32 v20, v14, v4
	ds_bpermute_b32 v21, v14, v5
	s_waitcnt vmcnt(1)
	ds_bpermute_b32 v16, v14, v7
	v_cmp_le_u32_e32 vcc, v15, v24
	s_waitcnt lgkmcnt(1)
	scratch_store_dwordx4 off, v[18:21], off offset:80
	s_and_saveexec_b64 s[14:15], vcc
	s_cbranch_execz .LBB2057_382
; %bb.375:
	v_mov_b32_e32 v10, 0
	s_mov_b32 s3, 0
	v_cmp_eq_u16_sdwa s[16:17], v7, v10 src0_sel:BYTE_0 src1_sel:DWORD
	s_and_saveexec_b64 s[10:11], s[16:17]
	s_cbranch_execz .LBB2057_381
; %bb.376:
	v_mov_b32_e32 v11, v10
.LBB2057_377:                           ; =>This Inner Loop Header: Depth=1
	s_add_i32 s16, s3, 16
	s_add_i32 s3, s3, 8
	s_cmp_lg_u32 s3, 16
	scratch_store_dwordx2 off, v[10:11], s16
	s_cbranch_scc1 .LBB2057_377
; %bb.378:
	s_mov_b32 s3, 0
.LBB2057_379:                           ; =>This Inner Loop Header: Depth=1
	s_add_i32 s16, s3, 0x50
	s_add_i32 s17, s3, 36
	scratch_load_dwordx2 v[2:3], off, s16
	scratch_load_dwordx2 v[4:5], off, s17
	s_add_i32 s16, s3, 16
	s_add_i32 s3, s3, 8
	s_cmp_lg_u32 s3, 16
	s_waitcnt vmcnt(0)
	v_add_u32_e32 v3, v5, v3
	v_add_u32_e32 v2, v4, v2
	scratch_store_dwordx2 off, v[2:3], s16
	s_cbranch_scc1 .LBB2057_379
; %bb.380:
	scratch_load_dwordx4 v[2:5], off, off offset:16
.LBB2057_381:
	s_or_b64 exec, exec, s[10:11]
	v_and_b32_e32 v7, 1, v7
	v_cmp_eq_u32_e32 vcc, 1, v7
	s_waitcnt lgkmcnt(0)
	v_and_b32_e32 v7, 1, v16
	v_cmp_eq_u32_e64 s[10:11], 1, v7
	s_or_b64 s[10:11], vcc, s[10:11]
	s_waitcnt vmcnt(0)
	scratch_store_dwordx4 off, v[2:5], off offset:36
	v_cndmask_b32_e64 v7, 0, 1, s[10:11]
	scratch_store_byte off, v7, off offset:52
	scratch_load_dword v7, off, off offset:52
.LBB2057_382:
	s_or_b64 exec, exec, s[14:15]
	v_cmp_gt_u32_e32 vcc, 60, v12
	v_add_u32_e32 v17, 4, v12
	s_nop 0
	v_cndmask_b32_e64 v10, 0, 1, vcc
	v_lshlrev_b32_e32 v10, 2, v10
	s_waitcnt lgkmcnt(0)
	v_add_lshl_u32 v16, v10, v22, 2
	ds_bpermute_b32 v26, v16, v2
	ds_bpermute_b32 v27, v16, v3
	ds_bpermute_b32 v28, v16, v4
	ds_bpermute_b32 v29, v16, v5
	s_waitcnt vmcnt(0)
	ds_bpermute_b32 v18, v16, v7
	v_cmp_le_u32_e32 vcc, v17, v24
	s_waitcnt lgkmcnt(1)
	scratch_store_dwordx4 off, v[26:29], off offset:80
	s_and_saveexec_b64 s[14:15], vcc
	s_cbranch_execz .LBB2057_390
; %bb.383:
	v_mov_b32_e32 v10, 0
	s_mov_b32 s3, 0
	v_cmp_eq_u16_sdwa s[16:17], v7, v10 src0_sel:BYTE_0 src1_sel:DWORD
	s_and_saveexec_b64 s[10:11], s[16:17]
	s_cbranch_execz .LBB2057_389
; %bb.384:
	v_mov_b32_e32 v11, v10
.LBB2057_385:                           ; =>This Inner Loop Header: Depth=1
	s_add_i32 s16, s3, 16
	s_add_i32 s3, s3, 8
	s_cmp_lg_u32 s3, 16
	scratch_store_dwordx2 off, v[10:11], s16
	s_cbranch_scc1 .LBB2057_385
; %bb.386:
	s_mov_b32 s3, 0
.LBB2057_387:                           ; =>This Inner Loop Header: Depth=1
	s_add_i32 s16, s3, 0x50
	s_add_i32 s17, s3, 36
	scratch_load_dwordx2 v[2:3], off, s16
	scratch_load_dwordx2 v[4:5], off, s17
	s_add_i32 s16, s3, 16
	s_add_i32 s3, s3, 8
	s_cmp_lg_u32 s3, 16
	s_waitcnt vmcnt(0)
	v_add_u32_e32 v3, v5, v3
	v_add_u32_e32 v2, v4, v2
	scratch_store_dwordx2 off, v[2:3], s16
	s_cbranch_scc1 .LBB2057_387
; %bb.388:
	scratch_load_dwordx4 v[2:5], off, off offset:16
.LBB2057_389:
	s_or_b64 exec, exec, s[10:11]
	v_and_b32_e32 v7, 1, v7
	v_cmp_eq_u32_e32 vcc, 1, v7
	s_waitcnt lgkmcnt(0)
	v_and_b32_e32 v7, 1, v18
	v_cmp_eq_u32_e64 s[10:11], 1, v7
	s_or_b64 s[10:11], vcc, s[10:11]
	s_waitcnt vmcnt(0)
	scratch_store_dwordx4 off, v[2:5], off offset:36
	v_cndmask_b32_e64 v7, 0, 1, s[10:11]
	scratch_store_byte off, v7, off offset:52
	scratch_load_dword v7, off, off offset:52
.LBB2057_390:
	;; [unrolled: 64-line block ×4, first 2 shown]
	s_or_b64 exec, exec, s[14:15]
	v_cmp_gt_u32_e32 vcc, 32, v12
	s_waitcnt lgkmcnt(0)
	v_add_u32_e32 v23, 32, v12
	v_cndmask_b32_e64 v10, 0, 1, vcc
	v_lshlrev_b32_e32 v10, 5, v10
	v_add_lshl_u32 v22, v10, v22, 2
	ds_bpermute_b32 v26, v22, v2
	ds_bpermute_b32 v27, v22, v3
	;; [unrolled: 1-line block ×4, first 2 shown]
	s_waitcnt vmcnt(0)
	ds_bpermute_b32 v25, v22, v7
	v_cmp_le_u32_e32 vcc, v23, v24
	s_waitcnt lgkmcnt(1)
	scratch_store_dwordx4 off, v[26:29], off offset:80
	s_and_saveexec_b64 s[14:15], vcc
	s_cbranch_execz .LBB2057_414
; %bb.407:
	v_mov_b32_e32 v10, 0
	s_mov_b32 s3, 0
	v_cmp_eq_u16_sdwa s[16:17], v7, v10 src0_sel:BYTE_0 src1_sel:DWORD
	s_and_saveexec_b64 s[10:11], s[16:17]
	s_cbranch_execz .LBB2057_413
; %bb.408:
	v_mov_b32_e32 v11, v10
.LBB2057_409:                           ; =>This Inner Loop Header: Depth=1
	s_add_i32 s16, s3, 16
	s_add_i32 s3, s3, 8
	s_cmp_lg_u32 s3, 16
	scratch_store_dwordx2 off, v[10:11], s16
	s_cbranch_scc1 .LBB2057_409
; %bb.410:
	s_mov_b32 s3, 0
.LBB2057_411:                           ; =>This Inner Loop Header: Depth=1
	s_add_i32 s16, s3, 0x50
	s_add_i32 s17, s3, 36
	scratch_load_dwordx2 v[2:3], off, s16
	scratch_load_dwordx2 v[4:5], off, s17
	s_add_i32 s16, s3, 16
	s_add_i32 s3, s3, 8
	s_cmp_lg_u32 s3, 16
	s_waitcnt vmcnt(0)
	v_add_u32_e32 v3, v5, v3
	v_add_u32_e32 v2, v4, v2
	scratch_store_dwordx2 off, v[2:3], s16
	s_cbranch_scc1 .LBB2057_411
; %bb.412:
	scratch_load_dwordx4 v[2:5], off, off offset:16
.LBB2057_413:
	s_or_b64 exec, exec, s[10:11]
	v_and_b32_e32 v7, 1, v7
	v_cmp_eq_u32_e32 vcc, 1, v7
	s_waitcnt lgkmcnt(0)
	v_and_b32_e32 v7, 1, v25
	v_cmp_eq_u32_e64 s[10:11], 1, v7
	s_or_b64 s[10:11], vcc, s[10:11]
	s_nop 0
	v_cndmask_b32_e64 v7, 0, 1, s[10:11]
	s_waitcnt vmcnt(0)
	scratch_store_dwordx4 off, v[2:5], off offset:36
	scratch_store_byte off, v7, off offset:52
.LBB2057_414:
	s_or_b64 exec, exec, s[14:15]
	scratch_load_dwordx4 v[2:5], off, off offset:36
	scratch_load_dword v7, off, off offset:52
	v_mov_b32_e32 v10, 0
	v_mov_b32_e32 v24, 2
	s_waitcnt vmcnt(1)
	scratch_store_dwordx4 off, v[2:5], off offset:16
	s_waitcnt vmcnt(1)
	scratch_store_dword off, v7, off offset:32
	s_branch .LBB2057_416
.LBB2057_415:                           ;   in Loop: Header=BB2057_416 Depth=1
	s_or_b64 exec, exec, s[14:15]
	v_and_b32_e32 v7, 1, v7
	v_cmp_eq_u32_e32 vcc, 1, v7
	s_or_b64 s[10:11], vcc, s[10:11]
	v_subrev_u32_e32 v6, 64, v6
	v_cndmask_b32_e64 v7, 0, 1, s[10:11]
	s_waitcnt vmcnt(0)
	scratch_store_dwordx4 off, v[2:5], off offset:16
	scratch_store_byte off, v7, off offset:32
.LBB2057_416:                           ; =>This Loop Header: Depth=1
                                        ;     Child Loop BB2057_419 Depth 2
                                        ;       Child Loop BB2057_420 Depth 3
                                        ;     Child Loop BB2057_424 Depth 2
                                        ;     Child Loop BB2057_428 Depth 2
	;; [unrolled: 1-line block ×15, first 2 shown]
	v_cmp_ne_u16_sdwa s[10:11], v1, v24 src0_sel:BYTE_0 src1_sel:DWORD
	s_nop 1
	v_cndmask_b32_e64 v1, 0, 1, s[10:11]
	;;#ASMSTART
	;;#ASMEND
	s_nop 0
	v_cmp_ne_u32_e32 vcc, 0, v1
	s_cmp_lg_u64 vcc, exec
	s_cbranch_scc1 .LBB2057_481
; %bb.417:                              ;   in Loop: Header=BB2057_416 Depth=1
	global_load_ubyte v1, v6, s[56:57] sc1
	v_mov_b32_e32 v7, v10
	s_waitcnt vmcnt(0)
	v_cmp_eq_u16_e32 vcc, 0, v1
	s_and_saveexec_b64 s[10:11], vcc
	s_cbranch_execz .LBB2057_423
; %bb.418:                              ;   in Loop: Header=BB2057_416 Depth=1
	v_lshl_add_u64 v[2:3], s[56:57], 0, v[6:7]
	s_mov_b32 s3, 1
	s_mov_b64 s[14:15], 0
.LBB2057_419:                           ;   Parent Loop BB2057_416 Depth=1
                                        ; =>  This Loop Header: Depth=2
                                        ;       Child Loop BB2057_420 Depth 3
	s_max_u32 s16, s3, 1
.LBB2057_420:                           ;   Parent Loop BB2057_416 Depth=1
                                        ;     Parent Loop BB2057_419 Depth=2
                                        ; =>    This Inner Loop Header: Depth=3
	s_add_i32 s16, s16, -1
	s_cmp_eq_u32 s16, 0
	s_sleep 1
	s_cbranch_scc0 .LBB2057_420
; %bb.421:                              ;   in Loop: Header=BB2057_419 Depth=2
	global_load_ubyte v1, v[2:3], off sc1
	s_cmp_lt_u32 s3, 32
	s_cselect_b64 s[16:17], -1, 0
	s_cmp_lg_u64 s[16:17], 0
	s_addc_u32 s3, s3, 0
	s_waitcnt vmcnt(0)
	v_cmp_ne_u16_e32 vcc, 0, v1
	s_or_b64 s[14:15], vcc, s[14:15]
	s_andn2_b64 exec, exec, s[14:15]
	s_cbranch_execnz .LBB2057_419
; %bb.422:                              ;   in Loop: Header=BB2057_416 Depth=1
	s_or_b64 exec, exec, s[14:15]
.LBB2057_423:                           ;   in Loop: Header=BB2057_416 Depth=1
	s_or_b64 exec, exec, s[10:11]
	v_mov_b32_e32 v2, s55
	v_mov_b32_e32 v3, s53
	v_cmp_eq_u16_e32 vcc, 1, v1
	v_mov_b32_e32 v4, s52
	s_waitcnt vmcnt(0)
	v_cndmask_b32_e32 v3, v2, v3, vcc
	v_mov_b32_e32 v2, s54
	v_cndmask_b32_e32 v2, v2, v4, vcc
	s_waitcnt lgkmcnt(0)
	v_mad_u64_u32 v[26:27], s[10:11], v6, 20, v[2:3]
	s_waitcnt lgkmcnt(0)
	global_load_dword v2, v[26:27], off sc1
	global_load_dword v3, v[26:27], off offset:4 sc1
	global_load_dword v4, v[26:27], off offset:8 sc1
	;; [unrolled: 1-line block ×4, first 2 shown]
	s_mov_b32 s3, 0
	scratch_store_dword off, v10, off offset:96
	s_waitcnt vmcnt(2)
	scratch_store_dwordx4 off, v[2:5], off offset:36
	s_waitcnt vmcnt(2)
	scratch_store_byte off, v7, off offset:52
.LBB2057_424:                           ;   Parent Loop BB2057_416 Depth=1
                                        ; =>  This Inner Loop Header: Depth=2
	s_add_i32 s10, s3, 0x50
	s_add_i32 s3, s3, 8
	v_mov_b32_e32 v11, v10
	s_cmp_lg_u32 s3, 16
	scratch_store_dwordx2 off, v[10:11], s10
	s_cbranch_scc1 .LBB2057_424
; %bb.425:                              ;   in Loop: Header=BB2057_416 Depth=1
	scratch_load_dword v25, off, off offset:52
	v_cmp_eq_u16_e32 vcc, 2, v1
	ds_bpermute_b32 v28, v13, v2
	ds_bpermute_b32 v29, v13, v3
	v_and_b32_e32 v7, vcc_hi, v9
	v_or_b32_e32 v7, 0x80000000, v7
	ds_bpermute_b32 v30, v13, v4
	ds_bpermute_b32 v31, v13, v5
	v_and_b32_e32 v11, vcc_lo, v8
	v_ffbl_b32_e32 v7, v7
	v_add_u32_e32 v7, 32, v7
	v_ffbl_b32_e32 v11, v11
	v_min_u32_e32 v7, v11, v7
	v_cmp_lt_u32_e32 vcc, v12, v7
	s_waitcnt lgkmcnt(0)
	scratch_store_dwordx4 off, v[28:31], off offset:80
	s_waitcnt vmcnt(1)
	ds_bpermute_b32 v26, v13, v25
	s_and_saveexec_b64 s[10:11], vcc
	s_cbranch_execz .LBB2057_433
; %bb.426:                              ;   in Loop: Header=BB2057_416 Depth=1
	v_cmp_eq_u16_sdwa s[16:17], v25, v10 src0_sel:BYTE_0 src1_sel:DWORD
	s_and_saveexec_b64 s[14:15], s[16:17]
	s_cbranch_execz .LBB2057_432
; %bb.427:                              ;   in Loop: Header=BB2057_416 Depth=1
	s_mov_b32 s3, 0
.LBB2057_428:                           ;   Parent Loop BB2057_416 Depth=1
                                        ; =>  This Inner Loop Header: Depth=2
	s_add_i32 s16, s3, 0
	s_add_i32 s3, s3, 8
	v_mov_b32_e32 v11, v10
	s_cmp_lg_u32 s3, 16
	scratch_store_dwordx2 off, v[10:11], s16
	s_cbranch_scc1 .LBB2057_428
; %bb.429:                              ;   in Loop: Header=BB2057_416 Depth=1
	s_mov_b32 s3, 0
.LBB2057_430:                           ;   Parent Loop BB2057_416 Depth=1
                                        ; =>  This Inner Loop Header: Depth=2
	s_add_i32 s16, s3, 0x50
	s_add_i32 s17, s3, 36
	scratch_load_dwordx2 v[2:3], off, s16
	scratch_load_dwordx2 v[4:5], off, s17
	s_add_i32 s16, s3, 0
	s_add_i32 s3, s3, 8
	s_cmp_lg_u32 s3, 16
	s_waitcnt vmcnt(0)
	v_add_u32_e32 v3, v5, v3
	v_add_u32_e32 v2, v4, v2
	scratch_store_dwordx2 off, v[2:3], s16
	s_cbranch_scc1 .LBB2057_430
; %bb.431:                              ;   in Loop: Header=BB2057_416 Depth=1
	scratch_load_dwordx4 v[2:5], off, off
.LBB2057_432:                           ;   in Loop: Header=BB2057_416 Depth=1
	s_or_b64 exec, exec, s[14:15]
	s_waitcnt lgkmcnt(0)
	v_or_b32_e32 v11, v26, v25
	v_and_b32_e32 v11, 1, v11
	scratch_store_byte off, v11, off offset:52
	scratch_load_dword v25, off, off offset:52
	s_waitcnt vmcnt(2)
	scratch_store_dwordx4 off, v[2:5], off offset:36
.LBB2057_433:                           ;   in Loop: Header=BB2057_416 Depth=1
	s_or_b64 exec, exec, s[10:11]
	ds_bpermute_b32 v28, v14, v2
	ds_bpermute_b32 v29, v14, v3
	ds_bpermute_b32 v30, v14, v4
	ds_bpermute_b32 v31, v14, v5
	s_waitcnt vmcnt(1) lgkmcnt(4)
	ds_bpermute_b32 v26, v14, v25
	v_cmp_le_u32_e32 vcc, v15, v7
	s_waitcnt lgkmcnt(1)
	scratch_store_dwordx4 off, v[28:31], off offset:80
	s_and_saveexec_b64 s[14:15], vcc
	s_cbranch_execz .LBB2057_441
; %bb.434:                              ;   in Loop: Header=BB2057_416 Depth=1
	v_cmp_eq_u16_sdwa s[16:17], v25, v10 src0_sel:BYTE_0 src1_sel:DWORD
	s_and_saveexec_b64 s[10:11], s[16:17]
	s_cbranch_execz .LBB2057_440
; %bb.435:                              ;   in Loop: Header=BB2057_416 Depth=1
	s_mov_b32 s3, 0
.LBB2057_436:                           ;   Parent Loop BB2057_416 Depth=1
                                        ; =>  This Inner Loop Header: Depth=2
	s_add_i32 s16, s3, 0
	s_add_i32 s3, s3, 8
	v_mov_b32_e32 v11, v10
	s_cmp_lg_u32 s3, 16
	scratch_store_dwordx2 off, v[10:11], s16
	s_cbranch_scc1 .LBB2057_436
; %bb.437:                              ;   in Loop: Header=BB2057_416 Depth=1
	s_mov_b32 s3, 0
.LBB2057_438:                           ;   Parent Loop BB2057_416 Depth=1
                                        ; =>  This Inner Loop Header: Depth=2
	s_add_i32 s16, s3, 0x50
	s_add_i32 s17, s3, 36
	scratch_load_dwordx2 v[2:3], off, s16
	scratch_load_dwordx2 v[4:5], off, s17
	s_add_i32 s16, s3, 0
	s_add_i32 s3, s3, 8
	s_cmp_lg_u32 s3, 16
	s_waitcnt vmcnt(0)
	v_add_u32_e32 v3, v5, v3
	v_add_u32_e32 v2, v4, v2
	scratch_store_dwordx2 off, v[2:3], s16
	s_cbranch_scc1 .LBB2057_438
; %bb.439:                              ;   in Loop: Header=BB2057_416 Depth=1
	scratch_load_dwordx4 v[2:5], off, off
.LBB2057_440:                           ;   in Loop: Header=BB2057_416 Depth=1
	s_or_b64 exec, exec, s[10:11]
	v_and_b32_e32 v11, 1, v25
	v_cmp_eq_u32_e32 vcc, 1, v11
	s_waitcnt lgkmcnt(0)
	v_and_b32_e32 v11, 1, v26
	v_cmp_eq_u32_e64 s[10:11], 1, v11
	s_or_b64 s[10:11], vcc, s[10:11]
	s_waitcnt vmcnt(0)
	scratch_store_dwordx4 off, v[2:5], off offset:36
	v_cndmask_b32_e64 v11, 0, 1, s[10:11]
	scratch_store_byte off, v11, off offset:52
	scratch_load_dword v25, off, off offset:52
.LBB2057_441:                           ;   in Loop: Header=BB2057_416 Depth=1
	s_or_b64 exec, exec, s[14:15]
	ds_bpermute_b32 v28, v16, v2
	ds_bpermute_b32 v29, v16, v3
	ds_bpermute_b32 v30, v16, v4
	ds_bpermute_b32 v31, v16, v5
	s_waitcnt vmcnt(0) lgkmcnt(4)
	ds_bpermute_b32 v26, v16, v25
	v_cmp_le_u32_e32 vcc, v17, v7
	s_waitcnt lgkmcnt(1)
	scratch_store_dwordx4 off, v[28:31], off offset:80
	s_and_saveexec_b64 s[14:15], vcc
	s_cbranch_execz .LBB2057_449
; %bb.442:                              ;   in Loop: Header=BB2057_416 Depth=1
	v_cmp_eq_u16_sdwa s[16:17], v25, v10 src0_sel:BYTE_0 src1_sel:DWORD
	s_and_saveexec_b64 s[10:11], s[16:17]
	s_cbranch_execz .LBB2057_448
; %bb.443:                              ;   in Loop: Header=BB2057_416 Depth=1
	s_mov_b32 s3, 0
.LBB2057_444:                           ;   Parent Loop BB2057_416 Depth=1
                                        ; =>  This Inner Loop Header: Depth=2
	s_add_i32 s16, s3, 0
	s_add_i32 s3, s3, 8
	v_mov_b32_e32 v11, v10
	s_cmp_lg_u32 s3, 16
	scratch_store_dwordx2 off, v[10:11], s16
	s_cbranch_scc1 .LBB2057_444
; %bb.445:                              ;   in Loop: Header=BB2057_416 Depth=1
	s_mov_b32 s3, 0
.LBB2057_446:                           ;   Parent Loop BB2057_416 Depth=1
                                        ; =>  This Inner Loop Header: Depth=2
	s_add_i32 s16, s3, 0x50
	s_add_i32 s17, s3, 36
	scratch_load_dwordx2 v[2:3], off, s16
	scratch_load_dwordx2 v[4:5], off, s17
	s_add_i32 s16, s3, 0
	s_add_i32 s3, s3, 8
	s_cmp_lg_u32 s3, 16
	s_waitcnt vmcnt(0)
	v_add_u32_e32 v3, v5, v3
	v_add_u32_e32 v2, v4, v2
	scratch_store_dwordx2 off, v[2:3], s16
	s_cbranch_scc1 .LBB2057_446
; %bb.447:                              ;   in Loop: Header=BB2057_416 Depth=1
	scratch_load_dwordx4 v[2:5], off, off
.LBB2057_448:                           ;   in Loop: Header=BB2057_416 Depth=1
	s_or_b64 exec, exec, s[10:11]
	v_and_b32_e32 v11, 1, v25
	v_cmp_eq_u32_e32 vcc, 1, v11
	s_waitcnt lgkmcnt(0)
	v_and_b32_e32 v11, 1, v26
	v_cmp_eq_u32_e64 s[10:11], 1, v11
	s_or_b64 s[10:11], vcc, s[10:11]
	s_waitcnt vmcnt(0)
	scratch_store_dwordx4 off, v[2:5], off offset:36
	v_cndmask_b32_e64 v11, 0, 1, s[10:11]
	scratch_store_byte off, v11, off offset:52
	scratch_load_dword v25, off, off offset:52
.LBB2057_449:                           ;   in Loop: Header=BB2057_416 Depth=1
	;; [unrolled: 58-line block ×4, first 2 shown]
	s_or_b64 exec, exec, s[14:15]
	ds_bpermute_b32 v28, v22, v2
	ds_bpermute_b32 v29, v22, v3
	;; [unrolled: 1-line block ×4, first 2 shown]
	s_waitcnt vmcnt(0) lgkmcnt(4)
	ds_bpermute_b32 v26, v22, v25
	v_cmp_le_u32_e32 vcc, v23, v7
	v_and_b32_e32 v7, 1, v25
	v_cmp_eq_u32_e64 s[10:11], 1, v7
	s_waitcnt lgkmcnt(1)
	scratch_store_dwordx4 off, v[28:31], off offset:80
	s_and_saveexec_b64 s[14:15], vcc
	s_cbranch_execz .LBB2057_473
; %bb.466:                              ;   in Loop: Header=BB2057_416 Depth=1
	v_cmp_eq_u16_sdwa s[18:19], v25, v10 src0_sel:BYTE_0 src1_sel:DWORD
	s_and_saveexec_b64 s[16:17], s[18:19]
	s_cbranch_execz .LBB2057_472
; %bb.467:                              ;   in Loop: Header=BB2057_416 Depth=1
	s_mov_b32 s3, 0
.LBB2057_468:                           ;   Parent Loop BB2057_416 Depth=1
                                        ; =>  This Inner Loop Header: Depth=2
	s_add_i32 s18, s3, 0
	s_add_i32 s3, s3, 8
	v_mov_b32_e32 v11, v10
	s_cmp_lg_u32 s3, 16
	scratch_store_dwordx2 off, v[10:11], s18
	s_cbranch_scc1 .LBB2057_468
; %bb.469:                              ;   in Loop: Header=BB2057_416 Depth=1
	s_mov_b32 s3, 0
.LBB2057_470:                           ;   Parent Loop BB2057_416 Depth=1
                                        ; =>  This Inner Loop Header: Depth=2
	s_add_i32 s18, s3, 0x50
	s_add_i32 s19, s3, 36
	scratch_load_dwordx2 v[2:3], off, s18
	scratch_load_dwordx2 v[4:5], off, s19
	s_add_i32 s18, s3, 0
	s_add_i32 s3, s3, 8
	s_cmp_lg_u32 s3, 16
	s_waitcnt vmcnt(0)
	v_add_u32_e32 v3, v5, v3
	v_add_u32_e32 v2, v4, v2
	scratch_store_dwordx2 off, v[2:3], s18
	s_cbranch_scc1 .LBB2057_470
; %bb.471:                              ;   in Loop: Header=BB2057_416 Depth=1
	scratch_load_dwordx4 v[2:5], off, off
.LBB2057_472:                           ;   in Loop: Header=BB2057_416 Depth=1
	s_or_b64 exec, exec, s[16:17]
	s_waitcnt lgkmcnt(0)
	v_and_b32_e32 v7, 1, v26
	v_cmp_eq_u32_e32 vcc, 1, v7
	s_or_b64 s[16:17], s[10:11], vcc
	v_cndmask_b32_e64 v7, 0, 1, s[16:17]
	s_andn2_b64 s[10:11], s[10:11], exec
	s_and_b64 s[16:17], s[16:17], exec
	s_or_b64 s[10:11], s[10:11], s[16:17]
	s_waitcnt vmcnt(0)
	scratch_store_dwordx4 off, v[2:5], off offset:36
	scratch_store_byte off, v7, off offset:52
.LBB2057_473:                           ;   in Loop: Header=BB2057_416 Depth=1
	s_or_b64 exec, exec, s[14:15]
	scratch_load_ubyte v7, off, off offset:32
                                        ; implicit-def: $vgpr4_vgpr5
	s_waitcnt vmcnt(0)
	v_cmp_ne_u16_e32 vcc, 0, v7
	s_and_saveexec_b64 s[14:15], vcc
	s_xor_b64 s[14:15], exec, s[14:15]
	s_cbranch_execz .LBB2057_475
; %bb.474:                              ;   in Loop: Header=BB2057_416 Depth=1
	scratch_load_dwordx4 v[2:5], off, off offset:16
.LBB2057_475:                           ;   in Loop: Header=BB2057_416 Depth=1
	s_andn2_saveexec_b64 s[14:15], s[14:15]
	s_cbranch_execz .LBB2057_415
; %bb.476:                              ;   in Loop: Header=BB2057_416 Depth=1
	s_mov_b32 s3, 0
.LBB2057_477:                           ;   Parent Loop BB2057_416 Depth=1
                                        ; =>  This Inner Loop Header: Depth=2
	s_add_i32 s16, s3, 0x50
	s_add_i32 s3, s3, 8
	v_mov_b32_e32 v11, v10
	s_cmp_lg_u32 s3, 16
	scratch_store_dwordx2 off, v[10:11], s16
	s_cbranch_scc1 .LBB2057_477
; %bb.478:                              ;   in Loop: Header=BB2057_416 Depth=1
	s_mov_b32 s3, 0
.LBB2057_479:                           ;   Parent Loop BB2057_416 Depth=1
                                        ; =>  This Inner Loop Header: Depth=2
	s_add_i32 s16, s3, 36
	s_add_i32 s17, s3, 16
	scratch_load_dwordx2 v[2:3], off, s16
	scratch_load_dwordx2 v[4:5], off, s17
	s_add_i32 s16, s3, 0x50
	s_add_i32 s3, s3, 8
	s_cmp_lg_u32 s3, 16
	s_waitcnt vmcnt(0)
	v_add_u32_e32 v3, v5, v3
	v_add_u32_e32 v2, v4, v2
	scratch_store_dwordx2 off, v[2:3], s16
	s_cbranch_scc1 .LBB2057_479
; %bb.480:                              ;   in Loop: Header=BB2057_416 Depth=1
	scratch_load_dwordx4 v[2:5], off, off offset:80
	s_branch .LBB2057_415
.LBB2057_481:                           ;   in Loop: Header=BB2057_416 Depth=1
                                        ; implicit-def: $vgpr6
                                        ; implicit-def: $vgpr1
	s_cbranch_execz .LBB2057_416
; %bb.482:
	scratch_load_dwordx4 v[2:5], off, off offset:16
	scratch_load_dword v1, off, off offset:32
	s_waitcnt vmcnt(1)
	scratch_store_dwordx4 off, v[2:5], off offset:80
	s_waitcnt vmcnt(1)
	scratch_store_dword off, v1, off offset:96
	s_and_saveexec_b64 s[10:11], s[6:7]
	s_cbranch_execz .LBB2057_492
; %bb.483:
	scratch_load_ubyte v12, off, off offset:72
                                        ; implicit-def: $vgpr10_vgpr11
                                        ; implicit-def: $vgpr9
	s_waitcnt vmcnt(0)
	v_cmp_ne_u16_e32 vcc, 0, v12
	s_and_saveexec_b64 s[6:7], vcc
	s_xor_b64 s[6:7], exec, s[6:7]
	s_cbranch_execz .LBB2057_485
; %bb.484:
	scratch_load_dwordx4 v[6:9], off, off offset:56
	s_waitcnt vmcnt(0)
	v_mov_b32_e32 v10, v7
	v_mov_b32_e32 v11, v8
.LBB2057_485:
	s_andn2_saveexec_b64 s[6:7], s[6:7]
	s_cbranch_execz .LBB2057_491
; %bb.486:
	v_mov_b32_e32 v6, 0
	s_mov_b32 s3, 0
	v_mov_b32_e32 v7, v6
.LBB2057_487:                           ; =>This Inner Loop Header: Depth=1
	s_add_i32 s14, s3, 16
	s_add_i32 s3, s3, 8
	s_cmp_lg_u32 s3, 16
	scratch_store_dwordx2 off, v[6:7], s14
	s_cbranch_scc1 .LBB2057_487
; %bb.488:
	s_mov_b32 s3, 0
.LBB2057_489:                           ; =>This Inner Loop Header: Depth=1
	s_add_i32 s14, s3, 0x50
	s_add_i32 s15, s3, 56
	scratch_load_dwordx2 v[6:7], off, s14
	scratch_load_dwordx2 v[8:9], off, s15
	s_add_i32 s14, s3, 16
	s_add_i32 s3, s3, 8
	s_cmp_lg_u32 s3, 16
	s_waitcnt vmcnt(0)
	v_add_u32_e32 v7, v9, v7
	v_add_u32_e32 v6, v8, v6
	scratch_store_dwordx2 off, v[6:7], s14
	s_cbranch_scc1 .LBB2057_489
; %bb.490:
	scratch_load_dwordx4 v[6:9], off, off offset:16
	s_waitcnt vmcnt(0)
	v_mov_b32_e32 v10, v7
	v_mov_b32_e32 v11, v8
.LBB2057_491:
	s_or_b64 exec, exec, s[6:7]
	s_add_i32 s6, s2, 64
	v_and_b32_e32 v7, 1, v12
	s_mul_i32 s2, s6, 20
	v_and_b32_e32 v8, 1, v1
	v_cmp_eq_u32_e32 vcc, 1, v7
	s_mul_hi_u32 s3, s6, 20
	s_add_u32 s2, s54, s2
	v_cndmask_b32_e64 v7, v8, 1, vcc
	s_addc_u32 s3, s55, s3
	v_mov_b32_e32 v8, 0
	global_store_dword v8, v6, s[2:3] sc1
	global_store_dword v8, v10, s[2:3] offset:4 sc1
	global_store_dword v8, v11, s[2:3] offset:8 sc1
	;; [unrolled: 1-line block ×4, first 2 shown]
	v_mov_b32_e32 v6, s6
	v_mov_b32_e32 v7, 2
	s_waitcnt vmcnt(0) lgkmcnt(0)
	global_store_byte v6, v7, s[56:57] sc1
.LBB2057_492:
	s_or_b64 exec, exec, s[10:11]
	s_and_b64 exec, exec, s[4:5]
	s_cbranch_execz .LBB2057_494
; %bb.493:
	v_mov_b32_e32 v6, 0
	ds_write_b128 v6, v[2:5]
	ds_write_b8 v6, v1 offset:16
.LBB2057_494:
	s_or_b64 exec, exec, s[12:13]
	s_waitcnt lgkmcnt(0)
	s_barrier
	scratch_load_ubyte v1, off, off offset:496
	v_mov_b32_e32 v2, 0
	ds_read_b128 v[8:11], v2
	ds_read_b32 v6, v2 offset:16
	s_waitcnt lgkmcnt(1)
	scratch_store_dwordx4 off, v[8:11], off offset:80
	s_waitcnt lgkmcnt(0)
	scratch_store_dword off, v6, off offset:96
	s_and_saveexec_b64 s[2:3], s[8:9]
	s_cbranch_execz .LBB2057_504
; %bb.495:
	s_waitcnt vmcnt(2)
	v_cmp_ne_u16_sdwa s[4:5], v1, v2 src0_sel:BYTE_0 src1_sel:DWORD
                                        ; implicit-def: $vgpr4_vgpr5
	s_and_saveexec_b64 s[6:7], s[4:5]
	s_xor_b64 s[4:5], exec, s[6:7]
	s_cbranch_execz .LBB2057_497
; %bb.496:
	scratch_load_dwordx4 v[2:5], off, off offset:480
.LBB2057_497:
	s_andn2_saveexec_b64 s[4:5], s[4:5]
	s_cbranch_execz .LBB2057_503
; %bb.498:
	s_waitcnt vmcnt(0)
	v_mov_b32_e32 v2, 0
	s_mov_b32 s6, 0
	v_mov_b32_e32 v3, v2
.LBB2057_499:                           ; =>This Inner Loop Header: Depth=1
	s_add_i32 s7, s6, 16
	s_add_i32 s6, s6, 8
	s_cmp_lg_u32 s6, 16
	scratch_store_dwordx2 off, v[2:3], s7
	s_cbranch_scc1 .LBB2057_499
; %bb.500:
	s_mov_b32 s6, 0
.LBB2057_501:                           ; =>This Inner Loop Header: Depth=1
	s_add_i32 s7, s6, 0x1c0
	s_add_i32 s8, s6, 0x1e0
	scratch_load_dwordx2 v[2:3], off, s7
	scratch_load_dwordx2 v[4:5], off, s8
	s_add_i32 s7, s6, 16
	s_add_i32 s6, s6, 8
	s_cmp_lg_u32 s6, 16
	s_waitcnt vmcnt(0)
	v_add_u32_e32 v3, v5, v3
	v_add_u32_e32 v2, v4, v2
	scratch_store_dwordx2 off, v[2:3], s7
	s_cbranch_scc1 .LBB2057_501
; %bb.502:
	scratch_load_dwordx4 v[2:5], off, off offset:16
.LBB2057_503:
	s_or_b64 exec, exec, s[4:5]
	scratch_load_ubyte v7, off, off offset:464
	s_waitcnt vmcnt(0)
	v_or_b32_e32 v1, v1, v7
	v_and_b32_e32 v1, 1, v1
	scratch_store_dwordx4 off, v[2:5], off offset:480
.LBB2057_504:
	s_or_b64 exec, exec, s[2:3]
	s_nop 0
	v_mov_b32_e32 v2, 0
	s_waitcnt vmcnt(2)
	v_cmp_ne_u16_sdwa s[2:3], v1, v2 src0_sel:BYTE_0 src1_sel:DWORD
                                        ; implicit-def: $vgpr4_vgpr5
	s_and_saveexec_b64 s[4:5], s[2:3]
	s_xor_b64 s[2:3], exec, s[4:5]
	s_cbranch_execz .LBB2057_506
; %bb.505:
	scratch_load_dwordx4 v[2:5], off, off offset:480
.LBB2057_506:
	s_andn2_saveexec_b64 s[2:3], s[2:3]
	s_cbranch_execz .LBB2057_512
; %bb.507:
	s_waitcnt vmcnt(0)
	v_mov_b32_e32 v2, 0
	s_mov_b32 s4, 0
	v_mov_b32_e32 v3, v2
.LBB2057_508:                           ; =>This Inner Loop Header: Depth=1
	s_add_i32 s5, s4, 16
	s_add_i32 s4, s4, 8
	s_cmp_lg_u32 s4, 16
	scratch_store_dwordx2 off, v[2:3], s5
	s_cbranch_scc1 .LBB2057_508
; %bb.509:
	s_mov_b32 s4, 0
.LBB2057_510:                           ; =>This Inner Loop Header: Depth=1
	s_add_i32 s5, s4, 0x50
	s_add_i32 s6, s4, 0x1e0
	scratch_load_dwordx2 v[2:3], off, s5
	scratch_load_dwordx2 v[4:5], off, s6
	s_add_i32 s5, s4, 16
	s_add_i32 s4, s4, 8
	s_cmp_lg_u32 s4, 16
	s_waitcnt vmcnt(0)
	v_add_u32_e32 v3, v5, v3
	v_add_u32_e32 v2, v4, v2
	scratch_store_dwordx2 off, v[2:3], s5
	s_cbranch_scc1 .LBB2057_510
; %bb.511:
	scratch_load_dwordx4 v[2:5], off, off offset:16
.LBB2057_512:
	s_or_b64 exec, exec, s[2:3]
	scratch_load_ubyte v7, off, off offset:516
	v_or_b32_e32 v1, v1, v6
	v_and_b32_e32 v1, 1, v1
	v_cmp_eq_u32_e32 vcc, 1, v1
	s_waitcnt vmcnt(1)
	scratch_store_dwordx4 off, v[2:5], off offset:480
	scratch_store_byte off, v1, off offset:496
                                        ; implicit-def: $vgpr4_vgpr5
	s_waitcnt vmcnt(2)
	v_cmp_ne_u16_e64 s[2:3], 0, v7
	s_and_saveexec_b64 s[4:5], s[2:3]
	s_xor_b64 s[2:3], exec, s[4:5]
	s_cbranch_execz .LBB2057_514
; %bb.513:
	scratch_load_dwordx4 v[2:5], off, off offset:500
.LBB2057_514:
	s_andn2_saveexec_b64 s[2:3], s[2:3]
	s_cbranch_execz .LBB2057_520
; %bb.515:
	s_waitcnt vmcnt(0)
	v_mov_b32_e32 v2, 0
	s_mov_b32 s4, 0
	v_mov_b32_e32 v3, v2
.LBB2057_516:                           ; =>This Inner Loop Header: Depth=1
	s_add_i32 s5, s4, 16
	s_add_i32 s4, s4, 8
	s_cmp_lg_u32 s4, 16
	scratch_store_dwordx2 off, v[2:3], s5
	s_cbranch_scc1 .LBB2057_516
; %bb.517:
	s_mov_b32 s4, 0
	v_mov_b32_e32 v1, 0x1e0
.LBB2057_518:                           ; =>This Inner Loop Header: Depth=1
	v_add_u32_e32 v2, s4, v1
	s_add_i32 s5, s4, 0x1e0
	v_add_u32_e32 v6, 20, v2
	scratch_load_dwordx2 v[2:3], off, s5
	scratch_load_dwordx2 v[4:5], v6, off
	s_add_i32 s5, s4, 16
	s_add_i32 s4, s4, 8
	s_cmp_lg_u32 s4, 16
	s_waitcnt vmcnt(0)
	v_add_u32_e32 v3, v5, v3
	v_add_u32_e32 v2, v4, v2
	scratch_store_dwordx2 off, v[2:3], s5
	s_cbranch_scc1 .LBB2057_518
; %bb.519:
	scratch_load_dwordx4 v[2:5], off, off offset:16
.LBB2057_520:
	s_or_b64 exec, exec, s[2:3]
	scratch_load_ubyte v1, off, off offset:536
	v_and_b32_e32 v6, 1, v7
	v_cmp_eq_u32_e64 s[2:3], 1, v6
	s_or_b64 s[2:3], s[2:3], vcc
	s_waitcnt vmcnt(0)
	v_cmp_ne_u16_e32 vcc, 0, v1
	v_cndmask_b32_e64 v6, 0, 1, s[2:3]
	scratch_store_dwordx4 off, v[2:5], off offset:500
	scratch_store_byte off, v6, off offset:516
                                        ; implicit-def: $vgpr4_vgpr5
	s_and_saveexec_b64 s[4:5], vcc
	s_xor_b64 s[4:5], exec, s[4:5]
	s_cbranch_execz .LBB2057_522
; %bb.521:
	scratch_load_dwordx4 v[2:5], off, off offset:520
.LBB2057_522:
	s_andn2_saveexec_b64 s[4:5], s[4:5]
	s_cbranch_execz .LBB2057_528
; %bb.523:
	s_waitcnt vmcnt(0)
	v_mov_b32_e32 v2, 0
	s_mov_b32 s6, 0
	v_mov_b32_e32 v3, v2
.LBB2057_524:                           ; =>This Inner Loop Header: Depth=1
	s_add_i32 s7, s6, 16
	s_add_i32 s6, s6, 8
	s_cmp_lg_u32 s6, 16
	scratch_store_dwordx2 off, v[2:3], s7
	s_cbranch_scc1 .LBB2057_524
; %bb.525:
	s_mov_b32 s6, 0
	v_mov_b32_e32 v2, 0x1e0
.LBB2057_526:                           ; =>This Inner Loop Header: Depth=1
	v_add_u32_e32 v3, s6, v2
	v_add_u32_e32 v8, 20, v3
	v_add_u32_e32 v3, 40, v3
	scratch_load_dwordx2 v[4:5], v8, off
	scratch_load_dwordx2 v[6:7], v3, off
	s_add_i32 s7, s6, 16
	s_add_i32 s6, s6, 8
	s_cmp_lg_u32 s6, 16
	s_waitcnt vmcnt(0)
	v_add_u32_e32 v5, v7, v5
	v_add_u32_e32 v4, v6, v4
	scratch_store_dwordx2 off, v[4:5], s7
	s_cbranch_scc1 .LBB2057_526
; %bb.527:
	scratch_load_dwordx4 v[2:5], off, off offset:16
.LBB2057_528:
	s_or_b64 exec, exec, s[4:5]
	scratch_load_ubyte v6, off, off offset:556
	v_and_b32_e32 v1, 1, v1
	v_cmp_eq_u32_e32 vcc, 1, v1
	s_or_b64 s[2:3], vcc, s[2:3]
	v_cndmask_b32_e64 v1, 0, 1, s[2:3]
	s_waitcnt vmcnt(1)
	scratch_store_dwordx4 off, v[2:5], off offset:520
	scratch_store_byte off, v1, off offset:536
                                        ; implicit-def: $vgpr4_vgpr5
	s_waitcnt vmcnt(2)
	v_cmp_ne_u16_e32 vcc, 0, v6
	s_and_saveexec_b64 s[4:5], vcc
	s_xor_b64 s[4:5], exec, s[4:5]
	s_cbranch_execz .LBB2057_530
; %bb.529:
	scratch_load_dwordx4 v[2:5], off, off offset:540
.LBB2057_530:
	s_andn2_saveexec_b64 s[4:5], s[4:5]
	s_cbranch_execz .LBB2057_536
; %bb.531:
	s_waitcnt vmcnt(0)
	v_mov_b32_e32 v2, 0
	s_mov_b32 s6, 0
	v_mov_b32_e32 v3, v2
.LBB2057_532:                           ; =>This Inner Loop Header: Depth=1
	s_add_i32 s7, s6, 16
	s_add_i32 s6, s6, 8
	s_cmp_lg_u32 s6, 16
	scratch_store_dwordx2 off, v[2:3], s7
	s_cbranch_scc1 .LBB2057_532
; %bb.533:
	s_mov_b32 s6, 0
	v_mov_b32_e32 v1, 0x1e0
.LBB2057_534:                           ; =>This Inner Loop Header: Depth=1
	v_add_u32_e32 v2, s6, v1
	v_add_u32_e32 v7, 40, v2
	v_add_u32_e32 v8, 60, v2
	scratch_load_dwordx2 v[2:3], v7, off
	scratch_load_dwordx2 v[4:5], v8, off
	s_add_i32 s7, s6, 16
	s_add_i32 s6, s6, 8
	s_cmp_lg_u32 s6, 16
	s_waitcnt vmcnt(0)
	v_add_u32_e32 v3, v5, v3
	v_add_u32_e32 v2, v4, v2
	scratch_store_dwordx2 off, v[2:3], s7
	s_cbranch_scc1 .LBB2057_534
; %bb.535:
	scratch_load_dwordx4 v[2:5], off, off offset:16
.LBB2057_536:
	s_or_b64 exec, exec, s[4:5]
	scratch_load_ubyte v1, off, off offset:576
	v_and_b32_e32 v6, 1, v6
	v_cmp_eq_u32_e32 vcc, 1, v6
	s_or_b64 s[2:3], vcc, s[2:3]
	v_cndmask_b32_e64 v6, 0, 1, s[2:3]
	s_waitcnt vmcnt(1)
	scratch_store_dwordx4 off, v[2:5], off offset:540
	scratch_store_byte off, v6, off offset:556
                                        ; implicit-def: $vgpr4_vgpr5
	s_waitcnt vmcnt(2)
	v_cmp_ne_u16_e32 vcc, 0, v1
	;; [unrolled: 51-line block ×20, first 2 shown]
	s_and_saveexec_b64 s[4:5], vcc
	s_xor_b64 s[4:5], exec, s[4:5]
	s_cbranch_execz .LBB2057_682
; %bb.681:
	scratch_load_dwordx4 v[2:5], off, off offset:920
.LBB2057_682:
	s_andn2_saveexec_b64 s[4:5], s[4:5]
	s_cbranch_execz .LBB2057_688
; %bb.683:
	s_waitcnt vmcnt(0)
	v_mov_b32_e32 v2, 0
	s_mov_b32 s6, 0
	v_mov_b32_e32 v3, v2
.LBB2057_684:                           ; =>This Inner Loop Header: Depth=1
	s_add_i32 s7, s6, 16
	s_add_i32 s6, s6, 8
	s_cmp_lg_u32 s6, 16
	scratch_store_dwordx2 off, v[2:3], s7
	s_cbranch_scc1 .LBB2057_684
; %bb.685:
	s_mov_b32 s6, 0
	v_mov_b32_e32 v2, 0x1e0
.LBB2057_686:                           ; =>This Inner Loop Header: Depth=1
	v_add_u32_e32 v3, s6, v2
	v_add_u32_e32 v8, 0x1a4, v3
	;; [unrolled: 1-line block ×3, first 2 shown]
	scratch_load_dwordx2 v[4:5], v8, off
	scratch_load_dwordx2 v[6:7], v3, off
	s_add_i32 s7, s6, 16
	s_add_i32 s6, s6, 8
	s_cmp_lg_u32 s6, 16
	s_waitcnt vmcnt(0)
	v_add_u32_e32 v5, v7, v5
	v_add_u32_e32 v4, v6, v4
	scratch_store_dwordx2 off, v[4:5], s7
	s_cbranch_scc1 .LBB2057_686
; %bb.687:
	scratch_load_dwordx4 v[2:5], off, off offset:16
.LBB2057_688:
	s_or_b64 exec, exec, s[4:5]
	v_and_b32_e32 v1, 1, v1
	v_cmp_eq_u32_e32 vcc, 1, v1
	s_or_b64 s[2:3], vcc, s[2:3]
	v_cndmask_b32_e64 v1, 0, 1, s[2:3]
	s_waitcnt vmcnt(0)
	scratch_store_dwordx4 off, v[2:5], off offset:920
	scratch_store_byte off, v1, off offset:936
	s_branch .LBB2057_1278
.LBB2057_689:
	v_mov_b64_e32 v[2:3], s[64:65]
	flat_load_dword v2, v[2:3]
	v_readlane_b32 s3, v200, 10
	s_add_i32 s3, s3, s58
	s_waitcnt vmcnt(0) lgkmcnt(0)
	v_mov_b32_e32 v3, v2
	v_cmp_gt_u32_e64 s[50:51], s3, v0
	s_and_saveexec_b64 s[4:5], s[50:51]
	s_cbranch_execz .LBB2057_691
; %bb.690:
	v_lshlrev_b32_e32 v4, 2, v0
	v_mov_b32_e32 v5, 0
	v_lshl_add_u64 v[4:5], s[64:65], 0, v[4:5]
	flat_load_dword v3, v[4:5]
.LBB2057_691:
	s_or_b64 exec, exec, s[4:5]
	v_or_b32_e32 v4, 0x80, v0
	v_cmp_gt_u32_e64 s[4:5], s3, v4
	v_mov_b32_e32 v4, v2
	s_and_saveexec_b64 s[6:7], s[4:5]
	s_cbranch_execz .LBB2057_693
; %bb.692:
	v_lshlrev_b32_e32 v4, 2, v0
	v_mov_b32_e32 v5, 0
	v_lshl_add_u64 v[4:5], s[64:65], 0, v[4:5]
	flat_load_dword v4, v[4:5] offset:512
.LBB2057_693:
	s_or_b64 exec, exec, s[6:7]
	v_or_b32_e32 v48, 0x100, v0
	v_cmp_gt_u32_e64 s[6:7], s3, v48
	v_mov_b32_e32 v5, v2
	s_and_saveexec_b64 s[8:9], s[6:7]
	s_cbranch_execz .LBB2057_695
; %bb.694:
	v_lshlrev_b32_e32 v6, 2, v0
	v_mov_b32_e32 v7, 0
	v_lshl_add_u64 v[6:7], s[64:65], 0, v[6:7]
	flat_load_dword v5, v[6:7] offset:1024
.LBB2057_695:
	;; [unrolled: 12-line block ×7, first 2 shown]
	s_or_b64 exec, exec, s[18:19]
	v_or_b32_e32 v55, 0x400, v0
	v_cmp_gt_u32_e64 s[18:19], s3, v55
	v_mov_b32_e32 v11, v2
	s_and_saveexec_b64 s[20:21], s[18:19]
	s_cbranch_execz .LBB2057_707
; %bb.706:
	v_lshlrev_b32_e32 v12, 2, v55
	v_mov_b32_e32 v13, 0
	v_lshl_add_u64 v[12:13], s[64:65], 0, v[12:13]
	flat_load_dword v11, v[12:13]
.LBB2057_707:
	s_or_b64 exec, exec, s[20:21]
	v_or_b32_e32 v56, 0x480, v0
	v_cmp_gt_u32_e64 s[20:21], s3, v56
	v_mov_b32_e32 v12, v2
	s_and_saveexec_b64 s[22:23], s[20:21]
	s_cbranch_execz .LBB2057_709
; %bb.708:
	v_lshlrev_b32_e32 v12, 2, v56
	v_mov_b32_e32 v13, 0
	v_lshl_add_u64 v[12:13], s[64:65], 0, v[12:13]
	flat_load_dword v12, v[12:13]
.LBB2057_709:
	;; [unrolled: 12-line block ×14, first 2 shown]
	s_or_b64 exec, exec, s[48:49]
	v_or_b32_e32 v69, 0xb00, v0
	v_cmp_gt_u32_e64 s[48:49], s3, v69
	s_and_saveexec_b64 s[68:69], s[48:49]
	s_cbranch_execz .LBB2057_735
; %bb.734:
	v_lshlrev_b32_e32 v70, 2, v69
	v_mov_b32_e32 v71, 0
	v_lshl_add_u64 v[70:71], s[64:65], 0, v[70:71]
	flat_load_dword v2, v[70:71]
.LBB2057_735:
	s_or_b64 exec, exec, s[68:69]
	v_lshlrev_b32_e32 v25, 2, v0
	s_movk_i32 s68, 0x58
	s_waitcnt vmcnt(0) lgkmcnt(0)
	ds_write2st64_b32 v25, v3, v4 offset1:2
	ds_write2st64_b32 v25, v5, v6 offset0:4 offset1:6
	ds_write2st64_b32 v25, v7, v8 offset0:8 offset1:10
	;; [unrolled: 1-line block ×10, first 2 shown]
	ds_write_b32 v25, v2 offset:11264
	v_mad_u32_u24 v24, v0, s68, v25
	s_waitcnt lgkmcnt(0)
	s_barrier
	ds_read2_b32 v[22:23], v24 offset1:1
	ds_read2_b32 v[20:21], v24 offset0:2 offset1:3
	ds_read2_b32 v[18:19], v24 offset0:4 offset1:5
	;; [unrolled: 1-line block ×10, first 2 shown]
	ds_read_b32 v47, v24 offset:88
	s_cmp_eq_u64 s[80:81], 0
	s_mov_b64 s[68:69], s[64:65]
	s_cbranch_scc1 .LBB2057_739
; %bb.736:
	s_andn2_b64 vcc, exec, s[78:79]
	s_cbranch_vccnz .LBB2057_1421
; %bb.737:
	s_lshl_b64 s[68:69], s[80:81], 2
	s_add_u32 s68, s74, s68
	s_addc_u32 s69, s75, s69
	s_add_u32 s68, s68, -4
	s_addc_u32 s69, s69, -1
	s_cbranch_execnz .LBB2057_739
.LBB2057_738:
	s_add_u32 s68, s64, -4
	s_addc_u32 s69, s65, -1
.LBB2057_739:
	v_mov_b64_e32 v[70:71], s[68:69]
	flat_load_dword v51, v[70:71]
	s_movk_i32 s68, 0xffa8
	v_mad_i32_i24 v25, v0, s68, v24
	v_cmp_ne_u32_e32 vcc, 0, v0
	s_waitcnt lgkmcnt(0)
	ds_write_b32 v25, v47 offset:11776
	s_waitcnt lgkmcnt(0)
	s_barrier
	s_and_saveexec_b64 s[68:69], vcc
	s_cbranch_execz .LBB2057_741
; %bb.740:
	v_mul_i32_i24_e32 v25, 0xffffffa8, v0
	v_add_u32_e32 v24, v24, v25
	s_waitcnt vmcnt(0)
	ds_read_b32 v51, v24 offset:11772
.LBB2057_741:
	s_or_b64 exec, exec, s[68:69]
	v_mov_b32_e32 v25, 0
	s_waitcnt lgkmcnt(0)
	s_barrier
	s_and_saveexec_b64 s[68:69], s[50:51]
	s_cbranch_execnz .LBB2057_1399
; %bb.742:
	s_or_b64 exec, exec, s[68:69]
	s_and_saveexec_b64 s[50:51], s[4:5]
	s_cbranch_execnz .LBB2057_1400
.LBB2057_743:
	s_or_b64 exec, exec, s[50:51]
	s_and_saveexec_b64 s[4:5], s[6:7]
	s_cbranch_execnz .LBB2057_1401
.LBB2057_744:
	s_or_b64 exec, exec, s[4:5]
	s_and_saveexec_b64 s[4:5], s[8:9]
	s_cbranch_execnz .LBB2057_1402
.LBB2057_745:
	s_or_b64 exec, exec, s[4:5]
	s_and_saveexec_b64 s[4:5], s[10:11]
	s_cbranch_execnz .LBB2057_1403
.LBB2057_746:
	s_or_b64 exec, exec, s[4:5]
	s_and_saveexec_b64 s[4:5], s[12:13]
	s_cbranch_execnz .LBB2057_1404
.LBB2057_747:
	s_or_b64 exec, exec, s[4:5]
	s_and_saveexec_b64 s[4:5], s[14:15]
	s_cbranch_execnz .LBB2057_1405
.LBB2057_748:
	s_or_b64 exec, exec, s[4:5]
	s_and_saveexec_b64 s[4:5], s[16:17]
	s_cbranch_execnz .LBB2057_1406
.LBB2057_749:
	s_or_b64 exec, exec, s[4:5]
	s_and_saveexec_b64 s[4:5], s[18:19]
	s_cbranch_execnz .LBB2057_1407
.LBB2057_750:
	s_or_b64 exec, exec, s[4:5]
	s_and_saveexec_b64 s[4:5], s[20:21]
	s_cbranch_execnz .LBB2057_1408
.LBB2057_751:
	s_or_b64 exec, exec, s[4:5]
	s_and_saveexec_b64 s[4:5], s[22:23]
	s_cbranch_execnz .LBB2057_1409
.LBB2057_752:
	s_or_b64 exec, exec, s[4:5]
	s_and_saveexec_b64 s[4:5], s[24:25]
	s_cbranch_execnz .LBB2057_1410
.LBB2057_753:
	s_or_b64 exec, exec, s[4:5]
	s_and_saveexec_b64 s[4:5], s[26:27]
	s_cbranch_execnz .LBB2057_1411
.LBB2057_754:
	s_or_b64 exec, exec, s[4:5]
	s_and_saveexec_b64 s[4:5], s[28:29]
	s_cbranch_execnz .LBB2057_1412
.LBB2057_755:
	s_or_b64 exec, exec, s[4:5]
	s_and_saveexec_b64 s[4:5], s[30:31]
	s_cbranch_execnz .LBB2057_1413
.LBB2057_756:
	s_or_b64 exec, exec, s[4:5]
	s_and_saveexec_b64 s[4:5], s[34:35]
	s_cbranch_execnz .LBB2057_1414
.LBB2057_757:
	s_or_b64 exec, exec, s[4:5]
	s_and_saveexec_b64 s[4:5], s[36:37]
	s_cbranch_execnz .LBB2057_1415
.LBB2057_758:
	s_or_b64 exec, exec, s[4:5]
	s_and_saveexec_b64 s[4:5], s[38:39]
	s_cbranch_execnz .LBB2057_1416
.LBB2057_759:
	s_or_b64 exec, exec, s[4:5]
	s_and_saveexec_b64 s[4:5], s[40:41]
	s_cbranch_execnz .LBB2057_1417
.LBB2057_760:
	s_or_b64 exec, exec, s[4:5]
	s_and_saveexec_b64 s[4:5], s[42:43]
	s_cbranch_execnz .LBB2057_1418
.LBB2057_761:
	s_or_b64 exec, exec, s[4:5]
	s_and_saveexec_b64 s[4:5], s[44:45]
	s_cbranch_execnz .LBB2057_1419
.LBB2057_762:
	s_or_b64 exec, exec, s[4:5]
	s_and_saveexec_b64 s[4:5], s[46:47]
	s_cbranch_execnz .LBB2057_1420
.LBB2057_763:
	s_or_b64 exec, exec, s[4:5]
	s_and_saveexec_b64 s[4:5], s[48:49]
	s_cbranch_execz .LBB2057_765
.LBB2057_764:
	v_lshlrev_b32_e32 v24, 4, v69
	v_mov_b32_e32 v25, 0
	v_lshl_add_u64 v[24:25], s[62:63], 0, v[24:25]
	flat_load_dwordx4 v[52:55], v[24:25]
	s_waitcnt vmcnt(0) lgkmcnt(0)
	scratch_store_dwordx4 off, v[52:55], off offset:432
.LBB2057_765:
	s_or_b64 exec, exec, s[4:5]
	scratch_load_dwordx4 v[52:55], off, off offset:80
	scratch_load_dwordx4 v[56:59], v46, off
	scratch_load_dwordx4 v[60:63], v45, off
	scratch_load_dwordx4 v[64:67], v44, off
	scratch_load_dwordx4 v[68:71], v43, off
	scratch_load_dwordx4 v[72:75], v42, off
	scratch_load_dwordx4 v[76:79], v41, off
	scratch_load_dwordx4 v[80:83], v40, off
	scratch_load_dwordx4 v[84:87], v39, off
	scratch_load_dwordx4 v[88:91], v38, off
	scratch_load_dwordx4 v[92:95], v37, off
	scratch_load_dwordx4 v[96:99], v36, off
	scratch_load_dwordx4 v[100:103], v35, off
	scratch_load_dwordx4 v[104:107], v34, off
	scratch_load_dwordx4 v[108:111], v33, off
	scratch_load_dwordx4 v[112:115], v32, off
	scratch_load_dwordx4 v[116:119], v31, off
	scratch_load_dwordx4 v[120:123], v30, off
	scratch_load_dwordx4 v[124:127], v29, off
	scratch_load_dwordx4 v[128:131], v28, off
	scratch_load_dwordx4 v[132:135], v27, off
	scratch_load_dwordx4 v[136:139], v26, off
	scratch_load_dwordx4 v[140:143], v1, off
	v_lshlrev_b32_e32 v48, 4, v0
	s_movk_i32 s4, 0x160
	v_mad_u32_u24 v25, v0, s4, v48
	v_mul_u32_u24_e32 v24, 23, v0
	v_cmp_gt_u32_e32 vcc, s3, v24
	s_mov_b64 s[6:7], 0
	s_mov_b64 s[10:11], 0
                                        ; implicit-def: $sgpr4_sgpr5
	s_waitcnt vmcnt(0)
	ds_write_b128 v48, v[52:55]
	ds_write_b128 v48, v[56:59] offset:2048
	ds_write_b128 v48, v[60:63] offset:4096
	ds_write_b128 v48, v[64:67] offset:6144
	ds_write_b128 v48, v[68:71] offset:8192
	ds_write_b128 v48, v[72:75] offset:10240
	ds_write_b128 v48, v[76:79] offset:12288
	ds_write_b128 v48, v[80:83] offset:14336
	ds_write_b128 v48, v[84:87] offset:16384
	ds_write_b128 v48, v[88:91] offset:18432
	ds_write_b128 v48, v[92:95] offset:20480
	ds_write_b128 v48, v[96:99] offset:22528
	ds_write_b128 v48, v[100:103] offset:24576
	ds_write_b128 v48, v[104:107] offset:26624
	ds_write_b128 v48, v[108:111] offset:28672
	ds_write_b128 v48, v[112:115] offset:30720
	ds_write_b128 v48, v[116:119] offset:32768
	ds_write_b128 v48, v[120:123] offset:34816
	ds_write_b128 v48, v[124:127] offset:36864
	ds_write_b128 v48, v[128:131] offset:38912
	ds_write_b128 v48, v[132:135] offset:40960
	ds_write_b128 v48, v[136:139] offset:43008
	ds_write_b128 v48, v[140:143] offset:45056
	s_waitcnt lgkmcnt(0)
	s_barrier
	ds_read_b128 v[52:55], v25 offset:16
	ds_read_b128 v[56:59], v25 offset:32
	;; [unrolled: 1-line block ×16, first 2 shown]
	s_waitcnt lgkmcnt(14)
	scratch_store_dwordx4 v46, v[52:55], off
	scratch_store_dwordx4 v45, v[56:59], off
	s_waitcnt lgkmcnt(13)
	scratch_store_dwordx4 v44, v[60:63], off
	s_waitcnt lgkmcnt(12)
	;; [unrolled: 2-line block ×11, first 2 shown]
	scratch_store_dwordx4 v34, v[100:103], off
	ds_read_b128 v[52:55], v25 offset:272
	s_waitcnt lgkmcnt(3)
	scratch_store_dwordx4 v33, v[104:107], off
	s_waitcnt lgkmcnt(2)
	scratch_store_dwordx4 v32, v[108:111], off
	;; [unrolled: 2-line block ×3, first 2 shown]
	ds_read_b128 v[56:59], v25 offset:288
	s_waitcnt lgkmcnt(1)
	scratch_store_dwordx4 v30, v[52:55], off
	ds_read_b128 v[52:55], v25 offset:304
	ds_read_b128 v[60:63], v25 offset:320
	;; [unrolled: 1-line block ×4, first 2 shown]
	s_waitcnt lgkmcnt(4)
	scratch_store_dwordx4 v29, v[56:59], off
	s_waitcnt lgkmcnt(3)
	scratch_store_dwordx4 v28, v[52:55], off
	;; [unrolled: 2-line block ×5, first 2 shown]
	s_and_saveexec_b64 s[8:9], vcc
	s_cbranch_execz .LBB2057_809
; %bb.766:
	ds_read_b128 v[52:55], v25
	v_cmp_ne_u32_e32 vcc, v51, v22
	v_add_u32_e32 v49, 1, v24
	s_mov_b64 s[12:13], 0
	v_cndmask_b32_e64 v48, 0, 1, vcc
	v_cmp_gt_u32_e32 vcc, s3, v49
	scratch_store_byte off, v48, off offset:496
	s_waitcnt lgkmcnt(0)
	scratch_store_dwordx4 off, v[52:55], off offset:480
                                        ; implicit-def: $sgpr14_sgpr15
	s_and_saveexec_b64 s[10:11], vcc
	s_cbranch_execz .LBB2057_808
; %bb.767:
	v_add_u32_e32 v48, 16, v25
	ds_read2_b32 v[50:51], v48 offset0:2 offset1:3
	ds_read2_b32 v[48:49], v48 offset1:1
	v_cmp_ne_u32_e32 vcc, v22, v23
	v_add_u32_e32 v52, 2, v24
	s_mov_b64 s[4:5], 0
	v_cndmask_b32_e64 v22, 0, 1, vcc
	v_cmp_gt_u32_e32 vcc, s3, v52
	s_waitcnt lgkmcnt(0)
	scratch_store_dwordx4 off, v[48:51], s33
	scratch_store_byte off, v22, off offset:516
                                        ; implicit-def: $sgpr14_sgpr15
	s_and_saveexec_b64 s[12:13], vcc
	s_cbranch_execz .LBB2057_807
; %bb.768:
	v_add_u32_e32 v22, 32, v25
	ds_read2_b64 v[48:51], v22 offset1:1
	v_cmp_ne_u32_e32 vcc, v23, v20
	v_add_u32_e32 v23, 3, v24
                                        ; implicit-def: $sgpr16_sgpr17
	s_nop 0
	v_cndmask_b32_e64 v22, 0, 1, vcc
	v_cmp_gt_u32_e32 vcc, s3, v23
	scratch_store_byte off, v22, off offset:536
	s_waitcnt lgkmcnt(0)
	scratch_store_dwordx4 off, v[48:51], s59
	s_and_saveexec_b64 s[14:15], vcc
	s_cbranch_execz .LBB2057_806
; %bb.769:
	v_add_u32_e32 v22, 48, v25
	ds_read2_b32 v[50:51], v22 offset0:2 offset1:3
	ds_read2_b32 v[48:49], v22 offset1:1
	v_cmp_ne_u32_e32 vcc, v20, v21
	v_add_u32_e32 v22, 4, v24
                                        ; implicit-def: $sgpr18_sgpr19
	s_nop 0
	v_cndmask_b32_e64 v20, 0, 1, vcc
	v_cmp_gt_u32_e32 vcc, s3, v22
	s_waitcnt lgkmcnt(0)
	scratch_store_dwordx4 off, v[48:51], s84
	scratch_store_byte off, v20, off offset:556
	s_and_saveexec_b64 s[16:17], vcc
	s_cbranch_execz .LBB2057_805
; %bb.770:
	v_add_u32_e32 v20, 64, v25
	ds_read_b128 v[48:51], v20
	v_cmp_ne_u32_e32 vcc, v21, v18
	v_add_u32_e32 v21, 5, v24
                                        ; implicit-def: $sgpr20_sgpr21
	s_nop 0
	v_cndmask_b32_e64 v20, 0, 1, vcc
	v_cmp_gt_u32_e32 vcc, s3, v21
	scratch_store_byte off, v20, off offset:576
	s_waitcnt lgkmcnt(0)
	scratch_store_dwordx4 off, v[48:51], s85
	s_and_saveexec_b64 s[18:19], vcc
	s_cbranch_execz .LBB2057_804
; %bb.771:
	v_add_u32_e32 v20, 0x50, v25
	ds_read2_b32 v[22:23], v20 offset0:2 offset1:3
	ds_read2_b32 v[20:21], v20 offset1:1
	v_cmp_ne_u32_e32 vcc, v18, v19
	v_add_u32_e32 v48, 6, v24
                                        ; implicit-def: $sgpr22_sgpr23
	s_nop 0
	v_cndmask_b32_e64 v18, 0, 1, vcc
	v_cmp_gt_u32_e32 vcc, s3, v48
	s_waitcnt lgkmcnt(0)
	scratch_store_dwordx4 off, v[20:23], s86
	scratch_store_byte off, v18, off offset:596
	s_and_saveexec_b64 s[20:21], vcc
	s_cbranch_execz .LBB2057_803
; %bb.772:
	v_add_u32_e32 v18, 0x60, v25
	ds_read2_b64 v[20:23], v18 offset1:1
	v_cmp_ne_u32_e32 vcc, v19, v16
	v_add_u32_e32 v19, 7, v24
                                        ; implicit-def: $sgpr24_sgpr25
	s_nop 0
	v_cndmask_b32_e64 v18, 0, 1, vcc
	v_cmp_gt_u32_e32 vcc, s3, v19
	scratch_store_byte off, v18, off offset:616
	s_waitcnt lgkmcnt(0)
	scratch_store_dwordx4 off, v[20:23], s87
	s_and_saveexec_b64 s[22:23], vcc
	s_cbranch_execz .LBB2057_802
; %bb.773:
	v_add_u32_e32 v18, 0x70, v25
	ds_read2_b32 v[20:21], v18 offset0:2 offset1:3
	ds_read2_b32 v[18:19], v18 offset1:1
	v_cmp_ne_u32_e32 vcc, v16, v17
	v_add_u32_e32 v22, 8, v24
                                        ; implicit-def: $sgpr26_sgpr27
	s_nop 0
	v_cndmask_b32_e64 v16, 0, 1, vcc
	v_cmp_gt_u32_e32 vcc, s3, v22
	s_waitcnt lgkmcnt(0)
	scratch_store_dwordx4 off, v[18:21], s88
	scratch_store_byte off, v16, off offset:636
	s_and_saveexec_b64 s[24:25], vcc
	s_cbranch_execz .LBB2057_801
; %bb.774:
	v_add_u32_e32 v16, 0x80, v25
	ds_read_b128 v[18:21], v16
	v_cmp_ne_u32_e32 vcc, v17, v14
	v_add_u32_e32 v17, 9, v24
                                        ; implicit-def: $sgpr28_sgpr29
	s_nop 0
	v_cndmask_b32_e64 v16, 0, 1, vcc
	v_cmp_gt_u32_e32 vcc, s3, v17
	scratch_store_byte off, v16, off offset:656
	s_waitcnt lgkmcnt(0)
	scratch_store_dwordx4 off, v[18:21], s89
	s_and_saveexec_b64 s[26:27], vcc
	s_cbranch_execz .LBB2057_800
; %bb.775:
	v_add_u32_e32 v16, 0x90, v25
	ds_read2_b32 v[18:19], v16 offset0:2 offset1:3
	ds_read2_b32 v[16:17], v16 offset1:1
	v_cmp_ne_u32_e32 vcc, v14, v15
	v_add_u32_e32 v20, 10, v24
                                        ; implicit-def: $sgpr30_sgpr31
	s_nop 0
	v_cndmask_b32_e64 v14, 0, 1, vcc
	v_cmp_gt_u32_e32 vcc, s3, v20
	s_waitcnt lgkmcnt(0)
	scratch_store_dwordx4 off, v[16:19], s90
	scratch_store_byte off, v14, off offset:676
	s_and_saveexec_b64 s[28:29], vcc
	s_cbranch_execz .LBB2057_799
; %bb.776:
	v_add_u32_e32 v14, 0xa0, v25
	ds_read2_b64 v[16:19], v14 offset1:1
	v_cmp_ne_u32_e32 vcc, v15, v12
	v_add_u32_e32 v15, 11, v24
                                        ; implicit-def: $sgpr34_sgpr35
	s_nop 0
	v_cndmask_b32_e64 v14, 0, 1, vcc
	v_cmp_gt_u32_e32 vcc, s3, v15
	scratch_store_byte off, v14, off offset:696
	s_waitcnt lgkmcnt(0)
	scratch_store_dwordx4 off, v[16:19], s91
	s_and_saveexec_b64 s[30:31], vcc
	s_cbranch_execz .LBB2057_798
; %bb.777:
	v_add_u32_e32 v14, 0xb0, v25
	ds_read2_b32 v[16:17], v14 offset0:2 offset1:3
	ds_read2_b32 v[14:15], v14 offset1:1
	v_cmp_ne_u32_e32 vcc, v12, v13
	v_add_u32_e32 v18, 12, v24
                                        ; implicit-def: $sgpr36_sgpr37
	s_nop 0
	v_cndmask_b32_e64 v12, 0, 1, vcc
	v_cmp_gt_u32_e32 vcc, s3, v18
	s_waitcnt lgkmcnt(0)
	scratch_store_dwordx4 off, v[14:17], s92
	scratch_store_byte off, v12, off offset:716
	s_and_saveexec_b64 s[34:35], vcc
	s_cbranch_execz .LBB2057_797
; %bb.778:
	v_add_u32_e32 v12, 0xc0, v25
	ds_read_b128 v[14:17], v12
	v_cmp_ne_u32_e32 vcc, v13, v10
	v_add_u32_e32 v13, 13, v24
                                        ; implicit-def: $sgpr38_sgpr39
	s_nop 0
	v_cndmask_b32_e64 v12, 0, 1, vcc
	v_cmp_gt_u32_e32 vcc, s3, v13
	scratch_store_byte off, v12, off offset:736
	s_waitcnt lgkmcnt(0)
	scratch_store_dwordx4 off, v[14:17], s93
	s_and_saveexec_b64 s[36:37], vcc
	s_cbranch_execz .LBB2057_796
; %bb.779:
	v_add_u32_e32 v12, 0xd0, v25
	ds_read2_b32 v[14:15], v12 offset0:2 offset1:3
	ds_read2_b32 v[12:13], v12 offset1:1
	v_cmp_ne_u32_e32 vcc, v10, v11
	v_add_u32_e32 v16, 14, v24
                                        ; implicit-def: $sgpr40_sgpr41
	s_nop 0
	v_cndmask_b32_e64 v10, 0, 1, vcc
	v_cmp_gt_u32_e32 vcc, s3, v16
	s_waitcnt lgkmcnt(0)
	scratch_store_dwordx4 off, v[12:15], s94
	scratch_store_byte off, v10, off offset:756
	s_and_saveexec_b64 s[38:39], vcc
	s_cbranch_execz .LBB2057_795
; %bb.780:
	v_add_u32_e32 v10, 0xe0, v25
	ds_read2_b64 v[12:15], v10 offset1:1
	v_cmp_ne_u32_e32 vcc, v11, v8
	v_add_u32_e32 v11, 15, v24
                                        ; implicit-def: $sgpr42_sgpr43
	s_nop 0
	v_cndmask_b32_e64 v10, 0, 1, vcc
	v_cmp_gt_u32_e32 vcc, s3, v11
	scratch_store_byte off, v10, off offset:776
	s_waitcnt lgkmcnt(0)
	scratch_store_dwordx4 off, v[12:15], s95
	s_and_saveexec_b64 s[40:41], vcc
	s_cbranch_execz .LBB2057_794
; %bb.781:
	v_add_u32_e32 v10, 0xf0, v25
	ds_read2_b32 v[12:13], v10 offset0:2 offset1:3
	ds_read2_b32 v[10:11], v10 offset1:1
	v_cmp_ne_u32_e32 vcc, v8, v9
	v_add_u32_e32 v14, 16, v24
                                        ; implicit-def: $sgpr44_sgpr45
	s_nop 0
	v_cndmask_b32_e64 v8, 0, 1, vcc
	v_cmp_gt_u32_e32 vcc, s3, v14
	s_waitcnt lgkmcnt(0)
	scratch_store_dwordx4 off, v[10:13], s97
	scratch_store_byte off, v8, off offset:796
	s_and_saveexec_b64 s[42:43], vcc
	s_cbranch_execz .LBB2057_793
; %bb.782:
	v_add_u32_e32 v8, 0x100, v25
	ds_read_b128 v[10:13], v8
	v_cmp_ne_u32_e32 vcc, v9, v6
	v_add_u32_e32 v9, 17, v24
                                        ; implicit-def: $sgpr46_sgpr47
	s_nop 0
	v_cndmask_b32_e64 v8, 0, 1, vcc
	v_cmp_gt_u32_e32 vcc, s3, v9
	scratch_store_byte off, v8, off offset:816
	s_waitcnt lgkmcnt(0)
	scratch_store_dwordx4 off, v[10:13], s96
	s_and_saveexec_b64 s[44:45], vcc
	s_cbranch_execz .LBB2057_792
; %bb.783:
	v_add_u32_e32 v8, 0x110, v25
	ds_read2_b32 v[10:11], v8 offset0:2 offset1:3
	ds_read2_b32 v[8:9], v8 offset1:1
	v_cmp_ne_u32_e32 vcc, v6, v7
	v_add_u32_e32 v12, 18, v24
                                        ; implicit-def: $sgpr48_sgpr49
	s_nop 0
	v_cndmask_b32_e64 v6, 0, 1, vcc
	v_cmp_gt_u32_e32 vcc, s3, v12
	s_waitcnt lgkmcnt(0)
	scratch_store_dwordx4 off, v[8:11], s98
	scratch_store_byte off, v6, off offset:836
	s_and_saveexec_b64 s[46:47], vcc
	s_cbranch_execz .LBB2057_791
; %bb.784:
	v_add_u32_e32 v6, 0x120, v25
	ds_read2_b64 v[8:11], v6 offset1:1
	v_cmp_ne_u32_e32 vcc, v7, v4
	v_add_u32_e32 v7, 19, v24
                                        ; implicit-def: $sgpr50_sgpr51
	s_nop 0
	v_cndmask_b32_e64 v6, 0, 1, vcc
	v_cmp_gt_u32_e32 vcc, s3, v7
	scratch_store_byte off, v6, off offset:856
	s_waitcnt lgkmcnt(0)
	scratch_store_dwordx4 off, v[8:11], s99
	s_and_saveexec_b64 s[48:49], vcc
	s_cbranch_execz .LBB2057_790
; %bb.785:
	v_add_u32_e32 v6, 0x130, v25
	ds_read2_b32 v[8:9], v6 offset0:2 offset1:3
	ds_read2_b32 v[6:7], v6 offset1:1
	v_cmp_ne_u32_e32 vcc, v4, v5
	v_add_u32_e32 v10, 20, v24
                                        ; implicit-def: $sgpr68_sgpr69
	s_nop 0
	v_cndmask_b32_e64 v4, 0, 1, vcc
	v_cmp_gt_u32_e32 vcc, s3, v10
	s_waitcnt lgkmcnt(0)
	scratch_store_dwordx4 off, v[6:9], s76
	scratch_store_byte off, v4, off offset:876
	s_and_saveexec_b64 s[50:51], vcc
	s_cbranch_execz .LBB2057_789
; %bb.786:
	v_add_u32_e32 v4, 0x140, v25
	v_cmp_ne_u32_e32 vcc, v5, v2
	ds_read_b128 v[4:7], v4
	v_add_u32_e32 v9, 21, v24
	v_cndmask_b32_e64 v8, 0, 1, vcc
	v_cmp_gt_u32_e32 vcc, s3, v9
	s_waitcnt lgkmcnt(0)
	scratch_store_dwordx4 off, v[4:7], s77
	scratch_store_byte off, v8, off offset:896
                                        ; implicit-def: $sgpr82_sgpr83
	s_and_saveexec_b64 s[68:69], vcc
	s_xor_b64 s[68:69], exec, s[68:69]
	s_cbranch_execz .LBB2057_788
; %bb.787:
	v_add_u32_e32 v6, 0x150, v25
	v_cmp_ne_u32_e32 vcc, v3, v47
	v_cmp_ne_u32_e64 s[4:5], v2, v3
	ds_read2_b32 v[4:5], v6 offset0:2 offset1:3
	ds_read2_b32 v[2:3], v6 offset1:1
	v_add_u32_e32 v8, 22, v24
	v_cndmask_b32_e64 v7, 0, 1, s[4:5]
	v_cmp_gt_u32_e64 s[4:5], s3, v8
	s_and_b64 s[82:83], vcc, exec
	s_and_b64 s[4:5], s[4:5], exec
	s_waitcnt lgkmcnt(0)
	scratch_store_dwordx4 off, v[2:5], s66
	scratch_store_byte off, v7, off offset:916
.LBB2057_788:
	s_or_b64 exec, exec, s[68:69]
	s_and_b64 s[68:69], s[82:83], exec
	s_and_b64 s[4:5], s[4:5], exec
.LBB2057_789:
	s_or_b64 exec, exec, s[50:51]
	s_and_b64 s[50:51], s[68:69], exec
	s_and_b64 s[4:5], s[4:5], exec
.LBB2057_790:
	s_or_b64 exec, exec, s[48:49]
	s_and_b64 s[48:49], s[50:51], exec
	s_and_b64 s[4:5], s[4:5], exec
.LBB2057_791:
	s_or_b64 exec, exec, s[46:47]
	s_and_b64 s[46:47], s[48:49], exec
	s_and_b64 s[4:5], s[4:5], exec
.LBB2057_792:
	s_or_b64 exec, exec, s[44:45]
	s_and_b64 s[44:45], s[46:47], exec
	s_and_b64 s[4:5], s[4:5], exec
.LBB2057_793:
	s_or_b64 exec, exec, s[42:43]
	s_and_b64 s[42:43], s[44:45], exec
	s_and_b64 s[4:5], s[4:5], exec
.LBB2057_794:
	s_or_b64 exec, exec, s[40:41]
	s_and_b64 s[40:41], s[42:43], exec
	s_and_b64 s[4:5], s[4:5], exec
.LBB2057_795:
	s_or_b64 exec, exec, s[38:39]
	s_and_b64 s[38:39], s[40:41], exec
	s_and_b64 s[4:5], s[4:5], exec
.LBB2057_796:
	s_or_b64 exec, exec, s[36:37]
	s_and_b64 s[36:37], s[38:39], exec
	s_and_b64 s[4:5], s[4:5], exec
.LBB2057_797:
	s_or_b64 exec, exec, s[34:35]
	s_and_b64 s[34:35], s[36:37], exec
	s_and_b64 s[4:5], s[4:5], exec
.LBB2057_798:
	s_or_b64 exec, exec, s[30:31]
	s_and_b64 s[30:31], s[34:35], exec
	s_and_b64 s[4:5], s[4:5], exec
.LBB2057_799:
	s_or_b64 exec, exec, s[28:29]
	s_and_b64 s[28:29], s[30:31], exec
	s_and_b64 s[4:5], s[4:5], exec
.LBB2057_800:
	s_or_b64 exec, exec, s[26:27]
	s_and_b64 s[26:27], s[28:29], exec
	s_and_b64 s[4:5], s[4:5], exec
.LBB2057_801:
	s_or_b64 exec, exec, s[24:25]
	s_and_b64 s[24:25], s[26:27], exec
	s_and_b64 s[4:5], s[4:5], exec
.LBB2057_802:
	s_or_b64 exec, exec, s[22:23]
	s_and_b64 s[22:23], s[24:25], exec
	s_and_b64 s[4:5], s[4:5], exec
.LBB2057_803:
	s_or_b64 exec, exec, s[20:21]
	s_and_b64 s[20:21], s[22:23], exec
	s_and_b64 s[4:5], s[4:5], exec
.LBB2057_804:
	s_or_b64 exec, exec, s[18:19]
	s_and_b64 s[18:19], s[20:21], exec
	s_and_b64 s[4:5], s[4:5], exec
.LBB2057_805:
	s_or_b64 exec, exec, s[16:17]
	s_and_b64 s[16:17], s[18:19], exec
	s_and_b64 s[4:5], s[4:5], exec
.LBB2057_806:
	s_or_b64 exec, exec, s[14:15]
	s_and_b64 s[14:15], s[16:17], exec
	s_and_b64 s[4:5], s[4:5], exec
.LBB2057_807:
	s_or_b64 exec, exec, s[12:13]
	s_and_b64 s[14:15], s[14:15], exec
	s_and_b64 s[12:13], s[4:5], exec
.LBB2057_808:
	s_or_b64 exec, exec, s[10:11]
	s_and_b64 s[4:5], s[14:15], exec
	s_and_b64 s[10:11], s[12:13], exec
.LBB2057_809:
	s_or_b64 exec, exec, s[8:9]
	s_and_b64 vcc, exec, s[6:7]
	s_cbranch_vccz .LBB2057_94
.LBB2057_810:
	v_mov_b32_e32 v3, 0
	v_lshlrev_b32_e32 v2, 2, v0
	v_lshl_add_u64 v[4:5], s[64:65], 0, v[2:3]
	v_add_co_u32_e32 v6, vcc, 0x1000, v4
	flat_load_dword v3, v[4:5]
	flat_load_dword v8, v[4:5] offset:512
	flat_load_dword v9, v[4:5] offset:1024
	;; [unrolled: 1-line block ×7, first 2 shown]
	v_addc_co_u32_e32 v7, vcc, 0, v5, vcc
	v_add_co_u32_e32 v4, vcc, 0x2000, v4
	flat_load_dword v15, v[6:7]
	flat_load_dword v16, v[6:7] offset:512
	flat_load_dword v17, v[6:7] offset:1024
	;; [unrolled: 1-line block ×6, first 2 shown]
	s_nop 0
	flat_load_dword v6, v[6:7] offset:3584
	v_addc_co_u32_e32 v5, vcc, 0, v5, vcc
	flat_load_dword v7, v[4:5]
	flat_load_dword v22, v[4:5] offset:512
	flat_load_dword v23, v[4:5] offset:1024
	;; [unrolled: 1-line block ×5, first 2 shown]
	s_nop 0
	flat_load_dword v4, v[4:5] offset:3072
	s_movk_i32 s3, 0x58
	v_mad_u32_u24 v47, v0, s3, v2
	s_cmp_eq_u64 s[80:81], 0
	s_waitcnt vmcnt(0) lgkmcnt(0)
	ds_write2st64_b32 v2, v3, v8 offset1:2
	ds_write2st64_b32 v2, v9, v10 offset0:4 offset1:6
	ds_write2st64_b32 v2, v11, v12 offset0:8 offset1:10
	;; [unrolled: 1-line block ×10, first 2 shown]
	ds_write_b32 v2, v4 offset:11264
	s_waitcnt lgkmcnt(0)
	s_barrier
	ds_read2_b32 v[2:3], v47 offset1:1
	ds_read2_b32 v[4:5], v47 offset0:2 offset1:3
	ds_read2_b32 v[6:7], v47 offset0:4 offset1:5
	;; [unrolled: 1-line block ×10, first 2 shown]
	ds_read_b32 v24, v47 offset:88
	s_cbranch_scc1 .LBB2057_815
; %bb.811:
	s_andn2_b64 vcc, exec, s[78:79]
	s_cbranch_vccnz .LBB2057_1422
; %bb.812:
	s_lshl_b64 s[4:5], s[80:81], 2
	s_add_u32 s3, s74, s4
	s_addc_u32 s5, s75, s5
	s_add_u32 s4, s3, -4
	s_addc_u32 s5, s5, -1
	s_cbranch_execnz .LBB2057_814
.LBB2057_813:
	s_add_u32 s4, s64, -4
	s_addc_u32 s5, s65, -1
.LBB2057_814:
	s_mov_b64 s[64:65], s[4:5]
.LBB2057_815:
	v_mov_b64_e32 v[48:49], s[64:65]
	flat_load_dword v25, v[48:49]
	s_movk_i32 s3, 0xffa8
	v_mad_i32_i24 v48, v0, s3, v47
	v_cmp_ne_u32_e32 vcc, 0, v0
	s_waitcnt lgkmcnt(0)
	ds_write_b32 v48, v24 offset:11776
	s_waitcnt lgkmcnt(0)
	s_barrier
	s_and_saveexec_b64 s[4:5], vcc
	s_cbranch_execz .LBB2057_817
; %bb.816:
	s_waitcnt vmcnt(0)
	v_mul_i32_i24_e32 v25, 0xffffffa8, v0
	v_add_u32_e32 v25, v47, v25
	ds_read_b32 v25, v25 offset:11772
.LBB2057_817:
	s_or_b64 exec, exec, s[4:5]
	v_lshlrev_b32_e32 v140, 4, v0
	v_mov_b32_e32 v141, 0
	v_lshl_add_u64 v[52:53], s[62:63], 0, v[140:141]
	s_waitcnt lgkmcnt(0)
	s_barrier
	flat_load_dwordx4 v[48:51], v[52:53]
	s_movk_i32 s3, 0x1000
	v_add_co_u32_e32 v54, vcc, s3, v52
	s_movk_i32 s3, 0x2000
	s_nop 0
	v_addc_co_u32_e32 v55, vcc, 0, v53, vcc
	v_cmp_ne_u32_e64 s[4:5], v23, v24
	s_mov_b64 s[10:11], -1
	s_waitcnt vmcnt(0) lgkmcnt(0)
	scratch_store_dwordx4 off, v[48:51], off offset:80
	flat_load_dwordx4 v[48:51], v[52:53] offset:2048
	s_waitcnt vmcnt(0) lgkmcnt(0)
	scratch_store_dwordx4 off, v[48:51], off offset:96
	flat_load_dwordx4 v[48:51], v[54:55]
	s_waitcnt vmcnt(0) lgkmcnt(0)
	scratch_store_dwordx4 off, v[48:51], off offset:112
	flat_load_dwordx4 v[48:51], v[54:55] offset:2048
	v_add_co_u32_e32 v54, vcc, s3, v52
	s_movk_i32 s3, 0x3000
	s_nop 0
	v_addc_co_u32_e32 v55, vcc, 0, v53, vcc
	s_waitcnt vmcnt(0) lgkmcnt(0)
	scratch_store_dwordx4 off, v[48:51], off offset:128
	flat_load_dwordx4 v[48:51], v[54:55]
	s_waitcnt vmcnt(0) lgkmcnt(0)
	scratch_store_dwordx4 off, v[48:51], off offset:144
	flat_load_dwordx4 v[48:51], v[54:55] offset:2048
	v_add_co_u32_e32 v54, vcc, s3, v52
	s_movk_i32 s3, 0x4000
	s_nop 0
	v_addc_co_u32_e32 v55, vcc, 0, v53, vcc
	s_waitcnt vmcnt(0) lgkmcnt(0)
	scratch_store_dwordx4 off, v[48:51], off offset:160
	flat_load_dwordx4 v[48:51], v[54:55]
	s_waitcnt vmcnt(0) lgkmcnt(0)
	scratch_store_dwordx4 off, v[48:51], off offset:176
	flat_load_dwordx4 v[48:51], v[54:55] offset:2048
	v_add_co_u32_e32 v54, vcc, s3, v52
	s_movk_i32 s3, 0x5000
	s_nop 0
	v_addc_co_u32_e32 v55, vcc, 0, v53, vcc
	s_waitcnt vmcnt(0) lgkmcnt(0)
	scratch_store_dwordx4 off, v[48:51], off offset:192
	flat_load_dwordx4 v[48:51], v[54:55]
	s_waitcnt vmcnt(0) lgkmcnt(0)
	scratch_store_dwordx4 off, v[48:51], off offset:208
	flat_load_dwordx4 v[48:51], v[54:55] offset:2048
	v_add_co_u32_e32 v54, vcc, s3, v52
	s_movk_i32 s3, 0x6000
	s_nop 0
	v_addc_co_u32_e32 v55, vcc, 0, v53, vcc
	s_waitcnt vmcnt(0) lgkmcnt(0)
	scratch_store_dwordx4 off, v[48:51], off offset:224
	flat_load_dwordx4 v[48:51], v[54:55]
	s_waitcnt vmcnt(0) lgkmcnt(0)
	scratch_store_dwordx4 off, v[48:51], off offset:240
	flat_load_dwordx4 v[48:51], v[54:55] offset:2048
	v_add_co_u32_e32 v54, vcc, s3, v52
	s_movk_i32 s3, 0x7000
	s_nop 0
	v_addc_co_u32_e32 v55, vcc, 0, v53, vcc
	s_waitcnt vmcnt(0) lgkmcnt(0)
	scratch_store_dwordx4 off, v[48:51], off offset:256
	flat_load_dwordx4 v[48:51], v[54:55]
	s_waitcnt vmcnt(0) lgkmcnt(0)
	scratch_store_dwordx4 off, v[48:51], off offset:272
	flat_load_dwordx4 v[48:51], v[54:55] offset:2048
	v_add_co_u32_e32 v54, vcc, s3, v52
	s_mov_b32 s3, 0x8000
	s_nop 0
	v_addc_co_u32_e32 v55, vcc, 0, v53, vcc
	s_waitcnt vmcnt(0) lgkmcnt(0)
	scratch_store_dwordx4 off, v[48:51], off offset:288
	flat_load_dwordx4 v[48:51], v[54:55]
	s_waitcnt vmcnt(0) lgkmcnt(0)
	scratch_store_dwordx4 off, v[48:51], off offset:304
	flat_load_dwordx4 v[48:51], v[54:55] offset:2048
	v_add_co_u32_e32 v54, vcc, s3, v52
	s_mov_b32 s3, 0x9000
	s_nop 0
	v_addc_co_u32_e32 v55, vcc, 0, v53, vcc
	;; [unrolled: 10-line block ×4, first 2 shown]
	v_add_co_u32_e32 v52, vcc, s3, v52
	s_movk_i32 s3, 0x160
	s_nop 0
	v_addc_co_u32_e32 v53, vcc, 0, v53, vcc
	v_cmp_ne_u32_e32 vcc, v22, v23
	v_mad_u32_u24 v197, v0, s3, v140
	s_waitcnt vmcnt(0) lgkmcnt(0)
	scratch_store_dwordx4 off, v[48:51], off offset:384
	flat_load_dwordx4 v[48:51], v[54:55]
	v_cndmask_b32_e64 v47, 0, 1, vcc
	v_cmp_ne_u32_e32 vcc, v21, v22
	s_waitcnt vmcnt(0) lgkmcnt(0)
	scratch_store_dwordx4 off, v[48:51], off offset:400
	flat_load_dwordx4 v[48:51], v[54:55] offset:2048
	v_cndmask_b32_e64 v196, 0, 1, vcc
	v_cmp_ne_u32_e32 vcc, v20, v21
	s_waitcnt vmcnt(0) lgkmcnt(0)
	scratch_store_dwordx4 off, v[48:51], off offset:416
	flat_load_dwordx4 v[48:51], v[52:53]
	s_nop 0
	scratch_load_dwordx4 v[52:55], off, off offset:80
	scratch_load_dwordx4 v[56:59], v46, off
	scratch_load_dwordx4 v[60:63], v45, off
	;; [unrolled: 1-line block ×20, first 2 shown]
	v_cndmask_b32_e64 v188, 0, 1, vcc
	v_cmp_ne_u32_e32 vcc, v19, v20
	s_waitcnt vmcnt(0) lgkmcnt(0)
	scratch_store_dwordx4 off, v[48:51], off offset:432
	scratch_load_dwordx4 v[48:51], v26, off
	s_nop 0
	scratch_load_dwordx4 v[136:139], v1, off
	v_cndmask_b32_e64 v176, 0, 1, vcc
	v_cmp_ne_u32_e32 vcc, v18, v19
	ds_write_b128 v140, v[52:55]
	ds_write_b128 v140, v[56:59] offset:2048
	ds_write_b128 v140, v[60:63] offset:4096
	;; [unrolled: 1-line block ×20, first 2 shown]
	s_waitcnt vmcnt(1)
	ds_write_b128 v140, v[48:51] offset:43008
	s_waitcnt vmcnt(0)
	ds_write_b128 v140, v[136:139] offset:45056
	v_cndmask_b32_e64 v168, 0, 1, vcc
	v_cmp_ne_u32_e32 vcc, v17, v18
	s_waitcnt lgkmcnt(0)
	s_barrier
	v_cndmask_b32_e64 v164, 0, 1, vcc
	v_cmp_ne_u32_e32 vcc, v16, v17
	s_nop 1
	v_cndmask_b32_e64 v156, 0, 1, vcc
	v_cmp_ne_u32_e32 vcc, v15, v16
	s_nop 1
	;; [unrolled: 3-line block ×15, first 2 shown]
	v_cndmask_b32_e64 v18, 0, 1, vcc
	v_cmp_ne_u32_e32 vcc, v25, v2
	ds_read_b128 v[2:5], v197 offset:352
	ds_read_b128 v[6:9], v197 offset:16
	ds_read_b128 v[10:13], v197
	v_cndmask_b32_e64 v14, 0, 1, vcc
	scratch_store_byte off, v14, off offset:496
	ds_read2_b32 v[16:17], v197 offset0:6 offset1:7
	ds_read2_b32 v[14:15], v197 offset0:4 offset1:5
	scratch_store_byte off, v18, off offset:516
	ds_read_b128 v[18:21], v197 offset:32
	ds_read2_b64 v[22:25], v197 offset0:4 offset1:5
	scratch_store_byte off, v153, off offset:536
	ds_read_b128 v[48:51], v197 offset:64
	ds_read2_b32 v[54:55], v197 offset0:14 offset1:15
	ds_read_b128 v[56:59], v197 offset:48
	ds_read2_b32 v[52:53], v197 offset0:12 offset1:13
	scratch_store_byte off, v152, off offset:556
	ds_read_b128 v[60:63], v197 offset:80
	ds_read_b128 v[64:67], v197 offset:64
	scratch_store_byte off, v151, off offset:576
	ds_read2_b32 v[70:71], v197 offset0:22 offset1:23
	ds_read2_b32 v[68:69], v197 offset0:20 offset1:21
	scratch_store_byte off, v150, off offset:596
	ds_read_b128 v[72:75], v197 offset:96
	ds_read2_b64 v[76:79], v197 offset0:12 offset1:13
	scratch_store_byte off, v149, off offset:616
	ds_read_b128 v[80:83], v197 offset:128
	ds_read2_b32 v[86:87], v197 offset0:30 offset1:31
	ds_read_b128 v[88:91], v197 offset:112
	ds_read2_b32 v[84:85], v197 offset0:28 offset1:29
	scratch_store_byte off, v148, off offset:636
	ds_read_b128 v[92:95], v197 offset:144
	ds_read_b128 v[96:99], v197 offset:128
	;; [unrolled: 14-line block ×5, first 2 shown]
	scratch_store_byte off, v196, off offset:896
	ds_read2_b32 v[198:199], v197 offset0:86 offset1:87
	ds_read2_b32 v[196:197], v197 offset0:84 offset1:85
	scratch_store_byte off, v47, off offset:916
	s_waitcnt lgkmcnt(14)
	scratch_store_dwordx4 v46, v[6:9], off
	scratch_store_dwordx4 v45, v[18:21], off
	;; [unrolled: 1-line block ×16, first 2 shown]
	s_waitcnt lgkmcnt(13)
	scratch_store_dwordx4 v30, v[156:159], off
	s_waitcnt lgkmcnt(9)
	scratch_store_dwordx4 v29, v[168:171], off
	s_waitcnt lgkmcnt(5)
	scratch_store_dwordx4 v28, v[184:187], off
	scratch_store_dwordx4 v27, v[176:179], off
	s_waitcnt lgkmcnt(3)
	scratch_store_dwordx4 v26, v[188:191], off
	scratch_store_dwordx4 v1, v[2:5], off
	scratch_store_dwordx4 off, v[10:13], off offset:480
	scratch_store_dwordx4 off, v[14:17], s33
	scratch_store_dwordx4 off, v[22:25], s59
	;; [unrolled: 1-line block ×19, first 2 shown]
	s_waitcnt lgkmcnt(2)
	scratch_store_dwordx4 off, v[192:195], s77
	s_waitcnt lgkmcnt(0)
	scratch_store_dwordx4 off, v[196:199], s66
	s_and_saveexec_b64 s[6:7], s[10:11]
	s_cbranch_execnz .LBB2057_95
	s_branch .LBB2057_96
.LBB2057_818:
	s_cbranch_execz .LBB2057_1278
; %bb.819:
	v_readlane_b32 s2, v200, 8
	v_readlane_b32 s3, v200, 9
	s_cmp_lg_u64 s[2:3], 0
	s_cselect_b32 s9, s71, 0
	s_cselect_b32 s8, s70, 0
	s_cmp_lg_u64 s[8:9], 0
	s_cselect_b64 s[4:5], -1, 0
	v_cmp_eq_u32_e32 vcc, 0, v0
	v_cmp_ne_u32_e64 s[2:3], 0, v0
	s_and_b64 s[4:5], vcc, s[4:5]
	s_and_saveexec_b64 s[6:7], s[4:5]
	s_cbranch_execz .LBB2057_829
; %bb.820:
	scratch_load_ubyte v1, off, off offset:496
                                        ; implicit-def: $vgpr4_vgpr5
	s_waitcnt vmcnt(0)
	v_cmp_ne_u16_e64 s[4:5], 0, v1
	s_and_saveexec_b64 s[10:11], s[4:5]
	s_xor_b64 s[4:5], exec, s[10:11]
	s_cbranch_execz .LBB2057_822
; %bb.821:
	scratch_load_dwordx4 v[2:5], off, off offset:480
.LBB2057_822:
	s_andn2_saveexec_b64 s[4:5], s[4:5]
	s_cbranch_execz .LBB2057_828
; %bb.823:
	s_waitcnt vmcnt(0)
	v_mov_b32_e32 v2, 0
	s_mov_b32 s10, 0
	v_mov_b32_e32 v3, v2
.LBB2057_824:                           ; =>This Inner Loop Header: Depth=1
	s_add_i32 s11, s10, 0x50
	s_add_i32 s10, s10, 8
	s_cmp_lg_u32 s10, 16
	scratch_store_dwordx2 off, v[2:3], s11
	s_cbranch_scc1 .LBB2057_824
; %bb.825:
	s_mov_b32 s12, 0
	v_mov_b32_e32 v2, 0
	s_mov_b64 s[10:11], s[8:9]
.LBB2057_826:                           ; =>This Inner Loop Header: Depth=1
	s_add_i32 s13, s12, 0x1e0
	global_load_dwordx2 v[4:5], v2, s[10:11]
	scratch_load_dwordx2 v[6:7], off, s13
	s_add_i32 s13, s12, 0x50
	s_add_u32 s10, s10, 8
	s_addc_u32 s11, s11, 0
	s_add_i32 s12, s12, 8
	s_cmp_lg_u32 s12, 16
	s_waitcnt vmcnt(0)
	v_add_u32_e32 v5, v7, v5
	v_add_u32_e32 v4, v6, v4
	scratch_store_dwordx2 off, v[4:5], s13
	s_cbranch_scc1 .LBB2057_826
; %bb.827:
	scratch_load_dwordx4 v[2:5], off, off offset:80
.LBB2057_828:
	s_or_b64 exec, exec, s[4:5]
	v_mov_b32_e32 v6, 0
	global_load_ubyte v6, v6, s[8:9] offset:16
	s_waitcnt vmcnt(0)
	v_or_b32_e32 v1, v1, v6
	v_and_b32_e32 v1, 1, v1
	scratch_store_dwordx4 off, v[2:5], off offset:480
	scratch_store_byte off, v1, off offset:496
.LBB2057_829:
	s_or_b64 exec, exec, s[6:7]
	v_mov_b32_e32 v2, 0
	s_mov_b32 s4, 0
	v_mov_b32_e32 v3, v2
	v_mov_b32_e32 v4, v2
	;; [unrolled: 1-line block ×3, first 2 shown]
	scratch_store_dword off, v2, off offset:72
	scratch_store_dwordx4 off, v[2:5], off offset:56
.LBB2057_830:                           ; =>This Inner Loop Header: Depth=1
	s_add_i32 s5, s4, 56
	s_add_i32 s4, s4, 8
	s_cmp_lg_u32 s4, 16
	scratch_store_dwordx2 off, v[2:3], s5
	s_cbranch_scc1 .LBB2057_830
; %bb.831:
	v_mov_b32_e32 v2, 0
	s_mov_b32 s4, 0
	v_mov_b32_e32 v3, v2
	scratch_store_byte off, v2, off offset:72
	scratch_store_dword off, v2, off offset:96
.LBB2057_832:                           ; =>This Inner Loop Header: Depth=1
	s_add_i32 s5, s4, 0x50
	s_add_i32 s4, s4, 8
	s_cmp_lg_u32 s4, 16
	scratch_store_dwordx2 off, v[2:3], s5
	s_cbranch_scc1 .LBB2057_832
; %bb.833:
	scratch_load_dwordx4 v[2:5], off, off offset:480
	scratch_load_ubyte v1, off, off offset:496
	scratch_load_ubyte v6, off, off offset:516
	s_waitcnt vmcnt(2)
	scratch_store_dwordx4 off, v[2:5], off offset:80
	s_waitcnt vmcnt(2)
	scratch_store_byte off, v1, off offset:96
	s_waitcnt vmcnt(2)
	v_cmp_ne_u16_e64 s[4:5], 0, v6
                                        ; implicit-def: $vgpr4_vgpr5
	s_and_saveexec_b64 s[6:7], s[4:5]
	s_xor_b64 s[4:5], exec, s[6:7]
	s_cbranch_execz .LBB2057_835
; %bb.834:
	scratch_load_dwordx4 v[2:5], off, off offset:500
.LBB2057_835:
	s_andn2_saveexec_b64 s[4:5], s[4:5]
	s_cbranch_execz .LBB2057_841
; %bb.836:
	s_waitcnt vmcnt(0)
	v_mov_b32_e32 v2, 0
	s_mov_b32 s6, 0
	v_mov_b32_e32 v3, v2
.LBB2057_837:                           ; =>This Inner Loop Header: Depth=1
	s_add_i32 s7, s6, 16
	s_add_i32 s6, s6, 8
	s_cmp_lg_u32 s6, 16
	scratch_store_dwordx2 off, v[2:3], s7
	s_cbranch_scc1 .LBB2057_837
; %bb.838:
	s_mov_b32 s6, 0
.LBB2057_839:                           ; =>This Inner Loop Header: Depth=1
	s_add_i32 s7, s6, 0x50
	s_add_i32 s8, s33, s6
	scratch_load_dwordx2 v[2:3], off, s7
	scratch_load_dwordx2 v[4:5], off, s8
	s_add_i32 s7, s6, 16
	s_add_i32 s6, s6, 8
	s_cmp_lg_u32 s6, 16
	s_waitcnt vmcnt(0)
	v_add_u32_e32 v3, v5, v3
	v_add_u32_e32 v2, v4, v2
	scratch_store_dwordx2 off, v[2:3], s7
	s_cbranch_scc1 .LBB2057_839
; %bb.840:
	scratch_load_dwordx4 v[2:5], off, off offset:16
.LBB2057_841:
	s_or_b64 exec, exec, s[4:5]
	scratch_load_ubyte v7, off, off offset:536
	s_waitcnt vmcnt(0)
	v_cmp_ne_u16_e64 s[4:5], 0, v7
	scratch_store_dwordx4 off, v[2:5], off offset:80
                                        ; implicit-def: $vgpr4_vgpr5
	s_and_saveexec_b64 s[6:7], s[4:5]
	s_xor_b64 s[4:5], exec, s[6:7]
	s_cbranch_execz .LBB2057_843
; %bb.842:
	scratch_load_dwordx4 v[2:5], off, off offset:520
.LBB2057_843:
	s_andn2_saveexec_b64 s[4:5], s[4:5]
	s_cbranch_execz .LBB2057_849
; %bb.844:
	s_waitcnt vmcnt(0)
	v_mov_b32_e32 v2, 0
	s_mov_b32 s6, 0
	v_mov_b32_e32 v3, v2
.LBB2057_845:                           ; =>This Inner Loop Header: Depth=1
	s_add_i32 s7, s6, 16
	s_add_i32 s6, s6, 8
	s_cmp_lg_u32 s6, 16
	scratch_store_dwordx2 off, v[2:3], s7
	s_cbranch_scc1 .LBB2057_845
; %bb.846:
	s_mov_b32 s6, 0
.LBB2057_847:                           ; =>This Inner Loop Header: Depth=1
	s_add_i32 s7, s6, 0x50
	s_add_i32 s8, s59, s6
	scratch_load_dwordx2 v[2:3], off, s7
	scratch_load_dwordx2 v[4:5], off, s8
	s_add_i32 s7, s6, 16
	s_add_i32 s6, s6, 8
	s_cmp_lg_u32 s6, 16
	s_waitcnt vmcnt(0)
	v_add_u32_e32 v3, v5, v3
	v_add_u32_e32 v2, v4, v2
	scratch_store_dwordx2 off, v[2:3], s7
	s_cbranch_scc1 .LBB2057_847
; %bb.848:
	scratch_load_dwordx4 v[2:5], off, off offset:16
.LBB2057_849:
	s_or_b64 exec, exec, s[4:5]
	scratch_load_ubyte v8, off, off offset:556
	s_waitcnt vmcnt(0)
	v_cmp_ne_u16_e64 s[4:5], 0, v8
	scratch_store_dwordx4 off, v[2:5], off offset:80
	;; [unrolled: 43-line block ×21, first 2 shown]
                                        ; implicit-def: $vgpr4_vgpr5
	s_and_saveexec_b64 s[6:7], s[4:5]
	s_xor_b64 s[4:5], exec, s[6:7]
	s_cbranch_execz .LBB2057_1003
; %bb.1002:
	scratch_load_dwordx4 v[2:5], off, off offset:920
.LBB2057_1003:
	s_andn2_saveexec_b64 s[4:5], s[4:5]
	s_cbranch_execz .LBB2057_1009
; %bb.1004:
	s_waitcnt vmcnt(0)
	v_mov_b32_e32 v2, 0
	s_mov_b32 s6, 0
	v_mov_b32_e32 v3, v2
.LBB2057_1005:                          ; =>This Inner Loop Header: Depth=1
	s_add_i32 s7, s6, 16
	s_add_i32 s6, s6, 8
	s_cmp_lg_u32 s6, 16
	scratch_store_dwordx2 off, v[2:3], s7
	s_cbranch_scc1 .LBB2057_1005
; %bb.1006:
	s_mov_b32 s6, 0
.LBB2057_1007:                          ; =>This Inner Loop Header: Depth=1
	s_add_i32 s7, s6, 0x50
	s_add_i32 s8, s67, s6
	scratch_load_dwordx2 v[2:3], off, s7
	scratch_load_dwordx2 v[4:5], off, s8
	s_add_i32 s7, s6, 16
	s_add_i32 s6, s6, 8
	s_cmp_lg_u32 s6, 16
	s_waitcnt vmcnt(0)
	v_add_u32_e32 v3, v5, v3
	v_add_u32_e32 v2, v4, v2
	scratch_store_dwordx2 off, v[2:3], s7
	s_cbranch_scc1 .LBB2057_1007
; %bb.1008:
	scratch_load_dwordx4 v[2:5], off, off offset:16
.LBB2057_1009:
	s_or_b64 exec, exec, s[4:5]
	scratch_load_ushort v29, off, off offset:97
	scratch_load_ubyte v17, off, off offset:99
	v_or_b32_e32 v27, v28, v27
	v_or_b32_e32 v26, v27, v26
	;; [unrolled: 1-line block ×20, first 2 shown]
	v_mov_b32_e32 v28, 8
	v_or_b32_e32 v6, v7, v6
	v_lshrrev_b32_e32 v30, 5, v0
	v_or_b32_e32 v1, v6, v1
	v_add_u32_e32 v27, v30, v0
	v_mul_u32_u24_e32 v26, 20, v27
	v_and_b32_e32 v1, 1, v1
	v_cmp_gt_u32_e64 s[4:5], 64, v0
	s_waitcnt vmcnt(2)
	ds_write2_b32 v26, v2, v3 offset1:1
	ds_write2_b32 v26, v4, v5 offset0:2 offset1:3
	ds_write_b8 v26, v1 offset:16
	s_waitcnt lgkmcnt(0)
	s_barrier
	s_waitcnt vmcnt(1)
	v_lshrrev_b32_sdwa v6, v28, v29 dst_sel:BYTE_1 dst_unused:UNUSED_PAD src0_sel:DWORD src1_sel:DWORD
	s_nop 0
	v_or_b32_sdwa v6, v29, v6 dst_sel:DWORD dst_unused:UNUSED_PAD src0_sel:BYTE_0 src1_sel:DWORD
	v_and_b32_e32 v12, 0xffff, v6
	s_and_saveexec_b64 s[8:9], s[4:5]
	s_cbranch_execz .LBB2057_1085
; %bb.1010:
	v_lshrrev_b32_e32 v6, 4, v0
	v_lshl_add_u32 v11, v0, 1, v6
	v_mul_u32_u24_e32 v14, 20, v11
	ds_read_u8 v10, v14 offset:36
	ds_read_b32 v13, v14 offset:16
	ds_read2_b32 v[8:9], v14 offset0:2 offset1:3
	ds_read2_b32 v[6:7], v14 offset1:1
	s_waitcnt lgkmcnt(2)
	scratch_store_dword off, v13, off offset:32
	s_waitcnt lgkmcnt(0)
	scratch_store_dwordx4 off, v[6:9], off offset:16
	v_mad_u32_u24 v13, v11, 20, 20
	v_cmp_ne_u16_e64 s[4:5], 0, v10
                                        ; implicit-def: $vgpr6_vgpr7
	s_and_saveexec_b64 s[6:7], s[4:5]
	s_xor_b64 s[4:5], exec, s[6:7]
	s_cbranch_execz .LBB2057_1012
; %bb.1011:
	ds_read2_b32 v[6:7], v13 offset1:1
	ds_read2_b32 v[8:9], v13 offset0:2 offset1:3
.LBB2057_1012:
	s_andn2_saveexec_b64 s[4:5], s[4:5]
	s_cbranch_execz .LBB2057_1018
; %bb.1013:
	s_waitcnt lgkmcnt(1)
	v_mov_b32_e32 v6, 0
	s_mov_b32 s6, 0
	v_mov_b32_e32 v7, v6
.LBB2057_1014:                          ; =>This Inner Loop Header: Depth=1
	s_add_i32 s7, s6, 0x50
	s_add_i32 s6, s6, 8
	s_cmp_lg_u32 s6, 16
	scratch_store_dwordx2 off, v[6:7], s7
	s_cbranch_scc1 .LBB2057_1014
; %bb.1015:
	s_mov_b32 s6, 0
.LBB2057_1016:                          ; =>This Inner Loop Header: Depth=1
	s_add_i32 s7, s6, 16
	scratch_load_dwordx2 v[6:7], off, s7
	s_waitcnt lgkmcnt(0)
	v_add_u32_e32 v8, s6, v13
	ds_read2_b32 v[8:9], v8 offset1:1
	s_add_i32 s7, s6, 0x50
	s_add_i32 s6, s6, 8
	s_cmp_lg_u32 s6, 16
	s_waitcnt vmcnt(0) lgkmcnt(0)
	v_add_u32_e32 v7, v9, v7
	v_add_u32_e32 v6, v8, v6
	scratch_store_dwordx2 off, v[6:7], s7
	s_cbranch_scc1 .LBB2057_1016
; %bb.1017:
	scratch_load_dwordx4 v[6:9], off, off offset:80
.LBB2057_1018:
	s_or_b64 exec, exec, s[4:5]
	scratch_load_ubyte v11, off, off offset:32
	s_waitcnt vmcnt(1) lgkmcnt(1)
	v_mov_b32_dpp v18, v6 row_shr:1 row_mask:0xf bank_mask:0xf
	v_mov_b32_dpp v19, v7 row_shr:1 row_mask:0xf bank_mask:0xf
	s_waitcnt lgkmcnt(0)
	v_mov_b32_dpp v20, v8 row_shr:1 row_mask:0xf bank_mask:0xf
	v_mov_b32_dpp v21, v9 row_shr:1 row_mask:0xf bank_mask:0xf
	scratch_store_dwordx4 off, v[18:21], off offset:80
	scratch_store_dwordx4 off, v[6:9], off offset:16
	s_waitcnt vmcnt(2)
	v_or_b32_e32 v10, v10, v11
	v_and_b32_e32 v10, 1, v10
	scratch_store_byte off, v10, off offset:32
	scratch_load_dword v16, off, off offset:32
	v_mbcnt_lo_u32_b32 v10, -1, 0
	v_mbcnt_hi_u32_b32 v15, -1, v10
	v_and_b32_e32 v18, 15, v15
	v_cmp_ne_u32_e64 s[4:5], 0, v18
	s_waitcnt vmcnt(0)
	v_mov_b32_dpp v19, v16 row_shr:1 row_mask:0xf bank_mask:0xf
	scratch_store_dword off, v19, off offset:96
	s_and_saveexec_b64 s[6:7], s[4:5]
	s_cbranch_execz .LBB2057_1026
; %bb.1019:
	v_mov_b32_e32 v10, 0
	v_cmp_eq_u16_sdwa s[10:11], v16, v10 src0_sel:BYTE_0 src1_sel:DWORD
	s_and_saveexec_b64 s[4:5], s[10:11]
	s_cbranch_execz .LBB2057_1025
; %bb.1020:
	s_mov_b32 s10, 0
	v_mov_b32_e32 v11, v10
.LBB2057_1021:                          ; =>This Inner Loop Header: Depth=1
	s_add_i32 s11, s10, 36
	s_add_i32 s10, s10, 8
	s_cmp_lg_u32 s10, 16
	scratch_store_dwordx2 off, v[10:11], s11
	s_cbranch_scc1 .LBB2057_1021
; %bb.1022:
	s_mov_b32 s10, 0
.LBB2057_1023:                          ; =>This Inner Loop Header: Depth=1
	s_add_i32 s11, s10, 0x50
	s_add_i32 s12, s10, 16
	scratch_load_dwordx2 v[6:7], off, s11
	scratch_load_dwordx2 v[8:9], off, s12
	s_add_i32 s11, s10, 36
	s_add_i32 s10, s10, 8
	s_cmp_lg_u32 s10, 16
	s_waitcnt vmcnt(0)
	v_add_u32_e32 v7, v9, v7
	v_add_u32_e32 v6, v8, v6
	scratch_store_dwordx2 off, v[6:7], s11
	s_cbranch_scc1 .LBB2057_1023
; %bb.1024:
	scratch_load_dwordx4 v[6:9], off, off offset:36
.LBB2057_1025:
	s_or_b64 exec, exec, s[4:5]
	v_or_b32_e32 v10, v19, v16
	v_and_b32_e32 v10, 1, v10
	scratch_store_byte off, v10, off offset:32
	scratch_load_dword v16, off, off offset:32
	s_waitcnt vmcnt(2)
	scratch_store_dwordx4 off, v[6:9], off offset:16
.LBB2057_1026:
	s_or_b64 exec, exec, s[6:7]
	v_mov_b32_dpp v20, v6 row_shr:2 row_mask:0xf bank_mask:0xf
	v_mov_b32_dpp v21, v7 row_shr:2 row_mask:0xf bank_mask:0xf
	v_mov_b32_dpp v22, v8 row_shr:2 row_mask:0xf bank_mask:0xf
	v_mov_b32_dpp v23, v9 row_shr:2 row_mask:0xf bank_mask:0xf
	s_waitcnt vmcnt(1)
	v_mov_b32_dpp v19, v16 row_shr:2 row_mask:0xf bank_mask:0xf
	v_cmp_lt_u32_e64 s[4:5], 1, v18
	scratch_store_dwordx4 off, v[20:23], off offset:80
	scratch_store_dword off, v19, off offset:96
	s_and_saveexec_b64 s[10:11], s[4:5]
	s_cbranch_execz .LBB2057_1034
; %bb.1027:
	v_mov_b32_e32 v10, 0
	s_mov_b32 s6, 0
	v_cmp_eq_u16_sdwa s[12:13], v16, v10 src0_sel:BYTE_0 src1_sel:DWORD
	s_and_saveexec_b64 s[4:5], s[12:13]
	s_cbranch_execz .LBB2057_1033
; %bb.1028:
	v_mov_b32_e32 v11, v10
.LBB2057_1029:                          ; =>This Inner Loop Header: Depth=1
	s_add_i32 s7, s6, 36
	s_add_i32 s6, s6, 8
	s_cmp_lg_u32 s6, 16
	scratch_store_dwordx2 off, v[10:11], s7
	s_cbranch_scc1 .LBB2057_1029
; %bb.1030:
	s_mov_b32 s6, 0
.LBB2057_1031:                          ; =>This Inner Loop Header: Depth=1
	s_add_i32 s7, s6, 0x50
	s_add_i32 s12, s6, 16
	scratch_load_dwordx2 v[6:7], off, s7
	scratch_load_dwordx2 v[8:9], off, s12
	s_add_i32 s7, s6, 36
	s_add_i32 s6, s6, 8
	s_cmp_lg_u32 s6, 16
	s_waitcnt vmcnt(0)
	v_add_u32_e32 v7, v9, v7
	v_add_u32_e32 v6, v8, v6
	scratch_store_dwordx2 off, v[6:7], s7
	s_cbranch_scc1 .LBB2057_1031
; %bb.1032:
	scratch_load_dwordx4 v[6:9], off, off offset:36
.LBB2057_1033:
	s_or_b64 exec, exec, s[4:5]
	v_and_b32_e32 v10, 1, v16
	v_cmp_eq_u32_e64 s[4:5], 1, v10
	v_and_b32_e32 v10, 1, v19
	v_cmp_eq_u32_e64 s[6:7], 1, v10
	s_or_b64 s[4:5], s[4:5], s[6:7]
	v_cndmask_b32_e64 v10, 0, 1, s[4:5]
	scratch_store_byte off, v10, off offset:32
	scratch_load_dword v16, off, off offset:32
	s_waitcnt vmcnt(2)
	scratch_store_dwordx4 off, v[6:9], off offset:16
.LBB2057_1034:
	s_or_b64 exec, exec, s[10:11]
	v_mov_b32_dpp v20, v6 row_shr:4 row_mask:0xf bank_mask:0xf
	v_mov_b32_dpp v21, v7 row_shr:4 row_mask:0xf bank_mask:0xf
	v_mov_b32_dpp v22, v8 row_shr:4 row_mask:0xf bank_mask:0xf
	v_mov_b32_dpp v23, v9 row_shr:4 row_mask:0xf bank_mask:0xf
	s_waitcnt vmcnt(1)
	v_mov_b32_dpp v19, v16 row_shr:4 row_mask:0xf bank_mask:0xf
	v_cmp_lt_u32_e64 s[4:5], 3, v18
	scratch_store_dwordx4 off, v[20:23], off offset:80
	scratch_store_dword off, v19, off offset:96
	s_and_saveexec_b64 s[10:11], s[4:5]
	s_cbranch_execz .LBB2057_1042
; %bb.1035:
	v_mov_b32_e32 v10, 0
	s_mov_b32 s6, 0
	v_cmp_eq_u16_sdwa s[12:13], v16, v10 src0_sel:BYTE_0 src1_sel:DWORD
	s_and_saveexec_b64 s[4:5], s[12:13]
	s_cbranch_execz .LBB2057_1041
; %bb.1036:
	v_mov_b32_e32 v11, v10
.LBB2057_1037:                          ; =>This Inner Loop Header: Depth=1
	s_add_i32 s7, s6, 36
	s_add_i32 s6, s6, 8
	s_cmp_lg_u32 s6, 16
	scratch_store_dwordx2 off, v[10:11], s7
	s_cbranch_scc1 .LBB2057_1037
; %bb.1038:
	s_mov_b32 s6, 0
.LBB2057_1039:                          ; =>This Inner Loop Header: Depth=1
	s_add_i32 s7, s6, 0x50
	s_add_i32 s12, s6, 16
	scratch_load_dwordx2 v[6:7], off, s7
	scratch_load_dwordx2 v[8:9], off, s12
	s_add_i32 s7, s6, 36
	s_add_i32 s6, s6, 8
	s_cmp_lg_u32 s6, 16
	s_waitcnt vmcnt(0)
	v_add_u32_e32 v7, v9, v7
	v_add_u32_e32 v6, v8, v6
	scratch_store_dwordx2 off, v[6:7], s7
	s_cbranch_scc1 .LBB2057_1039
; %bb.1040:
	scratch_load_dwordx4 v[6:9], off, off offset:36
.LBB2057_1041:
	s_or_b64 exec, exec, s[4:5]
	v_and_b32_e32 v10, 1, v16
	v_cmp_eq_u32_e64 s[4:5], 1, v10
	v_and_b32_e32 v10, 1, v19
	v_cmp_eq_u32_e64 s[6:7], 1, v10
	s_or_b64 s[4:5], s[4:5], s[6:7]
	v_cndmask_b32_e64 v10, 0, 1, s[4:5]
	scratch_store_byte off, v10, off offset:32
	scratch_load_dword v16, off, off offset:32
	s_waitcnt vmcnt(2)
	scratch_store_dwordx4 off, v[6:9], off offset:16
.LBB2057_1042:
	;; [unrolled: 56-line block ×3, first 2 shown]
	s_or_b64 exec, exec, s[10:11]
	v_and_b32_e32 v10, 16, v15
	v_mov_b32_dpp v20, v6 row_bcast:15 row_mask:0xf bank_mask:0xf
	v_mov_b32_dpp v21, v7 row_bcast:15 row_mask:0xf bank_mask:0xf
	;; [unrolled: 1-line block ×4, first 2 shown]
	s_waitcnt vmcnt(1)
	v_mov_b32_dpp v18, v16 row_bcast:15 row_mask:0xf bank_mask:0xf
	v_cmp_ne_u32_e64 s[4:5], 0, v10
	scratch_store_dwordx4 off, v[20:23], off offset:80
	scratch_store_dword off, v18, off offset:96
	s_and_saveexec_b64 s[10:11], s[4:5]
	s_cbranch_execz .LBB2057_1058
; %bb.1051:
	v_mov_b32_e32 v10, 0
	s_mov_b32 s6, 0
	v_cmp_eq_u16_sdwa s[12:13], v16, v10 src0_sel:BYTE_0 src1_sel:DWORD
	s_and_saveexec_b64 s[4:5], s[12:13]
	s_cbranch_execz .LBB2057_1057
; %bb.1052:
	v_mov_b32_e32 v11, v10
.LBB2057_1053:                          ; =>This Inner Loop Header: Depth=1
	s_add_i32 s7, s6, 36
	s_add_i32 s6, s6, 8
	s_cmp_lg_u32 s6, 16
	scratch_store_dwordx2 off, v[10:11], s7
	s_cbranch_scc1 .LBB2057_1053
; %bb.1054:
	s_mov_b32 s6, 0
.LBB2057_1055:                          ; =>This Inner Loop Header: Depth=1
	s_add_i32 s7, s6, 0x50
	s_add_i32 s12, s6, 16
	scratch_load_dwordx2 v[6:7], off, s7
	scratch_load_dwordx2 v[8:9], off, s12
	s_add_i32 s7, s6, 36
	s_add_i32 s6, s6, 8
	s_cmp_lg_u32 s6, 16
	s_waitcnt vmcnt(0)
	v_add_u32_e32 v7, v9, v7
	v_add_u32_e32 v6, v8, v6
	scratch_store_dwordx2 off, v[6:7], s7
	s_cbranch_scc1 .LBB2057_1055
; %bb.1056:
	scratch_load_dwordx4 v[6:9], off, off offset:36
.LBB2057_1057:
	s_or_b64 exec, exec, s[4:5]
	v_and_b32_e32 v10, 1, v16
	v_cmp_eq_u32_e64 s[4:5], 1, v10
	v_and_b32_e32 v10, 1, v18
	v_cmp_eq_u32_e64 s[6:7], 1, v10
	s_or_b64 s[4:5], s[4:5], s[6:7]
	v_cndmask_b32_e64 v10, 0, 1, s[4:5]
	scratch_store_byte off, v10, off offset:32
	scratch_load_dword v16, off, off offset:32
	s_waitcnt vmcnt(2)
	scratch_store_dwordx4 off, v[6:9], off offset:16
.LBB2057_1058:
	s_or_b64 exec, exec, s[10:11]
	v_mov_b32_dpp v20, v6 row_bcast:31 row_mask:0xf bank_mask:0xf
	v_mov_b32_dpp v21, v7 row_bcast:31 row_mask:0xf bank_mask:0xf
	;; [unrolled: 1-line block ×4, first 2 shown]
	s_waitcnt vmcnt(1)
	v_mov_b32_dpp v18, v16 row_bcast:31 row_mask:0xf bank_mask:0xf
	v_cmp_lt_u32_e64 s[4:5], 31, v15
	scratch_store_dwordx4 off, v[20:23], off offset:80
	scratch_store_dword off, v18, off offset:96
	s_and_saveexec_b64 s[10:11], s[4:5]
	s_cbranch_execz .LBB2057_1066
; %bb.1059:
	v_mov_b32_e32 v10, 0
	s_mov_b32 s6, 0
	v_cmp_eq_u16_sdwa s[12:13], v16, v10 src0_sel:BYTE_0 src1_sel:DWORD
	s_and_saveexec_b64 s[4:5], s[12:13]
	s_cbranch_execz .LBB2057_1065
; %bb.1060:
	v_mov_b32_e32 v11, v10
.LBB2057_1061:                          ; =>This Inner Loop Header: Depth=1
	s_add_i32 s7, s6, 36
	s_add_i32 s6, s6, 8
	s_cmp_lg_u32 s6, 16
	scratch_store_dwordx2 off, v[10:11], s7
	s_cbranch_scc1 .LBB2057_1061
; %bb.1062:
	s_mov_b32 s6, 0
.LBB2057_1063:                          ; =>This Inner Loop Header: Depth=1
	s_add_i32 s7, s6, 0x50
	s_add_i32 s12, s6, 16
	scratch_load_dwordx2 v[6:7], off, s7
	scratch_load_dwordx2 v[8:9], off, s12
	s_add_i32 s7, s6, 36
	s_add_i32 s6, s6, 8
	s_cmp_lg_u32 s6, 16
	s_waitcnt vmcnt(0)
	v_add_u32_e32 v7, v9, v7
	v_add_u32_e32 v6, v8, v6
	scratch_store_dwordx2 off, v[6:7], s7
	s_cbranch_scc1 .LBB2057_1063
; %bb.1064:
	scratch_load_dwordx4 v[6:9], off, off offset:36
.LBB2057_1065:
	s_or_b64 exec, exec, s[4:5]
	v_and_b32_e32 v10, 1, v16
	v_cmp_eq_u32_e64 s[4:5], 1, v10
	v_and_b32_e32 v10, 1, v18
	v_cmp_eq_u32_e64 s[6:7], 1, v10
	s_or_b64 s[4:5], s[4:5], s[6:7]
	v_cndmask_b32_e64 v10, 0, 1, s[4:5]
	scratch_store_byte off, v10, off offset:32
	scratch_load_dword v16, off, off offset:32
.LBB2057_1066:
	s_or_b64 exec, exec, s[10:11]
	v_add_u32_e32 v10, -1, v15
	v_and_b32_e32 v11, 64, v15
	v_cmp_lt_i32_e64 s[4:5], v10, v11
	ds_read_u8 v11, v14 offset:16
	s_nop 0
	v_cndmask_b32_e64 v10, v10, v15, s[4:5]
	v_lshlrev_b32_e32 v10, 2, v10
	s_waitcnt vmcnt(2)
	ds_bpermute_b32 v6, v10, v6
	ds_bpermute_b32 v7, v10, v7
	;; [unrolled: 1-line block ×4, first 2 shown]
	s_waitcnt vmcnt(0)
	ds_bpermute_b32 v10, v10, v16
	s_waitcnt lgkmcnt(5)
	v_cmp_ne_u16_e64 s[4:5], 0, v11
	s_waitcnt lgkmcnt(1)
	scratch_store_dwordx4 off, v[6:9], off offset:16
                                        ; implicit-def: $vgpr8_vgpr9
	s_and_saveexec_b64 s[6:7], s[4:5]
	s_xor_b64 s[4:5], exec, s[6:7]
	s_cbranch_execz .LBB2057_1068
; %bb.1067:
	ds_read2_b32 v[6:7], v14 offset1:1
	ds_read2_b32 v[8:9], v14 offset0:2 offset1:3
.LBB2057_1068:
	s_andn2_saveexec_b64 s[4:5], s[4:5]
	s_cbranch_execz .LBB2057_1074
; %bb.1069:
	s_waitcnt lgkmcnt(1)
	v_mov_b32_e32 v6, 0
	s_mov_b32 s6, 0
	v_mov_b32_e32 v7, v6
.LBB2057_1070:                          ; =>This Inner Loop Header: Depth=1
	s_add_i32 s7, s6, 0x50
	s_add_i32 s6, s6, 8
	s_cmp_lg_u32 s6, 16
	scratch_store_dwordx2 off, v[6:7], s7
	s_cbranch_scc1 .LBB2057_1070
; %bb.1071:
	s_mov_b32 s6, 0
.LBB2057_1072:                          ; =>This Inner Loop Header: Depth=1
	s_add_i32 s7, s6, 16
	scratch_load_dwordx2 v[6:7], off, s7
	s_waitcnt lgkmcnt(0)
	v_add_u32_e32 v8, s6, v14
	ds_read2_b32 v[8:9], v8 offset1:1
	s_add_i32 s7, s6, 0x50
	s_add_i32 s6, s6, 8
	s_cmp_lg_u32 s6, 16
	s_waitcnt vmcnt(0) lgkmcnt(0)
	v_add_u32_e32 v7, v9, v7
	v_add_u32_e32 v6, v8, v6
	scratch_store_dwordx2 off, v[6:7], s7
	s_cbranch_scc1 .LBB2057_1072
; %bb.1073:
	scratch_load_dwordx4 v[6:9], off, off offset:80
.LBB2057_1074:
	s_or_b64 exec, exec, s[4:5]
	v_and_b32_e32 v11, 1, v11
	s_waitcnt lgkmcnt(0)
	v_and_b32_e32 v10, 1, v10
	v_cmp_eq_u32_e64 s[4:5], 1, v11
	v_cmp_eq_u32_e64 s[6:7], 1, v10
	s_or_b64 s[4:5], s[6:7], s[4:5]
	v_cndmask_b32_e64 v10, 0, 1, s[4:5]
	s_waitcnt vmcnt(0)
	scratch_store_dwordx4 off, v[6:9], off offset:16
	scratch_store_byte off, v10, off offset:32
	s_and_saveexec_b64 s[4:5], vcc
	s_cbranch_execz .LBB2057_1076
; %bb.1075:
	scratch_store_dwordx4 off, v[2:5], off offset:16
	scratch_store_byte off, v1, off offset:32
.LBB2057_1076:
	s_or_b64 exec, exec, s[4:5]
	; wave barrier
	scratch_load_dwordx4 v[6:9], off, off offset:16
	scratch_load_ubyte v10, off, off offset:32
	s_waitcnt vmcnt(1)
	ds_write2_b32 v14, v8, v9 offset0:2 offset1:3
	ds_write2_b32 v14, v6, v7 offset1:1
	s_waitcnt vmcnt(0)
	ds_write_b8 v14, v10 offset:16
	; wave barrier
	ds_read_u8 v10, v14 offset:36
                                        ; implicit-def: $vgpr8_vgpr9
	s_waitcnt lgkmcnt(0)
	v_cmp_ne_u16_e64 s[4:5], 0, v10
	s_and_saveexec_b64 s[6:7], s[4:5]
	s_xor_b64 s[4:5], exec, s[6:7]
	s_cbranch_execz .LBB2057_1078
; %bb.1077:
	ds_read2_b32 v[6:7], v13 offset1:1
	ds_read2_b32 v[8:9], v13 offset0:2 offset1:3
.LBB2057_1078:
	s_andn2_saveexec_b64 s[4:5], s[4:5]
	s_cbranch_execz .LBB2057_1084
; %bb.1079:
	s_waitcnt lgkmcnt(1)
	v_mov_b32_e32 v6, 0
	s_mov_b32 s6, 0
	v_mov_b32_e32 v7, v6
.LBB2057_1080:                          ; =>This Inner Loop Header: Depth=1
	s_add_i32 s7, s6, 0x50
	s_add_i32 s6, s6, 8
	s_cmp_lg_u32 s6, 16
	scratch_store_dwordx2 off, v[6:7], s7
	s_cbranch_scc1 .LBB2057_1080
; %bb.1081:
	s_mov_b32 s6, 0
.LBB2057_1082:                          ; =>This Inner Loop Header: Depth=1
	s_add_i32 s7, s6, 16
	scratch_load_dwordx2 v[6:7], off, s7
	s_waitcnt lgkmcnt(0)
	v_add_u32_e32 v8, s6, v13
	ds_read2_b32 v[8:9], v8 offset1:1
	s_add_i32 s7, s6, 0x50
	s_add_i32 s6, s6, 8
	s_cmp_lg_u32 s6, 16
	s_waitcnt vmcnt(0) lgkmcnt(0)
	v_add_u32_e32 v7, v9, v7
	v_add_u32_e32 v6, v8, v6
	scratch_store_dwordx2 off, v[6:7], s7
	s_cbranch_scc1 .LBB2057_1082
; %bb.1083:
	scratch_load_dwordx4 v[6:9], off, off offset:80
.LBB2057_1084:
	s_or_b64 exec, exec, s[4:5]
	scratch_load_ubyte v11, off, off offset:32
	s_waitcnt vmcnt(1) lgkmcnt(0)
	ds_write2_b32 v13, v8, v9 offset0:2 offset1:3
	s_waitcnt vmcnt(0)
	v_or_b32_e32 v8, v10, v11
	v_and_b32_e32 v8, 1, v8
	ds_write2_b32 v13, v6, v7 offset1:1
	ds_write_b8 v13, v8 offset:16
.LBB2057_1085:
	s_or_b64 exec, exec, s[8:9]
	s_waitcnt vmcnt(0)
	v_lshl_or_b32 v7, v17, 16, v12
	s_waitcnt lgkmcnt(0)
	s_barrier
	s_and_saveexec_b64 s[4:5], s[2:3]
	s_cbranch_execz .LBB2057_1087
; %bb.1086:
	v_add_u32_e32 v1, -1, v0
	v_lshrrev_b32_e32 v2, 5, v1
	v_add_u32_e32 v1, v2, v1
	v_mul_lo_u32 v1, v1, 20
	ds_read2_b32 v[2:3], v1 offset1:1
	ds_read2_b32 v[4:5], v1 offset0:2 offset1:3
	ds_read_u8 v1, v1 offset:16
.LBB2057_1087:
	s_or_b64 exec, exec, s[4:5]
	scratch_load_dwordx4 v[8:11], off, off offset:480
	scratch_load_dword v6, off, off offset:496
	v_lshrrev_b32_e32 v12, 16, v7
	v_lshrrev_b32_e32 v13, 8, v7
	s_waitcnt lgkmcnt(1)
	scratch_store_dwordx4 off, v[2:5], off offset:16
                                        ; implicit-def: $vgpr4_vgpr5
	s_nop 1
	v_lshlrev_b16_e32 v2, 8, v7
	v_lshlrev_b16_e32 v3, 8, v12
	s_waitcnt lgkmcnt(0)
	v_or_b32_sdwa v2, v1, v2 dst_sel:DWORD dst_unused:UNUSED_PAD src0_sel:BYTE_0 src1_sel:DWORD
	v_or_b32_sdwa v3, v13, v3 dst_sel:WORD_1 dst_unused:UNUSED_PAD src0_sel:BYTE_0 src1_sel:DWORD
	s_nop 0
	v_or_b32_sdwa v2, v2, v3 dst_sel:DWORD dst_unused:UNUSED_PAD src0_sel:WORD_0 src1_sel:DWORD
	scratch_store_dword off, v2, off offset:32
	s_waitcnt vmcnt(3)
	scratch_store_dwordx4 off, v[8:11], off offset:36
	s_waitcnt vmcnt(3)
	scratch_store_dword off, v6, off offset:52
	s_and_saveexec_b64 s[4:5], s[2:3]
	s_xor_b64 s[2:3], exec, s[4:5]
	s_cbranch_execz .LBB2057_1097
; %bb.1088:
	v_mov_b32_e32 v2, 0
	v_cmp_ne_u16_sdwa s[4:5], v6, v2 src0_sel:BYTE_0 src1_sel:DWORD
                                        ; implicit-def: $vgpr4_vgpr5
	s_and_saveexec_b64 s[6:7], s[4:5]
	s_xor_b64 s[4:5], exec, s[6:7]
	s_cbranch_execz .LBB2057_1090
; %bb.1089:
	scratch_load_dwordx4 v[2:5], off, off offset:36
.LBB2057_1090:
	s_andn2_saveexec_b64 s[4:5], s[4:5]
	s_cbranch_execz .LBB2057_1096
; %bb.1091:
	s_waitcnt vmcnt(0)
	v_mov_b32_e32 v2, 0
	s_mov_b32 s6, 0
	v_mov_b32_e32 v3, v2
.LBB2057_1092:                          ; =>This Inner Loop Header: Depth=1
	s_add_i32 s7, s6, 0x50
	s_add_i32 s6, s6, 8
	s_cmp_lg_u32 s6, 16
	scratch_store_dwordx2 off, v[2:3], s7
	s_cbranch_scc1 .LBB2057_1092
; %bb.1093:
	s_mov_b32 s6, 0
.LBB2057_1094:                          ; =>This Inner Loop Header: Depth=1
	s_add_i32 s7, s6, 16
	s_add_i32 s8, s6, 36
	scratch_load_dwordx2 v[2:3], off, s7
	scratch_load_dwordx2 v[4:5], off, s8
	s_add_i32 s7, s6, 0x50
	s_add_i32 s6, s6, 8
	s_cmp_lg_u32 s6, 16
	s_waitcnt vmcnt(0)
	v_add_u32_e32 v3, v5, v3
	v_add_u32_e32 v2, v4, v2
	scratch_store_dwordx2 off, v[2:3], s7
	s_cbranch_scc1 .LBB2057_1094
; %bb.1095:
	scratch_load_dwordx4 v[2:5], off, off offset:80
.LBB2057_1096:
	s_or_b64 exec, exec, s[4:5]
	v_or_b32_e32 v1, v6, v1
	v_and_b32_e32 v6, 1, v1
	s_waitcnt vmcnt(0)
	scratch_store_dwordx4 off, v[2:5], off offset:36
	scratch_store_byte off, v6, off offset:52
	;;#ASMSTART
	;;#ASMEND
.LBB2057_1097:
	s_andn2_saveexec_b64 s[2:3], s[2:3]
	s_cbranch_execz .LBB2057_1099
; %bb.1098:
	scratch_load_dwordx4 v[2:5], off, off offset:36
.LBB2057_1099:
	s_or_b64 exec, exec, s[2:3]
	scratch_load_dwordx4 v[8:11], off, off offset:36
	scratch_load_ushort v7, off, off offset:53
	scratch_load_ubyte v12, off, off offset:55
	scratch_load_ubyte v1, off, off offset:516
	s_nop 0
	scratch_store_byte off, v6, off offset:496
	s_waitcnt vmcnt(5)
	scratch_store_dwordx4 off, v[2:5], off offset:80
	s_waitcnt vmcnt(5)
	scratch_store_dwordx4 off, v[8:11], off offset:480
	s_waitcnt vmcnt(5)
	v_lshrrev_b32_e32 v2, 8, v7
	v_lshlrev_b16_e32 v3, 8, v7
	s_waitcnt vmcnt(4)
	v_lshlrev_b16_e32 v4, 8, v12
	v_or_b32_sdwa v3, v6, v3 dst_sel:DWORD dst_unused:UNUSED_PAD src0_sel:BYTE_0 src1_sel:DWORD
	v_or_b32_sdwa v2, v2, v4 dst_sel:WORD_1 dst_unused:UNUSED_PAD src0_sel:BYTE_0 src1_sel:DWORD
	s_waitcnt vmcnt(3)
	v_cmp_ne_u16_e64 s[2:3], 0, v1
	v_or_b32_sdwa v2, v3, v2 dst_sel:DWORD dst_unused:UNUSED_PAD src0_sel:WORD_0 src1_sel:DWORD
	scratch_store_dword off, v2, off offset:96
                                        ; implicit-def: $vgpr4_vgpr5
	s_and_saveexec_b64 s[4:5], s[2:3]
	s_xor_b64 s[2:3], exec, s[4:5]
	s_cbranch_execz .LBB2057_1101
; %bb.1100:
	scratch_load_dwordx4 v[2:5], off, off offset:500
.LBB2057_1101:
	s_andn2_saveexec_b64 s[2:3], s[2:3]
	s_cbranch_execz .LBB2057_1107
; %bb.1102:
	s_waitcnt vmcnt(0)
	v_mov_b32_e32 v2, 0
	s_mov_b32 s4, 0
	v_mov_b32_e32 v3, v2
.LBB2057_1103:                          ; =>This Inner Loop Header: Depth=1
	s_add_i32 s5, s4, 0x1c0
	s_add_i32 s4, s4, 8
	s_cmp_lg_u32 s4, 16
	scratch_store_dwordx2 off, v[2:3], s5
	s_cbranch_scc1 .LBB2057_1103
; %bb.1104:
	s_mov_b32 s4, 0
.LBB2057_1105:                          ; =>This Inner Loop Header: Depth=1
	s_add_i32 s5, s4, 0x50
	s_add_i32 s6, s33, s4
	scratch_load_dwordx2 v[2:3], off, s5
	scratch_load_dwordx2 v[4:5], off, s6
	s_add_i32 s5, s4, 0x1c0
	s_add_i32 s4, s4, 8
	s_cmp_lg_u32 s4, 16
	s_waitcnt vmcnt(0)
	v_add_u32_e32 v3, v5, v3
	v_add_u32_e32 v2, v4, v2
	scratch_store_dwordx2 off, v[2:3], s5
	s_cbranch_scc1 .LBB2057_1105
; %bb.1106:
	scratch_load_dwordx4 v[2:5], off, off offset:448
.LBB2057_1107:
	s_or_b64 exec, exec, s[2:3]
	scratch_load_ubyte v7, off, off offset:536
	v_or_b32_e32 v1, v1, v6
	v_and_b32_e32 v1, 1, v1
	v_cmp_eq_u32_e64 s[2:3], 1, v1
	s_waitcnt vmcnt(1)
	scratch_store_dwordx4 off, v[2:5], off offset:80
	scratch_store_dwordx4 off, v[2:5], s33
	scratch_store_byte off, v1, off offset:516
                                        ; implicit-def: $vgpr4_vgpr5
	s_waitcnt vmcnt(3)
	v_cmp_ne_u16_e64 s[4:5], 0, v7
	s_and_saveexec_b64 s[6:7], s[4:5]
	s_xor_b64 s[4:5], exec, s[6:7]
	s_cbranch_execz .LBB2057_1109
; %bb.1108:
	scratch_load_dwordx4 v[2:5], off, off offset:520
.LBB2057_1109:
	s_andn2_saveexec_b64 s[4:5], s[4:5]
	s_cbranch_execz .LBB2057_1115
; %bb.1110:
	s_waitcnt vmcnt(0)
	v_mov_b32_e32 v2, 0
	s_mov_b32 s6, 0
	v_mov_b32_e32 v3, v2
.LBB2057_1111:                          ; =>This Inner Loop Header: Depth=1
	s_add_i32 s7, s6, 0x1c0
	s_add_i32 s6, s6, 8
	s_cmp_lg_u32 s6, 16
	scratch_store_dwordx2 off, v[2:3], s7
	s_cbranch_scc1 .LBB2057_1111
; %bb.1112:
	s_mov_b32 s6, 0
.LBB2057_1113:                          ; =>This Inner Loop Header: Depth=1
	s_add_i32 s7, s6, 0x50
	s_add_i32 s8, s59, s6
	scratch_load_dwordx2 v[2:3], off, s7
	scratch_load_dwordx2 v[4:5], off, s8
	s_add_i32 s7, s6, 0x1c0
	s_add_i32 s6, s6, 8
	s_cmp_lg_u32 s6, 16
	s_waitcnt vmcnt(0)
	v_add_u32_e32 v3, v5, v3
	v_add_u32_e32 v2, v4, v2
	scratch_store_dwordx2 off, v[2:3], s7
	s_cbranch_scc1 .LBB2057_1113
; %bb.1114:
	scratch_load_dwordx4 v[2:5], off, off offset:448
.LBB2057_1115:
	s_or_b64 exec, exec, s[4:5]
	scratch_load_ubyte v1, off, off offset:556
	v_and_b32_e32 v6, 1, v7
	v_cmp_eq_u32_e64 s[4:5], 1, v6
	s_or_b64 s[4:5], s[4:5], s[2:3]
	s_waitcnt vmcnt(0)
	v_cmp_ne_u16_e64 s[2:3], 0, v1
	v_cndmask_b32_e64 v6, 0, 1, s[4:5]
	scratch_store_dwordx4 off, v[2:5], off offset:80
	scratch_store_dwordx4 off, v[2:5], s59
	scratch_store_byte off, v6, off offset:536
                                        ; implicit-def: $vgpr4_vgpr5
	s_and_saveexec_b64 s[6:7], s[2:3]
	s_xor_b64 s[2:3], exec, s[6:7]
	s_cbranch_execz .LBB2057_1117
; %bb.1116:
	scratch_load_dwordx4 v[2:5], off, off offset:540
.LBB2057_1117:
	s_andn2_saveexec_b64 s[2:3], s[2:3]
	s_cbranch_execz .LBB2057_1123
; %bb.1118:
	s_waitcnt vmcnt(0)
	v_mov_b32_e32 v2, 0
	s_mov_b32 s6, 0
	v_mov_b32_e32 v3, v2
.LBB2057_1119:                          ; =>This Inner Loop Header: Depth=1
	s_add_i32 s7, s6, 0x1c0
	s_add_i32 s6, s6, 8
	s_cmp_lg_u32 s6, 16
	scratch_store_dwordx2 off, v[2:3], s7
	s_cbranch_scc1 .LBB2057_1119
; %bb.1120:
	s_mov_b32 s6, 0
.LBB2057_1121:                          ; =>This Inner Loop Header: Depth=1
	s_add_i32 s7, s6, 0x50
	s_add_i32 s8, s84, s6
	scratch_load_dwordx2 v[2:3], off, s7
	scratch_load_dwordx2 v[4:5], off, s8
	s_add_i32 s7, s6, 0x1c0
	s_add_i32 s6, s6, 8
	s_cmp_lg_u32 s6, 16
	s_waitcnt vmcnt(0)
	v_add_u32_e32 v3, v5, v3
	v_add_u32_e32 v2, v4, v2
	scratch_store_dwordx2 off, v[2:3], s7
	s_cbranch_scc1 .LBB2057_1121
; %bb.1122:
	scratch_load_dwordx4 v[2:5], off, off offset:448
.LBB2057_1123:
	s_or_b64 exec, exec, s[2:3]
	scratch_load_ubyte v6, off, off offset:576
	v_and_b32_e32 v1, 1, v1
	v_cmp_eq_u32_e64 s[2:3], 1, v1
	s_or_b64 s[4:5], s[2:3], s[4:5]
	v_cndmask_b32_e64 v1, 0, 1, s[4:5]
	s_waitcnt vmcnt(1)
	scratch_store_dwordx4 off, v[2:5], off offset:80
	scratch_store_dwordx4 off, v[2:5], s84
	scratch_store_byte off, v1, off offset:556
                                        ; implicit-def: $vgpr4_vgpr5
	s_waitcnt vmcnt(3)
	v_cmp_ne_u16_e64 s[2:3], 0, v6
	s_and_saveexec_b64 s[6:7], s[2:3]
	s_xor_b64 s[2:3], exec, s[6:7]
	s_cbranch_execz .LBB2057_1125
; %bb.1124:
	scratch_load_dwordx4 v[2:5], off, off offset:560
.LBB2057_1125:
	s_andn2_saveexec_b64 s[2:3], s[2:3]
	s_cbranch_execz .LBB2057_1131
; %bb.1126:
	s_waitcnt vmcnt(0)
	v_mov_b32_e32 v2, 0
	s_mov_b32 s6, 0
	v_mov_b32_e32 v3, v2
.LBB2057_1127:                          ; =>This Inner Loop Header: Depth=1
	s_add_i32 s7, s6, 0x1c0
	s_add_i32 s6, s6, 8
	s_cmp_lg_u32 s6, 16
	scratch_store_dwordx2 off, v[2:3], s7
	s_cbranch_scc1 .LBB2057_1127
; %bb.1128:
	s_mov_b32 s6, 0
.LBB2057_1129:                          ; =>This Inner Loop Header: Depth=1
	s_add_i32 s7, s6, 0x50
	s_add_i32 s8, s85, s6
	scratch_load_dwordx2 v[2:3], off, s7
	scratch_load_dwordx2 v[4:5], off, s8
	s_add_i32 s7, s6, 0x1c0
	s_add_i32 s6, s6, 8
	s_cmp_lg_u32 s6, 16
	s_waitcnt vmcnt(0)
	v_add_u32_e32 v3, v5, v3
	v_add_u32_e32 v2, v4, v2
	scratch_store_dwordx2 off, v[2:3], s7
	s_cbranch_scc1 .LBB2057_1129
; %bb.1130:
	scratch_load_dwordx4 v[2:5], off, off offset:448
.LBB2057_1131:
	s_or_b64 exec, exec, s[2:3]
	scratch_load_ubyte v1, off, off offset:596
	v_and_b32_e32 v6, 1, v6
	v_cmp_eq_u32_e64 s[2:3], 1, v6
	s_or_b64 s[4:5], s[2:3], s[4:5]
	v_cndmask_b32_e64 v6, 0, 1, s[4:5]
	s_waitcnt vmcnt(1)
	scratch_store_dwordx4 off, v[2:5], off offset:80
	scratch_store_dwordx4 off, v[2:5], s85
	scratch_store_byte off, v6, off offset:576
                                        ; implicit-def: $vgpr4_vgpr5
	s_waitcnt vmcnt(3)
	v_cmp_ne_u16_e64 s[2:3], 0, v1
	;; [unrolled: 50-line block ×19, first 2 shown]
	s_and_saveexec_b64 s[6:7], s[2:3]
	s_xor_b64 s[2:3], exec, s[6:7]
	s_cbranch_execz .LBB2057_1269
; %bb.1268:
	scratch_load_dwordx4 v[2:5], off, off offset:920
.LBB2057_1269:
	s_andn2_saveexec_b64 s[2:3], s[2:3]
	s_cbranch_execz .LBB2057_1275
; %bb.1270:
	s_waitcnt vmcnt(0)
	v_mov_b32_e32 v2, 0
	s_mov_b32 s6, 0
	v_mov_b32_e32 v3, v2
.LBB2057_1271:                          ; =>This Inner Loop Header: Depth=1
	s_add_i32 s7, s6, 0x1c0
	s_add_i32 s6, s6, 8
	s_cmp_lg_u32 s6, 16
	scratch_store_dwordx2 off, v[2:3], s7
	s_cbranch_scc1 .LBB2057_1271
; %bb.1272:
	s_mov_b32 s6, 0
.LBB2057_1273:                          ; =>This Inner Loop Header: Depth=1
	s_add_i32 s7, s6, 0x50
	s_add_i32 s8, s67, s6
	scratch_load_dwordx2 v[2:3], off, s7
	scratch_load_dwordx2 v[4:5], off, s8
	s_add_i32 s7, s6, 0x1c0
	s_add_i32 s6, s6, 8
	s_cmp_lg_u32 s6, 16
	s_waitcnt vmcnt(0)
	v_add_u32_e32 v3, v5, v3
	v_add_u32_e32 v2, v4, v2
	scratch_store_dwordx2 off, v[2:3], s7
	s_cbranch_scc1 .LBB2057_1273
; %bb.1274:
	scratch_load_dwordx4 v[2:5], off, off offset:448
.LBB2057_1275:
	s_or_b64 exec, exec, s[2:3]
	v_and_b32_e32 v1, 1, v6
	v_mov_b32_e32 v6, 0xa28
	v_cmp_eq_u32_e64 s[2:3], 1, v1
	v_mov_b32_e32 v1, 0
	ds_read2_b64 v[8:11], v6 offset1:1
	ds_read_u8 v6, v1 offset:2616
	s_or_b64 s[2:3], s[2:3], s[4:5]
	v_cndmask_b32_e64 v7, 0, 1, s[2:3]
	s_waitcnt vmcnt(0)
	scratch_store_dwordx4 off, v[2:5], s67
	scratch_store_byte off, v7, off offset:936
	s_waitcnt lgkmcnt(1)
	scratch_store_dwordx4 off, v[8:11], off offset:56
	s_waitcnt lgkmcnt(0)
	scratch_store_byte off, v6, off offset:72
	s_and_saveexec_b64 s[2:3], vcc
	s_cbranch_execz .LBB2057_1277
; %bb.1276:
	scratch_load_ushort v7, off, off offset:73
	scratch_load_ubyte v8, off, off offset:75
	scratch_load_dwordx4 v[2:5], off, off offset:56
	s_mov_b32 s4, 0x2010004
	v_mov_b32_e32 v9, 2
	s_waitcnt vmcnt(0)
	global_store_dword v1, v2, s[54:55] offset:1280 sc1
	global_store_dword v1, v3, s[54:55] offset:1284 sc1
	;; [unrolled: 1-line block ×4, first 2 shown]
	v_lshl_or_b32 v7, v8, 16, v7
	v_perm_b32 v2, v6, v7, s4
	global_store_dword v1, v2, s[54:55] offset:1296 sc1
	s_waitcnt vmcnt(0)
	global_store_byte v1, v9, s[56:57] offset:64 sc1
.LBB2057_1277:
	s_or_b64 exec, exec, s[2:3]
.LBB2057_1278:
	v_mov_b32_e32 v2, 0
	s_mov_b32 s2, 0
	v_mov_b32_e32 v3, v2
.LBB2057_1279:                          ; =>This Inner Loop Header: Depth=1
	s_add_i32 s3, s2, 0x50
	s_add_i32 s2, s2, 8
	s_cmp_lg_u32 s2, 16
	scratch_store_dwordx2 off, v[2:3], s3
	s_cbranch_scc1 .LBB2057_1279
; %bb.1280:
	v_mov_b32_e32 v2, 0
	s_mov_b32 s2, 16
	v_mov_b32_e32 v3, v2
.LBB2057_1281:                          ; =>This Inner Loop Header: Depth=1
	s_add_i32 s3, s2, 0x50
	s_add_i32 s2, s2, 8
	s_cmp_lg_u32 s2, 32
	scratch_store_dwordx2 off, v[2:3], s3
	s_cbranch_scc1 .LBB2057_1281
; %bb.1282:
	;; [unrolled: 10-line block ×4, first 2 shown]
	v_mov_b32_e32 v2, 0
	s_mov_b32 s2, 64
	v_mov_b32_e32 v3, v2
.LBB2057_1287:                          ; =>This Inner Loop Header: Depth=1
	s_add_i32 s3, s2, 0x50
	s_add_i32 s2, s2, 8
	s_cmpk_lg_i32 s2, 0x50
	scratch_store_dwordx2 off, v[2:3], s3
	s_cbranch_scc1 .LBB2057_1287
; %bb.1288:
	v_mov_b32_e32 v2, 0
	s_movk_i32 s2, 0x50
	v_mov_b32_e32 v3, v2
.LBB2057_1289:                          ; =>This Inner Loop Header: Depth=1
	s_add_i32 s3, s2, 0x50
	s_add_i32 s2, s2, 8
	s_cmpk_lg_i32 s2, 0x60
	scratch_store_dwordx2 off, v[2:3], s3
	s_cbranch_scc1 .LBB2057_1289
; %bb.1290:
	v_mov_b32_e32 v2, 0
	s_movk_i32 s2, 0x60
	;; [unrolled: 10-line block ×18, first 2 shown]
	v_mov_b32_e32 v3, v2
.LBB2057_1323:                          ; =>This Inner Loop Header: Depth=1
	s_add_i32 s3, s2, 0x50
	s_add_i32 s2, s2, 8
	s_cmpk_lg_i32 s2, 0x170
	scratch_store_dwordx2 off, v[2:3], s3
	s_cbranch_scc1 .LBB2057_1323
; %bb.1324:
	v_readlane_b32 s4, v200, 0
	v_readlane_b32 s6, v200, 2
	;; [unrolled: 1-line block ×5, first 2 shown]
	s_mov_b64 s[6:7], s[10:11]
	s_add_u32 s2, s6, s72
	s_addc_u32 s3, s7, s73
	v_mov_b32_e32 v1, 0x50
	s_add_u32 s2, s2, s60
	v_add_u32_e32 v6, 0x160, v1
	v_add_u32_e32 v7, 0x150, v1
	;; [unrolled: 1-line block ×22, first 2 shown]
	s_addc_u32 s3, s3, s61
	s_and_b64 vcc, exec, s[0:1]
	v_readlane_b32 s5, v200, 1
	v_readlane_b32 s8, v200, 4
	;; [unrolled: 1-line block ×3, first 2 shown]
	s_cbranch_vccz .LBB2057_1394
; %bb.1325:
	v_readlane_b32 s0, v200, 10
	s_add_i32 s4, s0, s58
	v_mul_u32_u24_e32 v1, 23, v0
	v_cmp_gt_u32_e32 vcc, s4, v1
	s_and_saveexec_b64 s[0:1], vcc
	s_cbranch_execz .LBB2057_1349
; %bb.1326:
	scratch_load_dwordx4 v[2:5], off, off offset:480
	v_add_u32_e32 v28, 1, v1
	v_cmp_gt_u32_e32 vcc, s4, v28
	s_waitcnt vmcnt(0)
	scratch_store_dwordx4 off, v[2:5], off offset:80
	s_and_b64 exec, exec, vcc
	s_cbranch_execz .LBB2057_1349
; %bb.1327:
	scratch_load_dwordx4 v[2:5], off, s33
	v_add_u32_e32 v28, 2, v1
	v_cmp_gt_u32_e32 vcc, s4, v28
	s_waitcnt vmcnt(0)
	scratch_store_dwordx4 v27, v[2:5], off
	s_and_b64 exec, exec, vcc
	s_cbranch_execz .LBB2057_1349
; %bb.1328:
	scratch_load_dwordx4 v[2:5], off, s59
	v_add_u32_e32 v28, 3, v1
	v_cmp_gt_u32_e32 vcc, s4, v28
	s_waitcnt vmcnt(0)
	scratch_store_dwordx4 v26, v[2:5], off
	;; [unrolled: 8-line block ×21, first 2 shown]
	s_and_b64 exec, exec, vcc
	s_cbranch_execz .LBB2057_1349
; %bb.1348:
	scratch_load_dwordx4 v[2:5], off, s67
	s_waitcnt vmcnt(0)
	scratch_store_dwordx4 v6, v[2:5], off
.LBB2057_1349:
	s_or_b64 exec, exec, s[0:1]
	s_waitcnt vmcnt(63) expcnt(7) lgkmcnt(15)
	s_barrier
	scratch_load_dwordx4 v[28:31], off, off offset:80
	scratch_load_dwordx4 v[32:35], v27, off
	scratch_load_dwordx4 v[36:39], v26, off
	;; [unrolled: 1-line block ×22, first 2 shown]
	v_lshlrev_b32_e32 v2, 4, v1
	s_movk_i32 s0, 0xfea0
	v_mad_i32_i24 v1, v0, s0, v2
	v_mov_b32_e32 v3, 0
	v_cmp_gt_u32_e32 vcc, s4, v0
	s_waitcnt vmcnt(22)
	ds_write_b128 v2, v[28:31]
	s_waitcnt vmcnt(21)
	ds_write_b128 v2, v[32:35] offset:16
	s_waitcnt vmcnt(20)
	ds_write_b128 v2, v[36:39] offset:32
	;; [unrolled: 2-line block ×22, first 2 shown]
	s_waitcnt lgkmcnt(0)
	s_barrier
	ds_read_b128 v[28:31], v1 offset:2048
	ds_read_b128 v[32:35], v1 offset:4096
	;; [unrolled: 1-line block ×16, first 2 shown]
	s_waitcnt lgkmcnt(14)
	scratch_store_dwordx4 v27, v[28:31], off
	scratch_store_dwordx4 v26, v[32:35], off
	s_waitcnt lgkmcnt(13)
	scratch_store_dwordx4 v25, v[36:39], off
	s_waitcnt lgkmcnt(12)
	;; [unrolled: 2-line block ×10, first 2 shown]
	scratch_store_dwordx4 v16, v[72:75], off
	ds_read_b128 v[28:31], v1 offset:32768
	s_waitcnt lgkmcnt(4)
	scratch_store_dwordx4 v15, v[76:79], off
	s_waitcnt lgkmcnt(3)
	scratch_store_dwordx4 v14, v[80:83], off
	;; [unrolled: 2-line block ×3, first 2 shown]
	ds_read_b128 v[32:35], v1 offset:34816
	v_lshlrev_b32_e32 v2, 4, v0
	s_waitcnt lgkmcnt(1)
	scratch_store_dwordx4 v12, v[28:31], off
	ds_read_b128 v[28:31], v1 offset:36864
	ds_read_b128 v[36:39], v1 offset:38912
	;; [unrolled: 1-line block ×4, first 2 shown]
	v_lshl_add_u64 v[4:5], s[2:3], 0, v[2:3]
	s_waitcnt lgkmcnt(4)
	scratch_store_dwordx4 v11, v[32:35], off
	s_waitcnt lgkmcnt(3)
	scratch_store_dwordx4 v10, v[28:31], off
	;; [unrolled: 2-line block ×5, first 2 shown]
	scratch_store_dwordx4 v6, v[88:91], off
	s_and_saveexec_b64 s[0:1], vcc
	s_cbranch_execz .LBB2057_1351
; %bb.1350:
	ds_read2_b32 v[30:31], v1 offset0:2 offset1:3
	ds_read2_b32 v[28:29], v1 offset1:1
	s_waitcnt lgkmcnt(0)
	flat_store_dwordx4 v[4:5], v[28:31]
.LBB2057_1351:
	s_or_b64 exec, exec, s[0:1]
	v_or_b32_e32 v1, 0x80, v0
	v_cmp_gt_u32_e32 vcc, s4, v1
	s_and_saveexec_b64 s[0:1], vcc
	s_cbranch_execz .LBB2057_1353
; %bb.1352:
	scratch_load_dwordx4 v[28:31], v27, off
	s_waitcnt vmcnt(0)
	flat_store_dwordx4 v[4:5], v[28:31] offset:2048
.LBB2057_1353:
	s_or_b64 exec, exec, s[0:1]
	v_or_b32_e32 v1, 0x100, v0
	v_cmp_gt_u32_e32 vcc, s4, v1
	s_and_saveexec_b64 s[0:1], vcc
	s_cbranch_execz .LBB2057_1355
; %bb.1354:
	scratch_load_dwordx4 v[28:31], v26, off
	v_add_co_u32_e32 v32, vcc, 0x1000, v4
	s_nop 1
	v_addc_co_u32_e32 v33, vcc, 0, v5, vcc
	s_waitcnt vmcnt(0)
	flat_store_dwordx4 v[32:33], v[28:31]
.LBB2057_1355:
	s_or_b64 exec, exec, s[0:1]
	v_or_b32_e32 v1, 0x180, v0
	v_cmp_gt_u32_e32 vcc, s4, v1
	s_and_saveexec_b64 s[0:1], vcc
	s_cbranch_execz .LBB2057_1357
; %bb.1356:
	scratch_load_dwordx4 v[28:31], v25, off
	v_add_co_u32_e32 v32, vcc, 0x1000, v4
	s_nop 1
	v_addc_co_u32_e32 v33, vcc, 0, v5, vcc
	s_waitcnt vmcnt(0)
	flat_store_dwordx4 v[32:33], v[28:31] offset:2048
.LBB2057_1357:
	s_or_b64 exec, exec, s[0:1]
	v_or_b32_e32 v1, 0x200, v0
	v_cmp_gt_u32_e32 vcc, s4, v1
	s_and_saveexec_b64 s[0:1], vcc
	s_cbranch_execz .LBB2057_1359
; %bb.1358:
	scratch_load_dwordx4 v[28:31], v24, off
	v_add_co_u32_e32 v32, vcc, 0x2000, v4
	s_nop 1
	v_addc_co_u32_e32 v33, vcc, 0, v5, vcc
	s_waitcnt vmcnt(0)
	flat_store_dwordx4 v[32:33], v[28:31]
.LBB2057_1359:
	s_or_b64 exec, exec, s[0:1]
	v_or_b32_e32 v1, 0x280, v0
	v_cmp_gt_u32_e32 vcc, s4, v1
	s_and_saveexec_b64 s[0:1], vcc
	s_cbranch_execz .LBB2057_1361
; %bb.1360:
	scratch_load_dwordx4 v[28:31], v23, off
	v_add_co_u32_e32 v32, vcc, 0x2000, v4
	s_nop 1
	v_addc_co_u32_e32 v33, vcc, 0, v5, vcc
	s_waitcnt vmcnt(0)
	flat_store_dwordx4 v[32:33], v[28:31] offset:2048
.LBB2057_1361:
	;; [unrolled: 26-line block ×10, first 2 shown]
	s_or_b64 exec, exec, s[0:1]
	v_or_b32_e32 v2, 0xb00, v0
	v_mov_b32_e32 v1, v3
	v_cmp_gt_u32_e64 s[0:1], s4, v2
	s_branch .LBB2057_1396
.LBB2057_1394:
	s_mov_b64 s[0:1], 0
	s_cbranch_execz .LBB2057_1396
; %bb.1395:
	scratch_load_dwordx4 v[2:5], off, off offset:480
	scratch_load_dwordx4 v[28:31], off, s33
	scratch_load_dwordx4 v[32:35], off, s59
	;; [unrolled: 1-line block ×15, first 2 shown]
                                        ; kill: killed $sgpr84
                                        ; kill: killed $sgpr88
                                        ; kill: killed $sgpr92
                                        ; kill: killed $sgpr97
                                        ; kill: killed $sgpr85
                                        ; kill: killed $sgpr89
                                        ; kill: killed $sgpr93
                                        ; kill: killed $sgpr33
                                        ; kill: killed $sgpr86
                                        ; kill: killed $sgpr90
                                        ; kill: killed $sgpr94
                                        ; kill: killed $sgpr59
                                        ; kill: killed $sgpr87
                                        ; kill: killed $sgpr91
                                        ; kill: killed $sgpr95
	scratch_load_dwordx4 v[88:91], off, s96
	scratch_load_dwordx4 v[92:95], off, s98
	;; [unrolled: 1-line block ×7, first 2 shown]
	s_movk_i32 s4, 0x170
	v_mul_i32_i24_e32 v117, 0xfffffea0, v0
	v_mul_u32_u24_e32 v118, 0x170, v0
	v_mad_u32_u24 v119, v0, s4, v117
	v_mov_b32_e32 v1, 0
	v_lshlrev_b32_e32 v116, 4, v0
	v_mov_b32_e32 v117, v1
	v_lshl_add_u64 v[116:117], s[2:3], 0, v[116:117]
	s_movk_i32 s4, 0x1000
	s_or_b64 s[0:1], s[0:1], exec
	s_waitcnt vmcnt(0)
	scratch_store_dwordx4 off, v[2:5], off offset:80
	scratch_store_dwordx4 v27, v[28:31], off
	scratch_store_dwordx4 v26, v[32:35], off
	;; [unrolled: 1-line block ×22, first 2 shown]
	s_waitcnt lgkmcnt(0)
	s_barrier
	scratch_load_dwordx4 v[2:5], off, off offset:80
	scratch_load_dwordx4 v[28:31], v27, off
	scratch_load_dwordx4 v[32:35], v26, off
	scratch_load_dwordx4 v[36:39], v25, off
	scratch_load_dwordx4 v[40:43], v24, off
	scratch_load_dwordx4 v[44:47], v23, off
	scratch_load_dwordx4 v[48:51], v22, off
	scratch_load_dwordx4 v[52:55], v21, off
	scratch_load_dwordx4 v[56:59], v20, off
	scratch_load_dwordx4 v[60:63], v19, off
	scratch_load_dwordx4 v[64:67], v18, off
	scratch_load_dwordx4 v[68:71], v17, off
	scratch_load_dwordx4 v[72:75], v16, off
	scratch_load_dwordx4 v[76:79], v15, off
	scratch_load_dwordx4 v[80:83], v14, off
	scratch_load_dwordx4 v[84:87], v13, off
	scratch_load_dwordx4 v[88:91], v12, off
	scratch_load_dwordx4 v[92:95], v11, off
	scratch_load_dwordx4 v[96:99], v10, off
	scratch_load_dwordx4 v[100:103], v9, off
	scratch_load_dwordx4 v[104:107], v8, off
	scratch_load_dwordx4 v[108:111], v7, off
	scratch_load_dwordx4 v[112:115], v6, off
	s_waitcnt vmcnt(22)
	ds_write_b128 v118, v[2:5]
	s_waitcnt vmcnt(21)
	ds_write_b128 v118, v[28:31] offset:16
	s_waitcnt vmcnt(20)
	ds_write_b128 v118, v[32:35] offset:32
	s_waitcnt vmcnt(19)
	ds_write_b128 v118, v[36:39] offset:48
	s_waitcnt vmcnt(18)
	ds_write_b128 v118, v[40:43] offset:64
	s_waitcnt vmcnt(17)
	ds_write_b128 v118, v[44:47] offset:80
	s_waitcnt vmcnt(16)
	ds_write_b128 v118, v[48:51] offset:96
	s_waitcnt vmcnt(15)
	ds_write_b128 v118, v[52:55] offset:112
	s_waitcnt vmcnt(14)
	ds_write_b128 v118, v[56:59] offset:128
	s_waitcnt vmcnt(13)
	ds_write_b128 v118, v[60:63] offset:144
	s_waitcnt vmcnt(12)
	ds_write_b128 v118, v[64:67] offset:160
	s_waitcnt vmcnt(11)
	ds_write_b128 v118, v[68:71] offset:176
	s_waitcnt vmcnt(10)
	ds_write_b128 v118, v[72:75] offset:192
	s_waitcnt vmcnt(9)
	ds_write_b128 v118, v[76:79] offset:208
	s_waitcnt vmcnt(8)
	ds_write_b128 v118, v[80:83] offset:224
	s_waitcnt vmcnt(7)
	ds_write_b128 v118, v[84:87] offset:240
	s_waitcnt vmcnt(6)
	ds_write_b128 v118, v[88:91] offset:256
	s_waitcnt vmcnt(5)
	ds_write_b128 v118, v[92:95] offset:272
	s_waitcnt vmcnt(4)
	ds_write_b128 v118, v[96:99] offset:288
	s_waitcnt vmcnt(3)
	ds_write_b128 v118, v[100:103] offset:304
	s_waitcnt vmcnt(2)
	ds_write_b128 v118, v[104:107] offset:320
	s_waitcnt vmcnt(1)
	ds_write_b128 v118, v[108:111] offset:336
	s_waitcnt vmcnt(0)
	ds_write_b128 v118, v[112:115] offset:352
	s_waitcnt lgkmcnt(0)
	s_barrier
	ds_read_b128 v[2:5], v119 offset:2048
	ds_read_b128 v[28:31], v119 offset:4096
	;; [unrolled: 1-line block ×21, first 2 shown]
	ds_read2_b32 v[110:111], v119 offset0:2 offset1:3
	ds_read_b128 v[112:115], v119 offset:45056
	ds_read2_b32 v[108:109], v119 offset1:1
	s_waitcnt lgkmcnt(14)
	scratch_store_dwordx4 v27, v[2:5], off
	scratch_store_dwordx4 v26, v[28:31], off
	;; [unrolled: 1-line block ×10, first 2 shown]
	s_waitcnt lgkmcnt(13)
	scratch_store_dwordx4 v17, v[64:67], off
	s_waitcnt lgkmcnt(12)
	scratch_store_dwordx4 v16, v[68:71], off
	;; [unrolled: 2-line block ×12, first 2 shown]
	s_waitcnt lgkmcnt(0)
	flat_store_dwordx4 v[116:117], v[108:111]
	scratch_load_dwordx4 v[2:5], v27, off
	s_waitcnt vmcnt(0)
	flat_store_dwordx4 v[116:117], v[2:5] offset:2048
	scratch_load_dwordx4 v[2:5], v26, off
	v_add_co_u32_e32 v26, vcc, s4, v116
	s_movk_i32 s4, 0x2000
	s_nop 0
	v_addc_co_u32_e32 v27, vcc, 0, v117, vcc
	s_waitcnt vmcnt(0)
	flat_store_dwordx4 v[26:27], v[2:5]
	scratch_load_dwordx4 v[2:5], v25, off
	s_waitcnt vmcnt(0)
	flat_store_dwordx4 v[26:27], v[2:5] offset:2048
	scratch_load_dwordx4 v[2:5], v24, off
	v_add_co_u32_e32 v24, vcc, s4, v116
	s_movk_i32 s4, 0x3000
	s_nop 0
	v_addc_co_u32_e32 v25, vcc, 0, v117, vcc
	s_waitcnt vmcnt(0)
	;; [unrolled: 10-line block ×6, first 2 shown]
	flat_store_dwordx4 v[16:17], v[2:5]
	scratch_load_dwordx4 v[2:5], v15, off
	s_waitcnt vmcnt(0)
	flat_store_dwordx4 v[16:17], v[2:5] offset:2048
	scratch_load_dwordx4 v[2:5], v14, off
	v_add_co_u32_e32 v14, vcc, s4, v116
	s_mov_b32 s4, 0x8000
	s_nop 0
	v_addc_co_u32_e32 v15, vcc, 0, v117, vcc
	s_waitcnt vmcnt(0)
	flat_store_dwordx4 v[14:15], v[2:5]
	scratch_load_dwordx4 v[2:5], v13, off
	s_waitcnt vmcnt(0)
	flat_store_dwordx4 v[14:15], v[2:5] offset:2048
	scratch_load_dwordx4 v[2:5], v12, off
	v_add_co_u32_e32 v12, vcc, s4, v116
	s_mov_b32 s4, 0x9000
	s_nop 0
	v_addc_co_u32_e32 v13, vcc, 0, v117, vcc
	s_waitcnt vmcnt(0)
	flat_store_dwordx4 v[12:13], v[2:5]
	scratch_load_dwordx4 v[2:5], v11, off
	s_waitcnt vmcnt(0)
	flat_store_dwordx4 v[12:13], v[2:5] offset:2048
	scratch_load_dwordx4 v[2:5], v10, off
	v_add_co_u32_e32 v10, vcc, s4, v116
	s_nop 1
	v_addc_co_u32_e32 v11, vcc, 0, v117, vcc
	s_waitcnt vmcnt(0)
	flat_store_dwordx4 v[10:11], v[2:5]
	scratch_load_dwordx4 v[2:5], v9, off
	s_waitcnt vmcnt(0)
	flat_store_dwordx4 v[10:11], v[2:5] offset:2048
	scratch_load_dwordx4 v[2:5], v8, off
	v_add_co_u32_e32 v8, vcc, 0xa000, v116
	s_nop 1
	v_addc_co_u32_e32 v9, vcc, 0, v117, vcc
	s_waitcnt vmcnt(0)
	flat_store_dwordx4 v[8:9], v[2:5]
	scratch_load_dwordx4 v[2:5], v7, off
	s_waitcnt vmcnt(0)
	flat_store_dwordx4 v[8:9], v[2:5] offset:2048
.LBB2057_1396:
	s_and_saveexec_b64 s[4:5], s[0:1]
	s_cbranch_execnz .LBB2057_1398
; %bb.1397:
	s_endpgm
.LBB2057_1398:
	scratch_load_dwordx4 v[2:5], v6, off
	v_lshl_add_u64 v[0:1], v[0:1], 4, s[2:3]
	v_add_co_u32_e32 v0, vcc, 0xb000, v0
	s_nop 1
	v_addc_co_u32_e32 v1, vcc, 0, v1, vcc
	s_waitcnt vmcnt(0)
	flat_store_dwordx4 v[0:1], v[2:5]
	s_endpgm
.LBB2057_1399:
	v_lshlrev_b32_e32 v24, 4, v0
	v_lshl_add_u64 v[24:25], s[62:63], 0, v[24:25]
	flat_load_dwordx4 v[70:73], v[24:25]
	s_waitcnt vmcnt(0) lgkmcnt(0)
	scratch_store_dwordx4 off, v[70:73], off offset:80
	s_or_b64 exec, exec, s[68:69]
	s_and_saveexec_b64 s[50:51], s[4:5]
	s_cbranch_execz .LBB2057_743
.LBB2057_1400:
	v_lshlrev_b32_e32 v24, 4, v0
	v_mov_b32_e32 v25, 0
	v_lshl_add_u64 v[24:25], s[62:63], 0, v[24:25]
	flat_load_dwordx4 v[70:73], v[24:25] offset:2048
	s_waitcnt vmcnt(0) lgkmcnt(0)
	scratch_store_dwordx4 off, v[70:73], off offset:96
	s_or_b64 exec, exec, s[50:51]
	s_and_saveexec_b64 s[4:5], s[6:7]
	s_cbranch_execz .LBB2057_744
.LBB2057_1401:
	v_lshlrev_b32_e32 v24, 4, v48
	v_mov_b32_e32 v25, 0
	v_lshl_add_u64 v[24:25], s[62:63], 0, v[24:25]
	flat_load_dwordx4 v[70:73], v[24:25]
	s_waitcnt vmcnt(0) lgkmcnt(0)
	scratch_store_dwordx4 off, v[70:73], off offset:112
	s_or_b64 exec, exec, s[4:5]
	s_and_saveexec_b64 s[4:5], s[8:9]
	s_cbranch_execz .LBB2057_745
.LBB2057_1402:
	v_lshlrev_b32_e32 v24, 4, v49
	v_mov_b32_e32 v25, 0
	v_lshl_add_u64 v[24:25], s[62:63], 0, v[24:25]
	flat_load_dwordx4 v[70:73], v[24:25]
	s_waitcnt vmcnt(0) lgkmcnt(0)
	scratch_store_dwordx4 off, v[70:73], off offset:128
	s_or_b64 exec, exec, s[4:5]
	s_and_saveexec_b64 s[4:5], s[10:11]
	s_cbranch_execz .LBB2057_746
.LBB2057_1403:
	v_lshlrev_b32_e32 v24, 4, v50
	v_mov_b32_e32 v25, 0
	v_lshl_add_u64 v[24:25], s[62:63], 0, v[24:25]
	flat_load_dwordx4 v[70:73], v[24:25]
	s_waitcnt vmcnt(0) lgkmcnt(0)
	scratch_store_dwordx4 off, v[70:73], off offset:144
	s_or_b64 exec, exec, s[4:5]
	s_and_saveexec_b64 s[4:5], s[12:13]
	s_cbranch_execz .LBB2057_747
.LBB2057_1404:
	v_lshlrev_b32_e32 v24, 4, v52
	v_mov_b32_e32 v25, 0
	v_lshl_add_u64 v[24:25], s[62:63], 0, v[24:25]
	flat_load_dwordx4 v[70:73], v[24:25]
	s_waitcnt vmcnt(0) lgkmcnt(0)
	scratch_store_dwordx4 off, v[70:73], off offset:160
	s_or_b64 exec, exec, s[4:5]
	s_and_saveexec_b64 s[4:5], s[14:15]
	s_cbranch_execz .LBB2057_748
.LBB2057_1405:
	v_lshlrev_b32_e32 v24, 4, v53
	v_mov_b32_e32 v25, 0
	v_lshl_add_u64 v[24:25], s[62:63], 0, v[24:25]
	flat_load_dwordx4 v[70:73], v[24:25]
	s_waitcnt vmcnt(0) lgkmcnt(0)
	scratch_store_dwordx4 off, v[70:73], off offset:176
	s_or_b64 exec, exec, s[4:5]
	s_and_saveexec_b64 s[4:5], s[16:17]
	s_cbranch_execz .LBB2057_749
.LBB2057_1406:
	v_lshlrev_b32_e32 v24, 4, v54
	v_mov_b32_e32 v25, 0
	v_lshl_add_u64 v[24:25], s[62:63], 0, v[24:25]
	flat_load_dwordx4 v[70:73], v[24:25]
	s_waitcnt vmcnt(0) lgkmcnt(0)
	scratch_store_dwordx4 off, v[70:73], off offset:192
	s_or_b64 exec, exec, s[4:5]
	s_and_saveexec_b64 s[4:5], s[18:19]
	s_cbranch_execz .LBB2057_750
.LBB2057_1407:
	v_lshlrev_b32_e32 v24, 4, v55
	v_mov_b32_e32 v25, 0
	v_lshl_add_u64 v[24:25], s[62:63], 0, v[24:25]
	flat_load_dwordx4 v[52:55], v[24:25]
	s_waitcnt vmcnt(0) lgkmcnt(0)
	scratch_store_dwordx4 off, v[52:55], off offset:208
	s_or_b64 exec, exec, s[4:5]
	s_and_saveexec_b64 s[4:5], s[20:21]
	s_cbranch_execz .LBB2057_751
.LBB2057_1408:
	v_lshlrev_b32_e32 v24, 4, v56
	v_mov_b32_e32 v25, 0
	v_lshl_add_u64 v[24:25], s[62:63], 0, v[24:25]
	flat_load_dwordx4 v[52:55], v[24:25]
	s_waitcnt vmcnt(0) lgkmcnt(0)
	scratch_store_dwordx4 off, v[52:55], off offset:224
	s_or_b64 exec, exec, s[4:5]
	s_and_saveexec_b64 s[4:5], s[22:23]
	s_cbranch_execz .LBB2057_752
.LBB2057_1409:
	v_lshlrev_b32_e32 v24, 4, v57
	v_mov_b32_e32 v25, 0
	v_lshl_add_u64 v[24:25], s[62:63], 0, v[24:25]
	flat_load_dwordx4 v[52:55], v[24:25]
	s_waitcnt vmcnt(0) lgkmcnt(0)
	scratch_store_dwordx4 off, v[52:55], off offset:240
	s_or_b64 exec, exec, s[4:5]
	s_and_saveexec_b64 s[4:5], s[24:25]
	s_cbranch_execz .LBB2057_753
.LBB2057_1410:
	v_lshlrev_b32_e32 v24, 4, v58
	v_mov_b32_e32 v25, 0
	v_lshl_add_u64 v[24:25], s[62:63], 0, v[24:25]
	flat_load_dwordx4 v[52:55], v[24:25]
	s_waitcnt vmcnt(0) lgkmcnt(0)
	scratch_store_dwordx4 off, v[52:55], off offset:256
	s_or_b64 exec, exec, s[4:5]
	s_and_saveexec_b64 s[4:5], s[26:27]
	s_cbranch_execz .LBB2057_754
.LBB2057_1411:
	v_lshlrev_b32_e32 v24, 4, v59
	v_mov_b32_e32 v25, 0
	v_lshl_add_u64 v[24:25], s[62:63], 0, v[24:25]
	flat_load_dwordx4 v[52:55], v[24:25]
	s_waitcnt vmcnt(0) lgkmcnt(0)
	scratch_store_dwordx4 off, v[52:55], off offset:272
	s_or_b64 exec, exec, s[4:5]
	s_and_saveexec_b64 s[4:5], s[28:29]
	s_cbranch_execz .LBB2057_755
.LBB2057_1412:
	v_lshlrev_b32_e32 v24, 4, v60
	v_mov_b32_e32 v25, 0
	v_lshl_add_u64 v[24:25], s[62:63], 0, v[24:25]
	flat_load_dwordx4 v[52:55], v[24:25]
	s_waitcnt vmcnt(0) lgkmcnt(0)
	scratch_store_dwordx4 off, v[52:55], off offset:288
	s_or_b64 exec, exec, s[4:5]
	s_and_saveexec_b64 s[4:5], s[30:31]
	s_cbranch_execz .LBB2057_756
.LBB2057_1413:
	v_lshlrev_b32_e32 v24, 4, v61
	v_mov_b32_e32 v25, 0
	v_lshl_add_u64 v[24:25], s[62:63], 0, v[24:25]
	flat_load_dwordx4 v[52:55], v[24:25]
	s_waitcnt vmcnt(0) lgkmcnt(0)
	scratch_store_dwordx4 off, v[52:55], off offset:304
	s_or_b64 exec, exec, s[4:5]
	s_and_saveexec_b64 s[4:5], s[34:35]
	s_cbranch_execz .LBB2057_757
.LBB2057_1414:
	v_lshlrev_b32_e32 v24, 4, v62
	v_mov_b32_e32 v25, 0
	v_lshl_add_u64 v[24:25], s[62:63], 0, v[24:25]
	flat_load_dwordx4 v[52:55], v[24:25]
	s_waitcnt vmcnt(0) lgkmcnt(0)
	scratch_store_dwordx4 off, v[52:55], off offset:320
	s_or_b64 exec, exec, s[4:5]
	s_and_saveexec_b64 s[4:5], s[36:37]
	s_cbranch_execz .LBB2057_758
.LBB2057_1415:
	v_lshlrev_b32_e32 v24, 4, v63
	v_mov_b32_e32 v25, 0
	v_lshl_add_u64 v[24:25], s[62:63], 0, v[24:25]
	flat_load_dwordx4 v[52:55], v[24:25]
	s_waitcnt vmcnt(0) lgkmcnt(0)
	scratch_store_dwordx4 off, v[52:55], off offset:336
	s_or_b64 exec, exec, s[4:5]
	s_and_saveexec_b64 s[4:5], s[38:39]
	s_cbranch_execz .LBB2057_759
.LBB2057_1416:
	v_lshlrev_b32_e32 v24, 4, v64
	v_mov_b32_e32 v25, 0
	v_lshl_add_u64 v[24:25], s[62:63], 0, v[24:25]
	flat_load_dwordx4 v[52:55], v[24:25]
	s_waitcnt vmcnt(0) lgkmcnt(0)
	scratch_store_dwordx4 off, v[52:55], off offset:352
	s_or_b64 exec, exec, s[4:5]
	s_and_saveexec_b64 s[4:5], s[40:41]
	s_cbranch_execz .LBB2057_760
.LBB2057_1417:
	v_lshlrev_b32_e32 v24, 4, v65
	v_mov_b32_e32 v25, 0
	v_lshl_add_u64 v[24:25], s[62:63], 0, v[24:25]
	flat_load_dwordx4 v[52:55], v[24:25]
	s_waitcnt vmcnt(0) lgkmcnt(0)
	scratch_store_dwordx4 off, v[52:55], off offset:368
	s_or_b64 exec, exec, s[4:5]
	s_and_saveexec_b64 s[4:5], s[42:43]
	s_cbranch_execz .LBB2057_761
.LBB2057_1418:
	v_lshlrev_b32_e32 v24, 4, v66
	v_mov_b32_e32 v25, 0
	v_lshl_add_u64 v[24:25], s[62:63], 0, v[24:25]
	flat_load_dwordx4 v[52:55], v[24:25]
	s_waitcnt vmcnt(0) lgkmcnt(0)
	scratch_store_dwordx4 off, v[52:55], off offset:384
	s_or_b64 exec, exec, s[4:5]
	s_and_saveexec_b64 s[4:5], s[44:45]
	s_cbranch_execz .LBB2057_762
.LBB2057_1419:
	v_lshlrev_b32_e32 v24, 4, v67
	v_mov_b32_e32 v25, 0
	v_lshl_add_u64 v[24:25], s[62:63], 0, v[24:25]
	flat_load_dwordx4 v[52:55], v[24:25]
	s_waitcnt vmcnt(0) lgkmcnt(0)
	scratch_store_dwordx4 off, v[52:55], off offset:400
	s_or_b64 exec, exec, s[4:5]
	s_and_saveexec_b64 s[4:5], s[46:47]
	s_cbranch_execz .LBB2057_763
.LBB2057_1420:
	v_lshlrev_b32_e32 v24, 4, v68
	v_mov_b32_e32 v25, 0
	v_lshl_add_u64 v[24:25], s[62:63], 0, v[24:25]
	flat_load_dwordx4 v[52:55], v[24:25]
	s_waitcnt vmcnt(0) lgkmcnt(0)
	scratch_store_dwordx4 off, v[52:55], off offset:416
	s_or_b64 exec, exec, s[4:5]
	s_and_saveexec_b64 s[4:5], s[48:49]
	s_cbranch_execnz .LBB2057_764
	s_branch .LBB2057_765
.LBB2057_1421:
                                        ; implicit-def: $sgpr68_sgpr69
	s_branch .LBB2057_738
.LBB2057_1422:
                                        ; implicit-def: $sgpr4_sgpr5
	s_branch .LBB2057_813
	.section	.rodata,"a",@progbits
	.p2align	6, 0x0
	.amdhsa_kernel _ZN7rocprim17ROCPRIM_400000_NS6detail17trampoline_kernelINS0_14default_configENS1_27scan_by_key_config_selectorIj11FixedVectorIiLj4EEEEZZNS1_16scan_by_key_implILNS1_25lookback_scan_determinismE0ELb0ES3_N6thrust23THRUST_200600_302600_NS6detail15normal_iteratorINSB_10device_ptrIjEEEENSD_INSE_IS6_EEEESI_S6_NSB_4plusIvEENSB_8equal_toIvEES6_EE10hipError_tPvRmT2_T3_T4_T5_mT6_T7_P12ihipStream_tbENKUlT_T0_E_clISt17integral_constantIbLb1EES12_IbLb0EEEEDaSY_SZ_EUlSY_E_NS1_11comp_targetILNS1_3genE5ELNS1_11target_archE942ELNS1_3gpuE9ELNS1_3repE0EEENS1_30default_config_static_selectorELNS0_4arch9wavefront6targetE1EEEvT1_
		.amdhsa_group_segment_fixed_size 47104
		.amdhsa_private_segment_fixed_size 944
		.amdhsa_kernarg_size 144
		.amdhsa_user_sgpr_count 2
		.amdhsa_user_sgpr_dispatch_ptr 0
		.amdhsa_user_sgpr_queue_ptr 0
		.amdhsa_user_sgpr_kernarg_segment_ptr 1
		.amdhsa_user_sgpr_dispatch_id 0
		.amdhsa_user_sgpr_kernarg_preload_length 0
		.amdhsa_user_sgpr_kernarg_preload_offset 0
		.amdhsa_user_sgpr_private_segment_size 0
		.amdhsa_uses_dynamic_stack 0
		.amdhsa_enable_private_segment 1
		.amdhsa_system_sgpr_workgroup_id_x 1
		.amdhsa_system_sgpr_workgroup_id_y 0
		.amdhsa_system_sgpr_workgroup_id_z 0
		.amdhsa_system_sgpr_workgroup_info 0
		.amdhsa_system_vgpr_workitem_id 0
		.amdhsa_next_free_vgpr 201
		.amdhsa_next_free_sgpr 100
		.amdhsa_accum_offset 204
		.amdhsa_reserve_vcc 1
		.amdhsa_float_round_mode_32 0
		.amdhsa_float_round_mode_16_64 0
		.amdhsa_float_denorm_mode_32 3
		.amdhsa_float_denorm_mode_16_64 3
		.amdhsa_dx10_clamp 1
		.amdhsa_ieee_mode 1
		.amdhsa_fp16_overflow 0
		.amdhsa_tg_split 0
		.amdhsa_exception_fp_ieee_invalid_op 0
		.amdhsa_exception_fp_denorm_src 0
		.amdhsa_exception_fp_ieee_div_zero 0
		.amdhsa_exception_fp_ieee_overflow 0
		.amdhsa_exception_fp_ieee_underflow 0
		.amdhsa_exception_fp_ieee_inexact 0
		.amdhsa_exception_int_div_zero 0
	.end_amdhsa_kernel
	.section	.text._ZN7rocprim17ROCPRIM_400000_NS6detail17trampoline_kernelINS0_14default_configENS1_27scan_by_key_config_selectorIj11FixedVectorIiLj4EEEEZZNS1_16scan_by_key_implILNS1_25lookback_scan_determinismE0ELb0ES3_N6thrust23THRUST_200600_302600_NS6detail15normal_iteratorINSB_10device_ptrIjEEEENSD_INSE_IS6_EEEESI_S6_NSB_4plusIvEENSB_8equal_toIvEES6_EE10hipError_tPvRmT2_T3_T4_T5_mT6_T7_P12ihipStream_tbENKUlT_T0_E_clISt17integral_constantIbLb1EES12_IbLb0EEEEDaSY_SZ_EUlSY_E_NS1_11comp_targetILNS1_3genE5ELNS1_11target_archE942ELNS1_3gpuE9ELNS1_3repE0EEENS1_30default_config_static_selectorELNS0_4arch9wavefront6targetE1EEEvT1_,"axG",@progbits,_ZN7rocprim17ROCPRIM_400000_NS6detail17trampoline_kernelINS0_14default_configENS1_27scan_by_key_config_selectorIj11FixedVectorIiLj4EEEEZZNS1_16scan_by_key_implILNS1_25lookback_scan_determinismE0ELb0ES3_N6thrust23THRUST_200600_302600_NS6detail15normal_iteratorINSB_10device_ptrIjEEEENSD_INSE_IS6_EEEESI_S6_NSB_4plusIvEENSB_8equal_toIvEES6_EE10hipError_tPvRmT2_T3_T4_T5_mT6_T7_P12ihipStream_tbENKUlT_T0_E_clISt17integral_constantIbLb1EES12_IbLb0EEEEDaSY_SZ_EUlSY_E_NS1_11comp_targetILNS1_3genE5ELNS1_11target_archE942ELNS1_3gpuE9ELNS1_3repE0EEENS1_30default_config_static_selectorELNS0_4arch9wavefront6targetE1EEEvT1_,comdat
.Lfunc_end2057:
	.size	_ZN7rocprim17ROCPRIM_400000_NS6detail17trampoline_kernelINS0_14default_configENS1_27scan_by_key_config_selectorIj11FixedVectorIiLj4EEEEZZNS1_16scan_by_key_implILNS1_25lookback_scan_determinismE0ELb0ES3_N6thrust23THRUST_200600_302600_NS6detail15normal_iteratorINSB_10device_ptrIjEEEENSD_INSE_IS6_EEEESI_S6_NSB_4plusIvEENSB_8equal_toIvEES6_EE10hipError_tPvRmT2_T3_T4_T5_mT6_T7_P12ihipStream_tbENKUlT_T0_E_clISt17integral_constantIbLb1EES12_IbLb0EEEEDaSY_SZ_EUlSY_E_NS1_11comp_targetILNS1_3genE5ELNS1_11target_archE942ELNS1_3gpuE9ELNS1_3repE0EEENS1_30default_config_static_selectorELNS0_4arch9wavefront6targetE1EEEvT1_, .Lfunc_end2057-_ZN7rocprim17ROCPRIM_400000_NS6detail17trampoline_kernelINS0_14default_configENS1_27scan_by_key_config_selectorIj11FixedVectorIiLj4EEEEZZNS1_16scan_by_key_implILNS1_25lookback_scan_determinismE0ELb0ES3_N6thrust23THRUST_200600_302600_NS6detail15normal_iteratorINSB_10device_ptrIjEEEENSD_INSE_IS6_EEEESI_S6_NSB_4plusIvEENSB_8equal_toIvEES6_EE10hipError_tPvRmT2_T3_T4_T5_mT6_T7_P12ihipStream_tbENKUlT_T0_E_clISt17integral_constantIbLb1EES12_IbLb0EEEEDaSY_SZ_EUlSY_E_NS1_11comp_targetILNS1_3genE5ELNS1_11target_archE942ELNS1_3gpuE9ELNS1_3repE0EEENS1_30default_config_static_selectorELNS0_4arch9wavefront6targetE1EEEvT1_
                                        ; -- End function
	.section	.AMDGPU.csdata,"",@progbits
; Kernel info:
; codeLenInByte = 48200
; NumSgprs: 106
; NumVgprs: 201
; NumAgprs: 0
; TotalNumVgprs: 201
; ScratchSize: 944
; MemoryBound: 0
; FloatMode: 240
; IeeeMode: 1
; LDSByteSize: 47104 bytes/workgroup (compile time only)
; SGPRBlocks: 13
; VGPRBlocks: 25
; NumSGPRsForWavesPerEU: 106
; NumVGPRsForWavesPerEU: 201
; AccumOffset: 204
; Occupancy: 1
; WaveLimiterHint : 1
; COMPUTE_PGM_RSRC2:SCRATCH_EN: 1
; COMPUTE_PGM_RSRC2:USER_SGPR: 2
; COMPUTE_PGM_RSRC2:TRAP_HANDLER: 0
; COMPUTE_PGM_RSRC2:TGID_X_EN: 1
; COMPUTE_PGM_RSRC2:TGID_Y_EN: 0
; COMPUTE_PGM_RSRC2:TGID_Z_EN: 0
; COMPUTE_PGM_RSRC2:TIDIG_COMP_CNT: 0
; COMPUTE_PGM_RSRC3_GFX90A:ACCUM_OFFSET: 50
; COMPUTE_PGM_RSRC3_GFX90A:TG_SPLIT: 0
	.section	.text._ZN7rocprim17ROCPRIM_400000_NS6detail17trampoline_kernelINS0_14default_configENS1_27scan_by_key_config_selectorIj11FixedVectorIiLj4EEEEZZNS1_16scan_by_key_implILNS1_25lookback_scan_determinismE0ELb0ES3_N6thrust23THRUST_200600_302600_NS6detail15normal_iteratorINSB_10device_ptrIjEEEENSD_INSE_IS6_EEEESI_S6_NSB_4plusIvEENSB_8equal_toIvEES6_EE10hipError_tPvRmT2_T3_T4_T5_mT6_T7_P12ihipStream_tbENKUlT_T0_E_clISt17integral_constantIbLb1EES12_IbLb0EEEEDaSY_SZ_EUlSY_E_NS1_11comp_targetILNS1_3genE4ELNS1_11target_archE910ELNS1_3gpuE8ELNS1_3repE0EEENS1_30default_config_static_selectorELNS0_4arch9wavefront6targetE1EEEvT1_,"axG",@progbits,_ZN7rocprim17ROCPRIM_400000_NS6detail17trampoline_kernelINS0_14default_configENS1_27scan_by_key_config_selectorIj11FixedVectorIiLj4EEEEZZNS1_16scan_by_key_implILNS1_25lookback_scan_determinismE0ELb0ES3_N6thrust23THRUST_200600_302600_NS6detail15normal_iteratorINSB_10device_ptrIjEEEENSD_INSE_IS6_EEEESI_S6_NSB_4plusIvEENSB_8equal_toIvEES6_EE10hipError_tPvRmT2_T3_T4_T5_mT6_T7_P12ihipStream_tbENKUlT_T0_E_clISt17integral_constantIbLb1EES12_IbLb0EEEEDaSY_SZ_EUlSY_E_NS1_11comp_targetILNS1_3genE4ELNS1_11target_archE910ELNS1_3gpuE8ELNS1_3repE0EEENS1_30default_config_static_selectorELNS0_4arch9wavefront6targetE1EEEvT1_,comdat
	.protected	_ZN7rocprim17ROCPRIM_400000_NS6detail17trampoline_kernelINS0_14default_configENS1_27scan_by_key_config_selectorIj11FixedVectorIiLj4EEEEZZNS1_16scan_by_key_implILNS1_25lookback_scan_determinismE0ELb0ES3_N6thrust23THRUST_200600_302600_NS6detail15normal_iteratorINSB_10device_ptrIjEEEENSD_INSE_IS6_EEEESI_S6_NSB_4plusIvEENSB_8equal_toIvEES6_EE10hipError_tPvRmT2_T3_T4_T5_mT6_T7_P12ihipStream_tbENKUlT_T0_E_clISt17integral_constantIbLb1EES12_IbLb0EEEEDaSY_SZ_EUlSY_E_NS1_11comp_targetILNS1_3genE4ELNS1_11target_archE910ELNS1_3gpuE8ELNS1_3repE0EEENS1_30default_config_static_selectorELNS0_4arch9wavefront6targetE1EEEvT1_ ; -- Begin function _ZN7rocprim17ROCPRIM_400000_NS6detail17trampoline_kernelINS0_14default_configENS1_27scan_by_key_config_selectorIj11FixedVectorIiLj4EEEEZZNS1_16scan_by_key_implILNS1_25lookback_scan_determinismE0ELb0ES3_N6thrust23THRUST_200600_302600_NS6detail15normal_iteratorINSB_10device_ptrIjEEEENSD_INSE_IS6_EEEESI_S6_NSB_4plusIvEENSB_8equal_toIvEES6_EE10hipError_tPvRmT2_T3_T4_T5_mT6_T7_P12ihipStream_tbENKUlT_T0_E_clISt17integral_constantIbLb1EES12_IbLb0EEEEDaSY_SZ_EUlSY_E_NS1_11comp_targetILNS1_3genE4ELNS1_11target_archE910ELNS1_3gpuE8ELNS1_3repE0EEENS1_30default_config_static_selectorELNS0_4arch9wavefront6targetE1EEEvT1_
	.globl	_ZN7rocprim17ROCPRIM_400000_NS6detail17trampoline_kernelINS0_14default_configENS1_27scan_by_key_config_selectorIj11FixedVectorIiLj4EEEEZZNS1_16scan_by_key_implILNS1_25lookback_scan_determinismE0ELb0ES3_N6thrust23THRUST_200600_302600_NS6detail15normal_iteratorINSB_10device_ptrIjEEEENSD_INSE_IS6_EEEESI_S6_NSB_4plusIvEENSB_8equal_toIvEES6_EE10hipError_tPvRmT2_T3_T4_T5_mT6_T7_P12ihipStream_tbENKUlT_T0_E_clISt17integral_constantIbLb1EES12_IbLb0EEEEDaSY_SZ_EUlSY_E_NS1_11comp_targetILNS1_3genE4ELNS1_11target_archE910ELNS1_3gpuE8ELNS1_3repE0EEENS1_30default_config_static_selectorELNS0_4arch9wavefront6targetE1EEEvT1_
	.p2align	8
	.type	_ZN7rocprim17ROCPRIM_400000_NS6detail17trampoline_kernelINS0_14default_configENS1_27scan_by_key_config_selectorIj11FixedVectorIiLj4EEEEZZNS1_16scan_by_key_implILNS1_25lookback_scan_determinismE0ELb0ES3_N6thrust23THRUST_200600_302600_NS6detail15normal_iteratorINSB_10device_ptrIjEEEENSD_INSE_IS6_EEEESI_S6_NSB_4plusIvEENSB_8equal_toIvEES6_EE10hipError_tPvRmT2_T3_T4_T5_mT6_T7_P12ihipStream_tbENKUlT_T0_E_clISt17integral_constantIbLb1EES12_IbLb0EEEEDaSY_SZ_EUlSY_E_NS1_11comp_targetILNS1_3genE4ELNS1_11target_archE910ELNS1_3gpuE8ELNS1_3repE0EEENS1_30default_config_static_selectorELNS0_4arch9wavefront6targetE1EEEvT1_,@function
_ZN7rocprim17ROCPRIM_400000_NS6detail17trampoline_kernelINS0_14default_configENS1_27scan_by_key_config_selectorIj11FixedVectorIiLj4EEEEZZNS1_16scan_by_key_implILNS1_25lookback_scan_determinismE0ELb0ES3_N6thrust23THRUST_200600_302600_NS6detail15normal_iteratorINSB_10device_ptrIjEEEENSD_INSE_IS6_EEEESI_S6_NSB_4plusIvEENSB_8equal_toIvEES6_EE10hipError_tPvRmT2_T3_T4_T5_mT6_T7_P12ihipStream_tbENKUlT_T0_E_clISt17integral_constantIbLb1EES12_IbLb0EEEEDaSY_SZ_EUlSY_E_NS1_11comp_targetILNS1_3genE4ELNS1_11target_archE910ELNS1_3gpuE8ELNS1_3repE0EEENS1_30default_config_static_selectorELNS0_4arch9wavefront6targetE1EEEvT1_: ; @_ZN7rocprim17ROCPRIM_400000_NS6detail17trampoline_kernelINS0_14default_configENS1_27scan_by_key_config_selectorIj11FixedVectorIiLj4EEEEZZNS1_16scan_by_key_implILNS1_25lookback_scan_determinismE0ELb0ES3_N6thrust23THRUST_200600_302600_NS6detail15normal_iteratorINSB_10device_ptrIjEEEENSD_INSE_IS6_EEEESI_S6_NSB_4plusIvEENSB_8equal_toIvEES6_EE10hipError_tPvRmT2_T3_T4_T5_mT6_T7_P12ihipStream_tbENKUlT_T0_E_clISt17integral_constantIbLb1EES12_IbLb0EEEEDaSY_SZ_EUlSY_E_NS1_11comp_targetILNS1_3genE4ELNS1_11target_archE910ELNS1_3gpuE8ELNS1_3repE0EEENS1_30default_config_static_selectorELNS0_4arch9wavefront6targetE1EEEvT1_
; %bb.0:
	.section	.rodata,"a",@progbits
	.p2align	6, 0x0
	.amdhsa_kernel _ZN7rocprim17ROCPRIM_400000_NS6detail17trampoline_kernelINS0_14default_configENS1_27scan_by_key_config_selectorIj11FixedVectorIiLj4EEEEZZNS1_16scan_by_key_implILNS1_25lookback_scan_determinismE0ELb0ES3_N6thrust23THRUST_200600_302600_NS6detail15normal_iteratorINSB_10device_ptrIjEEEENSD_INSE_IS6_EEEESI_S6_NSB_4plusIvEENSB_8equal_toIvEES6_EE10hipError_tPvRmT2_T3_T4_T5_mT6_T7_P12ihipStream_tbENKUlT_T0_E_clISt17integral_constantIbLb1EES12_IbLb0EEEEDaSY_SZ_EUlSY_E_NS1_11comp_targetILNS1_3genE4ELNS1_11target_archE910ELNS1_3gpuE8ELNS1_3repE0EEENS1_30default_config_static_selectorELNS0_4arch9wavefront6targetE1EEEvT1_
		.amdhsa_group_segment_fixed_size 0
		.amdhsa_private_segment_fixed_size 0
		.amdhsa_kernarg_size 144
		.amdhsa_user_sgpr_count 2
		.amdhsa_user_sgpr_dispatch_ptr 0
		.amdhsa_user_sgpr_queue_ptr 0
		.amdhsa_user_sgpr_kernarg_segment_ptr 1
		.amdhsa_user_sgpr_dispatch_id 0
		.amdhsa_user_sgpr_kernarg_preload_length 0
		.amdhsa_user_sgpr_kernarg_preload_offset 0
		.amdhsa_user_sgpr_private_segment_size 0
		.amdhsa_uses_dynamic_stack 0
		.amdhsa_enable_private_segment 0
		.amdhsa_system_sgpr_workgroup_id_x 1
		.amdhsa_system_sgpr_workgroup_id_y 0
		.amdhsa_system_sgpr_workgroup_id_z 0
		.amdhsa_system_sgpr_workgroup_info 0
		.amdhsa_system_vgpr_workitem_id 0
		.amdhsa_next_free_vgpr 1
		.amdhsa_next_free_sgpr 0
		.amdhsa_accum_offset 4
		.amdhsa_reserve_vcc 0
		.amdhsa_float_round_mode_32 0
		.amdhsa_float_round_mode_16_64 0
		.amdhsa_float_denorm_mode_32 3
		.amdhsa_float_denorm_mode_16_64 3
		.amdhsa_dx10_clamp 1
		.amdhsa_ieee_mode 1
		.amdhsa_fp16_overflow 0
		.amdhsa_tg_split 0
		.amdhsa_exception_fp_ieee_invalid_op 0
		.amdhsa_exception_fp_denorm_src 0
		.amdhsa_exception_fp_ieee_div_zero 0
		.amdhsa_exception_fp_ieee_overflow 0
		.amdhsa_exception_fp_ieee_underflow 0
		.amdhsa_exception_fp_ieee_inexact 0
		.amdhsa_exception_int_div_zero 0
	.end_amdhsa_kernel
	.section	.text._ZN7rocprim17ROCPRIM_400000_NS6detail17trampoline_kernelINS0_14default_configENS1_27scan_by_key_config_selectorIj11FixedVectorIiLj4EEEEZZNS1_16scan_by_key_implILNS1_25lookback_scan_determinismE0ELb0ES3_N6thrust23THRUST_200600_302600_NS6detail15normal_iteratorINSB_10device_ptrIjEEEENSD_INSE_IS6_EEEESI_S6_NSB_4plusIvEENSB_8equal_toIvEES6_EE10hipError_tPvRmT2_T3_T4_T5_mT6_T7_P12ihipStream_tbENKUlT_T0_E_clISt17integral_constantIbLb1EES12_IbLb0EEEEDaSY_SZ_EUlSY_E_NS1_11comp_targetILNS1_3genE4ELNS1_11target_archE910ELNS1_3gpuE8ELNS1_3repE0EEENS1_30default_config_static_selectorELNS0_4arch9wavefront6targetE1EEEvT1_,"axG",@progbits,_ZN7rocprim17ROCPRIM_400000_NS6detail17trampoline_kernelINS0_14default_configENS1_27scan_by_key_config_selectorIj11FixedVectorIiLj4EEEEZZNS1_16scan_by_key_implILNS1_25lookback_scan_determinismE0ELb0ES3_N6thrust23THRUST_200600_302600_NS6detail15normal_iteratorINSB_10device_ptrIjEEEENSD_INSE_IS6_EEEESI_S6_NSB_4plusIvEENSB_8equal_toIvEES6_EE10hipError_tPvRmT2_T3_T4_T5_mT6_T7_P12ihipStream_tbENKUlT_T0_E_clISt17integral_constantIbLb1EES12_IbLb0EEEEDaSY_SZ_EUlSY_E_NS1_11comp_targetILNS1_3genE4ELNS1_11target_archE910ELNS1_3gpuE8ELNS1_3repE0EEENS1_30default_config_static_selectorELNS0_4arch9wavefront6targetE1EEEvT1_,comdat
.Lfunc_end2058:
	.size	_ZN7rocprim17ROCPRIM_400000_NS6detail17trampoline_kernelINS0_14default_configENS1_27scan_by_key_config_selectorIj11FixedVectorIiLj4EEEEZZNS1_16scan_by_key_implILNS1_25lookback_scan_determinismE0ELb0ES3_N6thrust23THRUST_200600_302600_NS6detail15normal_iteratorINSB_10device_ptrIjEEEENSD_INSE_IS6_EEEESI_S6_NSB_4plusIvEENSB_8equal_toIvEES6_EE10hipError_tPvRmT2_T3_T4_T5_mT6_T7_P12ihipStream_tbENKUlT_T0_E_clISt17integral_constantIbLb1EES12_IbLb0EEEEDaSY_SZ_EUlSY_E_NS1_11comp_targetILNS1_3genE4ELNS1_11target_archE910ELNS1_3gpuE8ELNS1_3repE0EEENS1_30default_config_static_selectorELNS0_4arch9wavefront6targetE1EEEvT1_, .Lfunc_end2058-_ZN7rocprim17ROCPRIM_400000_NS6detail17trampoline_kernelINS0_14default_configENS1_27scan_by_key_config_selectorIj11FixedVectorIiLj4EEEEZZNS1_16scan_by_key_implILNS1_25lookback_scan_determinismE0ELb0ES3_N6thrust23THRUST_200600_302600_NS6detail15normal_iteratorINSB_10device_ptrIjEEEENSD_INSE_IS6_EEEESI_S6_NSB_4plusIvEENSB_8equal_toIvEES6_EE10hipError_tPvRmT2_T3_T4_T5_mT6_T7_P12ihipStream_tbENKUlT_T0_E_clISt17integral_constantIbLb1EES12_IbLb0EEEEDaSY_SZ_EUlSY_E_NS1_11comp_targetILNS1_3genE4ELNS1_11target_archE910ELNS1_3gpuE8ELNS1_3repE0EEENS1_30default_config_static_selectorELNS0_4arch9wavefront6targetE1EEEvT1_
                                        ; -- End function
	.section	.AMDGPU.csdata,"",@progbits
; Kernel info:
; codeLenInByte = 0
; NumSgprs: 6
; NumVgprs: 0
; NumAgprs: 0
; TotalNumVgprs: 0
; ScratchSize: 0
; MemoryBound: 0
; FloatMode: 240
; IeeeMode: 1
; LDSByteSize: 0 bytes/workgroup (compile time only)
; SGPRBlocks: 0
; VGPRBlocks: 0
; NumSGPRsForWavesPerEU: 6
; NumVGPRsForWavesPerEU: 1
; AccumOffset: 4
; Occupancy: 8
; WaveLimiterHint : 0
; COMPUTE_PGM_RSRC2:SCRATCH_EN: 0
; COMPUTE_PGM_RSRC2:USER_SGPR: 2
; COMPUTE_PGM_RSRC2:TRAP_HANDLER: 0
; COMPUTE_PGM_RSRC2:TGID_X_EN: 1
; COMPUTE_PGM_RSRC2:TGID_Y_EN: 0
; COMPUTE_PGM_RSRC2:TGID_Z_EN: 0
; COMPUTE_PGM_RSRC2:TIDIG_COMP_CNT: 0
; COMPUTE_PGM_RSRC3_GFX90A:ACCUM_OFFSET: 0
; COMPUTE_PGM_RSRC3_GFX90A:TG_SPLIT: 0
	.section	.text._ZN7rocprim17ROCPRIM_400000_NS6detail17trampoline_kernelINS0_14default_configENS1_27scan_by_key_config_selectorIj11FixedVectorIiLj4EEEEZZNS1_16scan_by_key_implILNS1_25lookback_scan_determinismE0ELb0ES3_N6thrust23THRUST_200600_302600_NS6detail15normal_iteratorINSB_10device_ptrIjEEEENSD_INSE_IS6_EEEESI_S6_NSB_4plusIvEENSB_8equal_toIvEES6_EE10hipError_tPvRmT2_T3_T4_T5_mT6_T7_P12ihipStream_tbENKUlT_T0_E_clISt17integral_constantIbLb1EES12_IbLb0EEEEDaSY_SZ_EUlSY_E_NS1_11comp_targetILNS1_3genE3ELNS1_11target_archE908ELNS1_3gpuE7ELNS1_3repE0EEENS1_30default_config_static_selectorELNS0_4arch9wavefront6targetE1EEEvT1_,"axG",@progbits,_ZN7rocprim17ROCPRIM_400000_NS6detail17trampoline_kernelINS0_14default_configENS1_27scan_by_key_config_selectorIj11FixedVectorIiLj4EEEEZZNS1_16scan_by_key_implILNS1_25lookback_scan_determinismE0ELb0ES3_N6thrust23THRUST_200600_302600_NS6detail15normal_iteratorINSB_10device_ptrIjEEEENSD_INSE_IS6_EEEESI_S6_NSB_4plusIvEENSB_8equal_toIvEES6_EE10hipError_tPvRmT2_T3_T4_T5_mT6_T7_P12ihipStream_tbENKUlT_T0_E_clISt17integral_constantIbLb1EES12_IbLb0EEEEDaSY_SZ_EUlSY_E_NS1_11comp_targetILNS1_3genE3ELNS1_11target_archE908ELNS1_3gpuE7ELNS1_3repE0EEENS1_30default_config_static_selectorELNS0_4arch9wavefront6targetE1EEEvT1_,comdat
	.protected	_ZN7rocprim17ROCPRIM_400000_NS6detail17trampoline_kernelINS0_14default_configENS1_27scan_by_key_config_selectorIj11FixedVectorIiLj4EEEEZZNS1_16scan_by_key_implILNS1_25lookback_scan_determinismE0ELb0ES3_N6thrust23THRUST_200600_302600_NS6detail15normal_iteratorINSB_10device_ptrIjEEEENSD_INSE_IS6_EEEESI_S6_NSB_4plusIvEENSB_8equal_toIvEES6_EE10hipError_tPvRmT2_T3_T4_T5_mT6_T7_P12ihipStream_tbENKUlT_T0_E_clISt17integral_constantIbLb1EES12_IbLb0EEEEDaSY_SZ_EUlSY_E_NS1_11comp_targetILNS1_3genE3ELNS1_11target_archE908ELNS1_3gpuE7ELNS1_3repE0EEENS1_30default_config_static_selectorELNS0_4arch9wavefront6targetE1EEEvT1_ ; -- Begin function _ZN7rocprim17ROCPRIM_400000_NS6detail17trampoline_kernelINS0_14default_configENS1_27scan_by_key_config_selectorIj11FixedVectorIiLj4EEEEZZNS1_16scan_by_key_implILNS1_25lookback_scan_determinismE0ELb0ES3_N6thrust23THRUST_200600_302600_NS6detail15normal_iteratorINSB_10device_ptrIjEEEENSD_INSE_IS6_EEEESI_S6_NSB_4plusIvEENSB_8equal_toIvEES6_EE10hipError_tPvRmT2_T3_T4_T5_mT6_T7_P12ihipStream_tbENKUlT_T0_E_clISt17integral_constantIbLb1EES12_IbLb0EEEEDaSY_SZ_EUlSY_E_NS1_11comp_targetILNS1_3genE3ELNS1_11target_archE908ELNS1_3gpuE7ELNS1_3repE0EEENS1_30default_config_static_selectorELNS0_4arch9wavefront6targetE1EEEvT1_
	.globl	_ZN7rocprim17ROCPRIM_400000_NS6detail17trampoline_kernelINS0_14default_configENS1_27scan_by_key_config_selectorIj11FixedVectorIiLj4EEEEZZNS1_16scan_by_key_implILNS1_25lookback_scan_determinismE0ELb0ES3_N6thrust23THRUST_200600_302600_NS6detail15normal_iteratorINSB_10device_ptrIjEEEENSD_INSE_IS6_EEEESI_S6_NSB_4plusIvEENSB_8equal_toIvEES6_EE10hipError_tPvRmT2_T3_T4_T5_mT6_T7_P12ihipStream_tbENKUlT_T0_E_clISt17integral_constantIbLb1EES12_IbLb0EEEEDaSY_SZ_EUlSY_E_NS1_11comp_targetILNS1_3genE3ELNS1_11target_archE908ELNS1_3gpuE7ELNS1_3repE0EEENS1_30default_config_static_selectorELNS0_4arch9wavefront6targetE1EEEvT1_
	.p2align	8
	.type	_ZN7rocprim17ROCPRIM_400000_NS6detail17trampoline_kernelINS0_14default_configENS1_27scan_by_key_config_selectorIj11FixedVectorIiLj4EEEEZZNS1_16scan_by_key_implILNS1_25lookback_scan_determinismE0ELb0ES3_N6thrust23THRUST_200600_302600_NS6detail15normal_iteratorINSB_10device_ptrIjEEEENSD_INSE_IS6_EEEESI_S6_NSB_4plusIvEENSB_8equal_toIvEES6_EE10hipError_tPvRmT2_T3_T4_T5_mT6_T7_P12ihipStream_tbENKUlT_T0_E_clISt17integral_constantIbLb1EES12_IbLb0EEEEDaSY_SZ_EUlSY_E_NS1_11comp_targetILNS1_3genE3ELNS1_11target_archE908ELNS1_3gpuE7ELNS1_3repE0EEENS1_30default_config_static_selectorELNS0_4arch9wavefront6targetE1EEEvT1_,@function
_ZN7rocprim17ROCPRIM_400000_NS6detail17trampoline_kernelINS0_14default_configENS1_27scan_by_key_config_selectorIj11FixedVectorIiLj4EEEEZZNS1_16scan_by_key_implILNS1_25lookback_scan_determinismE0ELb0ES3_N6thrust23THRUST_200600_302600_NS6detail15normal_iteratorINSB_10device_ptrIjEEEENSD_INSE_IS6_EEEESI_S6_NSB_4plusIvEENSB_8equal_toIvEES6_EE10hipError_tPvRmT2_T3_T4_T5_mT6_T7_P12ihipStream_tbENKUlT_T0_E_clISt17integral_constantIbLb1EES12_IbLb0EEEEDaSY_SZ_EUlSY_E_NS1_11comp_targetILNS1_3genE3ELNS1_11target_archE908ELNS1_3gpuE7ELNS1_3repE0EEENS1_30default_config_static_selectorELNS0_4arch9wavefront6targetE1EEEvT1_: ; @_ZN7rocprim17ROCPRIM_400000_NS6detail17trampoline_kernelINS0_14default_configENS1_27scan_by_key_config_selectorIj11FixedVectorIiLj4EEEEZZNS1_16scan_by_key_implILNS1_25lookback_scan_determinismE0ELb0ES3_N6thrust23THRUST_200600_302600_NS6detail15normal_iteratorINSB_10device_ptrIjEEEENSD_INSE_IS6_EEEESI_S6_NSB_4plusIvEENSB_8equal_toIvEES6_EE10hipError_tPvRmT2_T3_T4_T5_mT6_T7_P12ihipStream_tbENKUlT_T0_E_clISt17integral_constantIbLb1EES12_IbLb0EEEEDaSY_SZ_EUlSY_E_NS1_11comp_targetILNS1_3genE3ELNS1_11target_archE908ELNS1_3gpuE7ELNS1_3repE0EEENS1_30default_config_static_selectorELNS0_4arch9wavefront6targetE1EEEvT1_
; %bb.0:
	.section	.rodata,"a",@progbits
	.p2align	6, 0x0
	.amdhsa_kernel _ZN7rocprim17ROCPRIM_400000_NS6detail17trampoline_kernelINS0_14default_configENS1_27scan_by_key_config_selectorIj11FixedVectorIiLj4EEEEZZNS1_16scan_by_key_implILNS1_25lookback_scan_determinismE0ELb0ES3_N6thrust23THRUST_200600_302600_NS6detail15normal_iteratorINSB_10device_ptrIjEEEENSD_INSE_IS6_EEEESI_S6_NSB_4plusIvEENSB_8equal_toIvEES6_EE10hipError_tPvRmT2_T3_T4_T5_mT6_T7_P12ihipStream_tbENKUlT_T0_E_clISt17integral_constantIbLb1EES12_IbLb0EEEEDaSY_SZ_EUlSY_E_NS1_11comp_targetILNS1_3genE3ELNS1_11target_archE908ELNS1_3gpuE7ELNS1_3repE0EEENS1_30default_config_static_selectorELNS0_4arch9wavefront6targetE1EEEvT1_
		.amdhsa_group_segment_fixed_size 0
		.amdhsa_private_segment_fixed_size 0
		.amdhsa_kernarg_size 144
		.amdhsa_user_sgpr_count 2
		.amdhsa_user_sgpr_dispatch_ptr 0
		.amdhsa_user_sgpr_queue_ptr 0
		.amdhsa_user_sgpr_kernarg_segment_ptr 1
		.amdhsa_user_sgpr_dispatch_id 0
		.amdhsa_user_sgpr_kernarg_preload_length 0
		.amdhsa_user_sgpr_kernarg_preload_offset 0
		.amdhsa_user_sgpr_private_segment_size 0
		.amdhsa_uses_dynamic_stack 0
		.amdhsa_enable_private_segment 0
		.amdhsa_system_sgpr_workgroup_id_x 1
		.amdhsa_system_sgpr_workgroup_id_y 0
		.amdhsa_system_sgpr_workgroup_id_z 0
		.amdhsa_system_sgpr_workgroup_info 0
		.amdhsa_system_vgpr_workitem_id 0
		.amdhsa_next_free_vgpr 1
		.amdhsa_next_free_sgpr 0
		.amdhsa_accum_offset 4
		.amdhsa_reserve_vcc 0
		.amdhsa_float_round_mode_32 0
		.amdhsa_float_round_mode_16_64 0
		.amdhsa_float_denorm_mode_32 3
		.amdhsa_float_denorm_mode_16_64 3
		.amdhsa_dx10_clamp 1
		.amdhsa_ieee_mode 1
		.amdhsa_fp16_overflow 0
		.amdhsa_tg_split 0
		.amdhsa_exception_fp_ieee_invalid_op 0
		.amdhsa_exception_fp_denorm_src 0
		.amdhsa_exception_fp_ieee_div_zero 0
		.amdhsa_exception_fp_ieee_overflow 0
		.amdhsa_exception_fp_ieee_underflow 0
		.amdhsa_exception_fp_ieee_inexact 0
		.amdhsa_exception_int_div_zero 0
	.end_amdhsa_kernel
	.section	.text._ZN7rocprim17ROCPRIM_400000_NS6detail17trampoline_kernelINS0_14default_configENS1_27scan_by_key_config_selectorIj11FixedVectorIiLj4EEEEZZNS1_16scan_by_key_implILNS1_25lookback_scan_determinismE0ELb0ES3_N6thrust23THRUST_200600_302600_NS6detail15normal_iteratorINSB_10device_ptrIjEEEENSD_INSE_IS6_EEEESI_S6_NSB_4plusIvEENSB_8equal_toIvEES6_EE10hipError_tPvRmT2_T3_T4_T5_mT6_T7_P12ihipStream_tbENKUlT_T0_E_clISt17integral_constantIbLb1EES12_IbLb0EEEEDaSY_SZ_EUlSY_E_NS1_11comp_targetILNS1_3genE3ELNS1_11target_archE908ELNS1_3gpuE7ELNS1_3repE0EEENS1_30default_config_static_selectorELNS0_4arch9wavefront6targetE1EEEvT1_,"axG",@progbits,_ZN7rocprim17ROCPRIM_400000_NS6detail17trampoline_kernelINS0_14default_configENS1_27scan_by_key_config_selectorIj11FixedVectorIiLj4EEEEZZNS1_16scan_by_key_implILNS1_25lookback_scan_determinismE0ELb0ES3_N6thrust23THRUST_200600_302600_NS6detail15normal_iteratorINSB_10device_ptrIjEEEENSD_INSE_IS6_EEEESI_S6_NSB_4plusIvEENSB_8equal_toIvEES6_EE10hipError_tPvRmT2_T3_T4_T5_mT6_T7_P12ihipStream_tbENKUlT_T0_E_clISt17integral_constantIbLb1EES12_IbLb0EEEEDaSY_SZ_EUlSY_E_NS1_11comp_targetILNS1_3genE3ELNS1_11target_archE908ELNS1_3gpuE7ELNS1_3repE0EEENS1_30default_config_static_selectorELNS0_4arch9wavefront6targetE1EEEvT1_,comdat
.Lfunc_end2059:
	.size	_ZN7rocprim17ROCPRIM_400000_NS6detail17trampoline_kernelINS0_14default_configENS1_27scan_by_key_config_selectorIj11FixedVectorIiLj4EEEEZZNS1_16scan_by_key_implILNS1_25lookback_scan_determinismE0ELb0ES3_N6thrust23THRUST_200600_302600_NS6detail15normal_iteratorINSB_10device_ptrIjEEEENSD_INSE_IS6_EEEESI_S6_NSB_4plusIvEENSB_8equal_toIvEES6_EE10hipError_tPvRmT2_T3_T4_T5_mT6_T7_P12ihipStream_tbENKUlT_T0_E_clISt17integral_constantIbLb1EES12_IbLb0EEEEDaSY_SZ_EUlSY_E_NS1_11comp_targetILNS1_3genE3ELNS1_11target_archE908ELNS1_3gpuE7ELNS1_3repE0EEENS1_30default_config_static_selectorELNS0_4arch9wavefront6targetE1EEEvT1_, .Lfunc_end2059-_ZN7rocprim17ROCPRIM_400000_NS6detail17trampoline_kernelINS0_14default_configENS1_27scan_by_key_config_selectorIj11FixedVectorIiLj4EEEEZZNS1_16scan_by_key_implILNS1_25lookback_scan_determinismE0ELb0ES3_N6thrust23THRUST_200600_302600_NS6detail15normal_iteratorINSB_10device_ptrIjEEEENSD_INSE_IS6_EEEESI_S6_NSB_4plusIvEENSB_8equal_toIvEES6_EE10hipError_tPvRmT2_T3_T4_T5_mT6_T7_P12ihipStream_tbENKUlT_T0_E_clISt17integral_constantIbLb1EES12_IbLb0EEEEDaSY_SZ_EUlSY_E_NS1_11comp_targetILNS1_3genE3ELNS1_11target_archE908ELNS1_3gpuE7ELNS1_3repE0EEENS1_30default_config_static_selectorELNS0_4arch9wavefront6targetE1EEEvT1_
                                        ; -- End function
	.section	.AMDGPU.csdata,"",@progbits
; Kernel info:
; codeLenInByte = 0
; NumSgprs: 6
; NumVgprs: 0
; NumAgprs: 0
; TotalNumVgprs: 0
; ScratchSize: 0
; MemoryBound: 0
; FloatMode: 240
; IeeeMode: 1
; LDSByteSize: 0 bytes/workgroup (compile time only)
; SGPRBlocks: 0
; VGPRBlocks: 0
; NumSGPRsForWavesPerEU: 6
; NumVGPRsForWavesPerEU: 1
; AccumOffset: 4
; Occupancy: 8
; WaveLimiterHint : 0
; COMPUTE_PGM_RSRC2:SCRATCH_EN: 0
; COMPUTE_PGM_RSRC2:USER_SGPR: 2
; COMPUTE_PGM_RSRC2:TRAP_HANDLER: 0
; COMPUTE_PGM_RSRC2:TGID_X_EN: 1
; COMPUTE_PGM_RSRC2:TGID_Y_EN: 0
; COMPUTE_PGM_RSRC2:TGID_Z_EN: 0
; COMPUTE_PGM_RSRC2:TIDIG_COMP_CNT: 0
; COMPUTE_PGM_RSRC3_GFX90A:ACCUM_OFFSET: 0
; COMPUTE_PGM_RSRC3_GFX90A:TG_SPLIT: 0
	.section	.text._ZN7rocprim17ROCPRIM_400000_NS6detail17trampoline_kernelINS0_14default_configENS1_27scan_by_key_config_selectorIj11FixedVectorIiLj4EEEEZZNS1_16scan_by_key_implILNS1_25lookback_scan_determinismE0ELb0ES3_N6thrust23THRUST_200600_302600_NS6detail15normal_iteratorINSB_10device_ptrIjEEEENSD_INSE_IS6_EEEESI_S6_NSB_4plusIvEENSB_8equal_toIvEES6_EE10hipError_tPvRmT2_T3_T4_T5_mT6_T7_P12ihipStream_tbENKUlT_T0_E_clISt17integral_constantIbLb1EES12_IbLb0EEEEDaSY_SZ_EUlSY_E_NS1_11comp_targetILNS1_3genE2ELNS1_11target_archE906ELNS1_3gpuE6ELNS1_3repE0EEENS1_30default_config_static_selectorELNS0_4arch9wavefront6targetE1EEEvT1_,"axG",@progbits,_ZN7rocprim17ROCPRIM_400000_NS6detail17trampoline_kernelINS0_14default_configENS1_27scan_by_key_config_selectorIj11FixedVectorIiLj4EEEEZZNS1_16scan_by_key_implILNS1_25lookback_scan_determinismE0ELb0ES3_N6thrust23THRUST_200600_302600_NS6detail15normal_iteratorINSB_10device_ptrIjEEEENSD_INSE_IS6_EEEESI_S6_NSB_4plusIvEENSB_8equal_toIvEES6_EE10hipError_tPvRmT2_T3_T4_T5_mT6_T7_P12ihipStream_tbENKUlT_T0_E_clISt17integral_constantIbLb1EES12_IbLb0EEEEDaSY_SZ_EUlSY_E_NS1_11comp_targetILNS1_3genE2ELNS1_11target_archE906ELNS1_3gpuE6ELNS1_3repE0EEENS1_30default_config_static_selectorELNS0_4arch9wavefront6targetE1EEEvT1_,comdat
	.protected	_ZN7rocprim17ROCPRIM_400000_NS6detail17trampoline_kernelINS0_14default_configENS1_27scan_by_key_config_selectorIj11FixedVectorIiLj4EEEEZZNS1_16scan_by_key_implILNS1_25lookback_scan_determinismE0ELb0ES3_N6thrust23THRUST_200600_302600_NS6detail15normal_iteratorINSB_10device_ptrIjEEEENSD_INSE_IS6_EEEESI_S6_NSB_4plusIvEENSB_8equal_toIvEES6_EE10hipError_tPvRmT2_T3_T4_T5_mT6_T7_P12ihipStream_tbENKUlT_T0_E_clISt17integral_constantIbLb1EES12_IbLb0EEEEDaSY_SZ_EUlSY_E_NS1_11comp_targetILNS1_3genE2ELNS1_11target_archE906ELNS1_3gpuE6ELNS1_3repE0EEENS1_30default_config_static_selectorELNS0_4arch9wavefront6targetE1EEEvT1_ ; -- Begin function _ZN7rocprim17ROCPRIM_400000_NS6detail17trampoline_kernelINS0_14default_configENS1_27scan_by_key_config_selectorIj11FixedVectorIiLj4EEEEZZNS1_16scan_by_key_implILNS1_25lookback_scan_determinismE0ELb0ES3_N6thrust23THRUST_200600_302600_NS6detail15normal_iteratorINSB_10device_ptrIjEEEENSD_INSE_IS6_EEEESI_S6_NSB_4plusIvEENSB_8equal_toIvEES6_EE10hipError_tPvRmT2_T3_T4_T5_mT6_T7_P12ihipStream_tbENKUlT_T0_E_clISt17integral_constantIbLb1EES12_IbLb0EEEEDaSY_SZ_EUlSY_E_NS1_11comp_targetILNS1_3genE2ELNS1_11target_archE906ELNS1_3gpuE6ELNS1_3repE0EEENS1_30default_config_static_selectorELNS0_4arch9wavefront6targetE1EEEvT1_
	.globl	_ZN7rocprim17ROCPRIM_400000_NS6detail17trampoline_kernelINS0_14default_configENS1_27scan_by_key_config_selectorIj11FixedVectorIiLj4EEEEZZNS1_16scan_by_key_implILNS1_25lookback_scan_determinismE0ELb0ES3_N6thrust23THRUST_200600_302600_NS6detail15normal_iteratorINSB_10device_ptrIjEEEENSD_INSE_IS6_EEEESI_S6_NSB_4plusIvEENSB_8equal_toIvEES6_EE10hipError_tPvRmT2_T3_T4_T5_mT6_T7_P12ihipStream_tbENKUlT_T0_E_clISt17integral_constantIbLb1EES12_IbLb0EEEEDaSY_SZ_EUlSY_E_NS1_11comp_targetILNS1_3genE2ELNS1_11target_archE906ELNS1_3gpuE6ELNS1_3repE0EEENS1_30default_config_static_selectorELNS0_4arch9wavefront6targetE1EEEvT1_
	.p2align	8
	.type	_ZN7rocprim17ROCPRIM_400000_NS6detail17trampoline_kernelINS0_14default_configENS1_27scan_by_key_config_selectorIj11FixedVectorIiLj4EEEEZZNS1_16scan_by_key_implILNS1_25lookback_scan_determinismE0ELb0ES3_N6thrust23THRUST_200600_302600_NS6detail15normal_iteratorINSB_10device_ptrIjEEEENSD_INSE_IS6_EEEESI_S6_NSB_4plusIvEENSB_8equal_toIvEES6_EE10hipError_tPvRmT2_T3_T4_T5_mT6_T7_P12ihipStream_tbENKUlT_T0_E_clISt17integral_constantIbLb1EES12_IbLb0EEEEDaSY_SZ_EUlSY_E_NS1_11comp_targetILNS1_3genE2ELNS1_11target_archE906ELNS1_3gpuE6ELNS1_3repE0EEENS1_30default_config_static_selectorELNS0_4arch9wavefront6targetE1EEEvT1_,@function
_ZN7rocprim17ROCPRIM_400000_NS6detail17trampoline_kernelINS0_14default_configENS1_27scan_by_key_config_selectorIj11FixedVectorIiLj4EEEEZZNS1_16scan_by_key_implILNS1_25lookback_scan_determinismE0ELb0ES3_N6thrust23THRUST_200600_302600_NS6detail15normal_iteratorINSB_10device_ptrIjEEEENSD_INSE_IS6_EEEESI_S6_NSB_4plusIvEENSB_8equal_toIvEES6_EE10hipError_tPvRmT2_T3_T4_T5_mT6_T7_P12ihipStream_tbENKUlT_T0_E_clISt17integral_constantIbLb1EES12_IbLb0EEEEDaSY_SZ_EUlSY_E_NS1_11comp_targetILNS1_3genE2ELNS1_11target_archE906ELNS1_3gpuE6ELNS1_3repE0EEENS1_30default_config_static_selectorELNS0_4arch9wavefront6targetE1EEEvT1_: ; @_ZN7rocprim17ROCPRIM_400000_NS6detail17trampoline_kernelINS0_14default_configENS1_27scan_by_key_config_selectorIj11FixedVectorIiLj4EEEEZZNS1_16scan_by_key_implILNS1_25lookback_scan_determinismE0ELb0ES3_N6thrust23THRUST_200600_302600_NS6detail15normal_iteratorINSB_10device_ptrIjEEEENSD_INSE_IS6_EEEESI_S6_NSB_4plusIvEENSB_8equal_toIvEES6_EE10hipError_tPvRmT2_T3_T4_T5_mT6_T7_P12ihipStream_tbENKUlT_T0_E_clISt17integral_constantIbLb1EES12_IbLb0EEEEDaSY_SZ_EUlSY_E_NS1_11comp_targetILNS1_3genE2ELNS1_11target_archE906ELNS1_3gpuE6ELNS1_3repE0EEENS1_30default_config_static_selectorELNS0_4arch9wavefront6targetE1EEEvT1_
; %bb.0:
	.section	.rodata,"a",@progbits
	.p2align	6, 0x0
	.amdhsa_kernel _ZN7rocprim17ROCPRIM_400000_NS6detail17trampoline_kernelINS0_14default_configENS1_27scan_by_key_config_selectorIj11FixedVectorIiLj4EEEEZZNS1_16scan_by_key_implILNS1_25lookback_scan_determinismE0ELb0ES3_N6thrust23THRUST_200600_302600_NS6detail15normal_iteratorINSB_10device_ptrIjEEEENSD_INSE_IS6_EEEESI_S6_NSB_4plusIvEENSB_8equal_toIvEES6_EE10hipError_tPvRmT2_T3_T4_T5_mT6_T7_P12ihipStream_tbENKUlT_T0_E_clISt17integral_constantIbLb1EES12_IbLb0EEEEDaSY_SZ_EUlSY_E_NS1_11comp_targetILNS1_3genE2ELNS1_11target_archE906ELNS1_3gpuE6ELNS1_3repE0EEENS1_30default_config_static_selectorELNS0_4arch9wavefront6targetE1EEEvT1_
		.amdhsa_group_segment_fixed_size 0
		.amdhsa_private_segment_fixed_size 0
		.amdhsa_kernarg_size 144
		.amdhsa_user_sgpr_count 2
		.amdhsa_user_sgpr_dispatch_ptr 0
		.amdhsa_user_sgpr_queue_ptr 0
		.amdhsa_user_sgpr_kernarg_segment_ptr 1
		.amdhsa_user_sgpr_dispatch_id 0
		.amdhsa_user_sgpr_kernarg_preload_length 0
		.amdhsa_user_sgpr_kernarg_preload_offset 0
		.amdhsa_user_sgpr_private_segment_size 0
		.amdhsa_uses_dynamic_stack 0
		.amdhsa_enable_private_segment 0
		.amdhsa_system_sgpr_workgroup_id_x 1
		.amdhsa_system_sgpr_workgroup_id_y 0
		.amdhsa_system_sgpr_workgroup_id_z 0
		.amdhsa_system_sgpr_workgroup_info 0
		.amdhsa_system_vgpr_workitem_id 0
		.amdhsa_next_free_vgpr 1
		.amdhsa_next_free_sgpr 0
		.amdhsa_accum_offset 4
		.amdhsa_reserve_vcc 0
		.amdhsa_float_round_mode_32 0
		.amdhsa_float_round_mode_16_64 0
		.amdhsa_float_denorm_mode_32 3
		.amdhsa_float_denorm_mode_16_64 3
		.amdhsa_dx10_clamp 1
		.amdhsa_ieee_mode 1
		.amdhsa_fp16_overflow 0
		.amdhsa_tg_split 0
		.amdhsa_exception_fp_ieee_invalid_op 0
		.amdhsa_exception_fp_denorm_src 0
		.amdhsa_exception_fp_ieee_div_zero 0
		.amdhsa_exception_fp_ieee_overflow 0
		.amdhsa_exception_fp_ieee_underflow 0
		.amdhsa_exception_fp_ieee_inexact 0
		.amdhsa_exception_int_div_zero 0
	.end_amdhsa_kernel
	.section	.text._ZN7rocprim17ROCPRIM_400000_NS6detail17trampoline_kernelINS0_14default_configENS1_27scan_by_key_config_selectorIj11FixedVectorIiLj4EEEEZZNS1_16scan_by_key_implILNS1_25lookback_scan_determinismE0ELb0ES3_N6thrust23THRUST_200600_302600_NS6detail15normal_iteratorINSB_10device_ptrIjEEEENSD_INSE_IS6_EEEESI_S6_NSB_4plusIvEENSB_8equal_toIvEES6_EE10hipError_tPvRmT2_T3_T4_T5_mT6_T7_P12ihipStream_tbENKUlT_T0_E_clISt17integral_constantIbLb1EES12_IbLb0EEEEDaSY_SZ_EUlSY_E_NS1_11comp_targetILNS1_3genE2ELNS1_11target_archE906ELNS1_3gpuE6ELNS1_3repE0EEENS1_30default_config_static_selectorELNS0_4arch9wavefront6targetE1EEEvT1_,"axG",@progbits,_ZN7rocprim17ROCPRIM_400000_NS6detail17trampoline_kernelINS0_14default_configENS1_27scan_by_key_config_selectorIj11FixedVectorIiLj4EEEEZZNS1_16scan_by_key_implILNS1_25lookback_scan_determinismE0ELb0ES3_N6thrust23THRUST_200600_302600_NS6detail15normal_iteratorINSB_10device_ptrIjEEEENSD_INSE_IS6_EEEESI_S6_NSB_4plusIvEENSB_8equal_toIvEES6_EE10hipError_tPvRmT2_T3_T4_T5_mT6_T7_P12ihipStream_tbENKUlT_T0_E_clISt17integral_constantIbLb1EES12_IbLb0EEEEDaSY_SZ_EUlSY_E_NS1_11comp_targetILNS1_3genE2ELNS1_11target_archE906ELNS1_3gpuE6ELNS1_3repE0EEENS1_30default_config_static_selectorELNS0_4arch9wavefront6targetE1EEEvT1_,comdat
.Lfunc_end2060:
	.size	_ZN7rocprim17ROCPRIM_400000_NS6detail17trampoline_kernelINS0_14default_configENS1_27scan_by_key_config_selectorIj11FixedVectorIiLj4EEEEZZNS1_16scan_by_key_implILNS1_25lookback_scan_determinismE0ELb0ES3_N6thrust23THRUST_200600_302600_NS6detail15normal_iteratorINSB_10device_ptrIjEEEENSD_INSE_IS6_EEEESI_S6_NSB_4plusIvEENSB_8equal_toIvEES6_EE10hipError_tPvRmT2_T3_T4_T5_mT6_T7_P12ihipStream_tbENKUlT_T0_E_clISt17integral_constantIbLb1EES12_IbLb0EEEEDaSY_SZ_EUlSY_E_NS1_11comp_targetILNS1_3genE2ELNS1_11target_archE906ELNS1_3gpuE6ELNS1_3repE0EEENS1_30default_config_static_selectorELNS0_4arch9wavefront6targetE1EEEvT1_, .Lfunc_end2060-_ZN7rocprim17ROCPRIM_400000_NS6detail17trampoline_kernelINS0_14default_configENS1_27scan_by_key_config_selectorIj11FixedVectorIiLj4EEEEZZNS1_16scan_by_key_implILNS1_25lookback_scan_determinismE0ELb0ES3_N6thrust23THRUST_200600_302600_NS6detail15normal_iteratorINSB_10device_ptrIjEEEENSD_INSE_IS6_EEEESI_S6_NSB_4plusIvEENSB_8equal_toIvEES6_EE10hipError_tPvRmT2_T3_T4_T5_mT6_T7_P12ihipStream_tbENKUlT_T0_E_clISt17integral_constantIbLb1EES12_IbLb0EEEEDaSY_SZ_EUlSY_E_NS1_11comp_targetILNS1_3genE2ELNS1_11target_archE906ELNS1_3gpuE6ELNS1_3repE0EEENS1_30default_config_static_selectorELNS0_4arch9wavefront6targetE1EEEvT1_
                                        ; -- End function
	.section	.AMDGPU.csdata,"",@progbits
; Kernel info:
; codeLenInByte = 0
; NumSgprs: 6
; NumVgprs: 0
; NumAgprs: 0
; TotalNumVgprs: 0
; ScratchSize: 0
; MemoryBound: 0
; FloatMode: 240
; IeeeMode: 1
; LDSByteSize: 0 bytes/workgroup (compile time only)
; SGPRBlocks: 0
; VGPRBlocks: 0
; NumSGPRsForWavesPerEU: 6
; NumVGPRsForWavesPerEU: 1
; AccumOffset: 4
; Occupancy: 8
; WaveLimiterHint : 0
; COMPUTE_PGM_RSRC2:SCRATCH_EN: 0
; COMPUTE_PGM_RSRC2:USER_SGPR: 2
; COMPUTE_PGM_RSRC2:TRAP_HANDLER: 0
; COMPUTE_PGM_RSRC2:TGID_X_EN: 1
; COMPUTE_PGM_RSRC2:TGID_Y_EN: 0
; COMPUTE_PGM_RSRC2:TGID_Z_EN: 0
; COMPUTE_PGM_RSRC2:TIDIG_COMP_CNT: 0
; COMPUTE_PGM_RSRC3_GFX90A:ACCUM_OFFSET: 0
; COMPUTE_PGM_RSRC3_GFX90A:TG_SPLIT: 0
	.section	.text._ZN7rocprim17ROCPRIM_400000_NS6detail17trampoline_kernelINS0_14default_configENS1_27scan_by_key_config_selectorIj11FixedVectorIiLj4EEEEZZNS1_16scan_by_key_implILNS1_25lookback_scan_determinismE0ELb0ES3_N6thrust23THRUST_200600_302600_NS6detail15normal_iteratorINSB_10device_ptrIjEEEENSD_INSE_IS6_EEEESI_S6_NSB_4plusIvEENSB_8equal_toIvEES6_EE10hipError_tPvRmT2_T3_T4_T5_mT6_T7_P12ihipStream_tbENKUlT_T0_E_clISt17integral_constantIbLb1EES12_IbLb0EEEEDaSY_SZ_EUlSY_E_NS1_11comp_targetILNS1_3genE10ELNS1_11target_archE1200ELNS1_3gpuE4ELNS1_3repE0EEENS1_30default_config_static_selectorELNS0_4arch9wavefront6targetE1EEEvT1_,"axG",@progbits,_ZN7rocprim17ROCPRIM_400000_NS6detail17trampoline_kernelINS0_14default_configENS1_27scan_by_key_config_selectorIj11FixedVectorIiLj4EEEEZZNS1_16scan_by_key_implILNS1_25lookback_scan_determinismE0ELb0ES3_N6thrust23THRUST_200600_302600_NS6detail15normal_iteratorINSB_10device_ptrIjEEEENSD_INSE_IS6_EEEESI_S6_NSB_4plusIvEENSB_8equal_toIvEES6_EE10hipError_tPvRmT2_T3_T4_T5_mT6_T7_P12ihipStream_tbENKUlT_T0_E_clISt17integral_constantIbLb1EES12_IbLb0EEEEDaSY_SZ_EUlSY_E_NS1_11comp_targetILNS1_3genE10ELNS1_11target_archE1200ELNS1_3gpuE4ELNS1_3repE0EEENS1_30default_config_static_selectorELNS0_4arch9wavefront6targetE1EEEvT1_,comdat
	.protected	_ZN7rocprim17ROCPRIM_400000_NS6detail17trampoline_kernelINS0_14default_configENS1_27scan_by_key_config_selectorIj11FixedVectorIiLj4EEEEZZNS1_16scan_by_key_implILNS1_25lookback_scan_determinismE0ELb0ES3_N6thrust23THRUST_200600_302600_NS6detail15normal_iteratorINSB_10device_ptrIjEEEENSD_INSE_IS6_EEEESI_S6_NSB_4plusIvEENSB_8equal_toIvEES6_EE10hipError_tPvRmT2_T3_T4_T5_mT6_T7_P12ihipStream_tbENKUlT_T0_E_clISt17integral_constantIbLb1EES12_IbLb0EEEEDaSY_SZ_EUlSY_E_NS1_11comp_targetILNS1_3genE10ELNS1_11target_archE1200ELNS1_3gpuE4ELNS1_3repE0EEENS1_30default_config_static_selectorELNS0_4arch9wavefront6targetE1EEEvT1_ ; -- Begin function _ZN7rocprim17ROCPRIM_400000_NS6detail17trampoline_kernelINS0_14default_configENS1_27scan_by_key_config_selectorIj11FixedVectorIiLj4EEEEZZNS1_16scan_by_key_implILNS1_25lookback_scan_determinismE0ELb0ES3_N6thrust23THRUST_200600_302600_NS6detail15normal_iteratorINSB_10device_ptrIjEEEENSD_INSE_IS6_EEEESI_S6_NSB_4plusIvEENSB_8equal_toIvEES6_EE10hipError_tPvRmT2_T3_T4_T5_mT6_T7_P12ihipStream_tbENKUlT_T0_E_clISt17integral_constantIbLb1EES12_IbLb0EEEEDaSY_SZ_EUlSY_E_NS1_11comp_targetILNS1_3genE10ELNS1_11target_archE1200ELNS1_3gpuE4ELNS1_3repE0EEENS1_30default_config_static_selectorELNS0_4arch9wavefront6targetE1EEEvT1_
	.globl	_ZN7rocprim17ROCPRIM_400000_NS6detail17trampoline_kernelINS0_14default_configENS1_27scan_by_key_config_selectorIj11FixedVectorIiLj4EEEEZZNS1_16scan_by_key_implILNS1_25lookback_scan_determinismE0ELb0ES3_N6thrust23THRUST_200600_302600_NS6detail15normal_iteratorINSB_10device_ptrIjEEEENSD_INSE_IS6_EEEESI_S6_NSB_4plusIvEENSB_8equal_toIvEES6_EE10hipError_tPvRmT2_T3_T4_T5_mT6_T7_P12ihipStream_tbENKUlT_T0_E_clISt17integral_constantIbLb1EES12_IbLb0EEEEDaSY_SZ_EUlSY_E_NS1_11comp_targetILNS1_3genE10ELNS1_11target_archE1200ELNS1_3gpuE4ELNS1_3repE0EEENS1_30default_config_static_selectorELNS0_4arch9wavefront6targetE1EEEvT1_
	.p2align	8
	.type	_ZN7rocprim17ROCPRIM_400000_NS6detail17trampoline_kernelINS0_14default_configENS1_27scan_by_key_config_selectorIj11FixedVectorIiLj4EEEEZZNS1_16scan_by_key_implILNS1_25lookback_scan_determinismE0ELb0ES3_N6thrust23THRUST_200600_302600_NS6detail15normal_iteratorINSB_10device_ptrIjEEEENSD_INSE_IS6_EEEESI_S6_NSB_4plusIvEENSB_8equal_toIvEES6_EE10hipError_tPvRmT2_T3_T4_T5_mT6_T7_P12ihipStream_tbENKUlT_T0_E_clISt17integral_constantIbLb1EES12_IbLb0EEEEDaSY_SZ_EUlSY_E_NS1_11comp_targetILNS1_3genE10ELNS1_11target_archE1200ELNS1_3gpuE4ELNS1_3repE0EEENS1_30default_config_static_selectorELNS0_4arch9wavefront6targetE1EEEvT1_,@function
_ZN7rocprim17ROCPRIM_400000_NS6detail17trampoline_kernelINS0_14default_configENS1_27scan_by_key_config_selectorIj11FixedVectorIiLj4EEEEZZNS1_16scan_by_key_implILNS1_25lookback_scan_determinismE0ELb0ES3_N6thrust23THRUST_200600_302600_NS6detail15normal_iteratorINSB_10device_ptrIjEEEENSD_INSE_IS6_EEEESI_S6_NSB_4plusIvEENSB_8equal_toIvEES6_EE10hipError_tPvRmT2_T3_T4_T5_mT6_T7_P12ihipStream_tbENKUlT_T0_E_clISt17integral_constantIbLb1EES12_IbLb0EEEEDaSY_SZ_EUlSY_E_NS1_11comp_targetILNS1_3genE10ELNS1_11target_archE1200ELNS1_3gpuE4ELNS1_3repE0EEENS1_30default_config_static_selectorELNS0_4arch9wavefront6targetE1EEEvT1_: ; @_ZN7rocprim17ROCPRIM_400000_NS6detail17trampoline_kernelINS0_14default_configENS1_27scan_by_key_config_selectorIj11FixedVectorIiLj4EEEEZZNS1_16scan_by_key_implILNS1_25lookback_scan_determinismE0ELb0ES3_N6thrust23THRUST_200600_302600_NS6detail15normal_iteratorINSB_10device_ptrIjEEEENSD_INSE_IS6_EEEESI_S6_NSB_4plusIvEENSB_8equal_toIvEES6_EE10hipError_tPvRmT2_T3_T4_T5_mT6_T7_P12ihipStream_tbENKUlT_T0_E_clISt17integral_constantIbLb1EES12_IbLb0EEEEDaSY_SZ_EUlSY_E_NS1_11comp_targetILNS1_3genE10ELNS1_11target_archE1200ELNS1_3gpuE4ELNS1_3repE0EEENS1_30default_config_static_selectorELNS0_4arch9wavefront6targetE1EEEvT1_
; %bb.0:
	.section	.rodata,"a",@progbits
	.p2align	6, 0x0
	.amdhsa_kernel _ZN7rocprim17ROCPRIM_400000_NS6detail17trampoline_kernelINS0_14default_configENS1_27scan_by_key_config_selectorIj11FixedVectorIiLj4EEEEZZNS1_16scan_by_key_implILNS1_25lookback_scan_determinismE0ELb0ES3_N6thrust23THRUST_200600_302600_NS6detail15normal_iteratorINSB_10device_ptrIjEEEENSD_INSE_IS6_EEEESI_S6_NSB_4plusIvEENSB_8equal_toIvEES6_EE10hipError_tPvRmT2_T3_T4_T5_mT6_T7_P12ihipStream_tbENKUlT_T0_E_clISt17integral_constantIbLb1EES12_IbLb0EEEEDaSY_SZ_EUlSY_E_NS1_11comp_targetILNS1_3genE10ELNS1_11target_archE1200ELNS1_3gpuE4ELNS1_3repE0EEENS1_30default_config_static_selectorELNS0_4arch9wavefront6targetE1EEEvT1_
		.amdhsa_group_segment_fixed_size 0
		.amdhsa_private_segment_fixed_size 0
		.amdhsa_kernarg_size 144
		.amdhsa_user_sgpr_count 2
		.amdhsa_user_sgpr_dispatch_ptr 0
		.amdhsa_user_sgpr_queue_ptr 0
		.amdhsa_user_sgpr_kernarg_segment_ptr 1
		.amdhsa_user_sgpr_dispatch_id 0
		.amdhsa_user_sgpr_kernarg_preload_length 0
		.amdhsa_user_sgpr_kernarg_preload_offset 0
		.amdhsa_user_sgpr_private_segment_size 0
		.amdhsa_uses_dynamic_stack 0
		.amdhsa_enable_private_segment 0
		.amdhsa_system_sgpr_workgroup_id_x 1
		.amdhsa_system_sgpr_workgroup_id_y 0
		.amdhsa_system_sgpr_workgroup_id_z 0
		.amdhsa_system_sgpr_workgroup_info 0
		.amdhsa_system_vgpr_workitem_id 0
		.amdhsa_next_free_vgpr 1
		.amdhsa_next_free_sgpr 0
		.amdhsa_accum_offset 4
		.amdhsa_reserve_vcc 0
		.amdhsa_float_round_mode_32 0
		.amdhsa_float_round_mode_16_64 0
		.amdhsa_float_denorm_mode_32 3
		.amdhsa_float_denorm_mode_16_64 3
		.amdhsa_dx10_clamp 1
		.amdhsa_ieee_mode 1
		.amdhsa_fp16_overflow 0
		.amdhsa_tg_split 0
		.amdhsa_exception_fp_ieee_invalid_op 0
		.amdhsa_exception_fp_denorm_src 0
		.amdhsa_exception_fp_ieee_div_zero 0
		.amdhsa_exception_fp_ieee_overflow 0
		.amdhsa_exception_fp_ieee_underflow 0
		.amdhsa_exception_fp_ieee_inexact 0
		.amdhsa_exception_int_div_zero 0
	.end_amdhsa_kernel
	.section	.text._ZN7rocprim17ROCPRIM_400000_NS6detail17trampoline_kernelINS0_14default_configENS1_27scan_by_key_config_selectorIj11FixedVectorIiLj4EEEEZZNS1_16scan_by_key_implILNS1_25lookback_scan_determinismE0ELb0ES3_N6thrust23THRUST_200600_302600_NS6detail15normal_iteratorINSB_10device_ptrIjEEEENSD_INSE_IS6_EEEESI_S6_NSB_4plusIvEENSB_8equal_toIvEES6_EE10hipError_tPvRmT2_T3_T4_T5_mT6_T7_P12ihipStream_tbENKUlT_T0_E_clISt17integral_constantIbLb1EES12_IbLb0EEEEDaSY_SZ_EUlSY_E_NS1_11comp_targetILNS1_3genE10ELNS1_11target_archE1200ELNS1_3gpuE4ELNS1_3repE0EEENS1_30default_config_static_selectorELNS0_4arch9wavefront6targetE1EEEvT1_,"axG",@progbits,_ZN7rocprim17ROCPRIM_400000_NS6detail17trampoline_kernelINS0_14default_configENS1_27scan_by_key_config_selectorIj11FixedVectorIiLj4EEEEZZNS1_16scan_by_key_implILNS1_25lookback_scan_determinismE0ELb0ES3_N6thrust23THRUST_200600_302600_NS6detail15normal_iteratorINSB_10device_ptrIjEEEENSD_INSE_IS6_EEEESI_S6_NSB_4plusIvEENSB_8equal_toIvEES6_EE10hipError_tPvRmT2_T3_T4_T5_mT6_T7_P12ihipStream_tbENKUlT_T0_E_clISt17integral_constantIbLb1EES12_IbLb0EEEEDaSY_SZ_EUlSY_E_NS1_11comp_targetILNS1_3genE10ELNS1_11target_archE1200ELNS1_3gpuE4ELNS1_3repE0EEENS1_30default_config_static_selectorELNS0_4arch9wavefront6targetE1EEEvT1_,comdat
.Lfunc_end2061:
	.size	_ZN7rocprim17ROCPRIM_400000_NS6detail17trampoline_kernelINS0_14default_configENS1_27scan_by_key_config_selectorIj11FixedVectorIiLj4EEEEZZNS1_16scan_by_key_implILNS1_25lookback_scan_determinismE0ELb0ES3_N6thrust23THRUST_200600_302600_NS6detail15normal_iteratorINSB_10device_ptrIjEEEENSD_INSE_IS6_EEEESI_S6_NSB_4plusIvEENSB_8equal_toIvEES6_EE10hipError_tPvRmT2_T3_T4_T5_mT6_T7_P12ihipStream_tbENKUlT_T0_E_clISt17integral_constantIbLb1EES12_IbLb0EEEEDaSY_SZ_EUlSY_E_NS1_11comp_targetILNS1_3genE10ELNS1_11target_archE1200ELNS1_3gpuE4ELNS1_3repE0EEENS1_30default_config_static_selectorELNS0_4arch9wavefront6targetE1EEEvT1_, .Lfunc_end2061-_ZN7rocprim17ROCPRIM_400000_NS6detail17trampoline_kernelINS0_14default_configENS1_27scan_by_key_config_selectorIj11FixedVectorIiLj4EEEEZZNS1_16scan_by_key_implILNS1_25lookback_scan_determinismE0ELb0ES3_N6thrust23THRUST_200600_302600_NS6detail15normal_iteratorINSB_10device_ptrIjEEEENSD_INSE_IS6_EEEESI_S6_NSB_4plusIvEENSB_8equal_toIvEES6_EE10hipError_tPvRmT2_T3_T4_T5_mT6_T7_P12ihipStream_tbENKUlT_T0_E_clISt17integral_constantIbLb1EES12_IbLb0EEEEDaSY_SZ_EUlSY_E_NS1_11comp_targetILNS1_3genE10ELNS1_11target_archE1200ELNS1_3gpuE4ELNS1_3repE0EEENS1_30default_config_static_selectorELNS0_4arch9wavefront6targetE1EEEvT1_
                                        ; -- End function
	.section	.AMDGPU.csdata,"",@progbits
; Kernel info:
; codeLenInByte = 0
; NumSgprs: 6
; NumVgprs: 0
; NumAgprs: 0
; TotalNumVgprs: 0
; ScratchSize: 0
; MemoryBound: 0
; FloatMode: 240
; IeeeMode: 1
; LDSByteSize: 0 bytes/workgroup (compile time only)
; SGPRBlocks: 0
; VGPRBlocks: 0
; NumSGPRsForWavesPerEU: 6
; NumVGPRsForWavesPerEU: 1
; AccumOffset: 4
; Occupancy: 8
; WaveLimiterHint : 0
; COMPUTE_PGM_RSRC2:SCRATCH_EN: 0
; COMPUTE_PGM_RSRC2:USER_SGPR: 2
; COMPUTE_PGM_RSRC2:TRAP_HANDLER: 0
; COMPUTE_PGM_RSRC2:TGID_X_EN: 1
; COMPUTE_PGM_RSRC2:TGID_Y_EN: 0
; COMPUTE_PGM_RSRC2:TGID_Z_EN: 0
; COMPUTE_PGM_RSRC2:TIDIG_COMP_CNT: 0
; COMPUTE_PGM_RSRC3_GFX90A:ACCUM_OFFSET: 0
; COMPUTE_PGM_RSRC3_GFX90A:TG_SPLIT: 0
	.section	.text._ZN7rocprim17ROCPRIM_400000_NS6detail17trampoline_kernelINS0_14default_configENS1_27scan_by_key_config_selectorIj11FixedVectorIiLj4EEEEZZNS1_16scan_by_key_implILNS1_25lookback_scan_determinismE0ELb0ES3_N6thrust23THRUST_200600_302600_NS6detail15normal_iteratorINSB_10device_ptrIjEEEENSD_INSE_IS6_EEEESI_S6_NSB_4plusIvEENSB_8equal_toIvEES6_EE10hipError_tPvRmT2_T3_T4_T5_mT6_T7_P12ihipStream_tbENKUlT_T0_E_clISt17integral_constantIbLb1EES12_IbLb0EEEEDaSY_SZ_EUlSY_E_NS1_11comp_targetILNS1_3genE9ELNS1_11target_archE1100ELNS1_3gpuE3ELNS1_3repE0EEENS1_30default_config_static_selectorELNS0_4arch9wavefront6targetE1EEEvT1_,"axG",@progbits,_ZN7rocprim17ROCPRIM_400000_NS6detail17trampoline_kernelINS0_14default_configENS1_27scan_by_key_config_selectorIj11FixedVectorIiLj4EEEEZZNS1_16scan_by_key_implILNS1_25lookback_scan_determinismE0ELb0ES3_N6thrust23THRUST_200600_302600_NS6detail15normal_iteratorINSB_10device_ptrIjEEEENSD_INSE_IS6_EEEESI_S6_NSB_4plusIvEENSB_8equal_toIvEES6_EE10hipError_tPvRmT2_T3_T4_T5_mT6_T7_P12ihipStream_tbENKUlT_T0_E_clISt17integral_constantIbLb1EES12_IbLb0EEEEDaSY_SZ_EUlSY_E_NS1_11comp_targetILNS1_3genE9ELNS1_11target_archE1100ELNS1_3gpuE3ELNS1_3repE0EEENS1_30default_config_static_selectorELNS0_4arch9wavefront6targetE1EEEvT1_,comdat
	.protected	_ZN7rocprim17ROCPRIM_400000_NS6detail17trampoline_kernelINS0_14default_configENS1_27scan_by_key_config_selectorIj11FixedVectorIiLj4EEEEZZNS1_16scan_by_key_implILNS1_25lookback_scan_determinismE0ELb0ES3_N6thrust23THRUST_200600_302600_NS6detail15normal_iteratorINSB_10device_ptrIjEEEENSD_INSE_IS6_EEEESI_S6_NSB_4plusIvEENSB_8equal_toIvEES6_EE10hipError_tPvRmT2_T3_T4_T5_mT6_T7_P12ihipStream_tbENKUlT_T0_E_clISt17integral_constantIbLb1EES12_IbLb0EEEEDaSY_SZ_EUlSY_E_NS1_11comp_targetILNS1_3genE9ELNS1_11target_archE1100ELNS1_3gpuE3ELNS1_3repE0EEENS1_30default_config_static_selectorELNS0_4arch9wavefront6targetE1EEEvT1_ ; -- Begin function _ZN7rocprim17ROCPRIM_400000_NS6detail17trampoline_kernelINS0_14default_configENS1_27scan_by_key_config_selectorIj11FixedVectorIiLj4EEEEZZNS1_16scan_by_key_implILNS1_25lookback_scan_determinismE0ELb0ES3_N6thrust23THRUST_200600_302600_NS6detail15normal_iteratorINSB_10device_ptrIjEEEENSD_INSE_IS6_EEEESI_S6_NSB_4plusIvEENSB_8equal_toIvEES6_EE10hipError_tPvRmT2_T3_T4_T5_mT6_T7_P12ihipStream_tbENKUlT_T0_E_clISt17integral_constantIbLb1EES12_IbLb0EEEEDaSY_SZ_EUlSY_E_NS1_11comp_targetILNS1_3genE9ELNS1_11target_archE1100ELNS1_3gpuE3ELNS1_3repE0EEENS1_30default_config_static_selectorELNS0_4arch9wavefront6targetE1EEEvT1_
	.globl	_ZN7rocprim17ROCPRIM_400000_NS6detail17trampoline_kernelINS0_14default_configENS1_27scan_by_key_config_selectorIj11FixedVectorIiLj4EEEEZZNS1_16scan_by_key_implILNS1_25lookback_scan_determinismE0ELb0ES3_N6thrust23THRUST_200600_302600_NS6detail15normal_iteratorINSB_10device_ptrIjEEEENSD_INSE_IS6_EEEESI_S6_NSB_4plusIvEENSB_8equal_toIvEES6_EE10hipError_tPvRmT2_T3_T4_T5_mT6_T7_P12ihipStream_tbENKUlT_T0_E_clISt17integral_constantIbLb1EES12_IbLb0EEEEDaSY_SZ_EUlSY_E_NS1_11comp_targetILNS1_3genE9ELNS1_11target_archE1100ELNS1_3gpuE3ELNS1_3repE0EEENS1_30default_config_static_selectorELNS0_4arch9wavefront6targetE1EEEvT1_
	.p2align	8
	.type	_ZN7rocprim17ROCPRIM_400000_NS6detail17trampoline_kernelINS0_14default_configENS1_27scan_by_key_config_selectorIj11FixedVectorIiLj4EEEEZZNS1_16scan_by_key_implILNS1_25lookback_scan_determinismE0ELb0ES3_N6thrust23THRUST_200600_302600_NS6detail15normal_iteratorINSB_10device_ptrIjEEEENSD_INSE_IS6_EEEESI_S6_NSB_4plusIvEENSB_8equal_toIvEES6_EE10hipError_tPvRmT2_T3_T4_T5_mT6_T7_P12ihipStream_tbENKUlT_T0_E_clISt17integral_constantIbLb1EES12_IbLb0EEEEDaSY_SZ_EUlSY_E_NS1_11comp_targetILNS1_3genE9ELNS1_11target_archE1100ELNS1_3gpuE3ELNS1_3repE0EEENS1_30default_config_static_selectorELNS0_4arch9wavefront6targetE1EEEvT1_,@function
_ZN7rocprim17ROCPRIM_400000_NS6detail17trampoline_kernelINS0_14default_configENS1_27scan_by_key_config_selectorIj11FixedVectorIiLj4EEEEZZNS1_16scan_by_key_implILNS1_25lookback_scan_determinismE0ELb0ES3_N6thrust23THRUST_200600_302600_NS6detail15normal_iteratorINSB_10device_ptrIjEEEENSD_INSE_IS6_EEEESI_S6_NSB_4plusIvEENSB_8equal_toIvEES6_EE10hipError_tPvRmT2_T3_T4_T5_mT6_T7_P12ihipStream_tbENKUlT_T0_E_clISt17integral_constantIbLb1EES12_IbLb0EEEEDaSY_SZ_EUlSY_E_NS1_11comp_targetILNS1_3genE9ELNS1_11target_archE1100ELNS1_3gpuE3ELNS1_3repE0EEENS1_30default_config_static_selectorELNS0_4arch9wavefront6targetE1EEEvT1_: ; @_ZN7rocprim17ROCPRIM_400000_NS6detail17trampoline_kernelINS0_14default_configENS1_27scan_by_key_config_selectorIj11FixedVectorIiLj4EEEEZZNS1_16scan_by_key_implILNS1_25lookback_scan_determinismE0ELb0ES3_N6thrust23THRUST_200600_302600_NS6detail15normal_iteratorINSB_10device_ptrIjEEEENSD_INSE_IS6_EEEESI_S6_NSB_4plusIvEENSB_8equal_toIvEES6_EE10hipError_tPvRmT2_T3_T4_T5_mT6_T7_P12ihipStream_tbENKUlT_T0_E_clISt17integral_constantIbLb1EES12_IbLb0EEEEDaSY_SZ_EUlSY_E_NS1_11comp_targetILNS1_3genE9ELNS1_11target_archE1100ELNS1_3gpuE3ELNS1_3repE0EEENS1_30default_config_static_selectorELNS0_4arch9wavefront6targetE1EEEvT1_
; %bb.0:
	.section	.rodata,"a",@progbits
	.p2align	6, 0x0
	.amdhsa_kernel _ZN7rocprim17ROCPRIM_400000_NS6detail17trampoline_kernelINS0_14default_configENS1_27scan_by_key_config_selectorIj11FixedVectorIiLj4EEEEZZNS1_16scan_by_key_implILNS1_25lookback_scan_determinismE0ELb0ES3_N6thrust23THRUST_200600_302600_NS6detail15normal_iteratorINSB_10device_ptrIjEEEENSD_INSE_IS6_EEEESI_S6_NSB_4plusIvEENSB_8equal_toIvEES6_EE10hipError_tPvRmT2_T3_T4_T5_mT6_T7_P12ihipStream_tbENKUlT_T0_E_clISt17integral_constantIbLb1EES12_IbLb0EEEEDaSY_SZ_EUlSY_E_NS1_11comp_targetILNS1_3genE9ELNS1_11target_archE1100ELNS1_3gpuE3ELNS1_3repE0EEENS1_30default_config_static_selectorELNS0_4arch9wavefront6targetE1EEEvT1_
		.amdhsa_group_segment_fixed_size 0
		.amdhsa_private_segment_fixed_size 0
		.amdhsa_kernarg_size 144
		.amdhsa_user_sgpr_count 2
		.amdhsa_user_sgpr_dispatch_ptr 0
		.amdhsa_user_sgpr_queue_ptr 0
		.amdhsa_user_sgpr_kernarg_segment_ptr 1
		.amdhsa_user_sgpr_dispatch_id 0
		.amdhsa_user_sgpr_kernarg_preload_length 0
		.amdhsa_user_sgpr_kernarg_preload_offset 0
		.amdhsa_user_sgpr_private_segment_size 0
		.amdhsa_uses_dynamic_stack 0
		.amdhsa_enable_private_segment 0
		.amdhsa_system_sgpr_workgroup_id_x 1
		.amdhsa_system_sgpr_workgroup_id_y 0
		.amdhsa_system_sgpr_workgroup_id_z 0
		.amdhsa_system_sgpr_workgroup_info 0
		.amdhsa_system_vgpr_workitem_id 0
		.amdhsa_next_free_vgpr 1
		.amdhsa_next_free_sgpr 0
		.amdhsa_accum_offset 4
		.amdhsa_reserve_vcc 0
		.amdhsa_float_round_mode_32 0
		.amdhsa_float_round_mode_16_64 0
		.amdhsa_float_denorm_mode_32 3
		.amdhsa_float_denorm_mode_16_64 3
		.amdhsa_dx10_clamp 1
		.amdhsa_ieee_mode 1
		.amdhsa_fp16_overflow 0
		.amdhsa_tg_split 0
		.amdhsa_exception_fp_ieee_invalid_op 0
		.amdhsa_exception_fp_denorm_src 0
		.amdhsa_exception_fp_ieee_div_zero 0
		.amdhsa_exception_fp_ieee_overflow 0
		.amdhsa_exception_fp_ieee_underflow 0
		.amdhsa_exception_fp_ieee_inexact 0
		.amdhsa_exception_int_div_zero 0
	.end_amdhsa_kernel
	.section	.text._ZN7rocprim17ROCPRIM_400000_NS6detail17trampoline_kernelINS0_14default_configENS1_27scan_by_key_config_selectorIj11FixedVectorIiLj4EEEEZZNS1_16scan_by_key_implILNS1_25lookback_scan_determinismE0ELb0ES3_N6thrust23THRUST_200600_302600_NS6detail15normal_iteratorINSB_10device_ptrIjEEEENSD_INSE_IS6_EEEESI_S6_NSB_4plusIvEENSB_8equal_toIvEES6_EE10hipError_tPvRmT2_T3_T4_T5_mT6_T7_P12ihipStream_tbENKUlT_T0_E_clISt17integral_constantIbLb1EES12_IbLb0EEEEDaSY_SZ_EUlSY_E_NS1_11comp_targetILNS1_3genE9ELNS1_11target_archE1100ELNS1_3gpuE3ELNS1_3repE0EEENS1_30default_config_static_selectorELNS0_4arch9wavefront6targetE1EEEvT1_,"axG",@progbits,_ZN7rocprim17ROCPRIM_400000_NS6detail17trampoline_kernelINS0_14default_configENS1_27scan_by_key_config_selectorIj11FixedVectorIiLj4EEEEZZNS1_16scan_by_key_implILNS1_25lookback_scan_determinismE0ELb0ES3_N6thrust23THRUST_200600_302600_NS6detail15normal_iteratorINSB_10device_ptrIjEEEENSD_INSE_IS6_EEEESI_S6_NSB_4plusIvEENSB_8equal_toIvEES6_EE10hipError_tPvRmT2_T3_T4_T5_mT6_T7_P12ihipStream_tbENKUlT_T0_E_clISt17integral_constantIbLb1EES12_IbLb0EEEEDaSY_SZ_EUlSY_E_NS1_11comp_targetILNS1_3genE9ELNS1_11target_archE1100ELNS1_3gpuE3ELNS1_3repE0EEENS1_30default_config_static_selectorELNS0_4arch9wavefront6targetE1EEEvT1_,comdat
.Lfunc_end2062:
	.size	_ZN7rocprim17ROCPRIM_400000_NS6detail17trampoline_kernelINS0_14default_configENS1_27scan_by_key_config_selectorIj11FixedVectorIiLj4EEEEZZNS1_16scan_by_key_implILNS1_25lookback_scan_determinismE0ELb0ES3_N6thrust23THRUST_200600_302600_NS6detail15normal_iteratorINSB_10device_ptrIjEEEENSD_INSE_IS6_EEEESI_S6_NSB_4plusIvEENSB_8equal_toIvEES6_EE10hipError_tPvRmT2_T3_T4_T5_mT6_T7_P12ihipStream_tbENKUlT_T0_E_clISt17integral_constantIbLb1EES12_IbLb0EEEEDaSY_SZ_EUlSY_E_NS1_11comp_targetILNS1_3genE9ELNS1_11target_archE1100ELNS1_3gpuE3ELNS1_3repE0EEENS1_30default_config_static_selectorELNS0_4arch9wavefront6targetE1EEEvT1_, .Lfunc_end2062-_ZN7rocprim17ROCPRIM_400000_NS6detail17trampoline_kernelINS0_14default_configENS1_27scan_by_key_config_selectorIj11FixedVectorIiLj4EEEEZZNS1_16scan_by_key_implILNS1_25lookback_scan_determinismE0ELb0ES3_N6thrust23THRUST_200600_302600_NS6detail15normal_iteratorINSB_10device_ptrIjEEEENSD_INSE_IS6_EEEESI_S6_NSB_4plusIvEENSB_8equal_toIvEES6_EE10hipError_tPvRmT2_T3_T4_T5_mT6_T7_P12ihipStream_tbENKUlT_T0_E_clISt17integral_constantIbLb1EES12_IbLb0EEEEDaSY_SZ_EUlSY_E_NS1_11comp_targetILNS1_3genE9ELNS1_11target_archE1100ELNS1_3gpuE3ELNS1_3repE0EEENS1_30default_config_static_selectorELNS0_4arch9wavefront6targetE1EEEvT1_
                                        ; -- End function
	.section	.AMDGPU.csdata,"",@progbits
; Kernel info:
; codeLenInByte = 0
; NumSgprs: 6
; NumVgprs: 0
; NumAgprs: 0
; TotalNumVgprs: 0
; ScratchSize: 0
; MemoryBound: 0
; FloatMode: 240
; IeeeMode: 1
; LDSByteSize: 0 bytes/workgroup (compile time only)
; SGPRBlocks: 0
; VGPRBlocks: 0
; NumSGPRsForWavesPerEU: 6
; NumVGPRsForWavesPerEU: 1
; AccumOffset: 4
; Occupancy: 8
; WaveLimiterHint : 0
; COMPUTE_PGM_RSRC2:SCRATCH_EN: 0
; COMPUTE_PGM_RSRC2:USER_SGPR: 2
; COMPUTE_PGM_RSRC2:TRAP_HANDLER: 0
; COMPUTE_PGM_RSRC2:TGID_X_EN: 1
; COMPUTE_PGM_RSRC2:TGID_Y_EN: 0
; COMPUTE_PGM_RSRC2:TGID_Z_EN: 0
; COMPUTE_PGM_RSRC2:TIDIG_COMP_CNT: 0
; COMPUTE_PGM_RSRC3_GFX90A:ACCUM_OFFSET: 0
; COMPUTE_PGM_RSRC3_GFX90A:TG_SPLIT: 0
	.section	.text._ZN7rocprim17ROCPRIM_400000_NS6detail17trampoline_kernelINS0_14default_configENS1_27scan_by_key_config_selectorIj11FixedVectorIiLj4EEEEZZNS1_16scan_by_key_implILNS1_25lookback_scan_determinismE0ELb0ES3_N6thrust23THRUST_200600_302600_NS6detail15normal_iteratorINSB_10device_ptrIjEEEENSD_INSE_IS6_EEEESI_S6_NSB_4plusIvEENSB_8equal_toIvEES6_EE10hipError_tPvRmT2_T3_T4_T5_mT6_T7_P12ihipStream_tbENKUlT_T0_E_clISt17integral_constantIbLb1EES12_IbLb0EEEEDaSY_SZ_EUlSY_E_NS1_11comp_targetILNS1_3genE8ELNS1_11target_archE1030ELNS1_3gpuE2ELNS1_3repE0EEENS1_30default_config_static_selectorELNS0_4arch9wavefront6targetE1EEEvT1_,"axG",@progbits,_ZN7rocprim17ROCPRIM_400000_NS6detail17trampoline_kernelINS0_14default_configENS1_27scan_by_key_config_selectorIj11FixedVectorIiLj4EEEEZZNS1_16scan_by_key_implILNS1_25lookback_scan_determinismE0ELb0ES3_N6thrust23THRUST_200600_302600_NS6detail15normal_iteratorINSB_10device_ptrIjEEEENSD_INSE_IS6_EEEESI_S6_NSB_4plusIvEENSB_8equal_toIvEES6_EE10hipError_tPvRmT2_T3_T4_T5_mT6_T7_P12ihipStream_tbENKUlT_T0_E_clISt17integral_constantIbLb1EES12_IbLb0EEEEDaSY_SZ_EUlSY_E_NS1_11comp_targetILNS1_3genE8ELNS1_11target_archE1030ELNS1_3gpuE2ELNS1_3repE0EEENS1_30default_config_static_selectorELNS0_4arch9wavefront6targetE1EEEvT1_,comdat
	.protected	_ZN7rocprim17ROCPRIM_400000_NS6detail17trampoline_kernelINS0_14default_configENS1_27scan_by_key_config_selectorIj11FixedVectorIiLj4EEEEZZNS1_16scan_by_key_implILNS1_25lookback_scan_determinismE0ELb0ES3_N6thrust23THRUST_200600_302600_NS6detail15normal_iteratorINSB_10device_ptrIjEEEENSD_INSE_IS6_EEEESI_S6_NSB_4plusIvEENSB_8equal_toIvEES6_EE10hipError_tPvRmT2_T3_T4_T5_mT6_T7_P12ihipStream_tbENKUlT_T0_E_clISt17integral_constantIbLb1EES12_IbLb0EEEEDaSY_SZ_EUlSY_E_NS1_11comp_targetILNS1_3genE8ELNS1_11target_archE1030ELNS1_3gpuE2ELNS1_3repE0EEENS1_30default_config_static_selectorELNS0_4arch9wavefront6targetE1EEEvT1_ ; -- Begin function _ZN7rocprim17ROCPRIM_400000_NS6detail17trampoline_kernelINS0_14default_configENS1_27scan_by_key_config_selectorIj11FixedVectorIiLj4EEEEZZNS1_16scan_by_key_implILNS1_25lookback_scan_determinismE0ELb0ES3_N6thrust23THRUST_200600_302600_NS6detail15normal_iteratorINSB_10device_ptrIjEEEENSD_INSE_IS6_EEEESI_S6_NSB_4plusIvEENSB_8equal_toIvEES6_EE10hipError_tPvRmT2_T3_T4_T5_mT6_T7_P12ihipStream_tbENKUlT_T0_E_clISt17integral_constantIbLb1EES12_IbLb0EEEEDaSY_SZ_EUlSY_E_NS1_11comp_targetILNS1_3genE8ELNS1_11target_archE1030ELNS1_3gpuE2ELNS1_3repE0EEENS1_30default_config_static_selectorELNS0_4arch9wavefront6targetE1EEEvT1_
	.globl	_ZN7rocprim17ROCPRIM_400000_NS6detail17trampoline_kernelINS0_14default_configENS1_27scan_by_key_config_selectorIj11FixedVectorIiLj4EEEEZZNS1_16scan_by_key_implILNS1_25lookback_scan_determinismE0ELb0ES3_N6thrust23THRUST_200600_302600_NS6detail15normal_iteratorINSB_10device_ptrIjEEEENSD_INSE_IS6_EEEESI_S6_NSB_4plusIvEENSB_8equal_toIvEES6_EE10hipError_tPvRmT2_T3_T4_T5_mT6_T7_P12ihipStream_tbENKUlT_T0_E_clISt17integral_constantIbLb1EES12_IbLb0EEEEDaSY_SZ_EUlSY_E_NS1_11comp_targetILNS1_3genE8ELNS1_11target_archE1030ELNS1_3gpuE2ELNS1_3repE0EEENS1_30default_config_static_selectorELNS0_4arch9wavefront6targetE1EEEvT1_
	.p2align	8
	.type	_ZN7rocprim17ROCPRIM_400000_NS6detail17trampoline_kernelINS0_14default_configENS1_27scan_by_key_config_selectorIj11FixedVectorIiLj4EEEEZZNS1_16scan_by_key_implILNS1_25lookback_scan_determinismE0ELb0ES3_N6thrust23THRUST_200600_302600_NS6detail15normal_iteratorINSB_10device_ptrIjEEEENSD_INSE_IS6_EEEESI_S6_NSB_4plusIvEENSB_8equal_toIvEES6_EE10hipError_tPvRmT2_T3_T4_T5_mT6_T7_P12ihipStream_tbENKUlT_T0_E_clISt17integral_constantIbLb1EES12_IbLb0EEEEDaSY_SZ_EUlSY_E_NS1_11comp_targetILNS1_3genE8ELNS1_11target_archE1030ELNS1_3gpuE2ELNS1_3repE0EEENS1_30default_config_static_selectorELNS0_4arch9wavefront6targetE1EEEvT1_,@function
_ZN7rocprim17ROCPRIM_400000_NS6detail17trampoline_kernelINS0_14default_configENS1_27scan_by_key_config_selectorIj11FixedVectorIiLj4EEEEZZNS1_16scan_by_key_implILNS1_25lookback_scan_determinismE0ELb0ES3_N6thrust23THRUST_200600_302600_NS6detail15normal_iteratorINSB_10device_ptrIjEEEENSD_INSE_IS6_EEEESI_S6_NSB_4plusIvEENSB_8equal_toIvEES6_EE10hipError_tPvRmT2_T3_T4_T5_mT6_T7_P12ihipStream_tbENKUlT_T0_E_clISt17integral_constantIbLb1EES12_IbLb0EEEEDaSY_SZ_EUlSY_E_NS1_11comp_targetILNS1_3genE8ELNS1_11target_archE1030ELNS1_3gpuE2ELNS1_3repE0EEENS1_30default_config_static_selectorELNS0_4arch9wavefront6targetE1EEEvT1_: ; @_ZN7rocprim17ROCPRIM_400000_NS6detail17trampoline_kernelINS0_14default_configENS1_27scan_by_key_config_selectorIj11FixedVectorIiLj4EEEEZZNS1_16scan_by_key_implILNS1_25lookback_scan_determinismE0ELb0ES3_N6thrust23THRUST_200600_302600_NS6detail15normal_iteratorINSB_10device_ptrIjEEEENSD_INSE_IS6_EEEESI_S6_NSB_4plusIvEENSB_8equal_toIvEES6_EE10hipError_tPvRmT2_T3_T4_T5_mT6_T7_P12ihipStream_tbENKUlT_T0_E_clISt17integral_constantIbLb1EES12_IbLb0EEEEDaSY_SZ_EUlSY_E_NS1_11comp_targetILNS1_3genE8ELNS1_11target_archE1030ELNS1_3gpuE2ELNS1_3repE0EEENS1_30default_config_static_selectorELNS0_4arch9wavefront6targetE1EEEvT1_
; %bb.0:
	.section	.rodata,"a",@progbits
	.p2align	6, 0x0
	.amdhsa_kernel _ZN7rocprim17ROCPRIM_400000_NS6detail17trampoline_kernelINS0_14default_configENS1_27scan_by_key_config_selectorIj11FixedVectorIiLj4EEEEZZNS1_16scan_by_key_implILNS1_25lookback_scan_determinismE0ELb0ES3_N6thrust23THRUST_200600_302600_NS6detail15normal_iteratorINSB_10device_ptrIjEEEENSD_INSE_IS6_EEEESI_S6_NSB_4plusIvEENSB_8equal_toIvEES6_EE10hipError_tPvRmT2_T3_T4_T5_mT6_T7_P12ihipStream_tbENKUlT_T0_E_clISt17integral_constantIbLb1EES12_IbLb0EEEEDaSY_SZ_EUlSY_E_NS1_11comp_targetILNS1_3genE8ELNS1_11target_archE1030ELNS1_3gpuE2ELNS1_3repE0EEENS1_30default_config_static_selectorELNS0_4arch9wavefront6targetE1EEEvT1_
		.amdhsa_group_segment_fixed_size 0
		.amdhsa_private_segment_fixed_size 0
		.amdhsa_kernarg_size 144
		.amdhsa_user_sgpr_count 2
		.amdhsa_user_sgpr_dispatch_ptr 0
		.amdhsa_user_sgpr_queue_ptr 0
		.amdhsa_user_sgpr_kernarg_segment_ptr 1
		.amdhsa_user_sgpr_dispatch_id 0
		.amdhsa_user_sgpr_kernarg_preload_length 0
		.amdhsa_user_sgpr_kernarg_preload_offset 0
		.amdhsa_user_sgpr_private_segment_size 0
		.amdhsa_uses_dynamic_stack 0
		.amdhsa_enable_private_segment 0
		.amdhsa_system_sgpr_workgroup_id_x 1
		.amdhsa_system_sgpr_workgroup_id_y 0
		.amdhsa_system_sgpr_workgroup_id_z 0
		.amdhsa_system_sgpr_workgroup_info 0
		.amdhsa_system_vgpr_workitem_id 0
		.amdhsa_next_free_vgpr 1
		.amdhsa_next_free_sgpr 0
		.amdhsa_accum_offset 4
		.amdhsa_reserve_vcc 0
		.amdhsa_float_round_mode_32 0
		.amdhsa_float_round_mode_16_64 0
		.amdhsa_float_denorm_mode_32 3
		.amdhsa_float_denorm_mode_16_64 3
		.amdhsa_dx10_clamp 1
		.amdhsa_ieee_mode 1
		.amdhsa_fp16_overflow 0
		.amdhsa_tg_split 0
		.amdhsa_exception_fp_ieee_invalid_op 0
		.amdhsa_exception_fp_denorm_src 0
		.amdhsa_exception_fp_ieee_div_zero 0
		.amdhsa_exception_fp_ieee_overflow 0
		.amdhsa_exception_fp_ieee_underflow 0
		.amdhsa_exception_fp_ieee_inexact 0
		.amdhsa_exception_int_div_zero 0
	.end_amdhsa_kernel
	.section	.text._ZN7rocprim17ROCPRIM_400000_NS6detail17trampoline_kernelINS0_14default_configENS1_27scan_by_key_config_selectorIj11FixedVectorIiLj4EEEEZZNS1_16scan_by_key_implILNS1_25lookback_scan_determinismE0ELb0ES3_N6thrust23THRUST_200600_302600_NS6detail15normal_iteratorINSB_10device_ptrIjEEEENSD_INSE_IS6_EEEESI_S6_NSB_4plusIvEENSB_8equal_toIvEES6_EE10hipError_tPvRmT2_T3_T4_T5_mT6_T7_P12ihipStream_tbENKUlT_T0_E_clISt17integral_constantIbLb1EES12_IbLb0EEEEDaSY_SZ_EUlSY_E_NS1_11comp_targetILNS1_3genE8ELNS1_11target_archE1030ELNS1_3gpuE2ELNS1_3repE0EEENS1_30default_config_static_selectorELNS0_4arch9wavefront6targetE1EEEvT1_,"axG",@progbits,_ZN7rocprim17ROCPRIM_400000_NS6detail17trampoline_kernelINS0_14default_configENS1_27scan_by_key_config_selectorIj11FixedVectorIiLj4EEEEZZNS1_16scan_by_key_implILNS1_25lookback_scan_determinismE0ELb0ES3_N6thrust23THRUST_200600_302600_NS6detail15normal_iteratorINSB_10device_ptrIjEEEENSD_INSE_IS6_EEEESI_S6_NSB_4plusIvEENSB_8equal_toIvEES6_EE10hipError_tPvRmT2_T3_T4_T5_mT6_T7_P12ihipStream_tbENKUlT_T0_E_clISt17integral_constantIbLb1EES12_IbLb0EEEEDaSY_SZ_EUlSY_E_NS1_11comp_targetILNS1_3genE8ELNS1_11target_archE1030ELNS1_3gpuE2ELNS1_3repE0EEENS1_30default_config_static_selectorELNS0_4arch9wavefront6targetE1EEEvT1_,comdat
.Lfunc_end2063:
	.size	_ZN7rocprim17ROCPRIM_400000_NS6detail17trampoline_kernelINS0_14default_configENS1_27scan_by_key_config_selectorIj11FixedVectorIiLj4EEEEZZNS1_16scan_by_key_implILNS1_25lookback_scan_determinismE0ELb0ES3_N6thrust23THRUST_200600_302600_NS6detail15normal_iteratorINSB_10device_ptrIjEEEENSD_INSE_IS6_EEEESI_S6_NSB_4plusIvEENSB_8equal_toIvEES6_EE10hipError_tPvRmT2_T3_T4_T5_mT6_T7_P12ihipStream_tbENKUlT_T0_E_clISt17integral_constantIbLb1EES12_IbLb0EEEEDaSY_SZ_EUlSY_E_NS1_11comp_targetILNS1_3genE8ELNS1_11target_archE1030ELNS1_3gpuE2ELNS1_3repE0EEENS1_30default_config_static_selectorELNS0_4arch9wavefront6targetE1EEEvT1_, .Lfunc_end2063-_ZN7rocprim17ROCPRIM_400000_NS6detail17trampoline_kernelINS0_14default_configENS1_27scan_by_key_config_selectorIj11FixedVectorIiLj4EEEEZZNS1_16scan_by_key_implILNS1_25lookback_scan_determinismE0ELb0ES3_N6thrust23THRUST_200600_302600_NS6detail15normal_iteratorINSB_10device_ptrIjEEEENSD_INSE_IS6_EEEESI_S6_NSB_4plusIvEENSB_8equal_toIvEES6_EE10hipError_tPvRmT2_T3_T4_T5_mT6_T7_P12ihipStream_tbENKUlT_T0_E_clISt17integral_constantIbLb1EES12_IbLb0EEEEDaSY_SZ_EUlSY_E_NS1_11comp_targetILNS1_3genE8ELNS1_11target_archE1030ELNS1_3gpuE2ELNS1_3repE0EEENS1_30default_config_static_selectorELNS0_4arch9wavefront6targetE1EEEvT1_
                                        ; -- End function
	.section	.AMDGPU.csdata,"",@progbits
; Kernel info:
; codeLenInByte = 0
; NumSgprs: 6
; NumVgprs: 0
; NumAgprs: 0
; TotalNumVgprs: 0
; ScratchSize: 0
; MemoryBound: 0
; FloatMode: 240
; IeeeMode: 1
; LDSByteSize: 0 bytes/workgroup (compile time only)
; SGPRBlocks: 0
; VGPRBlocks: 0
; NumSGPRsForWavesPerEU: 6
; NumVGPRsForWavesPerEU: 1
; AccumOffset: 4
; Occupancy: 8
; WaveLimiterHint : 0
; COMPUTE_PGM_RSRC2:SCRATCH_EN: 0
; COMPUTE_PGM_RSRC2:USER_SGPR: 2
; COMPUTE_PGM_RSRC2:TRAP_HANDLER: 0
; COMPUTE_PGM_RSRC2:TGID_X_EN: 1
; COMPUTE_PGM_RSRC2:TGID_Y_EN: 0
; COMPUTE_PGM_RSRC2:TGID_Z_EN: 0
; COMPUTE_PGM_RSRC2:TIDIG_COMP_CNT: 0
; COMPUTE_PGM_RSRC3_GFX90A:ACCUM_OFFSET: 0
; COMPUTE_PGM_RSRC3_GFX90A:TG_SPLIT: 0
	.section	.text._ZN7rocprim17ROCPRIM_400000_NS6detail30init_device_scan_by_key_kernelINS1_19lookback_scan_stateINS0_5tupleIJ11FixedVectorIiLj4EEbEEELb0ELb0EEEN6thrust23THRUST_200600_302600_NS6detail15normal_iteratorINSA_10device_ptrIjEEEEjNS1_16block_id_wrapperIjLb1EEEEEvT_jjPNSI_10value_typeET0_PNSt15iterator_traitsISL_E10value_typeEmT1_T2_,"axG",@progbits,_ZN7rocprim17ROCPRIM_400000_NS6detail30init_device_scan_by_key_kernelINS1_19lookback_scan_stateINS0_5tupleIJ11FixedVectorIiLj4EEbEEELb0ELb0EEEN6thrust23THRUST_200600_302600_NS6detail15normal_iteratorINSA_10device_ptrIjEEEEjNS1_16block_id_wrapperIjLb1EEEEEvT_jjPNSI_10value_typeET0_PNSt15iterator_traitsISL_E10value_typeEmT1_T2_,comdat
	.protected	_ZN7rocprim17ROCPRIM_400000_NS6detail30init_device_scan_by_key_kernelINS1_19lookback_scan_stateINS0_5tupleIJ11FixedVectorIiLj4EEbEEELb0ELb0EEEN6thrust23THRUST_200600_302600_NS6detail15normal_iteratorINSA_10device_ptrIjEEEEjNS1_16block_id_wrapperIjLb1EEEEEvT_jjPNSI_10value_typeET0_PNSt15iterator_traitsISL_E10value_typeEmT1_T2_ ; -- Begin function _ZN7rocprim17ROCPRIM_400000_NS6detail30init_device_scan_by_key_kernelINS1_19lookback_scan_stateINS0_5tupleIJ11FixedVectorIiLj4EEbEEELb0ELb0EEEN6thrust23THRUST_200600_302600_NS6detail15normal_iteratorINSA_10device_ptrIjEEEEjNS1_16block_id_wrapperIjLb1EEEEEvT_jjPNSI_10value_typeET0_PNSt15iterator_traitsISL_E10value_typeEmT1_T2_
	.globl	_ZN7rocprim17ROCPRIM_400000_NS6detail30init_device_scan_by_key_kernelINS1_19lookback_scan_stateINS0_5tupleIJ11FixedVectorIiLj4EEbEEELb0ELb0EEEN6thrust23THRUST_200600_302600_NS6detail15normal_iteratorINSA_10device_ptrIjEEEEjNS1_16block_id_wrapperIjLb1EEEEEvT_jjPNSI_10value_typeET0_PNSt15iterator_traitsISL_E10value_typeEmT1_T2_
	.p2align	8
	.type	_ZN7rocprim17ROCPRIM_400000_NS6detail30init_device_scan_by_key_kernelINS1_19lookback_scan_stateINS0_5tupleIJ11FixedVectorIiLj4EEbEEELb0ELb0EEEN6thrust23THRUST_200600_302600_NS6detail15normal_iteratorINSA_10device_ptrIjEEEEjNS1_16block_id_wrapperIjLb1EEEEEvT_jjPNSI_10value_typeET0_PNSt15iterator_traitsISL_E10value_typeEmT1_T2_,@function
_ZN7rocprim17ROCPRIM_400000_NS6detail30init_device_scan_by_key_kernelINS1_19lookback_scan_stateINS0_5tupleIJ11FixedVectorIiLj4EEbEEELb0ELb0EEEN6thrust23THRUST_200600_302600_NS6detail15normal_iteratorINSA_10device_ptrIjEEEEjNS1_16block_id_wrapperIjLb1EEEEEvT_jjPNSI_10value_typeET0_PNSt15iterator_traitsISL_E10value_typeEmT1_T2_: ; @_ZN7rocprim17ROCPRIM_400000_NS6detail30init_device_scan_by_key_kernelINS1_19lookback_scan_stateINS0_5tupleIJ11FixedVectorIiLj4EEbEEELb0ELb0EEEN6thrust23THRUST_200600_302600_NS6detail15normal_iteratorINSA_10device_ptrIjEEEEjNS1_16block_id_wrapperIjLb1EEEEEvT_jjPNSI_10value_typeET0_PNSt15iterator_traitsISL_E10value_typeEmT1_T2_
; %bb.0:
	s_load_dword s3, s[0:1], 0x5c
	s_load_dwordx8 s[4:11], s[0:1], 0x10
	s_load_dword s18, s[0:1], 0x50
	s_waitcnt lgkmcnt(0)
	s_and_b32 s19, s3, 0xffff
	s_mul_i32 s2, s2, s19
	s_cmp_eq_u64 s[8:9], 0
	v_add_u32_e32 v0, s2, v0
	s_cbranch_scc1 .LBB2064_7
; %bb.1:
	s_cmp_lt_u32 s7, s6
	s_cselect_b32 s2, s7, 0
	v_cmp_eq_u32_e32 vcc, s2, v0
	s_and_saveexec_b64 s[2:3], vcc
	s_cbranch_execz .LBB2064_6
; %bb.2:
	s_add_i32 s7, s7, 64
	v_mov_b32_e32 v1, s7
	global_load_ubyte v1, v1, s[4:5] sc1
	s_load_dwordx4 s[12:15], s[0:1], 0x0
	s_add_u32 s16, s4, s7
	s_addc_u32 s17, s5, 0
	s_waitcnt vmcnt(0)
	v_cmp_ne_u16_e32 vcc, 0, v1
	v_readfirstlane_b32 s20, v1
	s_cbranch_vccnz .LBB2064_5
; %bb.3:
	v_mov_b32_e32 v1, 0
.LBB2064_4:                             ; =>This Inner Loop Header: Depth=1
	global_load_ubyte v2, v1, s[16:17] sc1
	s_waitcnt vmcnt(0)
	v_cmp_eq_u16_e32 vcc, 0, v2
	v_readfirstlane_b32 s20, v2
	s_cbranch_vccnz .LBB2064_4
.LBB2064_5:
	s_and_b32 s16, 0xffff, s20
	s_cmp_eq_u32 s16, 1
	s_waitcnt lgkmcnt(0)
	s_cselect_b32 s12, s12, s14
	s_mul_hi_u32 s14, s7, 20
	s_mul_i32 s7, s7, 20
	s_cselect_b32 s13, s13, s15
	s_add_u32 s12, s12, s7
	s_addc_u32 s13, s13, s14
	v_mov_b32_e32 v1, 0
	s_waitcnt vmcnt(0)
	global_load_dword v2, v1, s[12:13] sc1
	global_load_dword v3, v1, s[12:13] offset:4 sc1
	global_load_dword v4, v1, s[12:13] offset:8 sc1
	;; [unrolled: 1-line block ×4, first 2 shown]
	s_waitcnt vmcnt(1)
	global_store_dwordx4 v1, v[2:5], s[8:9]
	s_waitcnt vmcnt(1)
	global_store_byte v1, v6, s[8:9] offset:16
.LBB2064_6:
	s_or_b64 exec, exec, s[2:3]
.LBB2064_7:
	v_cmp_eq_u32_e32 vcc, 0, v0
	s_and_saveexec_b64 s[2:3], vcc
	s_cbranch_execz .LBB2064_9
; %bb.8:
	s_load_dwordx2 s[8:9], s[0:1], 0x48
	v_mov_b32_e32 v1, 0
	s_waitcnt lgkmcnt(0)
	global_store_dword v1, v1, s[8:9]
.LBB2064_9:
	s_or_b64 exec, exec, s[2:3]
	v_cmp_gt_u32_e32 vcc, s6, v0
	s_and_saveexec_b64 s[2:3], vcc
	s_cbranch_execz .LBB2064_11
; %bb.10:
	v_add_u32_e32 v1, 64, v0
	v_mov_b32_e32 v2, 0
	global_store_byte v1, v2, s[4:5]
.LBB2064_11:
	s_or_b64 exec, exec, s[2:3]
	v_cmp_gt_u32_e32 vcc, 64, v0
	v_mov_b32_e32 v1, 0
	s_and_saveexec_b64 s[2:3], vcc
	s_cbranch_execz .LBB2064_13
; %bb.12:
	v_lshl_add_u64 v[2:3], s[4:5], 0, v[0:1]
	v_mov_b32_e32 v4, 0xff
	global_store_byte v[2:3], v4, off
.LBB2064_13:
	s_or_b64 exec, exec, s[2:3]
	s_load_dwordx2 s[2:3], s[0:1], 0x38
	s_waitcnt lgkmcnt(0)
	v_cmp_gt_u64_e32 vcc, s[2:3], v[0:1]
	s_and_saveexec_b64 s[4:5], vcc
	s_cbranch_execz .LBB2064_16
; %bb.14:
	s_load_dword s12, s[0:1], 0x40
	s_load_dwordx2 s[6:7], s[0:1], 0x30
	s_mov_b32 s5, 0
	s_mov_b32 s1, s5
	s_mul_i32 s0, s18, s19
	s_waitcnt lgkmcnt(0)
	s_add_i32 s4, s12, -1
	s_lshl_b64 s[4:5], s[4:5], 2
	s_add_u32 s4, s10, s4
	v_mad_u64_u32 v[2:3], s[8:9], s12, v0, 0
	s_addc_u32 s5, s11, s5
	v_lshl_add_u64 v[2:3], v[2:3], 2, s[4:5]
	s_mul_hi_u32 s5, s12, s0
	s_mul_i32 s4, s12, s0
	s_lshl_b64 s[4:5], s[4:5], 2
	v_lshl_add_u64 v[4:5], v[0:1], 2, s[6:7]
	s_lshl_b64 s[6:7], s[0:1], 2
	s_mov_b64 s[8:9], 0
.LBB2064_15:                            ; =>This Inner Loop Header: Depth=1
	global_load_dword v6, v[2:3], off
	v_lshl_add_u64 v[0:1], v[0:1], 0, s[0:1]
	v_cmp_le_u64_e32 vcc, s[2:3], v[0:1]
	v_lshl_add_u64 v[2:3], v[2:3], 0, s[4:5]
	s_or_b64 s[8:9], vcc, s[8:9]
	s_waitcnt vmcnt(0)
	global_store_dword v[4:5], v6, off
	v_lshl_add_u64 v[4:5], v[4:5], 0, s[6:7]
	s_andn2_b64 exec, exec, s[8:9]
	s_cbranch_execnz .LBB2064_15
.LBB2064_16:
	s_endpgm
	.section	.rodata,"a",@progbits
	.p2align	6, 0x0
	.amdhsa_kernel _ZN7rocprim17ROCPRIM_400000_NS6detail30init_device_scan_by_key_kernelINS1_19lookback_scan_stateINS0_5tupleIJ11FixedVectorIiLj4EEbEEELb0ELb0EEEN6thrust23THRUST_200600_302600_NS6detail15normal_iteratorINSA_10device_ptrIjEEEEjNS1_16block_id_wrapperIjLb1EEEEEvT_jjPNSI_10value_typeET0_PNSt15iterator_traitsISL_E10value_typeEmT1_T2_
		.amdhsa_group_segment_fixed_size 0
		.amdhsa_private_segment_fixed_size 0
		.amdhsa_kernarg_size 336
		.amdhsa_user_sgpr_count 2
		.amdhsa_user_sgpr_dispatch_ptr 0
		.amdhsa_user_sgpr_queue_ptr 0
		.amdhsa_user_sgpr_kernarg_segment_ptr 1
		.amdhsa_user_sgpr_dispatch_id 0
		.amdhsa_user_sgpr_kernarg_preload_length 0
		.amdhsa_user_sgpr_kernarg_preload_offset 0
		.amdhsa_user_sgpr_private_segment_size 0
		.amdhsa_uses_dynamic_stack 0
		.amdhsa_enable_private_segment 0
		.amdhsa_system_sgpr_workgroup_id_x 1
		.amdhsa_system_sgpr_workgroup_id_y 0
		.amdhsa_system_sgpr_workgroup_id_z 0
		.amdhsa_system_sgpr_workgroup_info 0
		.amdhsa_system_vgpr_workitem_id 0
		.amdhsa_next_free_vgpr 7
		.amdhsa_next_free_sgpr 21
		.amdhsa_accum_offset 8
		.amdhsa_reserve_vcc 1
		.amdhsa_float_round_mode_32 0
		.amdhsa_float_round_mode_16_64 0
		.amdhsa_float_denorm_mode_32 3
		.amdhsa_float_denorm_mode_16_64 3
		.amdhsa_dx10_clamp 1
		.amdhsa_ieee_mode 1
		.amdhsa_fp16_overflow 0
		.amdhsa_tg_split 0
		.amdhsa_exception_fp_ieee_invalid_op 0
		.amdhsa_exception_fp_denorm_src 0
		.amdhsa_exception_fp_ieee_div_zero 0
		.amdhsa_exception_fp_ieee_overflow 0
		.amdhsa_exception_fp_ieee_underflow 0
		.amdhsa_exception_fp_ieee_inexact 0
		.amdhsa_exception_int_div_zero 0
	.end_amdhsa_kernel
	.section	.text._ZN7rocprim17ROCPRIM_400000_NS6detail30init_device_scan_by_key_kernelINS1_19lookback_scan_stateINS0_5tupleIJ11FixedVectorIiLj4EEbEEELb0ELb0EEEN6thrust23THRUST_200600_302600_NS6detail15normal_iteratorINSA_10device_ptrIjEEEEjNS1_16block_id_wrapperIjLb1EEEEEvT_jjPNSI_10value_typeET0_PNSt15iterator_traitsISL_E10value_typeEmT1_T2_,"axG",@progbits,_ZN7rocprim17ROCPRIM_400000_NS6detail30init_device_scan_by_key_kernelINS1_19lookback_scan_stateINS0_5tupleIJ11FixedVectorIiLj4EEbEEELb0ELb0EEEN6thrust23THRUST_200600_302600_NS6detail15normal_iteratorINSA_10device_ptrIjEEEEjNS1_16block_id_wrapperIjLb1EEEEEvT_jjPNSI_10value_typeET0_PNSt15iterator_traitsISL_E10value_typeEmT1_T2_,comdat
.Lfunc_end2064:
	.size	_ZN7rocprim17ROCPRIM_400000_NS6detail30init_device_scan_by_key_kernelINS1_19lookback_scan_stateINS0_5tupleIJ11FixedVectorIiLj4EEbEEELb0ELb0EEEN6thrust23THRUST_200600_302600_NS6detail15normal_iteratorINSA_10device_ptrIjEEEEjNS1_16block_id_wrapperIjLb1EEEEEvT_jjPNSI_10value_typeET0_PNSt15iterator_traitsISL_E10value_typeEmT1_T2_, .Lfunc_end2064-_ZN7rocprim17ROCPRIM_400000_NS6detail30init_device_scan_by_key_kernelINS1_19lookback_scan_stateINS0_5tupleIJ11FixedVectorIiLj4EEbEEELb0ELb0EEEN6thrust23THRUST_200600_302600_NS6detail15normal_iteratorINSA_10device_ptrIjEEEEjNS1_16block_id_wrapperIjLb1EEEEEvT_jjPNSI_10value_typeET0_PNSt15iterator_traitsISL_E10value_typeEmT1_T2_
                                        ; -- End function
	.section	.AMDGPU.csdata,"",@progbits
; Kernel info:
; codeLenInByte = 560
; NumSgprs: 27
; NumVgprs: 7
; NumAgprs: 0
; TotalNumVgprs: 7
; ScratchSize: 0
; MemoryBound: 0
; FloatMode: 240
; IeeeMode: 1
; LDSByteSize: 0 bytes/workgroup (compile time only)
; SGPRBlocks: 3
; VGPRBlocks: 0
; NumSGPRsForWavesPerEU: 27
; NumVGPRsForWavesPerEU: 7
; AccumOffset: 8
; Occupancy: 8
; WaveLimiterHint : 0
; COMPUTE_PGM_RSRC2:SCRATCH_EN: 0
; COMPUTE_PGM_RSRC2:USER_SGPR: 2
; COMPUTE_PGM_RSRC2:TRAP_HANDLER: 0
; COMPUTE_PGM_RSRC2:TGID_X_EN: 1
; COMPUTE_PGM_RSRC2:TGID_Y_EN: 0
; COMPUTE_PGM_RSRC2:TGID_Z_EN: 0
; COMPUTE_PGM_RSRC2:TIDIG_COMP_CNT: 0
; COMPUTE_PGM_RSRC3_GFX90A:ACCUM_OFFSET: 1
; COMPUTE_PGM_RSRC3_GFX90A:TG_SPLIT: 0
	.section	.text._ZN7rocprim17ROCPRIM_400000_NS6detail30init_device_scan_by_key_kernelINS1_19lookback_scan_stateINS0_5tupleIJ11FixedVectorIiLj4EEbEEELb0ELb0EEENS1_16block_id_wrapperIjLb1EEEEEvT_jjPNSB_10value_typeET0_,"axG",@progbits,_ZN7rocprim17ROCPRIM_400000_NS6detail30init_device_scan_by_key_kernelINS1_19lookback_scan_stateINS0_5tupleIJ11FixedVectorIiLj4EEbEEELb0ELb0EEENS1_16block_id_wrapperIjLb1EEEEEvT_jjPNSB_10value_typeET0_,comdat
	.protected	_ZN7rocprim17ROCPRIM_400000_NS6detail30init_device_scan_by_key_kernelINS1_19lookback_scan_stateINS0_5tupleIJ11FixedVectorIiLj4EEbEEELb0ELb0EEENS1_16block_id_wrapperIjLb1EEEEEvT_jjPNSB_10value_typeET0_ ; -- Begin function _ZN7rocprim17ROCPRIM_400000_NS6detail30init_device_scan_by_key_kernelINS1_19lookback_scan_stateINS0_5tupleIJ11FixedVectorIiLj4EEbEEELb0ELb0EEENS1_16block_id_wrapperIjLb1EEEEEvT_jjPNSB_10value_typeET0_
	.globl	_ZN7rocprim17ROCPRIM_400000_NS6detail30init_device_scan_by_key_kernelINS1_19lookback_scan_stateINS0_5tupleIJ11FixedVectorIiLj4EEbEEELb0ELb0EEENS1_16block_id_wrapperIjLb1EEEEEvT_jjPNSB_10value_typeET0_
	.p2align	8
	.type	_ZN7rocprim17ROCPRIM_400000_NS6detail30init_device_scan_by_key_kernelINS1_19lookback_scan_stateINS0_5tupleIJ11FixedVectorIiLj4EEbEEELb0ELb0EEENS1_16block_id_wrapperIjLb1EEEEEvT_jjPNSB_10value_typeET0_,@function
_ZN7rocprim17ROCPRIM_400000_NS6detail30init_device_scan_by_key_kernelINS1_19lookback_scan_stateINS0_5tupleIJ11FixedVectorIiLj4EEbEEELb0ELb0EEENS1_16block_id_wrapperIjLb1EEEEEvT_jjPNSB_10value_typeET0_: ; @_ZN7rocprim17ROCPRIM_400000_NS6detail30init_device_scan_by_key_kernelINS1_19lookback_scan_stateINS0_5tupleIJ11FixedVectorIiLj4EEbEEELb0ELb0EEENS1_16block_id_wrapperIjLb1EEEEEvT_jjPNSB_10value_typeET0_
; %bb.0:
	s_load_dword s3, s[0:1], 0x3c
	s_load_dwordx8 s[4:11], s[0:1], 0x10
	s_waitcnt lgkmcnt(0)
	s_and_b32 s3, s3, 0xffff
	s_mul_i32 s2, s2, s3
	s_cmp_eq_u64 s[8:9], 0
	v_add_u32_e32 v0, s2, v0
	s_cbranch_scc1 .LBB2065_7
; %bb.1:
	s_cmp_lt_u32 s7, s6
	s_cselect_b32 s2, s7, 0
	v_cmp_eq_u32_e32 vcc, s2, v0
	s_and_saveexec_b64 s[12:13], vcc
	s_cbranch_execz .LBB2065_6
; %bb.2:
	s_add_i32 s7, s7, 64
	v_mov_b32_e32 v1, s7
	global_load_ubyte v1, v1, s[4:5] sc1
	s_load_dwordx4 s[0:3], s[0:1], 0x0
	s_add_u32 s14, s4, s7
	s_addc_u32 s15, s5, 0
	s_waitcnt vmcnt(0)
	v_cmp_ne_u16_e32 vcc, 0, v1
	v_readfirstlane_b32 s16, v1
	s_cbranch_vccnz .LBB2065_5
; %bb.3:
	v_mov_b32_e32 v1, 0
.LBB2065_4:                             ; =>This Inner Loop Header: Depth=1
	global_load_ubyte v2, v1, s[14:15] sc1
	s_waitcnt vmcnt(0)
	v_cmp_eq_u16_e32 vcc, 0, v2
	v_readfirstlane_b32 s16, v2
	s_cbranch_vccnz .LBB2065_4
.LBB2065_5:
	s_and_b32 s14, 0xffff, s16
	s_cmp_eq_u32 s14, 1
	s_waitcnt lgkmcnt(0)
	s_cselect_b32 s1, s1, s3
	s_cselect_b32 s0, s0, s2
	s_mul_i32 s3, s7, 20
	s_mul_hi_u32 s2, s7, 20
	s_add_u32 s0, s0, s3
	s_addc_u32 s1, s1, s2
	v_mov_b32_e32 v1, 0
	s_waitcnt vmcnt(0)
	global_load_dword v2, v1, s[0:1] sc1
	global_load_dword v3, v1, s[0:1] offset:4 sc1
	global_load_dword v4, v1, s[0:1] offset:8 sc1
	;; [unrolled: 1-line block ×4, first 2 shown]
	s_waitcnt vmcnt(1)
	global_store_dwordx4 v1, v[2:5], s[8:9]
	s_waitcnt vmcnt(1)
	global_store_byte v1, v6, s[8:9] offset:16
.LBB2065_6:
	s_or_b64 exec, exec, s[12:13]
.LBB2065_7:
	v_cmp_eq_u32_e32 vcc, 0, v0
	s_and_saveexec_b64 s[0:1], vcc
	s_cbranch_execnz .LBB2065_11
; %bb.8:
	s_or_b64 exec, exec, s[0:1]
	v_cmp_gt_u32_e32 vcc, s6, v0
	s_and_saveexec_b64 s[0:1], vcc
	s_cbranch_execnz .LBB2065_12
.LBB2065_9:
	s_or_b64 exec, exec, s[0:1]
	v_cmp_gt_u32_e32 vcc, 64, v0
	s_and_saveexec_b64 s[0:1], vcc
	s_cbranch_execnz .LBB2065_13
.LBB2065_10:
	s_endpgm
.LBB2065_11:
	v_mov_b32_e32 v1, 0
	global_store_dword v1, v1, s[10:11]
	s_or_b64 exec, exec, s[0:1]
	v_cmp_gt_u32_e32 vcc, s6, v0
	s_and_saveexec_b64 s[0:1], vcc
	s_cbranch_execz .LBB2065_9
.LBB2065_12:
	v_add_u32_e32 v1, 64, v0
	v_mov_b32_e32 v2, 0
	global_store_byte v1, v2, s[4:5]
	s_or_b64 exec, exec, s[0:1]
	v_cmp_gt_u32_e32 vcc, 64, v0
	s_and_saveexec_b64 s[0:1], vcc
	s_cbranch_execz .LBB2065_10
.LBB2065_13:
	v_mov_b32_e32 v1, 0xff
	global_store_byte v0, v1, s[4:5]
	s_endpgm
	.section	.rodata,"a",@progbits
	.p2align	6, 0x0
	.amdhsa_kernel _ZN7rocprim17ROCPRIM_400000_NS6detail30init_device_scan_by_key_kernelINS1_19lookback_scan_stateINS0_5tupleIJ11FixedVectorIiLj4EEbEEELb0ELb0EEENS1_16block_id_wrapperIjLb1EEEEEvT_jjPNSB_10value_typeET0_
		.amdhsa_group_segment_fixed_size 0
		.amdhsa_private_segment_fixed_size 0
		.amdhsa_kernarg_size 304
		.amdhsa_user_sgpr_count 2
		.amdhsa_user_sgpr_dispatch_ptr 0
		.amdhsa_user_sgpr_queue_ptr 0
		.amdhsa_user_sgpr_kernarg_segment_ptr 1
		.amdhsa_user_sgpr_dispatch_id 0
		.amdhsa_user_sgpr_kernarg_preload_length 0
		.amdhsa_user_sgpr_kernarg_preload_offset 0
		.amdhsa_user_sgpr_private_segment_size 0
		.amdhsa_uses_dynamic_stack 0
		.amdhsa_enable_private_segment 0
		.amdhsa_system_sgpr_workgroup_id_x 1
		.amdhsa_system_sgpr_workgroup_id_y 0
		.amdhsa_system_sgpr_workgroup_id_z 0
		.amdhsa_system_sgpr_workgroup_info 0
		.amdhsa_system_vgpr_workitem_id 0
		.amdhsa_next_free_vgpr 7
		.amdhsa_next_free_sgpr 17
		.amdhsa_accum_offset 8
		.amdhsa_reserve_vcc 1
		.amdhsa_float_round_mode_32 0
		.amdhsa_float_round_mode_16_64 0
		.amdhsa_float_denorm_mode_32 3
		.amdhsa_float_denorm_mode_16_64 3
		.amdhsa_dx10_clamp 1
		.amdhsa_ieee_mode 1
		.amdhsa_fp16_overflow 0
		.amdhsa_tg_split 0
		.amdhsa_exception_fp_ieee_invalid_op 0
		.amdhsa_exception_fp_denorm_src 0
		.amdhsa_exception_fp_ieee_div_zero 0
		.amdhsa_exception_fp_ieee_overflow 0
		.amdhsa_exception_fp_ieee_underflow 0
		.amdhsa_exception_fp_ieee_inexact 0
		.amdhsa_exception_int_div_zero 0
	.end_amdhsa_kernel
	.section	.text._ZN7rocprim17ROCPRIM_400000_NS6detail30init_device_scan_by_key_kernelINS1_19lookback_scan_stateINS0_5tupleIJ11FixedVectorIiLj4EEbEEELb0ELb0EEENS1_16block_id_wrapperIjLb1EEEEEvT_jjPNSB_10value_typeET0_,"axG",@progbits,_ZN7rocprim17ROCPRIM_400000_NS6detail30init_device_scan_by_key_kernelINS1_19lookback_scan_stateINS0_5tupleIJ11FixedVectorIiLj4EEbEEELb0ELb0EEENS1_16block_id_wrapperIjLb1EEEEEvT_jjPNSB_10value_typeET0_,comdat
.Lfunc_end2065:
	.size	_ZN7rocprim17ROCPRIM_400000_NS6detail30init_device_scan_by_key_kernelINS1_19lookback_scan_stateINS0_5tupleIJ11FixedVectorIiLj4EEbEEELb0ELb0EEENS1_16block_id_wrapperIjLb1EEEEEvT_jjPNSB_10value_typeET0_, .Lfunc_end2065-_ZN7rocprim17ROCPRIM_400000_NS6detail30init_device_scan_by_key_kernelINS1_19lookback_scan_stateINS0_5tupleIJ11FixedVectorIiLj4EEbEEELb0ELb0EEENS1_16block_id_wrapperIjLb1EEEEEvT_jjPNSB_10value_typeET0_
                                        ; -- End function
	.section	.AMDGPU.csdata,"",@progbits
; Kernel info:
; codeLenInByte = 384
; NumSgprs: 23
; NumVgprs: 7
; NumAgprs: 0
; TotalNumVgprs: 7
; ScratchSize: 0
; MemoryBound: 0
; FloatMode: 240
; IeeeMode: 1
; LDSByteSize: 0 bytes/workgroup (compile time only)
; SGPRBlocks: 2
; VGPRBlocks: 0
; NumSGPRsForWavesPerEU: 23
; NumVGPRsForWavesPerEU: 7
; AccumOffset: 8
; Occupancy: 8
; WaveLimiterHint : 0
; COMPUTE_PGM_RSRC2:SCRATCH_EN: 0
; COMPUTE_PGM_RSRC2:USER_SGPR: 2
; COMPUTE_PGM_RSRC2:TRAP_HANDLER: 0
; COMPUTE_PGM_RSRC2:TGID_X_EN: 1
; COMPUTE_PGM_RSRC2:TGID_Y_EN: 0
; COMPUTE_PGM_RSRC2:TGID_Z_EN: 0
; COMPUTE_PGM_RSRC2:TIDIG_COMP_CNT: 0
; COMPUTE_PGM_RSRC3_GFX90A:ACCUM_OFFSET: 1
; COMPUTE_PGM_RSRC3_GFX90A:TG_SPLIT: 0
	.section	.text._ZN7rocprim17ROCPRIM_400000_NS6detail17trampoline_kernelINS0_14default_configENS1_27scan_by_key_config_selectorIj11FixedVectorIiLj4EEEEZZNS1_16scan_by_key_implILNS1_25lookback_scan_determinismE0ELb0ES3_N6thrust23THRUST_200600_302600_NS6detail15normal_iteratorINSB_10device_ptrIjEEEENSD_INSE_IS6_EEEESI_S6_NSB_4plusIvEENSB_8equal_toIvEES6_EE10hipError_tPvRmT2_T3_T4_T5_mT6_T7_P12ihipStream_tbENKUlT_T0_E_clISt17integral_constantIbLb0EES12_IbLb1EEEEDaSY_SZ_EUlSY_E_NS1_11comp_targetILNS1_3genE0ELNS1_11target_archE4294967295ELNS1_3gpuE0ELNS1_3repE0EEENS1_30default_config_static_selectorELNS0_4arch9wavefront6targetE1EEEvT1_,"axG",@progbits,_ZN7rocprim17ROCPRIM_400000_NS6detail17trampoline_kernelINS0_14default_configENS1_27scan_by_key_config_selectorIj11FixedVectorIiLj4EEEEZZNS1_16scan_by_key_implILNS1_25lookback_scan_determinismE0ELb0ES3_N6thrust23THRUST_200600_302600_NS6detail15normal_iteratorINSB_10device_ptrIjEEEENSD_INSE_IS6_EEEESI_S6_NSB_4plusIvEENSB_8equal_toIvEES6_EE10hipError_tPvRmT2_T3_T4_T5_mT6_T7_P12ihipStream_tbENKUlT_T0_E_clISt17integral_constantIbLb0EES12_IbLb1EEEEDaSY_SZ_EUlSY_E_NS1_11comp_targetILNS1_3genE0ELNS1_11target_archE4294967295ELNS1_3gpuE0ELNS1_3repE0EEENS1_30default_config_static_selectorELNS0_4arch9wavefront6targetE1EEEvT1_,comdat
	.protected	_ZN7rocprim17ROCPRIM_400000_NS6detail17trampoline_kernelINS0_14default_configENS1_27scan_by_key_config_selectorIj11FixedVectorIiLj4EEEEZZNS1_16scan_by_key_implILNS1_25lookback_scan_determinismE0ELb0ES3_N6thrust23THRUST_200600_302600_NS6detail15normal_iteratorINSB_10device_ptrIjEEEENSD_INSE_IS6_EEEESI_S6_NSB_4plusIvEENSB_8equal_toIvEES6_EE10hipError_tPvRmT2_T3_T4_T5_mT6_T7_P12ihipStream_tbENKUlT_T0_E_clISt17integral_constantIbLb0EES12_IbLb1EEEEDaSY_SZ_EUlSY_E_NS1_11comp_targetILNS1_3genE0ELNS1_11target_archE4294967295ELNS1_3gpuE0ELNS1_3repE0EEENS1_30default_config_static_selectorELNS0_4arch9wavefront6targetE1EEEvT1_ ; -- Begin function _ZN7rocprim17ROCPRIM_400000_NS6detail17trampoline_kernelINS0_14default_configENS1_27scan_by_key_config_selectorIj11FixedVectorIiLj4EEEEZZNS1_16scan_by_key_implILNS1_25lookback_scan_determinismE0ELb0ES3_N6thrust23THRUST_200600_302600_NS6detail15normal_iteratorINSB_10device_ptrIjEEEENSD_INSE_IS6_EEEESI_S6_NSB_4plusIvEENSB_8equal_toIvEES6_EE10hipError_tPvRmT2_T3_T4_T5_mT6_T7_P12ihipStream_tbENKUlT_T0_E_clISt17integral_constantIbLb0EES12_IbLb1EEEEDaSY_SZ_EUlSY_E_NS1_11comp_targetILNS1_3genE0ELNS1_11target_archE4294967295ELNS1_3gpuE0ELNS1_3repE0EEENS1_30default_config_static_selectorELNS0_4arch9wavefront6targetE1EEEvT1_
	.globl	_ZN7rocprim17ROCPRIM_400000_NS6detail17trampoline_kernelINS0_14default_configENS1_27scan_by_key_config_selectorIj11FixedVectorIiLj4EEEEZZNS1_16scan_by_key_implILNS1_25lookback_scan_determinismE0ELb0ES3_N6thrust23THRUST_200600_302600_NS6detail15normal_iteratorINSB_10device_ptrIjEEEENSD_INSE_IS6_EEEESI_S6_NSB_4plusIvEENSB_8equal_toIvEES6_EE10hipError_tPvRmT2_T3_T4_T5_mT6_T7_P12ihipStream_tbENKUlT_T0_E_clISt17integral_constantIbLb0EES12_IbLb1EEEEDaSY_SZ_EUlSY_E_NS1_11comp_targetILNS1_3genE0ELNS1_11target_archE4294967295ELNS1_3gpuE0ELNS1_3repE0EEENS1_30default_config_static_selectorELNS0_4arch9wavefront6targetE1EEEvT1_
	.p2align	8
	.type	_ZN7rocprim17ROCPRIM_400000_NS6detail17trampoline_kernelINS0_14default_configENS1_27scan_by_key_config_selectorIj11FixedVectorIiLj4EEEEZZNS1_16scan_by_key_implILNS1_25lookback_scan_determinismE0ELb0ES3_N6thrust23THRUST_200600_302600_NS6detail15normal_iteratorINSB_10device_ptrIjEEEENSD_INSE_IS6_EEEESI_S6_NSB_4plusIvEENSB_8equal_toIvEES6_EE10hipError_tPvRmT2_T3_T4_T5_mT6_T7_P12ihipStream_tbENKUlT_T0_E_clISt17integral_constantIbLb0EES12_IbLb1EEEEDaSY_SZ_EUlSY_E_NS1_11comp_targetILNS1_3genE0ELNS1_11target_archE4294967295ELNS1_3gpuE0ELNS1_3repE0EEENS1_30default_config_static_selectorELNS0_4arch9wavefront6targetE1EEEvT1_,@function
_ZN7rocprim17ROCPRIM_400000_NS6detail17trampoline_kernelINS0_14default_configENS1_27scan_by_key_config_selectorIj11FixedVectorIiLj4EEEEZZNS1_16scan_by_key_implILNS1_25lookback_scan_determinismE0ELb0ES3_N6thrust23THRUST_200600_302600_NS6detail15normal_iteratorINSB_10device_ptrIjEEEENSD_INSE_IS6_EEEESI_S6_NSB_4plusIvEENSB_8equal_toIvEES6_EE10hipError_tPvRmT2_T3_T4_T5_mT6_T7_P12ihipStream_tbENKUlT_T0_E_clISt17integral_constantIbLb0EES12_IbLb1EEEEDaSY_SZ_EUlSY_E_NS1_11comp_targetILNS1_3genE0ELNS1_11target_archE4294967295ELNS1_3gpuE0ELNS1_3repE0EEENS1_30default_config_static_selectorELNS0_4arch9wavefront6targetE1EEEvT1_: ; @_ZN7rocprim17ROCPRIM_400000_NS6detail17trampoline_kernelINS0_14default_configENS1_27scan_by_key_config_selectorIj11FixedVectorIiLj4EEEEZZNS1_16scan_by_key_implILNS1_25lookback_scan_determinismE0ELb0ES3_N6thrust23THRUST_200600_302600_NS6detail15normal_iteratorINSB_10device_ptrIjEEEENSD_INSE_IS6_EEEESI_S6_NSB_4plusIvEENSB_8equal_toIvEES6_EE10hipError_tPvRmT2_T3_T4_T5_mT6_T7_P12ihipStream_tbENKUlT_T0_E_clISt17integral_constantIbLb0EES12_IbLb1EEEEDaSY_SZ_EUlSY_E_NS1_11comp_targetILNS1_3genE0ELNS1_11target_archE4294967295ELNS1_3gpuE0ELNS1_3repE0EEENS1_30default_config_static_selectorELNS0_4arch9wavefront6targetE1EEEvT1_
; %bb.0:
	.section	.rodata,"a",@progbits
	.p2align	6, 0x0
	.amdhsa_kernel _ZN7rocprim17ROCPRIM_400000_NS6detail17trampoline_kernelINS0_14default_configENS1_27scan_by_key_config_selectorIj11FixedVectorIiLj4EEEEZZNS1_16scan_by_key_implILNS1_25lookback_scan_determinismE0ELb0ES3_N6thrust23THRUST_200600_302600_NS6detail15normal_iteratorINSB_10device_ptrIjEEEENSD_INSE_IS6_EEEESI_S6_NSB_4plusIvEENSB_8equal_toIvEES6_EE10hipError_tPvRmT2_T3_T4_T5_mT6_T7_P12ihipStream_tbENKUlT_T0_E_clISt17integral_constantIbLb0EES12_IbLb1EEEEDaSY_SZ_EUlSY_E_NS1_11comp_targetILNS1_3genE0ELNS1_11target_archE4294967295ELNS1_3gpuE0ELNS1_3repE0EEENS1_30default_config_static_selectorELNS0_4arch9wavefront6targetE1EEEvT1_
		.amdhsa_group_segment_fixed_size 0
		.amdhsa_private_segment_fixed_size 0
		.amdhsa_kernarg_size 144
		.amdhsa_user_sgpr_count 2
		.amdhsa_user_sgpr_dispatch_ptr 0
		.amdhsa_user_sgpr_queue_ptr 0
		.amdhsa_user_sgpr_kernarg_segment_ptr 1
		.amdhsa_user_sgpr_dispatch_id 0
		.amdhsa_user_sgpr_kernarg_preload_length 0
		.amdhsa_user_sgpr_kernarg_preload_offset 0
		.amdhsa_user_sgpr_private_segment_size 0
		.amdhsa_uses_dynamic_stack 0
		.amdhsa_enable_private_segment 0
		.amdhsa_system_sgpr_workgroup_id_x 1
		.amdhsa_system_sgpr_workgroup_id_y 0
		.amdhsa_system_sgpr_workgroup_id_z 0
		.amdhsa_system_sgpr_workgroup_info 0
		.amdhsa_system_vgpr_workitem_id 0
		.amdhsa_next_free_vgpr 1
		.amdhsa_next_free_sgpr 0
		.amdhsa_accum_offset 4
		.amdhsa_reserve_vcc 0
		.amdhsa_float_round_mode_32 0
		.amdhsa_float_round_mode_16_64 0
		.amdhsa_float_denorm_mode_32 3
		.amdhsa_float_denorm_mode_16_64 3
		.amdhsa_dx10_clamp 1
		.amdhsa_ieee_mode 1
		.amdhsa_fp16_overflow 0
		.amdhsa_tg_split 0
		.amdhsa_exception_fp_ieee_invalid_op 0
		.amdhsa_exception_fp_denorm_src 0
		.amdhsa_exception_fp_ieee_div_zero 0
		.amdhsa_exception_fp_ieee_overflow 0
		.amdhsa_exception_fp_ieee_underflow 0
		.amdhsa_exception_fp_ieee_inexact 0
		.amdhsa_exception_int_div_zero 0
	.end_amdhsa_kernel
	.section	.text._ZN7rocprim17ROCPRIM_400000_NS6detail17trampoline_kernelINS0_14default_configENS1_27scan_by_key_config_selectorIj11FixedVectorIiLj4EEEEZZNS1_16scan_by_key_implILNS1_25lookback_scan_determinismE0ELb0ES3_N6thrust23THRUST_200600_302600_NS6detail15normal_iteratorINSB_10device_ptrIjEEEENSD_INSE_IS6_EEEESI_S6_NSB_4plusIvEENSB_8equal_toIvEES6_EE10hipError_tPvRmT2_T3_T4_T5_mT6_T7_P12ihipStream_tbENKUlT_T0_E_clISt17integral_constantIbLb0EES12_IbLb1EEEEDaSY_SZ_EUlSY_E_NS1_11comp_targetILNS1_3genE0ELNS1_11target_archE4294967295ELNS1_3gpuE0ELNS1_3repE0EEENS1_30default_config_static_selectorELNS0_4arch9wavefront6targetE1EEEvT1_,"axG",@progbits,_ZN7rocprim17ROCPRIM_400000_NS6detail17trampoline_kernelINS0_14default_configENS1_27scan_by_key_config_selectorIj11FixedVectorIiLj4EEEEZZNS1_16scan_by_key_implILNS1_25lookback_scan_determinismE0ELb0ES3_N6thrust23THRUST_200600_302600_NS6detail15normal_iteratorINSB_10device_ptrIjEEEENSD_INSE_IS6_EEEESI_S6_NSB_4plusIvEENSB_8equal_toIvEES6_EE10hipError_tPvRmT2_T3_T4_T5_mT6_T7_P12ihipStream_tbENKUlT_T0_E_clISt17integral_constantIbLb0EES12_IbLb1EEEEDaSY_SZ_EUlSY_E_NS1_11comp_targetILNS1_3genE0ELNS1_11target_archE4294967295ELNS1_3gpuE0ELNS1_3repE0EEENS1_30default_config_static_selectorELNS0_4arch9wavefront6targetE1EEEvT1_,comdat
.Lfunc_end2066:
	.size	_ZN7rocprim17ROCPRIM_400000_NS6detail17trampoline_kernelINS0_14default_configENS1_27scan_by_key_config_selectorIj11FixedVectorIiLj4EEEEZZNS1_16scan_by_key_implILNS1_25lookback_scan_determinismE0ELb0ES3_N6thrust23THRUST_200600_302600_NS6detail15normal_iteratorINSB_10device_ptrIjEEEENSD_INSE_IS6_EEEESI_S6_NSB_4plusIvEENSB_8equal_toIvEES6_EE10hipError_tPvRmT2_T3_T4_T5_mT6_T7_P12ihipStream_tbENKUlT_T0_E_clISt17integral_constantIbLb0EES12_IbLb1EEEEDaSY_SZ_EUlSY_E_NS1_11comp_targetILNS1_3genE0ELNS1_11target_archE4294967295ELNS1_3gpuE0ELNS1_3repE0EEENS1_30default_config_static_selectorELNS0_4arch9wavefront6targetE1EEEvT1_, .Lfunc_end2066-_ZN7rocprim17ROCPRIM_400000_NS6detail17trampoline_kernelINS0_14default_configENS1_27scan_by_key_config_selectorIj11FixedVectorIiLj4EEEEZZNS1_16scan_by_key_implILNS1_25lookback_scan_determinismE0ELb0ES3_N6thrust23THRUST_200600_302600_NS6detail15normal_iteratorINSB_10device_ptrIjEEEENSD_INSE_IS6_EEEESI_S6_NSB_4plusIvEENSB_8equal_toIvEES6_EE10hipError_tPvRmT2_T3_T4_T5_mT6_T7_P12ihipStream_tbENKUlT_T0_E_clISt17integral_constantIbLb0EES12_IbLb1EEEEDaSY_SZ_EUlSY_E_NS1_11comp_targetILNS1_3genE0ELNS1_11target_archE4294967295ELNS1_3gpuE0ELNS1_3repE0EEENS1_30default_config_static_selectorELNS0_4arch9wavefront6targetE1EEEvT1_
                                        ; -- End function
	.section	.AMDGPU.csdata,"",@progbits
; Kernel info:
; codeLenInByte = 0
; NumSgprs: 6
; NumVgprs: 0
; NumAgprs: 0
; TotalNumVgprs: 0
; ScratchSize: 0
; MemoryBound: 0
; FloatMode: 240
; IeeeMode: 1
; LDSByteSize: 0 bytes/workgroup (compile time only)
; SGPRBlocks: 0
; VGPRBlocks: 0
; NumSGPRsForWavesPerEU: 6
; NumVGPRsForWavesPerEU: 1
; AccumOffset: 4
; Occupancy: 8
; WaveLimiterHint : 0
; COMPUTE_PGM_RSRC2:SCRATCH_EN: 0
; COMPUTE_PGM_RSRC2:USER_SGPR: 2
; COMPUTE_PGM_RSRC2:TRAP_HANDLER: 0
; COMPUTE_PGM_RSRC2:TGID_X_EN: 1
; COMPUTE_PGM_RSRC2:TGID_Y_EN: 0
; COMPUTE_PGM_RSRC2:TGID_Z_EN: 0
; COMPUTE_PGM_RSRC2:TIDIG_COMP_CNT: 0
; COMPUTE_PGM_RSRC3_GFX90A:ACCUM_OFFSET: 0
; COMPUTE_PGM_RSRC3_GFX90A:TG_SPLIT: 0
	.section	.text._ZN7rocprim17ROCPRIM_400000_NS6detail17trampoline_kernelINS0_14default_configENS1_27scan_by_key_config_selectorIj11FixedVectorIiLj4EEEEZZNS1_16scan_by_key_implILNS1_25lookback_scan_determinismE0ELb0ES3_N6thrust23THRUST_200600_302600_NS6detail15normal_iteratorINSB_10device_ptrIjEEEENSD_INSE_IS6_EEEESI_S6_NSB_4plusIvEENSB_8equal_toIvEES6_EE10hipError_tPvRmT2_T3_T4_T5_mT6_T7_P12ihipStream_tbENKUlT_T0_E_clISt17integral_constantIbLb0EES12_IbLb1EEEEDaSY_SZ_EUlSY_E_NS1_11comp_targetILNS1_3genE10ELNS1_11target_archE1201ELNS1_3gpuE5ELNS1_3repE0EEENS1_30default_config_static_selectorELNS0_4arch9wavefront6targetE1EEEvT1_,"axG",@progbits,_ZN7rocprim17ROCPRIM_400000_NS6detail17trampoline_kernelINS0_14default_configENS1_27scan_by_key_config_selectorIj11FixedVectorIiLj4EEEEZZNS1_16scan_by_key_implILNS1_25lookback_scan_determinismE0ELb0ES3_N6thrust23THRUST_200600_302600_NS6detail15normal_iteratorINSB_10device_ptrIjEEEENSD_INSE_IS6_EEEESI_S6_NSB_4plusIvEENSB_8equal_toIvEES6_EE10hipError_tPvRmT2_T3_T4_T5_mT6_T7_P12ihipStream_tbENKUlT_T0_E_clISt17integral_constantIbLb0EES12_IbLb1EEEEDaSY_SZ_EUlSY_E_NS1_11comp_targetILNS1_3genE10ELNS1_11target_archE1201ELNS1_3gpuE5ELNS1_3repE0EEENS1_30default_config_static_selectorELNS0_4arch9wavefront6targetE1EEEvT1_,comdat
	.protected	_ZN7rocprim17ROCPRIM_400000_NS6detail17trampoline_kernelINS0_14default_configENS1_27scan_by_key_config_selectorIj11FixedVectorIiLj4EEEEZZNS1_16scan_by_key_implILNS1_25lookback_scan_determinismE0ELb0ES3_N6thrust23THRUST_200600_302600_NS6detail15normal_iteratorINSB_10device_ptrIjEEEENSD_INSE_IS6_EEEESI_S6_NSB_4plusIvEENSB_8equal_toIvEES6_EE10hipError_tPvRmT2_T3_T4_T5_mT6_T7_P12ihipStream_tbENKUlT_T0_E_clISt17integral_constantIbLb0EES12_IbLb1EEEEDaSY_SZ_EUlSY_E_NS1_11comp_targetILNS1_3genE10ELNS1_11target_archE1201ELNS1_3gpuE5ELNS1_3repE0EEENS1_30default_config_static_selectorELNS0_4arch9wavefront6targetE1EEEvT1_ ; -- Begin function _ZN7rocprim17ROCPRIM_400000_NS6detail17trampoline_kernelINS0_14default_configENS1_27scan_by_key_config_selectorIj11FixedVectorIiLj4EEEEZZNS1_16scan_by_key_implILNS1_25lookback_scan_determinismE0ELb0ES3_N6thrust23THRUST_200600_302600_NS6detail15normal_iteratorINSB_10device_ptrIjEEEENSD_INSE_IS6_EEEESI_S6_NSB_4plusIvEENSB_8equal_toIvEES6_EE10hipError_tPvRmT2_T3_T4_T5_mT6_T7_P12ihipStream_tbENKUlT_T0_E_clISt17integral_constantIbLb0EES12_IbLb1EEEEDaSY_SZ_EUlSY_E_NS1_11comp_targetILNS1_3genE10ELNS1_11target_archE1201ELNS1_3gpuE5ELNS1_3repE0EEENS1_30default_config_static_selectorELNS0_4arch9wavefront6targetE1EEEvT1_
	.globl	_ZN7rocprim17ROCPRIM_400000_NS6detail17trampoline_kernelINS0_14default_configENS1_27scan_by_key_config_selectorIj11FixedVectorIiLj4EEEEZZNS1_16scan_by_key_implILNS1_25lookback_scan_determinismE0ELb0ES3_N6thrust23THRUST_200600_302600_NS6detail15normal_iteratorINSB_10device_ptrIjEEEENSD_INSE_IS6_EEEESI_S6_NSB_4plusIvEENSB_8equal_toIvEES6_EE10hipError_tPvRmT2_T3_T4_T5_mT6_T7_P12ihipStream_tbENKUlT_T0_E_clISt17integral_constantIbLb0EES12_IbLb1EEEEDaSY_SZ_EUlSY_E_NS1_11comp_targetILNS1_3genE10ELNS1_11target_archE1201ELNS1_3gpuE5ELNS1_3repE0EEENS1_30default_config_static_selectorELNS0_4arch9wavefront6targetE1EEEvT1_
	.p2align	8
	.type	_ZN7rocprim17ROCPRIM_400000_NS6detail17trampoline_kernelINS0_14default_configENS1_27scan_by_key_config_selectorIj11FixedVectorIiLj4EEEEZZNS1_16scan_by_key_implILNS1_25lookback_scan_determinismE0ELb0ES3_N6thrust23THRUST_200600_302600_NS6detail15normal_iteratorINSB_10device_ptrIjEEEENSD_INSE_IS6_EEEESI_S6_NSB_4plusIvEENSB_8equal_toIvEES6_EE10hipError_tPvRmT2_T3_T4_T5_mT6_T7_P12ihipStream_tbENKUlT_T0_E_clISt17integral_constantIbLb0EES12_IbLb1EEEEDaSY_SZ_EUlSY_E_NS1_11comp_targetILNS1_3genE10ELNS1_11target_archE1201ELNS1_3gpuE5ELNS1_3repE0EEENS1_30default_config_static_selectorELNS0_4arch9wavefront6targetE1EEEvT1_,@function
_ZN7rocprim17ROCPRIM_400000_NS6detail17trampoline_kernelINS0_14default_configENS1_27scan_by_key_config_selectorIj11FixedVectorIiLj4EEEEZZNS1_16scan_by_key_implILNS1_25lookback_scan_determinismE0ELb0ES3_N6thrust23THRUST_200600_302600_NS6detail15normal_iteratorINSB_10device_ptrIjEEEENSD_INSE_IS6_EEEESI_S6_NSB_4plusIvEENSB_8equal_toIvEES6_EE10hipError_tPvRmT2_T3_T4_T5_mT6_T7_P12ihipStream_tbENKUlT_T0_E_clISt17integral_constantIbLb0EES12_IbLb1EEEEDaSY_SZ_EUlSY_E_NS1_11comp_targetILNS1_3genE10ELNS1_11target_archE1201ELNS1_3gpuE5ELNS1_3repE0EEENS1_30default_config_static_selectorELNS0_4arch9wavefront6targetE1EEEvT1_: ; @_ZN7rocprim17ROCPRIM_400000_NS6detail17trampoline_kernelINS0_14default_configENS1_27scan_by_key_config_selectorIj11FixedVectorIiLj4EEEEZZNS1_16scan_by_key_implILNS1_25lookback_scan_determinismE0ELb0ES3_N6thrust23THRUST_200600_302600_NS6detail15normal_iteratorINSB_10device_ptrIjEEEENSD_INSE_IS6_EEEESI_S6_NSB_4plusIvEENSB_8equal_toIvEES6_EE10hipError_tPvRmT2_T3_T4_T5_mT6_T7_P12ihipStream_tbENKUlT_T0_E_clISt17integral_constantIbLb0EES12_IbLb1EEEEDaSY_SZ_EUlSY_E_NS1_11comp_targetILNS1_3genE10ELNS1_11target_archE1201ELNS1_3gpuE5ELNS1_3repE0EEENS1_30default_config_static_selectorELNS0_4arch9wavefront6targetE1EEEvT1_
; %bb.0:
	.section	.rodata,"a",@progbits
	.p2align	6, 0x0
	.amdhsa_kernel _ZN7rocprim17ROCPRIM_400000_NS6detail17trampoline_kernelINS0_14default_configENS1_27scan_by_key_config_selectorIj11FixedVectorIiLj4EEEEZZNS1_16scan_by_key_implILNS1_25lookback_scan_determinismE0ELb0ES3_N6thrust23THRUST_200600_302600_NS6detail15normal_iteratorINSB_10device_ptrIjEEEENSD_INSE_IS6_EEEESI_S6_NSB_4plusIvEENSB_8equal_toIvEES6_EE10hipError_tPvRmT2_T3_T4_T5_mT6_T7_P12ihipStream_tbENKUlT_T0_E_clISt17integral_constantIbLb0EES12_IbLb1EEEEDaSY_SZ_EUlSY_E_NS1_11comp_targetILNS1_3genE10ELNS1_11target_archE1201ELNS1_3gpuE5ELNS1_3repE0EEENS1_30default_config_static_selectorELNS0_4arch9wavefront6targetE1EEEvT1_
		.amdhsa_group_segment_fixed_size 0
		.amdhsa_private_segment_fixed_size 0
		.amdhsa_kernarg_size 144
		.amdhsa_user_sgpr_count 2
		.amdhsa_user_sgpr_dispatch_ptr 0
		.amdhsa_user_sgpr_queue_ptr 0
		.amdhsa_user_sgpr_kernarg_segment_ptr 1
		.amdhsa_user_sgpr_dispatch_id 0
		.amdhsa_user_sgpr_kernarg_preload_length 0
		.amdhsa_user_sgpr_kernarg_preload_offset 0
		.amdhsa_user_sgpr_private_segment_size 0
		.amdhsa_uses_dynamic_stack 0
		.amdhsa_enable_private_segment 0
		.amdhsa_system_sgpr_workgroup_id_x 1
		.amdhsa_system_sgpr_workgroup_id_y 0
		.amdhsa_system_sgpr_workgroup_id_z 0
		.amdhsa_system_sgpr_workgroup_info 0
		.amdhsa_system_vgpr_workitem_id 0
		.amdhsa_next_free_vgpr 1
		.amdhsa_next_free_sgpr 0
		.amdhsa_accum_offset 4
		.amdhsa_reserve_vcc 0
		.amdhsa_float_round_mode_32 0
		.amdhsa_float_round_mode_16_64 0
		.amdhsa_float_denorm_mode_32 3
		.amdhsa_float_denorm_mode_16_64 3
		.amdhsa_dx10_clamp 1
		.amdhsa_ieee_mode 1
		.amdhsa_fp16_overflow 0
		.amdhsa_tg_split 0
		.amdhsa_exception_fp_ieee_invalid_op 0
		.amdhsa_exception_fp_denorm_src 0
		.amdhsa_exception_fp_ieee_div_zero 0
		.amdhsa_exception_fp_ieee_overflow 0
		.amdhsa_exception_fp_ieee_underflow 0
		.amdhsa_exception_fp_ieee_inexact 0
		.amdhsa_exception_int_div_zero 0
	.end_amdhsa_kernel
	.section	.text._ZN7rocprim17ROCPRIM_400000_NS6detail17trampoline_kernelINS0_14default_configENS1_27scan_by_key_config_selectorIj11FixedVectorIiLj4EEEEZZNS1_16scan_by_key_implILNS1_25lookback_scan_determinismE0ELb0ES3_N6thrust23THRUST_200600_302600_NS6detail15normal_iteratorINSB_10device_ptrIjEEEENSD_INSE_IS6_EEEESI_S6_NSB_4plusIvEENSB_8equal_toIvEES6_EE10hipError_tPvRmT2_T3_T4_T5_mT6_T7_P12ihipStream_tbENKUlT_T0_E_clISt17integral_constantIbLb0EES12_IbLb1EEEEDaSY_SZ_EUlSY_E_NS1_11comp_targetILNS1_3genE10ELNS1_11target_archE1201ELNS1_3gpuE5ELNS1_3repE0EEENS1_30default_config_static_selectorELNS0_4arch9wavefront6targetE1EEEvT1_,"axG",@progbits,_ZN7rocprim17ROCPRIM_400000_NS6detail17trampoline_kernelINS0_14default_configENS1_27scan_by_key_config_selectorIj11FixedVectorIiLj4EEEEZZNS1_16scan_by_key_implILNS1_25lookback_scan_determinismE0ELb0ES3_N6thrust23THRUST_200600_302600_NS6detail15normal_iteratorINSB_10device_ptrIjEEEENSD_INSE_IS6_EEEESI_S6_NSB_4plusIvEENSB_8equal_toIvEES6_EE10hipError_tPvRmT2_T3_T4_T5_mT6_T7_P12ihipStream_tbENKUlT_T0_E_clISt17integral_constantIbLb0EES12_IbLb1EEEEDaSY_SZ_EUlSY_E_NS1_11comp_targetILNS1_3genE10ELNS1_11target_archE1201ELNS1_3gpuE5ELNS1_3repE0EEENS1_30default_config_static_selectorELNS0_4arch9wavefront6targetE1EEEvT1_,comdat
.Lfunc_end2067:
	.size	_ZN7rocprim17ROCPRIM_400000_NS6detail17trampoline_kernelINS0_14default_configENS1_27scan_by_key_config_selectorIj11FixedVectorIiLj4EEEEZZNS1_16scan_by_key_implILNS1_25lookback_scan_determinismE0ELb0ES3_N6thrust23THRUST_200600_302600_NS6detail15normal_iteratorINSB_10device_ptrIjEEEENSD_INSE_IS6_EEEESI_S6_NSB_4plusIvEENSB_8equal_toIvEES6_EE10hipError_tPvRmT2_T3_T4_T5_mT6_T7_P12ihipStream_tbENKUlT_T0_E_clISt17integral_constantIbLb0EES12_IbLb1EEEEDaSY_SZ_EUlSY_E_NS1_11comp_targetILNS1_3genE10ELNS1_11target_archE1201ELNS1_3gpuE5ELNS1_3repE0EEENS1_30default_config_static_selectorELNS0_4arch9wavefront6targetE1EEEvT1_, .Lfunc_end2067-_ZN7rocprim17ROCPRIM_400000_NS6detail17trampoline_kernelINS0_14default_configENS1_27scan_by_key_config_selectorIj11FixedVectorIiLj4EEEEZZNS1_16scan_by_key_implILNS1_25lookback_scan_determinismE0ELb0ES3_N6thrust23THRUST_200600_302600_NS6detail15normal_iteratorINSB_10device_ptrIjEEEENSD_INSE_IS6_EEEESI_S6_NSB_4plusIvEENSB_8equal_toIvEES6_EE10hipError_tPvRmT2_T3_T4_T5_mT6_T7_P12ihipStream_tbENKUlT_T0_E_clISt17integral_constantIbLb0EES12_IbLb1EEEEDaSY_SZ_EUlSY_E_NS1_11comp_targetILNS1_3genE10ELNS1_11target_archE1201ELNS1_3gpuE5ELNS1_3repE0EEENS1_30default_config_static_selectorELNS0_4arch9wavefront6targetE1EEEvT1_
                                        ; -- End function
	.section	.AMDGPU.csdata,"",@progbits
; Kernel info:
; codeLenInByte = 0
; NumSgprs: 6
; NumVgprs: 0
; NumAgprs: 0
; TotalNumVgprs: 0
; ScratchSize: 0
; MemoryBound: 0
; FloatMode: 240
; IeeeMode: 1
; LDSByteSize: 0 bytes/workgroup (compile time only)
; SGPRBlocks: 0
; VGPRBlocks: 0
; NumSGPRsForWavesPerEU: 6
; NumVGPRsForWavesPerEU: 1
; AccumOffset: 4
; Occupancy: 8
; WaveLimiterHint : 0
; COMPUTE_PGM_RSRC2:SCRATCH_EN: 0
; COMPUTE_PGM_RSRC2:USER_SGPR: 2
; COMPUTE_PGM_RSRC2:TRAP_HANDLER: 0
; COMPUTE_PGM_RSRC2:TGID_X_EN: 1
; COMPUTE_PGM_RSRC2:TGID_Y_EN: 0
; COMPUTE_PGM_RSRC2:TGID_Z_EN: 0
; COMPUTE_PGM_RSRC2:TIDIG_COMP_CNT: 0
; COMPUTE_PGM_RSRC3_GFX90A:ACCUM_OFFSET: 0
; COMPUTE_PGM_RSRC3_GFX90A:TG_SPLIT: 0
	.section	.text._ZN7rocprim17ROCPRIM_400000_NS6detail17trampoline_kernelINS0_14default_configENS1_27scan_by_key_config_selectorIj11FixedVectorIiLj4EEEEZZNS1_16scan_by_key_implILNS1_25lookback_scan_determinismE0ELb0ES3_N6thrust23THRUST_200600_302600_NS6detail15normal_iteratorINSB_10device_ptrIjEEEENSD_INSE_IS6_EEEESI_S6_NSB_4plusIvEENSB_8equal_toIvEES6_EE10hipError_tPvRmT2_T3_T4_T5_mT6_T7_P12ihipStream_tbENKUlT_T0_E_clISt17integral_constantIbLb0EES12_IbLb1EEEEDaSY_SZ_EUlSY_E_NS1_11comp_targetILNS1_3genE5ELNS1_11target_archE942ELNS1_3gpuE9ELNS1_3repE0EEENS1_30default_config_static_selectorELNS0_4arch9wavefront6targetE1EEEvT1_,"axG",@progbits,_ZN7rocprim17ROCPRIM_400000_NS6detail17trampoline_kernelINS0_14default_configENS1_27scan_by_key_config_selectorIj11FixedVectorIiLj4EEEEZZNS1_16scan_by_key_implILNS1_25lookback_scan_determinismE0ELb0ES3_N6thrust23THRUST_200600_302600_NS6detail15normal_iteratorINSB_10device_ptrIjEEEENSD_INSE_IS6_EEEESI_S6_NSB_4plusIvEENSB_8equal_toIvEES6_EE10hipError_tPvRmT2_T3_T4_T5_mT6_T7_P12ihipStream_tbENKUlT_T0_E_clISt17integral_constantIbLb0EES12_IbLb1EEEEDaSY_SZ_EUlSY_E_NS1_11comp_targetILNS1_3genE5ELNS1_11target_archE942ELNS1_3gpuE9ELNS1_3repE0EEENS1_30default_config_static_selectorELNS0_4arch9wavefront6targetE1EEEvT1_,comdat
	.protected	_ZN7rocprim17ROCPRIM_400000_NS6detail17trampoline_kernelINS0_14default_configENS1_27scan_by_key_config_selectorIj11FixedVectorIiLj4EEEEZZNS1_16scan_by_key_implILNS1_25lookback_scan_determinismE0ELb0ES3_N6thrust23THRUST_200600_302600_NS6detail15normal_iteratorINSB_10device_ptrIjEEEENSD_INSE_IS6_EEEESI_S6_NSB_4plusIvEENSB_8equal_toIvEES6_EE10hipError_tPvRmT2_T3_T4_T5_mT6_T7_P12ihipStream_tbENKUlT_T0_E_clISt17integral_constantIbLb0EES12_IbLb1EEEEDaSY_SZ_EUlSY_E_NS1_11comp_targetILNS1_3genE5ELNS1_11target_archE942ELNS1_3gpuE9ELNS1_3repE0EEENS1_30default_config_static_selectorELNS0_4arch9wavefront6targetE1EEEvT1_ ; -- Begin function _ZN7rocprim17ROCPRIM_400000_NS6detail17trampoline_kernelINS0_14default_configENS1_27scan_by_key_config_selectorIj11FixedVectorIiLj4EEEEZZNS1_16scan_by_key_implILNS1_25lookback_scan_determinismE0ELb0ES3_N6thrust23THRUST_200600_302600_NS6detail15normal_iteratorINSB_10device_ptrIjEEEENSD_INSE_IS6_EEEESI_S6_NSB_4plusIvEENSB_8equal_toIvEES6_EE10hipError_tPvRmT2_T3_T4_T5_mT6_T7_P12ihipStream_tbENKUlT_T0_E_clISt17integral_constantIbLb0EES12_IbLb1EEEEDaSY_SZ_EUlSY_E_NS1_11comp_targetILNS1_3genE5ELNS1_11target_archE942ELNS1_3gpuE9ELNS1_3repE0EEENS1_30default_config_static_selectorELNS0_4arch9wavefront6targetE1EEEvT1_
	.globl	_ZN7rocprim17ROCPRIM_400000_NS6detail17trampoline_kernelINS0_14default_configENS1_27scan_by_key_config_selectorIj11FixedVectorIiLj4EEEEZZNS1_16scan_by_key_implILNS1_25lookback_scan_determinismE0ELb0ES3_N6thrust23THRUST_200600_302600_NS6detail15normal_iteratorINSB_10device_ptrIjEEEENSD_INSE_IS6_EEEESI_S6_NSB_4plusIvEENSB_8equal_toIvEES6_EE10hipError_tPvRmT2_T3_T4_T5_mT6_T7_P12ihipStream_tbENKUlT_T0_E_clISt17integral_constantIbLb0EES12_IbLb1EEEEDaSY_SZ_EUlSY_E_NS1_11comp_targetILNS1_3genE5ELNS1_11target_archE942ELNS1_3gpuE9ELNS1_3repE0EEENS1_30default_config_static_selectorELNS0_4arch9wavefront6targetE1EEEvT1_
	.p2align	8
	.type	_ZN7rocprim17ROCPRIM_400000_NS6detail17trampoline_kernelINS0_14default_configENS1_27scan_by_key_config_selectorIj11FixedVectorIiLj4EEEEZZNS1_16scan_by_key_implILNS1_25lookback_scan_determinismE0ELb0ES3_N6thrust23THRUST_200600_302600_NS6detail15normal_iteratorINSB_10device_ptrIjEEEENSD_INSE_IS6_EEEESI_S6_NSB_4plusIvEENSB_8equal_toIvEES6_EE10hipError_tPvRmT2_T3_T4_T5_mT6_T7_P12ihipStream_tbENKUlT_T0_E_clISt17integral_constantIbLb0EES12_IbLb1EEEEDaSY_SZ_EUlSY_E_NS1_11comp_targetILNS1_3genE5ELNS1_11target_archE942ELNS1_3gpuE9ELNS1_3repE0EEENS1_30default_config_static_selectorELNS0_4arch9wavefront6targetE1EEEvT1_,@function
_ZN7rocprim17ROCPRIM_400000_NS6detail17trampoline_kernelINS0_14default_configENS1_27scan_by_key_config_selectorIj11FixedVectorIiLj4EEEEZZNS1_16scan_by_key_implILNS1_25lookback_scan_determinismE0ELb0ES3_N6thrust23THRUST_200600_302600_NS6detail15normal_iteratorINSB_10device_ptrIjEEEENSD_INSE_IS6_EEEESI_S6_NSB_4plusIvEENSB_8equal_toIvEES6_EE10hipError_tPvRmT2_T3_T4_T5_mT6_T7_P12ihipStream_tbENKUlT_T0_E_clISt17integral_constantIbLb0EES12_IbLb1EEEEDaSY_SZ_EUlSY_E_NS1_11comp_targetILNS1_3genE5ELNS1_11target_archE942ELNS1_3gpuE9ELNS1_3repE0EEENS1_30default_config_static_selectorELNS0_4arch9wavefront6targetE1EEEvT1_: ; @_ZN7rocprim17ROCPRIM_400000_NS6detail17trampoline_kernelINS0_14default_configENS1_27scan_by_key_config_selectorIj11FixedVectorIiLj4EEEEZZNS1_16scan_by_key_implILNS1_25lookback_scan_determinismE0ELb0ES3_N6thrust23THRUST_200600_302600_NS6detail15normal_iteratorINSB_10device_ptrIjEEEENSD_INSE_IS6_EEEESI_S6_NSB_4plusIvEENSB_8equal_toIvEES6_EE10hipError_tPvRmT2_T3_T4_T5_mT6_T7_P12ihipStream_tbENKUlT_T0_E_clISt17integral_constantIbLb0EES12_IbLb1EEEEDaSY_SZ_EUlSY_E_NS1_11comp_targetILNS1_3genE5ELNS1_11target_archE942ELNS1_3gpuE9ELNS1_3repE0EEENS1_30default_config_static_selectorELNS0_4arch9wavefront6targetE1EEEvT1_
; %bb.0:
	s_load_dwordx8 s[56:63], s[0:1], 0x38
	s_load_dwordx2 s[16:17], s[0:1], 0x58
	v_cmp_ne_u32_e64 s[4:5], 0, v0
	v_cmp_eq_u32_e64 s[74:75], 0, v0
	s_and_saveexec_b64 s[2:3], s[74:75]
	s_cbranch_execz .LBB2068_4
; %bb.1:
	s_mov_b64 s[8:9], exec
	v_mbcnt_lo_u32_b32 v1, s8, 0
	v_mbcnt_hi_u32_b32 v1, s9, v1
	v_cmp_eq_u32_e32 vcc, 0, v1
                                        ; implicit-def: $vgpr2
	s_and_saveexec_b64 s[6:7], vcc
	s_cbranch_execz .LBB2068_3
; %bb.2:
	s_load_dwordx2 s[10:11], s[0:1], 0x88
	s_bcnt1_i32_b64 s8, s[8:9]
	v_mov_b32_e32 v2, 0
	v_mov_b32_e32 v3, s8
	s_waitcnt lgkmcnt(0)
	global_atomic_add v2, v2, v3, s[10:11] sc0
.LBB2068_3:
	s_or_b64 exec, exec, s[6:7]
	s_waitcnt vmcnt(0)
	v_readfirstlane_b32 s6, v2
	v_mov_b32_e32 v2, 0
	s_nop 0
	v_add_u32_e32 v1, s6, v1
	ds_write_b32 v2, v1
.LBB2068_4:
	s_or_b64 exec, exec, s[2:3]
	s_load_dwordx8 s[8:15], s[0:1], 0x0
                                        ; implicit-def: $vgpr200 : SGPR spill to VGPR lane
	v_mov_b32_e32 v2, 0
                                        ; kill: killed $sgpr0_sgpr1
	v_mov_b32_e32 v3, v2
	v_mov_b32_e32 v4, v2
	v_mov_b32_e32 v5, v2
	s_waitcnt lgkmcnt(0)
	v_writelane_b32 v200, s8, 0
	s_nop 1
	v_writelane_b32 v200, s9, 1
	v_writelane_b32 v200, s10, 2
	;; [unrolled: 1-line block ×7, first 2 shown]
	s_load_dword s3, s[0:1], 0x60
	s_load_dwordx8 s[8:15], s[0:1], 0x68
	s_waitcnt lgkmcnt(0)
	s_barrier
	ds_read_b32 v1, v2
	v_writelane_b32 v200, s8, 8
	s_mov_b32 s0, 0
	s_waitcnt lgkmcnt(0)
	v_writelane_b32 v200, s9, 9
	v_writelane_b32 v200, s10, 10
	;; [unrolled: 1-line block ×6, first 2 shown]
	v_readfirstlane_b32 s2, v1
	v_writelane_b32 v200, s15, 15
	s_barrier
	s_barrier
	scratch_store_dword off, v2, off offset:496
	scratch_store_dwordx4 off, v[2:5], off offset:480
.LBB2068_5:                             ; =>This Inner Loop Header: Depth=1
	s_add_i32 s1, s0, 0x1e0
	s_add_i32 s0, s0, 8
	s_cmp_lg_u32 s0, 16
	scratch_store_dwordx2 off, v[2:3], s1
	s_cbranch_scc1 .LBB2068_5
; %bb.6:
	v_mov_b32_e32 v2, 0
	s_mov_b32 s0, 20
	s_add_i32 s33, 0x1e0, 20
	v_mov_b32_e32 v3, v2
	v_mov_b32_e32 v4, v2
	v_mov_b32_e32 v5, v2
	scratch_store_byte off, v2, off offset:496
	scratch_store_dword off, v2, off offset:516
	scratch_store_dwordx4 off, v[2:5], off offset:500
.LBB2068_7:                             ; =>This Inner Loop Header: Depth=1
	s_add_i32 s1, s0, 0x1e0
	s_add_i32 s0, s0, 8
	s_cmp_lg_u32 s0, 36
	scratch_store_dwordx2 off, v[2:3], s1
	s_cbranch_scc1 .LBB2068_7
; %bb.8:
	v_mov_b32_e32 v2, 0
	s_mov_b32 s0, 40
	s_add_i32 s78, 0x1e0, 40
	v_mov_b32_e32 v3, v2
	v_mov_b32_e32 v4, v2
	v_mov_b32_e32 v5, v2
	scratch_store_byte off, v2, off offset:516
	scratch_store_dword off, v2, off offset:536
	scratch_store_dwordx4 off, v[2:5], off offset:520
.LBB2068_9:                             ; =>This Inner Loop Header: Depth=1
	s_add_i32 s1, s0, 0x1e0
	s_add_i32 s0, s0, 8
	s_cmp_lg_u32 s0, 56
	scratch_store_dwordx2 off, v[2:3], s1
	s_cbranch_scc1 .LBB2068_9
; %bb.10:
	v_mov_b32_e32 v2, 0
	s_mov_b32 s0, 60
	s_add_i32 s86, 0x1e0, 60
	v_mov_b32_e32 v3, v2
	v_mov_b32_e32 v4, v2
	v_mov_b32_e32 v5, v2
	scratch_store_byte off, v2, off offset:536
	scratch_store_dword off, v2, off offset:556
	scratch_store_dwordx4 off, v[2:5], off offset:540
.LBB2068_11:                            ; =>This Inner Loop Header: Depth=1
	s_add_i32 s1, s0, 0x1e0
	s_add_i32 s0, s0, 8
	s_cmpk_lg_i32 s0, 0x4c
	scratch_store_dwordx2 off, v[2:3], s1
	s_cbranch_scc1 .LBB2068_11
; %bb.12:
	v_mov_b32_e32 v2, 0
	s_movk_i32 s87, 0x1e0
	s_movk_i32 s0, 0x50
	s_addk_i32 s87, 0x50
	v_mov_b32_e32 v3, v2
	v_mov_b32_e32 v4, v2
	v_mov_b32_e32 v5, v2
	scratch_store_byte off, v2, off offset:556
	scratch_store_dword off, v2, off offset:576
	scratch_store_dwordx4 off, v[2:5], off offset:560
.LBB2068_13:                            ; =>This Inner Loop Header: Depth=1
	s_add_i32 s1, s0, 0x1e0
	s_add_i32 s0, s0, 8
	s_cmpk_lg_i32 s0, 0x60
	scratch_store_dwordx2 off, v[2:3], s1
	s_cbranch_scc1 .LBB2068_13
; %bb.14:
	v_mov_b32_e32 v2, 0
	s_movk_i32 s88, 0x1e0
	s_movk_i32 s0, 0x64
	s_add_i32 s79, s88, 0x64
	v_mov_b32_e32 v3, v2
	v_mov_b32_e32 v4, v2
	v_mov_b32_e32 v5, v2
	scratch_store_byte off, v2, off offset:576
	scratch_store_dword off, v2, off offset:596
	scratch_store_dwordx4 off, v[2:5], off offset:580
.LBB2068_15:                            ; =>This Inner Loop Header: Depth=1
	s_add_i32 s1, s0, 0x1e0
	s_add_i32 s0, s0, 8
	s_cmpk_lg_i32 s0, 0x74
	scratch_store_dwordx2 off, v[2:3], s1
	s_cbranch_scc1 .LBB2068_15
; %bb.16:
	v_mov_b32_e32 v2, 0
	s_movk_i32 s89, 0x1e0
	s_movk_i32 s0, 0x78
	s_add_i32 s64, s89, 0x78
	;; [unrolled: 17-line block ×7, first 2 shown]
	v_mov_b32_e32 v3, v2
	v_mov_b32_e32 v4, v2
	;; [unrolled: 1-line block ×3, first 2 shown]
	s_mov_b64 s[92:93], s[4:5]
	scratch_store_byte off, v2, off offset:696
	scratch_store_dword off, v2, off offset:716
	scratch_store_dwordx4 off, v[2:5], off offset:700
.LBB2068_27:                            ; =>This Inner Loop Header: Depth=1
	s_add_i32 s1, s0, 0x1e0
	s_add_i32 s0, s0, 8
	s_cmpk_lg_i32 s0, 0xec
	scratch_store_dwordx2 off, v[2:3], s1
	s_cbranch_scc1 .LBB2068_27
; %bb.28:
	v_mov_b32_e32 v2, 0
	s_movk_i32 s95, 0x1e0
	s_movk_i32 s0, 0xf0
	s_addk_i32 s95, 0xf0
	v_mov_b32_e32 v3, v2
	v_mov_b32_e32 v4, v2
	v_mov_b32_e32 v5, v2
	scratch_store_byte off, v2, off offset:716
	scratch_store_dword off, v2, off offset:736
	scratch_store_dwordx4 off, v[2:5], off offset:720
.LBB2068_29:                            ; =>This Inner Loop Header: Depth=1
	s_add_i32 s1, s0, 0x1e0
	s_add_i32 s0, s0, 8
	s_cmpk_lg_i32 s0, 0x100
	scratch_store_dwordx2 off, v[2:3], s1
	s_cbranch_scc1 .LBB2068_29
; %bb.30:
	v_mov_b32_e32 v2, 0
	s_movk_i32 s96, 0x1e0
	s_movk_i32 s0, 0x104
	s_addk_i32 s96, 0x104
	v_mov_b32_e32 v3, v2
	v_mov_b32_e32 v4, v2
	v_mov_b32_e32 v5, v2
	;; [unrolled: 17-line block ×11, first 2 shown]
	scratch_store_byte off, v2, off offset:916
	scratch_store_dword off, v2, off offset:936
	scratch_store_dwordx4 off, v[2:5], off offset:920
.LBB2068_49:                            ; =>This Inner Loop Header: Depth=1
	s_add_i32 s1, s0, 0x1e0
	s_add_i32 s0, s0, 8
	s_cmpk_lg_i32 s0, 0x1c8
	scratch_store_dwordx2 off, v[2:3], s1
	s_cbranch_scc1 .LBB2068_49
; %bb.50:
	v_mov_b32_e32 v2, 0
	s_mov_b32 s0, 0
	v_mov_b32_e32 v3, v2
	scratch_store_byte off, v2, off offset:936
.LBB2068_51:                            ; =>This Inner Loop Header: Depth=1
	s_add_i32 s1, s0, 0x50
	s_add_i32 s0, s0, 8
	s_cmp_lg_u32 s0, 16
	scratch_store_dwordx2 off, v[2:3], s1
	s_cbranch_scc1 .LBB2068_51
; %bb.52:
	v_mov_b32_e32 v2, 0
	s_mov_b32 s0, 16
	v_mov_b32_e32 v3, v2
.LBB2068_53:                            ; =>This Inner Loop Header: Depth=1
	s_add_i32 s1, s0, 0x50
	s_add_i32 s0, s0, 8
	s_cmp_lg_u32 s0, 32
	scratch_store_dwordx2 off, v[2:3], s1
	s_cbranch_scc1 .LBB2068_53
; %bb.54:
	v_mov_b32_e32 v2, 0
	s_mov_b32 s0, 32
	v_mov_b32_e32 v3, v2
.LBB2068_55:                            ; =>This Inner Loop Header: Depth=1
	s_add_i32 s1, s0, 0x50
	s_add_i32 s0, s0, 8
	s_cmp_lg_u32 s0, 48
	scratch_store_dwordx2 off, v[2:3], s1
	s_cbranch_scc1 .LBB2068_55
; %bb.56:
	v_mov_b32_e32 v2, 0
	s_mov_b32 s0, 48
	v_mov_b32_e32 v3, v2
.LBB2068_57:                            ; =>This Inner Loop Header: Depth=1
	s_add_i32 s1, s0, 0x50
	s_add_i32 s0, s0, 8
	s_cmp_lg_u32 s0, 64
	scratch_store_dwordx2 off, v[2:3], s1
	s_cbranch_scc1 .LBB2068_57
; %bb.58:
	v_mov_b32_e32 v2, 0
	s_mov_b32 s0, 64
	v_mov_b32_e32 v3, v2
.LBB2068_59:                            ; =>This Inner Loop Header: Depth=1
	s_add_i32 s1, s0, 0x50
	s_add_i32 s0, s0, 8
	s_cmpk_lg_i32 s0, 0x50
	scratch_store_dwordx2 off, v[2:3], s1
	s_cbranch_scc1 .LBB2068_59
; %bb.60:
	v_mov_b32_e32 v2, 0
	s_movk_i32 s0, 0x50
	v_mov_b32_e32 v3, v2
.LBB2068_61:                            ; =>This Inner Loop Header: Depth=1
	s_add_i32 s1, s0, 0x50
	s_add_i32 s0, s0, 8
	s_cmpk_lg_i32 s0, 0x60
	scratch_store_dwordx2 off, v[2:3], s1
	s_cbranch_scc1 .LBB2068_61
; %bb.62:
	v_mov_b32_e32 v2, 0
	s_movk_i32 s0, 0x60
	v_mov_b32_e32 v3, v2
	;; [unrolled: 10-line block ×17, first 2 shown]
.LBB2068_93:                            ; =>This Inner Loop Header: Depth=1
	s_add_i32 s1, s0, 0x50
	s_add_i32 s0, s0, 8
	s_cmpk_lg_i32 s0, 0x160
	scratch_store_dwordx2 off, v[2:3], s1
	s_cbranch_scc1 .LBB2068_93
; %bb.94:
	v_mov_b32_e32 v2, 0
	v_writelane_b32 v200, s74, 16
	s_movk_i32 s0, 0x160
	v_mov_b32_e32 v3, v2
	v_writelane_b32 v200, s75, 17
.LBB2068_95:                            ; =>This Inner Loop Header: Depth=1
	s_add_i32 s1, s0, 0x50
	s_add_i32 s0, s0, 8
	s_cmpk_lg_i32 s0, 0x170
	scratch_store_dwordx2 off, v[2:3], s1
	s_cbranch_scc1 .LBB2068_95
; %bb.96:
	v_readlane_b32 s8, v200, 0
	v_readlane_b32 s10, v200, 2
	;; [unrolled: 1-line block ×3, first 2 shown]
	s_lshl_b64 s[0:1], s[10:11], 2
	v_readlane_b32 s9, v200, 1
	s_add_u32 s8, s8, s0
	v_readlane_b32 s12, v200, 4
	v_readlane_b32 s13, v200, 5
	v_readlane_b32 s14, v200, 6
	v_readlane_b32 s15, v200, 7
	s_addc_u32 s9, s9, s1
	s_mul_i32 s0, s17, s3
	s_mul_hi_u32 s1, s16, s3
	v_writelane_b32 v200, s16, 18
	s_lshl_b64 s[88:89], s[10:11], 4
	s_add_u32 s12, s12, s88
	v_writelane_b32 v200, s17, 19
	s_mul_i32 s3, s16, s3
	v_readlane_b32 s16, v200, 8
	s_addc_u32 s13, s13, s89
	s_add_i32 s14, s1, s0
	v_readlane_b32 s20, v200, 12
	v_readlane_b32 s21, v200, 13
	s_cmp_lg_u64 s[20:21], 0
	s_mul_i32 s0, s2, 0xb80
	s_mov_b32 s1, 0
	s_cselect_b64 s[74:75], -1, 0
	s_lshl_b64 s[6:7], s[0:1], 2
	s_add_u32 s76, s8, s6
	s_addc_u32 s77, s9, s7
	s_lshl_b64 s[90:91], s[0:1], 4
	s_add_u32 s68, s12, s90
	s_addc_u32 s69, s13, s91
	s_add_u32 s84, s3, s2
	s_addc_u32 s85, s14, 0
	v_readlane_b32 s17, v200, 9
	s_add_u32 s0, s16, -1
	v_mov_b32_e32 v2, 0x50
	s_addc_u32 s1, s17, -1
	v_add_u32_e32 v1, 0x160, v2
	v_add_u32_e32 v26, 0x150, v2
	;; [unrolled: 1-line block ×22, first 2 shown]
	v_mov_b64_e32 v[2:3], s[0:1]
	v_cmp_ge_u64_e64 s[8:9], s[84:85], v[2:3]
	v_readlane_b32 s18, v200, 10
	v_readlane_b32 s19, v200, 11
	;; [unrolled: 1-line block ×4, first 2 shown]
	v_writelane_b32 v200, s8, 20
	s_mov_b64 s[10:11], 0
	s_mov_b64 s[6:7], -1
	v_writelane_b32 v200, s9, 21
	s_and_b64 vcc, exec, s[8:9]
	s_mulk_i32 s0, 0xf480
	v_writelane_b32 v200, s0, 22
                                        ; implicit-def: $sgpr0_sgpr1
	s_cbranch_vccnz .LBB2068_689
; %bb.97:
	s_and_b64 vcc, exec, s[6:7]
	s_cbranch_vccnz .LBB2068_810
.LBB2068_98:
	s_and_saveexec_b64 s[6:7], s[10:11]
	s_cbranch_execz .LBB2068_100
.LBB2068_99:
	scratch_load_dwordx4 v[2:5], v1, off
	v_cndmask_b32_e64 v1, 0, 1, s[0:1]
	s_waitcnt vmcnt(0)
	scratch_store_dwordx4 off, v[2:5], s71
	scratch_store_byte off, v1, off offset:936
.LBB2068_100:
	s_or_b64 exec, exec, s[6:7]
	v_readlane_b32 s16, v200, 16
	s_cmp_lg_u32 s2, 0
	s_mov_b32 s0, 0
	v_readlane_b32 s17, v200, 17
	s_waitcnt vmcnt(63) expcnt(7) lgkmcnt(15)
	s_barrier
	s_cbranch_scc0 .LBB2068_818
; %bb.101:
	v_mov_b32_e32 v2, 0
	v_mov_b32_e32 v3, v2
	scratch_store_dword off, v2, off offset:96
.LBB2068_102:                           ; =>This Inner Loop Header: Depth=1
	s_add_i32 s1, s0, 0x50
	s_add_i32 s0, s0, 8
	s_cmp_lg_u32 s0, 16
	scratch_store_dwordx2 off, v[2:3], s1
	s_cbranch_scc1 .LBB2068_102
; %bb.103:
	scratch_load_dwordx4 v[2:5], off, off offset:480
	scratch_load_ubyte v1, off, off offset:496
	scratch_load_ubyte v6, off, off offset:516
	s_waitcnt vmcnt(2)
	scratch_store_dwordx4 off, v[2:5], off offset:80
	s_waitcnt vmcnt(2)
	scratch_store_byte off, v1, off offset:96
	s_waitcnt vmcnt(2)
	v_cmp_ne_u16_e32 vcc, 0, v6
                                        ; implicit-def: $vgpr4_vgpr5
	s_and_saveexec_b64 s[0:1], vcc
	s_xor_b64 s[0:1], exec, s[0:1]
	s_cbranch_execz .LBB2068_105
; %bb.104:
	scratch_load_dwordx4 v[2:5], off, off offset:500
.LBB2068_105:
	s_andn2_saveexec_b64 s[0:1], s[0:1]
	s_cbranch_execz .LBB2068_111
; %bb.106:
	s_waitcnt vmcnt(0)
	v_mov_b32_e32 v2, 0
	s_mov_b32 s3, 0
	v_mov_b32_e32 v3, v2
.LBB2068_107:                           ; =>This Inner Loop Header: Depth=1
	s_add_i32 s6, s3, 16
	s_add_i32 s3, s3, 8
	s_cmp_lg_u32 s3, 16
	scratch_store_dwordx2 off, v[2:3], s6
	s_cbranch_scc1 .LBB2068_107
; %bb.108:
	s_mov_b32 s3, 0
.LBB2068_109:                           ; =>This Inner Loop Header: Depth=1
	s_add_i32 s6, s3, 0x50
	s_add_i32 s7, s33, s3
	scratch_load_dwordx2 v[2:3], off, s6
	scratch_load_dwordx2 v[4:5], off, s7
	s_add_i32 s6, s3, 16
	s_add_i32 s3, s3, 8
	s_cmp_lg_u32 s3, 16
	s_waitcnt vmcnt(0)
	v_add_u32_e32 v3, v5, v3
	v_add_u32_e32 v2, v4, v2
	scratch_store_dwordx2 off, v[2:3], s6
	s_cbranch_scc1 .LBB2068_109
; %bb.110:
	scratch_load_dwordx4 v[2:5], off, off offset:16
.LBB2068_111:
	s_or_b64 exec, exec, s[0:1]
	scratch_load_ubyte v7, off, off offset:536
	s_waitcnt vmcnt(0)
	v_cmp_ne_u16_e32 vcc, 0, v7
	scratch_store_dwordx4 off, v[2:5], off offset:80
                                        ; implicit-def: $vgpr4_vgpr5
	s_and_saveexec_b64 s[0:1], vcc
	s_xor_b64 s[0:1], exec, s[0:1]
	s_cbranch_execz .LBB2068_113
; %bb.112:
	scratch_load_dwordx4 v[2:5], off, off offset:520
.LBB2068_113:
	s_andn2_saveexec_b64 s[0:1], s[0:1]
	s_cbranch_execz .LBB2068_119
; %bb.114:
	s_waitcnt vmcnt(0)
	v_mov_b32_e32 v2, 0
	s_mov_b32 s3, 0
	v_mov_b32_e32 v3, v2
.LBB2068_115:                           ; =>This Inner Loop Header: Depth=1
	s_add_i32 s6, s3, 16
	s_add_i32 s3, s3, 8
	s_cmp_lg_u32 s3, 16
	scratch_store_dwordx2 off, v[2:3], s6
	s_cbranch_scc1 .LBB2068_115
; %bb.116:
	s_mov_b32 s3, 0
.LBB2068_117:                           ; =>This Inner Loop Header: Depth=1
	s_add_i32 s6, s3, 0x50
	s_add_i32 s7, s78, s3
	scratch_load_dwordx2 v[2:3], off, s6
	scratch_load_dwordx2 v[4:5], off, s7
	s_add_i32 s6, s3, 16
	s_add_i32 s3, s3, 8
	s_cmp_lg_u32 s3, 16
	s_waitcnt vmcnt(0)
	v_add_u32_e32 v3, v5, v3
	v_add_u32_e32 v2, v4, v2
	scratch_store_dwordx2 off, v[2:3], s6
	s_cbranch_scc1 .LBB2068_117
; %bb.118:
	scratch_load_dwordx4 v[2:5], off, off offset:16
.LBB2068_119:
	s_or_b64 exec, exec, s[0:1]
	scratch_load_ubyte v8, off, off offset:556
	s_waitcnt vmcnt(0)
	v_cmp_ne_u16_e32 vcc, 0, v8
	scratch_store_dwordx4 off, v[2:5], off offset:80
	;; [unrolled: 43-line block ×21, first 2 shown]
                                        ; implicit-def: $vgpr4_vgpr5
	s_and_saveexec_b64 s[0:1], vcc
	s_xor_b64 s[0:1], exec, s[0:1]
	s_cbranch_execz .LBB2068_273
; %bb.272:
	scratch_load_dwordx4 v[2:5], off, off offset:920
.LBB2068_273:
	s_andn2_saveexec_b64 s[0:1], s[0:1]
	s_cbranch_execz .LBB2068_279
; %bb.274:
	s_waitcnt vmcnt(0)
	v_mov_b32_e32 v2, 0
	s_mov_b32 s3, 0
	v_mov_b32_e32 v3, v2
.LBB2068_275:                           ; =>This Inner Loop Header: Depth=1
	s_add_i32 s6, s3, 16
	s_add_i32 s3, s3, 8
	s_cmp_lg_u32 s3, 16
	scratch_store_dwordx2 off, v[2:3], s6
	s_cbranch_scc1 .LBB2068_275
; %bb.276:
	s_mov_b32 s3, 0
.LBB2068_277:                           ; =>This Inner Loop Header: Depth=1
	s_add_i32 s6, s3, 0x50
	s_add_i32 s7, s71, s3
	scratch_load_dwordx2 v[2:3], off, s6
	scratch_load_dwordx2 v[4:5], off, s7
	s_add_i32 s6, s3, 16
	s_add_i32 s3, s3, 8
	s_cmp_lg_u32 s3, 16
	s_waitcnt vmcnt(0)
	v_add_u32_e32 v3, v5, v3
	v_add_u32_e32 v2, v4, v2
	scratch_store_dwordx2 off, v[2:3], s6
	s_cbranch_scc1 .LBB2068_277
; %bb.278:
	scratch_load_dwordx4 v[2:5], off, off offset:16
.LBB2068_279:
	s_or_b64 exec, exec, s[0:1]
	scratch_load_ushort v28, off, off offset:97
	scratch_load_sbyte v29, off, off offset:99
	v_or_b32_e32 v26, v27, v26
	v_or_b32_e32 v25, v26, v25
	;; [unrolled: 1-line block ×22, first 2 shown]
	v_lshrrev_b32_e32 v27, 5, v0
	v_and_b32_e32 v12, 1, v1
	v_add_u32_e32 v26, v27, v0
	v_mul_u32_u24_e32 v25, 20, v26
	v_cmp_gt_u32_e32 vcc, 64, v0
	s_waitcnt vmcnt(2)
	scratch_store_dwordx4 off, v[2:5], off offset:448
	ds_write2_b32 v25, v2, v3 offset1:1
	ds_write2_b32 v25, v4, v5 offset0:2 offset1:3
	ds_write_b8 v25, v12 offset:16
	s_waitcnt vmcnt(2)
	v_lshrrev_b32_e32 v1, 8, v28
	v_lshlrev_b16_e32 v6, 8, v28
	s_waitcnt vmcnt(1)
	v_lshlrev_b16_e32 v7, 8, v29
	v_or_b32_e32 v6, v12, v6
	v_or_b32_sdwa v1, v1, v7 dst_sel:WORD_1 dst_unused:UNUSED_PAD src0_sel:BYTE_0 src1_sel:DWORD
	s_nop 0
	v_or_b32_sdwa v1, v6, v1 dst_sel:DWORD dst_unused:UNUSED_PAD src0_sel:WORD_0 src1_sel:DWORD
	scratch_store_dword off, v1, off offset:464
	s_waitcnt lgkmcnt(0)
	s_barrier
	s_and_saveexec_b64 s[8:9], vcc
	s_cbranch_execz .LBB2068_355
; %bb.280:
	v_lshrrev_b32_e32 v1, 4, v0
	v_lshl_add_u32 v1, v0, 1, v1
	v_mul_u32_u24_e32 v13, 20, v1
	ds_read_u8 v10, v13 offset:36
	ds_read_b32 v11, v13 offset:16
	ds_read2_b32 v[8:9], v13 offset0:2 offset1:3
	ds_read2_b32 v[6:7], v13 offset1:1
	v_mad_u32_u24 v1, v1, 20, 20
	s_waitcnt lgkmcnt(3)
	v_cmp_ne_u16_e64 s[0:1], 0, v10
	s_waitcnt lgkmcnt(2)
	scratch_store_dword off, v11, off offset:32
	s_waitcnt lgkmcnt(0)
	scratch_store_dwordx4 off, v[6:9], off offset:16
                                        ; implicit-def: $vgpr6_vgpr7
	s_and_saveexec_b64 s[6:7], s[0:1]
	s_xor_b64 s[0:1], exec, s[6:7]
	s_cbranch_execz .LBB2068_282
; %bb.281:
	ds_read2_b32 v[6:7], v1 offset1:1
	ds_read2_b32 v[8:9], v1 offset0:2 offset1:3
.LBB2068_282:
	s_andn2_saveexec_b64 s[0:1], s[0:1]
	s_cbranch_execz .LBB2068_288
; %bb.283:
	s_waitcnt lgkmcnt(1)
	v_mov_b32_e32 v6, 0
	s_mov_b32 s3, 0
	v_mov_b32_e32 v7, v6
.LBB2068_284:                           ; =>This Inner Loop Header: Depth=1
	s_add_i32 s6, s3, 0x50
	s_add_i32 s3, s3, 8
	s_cmp_lg_u32 s3, 16
	scratch_store_dwordx2 off, v[6:7], s6
	s_cbranch_scc1 .LBB2068_284
; %bb.285:
	s_mov_b32 s3, 0
.LBB2068_286:                           ; =>This Inner Loop Header: Depth=1
	s_add_i32 s6, s3, 16
	scratch_load_dwordx2 v[6:7], off, s6
	s_waitcnt lgkmcnt(0)
	v_add_u32_e32 v8, s3, v1
	ds_read2_b32 v[8:9], v8 offset1:1
	s_add_i32 s6, s3, 0x50
	s_add_i32 s3, s3, 8
	s_cmp_lg_u32 s3, 16
	s_waitcnt vmcnt(0) lgkmcnt(0)
	v_add_u32_e32 v7, v9, v7
	v_add_u32_e32 v6, v8, v6
	scratch_store_dwordx2 off, v[6:7], s6
	s_cbranch_scc1 .LBB2068_286
; %bb.287:
	scratch_load_dwordx4 v[6:9], off, off offset:80
.LBB2068_288:
	s_or_b64 exec, exec, s[0:1]
	scratch_load_ubyte v11, off, off offset:32
	s_waitcnt vmcnt(1) lgkmcnt(1)
	v_mov_b32_dpp v16, v6 row_shr:1 row_mask:0xf bank_mask:0xf
	v_mov_b32_dpp v17, v7 row_shr:1 row_mask:0xf bank_mask:0xf
	s_waitcnt lgkmcnt(0)
	v_mov_b32_dpp v18, v8 row_shr:1 row_mask:0xf bank_mask:0xf
	v_mov_b32_dpp v19, v9 row_shr:1 row_mask:0xf bank_mask:0xf
	scratch_store_dwordx4 off, v[16:19], off offset:80
	scratch_store_dwordx4 off, v[6:9], off offset:16
	s_waitcnt vmcnt(2)
	v_or_b32_e32 v10, v10, v11
	v_and_b32_e32 v10, 1, v10
	scratch_store_byte off, v10, off offset:32
	scratch_load_dword v15, off, off offset:32
	v_mbcnt_lo_u32_b32 v10, -1, 0
	v_mbcnt_hi_u32_b32 v14, -1, v10
	v_and_b32_e32 v16, 15, v14
	v_cmp_ne_u32_e64 s[0:1], 0, v16
	s_waitcnt vmcnt(0)
	v_mov_b32_dpp v17, v15 row_shr:1 row_mask:0xf bank_mask:0xf
	scratch_store_dword off, v17, off offset:96
	s_and_saveexec_b64 s[6:7], s[0:1]
	s_cbranch_execz .LBB2068_296
; %bb.289:
	v_mov_b32_e32 v10, 0
	v_cmp_eq_u16_sdwa s[10:11], v15, v10 src0_sel:BYTE_0 src1_sel:DWORD
	s_and_saveexec_b64 s[0:1], s[10:11]
	s_cbranch_execz .LBB2068_295
; %bb.290:
	s_mov_b32 s3, 0
	v_mov_b32_e32 v11, v10
.LBB2068_291:                           ; =>This Inner Loop Header: Depth=1
	s_add_i32 s10, s3, 36
	s_add_i32 s3, s3, 8
	s_cmp_lg_u32 s3, 16
	scratch_store_dwordx2 off, v[10:11], s10
	s_cbranch_scc1 .LBB2068_291
; %bb.292:
	s_mov_b32 s3, 0
.LBB2068_293:                           ; =>This Inner Loop Header: Depth=1
	s_add_i32 s10, s3, 0x50
	s_add_i32 s11, s3, 16
	scratch_load_dwordx2 v[6:7], off, s10
	scratch_load_dwordx2 v[8:9], off, s11
	s_add_i32 s10, s3, 36
	s_add_i32 s3, s3, 8
	s_cmp_lg_u32 s3, 16
	s_waitcnt vmcnt(0)
	v_add_u32_e32 v7, v9, v7
	v_add_u32_e32 v6, v8, v6
	scratch_store_dwordx2 off, v[6:7], s10
	s_cbranch_scc1 .LBB2068_293
; %bb.294:
	scratch_load_dwordx4 v[6:9], off, off offset:36
.LBB2068_295:
	s_or_b64 exec, exec, s[0:1]
	v_or_b32_e32 v10, v17, v15
	v_and_b32_e32 v10, 1, v10
	scratch_store_byte off, v10, off offset:32
	scratch_load_dword v15, off, off offset:32
	s_waitcnt vmcnt(2)
	scratch_store_dwordx4 off, v[6:9], off offset:16
.LBB2068_296:
	s_or_b64 exec, exec, s[6:7]
	v_mov_b32_dpp v18, v6 row_shr:2 row_mask:0xf bank_mask:0xf
	v_mov_b32_dpp v19, v7 row_shr:2 row_mask:0xf bank_mask:0xf
	v_mov_b32_dpp v20, v8 row_shr:2 row_mask:0xf bank_mask:0xf
	v_mov_b32_dpp v21, v9 row_shr:2 row_mask:0xf bank_mask:0xf
	s_waitcnt vmcnt(1)
	v_mov_b32_dpp v17, v15 row_shr:2 row_mask:0xf bank_mask:0xf
	v_cmp_lt_u32_e64 s[0:1], 1, v16
	scratch_store_dwordx4 off, v[18:21], off offset:80
	scratch_store_dword off, v17, off offset:96
	s_and_saveexec_b64 s[10:11], s[0:1]
	s_cbranch_execz .LBB2068_304
; %bb.297:
	v_mov_b32_e32 v10, 0
	s_mov_b32 s3, 0
	v_cmp_eq_u16_sdwa s[6:7], v15, v10 src0_sel:BYTE_0 src1_sel:DWORD
	s_and_saveexec_b64 s[0:1], s[6:7]
	s_cbranch_execz .LBB2068_303
; %bb.298:
	v_mov_b32_e32 v11, v10
.LBB2068_299:                           ; =>This Inner Loop Header: Depth=1
	s_add_i32 s6, s3, 36
	s_add_i32 s3, s3, 8
	s_cmp_lg_u32 s3, 16
	scratch_store_dwordx2 off, v[10:11], s6
	s_cbranch_scc1 .LBB2068_299
; %bb.300:
	s_mov_b32 s3, 0
.LBB2068_301:                           ; =>This Inner Loop Header: Depth=1
	s_add_i32 s6, s3, 0x50
	s_add_i32 s7, s3, 16
	scratch_load_dwordx2 v[6:7], off, s6
	scratch_load_dwordx2 v[8:9], off, s7
	s_add_i32 s6, s3, 36
	s_add_i32 s3, s3, 8
	s_cmp_lg_u32 s3, 16
	s_waitcnt vmcnt(0)
	v_add_u32_e32 v7, v9, v7
	v_add_u32_e32 v6, v8, v6
	scratch_store_dwordx2 off, v[6:7], s6
	s_cbranch_scc1 .LBB2068_301
; %bb.302:
	scratch_load_dwordx4 v[6:9], off, off offset:36
.LBB2068_303:
	s_or_b64 exec, exec, s[0:1]
	v_and_b32_e32 v10, 1, v15
	v_cmp_eq_u32_e64 s[0:1], 1, v10
	v_and_b32_e32 v10, 1, v17
	v_cmp_eq_u32_e64 s[6:7], 1, v10
	s_or_b64 s[0:1], s[0:1], s[6:7]
	v_cndmask_b32_e64 v10, 0, 1, s[0:1]
	scratch_store_byte off, v10, off offset:32
	scratch_load_dword v15, off, off offset:32
	s_waitcnt vmcnt(2)
	scratch_store_dwordx4 off, v[6:9], off offset:16
.LBB2068_304:
	s_or_b64 exec, exec, s[10:11]
	v_mov_b32_dpp v18, v6 row_shr:4 row_mask:0xf bank_mask:0xf
	v_mov_b32_dpp v19, v7 row_shr:4 row_mask:0xf bank_mask:0xf
	v_mov_b32_dpp v20, v8 row_shr:4 row_mask:0xf bank_mask:0xf
	v_mov_b32_dpp v21, v9 row_shr:4 row_mask:0xf bank_mask:0xf
	s_waitcnt vmcnt(1)
	v_mov_b32_dpp v17, v15 row_shr:4 row_mask:0xf bank_mask:0xf
	v_cmp_lt_u32_e64 s[0:1], 3, v16
	scratch_store_dwordx4 off, v[18:21], off offset:80
	scratch_store_dword off, v17, off offset:96
	s_and_saveexec_b64 s[10:11], s[0:1]
	s_cbranch_execz .LBB2068_312
; %bb.305:
	v_mov_b32_e32 v10, 0
	s_mov_b32 s3, 0
	v_cmp_eq_u16_sdwa s[6:7], v15, v10 src0_sel:BYTE_0 src1_sel:DWORD
	s_and_saveexec_b64 s[0:1], s[6:7]
	s_cbranch_execz .LBB2068_311
; %bb.306:
	v_mov_b32_e32 v11, v10
.LBB2068_307:                           ; =>This Inner Loop Header: Depth=1
	s_add_i32 s6, s3, 36
	s_add_i32 s3, s3, 8
	s_cmp_lg_u32 s3, 16
	scratch_store_dwordx2 off, v[10:11], s6
	s_cbranch_scc1 .LBB2068_307
; %bb.308:
	s_mov_b32 s3, 0
.LBB2068_309:                           ; =>This Inner Loop Header: Depth=1
	s_add_i32 s6, s3, 0x50
	s_add_i32 s7, s3, 16
	scratch_load_dwordx2 v[6:7], off, s6
	scratch_load_dwordx2 v[8:9], off, s7
	s_add_i32 s6, s3, 36
	s_add_i32 s3, s3, 8
	s_cmp_lg_u32 s3, 16
	s_waitcnt vmcnt(0)
	v_add_u32_e32 v7, v9, v7
	v_add_u32_e32 v6, v8, v6
	scratch_store_dwordx2 off, v[6:7], s6
	s_cbranch_scc1 .LBB2068_309
; %bb.310:
	scratch_load_dwordx4 v[6:9], off, off offset:36
.LBB2068_311:
	s_or_b64 exec, exec, s[0:1]
	v_and_b32_e32 v10, 1, v15
	v_cmp_eq_u32_e64 s[0:1], 1, v10
	v_and_b32_e32 v10, 1, v17
	v_cmp_eq_u32_e64 s[6:7], 1, v10
	s_or_b64 s[0:1], s[0:1], s[6:7]
	v_cndmask_b32_e64 v10, 0, 1, s[0:1]
	scratch_store_byte off, v10, off offset:32
	scratch_load_dword v15, off, off offset:32
	s_waitcnt vmcnt(2)
	scratch_store_dwordx4 off, v[6:9], off offset:16
.LBB2068_312:
	;; [unrolled: 56-line block ×3, first 2 shown]
	s_or_b64 exec, exec, s[10:11]
	v_and_b32_e32 v10, 16, v14
	v_mov_b32_dpp v18, v6 row_bcast:15 row_mask:0xf bank_mask:0xf
	v_mov_b32_dpp v19, v7 row_bcast:15 row_mask:0xf bank_mask:0xf
	;; [unrolled: 1-line block ×4, first 2 shown]
	s_waitcnt vmcnt(1)
	v_mov_b32_dpp v16, v15 row_bcast:15 row_mask:0xf bank_mask:0xf
	v_cmp_ne_u32_e64 s[0:1], 0, v10
	scratch_store_dwordx4 off, v[18:21], off offset:80
	scratch_store_dword off, v16, off offset:96
	s_and_saveexec_b64 s[10:11], s[0:1]
	s_cbranch_execz .LBB2068_328
; %bb.321:
	v_mov_b32_e32 v10, 0
	s_mov_b32 s3, 0
	v_cmp_eq_u16_sdwa s[6:7], v15, v10 src0_sel:BYTE_0 src1_sel:DWORD
	s_and_saveexec_b64 s[0:1], s[6:7]
	s_cbranch_execz .LBB2068_327
; %bb.322:
	v_mov_b32_e32 v11, v10
.LBB2068_323:                           ; =>This Inner Loop Header: Depth=1
	s_add_i32 s6, s3, 36
	s_add_i32 s3, s3, 8
	s_cmp_lg_u32 s3, 16
	scratch_store_dwordx2 off, v[10:11], s6
	s_cbranch_scc1 .LBB2068_323
; %bb.324:
	s_mov_b32 s3, 0
.LBB2068_325:                           ; =>This Inner Loop Header: Depth=1
	s_add_i32 s6, s3, 0x50
	s_add_i32 s7, s3, 16
	scratch_load_dwordx2 v[6:7], off, s6
	scratch_load_dwordx2 v[8:9], off, s7
	s_add_i32 s6, s3, 36
	s_add_i32 s3, s3, 8
	s_cmp_lg_u32 s3, 16
	s_waitcnt vmcnt(0)
	v_add_u32_e32 v7, v9, v7
	v_add_u32_e32 v6, v8, v6
	scratch_store_dwordx2 off, v[6:7], s6
	s_cbranch_scc1 .LBB2068_325
; %bb.326:
	scratch_load_dwordx4 v[6:9], off, off offset:36
.LBB2068_327:
	s_or_b64 exec, exec, s[0:1]
	v_and_b32_e32 v10, 1, v15
	v_cmp_eq_u32_e64 s[0:1], 1, v10
	v_and_b32_e32 v10, 1, v16
	v_cmp_eq_u32_e64 s[6:7], 1, v10
	s_or_b64 s[0:1], s[0:1], s[6:7]
	v_cndmask_b32_e64 v10, 0, 1, s[0:1]
	scratch_store_byte off, v10, off offset:32
	scratch_load_dword v15, off, off offset:32
	s_waitcnt vmcnt(2)
	scratch_store_dwordx4 off, v[6:9], off offset:16
.LBB2068_328:
	s_or_b64 exec, exec, s[10:11]
	v_mov_b32_dpp v18, v6 row_bcast:31 row_mask:0xf bank_mask:0xf
	v_mov_b32_dpp v19, v7 row_bcast:31 row_mask:0xf bank_mask:0xf
	;; [unrolled: 1-line block ×4, first 2 shown]
	s_waitcnt vmcnt(1)
	v_mov_b32_dpp v16, v15 row_bcast:31 row_mask:0xf bank_mask:0xf
	v_cmp_lt_u32_e64 s[0:1], 31, v14
	scratch_store_dwordx4 off, v[18:21], off offset:80
	scratch_store_dword off, v16, off offset:96
	s_and_saveexec_b64 s[10:11], s[0:1]
	s_cbranch_execz .LBB2068_336
; %bb.329:
	v_mov_b32_e32 v10, 0
	s_mov_b32 s3, 0
	v_cmp_eq_u16_sdwa s[6:7], v15, v10 src0_sel:BYTE_0 src1_sel:DWORD
	s_and_saveexec_b64 s[0:1], s[6:7]
	s_cbranch_execz .LBB2068_335
; %bb.330:
	v_mov_b32_e32 v11, v10
.LBB2068_331:                           ; =>This Inner Loop Header: Depth=1
	s_add_i32 s6, s3, 36
	s_add_i32 s3, s3, 8
	s_cmp_lg_u32 s3, 16
	scratch_store_dwordx2 off, v[10:11], s6
	s_cbranch_scc1 .LBB2068_331
; %bb.332:
	s_mov_b32 s3, 0
.LBB2068_333:                           ; =>This Inner Loop Header: Depth=1
	s_add_i32 s6, s3, 0x50
	s_add_i32 s7, s3, 16
	scratch_load_dwordx2 v[6:7], off, s6
	scratch_load_dwordx2 v[8:9], off, s7
	s_add_i32 s6, s3, 36
	s_add_i32 s3, s3, 8
	s_cmp_lg_u32 s3, 16
	s_waitcnt vmcnt(0)
	v_add_u32_e32 v7, v9, v7
	v_add_u32_e32 v6, v8, v6
	scratch_store_dwordx2 off, v[6:7], s6
	s_cbranch_scc1 .LBB2068_333
; %bb.334:
	scratch_load_dwordx4 v[6:9], off, off offset:36
.LBB2068_335:
	s_or_b64 exec, exec, s[0:1]
	v_and_b32_e32 v10, 1, v15
	v_cmp_eq_u32_e64 s[0:1], 1, v10
	v_and_b32_e32 v10, 1, v16
	v_cmp_eq_u32_e64 s[6:7], 1, v10
	s_or_b64 s[0:1], s[0:1], s[6:7]
	v_cndmask_b32_e64 v10, 0, 1, s[0:1]
	scratch_store_byte off, v10, off offset:32
	scratch_load_dword v15, off, off offset:32
.LBB2068_336:
	s_or_b64 exec, exec, s[10:11]
	v_add_u32_e32 v10, -1, v14
	v_and_b32_e32 v11, 64, v14
	v_cmp_lt_i32_e64 s[0:1], v10, v11
	ds_read_u8 v11, v13 offset:16
	s_nop 0
	v_cndmask_b32_e64 v10, v10, v14, s[0:1]
	v_lshlrev_b32_e32 v10, 2, v10
	s_waitcnt vmcnt(2)
	ds_bpermute_b32 v6, v10, v6
	ds_bpermute_b32 v7, v10, v7
	;; [unrolled: 1-line block ×4, first 2 shown]
	s_waitcnt vmcnt(0)
	ds_bpermute_b32 v10, v10, v15
	s_waitcnt lgkmcnt(5)
	v_cmp_ne_u16_e64 s[0:1], 0, v11
	s_waitcnt lgkmcnt(1)
	scratch_store_dwordx4 off, v[6:9], off offset:16
                                        ; implicit-def: $vgpr8_vgpr9
	s_and_saveexec_b64 s[6:7], s[0:1]
	s_xor_b64 s[0:1], exec, s[6:7]
	s_cbranch_execz .LBB2068_338
; %bb.337:
	ds_read2_b32 v[6:7], v13 offset1:1
	ds_read2_b32 v[8:9], v13 offset0:2 offset1:3
.LBB2068_338:
	s_andn2_saveexec_b64 s[0:1], s[0:1]
	s_cbranch_execz .LBB2068_344
; %bb.339:
	s_waitcnt lgkmcnt(1)
	v_mov_b32_e32 v6, 0
	s_mov_b32 s3, 0
	v_mov_b32_e32 v7, v6
.LBB2068_340:                           ; =>This Inner Loop Header: Depth=1
	s_add_i32 s6, s3, 0x50
	s_add_i32 s3, s3, 8
	s_cmp_lg_u32 s3, 16
	scratch_store_dwordx2 off, v[6:7], s6
	s_cbranch_scc1 .LBB2068_340
; %bb.341:
	s_mov_b32 s3, 0
.LBB2068_342:                           ; =>This Inner Loop Header: Depth=1
	s_add_i32 s6, s3, 16
	scratch_load_dwordx2 v[6:7], off, s6
	s_waitcnt lgkmcnt(0)
	v_add_u32_e32 v8, s3, v13
	ds_read2_b32 v[8:9], v8 offset1:1
	s_add_i32 s6, s3, 0x50
	s_add_i32 s3, s3, 8
	s_cmp_lg_u32 s3, 16
	s_waitcnt vmcnt(0) lgkmcnt(0)
	v_add_u32_e32 v7, v9, v7
	v_add_u32_e32 v6, v8, v6
	scratch_store_dwordx2 off, v[6:7], s6
	s_cbranch_scc1 .LBB2068_342
; %bb.343:
	scratch_load_dwordx4 v[6:9], off, off offset:80
.LBB2068_344:
	s_or_b64 exec, exec, s[0:1]
	v_and_b32_e32 v11, 1, v11
	s_waitcnt lgkmcnt(0)
	v_and_b32_e32 v10, 1, v10
	v_cmp_eq_u32_e64 s[0:1], 1, v11
	v_cmp_eq_u32_e64 s[6:7], 1, v10
	s_or_b64 s[0:1], s[6:7], s[0:1]
	v_cndmask_b32_e64 v10, 0, 1, s[0:1]
	s_waitcnt vmcnt(0)
	scratch_store_dwordx4 off, v[6:9], off offset:16
	scratch_store_byte off, v10, off offset:32
	s_and_saveexec_b64 s[0:1], s[16:17]
	s_cbranch_execz .LBB2068_346
; %bb.345:
	scratch_store_dwordx4 off, v[2:5], off offset:16
	scratch_store_byte off, v12, off offset:32
.LBB2068_346:
	s_or_b64 exec, exec, s[0:1]
	; wave barrier
	scratch_load_dwordx4 v[2:5], off, off offset:16
	scratch_load_ubyte v6, off, off offset:32
	s_waitcnt vmcnt(1)
	ds_write2_b32 v13, v4, v5 offset0:2 offset1:3
	ds_write2_b32 v13, v2, v3 offset1:1
	s_waitcnt vmcnt(0)
	ds_write_b8 v13, v6 offset:16
	; wave barrier
	ds_read_u8 v6, v13 offset:36
                                        ; implicit-def: $vgpr4_vgpr5
	s_waitcnt lgkmcnt(0)
	v_cmp_ne_u16_e64 s[0:1], 0, v6
	s_and_saveexec_b64 s[6:7], s[0:1]
	s_xor_b64 s[0:1], exec, s[6:7]
	s_cbranch_execz .LBB2068_348
; %bb.347:
	ds_read2_b32 v[2:3], v1 offset1:1
	ds_read2_b32 v[4:5], v1 offset0:2 offset1:3
.LBB2068_348:
	s_andn2_saveexec_b64 s[0:1], s[0:1]
	s_cbranch_execz .LBB2068_354
; %bb.349:
	s_waitcnt lgkmcnt(1)
	v_mov_b32_e32 v2, 0
	s_mov_b32 s3, 0
	v_mov_b32_e32 v3, v2
.LBB2068_350:                           ; =>This Inner Loop Header: Depth=1
	s_add_i32 s6, s3, 0x50
	s_add_i32 s3, s3, 8
	s_cmp_lg_u32 s3, 16
	scratch_store_dwordx2 off, v[2:3], s6
	s_cbranch_scc1 .LBB2068_350
; %bb.351:
	s_mov_b32 s3, 0
.LBB2068_352:                           ; =>This Inner Loop Header: Depth=1
	s_add_i32 s6, s3, 16
	scratch_load_dwordx2 v[2:3], off, s6
	s_waitcnt lgkmcnt(0)
	v_add_u32_e32 v4, s3, v1
	ds_read2_b32 v[4:5], v4 offset1:1
	s_add_i32 s6, s3, 0x50
	s_add_i32 s3, s3, 8
	s_cmp_lg_u32 s3, 16
	s_waitcnt vmcnt(0) lgkmcnt(0)
	v_add_u32_e32 v3, v5, v3
	v_add_u32_e32 v2, v4, v2
	scratch_store_dwordx2 off, v[2:3], s6
	s_cbranch_scc1 .LBB2068_352
; %bb.353:
	scratch_load_dwordx4 v[2:5], off, off offset:80
.LBB2068_354:
	s_or_b64 exec, exec, s[0:1]
	scratch_load_ubyte v7, off, off offset:32
	s_waitcnt vmcnt(1) lgkmcnt(0)
	ds_write2_b32 v1, v4, v5 offset0:2 offset1:3
	s_waitcnt vmcnt(0)
	v_or_b32_e32 v4, v6, v7
	v_and_b32_e32 v4, 1, v4
	ds_write2_b32 v1, v2, v3 offset1:1
	ds_write_b8 v1, v4 offset:16
.LBB2068_355:
	s_or_b64 exec, exec, s[8:9]
	s_waitcnt lgkmcnt(0)
	s_barrier
	s_and_saveexec_b64 s[0:1], s[92:93]
	s_cbranch_execz .LBB2068_357
; %bb.356:
	v_add_u32_e32 v1, -1, v0
	v_lshrrev_b32_e32 v2, 5, v1
	v_add_u32_e32 v1, v2, v1
	v_mul_lo_u32 v1, v1, 20
	ds_read_u8 v6, v1 offset:16
	ds_read2_b32 v[4:5], v1 offset0:2 offset1:3
	ds_read2_b32 v[2:3], v1 offset1:1
	s_waitcnt lgkmcnt(0)
	scratch_store_dwordx4 off, v[2:5], off offset:448
	scratch_store_byte off, v6, off offset:464
.LBB2068_357:
	s_or_b64 exec, exec, s[0:1]
	s_and_saveexec_b64 s[8:9], vcc
	s_cbranch_execz .LBB2068_494
; %bb.358:
	v_mov_b32_e32 v1, 0xa28
	v_mov_b32_e32 v2, 0
	ds_read2_b64 v[4:7], v1 offset1:1
	ds_read_b32 v1, v2 offset:2616
	v_mbcnt_lo_u32_b32 v3, -1, 0
	v_mbcnt_hi_u32_b32 v22, -1, v3
	v_cmp_eq_u32_e64 s[6:7], 0, v22
	s_waitcnt lgkmcnt(1)
	scratch_store_dwordx4 off, v[4:7], off offset:56
	s_waitcnt lgkmcnt(0)
	scratch_store_dword off, v1, off offset:72
	s_and_saveexec_b64 s[0:1], s[6:7]
	s_cbranch_execz .LBB2068_360
; %bb.359:
	v_lshrrev_b32_e32 v3, 8, v1
	s_movk_i32 s3, 0xff
	v_mov_b32_e32 v10, 8
	v_and_b32_sdwa v9, v1, s3 dst_sel:DWORD dst_unused:UNUSED_PAD src0_sel:WORD_1 src1_sel:DWORD
	v_lshlrev_b32_sdwa v3, v10, v3 dst_sel:DWORD dst_unused:UNUSED_PAD src0_sel:DWORD src1_sel:BYTE_0
	s_add_i32 s3, s2, 64
	v_lshrrev_b32_e32 v8, 24, v1
	v_or_b32_sdwa v1, v3, v1 dst_sel:DWORD dst_unused:UNUSED_PAD src0_sel:DWORD src1_sel:BYTE_0
	v_lshlrev_b32_e32 v3, 16, v9
	s_mul_i32 s10, s3, 20
	v_or_b32_e32 v1, v1, v3
	v_lshlrev_b32_e32 v3, 24, v8
	s_mul_hi_u32 s11, s3, 20
	s_add_u32 s10, s56, s10
	v_or_b32_e32 v1, v1, v3
	s_addc_u32 s11, s57, s11
	global_store_dword v2, v4, s[10:11] sc1
	global_store_dword v2, v5, s[10:11] offset:4 sc1
	global_store_dword v2, v6, s[10:11] offset:8 sc1
	global_store_dword v2, v7, s[10:11] offset:12 sc1
	global_store_dword v2, v1, s[10:11] offset:16 sc1
	v_mov_b32_e32 v1, s3
	v_mov_b32_e32 v3, 1
	s_waitcnt vmcnt(0)
	global_store_byte v1, v3, s[60:61] sc1
.LBB2068_360:
	s_or_b64 exec, exec, s[0:1]
	s_mov_b32 s0, 0
	v_mov_b32_e32 v3, v2
	v_mov_b32_e32 v4, v2
	;; [unrolled: 1-line block ×3, first 2 shown]
	scratch_store_dword off, v2, off offset:52
	scratch_store_dwordx4 off, v[2:5], off offset:36
.LBB2068_361:                           ; =>This Inner Loop Header: Depth=1
	s_add_i32 s1, s0, 36
	s_add_i32 s0, s0, 8
	s_cmp_lg_u32 s0, 16
	scratch_store_dwordx2 off, v[2:3], s1
	s_cbranch_scc1 .LBB2068_361
; %bb.362:
	v_mov_b32_e32 v3, 0
	v_xad_u32 v6, v22, -1, s2
	scratch_store_byte off, v3, off offset:52
	v_add_u32_e32 v2, 64, v6
	global_load_ubyte v1, v2, s[60:61] sc1
	s_waitcnt vmcnt(0)
	v_cmp_eq_u16_e32 vcc, 0, v1
	s_and_saveexec_b64 s[0:1], vcc
	s_cbranch_execz .LBB2068_366
; %bb.363:
	v_lshl_add_u64 v[4:5], s[60:61], 0, v[2:3]
	s_mov_b64 s[10:11], 0
.LBB2068_364:                           ; =>This Inner Loop Header: Depth=1
	global_load_ubyte v1, v[4:5], off sc1
	s_waitcnt vmcnt(0)
	v_cmp_ne_u16_e32 vcc, 0, v1
	s_or_b64 s[10:11], vcc, s[10:11]
	s_andn2_b64 exec, exec, s[10:11]
	s_cbranch_execnz .LBB2068_364
; %bb.365:
	s_or_b64 exec, exec, s[10:11]
.LBB2068_366:
	s_or_b64 exec, exec, s[0:1]
	v_mov_b32_e32 v3, s59
	v_mov_b32_e32 v4, s57
	v_cmp_eq_u16_e32 vcc, 1, v1
	s_waitcnt vmcnt(0)
	s_nop 0
	v_cndmask_b32_e32 v5, v3, v4, vcc
	v_mov_b32_e32 v3, s58
	v_mov_b32_e32 v4, s56
	v_cndmask_b32_e32 v4, v3, v4, vcc
	v_mad_u64_u32 v[8:9], s[0:1], v2, 20, v[4:5]
	global_load_dword v2, v[8:9], off sc1
	global_load_dword v3, v[8:9], off offset:4 sc1
	global_load_dword v4, v[8:9], off offset:8 sc1
	;; [unrolled: 1-line block ×4, first 2 shown]
	v_mov_b32_e32 v8, 0
	s_mov_b32 s0, 0
	v_mov_b32_e32 v9, v8
	scratch_store_dword off, v8, off offset:96
	s_waitcnt vmcnt(2)
	scratch_store_dwordx4 off, v[2:5], off offset:36
	s_waitcnt vmcnt(2)
	scratch_store_byte off, v7, off offset:52
.LBB2068_367:                           ; =>This Inner Loop Header: Depth=1
	s_add_i32 s1, s0, 0x50
	s_add_i32 s0, s0, 8
	s_cmp_lg_u32 s0, 16
	scratch_store_dwordx2 off, v[8:9], s1
	s_cbranch_scc1 .LBB2068_367
; %bb.368:
	scratch_load_dword v7, off, off offset:52
	v_lshlrev_b64 v[8:9], v22, -1
	v_cmp_eq_u16_e32 vcc, 2, v1
	v_and_b32_e32 v12, 63, v22
	s_nop 0
	v_and_b32_e32 v10, vcc_hi, v9
	v_and_b32_e32 v11, vcc_lo, v8
	v_cmp_ne_u32_e32 vcc, 63, v12
	v_or_b32_e32 v10, 0x80000000, v10
	v_ffbl_b32_e32 v10, v10
	v_addc_co_u32_e32 v13, vcc, 0, v22, vcc
	v_lshlrev_b32_e32 v13, 2, v13
	ds_bpermute_b32 v16, v13, v2
	ds_bpermute_b32 v17, v13, v3
	;; [unrolled: 1-line block ×4, first 2 shown]
	v_add_u32_e32 v10, 32, v10
	v_ffbl_b32_e32 v11, v11
	v_min_u32_e32 v24, v11, v10
	v_cmp_lt_u32_e32 vcc, v12, v24
	s_waitcnt lgkmcnt(0)
	scratch_store_dwordx4 off, v[16:19], off offset:80
	s_waitcnt vmcnt(1)
	ds_bpermute_b32 v14, v13, v7
	s_and_saveexec_b64 s[0:1], vcc
	s_cbranch_execz .LBB2068_376
; %bb.369:
	v_mov_b32_e32 v10, 0
	v_cmp_eq_u16_sdwa s[12:13], v7, v10 src0_sel:BYTE_0 src1_sel:DWORD
	s_and_saveexec_b64 s[10:11], s[12:13]
	s_cbranch_execz .LBB2068_375
; %bb.370:
	s_mov_b32 s3, 0
	v_mov_b32_e32 v11, v10
.LBB2068_371:                           ; =>This Inner Loop Header: Depth=1
	s_add_i32 s12, s3, 16
	s_add_i32 s3, s3, 8
	s_cmp_lg_u32 s3, 16
	scratch_store_dwordx2 off, v[10:11], s12
	s_cbranch_scc1 .LBB2068_371
; %bb.372:
	s_mov_b32 s3, 0
.LBB2068_373:                           ; =>This Inner Loop Header: Depth=1
	s_add_i32 s12, s3, 0x50
	s_add_i32 s13, s3, 36
	scratch_load_dwordx2 v[2:3], off, s12
	scratch_load_dwordx2 v[4:5], off, s13
	s_add_i32 s12, s3, 16
	s_add_i32 s3, s3, 8
	s_cmp_lg_u32 s3, 16
	s_waitcnt vmcnt(0)
	v_add_u32_e32 v3, v5, v3
	v_add_u32_e32 v2, v4, v2
	scratch_store_dwordx2 off, v[2:3], s12
	s_cbranch_scc1 .LBB2068_373
; %bb.374:
	scratch_load_dwordx4 v[2:5], off, off offset:16
.LBB2068_375:
	s_or_b64 exec, exec, s[10:11]
	s_waitcnt lgkmcnt(0)
	v_or_b32_e32 v7, v14, v7
	v_and_b32_e32 v7, 1, v7
	scratch_store_byte off, v7, off offset:52
	scratch_load_dword v7, off, off offset:52
	s_waitcnt vmcnt(2)
	scratch_store_dwordx4 off, v[2:5], off offset:36
.LBB2068_376:
	s_or_b64 exec, exec, s[0:1]
	v_cmp_gt_u32_e32 vcc, 62, v12
	v_add_u32_e32 v15, 2, v12
	s_nop 0
	v_cndmask_b32_e64 v10, 0, 1, vcc
	v_lshlrev_b32_e32 v10, 1, v10
	s_waitcnt lgkmcnt(0)
	v_add_lshl_u32 v14, v10, v22, 2
	ds_bpermute_b32 v18, v14, v2
	ds_bpermute_b32 v19, v14, v3
	ds_bpermute_b32 v20, v14, v4
	ds_bpermute_b32 v21, v14, v5
	s_waitcnt vmcnt(1)
	ds_bpermute_b32 v16, v14, v7
	v_cmp_le_u32_e32 vcc, v15, v24
	s_waitcnt lgkmcnt(1)
	scratch_store_dwordx4 off, v[18:21], off offset:80
	s_and_saveexec_b64 s[10:11], vcc
	s_cbranch_execz .LBB2068_384
; %bb.377:
	v_mov_b32_e32 v10, 0
	s_mov_b32 s3, 0
	v_cmp_eq_u16_sdwa s[12:13], v7, v10 src0_sel:BYTE_0 src1_sel:DWORD
	s_and_saveexec_b64 s[0:1], s[12:13]
	s_cbranch_execz .LBB2068_383
; %bb.378:
	v_mov_b32_e32 v11, v10
.LBB2068_379:                           ; =>This Inner Loop Header: Depth=1
	s_add_i32 s12, s3, 16
	s_add_i32 s3, s3, 8
	s_cmp_lg_u32 s3, 16
	scratch_store_dwordx2 off, v[10:11], s12
	s_cbranch_scc1 .LBB2068_379
; %bb.380:
	s_mov_b32 s3, 0
.LBB2068_381:                           ; =>This Inner Loop Header: Depth=1
	s_add_i32 s12, s3, 0x50
	s_add_i32 s13, s3, 36
	scratch_load_dwordx2 v[2:3], off, s12
	scratch_load_dwordx2 v[4:5], off, s13
	s_add_i32 s12, s3, 16
	s_add_i32 s3, s3, 8
	s_cmp_lg_u32 s3, 16
	s_waitcnt vmcnt(0)
	v_add_u32_e32 v3, v5, v3
	v_add_u32_e32 v2, v4, v2
	scratch_store_dwordx2 off, v[2:3], s12
	s_cbranch_scc1 .LBB2068_381
; %bb.382:
	scratch_load_dwordx4 v[2:5], off, off offset:16
.LBB2068_383:
	s_or_b64 exec, exec, s[0:1]
	v_and_b32_e32 v7, 1, v7
	v_cmp_eq_u32_e32 vcc, 1, v7
	s_waitcnt lgkmcnt(0)
	v_and_b32_e32 v7, 1, v16
	v_cmp_eq_u32_e64 s[0:1], 1, v7
	s_or_b64 s[0:1], vcc, s[0:1]
	s_waitcnt vmcnt(0)
	scratch_store_dwordx4 off, v[2:5], off offset:36
	v_cndmask_b32_e64 v7, 0, 1, s[0:1]
	scratch_store_byte off, v7, off offset:52
	scratch_load_dword v7, off, off offset:52
.LBB2068_384:
	s_or_b64 exec, exec, s[10:11]
	v_cmp_gt_u32_e32 vcc, 60, v12
	v_add_u32_e32 v17, 4, v12
	s_nop 0
	v_cndmask_b32_e64 v10, 0, 1, vcc
	v_lshlrev_b32_e32 v10, 2, v10
	s_waitcnt lgkmcnt(0)
	v_add_lshl_u32 v16, v10, v22, 2
	ds_bpermute_b32 v26, v16, v2
	ds_bpermute_b32 v27, v16, v3
	ds_bpermute_b32 v28, v16, v4
	ds_bpermute_b32 v29, v16, v5
	s_waitcnt vmcnt(0)
	ds_bpermute_b32 v18, v16, v7
	v_cmp_le_u32_e32 vcc, v17, v24
	s_waitcnt lgkmcnt(1)
	scratch_store_dwordx4 off, v[26:29], off offset:80
	s_and_saveexec_b64 s[10:11], vcc
	s_cbranch_execz .LBB2068_392
; %bb.385:
	v_mov_b32_e32 v10, 0
	s_mov_b32 s3, 0
	v_cmp_eq_u16_sdwa s[12:13], v7, v10 src0_sel:BYTE_0 src1_sel:DWORD
	s_and_saveexec_b64 s[0:1], s[12:13]
	s_cbranch_execz .LBB2068_391
; %bb.386:
	v_mov_b32_e32 v11, v10
.LBB2068_387:                           ; =>This Inner Loop Header: Depth=1
	s_add_i32 s12, s3, 16
	s_add_i32 s3, s3, 8
	s_cmp_lg_u32 s3, 16
	scratch_store_dwordx2 off, v[10:11], s12
	s_cbranch_scc1 .LBB2068_387
; %bb.388:
	s_mov_b32 s3, 0
.LBB2068_389:                           ; =>This Inner Loop Header: Depth=1
	s_add_i32 s12, s3, 0x50
	s_add_i32 s13, s3, 36
	scratch_load_dwordx2 v[2:3], off, s12
	scratch_load_dwordx2 v[4:5], off, s13
	s_add_i32 s12, s3, 16
	s_add_i32 s3, s3, 8
	s_cmp_lg_u32 s3, 16
	s_waitcnt vmcnt(0)
	v_add_u32_e32 v3, v5, v3
	v_add_u32_e32 v2, v4, v2
	scratch_store_dwordx2 off, v[2:3], s12
	s_cbranch_scc1 .LBB2068_389
; %bb.390:
	scratch_load_dwordx4 v[2:5], off, off offset:16
.LBB2068_391:
	s_or_b64 exec, exec, s[0:1]
	v_and_b32_e32 v7, 1, v7
	v_cmp_eq_u32_e32 vcc, 1, v7
	s_waitcnt lgkmcnt(0)
	v_and_b32_e32 v7, 1, v18
	v_cmp_eq_u32_e64 s[0:1], 1, v7
	s_or_b64 s[0:1], vcc, s[0:1]
	s_waitcnt vmcnt(0)
	scratch_store_dwordx4 off, v[2:5], off offset:36
	v_cndmask_b32_e64 v7, 0, 1, s[0:1]
	scratch_store_byte off, v7, off offset:52
	scratch_load_dword v7, off, off offset:52
.LBB2068_392:
	;; [unrolled: 64-line block ×4, first 2 shown]
	s_or_b64 exec, exec, s[10:11]
	v_cmp_gt_u32_e32 vcc, 32, v12
	s_waitcnt lgkmcnt(0)
	v_add_u32_e32 v23, 32, v12
	v_cndmask_b32_e64 v10, 0, 1, vcc
	v_lshlrev_b32_e32 v10, 5, v10
	v_add_lshl_u32 v22, v10, v22, 2
	ds_bpermute_b32 v26, v22, v2
	ds_bpermute_b32 v27, v22, v3
	;; [unrolled: 1-line block ×4, first 2 shown]
	s_waitcnt vmcnt(0)
	ds_bpermute_b32 v25, v22, v7
	v_cmp_le_u32_e32 vcc, v23, v24
	s_waitcnt lgkmcnt(1)
	scratch_store_dwordx4 off, v[26:29], off offset:80
	s_and_saveexec_b64 s[10:11], vcc
	s_cbranch_execz .LBB2068_416
; %bb.409:
	v_mov_b32_e32 v10, 0
	s_mov_b32 s3, 0
	v_cmp_eq_u16_sdwa s[12:13], v7, v10 src0_sel:BYTE_0 src1_sel:DWORD
	s_and_saveexec_b64 s[0:1], s[12:13]
	s_cbranch_execz .LBB2068_415
; %bb.410:
	v_mov_b32_e32 v11, v10
.LBB2068_411:                           ; =>This Inner Loop Header: Depth=1
	s_add_i32 s12, s3, 16
	s_add_i32 s3, s3, 8
	s_cmp_lg_u32 s3, 16
	scratch_store_dwordx2 off, v[10:11], s12
	s_cbranch_scc1 .LBB2068_411
; %bb.412:
	s_mov_b32 s3, 0
.LBB2068_413:                           ; =>This Inner Loop Header: Depth=1
	s_add_i32 s12, s3, 0x50
	s_add_i32 s13, s3, 36
	scratch_load_dwordx2 v[2:3], off, s12
	scratch_load_dwordx2 v[4:5], off, s13
	s_add_i32 s12, s3, 16
	s_add_i32 s3, s3, 8
	s_cmp_lg_u32 s3, 16
	s_waitcnt vmcnt(0)
	v_add_u32_e32 v3, v5, v3
	v_add_u32_e32 v2, v4, v2
	scratch_store_dwordx2 off, v[2:3], s12
	s_cbranch_scc1 .LBB2068_413
; %bb.414:
	scratch_load_dwordx4 v[2:5], off, off offset:16
.LBB2068_415:
	s_or_b64 exec, exec, s[0:1]
	v_and_b32_e32 v7, 1, v7
	v_cmp_eq_u32_e32 vcc, 1, v7
	s_waitcnt lgkmcnt(0)
	v_and_b32_e32 v7, 1, v25
	v_cmp_eq_u32_e64 s[0:1], 1, v7
	s_or_b64 s[0:1], vcc, s[0:1]
	s_nop 0
	v_cndmask_b32_e64 v7, 0, 1, s[0:1]
	s_waitcnt vmcnt(0)
	scratch_store_dwordx4 off, v[2:5], off offset:36
	scratch_store_byte off, v7, off offset:52
.LBB2068_416:
	s_or_b64 exec, exec, s[10:11]
	scratch_load_dwordx4 v[2:5], off, off offset:36
	scratch_load_dword v7, off, off offset:52
	v_mov_b32_e32 v10, 0
	v_mov_b32_e32 v24, 2
	s_waitcnt vmcnt(1)
	scratch_store_dwordx4 off, v[2:5], off offset:16
	s_waitcnt vmcnt(1)
	scratch_store_dword off, v7, off offset:32
	s_branch .LBB2068_418
.LBB2068_417:                           ;   in Loop: Header=BB2068_418 Depth=1
	s_or_b64 exec, exec, s[10:11]
	v_and_b32_e32 v7, 1, v7
	v_cmp_eq_u32_e32 vcc, 1, v7
	s_or_b64 s[0:1], vcc, s[0:1]
	v_subrev_u32_e32 v6, 64, v6
	v_cndmask_b32_e64 v7, 0, 1, s[0:1]
	s_waitcnt vmcnt(0)
	scratch_store_dwordx4 off, v[2:5], off offset:16
	scratch_store_byte off, v7, off offset:32
.LBB2068_418:                           ; =>This Loop Header: Depth=1
                                        ;     Child Loop BB2068_421 Depth 2
                                        ;     Child Loop BB2068_424 Depth 2
	;; [unrolled: 1-line block ×16, first 2 shown]
	v_cmp_ne_u16_sdwa s[0:1], v1, v24 src0_sel:BYTE_0 src1_sel:DWORD
	s_nop 1
	v_cndmask_b32_e64 v1, 0, 1, s[0:1]
	;;#ASMSTART
	;;#ASMEND
	s_nop 0
	v_cmp_ne_u32_e32 vcc, 0, v1
	s_cmp_lg_u64 vcc, exec
	s_cbranch_scc1 .LBB2068_481
; %bb.419:                              ;   in Loop: Header=BB2068_418 Depth=1
	global_load_ubyte v1, v6, s[60:61] sc1
	v_mov_b32_e32 v7, v10
	s_waitcnt vmcnt(0)
	v_cmp_eq_u16_e32 vcc, 0, v1
	s_and_saveexec_b64 s[0:1], vcc
	s_cbranch_execz .LBB2068_423
; %bb.420:                              ;   in Loop: Header=BB2068_418 Depth=1
	v_lshl_add_u64 v[2:3], s[60:61], 0, v[6:7]
	s_mov_b64 s[10:11], 0
.LBB2068_421:                           ;   Parent Loop BB2068_418 Depth=1
                                        ; =>  This Inner Loop Header: Depth=2
	global_load_ubyte v1, v[2:3], off sc1
	s_waitcnt vmcnt(0)
	v_cmp_ne_u16_e32 vcc, 0, v1
	s_or_b64 s[10:11], vcc, s[10:11]
	s_andn2_b64 exec, exec, s[10:11]
	s_cbranch_execnz .LBB2068_421
; %bb.422:                              ;   in Loop: Header=BB2068_418 Depth=1
	s_or_b64 exec, exec, s[10:11]
.LBB2068_423:                           ;   in Loop: Header=BB2068_418 Depth=1
	s_or_b64 exec, exec, s[0:1]
	v_mov_b32_e32 v2, s59
	v_mov_b32_e32 v3, s57
	v_cmp_eq_u16_e32 vcc, 1, v1
	v_mov_b32_e32 v4, s56
	s_waitcnt vmcnt(0)
	v_cndmask_b32_e32 v3, v2, v3, vcc
	v_mov_b32_e32 v2, s58
	v_cndmask_b32_e32 v2, v2, v4, vcc
	s_waitcnt lgkmcnt(0)
	v_mad_u64_u32 v[26:27], s[0:1], v6, 20, v[2:3]
	s_waitcnt lgkmcnt(0)
	global_load_dword v2, v[26:27], off sc1
	global_load_dword v3, v[26:27], off offset:4 sc1
	global_load_dword v4, v[26:27], off offset:8 sc1
	;; [unrolled: 1-line block ×4, first 2 shown]
	s_mov_b32 s0, 0
	scratch_store_dword off, v10, off offset:96
	s_waitcnt vmcnt(2)
	scratch_store_dwordx4 off, v[2:5], off offset:36
	s_waitcnt vmcnt(2)
	scratch_store_byte off, v7, off offset:52
.LBB2068_424:                           ;   Parent Loop BB2068_418 Depth=1
                                        ; =>  This Inner Loop Header: Depth=2
	s_add_i32 s1, s0, 0x50
	s_add_i32 s0, s0, 8
	v_mov_b32_e32 v11, v10
	s_cmp_lg_u32 s0, 16
	scratch_store_dwordx2 off, v[10:11], s1
	s_cbranch_scc1 .LBB2068_424
; %bb.425:                              ;   in Loop: Header=BB2068_418 Depth=1
	scratch_load_dword v25, off, off offset:52
	v_cmp_eq_u16_e32 vcc, 2, v1
	ds_bpermute_b32 v28, v13, v2
	ds_bpermute_b32 v29, v13, v3
	v_and_b32_e32 v7, vcc_hi, v9
	v_or_b32_e32 v7, 0x80000000, v7
	ds_bpermute_b32 v30, v13, v4
	ds_bpermute_b32 v31, v13, v5
	v_and_b32_e32 v11, vcc_lo, v8
	v_ffbl_b32_e32 v7, v7
	v_add_u32_e32 v7, 32, v7
	v_ffbl_b32_e32 v11, v11
	v_min_u32_e32 v7, v11, v7
	v_cmp_lt_u32_e32 vcc, v12, v7
	s_waitcnt lgkmcnt(0)
	scratch_store_dwordx4 off, v[28:31], off offset:80
	s_waitcnt vmcnt(1)
	ds_bpermute_b32 v26, v13, v25
	s_and_saveexec_b64 s[0:1], vcc
	s_cbranch_execz .LBB2068_433
; %bb.426:                              ;   in Loop: Header=BB2068_418 Depth=1
	v_cmp_eq_u16_sdwa s[12:13], v25, v10 src0_sel:BYTE_0 src1_sel:DWORD
	s_and_saveexec_b64 s[10:11], s[12:13]
	s_cbranch_execz .LBB2068_432
; %bb.427:                              ;   in Loop: Header=BB2068_418 Depth=1
	s_mov_b32 s3, 0
.LBB2068_428:                           ;   Parent Loop BB2068_418 Depth=1
                                        ; =>  This Inner Loop Header: Depth=2
	s_add_i32 s12, s3, 0
	s_add_i32 s3, s3, 8
	v_mov_b32_e32 v11, v10
	s_cmp_lg_u32 s3, 16
	scratch_store_dwordx2 off, v[10:11], s12
	s_cbranch_scc1 .LBB2068_428
; %bb.429:                              ;   in Loop: Header=BB2068_418 Depth=1
	s_mov_b32 s3, 0
.LBB2068_430:                           ;   Parent Loop BB2068_418 Depth=1
                                        ; =>  This Inner Loop Header: Depth=2
	s_add_i32 s12, s3, 0x50
	s_add_i32 s13, s3, 36
	scratch_load_dwordx2 v[2:3], off, s12
	scratch_load_dwordx2 v[4:5], off, s13
	s_add_i32 s12, s3, 0
	s_add_i32 s3, s3, 8
	s_cmp_lg_u32 s3, 16
	s_waitcnt vmcnt(0)
	v_add_u32_e32 v3, v5, v3
	v_add_u32_e32 v2, v4, v2
	scratch_store_dwordx2 off, v[2:3], s12
	s_cbranch_scc1 .LBB2068_430
; %bb.431:                              ;   in Loop: Header=BB2068_418 Depth=1
	scratch_load_dwordx4 v[2:5], off, off
.LBB2068_432:                           ;   in Loop: Header=BB2068_418 Depth=1
	s_or_b64 exec, exec, s[10:11]
	s_waitcnt lgkmcnt(0)
	v_or_b32_e32 v11, v26, v25
	v_and_b32_e32 v11, 1, v11
	scratch_store_byte off, v11, off offset:52
	scratch_load_dword v25, off, off offset:52
	s_waitcnt vmcnt(2)
	scratch_store_dwordx4 off, v[2:5], off offset:36
.LBB2068_433:                           ;   in Loop: Header=BB2068_418 Depth=1
	s_or_b64 exec, exec, s[0:1]
	ds_bpermute_b32 v28, v14, v2
	ds_bpermute_b32 v29, v14, v3
	ds_bpermute_b32 v30, v14, v4
	ds_bpermute_b32 v31, v14, v5
	s_waitcnt vmcnt(1) lgkmcnt(4)
	ds_bpermute_b32 v26, v14, v25
	v_cmp_le_u32_e32 vcc, v15, v7
	s_waitcnt lgkmcnt(1)
	scratch_store_dwordx4 off, v[28:31], off offset:80
	s_and_saveexec_b64 s[10:11], vcc
	s_cbranch_execz .LBB2068_441
; %bb.434:                              ;   in Loop: Header=BB2068_418 Depth=1
	v_cmp_eq_u16_sdwa s[12:13], v25, v10 src0_sel:BYTE_0 src1_sel:DWORD
	s_and_saveexec_b64 s[0:1], s[12:13]
	s_cbranch_execz .LBB2068_440
; %bb.435:                              ;   in Loop: Header=BB2068_418 Depth=1
	s_mov_b32 s3, 0
.LBB2068_436:                           ;   Parent Loop BB2068_418 Depth=1
                                        ; =>  This Inner Loop Header: Depth=2
	s_add_i32 s12, s3, 0
	s_add_i32 s3, s3, 8
	v_mov_b32_e32 v11, v10
	s_cmp_lg_u32 s3, 16
	scratch_store_dwordx2 off, v[10:11], s12
	s_cbranch_scc1 .LBB2068_436
; %bb.437:                              ;   in Loop: Header=BB2068_418 Depth=1
	s_mov_b32 s3, 0
.LBB2068_438:                           ;   Parent Loop BB2068_418 Depth=1
                                        ; =>  This Inner Loop Header: Depth=2
	s_add_i32 s12, s3, 0x50
	s_add_i32 s13, s3, 36
	scratch_load_dwordx2 v[2:3], off, s12
	scratch_load_dwordx2 v[4:5], off, s13
	s_add_i32 s12, s3, 0
	s_add_i32 s3, s3, 8
	s_cmp_lg_u32 s3, 16
	s_waitcnt vmcnt(0)
	v_add_u32_e32 v3, v5, v3
	v_add_u32_e32 v2, v4, v2
	scratch_store_dwordx2 off, v[2:3], s12
	s_cbranch_scc1 .LBB2068_438
; %bb.439:                              ;   in Loop: Header=BB2068_418 Depth=1
	scratch_load_dwordx4 v[2:5], off, off
.LBB2068_440:                           ;   in Loop: Header=BB2068_418 Depth=1
	s_or_b64 exec, exec, s[0:1]
	v_and_b32_e32 v11, 1, v25
	v_cmp_eq_u32_e32 vcc, 1, v11
	s_waitcnt lgkmcnt(0)
	v_and_b32_e32 v11, 1, v26
	v_cmp_eq_u32_e64 s[0:1], 1, v11
	s_or_b64 s[0:1], vcc, s[0:1]
	s_waitcnt vmcnt(0)
	scratch_store_dwordx4 off, v[2:5], off offset:36
	v_cndmask_b32_e64 v11, 0, 1, s[0:1]
	scratch_store_byte off, v11, off offset:52
	scratch_load_dword v25, off, off offset:52
.LBB2068_441:                           ;   in Loop: Header=BB2068_418 Depth=1
	s_or_b64 exec, exec, s[10:11]
	ds_bpermute_b32 v28, v16, v2
	ds_bpermute_b32 v29, v16, v3
	ds_bpermute_b32 v30, v16, v4
	ds_bpermute_b32 v31, v16, v5
	s_waitcnt vmcnt(0) lgkmcnt(4)
	ds_bpermute_b32 v26, v16, v25
	v_cmp_le_u32_e32 vcc, v17, v7
	s_waitcnt lgkmcnt(1)
	scratch_store_dwordx4 off, v[28:31], off offset:80
	s_and_saveexec_b64 s[10:11], vcc
	s_cbranch_execz .LBB2068_449
; %bb.442:                              ;   in Loop: Header=BB2068_418 Depth=1
	v_cmp_eq_u16_sdwa s[12:13], v25, v10 src0_sel:BYTE_0 src1_sel:DWORD
	s_and_saveexec_b64 s[0:1], s[12:13]
	s_cbranch_execz .LBB2068_448
; %bb.443:                              ;   in Loop: Header=BB2068_418 Depth=1
	s_mov_b32 s3, 0
.LBB2068_444:                           ;   Parent Loop BB2068_418 Depth=1
                                        ; =>  This Inner Loop Header: Depth=2
	s_add_i32 s12, s3, 0
	s_add_i32 s3, s3, 8
	v_mov_b32_e32 v11, v10
	s_cmp_lg_u32 s3, 16
	scratch_store_dwordx2 off, v[10:11], s12
	s_cbranch_scc1 .LBB2068_444
; %bb.445:                              ;   in Loop: Header=BB2068_418 Depth=1
	s_mov_b32 s3, 0
.LBB2068_446:                           ;   Parent Loop BB2068_418 Depth=1
                                        ; =>  This Inner Loop Header: Depth=2
	s_add_i32 s12, s3, 0x50
	s_add_i32 s13, s3, 36
	scratch_load_dwordx2 v[2:3], off, s12
	scratch_load_dwordx2 v[4:5], off, s13
	s_add_i32 s12, s3, 0
	s_add_i32 s3, s3, 8
	s_cmp_lg_u32 s3, 16
	s_waitcnt vmcnt(0)
	v_add_u32_e32 v3, v5, v3
	v_add_u32_e32 v2, v4, v2
	scratch_store_dwordx2 off, v[2:3], s12
	s_cbranch_scc1 .LBB2068_446
; %bb.447:                              ;   in Loop: Header=BB2068_418 Depth=1
	scratch_load_dwordx4 v[2:5], off, off
.LBB2068_448:                           ;   in Loop: Header=BB2068_418 Depth=1
	s_or_b64 exec, exec, s[0:1]
	v_and_b32_e32 v11, 1, v25
	v_cmp_eq_u32_e32 vcc, 1, v11
	s_waitcnt lgkmcnt(0)
	v_and_b32_e32 v11, 1, v26
	v_cmp_eq_u32_e64 s[0:1], 1, v11
	s_or_b64 s[0:1], vcc, s[0:1]
	s_waitcnt vmcnt(0)
	scratch_store_dwordx4 off, v[2:5], off offset:36
	v_cndmask_b32_e64 v11, 0, 1, s[0:1]
	scratch_store_byte off, v11, off offset:52
	scratch_load_dword v25, off, off offset:52
.LBB2068_449:                           ;   in Loop: Header=BB2068_418 Depth=1
	;; [unrolled: 58-line block ×4, first 2 shown]
	s_or_b64 exec, exec, s[10:11]
	ds_bpermute_b32 v28, v22, v2
	ds_bpermute_b32 v29, v22, v3
	;; [unrolled: 1-line block ×4, first 2 shown]
	s_waitcnt vmcnt(0) lgkmcnt(4)
	ds_bpermute_b32 v26, v22, v25
	v_cmp_le_u32_e32 vcc, v23, v7
	v_and_b32_e32 v7, 1, v25
	v_cmp_eq_u32_e64 s[0:1], 1, v7
	s_waitcnt lgkmcnt(1)
	scratch_store_dwordx4 off, v[28:31], off offset:80
	s_and_saveexec_b64 s[10:11], vcc
	s_cbranch_execz .LBB2068_473
; %bb.466:                              ;   in Loop: Header=BB2068_418 Depth=1
	v_cmp_eq_u16_sdwa s[14:15], v25, v10 src0_sel:BYTE_0 src1_sel:DWORD
	s_and_saveexec_b64 s[12:13], s[14:15]
	s_cbranch_execz .LBB2068_472
; %bb.467:                              ;   in Loop: Header=BB2068_418 Depth=1
	s_mov_b32 s3, 0
.LBB2068_468:                           ;   Parent Loop BB2068_418 Depth=1
                                        ; =>  This Inner Loop Header: Depth=2
	s_add_i32 s14, s3, 0
	s_add_i32 s3, s3, 8
	v_mov_b32_e32 v11, v10
	s_cmp_lg_u32 s3, 16
	scratch_store_dwordx2 off, v[10:11], s14
	s_cbranch_scc1 .LBB2068_468
; %bb.469:                              ;   in Loop: Header=BB2068_418 Depth=1
	s_mov_b32 s3, 0
.LBB2068_470:                           ;   Parent Loop BB2068_418 Depth=1
                                        ; =>  This Inner Loop Header: Depth=2
	s_add_i32 s14, s3, 0x50
	s_add_i32 s15, s3, 36
	scratch_load_dwordx2 v[2:3], off, s14
	scratch_load_dwordx2 v[4:5], off, s15
	s_add_i32 s14, s3, 0
	s_add_i32 s3, s3, 8
	s_cmp_lg_u32 s3, 16
	s_waitcnt vmcnt(0)
	v_add_u32_e32 v3, v5, v3
	v_add_u32_e32 v2, v4, v2
	scratch_store_dwordx2 off, v[2:3], s14
	s_cbranch_scc1 .LBB2068_470
; %bb.471:                              ;   in Loop: Header=BB2068_418 Depth=1
	scratch_load_dwordx4 v[2:5], off, off
.LBB2068_472:                           ;   in Loop: Header=BB2068_418 Depth=1
	s_or_b64 exec, exec, s[12:13]
	s_waitcnt lgkmcnt(0)
	v_and_b32_e32 v7, 1, v26
	v_cmp_eq_u32_e32 vcc, 1, v7
	s_or_b64 s[12:13], s[0:1], vcc
	v_cndmask_b32_e64 v7, 0, 1, s[12:13]
	s_andn2_b64 s[0:1], s[0:1], exec
	s_and_b64 s[12:13], s[12:13], exec
	s_or_b64 s[0:1], s[0:1], s[12:13]
	s_waitcnt vmcnt(0)
	scratch_store_dwordx4 off, v[2:5], off offset:36
	scratch_store_byte off, v7, off offset:52
.LBB2068_473:                           ;   in Loop: Header=BB2068_418 Depth=1
	s_or_b64 exec, exec, s[10:11]
	scratch_load_ubyte v7, off, off offset:32
                                        ; implicit-def: $vgpr4_vgpr5
	s_waitcnt vmcnt(0)
	v_cmp_ne_u16_e32 vcc, 0, v7
	s_and_saveexec_b64 s[10:11], vcc
	s_xor_b64 s[10:11], exec, s[10:11]
	s_cbranch_execz .LBB2068_475
; %bb.474:                              ;   in Loop: Header=BB2068_418 Depth=1
	scratch_load_dwordx4 v[2:5], off, off offset:16
.LBB2068_475:                           ;   in Loop: Header=BB2068_418 Depth=1
	s_andn2_saveexec_b64 s[10:11], s[10:11]
	s_cbranch_execz .LBB2068_417
; %bb.476:                              ;   in Loop: Header=BB2068_418 Depth=1
	s_mov_b32 s3, 0
.LBB2068_477:                           ;   Parent Loop BB2068_418 Depth=1
                                        ; =>  This Inner Loop Header: Depth=2
	s_add_i32 s12, s3, 0x50
	s_add_i32 s3, s3, 8
	v_mov_b32_e32 v11, v10
	s_cmp_lg_u32 s3, 16
	scratch_store_dwordx2 off, v[10:11], s12
	s_cbranch_scc1 .LBB2068_477
; %bb.478:                              ;   in Loop: Header=BB2068_418 Depth=1
	s_mov_b32 s3, 0
.LBB2068_479:                           ;   Parent Loop BB2068_418 Depth=1
                                        ; =>  This Inner Loop Header: Depth=2
	s_add_i32 s12, s3, 36
	s_add_i32 s13, s3, 16
	scratch_load_dwordx2 v[2:3], off, s12
	scratch_load_dwordx2 v[4:5], off, s13
	s_add_i32 s12, s3, 0x50
	s_add_i32 s3, s3, 8
	s_cmp_lg_u32 s3, 16
	s_waitcnt vmcnt(0)
	v_add_u32_e32 v3, v5, v3
	v_add_u32_e32 v2, v4, v2
	scratch_store_dwordx2 off, v[2:3], s12
	s_cbranch_scc1 .LBB2068_479
; %bb.480:                              ;   in Loop: Header=BB2068_418 Depth=1
	scratch_load_dwordx4 v[2:5], off, off offset:80
	s_branch .LBB2068_417
.LBB2068_481:                           ;   in Loop: Header=BB2068_418 Depth=1
                                        ; implicit-def: $vgpr6
                                        ; implicit-def: $vgpr1
	s_cbranch_execz .LBB2068_418
; %bb.482:
	scratch_load_dwordx4 v[2:5], off, off offset:16
	scratch_load_dword v1, off, off offset:32
	s_waitcnt vmcnt(1)
	scratch_store_dwordx4 off, v[2:5], off offset:80
	s_waitcnt vmcnt(1)
	scratch_store_dword off, v1, off offset:96
	s_and_saveexec_b64 s[0:1], s[6:7]
	s_cbranch_execz .LBB2068_492
; %bb.483:
	scratch_load_ubyte v12, off, off offset:72
                                        ; implicit-def: $vgpr10_vgpr11
                                        ; implicit-def: $vgpr9
	s_waitcnt vmcnt(0)
	v_cmp_ne_u16_e32 vcc, 0, v12
	s_and_saveexec_b64 s[6:7], vcc
	s_xor_b64 s[6:7], exec, s[6:7]
	s_cbranch_execz .LBB2068_485
; %bb.484:
	scratch_load_dwordx4 v[6:9], off, off offset:56
	s_waitcnt vmcnt(0)
	v_mov_b32_e32 v10, v7
	v_mov_b32_e32 v11, v8
.LBB2068_485:
	s_andn2_saveexec_b64 s[6:7], s[6:7]
	s_cbranch_execz .LBB2068_491
; %bb.486:
	v_mov_b32_e32 v6, 0
	s_mov_b32 s3, 0
	v_mov_b32_e32 v7, v6
.LBB2068_487:                           ; =>This Inner Loop Header: Depth=1
	s_add_i32 s10, s3, 16
	s_add_i32 s3, s3, 8
	s_cmp_lg_u32 s3, 16
	scratch_store_dwordx2 off, v[6:7], s10
	s_cbranch_scc1 .LBB2068_487
; %bb.488:
	s_mov_b32 s3, 0
.LBB2068_489:                           ; =>This Inner Loop Header: Depth=1
	s_add_i32 s10, s3, 0x50
	s_add_i32 s11, s3, 56
	scratch_load_dwordx2 v[6:7], off, s10
	scratch_load_dwordx2 v[8:9], off, s11
	s_add_i32 s10, s3, 16
	s_add_i32 s3, s3, 8
	s_cmp_lg_u32 s3, 16
	s_waitcnt vmcnt(0)
	v_add_u32_e32 v7, v9, v7
	v_add_u32_e32 v6, v8, v6
	scratch_store_dwordx2 off, v[6:7], s10
	s_cbranch_scc1 .LBB2068_489
; %bb.490:
	scratch_load_dwordx4 v[6:9], off, off offset:16
	s_waitcnt vmcnt(0)
	v_mov_b32_e32 v10, v7
	v_mov_b32_e32 v11, v8
.LBB2068_491:
	s_or_b64 exec, exec, s[6:7]
	s_add_i32 s6, s2, 64
	v_and_b32_e32 v7, 1, v12
	s_mul_i32 s2, s6, 20
	v_and_b32_e32 v8, 1, v1
	v_cmp_eq_u32_e32 vcc, 1, v7
	s_mul_hi_u32 s3, s6, 20
	s_add_u32 s2, s58, s2
	v_cndmask_b32_e64 v7, v8, 1, vcc
	s_addc_u32 s3, s59, s3
	v_mov_b32_e32 v8, 0
	global_store_dword v8, v6, s[2:3] sc1
	global_store_dword v8, v10, s[2:3] offset:4 sc1
	global_store_dword v8, v11, s[2:3] offset:8 sc1
	;; [unrolled: 1-line block ×4, first 2 shown]
	v_mov_b32_e32 v6, s6
	v_mov_b32_e32 v7, 2
	s_waitcnt vmcnt(0) lgkmcnt(0)
	global_store_byte v6, v7, s[60:61] sc1
.LBB2068_492:
	s_or_b64 exec, exec, s[0:1]
	s_and_b64 exec, exec, s[16:17]
	s_cbranch_execz .LBB2068_494
; %bb.493:
	v_mov_b32_e32 v6, 0
	ds_write_b128 v6, v[2:5]
	ds_write_b8 v6, v1 offset:16
.LBB2068_494:
	s_or_b64 exec, exec, s[8:9]
	s_waitcnt lgkmcnt(0)
	s_barrier
	scratch_load_ubyte v1, off, off offset:496
	v_mov_b32_e32 v2, 0
	ds_read_b128 v[8:11], v2
	ds_read_b32 v6, v2 offset:16
	s_waitcnt lgkmcnt(1)
	scratch_store_dwordx4 off, v[8:11], off offset:80
	s_waitcnt lgkmcnt(0)
	scratch_store_dword off, v6, off offset:96
	s_and_saveexec_b64 s[0:1], s[92:93]
	s_cbranch_execz .LBB2068_504
; %bb.495:
	s_waitcnt vmcnt(2)
	v_cmp_ne_u16_sdwa s[2:3], v1, v2 src0_sel:BYTE_0 src1_sel:DWORD
                                        ; implicit-def: $vgpr4_vgpr5
	s_and_saveexec_b64 s[6:7], s[2:3]
	s_xor_b64 s[6:7], exec, s[6:7]
	s_cbranch_execz .LBB2068_497
; %bb.496:
	scratch_load_dwordx4 v[2:5], off, off offset:480
.LBB2068_497:
	s_andn2_saveexec_b64 s[6:7], s[6:7]
	s_cbranch_execz .LBB2068_503
; %bb.498:
	s_waitcnt vmcnt(0)
	v_mov_b32_e32 v2, 0
	s_mov_b32 s2, 0
	v_mov_b32_e32 v3, v2
.LBB2068_499:                           ; =>This Inner Loop Header: Depth=1
	s_add_i32 s3, s2, 16
	s_add_i32 s2, s2, 8
	s_cmp_lg_u32 s2, 16
	scratch_store_dwordx2 off, v[2:3], s3
	s_cbranch_scc1 .LBB2068_499
; %bb.500:
	s_mov_b32 s2, 0
.LBB2068_501:                           ; =>This Inner Loop Header: Depth=1
	s_add_i32 s3, s2, 0x1c0
	s_add_i32 s8, s2, 0x1e0
	scratch_load_dwordx2 v[2:3], off, s3
	scratch_load_dwordx2 v[4:5], off, s8
	s_add_i32 s3, s2, 16
	s_add_i32 s2, s2, 8
	s_cmp_lg_u32 s2, 16
	s_waitcnt vmcnt(0)
	v_add_u32_e32 v3, v5, v3
	v_add_u32_e32 v2, v4, v2
	scratch_store_dwordx2 off, v[2:3], s3
	s_cbranch_scc1 .LBB2068_501
; %bb.502:
	scratch_load_dwordx4 v[2:5], off, off offset:16
.LBB2068_503:
	s_or_b64 exec, exec, s[6:7]
	scratch_load_ubyte v7, off, off offset:464
	s_waitcnt vmcnt(0)
	v_or_b32_e32 v1, v1, v7
	v_and_b32_e32 v1, 1, v1
	scratch_store_dwordx4 off, v[2:5], off offset:480
.LBB2068_504:
	s_or_b64 exec, exec, s[0:1]
	s_nop 0
	v_mov_b32_e32 v2, 0
	s_waitcnt vmcnt(2)
	v_cmp_ne_u16_sdwa s[0:1], v1, v2 src0_sel:BYTE_0 src1_sel:DWORD
                                        ; implicit-def: $vgpr4_vgpr5
	s_and_saveexec_b64 s[2:3], s[0:1]
	s_xor_b64 s[0:1], exec, s[2:3]
	s_cbranch_execz .LBB2068_506
; %bb.505:
	scratch_load_dwordx4 v[2:5], off, off offset:480
.LBB2068_506:
	s_andn2_saveexec_b64 s[0:1], s[0:1]
	s_cbranch_execz .LBB2068_512
; %bb.507:
	s_waitcnt vmcnt(0)
	v_mov_b32_e32 v2, 0
	s_mov_b32 s2, 0
	v_mov_b32_e32 v3, v2
.LBB2068_508:                           ; =>This Inner Loop Header: Depth=1
	s_add_i32 s3, s2, 16
	s_add_i32 s2, s2, 8
	s_cmp_lg_u32 s2, 16
	scratch_store_dwordx2 off, v[2:3], s3
	s_cbranch_scc1 .LBB2068_508
; %bb.509:
	s_mov_b32 s2, 0
.LBB2068_510:                           ; =>This Inner Loop Header: Depth=1
	s_add_i32 s3, s2, 0x50
	s_add_i32 s6, s2, 0x1e0
	scratch_load_dwordx2 v[2:3], off, s3
	scratch_load_dwordx2 v[4:5], off, s6
	s_add_i32 s3, s2, 16
	s_add_i32 s2, s2, 8
	s_cmp_lg_u32 s2, 16
	s_waitcnt vmcnt(0)
	v_add_u32_e32 v3, v5, v3
	v_add_u32_e32 v2, v4, v2
	scratch_store_dwordx2 off, v[2:3], s3
	s_cbranch_scc1 .LBB2068_510
; %bb.511:
	scratch_load_dwordx4 v[2:5], off, off offset:16
.LBB2068_512:
	s_or_b64 exec, exec, s[0:1]
	scratch_load_ubyte v7, off, off offset:516
	v_or_b32_e32 v1, v1, v6
	v_and_b32_e32 v1, 1, v1
	v_cmp_eq_u32_e32 vcc, 1, v1
	s_waitcnt vmcnt(1)
	scratch_store_dwordx4 off, v[2:5], off offset:480
	scratch_store_byte off, v1, off offset:496
                                        ; implicit-def: $vgpr4_vgpr5
	s_waitcnt vmcnt(2)
	v_cmp_ne_u16_e64 s[0:1], 0, v7
	s_and_saveexec_b64 s[2:3], s[0:1]
	s_xor_b64 s[0:1], exec, s[2:3]
	s_cbranch_execz .LBB2068_514
; %bb.513:
	scratch_load_dwordx4 v[2:5], off, off offset:500
.LBB2068_514:
	s_andn2_saveexec_b64 s[0:1], s[0:1]
	s_cbranch_execz .LBB2068_520
; %bb.515:
	s_waitcnt vmcnt(0)
	v_mov_b32_e32 v2, 0
	s_mov_b32 s2, 0
	v_mov_b32_e32 v3, v2
.LBB2068_516:                           ; =>This Inner Loop Header: Depth=1
	s_add_i32 s3, s2, 16
	s_add_i32 s2, s2, 8
	s_cmp_lg_u32 s2, 16
	scratch_store_dwordx2 off, v[2:3], s3
	s_cbranch_scc1 .LBB2068_516
; %bb.517:
	s_mov_b32 s2, 0
	v_mov_b32_e32 v1, 0x1e0
.LBB2068_518:                           ; =>This Inner Loop Header: Depth=1
	v_add_u32_e32 v2, s2, v1
	s_add_i32 s3, s2, 0x1e0
	v_add_u32_e32 v4, 20, v2
	scratch_load_dwordx2 v[2:3], off, s3
	s_nop 0
	scratch_load_dwordx2 v[4:5], v4, off
	s_add_i32 s3, s2, 16
	s_add_i32 s2, s2, 8
	s_cmp_lg_u32 s2, 16
	s_waitcnt vmcnt(0)
	v_add_u32_e32 v3, v5, v3
	v_add_u32_e32 v2, v4, v2
	scratch_store_dwordx2 off, v[2:3], s3
	s_cbranch_scc1 .LBB2068_518
; %bb.519:
	scratch_load_dwordx4 v[2:5], off, off offset:16
.LBB2068_520:
	s_or_b64 exec, exec, s[0:1]
	scratch_load_ubyte v1, off, off offset:536
	v_and_b32_e32 v6, 1, v7
	v_cmp_eq_u32_e64 s[0:1], 1, v6
	s_or_b64 s[0:1], s[0:1], vcc
	s_waitcnt vmcnt(0)
	v_cmp_ne_u16_e32 vcc, 0, v1
	v_cndmask_b32_e64 v6, 0, 1, s[0:1]
	scratch_store_dwordx4 off, v[2:5], off offset:500
	scratch_store_byte off, v6, off offset:516
                                        ; implicit-def: $vgpr4_vgpr5
	s_and_saveexec_b64 s[2:3], vcc
	s_xor_b64 s[6:7], exec, s[2:3]
	s_cbranch_execz .LBB2068_522
; %bb.521:
	scratch_load_dwordx4 v[2:5], off, off offset:520
.LBB2068_522:
	s_andn2_saveexec_b64 s[6:7], s[6:7]
	s_cbranch_execz .LBB2068_528
; %bb.523:
	s_waitcnt vmcnt(0)
	v_mov_b32_e32 v2, 0
	s_mov_b32 s2, 0
	v_mov_b32_e32 v3, v2
.LBB2068_524:                           ; =>This Inner Loop Header: Depth=1
	s_add_i32 s3, s2, 16
	s_add_i32 s2, s2, 8
	s_cmp_lg_u32 s2, 16
	scratch_store_dwordx2 off, v[2:3], s3
	s_cbranch_scc1 .LBB2068_524
; %bb.525:
	s_mov_b32 s2, 0
	v_mov_b32_e32 v2, 0x1e0
.LBB2068_526:                           ; =>This Inner Loop Header: Depth=1
	v_add_u32_e32 v3, s2, v2
	v_add_u32_e32 v8, 20, v3
	v_add_u32_e32 v3, 40, v3
	scratch_load_dwordx2 v[4:5], v8, off
	scratch_load_dwordx2 v[6:7], v3, off
	s_add_i32 s3, s2, 16
	s_add_i32 s2, s2, 8
	s_cmp_lg_u32 s2, 16
	s_waitcnt vmcnt(0)
	v_add_u32_e32 v5, v7, v5
	v_add_u32_e32 v4, v6, v4
	scratch_store_dwordx2 off, v[4:5], s3
	s_cbranch_scc1 .LBB2068_526
; %bb.527:
	scratch_load_dwordx4 v[2:5], off, off offset:16
.LBB2068_528:
	s_or_b64 exec, exec, s[6:7]
	scratch_load_ubyte v6, off, off offset:556
	v_and_b32_e32 v1, 1, v1
	v_cmp_eq_u32_e32 vcc, 1, v1
	s_or_b64 s[0:1], vcc, s[0:1]
	v_cndmask_b32_e64 v1, 0, 1, s[0:1]
	s_waitcnt vmcnt(1)
	scratch_store_dwordx4 off, v[2:5], off offset:520
	scratch_store_byte off, v1, off offset:536
                                        ; implicit-def: $vgpr4_vgpr5
	s_waitcnt vmcnt(2)
	v_cmp_ne_u16_e32 vcc, 0, v6
	s_and_saveexec_b64 s[2:3], vcc
	s_xor_b64 s[6:7], exec, s[2:3]
	s_cbranch_execz .LBB2068_530
; %bb.529:
	scratch_load_dwordx4 v[2:5], off, off offset:540
.LBB2068_530:
	s_andn2_saveexec_b64 s[6:7], s[6:7]
	s_cbranch_execz .LBB2068_536
; %bb.531:
	s_waitcnt vmcnt(0)
	v_mov_b32_e32 v2, 0
	s_mov_b32 s2, 0
	v_mov_b32_e32 v3, v2
.LBB2068_532:                           ; =>This Inner Loop Header: Depth=1
	s_add_i32 s3, s2, 16
	s_add_i32 s2, s2, 8
	s_cmp_lg_u32 s2, 16
	scratch_store_dwordx2 off, v[2:3], s3
	s_cbranch_scc1 .LBB2068_532
; %bb.533:
	s_mov_b32 s2, 0
	v_mov_b32_e32 v1, 0x1e0
.LBB2068_534:                           ; =>This Inner Loop Header: Depth=1
	v_add_u32_e32 v2, s2, v1
	v_add_u32_e32 v7, 40, v2
	v_add_u32_e32 v8, 60, v2
	scratch_load_dwordx2 v[2:3], v7, off
	scratch_load_dwordx2 v[4:5], v8, off
	s_add_i32 s3, s2, 16
	s_add_i32 s2, s2, 8
	s_cmp_lg_u32 s2, 16
	s_waitcnt vmcnt(0)
	v_add_u32_e32 v3, v5, v3
	v_add_u32_e32 v2, v4, v2
	scratch_store_dwordx2 off, v[2:3], s3
	s_cbranch_scc1 .LBB2068_534
; %bb.535:
	scratch_load_dwordx4 v[2:5], off, off offset:16
.LBB2068_536:
	s_or_b64 exec, exec, s[6:7]
	scratch_load_ubyte v1, off, off offset:576
	v_and_b32_e32 v6, 1, v6
	v_cmp_eq_u32_e32 vcc, 1, v6
	s_or_b64 s[0:1], vcc, s[0:1]
	v_cndmask_b32_e64 v6, 0, 1, s[0:1]
	s_waitcnt vmcnt(1)
	scratch_store_dwordx4 off, v[2:5], off offset:540
	scratch_store_byte off, v6, off offset:556
                                        ; implicit-def: $vgpr4_vgpr5
	s_waitcnt vmcnt(2)
	v_cmp_ne_u16_e32 vcc, 0, v1
	s_and_saveexec_b64 s[2:3], vcc
	s_xor_b64 s[6:7], exec, s[2:3]
	s_cbranch_execz .LBB2068_538
; %bb.537:
	scratch_load_dwordx4 v[2:5], off, off offset:560
.LBB2068_538:
	s_andn2_saveexec_b64 s[6:7], s[6:7]
	s_cbranch_execz .LBB2068_544
; %bb.539:
	s_waitcnt vmcnt(0)
	v_mov_b32_e32 v2, 0
	s_mov_b32 s2, 0
	v_mov_b32_e32 v3, v2
.LBB2068_540:                           ; =>This Inner Loop Header: Depth=1
	s_add_i32 s3, s2, 16
	s_add_i32 s2, s2, 8
	s_cmp_lg_u32 s2, 16
	scratch_store_dwordx2 off, v[2:3], s3
	s_cbranch_scc1 .LBB2068_540
; %bb.541:
	s_mov_b32 s2, 0
	v_mov_b32_e32 v2, 0x1e0
.LBB2068_542:                           ; =>This Inner Loop Header: Depth=1
	v_add_u32_e32 v3, s2, v2
	v_add_u32_e32 v8, 60, v3
	v_add_u32_e32 v3, 0x50, v3
	scratch_load_dwordx2 v[4:5], v8, off
	scratch_load_dwordx2 v[6:7], v3, off
	s_add_i32 s3, s2, 16
	s_add_i32 s2, s2, 8
	s_cmp_lg_u32 s2, 16
	s_waitcnt vmcnt(0)
	v_add_u32_e32 v5, v7, v5
	v_add_u32_e32 v4, v6, v4
	scratch_store_dwordx2 off, v[4:5], s3
	s_cbranch_scc1 .LBB2068_542
; %bb.543:
	scratch_load_dwordx4 v[2:5], off, off offset:16
.LBB2068_544:
	s_or_b64 exec, exec, s[6:7]
	scratch_load_ubyte v6, off, off offset:596
	v_and_b32_e32 v1, 1, v1
	v_cmp_eq_u32_e32 vcc, 1, v1
	s_or_b64 s[0:1], vcc, s[0:1]
	v_cndmask_b32_e64 v1, 0, 1, s[0:1]
	s_waitcnt vmcnt(1)
	scratch_store_dwordx4 off, v[2:5], off offset:560
	scratch_store_byte off, v1, off offset:576
                                        ; implicit-def: $vgpr4_vgpr5
	s_waitcnt vmcnt(2)
	v_cmp_ne_u16_e32 vcc, 0, v6
	s_and_saveexec_b64 s[2:3], vcc
	s_xor_b64 s[6:7], exec, s[2:3]
	s_cbranch_execz .LBB2068_546
; %bb.545:
	scratch_load_dwordx4 v[2:5], off, off offset:580
.LBB2068_546:
	s_andn2_saveexec_b64 s[6:7], s[6:7]
	s_cbranch_execz .LBB2068_552
; %bb.547:
	s_waitcnt vmcnt(0)
	v_mov_b32_e32 v2, 0
	s_mov_b32 s2, 0
	v_mov_b32_e32 v3, v2
.LBB2068_548:                           ; =>This Inner Loop Header: Depth=1
	s_add_i32 s3, s2, 16
	s_add_i32 s2, s2, 8
	s_cmp_lg_u32 s2, 16
	scratch_store_dwordx2 off, v[2:3], s3
	s_cbranch_scc1 .LBB2068_548
; %bb.549:
	s_mov_b32 s2, 0
	v_mov_b32_e32 v1, 0x1e0
.LBB2068_550:                           ; =>This Inner Loop Header: Depth=1
	v_add_u32_e32 v2, s2, v1
	v_add_u32_e32 v7, 0x50, v2
	v_add_u32_e32 v8, 0x64, v2
	scratch_load_dwordx2 v[2:3], v7, off
	scratch_load_dwordx2 v[4:5], v8, off
	s_add_i32 s3, s2, 16
	s_add_i32 s2, s2, 8
	s_cmp_lg_u32 s2, 16
	s_waitcnt vmcnt(0)
	v_add_u32_e32 v3, v5, v3
	v_add_u32_e32 v2, v4, v2
	scratch_store_dwordx2 off, v[2:3], s3
	s_cbranch_scc1 .LBB2068_550
; %bb.551:
	scratch_load_dwordx4 v[2:5], off, off offset:16
.LBB2068_552:
	s_or_b64 exec, exec, s[6:7]
	scratch_load_ubyte v1, off, off offset:616
	v_and_b32_e32 v6, 1, v6
	v_cmp_eq_u32_e32 vcc, 1, v6
	s_or_b64 s[0:1], vcc, s[0:1]
	v_cndmask_b32_e64 v6, 0, 1, s[0:1]
	s_waitcnt vmcnt(1)
	scratch_store_dwordx4 off, v[2:5], off offset:580
	scratch_store_byte off, v6, off offset:596
                                        ; implicit-def: $vgpr4_vgpr5
	s_waitcnt vmcnt(2)
	v_cmp_ne_u16_e32 vcc, 0, v1
	s_and_saveexec_b64 s[2:3], vcc
	s_xor_b64 s[6:7], exec, s[2:3]
	s_cbranch_execz .LBB2068_554
; %bb.553:
	scratch_load_dwordx4 v[2:5], off, off offset:600
.LBB2068_554:
	s_andn2_saveexec_b64 s[6:7], s[6:7]
	s_cbranch_execz .LBB2068_560
; %bb.555:
	s_waitcnt vmcnt(0)
	v_mov_b32_e32 v2, 0
	s_mov_b32 s2, 0
	v_mov_b32_e32 v3, v2
.LBB2068_556:                           ; =>This Inner Loop Header: Depth=1
	s_add_i32 s3, s2, 16
	s_add_i32 s2, s2, 8
	s_cmp_lg_u32 s2, 16
	scratch_store_dwordx2 off, v[2:3], s3
	s_cbranch_scc1 .LBB2068_556
; %bb.557:
	s_mov_b32 s2, 0
	v_mov_b32_e32 v2, 0x1e0
.LBB2068_558:                           ; =>This Inner Loop Header: Depth=1
	v_add_u32_e32 v3, s2, v2
	v_add_u32_e32 v8, 0x64, v3
	v_add_u32_e32 v3, 0x78, v3
	scratch_load_dwordx2 v[4:5], v8, off
	scratch_load_dwordx2 v[6:7], v3, off
	s_add_i32 s3, s2, 16
	s_add_i32 s2, s2, 8
	s_cmp_lg_u32 s2, 16
	s_waitcnt vmcnt(0)
	v_add_u32_e32 v5, v7, v5
	v_add_u32_e32 v4, v6, v4
	scratch_store_dwordx2 off, v[4:5], s3
	s_cbranch_scc1 .LBB2068_558
; %bb.559:
	scratch_load_dwordx4 v[2:5], off, off offset:16
.LBB2068_560:
	s_or_b64 exec, exec, s[6:7]
	scratch_load_ubyte v6, off, off offset:636
	v_and_b32_e32 v1, 1, v1
	v_cmp_eq_u32_e32 vcc, 1, v1
	s_or_b64 s[0:1], vcc, s[0:1]
	v_cndmask_b32_e64 v1, 0, 1, s[0:1]
	s_waitcnt vmcnt(1)
	scratch_store_dwordx4 off, v[2:5], off offset:600
	scratch_store_byte off, v1, off offset:616
                                        ; implicit-def: $vgpr4_vgpr5
	s_waitcnt vmcnt(2)
	v_cmp_ne_u16_e32 vcc, 0, v6
	s_and_saveexec_b64 s[2:3], vcc
	s_xor_b64 s[6:7], exec, s[2:3]
	s_cbranch_execz .LBB2068_562
; %bb.561:
	scratch_load_dwordx4 v[2:5], off, off offset:620
.LBB2068_562:
	s_andn2_saveexec_b64 s[6:7], s[6:7]
	s_cbranch_execz .LBB2068_568
; %bb.563:
	s_waitcnt vmcnt(0)
	v_mov_b32_e32 v2, 0
	s_mov_b32 s2, 0
	v_mov_b32_e32 v3, v2
.LBB2068_564:                           ; =>This Inner Loop Header: Depth=1
	s_add_i32 s3, s2, 16
	s_add_i32 s2, s2, 8
	s_cmp_lg_u32 s2, 16
	scratch_store_dwordx2 off, v[2:3], s3
	s_cbranch_scc1 .LBB2068_564
; %bb.565:
	s_mov_b32 s2, 0
	v_mov_b32_e32 v1, 0x1e0
.LBB2068_566:                           ; =>This Inner Loop Header: Depth=1
	v_add_u32_e32 v2, s2, v1
	v_add_u32_e32 v7, 0x78, v2
	v_add_u32_e32 v8, 0x8c, v2
	scratch_load_dwordx2 v[2:3], v7, off
	scratch_load_dwordx2 v[4:5], v8, off
	s_add_i32 s3, s2, 16
	s_add_i32 s2, s2, 8
	s_cmp_lg_u32 s2, 16
	s_waitcnt vmcnt(0)
	v_add_u32_e32 v3, v5, v3
	v_add_u32_e32 v2, v4, v2
	scratch_store_dwordx2 off, v[2:3], s3
	s_cbranch_scc1 .LBB2068_566
; %bb.567:
	scratch_load_dwordx4 v[2:5], off, off offset:16
.LBB2068_568:
	s_or_b64 exec, exec, s[6:7]
	scratch_load_ubyte v1, off, off offset:656
	v_and_b32_e32 v6, 1, v6
	v_cmp_eq_u32_e32 vcc, 1, v6
	s_or_b64 s[0:1], vcc, s[0:1]
	v_cndmask_b32_e64 v6, 0, 1, s[0:1]
	s_waitcnt vmcnt(1)
	scratch_store_dwordx4 off, v[2:5], off offset:620
	scratch_store_byte off, v6, off offset:636
                                        ; implicit-def: $vgpr4_vgpr5
	s_waitcnt vmcnt(2)
	v_cmp_ne_u16_e32 vcc, 0, v1
	s_and_saveexec_b64 s[2:3], vcc
	s_xor_b64 s[6:7], exec, s[2:3]
	s_cbranch_execz .LBB2068_570
; %bb.569:
	scratch_load_dwordx4 v[2:5], off, off offset:640
.LBB2068_570:
	s_andn2_saveexec_b64 s[6:7], s[6:7]
	s_cbranch_execz .LBB2068_576
; %bb.571:
	s_waitcnt vmcnt(0)
	v_mov_b32_e32 v2, 0
	s_mov_b32 s2, 0
	v_mov_b32_e32 v3, v2
.LBB2068_572:                           ; =>This Inner Loop Header: Depth=1
	s_add_i32 s3, s2, 16
	s_add_i32 s2, s2, 8
	s_cmp_lg_u32 s2, 16
	scratch_store_dwordx2 off, v[2:3], s3
	s_cbranch_scc1 .LBB2068_572
; %bb.573:
	s_mov_b32 s2, 0
	v_mov_b32_e32 v2, 0x1e0
.LBB2068_574:                           ; =>This Inner Loop Header: Depth=1
	v_add_u32_e32 v3, s2, v2
	v_add_u32_e32 v8, 0x8c, v3
	v_add_u32_e32 v3, 0xa0, v3
	scratch_load_dwordx2 v[4:5], v8, off
	scratch_load_dwordx2 v[6:7], v3, off
	s_add_i32 s3, s2, 16
	s_add_i32 s2, s2, 8
	s_cmp_lg_u32 s2, 16
	s_waitcnt vmcnt(0)
	v_add_u32_e32 v5, v7, v5
	v_add_u32_e32 v4, v6, v4
	scratch_store_dwordx2 off, v[4:5], s3
	s_cbranch_scc1 .LBB2068_574
; %bb.575:
	scratch_load_dwordx4 v[2:5], off, off offset:16
.LBB2068_576:
	s_or_b64 exec, exec, s[6:7]
	scratch_load_ubyte v6, off, off offset:676
	v_and_b32_e32 v1, 1, v1
	v_cmp_eq_u32_e32 vcc, 1, v1
	s_or_b64 s[0:1], vcc, s[0:1]
	v_cndmask_b32_e64 v1, 0, 1, s[0:1]
	s_waitcnt vmcnt(1)
	scratch_store_dwordx4 off, v[2:5], off offset:640
	scratch_store_byte off, v1, off offset:656
                                        ; implicit-def: $vgpr4_vgpr5
	s_waitcnt vmcnt(2)
	v_cmp_ne_u16_e32 vcc, 0, v6
	s_and_saveexec_b64 s[2:3], vcc
	s_xor_b64 s[6:7], exec, s[2:3]
	s_cbranch_execz .LBB2068_578
; %bb.577:
	scratch_load_dwordx4 v[2:5], off, off offset:660
.LBB2068_578:
	s_andn2_saveexec_b64 s[6:7], s[6:7]
	s_cbranch_execz .LBB2068_584
; %bb.579:
	s_waitcnt vmcnt(0)
	v_mov_b32_e32 v2, 0
	s_mov_b32 s2, 0
	v_mov_b32_e32 v3, v2
.LBB2068_580:                           ; =>This Inner Loop Header: Depth=1
	s_add_i32 s3, s2, 16
	s_add_i32 s2, s2, 8
	s_cmp_lg_u32 s2, 16
	scratch_store_dwordx2 off, v[2:3], s3
	s_cbranch_scc1 .LBB2068_580
; %bb.581:
	s_mov_b32 s2, 0
	v_mov_b32_e32 v1, 0x1e0
.LBB2068_582:                           ; =>This Inner Loop Header: Depth=1
	v_add_u32_e32 v2, s2, v1
	v_add_u32_e32 v7, 0xa0, v2
	v_add_u32_e32 v8, 0xb4, v2
	scratch_load_dwordx2 v[2:3], v7, off
	scratch_load_dwordx2 v[4:5], v8, off
	s_add_i32 s3, s2, 16
	s_add_i32 s2, s2, 8
	s_cmp_lg_u32 s2, 16
	s_waitcnt vmcnt(0)
	v_add_u32_e32 v3, v5, v3
	v_add_u32_e32 v2, v4, v2
	scratch_store_dwordx2 off, v[2:3], s3
	s_cbranch_scc1 .LBB2068_582
; %bb.583:
	scratch_load_dwordx4 v[2:5], off, off offset:16
.LBB2068_584:
	s_or_b64 exec, exec, s[6:7]
	scratch_load_ubyte v1, off, off offset:696
	v_and_b32_e32 v6, 1, v6
	v_cmp_eq_u32_e32 vcc, 1, v6
	s_or_b64 s[0:1], vcc, s[0:1]
	v_cndmask_b32_e64 v6, 0, 1, s[0:1]
	s_waitcnt vmcnt(1)
	scratch_store_dwordx4 off, v[2:5], off offset:660
	scratch_store_byte off, v6, off offset:676
                                        ; implicit-def: $vgpr4_vgpr5
	s_waitcnt vmcnt(2)
	v_cmp_ne_u16_e32 vcc, 0, v1
	s_and_saveexec_b64 s[2:3], vcc
	s_xor_b64 s[6:7], exec, s[2:3]
	s_cbranch_execz .LBB2068_586
; %bb.585:
	scratch_load_dwordx4 v[2:5], off, off offset:680
.LBB2068_586:
	s_andn2_saveexec_b64 s[6:7], s[6:7]
	s_cbranch_execz .LBB2068_592
; %bb.587:
	s_waitcnt vmcnt(0)
	v_mov_b32_e32 v2, 0
	s_mov_b32 s2, 0
	v_mov_b32_e32 v3, v2
.LBB2068_588:                           ; =>This Inner Loop Header: Depth=1
	s_add_i32 s3, s2, 16
	s_add_i32 s2, s2, 8
	s_cmp_lg_u32 s2, 16
	scratch_store_dwordx2 off, v[2:3], s3
	s_cbranch_scc1 .LBB2068_588
; %bb.589:
	s_mov_b32 s2, 0
	v_mov_b32_e32 v2, 0x1e0
.LBB2068_590:                           ; =>This Inner Loop Header: Depth=1
	v_add_u32_e32 v3, s2, v2
	v_add_u32_e32 v8, 0xb4, v3
	v_add_u32_e32 v3, 0xc8, v3
	scratch_load_dwordx2 v[4:5], v8, off
	scratch_load_dwordx2 v[6:7], v3, off
	s_add_i32 s3, s2, 16
	s_add_i32 s2, s2, 8
	s_cmp_lg_u32 s2, 16
	s_waitcnt vmcnt(0)
	v_add_u32_e32 v5, v7, v5
	v_add_u32_e32 v4, v6, v4
	scratch_store_dwordx2 off, v[4:5], s3
	s_cbranch_scc1 .LBB2068_590
; %bb.591:
	scratch_load_dwordx4 v[2:5], off, off offset:16
.LBB2068_592:
	s_or_b64 exec, exec, s[6:7]
	scratch_load_ubyte v6, off, off offset:716
	v_and_b32_e32 v1, 1, v1
	v_cmp_eq_u32_e32 vcc, 1, v1
	s_or_b64 s[0:1], vcc, s[0:1]
	v_cndmask_b32_e64 v1, 0, 1, s[0:1]
	s_waitcnt vmcnt(1)
	scratch_store_dwordx4 off, v[2:5], off offset:680
	scratch_store_byte off, v1, off offset:696
                                        ; implicit-def: $vgpr4_vgpr5
	s_waitcnt vmcnt(2)
	v_cmp_ne_u16_e32 vcc, 0, v6
	s_and_saveexec_b64 s[2:3], vcc
	s_xor_b64 s[6:7], exec, s[2:3]
	s_cbranch_execz .LBB2068_594
; %bb.593:
	scratch_load_dwordx4 v[2:5], off, off offset:700
.LBB2068_594:
	s_andn2_saveexec_b64 s[6:7], s[6:7]
	s_cbranch_execz .LBB2068_600
; %bb.595:
	s_waitcnt vmcnt(0)
	v_mov_b32_e32 v2, 0
	s_mov_b32 s2, 0
	v_mov_b32_e32 v3, v2
.LBB2068_596:                           ; =>This Inner Loop Header: Depth=1
	s_add_i32 s3, s2, 16
	s_add_i32 s2, s2, 8
	s_cmp_lg_u32 s2, 16
	scratch_store_dwordx2 off, v[2:3], s3
	s_cbranch_scc1 .LBB2068_596
; %bb.597:
	s_mov_b32 s2, 0
	v_mov_b32_e32 v1, 0x1e0
.LBB2068_598:                           ; =>This Inner Loop Header: Depth=1
	v_add_u32_e32 v2, s2, v1
	v_add_u32_e32 v7, 0xc8, v2
	v_add_u32_e32 v8, 0xdc, v2
	scratch_load_dwordx2 v[2:3], v7, off
	scratch_load_dwordx2 v[4:5], v8, off
	s_add_i32 s3, s2, 16
	s_add_i32 s2, s2, 8
	s_cmp_lg_u32 s2, 16
	s_waitcnt vmcnt(0)
	v_add_u32_e32 v3, v5, v3
	v_add_u32_e32 v2, v4, v2
	scratch_store_dwordx2 off, v[2:3], s3
	s_cbranch_scc1 .LBB2068_598
; %bb.599:
	scratch_load_dwordx4 v[2:5], off, off offset:16
.LBB2068_600:
	s_or_b64 exec, exec, s[6:7]
	scratch_load_ubyte v1, off, off offset:736
	v_and_b32_e32 v6, 1, v6
	v_cmp_eq_u32_e32 vcc, 1, v6
	s_or_b64 s[0:1], vcc, s[0:1]
	v_cndmask_b32_e64 v6, 0, 1, s[0:1]
	s_waitcnt vmcnt(1)
	scratch_store_dwordx4 off, v[2:5], off offset:700
	scratch_store_byte off, v6, off offset:716
                                        ; implicit-def: $vgpr4_vgpr5
	s_waitcnt vmcnt(2)
	v_cmp_ne_u16_e32 vcc, 0, v1
	s_and_saveexec_b64 s[2:3], vcc
	s_xor_b64 s[6:7], exec, s[2:3]
	s_cbranch_execz .LBB2068_602
; %bb.601:
	scratch_load_dwordx4 v[2:5], off, off offset:720
.LBB2068_602:
	s_andn2_saveexec_b64 s[6:7], s[6:7]
	s_cbranch_execz .LBB2068_608
; %bb.603:
	s_waitcnt vmcnt(0)
	v_mov_b32_e32 v2, 0
	s_mov_b32 s2, 0
	v_mov_b32_e32 v3, v2
.LBB2068_604:                           ; =>This Inner Loop Header: Depth=1
	s_add_i32 s3, s2, 16
	s_add_i32 s2, s2, 8
	s_cmp_lg_u32 s2, 16
	scratch_store_dwordx2 off, v[2:3], s3
	s_cbranch_scc1 .LBB2068_604
; %bb.605:
	s_mov_b32 s2, 0
	v_mov_b32_e32 v2, 0x1e0
.LBB2068_606:                           ; =>This Inner Loop Header: Depth=1
	v_add_u32_e32 v3, s2, v2
	v_add_u32_e32 v8, 0xdc, v3
	v_add_u32_e32 v3, 0xf0, v3
	scratch_load_dwordx2 v[4:5], v8, off
	scratch_load_dwordx2 v[6:7], v3, off
	s_add_i32 s3, s2, 16
	s_add_i32 s2, s2, 8
	s_cmp_lg_u32 s2, 16
	s_waitcnt vmcnt(0)
	v_add_u32_e32 v5, v7, v5
	v_add_u32_e32 v4, v6, v4
	scratch_store_dwordx2 off, v[4:5], s3
	s_cbranch_scc1 .LBB2068_606
; %bb.607:
	scratch_load_dwordx4 v[2:5], off, off offset:16
.LBB2068_608:
	s_or_b64 exec, exec, s[6:7]
	scratch_load_ubyte v6, off, off offset:756
	v_and_b32_e32 v1, 1, v1
	v_cmp_eq_u32_e32 vcc, 1, v1
	s_or_b64 s[0:1], vcc, s[0:1]
	v_cndmask_b32_e64 v1, 0, 1, s[0:1]
	s_waitcnt vmcnt(1)
	scratch_store_dwordx4 off, v[2:5], off offset:720
	scratch_store_byte off, v1, off offset:736
                                        ; implicit-def: $vgpr4_vgpr5
	s_waitcnt vmcnt(2)
	v_cmp_ne_u16_e32 vcc, 0, v6
	s_and_saveexec_b64 s[2:3], vcc
	s_xor_b64 s[6:7], exec, s[2:3]
	s_cbranch_execz .LBB2068_610
; %bb.609:
	scratch_load_dwordx4 v[2:5], off, off offset:740
.LBB2068_610:
	s_andn2_saveexec_b64 s[6:7], s[6:7]
	s_cbranch_execz .LBB2068_616
; %bb.611:
	s_waitcnt vmcnt(0)
	v_mov_b32_e32 v2, 0
	s_mov_b32 s2, 0
	v_mov_b32_e32 v3, v2
.LBB2068_612:                           ; =>This Inner Loop Header: Depth=1
	s_add_i32 s3, s2, 16
	s_add_i32 s2, s2, 8
	s_cmp_lg_u32 s2, 16
	scratch_store_dwordx2 off, v[2:3], s3
	s_cbranch_scc1 .LBB2068_612
; %bb.613:
	s_mov_b32 s2, 0
	v_mov_b32_e32 v1, 0x1e0
.LBB2068_614:                           ; =>This Inner Loop Header: Depth=1
	v_add_u32_e32 v2, s2, v1
	v_add_u32_e32 v7, 0xf0, v2
	v_add_u32_e32 v8, 0x104, v2
	scratch_load_dwordx2 v[2:3], v7, off
	scratch_load_dwordx2 v[4:5], v8, off
	s_add_i32 s3, s2, 16
	s_add_i32 s2, s2, 8
	s_cmp_lg_u32 s2, 16
	s_waitcnt vmcnt(0)
	v_add_u32_e32 v3, v5, v3
	v_add_u32_e32 v2, v4, v2
	scratch_store_dwordx2 off, v[2:3], s3
	s_cbranch_scc1 .LBB2068_614
; %bb.615:
	scratch_load_dwordx4 v[2:5], off, off offset:16
.LBB2068_616:
	s_or_b64 exec, exec, s[6:7]
	scratch_load_ubyte v1, off, off offset:776
	v_and_b32_e32 v6, 1, v6
	v_cmp_eq_u32_e32 vcc, 1, v6
	s_or_b64 s[0:1], vcc, s[0:1]
	v_cndmask_b32_e64 v6, 0, 1, s[0:1]
	s_waitcnt vmcnt(1)
	scratch_store_dwordx4 off, v[2:5], off offset:740
	scratch_store_byte off, v6, off offset:756
                                        ; implicit-def: $vgpr4_vgpr5
	s_waitcnt vmcnt(2)
	v_cmp_ne_u16_e32 vcc, 0, v1
	s_and_saveexec_b64 s[2:3], vcc
	s_xor_b64 s[6:7], exec, s[2:3]
	s_cbranch_execz .LBB2068_618
; %bb.617:
	scratch_load_dwordx4 v[2:5], off, off offset:760
.LBB2068_618:
	s_andn2_saveexec_b64 s[6:7], s[6:7]
	s_cbranch_execz .LBB2068_624
; %bb.619:
	s_waitcnt vmcnt(0)
	v_mov_b32_e32 v2, 0
	s_mov_b32 s2, 0
	v_mov_b32_e32 v3, v2
.LBB2068_620:                           ; =>This Inner Loop Header: Depth=1
	s_add_i32 s3, s2, 16
	s_add_i32 s2, s2, 8
	s_cmp_lg_u32 s2, 16
	scratch_store_dwordx2 off, v[2:3], s3
	s_cbranch_scc1 .LBB2068_620
; %bb.621:
	s_mov_b32 s2, 0
	v_mov_b32_e32 v2, 0x1e0
.LBB2068_622:                           ; =>This Inner Loop Header: Depth=1
	v_add_u32_e32 v3, s2, v2
	v_add_u32_e32 v8, 0x104, v3
	v_add_u32_e32 v3, 0x118, v3
	scratch_load_dwordx2 v[4:5], v8, off
	scratch_load_dwordx2 v[6:7], v3, off
	s_add_i32 s3, s2, 16
	s_add_i32 s2, s2, 8
	s_cmp_lg_u32 s2, 16
	s_waitcnt vmcnt(0)
	v_add_u32_e32 v5, v7, v5
	v_add_u32_e32 v4, v6, v4
	scratch_store_dwordx2 off, v[4:5], s3
	s_cbranch_scc1 .LBB2068_622
; %bb.623:
	scratch_load_dwordx4 v[2:5], off, off offset:16
.LBB2068_624:
	s_or_b64 exec, exec, s[6:7]
	scratch_load_ubyte v6, off, off offset:796
	v_and_b32_e32 v1, 1, v1
	v_cmp_eq_u32_e32 vcc, 1, v1
	s_or_b64 s[0:1], vcc, s[0:1]
	v_cndmask_b32_e64 v1, 0, 1, s[0:1]
	s_waitcnt vmcnt(1)
	scratch_store_dwordx4 off, v[2:5], off offset:760
	scratch_store_byte off, v1, off offset:776
                                        ; implicit-def: $vgpr4_vgpr5
	s_waitcnt vmcnt(2)
	v_cmp_ne_u16_e32 vcc, 0, v6
	s_and_saveexec_b64 s[2:3], vcc
	s_xor_b64 s[6:7], exec, s[2:3]
	s_cbranch_execz .LBB2068_626
; %bb.625:
	scratch_load_dwordx4 v[2:5], off, off offset:780
.LBB2068_626:
	s_andn2_saveexec_b64 s[6:7], s[6:7]
	s_cbranch_execz .LBB2068_632
; %bb.627:
	s_waitcnt vmcnt(0)
	v_mov_b32_e32 v2, 0
	s_mov_b32 s2, 0
	v_mov_b32_e32 v3, v2
.LBB2068_628:                           ; =>This Inner Loop Header: Depth=1
	s_add_i32 s3, s2, 16
	s_add_i32 s2, s2, 8
	s_cmp_lg_u32 s2, 16
	scratch_store_dwordx2 off, v[2:3], s3
	s_cbranch_scc1 .LBB2068_628
; %bb.629:
	s_mov_b32 s2, 0
	v_mov_b32_e32 v1, 0x1e0
.LBB2068_630:                           ; =>This Inner Loop Header: Depth=1
	v_add_u32_e32 v2, s2, v1
	v_add_u32_e32 v7, 0x118, v2
	v_add_u32_e32 v8, 0x12c, v2
	scratch_load_dwordx2 v[2:3], v7, off
	scratch_load_dwordx2 v[4:5], v8, off
	s_add_i32 s3, s2, 16
	s_add_i32 s2, s2, 8
	s_cmp_lg_u32 s2, 16
	s_waitcnt vmcnt(0)
	v_add_u32_e32 v3, v5, v3
	v_add_u32_e32 v2, v4, v2
	scratch_store_dwordx2 off, v[2:3], s3
	s_cbranch_scc1 .LBB2068_630
; %bb.631:
	scratch_load_dwordx4 v[2:5], off, off offset:16
.LBB2068_632:
	s_or_b64 exec, exec, s[6:7]
	scratch_load_ubyte v1, off, off offset:816
	v_and_b32_e32 v6, 1, v6
	v_cmp_eq_u32_e32 vcc, 1, v6
	s_or_b64 s[0:1], vcc, s[0:1]
	v_cndmask_b32_e64 v6, 0, 1, s[0:1]
	s_waitcnt vmcnt(1)
	scratch_store_dwordx4 off, v[2:5], off offset:780
	scratch_store_byte off, v6, off offset:796
                                        ; implicit-def: $vgpr4_vgpr5
	s_waitcnt vmcnt(2)
	v_cmp_ne_u16_e32 vcc, 0, v1
	s_and_saveexec_b64 s[2:3], vcc
	s_xor_b64 s[6:7], exec, s[2:3]
	s_cbranch_execz .LBB2068_634
; %bb.633:
	scratch_load_dwordx4 v[2:5], off, off offset:800
.LBB2068_634:
	s_andn2_saveexec_b64 s[6:7], s[6:7]
	s_cbranch_execz .LBB2068_640
; %bb.635:
	s_waitcnt vmcnt(0)
	v_mov_b32_e32 v2, 0
	s_mov_b32 s2, 0
	v_mov_b32_e32 v3, v2
.LBB2068_636:                           ; =>This Inner Loop Header: Depth=1
	s_add_i32 s3, s2, 16
	s_add_i32 s2, s2, 8
	s_cmp_lg_u32 s2, 16
	scratch_store_dwordx2 off, v[2:3], s3
	s_cbranch_scc1 .LBB2068_636
; %bb.637:
	s_mov_b32 s2, 0
	v_mov_b32_e32 v2, 0x1e0
.LBB2068_638:                           ; =>This Inner Loop Header: Depth=1
	v_add_u32_e32 v3, s2, v2
	v_add_u32_e32 v8, 0x12c, v3
	v_add_u32_e32 v3, 0x140, v3
	scratch_load_dwordx2 v[4:5], v8, off
	scratch_load_dwordx2 v[6:7], v3, off
	s_add_i32 s3, s2, 16
	s_add_i32 s2, s2, 8
	s_cmp_lg_u32 s2, 16
	s_waitcnt vmcnt(0)
	v_add_u32_e32 v5, v7, v5
	v_add_u32_e32 v4, v6, v4
	scratch_store_dwordx2 off, v[4:5], s3
	s_cbranch_scc1 .LBB2068_638
; %bb.639:
	scratch_load_dwordx4 v[2:5], off, off offset:16
.LBB2068_640:
	s_or_b64 exec, exec, s[6:7]
	scratch_load_ubyte v6, off, off offset:836
	v_and_b32_e32 v1, 1, v1
	v_cmp_eq_u32_e32 vcc, 1, v1
	s_or_b64 s[0:1], vcc, s[0:1]
	v_cndmask_b32_e64 v1, 0, 1, s[0:1]
	s_waitcnt vmcnt(1)
	scratch_store_dwordx4 off, v[2:5], off offset:800
	scratch_store_byte off, v1, off offset:816
                                        ; implicit-def: $vgpr4_vgpr5
	s_waitcnt vmcnt(2)
	v_cmp_ne_u16_e32 vcc, 0, v6
	s_and_saveexec_b64 s[2:3], vcc
	s_xor_b64 s[6:7], exec, s[2:3]
	s_cbranch_execz .LBB2068_642
; %bb.641:
	scratch_load_dwordx4 v[2:5], off, off offset:820
.LBB2068_642:
	s_andn2_saveexec_b64 s[6:7], s[6:7]
	s_cbranch_execz .LBB2068_648
; %bb.643:
	s_waitcnt vmcnt(0)
	v_mov_b32_e32 v2, 0
	s_mov_b32 s2, 0
	v_mov_b32_e32 v3, v2
.LBB2068_644:                           ; =>This Inner Loop Header: Depth=1
	s_add_i32 s3, s2, 16
	s_add_i32 s2, s2, 8
	s_cmp_lg_u32 s2, 16
	scratch_store_dwordx2 off, v[2:3], s3
	s_cbranch_scc1 .LBB2068_644
; %bb.645:
	s_mov_b32 s2, 0
	v_mov_b32_e32 v1, 0x1e0
.LBB2068_646:                           ; =>This Inner Loop Header: Depth=1
	v_add_u32_e32 v2, s2, v1
	v_add_u32_e32 v7, 0x140, v2
	v_add_u32_e32 v8, 0x154, v2
	scratch_load_dwordx2 v[2:3], v7, off
	scratch_load_dwordx2 v[4:5], v8, off
	s_add_i32 s3, s2, 16
	s_add_i32 s2, s2, 8
	s_cmp_lg_u32 s2, 16
	s_waitcnt vmcnt(0)
	v_add_u32_e32 v3, v5, v3
	v_add_u32_e32 v2, v4, v2
	scratch_store_dwordx2 off, v[2:3], s3
	s_cbranch_scc1 .LBB2068_646
; %bb.647:
	scratch_load_dwordx4 v[2:5], off, off offset:16
.LBB2068_648:
	s_or_b64 exec, exec, s[6:7]
	scratch_load_ubyte v1, off, off offset:856
	v_and_b32_e32 v6, 1, v6
	v_cmp_eq_u32_e32 vcc, 1, v6
	s_or_b64 s[0:1], vcc, s[0:1]
	v_cndmask_b32_e64 v6, 0, 1, s[0:1]
	s_waitcnt vmcnt(1)
	scratch_store_dwordx4 off, v[2:5], off offset:820
	scratch_store_byte off, v6, off offset:836
                                        ; implicit-def: $vgpr4_vgpr5
	s_waitcnt vmcnt(2)
	v_cmp_ne_u16_e32 vcc, 0, v1
	s_and_saveexec_b64 s[2:3], vcc
	s_xor_b64 s[6:7], exec, s[2:3]
	s_cbranch_execz .LBB2068_650
; %bb.649:
	scratch_load_dwordx4 v[2:5], off, off offset:840
.LBB2068_650:
	s_andn2_saveexec_b64 s[6:7], s[6:7]
	s_cbranch_execz .LBB2068_656
; %bb.651:
	s_waitcnt vmcnt(0)
	v_mov_b32_e32 v2, 0
	s_mov_b32 s2, 0
	v_mov_b32_e32 v3, v2
.LBB2068_652:                           ; =>This Inner Loop Header: Depth=1
	s_add_i32 s3, s2, 16
	s_add_i32 s2, s2, 8
	s_cmp_lg_u32 s2, 16
	scratch_store_dwordx2 off, v[2:3], s3
	s_cbranch_scc1 .LBB2068_652
; %bb.653:
	s_mov_b32 s2, 0
	v_mov_b32_e32 v2, 0x1e0
.LBB2068_654:                           ; =>This Inner Loop Header: Depth=1
	v_add_u32_e32 v3, s2, v2
	v_add_u32_e32 v8, 0x154, v3
	v_add_u32_e32 v3, 0x168, v3
	scratch_load_dwordx2 v[4:5], v8, off
	scratch_load_dwordx2 v[6:7], v3, off
	s_add_i32 s3, s2, 16
	s_add_i32 s2, s2, 8
	s_cmp_lg_u32 s2, 16
	s_waitcnt vmcnt(0)
	v_add_u32_e32 v5, v7, v5
	v_add_u32_e32 v4, v6, v4
	scratch_store_dwordx2 off, v[4:5], s3
	s_cbranch_scc1 .LBB2068_654
; %bb.655:
	scratch_load_dwordx4 v[2:5], off, off offset:16
.LBB2068_656:
	s_or_b64 exec, exec, s[6:7]
	scratch_load_ubyte v6, off, off offset:876
	v_and_b32_e32 v1, 1, v1
	v_cmp_eq_u32_e32 vcc, 1, v1
	s_or_b64 s[0:1], vcc, s[0:1]
	v_cndmask_b32_e64 v1, 0, 1, s[0:1]
	s_waitcnt vmcnt(1)
	scratch_store_dwordx4 off, v[2:5], off offset:840
	scratch_store_byte off, v1, off offset:856
                                        ; implicit-def: $vgpr4_vgpr5
	s_waitcnt vmcnt(2)
	v_cmp_ne_u16_e32 vcc, 0, v6
	s_and_saveexec_b64 s[2:3], vcc
	s_xor_b64 s[6:7], exec, s[2:3]
	s_cbranch_execz .LBB2068_658
; %bb.657:
	scratch_load_dwordx4 v[2:5], off, off offset:860
.LBB2068_658:
	s_andn2_saveexec_b64 s[6:7], s[6:7]
	s_cbranch_execz .LBB2068_664
; %bb.659:
	s_waitcnt vmcnt(0)
	v_mov_b32_e32 v2, 0
	s_mov_b32 s2, 0
	v_mov_b32_e32 v3, v2
.LBB2068_660:                           ; =>This Inner Loop Header: Depth=1
	s_add_i32 s3, s2, 16
	s_add_i32 s2, s2, 8
	s_cmp_lg_u32 s2, 16
	scratch_store_dwordx2 off, v[2:3], s3
	s_cbranch_scc1 .LBB2068_660
; %bb.661:
	s_mov_b32 s2, 0
	v_mov_b32_e32 v1, 0x1e0
.LBB2068_662:                           ; =>This Inner Loop Header: Depth=1
	v_add_u32_e32 v2, s2, v1
	v_add_u32_e32 v7, 0x168, v2
	v_add_u32_e32 v8, 0x17c, v2
	scratch_load_dwordx2 v[2:3], v7, off
	scratch_load_dwordx2 v[4:5], v8, off
	s_add_i32 s3, s2, 16
	s_add_i32 s2, s2, 8
	s_cmp_lg_u32 s2, 16
	s_waitcnt vmcnt(0)
	v_add_u32_e32 v3, v5, v3
	v_add_u32_e32 v2, v4, v2
	scratch_store_dwordx2 off, v[2:3], s3
	s_cbranch_scc1 .LBB2068_662
; %bb.663:
	scratch_load_dwordx4 v[2:5], off, off offset:16
.LBB2068_664:
	s_or_b64 exec, exec, s[6:7]
	scratch_load_ubyte v1, off, off offset:896
	v_and_b32_e32 v6, 1, v6
	v_cmp_eq_u32_e32 vcc, 1, v6
	s_or_b64 s[0:1], vcc, s[0:1]
	v_cndmask_b32_e64 v6, 0, 1, s[0:1]
	s_waitcnt vmcnt(1)
	scratch_store_dwordx4 off, v[2:5], off offset:860
	scratch_store_byte off, v6, off offset:876
                                        ; implicit-def: $vgpr4_vgpr5
	s_waitcnt vmcnt(2)
	v_cmp_ne_u16_e32 vcc, 0, v1
	s_and_saveexec_b64 s[2:3], vcc
	s_xor_b64 s[6:7], exec, s[2:3]
	s_cbranch_execz .LBB2068_666
; %bb.665:
	scratch_load_dwordx4 v[2:5], off, off offset:880
.LBB2068_666:
	s_andn2_saveexec_b64 s[6:7], s[6:7]
	s_cbranch_execz .LBB2068_672
; %bb.667:
	s_waitcnt vmcnt(0)
	v_mov_b32_e32 v2, 0
	s_mov_b32 s2, 0
	v_mov_b32_e32 v3, v2
.LBB2068_668:                           ; =>This Inner Loop Header: Depth=1
	s_add_i32 s3, s2, 16
	s_add_i32 s2, s2, 8
	s_cmp_lg_u32 s2, 16
	scratch_store_dwordx2 off, v[2:3], s3
	s_cbranch_scc1 .LBB2068_668
; %bb.669:
	s_mov_b32 s2, 0
	v_mov_b32_e32 v2, 0x1e0
.LBB2068_670:                           ; =>This Inner Loop Header: Depth=1
	v_add_u32_e32 v3, s2, v2
	v_add_u32_e32 v8, 0x17c, v3
	v_add_u32_e32 v3, 0x190, v3
	scratch_load_dwordx2 v[4:5], v8, off
	scratch_load_dwordx2 v[6:7], v3, off
	s_add_i32 s3, s2, 16
	s_add_i32 s2, s2, 8
	s_cmp_lg_u32 s2, 16
	s_waitcnt vmcnt(0)
	v_add_u32_e32 v5, v7, v5
	v_add_u32_e32 v4, v6, v4
	scratch_store_dwordx2 off, v[4:5], s3
	s_cbranch_scc1 .LBB2068_670
; %bb.671:
	scratch_load_dwordx4 v[2:5], off, off offset:16
.LBB2068_672:
	s_or_b64 exec, exec, s[6:7]
	scratch_load_ubyte v6, off, off offset:916
	v_and_b32_e32 v1, 1, v1
	v_cmp_eq_u32_e32 vcc, 1, v1
	s_or_b64 s[0:1], vcc, s[0:1]
	v_cndmask_b32_e64 v1, 0, 1, s[0:1]
	s_waitcnt vmcnt(1)
	scratch_store_dwordx4 off, v[2:5], off offset:880
	scratch_store_byte off, v1, off offset:896
                                        ; implicit-def: $vgpr4_vgpr5
	s_waitcnt vmcnt(2)
	v_cmp_ne_u16_e32 vcc, 0, v6
	s_and_saveexec_b64 s[2:3], vcc
	s_xor_b64 s[6:7], exec, s[2:3]
	s_cbranch_execz .LBB2068_674
; %bb.673:
	scratch_load_dwordx4 v[2:5], off, off offset:900
.LBB2068_674:
	s_andn2_saveexec_b64 s[6:7], s[6:7]
	s_cbranch_execz .LBB2068_680
; %bb.675:
	s_waitcnt vmcnt(0)
	v_mov_b32_e32 v2, 0
	s_mov_b32 s2, 0
	v_mov_b32_e32 v3, v2
.LBB2068_676:                           ; =>This Inner Loop Header: Depth=1
	s_add_i32 s3, s2, 16
	s_add_i32 s2, s2, 8
	s_cmp_lg_u32 s2, 16
	scratch_store_dwordx2 off, v[2:3], s3
	s_cbranch_scc1 .LBB2068_676
; %bb.677:
	s_mov_b32 s2, 0
	v_mov_b32_e32 v1, 0x1e0
.LBB2068_678:                           ; =>This Inner Loop Header: Depth=1
	v_add_u32_e32 v2, s2, v1
	v_add_u32_e32 v7, 0x190, v2
	v_add_u32_e32 v8, 0x1a4, v2
	scratch_load_dwordx2 v[2:3], v7, off
	scratch_load_dwordx2 v[4:5], v8, off
	s_add_i32 s3, s2, 16
	s_add_i32 s2, s2, 8
	s_cmp_lg_u32 s2, 16
	s_waitcnt vmcnt(0)
	v_add_u32_e32 v3, v5, v3
	v_add_u32_e32 v2, v4, v2
	scratch_store_dwordx2 off, v[2:3], s3
	s_cbranch_scc1 .LBB2068_678
; %bb.679:
	scratch_load_dwordx4 v[2:5], off, off offset:16
.LBB2068_680:
	s_or_b64 exec, exec, s[6:7]
	scratch_load_ubyte v1, off, off offset:936
	v_and_b32_e32 v6, 1, v6
	v_cmp_eq_u32_e32 vcc, 1, v6
	s_or_b64 s[0:1], vcc, s[0:1]
	v_cndmask_b32_e64 v6, 0, 1, s[0:1]
	s_waitcnt vmcnt(1)
	scratch_store_dwordx4 off, v[2:5], off offset:900
	scratch_store_byte off, v6, off offset:916
                                        ; implicit-def: $vgpr4_vgpr5
	s_waitcnt vmcnt(2)
	v_cmp_ne_u16_e32 vcc, 0, v1
	s_and_saveexec_b64 s[2:3], vcc
	s_xor_b64 s[6:7], exec, s[2:3]
	s_cbranch_execz .LBB2068_682
; %bb.681:
	scratch_load_dwordx4 v[2:5], off, off offset:920
.LBB2068_682:
	s_andn2_saveexec_b64 s[6:7], s[6:7]
	s_cbranch_execz .LBB2068_688
; %bb.683:
	s_waitcnt vmcnt(0)
	v_mov_b32_e32 v2, 0
	s_mov_b32 s2, 0
	v_mov_b32_e32 v3, v2
.LBB2068_684:                           ; =>This Inner Loop Header: Depth=1
	s_add_i32 s3, s2, 16
	s_add_i32 s2, s2, 8
	s_cmp_lg_u32 s2, 16
	scratch_store_dwordx2 off, v[2:3], s3
	s_cbranch_scc1 .LBB2068_684
; %bb.685:
	s_mov_b32 s2, 0
	v_mov_b32_e32 v2, 0x1e0
.LBB2068_686:                           ; =>This Inner Loop Header: Depth=1
	v_add_u32_e32 v3, s2, v2
	v_add_u32_e32 v8, 0x1a4, v3
	;; [unrolled: 1-line block ×3, first 2 shown]
	scratch_load_dwordx2 v[4:5], v8, off
	scratch_load_dwordx2 v[6:7], v3, off
	s_add_i32 s3, s2, 16
	s_add_i32 s2, s2, 8
	s_cmp_lg_u32 s2, 16
	s_waitcnt vmcnt(0)
	v_add_u32_e32 v5, v7, v5
	v_add_u32_e32 v4, v6, v4
	scratch_store_dwordx2 off, v[4:5], s3
	s_cbranch_scc1 .LBB2068_686
; %bb.687:
	scratch_load_dwordx4 v[2:5], off, off offset:16
.LBB2068_688:
	s_or_b64 exec, exec, s[6:7]
	v_and_b32_e32 v1, 1, v1
	v_cmp_eq_u32_e32 vcc, 1, v1
	s_or_b64 s[0:1], vcc, s[0:1]
	v_cndmask_b32_e64 v1, 0, 1, s[0:1]
	s_waitcnt vmcnt(0)
	scratch_store_dwordx4 off, v[2:5], off offset:920
	scratch_store_byte off, v1, off offset:936
	s_branch .LBB2068_1278
.LBB2068_689:
	v_mov_b64_e32 v[2:3], s[76:77]
	flat_load_dword v2, v[2:3]
	v_readlane_b32 s0, v200, 22
	s_add_i32 s3, s0, s62
	v_cmp_gt_u32_e64 s[6:7], s3, v0
	s_waitcnt vmcnt(0) lgkmcnt(0)
	v_mov_b32_e32 v3, v2
	s_and_saveexec_b64 s[0:1], s[6:7]
	s_cbranch_execz .LBB2068_691
; %bb.690:
	v_lshlrev_b32_e32 v4, 2, v0
	v_mov_b32_e32 v5, 0
	v_lshl_add_u64 v[4:5], s[76:77], 0, v[4:5]
	flat_load_dword v3, v[4:5]
.LBB2068_691:
	s_or_b64 exec, exec, s[0:1]
	v_or_b32_e32 v4, 0x80, v0
	v_cmp_gt_u32_e64 s[8:9], s3, v4
	v_mov_b32_e32 v4, v2
	s_and_saveexec_b64 s[0:1], s[8:9]
	s_cbranch_execz .LBB2068_693
; %bb.692:
	v_lshlrev_b32_e32 v4, 2, v0
	v_mov_b32_e32 v5, 0
	v_lshl_add_u64 v[4:5], s[76:77], 0, v[4:5]
	flat_load_dword v4, v[4:5] offset:512
.LBB2068_693:
	s_or_b64 exec, exec, s[0:1]
	v_or_b32_e32 v48, 0x100, v0
	v_cmp_gt_u32_e64 s[10:11], s3, v48
	v_mov_b32_e32 v5, v2
	s_and_saveexec_b64 s[0:1], s[10:11]
	s_cbranch_execz .LBB2068_695
; %bb.694:
	v_lshlrev_b32_e32 v6, 2, v0
	v_mov_b32_e32 v7, 0
	v_lshl_add_u64 v[6:7], s[76:77], 0, v[6:7]
	flat_load_dword v5, v[6:7] offset:1024
.LBB2068_695:
	;; [unrolled: 12-line block ×7, first 2 shown]
	s_or_b64 exec, exec, s[0:1]
	v_or_b32_e32 v54, 0x400, v0
	v_cmp_gt_u32_e64 s[22:23], s3, v54
	v_mov_b32_e32 v11, v2
	s_and_saveexec_b64 s[0:1], s[22:23]
	s_cbranch_execz .LBB2068_707
; %bb.706:
	v_lshlrev_b32_e32 v12, 2, v54
	v_mov_b32_e32 v13, 0
	v_lshl_add_u64 v[12:13], s[76:77], 0, v[12:13]
	flat_load_dword v11, v[12:13]
.LBB2068_707:
	s_or_b64 exec, exec, s[0:1]
	v_or_b32_e32 v56, 0x480, v0
	v_cmp_gt_u32_e64 s[24:25], s3, v56
	v_mov_b32_e32 v12, v2
	s_and_saveexec_b64 s[0:1], s[24:25]
	s_cbranch_execz .LBB2068_709
; %bb.708:
	v_lshlrev_b32_e32 v12, 2, v56
	v_mov_b32_e32 v13, 0
	v_lshl_add_u64 v[12:13], s[76:77], 0, v[12:13]
	flat_load_dword v12, v[12:13]
.LBB2068_709:
	;; [unrolled: 12-line block ×14, first 2 shown]
	s_or_b64 exec, exec, s[0:1]
	v_or_b32_e32 v69, 0xb00, v0
	v_cmp_gt_u32_e64 s[52:53], s3, v69
	s_and_saveexec_b64 s[0:1], s[52:53]
	s_cbranch_execz .LBB2068_735
; %bb.734:
	v_lshlrev_b32_e32 v70, 2, v69
	v_mov_b32_e32 v71, 0
	v_lshl_add_u64 v[70:71], s[76:77], 0, v[70:71]
	flat_load_dword v2, v[70:71]
.LBB2068_735:
	s_or_b64 exec, exec, s[0:1]
	v_lshlrev_b32_e32 v25, 2, v0
	s_movk_i32 s0, 0x58
	s_waitcnt vmcnt(0) lgkmcnt(0)
	ds_write2st64_b32 v25, v3, v4 offset1:2
	ds_write2st64_b32 v25, v5, v6 offset0:4 offset1:6
	ds_write2st64_b32 v25, v7, v8 offset0:8 offset1:10
	;; [unrolled: 1-line block ×10, first 2 shown]
	ds_write_b32 v25, v2 offset:11264
	v_mad_u32_u24 v24, v0, s0, v25
	s_waitcnt lgkmcnt(0)
	s_barrier
	ds_read2_b32 v[22:23], v24 offset1:1
	ds_read2_b32 v[20:21], v24 offset0:2 offset1:3
	ds_read2_b32 v[18:19], v24 offset0:4 offset1:5
	;; [unrolled: 1-line block ×10, first 2 shown]
	ds_read_b32 v47, v24 offset:88
	s_cmp_eq_u64 s[84:85], 0
	s_mov_b64 s[0:1], s[76:77]
	s_cbranch_scc1 .LBB2068_739
; %bb.736:
	s_andn2_b64 vcc, exec, s[74:75]
	s_cbranch_vccnz .LBB2068_1421
; %bb.737:
	s_mov_b64 s[72:73], s[88:89]
	s_mov_b64 vcc, s[90:91]
	s_mov_b32 s94, s62
	s_mov_b64 s[92:93], s[60:61]
	s_mov_b64 s[90:91], s[58:59]
	;; [unrolled: 1-line block ×3, first 2 shown]
	v_readlane_b32 s56, v200, 8
	s_lshl_b64 s[0:1], s[84:85], 2
	v_readlane_b32 s62, v200, 14
	v_readlane_b32 s63, v200, 15
	s_add_u32 s0, s62, s0
	v_readlane_b32 s57, v200, 9
	v_readlane_b32 s58, v200, 10
	;; [unrolled: 1-line block ×5, first 2 shown]
	s_addc_u32 s1, s63, s1
	s_mov_b64 s[56:57], s[88:89]
	s_add_u32 s0, s0, -4
	s_mov_b64 s[58:59], s[90:91]
	s_mov_b64 s[60:61], s[92:93]
	s_mov_b32 s62, s94
	s_mov_b64 s[92:93], s[4:5]
	s_mov_b64 s[90:91], vcc
	s_mov_b64 s[88:89], s[72:73]
	s_addc_u32 s1, s1, -1
	s_cbranch_execnz .LBB2068_739
.LBB2068_738:
	s_add_u32 s0, s76, -4
	s_addc_u32 s1, s77, -1
.LBB2068_739:
	v_mov_b64_e32 v[70:71], s[0:1]
	flat_load_dword v55, v[70:71]
	s_movk_i32 s0, 0xffa8
	v_mad_i32_i24 v25, v0, s0, v24
	s_waitcnt lgkmcnt(0)
	ds_write_b32 v25, v47 offset:11776
	s_waitcnt lgkmcnt(0)
	s_barrier
	s_and_saveexec_b64 s[0:1], s[92:93]
	s_cbranch_execz .LBB2068_741
; %bb.740:
	v_mul_i32_i24_e32 v25, 0xffffffa8, v0
	v_add_u32_e32 v24, v24, v25
	s_waitcnt vmcnt(0)
	ds_read_b32 v55, v24 offset:11772
.LBB2068_741:
	s_or_b64 exec, exec, s[0:1]
	v_mov_b32_e32 v25, 0
	s_waitcnt lgkmcnt(0)
	s_barrier
	s_and_saveexec_b64 s[0:1], s[6:7]
	s_cbranch_execnz .LBB2068_1399
; %bb.742:
	s_or_b64 exec, exec, s[0:1]
	s_and_saveexec_b64 s[0:1], s[8:9]
	s_cbranch_execnz .LBB2068_1400
.LBB2068_743:
	s_or_b64 exec, exec, s[0:1]
	s_and_saveexec_b64 s[0:1], s[10:11]
	s_cbranch_execnz .LBB2068_1401
.LBB2068_744:
	s_or_b64 exec, exec, s[0:1]
	s_and_saveexec_b64 s[0:1], s[12:13]
	s_cbranch_execnz .LBB2068_1402
.LBB2068_745:
	s_or_b64 exec, exec, s[0:1]
	s_and_saveexec_b64 s[0:1], s[14:15]
	s_cbranch_execnz .LBB2068_1403
.LBB2068_746:
	s_or_b64 exec, exec, s[0:1]
	s_and_saveexec_b64 s[0:1], s[16:17]
	s_cbranch_execnz .LBB2068_1404
.LBB2068_747:
	s_or_b64 exec, exec, s[0:1]
	s_and_saveexec_b64 s[0:1], s[18:19]
	s_cbranch_execnz .LBB2068_1405
.LBB2068_748:
	s_or_b64 exec, exec, s[0:1]
	s_and_saveexec_b64 s[0:1], s[20:21]
	s_cbranch_execnz .LBB2068_1406
.LBB2068_749:
	s_or_b64 exec, exec, s[0:1]
	s_and_saveexec_b64 s[0:1], s[22:23]
	s_cbranch_execnz .LBB2068_1407
.LBB2068_750:
	s_or_b64 exec, exec, s[0:1]
	s_and_saveexec_b64 s[0:1], s[24:25]
	s_cbranch_execnz .LBB2068_1408
.LBB2068_751:
	s_or_b64 exec, exec, s[0:1]
	s_and_saveexec_b64 s[0:1], s[26:27]
	s_cbranch_execnz .LBB2068_1409
.LBB2068_752:
	s_or_b64 exec, exec, s[0:1]
	s_and_saveexec_b64 s[0:1], s[28:29]
	s_cbranch_execnz .LBB2068_1410
.LBB2068_753:
	s_or_b64 exec, exec, s[0:1]
	s_and_saveexec_b64 s[0:1], s[30:31]
	s_cbranch_execnz .LBB2068_1411
.LBB2068_754:
	s_or_b64 exec, exec, s[0:1]
	s_and_saveexec_b64 s[0:1], s[34:35]
	s_cbranch_execnz .LBB2068_1412
.LBB2068_755:
	s_or_b64 exec, exec, s[0:1]
	s_and_saveexec_b64 s[0:1], s[36:37]
	s_cbranch_execnz .LBB2068_1413
.LBB2068_756:
	s_or_b64 exec, exec, s[0:1]
	s_and_saveexec_b64 s[0:1], s[38:39]
	s_cbranch_execnz .LBB2068_1414
.LBB2068_757:
	s_or_b64 exec, exec, s[0:1]
	s_and_saveexec_b64 s[0:1], s[40:41]
	s_cbranch_execnz .LBB2068_1415
.LBB2068_758:
	s_or_b64 exec, exec, s[0:1]
	s_and_saveexec_b64 s[0:1], s[42:43]
	s_cbranch_execnz .LBB2068_1416
.LBB2068_759:
	s_or_b64 exec, exec, s[0:1]
	s_and_saveexec_b64 s[0:1], s[44:45]
	s_cbranch_execnz .LBB2068_1417
.LBB2068_760:
	s_or_b64 exec, exec, s[0:1]
	s_and_saveexec_b64 s[0:1], s[46:47]
	s_cbranch_execnz .LBB2068_1418
.LBB2068_761:
	s_or_b64 exec, exec, s[0:1]
	s_and_saveexec_b64 s[0:1], s[48:49]
	s_cbranch_execnz .LBB2068_1419
.LBB2068_762:
	s_or_b64 exec, exec, s[0:1]
	s_and_saveexec_b64 s[0:1], s[50:51]
	s_cbranch_execnz .LBB2068_1420
.LBB2068_763:
	s_or_b64 exec, exec, s[0:1]
	s_and_saveexec_b64 s[0:1], s[52:53]
	s_cbranch_execz .LBB2068_765
.LBB2068_764:
	v_lshlrev_b32_e32 v24, 4, v69
	v_mov_b32_e32 v25, 0
	v_lshl_add_u64 v[24:25], s[68:69], 0, v[24:25]
	flat_load_dwordx4 v[48:51], v[24:25]
	s_waitcnt vmcnt(0) lgkmcnt(0)
	scratch_store_dwordx4 off, v[48:51], off offset:432
.LBB2068_765:
	s_or_b64 exec, exec, s[0:1]
	scratch_load_dwordx4 v[48:51], off, off offset:80
	scratch_load_dwordx4 v[56:59], v46, off
	scratch_load_dwordx4 v[60:63], v45, off
	;; [unrolled: 1-line block ×22, first 2 shown]
	v_lshlrev_b32_e32 v52, 4, v0
	s_movk_i32 s0, 0x160
	v_mad_u32_u24 v25, v0, s0, v52
	v_mul_u32_u24_e32 v24, 23, v0
	v_cmp_gt_u32_e32 vcc, s3, v24
	s_mov_b64 s[6:7], 0
	s_mov_b64 s[10:11], 0
                                        ; implicit-def: $sgpr0_sgpr1
	s_waitcnt vmcnt(0)
	ds_write_b128 v52, v[48:51]
	ds_write_b128 v52, v[56:59] offset:2048
	ds_write_b128 v52, v[60:63] offset:4096
	ds_write_b128 v52, v[64:67] offset:6144
	ds_write_b128 v52, v[68:71] offset:8192
	ds_write_b128 v52, v[72:75] offset:10240
	ds_write_b128 v52, v[76:79] offset:12288
	ds_write_b128 v52, v[80:83] offset:14336
	ds_write_b128 v52, v[84:87] offset:16384
	ds_write_b128 v52, v[88:91] offset:18432
	ds_write_b128 v52, v[92:95] offset:20480
	ds_write_b128 v52, v[96:99] offset:22528
	ds_write_b128 v52, v[100:103] offset:24576
	ds_write_b128 v52, v[104:107] offset:26624
	ds_write_b128 v52, v[108:111] offset:28672
	ds_write_b128 v52, v[112:115] offset:30720
	ds_write_b128 v52, v[116:119] offset:32768
	ds_write_b128 v52, v[120:123] offset:34816
	ds_write_b128 v52, v[124:127] offset:36864
	ds_write_b128 v52, v[128:131] offset:38912
	ds_write_b128 v52, v[132:135] offset:40960
	ds_write_b128 v52, v[136:139] offset:43008
	ds_write_b128 v52, v[140:143] offset:45056
	s_waitcnt lgkmcnt(0)
	s_barrier
	ds_read_b128 v[48:51], v25 offset:16
	ds_read_b128 v[56:59], v25 offset:32
	;; [unrolled: 1-line block ×16, first 2 shown]
	s_waitcnt lgkmcnt(14)
	scratch_store_dwordx4 v46, v[48:51], off
	scratch_store_dwordx4 v45, v[56:59], off
	s_waitcnt lgkmcnt(13)
	scratch_store_dwordx4 v44, v[60:63], off
	s_waitcnt lgkmcnt(12)
	;; [unrolled: 2-line block ×11, first 2 shown]
	scratch_store_dwordx4 v34, v[100:103], off
	ds_read_b128 v[48:51], v25 offset:272
	s_waitcnt lgkmcnt(3)
	scratch_store_dwordx4 v33, v[104:107], off
	s_waitcnt lgkmcnt(2)
	scratch_store_dwordx4 v32, v[108:111], off
	;; [unrolled: 2-line block ×3, first 2 shown]
	ds_read_b128 v[56:59], v25 offset:288
	s_waitcnt lgkmcnt(1)
	scratch_store_dwordx4 v30, v[48:51], off
	ds_read_b128 v[48:51], v25 offset:304
	ds_read_b128 v[60:63], v25 offset:320
	;; [unrolled: 1-line block ×4, first 2 shown]
	s_waitcnt lgkmcnt(4)
	scratch_store_dwordx4 v29, v[56:59], off
	s_waitcnt lgkmcnt(3)
	scratch_store_dwordx4 v28, v[48:51], off
	;; [unrolled: 2-line block ×5, first 2 shown]
	s_and_saveexec_b64 s[8:9], vcc
	s_cbranch_execz .LBB2068_809
; %bb.766:
	ds_read_b128 v[48:51], v25
	v_cmp_ne_u32_e32 vcc, v55, v22
	v_add_u32_e32 v53, 1, v24
	s_mov_b64 s[12:13], 0
	v_cndmask_b32_e64 v52, 0, 1, vcc
	v_cmp_gt_u32_e32 vcc, s3, v53
	scratch_store_byte off, v52, off offset:496
	s_waitcnt lgkmcnt(0)
	scratch_store_dwordx4 off, v[48:51], off offset:480
                                        ; implicit-def: $sgpr14_sgpr15
	s_and_saveexec_b64 s[10:11], vcc
	s_cbranch_execz .LBB2068_808
; %bb.767:
	v_add_u32_e32 v48, 16, v25
	ds_read2_b32 v[50:51], v48 offset0:2 offset1:3
	ds_read2_b32 v[48:49], v48 offset1:1
	v_cmp_ne_u32_e32 vcc, v22, v23
	v_add_u32_e32 v52, 2, v24
	s_mov_b64 s[0:1], 0
	v_cndmask_b32_e64 v22, 0, 1, vcc
	v_cmp_gt_u32_e32 vcc, s3, v52
	s_waitcnt lgkmcnt(0)
	scratch_store_dwordx4 off, v[48:51], s33
	scratch_store_byte off, v22, off offset:516
                                        ; implicit-def: $sgpr14_sgpr15
	s_and_saveexec_b64 s[12:13], vcc
	s_cbranch_execz .LBB2068_807
; %bb.768:
	v_add_u32_e32 v22, 32, v25
	ds_read2_b64 v[48:51], v22 offset1:1
	v_cmp_ne_u32_e32 vcc, v23, v20
	v_add_u32_e32 v23, 3, v24
                                        ; implicit-def: $sgpr16_sgpr17
	s_nop 0
	v_cndmask_b32_e64 v22, 0, 1, vcc
	v_cmp_gt_u32_e32 vcc, s3, v23
	scratch_store_byte off, v22, off offset:536
	s_waitcnt lgkmcnt(0)
	scratch_store_dwordx4 off, v[48:51], s78
	s_and_saveexec_b64 s[14:15], vcc
	s_cbranch_execz .LBB2068_806
; %bb.769:
	v_add_u32_e32 v22, 48, v25
	ds_read2_b32 v[50:51], v22 offset0:2 offset1:3
	ds_read2_b32 v[48:49], v22 offset1:1
	v_cmp_ne_u32_e32 vcc, v20, v21
	v_add_u32_e32 v22, 4, v24
                                        ; implicit-def: $sgpr18_sgpr19
	s_nop 0
	v_cndmask_b32_e64 v20, 0, 1, vcc
	v_cmp_gt_u32_e32 vcc, s3, v22
	s_waitcnt lgkmcnt(0)
	scratch_store_dwordx4 off, v[48:51], s86
	scratch_store_byte off, v20, off offset:556
	s_and_saveexec_b64 s[16:17], vcc
	s_cbranch_execz .LBB2068_805
; %bb.770:
	v_add_u32_e32 v20, 64, v25
	ds_read_b128 v[48:51], v20
	v_cmp_ne_u32_e32 vcc, v21, v18
	v_add_u32_e32 v21, 5, v24
                                        ; implicit-def: $sgpr20_sgpr21
	s_nop 0
	v_cndmask_b32_e64 v20, 0, 1, vcc
	v_cmp_gt_u32_e32 vcc, s3, v21
	scratch_store_byte off, v20, off offset:576
	s_waitcnt lgkmcnt(0)
	scratch_store_dwordx4 off, v[48:51], s87
	s_and_saveexec_b64 s[18:19], vcc
	s_cbranch_execz .LBB2068_804
; %bb.771:
	v_add_u32_e32 v20, 0x50, v25
	ds_read2_b32 v[22:23], v20 offset0:2 offset1:3
	ds_read2_b32 v[20:21], v20 offset1:1
	v_cmp_ne_u32_e32 vcc, v18, v19
	v_add_u32_e32 v48, 6, v24
                                        ; implicit-def: $sgpr22_sgpr23
	s_nop 0
	v_cndmask_b32_e64 v18, 0, 1, vcc
	v_cmp_gt_u32_e32 vcc, s3, v48
	s_waitcnt lgkmcnt(0)
	scratch_store_dwordx4 off, v[20:23], s79
	scratch_store_byte off, v18, off offset:596
	s_and_saveexec_b64 s[20:21], vcc
	s_cbranch_execz .LBB2068_803
; %bb.772:
	v_add_u32_e32 v18, 0x60, v25
	ds_read2_b64 v[20:23], v18 offset1:1
	v_cmp_ne_u32_e32 vcc, v19, v16
	v_add_u32_e32 v19, 7, v24
                                        ; implicit-def: $sgpr24_sgpr25
	s_nop 0
	v_cndmask_b32_e64 v18, 0, 1, vcc
	v_cmp_gt_u32_e32 vcc, s3, v19
	scratch_store_byte off, v18, off offset:616
	s_waitcnt lgkmcnt(0)
	scratch_store_dwordx4 off, v[20:23], s64
	s_and_saveexec_b64 s[22:23], vcc
	s_cbranch_execz .LBB2068_802
; %bb.773:
	v_add_u32_e32 v18, 0x70, v25
	ds_read2_b32 v[20:21], v18 offset0:2 offset1:3
	ds_read2_b32 v[18:19], v18 offset1:1
	v_cmp_ne_u32_e32 vcc, v16, v17
	v_add_u32_e32 v22, 8, v24
                                        ; implicit-def: $sgpr26_sgpr27
	s_nop 0
	v_cndmask_b32_e64 v16, 0, 1, vcc
	v_cmp_gt_u32_e32 vcc, s3, v22
	s_waitcnt lgkmcnt(0)
	scratch_store_dwordx4 off, v[18:21], s65
	scratch_store_byte off, v16, off offset:636
	s_and_saveexec_b64 s[24:25], vcc
	s_cbranch_execz .LBB2068_801
; %bb.774:
	v_add_u32_e32 v16, 0x80, v25
	ds_read_b128 v[18:21], v16
	v_cmp_ne_u32_e32 vcc, v17, v14
	v_add_u32_e32 v17, 9, v24
                                        ; implicit-def: $sgpr28_sgpr29
	s_nop 0
	v_cndmask_b32_e64 v16, 0, 1, vcc
	v_cmp_gt_u32_e32 vcc, s3, v17
	scratch_store_byte off, v16, off offset:656
	s_waitcnt lgkmcnt(0)
	scratch_store_dwordx4 off, v[18:21], s66
	s_and_saveexec_b64 s[26:27], vcc
	s_cbranch_execz .LBB2068_800
; %bb.775:
	v_add_u32_e32 v16, 0x90, v25
	ds_read2_b32 v[18:19], v16 offset0:2 offset1:3
	ds_read2_b32 v[16:17], v16 offset1:1
	v_cmp_ne_u32_e32 vcc, v14, v15
	v_add_u32_e32 v20, 10, v24
                                        ; implicit-def: $sgpr30_sgpr31
	s_nop 0
	v_cndmask_b32_e64 v14, 0, 1, vcc
	v_cmp_gt_u32_e32 vcc, s3, v20
	s_waitcnt lgkmcnt(0)
	scratch_store_dwordx4 off, v[16:19], s67
	scratch_store_byte off, v14, off offset:676
	s_and_saveexec_b64 s[28:29], vcc
	s_cbranch_execz .LBB2068_799
; %bb.776:
	v_add_u32_e32 v14, 0xa0, v25
	ds_read2_b64 v[16:19], v14 offset1:1
	v_cmp_ne_u32_e32 vcc, v15, v12
	v_add_u32_e32 v15, 11, v24
                                        ; implicit-def: $sgpr34_sgpr35
	s_nop 0
	v_cndmask_b32_e64 v14, 0, 1, vcc
	v_cmp_gt_u32_e32 vcc, s3, v15
	scratch_store_byte off, v14, off offset:696
	s_waitcnt lgkmcnt(0)
	scratch_store_dwordx4 off, v[16:19], s82
	s_and_saveexec_b64 s[30:31], vcc
	s_cbranch_execz .LBB2068_798
; %bb.777:
	v_add_u32_e32 v14, 0xb0, v25
	ds_read2_b32 v[16:17], v14 offset0:2 offset1:3
	ds_read2_b32 v[14:15], v14 offset1:1
	v_cmp_ne_u32_e32 vcc, v12, v13
	v_add_u32_e32 v18, 12, v24
                                        ; implicit-def: $sgpr36_sgpr37
	s_nop 0
	v_cndmask_b32_e64 v12, 0, 1, vcc
	v_cmp_gt_u32_e32 vcc, s3, v18
	s_waitcnt lgkmcnt(0)
	scratch_store_dwordx4 off, v[14:17], s83
	scratch_store_byte off, v12, off offset:716
	s_and_saveexec_b64 s[34:35], vcc
	s_cbranch_execz .LBB2068_797
; %bb.778:
	v_add_u32_e32 v12, 0xc0, v25
	ds_read_b128 v[14:17], v12
	v_cmp_ne_u32_e32 vcc, v13, v10
	v_add_u32_e32 v13, 13, v24
                                        ; implicit-def: $sgpr38_sgpr39
	s_nop 0
	v_cndmask_b32_e64 v12, 0, 1, vcc
	v_cmp_gt_u32_e32 vcc, s3, v13
	scratch_store_byte off, v12, off offset:736
	s_waitcnt lgkmcnt(0)
	scratch_store_dwordx4 off, v[14:17], s95
	s_and_saveexec_b64 s[36:37], vcc
	s_cbranch_execz .LBB2068_796
; %bb.779:
	v_add_u32_e32 v12, 0xd0, v25
	ds_read2_b32 v[14:15], v12 offset0:2 offset1:3
	ds_read2_b32 v[12:13], v12 offset1:1
	v_cmp_ne_u32_e32 vcc, v10, v11
	v_add_u32_e32 v16, 14, v24
                                        ; implicit-def: $sgpr40_sgpr41
	s_nop 0
	v_cndmask_b32_e64 v10, 0, 1, vcc
	v_cmp_gt_u32_e32 vcc, s3, v16
	s_waitcnt lgkmcnt(0)
	scratch_store_dwordx4 off, v[12:15], s96
	scratch_store_byte off, v10, off offset:756
	s_and_saveexec_b64 s[38:39], vcc
	s_cbranch_execz .LBB2068_795
; %bb.780:
	v_add_u32_e32 v10, 0xe0, v25
	ds_read2_b64 v[12:15], v10 offset1:1
	v_cmp_ne_u32_e32 vcc, v11, v8
	v_add_u32_e32 v11, 15, v24
                                        ; implicit-def: $sgpr42_sgpr43
	s_nop 0
	v_cndmask_b32_e64 v10, 0, 1, vcc
	v_cmp_gt_u32_e32 vcc, s3, v11
	scratch_store_byte off, v10, off offset:776
	s_waitcnt lgkmcnt(0)
	scratch_store_dwordx4 off, v[12:15], s97
	s_and_saveexec_b64 s[40:41], vcc
	s_cbranch_execz .LBB2068_794
; %bb.781:
	v_add_u32_e32 v10, 0xf0, v25
	ds_read2_b32 v[12:13], v10 offset0:2 offset1:3
	ds_read2_b32 v[10:11], v10 offset1:1
	v_cmp_ne_u32_e32 vcc, v8, v9
	v_add_u32_e32 v14, 16, v24
                                        ; implicit-def: $sgpr44_sgpr45
	s_nop 0
	v_cndmask_b32_e64 v8, 0, 1, vcc
	v_cmp_gt_u32_e32 vcc, s3, v14
	s_waitcnt lgkmcnt(0)
	scratch_store_dwordx4 off, v[10:13], s98
	scratch_store_byte off, v8, off offset:796
	s_and_saveexec_b64 s[42:43], vcc
	s_cbranch_execz .LBB2068_793
; %bb.782:
	v_add_u32_e32 v8, 0x100, v25
	ds_read_b128 v[10:13], v8
	v_cmp_ne_u32_e32 vcc, v9, v6
	v_add_u32_e32 v9, 17, v24
                                        ; implicit-def: $sgpr46_sgpr47
	s_nop 0
	v_cndmask_b32_e64 v8, 0, 1, vcc
	v_cmp_gt_u32_e32 vcc, s3, v9
	scratch_store_byte off, v8, off offset:816
	s_waitcnt lgkmcnt(0)
	scratch_store_dwordx4 off, v[10:13], s99
	s_and_saveexec_b64 s[44:45], vcc
	s_cbranch_execz .LBB2068_792
; %bb.783:
	v_add_u32_e32 v8, 0x110, v25
	ds_read2_b32 v[10:11], v8 offset0:2 offset1:3
	ds_read2_b32 v[8:9], v8 offset1:1
	v_cmp_ne_u32_e32 vcc, v6, v7
	v_add_u32_e32 v12, 18, v24
                                        ; implicit-def: $sgpr48_sgpr49
	s_nop 0
	v_cndmask_b32_e64 v6, 0, 1, vcc
	v_cmp_gt_u32_e32 vcc, s3, v12
	s_waitcnt lgkmcnt(0)
	scratch_store_dwordx4 off, v[8:11], s80
	scratch_store_byte off, v6, off offset:836
	s_and_saveexec_b64 s[46:47], vcc
	s_cbranch_execz .LBB2068_791
; %bb.784:
	v_add_u32_e32 v6, 0x120, v25
	v_cmp_ne_u32_e32 vcc, v7, v4
	ds_read2_b64 v[6:9], v6 offset1:1
	v_add_u32_e32 v11, 19, v24
	v_cndmask_b32_e64 v10, 0, 1, vcc
	v_cmp_gt_u32_e32 vcc, s3, v11
	s_waitcnt lgkmcnt(0)
	scratch_store_dwordx4 off, v[6:9], s81
	scratch_store_byte off, v10, off offset:856
                                        ; implicit-def: $sgpr50_sgpr51
	s_and_saveexec_b64 s[48:49], vcc
	s_cbranch_execz .LBB2068_790
; %bb.785:
	v_add_u32_e32 v6, 0x130, v25
	ds_read2_b32 v[8:9], v6 offset0:2 offset1:3
	ds_read2_b32 v[6:7], v6 offset1:1
	v_cmp_ne_u32_e32 vcc, v4, v5
	v_add_u32_e32 v10, 20, v24
                                        ; implicit-def: $sgpr52_sgpr53
	s_nop 0
	v_cndmask_b32_e64 v4, 0, 1, vcc
	v_cmp_gt_u32_e32 vcc, s3, v10
	s_waitcnt lgkmcnt(0)
	scratch_store_dwordx4 off, v[6:9], s54
	scratch_store_byte off, v4, off offset:876
	s_and_saveexec_b64 s[50:51], vcc
	s_cbranch_execz .LBB2068_789
; %bb.786:
	v_add_u32_e32 v4, 0x140, v25
	v_cmp_ne_u32_e32 vcc, v5, v2
	ds_read_b128 v[4:7], v4
	v_add_u32_e32 v9, 21, v24
	v_cndmask_b32_e64 v8, 0, 1, vcc
	v_cmp_gt_u32_e32 vcc, s3, v9
	s_waitcnt lgkmcnt(0)
	scratch_store_dwordx4 off, v[4:7], s55
	scratch_store_byte off, v8, off offset:896
                                        ; implicit-def: $sgpr72_sgpr73
	s_and_saveexec_b64 s[52:53], vcc
	s_xor_b64 s[52:53], exec, s[52:53]
	s_cbranch_execz .LBB2068_788
; %bb.787:
	v_add_u32_e32 v6, 0x150, v25
	v_cmp_ne_u32_e32 vcc, v3, v47
	v_cmp_ne_u32_e64 s[0:1], v2, v3
	ds_read2_b32 v[4:5], v6 offset0:2 offset1:3
	ds_read2_b32 v[2:3], v6 offset1:1
	v_add_u32_e32 v8, 22, v24
	v_cndmask_b32_e64 v7, 0, 1, s[0:1]
	v_cmp_gt_u32_e64 s[0:1], s3, v8
	s_and_b64 s[72:73], vcc, exec
	s_and_b64 s[0:1], s[0:1], exec
	s_waitcnt lgkmcnt(0)
	scratch_store_dwordx4 off, v[2:5], s70
	scratch_store_byte off, v7, off offset:916
.LBB2068_788:
	s_or_b64 exec, exec, s[52:53]
	s_and_b64 s[52:53], s[72:73], exec
	s_and_b64 s[0:1], s[0:1], exec
.LBB2068_789:
	s_or_b64 exec, exec, s[50:51]
	s_and_b64 s[50:51], s[52:53], exec
	s_and_b64 s[0:1], s[0:1], exec
.LBB2068_790:
	s_or_b64 exec, exec, s[48:49]
	s_and_b64 s[48:49], s[50:51], exec
	s_and_b64 s[0:1], s[0:1], exec
.LBB2068_791:
	s_or_b64 exec, exec, s[46:47]
	s_and_b64 s[46:47], s[48:49], exec
	s_and_b64 s[0:1], s[0:1], exec
.LBB2068_792:
	s_or_b64 exec, exec, s[44:45]
	s_and_b64 s[44:45], s[46:47], exec
	s_and_b64 s[0:1], s[0:1], exec
.LBB2068_793:
	s_or_b64 exec, exec, s[42:43]
	s_and_b64 s[42:43], s[44:45], exec
	s_and_b64 s[0:1], s[0:1], exec
.LBB2068_794:
	s_or_b64 exec, exec, s[40:41]
	s_and_b64 s[40:41], s[42:43], exec
	s_and_b64 s[0:1], s[0:1], exec
.LBB2068_795:
	s_or_b64 exec, exec, s[38:39]
	s_and_b64 s[38:39], s[40:41], exec
	s_and_b64 s[0:1], s[0:1], exec
.LBB2068_796:
	s_or_b64 exec, exec, s[36:37]
	s_and_b64 s[36:37], s[38:39], exec
	s_and_b64 s[0:1], s[0:1], exec
	s_mov_b64 s[92:93], s[4:5]
.LBB2068_797:
	s_or_b64 exec, exec, s[34:35]
	s_and_b64 s[34:35], s[36:37], exec
	s_and_b64 s[0:1], s[0:1], exec
.LBB2068_798:
	s_or_b64 exec, exec, s[30:31]
	s_and_b64 s[30:31], s[34:35], exec
	s_and_b64 s[0:1], s[0:1], exec
.LBB2068_799:
	s_or_b64 exec, exec, s[28:29]
	s_and_b64 s[28:29], s[30:31], exec
	s_and_b64 s[0:1], s[0:1], exec
.LBB2068_800:
	s_or_b64 exec, exec, s[26:27]
	s_and_b64 s[26:27], s[28:29], exec
	s_and_b64 s[0:1], s[0:1], exec
.LBB2068_801:
	s_or_b64 exec, exec, s[24:25]
	s_and_b64 s[24:25], s[26:27], exec
	s_and_b64 s[0:1], s[0:1], exec
.LBB2068_802:
	s_or_b64 exec, exec, s[22:23]
	s_and_b64 s[22:23], s[24:25], exec
	s_and_b64 s[0:1], s[0:1], exec
.LBB2068_803:
	s_or_b64 exec, exec, s[20:21]
	s_and_b64 s[20:21], s[22:23], exec
	s_and_b64 s[0:1], s[0:1], exec
.LBB2068_804:
	s_or_b64 exec, exec, s[18:19]
	s_and_b64 s[18:19], s[20:21], exec
	s_and_b64 s[0:1], s[0:1], exec
.LBB2068_805:
	s_or_b64 exec, exec, s[16:17]
	s_and_b64 s[16:17], s[18:19], exec
	s_and_b64 s[0:1], s[0:1], exec
.LBB2068_806:
	s_or_b64 exec, exec, s[14:15]
	s_and_b64 s[14:15], s[16:17], exec
	s_and_b64 s[0:1], s[0:1], exec
.LBB2068_807:
	s_or_b64 exec, exec, s[12:13]
	s_and_b64 s[14:15], s[14:15], exec
	s_and_b64 s[12:13], s[0:1], exec
.LBB2068_808:
	s_or_b64 exec, exec, s[10:11]
	s_and_b64 s[0:1], s[14:15], exec
	s_and_b64 s[10:11], s[12:13], exec
.LBB2068_809:
	s_or_b64 exec, exec, s[8:9]
	s_and_b64 vcc, exec, s[6:7]
	s_cbranch_vccz .LBB2068_98
.LBB2068_810:
	v_mov_b32_e32 v3, 0
	v_lshlrev_b32_e32 v2, 2, v0
	v_lshl_add_u64 v[4:5], s[76:77], 0, v[2:3]
	v_add_co_u32_e32 v6, vcc, 0x1000, v4
	flat_load_dword v3, v[4:5]
	flat_load_dword v8, v[4:5] offset:512
	flat_load_dword v9, v[4:5] offset:1024
	;; [unrolled: 1-line block ×7, first 2 shown]
	v_addc_co_u32_e32 v7, vcc, 0, v5, vcc
	v_add_co_u32_e32 v4, vcc, 0x2000, v4
	flat_load_dword v15, v[6:7]
	flat_load_dword v16, v[6:7] offset:512
	flat_load_dword v17, v[6:7] offset:1024
	flat_load_dword v18, v[6:7] offset:1536
	flat_load_dword v19, v[6:7] offset:2048
	flat_load_dword v20, v[6:7] offset:2560
	flat_load_dword v21, v[6:7] offset:3072
	s_nop 0
	flat_load_dword v6, v[6:7] offset:3584
	v_addc_co_u32_e32 v5, vcc, 0, v5, vcc
	flat_load_dword v7, v[4:5]
	flat_load_dword v22, v[4:5] offset:512
	flat_load_dword v23, v[4:5] offset:1024
	;; [unrolled: 1-line block ×5, first 2 shown]
	s_nop 0
	flat_load_dword v4, v[4:5] offset:3072
	s_movk_i32 s0, 0x58
	v_mad_u32_u24 v47, v0, s0, v2
	s_cmp_eq_u64 s[84:85], 0
	s_waitcnt vmcnt(0) lgkmcnt(0)
	ds_write2st64_b32 v2, v3, v8 offset1:2
	ds_write2st64_b32 v2, v9, v10 offset0:4 offset1:6
	ds_write2st64_b32 v2, v11, v12 offset0:8 offset1:10
	ds_write2st64_b32 v2, v13, v14 offset0:12 offset1:14
	ds_write2st64_b32 v2, v15, v16 offset0:16 offset1:18
	ds_write2st64_b32 v2, v17, v18 offset0:20 offset1:22
	ds_write2st64_b32 v2, v19, v20 offset0:24 offset1:26
	ds_write2st64_b32 v2, v21, v6 offset0:28 offset1:30
	ds_write2st64_b32 v2, v7, v22 offset0:32 offset1:34
	ds_write2st64_b32 v2, v23, v24 offset0:36 offset1:38
	ds_write2st64_b32 v2, v25, v48 offset0:40 offset1:42
	ds_write_b32 v2, v4 offset:11264
	s_waitcnt lgkmcnt(0)
	s_barrier
	ds_read2_b32 v[2:3], v47 offset1:1
	ds_read2_b32 v[4:5], v47 offset0:2 offset1:3
	ds_read2_b32 v[6:7], v47 offset0:4 offset1:5
	;; [unrolled: 1-line block ×10, first 2 shown]
	ds_read_b32 v24, v47 offset:88
	s_cbranch_scc1 .LBB2068_815
; %bb.811:
	s_andn2_b64 vcc, exec, s[74:75]
	s_cbranch_vccnz .LBB2068_1422
; %bb.812:
	v_readlane_b32 s8, v200, 8
	v_readlane_b32 s10, v200, 10
	;; [unrolled: 1-line block ×5, first 2 shown]
	s_lshl_b64 s[0:1], s[84:85], 2
	s_mov_b64 s[10:11], s[14:15]
	s_add_u32 s0, s10, s0
	s_addc_u32 s1, s11, s1
	s_add_u32 s0, s0, -4
	s_addc_u32 s1, s1, -1
	v_readlane_b32 s9, v200, 9
	v_readlane_b32 s12, v200, 12
	;; [unrolled: 1-line block ×3, first 2 shown]
	s_cbranch_execnz .LBB2068_814
.LBB2068_813:
	s_add_u32 s0, s76, -4
	s_addc_u32 s1, s77, -1
.LBB2068_814:
	s_mov_b64 s[76:77], s[0:1]
.LBB2068_815:
	v_mov_b64_e32 v[48:49], s[76:77]
	flat_load_dword v25, v[48:49]
	s_movk_i32 s0, 0xffa8
	v_mad_i32_i24 v48, v0, s0, v47
	s_waitcnt lgkmcnt(0)
	ds_write_b32 v48, v24 offset:11776
	s_waitcnt lgkmcnt(0)
	s_barrier
	s_and_saveexec_b64 s[0:1], s[92:93]
	s_cbranch_execz .LBB2068_817
; %bb.816:
	s_waitcnt vmcnt(0)
	v_mul_i32_i24_e32 v25, 0xffffffa8, v0
	v_add_u32_e32 v25, v47, v25
	ds_read_b32 v25, v25 offset:11772
.LBB2068_817:
	s_or_b64 exec, exec, s[0:1]
	v_lshlrev_b32_e32 v140, 4, v0
	v_mov_b32_e32 v141, 0
	v_lshl_add_u64 v[52:53], s[68:69], 0, v[140:141]
	s_waitcnt lgkmcnt(0)
	s_barrier
	flat_load_dwordx4 v[48:51], v[52:53]
	s_movk_i32 s0, 0x1000
	v_add_co_u32_e32 v54, vcc, s0, v52
	s_movk_i32 s0, 0x2000
	s_nop 0
	v_addc_co_u32_e32 v55, vcc, 0, v53, vcc
	s_movk_i32 s3, 0x160
	v_mad_u32_u24 v197, v0, s3, v140
	s_mov_b64 s[10:11], -1
	s_waitcnt vmcnt(0) lgkmcnt(0)
	scratch_store_dwordx4 off, v[48:51], off offset:80
	flat_load_dwordx4 v[48:51], v[52:53] offset:2048
	s_waitcnt vmcnt(0) lgkmcnt(0)
	scratch_store_dwordx4 off, v[48:51], off offset:96
	flat_load_dwordx4 v[48:51], v[54:55]
	s_waitcnt vmcnt(0) lgkmcnt(0)
	scratch_store_dwordx4 off, v[48:51], off offset:112
	flat_load_dwordx4 v[48:51], v[54:55] offset:2048
	v_add_co_u32_e32 v54, vcc, s0, v52
	s_movk_i32 s0, 0x3000
	s_nop 0
	v_addc_co_u32_e32 v55, vcc, 0, v53, vcc
	s_waitcnt vmcnt(0) lgkmcnt(0)
	scratch_store_dwordx4 off, v[48:51], off offset:128
	flat_load_dwordx4 v[48:51], v[54:55]
	s_waitcnt vmcnt(0) lgkmcnt(0)
	scratch_store_dwordx4 off, v[48:51], off offset:144
	flat_load_dwordx4 v[48:51], v[54:55] offset:2048
	v_add_co_u32_e32 v54, vcc, s0, v52
	s_movk_i32 s0, 0x4000
	s_nop 0
	v_addc_co_u32_e32 v55, vcc, 0, v53, vcc
	;; [unrolled: 10-line block ×5, first 2 shown]
	s_waitcnt vmcnt(0) lgkmcnt(0)
	scratch_store_dwordx4 off, v[48:51], off offset:256
	flat_load_dwordx4 v[48:51], v[54:55]
	s_waitcnt vmcnt(0) lgkmcnt(0)
	scratch_store_dwordx4 off, v[48:51], off offset:272
	flat_load_dwordx4 v[48:51], v[54:55] offset:2048
	v_add_co_u32_e32 v54, vcc, s0, v52
	s_mov_b32 s0, 0x8000
	s_nop 0
	v_addc_co_u32_e32 v55, vcc, 0, v53, vcc
	s_waitcnt vmcnt(0) lgkmcnt(0)
	scratch_store_dwordx4 off, v[48:51], off offset:288
	flat_load_dwordx4 v[48:51], v[54:55]
	s_waitcnt vmcnt(0) lgkmcnt(0)
	scratch_store_dwordx4 off, v[48:51], off offset:304
	flat_load_dwordx4 v[48:51], v[54:55] offset:2048
	v_add_co_u32_e32 v54, vcc, s0, v52
	s_mov_b32 s0, 0x9000
	s_nop 0
	v_addc_co_u32_e32 v55, vcc, 0, v53, vcc
	;; [unrolled: 10-line block ×4, first 2 shown]
	v_add_co_u32_e32 v52, vcc, s0, v52
	v_cmp_ne_u32_e64 s[0:1], v23, v24
	s_nop 0
	v_addc_co_u32_e32 v53, vcc, 0, v53, vcc
	v_cmp_ne_u32_e32 vcc, v22, v23
	s_waitcnt vmcnt(0) lgkmcnt(0)
	scratch_store_dwordx4 off, v[48:51], off offset:384
	flat_load_dwordx4 v[48:51], v[54:55]
	v_cndmask_b32_e64 v47, 0, 1, vcc
	v_cmp_ne_u32_e32 vcc, v21, v22
	s_waitcnt vmcnt(0) lgkmcnt(0)
	scratch_store_dwordx4 off, v[48:51], off offset:400
	flat_load_dwordx4 v[48:51], v[54:55] offset:2048
	v_cndmask_b32_e64 v196, 0, 1, vcc
	v_cmp_ne_u32_e32 vcc, v20, v21
	s_waitcnt vmcnt(0) lgkmcnt(0)
	scratch_store_dwordx4 off, v[48:51], off offset:416
	flat_load_dwordx4 v[48:51], v[52:53]
	s_nop 0
	scratch_load_dwordx4 v[52:55], off, off offset:80
	scratch_load_dwordx4 v[56:59], v46, off
	scratch_load_dwordx4 v[60:63], v45, off
	;; [unrolled: 1-line block ×20, first 2 shown]
	v_cndmask_b32_e64 v188, 0, 1, vcc
	v_cmp_ne_u32_e32 vcc, v19, v20
	s_waitcnt vmcnt(0) lgkmcnt(0)
	scratch_store_dwordx4 off, v[48:51], off offset:432
	scratch_load_dwordx4 v[48:51], v26, off
	s_nop 0
	scratch_load_dwordx4 v[136:139], v1, off
	v_cndmask_b32_e64 v176, 0, 1, vcc
	v_cmp_ne_u32_e32 vcc, v18, v19
	ds_write_b128 v140, v[52:55]
	ds_write_b128 v140, v[56:59] offset:2048
	ds_write_b128 v140, v[60:63] offset:4096
	;; [unrolled: 1-line block ×20, first 2 shown]
	s_waitcnt vmcnt(1)
	ds_write_b128 v140, v[48:51] offset:43008
	s_waitcnt vmcnt(0)
	ds_write_b128 v140, v[136:139] offset:45056
	v_cndmask_b32_e64 v168, 0, 1, vcc
	v_cmp_ne_u32_e32 vcc, v17, v18
	s_waitcnt lgkmcnt(0)
	s_barrier
	v_cndmask_b32_e64 v164, 0, 1, vcc
	v_cmp_ne_u32_e32 vcc, v16, v17
	s_nop 1
	v_cndmask_b32_e64 v156, 0, 1, vcc
	v_cmp_ne_u32_e32 vcc, v15, v16
	s_nop 1
	;; [unrolled: 3-line block ×15, first 2 shown]
	v_cndmask_b32_e64 v18, 0, 1, vcc
	v_cmp_ne_u32_e32 vcc, v25, v2
	ds_read_b128 v[2:5], v197 offset:352
	ds_read_b128 v[6:9], v197 offset:16
	ds_read_b128 v[10:13], v197
	v_cndmask_b32_e64 v14, 0, 1, vcc
	scratch_store_byte off, v14, off offset:496
	ds_read2_b32 v[16:17], v197 offset0:6 offset1:7
	ds_read2_b32 v[14:15], v197 offset0:4 offset1:5
	scratch_store_byte off, v18, off offset:516
	ds_read_b128 v[18:21], v197 offset:32
	ds_read2_b64 v[22:25], v197 offset0:4 offset1:5
	scratch_store_byte off, v153, off offset:536
	ds_read_b128 v[48:51], v197 offset:64
	ds_read2_b32 v[54:55], v197 offset0:14 offset1:15
	ds_read_b128 v[56:59], v197 offset:48
	ds_read2_b32 v[52:53], v197 offset0:12 offset1:13
	scratch_store_byte off, v152, off offset:556
	ds_read_b128 v[60:63], v197 offset:80
	ds_read_b128 v[64:67], v197 offset:64
	scratch_store_byte off, v151, off offset:576
	ds_read2_b32 v[70:71], v197 offset0:22 offset1:23
	ds_read2_b32 v[68:69], v197 offset0:20 offset1:21
	scratch_store_byte off, v150, off offset:596
	ds_read_b128 v[72:75], v197 offset:96
	ds_read2_b64 v[76:79], v197 offset0:12 offset1:13
	scratch_store_byte off, v149, off offset:616
	ds_read_b128 v[80:83], v197 offset:128
	ds_read2_b32 v[86:87], v197 offset0:30 offset1:31
	ds_read_b128 v[88:91], v197 offset:112
	ds_read2_b32 v[84:85], v197 offset0:28 offset1:29
	scratch_store_byte off, v148, off offset:636
	ds_read_b128 v[92:95], v197 offset:144
	ds_read_b128 v[96:99], v197 offset:128
	;; [unrolled: 14-line block ×5, first 2 shown]
	scratch_store_byte off, v196, off offset:896
	ds_read2_b32 v[198:199], v197 offset0:86 offset1:87
	ds_read2_b32 v[196:197], v197 offset0:84 offset1:85
	scratch_store_byte off, v47, off offset:916
	s_waitcnt lgkmcnt(14)
	scratch_store_dwordx4 v46, v[6:9], off
	scratch_store_dwordx4 v45, v[18:21], off
	;; [unrolled: 1-line block ×16, first 2 shown]
	s_waitcnt lgkmcnt(13)
	scratch_store_dwordx4 v30, v[156:159], off
	s_waitcnt lgkmcnt(9)
	scratch_store_dwordx4 v29, v[168:171], off
	;; [unrolled: 2-line block ×3, first 2 shown]
	scratch_store_dwordx4 v27, v[176:179], off
	s_waitcnt lgkmcnt(3)
	scratch_store_dwordx4 v26, v[188:191], off
	scratch_store_dwordx4 v1, v[2:5], off
	scratch_store_dwordx4 off, v[10:13], off offset:480
	scratch_store_dwordx4 off, v[14:17], s33
	scratch_store_dwordx4 off, v[22:25], s78
	;; [unrolled: 1-line block ×19, first 2 shown]
	s_waitcnt lgkmcnt(2)
	scratch_store_dwordx4 off, v[192:195], s55
	s_waitcnt lgkmcnt(0)
	scratch_store_dwordx4 off, v[196:199], s70
	s_and_saveexec_b64 s[6:7], s[10:11]
	s_cbranch_execnz .LBB2068_99
	s_branch .LBB2068_100
.LBB2068_818:
	s_cbranch_execz .LBB2068_1278
; %bb.819:
	v_readlane_b32 s0, v200, 18
	v_readlane_b32 s8, v200, 8
	v_readlane_b32 s1, v200, 19
	v_readlane_b32 s10, v200, 10
	v_readlane_b32 s11, v200, 11
	s_cmp_lg_u64 s[0:1], 0
	s_mov_b64 s[2:3], s[10:11]
	s_cselect_b32 s7, s3, 0
	s_cselect_b32 s6, s2, 0
	s_cmp_lg_u64 s[6:7], 0
	s_cselect_b64 s[0:1], -1, 0
	s_and_b64 s[2:3], s[16:17], s[0:1]
	v_readlane_b32 s9, v200, 9
	v_readlane_b32 s12, v200, 12
	;; [unrolled: 1-line block ×5, first 2 shown]
	s_and_saveexec_b64 s[0:1], s[2:3]
	s_cbranch_execz .LBB2068_829
; %bb.820:
	scratch_load_ubyte v1, off, off offset:496
                                        ; implicit-def: $vgpr4_vgpr5
	s_waitcnt vmcnt(0)
	v_cmp_ne_u16_e32 vcc, 0, v1
	s_and_saveexec_b64 s[2:3], vcc
	s_xor_b64 s[8:9], exec, s[2:3]
	s_cbranch_execz .LBB2068_822
; %bb.821:
	scratch_load_dwordx4 v[2:5], off, off offset:480
.LBB2068_822:
	s_andn2_saveexec_b64 s[8:9], s[8:9]
	s_cbranch_execz .LBB2068_828
; %bb.823:
	s_waitcnt vmcnt(0)
	v_mov_b32_e32 v2, 0
	s_mov_b32 s2, 0
	v_mov_b32_e32 v3, v2
.LBB2068_824:                           ; =>This Inner Loop Header: Depth=1
	s_add_i32 s3, s2, 0x50
	s_add_i32 s2, s2, 8
	s_cmp_lg_u32 s2, 16
	scratch_store_dwordx2 off, v[2:3], s3
	s_cbranch_scc1 .LBB2068_824
; %bb.825:
	s_mov_b32 s2, 0
	v_mov_b32_e32 v2, 0
	s_mov_b64 s[10:11], s[6:7]
.LBB2068_826:                           ; =>This Inner Loop Header: Depth=1
	s_add_i32 s3, s2, 0x1e0
	global_load_dwordx2 v[4:5], v2, s[10:11]
	scratch_load_dwordx2 v[6:7], off, s3
	s_add_i32 s3, s2, 0x50
	s_add_u32 s10, s10, 8
	s_addc_u32 s11, s11, 0
	s_add_i32 s2, s2, 8
	s_cmp_lg_u32 s2, 16
	s_waitcnt vmcnt(0)
	v_add_u32_e32 v5, v7, v5
	v_add_u32_e32 v4, v6, v4
	scratch_store_dwordx2 off, v[4:5], s3
	s_cbranch_scc1 .LBB2068_826
; %bb.827:
	scratch_load_dwordx4 v[2:5], off, off offset:80
.LBB2068_828:
	s_or_b64 exec, exec, s[8:9]
	v_mov_b32_e32 v6, 0
	global_load_ubyte v6, v6, s[6:7] offset:16
	s_waitcnt vmcnt(0)
	v_or_b32_e32 v1, v1, v6
	v_and_b32_e32 v1, 1, v1
	scratch_store_dwordx4 off, v[2:5], off offset:480
	scratch_store_byte off, v1, off offset:496
.LBB2068_829:
	s_or_b64 exec, exec, s[0:1]
	v_mov_b32_e32 v2, 0
	s_mov_b32 s0, 0
	v_mov_b32_e32 v3, v2
	v_mov_b32_e32 v4, v2
	;; [unrolled: 1-line block ×3, first 2 shown]
	scratch_store_dword off, v2, off offset:72
	scratch_store_dwordx4 off, v[2:5], off offset:56
.LBB2068_830:                           ; =>This Inner Loop Header: Depth=1
	s_add_i32 s1, s0, 56
	s_add_i32 s0, s0, 8
	s_cmp_lg_u32 s0, 16
	scratch_store_dwordx2 off, v[2:3], s1
	s_cbranch_scc1 .LBB2068_830
; %bb.831:
	v_mov_b32_e32 v2, 0
	s_mov_b32 s0, 0
	v_mov_b32_e32 v3, v2
	scratch_store_byte off, v2, off offset:72
	scratch_store_dword off, v2, off offset:96
.LBB2068_832:                           ; =>This Inner Loop Header: Depth=1
	s_add_i32 s1, s0, 0x50
	s_add_i32 s0, s0, 8
	s_cmp_lg_u32 s0, 16
	scratch_store_dwordx2 off, v[2:3], s1
	s_cbranch_scc1 .LBB2068_832
; %bb.833:
	scratch_load_dwordx4 v[2:5], off, off offset:480
	scratch_load_ubyte v1, off, off offset:496
	scratch_load_ubyte v6, off, off offset:516
	s_waitcnt vmcnt(2)
	scratch_store_dwordx4 off, v[2:5], off offset:80
	s_waitcnt vmcnt(2)
	scratch_store_byte off, v1, off offset:96
	s_waitcnt vmcnt(2)
	v_cmp_ne_u16_e32 vcc, 0, v6
                                        ; implicit-def: $vgpr4_vgpr5
	s_and_saveexec_b64 s[0:1], vcc
	s_xor_b64 s[0:1], exec, s[0:1]
	s_cbranch_execz .LBB2068_835
; %bb.834:
	scratch_load_dwordx4 v[2:5], off, off offset:500
.LBB2068_835:
	s_andn2_saveexec_b64 s[0:1], s[0:1]
	s_cbranch_execz .LBB2068_841
; %bb.836:
	s_waitcnt vmcnt(0)
	v_mov_b32_e32 v2, 0
	s_mov_b32 s2, 0
	v_mov_b32_e32 v3, v2
.LBB2068_837:                           ; =>This Inner Loop Header: Depth=1
	s_add_i32 s3, s2, 16
	s_add_i32 s2, s2, 8
	s_cmp_lg_u32 s2, 16
	scratch_store_dwordx2 off, v[2:3], s3
	s_cbranch_scc1 .LBB2068_837
; %bb.838:
	s_mov_b32 s2, 0
.LBB2068_839:                           ; =>This Inner Loop Header: Depth=1
	s_add_i32 s3, s2, 0x50
	s_add_i32 s6, s33, s2
	scratch_load_dwordx2 v[2:3], off, s3
	scratch_load_dwordx2 v[4:5], off, s6
	s_add_i32 s3, s2, 16
	s_add_i32 s2, s2, 8
	s_cmp_lg_u32 s2, 16
	s_waitcnt vmcnt(0)
	v_add_u32_e32 v3, v5, v3
	v_add_u32_e32 v2, v4, v2
	scratch_store_dwordx2 off, v[2:3], s3
	s_cbranch_scc1 .LBB2068_839
; %bb.840:
	scratch_load_dwordx4 v[2:5], off, off offset:16
.LBB2068_841:
	s_or_b64 exec, exec, s[0:1]
	scratch_load_ubyte v7, off, off offset:536
	s_waitcnt vmcnt(0)
	v_cmp_ne_u16_e32 vcc, 0, v7
	scratch_store_dwordx4 off, v[2:5], off offset:80
                                        ; implicit-def: $vgpr4_vgpr5
	s_and_saveexec_b64 s[0:1], vcc
	s_xor_b64 s[0:1], exec, s[0:1]
	s_cbranch_execz .LBB2068_843
; %bb.842:
	scratch_load_dwordx4 v[2:5], off, off offset:520
.LBB2068_843:
	s_andn2_saveexec_b64 s[0:1], s[0:1]
	s_cbranch_execz .LBB2068_849
; %bb.844:
	s_waitcnt vmcnt(0)
	v_mov_b32_e32 v2, 0
	s_mov_b32 s2, 0
	v_mov_b32_e32 v3, v2
.LBB2068_845:                           ; =>This Inner Loop Header: Depth=1
	s_add_i32 s3, s2, 16
	s_add_i32 s2, s2, 8
	s_cmp_lg_u32 s2, 16
	scratch_store_dwordx2 off, v[2:3], s3
	s_cbranch_scc1 .LBB2068_845
; %bb.846:
	s_mov_b32 s2, 0
.LBB2068_847:                           ; =>This Inner Loop Header: Depth=1
	s_add_i32 s3, s2, 0x50
	s_add_i32 s6, s78, s2
	scratch_load_dwordx2 v[2:3], off, s3
	scratch_load_dwordx2 v[4:5], off, s6
	s_add_i32 s3, s2, 16
	s_add_i32 s2, s2, 8
	s_cmp_lg_u32 s2, 16
	s_waitcnt vmcnt(0)
	v_add_u32_e32 v3, v5, v3
	v_add_u32_e32 v2, v4, v2
	scratch_store_dwordx2 off, v[2:3], s3
	s_cbranch_scc1 .LBB2068_847
; %bb.848:
	scratch_load_dwordx4 v[2:5], off, off offset:16
.LBB2068_849:
	s_or_b64 exec, exec, s[0:1]
	scratch_load_ubyte v8, off, off offset:556
	s_waitcnt vmcnt(0)
	v_cmp_ne_u16_e32 vcc, 0, v8
	scratch_store_dwordx4 off, v[2:5], off offset:80
	;; [unrolled: 43-line block ×21, first 2 shown]
                                        ; implicit-def: $vgpr4_vgpr5
	s_and_saveexec_b64 s[0:1], vcc
	s_xor_b64 s[0:1], exec, s[0:1]
	s_cbranch_execz .LBB2068_1003
; %bb.1002:
	scratch_load_dwordx4 v[2:5], off, off offset:920
.LBB2068_1003:
	s_andn2_saveexec_b64 s[0:1], s[0:1]
	s_cbranch_execz .LBB2068_1009
; %bb.1004:
	s_waitcnt vmcnt(0)
	v_mov_b32_e32 v2, 0
	s_mov_b32 s2, 0
	v_mov_b32_e32 v3, v2
.LBB2068_1005:                          ; =>This Inner Loop Header: Depth=1
	s_add_i32 s3, s2, 16
	s_add_i32 s2, s2, 8
	s_cmp_lg_u32 s2, 16
	scratch_store_dwordx2 off, v[2:3], s3
	s_cbranch_scc1 .LBB2068_1005
; %bb.1006:
	s_mov_b32 s2, 0
.LBB2068_1007:                          ; =>This Inner Loop Header: Depth=1
	s_add_i32 s3, s2, 0x50
	s_add_i32 s6, s71, s2
	scratch_load_dwordx2 v[2:3], off, s3
	scratch_load_dwordx2 v[4:5], off, s6
	s_add_i32 s3, s2, 16
	s_add_i32 s2, s2, 8
	s_cmp_lg_u32 s2, 16
	s_waitcnt vmcnt(0)
	v_add_u32_e32 v3, v5, v3
	v_add_u32_e32 v2, v4, v2
	scratch_store_dwordx2 off, v[2:3], s3
	s_cbranch_scc1 .LBB2068_1007
; %bb.1008:
	scratch_load_dwordx4 v[2:5], off, off offset:16
.LBB2068_1009:
	s_or_b64 exec, exec, s[0:1]
	scratch_load_ushort v29, off, off offset:97
	scratch_load_ubyte v17, off, off offset:99
	v_or_b32_e32 v27, v28, v27
	v_or_b32_e32 v26, v27, v26
	;; [unrolled: 1-line block ×20, first 2 shown]
	v_mov_b32_e32 v28, 8
	v_or_b32_e32 v6, v7, v6
	v_lshrrev_b32_e32 v30, 5, v0
	v_or_b32_e32 v1, v6, v1
	v_add_u32_e32 v27, v30, v0
	v_mul_u32_u24_e32 v26, 20, v27
	v_and_b32_e32 v1, 1, v1
	v_cmp_gt_u32_e32 vcc, 64, v0
	s_waitcnt vmcnt(2)
	ds_write2_b32 v26, v2, v3 offset1:1
	ds_write2_b32 v26, v4, v5 offset0:2 offset1:3
	ds_write_b8 v26, v1 offset:16
	s_waitcnt lgkmcnt(0)
	s_barrier
	s_waitcnt vmcnt(1)
	v_lshrrev_b32_sdwa v6, v28, v29 dst_sel:BYTE_1 dst_unused:UNUSED_PAD src0_sel:DWORD src1_sel:DWORD
	s_nop 0
	v_or_b32_sdwa v6, v29, v6 dst_sel:DWORD dst_unused:UNUSED_PAD src0_sel:BYTE_0 src1_sel:DWORD
	v_and_b32_e32 v12, 0xffff, v6
	s_and_saveexec_b64 s[6:7], vcc
	s_cbranch_execz .LBB2068_1085
; %bb.1010:
	v_lshrrev_b32_e32 v6, 4, v0
	v_lshl_add_u32 v11, v0, 1, v6
	v_mul_u32_u24_e32 v14, 20, v11
	ds_read_u8 v10, v14 offset:36
	ds_read_b32 v13, v14 offset:16
	ds_read2_b32 v[8:9], v14 offset0:2 offset1:3
	ds_read2_b32 v[6:7], v14 offset1:1
	s_waitcnt lgkmcnt(2)
	scratch_store_dword off, v13, off offset:32
	s_waitcnt lgkmcnt(0)
	scratch_store_dwordx4 off, v[6:9], off offset:16
	v_mad_u32_u24 v13, v11, 20, 20
	v_cmp_ne_u16_e32 vcc, 0, v10
                                        ; implicit-def: $vgpr6_vgpr7
	s_and_saveexec_b64 s[0:1], vcc
	s_xor_b64 s[0:1], exec, s[0:1]
	s_cbranch_execz .LBB2068_1012
; %bb.1011:
	ds_read2_b32 v[6:7], v13 offset1:1
	ds_read2_b32 v[8:9], v13 offset0:2 offset1:3
.LBB2068_1012:
	s_andn2_saveexec_b64 s[0:1], s[0:1]
	s_cbranch_execz .LBB2068_1018
; %bb.1013:
	s_waitcnt lgkmcnt(1)
	v_mov_b32_e32 v6, 0
	s_mov_b32 s2, 0
	v_mov_b32_e32 v7, v6
.LBB2068_1014:                          ; =>This Inner Loop Header: Depth=1
	s_add_i32 s3, s2, 0x50
	s_add_i32 s2, s2, 8
	s_cmp_lg_u32 s2, 16
	scratch_store_dwordx2 off, v[6:7], s3
	s_cbranch_scc1 .LBB2068_1014
; %bb.1015:
	s_mov_b32 s2, 0
.LBB2068_1016:                          ; =>This Inner Loop Header: Depth=1
	s_add_i32 s3, s2, 16
	scratch_load_dwordx2 v[6:7], off, s3
	s_waitcnt lgkmcnt(0)
	v_add_u32_e32 v8, s2, v13
	ds_read2_b32 v[8:9], v8 offset1:1
	s_add_i32 s3, s2, 0x50
	s_add_i32 s2, s2, 8
	s_cmp_lg_u32 s2, 16
	s_waitcnt vmcnt(0) lgkmcnt(0)
	v_add_u32_e32 v7, v9, v7
	v_add_u32_e32 v6, v8, v6
	scratch_store_dwordx2 off, v[6:7], s3
	s_cbranch_scc1 .LBB2068_1016
; %bb.1017:
	scratch_load_dwordx4 v[6:9], off, off offset:80
.LBB2068_1018:
	s_or_b64 exec, exec, s[0:1]
	scratch_load_ubyte v11, off, off offset:32
	s_waitcnt vmcnt(1) lgkmcnt(1)
	v_mov_b32_dpp v18, v6 row_shr:1 row_mask:0xf bank_mask:0xf
	v_mov_b32_dpp v19, v7 row_shr:1 row_mask:0xf bank_mask:0xf
	s_waitcnt lgkmcnt(0)
	v_mov_b32_dpp v20, v8 row_shr:1 row_mask:0xf bank_mask:0xf
	v_mov_b32_dpp v21, v9 row_shr:1 row_mask:0xf bank_mask:0xf
	scratch_store_dwordx4 off, v[18:21], off offset:80
	scratch_store_dwordx4 off, v[6:9], off offset:16
	s_waitcnt vmcnt(2)
	v_or_b32_e32 v10, v10, v11
	v_and_b32_e32 v10, 1, v10
	scratch_store_byte off, v10, off offset:32
	scratch_load_dword v16, off, off offset:32
	v_mbcnt_lo_u32_b32 v10, -1, 0
	v_mbcnt_hi_u32_b32 v15, -1, v10
	v_and_b32_e32 v18, 15, v15
	v_cmp_ne_u32_e32 vcc, 0, v18
	s_waitcnt vmcnt(0)
	v_mov_b32_dpp v19, v16 row_shr:1 row_mask:0xf bank_mask:0xf
	scratch_store_dword off, v19, off offset:96
	s_and_saveexec_b64 s[0:1], vcc
	s_cbranch_execz .LBB2068_1026
; %bb.1019:
	v_mov_b32_e32 v10, 0
	v_cmp_eq_u16_sdwa s[2:3], v16, v10 src0_sel:BYTE_0 src1_sel:DWORD
	s_and_saveexec_b64 s[8:9], s[2:3]
	s_cbranch_execz .LBB2068_1025
; %bb.1020:
	s_mov_b32 s2, 0
	v_mov_b32_e32 v11, v10
.LBB2068_1021:                          ; =>This Inner Loop Header: Depth=1
	s_add_i32 s3, s2, 36
	s_add_i32 s2, s2, 8
	s_cmp_lg_u32 s2, 16
	scratch_store_dwordx2 off, v[10:11], s3
	s_cbranch_scc1 .LBB2068_1021
; %bb.1022:
	s_mov_b32 s2, 0
.LBB2068_1023:                          ; =>This Inner Loop Header: Depth=1
	s_add_i32 s3, s2, 0x50
	s_add_i32 s10, s2, 16
	scratch_load_dwordx2 v[6:7], off, s3
	scratch_load_dwordx2 v[8:9], off, s10
	s_add_i32 s3, s2, 36
	s_add_i32 s2, s2, 8
	s_cmp_lg_u32 s2, 16
	s_waitcnt vmcnt(0)
	v_add_u32_e32 v7, v9, v7
	v_add_u32_e32 v6, v8, v6
	scratch_store_dwordx2 off, v[6:7], s3
	s_cbranch_scc1 .LBB2068_1023
; %bb.1024:
	scratch_load_dwordx4 v[6:9], off, off offset:36
.LBB2068_1025:
	s_or_b64 exec, exec, s[8:9]
	v_or_b32_e32 v10, v19, v16
	v_and_b32_e32 v10, 1, v10
	scratch_store_byte off, v10, off offset:32
	scratch_load_dword v16, off, off offset:32
	s_waitcnt vmcnt(2)
	scratch_store_dwordx4 off, v[6:9], off offset:16
.LBB2068_1026:
	s_or_b64 exec, exec, s[0:1]
	v_mov_b32_dpp v20, v6 row_shr:2 row_mask:0xf bank_mask:0xf
	v_mov_b32_dpp v21, v7 row_shr:2 row_mask:0xf bank_mask:0xf
	v_mov_b32_dpp v22, v8 row_shr:2 row_mask:0xf bank_mask:0xf
	v_mov_b32_dpp v23, v9 row_shr:2 row_mask:0xf bank_mask:0xf
	s_waitcnt vmcnt(1)
	v_mov_b32_dpp v19, v16 row_shr:2 row_mask:0xf bank_mask:0xf
	v_cmp_lt_u32_e32 vcc, 1, v18
	scratch_store_dwordx4 off, v[20:23], off offset:80
	scratch_store_dword off, v19, off offset:96
	s_and_saveexec_b64 s[8:9], vcc
	s_cbranch_execz .LBB2068_1034
; %bb.1027:
	v_mov_b32_e32 v10, 0
	s_mov_b32 s2, 0
	v_cmp_eq_u16_sdwa s[10:11], v16, v10 src0_sel:BYTE_0 src1_sel:DWORD
	s_and_saveexec_b64 s[0:1], s[10:11]
	s_cbranch_execz .LBB2068_1033
; %bb.1028:
	v_mov_b32_e32 v11, v10
.LBB2068_1029:                          ; =>This Inner Loop Header: Depth=1
	s_add_i32 s3, s2, 36
	s_add_i32 s2, s2, 8
	s_cmp_lg_u32 s2, 16
	scratch_store_dwordx2 off, v[10:11], s3
	s_cbranch_scc1 .LBB2068_1029
; %bb.1030:
	s_mov_b32 s2, 0
.LBB2068_1031:                          ; =>This Inner Loop Header: Depth=1
	s_add_i32 s3, s2, 0x50
	s_add_i32 s10, s2, 16
	scratch_load_dwordx2 v[6:7], off, s3
	scratch_load_dwordx2 v[8:9], off, s10
	s_add_i32 s3, s2, 36
	s_add_i32 s2, s2, 8
	s_cmp_lg_u32 s2, 16
	s_waitcnt vmcnt(0)
	v_add_u32_e32 v7, v9, v7
	v_add_u32_e32 v6, v8, v6
	scratch_store_dwordx2 off, v[6:7], s3
	s_cbranch_scc1 .LBB2068_1031
; %bb.1032:
	scratch_load_dwordx4 v[6:9], off, off offset:36
.LBB2068_1033:
	s_or_b64 exec, exec, s[0:1]
	v_and_b32_e32 v10, 1, v16
	v_cmp_eq_u32_e32 vcc, 1, v10
	v_and_b32_e32 v10, 1, v19
	v_cmp_eq_u32_e64 s[0:1], 1, v10
	s_or_b64 s[0:1], vcc, s[0:1]
	s_waitcnt vmcnt(0)
	scratch_store_dwordx4 off, v[6:9], off offset:16
	v_cndmask_b32_e64 v10, 0, 1, s[0:1]
	scratch_store_byte off, v10, off offset:32
	scratch_load_dword v16, off, off offset:32
.LBB2068_1034:
	s_or_b64 exec, exec, s[8:9]
	v_mov_b32_dpp v20, v6 row_shr:4 row_mask:0xf bank_mask:0xf
	v_mov_b32_dpp v21, v7 row_shr:4 row_mask:0xf bank_mask:0xf
	v_mov_b32_dpp v22, v8 row_shr:4 row_mask:0xf bank_mask:0xf
	v_mov_b32_dpp v23, v9 row_shr:4 row_mask:0xf bank_mask:0xf
	s_waitcnt vmcnt(0)
	v_mov_b32_dpp v19, v16 row_shr:4 row_mask:0xf bank_mask:0xf
	v_cmp_lt_u32_e32 vcc, 3, v18
	scratch_store_dwordx4 off, v[20:23], off offset:80
	scratch_store_dword off, v19, off offset:96
	s_and_saveexec_b64 s[8:9], vcc
	s_cbranch_execz .LBB2068_1042
; %bb.1035:
	v_mov_b32_e32 v10, 0
	s_mov_b32 s2, 0
	v_cmp_eq_u16_sdwa s[10:11], v16, v10 src0_sel:BYTE_0 src1_sel:DWORD
	s_and_saveexec_b64 s[0:1], s[10:11]
	s_cbranch_execz .LBB2068_1041
; %bb.1036:
	v_mov_b32_e32 v11, v10
.LBB2068_1037:                          ; =>This Inner Loop Header: Depth=1
	s_add_i32 s3, s2, 36
	s_add_i32 s2, s2, 8
	s_cmp_lg_u32 s2, 16
	scratch_store_dwordx2 off, v[10:11], s3
	s_cbranch_scc1 .LBB2068_1037
; %bb.1038:
	s_mov_b32 s2, 0
.LBB2068_1039:                          ; =>This Inner Loop Header: Depth=1
	s_add_i32 s3, s2, 0x50
	s_add_i32 s10, s2, 16
	scratch_load_dwordx2 v[6:7], off, s3
	scratch_load_dwordx2 v[8:9], off, s10
	s_add_i32 s3, s2, 36
	s_add_i32 s2, s2, 8
	s_cmp_lg_u32 s2, 16
	s_waitcnt vmcnt(0)
	v_add_u32_e32 v7, v9, v7
	v_add_u32_e32 v6, v8, v6
	scratch_store_dwordx2 off, v[6:7], s3
	s_cbranch_scc1 .LBB2068_1039
; %bb.1040:
	scratch_load_dwordx4 v[6:9], off, off offset:36
.LBB2068_1041:
	s_or_b64 exec, exec, s[0:1]
	v_and_b32_e32 v10, 1, v16
	v_cmp_eq_u32_e32 vcc, 1, v10
	v_and_b32_e32 v10, 1, v19
	v_cmp_eq_u32_e64 s[0:1], 1, v10
	s_or_b64 s[0:1], vcc, s[0:1]
	s_waitcnt vmcnt(0)
	scratch_store_dwordx4 off, v[6:9], off offset:16
	v_cndmask_b32_e64 v10, 0, 1, s[0:1]
	scratch_store_byte off, v10, off offset:32
	scratch_load_dword v16, off, off offset:32
.LBB2068_1042:
	;; [unrolled: 56-line block ×3, first 2 shown]
	s_or_b64 exec, exec, s[8:9]
	v_and_b32_e32 v10, 16, v15
	v_mov_b32_dpp v20, v6 row_bcast:15 row_mask:0xf bank_mask:0xf
	v_mov_b32_dpp v21, v7 row_bcast:15 row_mask:0xf bank_mask:0xf
	;; [unrolled: 1-line block ×4, first 2 shown]
	s_waitcnt vmcnt(0)
	v_mov_b32_dpp v18, v16 row_bcast:15 row_mask:0xf bank_mask:0xf
	v_cmp_ne_u32_e32 vcc, 0, v10
	scratch_store_dwordx4 off, v[20:23], off offset:80
	scratch_store_dword off, v18, off offset:96
	s_and_saveexec_b64 s[8:9], vcc
	s_cbranch_execz .LBB2068_1058
; %bb.1051:
	v_mov_b32_e32 v10, 0
	s_mov_b32 s2, 0
	v_cmp_eq_u16_sdwa s[10:11], v16, v10 src0_sel:BYTE_0 src1_sel:DWORD
	s_and_saveexec_b64 s[0:1], s[10:11]
	s_cbranch_execz .LBB2068_1057
; %bb.1052:
	v_mov_b32_e32 v11, v10
.LBB2068_1053:                          ; =>This Inner Loop Header: Depth=1
	s_add_i32 s3, s2, 36
	s_add_i32 s2, s2, 8
	s_cmp_lg_u32 s2, 16
	scratch_store_dwordx2 off, v[10:11], s3
	s_cbranch_scc1 .LBB2068_1053
; %bb.1054:
	s_mov_b32 s2, 0
.LBB2068_1055:                          ; =>This Inner Loop Header: Depth=1
	s_add_i32 s3, s2, 0x50
	s_add_i32 s10, s2, 16
	scratch_load_dwordx2 v[6:7], off, s3
	scratch_load_dwordx2 v[8:9], off, s10
	s_add_i32 s3, s2, 36
	s_add_i32 s2, s2, 8
	s_cmp_lg_u32 s2, 16
	s_waitcnt vmcnt(0)
	v_add_u32_e32 v7, v9, v7
	v_add_u32_e32 v6, v8, v6
	scratch_store_dwordx2 off, v[6:7], s3
	s_cbranch_scc1 .LBB2068_1055
; %bb.1056:
	scratch_load_dwordx4 v[6:9], off, off offset:36
.LBB2068_1057:
	s_or_b64 exec, exec, s[0:1]
	v_and_b32_e32 v10, 1, v16
	v_cmp_eq_u32_e32 vcc, 1, v10
	v_and_b32_e32 v10, 1, v18
	v_cmp_eq_u32_e64 s[0:1], 1, v10
	s_or_b64 s[0:1], vcc, s[0:1]
	s_waitcnt vmcnt(0)
	scratch_store_dwordx4 off, v[6:9], off offset:16
	v_cndmask_b32_e64 v10, 0, 1, s[0:1]
	scratch_store_byte off, v10, off offset:32
	scratch_load_dword v16, off, off offset:32
.LBB2068_1058:
	s_or_b64 exec, exec, s[8:9]
	v_mov_b32_dpp v20, v6 row_bcast:31 row_mask:0xf bank_mask:0xf
	v_mov_b32_dpp v21, v7 row_bcast:31 row_mask:0xf bank_mask:0xf
	;; [unrolled: 1-line block ×4, first 2 shown]
	s_waitcnt vmcnt(0)
	v_mov_b32_dpp v18, v16 row_bcast:31 row_mask:0xf bank_mask:0xf
	v_cmp_lt_u32_e32 vcc, 31, v15
	scratch_store_dwordx4 off, v[20:23], off offset:80
	scratch_store_dword off, v18, off offset:96
	s_and_saveexec_b64 s[8:9], vcc
	s_cbranch_execz .LBB2068_1066
; %bb.1059:
	v_mov_b32_e32 v10, 0
	s_mov_b32 s2, 0
	v_cmp_eq_u16_sdwa s[10:11], v16, v10 src0_sel:BYTE_0 src1_sel:DWORD
	s_and_saveexec_b64 s[0:1], s[10:11]
	s_cbranch_execz .LBB2068_1065
; %bb.1060:
	v_mov_b32_e32 v11, v10
.LBB2068_1061:                          ; =>This Inner Loop Header: Depth=1
	s_add_i32 s3, s2, 36
	s_add_i32 s2, s2, 8
	s_cmp_lg_u32 s2, 16
	scratch_store_dwordx2 off, v[10:11], s3
	s_cbranch_scc1 .LBB2068_1061
; %bb.1062:
	s_mov_b32 s2, 0
.LBB2068_1063:                          ; =>This Inner Loop Header: Depth=1
	s_add_i32 s3, s2, 0x50
	s_add_i32 s10, s2, 16
	scratch_load_dwordx2 v[6:7], off, s3
	scratch_load_dwordx2 v[8:9], off, s10
	s_add_i32 s3, s2, 36
	s_add_i32 s2, s2, 8
	s_cmp_lg_u32 s2, 16
	s_waitcnt vmcnt(0)
	v_add_u32_e32 v7, v9, v7
	v_add_u32_e32 v6, v8, v6
	scratch_store_dwordx2 off, v[6:7], s3
	s_cbranch_scc1 .LBB2068_1063
; %bb.1064:
	scratch_load_dwordx4 v[6:9], off, off offset:36
.LBB2068_1065:
	s_or_b64 exec, exec, s[0:1]
	v_and_b32_e32 v10, 1, v16
	v_cmp_eq_u32_e32 vcc, 1, v10
	v_and_b32_e32 v10, 1, v18
	v_cmp_eq_u32_e64 s[0:1], 1, v10
	s_or_b64 s[0:1], vcc, s[0:1]
	s_nop 0
	v_cndmask_b32_e64 v10, 0, 1, s[0:1]
	scratch_store_byte off, v10, off offset:32
	scratch_load_dword v16, off, off offset:32
.LBB2068_1066:
	s_or_b64 exec, exec, s[8:9]
	v_add_u32_e32 v10, -1, v15
	v_and_b32_e32 v11, 64, v15
	v_cmp_lt_i32_e32 vcc, v10, v11
	ds_read_u8 v11, v14 offset:16
	s_nop 0
	v_cndmask_b32_e32 v10, v10, v15, vcc
	v_lshlrev_b32_e32 v10, 2, v10
	s_waitcnt vmcnt(2)
	ds_bpermute_b32 v6, v10, v6
	ds_bpermute_b32 v7, v10, v7
	;; [unrolled: 1-line block ×4, first 2 shown]
	s_waitcnt vmcnt(0)
	ds_bpermute_b32 v10, v10, v16
	s_waitcnt lgkmcnt(5)
	v_cmp_ne_u16_e32 vcc, 0, v11
	s_waitcnt lgkmcnt(1)
	scratch_store_dwordx4 off, v[6:9], off offset:16
                                        ; implicit-def: $vgpr8_vgpr9
	s_and_saveexec_b64 s[0:1], vcc
	s_xor_b64 s[0:1], exec, s[0:1]
	s_cbranch_execz .LBB2068_1068
; %bb.1067:
	ds_read2_b32 v[6:7], v14 offset1:1
	ds_read2_b32 v[8:9], v14 offset0:2 offset1:3
.LBB2068_1068:
	s_andn2_saveexec_b64 s[0:1], s[0:1]
	s_cbranch_execz .LBB2068_1074
; %bb.1069:
	s_waitcnt lgkmcnt(1)
	v_mov_b32_e32 v6, 0
	s_mov_b32 s2, 0
	v_mov_b32_e32 v7, v6
.LBB2068_1070:                          ; =>This Inner Loop Header: Depth=1
	s_add_i32 s3, s2, 0x50
	s_add_i32 s2, s2, 8
	s_cmp_lg_u32 s2, 16
	scratch_store_dwordx2 off, v[6:7], s3
	s_cbranch_scc1 .LBB2068_1070
; %bb.1071:
	s_mov_b32 s2, 0
.LBB2068_1072:                          ; =>This Inner Loop Header: Depth=1
	s_add_i32 s3, s2, 16
	scratch_load_dwordx2 v[6:7], off, s3
	s_waitcnt lgkmcnt(0)
	v_add_u32_e32 v8, s2, v14
	ds_read2_b32 v[8:9], v8 offset1:1
	s_add_i32 s3, s2, 0x50
	s_add_i32 s2, s2, 8
	s_cmp_lg_u32 s2, 16
	s_waitcnt vmcnt(0) lgkmcnt(0)
	v_add_u32_e32 v7, v9, v7
	v_add_u32_e32 v6, v8, v6
	scratch_store_dwordx2 off, v[6:7], s3
	s_cbranch_scc1 .LBB2068_1072
; %bb.1073:
	scratch_load_dwordx4 v[6:9], off, off offset:80
.LBB2068_1074:
	s_or_b64 exec, exec, s[0:1]
	v_and_b32_e32 v11, 1, v11
	s_waitcnt lgkmcnt(0)
	v_and_b32_e32 v10, 1, v10
	v_cmp_eq_u32_e32 vcc, 1, v11
	v_cmp_eq_u32_e64 s[0:1], 1, v10
	s_or_b64 s[0:1], s[0:1], vcc
	s_nop 0
	v_cndmask_b32_e64 v10, 0, 1, s[0:1]
	s_waitcnt vmcnt(0)
	scratch_store_dwordx4 off, v[6:9], off offset:16
	scratch_store_byte off, v10, off offset:32
	s_and_saveexec_b64 s[0:1], s[16:17]
	s_cbranch_execz .LBB2068_1076
; %bb.1075:
	scratch_store_dwordx4 off, v[2:5], off offset:16
	scratch_store_byte off, v1, off offset:32
.LBB2068_1076:
	s_or_b64 exec, exec, s[0:1]
	; wave barrier
	scratch_load_dwordx4 v[6:9], off, off offset:16
	scratch_load_ubyte v10, off, off offset:32
	s_waitcnt vmcnt(1)
	ds_write2_b32 v14, v8, v9 offset0:2 offset1:3
	ds_write2_b32 v14, v6, v7 offset1:1
	s_waitcnt vmcnt(0)
	ds_write_b8 v14, v10 offset:16
	; wave barrier
	ds_read_u8 v10, v14 offset:36
                                        ; implicit-def: $vgpr8_vgpr9
	s_waitcnt lgkmcnt(0)
	v_cmp_ne_u16_e32 vcc, 0, v10
	s_and_saveexec_b64 s[0:1], vcc
	s_xor_b64 s[0:1], exec, s[0:1]
	s_cbranch_execz .LBB2068_1078
; %bb.1077:
	ds_read2_b32 v[6:7], v13 offset1:1
	ds_read2_b32 v[8:9], v13 offset0:2 offset1:3
.LBB2068_1078:
	s_andn2_saveexec_b64 s[0:1], s[0:1]
	s_cbranch_execz .LBB2068_1084
; %bb.1079:
	s_waitcnt lgkmcnt(1)
	v_mov_b32_e32 v6, 0
	s_mov_b32 s2, 0
	v_mov_b32_e32 v7, v6
.LBB2068_1080:                          ; =>This Inner Loop Header: Depth=1
	s_add_i32 s3, s2, 0x50
	s_add_i32 s2, s2, 8
	s_cmp_lg_u32 s2, 16
	scratch_store_dwordx2 off, v[6:7], s3
	s_cbranch_scc1 .LBB2068_1080
; %bb.1081:
	s_mov_b32 s2, 0
.LBB2068_1082:                          ; =>This Inner Loop Header: Depth=1
	s_add_i32 s3, s2, 16
	scratch_load_dwordx2 v[6:7], off, s3
	s_waitcnt lgkmcnt(0)
	v_add_u32_e32 v8, s2, v13
	ds_read2_b32 v[8:9], v8 offset1:1
	s_add_i32 s3, s2, 0x50
	s_add_i32 s2, s2, 8
	s_cmp_lg_u32 s2, 16
	s_waitcnt vmcnt(0) lgkmcnt(0)
	v_add_u32_e32 v7, v9, v7
	v_add_u32_e32 v6, v8, v6
	scratch_store_dwordx2 off, v[6:7], s3
	s_cbranch_scc1 .LBB2068_1082
; %bb.1083:
	scratch_load_dwordx4 v[6:9], off, off offset:80
.LBB2068_1084:
	s_or_b64 exec, exec, s[0:1]
	scratch_load_ubyte v11, off, off offset:32
	s_waitcnt vmcnt(1) lgkmcnt(0)
	ds_write2_b32 v13, v8, v9 offset0:2 offset1:3
	s_waitcnt vmcnt(0)
	v_or_b32_e32 v8, v10, v11
	v_and_b32_e32 v8, 1, v8
	ds_write2_b32 v13, v6, v7 offset1:1
	ds_write_b8 v13, v8 offset:16
.LBB2068_1085:
	s_or_b64 exec, exec, s[6:7]
	s_waitcnt vmcnt(0)
	v_lshl_or_b32 v7, v17, 16, v12
	s_waitcnt lgkmcnt(0)
	s_barrier
	s_and_saveexec_b64 s[0:1], s[92:93]
	s_cbranch_execz .LBB2068_1087
; %bb.1086:
	v_add_u32_e32 v1, -1, v0
	v_lshrrev_b32_e32 v2, 5, v1
	v_add_u32_e32 v1, v2, v1
	v_mul_lo_u32 v1, v1, 20
	ds_read2_b32 v[2:3], v1 offset1:1
	ds_read2_b32 v[4:5], v1 offset0:2 offset1:3
	ds_read_u8 v1, v1 offset:16
.LBB2068_1087:
	s_or_b64 exec, exec, s[0:1]
	scratch_load_dwordx4 v[8:11], off, off offset:480
	scratch_load_dword v6, off, off offset:496
	v_lshrrev_b32_e32 v12, 16, v7
	v_lshrrev_b32_e32 v13, 8, v7
	s_waitcnt lgkmcnt(1)
	scratch_store_dwordx4 off, v[2:5], off offset:16
                                        ; implicit-def: $vgpr4_vgpr5
	s_nop 1
	v_lshlrev_b16_e32 v2, 8, v7
	v_lshlrev_b16_e32 v3, 8, v12
	s_waitcnt lgkmcnt(0)
	v_or_b32_sdwa v2, v1, v2 dst_sel:DWORD dst_unused:UNUSED_PAD src0_sel:BYTE_0 src1_sel:DWORD
	v_or_b32_sdwa v3, v13, v3 dst_sel:WORD_1 dst_unused:UNUSED_PAD src0_sel:BYTE_0 src1_sel:DWORD
	s_nop 0
	v_or_b32_sdwa v2, v2, v3 dst_sel:DWORD dst_unused:UNUSED_PAD src0_sel:WORD_0 src1_sel:DWORD
	scratch_store_dword off, v2, off offset:32
	s_waitcnt vmcnt(3)
	scratch_store_dwordx4 off, v[8:11], off offset:36
	s_waitcnt vmcnt(3)
	scratch_store_dword off, v6, off offset:52
	s_and_saveexec_b64 s[0:1], s[92:93]
	s_xor_b64 s[0:1], exec, s[0:1]
	s_cbranch_execz .LBB2068_1097
; %bb.1088:
	v_mov_b32_e32 v2, 0
	v_cmp_ne_u16_sdwa s[2:3], v6, v2 src0_sel:BYTE_0 src1_sel:DWORD
                                        ; implicit-def: $vgpr4_vgpr5
	s_and_saveexec_b64 s[4:5], s[2:3]
	s_xor_b64 s[4:5], exec, s[4:5]
	s_cbranch_execz .LBB2068_1090
; %bb.1089:
	scratch_load_dwordx4 v[2:5], off, off offset:36
.LBB2068_1090:
	s_andn2_saveexec_b64 s[4:5], s[4:5]
	s_cbranch_execz .LBB2068_1096
; %bb.1091:
	s_waitcnt vmcnt(0)
	v_mov_b32_e32 v2, 0
	s_mov_b32 s2, 0
	v_mov_b32_e32 v3, v2
.LBB2068_1092:                          ; =>This Inner Loop Header: Depth=1
	s_add_i32 s3, s2, 0x50
	s_add_i32 s2, s2, 8
	s_cmp_lg_u32 s2, 16
	scratch_store_dwordx2 off, v[2:3], s3
	s_cbranch_scc1 .LBB2068_1092
; %bb.1093:
	s_mov_b32 s2, 0
.LBB2068_1094:                          ; =>This Inner Loop Header: Depth=1
	s_add_i32 s3, s2, 16
	s_add_i32 s6, s2, 36
	scratch_load_dwordx2 v[2:3], off, s3
	scratch_load_dwordx2 v[4:5], off, s6
	s_add_i32 s3, s2, 0x50
	s_add_i32 s2, s2, 8
	s_cmp_lg_u32 s2, 16
	s_waitcnt vmcnt(0)
	v_add_u32_e32 v3, v5, v3
	v_add_u32_e32 v2, v4, v2
	scratch_store_dwordx2 off, v[2:3], s3
	s_cbranch_scc1 .LBB2068_1094
; %bb.1095:
	scratch_load_dwordx4 v[2:5], off, off offset:80
.LBB2068_1096:
	s_or_b64 exec, exec, s[4:5]
	v_or_b32_e32 v1, v6, v1
	v_and_b32_e32 v6, 1, v1
	s_waitcnt vmcnt(0)
	scratch_store_dwordx4 off, v[2:5], off offset:36
	scratch_store_byte off, v6, off offset:52
	;;#ASMSTART
	;;#ASMEND
.LBB2068_1097:
	s_andn2_saveexec_b64 s[0:1], s[0:1]
	s_cbranch_execz .LBB2068_1099
; %bb.1098:
	scratch_load_dwordx4 v[2:5], off, off offset:36
.LBB2068_1099:
	s_or_b64 exec, exec, s[0:1]
	scratch_load_dwordx4 v[8:11], off, off offset:36
	scratch_load_ushort v7, off, off offset:53
	scratch_load_ubyte v12, off, off offset:55
	scratch_load_ubyte v1, off, off offset:516
	s_nop 0
	scratch_store_byte off, v6, off offset:496
	s_waitcnt vmcnt(5)
	scratch_store_dwordx4 off, v[2:5], off offset:80
	s_waitcnt vmcnt(5)
	scratch_store_dwordx4 off, v[8:11], off offset:480
	s_waitcnt vmcnt(5)
	v_lshrrev_b32_e32 v2, 8, v7
	v_lshlrev_b16_e32 v3, 8, v7
	s_waitcnt vmcnt(4)
	v_lshlrev_b16_e32 v4, 8, v12
	v_or_b32_sdwa v3, v6, v3 dst_sel:DWORD dst_unused:UNUSED_PAD src0_sel:BYTE_0 src1_sel:DWORD
	v_or_b32_sdwa v2, v2, v4 dst_sel:WORD_1 dst_unused:UNUSED_PAD src0_sel:BYTE_0 src1_sel:DWORD
	s_waitcnt vmcnt(3)
	v_cmp_ne_u16_e32 vcc, 0, v1
	v_or_b32_sdwa v2, v3, v2 dst_sel:DWORD dst_unused:UNUSED_PAD src0_sel:WORD_0 src1_sel:DWORD
	scratch_store_dword off, v2, off offset:96
                                        ; implicit-def: $vgpr4_vgpr5
	s_and_saveexec_b64 s[0:1], vcc
	s_xor_b64 s[0:1], exec, s[0:1]
	s_cbranch_execz .LBB2068_1101
; %bb.1100:
	scratch_load_dwordx4 v[2:5], off, off offset:500
.LBB2068_1101:
	s_andn2_saveexec_b64 s[0:1], s[0:1]
	s_cbranch_execz .LBB2068_1107
; %bb.1102:
	s_waitcnt vmcnt(0)
	v_mov_b32_e32 v2, 0
	s_mov_b32 s2, 0
	v_mov_b32_e32 v3, v2
.LBB2068_1103:                          ; =>This Inner Loop Header: Depth=1
	s_add_i32 s3, s2, 0x1c0
	s_add_i32 s2, s2, 8
	s_cmp_lg_u32 s2, 16
	scratch_store_dwordx2 off, v[2:3], s3
	s_cbranch_scc1 .LBB2068_1103
; %bb.1104:
	s_mov_b32 s2, 0
.LBB2068_1105:                          ; =>This Inner Loop Header: Depth=1
	s_add_i32 s3, s2, 0x50
	s_add_i32 s4, s33, s2
	scratch_load_dwordx2 v[2:3], off, s3
	scratch_load_dwordx2 v[4:5], off, s4
	s_add_i32 s3, s2, 0x1c0
	s_add_i32 s2, s2, 8
	s_cmp_lg_u32 s2, 16
	s_waitcnt vmcnt(0)
	v_add_u32_e32 v3, v5, v3
	v_add_u32_e32 v2, v4, v2
	scratch_store_dwordx2 off, v[2:3], s3
	s_cbranch_scc1 .LBB2068_1105
; %bb.1106:
	scratch_load_dwordx4 v[2:5], off, off offset:448
.LBB2068_1107:
	s_or_b64 exec, exec, s[0:1]
	scratch_load_ubyte v7, off, off offset:536
	v_or_b32_e32 v1, v1, v6
	v_and_b32_e32 v1, 1, v1
	v_cmp_eq_u32_e32 vcc, 1, v1
	s_waitcnt vmcnt(1)
	scratch_store_dwordx4 off, v[2:5], off offset:80
	scratch_store_dwordx4 off, v[2:5], s33
	scratch_store_byte off, v1, off offset:516
                                        ; implicit-def: $vgpr4_vgpr5
	s_waitcnt vmcnt(3)
	v_cmp_ne_u16_e64 s[0:1], 0, v7
	s_and_saveexec_b64 s[2:3], s[0:1]
	s_xor_b64 s[0:1], exec, s[2:3]
	s_cbranch_execz .LBB2068_1109
; %bb.1108:
	scratch_load_dwordx4 v[2:5], off, off offset:520
.LBB2068_1109:
	s_andn2_saveexec_b64 s[0:1], s[0:1]
	s_cbranch_execz .LBB2068_1115
; %bb.1110:
	s_waitcnt vmcnt(0)
	v_mov_b32_e32 v2, 0
	s_mov_b32 s2, 0
	v_mov_b32_e32 v3, v2
.LBB2068_1111:                          ; =>This Inner Loop Header: Depth=1
	s_add_i32 s3, s2, 0x1c0
	s_add_i32 s2, s2, 8
	s_cmp_lg_u32 s2, 16
	scratch_store_dwordx2 off, v[2:3], s3
	s_cbranch_scc1 .LBB2068_1111
; %bb.1112:
	s_mov_b32 s2, 0
.LBB2068_1113:                          ; =>This Inner Loop Header: Depth=1
	s_add_i32 s3, s2, 0x50
	s_add_i32 s4, s78, s2
	scratch_load_dwordx2 v[2:3], off, s3
	scratch_load_dwordx2 v[4:5], off, s4
	s_add_i32 s3, s2, 0x1c0
	s_add_i32 s2, s2, 8
	s_cmp_lg_u32 s2, 16
	s_waitcnt vmcnt(0)
	v_add_u32_e32 v3, v5, v3
	v_add_u32_e32 v2, v4, v2
	scratch_store_dwordx2 off, v[2:3], s3
	s_cbranch_scc1 .LBB2068_1113
; %bb.1114:
	scratch_load_dwordx4 v[2:5], off, off offset:448
.LBB2068_1115:
	s_or_b64 exec, exec, s[0:1]
	scratch_load_ubyte v1, off, off offset:556
	v_and_b32_e32 v6, 1, v7
	v_cmp_eq_u32_e64 s[0:1], 1, v6
	s_or_b64 s[0:1], s[0:1], vcc
	s_waitcnt vmcnt(0)
	v_cmp_ne_u16_e32 vcc, 0, v1
	v_cndmask_b32_e64 v6, 0, 1, s[0:1]
	scratch_store_dwordx4 off, v[2:5], off offset:80
	scratch_store_dwordx4 off, v[2:5], s78
	scratch_store_byte off, v6, off offset:536
                                        ; implicit-def: $vgpr4_vgpr5
	s_and_saveexec_b64 s[2:3], vcc
	s_xor_b64 s[4:5], exec, s[2:3]
	s_cbranch_execz .LBB2068_1117
; %bb.1116:
	scratch_load_dwordx4 v[2:5], off, off offset:540
.LBB2068_1117:
	s_andn2_saveexec_b64 s[4:5], s[4:5]
	s_cbranch_execz .LBB2068_1123
; %bb.1118:
	s_waitcnt vmcnt(0)
	v_mov_b32_e32 v2, 0
	s_mov_b32 s2, 0
	v_mov_b32_e32 v3, v2
.LBB2068_1119:                          ; =>This Inner Loop Header: Depth=1
	s_add_i32 s3, s2, 0x1c0
	s_add_i32 s2, s2, 8
	s_cmp_lg_u32 s2, 16
	scratch_store_dwordx2 off, v[2:3], s3
	s_cbranch_scc1 .LBB2068_1119
; %bb.1120:
	s_mov_b32 s2, 0
.LBB2068_1121:                          ; =>This Inner Loop Header: Depth=1
	s_add_i32 s3, s2, 0x50
	s_add_i32 s6, s86, s2
	scratch_load_dwordx2 v[2:3], off, s3
	scratch_load_dwordx2 v[4:5], off, s6
	s_add_i32 s3, s2, 0x1c0
	s_add_i32 s2, s2, 8
	s_cmp_lg_u32 s2, 16
	s_waitcnt vmcnt(0)
	v_add_u32_e32 v3, v5, v3
	v_add_u32_e32 v2, v4, v2
	scratch_store_dwordx2 off, v[2:3], s3
	s_cbranch_scc1 .LBB2068_1121
; %bb.1122:
	scratch_load_dwordx4 v[2:5], off, off offset:448
.LBB2068_1123:
	s_or_b64 exec, exec, s[4:5]
	scratch_load_ubyte v6, off, off offset:576
	v_and_b32_e32 v1, 1, v1
	v_cmp_eq_u32_e32 vcc, 1, v1
	s_or_b64 s[0:1], vcc, s[0:1]
	v_cndmask_b32_e64 v1, 0, 1, s[0:1]
	s_waitcnt vmcnt(1)
	scratch_store_dwordx4 off, v[2:5], off offset:80
	scratch_store_dwordx4 off, v[2:5], s86
	scratch_store_byte off, v1, off offset:556
                                        ; implicit-def: $vgpr4_vgpr5
	s_waitcnt vmcnt(3)
	v_cmp_ne_u16_e32 vcc, 0, v6
	s_and_saveexec_b64 s[2:3], vcc
	s_xor_b64 s[4:5], exec, s[2:3]
	s_cbranch_execz .LBB2068_1125
; %bb.1124:
	scratch_load_dwordx4 v[2:5], off, off offset:560
.LBB2068_1125:
	s_andn2_saveexec_b64 s[4:5], s[4:5]
	s_cbranch_execz .LBB2068_1131
; %bb.1126:
	s_waitcnt vmcnt(0)
	v_mov_b32_e32 v2, 0
	s_mov_b32 s2, 0
	v_mov_b32_e32 v3, v2
.LBB2068_1127:                          ; =>This Inner Loop Header: Depth=1
	s_add_i32 s3, s2, 0x1c0
	s_add_i32 s2, s2, 8
	s_cmp_lg_u32 s2, 16
	scratch_store_dwordx2 off, v[2:3], s3
	s_cbranch_scc1 .LBB2068_1127
; %bb.1128:
	s_mov_b32 s2, 0
.LBB2068_1129:                          ; =>This Inner Loop Header: Depth=1
	s_add_i32 s3, s2, 0x50
	s_add_i32 s6, s87, s2
	scratch_load_dwordx2 v[2:3], off, s3
	scratch_load_dwordx2 v[4:5], off, s6
	s_add_i32 s3, s2, 0x1c0
	s_add_i32 s2, s2, 8
	s_cmp_lg_u32 s2, 16
	s_waitcnt vmcnt(0)
	v_add_u32_e32 v3, v5, v3
	v_add_u32_e32 v2, v4, v2
	scratch_store_dwordx2 off, v[2:3], s3
	s_cbranch_scc1 .LBB2068_1129
; %bb.1130:
	scratch_load_dwordx4 v[2:5], off, off offset:448
.LBB2068_1131:
	s_or_b64 exec, exec, s[4:5]
	scratch_load_ubyte v1, off, off offset:596
	v_and_b32_e32 v6, 1, v6
	v_cmp_eq_u32_e32 vcc, 1, v6
	s_or_b64 s[0:1], vcc, s[0:1]
	v_cndmask_b32_e64 v6, 0, 1, s[0:1]
	s_waitcnt vmcnt(1)
	scratch_store_dwordx4 off, v[2:5], off offset:80
	scratch_store_dwordx4 off, v[2:5], s87
	scratch_store_byte off, v6, off offset:576
                                        ; implicit-def: $vgpr4_vgpr5
	s_waitcnt vmcnt(3)
	v_cmp_ne_u16_e32 vcc, 0, v1
	;; [unrolled: 50-line block ×19, first 2 shown]
	s_and_saveexec_b64 s[2:3], vcc
	s_xor_b64 s[4:5], exec, s[2:3]
	s_cbranch_execz .LBB2068_1269
; %bb.1268:
	scratch_load_dwordx4 v[2:5], off, off offset:920
.LBB2068_1269:
	s_andn2_saveexec_b64 s[4:5], s[4:5]
	s_cbranch_execz .LBB2068_1275
; %bb.1270:
	s_waitcnt vmcnt(0)
	v_mov_b32_e32 v2, 0
	s_mov_b32 s2, 0
	v_mov_b32_e32 v3, v2
.LBB2068_1271:                          ; =>This Inner Loop Header: Depth=1
	s_add_i32 s3, s2, 0x1c0
	s_add_i32 s2, s2, 8
	s_cmp_lg_u32 s2, 16
	scratch_store_dwordx2 off, v[2:3], s3
	s_cbranch_scc1 .LBB2068_1271
; %bb.1272:
	s_mov_b32 s2, 0
.LBB2068_1273:                          ; =>This Inner Loop Header: Depth=1
	s_add_i32 s3, s2, 0x50
	s_add_i32 s6, s71, s2
	scratch_load_dwordx2 v[2:3], off, s3
	scratch_load_dwordx2 v[4:5], off, s6
	s_add_i32 s3, s2, 0x1c0
	s_add_i32 s2, s2, 8
	s_cmp_lg_u32 s2, 16
	s_waitcnt vmcnt(0)
	v_add_u32_e32 v3, v5, v3
	v_add_u32_e32 v2, v4, v2
	scratch_store_dwordx2 off, v[2:3], s3
	s_cbranch_scc1 .LBB2068_1273
; %bb.1274:
	scratch_load_dwordx4 v[2:5], off, off offset:448
.LBB2068_1275:
	s_or_b64 exec, exec, s[4:5]
	v_and_b32_e32 v1, 1, v6
	v_mov_b32_e32 v6, 0xa28
	v_cmp_eq_u32_e32 vcc, 1, v1
	v_mov_b32_e32 v1, 0
	ds_read2_b64 v[8:11], v6 offset1:1
	ds_read_u8 v6, v1 offset:2616
	s_or_b64 s[0:1], vcc, s[0:1]
	v_cndmask_b32_e64 v7, 0, 1, s[0:1]
	s_waitcnt vmcnt(0)
	scratch_store_dwordx4 off, v[2:5], s71
	scratch_store_byte off, v7, off offset:936
	s_waitcnt lgkmcnt(1)
	scratch_store_dwordx4 off, v[8:11], off offset:56
	s_waitcnt lgkmcnt(0)
	scratch_store_byte off, v6, off offset:72
	s_and_saveexec_b64 s[0:1], s[16:17]
	s_cbranch_execz .LBB2068_1277
; %bb.1276:
	scratch_load_ushort v7, off, off offset:73
	scratch_load_ubyte v8, off, off offset:75
	scratch_load_dwordx4 v[2:5], off, off offset:56
	s_mov_b32 s2, 0x2010004
	v_mov_b32_e32 v9, 2
	s_waitcnt vmcnt(0)
	global_store_dword v1, v2, s[58:59] offset:1280 sc1
	global_store_dword v1, v3, s[58:59] offset:1284 sc1
	;; [unrolled: 1-line block ×4, first 2 shown]
	v_lshl_or_b32 v7, v8, 16, v7
	v_perm_b32 v2, v6, v7, s2
	global_store_dword v1, v2, s[58:59] offset:1296 sc1
	s_waitcnt vmcnt(0)
	global_store_byte v1, v9, s[60:61] offset:64 sc1
.LBB2068_1277:
	s_or_b64 exec, exec, s[0:1]
.LBB2068_1278:
	v_mov_b32_e32 v2, 0
	s_mov_b32 s0, 0
	v_mov_b32_e32 v3, v2
.LBB2068_1279:                          ; =>This Inner Loop Header: Depth=1
	s_add_i32 s1, s0, 0x50
	s_add_i32 s0, s0, 8
	s_cmp_lg_u32 s0, 16
	scratch_store_dwordx2 off, v[2:3], s1
	s_cbranch_scc1 .LBB2068_1279
; %bb.1280:
	v_mov_b32_e32 v2, 0
	s_mov_b32 s0, 16
	v_mov_b32_e32 v3, v2
.LBB2068_1281:                          ; =>This Inner Loop Header: Depth=1
	s_add_i32 s1, s0, 0x50
	s_add_i32 s0, s0, 8
	s_cmp_lg_u32 s0, 32
	scratch_store_dwordx2 off, v[2:3], s1
	s_cbranch_scc1 .LBB2068_1281
; %bb.1282:
	;; [unrolled: 10-line block ×4, first 2 shown]
	v_mov_b32_e32 v2, 0
	s_mov_b32 s0, 64
	v_mov_b32_e32 v3, v2
.LBB2068_1287:                          ; =>This Inner Loop Header: Depth=1
	s_add_i32 s1, s0, 0x50
	s_add_i32 s0, s0, 8
	s_cmpk_lg_i32 s0, 0x50
	scratch_store_dwordx2 off, v[2:3], s1
	s_cbranch_scc1 .LBB2068_1287
; %bb.1288:
	v_mov_b32_e32 v2, 0
	s_movk_i32 s0, 0x50
	v_mov_b32_e32 v3, v2
.LBB2068_1289:                          ; =>This Inner Loop Header: Depth=1
	s_add_i32 s1, s0, 0x50
	s_add_i32 s0, s0, 8
	s_cmpk_lg_i32 s0, 0x60
	scratch_store_dwordx2 off, v[2:3], s1
	s_cbranch_scc1 .LBB2068_1289
; %bb.1290:
	v_mov_b32_e32 v2, 0
	s_movk_i32 s0, 0x60
	;; [unrolled: 10-line block ×18, first 2 shown]
	v_mov_b32_e32 v3, v2
.LBB2068_1323:                          ; =>This Inner Loop Header: Depth=1
	s_add_i32 s1, s0, 0x50
	s_add_i32 s0, s0, 8
	s_cmpk_lg_i32 s0, 0x170
	scratch_store_dwordx2 off, v[2:3], s1
	s_cbranch_scc1 .LBB2068_1323
; %bb.1324:
	v_readlane_b32 s0, v200, 0
	v_readlane_b32 s6, v200, 6
	v_readlane_b32 s1, v200, 1
	v_readlane_b32 s2, v200, 2
	v_readlane_b32 s3, v200, 3
	v_readlane_b32 s7, v200, 7
	s_add_u32 s0, s6, s88
	s_addc_u32 s1, s7, s89
	v_readlane_b32 s2, v200, 20
	v_mov_b32_e32 v1, 0x50
	s_add_u32 s0, s0, s90
	v_readlane_b32 s3, v200, 21
	v_add_u32_e32 v6, 0x160, v1
	v_add_u32_e32 v7, 0x150, v1
	;; [unrolled: 1-line block ×22, first 2 shown]
	s_addc_u32 s1, s1, s91
	s_and_b64 vcc, exec, s[2:3]
	v_readlane_b32 s4, v200, 4
	v_readlane_b32 s5, v200, 5
	s_cbranch_vccz .LBB2068_1394
; %bb.1325:
	v_readlane_b32 s2, v200, 22
	s_add_i32 s4, s2, s62
	v_mul_u32_u24_e32 v1, 23, v0
	v_cmp_gt_u32_e32 vcc, s4, v1
	s_and_saveexec_b64 s[2:3], vcc
	s_cbranch_execz .LBB2068_1349
; %bb.1326:
	scratch_load_dwordx4 v[2:5], off, off offset:480
	v_add_u32_e32 v28, 1, v1
	v_cmp_gt_u32_e32 vcc, s4, v28
	s_waitcnt vmcnt(0)
	scratch_store_dwordx4 off, v[2:5], off offset:80
	s_and_b64 exec, exec, vcc
	s_cbranch_execz .LBB2068_1349
; %bb.1327:
	scratch_load_dwordx4 v[2:5], off, s33
	v_add_u32_e32 v28, 2, v1
	v_cmp_gt_u32_e32 vcc, s4, v28
	s_waitcnt vmcnt(0)
	scratch_store_dwordx4 v27, v[2:5], off
	s_and_b64 exec, exec, vcc
	s_cbranch_execz .LBB2068_1349
; %bb.1328:
	scratch_load_dwordx4 v[2:5], off, s78
	v_add_u32_e32 v28, 3, v1
	v_cmp_gt_u32_e32 vcc, s4, v28
	s_waitcnt vmcnt(0)
	scratch_store_dwordx4 v26, v[2:5], off
	;; [unrolled: 8-line block ×21, first 2 shown]
	s_and_b64 exec, exec, vcc
	s_cbranch_execz .LBB2068_1349
; %bb.1348:
	scratch_load_dwordx4 v[2:5], off, s71
	s_waitcnt vmcnt(0)
	scratch_store_dwordx4 v6, v[2:5], off
.LBB2068_1349:
	s_or_b64 exec, exec, s[2:3]
	s_waitcnt vmcnt(63) expcnt(7) lgkmcnt(15)
	s_barrier
	scratch_load_dwordx4 v[28:31], off, off offset:80
	scratch_load_dwordx4 v[32:35], v27, off
	scratch_load_dwordx4 v[36:39], v26, off
	;; [unrolled: 1-line block ×22, first 2 shown]
	v_lshlrev_b32_e32 v2, 4, v1
	s_movk_i32 s2, 0xfea0
	v_mad_i32_i24 v1, v0, s2, v2
	v_mov_b32_e32 v3, 0
	v_cmp_gt_u32_e32 vcc, s4, v0
	s_waitcnt vmcnt(22)
	ds_write_b128 v2, v[28:31]
	s_waitcnt vmcnt(21)
	ds_write_b128 v2, v[32:35] offset:16
	s_waitcnt vmcnt(20)
	ds_write_b128 v2, v[36:39] offset:32
	;; [unrolled: 2-line block ×22, first 2 shown]
	s_waitcnt lgkmcnt(0)
	s_barrier
	ds_read_b128 v[28:31], v1 offset:2048
	ds_read_b128 v[32:35], v1 offset:4096
	ds_read_b128 v[36:39], v1 offset:6144
	ds_read_b128 v[40:43], v1 offset:8192
	ds_read_b128 v[44:47], v1 offset:10240
	ds_read_b128 v[48:51], v1 offset:12288
	ds_read_b128 v[52:55], v1 offset:14336
	ds_read_b128 v[56:59], v1 offset:16384
	ds_read_b128 v[60:63], v1 offset:18432
	ds_read_b128 v[64:67], v1 offset:20480
	ds_read_b128 v[68:71], v1 offset:22528
	ds_read_b128 v[72:75], v1 offset:24576
	ds_read_b128 v[76:79], v1 offset:26624
	ds_read_b128 v[80:83], v1 offset:28672
	ds_read_b128 v[84:87], v1 offset:30720
	ds_read_b128 v[88:91], v1 offset:45056
	s_waitcnt lgkmcnt(14)
	scratch_store_dwordx4 v27, v[28:31], off
	scratch_store_dwordx4 v26, v[32:35], off
	s_waitcnt lgkmcnt(13)
	scratch_store_dwordx4 v25, v[36:39], off
	s_waitcnt lgkmcnt(12)
	;; [unrolled: 2-line block ×10, first 2 shown]
	scratch_store_dwordx4 v16, v[72:75], off
	ds_read_b128 v[28:31], v1 offset:32768
	s_waitcnt lgkmcnt(4)
	scratch_store_dwordx4 v15, v[76:79], off
	s_waitcnt lgkmcnt(3)
	scratch_store_dwordx4 v14, v[80:83], off
	;; [unrolled: 2-line block ×3, first 2 shown]
	ds_read_b128 v[32:35], v1 offset:34816
	v_lshlrev_b32_e32 v2, 4, v0
	s_waitcnt lgkmcnt(1)
	scratch_store_dwordx4 v12, v[28:31], off
	ds_read_b128 v[28:31], v1 offset:36864
	ds_read_b128 v[36:39], v1 offset:38912
	;; [unrolled: 1-line block ×4, first 2 shown]
	v_lshl_add_u64 v[4:5], s[0:1], 0, v[2:3]
	s_waitcnt lgkmcnt(4)
	scratch_store_dwordx4 v11, v[32:35], off
	s_waitcnt lgkmcnt(3)
	scratch_store_dwordx4 v10, v[28:31], off
	;; [unrolled: 2-line block ×5, first 2 shown]
	scratch_store_dwordx4 v6, v[88:91], off
	s_and_saveexec_b64 s[2:3], vcc
	s_cbranch_execz .LBB2068_1351
; %bb.1350:
	ds_read2_b32 v[30:31], v1 offset0:2 offset1:3
	ds_read2_b32 v[28:29], v1 offset1:1
	s_waitcnt lgkmcnt(0)
	flat_store_dwordx4 v[4:5], v[28:31]
.LBB2068_1351:
	s_or_b64 exec, exec, s[2:3]
	v_or_b32_e32 v1, 0x80, v0
	v_cmp_gt_u32_e32 vcc, s4, v1
	s_and_saveexec_b64 s[2:3], vcc
	s_cbranch_execz .LBB2068_1353
; %bb.1352:
	scratch_load_dwordx4 v[28:31], v27, off
	s_waitcnt vmcnt(0)
	flat_store_dwordx4 v[4:5], v[28:31] offset:2048
.LBB2068_1353:
	s_or_b64 exec, exec, s[2:3]
	v_or_b32_e32 v1, 0x100, v0
	v_cmp_gt_u32_e32 vcc, s4, v1
	s_and_saveexec_b64 s[2:3], vcc
	s_cbranch_execz .LBB2068_1355
; %bb.1354:
	scratch_load_dwordx4 v[28:31], v26, off
	v_add_co_u32_e32 v32, vcc, 0x1000, v4
	s_nop 1
	v_addc_co_u32_e32 v33, vcc, 0, v5, vcc
	s_waitcnt vmcnt(0)
	flat_store_dwordx4 v[32:33], v[28:31]
.LBB2068_1355:
	s_or_b64 exec, exec, s[2:3]
	v_or_b32_e32 v1, 0x180, v0
	v_cmp_gt_u32_e32 vcc, s4, v1
	s_and_saveexec_b64 s[2:3], vcc
	s_cbranch_execz .LBB2068_1357
; %bb.1356:
	scratch_load_dwordx4 v[28:31], v25, off
	v_add_co_u32_e32 v32, vcc, 0x1000, v4
	s_nop 1
	v_addc_co_u32_e32 v33, vcc, 0, v5, vcc
	s_waitcnt vmcnt(0)
	flat_store_dwordx4 v[32:33], v[28:31] offset:2048
.LBB2068_1357:
	s_or_b64 exec, exec, s[2:3]
	v_or_b32_e32 v1, 0x200, v0
	v_cmp_gt_u32_e32 vcc, s4, v1
	s_and_saveexec_b64 s[2:3], vcc
	s_cbranch_execz .LBB2068_1359
; %bb.1358:
	scratch_load_dwordx4 v[28:31], v24, off
	v_add_co_u32_e32 v32, vcc, 0x2000, v4
	s_nop 1
	v_addc_co_u32_e32 v33, vcc, 0, v5, vcc
	s_waitcnt vmcnt(0)
	flat_store_dwordx4 v[32:33], v[28:31]
.LBB2068_1359:
	s_or_b64 exec, exec, s[2:3]
	v_or_b32_e32 v1, 0x280, v0
	v_cmp_gt_u32_e32 vcc, s4, v1
	s_and_saveexec_b64 s[2:3], vcc
	s_cbranch_execz .LBB2068_1361
; %bb.1360:
	scratch_load_dwordx4 v[28:31], v23, off
	v_add_co_u32_e32 v32, vcc, 0x2000, v4
	s_nop 1
	v_addc_co_u32_e32 v33, vcc, 0, v5, vcc
	s_waitcnt vmcnt(0)
	flat_store_dwordx4 v[32:33], v[28:31] offset:2048
.LBB2068_1361:
	;; [unrolled: 26-line block ×10, first 2 shown]
	s_or_b64 exec, exec, s[2:3]
	v_or_b32_e32 v2, 0xb00, v0
	v_mov_b32_e32 v1, v3
	v_cmp_gt_u32_e64 s[2:3], s4, v2
	s_branch .LBB2068_1396
.LBB2068_1394:
	s_mov_b64 s[2:3], 0
	s_cbranch_execz .LBB2068_1396
; %bb.1395:
	scratch_load_dwordx4 v[2:5], off, off offset:480
	scratch_load_dwordx4 v[28:31], off, s33
	scratch_load_dwordx4 v[32:35], off, s78
	;; [unrolled: 1-line block ×15, first 2 shown]
                                        ; kill: killed $sgpr66
                                        ; kill: killed $sgpr95
                                        ; kill: killed $sgpr33
                                        ; kill: killed $sgpr79
                                        ; kill: killed $sgpr67
                                        ; kill: killed $sgpr96
                                        ; kill: killed $sgpr78
                                        ; kill: killed $sgpr64
                                        ; kill: killed $sgpr82
                                        ; kill: killed $sgpr97
                                        ; kill: killed $sgpr86
                                        ; kill: killed $sgpr65
                                        ; kill: killed $sgpr83
                                        ; kill: killed $sgpr98
                                        ; kill: killed $sgpr87
	scratch_load_dwordx4 v[88:91], off, s99
	scratch_load_dwordx4 v[92:95], off, s80
	;; [unrolled: 1-line block ×7, first 2 shown]
	s_movk_i32 s4, 0x170
	v_mul_i32_i24_e32 v117, 0xfffffea0, v0
	v_mul_u32_u24_e32 v118, 0x170, v0
	v_mad_u32_u24 v119, v0, s4, v117
	v_mov_b32_e32 v1, 0
	v_lshlrev_b32_e32 v116, 4, v0
	v_mov_b32_e32 v117, v1
	v_lshl_add_u64 v[116:117], s[0:1], 0, v[116:117]
	s_movk_i32 s4, 0x1000
	s_or_b64 s[2:3], s[2:3], exec
	s_waitcnt vmcnt(0)
	scratch_store_dwordx4 off, v[2:5], off offset:80
	scratch_store_dwordx4 v27, v[28:31], off
	scratch_store_dwordx4 v26, v[32:35], off
	;; [unrolled: 1-line block ×22, first 2 shown]
	s_waitcnt lgkmcnt(0)
	s_barrier
	scratch_load_dwordx4 v[2:5], off, off offset:80
	scratch_load_dwordx4 v[28:31], v27, off
	scratch_load_dwordx4 v[32:35], v26, off
	;; [unrolled: 1-line block ×22, first 2 shown]
	s_waitcnt vmcnt(22)
	ds_write_b128 v118, v[2:5]
	s_waitcnt vmcnt(21)
	ds_write_b128 v118, v[28:31] offset:16
	s_waitcnt vmcnt(20)
	ds_write_b128 v118, v[32:35] offset:32
	;; [unrolled: 2-line block ×22, first 2 shown]
	s_waitcnt lgkmcnt(0)
	s_barrier
	ds_read_b128 v[2:5], v119 offset:2048
	ds_read_b128 v[28:31], v119 offset:4096
	;; [unrolled: 1-line block ×21, first 2 shown]
	ds_read2_b32 v[110:111], v119 offset0:2 offset1:3
	ds_read_b128 v[112:115], v119 offset:45056
	ds_read2_b32 v[108:109], v119 offset1:1
	s_waitcnt lgkmcnt(14)
	scratch_store_dwordx4 v27, v[2:5], off
	scratch_store_dwordx4 v26, v[28:31], off
	;; [unrolled: 1-line block ×10, first 2 shown]
	s_waitcnt lgkmcnt(13)
	scratch_store_dwordx4 v17, v[64:67], off
	s_waitcnt lgkmcnt(12)
	scratch_store_dwordx4 v16, v[68:71], off
	;; [unrolled: 2-line block ×12, first 2 shown]
	s_waitcnt lgkmcnt(0)
	flat_store_dwordx4 v[116:117], v[108:111]
	scratch_load_dwordx4 v[2:5], v27, off
	s_waitcnt vmcnt(0)
	flat_store_dwordx4 v[116:117], v[2:5] offset:2048
	scratch_load_dwordx4 v[2:5], v26, off
	v_add_co_u32_e32 v26, vcc, s4, v116
	s_movk_i32 s4, 0x2000
	s_nop 0
	v_addc_co_u32_e32 v27, vcc, 0, v117, vcc
	s_waitcnt vmcnt(0)
	flat_store_dwordx4 v[26:27], v[2:5]
	scratch_load_dwordx4 v[2:5], v25, off
	s_waitcnt vmcnt(0)
	flat_store_dwordx4 v[26:27], v[2:5] offset:2048
	scratch_load_dwordx4 v[2:5], v24, off
	v_add_co_u32_e32 v24, vcc, s4, v116
	s_movk_i32 s4, 0x3000
	s_nop 0
	v_addc_co_u32_e32 v25, vcc, 0, v117, vcc
	s_waitcnt vmcnt(0)
	;; [unrolled: 10-line block ×6, first 2 shown]
	flat_store_dwordx4 v[16:17], v[2:5]
	scratch_load_dwordx4 v[2:5], v15, off
	s_waitcnt vmcnt(0)
	flat_store_dwordx4 v[16:17], v[2:5] offset:2048
	scratch_load_dwordx4 v[2:5], v14, off
	v_add_co_u32_e32 v14, vcc, s4, v116
	s_mov_b32 s4, 0x8000
	s_nop 0
	v_addc_co_u32_e32 v15, vcc, 0, v117, vcc
	s_waitcnt vmcnt(0)
	flat_store_dwordx4 v[14:15], v[2:5]
	scratch_load_dwordx4 v[2:5], v13, off
	s_waitcnt vmcnt(0)
	flat_store_dwordx4 v[14:15], v[2:5] offset:2048
	scratch_load_dwordx4 v[2:5], v12, off
	v_add_co_u32_e32 v12, vcc, s4, v116
	s_mov_b32 s4, 0x9000
	s_nop 0
	v_addc_co_u32_e32 v13, vcc, 0, v117, vcc
	s_waitcnt vmcnt(0)
	flat_store_dwordx4 v[12:13], v[2:5]
	scratch_load_dwordx4 v[2:5], v11, off
	s_waitcnt vmcnt(0)
	flat_store_dwordx4 v[12:13], v[2:5] offset:2048
	scratch_load_dwordx4 v[2:5], v10, off
	v_add_co_u32_e32 v10, vcc, s4, v116
	s_nop 1
	v_addc_co_u32_e32 v11, vcc, 0, v117, vcc
	s_waitcnt vmcnt(0)
	flat_store_dwordx4 v[10:11], v[2:5]
	scratch_load_dwordx4 v[2:5], v9, off
	s_waitcnt vmcnt(0)
	flat_store_dwordx4 v[10:11], v[2:5] offset:2048
	scratch_load_dwordx4 v[2:5], v8, off
	v_add_co_u32_e32 v8, vcc, 0xa000, v116
	s_nop 1
	v_addc_co_u32_e32 v9, vcc, 0, v117, vcc
	s_waitcnt vmcnt(0)
	flat_store_dwordx4 v[8:9], v[2:5]
	scratch_load_dwordx4 v[2:5], v7, off
	s_waitcnt vmcnt(0)
	flat_store_dwordx4 v[8:9], v[2:5] offset:2048
.LBB2068_1396:
	s_and_saveexec_b64 s[4:5], s[2:3]
	s_cbranch_execnz .LBB2068_1398
; %bb.1397:
	s_endpgm
.LBB2068_1398:
	scratch_load_dwordx4 v[2:5], v6, off
	v_lshl_add_u64 v[0:1], v[0:1], 4, s[0:1]
	v_add_co_u32_e32 v0, vcc, 0xb000, v0
	s_nop 1
	v_addc_co_u32_e32 v1, vcc, 0, v1, vcc
	s_waitcnt vmcnt(0)
	flat_store_dwordx4 v[0:1], v[2:5]
	s_endpgm
.LBB2068_1399:
	v_lshlrev_b32_e32 v24, 4, v0
	v_lshl_add_u64 v[24:25], s[68:69], 0, v[24:25]
	flat_load_dwordx4 v[70:73], v[24:25]
	s_waitcnt vmcnt(0) lgkmcnt(0)
	scratch_store_dwordx4 off, v[70:73], off offset:80
	s_or_b64 exec, exec, s[0:1]
	s_and_saveexec_b64 s[0:1], s[8:9]
	s_cbranch_execz .LBB2068_743
.LBB2068_1400:
	v_lshlrev_b32_e32 v24, 4, v0
	v_mov_b32_e32 v25, 0
	v_lshl_add_u64 v[24:25], s[68:69], 0, v[24:25]
	flat_load_dwordx4 v[70:73], v[24:25] offset:2048
	s_waitcnt vmcnt(0) lgkmcnt(0)
	scratch_store_dwordx4 off, v[70:73], off offset:96
	s_or_b64 exec, exec, s[0:1]
	s_and_saveexec_b64 s[0:1], s[10:11]
	s_cbranch_execz .LBB2068_744
.LBB2068_1401:
	v_lshlrev_b32_e32 v24, 4, v48
	v_mov_b32_e32 v25, 0
	v_lshl_add_u64 v[24:25], s[68:69], 0, v[24:25]
	flat_load_dwordx4 v[70:73], v[24:25]
	s_waitcnt vmcnt(0) lgkmcnt(0)
	scratch_store_dwordx4 off, v[70:73], off offset:112
	s_or_b64 exec, exec, s[0:1]
	s_and_saveexec_b64 s[0:1], s[12:13]
	s_cbranch_execz .LBB2068_745
.LBB2068_1402:
	v_lshlrev_b32_e32 v24, 4, v49
	v_mov_b32_e32 v25, 0
	v_lshl_add_u64 v[24:25], s[68:69], 0, v[24:25]
	flat_load_dwordx4 v[70:73], v[24:25]
	s_waitcnt vmcnt(0) lgkmcnt(0)
	scratch_store_dwordx4 off, v[70:73], off offset:128
	s_or_b64 exec, exec, s[0:1]
	s_and_saveexec_b64 s[0:1], s[14:15]
	s_cbranch_execz .LBB2068_746
.LBB2068_1403:
	v_lshlrev_b32_e32 v24, 4, v50
	v_mov_b32_e32 v25, 0
	v_lshl_add_u64 v[24:25], s[68:69], 0, v[24:25]
	flat_load_dwordx4 v[70:73], v[24:25]
	s_waitcnt vmcnt(0) lgkmcnt(0)
	scratch_store_dwordx4 off, v[70:73], off offset:144
	s_or_b64 exec, exec, s[0:1]
	s_and_saveexec_b64 s[0:1], s[16:17]
	s_cbranch_execz .LBB2068_747
.LBB2068_1404:
	v_lshlrev_b32_e32 v24, 4, v51
	v_mov_b32_e32 v25, 0
	v_lshl_add_u64 v[24:25], s[68:69], 0, v[24:25]
	flat_load_dwordx4 v[48:51], v[24:25]
	s_waitcnt vmcnt(0) lgkmcnt(0)
	scratch_store_dwordx4 off, v[48:51], off offset:160
	s_or_b64 exec, exec, s[0:1]
	s_and_saveexec_b64 s[0:1], s[18:19]
	s_cbranch_execz .LBB2068_748
.LBB2068_1405:
	v_lshlrev_b32_e32 v24, 4, v52
	v_mov_b32_e32 v25, 0
	v_lshl_add_u64 v[24:25], s[68:69], 0, v[24:25]
	flat_load_dwordx4 v[48:51], v[24:25]
	s_waitcnt vmcnt(0) lgkmcnt(0)
	scratch_store_dwordx4 off, v[48:51], off offset:176
	s_or_b64 exec, exec, s[0:1]
	s_and_saveexec_b64 s[0:1], s[20:21]
	s_cbranch_execz .LBB2068_749
.LBB2068_1406:
	v_lshlrev_b32_e32 v24, 4, v53
	v_mov_b32_e32 v25, 0
	v_lshl_add_u64 v[24:25], s[68:69], 0, v[24:25]
	flat_load_dwordx4 v[48:51], v[24:25]
	s_waitcnt vmcnt(0) lgkmcnt(0)
	scratch_store_dwordx4 off, v[48:51], off offset:192
	s_or_b64 exec, exec, s[0:1]
	s_and_saveexec_b64 s[0:1], s[22:23]
	s_cbranch_execz .LBB2068_750
.LBB2068_1407:
	v_lshlrev_b32_e32 v24, 4, v54
	v_mov_b32_e32 v25, 0
	v_lshl_add_u64 v[24:25], s[68:69], 0, v[24:25]
	flat_load_dwordx4 v[48:51], v[24:25]
	s_waitcnt vmcnt(0) lgkmcnt(0)
	scratch_store_dwordx4 off, v[48:51], off offset:208
	s_or_b64 exec, exec, s[0:1]
	s_and_saveexec_b64 s[0:1], s[24:25]
	s_cbranch_execz .LBB2068_751
.LBB2068_1408:
	v_lshlrev_b32_e32 v24, 4, v56
	v_mov_b32_e32 v25, 0
	v_lshl_add_u64 v[24:25], s[68:69], 0, v[24:25]
	flat_load_dwordx4 v[48:51], v[24:25]
	s_waitcnt vmcnt(0) lgkmcnt(0)
	scratch_store_dwordx4 off, v[48:51], off offset:224
	s_or_b64 exec, exec, s[0:1]
	s_and_saveexec_b64 s[0:1], s[26:27]
	s_cbranch_execz .LBB2068_752
.LBB2068_1409:
	v_lshlrev_b32_e32 v24, 4, v57
	v_mov_b32_e32 v25, 0
	v_lshl_add_u64 v[24:25], s[68:69], 0, v[24:25]
	flat_load_dwordx4 v[48:51], v[24:25]
	s_waitcnt vmcnt(0) lgkmcnt(0)
	scratch_store_dwordx4 off, v[48:51], off offset:240
	s_or_b64 exec, exec, s[0:1]
	s_and_saveexec_b64 s[0:1], s[28:29]
	s_cbranch_execz .LBB2068_753
.LBB2068_1410:
	v_lshlrev_b32_e32 v24, 4, v58
	v_mov_b32_e32 v25, 0
	v_lshl_add_u64 v[24:25], s[68:69], 0, v[24:25]
	flat_load_dwordx4 v[48:51], v[24:25]
	s_waitcnt vmcnt(0) lgkmcnt(0)
	scratch_store_dwordx4 off, v[48:51], off offset:256
	s_or_b64 exec, exec, s[0:1]
	s_and_saveexec_b64 s[0:1], s[30:31]
	s_cbranch_execz .LBB2068_754
.LBB2068_1411:
	v_lshlrev_b32_e32 v24, 4, v59
	v_mov_b32_e32 v25, 0
	v_lshl_add_u64 v[24:25], s[68:69], 0, v[24:25]
	flat_load_dwordx4 v[48:51], v[24:25]
	s_waitcnt vmcnt(0) lgkmcnt(0)
	scratch_store_dwordx4 off, v[48:51], off offset:272
	s_or_b64 exec, exec, s[0:1]
	s_and_saveexec_b64 s[0:1], s[34:35]
	s_cbranch_execz .LBB2068_755
.LBB2068_1412:
	v_lshlrev_b32_e32 v24, 4, v60
	v_mov_b32_e32 v25, 0
	v_lshl_add_u64 v[24:25], s[68:69], 0, v[24:25]
	flat_load_dwordx4 v[48:51], v[24:25]
	s_waitcnt vmcnt(0) lgkmcnt(0)
	scratch_store_dwordx4 off, v[48:51], off offset:288
	s_or_b64 exec, exec, s[0:1]
	s_and_saveexec_b64 s[0:1], s[36:37]
	s_cbranch_execz .LBB2068_756
.LBB2068_1413:
	v_lshlrev_b32_e32 v24, 4, v61
	v_mov_b32_e32 v25, 0
	v_lshl_add_u64 v[24:25], s[68:69], 0, v[24:25]
	flat_load_dwordx4 v[48:51], v[24:25]
	s_waitcnt vmcnt(0) lgkmcnt(0)
	scratch_store_dwordx4 off, v[48:51], off offset:304
	s_or_b64 exec, exec, s[0:1]
	s_and_saveexec_b64 s[0:1], s[38:39]
	s_cbranch_execz .LBB2068_757
.LBB2068_1414:
	v_lshlrev_b32_e32 v24, 4, v62
	v_mov_b32_e32 v25, 0
	v_lshl_add_u64 v[24:25], s[68:69], 0, v[24:25]
	flat_load_dwordx4 v[48:51], v[24:25]
	s_waitcnt vmcnt(0) lgkmcnt(0)
	scratch_store_dwordx4 off, v[48:51], off offset:320
	s_or_b64 exec, exec, s[0:1]
	s_and_saveexec_b64 s[0:1], s[40:41]
	s_cbranch_execz .LBB2068_758
.LBB2068_1415:
	v_lshlrev_b32_e32 v24, 4, v63
	v_mov_b32_e32 v25, 0
	v_lshl_add_u64 v[24:25], s[68:69], 0, v[24:25]
	flat_load_dwordx4 v[48:51], v[24:25]
	s_waitcnt vmcnt(0) lgkmcnt(0)
	scratch_store_dwordx4 off, v[48:51], off offset:336
	s_or_b64 exec, exec, s[0:1]
	s_and_saveexec_b64 s[0:1], s[42:43]
	s_cbranch_execz .LBB2068_759
.LBB2068_1416:
	v_lshlrev_b32_e32 v24, 4, v64
	v_mov_b32_e32 v25, 0
	v_lshl_add_u64 v[24:25], s[68:69], 0, v[24:25]
	flat_load_dwordx4 v[48:51], v[24:25]
	s_waitcnt vmcnt(0) lgkmcnt(0)
	scratch_store_dwordx4 off, v[48:51], off offset:352
	s_or_b64 exec, exec, s[0:1]
	s_and_saveexec_b64 s[0:1], s[44:45]
	s_cbranch_execz .LBB2068_760
.LBB2068_1417:
	v_lshlrev_b32_e32 v24, 4, v65
	v_mov_b32_e32 v25, 0
	v_lshl_add_u64 v[24:25], s[68:69], 0, v[24:25]
	flat_load_dwordx4 v[48:51], v[24:25]
	s_waitcnt vmcnt(0) lgkmcnt(0)
	scratch_store_dwordx4 off, v[48:51], off offset:368
	s_or_b64 exec, exec, s[0:1]
	s_and_saveexec_b64 s[0:1], s[46:47]
	s_cbranch_execz .LBB2068_761
.LBB2068_1418:
	v_lshlrev_b32_e32 v24, 4, v66
	v_mov_b32_e32 v25, 0
	v_lshl_add_u64 v[24:25], s[68:69], 0, v[24:25]
	flat_load_dwordx4 v[48:51], v[24:25]
	s_waitcnt vmcnt(0) lgkmcnt(0)
	scratch_store_dwordx4 off, v[48:51], off offset:384
	s_or_b64 exec, exec, s[0:1]
	s_and_saveexec_b64 s[0:1], s[48:49]
	s_cbranch_execz .LBB2068_762
.LBB2068_1419:
	v_lshlrev_b32_e32 v24, 4, v67
	v_mov_b32_e32 v25, 0
	v_lshl_add_u64 v[24:25], s[68:69], 0, v[24:25]
	flat_load_dwordx4 v[48:51], v[24:25]
	s_waitcnt vmcnt(0) lgkmcnt(0)
	scratch_store_dwordx4 off, v[48:51], off offset:400
	s_or_b64 exec, exec, s[0:1]
	s_and_saveexec_b64 s[0:1], s[50:51]
	s_cbranch_execz .LBB2068_763
.LBB2068_1420:
	v_lshlrev_b32_e32 v24, 4, v68
	v_mov_b32_e32 v25, 0
	v_lshl_add_u64 v[24:25], s[68:69], 0, v[24:25]
	flat_load_dwordx4 v[48:51], v[24:25]
	s_waitcnt vmcnt(0) lgkmcnt(0)
	scratch_store_dwordx4 off, v[48:51], off offset:416
	s_or_b64 exec, exec, s[0:1]
	s_and_saveexec_b64 s[0:1], s[52:53]
	s_cbranch_execnz .LBB2068_764
	s_branch .LBB2068_765
.LBB2068_1421:
                                        ; implicit-def: $sgpr0_sgpr1
	s_branch .LBB2068_738
.LBB2068_1422:
                                        ; implicit-def: $sgpr0_sgpr1
	s_branch .LBB2068_813
	.section	.rodata,"a",@progbits
	.p2align	6, 0x0
	.amdhsa_kernel _ZN7rocprim17ROCPRIM_400000_NS6detail17trampoline_kernelINS0_14default_configENS1_27scan_by_key_config_selectorIj11FixedVectorIiLj4EEEEZZNS1_16scan_by_key_implILNS1_25lookback_scan_determinismE0ELb0ES3_N6thrust23THRUST_200600_302600_NS6detail15normal_iteratorINSB_10device_ptrIjEEEENSD_INSE_IS6_EEEESI_S6_NSB_4plusIvEENSB_8equal_toIvEES6_EE10hipError_tPvRmT2_T3_T4_T5_mT6_T7_P12ihipStream_tbENKUlT_T0_E_clISt17integral_constantIbLb0EES12_IbLb1EEEEDaSY_SZ_EUlSY_E_NS1_11comp_targetILNS1_3genE5ELNS1_11target_archE942ELNS1_3gpuE9ELNS1_3repE0EEENS1_30default_config_static_selectorELNS0_4arch9wavefront6targetE1EEEvT1_
		.amdhsa_group_segment_fixed_size 47104
		.amdhsa_private_segment_fixed_size 944
		.amdhsa_kernarg_size 144
		.amdhsa_user_sgpr_count 2
		.amdhsa_user_sgpr_dispatch_ptr 0
		.amdhsa_user_sgpr_queue_ptr 0
		.amdhsa_user_sgpr_kernarg_segment_ptr 1
		.amdhsa_user_sgpr_dispatch_id 0
		.amdhsa_user_sgpr_kernarg_preload_length 0
		.amdhsa_user_sgpr_kernarg_preload_offset 0
		.amdhsa_user_sgpr_private_segment_size 0
		.amdhsa_uses_dynamic_stack 0
		.amdhsa_enable_private_segment 1
		.amdhsa_system_sgpr_workgroup_id_x 1
		.amdhsa_system_sgpr_workgroup_id_y 0
		.amdhsa_system_sgpr_workgroup_id_z 0
		.amdhsa_system_sgpr_workgroup_info 0
		.amdhsa_system_vgpr_workitem_id 0
		.amdhsa_next_free_vgpr 201
		.amdhsa_next_free_sgpr 100
		.amdhsa_accum_offset 204
		.amdhsa_reserve_vcc 1
		.amdhsa_float_round_mode_32 0
		.amdhsa_float_round_mode_16_64 0
		.amdhsa_float_denorm_mode_32 3
		.amdhsa_float_denorm_mode_16_64 3
		.amdhsa_dx10_clamp 1
		.amdhsa_ieee_mode 1
		.amdhsa_fp16_overflow 0
		.amdhsa_tg_split 0
		.amdhsa_exception_fp_ieee_invalid_op 0
		.amdhsa_exception_fp_denorm_src 0
		.amdhsa_exception_fp_ieee_div_zero 0
		.amdhsa_exception_fp_ieee_overflow 0
		.amdhsa_exception_fp_ieee_underflow 0
		.amdhsa_exception_fp_ieee_inexact 0
		.amdhsa_exception_int_div_zero 0
	.end_amdhsa_kernel
	.section	.text._ZN7rocprim17ROCPRIM_400000_NS6detail17trampoline_kernelINS0_14default_configENS1_27scan_by_key_config_selectorIj11FixedVectorIiLj4EEEEZZNS1_16scan_by_key_implILNS1_25lookback_scan_determinismE0ELb0ES3_N6thrust23THRUST_200600_302600_NS6detail15normal_iteratorINSB_10device_ptrIjEEEENSD_INSE_IS6_EEEESI_S6_NSB_4plusIvEENSB_8equal_toIvEES6_EE10hipError_tPvRmT2_T3_T4_T5_mT6_T7_P12ihipStream_tbENKUlT_T0_E_clISt17integral_constantIbLb0EES12_IbLb1EEEEDaSY_SZ_EUlSY_E_NS1_11comp_targetILNS1_3genE5ELNS1_11target_archE942ELNS1_3gpuE9ELNS1_3repE0EEENS1_30default_config_static_selectorELNS0_4arch9wavefront6targetE1EEEvT1_,"axG",@progbits,_ZN7rocprim17ROCPRIM_400000_NS6detail17trampoline_kernelINS0_14default_configENS1_27scan_by_key_config_selectorIj11FixedVectorIiLj4EEEEZZNS1_16scan_by_key_implILNS1_25lookback_scan_determinismE0ELb0ES3_N6thrust23THRUST_200600_302600_NS6detail15normal_iteratorINSB_10device_ptrIjEEEENSD_INSE_IS6_EEEESI_S6_NSB_4plusIvEENSB_8equal_toIvEES6_EE10hipError_tPvRmT2_T3_T4_T5_mT6_T7_P12ihipStream_tbENKUlT_T0_E_clISt17integral_constantIbLb0EES12_IbLb1EEEEDaSY_SZ_EUlSY_E_NS1_11comp_targetILNS1_3genE5ELNS1_11target_archE942ELNS1_3gpuE9ELNS1_3repE0EEENS1_30default_config_static_selectorELNS0_4arch9wavefront6targetE1EEEvT1_,comdat
.Lfunc_end2068:
	.size	_ZN7rocprim17ROCPRIM_400000_NS6detail17trampoline_kernelINS0_14default_configENS1_27scan_by_key_config_selectorIj11FixedVectorIiLj4EEEEZZNS1_16scan_by_key_implILNS1_25lookback_scan_determinismE0ELb0ES3_N6thrust23THRUST_200600_302600_NS6detail15normal_iteratorINSB_10device_ptrIjEEEENSD_INSE_IS6_EEEESI_S6_NSB_4plusIvEENSB_8equal_toIvEES6_EE10hipError_tPvRmT2_T3_T4_T5_mT6_T7_P12ihipStream_tbENKUlT_T0_E_clISt17integral_constantIbLb0EES12_IbLb1EEEEDaSY_SZ_EUlSY_E_NS1_11comp_targetILNS1_3genE5ELNS1_11target_archE942ELNS1_3gpuE9ELNS1_3repE0EEENS1_30default_config_static_selectorELNS0_4arch9wavefront6targetE1EEEvT1_, .Lfunc_end2068-_ZN7rocprim17ROCPRIM_400000_NS6detail17trampoline_kernelINS0_14default_configENS1_27scan_by_key_config_selectorIj11FixedVectorIiLj4EEEEZZNS1_16scan_by_key_implILNS1_25lookback_scan_determinismE0ELb0ES3_N6thrust23THRUST_200600_302600_NS6detail15normal_iteratorINSB_10device_ptrIjEEEENSD_INSE_IS6_EEEESI_S6_NSB_4plusIvEENSB_8equal_toIvEES6_EE10hipError_tPvRmT2_T3_T4_T5_mT6_T7_P12ihipStream_tbENKUlT_T0_E_clISt17integral_constantIbLb0EES12_IbLb1EEEEDaSY_SZ_EUlSY_E_NS1_11comp_targetILNS1_3genE5ELNS1_11target_archE942ELNS1_3gpuE9ELNS1_3repE0EEENS1_30default_config_static_selectorELNS0_4arch9wavefront6targetE1EEEvT1_
                                        ; -- End function
	.section	.AMDGPU.csdata,"",@progbits
; Kernel info:
; codeLenInByte = 48372
; NumSgprs: 106
; NumVgprs: 201
; NumAgprs: 0
; TotalNumVgprs: 201
; ScratchSize: 944
; MemoryBound: 0
; FloatMode: 240
; IeeeMode: 1
; LDSByteSize: 47104 bytes/workgroup (compile time only)
; SGPRBlocks: 13
; VGPRBlocks: 25
; NumSGPRsForWavesPerEU: 106
; NumVGPRsForWavesPerEU: 201
; AccumOffset: 204
; Occupancy: 1
; WaveLimiterHint : 1
; COMPUTE_PGM_RSRC2:SCRATCH_EN: 1
; COMPUTE_PGM_RSRC2:USER_SGPR: 2
; COMPUTE_PGM_RSRC2:TRAP_HANDLER: 0
; COMPUTE_PGM_RSRC2:TGID_X_EN: 1
; COMPUTE_PGM_RSRC2:TGID_Y_EN: 0
; COMPUTE_PGM_RSRC2:TGID_Z_EN: 0
; COMPUTE_PGM_RSRC2:TIDIG_COMP_CNT: 0
; COMPUTE_PGM_RSRC3_GFX90A:ACCUM_OFFSET: 50
; COMPUTE_PGM_RSRC3_GFX90A:TG_SPLIT: 0
	.section	.text._ZN7rocprim17ROCPRIM_400000_NS6detail17trampoline_kernelINS0_14default_configENS1_27scan_by_key_config_selectorIj11FixedVectorIiLj4EEEEZZNS1_16scan_by_key_implILNS1_25lookback_scan_determinismE0ELb0ES3_N6thrust23THRUST_200600_302600_NS6detail15normal_iteratorINSB_10device_ptrIjEEEENSD_INSE_IS6_EEEESI_S6_NSB_4plusIvEENSB_8equal_toIvEES6_EE10hipError_tPvRmT2_T3_T4_T5_mT6_T7_P12ihipStream_tbENKUlT_T0_E_clISt17integral_constantIbLb0EES12_IbLb1EEEEDaSY_SZ_EUlSY_E_NS1_11comp_targetILNS1_3genE4ELNS1_11target_archE910ELNS1_3gpuE8ELNS1_3repE0EEENS1_30default_config_static_selectorELNS0_4arch9wavefront6targetE1EEEvT1_,"axG",@progbits,_ZN7rocprim17ROCPRIM_400000_NS6detail17trampoline_kernelINS0_14default_configENS1_27scan_by_key_config_selectorIj11FixedVectorIiLj4EEEEZZNS1_16scan_by_key_implILNS1_25lookback_scan_determinismE0ELb0ES3_N6thrust23THRUST_200600_302600_NS6detail15normal_iteratorINSB_10device_ptrIjEEEENSD_INSE_IS6_EEEESI_S6_NSB_4plusIvEENSB_8equal_toIvEES6_EE10hipError_tPvRmT2_T3_T4_T5_mT6_T7_P12ihipStream_tbENKUlT_T0_E_clISt17integral_constantIbLb0EES12_IbLb1EEEEDaSY_SZ_EUlSY_E_NS1_11comp_targetILNS1_3genE4ELNS1_11target_archE910ELNS1_3gpuE8ELNS1_3repE0EEENS1_30default_config_static_selectorELNS0_4arch9wavefront6targetE1EEEvT1_,comdat
	.protected	_ZN7rocprim17ROCPRIM_400000_NS6detail17trampoline_kernelINS0_14default_configENS1_27scan_by_key_config_selectorIj11FixedVectorIiLj4EEEEZZNS1_16scan_by_key_implILNS1_25lookback_scan_determinismE0ELb0ES3_N6thrust23THRUST_200600_302600_NS6detail15normal_iteratorINSB_10device_ptrIjEEEENSD_INSE_IS6_EEEESI_S6_NSB_4plusIvEENSB_8equal_toIvEES6_EE10hipError_tPvRmT2_T3_T4_T5_mT6_T7_P12ihipStream_tbENKUlT_T0_E_clISt17integral_constantIbLb0EES12_IbLb1EEEEDaSY_SZ_EUlSY_E_NS1_11comp_targetILNS1_3genE4ELNS1_11target_archE910ELNS1_3gpuE8ELNS1_3repE0EEENS1_30default_config_static_selectorELNS0_4arch9wavefront6targetE1EEEvT1_ ; -- Begin function _ZN7rocprim17ROCPRIM_400000_NS6detail17trampoline_kernelINS0_14default_configENS1_27scan_by_key_config_selectorIj11FixedVectorIiLj4EEEEZZNS1_16scan_by_key_implILNS1_25lookback_scan_determinismE0ELb0ES3_N6thrust23THRUST_200600_302600_NS6detail15normal_iteratorINSB_10device_ptrIjEEEENSD_INSE_IS6_EEEESI_S6_NSB_4plusIvEENSB_8equal_toIvEES6_EE10hipError_tPvRmT2_T3_T4_T5_mT6_T7_P12ihipStream_tbENKUlT_T0_E_clISt17integral_constantIbLb0EES12_IbLb1EEEEDaSY_SZ_EUlSY_E_NS1_11comp_targetILNS1_3genE4ELNS1_11target_archE910ELNS1_3gpuE8ELNS1_3repE0EEENS1_30default_config_static_selectorELNS0_4arch9wavefront6targetE1EEEvT1_
	.globl	_ZN7rocprim17ROCPRIM_400000_NS6detail17trampoline_kernelINS0_14default_configENS1_27scan_by_key_config_selectorIj11FixedVectorIiLj4EEEEZZNS1_16scan_by_key_implILNS1_25lookback_scan_determinismE0ELb0ES3_N6thrust23THRUST_200600_302600_NS6detail15normal_iteratorINSB_10device_ptrIjEEEENSD_INSE_IS6_EEEESI_S6_NSB_4plusIvEENSB_8equal_toIvEES6_EE10hipError_tPvRmT2_T3_T4_T5_mT6_T7_P12ihipStream_tbENKUlT_T0_E_clISt17integral_constantIbLb0EES12_IbLb1EEEEDaSY_SZ_EUlSY_E_NS1_11comp_targetILNS1_3genE4ELNS1_11target_archE910ELNS1_3gpuE8ELNS1_3repE0EEENS1_30default_config_static_selectorELNS0_4arch9wavefront6targetE1EEEvT1_
	.p2align	8
	.type	_ZN7rocprim17ROCPRIM_400000_NS6detail17trampoline_kernelINS0_14default_configENS1_27scan_by_key_config_selectorIj11FixedVectorIiLj4EEEEZZNS1_16scan_by_key_implILNS1_25lookback_scan_determinismE0ELb0ES3_N6thrust23THRUST_200600_302600_NS6detail15normal_iteratorINSB_10device_ptrIjEEEENSD_INSE_IS6_EEEESI_S6_NSB_4plusIvEENSB_8equal_toIvEES6_EE10hipError_tPvRmT2_T3_T4_T5_mT6_T7_P12ihipStream_tbENKUlT_T0_E_clISt17integral_constantIbLb0EES12_IbLb1EEEEDaSY_SZ_EUlSY_E_NS1_11comp_targetILNS1_3genE4ELNS1_11target_archE910ELNS1_3gpuE8ELNS1_3repE0EEENS1_30default_config_static_selectorELNS0_4arch9wavefront6targetE1EEEvT1_,@function
_ZN7rocprim17ROCPRIM_400000_NS6detail17trampoline_kernelINS0_14default_configENS1_27scan_by_key_config_selectorIj11FixedVectorIiLj4EEEEZZNS1_16scan_by_key_implILNS1_25lookback_scan_determinismE0ELb0ES3_N6thrust23THRUST_200600_302600_NS6detail15normal_iteratorINSB_10device_ptrIjEEEENSD_INSE_IS6_EEEESI_S6_NSB_4plusIvEENSB_8equal_toIvEES6_EE10hipError_tPvRmT2_T3_T4_T5_mT6_T7_P12ihipStream_tbENKUlT_T0_E_clISt17integral_constantIbLb0EES12_IbLb1EEEEDaSY_SZ_EUlSY_E_NS1_11comp_targetILNS1_3genE4ELNS1_11target_archE910ELNS1_3gpuE8ELNS1_3repE0EEENS1_30default_config_static_selectorELNS0_4arch9wavefront6targetE1EEEvT1_: ; @_ZN7rocprim17ROCPRIM_400000_NS6detail17trampoline_kernelINS0_14default_configENS1_27scan_by_key_config_selectorIj11FixedVectorIiLj4EEEEZZNS1_16scan_by_key_implILNS1_25lookback_scan_determinismE0ELb0ES3_N6thrust23THRUST_200600_302600_NS6detail15normal_iteratorINSB_10device_ptrIjEEEENSD_INSE_IS6_EEEESI_S6_NSB_4plusIvEENSB_8equal_toIvEES6_EE10hipError_tPvRmT2_T3_T4_T5_mT6_T7_P12ihipStream_tbENKUlT_T0_E_clISt17integral_constantIbLb0EES12_IbLb1EEEEDaSY_SZ_EUlSY_E_NS1_11comp_targetILNS1_3genE4ELNS1_11target_archE910ELNS1_3gpuE8ELNS1_3repE0EEENS1_30default_config_static_selectorELNS0_4arch9wavefront6targetE1EEEvT1_
; %bb.0:
	.section	.rodata,"a",@progbits
	.p2align	6, 0x0
	.amdhsa_kernel _ZN7rocprim17ROCPRIM_400000_NS6detail17trampoline_kernelINS0_14default_configENS1_27scan_by_key_config_selectorIj11FixedVectorIiLj4EEEEZZNS1_16scan_by_key_implILNS1_25lookback_scan_determinismE0ELb0ES3_N6thrust23THRUST_200600_302600_NS6detail15normal_iteratorINSB_10device_ptrIjEEEENSD_INSE_IS6_EEEESI_S6_NSB_4plusIvEENSB_8equal_toIvEES6_EE10hipError_tPvRmT2_T3_T4_T5_mT6_T7_P12ihipStream_tbENKUlT_T0_E_clISt17integral_constantIbLb0EES12_IbLb1EEEEDaSY_SZ_EUlSY_E_NS1_11comp_targetILNS1_3genE4ELNS1_11target_archE910ELNS1_3gpuE8ELNS1_3repE0EEENS1_30default_config_static_selectorELNS0_4arch9wavefront6targetE1EEEvT1_
		.amdhsa_group_segment_fixed_size 0
		.amdhsa_private_segment_fixed_size 0
		.amdhsa_kernarg_size 144
		.amdhsa_user_sgpr_count 2
		.amdhsa_user_sgpr_dispatch_ptr 0
		.amdhsa_user_sgpr_queue_ptr 0
		.amdhsa_user_sgpr_kernarg_segment_ptr 1
		.amdhsa_user_sgpr_dispatch_id 0
		.amdhsa_user_sgpr_kernarg_preload_length 0
		.amdhsa_user_sgpr_kernarg_preload_offset 0
		.amdhsa_user_sgpr_private_segment_size 0
		.amdhsa_uses_dynamic_stack 0
		.amdhsa_enable_private_segment 0
		.amdhsa_system_sgpr_workgroup_id_x 1
		.amdhsa_system_sgpr_workgroup_id_y 0
		.amdhsa_system_sgpr_workgroup_id_z 0
		.amdhsa_system_sgpr_workgroup_info 0
		.amdhsa_system_vgpr_workitem_id 0
		.amdhsa_next_free_vgpr 1
		.amdhsa_next_free_sgpr 0
		.amdhsa_accum_offset 4
		.amdhsa_reserve_vcc 0
		.amdhsa_float_round_mode_32 0
		.amdhsa_float_round_mode_16_64 0
		.amdhsa_float_denorm_mode_32 3
		.amdhsa_float_denorm_mode_16_64 3
		.amdhsa_dx10_clamp 1
		.amdhsa_ieee_mode 1
		.amdhsa_fp16_overflow 0
		.amdhsa_tg_split 0
		.amdhsa_exception_fp_ieee_invalid_op 0
		.amdhsa_exception_fp_denorm_src 0
		.amdhsa_exception_fp_ieee_div_zero 0
		.amdhsa_exception_fp_ieee_overflow 0
		.amdhsa_exception_fp_ieee_underflow 0
		.amdhsa_exception_fp_ieee_inexact 0
		.amdhsa_exception_int_div_zero 0
	.end_amdhsa_kernel
	.section	.text._ZN7rocprim17ROCPRIM_400000_NS6detail17trampoline_kernelINS0_14default_configENS1_27scan_by_key_config_selectorIj11FixedVectorIiLj4EEEEZZNS1_16scan_by_key_implILNS1_25lookback_scan_determinismE0ELb0ES3_N6thrust23THRUST_200600_302600_NS6detail15normal_iteratorINSB_10device_ptrIjEEEENSD_INSE_IS6_EEEESI_S6_NSB_4plusIvEENSB_8equal_toIvEES6_EE10hipError_tPvRmT2_T3_T4_T5_mT6_T7_P12ihipStream_tbENKUlT_T0_E_clISt17integral_constantIbLb0EES12_IbLb1EEEEDaSY_SZ_EUlSY_E_NS1_11comp_targetILNS1_3genE4ELNS1_11target_archE910ELNS1_3gpuE8ELNS1_3repE0EEENS1_30default_config_static_selectorELNS0_4arch9wavefront6targetE1EEEvT1_,"axG",@progbits,_ZN7rocprim17ROCPRIM_400000_NS6detail17trampoline_kernelINS0_14default_configENS1_27scan_by_key_config_selectorIj11FixedVectorIiLj4EEEEZZNS1_16scan_by_key_implILNS1_25lookback_scan_determinismE0ELb0ES3_N6thrust23THRUST_200600_302600_NS6detail15normal_iteratorINSB_10device_ptrIjEEEENSD_INSE_IS6_EEEESI_S6_NSB_4plusIvEENSB_8equal_toIvEES6_EE10hipError_tPvRmT2_T3_T4_T5_mT6_T7_P12ihipStream_tbENKUlT_T0_E_clISt17integral_constantIbLb0EES12_IbLb1EEEEDaSY_SZ_EUlSY_E_NS1_11comp_targetILNS1_3genE4ELNS1_11target_archE910ELNS1_3gpuE8ELNS1_3repE0EEENS1_30default_config_static_selectorELNS0_4arch9wavefront6targetE1EEEvT1_,comdat
.Lfunc_end2069:
	.size	_ZN7rocprim17ROCPRIM_400000_NS6detail17trampoline_kernelINS0_14default_configENS1_27scan_by_key_config_selectorIj11FixedVectorIiLj4EEEEZZNS1_16scan_by_key_implILNS1_25lookback_scan_determinismE0ELb0ES3_N6thrust23THRUST_200600_302600_NS6detail15normal_iteratorINSB_10device_ptrIjEEEENSD_INSE_IS6_EEEESI_S6_NSB_4plusIvEENSB_8equal_toIvEES6_EE10hipError_tPvRmT2_T3_T4_T5_mT6_T7_P12ihipStream_tbENKUlT_T0_E_clISt17integral_constantIbLb0EES12_IbLb1EEEEDaSY_SZ_EUlSY_E_NS1_11comp_targetILNS1_3genE4ELNS1_11target_archE910ELNS1_3gpuE8ELNS1_3repE0EEENS1_30default_config_static_selectorELNS0_4arch9wavefront6targetE1EEEvT1_, .Lfunc_end2069-_ZN7rocprim17ROCPRIM_400000_NS6detail17trampoline_kernelINS0_14default_configENS1_27scan_by_key_config_selectorIj11FixedVectorIiLj4EEEEZZNS1_16scan_by_key_implILNS1_25lookback_scan_determinismE0ELb0ES3_N6thrust23THRUST_200600_302600_NS6detail15normal_iteratorINSB_10device_ptrIjEEEENSD_INSE_IS6_EEEESI_S6_NSB_4plusIvEENSB_8equal_toIvEES6_EE10hipError_tPvRmT2_T3_T4_T5_mT6_T7_P12ihipStream_tbENKUlT_T0_E_clISt17integral_constantIbLb0EES12_IbLb1EEEEDaSY_SZ_EUlSY_E_NS1_11comp_targetILNS1_3genE4ELNS1_11target_archE910ELNS1_3gpuE8ELNS1_3repE0EEENS1_30default_config_static_selectorELNS0_4arch9wavefront6targetE1EEEvT1_
                                        ; -- End function
	.section	.AMDGPU.csdata,"",@progbits
; Kernel info:
; codeLenInByte = 0
; NumSgprs: 6
; NumVgprs: 0
; NumAgprs: 0
; TotalNumVgprs: 0
; ScratchSize: 0
; MemoryBound: 0
; FloatMode: 240
; IeeeMode: 1
; LDSByteSize: 0 bytes/workgroup (compile time only)
; SGPRBlocks: 0
; VGPRBlocks: 0
; NumSGPRsForWavesPerEU: 6
; NumVGPRsForWavesPerEU: 1
; AccumOffset: 4
; Occupancy: 8
; WaveLimiterHint : 0
; COMPUTE_PGM_RSRC2:SCRATCH_EN: 0
; COMPUTE_PGM_RSRC2:USER_SGPR: 2
; COMPUTE_PGM_RSRC2:TRAP_HANDLER: 0
; COMPUTE_PGM_RSRC2:TGID_X_EN: 1
; COMPUTE_PGM_RSRC2:TGID_Y_EN: 0
; COMPUTE_PGM_RSRC2:TGID_Z_EN: 0
; COMPUTE_PGM_RSRC2:TIDIG_COMP_CNT: 0
; COMPUTE_PGM_RSRC3_GFX90A:ACCUM_OFFSET: 0
; COMPUTE_PGM_RSRC3_GFX90A:TG_SPLIT: 0
	.section	.text._ZN7rocprim17ROCPRIM_400000_NS6detail17trampoline_kernelINS0_14default_configENS1_27scan_by_key_config_selectorIj11FixedVectorIiLj4EEEEZZNS1_16scan_by_key_implILNS1_25lookback_scan_determinismE0ELb0ES3_N6thrust23THRUST_200600_302600_NS6detail15normal_iteratorINSB_10device_ptrIjEEEENSD_INSE_IS6_EEEESI_S6_NSB_4plusIvEENSB_8equal_toIvEES6_EE10hipError_tPvRmT2_T3_T4_T5_mT6_T7_P12ihipStream_tbENKUlT_T0_E_clISt17integral_constantIbLb0EES12_IbLb1EEEEDaSY_SZ_EUlSY_E_NS1_11comp_targetILNS1_3genE3ELNS1_11target_archE908ELNS1_3gpuE7ELNS1_3repE0EEENS1_30default_config_static_selectorELNS0_4arch9wavefront6targetE1EEEvT1_,"axG",@progbits,_ZN7rocprim17ROCPRIM_400000_NS6detail17trampoline_kernelINS0_14default_configENS1_27scan_by_key_config_selectorIj11FixedVectorIiLj4EEEEZZNS1_16scan_by_key_implILNS1_25lookback_scan_determinismE0ELb0ES3_N6thrust23THRUST_200600_302600_NS6detail15normal_iteratorINSB_10device_ptrIjEEEENSD_INSE_IS6_EEEESI_S6_NSB_4plusIvEENSB_8equal_toIvEES6_EE10hipError_tPvRmT2_T3_T4_T5_mT6_T7_P12ihipStream_tbENKUlT_T0_E_clISt17integral_constantIbLb0EES12_IbLb1EEEEDaSY_SZ_EUlSY_E_NS1_11comp_targetILNS1_3genE3ELNS1_11target_archE908ELNS1_3gpuE7ELNS1_3repE0EEENS1_30default_config_static_selectorELNS0_4arch9wavefront6targetE1EEEvT1_,comdat
	.protected	_ZN7rocprim17ROCPRIM_400000_NS6detail17trampoline_kernelINS0_14default_configENS1_27scan_by_key_config_selectorIj11FixedVectorIiLj4EEEEZZNS1_16scan_by_key_implILNS1_25lookback_scan_determinismE0ELb0ES3_N6thrust23THRUST_200600_302600_NS6detail15normal_iteratorINSB_10device_ptrIjEEEENSD_INSE_IS6_EEEESI_S6_NSB_4plusIvEENSB_8equal_toIvEES6_EE10hipError_tPvRmT2_T3_T4_T5_mT6_T7_P12ihipStream_tbENKUlT_T0_E_clISt17integral_constantIbLb0EES12_IbLb1EEEEDaSY_SZ_EUlSY_E_NS1_11comp_targetILNS1_3genE3ELNS1_11target_archE908ELNS1_3gpuE7ELNS1_3repE0EEENS1_30default_config_static_selectorELNS0_4arch9wavefront6targetE1EEEvT1_ ; -- Begin function _ZN7rocprim17ROCPRIM_400000_NS6detail17trampoline_kernelINS0_14default_configENS1_27scan_by_key_config_selectorIj11FixedVectorIiLj4EEEEZZNS1_16scan_by_key_implILNS1_25lookback_scan_determinismE0ELb0ES3_N6thrust23THRUST_200600_302600_NS6detail15normal_iteratorINSB_10device_ptrIjEEEENSD_INSE_IS6_EEEESI_S6_NSB_4plusIvEENSB_8equal_toIvEES6_EE10hipError_tPvRmT2_T3_T4_T5_mT6_T7_P12ihipStream_tbENKUlT_T0_E_clISt17integral_constantIbLb0EES12_IbLb1EEEEDaSY_SZ_EUlSY_E_NS1_11comp_targetILNS1_3genE3ELNS1_11target_archE908ELNS1_3gpuE7ELNS1_3repE0EEENS1_30default_config_static_selectorELNS0_4arch9wavefront6targetE1EEEvT1_
	.globl	_ZN7rocprim17ROCPRIM_400000_NS6detail17trampoline_kernelINS0_14default_configENS1_27scan_by_key_config_selectorIj11FixedVectorIiLj4EEEEZZNS1_16scan_by_key_implILNS1_25lookback_scan_determinismE0ELb0ES3_N6thrust23THRUST_200600_302600_NS6detail15normal_iteratorINSB_10device_ptrIjEEEENSD_INSE_IS6_EEEESI_S6_NSB_4plusIvEENSB_8equal_toIvEES6_EE10hipError_tPvRmT2_T3_T4_T5_mT6_T7_P12ihipStream_tbENKUlT_T0_E_clISt17integral_constantIbLb0EES12_IbLb1EEEEDaSY_SZ_EUlSY_E_NS1_11comp_targetILNS1_3genE3ELNS1_11target_archE908ELNS1_3gpuE7ELNS1_3repE0EEENS1_30default_config_static_selectorELNS0_4arch9wavefront6targetE1EEEvT1_
	.p2align	8
	.type	_ZN7rocprim17ROCPRIM_400000_NS6detail17trampoline_kernelINS0_14default_configENS1_27scan_by_key_config_selectorIj11FixedVectorIiLj4EEEEZZNS1_16scan_by_key_implILNS1_25lookback_scan_determinismE0ELb0ES3_N6thrust23THRUST_200600_302600_NS6detail15normal_iteratorINSB_10device_ptrIjEEEENSD_INSE_IS6_EEEESI_S6_NSB_4plusIvEENSB_8equal_toIvEES6_EE10hipError_tPvRmT2_T3_T4_T5_mT6_T7_P12ihipStream_tbENKUlT_T0_E_clISt17integral_constantIbLb0EES12_IbLb1EEEEDaSY_SZ_EUlSY_E_NS1_11comp_targetILNS1_3genE3ELNS1_11target_archE908ELNS1_3gpuE7ELNS1_3repE0EEENS1_30default_config_static_selectorELNS0_4arch9wavefront6targetE1EEEvT1_,@function
_ZN7rocprim17ROCPRIM_400000_NS6detail17trampoline_kernelINS0_14default_configENS1_27scan_by_key_config_selectorIj11FixedVectorIiLj4EEEEZZNS1_16scan_by_key_implILNS1_25lookback_scan_determinismE0ELb0ES3_N6thrust23THRUST_200600_302600_NS6detail15normal_iteratorINSB_10device_ptrIjEEEENSD_INSE_IS6_EEEESI_S6_NSB_4plusIvEENSB_8equal_toIvEES6_EE10hipError_tPvRmT2_T3_T4_T5_mT6_T7_P12ihipStream_tbENKUlT_T0_E_clISt17integral_constantIbLb0EES12_IbLb1EEEEDaSY_SZ_EUlSY_E_NS1_11comp_targetILNS1_3genE3ELNS1_11target_archE908ELNS1_3gpuE7ELNS1_3repE0EEENS1_30default_config_static_selectorELNS0_4arch9wavefront6targetE1EEEvT1_: ; @_ZN7rocprim17ROCPRIM_400000_NS6detail17trampoline_kernelINS0_14default_configENS1_27scan_by_key_config_selectorIj11FixedVectorIiLj4EEEEZZNS1_16scan_by_key_implILNS1_25lookback_scan_determinismE0ELb0ES3_N6thrust23THRUST_200600_302600_NS6detail15normal_iteratorINSB_10device_ptrIjEEEENSD_INSE_IS6_EEEESI_S6_NSB_4plusIvEENSB_8equal_toIvEES6_EE10hipError_tPvRmT2_T3_T4_T5_mT6_T7_P12ihipStream_tbENKUlT_T0_E_clISt17integral_constantIbLb0EES12_IbLb1EEEEDaSY_SZ_EUlSY_E_NS1_11comp_targetILNS1_3genE3ELNS1_11target_archE908ELNS1_3gpuE7ELNS1_3repE0EEENS1_30default_config_static_selectorELNS0_4arch9wavefront6targetE1EEEvT1_
; %bb.0:
	.section	.rodata,"a",@progbits
	.p2align	6, 0x0
	.amdhsa_kernel _ZN7rocprim17ROCPRIM_400000_NS6detail17trampoline_kernelINS0_14default_configENS1_27scan_by_key_config_selectorIj11FixedVectorIiLj4EEEEZZNS1_16scan_by_key_implILNS1_25lookback_scan_determinismE0ELb0ES3_N6thrust23THRUST_200600_302600_NS6detail15normal_iteratorINSB_10device_ptrIjEEEENSD_INSE_IS6_EEEESI_S6_NSB_4plusIvEENSB_8equal_toIvEES6_EE10hipError_tPvRmT2_T3_T4_T5_mT6_T7_P12ihipStream_tbENKUlT_T0_E_clISt17integral_constantIbLb0EES12_IbLb1EEEEDaSY_SZ_EUlSY_E_NS1_11comp_targetILNS1_3genE3ELNS1_11target_archE908ELNS1_3gpuE7ELNS1_3repE0EEENS1_30default_config_static_selectorELNS0_4arch9wavefront6targetE1EEEvT1_
		.amdhsa_group_segment_fixed_size 0
		.amdhsa_private_segment_fixed_size 0
		.amdhsa_kernarg_size 144
		.amdhsa_user_sgpr_count 2
		.amdhsa_user_sgpr_dispatch_ptr 0
		.amdhsa_user_sgpr_queue_ptr 0
		.amdhsa_user_sgpr_kernarg_segment_ptr 1
		.amdhsa_user_sgpr_dispatch_id 0
		.amdhsa_user_sgpr_kernarg_preload_length 0
		.amdhsa_user_sgpr_kernarg_preload_offset 0
		.amdhsa_user_sgpr_private_segment_size 0
		.amdhsa_uses_dynamic_stack 0
		.amdhsa_enable_private_segment 0
		.amdhsa_system_sgpr_workgroup_id_x 1
		.amdhsa_system_sgpr_workgroup_id_y 0
		.amdhsa_system_sgpr_workgroup_id_z 0
		.amdhsa_system_sgpr_workgroup_info 0
		.amdhsa_system_vgpr_workitem_id 0
		.amdhsa_next_free_vgpr 1
		.amdhsa_next_free_sgpr 0
		.amdhsa_accum_offset 4
		.amdhsa_reserve_vcc 0
		.amdhsa_float_round_mode_32 0
		.amdhsa_float_round_mode_16_64 0
		.amdhsa_float_denorm_mode_32 3
		.amdhsa_float_denorm_mode_16_64 3
		.amdhsa_dx10_clamp 1
		.amdhsa_ieee_mode 1
		.amdhsa_fp16_overflow 0
		.amdhsa_tg_split 0
		.amdhsa_exception_fp_ieee_invalid_op 0
		.amdhsa_exception_fp_denorm_src 0
		.amdhsa_exception_fp_ieee_div_zero 0
		.amdhsa_exception_fp_ieee_overflow 0
		.amdhsa_exception_fp_ieee_underflow 0
		.amdhsa_exception_fp_ieee_inexact 0
		.amdhsa_exception_int_div_zero 0
	.end_amdhsa_kernel
	.section	.text._ZN7rocprim17ROCPRIM_400000_NS6detail17trampoline_kernelINS0_14default_configENS1_27scan_by_key_config_selectorIj11FixedVectorIiLj4EEEEZZNS1_16scan_by_key_implILNS1_25lookback_scan_determinismE0ELb0ES3_N6thrust23THRUST_200600_302600_NS6detail15normal_iteratorINSB_10device_ptrIjEEEENSD_INSE_IS6_EEEESI_S6_NSB_4plusIvEENSB_8equal_toIvEES6_EE10hipError_tPvRmT2_T3_T4_T5_mT6_T7_P12ihipStream_tbENKUlT_T0_E_clISt17integral_constantIbLb0EES12_IbLb1EEEEDaSY_SZ_EUlSY_E_NS1_11comp_targetILNS1_3genE3ELNS1_11target_archE908ELNS1_3gpuE7ELNS1_3repE0EEENS1_30default_config_static_selectorELNS0_4arch9wavefront6targetE1EEEvT1_,"axG",@progbits,_ZN7rocprim17ROCPRIM_400000_NS6detail17trampoline_kernelINS0_14default_configENS1_27scan_by_key_config_selectorIj11FixedVectorIiLj4EEEEZZNS1_16scan_by_key_implILNS1_25lookback_scan_determinismE0ELb0ES3_N6thrust23THRUST_200600_302600_NS6detail15normal_iteratorINSB_10device_ptrIjEEEENSD_INSE_IS6_EEEESI_S6_NSB_4plusIvEENSB_8equal_toIvEES6_EE10hipError_tPvRmT2_T3_T4_T5_mT6_T7_P12ihipStream_tbENKUlT_T0_E_clISt17integral_constantIbLb0EES12_IbLb1EEEEDaSY_SZ_EUlSY_E_NS1_11comp_targetILNS1_3genE3ELNS1_11target_archE908ELNS1_3gpuE7ELNS1_3repE0EEENS1_30default_config_static_selectorELNS0_4arch9wavefront6targetE1EEEvT1_,comdat
.Lfunc_end2070:
	.size	_ZN7rocprim17ROCPRIM_400000_NS6detail17trampoline_kernelINS0_14default_configENS1_27scan_by_key_config_selectorIj11FixedVectorIiLj4EEEEZZNS1_16scan_by_key_implILNS1_25lookback_scan_determinismE0ELb0ES3_N6thrust23THRUST_200600_302600_NS6detail15normal_iteratorINSB_10device_ptrIjEEEENSD_INSE_IS6_EEEESI_S6_NSB_4plusIvEENSB_8equal_toIvEES6_EE10hipError_tPvRmT2_T3_T4_T5_mT6_T7_P12ihipStream_tbENKUlT_T0_E_clISt17integral_constantIbLb0EES12_IbLb1EEEEDaSY_SZ_EUlSY_E_NS1_11comp_targetILNS1_3genE3ELNS1_11target_archE908ELNS1_3gpuE7ELNS1_3repE0EEENS1_30default_config_static_selectorELNS0_4arch9wavefront6targetE1EEEvT1_, .Lfunc_end2070-_ZN7rocprim17ROCPRIM_400000_NS6detail17trampoline_kernelINS0_14default_configENS1_27scan_by_key_config_selectorIj11FixedVectorIiLj4EEEEZZNS1_16scan_by_key_implILNS1_25lookback_scan_determinismE0ELb0ES3_N6thrust23THRUST_200600_302600_NS6detail15normal_iteratorINSB_10device_ptrIjEEEENSD_INSE_IS6_EEEESI_S6_NSB_4plusIvEENSB_8equal_toIvEES6_EE10hipError_tPvRmT2_T3_T4_T5_mT6_T7_P12ihipStream_tbENKUlT_T0_E_clISt17integral_constantIbLb0EES12_IbLb1EEEEDaSY_SZ_EUlSY_E_NS1_11comp_targetILNS1_3genE3ELNS1_11target_archE908ELNS1_3gpuE7ELNS1_3repE0EEENS1_30default_config_static_selectorELNS0_4arch9wavefront6targetE1EEEvT1_
                                        ; -- End function
	.section	.AMDGPU.csdata,"",@progbits
; Kernel info:
; codeLenInByte = 0
; NumSgprs: 6
; NumVgprs: 0
; NumAgprs: 0
; TotalNumVgprs: 0
; ScratchSize: 0
; MemoryBound: 0
; FloatMode: 240
; IeeeMode: 1
; LDSByteSize: 0 bytes/workgroup (compile time only)
; SGPRBlocks: 0
; VGPRBlocks: 0
; NumSGPRsForWavesPerEU: 6
; NumVGPRsForWavesPerEU: 1
; AccumOffset: 4
; Occupancy: 8
; WaveLimiterHint : 0
; COMPUTE_PGM_RSRC2:SCRATCH_EN: 0
; COMPUTE_PGM_RSRC2:USER_SGPR: 2
; COMPUTE_PGM_RSRC2:TRAP_HANDLER: 0
; COMPUTE_PGM_RSRC2:TGID_X_EN: 1
; COMPUTE_PGM_RSRC2:TGID_Y_EN: 0
; COMPUTE_PGM_RSRC2:TGID_Z_EN: 0
; COMPUTE_PGM_RSRC2:TIDIG_COMP_CNT: 0
; COMPUTE_PGM_RSRC3_GFX90A:ACCUM_OFFSET: 0
; COMPUTE_PGM_RSRC3_GFX90A:TG_SPLIT: 0
	.section	.text._ZN7rocprim17ROCPRIM_400000_NS6detail17trampoline_kernelINS0_14default_configENS1_27scan_by_key_config_selectorIj11FixedVectorIiLj4EEEEZZNS1_16scan_by_key_implILNS1_25lookback_scan_determinismE0ELb0ES3_N6thrust23THRUST_200600_302600_NS6detail15normal_iteratorINSB_10device_ptrIjEEEENSD_INSE_IS6_EEEESI_S6_NSB_4plusIvEENSB_8equal_toIvEES6_EE10hipError_tPvRmT2_T3_T4_T5_mT6_T7_P12ihipStream_tbENKUlT_T0_E_clISt17integral_constantIbLb0EES12_IbLb1EEEEDaSY_SZ_EUlSY_E_NS1_11comp_targetILNS1_3genE2ELNS1_11target_archE906ELNS1_3gpuE6ELNS1_3repE0EEENS1_30default_config_static_selectorELNS0_4arch9wavefront6targetE1EEEvT1_,"axG",@progbits,_ZN7rocprim17ROCPRIM_400000_NS6detail17trampoline_kernelINS0_14default_configENS1_27scan_by_key_config_selectorIj11FixedVectorIiLj4EEEEZZNS1_16scan_by_key_implILNS1_25lookback_scan_determinismE0ELb0ES3_N6thrust23THRUST_200600_302600_NS6detail15normal_iteratorINSB_10device_ptrIjEEEENSD_INSE_IS6_EEEESI_S6_NSB_4plusIvEENSB_8equal_toIvEES6_EE10hipError_tPvRmT2_T3_T4_T5_mT6_T7_P12ihipStream_tbENKUlT_T0_E_clISt17integral_constantIbLb0EES12_IbLb1EEEEDaSY_SZ_EUlSY_E_NS1_11comp_targetILNS1_3genE2ELNS1_11target_archE906ELNS1_3gpuE6ELNS1_3repE0EEENS1_30default_config_static_selectorELNS0_4arch9wavefront6targetE1EEEvT1_,comdat
	.protected	_ZN7rocprim17ROCPRIM_400000_NS6detail17trampoline_kernelINS0_14default_configENS1_27scan_by_key_config_selectorIj11FixedVectorIiLj4EEEEZZNS1_16scan_by_key_implILNS1_25lookback_scan_determinismE0ELb0ES3_N6thrust23THRUST_200600_302600_NS6detail15normal_iteratorINSB_10device_ptrIjEEEENSD_INSE_IS6_EEEESI_S6_NSB_4plusIvEENSB_8equal_toIvEES6_EE10hipError_tPvRmT2_T3_T4_T5_mT6_T7_P12ihipStream_tbENKUlT_T0_E_clISt17integral_constantIbLb0EES12_IbLb1EEEEDaSY_SZ_EUlSY_E_NS1_11comp_targetILNS1_3genE2ELNS1_11target_archE906ELNS1_3gpuE6ELNS1_3repE0EEENS1_30default_config_static_selectorELNS0_4arch9wavefront6targetE1EEEvT1_ ; -- Begin function _ZN7rocprim17ROCPRIM_400000_NS6detail17trampoline_kernelINS0_14default_configENS1_27scan_by_key_config_selectorIj11FixedVectorIiLj4EEEEZZNS1_16scan_by_key_implILNS1_25lookback_scan_determinismE0ELb0ES3_N6thrust23THRUST_200600_302600_NS6detail15normal_iteratorINSB_10device_ptrIjEEEENSD_INSE_IS6_EEEESI_S6_NSB_4plusIvEENSB_8equal_toIvEES6_EE10hipError_tPvRmT2_T3_T4_T5_mT6_T7_P12ihipStream_tbENKUlT_T0_E_clISt17integral_constantIbLb0EES12_IbLb1EEEEDaSY_SZ_EUlSY_E_NS1_11comp_targetILNS1_3genE2ELNS1_11target_archE906ELNS1_3gpuE6ELNS1_3repE0EEENS1_30default_config_static_selectorELNS0_4arch9wavefront6targetE1EEEvT1_
	.globl	_ZN7rocprim17ROCPRIM_400000_NS6detail17trampoline_kernelINS0_14default_configENS1_27scan_by_key_config_selectorIj11FixedVectorIiLj4EEEEZZNS1_16scan_by_key_implILNS1_25lookback_scan_determinismE0ELb0ES3_N6thrust23THRUST_200600_302600_NS6detail15normal_iteratorINSB_10device_ptrIjEEEENSD_INSE_IS6_EEEESI_S6_NSB_4plusIvEENSB_8equal_toIvEES6_EE10hipError_tPvRmT2_T3_T4_T5_mT6_T7_P12ihipStream_tbENKUlT_T0_E_clISt17integral_constantIbLb0EES12_IbLb1EEEEDaSY_SZ_EUlSY_E_NS1_11comp_targetILNS1_3genE2ELNS1_11target_archE906ELNS1_3gpuE6ELNS1_3repE0EEENS1_30default_config_static_selectorELNS0_4arch9wavefront6targetE1EEEvT1_
	.p2align	8
	.type	_ZN7rocprim17ROCPRIM_400000_NS6detail17trampoline_kernelINS0_14default_configENS1_27scan_by_key_config_selectorIj11FixedVectorIiLj4EEEEZZNS1_16scan_by_key_implILNS1_25lookback_scan_determinismE0ELb0ES3_N6thrust23THRUST_200600_302600_NS6detail15normal_iteratorINSB_10device_ptrIjEEEENSD_INSE_IS6_EEEESI_S6_NSB_4plusIvEENSB_8equal_toIvEES6_EE10hipError_tPvRmT2_T3_T4_T5_mT6_T7_P12ihipStream_tbENKUlT_T0_E_clISt17integral_constantIbLb0EES12_IbLb1EEEEDaSY_SZ_EUlSY_E_NS1_11comp_targetILNS1_3genE2ELNS1_11target_archE906ELNS1_3gpuE6ELNS1_3repE0EEENS1_30default_config_static_selectorELNS0_4arch9wavefront6targetE1EEEvT1_,@function
_ZN7rocprim17ROCPRIM_400000_NS6detail17trampoline_kernelINS0_14default_configENS1_27scan_by_key_config_selectorIj11FixedVectorIiLj4EEEEZZNS1_16scan_by_key_implILNS1_25lookback_scan_determinismE0ELb0ES3_N6thrust23THRUST_200600_302600_NS6detail15normal_iteratorINSB_10device_ptrIjEEEENSD_INSE_IS6_EEEESI_S6_NSB_4plusIvEENSB_8equal_toIvEES6_EE10hipError_tPvRmT2_T3_T4_T5_mT6_T7_P12ihipStream_tbENKUlT_T0_E_clISt17integral_constantIbLb0EES12_IbLb1EEEEDaSY_SZ_EUlSY_E_NS1_11comp_targetILNS1_3genE2ELNS1_11target_archE906ELNS1_3gpuE6ELNS1_3repE0EEENS1_30default_config_static_selectorELNS0_4arch9wavefront6targetE1EEEvT1_: ; @_ZN7rocprim17ROCPRIM_400000_NS6detail17trampoline_kernelINS0_14default_configENS1_27scan_by_key_config_selectorIj11FixedVectorIiLj4EEEEZZNS1_16scan_by_key_implILNS1_25lookback_scan_determinismE0ELb0ES3_N6thrust23THRUST_200600_302600_NS6detail15normal_iteratorINSB_10device_ptrIjEEEENSD_INSE_IS6_EEEESI_S6_NSB_4plusIvEENSB_8equal_toIvEES6_EE10hipError_tPvRmT2_T3_T4_T5_mT6_T7_P12ihipStream_tbENKUlT_T0_E_clISt17integral_constantIbLb0EES12_IbLb1EEEEDaSY_SZ_EUlSY_E_NS1_11comp_targetILNS1_3genE2ELNS1_11target_archE906ELNS1_3gpuE6ELNS1_3repE0EEENS1_30default_config_static_selectorELNS0_4arch9wavefront6targetE1EEEvT1_
; %bb.0:
	.section	.rodata,"a",@progbits
	.p2align	6, 0x0
	.amdhsa_kernel _ZN7rocprim17ROCPRIM_400000_NS6detail17trampoline_kernelINS0_14default_configENS1_27scan_by_key_config_selectorIj11FixedVectorIiLj4EEEEZZNS1_16scan_by_key_implILNS1_25lookback_scan_determinismE0ELb0ES3_N6thrust23THRUST_200600_302600_NS6detail15normal_iteratorINSB_10device_ptrIjEEEENSD_INSE_IS6_EEEESI_S6_NSB_4plusIvEENSB_8equal_toIvEES6_EE10hipError_tPvRmT2_T3_T4_T5_mT6_T7_P12ihipStream_tbENKUlT_T0_E_clISt17integral_constantIbLb0EES12_IbLb1EEEEDaSY_SZ_EUlSY_E_NS1_11comp_targetILNS1_3genE2ELNS1_11target_archE906ELNS1_3gpuE6ELNS1_3repE0EEENS1_30default_config_static_selectorELNS0_4arch9wavefront6targetE1EEEvT1_
		.amdhsa_group_segment_fixed_size 0
		.amdhsa_private_segment_fixed_size 0
		.amdhsa_kernarg_size 144
		.amdhsa_user_sgpr_count 2
		.amdhsa_user_sgpr_dispatch_ptr 0
		.amdhsa_user_sgpr_queue_ptr 0
		.amdhsa_user_sgpr_kernarg_segment_ptr 1
		.amdhsa_user_sgpr_dispatch_id 0
		.amdhsa_user_sgpr_kernarg_preload_length 0
		.amdhsa_user_sgpr_kernarg_preload_offset 0
		.amdhsa_user_sgpr_private_segment_size 0
		.amdhsa_uses_dynamic_stack 0
		.amdhsa_enable_private_segment 0
		.amdhsa_system_sgpr_workgroup_id_x 1
		.amdhsa_system_sgpr_workgroup_id_y 0
		.amdhsa_system_sgpr_workgroup_id_z 0
		.amdhsa_system_sgpr_workgroup_info 0
		.amdhsa_system_vgpr_workitem_id 0
		.amdhsa_next_free_vgpr 1
		.amdhsa_next_free_sgpr 0
		.amdhsa_accum_offset 4
		.amdhsa_reserve_vcc 0
		.amdhsa_float_round_mode_32 0
		.amdhsa_float_round_mode_16_64 0
		.amdhsa_float_denorm_mode_32 3
		.amdhsa_float_denorm_mode_16_64 3
		.amdhsa_dx10_clamp 1
		.amdhsa_ieee_mode 1
		.amdhsa_fp16_overflow 0
		.amdhsa_tg_split 0
		.amdhsa_exception_fp_ieee_invalid_op 0
		.amdhsa_exception_fp_denorm_src 0
		.amdhsa_exception_fp_ieee_div_zero 0
		.amdhsa_exception_fp_ieee_overflow 0
		.amdhsa_exception_fp_ieee_underflow 0
		.amdhsa_exception_fp_ieee_inexact 0
		.amdhsa_exception_int_div_zero 0
	.end_amdhsa_kernel
	.section	.text._ZN7rocprim17ROCPRIM_400000_NS6detail17trampoline_kernelINS0_14default_configENS1_27scan_by_key_config_selectorIj11FixedVectorIiLj4EEEEZZNS1_16scan_by_key_implILNS1_25lookback_scan_determinismE0ELb0ES3_N6thrust23THRUST_200600_302600_NS6detail15normal_iteratorINSB_10device_ptrIjEEEENSD_INSE_IS6_EEEESI_S6_NSB_4plusIvEENSB_8equal_toIvEES6_EE10hipError_tPvRmT2_T3_T4_T5_mT6_T7_P12ihipStream_tbENKUlT_T0_E_clISt17integral_constantIbLb0EES12_IbLb1EEEEDaSY_SZ_EUlSY_E_NS1_11comp_targetILNS1_3genE2ELNS1_11target_archE906ELNS1_3gpuE6ELNS1_3repE0EEENS1_30default_config_static_selectorELNS0_4arch9wavefront6targetE1EEEvT1_,"axG",@progbits,_ZN7rocprim17ROCPRIM_400000_NS6detail17trampoline_kernelINS0_14default_configENS1_27scan_by_key_config_selectorIj11FixedVectorIiLj4EEEEZZNS1_16scan_by_key_implILNS1_25lookback_scan_determinismE0ELb0ES3_N6thrust23THRUST_200600_302600_NS6detail15normal_iteratorINSB_10device_ptrIjEEEENSD_INSE_IS6_EEEESI_S6_NSB_4plusIvEENSB_8equal_toIvEES6_EE10hipError_tPvRmT2_T3_T4_T5_mT6_T7_P12ihipStream_tbENKUlT_T0_E_clISt17integral_constantIbLb0EES12_IbLb1EEEEDaSY_SZ_EUlSY_E_NS1_11comp_targetILNS1_3genE2ELNS1_11target_archE906ELNS1_3gpuE6ELNS1_3repE0EEENS1_30default_config_static_selectorELNS0_4arch9wavefront6targetE1EEEvT1_,comdat
.Lfunc_end2071:
	.size	_ZN7rocprim17ROCPRIM_400000_NS6detail17trampoline_kernelINS0_14default_configENS1_27scan_by_key_config_selectorIj11FixedVectorIiLj4EEEEZZNS1_16scan_by_key_implILNS1_25lookback_scan_determinismE0ELb0ES3_N6thrust23THRUST_200600_302600_NS6detail15normal_iteratorINSB_10device_ptrIjEEEENSD_INSE_IS6_EEEESI_S6_NSB_4plusIvEENSB_8equal_toIvEES6_EE10hipError_tPvRmT2_T3_T4_T5_mT6_T7_P12ihipStream_tbENKUlT_T0_E_clISt17integral_constantIbLb0EES12_IbLb1EEEEDaSY_SZ_EUlSY_E_NS1_11comp_targetILNS1_3genE2ELNS1_11target_archE906ELNS1_3gpuE6ELNS1_3repE0EEENS1_30default_config_static_selectorELNS0_4arch9wavefront6targetE1EEEvT1_, .Lfunc_end2071-_ZN7rocprim17ROCPRIM_400000_NS6detail17trampoline_kernelINS0_14default_configENS1_27scan_by_key_config_selectorIj11FixedVectorIiLj4EEEEZZNS1_16scan_by_key_implILNS1_25lookback_scan_determinismE0ELb0ES3_N6thrust23THRUST_200600_302600_NS6detail15normal_iteratorINSB_10device_ptrIjEEEENSD_INSE_IS6_EEEESI_S6_NSB_4plusIvEENSB_8equal_toIvEES6_EE10hipError_tPvRmT2_T3_T4_T5_mT6_T7_P12ihipStream_tbENKUlT_T0_E_clISt17integral_constantIbLb0EES12_IbLb1EEEEDaSY_SZ_EUlSY_E_NS1_11comp_targetILNS1_3genE2ELNS1_11target_archE906ELNS1_3gpuE6ELNS1_3repE0EEENS1_30default_config_static_selectorELNS0_4arch9wavefront6targetE1EEEvT1_
                                        ; -- End function
	.section	.AMDGPU.csdata,"",@progbits
; Kernel info:
; codeLenInByte = 0
; NumSgprs: 6
; NumVgprs: 0
; NumAgprs: 0
; TotalNumVgprs: 0
; ScratchSize: 0
; MemoryBound: 0
; FloatMode: 240
; IeeeMode: 1
; LDSByteSize: 0 bytes/workgroup (compile time only)
; SGPRBlocks: 0
; VGPRBlocks: 0
; NumSGPRsForWavesPerEU: 6
; NumVGPRsForWavesPerEU: 1
; AccumOffset: 4
; Occupancy: 8
; WaveLimiterHint : 0
; COMPUTE_PGM_RSRC2:SCRATCH_EN: 0
; COMPUTE_PGM_RSRC2:USER_SGPR: 2
; COMPUTE_PGM_RSRC2:TRAP_HANDLER: 0
; COMPUTE_PGM_RSRC2:TGID_X_EN: 1
; COMPUTE_PGM_RSRC2:TGID_Y_EN: 0
; COMPUTE_PGM_RSRC2:TGID_Z_EN: 0
; COMPUTE_PGM_RSRC2:TIDIG_COMP_CNT: 0
; COMPUTE_PGM_RSRC3_GFX90A:ACCUM_OFFSET: 0
; COMPUTE_PGM_RSRC3_GFX90A:TG_SPLIT: 0
	.section	.text._ZN7rocprim17ROCPRIM_400000_NS6detail17trampoline_kernelINS0_14default_configENS1_27scan_by_key_config_selectorIj11FixedVectorIiLj4EEEEZZNS1_16scan_by_key_implILNS1_25lookback_scan_determinismE0ELb0ES3_N6thrust23THRUST_200600_302600_NS6detail15normal_iteratorINSB_10device_ptrIjEEEENSD_INSE_IS6_EEEESI_S6_NSB_4plusIvEENSB_8equal_toIvEES6_EE10hipError_tPvRmT2_T3_T4_T5_mT6_T7_P12ihipStream_tbENKUlT_T0_E_clISt17integral_constantIbLb0EES12_IbLb1EEEEDaSY_SZ_EUlSY_E_NS1_11comp_targetILNS1_3genE10ELNS1_11target_archE1200ELNS1_3gpuE4ELNS1_3repE0EEENS1_30default_config_static_selectorELNS0_4arch9wavefront6targetE1EEEvT1_,"axG",@progbits,_ZN7rocprim17ROCPRIM_400000_NS6detail17trampoline_kernelINS0_14default_configENS1_27scan_by_key_config_selectorIj11FixedVectorIiLj4EEEEZZNS1_16scan_by_key_implILNS1_25lookback_scan_determinismE0ELb0ES3_N6thrust23THRUST_200600_302600_NS6detail15normal_iteratorINSB_10device_ptrIjEEEENSD_INSE_IS6_EEEESI_S6_NSB_4plusIvEENSB_8equal_toIvEES6_EE10hipError_tPvRmT2_T3_T4_T5_mT6_T7_P12ihipStream_tbENKUlT_T0_E_clISt17integral_constantIbLb0EES12_IbLb1EEEEDaSY_SZ_EUlSY_E_NS1_11comp_targetILNS1_3genE10ELNS1_11target_archE1200ELNS1_3gpuE4ELNS1_3repE0EEENS1_30default_config_static_selectorELNS0_4arch9wavefront6targetE1EEEvT1_,comdat
	.protected	_ZN7rocprim17ROCPRIM_400000_NS6detail17trampoline_kernelINS0_14default_configENS1_27scan_by_key_config_selectorIj11FixedVectorIiLj4EEEEZZNS1_16scan_by_key_implILNS1_25lookback_scan_determinismE0ELb0ES3_N6thrust23THRUST_200600_302600_NS6detail15normal_iteratorINSB_10device_ptrIjEEEENSD_INSE_IS6_EEEESI_S6_NSB_4plusIvEENSB_8equal_toIvEES6_EE10hipError_tPvRmT2_T3_T4_T5_mT6_T7_P12ihipStream_tbENKUlT_T0_E_clISt17integral_constantIbLb0EES12_IbLb1EEEEDaSY_SZ_EUlSY_E_NS1_11comp_targetILNS1_3genE10ELNS1_11target_archE1200ELNS1_3gpuE4ELNS1_3repE0EEENS1_30default_config_static_selectorELNS0_4arch9wavefront6targetE1EEEvT1_ ; -- Begin function _ZN7rocprim17ROCPRIM_400000_NS6detail17trampoline_kernelINS0_14default_configENS1_27scan_by_key_config_selectorIj11FixedVectorIiLj4EEEEZZNS1_16scan_by_key_implILNS1_25lookback_scan_determinismE0ELb0ES3_N6thrust23THRUST_200600_302600_NS6detail15normal_iteratorINSB_10device_ptrIjEEEENSD_INSE_IS6_EEEESI_S6_NSB_4plusIvEENSB_8equal_toIvEES6_EE10hipError_tPvRmT2_T3_T4_T5_mT6_T7_P12ihipStream_tbENKUlT_T0_E_clISt17integral_constantIbLb0EES12_IbLb1EEEEDaSY_SZ_EUlSY_E_NS1_11comp_targetILNS1_3genE10ELNS1_11target_archE1200ELNS1_3gpuE4ELNS1_3repE0EEENS1_30default_config_static_selectorELNS0_4arch9wavefront6targetE1EEEvT1_
	.globl	_ZN7rocprim17ROCPRIM_400000_NS6detail17trampoline_kernelINS0_14default_configENS1_27scan_by_key_config_selectorIj11FixedVectorIiLj4EEEEZZNS1_16scan_by_key_implILNS1_25lookback_scan_determinismE0ELb0ES3_N6thrust23THRUST_200600_302600_NS6detail15normal_iteratorINSB_10device_ptrIjEEEENSD_INSE_IS6_EEEESI_S6_NSB_4plusIvEENSB_8equal_toIvEES6_EE10hipError_tPvRmT2_T3_T4_T5_mT6_T7_P12ihipStream_tbENKUlT_T0_E_clISt17integral_constantIbLb0EES12_IbLb1EEEEDaSY_SZ_EUlSY_E_NS1_11comp_targetILNS1_3genE10ELNS1_11target_archE1200ELNS1_3gpuE4ELNS1_3repE0EEENS1_30default_config_static_selectorELNS0_4arch9wavefront6targetE1EEEvT1_
	.p2align	8
	.type	_ZN7rocprim17ROCPRIM_400000_NS6detail17trampoline_kernelINS0_14default_configENS1_27scan_by_key_config_selectorIj11FixedVectorIiLj4EEEEZZNS1_16scan_by_key_implILNS1_25lookback_scan_determinismE0ELb0ES3_N6thrust23THRUST_200600_302600_NS6detail15normal_iteratorINSB_10device_ptrIjEEEENSD_INSE_IS6_EEEESI_S6_NSB_4plusIvEENSB_8equal_toIvEES6_EE10hipError_tPvRmT2_T3_T4_T5_mT6_T7_P12ihipStream_tbENKUlT_T0_E_clISt17integral_constantIbLb0EES12_IbLb1EEEEDaSY_SZ_EUlSY_E_NS1_11comp_targetILNS1_3genE10ELNS1_11target_archE1200ELNS1_3gpuE4ELNS1_3repE0EEENS1_30default_config_static_selectorELNS0_4arch9wavefront6targetE1EEEvT1_,@function
_ZN7rocprim17ROCPRIM_400000_NS6detail17trampoline_kernelINS0_14default_configENS1_27scan_by_key_config_selectorIj11FixedVectorIiLj4EEEEZZNS1_16scan_by_key_implILNS1_25lookback_scan_determinismE0ELb0ES3_N6thrust23THRUST_200600_302600_NS6detail15normal_iteratorINSB_10device_ptrIjEEEENSD_INSE_IS6_EEEESI_S6_NSB_4plusIvEENSB_8equal_toIvEES6_EE10hipError_tPvRmT2_T3_T4_T5_mT6_T7_P12ihipStream_tbENKUlT_T0_E_clISt17integral_constantIbLb0EES12_IbLb1EEEEDaSY_SZ_EUlSY_E_NS1_11comp_targetILNS1_3genE10ELNS1_11target_archE1200ELNS1_3gpuE4ELNS1_3repE0EEENS1_30default_config_static_selectorELNS0_4arch9wavefront6targetE1EEEvT1_: ; @_ZN7rocprim17ROCPRIM_400000_NS6detail17trampoline_kernelINS0_14default_configENS1_27scan_by_key_config_selectorIj11FixedVectorIiLj4EEEEZZNS1_16scan_by_key_implILNS1_25lookback_scan_determinismE0ELb0ES3_N6thrust23THRUST_200600_302600_NS6detail15normal_iteratorINSB_10device_ptrIjEEEENSD_INSE_IS6_EEEESI_S6_NSB_4plusIvEENSB_8equal_toIvEES6_EE10hipError_tPvRmT2_T3_T4_T5_mT6_T7_P12ihipStream_tbENKUlT_T0_E_clISt17integral_constantIbLb0EES12_IbLb1EEEEDaSY_SZ_EUlSY_E_NS1_11comp_targetILNS1_3genE10ELNS1_11target_archE1200ELNS1_3gpuE4ELNS1_3repE0EEENS1_30default_config_static_selectorELNS0_4arch9wavefront6targetE1EEEvT1_
; %bb.0:
	.section	.rodata,"a",@progbits
	.p2align	6, 0x0
	.amdhsa_kernel _ZN7rocprim17ROCPRIM_400000_NS6detail17trampoline_kernelINS0_14default_configENS1_27scan_by_key_config_selectorIj11FixedVectorIiLj4EEEEZZNS1_16scan_by_key_implILNS1_25lookback_scan_determinismE0ELb0ES3_N6thrust23THRUST_200600_302600_NS6detail15normal_iteratorINSB_10device_ptrIjEEEENSD_INSE_IS6_EEEESI_S6_NSB_4plusIvEENSB_8equal_toIvEES6_EE10hipError_tPvRmT2_T3_T4_T5_mT6_T7_P12ihipStream_tbENKUlT_T0_E_clISt17integral_constantIbLb0EES12_IbLb1EEEEDaSY_SZ_EUlSY_E_NS1_11comp_targetILNS1_3genE10ELNS1_11target_archE1200ELNS1_3gpuE4ELNS1_3repE0EEENS1_30default_config_static_selectorELNS0_4arch9wavefront6targetE1EEEvT1_
		.amdhsa_group_segment_fixed_size 0
		.amdhsa_private_segment_fixed_size 0
		.amdhsa_kernarg_size 144
		.amdhsa_user_sgpr_count 2
		.amdhsa_user_sgpr_dispatch_ptr 0
		.amdhsa_user_sgpr_queue_ptr 0
		.amdhsa_user_sgpr_kernarg_segment_ptr 1
		.amdhsa_user_sgpr_dispatch_id 0
		.amdhsa_user_sgpr_kernarg_preload_length 0
		.amdhsa_user_sgpr_kernarg_preload_offset 0
		.amdhsa_user_sgpr_private_segment_size 0
		.amdhsa_uses_dynamic_stack 0
		.amdhsa_enable_private_segment 0
		.amdhsa_system_sgpr_workgroup_id_x 1
		.amdhsa_system_sgpr_workgroup_id_y 0
		.amdhsa_system_sgpr_workgroup_id_z 0
		.amdhsa_system_sgpr_workgroup_info 0
		.amdhsa_system_vgpr_workitem_id 0
		.amdhsa_next_free_vgpr 1
		.amdhsa_next_free_sgpr 0
		.amdhsa_accum_offset 4
		.amdhsa_reserve_vcc 0
		.amdhsa_float_round_mode_32 0
		.amdhsa_float_round_mode_16_64 0
		.amdhsa_float_denorm_mode_32 3
		.amdhsa_float_denorm_mode_16_64 3
		.amdhsa_dx10_clamp 1
		.amdhsa_ieee_mode 1
		.amdhsa_fp16_overflow 0
		.amdhsa_tg_split 0
		.amdhsa_exception_fp_ieee_invalid_op 0
		.amdhsa_exception_fp_denorm_src 0
		.amdhsa_exception_fp_ieee_div_zero 0
		.amdhsa_exception_fp_ieee_overflow 0
		.amdhsa_exception_fp_ieee_underflow 0
		.amdhsa_exception_fp_ieee_inexact 0
		.amdhsa_exception_int_div_zero 0
	.end_amdhsa_kernel
	.section	.text._ZN7rocprim17ROCPRIM_400000_NS6detail17trampoline_kernelINS0_14default_configENS1_27scan_by_key_config_selectorIj11FixedVectorIiLj4EEEEZZNS1_16scan_by_key_implILNS1_25lookback_scan_determinismE0ELb0ES3_N6thrust23THRUST_200600_302600_NS6detail15normal_iteratorINSB_10device_ptrIjEEEENSD_INSE_IS6_EEEESI_S6_NSB_4plusIvEENSB_8equal_toIvEES6_EE10hipError_tPvRmT2_T3_T4_T5_mT6_T7_P12ihipStream_tbENKUlT_T0_E_clISt17integral_constantIbLb0EES12_IbLb1EEEEDaSY_SZ_EUlSY_E_NS1_11comp_targetILNS1_3genE10ELNS1_11target_archE1200ELNS1_3gpuE4ELNS1_3repE0EEENS1_30default_config_static_selectorELNS0_4arch9wavefront6targetE1EEEvT1_,"axG",@progbits,_ZN7rocprim17ROCPRIM_400000_NS6detail17trampoline_kernelINS0_14default_configENS1_27scan_by_key_config_selectorIj11FixedVectorIiLj4EEEEZZNS1_16scan_by_key_implILNS1_25lookback_scan_determinismE0ELb0ES3_N6thrust23THRUST_200600_302600_NS6detail15normal_iteratorINSB_10device_ptrIjEEEENSD_INSE_IS6_EEEESI_S6_NSB_4plusIvEENSB_8equal_toIvEES6_EE10hipError_tPvRmT2_T3_T4_T5_mT6_T7_P12ihipStream_tbENKUlT_T0_E_clISt17integral_constantIbLb0EES12_IbLb1EEEEDaSY_SZ_EUlSY_E_NS1_11comp_targetILNS1_3genE10ELNS1_11target_archE1200ELNS1_3gpuE4ELNS1_3repE0EEENS1_30default_config_static_selectorELNS0_4arch9wavefront6targetE1EEEvT1_,comdat
.Lfunc_end2072:
	.size	_ZN7rocprim17ROCPRIM_400000_NS6detail17trampoline_kernelINS0_14default_configENS1_27scan_by_key_config_selectorIj11FixedVectorIiLj4EEEEZZNS1_16scan_by_key_implILNS1_25lookback_scan_determinismE0ELb0ES3_N6thrust23THRUST_200600_302600_NS6detail15normal_iteratorINSB_10device_ptrIjEEEENSD_INSE_IS6_EEEESI_S6_NSB_4plusIvEENSB_8equal_toIvEES6_EE10hipError_tPvRmT2_T3_T4_T5_mT6_T7_P12ihipStream_tbENKUlT_T0_E_clISt17integral_constantIbLb0EES12_IbLb1EEEEDaSY_SZ_EUlSY_E_NS1_11comp_targetILNS1_3genE10ELNS1_11target_archE1200ELNS1_3gpuE4ELNS1_3repE0EEENS1_30default_config_static_selectorELNS0_4arch9wavefront6targetE1EEEvT1_, .Lfunc_end2072-_ZN7rocprim17ROCPRIM_400000_NS6detail17trampoline_kernelINS0_14default_configENS1_27scan_by_key_config_selectorIj11FixedVectorIiLj4EEEEZZNS1_16scan_by_key_implILNS1_25lookback_scan_determinismE0ELb0ES3_N6thrust23THRUST_200600_302600_NS6detail15normal_iteratorINSB_10device_ptrIjEEEENSD_INSE_IS6_EEEESI_S6_NSB_4plusIvEENSB_8equal_toIvEES6_EE10hipError_tPvRmT2_T3_T4_T5_mT6_T7_P12ihipStream_tbENKUlT_T0_E_clISt17integral_constantIbLb0EES12_IbLb1EEEEDaSY_SZ_EUlSY_E_NS1_11comp_targetILNS1_3genE10ELNS1_11target_archE1200ELNS1_3gpuE4ELNS1_3repE0EEENS1_30default_config_static_selectorELNS0_4arch9wavefront6targetE1EEEvT1_
                                        ; -- End function
	.section	.AMDGPU.csdata,"",@progbits
; Kernel info:
; codeLenInByte = 0
; NumSgprs: 6
; NumVgprs: 0
; NumAgprs: 0
; TotalNumVgprs: 0
; ScratchSize: 0
; MemoryBound: 0
; FloatMode: 240
; IeeeMode: 1
; LDSByteSize: 0 bytes/workgroup (compile time only)
; SGPRBlocks: 0
; VGPRBlocks: 0
; NumSGPRsForWavesPerEU: 6
; NumVGPRsForWavesPerEU: 1
; AccumOffset: 4
; Occupancy: 8
; WaveLimiterHint : 0
; COMPUTE_PGM_RSRC2:SCRATCH_EN: 0
; COMPUTE_PGM_RSRC2:USER_SGPR: 2
; COMPUTE_PGM_RSRC2:TRAP_HANDLER: 0
; COMPUTE_PGM_RSRC2:TGID_X_EN: 1
; COMPUTE_PGM_RSRC2:TGID_Y_EN: 0
; COMPUTE_PGM_RSRC2:TGID_Z_EN: 0
; COMPUTE_PGM_RSRC2:TIDIG_COMP_CNT: 0
; COMPUTE_PGM_RSRC3_GFX90A:ACCUM_OFFSET: 0
; COMPUTE_PGM_RSRC3_GFX90A:TG_SPLIT: 0
	.section	.text._ZN7rocprim17ROCPRIM_400000_NS6detail17trampoline_kernelINS0_14default_configENS1_27scan_by_key_config_selectorIj11FixedVectorIiLj4EEEEZZNS1_16scan_by_key_implILNS1_25lookback_scan_determinismE0ELb0ES3_N6thrust23THRUST_200600_302600_NS6detail15normal_iteratorINSB_10device_ptrIjEEEENSD_INSE_IS6_EEEESI_S6_NSB_4plusIvEENSB_8equal_toIvEES6_EE10hipError_tPvRmT2_T3_T4_T5_mT6_T7_P12ihipStream_tbENKUlT_T0_E_clISt17integral_constantIbLb0EES12_IbLb1EEEEDaSY_SZ_EUlSY_E_NS1_11comp_targetILNS1_3genE9ELNS1_11target_archE1100ELNS1_3gpuE3ELNS1_3repE0EEENS1_30default_config_static_selectorELNS0_4arch9wavefront6targetE1EEEvT1_,"axG",@progbits,_ZN7rocprim17ROCPRIM_400000_NS6detail17trampoline_kernelINS0_14default_configENS1_27scan_by_key_config_selectorIj11FixedVectorIiLj4EEEEZZNS1_16scan_by_key_implILNS1_25lookback_scan_determinismE0ELb0ES3_N6thrust23THRUST_200600_302600_NS6detail15normal_iteratorINSB_10device_ptrIjEEEENSD_INSE_IS6_EEEESI_S6_NSB_4plusIvEENSB_8equal_toIvEES6_EE10hipError_tPvRmT2_T3_T4_T5_mT6_T7_P12ihipStream_tbENKUlT_T0_E_clISt17integral_constantIbLb0EES12_IbLb1EEEEDaSY_SZ_EUlSY_E_NS1_11comp_targetILNS1_3genE9ELNS1_11target_archE1100ELNS1_3gpuE3ELNS1_3repE0EEENS1_30default_config_static_selectorELNS0_4arch9wavefront6targetE1EEEvT1_,comdat
	.protected	_ZN7rocprim17ROCPRIM_400000_NS6detail17trampoline_kernelINS0_14default_configENS1_27scan_by_key_config_selectorIj11FixedVectorIiLj4EEEEZZNS1_16scan_by_key_implILNS1_25lookback_scan_determinismE0ELb0ES3_N6thrust23THRUST_200600_302600_NS6detail15normal_iteratorINSB_10device_ptrIjEEEENSD_INSE_IS6_EEEESI_S6_NSB_4plusIvEENSB_8equal_toIvEES6_EE10hipError_tPvRmT2_T3_T4_T5_mT6_T7_P12ihipStream_tbENKUlT_T0_E_clISt17integral_constantIbLb0EES12_IbLb1EEEEDaSY_SZ_EUlSY_E_NS1_11comp_targetILNS1_3genE9ELNS1_11target_archE1100ELNS1_3gpuE3ELNS1_3repE0EEENS1_30default_config_static_selectorELNS0_4arch9wavefront6targetE1EEEvT1_ ; -- Begin function _ZN7rocprim17ROCPRIM_400000_NS6detail17trampoline_kernelINS0_14default_configENS1_27scan_by_key_config_selectorIj11FixedVectorIiLj4EEEEZZNS1_16scan_by_key_implILNS1_25lookback_scan_determinismE0ELb0ES3_N6thrust23THRUST_200600_302600_NS6detail15normal_iteratorINSB_10device_ptrIjEEEENSD_INSE_IS6_EEEESI_S6_NSB_4plusIvEENSB_8equal_toIvEES6_EE10hipError_tPvRmT2_T3_T4_T5_mT6_T7_P12ihipStream_tbENKUlT_T0_E_clISt17integral_constantIbLb0EES12_IbLb1EEEEDaSY_SZ_EUlSY_E_NS1_11comp_targetILNS1_3genE9ELNS1_11target_archE1100ELNS1_3gpuE3ELNS1_3repE0EEENS1_30default_config_static_selectorELNS0_4arch9wavefront6targetE1EEEvT1_
	.globl	_ZN7rocprim17ROCPRIM_400000_NS6detail17trampoline_kernelINS0_14default_configENS1_27scan_by_key_config_selectorIj11FixedVectorIiLj4EEEEZZNS1_16scan_by_key_implILNS1_25lookback_scan_determinismE0ELb0ES3_N6thrust23THRUST_200600_302600_NS6detail15normal_iteratorINSB_10device_ptrIjEEEENSD_INSE_IS6_EEEESI_S6_NSB_4plusIvEENSB_8equal_toIvEES6_EE10hipError_tPvRmT2_T3_T4_T5_mT6_T7_P12ihipStream_tbENKUlT_T0_E_clISt17integral_constantIbLb0EES12_IbLb1EEEEDaSY_SZ_EUlSY_E_NS1_11comp_targetILNS1_3genE9ELNS1_11target_archE1100ELNS1_3gpuE3ELNS1_3repE0EEENS1_30default_config_static_selectorELNS0_4arch9wavefront6targetE1EEEvT1_
	.p2align	8
	.type	_ZN7rocprim17ROCPRIM_400000_NS6detail17trampoline_kernelINS0_14default_configENS1_27scan_by_key_config_selectorIj11FixedVectorIiLj4EEEEZZNS1_16scan_by_key_implILNS1_25lookback_scan_determinismE0ELb0ES3_N6thrust23THRUST_200600_302600_NS6detail15normal_iteratorINSB_10device_ptrIjEEEENSD_INSE_IS6_EEEESI_S6_NSB_4plusIvEENSB_8equal_toIvEES6_EE10hipError_tPvRmT2_T3_T4_T5_mT6_T7_P12ihipStream_tbENKUlT_T0_E_clISt17integral_constantIbLb0EES12_IbLb1EEEEDaSY_SZ_EUlSY_E_NS1_11comp_targetILNS1_3genE9ELNS1_11target_archE1100ELNS1_3gpuE3ELNS1_3repE0EEENS1_30default_config_static_selectorELNS0_4arch9wavefront6targetE1EEEvT1_,@function
_ZN7rocprim17ROCPRIM_400000_NS6detail17trampoline_kernelINS0_14default_configENS1_27scan_by_key_config_selectorIj11FixedVectorIiLj4EEEEZZNS1_16scan_by_key_implILNS1_25lookback_scan_determinismE0ELb0ES3_N6thrust23THRUST_200600_302600_NS6detail15normal_iteratorINSB_10device_ptrIjEEEENSD_INSE_IS6_EEEESI_S6_NSB_4plusIvEENSB_8equal_toIvEES6_EE10hipError_tPvRmT2_T3_T4_T5_mT6_T7_P12ihipStream_tbENKUlT_T0_E_clISt17integral_constantIbLb0EES12_IbLb1EEEEDaSY_SZ_EUlSY_E_NS1_11comp_targetILNS1_3genE9ELNS1_11target_archE1100ELNS1_3gpuE3ELNS1_3repE0EEENS1_30default_config_static_selectorELNS0_4arch9wavefront6targetE1EEEvT1_: ; @_ZN7rocprim17ROCPRIM_400000_NS6detail17trampoline_kernelINS0_14default_configENS1_27scan_by_key_config_selectorIj11FixedVectorIiLj4EEEEZZNS1_16scan_by_key_implILNS1_25lookback_scan_determinismE0ELb0ES3_N6thrust23THRUST_200600_302600_NS6detail15normal_iteratorINSB_10device_ptrIjEEEENSD_INSE_IS6_EEEESI_S6_NSB_4plusIvEENSB_8equal_toIvEES6_EE10hipError_tPvRmT2_T3_T4_T5_mT6_T7_P12ihipStream_tbENKUlT_T0_E_clISt17integral_constantIbLb0EES12_IbLb1EEEEDaSY_SZ_EUlSY_E_NS1_11comp_targetILNS1_3genE9ELNS1_11target_archE1100ELNS1_3gpuE3ELNS1_3repE0EEENS1_30default_config_static_selectorELNS0_4arch9wavefront6targetE1EEEvT1_
; %bb.0:
	.section	.rodata,"a",@progbits
	.p2align	6, 0x0
	.amdhsa_kernel _ZN7rocprim17ROCPRIM_400000_NS6detail17trampoline_kernelINS0_14default_configENS1_27scan_by_key_config_selectorIj11FixedVectorIiLj4EEEEZZNS1_16scan_by_key_implILNS1_25lookback_scan_determinismE0ELb0ES3_N6thrust23THRUST_200600_302600_NS6detail15normal_iteratorINSB_10device_ptrIjEEEENSD_INSE_IS6_EEEESI_S6_NSB_4plusIvEENSB_8equal_toIvEES6_EE10hipError_tPvRmT2_T3_T4_T5_mT6_T7_P12ihipStream_tbENKUlT_T0_E_clISt17integral_constantIbLb0EES12_IbLb1EEEEDaSY_SZ_EUlSY_E_NS1_11comp_targetILNS1_3genE9ELNS1_11target_archE1100ELNS1_3gpuE3ELNS1_3repE0EEENS1_30default_config_static_selectorELNS0_4arch9wavefront6targetE1EEEvT1_
		.amdhsa_group_segment_fixed_size 0
		.amdhsa_private_segment_fixed_size 0
		.amdhsa_kernarg_size 144
		.amdhsa_user_sgpr_count 2
		.amdhsa_user_sgpr_dispatch_ptr 0
		.amdhsa_user_sgpr_queue_ptr 0
		.amdhsa_user_sgpr_kernarg_segment_ptr 1
		.amdhsa_user_sgpr_dispatch_id 0
		.amdhsa_user_sgpr_kernarg_preload_length 0
		.amdhsa_user_sgpr_kernarg_preload_offset 0
		.amdhsa_user_sgpr_private_segment_size 0
		.amdhsa_uses_dynamic_stack 0
		.amdhsa_enable_private_segment 0
		.amdhsa_system_sgpr_workgroup_id_x 1
		.amdhsa_system_sgpr_workgroup_id_y 0
		.amdhsa_system_sgpr_workgroup_id_z 0
		.amdhsa_system_sgpr_workgroup_info 0
		.amdhsa_system_vgpr_workitem_id 0
		.amdhsa_next_free_vgpr 1
		.amdhsa_next_free_sgpr 0
		.amdhsa_accum_offset 4
		.amdhsa_reserve_vcc 0
		.amdhsa_float_round_mode_32 0
		.amdhsa_float_round_mode_16_64 0
		.amdhsa_float_denorm_mode_32 3
		.amdhsa_float_denorm_mode_16_64 3
		.amdhsa_dx10_clamp 1
		.amdhsa_ieee_mode 1
		.amdhsa_fp16_overflow 0
		.amdhsa_tg_split 0
		.amdhsa_exception_fp_ieee_invalid_op 0
		.amdhsa_exception_fp_denorm_src 0
		.amdhsa_exception_fp_ieee_div_zero 0
		.amdhsa_exception_fp_ieee_overflow 0
		.amdhsa_exception_fp_ieee_underflow 0
		.amdhsa_exception_fp_ieee_inexact 0
		.amdhsa_exception_int_div_zero 0
	.end_amdhsa_kernel
	.section	.text._ZN7rocprim17ROCPRIM_400000_NS6detail17trampoline_kernelINS0_14default_configENS1_27scan_by_key_config_selectorIj11FixedVectorIiLj4EEEEZZNS1_16scan_by_key_implILNS1_25lookback_scan_determinismE0ELb0ES3_N6thrust23THRUST_200600_302600_NS6detail15normal_iteratorINSB_10device_ptrIjEEEENSD_INSE_IS6_EEEESI_S6_NSB_4plusIvEENSB_8equal_toIvEES6_EE10hipError_tPvRmT2_T3_T4_T5_mT6_T7_P12ihipStream_tbENKUlT_T0_E_clISt17integral_constantIbLb0EES12_IbLb1EEEEDaSY_SZ_EUlSY_E_NS1_11comp_targetILNS1_3genE9ELNS1_11target_archE1100ELNS1_3gpuE3ELNS1_3repE0EEENS1_30default_config_static_selectorELNS0_4arch9wavefront6targetE1EEEvT1_,"axG",@progbits,_ZN7rocprim17ROCPRIM_400000_NS6detail17trampoline_kernelINS0_14default_configENS1_27scan_by_key_config_selectorIj11FixedVectorIiLj4EEEEZZNS1_16scan_by_key_implILNS1_25lookback_scan_determinismE0ELb0ES3_N6thrust23THRUST_200600_302600_NS6detail15normal_iteratorINSB_10device_ptrIjEEEENSD_INSE_IS6_EEEESI_S6_NSB_4plusIvEENSB_8equal_toIvEES6_EE10hipError_tPvRmT2_T3_T4_T5_mT6_T7_P12ihipStream_tbENKUlT_T0_E_clISt17integral_constantIbLb0EES12_IbLb1EEEEDaSY_SZ_EUlSY_E_NS1_11comp_targetILNS1_3genE9ELNS1_11target_archE1100ELNS1_3gpuE3ELNS1_3repE0EEENS1_30default_config_static_selectorELNS0_4arch9wavefront6targetE1EEEvT1_,comdat
.Lfunc_end2073:
	.size	_ZN7rocprim17ROCPRIM_400000_NS6detail17trampoline_kernelINS0_14default_configENS1_27scan_by_key_config_selectorIj11FixedVectorIiLj4EEEEZZNS1_16scan_by_key_implILNS1_25lookback_scan_determinismE0ELb0ES3_N6thrust23THRUST_200600_302600_NS6detail15normal_iteratorINSB_10device_ptrIjEEEENSD_INSE_IS6_EEEESI_S6_NSB_4plusIvEENSB_8equal_toIvEES6_EE10hipError_tPvRmT2_T3_T4_T5_mT6_T7_P12ihipStream_tbENKUlT_T0_E_clISt17integral_constantIbLb0EES12_IbLb1EEEEDaSY_SZ_EUlSY_E_NS1_11comp_targetILNS1_3genE9ELNS1_11target_archE1100ELNS1_3gpuE3ELNS1_3repE0EEENS1_30default_config_static_selectorELNS0_4arch9wavefront6targetE1EEEvT1_, .Lfunc_end2073-_ZN7rocprim17ROCPRIM_400000_NS6detail17trampoline_kernelINS0_14default_configENS1_27scan_by_key_config_selectorIj11FixedVectorIiLj4EEEEZZNS1_16scan_by_key_implILNS1_25lookback_scan_determinismE0ELb0ES3_N6thrust23THRUST_200600_302600_NS6detail15normal_iteratorINSB_10device_ptrIjEEEENSD_INSE_IS6_EEEESI_S6_NSB_4plusIvEENSB_8equal_toIvEES6_EE10hipError_tPvRmT2_T3_T4_T5_mT6_T7_P12ihipStream_tbENKUlT_T0_E_clISt17integral_constantIbLb0EES12_IbLb1EEEEDaSY_SZ_EUlSY_E_NS1_11comp_targetILNS1_3genE9ELNS1_11target_archE1100ELNS1_3gpuE3ELNS1_3repE0EEENS1_30default_config_static_selectorELNS0_4arch9wavefront6targetE1EEEvT1_
                                        ; -- End function
	.section	.AMDGPU.csdata,"",@progbits
; Kernel info:
; codeLenInByte = 0
; NumSgprs: 6
; NumVgprs: 0
; NumAgprs: 0
; TotalNumVgprs: 0
; ScratchSize: 0
; MemoryBound: 0
; FloatMode: 240
; IeeeMode: 1
; LDSByteSize: 0 bytes/workgroup (compile time only)
; SGPRBlocks: 0
; VGPRBlocks: 0
; NumSGPRsForWavesPerEU: 6
; NumVGPRsForWavesPerEU: 1
; AccumOffset: 4
; Occupancy: 8
; WaveLimiterHint : 0
; COMPUTE_PGM_RSRC2:SCRATCH_EN: 0
; COMPUTE_PGM_RSRC2:USER_SGPR: 2
; COMPUTE_PGM_RSRC2:TRAP_HANDLER: 0
; COMPUTE_PGM_RSRC2:TGID_X_EN: 1
; COMPUTE_PGM_RSRC2:TGID_Y_EN: 0
; COMPUTE_PGM_RSRC2:TGID_Z_EN: 0
; COMPUTE_PGM_RSRC2:TIDIG_COMP_CNT: 0
; COMPUTE_PGM_RSRC3_GFX90A:ACCUM_OFFSET: 0
; COMPUTE_PGM_RSRC3_GFX90A:TG_SPLIT: 0
	.section	.text._ZN7rocprim17ROCPRIM_400000_NS6detail17trampoline_kernelINS0_14default_configENS1_27scan_by_key_config_selectorIj11FixedVectorIiLj4EEEEZZNS1_16scan_by_key_implILNS1_25lookback_scan_determinismE0ELb0ES3_N6thrust23THRUST_200600_302600_NS6detail15normal_iteratorINSB_10device_ptrIjEEEENSD_INSE_IS6_EEEESI_S6_NSB_4plusIvEENSB_8equal_toIvEES6_EE10hipError_tPvRmT2_T3_T4_T5_mT6_T7_P12ihipStream_tbENKUlT_T0_E_clISt17integral_constantIbLb0EES12_IbLb1EEEEDaSY_SZ_EUlSY_E_NS1_11comp_targetILNS1_3genE8ELNS1_11target_archE1030ELNS1_3gpuE2ELNS1_3repE0EEENS1_30default_config_static_selectorELNS0_4arch9wavefront6targetE1EEEvT1_,"axG",@progbits,_ZN7rocprim17ROCPRIM_400000_NS6detail17trampoline_kernelINS0_14default_configENS1_27scan_by_key_config_selectorIj11FixedVectorIiLj4EEEEZZNS1_16scan_by_key_implILNS1_25lookback_scan_determinismE0ELb0ES3_N6thrust23THRUST_200600_302600_NS6detail15normal_iteratorINSB_10device_ptrIjEEEENSD_INSE_IS6_EEEESI_S6_NSB_4plusIvEENSB_8equal_toIvEES6_EE10hipError_tPvRmT2_T3_T4_T5_mT6_T7_P12ihipStream_tbENKUlT_T0_E_clISt17integral_constantIbLb0EES12_IbLb1EEEEDaSY_SZ_EUlSY_E_NS1_11comp_targetILNS1_3genE8ELNS1_11target_archE1030ELNS1_3gpuE2ELNS1_3repE0EEENS1_30default_config_static_selectorELNS0_4arch9wavefront6targetE1EEEvT1_,comdat
	.protected	_ZN7rocprim17ROCPRIM_400000_NS6detail17trampoline_kernelINS0_14default_configENS1_27scan_by_key_config_selectorIj11FixedVectorIiLj4EEEEZZNS1_16scan_by_key_implILNS1_25lookback_scan_determinismE0ELb0ES3_N6thrust23THRUST_200600_302600_NS6detail15normal_iteratorINSB_10device_ptrIjEEEENSD_INSE_IS6_EEEESI_S6_NSB_4plusIvEENSB_8equal_toIvEES6_EE10hipError_tPvRmT2_T3_T4_T5_mT6_T7_P12ihipStream_tbENKUlT_T0_E_clISt17integral_constantIbLb0EES12_IbLb1EEEEDaSY_SZ_EUlSY_E_NS1_11comp_targetILNS1_3genE8ELNS1_11target_archE1030ELNS1_3gpuE2ELNS1_3repE0EEENS1_30default_config_static_selectorELNS0_4arch9wavefront6targetE1EEEvT1_ ; -- Begin function _ZN7rocprim17ROCPRIM_400000_NS6detail17trampoline_kernelINS0_14default_configENS1_27scan_by_key_config_selectorIj11FixedVectorIiLj4EEEEZZNS1_16scan_by_key_implILNS1_25lookback_scan_determinismE0ELb0ES3_N6thrust23THRUST_200600_302600_NS6detail15normal_iteratorINSB_10device_ptrIjEEEENSD_INSE_IS6_EEEESI_S6_NSB_4plusIvEENSB_8equal_toIvEES6_EE10hipError_tPvRmT2_T3_T4_T5_mT6_T7_P12ihipStream_tbENKUlT_T0_E_clISt17integral_constantIbLb0EES12_IbLb1EEEEDaSY_SZ_EUlSY_E_NS1_11comp_targetILNS1_3genE8ELNS1_11target_archE1030ELNS1_3gpuE2ELNS1_3repE0EEENS1_30default_config_static_selectorELNS0_4arch9wavefront6targetE1EEEvT1_
	.globl	_ZN7rocprim17ROCPRIM_400000_NS6detail17trampoline_kernelINS0_14default_configENS1_27scan_by_key_config_selectorIj11FixedVectorIiLj4EEEEZZNS1_16scan_by_key_implILNS1_25lookback_scan_determinismE0ELb0ES3_N6thrust23THRUST_200600_302600_NS6detail15normal_iteratorINSB_10device_ptrIjEEEENSD_INSE_IS6_EEEESI_S6_NSB_4plusIvEENSB_8equal_toIvEES6_EE10hipError_tPvRmT2_T3_T4_T5_mT6_T7_P12ihipStream_tbENKUlT_T0_E_clISt17integral_constantIbLb0EES12_IbLb1EEEEDaSY_SZ_EUlSY_E_NS1_11comp_targetILNS1_3genE8ELNS1_11target_archE1030ELNS1_3gpuE2ELNS1_3repE0EEENS1_30default_config_static_selectorELNS0_4arch9wavefront6targetE1EEEvT1_
	.p2align	8
	.type	_ZN7rocprim17ROCPRIM_400000_NS6detail17trampoline_kernelINS0_14default_configENS1_27scan_by_key_config_selectorIj11FixedVectorIiLj4EEEEZZNS1_16scan_by_key_implILNS1_25lookback_scan_determinismE0ELb0ES3_N6thrust23THRUST_200600_302600_NS6detail15normal_iteratorINSB_10device_ptrIjEEEENSD_INSE_IS6_EEEESI_S6_NSB_4plusIvEENSB_8equal_toIvEES6_EE10hipError_tPvRmT2_T3_T4_T5_mT6_T7_P12ihipStream_tbENKUlT_T0_E_clISt17integral_constantIbLb0EES12_IbLb1EEEEDaSY_SZ_EUlSY_E_NS1_11comp_targetILNS1_3genE8ELNS1_11target_archE1030ELNS1_3gpuE2ELNS1_3repE0EEENS1_30default_config_static_selectorELNS0_4arch9wavefront6targetE1EEEvT1_,@function
_ZN7rocprim17ROCPRIM_400000_NS6detail17trampoline_kernelINS0_14default_configENS1_27scan_by_key_config_selectorIj11FixedVectorIiLj4EEEEZZNS1_16scan_by_key_implILNS1_25lookback_scan_determinismE0ELb0ES3_N6thrust23THRUST_200600_302600_NS6detail15normal_iteratorINSB_10device_ptrIjEEEENSD_INSE_IS6_EEEESI_S6_NSB_4plusIvEENSB_8equal_toIvEES6_EE10hipError_tPvRmT2_T3_T4_T5_mT6_T7_P12ihipStream_tbENKUlT_T0_E_clISt17integral_constantIbLb0EES12_IbLb1EEEEDaSY_SZ_EUlSY_E_NS1_11comp_targetILNS1_3genE8ELNS1_11target_archE1030ELNS1_3gpuE2ELNS1_3repE0EEENS1_30default_config_static_selectorELNS0_4arch9wavefront6targetE1EEEvT1_: ; @_ZN7rocprim17ROCPRIM_400000_NS6detail17trampoline_kernelINS0_14default_configENS1_27scan_by_key_config_selectorIj11FixedVectorIiLj4EEEEZZNS1_16scan_by_key_implILNS1_25lookback_scan_determinismE0ELb0ES3_N6thrust23THRUST_200600_302600_NS6detail15normal_iteratorINSB_10device_ptrIjEEEENSD_INSE_IS6_EEEESI_S6_NSB_4plusIvEENSB_8equal_toIvEES6_EE10hipError_tPvRmT2_T3_T4_T5_mT6_T7_P12ihipStream_tbENKUlT_T0_E_clISt17integral_constantIbLb0EES12_IbLb1EEEEDaSY_SZ_EUlSY_E_NS1_11comp_targetILNS1_3genE8ELNS1_11target_archE1030ELNS1_3gpuE2ELNS1_3repE0EEENS1_30default_config_static_selectorELNS0_4arch9wavefront6targetE1EEEvT1_
; %bb.0:
	.section	.rodata,"a",@progbits
	.p2align	6, 0x0
	.amdhsa_kernel _ZN7rocprim17ROCPRIM_400000_NS6detail17trampoline_kernelINS0_14default_configENS1_27scan_by_key_config_selectorIj11FixedVectorIiLj4EEEEZZNS1_16scan_by_key_implILNS1_25lookback_scan_determinismE0ELb0ES3_N6thrust23THRUST_200600_302600_NS6detail15normal_iteratorINSB_10device_ptrIjEEEENSD_INSE_IS6_EEEESI_S6_NSB_4plusIvEENSB_8equal_toIvEES6_EE10hipError_tPvRmT2_T3_T4_T5_mT6_T7_P12ihipStream_tbENKUlT_T0_E_clISt17integral_constantIbLb0EES12_IbLb1EEEEDaSY_SZ_EUlSY_E_NS1_11comp_targetILNS1_3genE8ELNS1_11target_archE1030ELNS1_3gpuE2ELNS1_3repE0EEENS1_30default_config_static_selectorELNS0_4arch9wavefront6targetE1EEEvT1_
		.amdhsa_group_segment_fixed_size 0
		.amdhsa_private_segment_fixed_size 0
		.amdhsa_kernarg_size 144
		.amdhsa_user_sgpr_count 2
		.amdhsa_user_sgpr_dispatch_ptr 0
		.amdhsa_user_sgpr_queue_ptr 0
		.amdhsa_user_sgpr_kernarg_segment_ptr 1
		.amdhsa_user_sgpr_dispatch_id 0
		.amdhsa_user_sgpr_kernarg_preload_length 0
		.amdhsa_user_sgpr_kernarg_preload_offset 0
		.amdhsa_user_sgpr_private_segment_size 0
		.amdhsa_uses_dynamic_stack 0
		.amdhsa_enable_private_segment 0
		.amdhsa_system_sgpr_workgroup_id_x 1
		.amdhsa_system_sgpr_workgroup_id_y 0
		.amdhsa_system_sgpr_workgroup_id_z 0
		.amdhsa_system_sgpr_workgroup_info 0
		.amdhsa_system_vgpr_workitem_id 0
		.amdhsa_next_free_vgpr 1
		.amdhsa_next_free_sgpr 0
		.amdhsa_accum_offset 4
		.amdhsa_reserve_vcc 0
		.amdhsa_float_round_mode_32 0
		.amdhsa_float_round_mode_16_64 0
		.amdhsa_float_denorm_mode_32 3
		.amdhsa_float_denorm_mode_16_64 3
		.amdhsa_dx10_clamp 1
		.amdhsa_ieee_mode 1
		.amdhsa_fp16_overflow 0
		.amdhsa_tg_split 0
		.amdhsa_exception_fp_ieee_invalid_op 0
		.amdhsa_exception_fp_denorm_src 0
		.amdhsa_exception_fp_ieee_div_zero 0
		.amdhsa_exception_fp_ieee_overflow 0
		.amdhsa_exception_fp_ieee_underflow 0
		.amdhsa_exception_fp_ieee_inexact 0
		.amdhsa_exception_int_div_zero 0
	.end_amdhsa_kernel
	.section	.text._ZN7rocprim17ROCPRIM_400000_NS6detail17trampoline_kernelINS0_14default_configENS1_27scan_by_key_config_selectorIj11FixedVectorIiLj4EEEEZZNS1_16scan_by_key_implILNS1_25lookback_scan_determinismE0ELb0ES3_N6thrust23THRUST_200600_302600_NS6detail15normal_iteratorINSB_10device_ptrIjEEEENSD_INSE_IS6_EEEESI_S6_NSB_4plusIvEENSB_8equal_toIvEES6_EE10hipError_tPvRmT2_T3_T4_T5_mT6_T7_P12ihipStream_tbENKUlT_T0_E_clISt17integral_constantIbLb0EES12_IbLb1EEEEDaSY_SZ_EUlSY_E_NS1_11comp_targetILNS1_3genE8ELNS1_11target_archE1030ELNS1_3gpuE2ELNS1_3repE0EEENS1_30default_config_static_selectorELNS0_4arch9wavefront6targetE1EEEvT1_,"axG",@progbits,_ZN7rocprim17ROCPRIM_400000_NS6detail17trampoline_kernelINS0_14default_configENS1_27scan_by_key_config_selectorIj11FixedVectorIiLj4EEEEZZNS1_16scan_by_key_implILNS1_25lookback_scan_determinismE0ELb0ES3_N6thrust23THRUST_200600_302600_NS6detail15normal_iteratorINSB_10device_ptrIjEEEENSD_INSE_IS6_EEEESI_S6_NSB_4plusIvEENSB_8equal_toIvEES6_EE10hipError_tPvRmT2_T3_T4_T5_mT6_T7_P12ihipStream_tbENKUlT_T0_E_clISt17integral_constantIbLb0EES12_IbLb1EEEEDaSY_SZ_EUlSY_E_NS1_11comp_targetILNS1_3genE8ELNS1_11target_archE1030ELNS1_3gpuE2ELNS1_3repE0EEENS1_30default_config_static_selectorELNS0_4arch9wavefront6targetE1EEEvT1_,comdat
.Lfunc_end2074:
	.size	_ZN7rocprim17ROCPRIM_400000_NS6detail17trampoline_kernelINS0_14default_configENS1_27scan_by_key_config_selectorIj11FixedVectorIiLj4EEEEZZNS1_16scan_by_key_implILNS1_25lookback_scan_determinismE0ELb0ES3_N6thrust23THRUST_200600_302600_NS6detail15normal_iteratorINSB_10device_ptrIjEEEENSD_INSE_IS6_EEEESI_S6_NSB_4plusIvEENSB_8equal_toIvEES6_EE10hipError_tPvRmT2_T3_T4_T5_mT6_T7_P12ihipStream_tbENKUlT_T0_E_clISt17integral_constantIbLb0EES12_IbLb1EEEEDaSY_SZ_EUlSY_E_NS1_11comp_targetILNS1_3genE8ELNS1_11target_archE1030ELNS1_3gpuE2ELNS1_3repE0EEENS1_30default_config_static_selectorELNS0_4arch9wavefront6targetE1EEEvT1_, .Lfunc_end2074-_ZN7rocprim17ROCPRIM_400000_NS6detail17trampoline_kernelINS0_14default_configENS1_27scan_by_key_config_selectorIj11FixedVectorIiLj4EEEEZZNS1_16scan_by_key_implILNS1_25lookback_scan_determinismE0ELb0ES3_N6thrust23THRUST_200600_302600_NS6detail15normal_iteratorINSB_10device_ptrIjEEEENSD_INSE_IS6_EEEESI_S6_NSB_4plusIvEENSB_8equal_toIvEES6_EE10hipError_tPvRmT2_T3_T4_T5_mT6_T7_P12ihipStream_tbENKUlT_T0_E_clISt17integral_constantIbLb0EES12_IbLb1EEEEDaSY_SZ_EUlSY_E_NS1_11comp_targetILNS1_3genE8ELNS1_11target_archE1030ELNS1_3gpuE2ELNS1_3repE0EEENS1_30default_config_static_selectorELNS0_4arch9wavefront6targetE1EEEvT1_
                                        ; -- End function
	.section	.AMDGPU.csdata,"",@progbits
; Kernel info:
; codeLenInByte = 0
; NumSgprs: 6
; NumVgprs: 0
; NumAgprs: 0
; TotalNumVgprs: 0
; ScratchSize: 0
; MemoryBound: 0
; FloatMode: 240
; IeeeMode: 1
; LDSByteSize: 0 bytes/workgroup (compile time only)
; SGPRBlocks: 0
; VGPRBlocks: 0
; NumSGPRsForWavesPerEU: 6
; NumVGPRsForWavesPerEU: 1
; AccumOffset: 4
; Occupancy: 8
; WaveLimiterHint : 0
; COMPUTE_PGM_RSRC2:SCRATCH_EN: 0
; COMPUTE_PGM_RSRC2:USER_SGPR: 2
; COMPUTE_PGM_RSRC2:TRAP_HANDLER: 0
; COMPUTE_PGM_RSRC2:TGID_X_EN: 1
; COMPUTE_PGM_RSRC2:TGID_Y_EN: 0
; COMPUTE_PGM_RSRC2:TGID_Z_EN: 0
; COMPUTE_PGM_RSRC2:TIDIG_COMP_CNT: 0
; COMPUTE_PGM_RSRC3_GFX90A:ACCUM_OFFSET: 0
; COMPUTE_PGM_RSRC3_GFX90A:TG_SPLIT: 0
	.section	.text._ZN7rocprim17ROCPRIM_400000_NS6detail17trampoline_kernelINS0_14default_configENS1_27scan_by_key_config_selectorIj11FixedVectorIiLj4EEEEZZNS1_16scan_by_key_implILNS1_25lookback_scan_determinismE0ELb1ES3_N6thrust23THRUST_200600_302600_NS6detail15normal_iteratorINSB_10device_ptrIjEEEENSD_INSE_IS6_EEEESI_S6_NSB_4plusIvEENSB_8equal_toIvEES6_EE10hipError_tPvRmT2_T3_T4_T5_mT6_T7_P12ihipStream_tbENKUlT_T0_E_clISt17integral_constantIbLb0EES13_EEDaSY_SZ_EUlSY_E_NS1_11comp_targetILNS1_3genE0ELNS1_11target_archE4294967295ELNS1_3gpuE0ELNS1_3repE0EEENS1_30default_config_static_selectorELNS0_4arch9wavefront6targetE1EEEvT1_,"axG",@progbits,_ZN7rocprim17ROCPRIM_400000_NS6detail17trampoline_kernelINS0_14default_configENS1_27scan_by_key_config_selectorIj11FixedVectorIiLj4EEEEZZNS1_16scan_by_key_implILNS1_25lookback_scan_determinismE0ELb1ES3_N6thrust23THRUST_200600_302600_NS6detail15normal_iteratorINSB_10device_ptrIjEEEENSD_INSE_IS6_EEEESI_S6_NSB_4plusIvEENSB_8equal_toIvEES6_EE10hipError_tPvRmT2_T3_T4_T5_mT6_T7_P12ihipStream_tbENKUlT_T0_E_clISt17integral_constantIbLb0EES13_EEDaSY_SZ_EUlSY_E_NS1_11comp_targetILNS1_3genE0ELNS1_11target_archE4294967295ELNS1_3gpuE0ELNS1_3repE0EEENS1_30default_config_static_selectorELNS0_4arch9wavefront6targetE1EEEvT1_,comdat
	.protected	_ZN7rocprim17ROCPRIM_400000_NS6detail17trampoline_kernelINS0_14default_configENS1_27scan_by_key_config_selectorIj11FixedVectorIiLj4EEEEZZNS1_16scan_by_key_implILNS1_25lookback_scan_determinismE0ELb1ES3_N6thrust23THRUST_200600_302600_NS6detail15normal_iteratorINSB_10device_ptrIjEEEENSD_INSE_IS6_EEEESI_S6_NSB_4plusIvEENSB_8equal_toIvEES6_EE10hipError_tPvRmT2_T3_T4_T5_mT6_T7_P12ihipStream_tbENKUlT_T0_E_clISt17integral_constantIbLb0EES13_EEDaSY_SZ_EUlSY_E_NS1_11comp_targetILNS1_3genE0ELNS1_11target_archE4294967295ELNS1_3gpuE0ELNS1_3repE0EEENS1_30default_config_static_selectorELNS0_4arch9wavefront6targetE1EEEvT1_ ; -- Begin function _ZN7rocprim17ROCPRIM_400000_NS6detail17trampoline_kernelINS0_14default_configENS1_27scan_by_key_config_selectorIj11FixedVectorIiLj4EEEEZZNS1_16scan_by_key_implILNS1_25lookback_scan_determinismE0ELb1ES3_N6thrust23THRUST_200600_302600_NS6detail15normal_iteratorINSB_10device_ptrIjEEEENSD_INSE_IS6_EEEESI_S6_NSB_4plusIvEENSB_8equal_toIvEES6_EE10hipError_tPvRmT2_T3_T4_T5_mT6_T7_P12ihipStream_tbENKUlT_T0_E_clISt17integral_constantIbLb0EES13_EEDaSY_SZ_EUlSY_E_NS1_11comp_targetILNS1_3genE0ELNS1_11target_archE4294967295ELNS1_3gpuE0ELNS1_3repE0EEENS1_30default_config_static_selectorELNS0_4arch9wavefront6targetE1EEEvT1_
	.globl	_ZN7rocprim17ROCPRIM_400000_NS6detail17trampoline_kernelINS0_14default_configENS1_27scan_by_key_config_selectorIj11FixedVectorIiLj4EEEEZZNS1_16scan_by_key_implILNS1_25lookback_scan_determinismE0ELb1ES3_N6thrust23THRUST_200600_302600_NS6detail15normal_iteratorINSB_10device_ptrIjEEEENSD_INSE_IS6_EEEESI_S6_NSB_4plusIvEENSB_8equal_toIvEES6_EE10hipError_tPvRmT2_T3_T4_T5_mT6_T7_P12ihipStream_tbENKUlT_T0_E_clISt17integral_constantIbLb0EES13_EEDaSY_SZ_EUlSY_E_NS1_11comp_targetILNS1_3genE0ELNS1_11target_archE4294967295ELNS1_3gpuE0ELNS1_3repE0EEENS1_30default_config_static_selectorELNS0_4arch9wavefront6targetE1EEEvT1_
	.p2align	8
	.type	_ZN7rocprim17ROCPRIM_400000_NS6detail17trampoline_kernelINS0_14default_configENS1_27scan_by_key_config_selectorIj11FixedVectorIiLj4EEEEZZNS1_16scan_by_key_implILNS1_25lookback_scan_determinismE0ELb1ES3_N6thrust23THRUST_200600_302600_NS6detail15normal_iteratorINSB_10device_ptrIjEEEENSD_INSE_IS6_EEEESI_S6_NSB_4plusIvEENSB_8equal_toIvEES6_EE10hipError_tPvRmT2_T3_T4_T5_mT6_T7_P12ihipStream_tbENKUlT_T0_E_clISt17integral_constantIbLb0EES13_EEDaSY_SZ_EUlSY_E_NS1_11comp_targetILNS1_3genE0ELNS1_11target_archE4294967295ELNS1_3gpuE0ELNS1_3repE0EEENS1_30default_config_static_selectorELNS0_4arch9wavefront6targetE1EEEvT1_,@function
_ZN7rocprim17ROCPRIM_400000_NS6detail17trampoline_kernelINS0_14default_configENS1_27scan_by_key_config_selectorIj11FixedVectorIiLj4EEEEZZNS1_16scan_by_key_implILNS1_25lookback_scan_determinismE0ELb1ES3_N6thrust23THRUST_200600_302600_NS6detail15normal_iteratorINSB_10device_ptrIjEEEENSD_INSE_IS6_EEEESI_S6_NSB_4plusIvEENSB_8equal_toIvEES6_EE10hipError_tPvRmT2_T3_T4_T5_mT6_T7_P12ihipStream_tbENKUlT_T0_E_clISt17integral_constantIbLb0EES13_EEDaSY_SZ_EUlSY_E_NS1_11comp_targetILNS1_3genE0ELNS1_11target_archE4294967295ELNS1_3gpuE0ELNS1_3repE0EEENS1_30default_config_static_selectorELNS0_4arch9wavefront6targetE1EEEvT1_: ; @_ZN7rocprim17ROCPRIM_400000_NS6detail17trampoline_kernelINS0_14default_configENS1_27scan_by_key_config_selectorIj11FixedVectorIiLj4EEEEZZNS1_16scan_by_key_implILNS1_25lookback_scan_determinismE0ELb1ES3_N6thrust23THRUST_200600_302600_NS6detail15normal_iteratorINSB_10device_ptrIjEEEENSD_INSE_IS6_EEEESI_S6_NSB_4plusIvEENSB_8equal_toIvEES6_EE10hipError_tPvRmT2_T3_T4_T5_mT6_T7_P12ihipStream_tbENKUlT_T0_E_clISt17integral_constantIbLb0EES13_EEDaSY_SZ_EUlSY_E_NS1_11comp_targetILNS1_3genE0ELNS1_11target_archE4294967295ELNS1_3gpuE0ELNS1_3repE0EEENS1_30default_config_static_selectorELNS0_4arch9wavefront6targetE1EEEvT1_
; %bb.0:
	.section	.rodata,"a",@progbits
	.p2align	6, 0x0
	.amdhsa_kernel _ZN7rocprim17ROCPRIM_400000_NS6detail17trampoline_kernelINS0_14default_configENS1_27scan_by_key_config_selectorIj11FixedVectorIiLj4EEEEZZNS1_16scan_by_key_implILNS1_25lookback_scan_determinismE0ELb1ES3_N6thrust23THRUST_200600_302600_NS6detail15normal_iteratorINSB_10device_ptrIjEEEENSD_INSE_IS6_EEEESI_S6_NSB_4plusIvEENSB_8equal_toIvEES6_EE10hipError_tPvRmT2_T3_T4_T5_mT6_T7_P12ihipStream_tbENKUlT_T0_E_clISt17integral_constantIbLb0EES13_EEDaSY_SZ_EUlSY_E_NS1_11comp_targetILNS1_3genE0ELNS1_11target_archE4294967295ELNS1_3gpuE0ELNS1_3repE0EEENS1_30default_config_static_selectorELNS0_4arch9wavefront6targetE1EEEvT1_
		.amdhsa_group_segment_fixed_size 0
		.amdhsa_private_segment_fixed_size 0
		.amdhsa_kernarg_size 144
		.amdhsa_user_sgpr_count 2
		.amdhsa_user_sgpr_dispatch_ptr 0
		.amdhsa_user_sgpr_queue_ptr 0
		.amdhsa_user_sgpr_kernarg_segment_ptr 1
		.amdhsa_user_sgpr_dispatch_id 0
		.amdhsa_user_sgpr_kernarg_preload_length 0
		.amdhsa_user_sgpr_kernarg_preload_offset 0
		.amdhsa_user_sgpr_private_segment_size 0
		.amdhsa_uses_dynamic_stack 0
		.amdhsa_enable_private_segment 0
		.amdhsa_system_sgpr_workgroup_id_x 1
		.amdhsa_system_sgpr_workgroup_id_y 0
		.amdhsa_system_sgpr_workgroup_id_z 0
		.amdhsa_system_sgpr_workgroup_info 0
		.amdhsa_system_vgpr_workitem_id 0
		.amdhsa_next_free_vgpr 1
		.amdhsa_next_free_sgpr 0
		.amdhsa_accum_offset 4
		.amdhsa_reserve_vcc 0
		.amdhsa_float_round_mode_32 0
		.amdhsa_float_round_mode_16_64 0
		.amdhsa_float_denorm_mode_32 3
		.amdhsa_float_denorm_mode_16_64 3
		.amdhsa_dx10_clamp 1
		.amdhsa_ieee_mode 1
		.amdhsa_fp16_overflow 0
		.amdhsa_tg_split 0
		.amdhsa_exception_fp_ieee_invalid_op 0
		.amdhsa_exception_fp_denorm_src 0
		.amdhsa_exception_fp_ieee_div_zero 0
		.amdhsa_exception_fp_ieee_overflow 0
		.amdhsa_exception_fp_ieee_underflow 0
		.amdhsa_exception_fp_ieee_inexact 0
		.amdhsa_exception_int_div_zero 0
	.end_amdhsa_kernel
	.section	.text._ZN7rocprim17ROCPRIM_400000_NS6detail17trampoline_kernelINS0_14default_configENS1_27scan_by_key_config_selectorIj11FixedVectorIiLj4EEEEZZNS1_16scan_by_key_implILNS1_25lookback_scan_determinismE0ELb1ES3_N6thrust23THRUST_200600_302600_NS6detail15normal_iteratorINSB_10device_ptrIjEEEENSD_INSE_IS6_EEEESI_S6_NSB_4plusIvEENSB_8equal_toIvEES6_EE10hipError_tPvRmT2_T3_T4_T5_mT6_T7_P12ihipStream_tbENKUlT_T0_E_clISt17integral_constantIbLb0EES13_EEDaSY_SZ_EUlSY_E_NS1_11comp_targetILNS1_3genE0ELNS1_11target_archE4294967295ELNS1_3gpuE0ELNS1_3repE0EEENS1_30default_config_static_selectorELNS0_4arch9wavefront6targetE1EEEvT1_,"axG",@progbits,_ZN7rocprim17ROCPRIM_400000_NS6detail17trampoline_kernelINS0_14default_configENS1_27scan_by_key_config_selectorIj11FixedVectorIiLj4EEEEZZNS1_16scan_by_key_implILNS1_25lookback_scan_determinismE0ELb1ES3_N6thrust23THRUST_200600_302600_NS6detail15normal_iteratorINSB_10device_ptrIjEEEENSD_INSE_IS6_EEEESI_S6_NSB_4plusIvEENSB_8equal_toIvEES6_EE10hipError_tPvRmT2_T3_T4_T5_mT6_T7_P12ihipStream_tbENKUlT_T0_E_clISt17integral_constantIbLb0EES13_EEDaSY_SZ_EUlSY_E_NS1_11comp_targetILNS1_3genE0ELNS1_11target_archE4294967295ELNS1_3gpuE0ELNS1_3repE0EEENS1_30default_config_static_selectorELNS0_4arch9wavefront6targetE1EEEvT1_,comdat
.Lfunc_end2075:
	.size	_ZN7rocprim17ROCPRIM_400000_NS6detail17trampoline_kernelINS0_14default_configENS1_27scan_by_key_config_selectorIj11FixedVectorIiLj4EEEEZZNS1_16scan_by_key_implILNS1_25lookback_scan_determinismE0ELb1ES3_N6thrust23THRUST_200600_302600_NS6detail15normal_iteratorINSB_10device_ptrIjEEEENSD_INSE_IS6_EEEESI_S6_NSB_4plusIvEENSB_8equal_toIvEES6_EE10hipError_tPvRmT2_T3_T4_T5_mT6_T7_P12ihipStream_tbENKUlT_T0_E_clISt17integral_constantIbLb0EES13_EEDaSY_SZ_EUlSY_E_NS1_11comp_targetILNS1_3genE0ELNS1_11target_archE4294967295ELNS1_3gpuE0ELNS1_3repE0EEENS1_30default_config_static_selectorELNS0_4arch9wavefront6targetE1EEEvT1_, .Lfunc_end2075-_ZN7rocprim17ROCPRIM_400000_NS6detail17trampoline_kernelINS0_14default_configENS1_27scan_by_key_config_selectorIj11FixedVectorIiLj4EEEEZZNS1_16scan_by_key_implILNS1_25lookback_scan_determinismE0ELb1ES3_N6thrust23THRUST_200600_302600_NS6detail15normal_iteratorINSB_10device_ptrIjEEEENSD_INSE_IS6_EEEESI_S6_NSB_4plusIvEENSB_8equal_toIvEES6_EE10hipError_tPvRmT2_T3_T4_T5_mT6_T7_P12ihipStream_tbENKUlT_T0_E_clISt17integral_constantIbLb0EES13_EEDaSY_SZ_EUlSY_E_NS1_11comp_targetILNS1_3genE0ELNS1_11target_archE4294967295ELNS1_3gpuE0ELNS1_3repE0EEENS1_30default_config_static_selectorELNS0_4arch9wavefront6targetE1EEEvT1_
                                        ; -- End function
	.section	.AMDGPU.csdata,"",@progbits
; Kernel info:
; codeLenInByte = 0
; NumSgprs: 6
; NumVgprs: 0
; NumAgprs: 0
; TotalNumVgprs: 0
; ScratchSize: 0
; MemoryBound: 0
; FloatMode: 240
; IeeeMode: 1
; LDSByteSize: 0 bytes/workgroup (compile time only)
; SGPRBlocks: 0
; VGPRBlocks: 0
; NumSGPRsForWavesPerEU: 6
; NumVGPRsForWavesPerEU: 1
; AccumOffset: 4
; Occupancy: 8
; WaveLimiterHint : 0
; COMPUTE_PGM_RSRC2:SCRATCH_EN: 0
; COMPUTE_PGM_RSRC2:USER_SGPR: 2
; COMPUTE_PGM_RSRC2:TRAP_HANDLER: 0
; COMPUTE_PGM_RSRC2:TGID_X_EN: 1
; COMPUTE_PGM_RSRC2:TGID_Y_EN: 0
; COMPUTE_PGM_RSRC2:TGID_Z_EN: 0
; COMPUTE_PGM_RSRC2:TIDIG_COMP_CNT: 0
; COMPUTE_PGM_RSRC3_GFX90A:ACCUM_OFFSET: 0
; COMPUTE_PGM_RSRC3_GFX90A:TG_SPLIT: 0
	.section	.text._ZN7rocprim17ROCPRIM_400000_NS6detail17trampoline_kernelINS0_14default_configENS1_27scan_by_key_config_selectorIj11FixedVectorIiLj4EEEEZZNS1_16scan_by_key_implILNS1_25lookback_scan_determinismE0ELb1ES3_N6thrust23THRUST_200600_302600_NS6detail15normal_iteratorINSB_10device_ptrIjEEEENSD_INSE_IS6_EEEESI_S6_NSB_4plusIvEENSB_8equal_toIvEES6_EE10hipError_tPvRmT2_T3_T4_T5_mT6_T7_P12ihipStream_tbENKUlT_T0_E_clISt17integral_constantIbLb0EES13_EEDaSY_SZ_EUlSY_E_NS1_11comp_targetILNS1_3genE10ELNS1_11target_archE1201ELNS1_3gpuE5ELNS1_3repE0EEENS1_30default_config_static_selectorELNS0_4arch9wavefront6targetE1EEEvT1_,"axG",@progbits,_ZN7rocprim17ROCPRIM_400000_NS6detail17trampoline_kernelINS0_14default_configENS1_27scan_by_key_config_selectorIj11FixedVectorIiLj4EEEEZZNS1_16scan_by_key_implILNS1_25lookback_scan_determinismE0ELb1ES3_N6thrust23THRUST_200600_302600_NS6detail15normal_iteratorINSB_10device_ptrIjEEEENSD_INSE_IS6_EEEESI_S6_NSB_4plusIvEENSB_8equal_toIvEES6_EE10hipError_tPvRmT2_T3_T4_T5_mT6_T7_P12ihipStream_tbENKUlT_T0_E_clISt17integral_constantIbLb0EES13_EEDaSY_SZ_EUlSY_E_NS1_11comp_targetILNS1_3genE10ELNS1_11target_archE1201ELNS1_3gpuE5ELNS1_3repE0EEENS1_30default_config_static_selectorELNS0_4arch9wavefront6targetE1EEEvT1_,comdat
	.protected	_ZN7rocprim17ROCPRIM_400000_NS6detail17trampoline_kernelINS0_14default_configENS1_27scan_by_key_config_selectorIj11FixedVectorIiLj4EEEEZZNS1_16scan_by_key_implILNS1_25lookback_scan_determinismE0ELb1ES3_N6thrust23THRUST_200600_302600_NS6detail15normal_iteratorINSB_10device_ptrIjEEEENSD_INSE_IS6_EEEESI_S6_NSB_4plusIvEENSB_8equal_toIvEES6_EE10hipError_tPvRmT2_T3_T4_T5_mT6_T7_P12ihipStream_tbENKUlT_T0_E_clISt17integral_constantIbLb0EES13_EEDaSY_SZ_EUlSY_E_NS1_11comp_targetILNS1_3genE10ELNS1_11target_archE1201ELNS1_3gpuE5ELNS1_3repE0EEENS1_30default_config_static_selectorELNS0_4arch9wavefront6targetE1EEEvT1_ ; -- Begin function _ZN7rocprim17ROCPRIM_400000_NS6detail17trampoline_kernelINS0_14default_configENS1_27scan_by_key_config_selectorIj11FixedVectorIiLj4EEEEZZNS1_16scan_by_key_implILNS1_25lookback_scan_determinismE0ELb1ES3_N6thrust23THRUST_200600_302600_NS6detail15normal_iteratorINSB_10device_ptrIjEEEENSD_INSE_IS6_EEEESI_S6_NSB_4plusIvEENSB_8equal_toIvEES6_EE10hipError_tPvRmT2_T3_T4_T5_mT6_T7_P12ihipStream_tbENKUlT_T0_E_clISt17integral_constantIbLb0EES13_EEDaSY_SZ_EUlSY_E_NS1_11comp_targetILNS1_3genE10ELNS1_11target_archE1201ELNS1_3gpuE5ELNS1_3repE0EEENS1_30default_config_static_selectorELNS0_4arch9wavefront6targetE1EEEvT1_
	.globl	_ZN7rocprim17ROCPRIM_400000_NS6detail17trampoline_kernelINS0_14default_configENS1_27scan_by_key_config_selectorIj11FixedVectorIiLj4EEEEZZNS1_16scan_by_key_implILNS1_25lookback_scan_determinismE0ELb1ES3_N6thrust23THRUST_200600_302600_NS6detail15normal_iteratorINSB_10device_ptrIjEEEENSD_INSE_IS6_EEEESI_S6_NSB_4plusIvEENSB_8equal_toIvEES6_EE10hipError_tPvRmT2_T3_T4_T5_mT6_T7_P12ihipStream_tbENKUlT_T0_E_clISt17integral_constantIbLb0EES13_EEDaSY_SZ_EUlSY_E_NS1_11comp_targetILNS1_3genE10ELNS1_11target_archE1201ELNS1_3gpuE5ELNS1_3repE0EEENS1_30default_config_static_selectorELNS0_4arch9wavefront6targetE1EEEvT1_
	.p2align	8
	.type	_ZN7rocprim17ROCPRIM_400000_NS6detail17trampoline_kernelINS0_14default_configENS1_27scan_by_key_config_selectorIj11FixedVectorIiLj4EEEEZZNS1_16scan_by_key_implILNS1_25lookback_scan_determinismE0ELb1ES3_N6thrust23THRUST_200600_302600_NS6detail15normal_iteratorINSB_10device_ptrIjEEEENSD_INSE_IS6_EEEESI_S6_NSB_4plusIvEENSB_8equal_toIvEES6_EE10hipError_tPvRmT2_T3_T4_T5_mT6_T7_P12ihipStream_tbENKUlT_T0_E_clISt17integral_constantIbLb0EES13_EEDaSY_SZ_EUlSY_E_NS1_11comp_targetILNS1_3genE10ELNS1_11target_archE1201ELNS1_3gpuE5ELNS1_3repE0EEENS1_30default_config_static_selectorELNS0_4arch9wavefront6targetE1EEEvT1_,@function
_ZN7rocprim17ROCPRIM_400000_NS6detail17trampoline_kernelINS0_14default_configENS1_27scan_by_key_config_selectorIj11FixedVectorIiLj4EEEEZZNS1_16scan_by_key_implILNS1_25lookback_scan_determinismE0ELb1ES3_N6thrust23THRUST_200600_302600_NS6detail15normal_iteratorINSB_10device_ptrIjEEEENSD_INSE_IS6_EEEESI_S6_NSB_4plusIvEENSB_8equal_toIvEES6_EE10hipError_tPvRmT2_T3_T4_T5_mT6_T7_P12ihipStream_tbENKUlT_T0_E_clISt17integral_constantIbLb0EES13_EEDaSY_SZ_EUlSY_E_NS1_11comp_targetILNS1_3genE10ELNS1_11target_archE1201ELNS1_3gpuE5ELNS1_3repE0EEENS1_30default_config_static_selectorELNS0_4arch9wavefront6targetE1EEEvT1_: ; @_ZN7rocprim17ROCPRIM_400000_NS6detail17trampoline_kernelINS0_14default_configENS1_27scan_by_key_config_selectorIj11FixedVectorIiLj4EEEEZZNS1_16scan_by_key_implILNS1_25lookback_scan_determinismE0ELb1ES3_N6thrust23THRUST_200600_302600_NS6detail15normal_iteratorINSB_10device_ptrIjEEEENSD_INSE_IS6_EEEESI_S6_NSB_4plusIvEENSB_8equal_toIvEES6_EE10hipError_tPvRmT2_T3_T4_T5_mT6_T7_P12ihipStream_tbENKUlT_T0_E_clISt17integral_constantIbLb0EES13_EEDaSY_SZ_EUlSY_E_NS1_11comp_targetILNS1_3genE10ELNS1_11target_archE1201ELNS1_3gpuE5ELNS1_3repE0EEENS1_30default_config_static_selectorELNS0_4arch9wavefront6targetE1EEEvT1_
; %bb.0:
	.section	.rodata,"a",@progbits
	.p2align	6, 0x0
	.amdhsa_kernel _ZN7rocprim17ROCPRIM_400000_NS6detail17trampoline_kernelINS0_14default_configENS1_27scan_by_key_config_selectorIj11FixedVectorIiLj4EEEEZZNS1_16scan_by_key_implILNS1_25lookback_scan_determinismE0ELb1ES3_N6thrust23THRUST_200600_302600_NS6detail15normal_iteratorINSB_10device_ptrIjEEEENSD_INSE_IS6_EEEESI_S6_NSB_4plusIvEENSB_8equal_toIvEES6_EE10hipError_tPvRmT2_T3_T4_T5_mT6_T7_P12ihipStream_tbENKUlT_T0_E_clISt17integral_constantIbLb0EES13_EEDaSY_SZ_EUlSY_E_NS1_11comp_targetILNS1_3genE10ELNS1_11target_archE1201ELNS1_3gpuE5ELNS1_3repE0EEENS1_30default_config_static_selectorELNS0_4arch9wavefront6targetE1EEEvT1_
		.amdhsa_group_segment_fixed_size 0
		.amdhsa_private_segment_fixed_size 0
		.amdhsa_kernarg_size 144
		.amdhsa_user_sgpr_count 2
		.amdhsa_user_sgpr_dispatch_ptr 0
		.amdhsa_user_sgpr_queue_ptr 0
		.amdhsa_user_sgpr_kernarg_segment_ptr 1
		.amdhsa_user_sgpr_dispatch_id 0
		.amdhsa_user_sgpr_kernarg_preload_length 0
		.amdhsa_user_sgpr_kernarg_preload_offset 0
		.amdhsa_user_sgpr_private_segment_size 0
		.amdhsa_uses_dynamic_stack 0
		.amdhsa_enable_private_segment 0
		.amdhsa_system_sgpr_workgroup_id_x 1
		.amdhsa_system_sgpr_workgroup_id_y 0
		.amdhsa_system_sgpr_workgroup_id_z 0
		.amdhsa_system_sgpr_workgroup_info 0
		.amdhsa_system_vgpr_workitem_id 0
		.amdhsa_next_free_vgpr 1
		.amdhsa_next_free_sgpr 0
		.amdhsa_accum_offset 4
		.amdhsa_reserve_vcc 0
		.amdhsa_float_round_mode_32 0
		.amdhsa_float_round_mode_16_64 0
		.amdhsa_float_denorm_mode_32 3
		.amdhsa_float_denorm_mode_16_64 3
		.amdhsa_dx10_clamp 1
		.amdhsa_ieee_mode 1
		.amdhsa_fp16_overflow 0
		.amdhsa_tg_split 0
		.amdhsa_exception_fp_ieee_invalid_op 0
		.amdhsa_exception_fp_denorm_src 0
		.amdhsa_exception_fp_ieee_div_zero 0
		.amdhsa_exception_fp_ieee_overflow 0
		.amdhsa_exception_fp_ieee_underflow 0
		.amdhsa_exception_fp_ieee_inexact 0
		.amdhsa_exception_int_div_zero 0
	.end_amdhsa_kernel
	.section	.text._ZN7rocprim17ROCPRIM_400000_NS6detail17trampoline_kernelINS0_14default_configENS1_27scan_by_key_config_selectorIj11FixedVectorIiLj4EEEEZZNS1_16scan_by_key_implILNS1_25lookback_scan_determinismE0ELb1ES3_N6thrust23THRUST_200600_302600_NS6detail15normal_iteratorINSB_10device_ptrIjEEEENSD_INSE_IS6_EEEESI_S6_NSB_4plusIvEENSB_8equal_toIvEES6_EE10hipError_tPvRmT2_T3_T4_T5_mT6_T7_P12ihipStream_tbENKUlT_T0_E_clISt17integral_constantIbLb0EES13_EEDaSY_SZ_EUlSY_E_NS1_11comp_targetILNS1_3genE10ELNS1_11target_archE1201ELNS1_3gpuE5ELNS1_3repE0EEENS1_30default_config_static_selectorELNS0_4arch9wavefront6targetE1EEEvT1_,"axG",@progbits,_ZN7rocprim17ROCPRIM_400000_NS6detail17trampoline_kernelINS0_14default_configENS1_27scan_by_key_config_selectorIj11FixedVectorIiLj4EEEEZZNS1_16scan_by_key_implILNS1_25lookback_scan_determinismE0ELb1ES3_N6thrust23THRUST_200600_302600_NS6detail15normal_iteratorINSB_10device_ptrIjEEEENSD_INSE_IS6_EEEESI_S6_NSB_4plusIvEENSB_8equal_toIvEES6_EE10hipError_tPvRmT2_T3_T4_T5_mT6_T7_P12ihipStream_tbENKUlT_T0_E_clISt17integral_constantIbLb0EES13_EEDaSY_SZ_EUlSY_E_NS1_11comp_targetILNS1_3genE10ELNS1_11target_archE1201ELNS1_3gpuE5ELNS1_3repE0EEENS1_30default_config_static_selectorELNS0_4arch9wavefront6targetE1EEEvT1_,comdat
.Lfunc_end2076:
	.size	_ZN7rocprim17ROCPRIM_400000_NS6detail17trampoline_kernelINS0_14default_configENS1_27scan_by_key_config_selectorIj11FixedVectorIiLj4EEEEZZNS1_16scan_by_key_implILNS1_25lookback_scan_determinismE0ELb1ES3_N6thrust23THRUST_200600_302600_NS6detail15normal_iteratorINSB_10device_ptrIjEEEENSD_INSE_IS6_EEEESI_S6_NSB_4plusIvEENSB_8equal_toIvEES6_EE10hipError_tPvRmT2_T3_T4_T5_mT6_T7_P12ihipStream_tbENKUlT_T0_E_clISt17integral_constantIbLb0EES13_EEDaSY_SZ_EUlSY_E_NS1_11comp_targetILNS1_3genE10ELNS1_11target_archE1201ELNS1_3gpuE5ELNS1_3repE0EEENS1_30default_config_static_selectorELNS0_4arch9wavefront6targetE1EEEvT1_, .Lfunc_end2076-_ZN7rocprim17ROCPRIM_400000_NS6detail17trampoline_kernelINS0_14default_configENS1_27scan_by_key_config_selectorIj11FixedVectorIiLj4EEEEZZNS1_16scan_by_key_implILNS1_25lookback_scan_determinismE0ELb1ES3_N6thrust23THRUST_200600_302600_NS6detail15normal_iteratorINSB_10device_ptrIjEEEENSD_INSE_IS6_EEEESI_S6_NSB_4plusIvEENSB_8equal_toIvEES6_EE10hipError_tPvRmT2_T3_T4_T5_mT6_T7_P12ihipStream_tbENKUlT_T0_E_clISt17integral_constantIbLb0EES13_EEDaSY_SZ_EUlSY_E_NS1_11comp_targetILNS1_3genE10ELNS1_11target_archE1201ELNS1_3gpuE5ELNS1_3repE0EEENS1_30default_config_static_selectorELNS0_4arch9wavefront6targetE1EEEvT1_
                                        ; -- End function
	.section	.AMDGPU.csdata,"",@progbits
; Kernel info:
; codeLenInByte = 0
; NumSgprs: 6
; NumVgprs: 0
; NumAgprs: 0
; TotalNumVgprs: 0
; ScratchSize: 0
; MemoryBound: 0
; FloatMode: 240
; IeeeMode: 1
; LDSByteSize: 0 bytes/workgroup (compile time only)
; SGPRBlocks: 0
; VGPRBlocks: 0
; NumSGPRsForWavesPerEU: 6
; NumVGPRsForWavesPerEU: 1
; AccumOffset: 4
; Occupancy: 8
; WaveLimiterHint : 0
; COMPUTE_PGM_RSRC2:SCRATCH_EN: 0
; COMPUTE_PGM_RSRC2:USER_SGPR: 2
; COMPUTE_PGM_RSRC2:TRAP_HANDLER: 0
; COMPUTE_PGM_RSRC2:TGID_X_EN: 1
; COMPUTE_PGM_RSRC2:TGID_Y_EN: 0
; COMPUTE_PGM_RSRC2:TGID_Z_EN: 0
; COMPUTE_PGM_RSRC2:TIDIG_COMP_CNT: 0
; COMPUTE_PGM_RSRC3_GFX90A:ACCUM_OFFSET: 0
; COMPUTE_PGM_RSRC3_GFX90A:TG_SPLIT: 0
	.section	.text._ZN7rocprim17ROCPRIM_400000_NS6detail17trampoline_kernelINS0_14default_configENS1_27scan_by_key_config_selectorIj11FixedVectorIiLj4EEEEZZNS1_16scan_by_key_implILNS1_25lookback_scan_determinismE0ELb1ES3_N6thrust23THRUST_200600_302600_NS6detail15normal_iteratorINSB_10device_ptrIjEEEENSD_INSE_IS6_EEEESI_S6_NSB_4plusIvEENSB_8equal_toIvEES6_EE10hipError_tPvRmT2_T3_T4_T5_mT6_T7_P12ihipStream_tbENKUlT_T0_E_clISt17integral_constantIbLb0EES13_EEDaSY_SZ_EUlSY_E_NS1_11comp_targetILNS1_3genE5ELNS1_11target_archE942ELNS1_3gpuE9ELNS1_3repE0EEENS1_30default_config_static_selectorELNS0_4arch9wavefront6targetE1EEEvT1_,"axG",@progbits,_ZN7rocprim17ROCPRIM_400000_NS6detail17trampoline_kernelINS0_14default_configENS1_27scan_by_key_config_selectorIj11FixedVectorIiLj4EEEEZZNS1_16scan_by_key_implILNS1_25lookback_scan_determinismE0ELb1ES3_N6thrust23THRUST_200600_302600_NS6detail15normal_iteratorINSB_10device_ptrIjEEEENSD_INSE_IS6_EEEESI_S6_NSB_4plusIvEENSB_8equal_toIvEES6_EE10hipError_tPvRmT2_T3_T4_T5_mT6_T7_P12ihipStream_tbENKUlT_T0_E_clISt17integral_constantIbLb0EES13_EEDaSY_SZ_EUlSY_E_NS1_11comp_targetILNS1_3genE5ELNS1_11target_archE942ELNS1_3gpuE9ELNS1_3repE0EEENS1_30default_config_static_selectorELNS0_4arch9wavefront6targetE1EEEvT1_,comdat
	.protected	_ZN7rocprim17ROCPRIM_400000_NS6detail17trampoline_kernelINS0_14default_configENS1_27scan_by_key_config_selectorIj11FixedVectorIiLj4EEEEZZNS1_16scan_by_key_implILNS1_25lookback_scan_determinismE0ELb1ES3_N6thrust23THRUST_200600_302600_NS6detail15normal_iteratorINSB_10device_ptrIjEEEENSD_INSE_IS6_EEEESI_S6_NSB_4plusIvEENSB_8equal_toIvEES6_EE10hipError_tPvRmT2_T3_T4_T5_mT6_T7_P12ihipStream_tbENKUlT_T0_E_clISt17integral_constantIbLb0EES13_EEDaSY_SZ_EUlSY_E_NS1_11comp_targetILNS1_3genE5ELNS1_11target_archE942ELNS1_3gpuE9ELNS1_3repE0EEENS1_30default_config_static_selectorELNS0_4arch9wavefront6targetE1EEEvT1_ ; -- Begin function _ZN7rocprim17ROCPRIM_400000_NS6detail17trampoline_kernelINS0_14default_configENS1_27scan_by_key_config_selectorIj11FixedVectorIiLj4EEEEZZNS1_16scan_by_key_implILNS1_25lookback_scan_determinismE0ELb1ES3_N6thrust23THRUST_200600_302600_NS6detail15normal_iteratorINSB_10device_ptrIjEEEENSD_INSE_IS6_EEEESI_S6_NSB_4plusIvEENSB_8equal_toIvEES6_EE10hipError_tPvRmT2_T3_T4_T5_mT6_T7_P12ihipStream_tbENKUlT_T0_E_clISt17integral_constantIbLb0EES13_EEDaSY_SZ_EUlSY_E_NS1_11comp_targetILNS1_3genE5ELNS1_11target_archE942ELNS1_3gpuE9ELNS1_3repE0EEENS1_30default_config_static_selectorELNS0_4arch9wavefront6targetE1EEEvT1_
	.globl	_ZN7rocprim17ROCPRIM_400000_NS6detail17trampoline_kernelINS0_14default_configENS1_27scan_by_key_config_selectorIj11FixedVectorIiLj4EEEEZZNS1_16scan_by_key_implILNS1_25lookback_scan_determinismE0ELb1ES3_N6thrust23THRUST_200600_302600_NS6detail15normal_iteratorINSB_10device_ptrIjEEEENSD_INSE_IS6_EEEESI_S6_NSB_4plusIvEENSB_8equal_toIvEES6_EE10hipError_tPvRmT2_T3_T4_T5_mT6_T7_P12ihipStream_tbENKUlT_T0_E_clISt17integral_constantIbLb0EES13_EEDaSY_SZ_EUlSY_E_NS1_11comp_targetILNS1_3genE5ELNS1_11target_archE942ELNS1_3gpuE9ELNS1_3repE0EEENS1_30default_config_static_selectorELNS0_4arch9wavefront6targetE1EEEvT1_
	.p2align	8
	.type	_ZN7rocprim17ROCPRIM_400000_NS6detail17trampoline_kernelINS0_14default_configENS1_27scan_by_key_config_selectorIj11FixedVectorIiLj4EEEEZZNS1_16scan_by_key_implILNS1_25lookback_scan_determinismE0ELb1ES3_N6thrust23THRUST_200600_302600_NS6detail15normal_iteratorINSB_10device_ptrIjEEEENSD_INSE_IS6_EEEESI_S6_NSB_4plusIvEENSB_8equal_toIvEES6_EE10hipError_tPvRmT2_T3_T4_T5_mT6_T7_P12ihipStream_tbENKUlT_T0_E_clISt17integral_constantIbLb0EES13_EEDaSY_SZ_EUlSY_E_NS1_11comp_targetILNS1_3genE5ELNS1_11target_archE942ELNS1_3gpuE9ELNS1_3repE0EEENS1_30default_config_static_selectorELNS0_4arch9wavefront6targetE1EEEvT1_,@function
_ZN7rocprim17ROCPRIM_400000_NS6detail17trampoline_kernelINS0_14default_configENS1_27scan_by_key_config_selectorIj11FixedVectorIiLj4EEEEZZNS1_16scan_by_key_implILNS1_25lookback_scan_determinismE0ELb1ES3_N6thrust23THRUST_200600_302600_NS6detail15normal_iteratorINSB_10device_ptrIjEEEENSD_INSE_IS6_EEEESI_S6_NSB_4plusIvEENSB_8equal_toIvEES6_EE10hipError_tPvRmT2_T3_T4_T5_mT6_T7_P12ihipStream_tbENKUlT_T0_E_clISt17integral_constantIbLb0EES13_EEDaSY_SZ_EUlSY_E_NS1_11comp_targetILNS1_3genE5ELNS1_11target_archE942ELNS1_3gpuE9ELNS1_3repE0EEENS1_30default_config_static_selectorELNS0_4arch9wavefront6targetE1EEEvT1_: ; @_ZN7rocprim17ROCPRIM_400000_NS6detail17trampoline_kernelINS0_14default_configENS1_27scan_by_key_config_selectorIj11FixedVectorIiLj4EEEEZZNS1_16scan_by_key_implILNS1_25lookback_scan_determinismE0ELb1ES3_N6thrust23THRUST_200600_302600_NS6detail15normal_iteratorINSB_10device_ptrIjEEEENSD_INSE_IS6_EEEESI_S6_NSB_4plusIvEENSB_8equal_toIvEES6_EE10hipError_tPvRmT2_T3_T4_T5_mT6_T7_P12ihipStream_tbENKUlT_T0_E_clISt17integral_constantIbLb0EES13_EEDaSY_SZ_EUlSY_E_NS1_11comp_targetILNS1_3genE5ELNS1_11target_archE942ELNS1_3gpuE9ELNS1_3repE0EEENS1_30default_config_static_selectorELNS0_4arch9wavefront6targetE1EEEvT1_
; %bb.0:
	s_load_dwordx8 s[60:67], s[0:1], 0x0
	s_load_dwordx4 s[68:71], s[0:1], 0x20
	s_load_dwordx8 s[52:59], s[0:1], 0x38
	s_load_dwordx2 s[76:77], s[0:1], 0x58
	s_load_dword s3, s[0:1], 0x60
	s_load_dwordx4 s[72:75], s[0:1], 0x68
	v_mov_b32_e32 v2, 0
	s_mov_b32 s0, 0
	v_mov_b32_e32 v3, v2
	v_mov_b32_e32 v4, v2
	;; [unrolled: 1-line block ×3, first 2 shown]
	s_waitcnt lgkmcnt(0)
	s_barrier
	scratch_store_dword off, v2, off offset:480
	scratch_store_dwordx4 off, v[2:5], off offset:464
.LBB2077_1:                             ; =>This Inner Loop Header: Depth=1
	s_add_i32 s1, s0, 0x1d0
	s_add_i32 s0, s0, 8
	s_cmp_lg_u32 s0, 16
	scratch_store_dwordx2 off, v[2:3], s1
	s_cbranch_scc1 .LBB2077_1
; %bb.2:
	v_mov_b32_e32 v2, 0
	v_mov_b32_e32 v1, 0x1d0
	s_mov_b32 s0, 20
	v_add_u32_e32 v26, 20, v1
	v_mov_b32_e32 v3, v2
	v_mov_b32_e32 v4, v2
	v_mov_b32_e32 v5, v2
	scratch_store_byte off, v2, off offset:480
	scratch_store_dword off, v2, off offset:500
	scratch_store_dwordx4 off, v[2:5], off offset:484
.LBB2077_3:                             ; =>This Inner Loop Header: Depth=1
	s_add_i32 s1, s0, 0x1d0
	s_add_i32 s0, s0, 8
	s_cmp_lg_u32 s0, 36
	scratch_store_dwordx2 off, v[2:3], s1
	s_cbranch_scc1 .LBB2077_3
; %bb.4:
	v_mov_b32_e32 v2, 0
	v_mov_b32_e32 v1, 0x1d0
	s_mov_b32 s0, 40
	v_add_u32_e32 v27, 40, v1
	v_mov_b32_e32 v3, v2
	v_mov_b32_e32 v4, v2
	v_mov_b32_e32 v5, v2
	scratch_store_byte off, v2, off offset:500
	;; [unrolled: 17-line block ×3, first 2 shown]
	scratch_store_dword off, v2, off offset:540
	scratch_store_dwordx4 off, v[2:5], off offset:524
.LBB2077_7:                             ; =>This Inner Loop Header: Depth=1
	s_add_i32 s1, s0, 0x1d0
	s_add_i32 s0, s0, 8
	s_cmpk_lg_i32 s0, 0x4c
	scratch_store_dwordx2 off, v[2:3], s1
	s_cbranch_scc1 .LBB2077_7
; %bb.8:
	v_mov_b32_e32 v2, 0
	v_mov_b32_e32 v1, 0x1d0
	s_movk_i32 s0, 0x50
	v_add_u32_e32 v29, 0x50, v1
	v_mov_b32_e32 v3, v2
	v_mov_b32_e32 v4, v2
	;; [unrolled: 1-line block ×3, first 2 shown]
	scratch_store_byte off, v2, off offset:540
	scratch_store_dword off, v2, off offset:560
	scratch_store_dwordx4 off, v[2:5], off offset:544
.LBB2077_9:                             ; =>This Inner Loop Header: Depth=1
	s_add_i32 s1, s0, 0x1d0
	s_add_i32 s0, s0, 8
	s_cmpk_lg_i32 s0, 0x60
	scratch_store_dwordx2 off, v[2:3], s1
	s_cbranch_scc1 .LBB2077_9
; %bb.10:
	v_mov_b32_e32 v2, 0
	v_mov_b32_e32 v1, 0x1d0
	s_movk_i32 s0, 0x64
	v_add_u32_e32 v30, 0x64, v1
	v_mov_b32_e32 v3, v2
	v_mov_b32_e32 v4, v2
	v_mov_b32_e32 v5, v2
	scratch_store_byte off, v2, off offset:560
	scratch_store_dword off, v2, off offset:580
	scratch_store_dwordx4 off, v[2:5], off offset:564
.LBB2077_11:                            ; =>This Inner Loop Header: Depth=1
	s_add_i32 s1, s0, 0x1d0
	s_add_i32 s0, s0, 8
	s_cmpk_lg_i32 s0, 0x74
	scratch_store_dwordx2 off, v[2:3], s1
	s_cbranch_scc1 .LBB2077_11
; %bb.12:
	v_mov_b32_e32 v2, 0
	v_mov_b32_e32 v1, 0x1d0
	s_movk_i32 s0, 0x78
	v_add_u32_e32 v31, 0x78, v1
	v_mov_b32_e32 v3, v2
	v_mov_b32_e32 v4, v2
	v_mov_b32_e32 v5, v2
	scratch_store_byte off, v2, off offset:580
	scratch_store_dword off, v2, off offset:600
	scratch_store_dwordx4 off, v[2:5], off offset:584
.LBB2077_13:                            ; =>This Inner Loop Header: Depth=1
	s_add_i32 s1, s0, 0x1d0
	s_add_i32 s0, s0, 8
	s_cmpk_lg_i32 s0, 0x88
	scratch_store_dwordx2 off, v[2:3], s1
	s_cbranch_scc1 .LBB2077_13
; %bb.14:
	v_mov_b32_e32 v2, 0
	v_mov_b32_e32 v1, 0x1d0
	s_movk_i32 s0, 0x8c
	v_add_u32_e32 v32, 0x8c, v1
	v_mov_b32_e32 v3, v2
	v_mov_b32_e32 v4, v2
	v_mov_b32_e32 v5, v2
	scratch_store_byte off, v2, off offset:600
	scratch_store_dword off, v2, off offset:620
	scratch_store_dwordx4 off, v[2:5], off offset:604
.LBB2077_15:                            ; =>This Inner Loop Header: Depth=1
	s_add_i32 s1, s0, 0x1d0
	s_add_i32 s0, s0, 8
	s_cmpk_lg_i32 s0, 0x9c
	scratch_store_dwordx2 off, v[2:3], s1
	s_cbranch_scc1 .LBB2077_15
; %bb.16:
	v_mov_b32_e32 v2, 0
	v_mov_b32_e32 v1, 0x1d0
	s_movk_i32 s0, 0xa0
	v_add_u32_e32 v33, 0xa0, v1
	v_mov_b32_e32 v3, v2
	v_mov_b32_e32 v4, v2
	v_mov_b32_e32 v5, v2
	scratch_store_byte off, v2, off offset:620
	scratch_store_dword off, v2, off offset:640
	scratch_store_dwordx4 off, v[2:5], off offset:624
.LBB2077_17:                            ; =>This Inner Loop Header: Depth=1
	s_add_i32 s1, s0, 0x1d0
	s_add_i32 s0, s0, 8
	s_cmpk_lg_i32 s0, 0xb0
	scratch_store_dwordx2 off, v[2:3], s1
	s_cbranch_scc1 .LBB2077_17
; %bb.18:
	v_mov_b32_e32 v2, 0
	v_mov_b32_e32 v1, 0x1d0
	s_movk_i32 s0, 0xb4
	v_add_u32_e32 v34, 0xb4, v1
	v_mov_b32_e32 v3, v2
	v_mov_b32_e32 v4, v2
	v_mov_b32_e32 v5, v2
	scratch_store_byte off, v2, off offset:640
	scratch_store_dword off, v2, off offset:660
	scratch_store_dwordx4 off, v[2:5], off offset:644
.LBB2077_19:                            ; =>This Inner Loop Header: Depth=1
	s_add_i32 s1, s0, 0x1d0
	s_add_i32 s0, s0, 8
	s_cmpk_lg_i32 s0, 0xc4
	scratch_store_dwordx2 off, v[2:3], s1
	s_cbranch_scc1 .LBB2077_19
; %bb.20:
	v_mov_b32_e32 v2, 0
	v_mov_b32_e32 v1, 0x1d0
	s_movk_i32 s0, 0xc8
	v_add_u32_e32 v35, 0xc8, v1
	v_mov_b32_e32 v3, v2
	v_mov_b32_e32 v4, v2
	v_mov_b32_e32 v5, v2
	scratch_store_byte off, v2, off offset:660
	scratch_store_dword off, v2, off offset:680
	scratch_store_dwordx4 off, v[2:5], off offset:664
.LBB2077_21:                            ; =>This Inner Loop Header: Depth=1
	s_add_i32 s1, s0, 0x1d0
	s_add_i32 s0, s0, 8
	s_cmpk_lg_i32 s0, 0xd8
	scratch_store_dwordx2 off, v[2:3], s1
	s_cbranch_scc1 .LBB2077_21
; %bb.22:
	v_mov_b32_e32 v2, 0
	v_mov_b32_e32 v1, 0x1d0
	s_movk_i32 s0, 0xdc
	v_add_u32_e32 v36, 0xdc, v1
	v_mov_b32_e32 v3, v2
	v_mov_b32_e32 v4, v2
	v_mov_b32_e32 v5, v2
	scratch_store_byte off, v2, off offset:680
	scratch_store_dword off, v2, off offset:700
	scratch_store_dwordx4 off, v[2:5], off offset:684
.LBB2077_23:                            ; =>This Inner Loop Header: Depth=1
	s_add_i32 s1, s0, 0x1d0
	s_add_i32 s0, s0, 8
	s_cmpk_lg_i32 s0, 0xec
	scratch_store_dwordx2 off, v[2:3], s1
	s_cbranch_scc1 .LBB2077_23
; %bb.24:
	v_mov_b32_e32 v2, 0
	v_mov_b32_e32 v1, 0x1d0
	s_movk_i32 s0, 0xf0
	v_add_u32_e32 v37, 0xf0, v1
	v_mov_b32_e32 v3, v2
	v_mov_b32_e32 v4, v2
	v_mov_b32_e32 v5, v2
	scratch_store_byte off, v2, off offset:700
	scratch_store_dword off, v2, off offset:720
	scratch_store_dwordx4 off, v[2:5], off offset:704
.LBB2077_25:                            ; =>This Inner Loop Header: Depth=1
	s_add_i32 s1, s0, 0x1d0
	s_add_i32 s0, s0, 8
	s_cmpk_lg_i32 s0, 0x100
	scratch_store_dwordx2 off, v[2:3], s1
	s_cbranch_scc1 .LBB2077_25
; %bb.26:
	v_mov_b32_e32 v2, 0
	v_mov_b32_e32 v1, 0x1d0
	s_movk_i32 s0, 0x104
	v_add_u32_e32 v38, 0x104, v1
	v_mov_b32_e32 v3, v2
	v_mov_b32_e32 v4, v2
	v_mov_b32_e32 v5, v2
	scratch_store_byte off, v2, off offset:720
	scratch_store_dword off, v2, off offset:740
	scratch_store_dwordx4 off, v[2:5], off offset:724
.LBB2077_27:                            ; =>This Inner Loop Header: Depth=1
	s_add_i32 s1, s0, 0x1d0
	s_add_i32 s0, s0, 8
	s_cmpk_lg_i32 s0, 0x114
	scratch_store_dwordx2 off, v[2:3], s1
	s_cbranch_scc1 .LBB2077_27
; %bb.28:
	v_mov_b32_e32 v2, 0
	v_mov_b32_e32 v1, 0x1d0
	s_movk_i32 s0, 0x118
	v_add_u32_e32 v39, 0x118, v1
	v_mov_b32_e32 v3, v2
	v_mov_b32_e32 v4, v2
	v_mov_b32_e32 v5, v2
	scratch_store_byte off, v2, off offset:740
	scratch_store_dword off, v2, off offset:760
	scratch_store_dwordx4 off, v[2:5], off offset:744
.LBB2077_29:                            ; =>This Inner Loop Header: Depth=1
	s_add_i32 s1, s0, 0x1d0
	s_add_i32 s0, s0, 8
	s_cmpk_lg_i32 s0, 0x128
	scratch_store_dwordx2 off, v[2:3], s1
	s_cbranch_scc1 .LBB2077_29
; %bb.30:
	v_mov_b32_e32 v2, 0
	v_mov_b32_e32 v1, 0x1d0
	s_movk_i32 s0, 0x12c
	v_add_u32_e32 v40, 0x12c, v1
	v_mov_b32_e32 v3, v2
	v_mov_b32_e32 v4, v2
	v_mov_b32_e32 v5, v2
	scratch_store_byte off, v2, off offset:760
	scratch_store_dword off, v2, off offset:780
	scratch_store_dwordx4 off, v[2:5], off offset:764
.LBB2077_31:                            ; =>This Inner Loop Header: Depth=1
	s_add_i32 s1, s0, 0x1d0
	s_add_i32 s0, s0, 8
	s_cmpk_lg_i32 s0, 0x13c
	scratch_store_dwordx2 off, v[2:3], s1
	s_cbranch_scc1 .LBB2077_31
; %bb.32:
	v_mov_b32_e32 v2, 0
	v_mov_b32_e32 v1, 0x1d0
	s_movk_i32 s0, 0x140
	v_add_u32_e32 v41, 0x140, v1
	v_mov_b32_e32 v3, v2
	v_mov_b32_e32 v4, v2
	v_mov_b32_e32 v5, v2
	scratch_store_byte off, v2, off offset:780
	scratch_store_dword off, v2, off offset:800
	scratch_store_dwordx4 off, v[2:5], off offset:784
.LBB2077_33:                            ; =>This Inner Loop Header: Depth=1
	s_add_i32 s1, s0, 0x1d0
	s_add_i32 s0, s0, 8
	s_cmpk_lg_i32 s0, 0x150
	scratch_store_dwordx2 off, v[2:3], s1
	s_cbranch_scc1 .LBB2077_33
; %bb.34:
	v_mov_b32_e32 v2, 0
	v_mov_b32_e32 v1, 0x1d0
	s_movk_i32 s0, 0x154
	v_add_u32_e32 v42, 0x154, v1
	v_mov_b32_e32 v3, v2
	v_mov_b32_e32 v4, v2
	v_mov_b32_e32 v5, v2
	scratch_store_byte off, v2, off offset:800
	scratch_store_dword off, v2, off offset:820
	scratch_store_dwordx4 off, v[2:5], off offset:804
.LBB2077_35:                            ; =>This Inner Loop Header: Depth=1
	s_add_i32 s1, s0, 0x1d0
	s_add_i32 s0, s0, 8
	s_cmpk_lg_i32 s0, 0x164
	scratch_store_dwordx2 off, v[2:3], s1
	s_cbranch_scc1 .LBB2077_35
; %bb.36:
	v_mov_b32_e32 v2, 0
	v_mov_b32_e32 v1, 0x1d0
	s_movk_i32 s0, 0x168
	v_add_u32_e32 v43, 0x168, v1
	v_mov_b32_e32 v3, v2
	v_mov_b32_e32 v4, v2
	v_mov_b32_e32 v5, v2
	scratch_store_byte off, v2, off offset:820
	scratch_store_dword off, v2, off offset:840
	scratch_store_dwordx4 off, v[2:5], off offset:824
.LBB2077_37:                            ; =>This Inner Loop Header: Depth=1
	s_add_i32 s1, s0, 0x1d0
	s_add_i32 s0, s0, 8
	s_cmpk_lg_i32 s0, 0x178
	scratch_store_dwordx2 off, v[2:3], s1
	s_cbranch_scc1 .LBB2077_37
; %bb.38:
	v_mov_b32_e32 v2, 0
	v_mov_b32_e32 v1, 0x1d0
	s_movk_i32 s0, 0x17c
	v_add_u32_e32 v44, 0x17c, v1
	v_mov_b32_e32 v3, v2
	v_mov_b32_e32 v4, v2
	v_mov_b32_e32 v5, v2
	scratch_store_byte off, v2, off offset:840
	scratch_store_dword off, v2, off offset:860
	scratch_store_dwordx4 off, v[2:5], off offset:844
.LBB2077_39:                            ; =>This Inner Loop Header: Depth=1
	s_add_i32 s1, s0, 0x1d0
	s_add_i32 s0, s0, 8
	s_cmpk_lg_i32 s0, 0x18c
	scratch_store_dwordx2 off, v[2:3], s1
	s_cbranch_scc1 .LBB2077_39
; %bb.40:
	v_mov_b32_e32 v2, 0
	v_mov_b32_e32 v1, 0x1d0
	s_movk_i32 s0, 0x190
	v_add_u32_e32 v45, 0x190, v1
	v_mov_b32_e32 v3, v2
	v_mov_b32_e32 v4, v2
	v_mov_b32_e32 v5, v2
	scratch_store_byte off, v2, off offset:860
	scratch_store_dword off, v2, off offset:880
	scratch_store_dwordx4 off, v[2:5], off offset:864
.LBB2077_41:                            ; =>This Inner Loop Header: Depth=1
	s_add_i32 s1, s0, 0x1d0
	s_add_i32 s0, s0, 8
	s_cmpk_lg_i32 s0, 0x1a0
	scratch_store_dwordx2 off, v[2:3], s1
	s_cbranch_scc1 .LBB2077_41
; %bb.42:
	v_mov_b32_e32 v2, 0
	v_mov_b32_e32 v1, 0x1d0
	s_movk_i32 s0, 0x1a4
	v_add_u32_e32 v46, 0x1a4, v1
	v_mov_b32_e32 v3, v2
	v_mov_b32_e32 v4, v2
	v_mov_b32_e32 v5, v2
	scratch_store_byte off, v2, off offset:880
	scratch_store_dword off, v2, off offset:900
	scratch_store_dwordx4 off, v[2:5], off offset:884
.LBB2077_43:                            ; =>This Inner Loop Header: Depth=1
	s_add_i32 s1, s0, 0x1d0
	s_add_i32 s0, s0, 8
	s_cmpk_lg_i32 s0, 0x1b4
	scratch_store_dwordx2 off, v[2:3], s1
	s_cbranch_scc1 .LBB2077_43
; %bb.44:
	v_mov_b32_e32 v2, 0
	v_mov_b32_e32 v1, 0x1d0
	s_movk_i32 s0, 0x1b8
	v_add_u32_e32 v47, 0x1b8, v1
	v_mov_b32_e32 v3, v2
	v_mov_b32_e32 v4, v2
	v_mov_b32_e32 v5, v2
	scratch_store_byte off, v2, off offset:900
	scratch_store_dword off, v2, off offset:920
	scratch_store_dwordx4 off, v[2:5], off offset:904
.LBB2077_45:                            ; =>This Inner Loop Header: Depth=1
	s_add_i32 s1, s0, 0x1d0
	s_add_i32 s0, s0, 8
	s_cmpk_lg_i32 s0, 0x1c8
	scratch_store_dwordx2 off, v[2:3], s1
	s_cbranch_scc1 .LBB2077_45
; %bb.46:
	v_mov_b32_e32 v2, 0
	v_mov_b64_e32 v[4:5], s[68:69]
	s_mov_b32 s0, 0
	v_mov_b64_e32 v[6:7], s[70:71]
	v_mov_b32_e32 v3, v2
	scratch_store_byte off, v2, off offset:920
	scratch_store_dwordx4 off, v[4:7], off offset:368
.LBB2077_47:                            ; =>This Inner Loop Header: Depth=1
	s_add_i32 s1, s0, 0
	s_add_i32 s0, s0, 8
	s_cmp_lg_u32 s0, 16
	scratch_store_dwordx2 off, v[2:3], s1
	s_cbranch_scc1 .LBB2077_47
; %bb.48:
	v_mov_b32_e32 v2, 0
	s_mov_b32 s0, 16
	v_mov_b32_e32 v3, v2
.LBB2077_49:                            ; =>This Inner Loop Header: Depth=1
	s_add_i32 s1, s0, 0
	s_add_i32 s0, s0, 8
	s_cmp_lg_u32 s0, 32
	scratch_store_dwordx2 off, v[2:3], s1
	s_cbranch_scc1 .LBB2077_49
; %bb.50:
	v_mov_b32_e32 v2, 0
	s_mov_b32 s0, 32
	v_mov_b32_e32 v3, v2
	;; [unrolled: 10-line block ×4, first 2 shown]
.LBB2077_55:                            ; =>This Inner Loop Header: Depth=1
	s_add_i32 s1, s0, 0
	s_add_i32 s0, s0, 8
	s_cmpk_lg_i32 s0, 0x50
	scratch_store_dwordx2 off, v[2:3], s1
	s_cbranch_scc1 .LBB2077_55
; %bb.56:
	v_mov_b32_e32 v2, 0
	s_movk_i32 s0, 0x50
	v_mov_b32_e32 v3, v2
.LBB2077_57:                            ; =>This Inner Loop Header: Depth=1
	s_add_i32 s1, s0, 0
	s_add_i32 s0, s0, 8
	s_cmpk_lg_i32 s0, 0x60
	scratch_store_dwordx2 off, v[2:3], s1
	s_cbranch_scc1 .LBB2077_57
; %bb.58:
	v_mov_b32_e32 v2, 0
	s_movk_i32 s0, 0x60
	v_mov_b32_e32 v3, v2
	;; [unrolled: 10-line block ×18, first 2 shown]
.LBB2077_91:                            ; =>This Inner Loop Header: Depth=1
	s_add_i32 s1, s0, 0
	s_add_i32 s0, s0, 8
	s_cmpk_lg_i32 s0, 0x170
	scratch_store_dwordx2 off, v[2:3], s1
	s_cbranch_scc1 .LBB2077_91
; %bb.92:
	s_lshl_b64 s[0:1], s[62:63], 2
	s_add_u32 s6, s60, s0
	s_addc_u32 s7, s61, s1
	s_lshl_b64 s[60:61], s[62:63], 4
	s_add_u32 s8, s64, s60
	s_mul_i32 s1, s77, s3
	s_mul_hi_u32 s4, s76, s3
	s_mul_i32 s0, s2, 0xb80
	s_addc_u32 s9, s65, s61
	s_add_i32 s10, s4, s1
	s_mov_b32 s1, 0
	s_lshl_b64 s[4:5], s[0:1], 2
	s_add_u32 s78, s6, s4
	s_addc_u32 s79, s7, s5
	s_lshl_b64 s[62:63], s[0:1], 4
	s_add_u32 s64, s8, s62
	s_mul_i32 s3, s76, s3
	s_addc_u32 s65, s9, s63
	s_add_u32 s0, s3, s2
	s_addc_u32 s1, s10, 0
	s_add_u32 s4, s72, -1
	v_mov_b32_e32 v2, 0
	s_addc_u32 s5, s73, -1
	v_add_u32_e32 v1, 0x160, v2
	v_add_u32_e32 v48, 0x150, v2
	;; [unrolled: 1-line block ×22, first 2 shown]
	v_mov_b64_e32 v[2:3], s[4:5]
	v_cmp_ge_u64_e64 s[0:1], s[0:1], v[2:3]
	s_mov_b64 s[6:7], -1
	s_and_b64 vcc, exec, s[0:1]
	s_mul_i32 s33, s4, 0xfffff480
	s_cbranch_vccz .LBB2077_210
; %bb.93:
	v_mov_b64_e32 v[2:3], s[78:79]
	flat_load_dword v2, v[2:3]
	s_add_i32 s3, s33, s58
	v_cmp_gt_u32_e32 vcc, s3, v0
	s_waitcnt vmcnt(0) lgkmcnt(0)
	v_mov_b32_e32 v3, v2
	s_and_saveexec_b64 s[4:5], vcc
	s_cbranch_execz .LBB2077_95
; %bb.94:
	v_lshlrev_b32_e32 v4, 2, v0
	v_mov_b32_e32 v5, 0
	v_lshl_add_u64 v[4:5], s[78:79], 0, v[4:5]
	flat_load_dword v3, v[4:5]
.LBB2077_95:
	s_or_b64 exec, exec, s[4:5]
	v_or_b32_e32 v4, 0x80, v0
	v_cmp_gt_u32_e64 s[48:49], s3, v4
	v_mov_b32_e32 v4, v2
	s_and_saveexec_b64 s[4:5], s[48:49]
	s_cbranch_execz .LBB2077_97
; %bb.96:
	v_lshlrev_b32_e32 v4, 2, v0
	v_mov_b32_e32 v5, 0
	v_lshl_add_u64 v[4:5], s[78:79], 0, v[4:5]
	flat_load_dword v4, v[4:5] offset:512
.LBB2077_97:
	s_or_b64 exec, exec, s[4:5]
	v_or_b32_e32 v71, 0x100, v0
	v_cmp_gt_u32_e64 s[4:5], s3, v71
	v_mov_b32_e32 v5, v2
	s_and_saveexec_b64 s[6:7], s[4:5]
	s_cbranch_execz .LBB2077_99
; %bb.98:
	v_lshlrev_b32_e32 v6, 2, v0
	v_mov_b32_e32 v7, 0
	v_lshl_add_u64 v[6:7], s[78:79], 0, v[6:7]
	flat_load_dword v5, v[6:7] offset:1024
.LBB2077_99:
	;; [unrolled: 12-line block ×7, first 2 shown]
	s_or_b64 exec, exec, s[16:17]
	v_or_b32_e32 v77, 0x400, v0
	v_cmp_gt_u32_e64 s[16:17], s3, v77
	v_mov_b32_e32 v11, v2
	s_and_saveexec_b64 s[18:19], s[16:17]
	s_cbranch_execz .LBB2077_111
; %bb.110:
	v_lshlrev_b32_e32 v12, 2, v77
	v_mov_b32_e32 v13, 0
	v_lshl_add_u64 v[12:13], s[78:79], 0, v[12:13]
	flat_load_dword v11, v[12:13]
.LBB2077_111:
	s_or_b64 exec, exec, s[18:19]
	v_or_b32_e32 v78, 0x480, v0
	v_cmp_gt_u32_e64 s[18:19], s3, v78
	v_mov_b32_e32 v12, v2
	s_and_saveexec_b64 s[20:21], s[18:19]
	s_cbranch_execz .LBB2077_113
; %bb.112:
	v_lshlrev_b32_e32 v12, 2, v78
	v_mov_b32_e32 v13, 0
	v_lshl_add_u64 v[12:13], s[78:79], 0, v[12:13]
	flat_load_dword v12, v[12:13]
.LBB2077_113:
	;; [unrolled: 12-line block ×14, first 2 shown]
	s_or_b64 exec, exec, s[46:47]
	v_or_b32_e32 v91, 0xb00, v0
	v_cmp_gt_u32_e64 s[46:47], s3, v91
	s_and_saveexec_b64 s[50:51], s[46:47]
	s_cbranch_execz .LBB2077_139
; %bb.138:
	v_lshlrev_b32_e32 v92, 2, v91
	v_mov_b32_e32 v93, 0
	v_lshl_add_u64 v[92:93], s[78:79], 0, v[92:93]
	flat_load_dword v2, v[92:93]
.LBB2077_139:
	s_or_b64 exec, exec, s[50:51]
	v_lshlrev_b32_e32 v24, 2, v0
	s_waitcnt vmcnt(0) lgkmcnt(0)
	ds_write2st64_b32 v24, v3, v4 offset1:2
	ds_write2st64_b32 v24, v5, v6 offset0:4 offset1:6
	ds_write2st64_b32 v24, v7, v8 offset0:8 offset1:10
	;; [unrolled: 1-line block ×10, first 2 shown]
	ds_write_b32 v24, v2 offset:11264
	v_mov_b64_e32 v[2:3], s[78:79]
	s_waitcnt lgkmcnt(0)
	s_barrier
	flat_load_dword v69, v[2:3]
	s_movk_i32 s50, 0x58
	v_mad_u32_u24 v25, v0, s50, v24
	s_movk_i32 s50, 0xffa8
	ds_read_b32 v70, v25
	ds_read2_b32 v[22:23], v25 offset0:1 offset1:2
	ds_read2_b32 v[20:21], v25 offset0:3 offset1:4
	;; [unrolled: 1-line block ×11, first 2 shown]
	v_mad_i32_i24 v25, v0, s50, v25
	s_movk_i32 s50, 0x7f
	v_cmp_ne_u32_e64 s[50:51], s50, v0
	s_waitcnt lgkmcnt(0)
	ds_write_b32 v25, v70 offset:12288
	s_waitcnt lgkmcnt(0)
	s_barrier
	s_and_saveexec_b64 s[72:73], s[50:51]
	s_cbranch_execz .LBB2077_141
; %bb.140:
	s_waitcnt vmcnt(0)
	ds_read_b32 v69, v24 offset:12292
.LBB2077_141:
	s_or_b64 exec, exec, s[72:73]
	v_mov_b32_e32 v25, 0
	s_waitcnt lgkmcnt(0)
	s_barrier
	s_and_saveexec_b64 s[50:51], vcc
	s_cbranch_execnz .LBB2077_1244
; %bb.142:
	s_or_b64 exec, exec, s[50:51]
	s_and_saveexec_b64 s[50:51], s[48:49]
	s_cbranch_execnz .LBB2077_1245
.LBB2077_143:
	s_or_b64 exec, exec, s[50:51]
	s_and_saveexec_b64 s[48:49], s[4:5]
	s_cbranch_execnz .LBB2077_1246
.LBB2077_144:
	s_or_b64 exec, exec, s[48:49]
	s_and_saveexec_b64 s[4:5], s[6:7]
	s_cbranch_execnz .LBB2077_1247
.LBB2077_145:
	s_or_b64 exec, exec, s[4:5]
	s_and_saveexec_b64 s[4:5], s[8:9]
	s_cbranch_execnz .LBB2077_1248
.LBB2077_146:
	s_or_b64 exec, exec, s[4:5]
	s_and_saveexec_b64 s[4:5], s[10:11]
	s_cbranch_execnz .LBB2077_1249
.LBB2077_147:
	s_or_b64 exec, exec, s[4:5]
	s_and_saveexec_b64 s[4:5], s[12:13]
	s_cbranch_execnz .LBB2077_1250
.LBB2077_148:
	s_or_b64 exec, exec, s[4:5]
	s_and_saveexec_b64 s[4:5], s[14:15]
	s_cbranch_execnz .LBB2077_1251
.LBB2077_149:
	s_or_b64 exec, exec, s[4:5]
	s_and_saveexec_b64 s[4:5], s[16:17]
	s_cbranch_execnz .LBB2077_1252
.LBB2077_150:
	s_or_b64 exec, exec, s[4:5]
	s_and_saveexec_b64 s[4:5], s[18:19]
	s_cbranch_execnz .LBB2077_1253
.LBB2077_151:
	s_or_b64 exec, exec, s[4:5]
	s_and_saveexec_b64 s[4:5], s[20:21]
	s_cbranch_execnz .LBB2077_1254
.LBB2077_152:
	s_or_b64 exec, exec, s[4:5]
	s_and_saveexec_b64 s[4:5], s[22:23]
	s_cbranch_execnz .LBB2077_1255
.LBB2077_153:
	s_or_b64 exec, exec, s[4:5]
	s_and_saveexec_b64 s[4:5], s[24:25]
	s_cbranch_execnz .LBB2077_1256
.LBB2077_154:
	s_or_b64 exec, exec, s[4:5]
	s_and_saveexec_b64 s[4:5], s[26:27]
	s_cbranch_execnz .LBB2077_1257
.LBB2077_155:
	s_or_b64 exec, exec, s[4:5]
	s_and_saveexec_b64 s[4:5], s[28:29]
	s_cbranch_execnz .LBB2077_1258
.LBB2077_156:
	s_or_b64 exec, exec, s[4:5]
	s_and_saveexec_b64 s[4:5], s[30:31]
	s_cbranch_execnz .LBB2077_1259
.LBB2077_157:
	s_or_b64 exec, exec, s[4:5]
	s_and_saveexec_b64 s[4:5], s[34:35]
	s_cbranch_execnz .LBB2077_1260
.LBB2077_158:
	s_or_b64 exec, exec, s[4:5]
	s_and_saveexec_b64 s[4:5], s[36:37]
	s_cbranch_execnz .LBB2077_1261
.LBB2077_159:
	s_or_b64 exec, exec, s[4:5]
	s_and_saveexec_b64 s[4:5], s[38:39]
	s_cbranch_execnz .LBB2077_1262
.LBB2077_160:
	s_or_b64 exec, exec, s[4:5]
	s_and_saveexec_b64 s[4:5], s[40:41]
	s_cbranch_execnz .LBB2077_1263
.LBB2077_161:
	s_or_b64 exec, exec, s[4:5]
	s_and_saveexec_b64 s[4:5], s[42:43]
	s_cbranch_execnz .LBB2077_1264
.LBB2077_162:
	s_or_b64 exec, exec, s[4:5]
	s_and_saveexec_b64 s[4:5], s[44:45]
	s_cbranch_execnz .LBB2077_1265
.LBB2077_163:
	s_or_b64 exec, exec, s[4:5]
	v_mul_u32_u24_e32 v24, 23, v0
	s_and_saveexec_b64 s[4:5], s[46:47]
	s_cbranch_execz .LBB2077_165
.LBB2077_164:
	v_lshlrev_b32_e32 v72, 4, v91
	v_mov_b32_e32 v73, 0
	v_lshl_add_u64 v[72:73], s[64:65], 0, v[72:73]
	flat_load_dwordx4 v[72:75], v[72:73]
	s_waitcnt vmcnt(0) lgkmcnt(0)
	scratch_store_dwordx4 off, v[72:75], off offset:352
.LBB2077_165:
	s_or_b64 exec, exec, s[4:5]
	scratch_load_dwordx4 v[72:75], off, off
	scratch_load_dwordx4 v[76:79], v68, off
	scratch_load_dwordx4 v[80:83], v67, off
	;; [unrolled: 1-line block ×22, first 2 shown]
	v_lshlrev_b32_e32 v25, 4, v0
	s_movk_i32 s4, 0x160
	v_mad_u32_u24 v71, v0, s4, v25
	v_cmp_gt_u32_e32 vcc, s3, v24
	s_mov_b64 s[6:7], 0
	s_mov_b64 s[10:11], 0
                                        ; implicit-def: $sgpr4_sgpr5
	s_waitcnt vmcnt(0)
	ds_write_b128 v25, v[72:75]
	ds_write_b128 v25, v[76:79] offset:2048
	ds_write_b128 v25, v[80:83] offset:4096
	;; [unrolled: 1-line block ×22, first 2 shown]
	s_waitcnt lgkmcnt(0)
	s_barrier
	ds_read_b128 v[72:75], v71
	ds_read_b128 v[76:79], v71 offset:16
	ds_read_b128 v[80:83], v71 offset:32
	;; [unrolled: 1-line block ×17, first 2 shown]
	s_waitcnt lgkmcnt(14)
	scratch_store_dwordx4 off, v[72:75], off
	scratch_store_dwordx4 v68, v[76:79], off
	scratch_store_dwordx4 v67, v[80:83], off
	;; [unrolled: 1-line block ×3, first 2 shown]
	s_waitcnt lgkmcnt(13)
	scratch_store_dwordx4 v65, v[88:91], off
	s_waitcnt lgkmcnt(12)
	scratch_store_dwordx4 v64, v[92:95], off
	;; [unrolled: 2-line block ×14, first 2 shown]
	ds_read_b128 v[72:75], v71 offset:288
	ds_read_b128 v[76:79], v71 offset:304
	ds_read_b128 v[80:83], v71 offset:320
	ds_read_b128 v[84:87], v71 offset:336
	ds_read_b128 v[88:91], v71 offset:352
	s_waitcnt lgkmcnt(4)
	scratch_store_dwordx4 v51, v[72:75], off
	s_waitcnt lgkmcnt(3)
	scratch_store_dwordx4 v50, v[76:79], off
	;; [unrolled: 2-line block ×5, first 2 shown]
	s_and_saveexec_b64 s[8:9], vcc
	s_cbranch_execz .LBB2077_209
; %bb.166:
	v_cmp_ne_u32_e32 vcc, v70, v22
	v_mov_b32_e32 v25, 0x170
	v_mov_b32_e32 v70, 0
	v_cndmask_b32_e32 v70, v70, v25, vcc
	scratch_load_dwordx4 v[70:73], v70, off
	v_add_u32_e32 v75, 1, v24
	v_cndmask_b32_e64 v74, 0, 1, vcc
	v_cmp_gt_u32_e32 vcc, s3, v75
	s_mov_b64 s[12:13], 0
	scratch_store_byte off, v74, off offset:480
                                        ; implicit-def: $sgpr14_sgpr15
	s_waitcnt vmcnt(1)
	scratch_store_dwordx4 off, v[70:73], off offset:464
	s_and_saveexec_b64 s[10:11], vcc
	s_cbranch_execz .LBB2077_208
; %bb.167:
	v_cmp_ne_u32_e32 vcc, v22, v23
	s_mov_b64 s[4:5], 0
                                        ; implicit-def: $sgpr14_sgpr15
	s_nop 0
	v_cndmask_b32_e32 v25, v68, v25, vcc
	scratch_load_dwordx4 v[70:73], v25, off
	v_add_u32_e32 v25, 2, v24
	v_cndmask_b32_e64 v22, 0, 1, vcc
	v_cmp_gt_u32_e32 vcc, s3, v25
	scratch_store_byte off, v22, off offset:500
	s_waitcnt vmcnt(1)
	scratch_store_dwordx4 v26, v[70:73], off
	s_and_saveexec_b64 s[12:13], vcc
	s_cbranch_execz .LBB2077_207
; %bb.168:
	v_cmp_ne_u32_e32 vcc, v23, v20
	v_mov_b32_e32 v22, 0x170
                                        ; implicit-def: $sgpr16_sgpr17
	s_nop 0
	v_cndmask_b32_e32 v25, v67, v22, vcc
	scratch_load_dwordx4 v[70:73], v25, off
	v_add_u32_e32 v25, 3, v24
	v_cndmask_b32_e64 v23, 0, 1, vcc
	v_cmp_gt_u32_e32 vcc, s3, v25
	scratch_store_byte off, v23, off offset:520
	s_waitcnt vmcnt(1)
	scratch_store_dwordx4 v27, v[70:73], off
	s_and_saveexec_b64 s[14:15], vcc
	s_cbranch_execz .LBB2077_206
; %bb.169:
	v_cmp_ne_u32_e32 vcc, v20, v21
                                        ; implicit-def: $sgpr18_sgpr19
	s_nop 1
	v_cndmask_b32_e32 v22, v66, v22, vcc
	scratch_load_dwordx4 v[70:73], v22, off
	v_add_u32_e32 v22, 4, v24
	v_cndmask_b32_e64 v20, 0, 1, vcc
	v_cmp_gt_u32_e32 vcc, s3, v22
	scratch_store_byte off, v20, off offset:540
	s_waitcnt vmcnt(1)
	scratch_store_dwordx4 v28, v[70:73], off
	s_and_saveexec_b64 s[16:17], vcc
	s_cbranch_execz .LBB2077_205
; %bb.170:
	v_cmp_ne_u32_e32 vcc, v21, v18
	v_mov_b32_e32 v20, 0x170
                                        ; implicit-def: $sgpr20_sgpr21
	s_nop 0
	v_cndmask_b32_e32 v22, v65, v20, vcc
	scratch_load_dwordx4 v[70:73], v22, off
	v_add_u32_e32 v22, 5, v24
	v_cndmask_b32_e64 v21, 0, 1, vcc
	v_cmp_gt_u32_e32 vcc, s3, v22
	scratch_store_byte off, v21, off offset:560
	s_waitcnt vmcnt(1)
	scratch_store_dwordx4 v29, v[70:73], off
	s_and_saveexec_b64 s[18:19], vcc
	s_cbranch_execz .LBB2077_204
; %bb.171:
	v_cmp_ne_u32_e32 vcc, v18, v19
	v_add_u32_e32 v25, 6, v24
                                        ; implicit-def: $sgpr22_sgpr23
	s_nop 0
	v_cndmask_b32_e32 v20, v64, v20, vcc
	scratch_load_dwordx4 v[20:23], v20, off
	v_cndmask_b32_e64 v18, 0, 1, vcc
	v_cmp_gt_u32_e32 vcc, s3, v25
	scratch_store_byte off, v18, off offset:580
	s_waitcnt vmcnt(1)
	scratch_store_dwordx4 v30, v[20:23], off
	s_and_saveexec_b64 s[20:21], vcc
	s_cbranch_execz .LBB2077_203
; %bb.172:
	v_cmp_ne_u32_e32 vcc, v19, v16
	v_mov_b32_e32 v18, 0x170
	v_add_u32_e32 v25, 7, v24
	v_cndmask_b32_e32 v20, v63, v18, vcc
	scratch_load_dwordx4 v[20:23], v20, off
	v_cndmask_b32_e64 v19, 0, 1, vcc
	v_cmp_gt_u32_e32 vcc, s3, v25
	scratch_store_byte off, v19, off offset:600
                                        ; implicit-def: $sgpr24_sgpr25
	s_waitcnt vmcnt(1)
	scratch_store_dwordx4 v31, v[20:23], off
	s_and_saveexec_b64 s[22:23], vcc
	s_cbranch_execz .LBB2077_202
; %bb.173:
	v_cmp_ne_u32_e32 vcc, v16, v17
	v_add_u32_e32 v22, 8, v24
                                        ; implicit-def: $sgpr26_sgpr27
	s_nop 0
	v_cndmask_b32_e32 v18, v62, v18, vcc
	scratch_load_dwordx4 v[18:21], v18, off
	v_cndmask_b32_e64 v16, 0, 1, vcc
	v_cmp_gt_u32_e32 vcc, s3, v22
	scratch_store_byte off, v16, off offset:620
	s_waitcnt vmcnt(1)
	scratch_store_dwordx4 v32, v[18:21], off
	s_and_saveexec_b64 s[24:25], vcc
	s_cbranch_execz .LBB2077_201
; %bb.174:
	v_cmp_ne_u32_e32 vcc, v17, v14
	v_mov_b32_e32 v16, 0x170
	v_add_u32_e32 v22, 9, v24
	v_cndmask_b32_e32 v18, v61, v16, vcc
	scratch_load_dwordx4 v[18:21], v18, off
	v_cndmask_b32_e64 v17, 0, 1, vcc
	v_cmp_gt_u32_e32 vcc, s3, v22
	scratch_store_byte off, v17, off offset:640
                                        ; implicit-def: $sgpr28_sgpr29
	s_waitcnt vmcnt(1)
	scratch_store_dwordx4 v33, v[18:21], off
	s_and_saveexec_b64 s[26:27], vcc
	s_cbranch_execz .LBB2077_200
; %bb.175:
	v_cmp_ne_u32_e32 vcc, v14, v15
	v_add_u32_e32 v20, 10, v24
                                        ; implicit-def: $sgpr30_sgpr31
	s_nop 0
	v_cndmask_b32_e32 v16, v60, v16, vcc
	scratch_load_dwordx4 v[16:19], v16, off
	v_cndmask_b32_e64 v14, 0, 1, vcc
	v_cmp_gt_u32_e32 vcc, s3, v20
	scratch_store_byte off, v14, off offset:660
	s_waitcnt vmcnt(1)
	scratch_store_dwordx4 v34, v[16:19], off
	s_and_saveexec_b64 s[28:29], vcc
	s_cbranch_execz .LBB2077_199
; %bb.176:
	v_cmp_ne_u32_e32 vcc, v15, v12
	v_mov_b32_e32 v14, 0x170
	v_add_u32_e32 v20, 11, v24
	v_cndmask_b32_e32 v16, v59, v14, vcc
	scratch_load_dwordx4 v[16:19], v16, off
	v_cndmask_b32_e64 v15, 0, 1, vcc
	v_cmp_gt_u32_e32 vcc, s3, v20
	scratch_store_byte off, v15, off offset:680
                                        ; implicit-def: $sgpr34_sgpr35
	s_waitcnt vmcnt(1)
	scratch_store_dwordx4 v35, v[16:19], off
	s_and_saveexec_b64 s[30:31], vcc
	s_cbranch_execz .LBB2077_198
; %bb.177:
	v_cmp_ne_u32_e32 vcc, v12, v13
	v_add_u32_e32 v18, 12, v24
                                        ; implicit-def: $sgpr36_sgpr37
	s_nop 0
	v_cndmask_b32_e32 v14, v58, v14, vcc
	scratch_load_dwordx4 v[14:17], v14, off
	v_cndmask_b32_e64 v12, 0, 1, vcc
	v_cmp_gt_u32_e32 vcc, s3, v18
	scratch_store_byte off, v12, off offset:700
	s_waitcnt vmcnt(1)
	scratch_store_dwordx4 v36, v[14:17], off
	s_and_saveexec_b64 s[34:35], vcc
	s_cbranch_execz .LBB2077_197
; %bb.178:
	v_cmp_ne_u32_e32 vcc, v13, v10
	v_mov_b32_e32 v12, 0x170
	v_add_u32_e32 v18, 13, v24
	v_cndmask_b32_e32 v14, v57, v12, vcc
	scratch_load_dwordx4 v[14:17], v14, off
	v_cndmask_b32_e64 v13, 0, 1, vcc
	v_cmp_gt_u32_e32 vcc, s3, v18
	scratch_store_byte off, v13, off offset:720
                                        ; implicit-def: $sgpr38_sgpr39
	s_waitcnt vmcnt(1)
	scratch_store_dwordx4 v37, v[14:17], off
	s_and_saveexec_b64 s[36:37], vcc
	s_cbranch_execz .LBB2077_196
; %bb.179:
	v_cmp_ne_u32_e32 vcc, v10, v11
	v_add_u32_e32 v16, 14, v24
                                        ; implicit-def: $sgpr40_sgpr41
	s_nop 0
	v_cndmask_b32_e32 v12, v56, v12, vcc
	scratch_load_dwordx4 v[12:15], v12, off
	v_cndmask_b32_e64 v10, 0, 1, vcc
	v_cmp_gt_u32_e32 vcc, s3, v16
	scratch_store_byte off, v10, off offset:740
	s_waitcnt vmcnt(1)
	scratch_store_dwordx4 v38, v[12:15], off
	s_and_saveexec_b64 s[38:39], vcc
	s_cbranch_execz .LBB2077_195
; %bb.180:
	v_cmp_ne_u32_e32 vcc, v11, v8
	v_mov_b32_e32 v10, 0x170
	v_add_u32_e32 v16, 15, v24
	v_cndmask_b32_e32 v12, v55, v10, vcc
	scratch_load_dwordx4 v[12:15], v12, off
	v_cndmask_b32_e64 v11, 0, 1, vcc
	v_cmp_gt_u32_e32 vcc, s3, v16
	scratch_store_byte off, v11, off offset:760
                                        ; implicit-def: $sgpr42_sgpr43
	s_waitcnt vmcnt(1)
	scratch_store_dwordx4 v39, v[12:15], off
	s_and_saveexec_b64 s[40:41], vcc
	s_cbranch_execz .LBB2077_194
; %bb.181:
	v_cmp_ne_u32_e32 vcc, v8, v9
	v_add_u32_e32 v14, 16, v24
                                        ; implicit-def: $sgpr44_sgpr45
	s_nop 0
	v_cndmask_b32_e32 v10, v54, v10, vcc
	scratch_load_dwordx4 v[10:13], v10, off
	v_cndmask_b32_e64 v8, 0, 1, vcc
	v_cmp_gt_u32_e32 vcc, s3, v14
	scratch_store_byte off, v8, off offset:780
	s_waitcnt vmcnt(1)
	scratch_store_dwordx4 v40, v[10:13], off
	s_and_saveexec_b64 s[42:43], vcc
	s_cbranch_execz .LBB2077_193
; %bb.182:
	v_cmp_ne_u32_e32 vcc, v9, v6
	v_mov_b32_e32 v8, 0x170
	v_add_u32_e32 v14, 17, v24
	v_cndmask_b32_e32 v10, v53, v8, vcc
	scratch_load_dwordx4 v[10:13], v10, off
	v_cndmask_b32_e64 v9, 0, 1, vcc
	v_cmp_gt_u32_e32 vcc, s3, v14
	scratch_store_byte off, v9, off offset:800
                                        ; implicit-def: $sgpr46_sgpr47
	s_waitcnt vmcnt(1)
	scratch_store_dwordx4 v41, v[10:13], off
	s_and_saveexec_b64 s[44:45], vcc
	s_cbranch_execz .LBB2077_192
; %bb.183:
	v_cmp_ne_u32_e32 vcc, v6, v7
	v_add_u32_e32 v12, 18, v24
                                        ; implicit-def: $sgpr48_sgpr49
	s_nop 0
	v_cndmask_b32_e32 v8, v52, v8, vcc
	scratch_load_dwordx4 v[8:11], v8, off
	v_cndmask_b32_e64 v6, 0, 1, vcc
	v_cmp_gt_u32_e32 vcc, s3, v12
	scratch_store_byte off, v6, off offset:820
	s_waitcnt vmcnt(1)
	scratch_store_dwordx4 v42, v[8:11], off
	s_and_saveexec_b64 s[46:47], vcc
	s_cbranch_execz .LBB2077_191
; %bb.184:
	v_cmp_ne_u32_e32 vcc, v7, v4
	v_mov_b32_e32 v6, 0x170
	v_add_u32_e32 v12, 19, v24
	v_cndmask_b32_e32 v8, v51, v6, vcc
	scratch_load_dwordx4 v[8:11], v8, off
	v_cndmask_b32_e64 v7, 0, 1, vcc
	v_cmp_gt_u32_e32 vcc, s3, v12
	scratch_store_byte off, v7, off offset:840
                                        ; implicit-def: $sgpr50_sgpr51
	s_waitcnt vmcnt(1)
	scratch_store_dwordx4 v43, v[8:11], off
	s_and_saveexec_b64 s[48:49], vcc
	s_cbranch_execz .LBB2077_190
; %bb.185:
	v_cmp_ne_u32_e32 vcc, v4, v5
	v_add_u32_e32 v10, 20, v24
                                        ; implicit-def: $sgpr72_sgpr73
	s_nop 0
	v_cndmask_b32_e32 v6, v50, v6, vcc
	scratch_load_dwordx4 v[6:9], v6, off
	v_cndmask_b32_e64 v4, 0, 1, vcc
	v_cmp_gt_u32_e32 vcc, s3, v10
	scratch_store_byte off, v4, off offset:860
	s_waitcnt vmcnt(1)
	scratch_store_dwordx4 v44, v[6:9], off
	s_and_saveexec_b64 s[50:51], vcc
	s_cbranch_execz .LBB2077_189
; %bb.186:
	v_cmp_ne_u32_e32 vcc, v5, v2
	v_mov_b32_e32 v4, 0x170
	v_add_u32_e32 v10, 21, v24
	v_cndmask_b32_e32 v6, v49, v4, vcc
	scratch_load_dwordx4 v[6:9], v6, off
	v_cndmask_b32_e64 v5, 0, 1, vcc
	v_cmp_gt_u32_e32 vcc, s3, v10
	scratch_store_byte off, v5, off offset:880
                                        ; implicit-def: $sgpr80_sgpr81
	s_waitcnt vmcnt(1)
	scratch_store_dwordx4 v45, v[6:9], off
	s_and_saveexec_b64 s[72:73], vcc
	s_xor_b64 s[72:73], exec, s[72:73]
	s_cbranch_execz .LBB2077_188
; %bb.187:
	v_cmp_ne_u32_e32 vcc, v2, v3
	s_nop 1
	v_cndmask_b32_e32 v4, v48, v4, vcc
	scratch_load_dwordx4 v[4:7], v4, off
	v_cndmask_b32_e64 v2, 0, 1, vcc
	v_cmp_ne_u32_e32 vcc, v3, v69
	v_add_u32_e32 v3, 22, v24
	v_cmp_gt_u32_e64 s[4:5], s3, v3
	s_and_b64 s[80:81], vcc, exec
	s_and_b64 s[4:5], s[4:5], exec
	scratch_store_byte off, v2, off offset:900
	s_waitcnt vmcnt(1)
	scratch_store_dwordx4 v46, v[4:7], off
.LBB2077_188:
	s_or_b64 exec, exec, s[72:73]
	s_and_b64 s[72:73], s[80:81], exec
	s_and_b64 s[4:5], s[4:5], exec
.LBB2077_189:
	s_or_b64 exec, exec, s[50:51]
	s_and_b64 s[50:51], s[72:73], exec
	s_and_b64 s[4:5], s[4:5], exec
.LBB2077_190:
	s_or_b64 exec, exec, s[48:49]
	s_and_b64 s[48:49], s[50:51], exec
	s_and_b64 s[4:5], s[4:5], exec
.LBB2077_191:
	s_or_b64 exec, exec, s[46:47]
	s_and_b64 s[46:47], s[48:49], exec
	s_and_b64 s[4:5], s[4:5], exec
.LBB2077_192:
	s_or_b64 exec, exec, s[44:45]
	s_and_b64 s[44:45], s[46:47], exec
	s_and_b64 s[4:5], s[4:5], exec
.LBB2077_193:
	s_or_b64 exec, exec, s[42:43]
	s_and_b64 s[42:43], s[44:45], exec
	s_and_b64 s[4:5], s[4:5], exec
.LBB2077_194:
	s_or_b64 exec, exec, s[40:41]
	s_and_b64 s[40:41], s[42:43], exec
	s_and_b64 s[4:5], s[4:5], exec
.LBB2077_195:
	s_or_b64 exec, exec, s[38:39]
	s_and_b64 s[38:39], s[40:41], exec
	s_and_b64 s[4:5], s[4:5], exec
.LBB2077_196:
	s_or_b64 exec, exec, s[36:37]
	s_and_b64 s[36:37], s[38:39], exec
	s_and_b64 s[4:5], s[4:5], exec
.LBB2077_197:
	s_or_b64 exec, exec, s[34:35]
	s_and_b64 s[34:35], s[36:37], exec
	s_and_b64 s[4:5], s[4:5], exec
.LBB2077_198:
	s_or_b64 exec, exec, s[30:31]
	s_and_b64 s[30:31], s[34:35], exec
	s_and_b64 s[4:5], s[4:5], exec
.LBB2077_199:
	s_or_b64 exec, exec, s[28:29]
	s_and_b64 s[28:29], s[30:31], exec
	s_and_b64 s[4:5], s[4:5], exec
.LBB2077_200:
	s_or_b64 exec, exec, s[26:27]
	s_and_b64 s[26:27], s[28:29], exec
	s_and_b64 s[4:5], s[4:5], exec
.LBB2077_201:
	s_or_b64 exec, exec, s[24:25]
	s_and_b64 s[24:25], s[26:27], exec
	s_and_b64 s[4:5], s[4:5], exec
.LBB2077_202:
	s_or_b64 exec, exec, s[22:23]
	s_and_b64 s[22:23], s[24:25], exec
	s_and_b64 s[4:5], s[4:5], exec
.LBB2077_203:
	s_or_b64 exec, exec, s[20:21]
	s_and_b64 s[20:21], s[22:23], exec
	s_and_b64 s[4:5], s[4:5], exec
.LBB2077_204:
	s_or_b64 exec, exec, s[18:19]
	s_and_b64 s[18:19], s[20:21], exec
	s_and_b64 s[4:5], s[4:5], exec
.LBB2077_205:
	s_or_b64 exec, exec, s[16:17]
	s_and_b64 s[16:17], s[18:19], exec
	s_and_b64 s[4:5], s[4:5], exec
.LBB2077_206:
	s_or_b64 exec, exec, s[14:15]
	s_and_b64 s[14:15], s[16:17], exec
	s_and_b64 s[4:5], s[4:5], exec
.LBB2077_207:
	s_or_b64 exec, exec, s[12:13]
	s_and_b64 s[14:15], s[14:15], exec
	s_and_b64 s[12:13], s[4:5], exec
.LBB2077_208:
	s_or_b64 exec, exec, s[10:11]
	s_and_b64 s[4:5], s[14:15], exec
	s_and_b64 s[10:11], s[12:13], exec
.LBB2077_209:
	s_or_b64 exec, exec, s[8:9]
	s_and_b64 vcc, exec, s[6:7]
	s_cbranch_vccnz .LBB2077_211
	s_branch .LBB2077_214
.LBB2077_210:
	s_mov_b64 s[10:11], 0
                                        ; implicit-def: $sgpr4_sgpr5
	s_and_b64 vcc, exec, s[6:7]
	s_cbranch_vccz .LBB2077_214
.LBB2077_211:
	v_mov_b32_e32 v3, 0
	v_lshlrev_b32_e32 v2, 2, v0
	v_lshl_add_u64 v[4:5], s[78:79], 0, v[2:3]
	v_add_co_u32_e32 v6, vcc, 0x1000, v4
	flat_load_dword v8, v[4:5]
	flat_load_dword v9, v[4:5] offset:512
	flat_load_dword v10, v[4:5] offset:1024
	;; [unrolled: 1-line block ×7, first 2 shown]
	v_addc_co_u32_e32 v7, vcc, 0, v5, vcc
	v_add_co_u32_e32 v4, vcc, 0x2000, v4
	flat_load_dword v16, v[6:7]
	flat_load_dword v17, v[6:7] offset:512
	flat_load_dword v18, v[6:7] offset:1024
	;; [unrolled: 1-line block ×7, first 2 shown]
	v_addc_co_u32_e32 v5, vcc, 0, v5, vcc
	flat_load_dword v6, v[4:5]
	flat_load_dword v7, v[4:5] offset:512
	flat_load_dword v24, v[4:5] offset:1024
	;; [unrolled: 1-line block ×6, first 2 shown]
	v_mov_b32_e32 v4, s78
	v_mov_b32_e32 v5, s79
	v_add_co_u32_e32 v4, vcc, 0x2000, v4
	s_movk_i32 s4, 0x58
	s_nop 0
	v_addc_co_u32_e32 v5, vcc, 0, v5, vcc
	s_movk_i32 s6, 0x1000
	s_movk_i32 s3, 0x2000
	s_waitcnt vmcnt(0) lgkmcnt(0)
	ds_write2st64_b32 v2, v8, v9 offset1:2
	ds_write2st64_b32 v2, v10, v11 offset0:4 offset1:6
	ds_write2st64_b32 v2, v12, v13 offset0:8 offset1:10
	;; [unrolled: 1-line block ×10, first 2 shown]
	ds_write_b32 v2, v71 offset:11264
	s_waitcnt lgkmcnt(0)
	s_barrier
	flat_load_dword v69, v[4:5] offset:3584
	v_mad_u32_u24 v71, v0, s4, v2
	s_movk_i32 s4, 0xffa8
	ds_read_b32 v70, v71
	ds_read2_b32 v[24:25], v71 offset0:1 offset1:2
	ds_read2_b32 v[22:23], v71 offset0:3 offset1:4
	;; [unrolled: 1-line block ×11, first 2 shown]
	v_mad_i32_i24 v71, v0, s4, v71
	s_movk_i32 s4, 0x7f
	v_cmp_ne_u32_e32 vcc, s4, v0
	s_waitcnt lgkmcnt(0)
	ds_write_b32 v71, v70 offset:12288
	s_waitcnt lgkmcnt(0)
	s_barrier
	s_and_saveexec_b64 s[4:5], vcc
	s_cbranch_execz .LBB2077_213
; %bb.212:
	s_waitcnt vmcnt(0)
	ds_read_b32 v69, v2 offset:12292
.LBB2077_213:
	s_or_b64 exec, exec, s[4:5]
	v_lshlrev_b32_e32 v2, 4, v0
	v_lshl_add_u64 v[76:77], s[64:65], 0, v[2:3]
	s_waitcnt lgkmcnt(0)
	s_barrier
	flat_load_dwordx4 v[72:75], v[76:77]
	v_add_co_u32_e32 v78, vcc, s6, v76
	v_cmp_ne_u32_e64 s[10:11], v70, v24
	s_nop 0
	v_addc_co_u32_e32 v79, vcc, 0, v77, vcc
	v_cmp_ne_u32_e64 s[8:9], v24, v25
	v_cmp_ne_u32_e64 s[6:7], v25, v22
	;; [unrolled: 1-line block ×20, first 2 shown]
	v_mov_b32_e32 v3, 0x170
	v_mov_b32_e32 v4, 0
	v_cndmask_b32_e64 v4, v4, v3, s[10:11]
	v_cndmask_b32_e64 v183, v68, v3, s[8:9]
	;; [unrolled: 1-line block ×22, first 2 shown]
	s_waitcnt vmcnt(0)
	v_cmp_ne_u32_e64 s[4:5], v5, v69
	s_mov_b64 s[10:11], -1
	v_cndmask_b32_e64 v161, 0, 1, s[8:9]
	v_cndmask_b32_e64 v162, 0, 1, s[6:7]
	;; [unrolled: 1-line block ×19, first 2 shown]
	s_waitcnt lgkmcnt(0)
	scratch_store_dwordx4 off, v[72:75], off
	flat_load_dwordx4 v[72:75], v[76:77] offset:2048
	s_waitcnt vmcnt(0) lgkmcnt(0)
	scratch_store_dwordx4 off, v[72:75], off offset:16
	flat_load_dwordx4 v[72:75], v[78:79]
	s_waitcnt vmcnt(0) lgkmcnt(0)
	scratch_store_dwordx4 off, v[72:75], off offset:32
	flat_load_dwordx4 v[72:75], v[78:79] offset:2048
	v_add_co_u32_e32 v78, vcc, s3, v76
	s_movk_i32 s3, 0x3000
	s_nop 0
	v_addc_co_u32_e32 v79, vcc, 0, v77, vcc
	s_waitcnt vmcnt(0) lgkmcnt(0)
	scratch_store_dwordx4 off, v[72:75], off offset:48
	flat_load_dwordx4 v[72:75], v[78:79]
	s_waitcnt vmcnt(0) lgkmcnt(0)
	scratch_store_dwordx4 off, v[72:75], off offset:64
	flat_load_dwordx4 v[72:75], v[78:79] offset:2048
	v_add_co_u32_e32 v78, vcc, s3, v76
	s_movk_i32 s3, 0x4000
	s_nop 0
	v_addc_co_u32_e32 v79, vcc, 0, v77, vcc
	;; [unrolled: 10-line block ×5, first 2 shown]
	s_waitcnt vmcnt(0) lgkmcnt(0)
	scratch_store_dwordx4 off, v[72:75], off offset:176
	flat_load_dwordx4 v[72:75], v[78:79]
	s_waitcnt vmcnt(0) lgkmcnt(0)
	scratch_store_dwordx4 off, v[72:75], off offset:192
	flat_load_dwordx4 v[72:75], v[78:79] offset:2048
	v_add_co_u32_e32 v78, vcc, s3, v76
	s_mov_b32 s3, 0x8000
	s_nop 0
	v_addc_co_u32_e32 v79, vcc, 0, v77, vcc
	s_waitcnt vmcnt(0) lgkmcnt(0)
	scratch_store_dwordx4 off, v[72:75], off offset:208
	flat_load_dwordx4 v[72:75], v[78:79]
	s_waitcnt vmcnt(0) lgkmcnt(0)
	scratch_store_dwordx4 off, v[72:75], off offset:224
	flat_load_dwordx4 v[72:75], v[78:79] offset:2048
	v_add_co_u32_e32 v78, vcc, s3, v76
	s_mov_b32 s3, 0x9000
	s_nop 0
	v_addc_co_u32_e32 v79, vcc, 0, v77, vcc
	;; [unrolled: 10-line block ×4, first 2 shown]
	v_add_co_u32_e32 v76, vcc, s3, v76
	s_movk_i32 s3, 0x160
	s_nop 0
	v_addc_co_u32_e32 v77, vcc, 0, v77, vcc
	v_mad_u32_u24 v182, v0, s3, v2
	v_cmp_ne_u32_e32 vcc, v20, v21
	s_waitcnt vmcnt(0) lgkmcnt(0)
	scratch_store_dwordx4 off, v[72:75], off offset:304
	flat_load_dwordx4 v[72:75], v[78:79]
	v_cndmask_b32_e32 v187, v64, v3, vcc
	v_cndmask_b32_e64 v3, v48, v3, s[12:13]
	v_cndmask_b32_e64 v165, 0, 1, vcc
	s_waitcnt vmcnt(0) lgkmcnt(0)
	scratch_store_dwordx4 off, v[72:75], off offset:320
	flat_load_dwordx4 v[72:75], v[78:79] offset:2048
	s_waitcnt vmcnt(0) lgkmcnt(0)
	scratch_store_dwordx4 off, v[72:75], off offset:336
	flat_load_dwordx4 v[72:75], v[76:77]
	s_nop 0
	scratch_load_dwordx4 v[22:25], off, off
	scratch_load_dwordx4 v[76:79], v68, off
	scratch_load_dwordx4 v[80:83], v67, off
	;; [unrolled: 1-line block ×20, first 2 shown]
	s_waitcnt vmcnt(0) lgkmcnt(0)
	scratch_store_dwordx4 off, v[72:75], off offset:352
	scratch_load_dwordx4 v[70:73], v48, off
	s_nop 0
	scratch_load_dwordx4 v[156:159], v1, off
	ds_write_b128 v2, v[22:25]
	ds_write_b128 v2, v[76:79] offset:2048
	ds_write_b128 v2, v[80:83] offset:4096
	;; [unrolled: 1-line block ×20, first 2 shown]
	s_waitcnt vmcnt(1)
	ds_write_b128 v2, v[70:73] offset:43008
	s_waitcnt vmcnt(0)
	ds_write_b128 v2, v[156:159] offset:45056
	s_waitcnt lgkmcnt(0)
	s_barrier
	ds_read_b128 v[6:9], v182
	ds_read_b128 v[10:13], v182 offset:16
	ds_read_b128 v[14:17], v182 offset:32
	;; [unrolled: 1-line block ×21, first 2 shown]
	s_waitcnt lgkmcnt(14)
	scratch_store_dwordx4 off, v[6:9], off
	scratch_store_dwordx4 v68, v[10:13], off
	scratch_store_dwordx4 v67, v[14:17], off
	;; [unrolled: 1-line block ×7, first 2 shown]
	s_waitcnt lgkmcnt(13)
	scratch_store_dwordx4 v61, v[82:85], off
	s_waitcnt lgkmcnt(12)
	scratch_store_dwordx4 v60, v[86:89], off
	;; [unrolled: 2-line block ×14, first 2 shown]
	scratch_load_dwordx4 v[6:9], v4, off
	scratch_load_dwordx4 v[10:13], v183, off
	;; [unrolled: 1-line block ×14, first 2 shown]
                                        ; kill: killed $vgpr189
                                        ; kill: killed $vgpr193
                                        ; kill: killed $vgpr186
                                        ; kill: killed $vgpr190
                                        ; kill: killed $vgpr194
                                        ; kill: killed $vgpr183
                                        ; kill: killed $vgpr187
                                        ; kill: killed $vgpr191
                                        ; kill: killed $vgpr195
                                        ; kill: killed $vgpr184
                                        ; kill: killed $vgpr188
                                        ; kill: killed $vgpr192
                                        ; kill: killed $vgpr185
	scratch_load_dwordx4 v[86:89], v196, off
	scratch_load_dwordx4 v[90:93], v197, off
	;; [unrolled: 1-line block ×3, first 2 shown]
                                        ; kill: killed $vgpr197
                                        ; kill: killed $vgpr198
                                        ; kill: killed $vgpr196
	scratch_load_dwordx4 v[98:101], v199, off
	scratch_load_dwordx4 v[102:105], v200, off
	;; [unrolled: 1-line block ×5, first 2 shown]
	ds_read_b128 v[2:5], v182 offset:352
	scratch_store_byte off, v160, off offset:480
	scratch_store_byte off, v161, off offset:500
	scratch_store_byte off, v162, off offset:520
	scratch_store_byte off, v163, off offset:540
	scratch_store_byte off, v164, off offset:560
	scratch_store_byte off, v165, off offset:580
	scratch_store_byte off, v166, off offset:600
	scratch_store_byte off, v167, off offset:620
	scratch_store_byte off, v168, off offset:640
	scratch_store_byte off, v169, off offset:660
	scratch_store_byte off, v170, off offset:680
	scratch_store_byte off, v171, off offset:700
	scratch_store_byte off, v172, off offset:720
	scratch_store_byte off, v173, off offset:740
	scratch_store_byte off, v174, off offset:760
	scratch_store_byte off, v175, off offset:780
	scratch_store_byte off, v176, off offset:800
	scratch_store_byte off, v177, off offset:820
	scratch_store_byte off, v178, off offset:840
	scratch_store_byte off, v179, off offset:860
	scratch_store_byte off, v180, off offset:880
	scratch_store_byte off, v181, off offset:900
	s_waitcnt lgkmcnt(0)
	scratch_store_dwordx4 v1, v[2:5], off
	s_waitcnt vmcnt(44)
	scratch_store_dwordx4 off, v[6:9], off offset:464
	s_waitcnt vmcnt(44)
	scratch_store_dwordx4 v26, v[10:13], off
	s_waitcnt vmcnt(44)
	scratch_store_dwordx4 v27, v[14:17], off
	;; [unrolled: 2-line block ×21, first 2 shown]
.LBB2077_214:
	s_and_saveexec_b64 s[6:7], s[10:11]
	s_cbranch_execz .LBB2077_216
; %bb.215:
	v_mov_b32_e32 v2, 0x170
	v_cndmask_b32_e64 v1, v1, v2, s[4:5]
	scratch_load_dwordx4 v[2:5], v1, off
	v_cndmask_b32_e64 v1, 0, 1, s[4:5]
	s_waitcnt vmcnt(0)
	scratch_store_dwordx4 v47, v[2:5], off
	scratch_store_byte off, v1, off offset:920
.LBB2077_216:
	s_or_b64 exec, exec, s[6:7]
	s_cmp_lg_u32 s2, 0
	s_waitcnt vmcnt(63) expcnt(7) lgkmcnt(15)
	s_barrier
	s_cbranch_scc0 .LBB2077_797
; %bb.217:
	scratch_load_dwordx4 v[2:5], off, off offset:464
	scratch_load_dword v1, off, off offset:480
	scratch_load_ubyte v6, off, off offset:500
	s_waitcnt vmcnt(2)
	scratch_store_dwordx4 off, v[2:5], off offset:428
	s_waitcnt vmcnt(2)
	scratch_store_dword off, v1, off offset:444
	s_waitcnt vmcnt(2)
	v_cmp_ne_u16_e32 vcc, 0, v6
                                        ; implicit-def: $vgpr4_vgpr5
	s_and_saveexec_b64 s[4:5], vcc
	s_xor_b64 s[4:5], exec, s[4:5]
	s_cbranch_execz .LBB2077_219
; %bb.218:
	scratch_load_dwordx4 v[2:5], off, off offset:484
.LBB2077_219:
	s_andn2_saveexec_b64 s[4:5], s[4:5]
	s_cbranch_execz .LBB2077_225
; %bb.220:
	s_waitcnt vmcnt(0)
	v_mov_b32_e32 v2, 0
	s_mov_b32 s3, 0
	v_mov_b32_e32 v3, v2
.LBB2077_221:                           ; =>This Inner Loop Header: Depth=1
	s_add_i32 s6, s3, 0
	s_add_i32 s3, s3, 8
	s_cmp_lg_u32 s3, 16
	scratch_store_dwordx2 off, v[2:3], s6
	s_cbranch_scc1 .LBB2077_221
; %bb.222:
	s_mov_b32 s3, 0
.LBB2077_223:                           ; =>This Inner Loop Header: Depth=1
	s_add_i32 s6, s3, 0x1ac
	v_add_u32_e32 v7, s3, v26
	scratch_load_dwordx2 v[2:3], off, s6
	scratch_load_dwordx2 v[4:5], v7, off
	s_add_i32 s6, s3, 0
	s_add_i32 s3, s3, 8
	s_cmp_lg_u32 s3, 16
	s_waitcnt vmcnt(0)
	v_add_u32_e32 v3, v5, v3
	v_add_u32_e32 v2, v4, v2
	scratch_store_dwordx2 off, v[2:3], s6
	s_cbranch_scc1 .LBB2077_223
; %bb.224:
	scratch_load_dwordx4 v[2:5], off, off
.LBB2077_225:
	s_or_b64 exec, exec, s[4:5]
	scratch_load_ubyte v7, off, off offset:520
	s_waitcnt vmcnt(0)
	v_cmp_ne_u16_e32 vcc, 0, v7
	scratch_store_dwordx4 off, v[2:5], off offset:428
                                        ; implicit-def: $vgpr4_vgpr5
	s_and_saveexec_b64 s[4:5], vcc
	s_xor_b64 s[4:5], exec, s[4:5]
	s_cbranch_execz .LBB2077_227
; %bb.226:
	scratch_load_dwordx4 v[2:5], off, off offset:504
.LBB2077_227:
	s_andn2_saveexec_b64 s[4:5], s[4:5]
	s_cbranch_execz .LBB2077_233
; %bb.228:
	s_waitcnt vmcnt(0)
	v_mov_b32_e32 v2, 0
	s_mov_b32 s3, 0
	v_mov_b32_e32 v3, v2
.LBB2077_229:                           ; =>This Inner Loop Header: Depth=1
	s_add_i32 s6, s3, 0
	s_add_i32 s3, s3, 8
	s_cmp_lg_u32 s3, 16
	scratch_store_dwordx2 off, v[2:3], s6
	s_cbranch_scc1 .LBB2077_229
; %bb.230:
	s_mov_b32 s3, 0
.LBB2077_231:                           ; =>This Inner Loop Header: Depth=1
	s_add_i32 s6, s3, 0x1ac
	v_add_u32_e32 v8, s3, v27
	scratch_load_dwordx2 v[2:3], off, s6
	scratch_load_dwordx2 v[4:5], v8, off
	s_add_i32 s6, s3, 0
	s_add_i32 s3, s3, 8
	s_cmp_lg_u32 s3, 16
	s_waitcnt vmcnt(0)
	v_add_u32_e32 v3, v5, v3
	v_add_u32_e32 v2, v4, v2
	scratch_store_dwordx2 off, v[2:3], s6
	s_cbranch_scc1 .LBB2077_231
; %bb.232:
	scratch_load_dwordx4 v[2:5], off, off
.LBB2077_233:
	s_or_b64 exec, exec, s[4:5]
	scratch_load_ubyte v8, off, off offset:540
	s_waitcnt vmcnt(0)
	v_cmp_ne_u16_e32 vcc, 0, v8
	scratch_store_dwordx4 off, v[2:5], off offset:428
	;; [unrolled: 43-line block ×21, first 2 shown]
                                        ; implicit-def: $vgpr4_vgpr5
	s_and_saveexec_b64 s[4:5], vcc
	s_xor_b64 s[4:5], exec, s[4:5]
	s_cbranch_execz .LBB2077_387
; %bb.386:
	scratch_load_dwordx4 v[2:5], off, off offset:904
.LBB2077_387:
	s_andn2_saveexec_b64 s[4:5], s[4:5]
	s_cbranch_execz .LBB2077_393
; %bb.388:
	s_waitcnt vmcnt(0)
	v_mov_b32_e32 v2, 0
	s_mov_b32 s3, 0
	v_mov_b32_e32 v3, v2
.LBB2077_389:                           ; =>This Inner Loop Header: Depth=1
	s_add_i32 s6, s3, 0
	s_add_i32 s3, s3, 8
	s_cmp_lg_u32 s3, 16
	scratch_store_dwordx2 off, v[2:3], s6
	s_cbranch_scc1 .LBB2077_389
; %bb.390:
	s_mov_b32 s3, 0
.LBB2077_391:                           ; =>This Inner Loop Header: Depth=1
	s_add_i32 s6, s3, 0x1ac
	v_add_u32_e32 v50, s3, v47
	scratch_load_dwordx2 v[2:3], off, s6
	scratch_load_dwordx2 v[4:5], v50, off
	s_add_i32 s6, s3, 0
	s_add_i32 s3, s3, 8
	s_cmp_lg_u32 s3, 16
	s_waitcnt vmcnt(0)
	v_add_u32_e32 v3, v5, v3
	v_add_u32_e32 v2, v4, v2
	scratch_store_dwordx2 off, v[2:3], s6
	s_cbranch_scc1 .LBB2077_391
; %bb.392:
	scratch_load_dwordx4 v[2:5], off, off
.LBB2077_393:
	s_or_b64 exec, exec, s[4:5]
	v_or_b32_e32 v48, v49, v48
	v_or_b32_e32 v25, v48, v25
	;; [unrolled: 1-line block ×22, first 2 shown]
	v_and_b32_e32 v12, 1, v1
	v_lshrrev_b32_e32 v1, 5, v0
	v_add_u32_e32 v1, v1, v0
	v_mul_u32_u24_e32 v1, 20, v1
	v_cmp_gt_u32_e32 vcc, 64, v0
	s_waitcnt vmcnt(0)
	scratch_store_dwordx4 off, v[2:5], off offset:428
	scratch_store_byte off, v12, off offset:444
	ds_write2_b32 v1, v2, v3 offset1:1
	ds_write2_b32 v1, v4, v5 offset0:2 offset1:3
	ds_write_b8 v1, v12 offset:16
	s_waitcnt lgkmcnt(0)
	s_barrier
	s_and_saveexec_b64 s[4:5], vcc
	s_xor_b64 s[8:9], exec, s[4:5]
	s_cbranch_execz .LBB2077_469
; %bb.394:
	v_lshrrev_b32_e32 v1, 4, v0
	v_lshl_add_u32 v1, v0, 1, v1
	v_mul_u32_u24_e32 v13, 20, v1
	ds_read_u8 v10, v13 offset:36
	ds_read_b32 v11, v13 offset:16
	ds_read2_b32 v[8:9], v13 offset0:2 offset1:3
	ds_read2_b32 v[6:7], v13 offset1:1
	v_mad_u32_u24 v1, v1, 20, 20
	s_waitcnt lgkmcnt(3)
	v_cmp_ne_u16_e64 s[4:5], 0, v10
	s_waitcnt lgkmcnt(2)
	scratch_store_dword off, v11, off offset:384
	s_waitcnt lgkmcnt(0)
	scratch_store_dwordx4 off, v[6:9], off offset:368
                                        ; implicit-def: $vgpr6_vgpr7
	s_and_saveexec_b64 s[6:7], s[4:5]
	s_xor_b64 s[4:5], exec, s[6:7]
	s_cbranch_execz .LBB2077_396
; %bb.395:
	ds_read2_b32 v[6:7], v1 offset1:1
	ds_read2_b32 v[8:9], v1 offset0:2 offset1:3
.LBB2077_396:
	s_andn2_saveexec_b64 s[4:5], s[4:5]
	s_cbranch_execz .LBB2077_402
; %bb.397:
	s_waitcnt lgkmcnt(1)
	v_mov_b32_e32 v6, 0
	s_mov_b32 s3, 0
	v_mov_b32_e32 v7, v6
.LBB2077_398:                           ; =>This Inner Loop Header: Depth=1
	s_add_i32 s6, s3, 0
	s_add_i32 s3, s3, 8
	s_cmp_lg_u32 s3, 16
	scratch_store_dwordx2 off, v[6:7], s6
	s_cbranch_scc1 .LBB2077_398
; %bb.399:
	s_mov_b32 s3, 0
.LBB2077_400:                           ; =>This Inner Loop Header: Depth=1
	s_add_i32 s6, s3, 0x170
	scratch_load_dwordx2 v[6:7], off, s6
	s_waitcnt lgkmcnt(0)
	v_add_u32_e32 v8, s3, v1
	ds_read2_b32 v[8:9], v8 offset1:1
	s_add_i32 s6, s3, 0
	s_add_i32 s3, s3, 8
	s_cmp_lg_u32 s3, 16
	s_waitcnt vmcnt(0) lgkmcnt(0)
	v_add_u32_e32 v7, v9, v7
	v_add_u32_e32 v6, v8, v6
	scratch_store_dwordx2 off, v[6:7], s6
	s_cbranch_scc1 .LBB2077_400
; %bb.401:
	scratch_load_dwordx4 v[6:9], off, off
.LBB2077_402:
	s_or_b64 exec, exec, s[4:5]
	scratch_load_ubyte v11, off, off offset:384
	s_waitcnt vmcnt(1) lgkmcnt(1)
	v_mov_b32_dpp v16, v6 row_shr:1 row_mask:0xf bank_mask:0xf
	v_mov_b32_dpp v17, v7 row_shr:1 row_mask:0xf bank_mask:0xf
	s_waitcnt lgkmcnt(0)
	v_mov_b32_dpp v18, v8 row_shr:1 row_mask:0xf bank_mask:0xf
	v_mov_b32_dpp v19, v9 row_shr:1 row_mask:0xf bank_mask:0xf
	scratch_store_dwordx4 off, v[16:19], off
	scratch_store_dwordx4 off, v[6:9], off offset:368
	s_waitcnt vmcnt(2)
	v_or_b32_e32 v10, v10, v11
	v_and_b32_e32 v10, 1, v10
	scratch_store_byte off, v10, off offset:384
	scratch_load_dword v15, off, off offset:384
	v_mbcnt_lo_u32_b32 v10, -1, 0
	v_mbcnt_hi_u32_b32 v14, -1, v10
	v_and_b32_e32 v16, 15, v14
	v_cmp_ne_u32_e64 s[4:5], 0, v16
	s_waitcnt vmcnt(0)
	v_mov_b32_dpp v17, v15 row_shr:1 row_mask:0xf bank_mask:0xf
	scratch_store_dword off, v17, off offset:16
	s_and_saveexec_b64 s[6:7], s[4:5]
	s_cbranch_execz .LBB2077_410
; %bb.403:
	v_mov_b32_e32 v10, 0
	v_cmp_eq_u16_sdwa s[10:11], v15, v10 src0_sel:BYTE_0 src1_sel:DWORD
	s_and_saveexec_b64 s[4:5], s[10:11]
	s_cbranch_execz .LBB2077_409
; %bb.404:
	s_mov_b32 s3, 0
	v_mov_b32_e32 v11, v10
.LBB2077_405:                           ; =>This Inner Loop Header: Depth=1
	s_add_i32 s10, s3, 0x184
	s_add_i32 s3, s3, 8
	s_cmp_lg_u32 s3, 16
	scratch_store_dwordx2 off, v[10:11], s10
	s_cbranch_scc1 .LBB2077_405
; %bb.406:
	s_mov_b32 s3, 0
.LBB2077_407:                           ; =>This Inner Loop Header: Depth=1
	s_add_i32 s10, s3, 0
	s_add_i32 s11, s3, 0x170
	scratch_load_dwordx2 v[6:7], off, s10
	scratch_load_dwordx2 v[8:9], off, s11
	s_add_i32 s10, s3, 0x184
	s_add_i32 s3, s3, 8
	s_cmp_lg_u32 s3, 16
	s_waitcnt vmcnt(0)
	v_add_u32_e32 v7, v9, v7
	v_add_u32_e32 v6, v8, v6
	scratch_store_dwordx2 off, v[6:7], s10
	s_cbranch_scc1 .LBB2077_407
; %bb.408:
	scratch_load_dwordx4 v[6:9], off, off offset:388
.LBB2077_409:
	s_or_b64 exec, exec, s[4:5]
	v_or_b32_e32 v10, v17, v15
	v_and_b32_e32 v10, 1, v10
	scratch_store_byte off, v10, off offset:384
	scratch_load_dword v15, off, off offset:384
	s_waitcnt vmcnt(2)
	scratch_store_dwordx4 off, v[6:9], off offset:368
.LBB2077_410:
	s_or_b64 exec, exec, s[6:7]
	v_mov_b32_dpp v18, v6 row_shr:2 row_mask:0xf bank_mask:0xf
	v_mov_b32_dpp v19, v7 row_shr:2 row_mask:0xf bank_mask:0xf
	v_mov_b32_dpp v20, v8 row_shr:2 row_mask:0xf bank_mask:0xf
	v_mov_b32_dpp v21, v9 row_shr:2 row_mask:0xf bank_mask:0xf
	s_waitcnt vmcnt(1)
	v_mov_b32_dpp v17, v15 row_shr:2 row_mask:0xf bank_mask:0xf
	v_cmp_lt_u32_e64 s[4:5], 1, v16
	scratch_store_dwordx4 off, v[18:21], off
	scratch_store_dword off, v17, off offset:16
	s_and_saveexec_b64 s[10:11], s[4:5]
	s_cbranch_execz .LBB2077_418
; %bb.411:
	v_mov_b32_e32 v10, 0
	s_mov_b32 s3, 0
	v_cmp_eq_u16_sdwa s[6:7], v15, v10 src0_sel:BYTE_0 src1_sel:DWORD
	s_and_saveexec_b64 s[4:5], s[6:7]
	s_cbranch_execz .LBB2077_417
; %bb.412:
	v_mov_b32_e32 v11, v10
.LBB2077_413:                           ; =>This Inner Loop Header: Depth=1
	s_add_i32 s6, s3, 0x184
	s_add_i32 s3, s3, 8
	s_cmp_lg_u32 s3, 16
	scratch_store_dwordx2 off, v[10:11], s6
	s_cbranch_scc1 .LBB2077_413
; %bb.414:
	s_mov_b32 s3, 0
.LBB2077_415:                           ; =>This Inner Loop Header: Depth=1
	s_add_i32 s6, s3, 0
	s_add_i32 s7, s3, 0x170
	scratch_load_dwordx2 v[6:7], off, s6
	scratch_load_dwordx2 v[8:9], off, s7
	s_add_i32 s6, s3, 0x184
	s_add_i32 s3, s3, 8
	s_cmp_lg_u32 s3, 16
	s_waitcnt vmcnt(0)
	v_add_u32_e32 v7, v9, v7
	v_add_u32_e32 v6, v8, v6
	scratch_store_dwordx2 off, v[6:7], s6
	s_cbranch_scc1 .LBB2077_415
; %bb.416:
	scratch_load_dwordx4 v[6:9], off, off offset:388
.LBB2077_417:
	s_or_b64 exec, exec, s[4:5]
	v_and_b32_e32 v10, 1, v15
	v_cmp_eq_u32_e64 s[4:5], 1, v10
	v_and_b32_e32 v10, 1, v17
	v_cmp_eq_u32_e64 s[6:7], 1, v10
	s_or_b64 s[4:5], s[4:5], s[6:7]
	v_cndmask_b32_e64 v10, 0, 1, s[4:5]
	scratch_store_byte off, v10, off offset:384
	scratch_load_dword v15, off, off offset:384
	s_waitcnt vmcnt(2)
	scratch_store_dwordx4 off, v[6:9], off offset:368
.LBB2077_418:
	s_or_b64 exec, exec, s[10:11]
	v_mov_b32_dpp v18, v6 row_shr:4 row_mask:0xf bank_mask:0xf
	v_mov_b32_dpp v19, v7 row_shr:4 row_mask:0xf bank_mask:0xf
	v_mov_b32_dpp v20, v8 row_shr:4 row_mask:0xf bank_mask:0xf
	v_mov_b32_dpp v21, v9 row_shr:4 row_mask:0xf bank_mask:0xf
	s_waitcnt vmcnt(1)
	v_mov_b32_dpp v17, v15 row_shr:4 row_mask:0xf bank_mask:0xf
	v_cmp_lt_u32_e64 s[4:5], 3, v16
	scratch_store_dwordx4 off, v[18:21], off
	scratch_store_dword off, v17, off offset:16
	s_and_saveexec_b64 s[10:11], s[4:5]
	s_cbranch_execz .LBB2077_426
; %bb.419:
	v_mov_b32_e32 v10, 0
	s_mov_b32 s3, 0
	v_cmp_eq_u16_sdwa s[6:7], v15, v10 src0_sel:BYTE_0 src1_sel:DWORD
	s_and_saveexec_b64 s[4:5], s[6:7]
	s_cbranch_execz .LBB2077_425
; %bb.420:
	v_mov_b32_e32 v11, v10
.LBB2077_421:                           ; =>This Inner Loop Header: Depth=1
	s_add_i32 s6, s3, 0x184
	s_add_i32 s3, s3, 8
	s_cmp_lg_u32 s3, 16
	scratch_store_dwordx2 off, v[10:11], s6
	s_cbranch_scc1 .LBB2077_421
; %bb.422:
	s_mov_b32 s3, 0
.LBB2077_423:                           ; =>This Inner Loop Header: Depth=1
	s_add_i32 s6, s3, 0
	s_add_i32 s7, s3, 0x170
	scratch_load_dwordx2 v[6:7], off, s6
	scratch_load_dwordx2 v[8:9], off, s7
	s_add_i32 s6, s3, 0x184
	s_add_i32 s3, s3, 8
	s_cmp_lg_u32 s3, 16
	s_waitcnt vmcnt(0)
	v_add_u32_e32 v7, v9, v7
	v_add_u32_e32 v6, v8, v6
	scratch_store_dwordx2 off, v[6:7], s6
	s_cbranch_scc1 .LBB2077_423
; %bb.424:
	scratch_load_dwordx4 v[6:9], off, off offset:388
.LBB2077_425:
	s_or_b64 exec, exec, s[4:5]
	v_and_b32_e32 v10, 1, v15
	v_cmp_eq_u32_e64 s[4:5], 1, v10
	v_and_b32_e32 v10, 1, v17
	v_cmp_eq_u32_e64 s[6:7], 1, v10
	s_or_b64 s[4:5], s[4:5], s[6:7]
	v_cndmask_b32_e64 v10, 0, 1, s[4:5]
	scratch_store_byte off, v10, off offset:384
	scratch_load_dword v15, off, off offset:384
	s_waitcnt vmcnt(2)
	scratch_store_dwordx4 off, v[6:9], off offset:368
.LBB2077_426:
	;; [unrolled: 56-line block ×3, first 2 shown]
	s_or_b64 exec, exec, s[10:11]
	v_and_b32_e32 v10, 16, v14
	v_mov_b32_dpp v18, v6 row_bcast:15 row_mask:0xf bank_mask:0xf
	v_mov_b32_dpp v19, v7 row_bcast:15 row_mask:0xf bank_mask:0xf
	;; [unrolled: 1-line block ×4, first 2 shown]
	s_waitcnt vmcnt(1)
	v_mov_b32_dpp v16, v15 row_bcast:15 row_mask:0xf bank_mask:0xf
	v_cmp_ne_u32_e64 s[4:5], 0, v10
	scratch_store_dwordx4 off, v[18:21], off
	scratch_store_dword off, v16, off offset:16
	s_and_saveexec_b64 s[10:11], s[4:5]
	s_cbranch_execz .LBB2077_442
; %bb.435:
	v_mov_b32_e32 v10, 0
	s_mov_b32 s3, 0
	v_cmp_eq_u16_sdwa s[6:7], v15, v10 src0_sel:BYTE_0 src1_sel:DWORD
	s_and_saveexec_b64 s[4:5], s[6:7]
	s_cbranch_execz .LBB2077_441
; %bb.436:
	v_mov_b32_e32 v11, v10
.LBB2077_437:                           ; =>This Inner Loop Header: Depth=1
	s_add_i32 s6, s3, 0x184
	s_add_i32 s3, s3, 8
	s_cmp_lg_u32 s3, 16
	scratch_store_dwordx2 off, v[10:11], s6
	s_cbranch_scc1 .LBB2077_437
; %bb.438:
	s_mov_b32 s3, 0
.LBB2077_439:                           ; =>This Inner Loop Header: Depth=1
	s_add_i32 s6, s3, 0
	s_add_i32 s7, s3, 0x170
	scratch_load_dwordx2 v[6:7], off, s6
	scratch_load_dwordx2 v[8:9], off, s7
	s_add_i32 s6, s3, 0x184
	s_add_i32 s3, s3, 8
	s_cmp_lg_u32 s3, 16
	s_waitcnt vmcnt(0)
	v_add_u32_e32 v7, v9, v7
	v_add_u32_e32 v6, v8, v6
	scratch_store_dwordx2 off, v[6:7], s6
	s_cbranch_scc1 .LBB2077_439
; %bb.440:
	scratch_load_dwordx4 v[6:9], off, off offset:388
.LBB2077_441:
	s_or_b64 exec, exec, s[4:5]
	v_and_b32_e32 v10, 1, v15
	v_cmp_eq_u32_e64 s[4:5], 1, v10
	v_and_b32_e32 v10, 1, v16
	v_cmp_eq_u32_e64 s[6:7], 1, v10
	s_or_b64 s[4:5], s[4:5], s[6:7]
	v_cndmask_b32_e64 v10, 0, 1, s[4:5]
	scratch_store_byte off, v10, off offset:384
	scratch_load_dword v15, off, off offset:384
	s_waitcnt vmcnt(2)
	scratch_store_dwordx4 off, v[6:9], off offset:368
.LBB2077_442:
	s_or_b64 exec, exec, s[10:11]
	v_mov_b32_dpp v18, v6 row_bcast:31 row_mask:0xf bank_mask:0xf
	v_mov_b32_dpp v19, v7 row_bcast:31 row_mask:0xf bank_mask:0xf
	v_mov_b32_dpp v20, v8 row_bcast:31 row_mask:0xf bank_mask:0xf
	v_mov_b32_dpp v21, v9 row_bcast:31 row_mask:0xf bank_mask:0xf
	s_waitcnt vmcnt(1)
	v_mov_b32_dpp v16, v15 row_bcast:31 row_mask:0xf bank_mask:0xf
	v_cmp_lt_u32_e64 s[4:5], 31, v14
	scratch_store_dwordx4 off, v[18:21], off
	scratch_store_dword off, v16, off offset:16
	s_and_saveexec_b64 s[10:11], s[4:5]
	s_cbranch_execz .LBB2077_450
; %bb.443:
	v_mov_b32_e32 v10, 0
	s_mov_b32 s3, 0
	v_cmp_eq_u16_sdwa s[6:7], v15, v10 src0_sel:BYTE_0 src1_sel:DWORD
	s_and_saveexec_b64 s[4:5], s[6:7]
	s_cbranch_execz .LBB2077_449
; %bb.444:
	v_mov_b32_e32 v11, v10
.LBB2077_445:                           ; =>This Inner Loop Header: Depth=1
	s_add_i32 s6, s3, 0x184
	s_add_i32 s3, s3, 8
	s_cmp_lg_u32 s3, 16
	scratch_store_dwordx2 off, v[10:11], s6
	s_cbranch_scc1 .LBB2077_445
; %bb.446:
	s_mov_b32 s3, 0
.LBB2077_447:                           ; =>This Inner Loop Header: Depth=1
	s_add_i32 s6, s3, 0
	s_add_i32 s7, s3, 0x170
	scratch_load_dwordx2 v[6:7], off, s6
	scratch_load_dwordx2 v[8:9], off, s7
	s_add_i32 s6, s3, 0x184
	s_add_i32 s3, s3, 8
	s_cmp_lg_u32 s3, 16
	s_waitcnt vmcnt(0)
	v_add_u32_e32 v7, v9, v7
	v_add_u32_e32 v6, v8, v6
	scratch_store_dwordx2 off, v[6:7], s6
	s_cbranch_scc1 .LBB2077_447
; %bb.448:
	scratch_load_dwordx4 v[6:9], off, off offset:388
.LBB2077_449:
	s_or_b64 exec, exec, s[4:5]
	v_and_b32_e32 v10, 1, v15
	v_cmp_eq_u32_e64 s[4:5], 1, v10
	v_and_b32_e32 v10, 1, v16
	v_cmp_eq_u32_e64 s[6:7], 1, v10
	s_or_b64 s[4:5], s[4:5], s[6:7]
	v_cndmask_b32_e64 v10, 0, 1, s[4:5]
	scratch_store_byte off, v10, off offset:384
	scratch_load_dword v15, off, off offset:384
.LBB2077_450:
	s_or_b64 exec, exec, s[10:11]
	v_add_u32_e32 v10, -1, v14
	v_and_b32_e32 v11, 64, v14
	v_cmp_lt_i32_e64 s[4:5], v10, v11
	ds_read_u8 v11, v13 offset:16
	s_nop 0
	v_cndmask_b32_e64 v10, v10, v14, s[4:5]
	v_lshlrev_b32_e32 v10, 2, v10
	s_waitcnt vmcnt(2)
	ds_bpermute_b32 v6, v10, v6
	ds_bpermute_b32 v7, v10, v7
	;; [unrolled: 1-line block ×4, first 2 shown]
	s_waitcnt vmcnt(0)
	ds_bpermute_b32 v10, v10, v15
	s_waitcnt lgkmcnt(5)
	v_cmp_ne_u16_e64 s[4:5], 0, v11
	s_waitcnt lgkmcnt(1)
	scratch_store_dwordx4 off, v[6:9], off offset:368
                                        ; implicit-def: $vgpr8_vgpr9
	s_and_saveexec_b64 s[6:7], s[4:5]
	s_xor_b64 s[4:5], exec, s[6:7]
	s_cbranch_execz .LBB2077_452
; %bb.451:
	ds_read2_b32 v[6:7], v13 offset1:1
	ds_read2_b32 v[8:9], v13 offset0:2 offset1:3
.LBB2077_452:
	s_andn2_saveexec_b64 s[4:5], s[4:5]
	s_cbranch_execz .LBB2077_458
; %bb.453:
	s_waitcnt lgkmcnt(1)
	v_mov_b32_e32 v6, 0
	s_mov_b32 s3, 0
	v_mov_b32_e32 v7, v6
.LBB2077_454:                           ; =>This Inner Loop Header: Depth=1
	s_add_i32 s6, s3, 0
	s_add_i32 s3, s3, 8
	s_cmp_lg_u32 s3, 16
	scratch_store_dwordx2 off, v[6:7], s6
	s_cbranch_scc1 .LBB2077_454
; %bb.455:
	s_mov_b32 s3, 0
.LBB2077_456:                           ; =>This Inner Loop Header: Depth=1
	s_add_i32 s6, s3, 0x170
	scratch_load_dwordx2 v[6:7], off, s6
	s_waitcnt lgkmcnt(0)
	v_add_u32_e32 v8, s3, v13
	ds_read2_b32 v[8:9], v8 offset1:1
	s_add_i32 s6, s3, 0
	s_add_i32 s3, s3, 8
	s_cmp_lg_u32 s3, 16
	s_waitcnt vmcnt(0) lgkmcnt(0)
	v_add_u32_e32 v7, v9, v7
	v_add_u32_e32 v6, v8, v6
	scratch_store_dwordx2 off, v[6:7], s6
	s_cbranch_scc1 .LBB2077_456
; %bb.457:
	scratch_load_dwordx4 v[6:9], off, off
.LBB2077_458:
	s_or_b64 exec, exec, s[4:5]
	v_and_b32_e32 v11, 1, v11
	s_waitcnt lgkmcnt(0)
	v_and_b32_e32 v10, 1, v10
	v_cmp_eq_u32_e64 s[4:5], 1, v11
	v_cmp_eq_u32_e64 s[6:7], 1, v10
	s_or_b64 s[4:5], s[6:7], s[4:5]
	v_cndmask_b32_e64 v10, 0, 1, s[4:5]
	v_cmp_eq_u32_e64 s[4:5], 0, v0
	s_waitcnt vmcnt(0)
	scratch_store_dwordx4 off, v[6:9], off offset:368
	scratch_store_byte off, v10, off offset:384
	s_and_saveexec_b64 s[6:7], s[4:5]
	s_cbranch_execz .LBB2077_460
; %bb.459:
	scratch_store_dwordx4 off, v[2:5], off offset:368
	scratch_store_byte off, v12, off offset:384
.LBB2077_460:
	s_or_b64 exec, exec, s[6:7]
	; wave barrier
	scratch_load_dwordx4 v[2:5], off, off offset:368
	scratch_load_ubyte v6, off, off offset:384
	s_waitcnt vmcnt(1)
	ds_write2_b32 v13, v4, v5 offset0:2 offset1:3
	ds_write2_b32 v13, v2, v3 offset1:1
	s_waitcnt vmcnt(0)
	ds_write_b8 v13, v6 offset:16
	; wave barrier
	ds_read_u8 v6, v13 offset:36
                                        ; implicit-def: $vgpr4_vgpr5
	s_waitcnt lgkmcnt(0)
	v_cmp_ne_u16_e64 s[4:5], 0, v6
	s_and_saveexec_b64 s[6:7], s[4:5]
	s_xor_b64 s[4:5], exec, s[6:7]
	s_cbranch_execz .LBB2077_462
; %bb.461:
	ds_read2_b32 v[2:3], v1 offset1:1
	ds_read2_b32 v[4:5], v1 offset0:2 offset1:3
.LBB2077_462:
	s_andn2_saveexec_b64 s[4:5], s[4:5]
	s_cbranch_execz .LBB2077_468
; %bb.463:
	s_waitcnt lgkmcnt(1)
	v_mov_b32_e32 v2, 0
	s_mov_b32 s3, 0
	v_mov_b32_e32 v3, v2
.LBB2077_464:                           ; =>This Inner Loop Header: Depth=1
	s_add_i32 s6, s3, 0
	s_add_i32 s3, s3, 8
	s_cmp_lg_u32 s3, 16
	scratch_store_dwordx2 off, v[2:3], s6
	s_cbranch_scc1 .LBB2077_464
; %bb.465:
	s_mov_b32 s3, 0
.LBB2077_466:                           ; =>This Inner Loop Header: Depth=1
	s_add_i32 s6, s3, 0x170
	scratch_load_dwordx2 v[2:3], off, s6
	s_waitcnt lgkmcnt(0)
	v_add_u32_e32 v4, s3, v1
	ds_read2_b32 v[4:5], v4 offset1:1
	s_add_i32 s6, s3, 0
	s_add_i32 s3, s3, 8
	s_cmp_lg_u32 s3, 16
	s_waitcnt vmcnt(0) lgkmcnt(0)
	v_add_u32_e32 v3, v5, v3
	v_add_u32_e32 v2, v4, v2
	scratch_store_dwordx2 off, v[2:3], s6
	s_cbranch_scc1 .LBB2077_466
; %bb.467:
	scratch_load_dwordx4 v[2:5], off, off
.LBB2077_468:
	s_or_b64 exec, exec, s[4:5]
	scratch_load_ubyte v7, off, off offset:384
	s_waitcnt vmcnt(1) lgkmcnt(0)
	ds_write2_b32 v1, v4, v5 offset0:2 offset1:3
	s_waitcnt vmcnt(0)
	v_or_b32_e32 v4, v6, v7
	v_and_b32_e32 v4, 1, v4
	ds_write2_b32 v1, v2, v3 offset1:1
	ds_write_b8 v1, v4 offset:16
.LBB2077_469:
	s_or_b64 exec, exec, s[8:9]
	v_cmp_eq_u32_e64 s[4:5], 0, v0
	v_cmp_ne_u32_e64 s[8:9], 0, v0
	s_waitcnt lgkmcnt(0)
	s_barrier
	s_and_saveexec_b64 s[6:7], s[8:9]
	s_cbranch_execz .LBB2077_471
; %bb.470:
	v_add_u32_e32 v1, -1, v0
	v_lshrrev_b32_e32 v2, 5, v1
	v_add_u32_e32 v1, v2, v1
	v_mul_lo_u32 v1, v1, 20
	ds_read_u8 v6, v1 offset:16
	ds_read2_b32 v[4:5], v1 offset0:2 offset1:3
	ds_read2_b32 v[2:3], v1 offset1:1
	s_waitcnt lgkmcnt(0)
	scratch_store_dwordx4 off, v[2:5], off offset:428
	scratch_store_byte off, v6, off offset:444
.LBB2077_471:
	s_or_b64 exec, exec, s[6:7]
	s_and_saveexec_b64 s[12:13], vcc
	s_cbranch_execz .LBB2077_608
; %bb.472:
	v_mov_b32_e32 v1, 0xa28
	v_mov_b32_e32 v2, 0
	ds_read2_b64 v[4:7], v1 offset1:1
	ds_read_b32 v1, v2 offset:2616
	v_mbcnt_lo_u32_b32 v3, -1, 0
	v_mbcnt_hi_u32_b32 v22, -1, v3
	v_cmp_eq_u32_e64 s[6:7], 0, v22
	s_waitcnt lgkmcnt(1)
	scratch_store_dwordx4 off, v[4:7], off offset:408
	s_waitcnt lgkmcnt(0)
	scratch_store_dword off, v1, off offset:424
	s_and_saveexec_b64 s[10:11], s[6:7]
	s_cbranch_execz .LBB2077_474
; %bb.473:
	v_lshrrev_b32_e32 v3, 8, v1
	s_movk_i32 s3, 0xff
	v_mov_b32_e32 v10, 8
	v_and_b32_sdwa v9, v1, s3 dst_sel:DWORD dst_unused:UNUSED_PAD src0_sel:WORD_1 src1_sel:DWORD
	v_lshlrev_b32_sdwa v3, v10, v3 dst_sel:DWORD dst_unused:UNUSED_PAD src0_sel:DWORD src1_sel:BYTE_0
	s_add_i32 s3, s2, 64
	v_lshrrev_b32_e32 v8, 24, v1
	v_or_b32_sdwa v1, v3, v1 dst_sel:DWORD dst_unused:UNUSED_PAD src0_sel:DWORD src1_sel:BYTE_0
	v_lshlrev_b32_e32 v3, 16, v9
	s_mul_i32 s14, s3, 20
	v_or_b32_e32 v1, v1, v3
	v_lshlrev_b32_e32 v3, 24, v8
	s_mul_hi_u32 s15, s3, 20
	s_add_u32 s14, s52, s14
	v_or_b32_e32 v1, v1, v3
	s_addc_u32 s15, s53, s15
	global_store_dword v2, v4, s[14:15] sc1
	global_store_dword v2, v5, s[14:15] offset:4 sc1
	global_store_dword v2, v6, s[14:15] offset:8 sc1
	;; [unrolled: 1-line block ×4, first 2 shown]
	v_mov_b32_e32 v1, s3
	v_mov_b32_e32 v3, 1
	s_waitcnt vmcnt(0)
	global_store_byte v1, v3, s[56:57] sc1
.LBB2077_474:
	s_or_b64 exec, exec, s[10:11]
	v_mov_b32_e32 v3, v2
	v_mov_b32_e32 v4, v2
	;; [unrolled: 1-line block ×3, first 2 shown]
	scratch_store_dword off, v2, off offset:404
	s_mov_b32 s3, 0
	scratch_store_dwordx4 off, v[2:5], off offset:388
.LBB2077_475:                           ; =>This Inner Loop Header: Depth=1
	s_add_i32 s10, s3, 0x184
	s_add_i32 s3, s3, 8
	s_cmp_lg_u32 s3, 16
	scratch_store_dwordx2 off, v[2:3], s10
	s_cbranch_scc1 .LBB2077_475
; %bb.476:
	v_mov_b32_e32 v3, 0
	v_xad_u32 v6, v22, -1, s2
	scratch_store_byte off, v3, off offset:404
	v_add_u32_e32 v2, 64, v6
	global_load_ubyte v1, v2, s[56:57] sc1
	s_waitcnt vmcnt(0)
	v_cmp_eq_u16_e32 vcc, 0, v1
	s_and_saveexec_b64 s[10:11], vcc
	s_cbranch_execz .LBB2077_480
; %bb.477:
	v_lshl_add_u64 v[4:5], s[56:57], 0, v[2:3]
	s_mov_b64 s[14:15], 0
.LBB2077_478:                           ; =>This Inner Loop Header: Depth=1
	global_load_ubyte v1, v[4:5], off sc1
	s_waitcnt vmcnt(0)
	v_cmp_ne_u16_e32 vcc, 0, v1
	s_or_b64 s[14:15], vcc, s[14:15]
	s_andn2_b64 exec, exec, s[14:15]
	s_cbranch_execnz .LBB2077_478
; %bb.479:
	s_or_b64 exec, exec, s[14:15]
.LBB2077_480:
	s_or_b64 exec, exec, s[10:11]
	v_mov_b32_e32 v3, s55
	v_mov_b32_e32 v4, s53
	v_cmp_eq_u16_e32 vcc, 1, v1
	s_waitcnt vmcnt(0)
	s_nop 0
	v_cndmask_b32_e32 v5, v3, v4, vcc
	v_mov_b32_e32 v3, s54
	v_mov_b32_e32 v4, s52
	v_cndmask_b32_e32 v4, v3, v4, vcc
	v_mad_u64_u32 v[8:9], s[10:11], v2, 20, v[4:5]
	global_load_dword v2, v[8:9], off sc1
	global_load_dword v3, v[8:9], off offset:4 sc1
	global_load_dword v4, v[8:9], off offset:8 sc1
	;; [unrolled: 1-line block ×4, first 2 shown]
	v_mov_b32_e32 v8, 0
	s_mov_b32 s3, 0
	v_mov_b32_e32 v9, v8
	scratch_store_dword off, v8, off offset:16
	s_waitcnt vmcnt(2)
	scratch_store_dwordx4 off, v[2:5], off offset:388
	s_waitcnt vmcnt(2)
	scratch_store_byte off, v7, off offset:404
.LBB2077_481:                           ; =>This Inner Loop Header: Depth=1
	s_add_i32 s10, s3, 0
	s_add_i32 s3, s3, 8
	s_cmp_lg_u32 s3, 16
	scratch_store_dwordx2 off, v[8:9], s10
	s_cbranch_scc1 .LBB2077_481
; %bb.482:
	scratch_load_dword v7, off, off offset:404
	v_lshlrev_b64 v[8:9], v22, -1
	v_cmp_eq_u16_e32 vcc, 2, v1
	v_and_b32_e32 v12, 63, v22
	s_nop 0
	v_and_b32_e32 v10, vcc_hi, v9
	v_and_b32_e32 v11, vcc_lo, v8
	v_cmp_ne_u32_e32 vcc, 63, v12
	v_or_b32_e32 v10, 0x80000000, v10
	v_ffbl_b32_e32 v10, v10
	v_addc_co_u32_e32 v13, vcc, 0, v22, vcc
	v_lshlrev_b32_e32 v13, 2, v13
	ds_bpermute_b32 v16, v13, v2
	ds_bpermute_b32 v17, v13, v3
	;; [unrolled: 1-line block ×4, first 2 shown]
	v_add_u32_e32 v10, 32, v10
	v_ffbl_b32_e32 v11, v11
	v_min_u32_e32 v24, v11, v10
	v_cmp_lt_u32_e32 vcc, v12, v24
	s_waitcnt lgkmcnt(0)
	scratch_store_dwordx4 off, v[16:19], off
	s_waitcnt vmcnt(1)
	ds_bpermute_b32 v14, v13, v7
	s_and_saveexec_b64 s[10:11], vcc
	s_cbranch_execz .LBB2077_490
; %bb.483:
	v_mov_b32_e32 v10, 0
	v_cmp_eq_u16_sdwa s[16:17], v7, v10 src0_sel:BYTE_0 src1_sel:DWORD
	s_and_saveexec_b64 s[14:15], s[16:17]
	s_cbranch_execz .LBB2077_489
; %bb.484:
	s_mov_b32 s3, 0
	v_mov_b32_e32 v11, v10
.LBB2077_485:                           ; =>This Inner Loop Header: Depth=1
	s_add_i32 s16, s3, 0x170
	s_add_i32 s3, s3, 8
	s_cmp_lg_u32 s3, 16
	scratch_store_dwordx2 off, v[10:11], s16
	s_cbranch_scc1 .LBB2077_485
; %bb.486:
	s_mov_b32 s3, 0
.LBB2077_487:                           ; =>This Inner Loop Header: Depth=1
	s_add_i32 s16, s3, 0
	s_add_i32 s17, s3, 0x184
	scratch_load_dwordx2 v[2:3], off, s16
	scratch_load_dwordx2 v[4:5], off, s17
	s_add_i32 s16, s3, 0x170
	s_add_i32 s3, s3, 8
	s_cmp_lg_u32 s3, 16
	s_waitcnt vmcnt(0)
	v_add_u32_e32 v3, v5, v3
	v_add_u32_e32 v2, v4, v2
	scratch_store_dwordx2 off, v[2:3], s16
	s_cbranch_scc1 .LBB2077_487
; %bb.488:
	scratch_load_dwordx4 v[2:5], off, off offset:368
.LBB2077_489:
	s_or_b64 exec, exec, s[14:15]
	s_waitcnt lgkmcnt(0)
	v_or_b32_e32 v7, v14, v7
	v_and_b32_e32 v7, 1, v7
	scratch_store_byte off, v7, off offset:404
	scratch_load_dword v7, off, off offset:404
	s_waitcnt vmcnt(2)
	scratch_store_dwordx4 off, v[2:5], off offset:388
.LBB2077_490:
	s_or_b64 exec, exec, s[10:11]
	v_cmp_gt_u32_e32 vcc, 62, v12
	v_add_u32_e32 v15, 2, v12
	s_nop 0
	v_cndmask_b32_e64 v10, 0, 1, vcc
	v_lshlrev_b32_e32 v10, 1, v10
	s_waitcnt lgkmcnt(0)
	v_add_lshl_u32 v14, v10, v22, 2
	ds_bpermute_b32 v18, v14, v2
	ds_bpermute_b32 v19, v14, v3
	ds_bpermute_b32 v20, v14, v4
	ds_bpermute_b32 v21, v14, v5
	s_waitcnt vmcnt(1)
	ds_bpermute_b32 v16, v14, v7
	v_cmp_le_u32_e32 vcc, v15, v24
	s_waitcnt lgkmcnt(1)
	scratch_store_dwordx4 off, v[18:21], off
	s_and_saveexec_b64 s[14:15], vcc
	s_cbranch_execz .LBB2077_498
; %bb.491:
	v_mov_b32_e32 v10, 0
	s_mov_b32 s3, 0
	v_cmp_eq_u16_sdwa s[16:17], v7, v10 src0_sel:BYTE_0 src1_sel:DWORD
	s_and_saveexec_b64 s[10:11], s[16:17]
	s_cbranch_execz .LBB2077_497
; %bb.492:
	v_mov_b32_e32 v11, v10
.LBB2077_493:                           ; =>This Inner Loop Header: Depth=1
	s_add_i32 s16, s3, 0x170
	s_add_i32 s3, s3, 8
	s_cmp_lg_u32 s3, 16
	scratch_store_dwordx2 off, v[10:11], s16
	s_cbranch_scc1 .LBB2077_493
; %bb.494:
	s_mov_b32 s3, 0
.LBB2077_495:                           ; =>This Inner Loop Header: Depth=1
	s_add_i32 s16, s3, 0
	s_add_i32 s17, s3, 0x184
	scratch_load_dwordx2 v[2:3], off, s16
	scratch_load_dwordx2 v[4:5], off, s17
	s_add_i32 s16, s3, 0x170
	s_add_i32 s3, s3, 8
	s_cmp_lg_u32 s3, 16
	s_waitcnt vmcnt(0)
	v_add_u32_e32 v3, v5, v3
	v_add_u32_e32 v2, v4, v2
	scratch_store_dwordx2 off, v[2:3], s16
	s_cbranch_scc1 .LBB2077_495
; %bb.496:
	scratch_load_dwordx4 v[2:5], off, off offset:368
.LBB2077_497:
	s_or_b64 exec, exec, s[10:11]
	v_and_b32_e32 v7, 1, v7
	v_cmp_eq_u32_e32 vcc, 1, v7
	s_waitcnt lgkmcnt(0)
	v_and_b32_e32 v7, 1, v16
	v_cmp_eq_u32_e64 s[10:11], 1, v7
	s_or_b64 s[10:11], vcc, s[10:11]
	s_waitcnt vmcnt(0)
	scratch_store_dwordx4 off, v[2:5], off offset:388
	v_cndmask_b32_e64 v7, 0, 1, s[10:11]
	scratch_store_byte off, v7, off offset:404
	scratch_load_dword v7, off, off offset:404
.LBB2077_498:
	s_or_b64 exec, exec, s[14:15]
	v_cmp_gt_u32_e32 vcc, 60, v12
	v_add_u32_e32 v17, 4, v12
	s_nop 0
	v_cndmask_b32_e64 v10, 0, 1, vcc
	v_lshlrev_b32_e32 v10, 2, v10
	s_waitcnt lgkmcnt(0)
	v_add_lshl_u32 v16, v10, v22, 2
	ds_bpermute_b32 v48, v16, v2
	ds_bpermute_b32 v49, v16, v3
	ds_bpermute_b32 v50, v16, v4
	ds_bpermute_b32 v51, v16, v5
	s_waitcnt vmcnt(0)
	ds_bpermute_b32 v18, v16, v7
	v_cmp_le_u32_e32 vcc, v17, v24
	s_waitcnt lgkmcnt(1)
	scratch_store_dwordx4 off, v[48:51], off
	s_and_saveexec_b64 s[14:15], vcc
	s_cbranch_execz .LBB2077_506
; %bb.499:
	v_mov_b32_e32 v10, 0
	s_mov_b32 s3, 0
	v_cmp_eq_u16_sdwa s[16:17], v7, v10 src0_sel:BYTE_0 src1_sel:DWORD
	s_and_saveexec_b64 s[10:11], s[16:17]
	s_cbranch_execz .LBB2077_505
; %bb.500:
	v_mov_b32_e32 v11, v10
.LBB2077_501:                           ; =>This Inner Loop Header: Depth=1
	s_add_i32 s16, s3, 0x170
	s_add_i32 s3, s3, 8
	s_cmp_lg_u32 s3, 16
	scratch_store_dwordx2 off, v[10:11], s16
	s_cbranch_scc1 .LBB2077_501
; %bb.502:
	s_mov_b32 s3, 0
.LBB2077_503:                           ; =>This Inner Loop Header: Depth=1
	s_add_i32 s16, s3, 0
	s_add_i32 s17, s3, 0x184
	scratch_load_dwordx2 v[2:3], off, s16
	scratch_load_dwordx2 v[4:5], off, s17
	s_add_i32 s16, s3, 0x170
	s_add_i32 s3, s3, 8
	s_cmp_lg_u32 s3, 16
	s_waitcnt vmcnt(0)
	v_add_u32_e32 v3, v5, v3
	v_add_u32_e32 v2, v4, v2
	scratch_store_dwordx2 off, v[2:3], s16
	s_cbranch_scc1 .LBB2077_503
; %bb.504:
	scratch_load_dwordx4 v[2:5], off, off offset:368
.LBB2077_505:
	s_or_b64 exec, exec, s[10:11]
	v_and_b32_e32 v7, 1, v7
	v_cmp_eq_u32_e32 vcc, 1, v7
	s_waitcnt lgkmcnt(0)
	v_and_b32_e32 v7, 1, v18
	v_cmp_eq_u32_e64 s[10:11], 1, v7
	s_or_b64 s[10:11], vcc, s[10:11]
	s_waitcnt vmcnt(0)
	scratch_store_dwordx4 off, v[2:5], off offset:388
	v_cndmask_b32_e64 v7, 0, 1, s[10:11]
	scratch_store_byte off, v7, off offset:404
	scratch_load_dword v7, off, off offset:404
.LBB2077_506:
	;; [unrolled: 64-line block ×4, first 2 shown]
	s_or_b64 exec, exec, s[14:15]
	v_cmp_gt_u32_e32 vcc, 32, v12
	s_waitcnt lgkmcnt(0)
	v_add_u32_e32 v23, 32, v12
	v_cndmask_b32_e64 v10, 0, 1, vcc
	v_lshlrev_b32_e32 v10, 5, v10
	v_add_lshl_u32 v22, v10, v22, 2
	ds_bpermute_b32 v48, v22, v2
	ds_bpermute_b32 v49, v22, v3
	;; [unrolled: 1-line block ×4, first 2 shown]
	s_waitcnt vmcnt(0)
	ds_bpermute_b32 v25, v22, v7
	v_cmp_le_u32_e32 vcc, v23, v24
	s_waitcnt lgkmcnt(1)
	scratch_store_dwordx4 off, v[48:51], off
	s_and_saveexec_b64 s[14:15], vcc
	s_cbranch_execz .LBB2077_530
; %bb.523:
	v_mov_b32_e32 v10, 0
	s_mov_b32 s3, 0
	v_cmp_eq_u16_sdwa s[16:17], v7, v10 src0_sel:BYTE_0 src1_sel:DWORD
	s_and_saveexec_b64 s[10:11], s[16:17]
	s_cbranch_execz .LBB2077_529
; %bb.524:
	v_mov_b32_e32 v11, v10
.LBB2077_525:                           ; =>This Inner Loop Header: Depth=1
	s_add_i32 s16, s3, 0x170
	s_add_i32 s3, s3, 8
	s_cmp_lg_u32 s3, 16
	scratch_store_dwordx2 off, v[10:11], s16
	s_cbranch_scc1 .LBB2077_525
; %bb.526:
	s_mov_b32 s3, 0
.LBB2077_527:                           ; =>This Inner Loop Header: Depth=1
	s_add_i32 s16, s3, 0
	s_add_i32 s17, s3, 0x184
	scratch_load_dwordx2 v[2:3], off, s16
	scratch_load_dwordx2 v[4:5], off, s17
	s_add_i32 s16, s3, 0x170
	s_add_i32 s3, s3, 8
	s_cmp_lg_u32 s3, 16
	s_waitcnt vmcnt(0)
	v_add_u32_e32 v3, v5, v3
	v_add_u32_e32 v2, v4, v2
	scratch_store_dwordx2 off, v[2:3], s16
	s_cbranch_scc1 .LBB2077_527
; %bb.528:
	scratch_load_dwordx4 v[2:5], off, off offset:368
.LBB2077_529:
	s_or_b64 exec, exec, s[10:11]
	v_and_b32_e32 v7, 1, v7
	v_cmp_eq_u32_e32 vcc, 1, v7
	s_waitcnt lgkmcnt(0)
	v_and_b32_e32 v7, 1, v25
	v_cmp_eq_u32_e64 s[10:11], 1, v7
	s_or_b64 s[10:11], vcc, s[10:11]
	s_nop 0
	v_cndmask_b32_e64 v7, 0, 1, s[10:11]
	s_waitcnt vmcnt(0)
	scratch_store_dwordx4 off, v[2:5], off offset:388
	scratch_store_byte off, v7, off offset:404
.LBB2077_530:
	s_or_b64 exec, exec, s[14:15]
	scratch_load_dwordx4 v[2:5], off, off offset:388
	scratch_load_dword v7, off, off offset:404
	v_mov_b32_e32 v10, 0
	v_mov_b32_e32 v24, 2
	s_waitcnt vmcnt(1)
	scratch_store_dwordx4 off, v[2:5], off offset:368
	s_waitcnt vmcnt(1)
	scratch_store_dword off, v7, off offset:384
	s_branch .LBB2077_532
.LBB2077_531:                           ;   in Loop: Header=BB2077_532 Depth=1
	s_or_b64 exec, exec, s[14:15]
	v_and_b32_e32 v7, 1, v7
	v_cmp_eq_u32_e32 vcc, 1, v7
	s_or_b64 s[10:11], vcc, s[10:11]
	v_subrev_u32_e32 v6, 64, v6
	v_cndmask_b32_e64 v7, 0, 1, s[10:11]
	s_waitcnt vmcnt(0)
	scratch_store_dwordx4 off, v[2:5], off offset:368
	scratch_store_byte off, v7, off offset:384
.LBB2077_532:                           ; =>This Loop Header: Depth=1
                                        ;     Child Loop BB2077_535 Depth 2
                                        ;     Child Loop BB2077_538 Depth 2
	;; [unrolled: 1-line block ×16, first 2 shown]
	v_cmp_ne_u16_sdwa s[10:11], v1, v24 src0_sel:BYTE_0 src1_sel:DWORD
	s_nop 1
	v_cndmask_b32_e64 v1, 0, 1, s[10:11]
	;;#ASMSTART
	;;#ASMEND
	s_nop 0
	v_cmp_ne_u32_e32 vcc, 0, v1
	s_cmp_lg_u64 vcc, exec
	s_cbranch_scc1 .LBB2077_595
; %bb.533:                              ;   in Loop: Header=BB2077_532 Depth=1
	global_load_ubyte v1, v6, s[56:57] sc1
	v_mov_b32_e32 v7, v10
	s_waitcnt vmcnt(0)
	v_cmp_eq_u16_e32 vcc, 0, v1
	s_and_saveexec_b64 s[10:11], vcc
	s_cbranch_execz .LBB2077_537
; %bb.534:                              ;   in Loop: Header=BB2077_532 Depth=1
	v_lshl_add_u64 v[2:3], s[56:57], 0, v[6:7]
	s_mov_b64 s[14:15], 0
.LBB2077_535:                           ;   Parent Loop BB2077_532 Depth=1
                                        ; =>  This Inner Loop Header: Depth=2
	global_load_ubyte v1, v[2:3], off sc1
	s_waitcnt vmcnt(0)
	v_cmp_ne_u16_e32 vcc, 0, v1
	s_or_b64 s[14:15], vcc, s[14:15]
	s_andn2_b64 exec, exec, s[14:15]
	s_cbranch_execnz .LBB2077_535
; %bb.536:                              ;   in Loop: Header=BB2077_532 Depth=1
	s_or_b64 exec, exec, s[14:15]
.LBB2077_537:                           ;   in Loop: Header=BB2077_532 Depth=1
	s_or_b64 exec, exec, s[10:11]
	v_mov_b32_e32 v2, s55
	v_mov_b32_e32 v3, s53
	v_cmp_eq_u16_e32 vcc, 1, v1
	v_mov_b32_e32 v4, s52
	s_waitcnt vmcnt(0)
	v_cndmask_b32_e32 v3, v2, v3, vcc
	v_mov_b32_e32 v2, s54
	v_cndmask_b32_e32 v2, v2, v4, vcc
	s_waitcnt lgkmcnt(0)
	v_mad_u64_u32 v[48:49], s[10:11], v6, 20, v[2:3]
	s_waitcnt lgkmcnt(0)
	global_load_dword v2, v[48:49], off sc1
	global_load_dword v3, v[48:49], off offset:4 sc1
	global_load_dword v4, v[48:49], off offset:8 sc1
	;; [unrolled: 1-line block ×4, first 2 shown]
	s_mov_b32 s3, 0
	scratch_store_dword off, v10, off offset:16
	s_waitcnt vmcnt(2)
	scratch_store_dwordx4 off, v[2:5], off offset:388
	s_waitcnt vmcnt(2)
	scratch_store_byte off, v7, off offset:404
.LBB2077_538:                           ;   Parent Loop BB2077_532 Depth=1
                                        ; =>  This Inner Loop Header: Depth=2
	s_add_i32 s10, s3, 0
	s_add_i32 s3, s3, 8
	v_mov_b32_e32 v11, v10
	s_cmp_lg_u32 s3, 16
	scratch_store_dwordx2 off, v[10:11], s10
	s_cbranch_scc1 .LBB2077_538
; %bb.539:                              ;   in Loop: Header=BB2077_532 Depth=1
	scratch_load_dword v25, off, off offset:404
	v_cmp_eq_u16_e32 vcc, 2, v1
	ds_bpermute_b32 v50, v13, v2
	ds_bpermute_b32 v51, v13, v3
	v_and_b32_e32 v7, vcc_hi, v9
	v_or_b32_e32 v7, 0x80000000, v7
	ds_bpermute_b32 v52, v13, v4
	ds_bpermute_b32 v53, v13, v5
	v_and_b32_e32 v11, vcc_lo, v8
	v_ffbl_b32_e32 v7, v7
	v_add_u32_e32 v7, 32, v7
	v_ffbl_b32_e32 v11, v11
	v_min_u32_e32 v7, v11, v7
	v_cmp_lt_u32_e32 vcc, v12, v7
	s_waitcnt lgkmcnt(0)
	scratch_store_dwordx4 off, v[50:53], off
	s_waitcnt vmcnt(1)
	ds_bpermute_b32 v48, v13, v25
	s_and_saveexec_b64 s[10:11], vcc
	s_cbranch_execz .LBB2077_547
; %bb.540:                              ;   in Loop: Header=BB2077_532 Depth=1
	v_cmp_eq_u16_sdwa s[16:17], v25, v10 src0_sel:BYTE_0 src1_sel:DWORD
	s_and_saveexec_b64 s[14:15], s[16:17]
	s_cbranch_execz .LBB2077_546
; %bb.541:                              ;   in Loop: Header=BB2077_532 Depth=1
	s_mov_b32 s3, 0
.LBB2077_542:                           ;   Parent Loop BB2077_532 Depth=1
                                        ; =>  This Inner Loop Header: Depth=2
	s_add_i32 s16, s3, 0x39c
	s_add_i32 s3, s3, 8
	v_mov_b32_e32 v11, v10
	s_cmp_lg_u32 s3, 16
	scratch_store_dwordx2 off, v[10:11], s16
	s_cbranch_scc1 .LBB2077_542
; %bb.543:                              ;   in Loop: Header=BB2077_532 Depth=1
	s_mov_b32 s3, 0
.LBB2077_544:                           ;   Parent Loop BB2077_532 Depth=1
                                        ; =>  This Inner Loop Header: Depth=2
	s_add_i32 s16, s3, 0
	s_add_i32 s17, s3, 0x184
	scratch_load_dwordx2 v[2:3], off, s16
	scratch_load_dwordx2 v[4:5], off, s17
	s_add_i32 s16, s3, 0x39c
	s_add_i32 s3, s3, 8
	s_cmp_lg_u32 s3, 16
	s_waitcnt vmcnt(0)
	v_add_u32_e32 v3, v5, v3
	v_add_u32_e32 v2, v4, v2
	scratch_store_dwordx2 off, v[2:3], s16
	s_cbranch_scc1 .LBB2077_544
; %bb.545:                              ;   in Loop: Header=BB2077_532 Depth=1
	scratch_load_dwordx4 v[2:5], off, off offset:924
.LBB2077_546:                           ;   in Loop: Header=BB2077_532 Depth=1
	s_or_b64 exec, exec, s[14:15]
	s_waitcnt lgkmcnt(0)
	v_or_b32_e32 v11, v48, v25
	v_and_b32_e32 v11, 1, v11
	scratch_store_byte off, v11, off offset:404
	scratch_load_dword v25, off, off offset:404
	s_waitcnt vmcnt(2)
	scratch_store_dwordx4 off, v[2:5], off offset:388
.LBB2077_547:                           ;   in Loop: Header=BB2077_532 Depth=1
	s_or_b64 exec, exec, s[10:11]
	ds_bpermute_b32 v50, v14, v2
	ds_bpermute_b32 v51, v14, v3
	ds_bpermute_b32 v52, v14, v4
	ds_bpermute_b32 v53, v14, v5
	s_waitcnt vmcnt(1) lgkmcnt(4)
	ds_bpermute_b32 v48, v14, v25
	v_cmp_le_u32_e32 vcc, v15, v7
	s_waitcnt lgkmcnt(1)
	scratch_store_dwordx4 off, v[50:53], off
	s_and_saveexec_b64 s[14:15], vcc
	s_cbranch_execz .LBB2077_555
; %bb.548:                              ;   in Loop: Header=BB2077_532 Depth=1
	v_cmp_eq_u16_sdwa s[16:17], v25, v10 src0_sel:BYTE_0 src1_sel:DWORD
	s_and_saveexec_b64 s[10:11], s[16:17]
	s_cbranch_execz .LBB2077_554
; %bb.549:                              ;   in Loop: Header=BB2077_532 Depth=1
	s_mov_b32 s3, 0
.LBB2077_550:                           ;   Parent Loop BB2077_532 Depth=1
                                        ; =>  This Inner Loop Header: Depth=2
	s_add_i32 s16, s3, 0x39c
	s_add_i32 s3, s3, 8
	v_mov_b32_e32 v11, v10
	s_cmp_lg_u32 s3, 16
	scratch_store_dwordx2 off, v[10:11], s16
	s_cbranch_scc1 .LBB2077_550
; %bb.551:                              ;   in Loop: Header=BB2077_532 Depth=1
	s_mov_b32 s3, 0
.LBB2077_552:                           ;   Parent Loop BB2077_532 Depth=1
                                        ; =>  This Inner Loop Header: Depth=2
	s_add_i32 s16, s3, 0
	s_add_i32 s17, s3, 0x184
	scratch_load_dwordx2 v[2:3], off, s16
	scratch_load_dwordx2 v[4:5], off, s17
	s_add_i32 s16, s3, 0x39c
	s_add_i32 s3, s3, 8
	s_cmp_lg_u32 s3, 16
	s_waitcnt vmcnt(0)
	v_add_u32_e32 v3, v5, v3
	v_add_u32_e32 v2, v4, v2
	scratch_store_dwordx2 off, v[2:3], s16
	s_cbranch_scc1 .LBB2077_552
; %bb.553:                              ;   in Loop: Header=BB2077_532 Depth=1
	scratch_load_dwordx4 v[2:5], off, off offset:924
.LBB2077_554:                           ;   in Loop: Header=BB2077_532 Depth=1
	s_or_b64 exec, exec, s[10:11]
	v_and_b32_e32 v11, 1, v25
	v_cmp_eq_u32_e32 vcc, 1, v11
	s_waitcnt lgkmcnt(0)
	v_and_b32_e32 v11, 1, v48
	v_cmp_eq_u32_e64 s[10:11], 1, v11
	s_or_b64 s[10:11], vcc, s[10:11]
	s_waitcnt vmcnt(0)
	scratch_store_dwordx4 off, v[2:5], off offset:388
	v_cndmask_b32_e64 v11, 0, 1, s[10:11]
	scratch_store_byte off, v11, off offset:404
	scratch_load_dword v25, off, off offset:404
.LBB2077_555:                           ;   in Loop: Header=BB2077_532 Depth=1
	s_or_b64 exec, exec, s[14:15]
	ds_bpermute_b32 v50, v16, v2
	ds_bpermute_b32 v51, v16, v3
	ds_bpermute_b32 v52, v16, v4
	ds_bpermute_b32 v53, v16, v5
	s_waitcnt vmcnt(0) lgkmcnt(4)
	ds_bpermute_b32 v48, v16, v25
	v_cmp_le_u32_e32 vcc, v17, v7
	s_waitcnt lgkmcnt(1)
	scratch_store_dwordx4 off, v[50:53], off
	s_and_saveexec_b64 s[14:15], vcc
	s_cbranch_execz .LBB2077_563
; %bb.556:                              ;   in Loop: Header=BB2077_532 Depth=1
	v_cmp_eq_u16_sdwa s[16:17], v25, v10 src0_sel:BYTE_0 src1_sel:DWORD
	s_and_saveexec_b64 s[10:11], s[16:17]
	s_cbranch_execz .LBB2077_562
; %bb.557:                              ;   in Loop: Header=BB2077_532 Depth=1
	s_mov_b32 s3, 0
.LBB2077_558:                           ;   Parent Loop BB2077_532 Depth=1
                                        ; =>  This Inner Loop Header: Depth=2
	s_add_i32 s16, s3, 0x39c
	s_add_i32 s3, s3, 8
	v_mov_b32_e32 v11, v10
	s_cmp_lg_u32 s3, 16
	scratch_store_dwordx2 off, v[10:11], s16
	s_cbranch_scc1 .LBB2077_558
; %bb.559:                              ;   in Loop: Header=BB2077_532 Depth=1
	s_mov_b32 s3, 0
.LBB2077_560:                           ;   Parent Loop BB2077_532 Depth=1
                                        ; =>  This Inner Loop Header: Depth=2
	s_add_i32 s16, s3, 0
	s_add_i32 s17, s3, 0x184
	scratch_load_dwordx2 v[2:3], off, s16
	scratch_load_dwordx2 v[4:5], off, s17
	s_add_i32 s16, s3, 0x39c
	s_add_i32 s3, s3, 8
	s_cmp_lg_u32 s3, 16
	s_waitcnt vmcnt(0)
	v_add_u32_e32 v3, v5, v3
	v_add_u32_e32 v2, v4, v2
	scratch_store_dwordx2 off, v[2:3], s16
	s_cbranch_scc1 .LBB2077_560
; %bb.561:                              ;   in Loop: Header=BB2077_532 Depth=1
	scratch_load_dwordx4 v[2:5], off, off offset:924
.LBB2077_562:                           ;   in Loop: Header=BB2077_532 Depth=1
	s_or_b64 exec, exec, s[10:11]
	v_and_b32_e32 v11, 1, v25
	v_cmp_eq_u32_e32 vcc, 1, v11
	s_waitcnt lgkmcnt(0)
	v_and_b32_e32 v11, 1, v48
	v_cmp_eq_u32_e64 s[10:11], 1, v11
	s_or_b64 s[10:11], vcc, s[10:11]
	s_waitcnt vmcnt(0)
	scratch_store_dwordx4 off, v[2:5], off offset:388
	v_cndmask_b32_e64 v11, 0, 1, s[10:11]
	scratch_store_byte off, v11, off offset:404
	scratch_load_dword v25, off, off offset:404
.LBB2077_563:                           ;   in Loop: Header=BB2077_532 Depth=1
	;; [unrolled: 58-line block ×4, first 2 shown]
	s_or_b64 exec, exec, s[14:15]
	ds_bpermute_b32 v50, v22, v2
	ds_bpermute_b32 v51, v22, v3
	;; [unrolled: 1-line block ×4, first 2 shown]
	s_waitcnt vmcnt(0) lgkmcnt(4)
	ds_bpermute_b32 v48, v22, v25
	v_cmp_le_u32_e32 vcc, v23, v7
	v_and_b32_e32 v7, 1, v25
	v_cmp_eq_u32_e64 s[10:11], 1, v7
	s_waitcnt lgkmcnt(1)
	scratch_store_dwordx4 off, v[50:53], off
	s_and_saveexec_b64 s[14:15], vcc
	s_cbranch_execz .LBB2077_587
; %bb.580:                              ;   in Loop: Header=BB2077_532 Depth=1
	v_cmp_eq_u16_sdwa s[18:19], v25, v10 src0_sel:BYTE_0 src1_sel:DWORD
	s_and_saveexec_b64 s[16:17], s[18:19]
	s_cbranch_execz .LBB2077_586
; %bb.581:                              ;   in Loop: Header=BB2077_532 Depth=1
	s_mov_b32 s3, 0
.LBB2077_582:                           ;   Parent Loop BB2077_532 Depth=1
                                        ; =>  This Inner Loop Header: Depth=2
	s_add_i32 s18, s3, 0x39c
	s_add_i32 s3, s3, 8
	v_mov_b32_e32 v11, v10
	s_cmp_lg_u32 s3, 16
	scratch_store_dwordx2 off, v[10:11], s18
	s_cbranch_scc1 .LBB2077_582
; %bb.583:                              ;   in Loop: Header=BB2077_532 Depth=1
	s_mov_b32 s3, 0
.LBB2077_584:                           ;   Parent Loop BB2077_532 Depth=1
                                        ; =>  This Inner Loop Header: Depth=2
	s_add_i32 s18, s3, 0
	s_add_i32 s19, s3, 0x184
	scratch_load_dwordx2 v[2:3], off, s18
	scratch_load_dwordx2 v[4:5], off, s19
	s_add_i32 s18, s3, 0x39c
	s_add_i32 s3, s3, 8
	s_cmp_lg_u32 s3, 16
	s_waitcnt vmcnt(0)
	v_add_u32_e32 v3, v5, v3
	v_add_u32_e32 v2, v4, v2
	scratch_store_dwordx2 off, v[2:3], s18
	s_cbranch_scc1 .LBB2077_584
; %bb.585:                              ;   in Loop: Header=BB2077_532 Depth=1
	scratch_load_dwordx4 v[2:5], off, off offset:924
.LBB2077_586:                           ;   in Loop: Header=BB2077_532 Depth=1
	s_or_b64 exec, exec, s[16:17]
	s_waitcnt lgkmcnt(0)
	v_and_b32_e32 v7, 1, v48
	v_cmp_eq_u32_e32 vcc, 1, v7
	s_or_b64 s[16:17], s[10:11], vcc
	v_cndmask_b32_e64 v7, 0, 1, s[16:17]
	s_andn2_b64 s[10:11], s[10:11], exec
	s_and_b64 s[16:17], s[16:17], exec
	s_or_b64 s[10:11], s[10:11], s[16:17]
	s_waitcnt vmcnt(0)
	scratch_store_dwordx4 off, v[2:5], off offset:388
	scratch_store_byte off, v7, off offset:404
.LBB2077_587:                           ;   in Loop: Header=BB2077_532 Depth=1
	s_or_b64 exec, exec, s[14:15]
	scratch_load_ubyte v7, off, off offset:384
                                        ; implicit-def: $vgpr4_vgpr5
	s_waitcnt vmcnt(0)
	v_cmp_ne_u16_e32 vcc, 0, v7
	s_and_saveexec_b64 s[14:15], vcc
	s_xor_b64 s[14:15], exec, s[14:15]
	s_cbranch_execz .LBB2077_589
; %bb.588:                              ;   in Loop: Header=BB2077_532 Depth=1
	scratch_load_dwordx4 v[2:5], off, off offset:368
.LBB2077_589:                           ;   in Loop: Header=BB2077_532 Depth=1
	s_andn2_saveexec_b64 s[14:15], s[14:15]
	s_cbranch_execz .LBB2077_531
; %bb.590:                              ;   in Loop: Header=BB2077_532 Depth=1
	s_mov_b32 s3, 0
.LBB2077_591:                           ;   Parent Loop BB2077_532 Depth=1
                                        ; =>  This Inner Loop Header: Depth=2
	s_add_i32 s16, s3, 0
	s_add_i32 s3, s3, 8
	v_mov_b32_e32 v11, v10
	s_cmp_lg_u32 s3, 16
	scratch_store_dwordx2 off, v[10:11], s16
	s_cbranch_scc1 .LBB2077_591
; %bb.592:                              ;   in Loop: Header=BB2077_532 Depth=1
	s_mov_b32 s3, 0
.LBB2077_593:                           ;   Parent Loop BB2077_532 Depth=1
                                        ; =>  This Inner Loop Header: Depth=2
	s_add_i32 s16, s3, 0x184
	s_add_i32 s17, s3, 0x170
	scratch_load_dwordx2 v[2:3], off, s16
	scratch_load_dwordx2 v[4:5], off, s17
	s_add_i32 s16, s3, 0
	s_add_i32 s3, s3, 8
	s_cmp_lg_u32 s3, 16
	s_waitcnt vmcnt(0)
	v_add_u32_e32 v3, v5, v3
	v_add_u32_e32 v2, v4, v2
	scratch_store_dwordx2 off, v[2:3], s16
	s_cbranch_scc1 .LBB2077_593
; %bb.594:                              ;   in Loop: Header=BB2077_532 Depth=1
	scratch_load_dwordx4 v[2:5], off, off
	s_branch .LBB2077_531
.LBB2077_595:                           ;   in Loop: Header=BB2077_532 Depth=1
                                        ; implicit-def: $vgpr6
                                        ; implicit-def: $vgpr1
	s_cbranch_execz .LBB2077_532
; %bb.596:
	scratch_load_dwordx4 v[2:5], off, off offset:368
	scratch_load_dword v1, off, off offset:384
	s_waitcnt vmcnt(1)
	scratch_store_dwordx4 off, v[2:5], off
	s_waitcnt vmcnt(1)
	scratch_store_dword off, v1, off offset:16
	s_and_saveexec_b64 s[10:11], s[6:7]
	s_cbranch_execz .LBB2077_606
; %bb.597:
	scratch_load_ubyte v12, off, off offset:424
                                        ; implicit-def: $vgpr10_vgpr11
                                        ; implicit-def: $vgpr9
	s_waitcnt vmcnt(0)
	v_cmp_ne_u16_e32 vcc, 0, v12
	s_and_saveexec_b64 s[6:7], vcc
	s_xor_b64 s[6:7], exec, s[6:7]
	s_cbranch_execz .LBB2077_599
; %bb.598:
	scratch_load_dwordx4 v[6:9], off, off offset:408
	s_waitcnt vmcnt(0)
	v_mov_b32_e32 v10, v7
	v_mov_b32_e32 v11, v8
.LBB2077_599:
	s_andn2_saveexec_b64 s[6:7], s[6:7]
	s_cbranch_execz .LBB2077_605
; %bb.600:
	v_mov_b32_e32 v6, 0
	s_mov_b32 s3, 0
	v_mov_b32_e32 v7, v6
.LBB2077_601:                           ; =>This Inner Loop Header: Depth=1
	s_add_i32 s14, s3, 0x170
	s_add_i32 s3, s3, 8
	s_cmp_lg_u32 s3, 16
	scratch_store_dwordx2 off, v[6:7], s14
	s_cbranch_scc1 .LBB2077_601
; %bb.602:
	s_mov_b32 s3, 0
.LBB2077_603:                           ; =>This Inner Loop Header: Depth=1
	s_add_i32 s14, s3, 0
	s_add_i32 s15, s3, 0x198
	scratch_load_dwordx2 v[6:7], off, s14
	scratch_load_dwordx2 v[8:9], off, s15
	s_add_i32 s14, s3, 0x170
	s_add_i32 s3, s3, 8
	s_cmp_lg_u32 s3, 16
	s_waitcnt vmcnt(0)
	v_add_u32_e32 v7, v9, v7
	v_add_u32_e32 v6, v8, v6
	scratch_store_dwordx2 off, v[6:7], s14
	s_cbranch_scc1 .LBB2077_603
; %bb.604:
	scratch_load_dwordx4 v[6:9], off, off offset:368
	s_waitcnt vmcnt(0)
	v_mov_b32_e32 v10, v7
	v_mov_b32_e32 v11, v8
.LBB2077_605:
	s_or_b64 exec, exec, s[6:7]
	s_add_i32 s6, s2, 64
	v_and_b32_e32 v7, 1, v12
	s_mul_i32 s2, s6, 20
	v_and_b32_e32 v8, 1, v1
	v_cmp_eq_u32_e32 vcc, 1, v7
	s_mul_hi_u32 s3, s6, 20
	s_add_u32 s2, s54, s2
	v_cndmask_b32_e64 v7, v8, 1, vcc
	s_addc_u32 s3, s55, s3
	v_mov_b32_e32 v8, 0
	global_store_dword v8, v6, s[2:3] sc1
	global_store_dword v8, v10, s[2:3] offset:4 sc1
	global_store_dword v8, v11, s[2:3] offset:8 sc1
	global_store_dword v8, v9, s[2:3] offset:12 sc1
	global_store_dword v8, v7, s[2:3] offset:16 sc1
	v_mov_b32_e32 v6, s6
	v_mov_b32_e32 v7, 2
	s_waitcnt vmcnt(0) lgkmcnt(0)
	global_store_byte v6, v7, s[56:57] sc1
.LBB2077_606:
	s_or_b64 exec, exec, s[10:11]
	s_and_b64 exec, exec, s[4:5]
	s_cbranch_execz .LBB2077_608
; %bb.607:
	v_mov_b32_e32 v6, 0
	ds_write_b128 v6, v[2:5]
	ds_write_b8 v6, v1 offset:16
.LBB2077_608:
	s_or_b64 exec, exec, s[12:13]
	s_waitcnt lgkmcnt(0)
	s_barrier
	scratch_load_dwordx4 v[2:5], off, off offset:464
	scratch_load_dword v1, off, off offset:480
	v_mov_b32_e32 v6, 0
	ds_read_b128 v[8:11], v6
	ds_read_b32 v6, v6 offset:16
	s_waitcnt lgkmcnt(1)
	scratch_store_dwordx4 off, v[8:11], off
	s_waitcnt lgkmcnt(0)
	scratch_store_dword off, v6, off offset:16
	scratch_store_dwordx4 off, v[8:11], off offset:388
	s_waitcnt vmcnt(4)
	scratch_store_dwordx4 off, v[2:5], off offset:368
	s_waitcnt vmcnt(4)
	scratch_store_dword off, v1, off offset:384
	scratch_store_dword off, v6, off offset:404
                                        ; implicit-def: $vgpr1
	s_and_saveexec_b64 s[2:3], s[8:9]
	s_xor_b64 s[2:3], exec, s[2:3]
	s_cbranch_execz .LBB2077_618
; %bb.609:
	scratch_load_ubyte v1, off, off offset:444
                                        ; implicit-def: $vgpr4_vgpr5
	s_waitcnt vmcnt(0)
	v_cmp_ne_u16_e32 vcc, 0, v1
	s_and_saveexec_b64 s[4:5], vcc
	s_xor_b64 s[4:5], exec, s[4:5]
	s_cbranch_execz .LBB2077_611
; %bb.610:
	scratch_load_dwordx4 v[2:5], off, off offset:428
.LBB2077_611:
	s_andn2_saveexec_b64 s[4:5], s[4:5]
	s_cbranch_execz .LBB2077_617
; %bb.612:
	s_waitcnt vmcnt(0)
	v_mov_b32_e32 v2, 0
	s_mov_b32 s6, 0
	v_mov_b32_e32 v3, v2
.LBB2077_613:                           ; =>This Inner Loop Header: Depth=1
	s_add_i32 s7, s6, 0x198
	s_add_i32 s6, s6, 8
	s_cmp_lg_u32 s6, 16
	scratch_store_dwordx2 off, v[2:3], s7
	s_cbranch_scc1 .LBB2077_613
; %bb.614:
	s_mov_b32 s6, 0
.LBB2077_615:                           ; =>This Inner Loop Header: Depth=1
	s_add_i32 s7, s6, 0
	s_add_i32 s8, s6, 0x1ac
	scratch_load_dwordx2 v[2:3], off, s7
	scratch_load_dwordx2 v[4:5], off, s8
	s_add_i32 s7, s6, 0x198
	s_add_i32 s6, s6, 8
	s_cmp_lg_u32 s6, 16
	s_waitcnt vmcnt(0)
	v_add_u32_e32 v3, v5, v3
	v_add_u32_e32 v2, v4, v2
	scratch_store_dwordx2 off, v[2:3], s7
	s_cbranch_scc1 .LBB2077_615
; %bb.616:
	scratch_load_dwordx4 v[2:5], off, off offset:408
.LBB2077_617:
	s_or_b64 exec, exec, s[4:5]
	v_or_b32_e32 v1, v1, v6
	v_and_b32_e32 v1, 1, v1
	s_waitcnt vmcnt(0)
	scratch_store_dwordx4 off, v[2:5], off offset:388
	scratch_store_byte off, v1, off offset:404
.LBB2077_618:
	s_andn2_saveexec_b64 s[2:3], s[2:3]
	s_cbranch_execz .LBB2077_620
; %bb.619:
	scratch_load_ubyte v1, off, off offset:404
.LBB2077_620:
	s_or_b64 exec, exec, s[2:3]
	scratch_load_dwordx4 v[2:5], off, off offset:388
	scratch_load_ubyte v7, off, off offset:384
	s_waitcnt vmcnt(2)
	scratch_store_byte off, v1, off offset:480
	s_waitcnt vmcnt(2)
	scratch_store_dwordx4 off, v[2:5], off offset:464
	s_waitcnt vmcnt(2)
	v_cmp_ne_u16_e32 vcc, 0, v7
                                        ; implicit-def: $vgpr4_vgpr5
	s_and_saveexec_b64 s[2:3], vcc
	s_xor_b64 s[2:3], exec, s[2:3]
	s_cbranch_execz .LBB2077_622
; %bb.621:
	scratch_load_dwordx4 v[2:5], off, off offset:368
.LBB2077_622:
	s_andn2_saveexec_b64 s[2:3], s[2:3]
	s_cbranch_execz .LBB2077_628
; %bb.623:
	s_waitcnt vmcnt(0)
	v_mov_b32_e32 v2, 0
	s_mov_b32 s4, 0
	v_mov_b32_e32 v3, v2
.LBB2077_624:                           ; =>This Inner Loop Header: Depth=1
	s_add_i32 s5, s4, 0x198
	s_add_i32 s4, s4, 8
	s_cmp_lg_u32 s4, 16
	scratch_store_dwordx2 off, v[2:3], s5
	s_cbranch_scc1 .LBB2077_624
; %bb.625:
	s_mov_b32 s4, 0
.LBB2077_626:                           ; =>This Inner Loop Header: Depth=1
	s_add_i32 s5, s4, 0x184
	s_add_i32 s6, s4, 0x170
	scratch_load_dwordx2 v[2:3], off, s5
	scratch_load_dwordx2 v[4:5], off, s6
	s_add_i32 s5, s4, 0x198
	s_add_i32 s4, s4, 8
	s_cmp_lg_u32 s4, 16
	s_waitcnt vmcnt(0)
	v_add_u32_e32 v3, v5, v3
	v_add_u32_e32 v2, v4, v2
	scratch_store_dwordx2 off, v[2:3], s5
	s_cbranch_scc1 .LBB2077_626
; %bb.627:
	scratch_load_dwordx4 v[2:5], off, off offset:408
.LBB2077_628:
	s_or_b64 exec, exec, s[2:3]
	scratch_load_dwordx4 v[8:11], v26, off
	scratch_load_ubyte v6, off, off offset:500
	v_or_b32_e32 v1, v7, v1
	v_and_b32_e32 v1, 1, v1
	v_cmp_eq_u32_e32 vcc, 1, v1
	s_waitcnt vmcnt(2)
	scratch_store_dwordx4 off, v[2:5], off offset:388
	scratch_store_dwordx4 v26, v[2:5], off
                                        ; implicit-def: $vgpr4_vgpr5
	scratch_store_byte off, v1, off offset:500
	s_waitcnt vmcnt(4)
	scratch_store_dwordx4 off, v[8:11], off offset:368
	s_waitcnt vmcnt(4)
	v_cmp_ne_u16_e64 s[2:3], 0, v6
	s_and_saveexec_b64 s[4:5], s[2:3]
	s_xor_b64 s[2:3], exec, s[4:5]
	s_cbranch_execz .LBB2077_630
; %bb.629:
	scratch_load_dwordx4 v[2:5], off, off offset:368
.LBB2077_630:
	s_andn2_saveexec_b64 s[2:3], s[2:3]
	s_cbranch_execz .LBB2077_636
; %bb.631:
	s_waitcnt vmcnt(0)
	v_mov_b32_e32 v2, 0
	s_mov_b32 s4, 0
	v_mov_b32_e32 v3, v2
.LBB2077_632:                           ; =>This Inner Loop Header: Depth=1
	s_add_i32 s5, s4, 0x198
	s_add_i32 s4, s4, 8
	s_cmp_lg_u32 s4, 16
	scratch_store_dwordx2 off, v[2:3], s5
	s_cbranch_scc1 .LBB2077_632
; %bb.633:
	s_mov_b32 s4, 0
.LBB2077_634:                           ; =>This Inner Loop Header: Depth=1
	s_add_i32 s5, s4, 0x184
	s_add_i32 s6, s4, 0x170
	scratch_load_dwordx2 v[2:3], off, s5
	scratch_load_dwordx2 v[4:5], off, s6
	s_add_i32 s5, s4, 0x198
	s_add_i32 s4, s4, 8
	s_cmp_lg_u32 s4, 16
	s_waitcnt vmcnt(0)
	v_add_u32_e32 v3, v5, v3
	v_add_u32_e32 v2, v4, v2
	scratch_store_dwordx2 off, v[2:3], s5
	s_cbranch_scc1 .LBB2077_634
; %bb.635:
	scratch_load_dwordx4 v[2:5], off, off offset:408
.LBB2077_636:
	s_or_b64 exec, exec, s[2:3]
	scratch_load_dwordx4 v[8:11], v27, off
	scratch_load_ubyte v1, off, off offset:520
	v_and_b32_e32 v6, 1, v6
	v_cmp_eq_u32_e64 s[2:3], 1, v6
	s_or_b64 s[2:3], s[2:3], vcc
	s_waitcnt vmcnt(2)
	scratch_store_dwordx4 off, v[2:5], off offset:388
	scratch_store_dwordx4 v27, v[2:5], off
                                        ; implicit-def: $vgpr4_vgpr5
	s_waitcnt vmcnt(2)
	v_cmp_ne_u16_e32 vcc, 0, v1
	v_cndmask_b32_e64 v2, 0, 1, s[2:3]
	scratch_store_byte off, v2, off offset:520
	scratch_store_dwordx4 off, v[8:11], off offset:368
	s_and_saveexec_b64 s[4:5], vcc
	s_xor_b64 s[4:5], exec, s[4:5]
	s_cbranch_execz .LBB2077_638
; %bb.637:
	scratch_load_dwordx4 v[2:5], off, off offset:368
.LBB2077_638:
	s_andn2_saveexec_b64 s[4:5], s[4:5]
	s_cbranch_execz .LBB2077_644
; %bb.639:
	s_waitcnt vmcnt(0)
	v_mov_b32_e32 v2, 0
	s_mov_b32 s6, 0
	v_mov_b32_e32 v3, v2
.LBB2077_640:                           ; =>This Inner Loop Header: Depth=1
	s_add_i32 s7, s6, 0x198
	s_add_i32 s6, s6, 8
	s_cmp_lg_u32 s6, 16
	scratch_store_dwordx2 off, v[2:3], s7
	s_cbranch_scc1 .LBB2077_640
; %bb.641:
	s_mov_b32 s6, 0
.LBB2077_642:                           ; =>This Inner Loop Header: Depth=1
	s_add_i32 s7, s6, 0x184
	s_add_i32 s8, s6, 0x170
	scratch_load_dwordx2 v[2:3], off, s7
	scratch_load_dwordx2 v[4:5], off, s8
	s_add_i32 s7, s6, 0x198
	s_add_i32 s6, s6, 8
	s_cmp_lg_u32 s6, 16
	s_waitcnt vmcnt(0)
	v_add_u32_e32 v3, v5, v3
	v_add_u32_e32 v2, v4, v2
	scratch_store_dwordx2 off, v[2:3], s7
	s_cbranch_scc1 .LBB2077_642
; %bb.643:
	scratch_load_dwordx4 v[2:5], off, off offset:408
.LBB2077_644:
	s_or_b64 exec, exec, s[4:5]
	scratch_load_dwordx4 v[8:11], v28, off
	scratch_load_ubyte v6, off, off offset:540
	v_and_b32_e32 v1, 1, v1
	v_cmp_eq_u32_e32 vcc, 1, v1
	s_or_b64 s[2:3], vcc, s[2:3]
	v_cndmask_b32_e64 v1, 0, 1, s[2:3]
	s_waitcnt vmcnt(2)
	scratch_store_dwordx4 off, v[2:5], off offset:388
	scratch_store_dwordx4 v28, v[2:5], off
                                        ; implicit-def: $vgpr4_vgpr5
	scratch_store_byte off, v1, off offset:540
	s_waitcnt vmcnt(4)
	scratch_store_dwordx4 off, v[8:11], off offset:368
	s_waitcnt vmcnt(4)
	v_cmp_ne_u16_e32 vcc, 0, v6
	s_and_saveexec_b64 s[4:5], vcc
	s_xor_b64 s[4:5], exec, s[4:5]
	s_cbranch_execz .LBB2077_646
; %bb.645:
	scratch_load_dwordx4 v[2:5], off, off offset:368
.LBB2077_646:
	s_andn2_saveexec_b64 s[4:5], s[4:5]
	s_cbranch_execz .LBB2077_652
; %bb.647:
	s_waitcnt vmcnt(0)
	v_mov_b32_e32 v2, 0
	s_mov_b32 s6, 0
	v_mov_b32_e32 v3, v2
.LBB2077_648:                           ; =>This Inner Loop Header: Depth=1
	s_add_i32 s7, s6, 0x198
	s_add_i32 s6, s6, 8
	s_cmp_lg_u32 s6, 16
	scratch_store_dwordx2 off, v[2:3], s7
	s_cbranch_scc1 .LBB2077_648
; %bb.649:
	s_mov_b32 s6, 0
.LBB2077_650:                           ; =>This Inner Loop Header: Depth=1
	s_add_i32 s7, s6, 0x184
	s_add_i32 s8, s6, 0x170
	scratch_load_dwordx2 v[2:3], off, s7
	scratch_load_dwordx2 v[4:5], off, s8
	s_add_i32 s7, s6, 0x198
	s_add_i32 s6, s6, 8
	s_cmp_lg_u32 s6, 16
	s_waitcnt vmcnt(0)
	v_add_u32_e32 v3, v5, v3
	v_add_u32_e32 v2, v4, v2
	scratch_store_dwordx2 off, v[2:3], s7
	s_cbranch_scc1 .LBB2077_650
; %bb.651:
	scratch_load_dwordx4 v[2:5], off, off offset:408
.LBB2077_652:
	s_or_b64 exec, exec, s[4:5]
	scratch_load_dwordx4 v[8:11], v29, off
	scratch_load_ubyte v1, off, off offset:560
	v_and_b32_e32 v6, 1, v6
	v_cmp_eq_u32_e32 vcc, 1, v6
	s_or_b64 s[2:3], vcc, s[2:3]
	s_waitcnt vmcnt(2)
	scratch_store_dwordx4 off, v[2:5], off offset:388
	scratch_store_dwordx4 v29, v[2:5], off
                                        ; implicit-def: $vgpr4_vgpr5
	s_waitcnt vmcnt(2)
	v_cmp_ne_u16_e32 vcc, 0, v1
	v_cndmask_b32_e64 v2, 0, 1, s[2:3]
	scratch_store_byte off, v2, off offset:560
	scratch_store_dwordx4 off, v[8:11], off offset:368
	s_and_saveexec_b64 s[4:5], vcc
	s_xor_b64 s[4:5], exec, s[4:5]
	s_cbranch_execz .LBB2077_654
; %bb.653:
	scratch_load_dwordx4 v[2:5], off, off offset:368
.LBB2077_654:
	s_andn2_saveexec_b64 s[4:5], s[4:5]
	s_cbranch_execz .LBB2077_660
; %bb.655:
	s_waitcnt vmcnt(0)
	v_mov_b32_e32 v2, 0
	s_mov_b32 s6, 0
	v_mov_b32_e32 v3, v2
.LBB2077_656:                           ; =>This Inner Loop Header: Depth=1
	s_add_i32 s7, s6, 0x198
	s_add_i32 s6, s6, 8
	s_cmp_lg_u32 s6, 16
	scratch_store_dwordx2 off, v[2:3], s7
	s_cbranch_scc1 .LBB2077_656
; %bb.657:
	s_mov_b32 s6, 0
.LBB2077_658:                           ; =>This Inner Loop Header: Depth=1
	s_add_i32 s7, s6, 0x184
	s_add_i32 s8, s6, 0x170
	scratch_load_dwordx2 v[2:3], off, s7
	scratch_load_dwordx2 v[4:5], off, s8
	s_add_i32 s7, s6, 0x198
	s_add_i32 s6, s6, 8
	s_cmp_lg_u32 s6, 16
	s_waitcnt vmcnt(0)
	v_add_u32_e32 v3, v5, v3
	v_add_u32_e32 v2, v4, v2
	scratch_store_dwordx2 off, v[2:3], s7
	s_cbranch_scc1 .LBB2077_658
; %bb.659:
	scratch_load_dwordx4 v[2:5], off, off offset:408
.LBB2077_660:
	s_or_b64 exec, exec, s[4:5]
	scratch_load_dwordx4 v[8:11], v30, off
	scratch_load_ubyte v6, off, off offset:580
	v_and_b32_e32 v1, 1, v1
	v_cmp_eq_u32_e32 vcc, 1, v1
	s_or_b64 s[2:3], vcc, s[2:3]
	v_cndmask_b32_e64 v1, 0, 1, s[2:3]
	s_waitcnt vmcnt(2)
	scratch_store_dwordx4 off, v[2:5], off offset:388
	scratch_store_dwordx4 v30, v[2:5], off
                                        ; implicit-def: $vgpr4_vgpr5
	scratch_store_byte off, v1, off offset:580
	s_waitcnt vmcnt(4)
	scratch_store_dwordx4 off, v[8:11], off offset:368
	s_waitcnt vmcnt(4)
	v_cmp_ne_u16_e32 vcc, 0, v6
	s_and_saveexec_b64 s[4:5], vcc
	s_xor_b64 s[4:5], exec, s[4:5]
	s_cbranch_execz .LBB2077_662
; %bb.661:
	scratch_load_dwordx4 v[2:5], off, off offset:368
.LBB2077_662:
	s_andn2_saveexec_b64 s[4:5], s[4:5]
	s_cbranch_execz .LBB2077_668
; %bb.663:
	s_waitcnt vmcnt(0)
	v_mov_b32_e32 v2, 0
	s_mov_b32 s6, 0
	v_mov_b32_e32 v3, v2
.LBB2077_664:                           ; =>This Inner Loop Header: Depth=1
	s_add_i32 s7, s6, 0x198
	s_add_i32 s6, s6, 8
	s_cmp_lg_u32 s6, 16
	scratch_store_dwordx2 off, v[2:3], s7
	s_cbranch_scc1 .LBB2077_664
; %bb.665:
	s_mov_b32 s6, 0
.LBB2077_666:                           ; =>This Inner Loop Header: Depth=1
	s_add_i32 s7, s6, 0x184
	s_add_i32 s8, s6, 0x170
	scratch_load_dwordx2 v[2:3], off, s7
	scratch_load_dwordx2 v[4:5], off, s8
	s_add_i32 s7, s6, 0x198
	s_add_i32 s6, s6, 8
	s_cmp_lg_u32 s6, 16
	s_waitcnt vmcnt(0)
	v_add_u32_e32 v3, v5, v3
	v_add_u32_e32 v2, v4, v2
	scratch_store_dwordx2 off, v[2:3], s7
	s_cbranch_scc1 .LBB2077_666
; %bb.667:
	scratch_load_dwordx4 v[2:5], off, off offset:408
.LBB2077_668:
	s_or_b64 exec, exec, s[4:5]
	scratch_load_dwordx4 v[8:11], v31, off
	scratch_load_ubyte v1, off, off offset:600
	v_and_b32_e32 v6, 1, v6
	v_cmp_eq_u32_e32 vcc, 1, v6
	s_or_b64 s[2:3], vcc, s[2:3]
	s_waitcnt vmcnt(2)
	scratch_store_dwordx4 off, v[2:5], off offset:388
	scratch_store_dwordx4 v31, v[2:5], off
                                        ; implicit-def: $vgpr4_vgpr5
	s_waitcnt vmcnt(2)
	v_cmp_ne_u16_e32 vcc, 0, v1
	v_cndmask_b32_e64 v2, 0, 1, s[2:3]
	scratch_store_byte off, v2, off offset:600
	scratch_store_dwordx4 off, v[8:11], off offset:368
	s_and_saveexec_b64 s[4:5], vcc
	s_xor_b64 s[4:5], exec, s[4:5]
	s_cbranch_execz .LBB2077_670
; %bb.669:
	scratch_load_dwordx4 v[2:5], off, off offset:368
.LBB2077_670:
	s_andn2_saveexec_b64 s[4:5], s[4:5]
	s_cbranch_execz .LBB2077_676
; %bb.671:
	s_waitcnt vmcnt(0)
	v_mov_b32_e32 v2, 0
	s_mov_b32 s6, 0
	v_mov_b32_e32 v3, v2
.LBB2077_672:                           ; =>This Inner Loop Header: Depth=1
	s_add_i32 s7, s6, 0x198
	s_add_i32 s6, s6, 8
	s_cmp_lg_u32 s6, 16
	scratch_store_dwordx2 off, v[2:3], s7
	s_cbranch_scc1 .LBB2077_672
; %bb.673:
	s_mov_b32 s6, 0
.LBB2077_674:                           ; =>This Inner Loop Header: Depth=1
	s_add_i32 s7, s6, 0x184
	s_add_i32 s8, s6, 0x170
	scratch_load_dwordx2 v[2:3], off, s7
	scratch_load_dwordx2 v[4:5], off, s8
	s_add_i32 s7, s6, 0x198
	s_add_i32 s6, s6, 8
	s_cmp_lg_u32 s6, 16
	s_waitcnt vmcnt(0)
	v_add_u32_e32 v3, v5, v3
	v_add_u32_e32 v2, v4, v2
	scratch_store_dwordx2 off, v[2:3], s7
	s_cbranch_scc1 .LBB2077_674
; %bb.675:
	scratch_load_dwordx4 v[2:5], off, off offset:408
.LBB2077_676:
	s_or_b64 exec, exec, s[4:5]
	scratch_load_dwordx4 v[8:11], v32, off
	scratch_load_ubyte v6, off, off offset:620
	v_and_b32_e32 v1, 1, v1
	v_cmp_eq_u32_e32 vcc, 1, v1
	s_or_b64 s[2:3], vcc, s[2:3]
	v_cndmask_b32_e64 v1, 0, 1, s[2:3]
	s_waitcnt vmcnt(2)
	scratch_store_dwordx4 off, v[2:5], off offset:388
	scratch_store_dwordx4 v32, v[2:5], off
                                        ; implicit-def: $vgpr4_vgpr5
	scratch_store_byte off, v1, off offset:620
	s_waitcnt vmcnt(4)
	scratch_store_dwordx4 off, v[8:11], off offset:368
	s_waitcnt vmcnt(4)
	v_cmp_ne_u16_e32 vcc, 0, v6
	s_and_saveexec_b64 s[4:5], vcc
	s_xor_b64 s[4:5], exec, s[4:5]
	s_cbranch_execz .LBB2077_678
; %bb.677:
	scratch_load_dwordx4 v[2:5], off, off offset:368
.LBB2077_678:
	s_andn2_saveexec_b64 s[4:5], s[4:5]
	s_cbranch_execz .LBB2077_684
; %bb.679:
	s_waitcnt vmcnt(0)
	v_mov_b32_e32 v2, 0
	s_mov_b32 s6, 0
	v_mov_b32_e32 v3, v2
.LBB2077_680:                           ; =>This Inner Loop Header: Depth=1
	s_add_i32 s7, s6, 0x198
	s_add_i32 s6, s6, 8
	s_cmp_lg_u32 s6, 16
	scratch_store_dwordx2 off, v[2:3], s7
	s_cbranch_scc1 .LBB2077_680
; %bb.681:
	s_mov_b32 s6, 0
.LBB2077_682:                           ; =>This Inner Loop Header: Depth=1
	s_add_i32 s7, s6, 0x184
	s_add_i32 s8, s6, 0x170
	scratch_load_dwordx2 v[2:3], off, s7
	scratch_load_dwordx2 v[4:5], off, s8
	s_add_i32 s7, s6, 0x198
	s_add_i32 s6, s6, 8
	s_cmp_lg_u32 s6, 16
	s_waitcnt vmcnt(0)
	v_add_u32_e32 v3, v5, v3
	v_add_u32_e32 v2, v4, v2
	scratch_store_dwordx2 off, v[2:3], s7
	s_cbranch_scc1 .LBB2077_682
; %bb.683:
	scratch_load_dwordx4 v[2:5], off, off offset:408
.LBB2077_684:
	s_or_b64 exec, exec, s[4:5]
	scratch_load_dwordx4 v[8:11], v33, off
	scratch_load_ubyte v1, off, off offset:640
	v_and_b32_e32 v6, 1, v6
	v_cmp_eq_u32_e32 vcc, 1, v6
	s_or_b64 s[2:3], vcc, s[2:3]
	s_waitcnt vmcnt(2)
	scratch_store_dwordx4 off, v[2:5], off offset:388
	scratch_store_dwordx4 v33, v[2:5], off
                                        ; implicit-def: $vgpr4_vgpr5
	s_waitcnt vmcnt(2)
	v_cmp_ne_u16_e32 vcc, 0, v1
	v_cndmask_b32_e64 v2, 0, 1, s[2:3]
	scratch_store_byte off, v2, off offset:640
	scratch_store_dwordx4 off, v[8:11], off offset:368
	s_and_saveexec_b64 s[4:5], vcc
	s_xor_b64 s[4:5], exec, s[4:5]
	s_cbranch_execz .LBB2077_686
; %bb.685:
	scratch_load_dwordx4 v[2:5], off, off offset:368
.LBB2077_686:
	s_andn2_saveexec_b64 s[4:5], s[4:5]
	s_cbranch_execz .LBB2077_692
; %bb.687:
	s_waitcnt vmcnt(0)
	v_mov_b32_e32 v2, 0
	s_mov_b32 s6, 0
	v_mov_b32_e32 v3, v2
.LBB2077_688:                           ; =>This Inner Loop Header: Depth=1
	s_add_i32 s7, s6, 0x198
	s_add_i32 s6, s6, 8
	s_cmp_lg_u32 s6, 16
	scratch_store_dwordx2 off, v[2:3], s7
	s_cbranch_scc1 .LBB2077_688
; %bb.689:
	s_mov_b32 s6, 0
.LBB2077_690:                           ; =>This Inner Loop Header: Depth=1
	s_add_i32 s7, s6, 0x184
	s_add_i32 s8, s6, 0x170
	scratch_load_dwordx2 v[2:3], off, s7
	scratch_load_dwordx2 v[4:5], off, s8
	s_add_i32 s7, s6, 0x198
	s_add_i32 s6, s6, 8
	s_cmp_lg_u32 s6, 16
	s_waitcnt vmcnt(0)
	v_add_u32_e32 v3, v5, v3
	v_add_u32_e32 v2, v4, v2
	scratch_store_dwordx2 off, v[2:3], s7
	s_cbranch_scc1 .LBB2077_690
; %bb.691:
	scratch_load_dwordx4 v[2:5], off, off offset:408
.LBB2077_692:
	s_or_b64 exec, exec, s[4:5]
	scratch_load_dwordx4 v[8:11], v34, off
	scratch_load_ubyte v6, off, off offset:660
	v_and_b32_e32 v1, 1, v1
	v_cmp_eq_u32_e32 vcc, 1, v1
	s_or_b64 s[2:3], vcc, s[2:3]
	v_cndmask_b32_e64 v1, 0, 1, s[2:3]
	s_waitcnt vmcnt(2)
	scratch_store_dwordx4 off, v[2:5], off offset:388
	scratch_store_dwordx4 v34, v[2:5], off
                                        ; implicit-def: $vgpr4_vgpr5
	scratch_store_byte off, v1, off offset:660
	s_waitcnt vmcnt(4)
	scratch_store_dwordx4 off, v[8:11], off offset:368
	s_waitcnt vmcnt(4)
	v_cmp_ne_u16_e32 vcc, 0, v6
	s_and_saveexec_b64 s[4:5], vcc
	s_xor_b64 s[4:5], exec, s[4:5]
	s_cbranch_execz .LBB2077_694
; %bb.693:
	scratch_load_dwordx4 v[2:5], off, off offset:368
.LBB2077_694:
	s_andn2_saveexec_b64 s[4:5], s[4:5]
	s_cbranch_execz .LBB2077_700
; %bb.695:
	s_waitcnt vmcnt(0)
	v_mov_b32_e32 v2, 0
	s_mov_b32 s6, 0
	v_mov_b32_e32 v3, v2
.LBB2077_696:                           ; =>This Inner Loop Header: Depth=1
	s_add_i32 s7, s6, 0x198
	s_add_i32 s6, s6, 8
	s_cmp_lg_u32 s6, 16
	scratch_store_dwordx2 off, v[2:3], s7
	s_cbranch_scc1 .LBB2077_696
; %bb.697:
	s_mov_b32 s6, 0
.LBB2077_698:                           ; =>This Inner Loop Header: Depth=1
	s_add_i32 s7, s6, 0x184
	s_add_i32 s8, s6, 0x170
	scratch_load_dwordx2 v[2:3], off, s7
	scratch_load_dwordx2 v[4:5], off, s8
	s_add_i32 s7, s6, 0x198
	s_add_i32 s6, s6, 8
	s_cmp_lg_u32 s6, 16
	s_waitcnt vmcnt(0)
	v_add_u32_e32 v3, v5, v3
	v_add_u32_e32 v2, v4, v2
	scratch_store_dwordx2 off, v[2:3], s7
	s_cbranch_scc1 .LBB2077_698
; %bb.699:
	scratch_load_dwordx4 v[2:5], off, off offset:408
.LBB2077_700:
	s_or_b64 exec, exec, s[4:5]
	scratch_load_dwordx4 v[8:11], v35, off
	scratch_load_ubyte v1, off, off offset:680
	v_and_b32_e32 v6, 1, v6
	v_cmp_eq_u32_e32 vcc, 1, v6
	s_or_b64 s[2:3], vcc, s[2:3]
	s_waitcnt vmcnt(2)
	scratch_store_dwordx4 off, v[2:5], off offset:388
	scratch_store_dwordx4 v35, v[2:5], off
                                        ; implicit-def: $vgpr4_vgpr5
	s_waitcnt vmcnt(2)
	v_cmp_ne_u16_e32 vcc, 0, v1
	v_cndmask_b32_e64 v2, 0, 1, s[2:3]
	scratch_store_byte off, v2, off offset:680
	scratch_store_dwordx4 off, v[8:11], off offset:368
	s_and_saveexec_b64 s[4:5], vcc
	s_xor_b64 s[4:5], exec, s[4:5]
	s_cbranch_execz .LBB2077_702
; %bb.701:
	scratch_load_dwordx4 v[2:5], off, off offset:368
.LBB2077_702:
	s_andn2_saveexec_b64 s[4:5], s[4:5]
	s_cbranch_execz .LBB2077_708
; %bb.703:
	s_waitcnt vmcnt(0)
	v_mov_b32_e32 v2, 0
	s_mov_b32 s6, 0
	v_mov_b32_e32 v3, v2
.LBB2077_704:                           ; =>This Inner Loop Header: Depth=1
	s_add_i32 s7, s6, 0x198
	s_add_i32 s6, s6, 8
	s_cmp_lg_u32 s6, 16
	scratch_store_dwordx2 off, v[2:3], s7
	s_cbranch_scc1 .LBB2077_704
; %bb.705:
	s_mov_b32 s6, 0
.LBB2077_706:                           ; =>This Inner Loop Header: Depth=1
	s_add_i32 s7, s6, 0x184
	s_add_i32 s8, s6, 0x170
	scratch_load_dwordx2 v[2:3], off, s7
	scratch_load_dwordx2 v[4:5], off, s8
	s_add_i32 s7, s6, 0x198
	s_add_i32 s6, s6, 8
	s_cmp_lg_u32 s6, 16
	s_waitcnt vmcnt(0)
	v_add_u32_e32 v3, v5, v3
	v_add_u32_e32 v2, v4, v2
	scratch_store_dwordx2 off, v[2:3], s7
	s_cbranch_scc1 .LBB2077_706
; %bb.707:
	scratch_load_dwordx4 v[2:5], off, off offset:408
.LBB2077_708:
	s_or_b64 exec, exec, s[4:5]
	scratch_load_dwordx4 v[8:11], v36, off
	scratch_load_ubyte v6, off, off offset:700
	v_and_b32_e32 v1, 1, v1
	v_cmp_eq_u32_e32 vcc, 1, v1
	s_or_b64 s[2:3], vcc, s[2:3]
	v_cndmask_b32_e64 v1, 0, 1, s[2:3]
	s_waitcnt vmcnt(2)
	scratch_store_dwordx4 off, v[2:5], off offset:388
	scratch_store_dwordx4 v36, v[2:5], off
                                        ; implicit-def: $vgpr4_vgpr5
	scratch_store_byte off, v1, off offset:700
	s_waitcnt vmcnt(4)
	scratch_store_dwordx4 off, v[8:11], off offset:368
	s_waitcnt vmcnt(4)
	v_cmp_ne_u16_e32 vcc, 0, v6
	s_and_saveexec_b64 s[4:5], vcc
	s_xor_b64 s[4:5], exec, s[4:5]
	s_cbranch_execz .LBB2077_710
; %bb.709:
	scratch_load_dwordx4 v[2:5], off, off offset:368
.LBB2077_710:
	s_andn2_saveexec_b64 s[4:5], s[4:5]
	s_cbranch_execz .LBB2077_716
; %bb.711:
	s_waitcnt vmcnt(0)
	v_mov_b32_e32 v2, 0
	s_mov_b32 s6, 0
	v_mov_b32_e32 v3, v2
.LBB2077_712:                           ; =>This Inner Loop Header: Depth=1
	s_add_i32 s7, s6, 0x198
	s_add_i32 s6, s6, 8
	s_cmp_lg_u32 s6, 16
	scratch_store_dwordx2 off, v[2:3], s7
	s_cbranch_scc1 .LBB2077_712
; %bb.713:
	s_mov_b32 s6, 0
.LBB2077_714:                           ; =>This Inner Loop Header: Depth=1
	s_add_i32 s7, s6, 0x184
	s_add_i32 s8, s6, 0x170
	scratch_load_dwordx2 v[2:3], off, s7
	scratch_load_dwordx2 v[4:5], off, s8
	s_add_i32 s7, s6, 0x198
	s_add_i32 s6, s6, 8
	s_cmp_lg_u32 s6, 16
	s_waitcnt vmcnt(0)
	v_add_u32_e32 v3, v5, v3
	v_add_u32_e32 v2, v4, v2
	scratch_store_dwordx2 off, v[2:3], s7
	s_cbranch_scc1 .LBB2077_714
; %bb.715:
	scratch_load_dwordx4 v[2:5], off, off offset:408
.LBB2077_716:
	s_or_b64 exec, exec, s[4:5]
	scratch_load_dwordx4 v[8:11], v37, off
	scratch_load_ubyte v1, off, off offset:720
	v_and_b32_e32 v6, 1, v6
	v_cmp_eq_u32_e32 vcc, 1, v6
	s_or_b64 s[2:3], vcc, s[2:3]
	s_waitcnt vmcnt(2)
	scratch_store_dwordx4 off, v[2:5], off offset:388
	scratch_store_dwordx4 v37, v[2:5], off
                                        ; implicit-def: $vgpr4_vgpr5
	s_waitcnt vmcnt(2)
	v_cmp_ne_u16_e32 vcc, 0, v1
	v_cndmask_b32_e64 v2, 0, 1, s[2:3]
	scratch_store_byte off, v2, off offset:720
	scratch_store_dwordx4 off, v[8:11], off offset:368
	s_and_saveexec_b64 s[4:5], vcc
	s_xor_b64 s[4:5], exec, s[4:5]
	s_cbranch_execz .LBB2077_718
; %bb.717:
	scratch_load_dwordx4 v[2:5], off, off offset:368
.LBB2077_718:
	s_andn2_saveexec_b64 s[4:5], s[4:5]
	s_cbranch_execz .LBB2077_724
; %bb.719:
	s_waitcnt vmcnt(0)
	v_mov_b32_e32 v2, 0
	s_mov_b32 s6, 0
	v_mov_b32_e32 v3, v2
.LBB2077_720:                           ; =>This Inner Loop Header: Depth=1
	s_add_i32 s7, s6, 0x198
	s_add_i32 s6, s6, 8
	s_cmp_lg_u32 s6, 16
	scratch_store_dwordx2 off, v[2:3], s7
	s_cbranch_scc1 .LBB2077_720
; %bb.721:
	s_mov_b32 s6, 0
.LBB2077_722:                           ; =>This Inner Loop Header: Depth=1
	s_add_i32 s7, s6, 0x184
	s_add_i32 s8, s6, 0x170
	scratch_load_dwordx2 v[2:3], off, s7
	scratch_load_dwordx2 v[4:5], off, s8
	s_add_i32 s7, s6, 0x198
	s_add_i32 s6, s6, 8
	s_cmp_lg_u32 s6, 16
	s_waitcnt vmcnt(0)
	v_add_u32_e32 v3, v5, v3
	v_add_u32_e32 v2, v4, v2
	scratch_store_dwordx2 off, v[2:3], s7
	s_cbranch_scc1 .LBB2077_722
; %bb.723:
	scratch_load_dwordx4 v[2:5], off, off offset:408
.LBB2077_724:
	s_or_b64 exec, exec, s[4:5]
	scratch_load_dwordx4 v[8:11], v38, off
	scratch_load_ubyte v6, off, off offset:740
	v_and_b32_e32 v1, 1, v1
	v_cmp_eq_u32_e32 vcc, 1, v1
	s_or_b64 s[2:3], vcc, s[2:3]
	v_cndmask_b32_e64 v1, 0, 1, s[2:3]
	s_waitcnt vmcnt(2)
	scratch_store_dwordx4 off, v[2:5], off offset:388
	scratch_store_dwordx4 v38, v[2:5], off
                                        ; implicit-def: $vgpr4_vgpr5
	scratch_store_byte off, v1, off offset:740
	s_waitcnt vmcnt(4)
	scratch_store_dwordx4 off, v[8:11], off offset:368
	s_waitcnt vmcnt(4)
	v_cmp_ne_u16_e32 vcc, 0, v6
	s_and_saveexec_b64 s[4:5], vcc
	s_xor_b64 s[4:5], exec, s[4:5]
	s_cbranch_execz .LBB2077_726
; %bb.725:
	scratch_load_dwordx4 v[2:5], off, off offset:368
.LBB2077_726:
	s_andn2_saveexec_b64 s[4:5], s[4:5]
	s_cbranch_execz .LBB2077_732
; %bb.727:
	s_waitcnt vmcnt(0)
	v_mov_b32_e32 v2, 0
	s_mov_b32 s6, 0
	v_mov_b32_e32 v3, v2
.LBB2077_728:                           ; =>This Inner Loop Header: Depth=1
	s_add_i32 s7, s6, 0x198
	s_add_i32 s6, s6, 8
	s_cmp_lg_u32 s6, 16
	scratch_store_dwordx2 off, v[2:3], s7
	s_cbranch_scc1 .LBB2077_728
; %bb.729:
	s_mov_b32 s6, 0
.LBB2077_730:                           ; =>This Inner Loop Header: Depth=1
	s_add_i32 s7, s6, 0x184
	s_add_i32 s8, s6, 0x170
	scratch_load_dwordx2 v[2:3], off, s7
	scratch_load_dwordx2 v[4:5], off, s8
	s_add_i32 s7, s6, 0x198
	s_add_i32 s6, s6, 8
	s_cmp_lg_u32 s6, 16
	s_waitcnt vmcnt(0)
	v_add_u32_e32 v3, v5, v3
	v_add_u32_e32 v2, v4, v2
	scratch_store_dwordx2 off, v[2:3], s7
	s_cbranch_scc1 .LBB2077_730
; %bb.731:
	scratch_load_dwordx4 v[2:5], off, off offset:408
.LBB2077_732:
	s_or_b64 exec, exec, s[4:5]
	scratch_load_dwordx4 v[8:11], v39, off
	scratch_load_ubyte v1, off, off offset:760
	v_and_b32_e32 v6, 1, v6
	v_cmp_eq_u32_e32 vcc, 1, v6
	s_or_b64 s[2:3], vcc, s[2:3]
	s_waitcnt vmcnt(2)
	scratch_store_dwordx4 off, v[2:5], off offset:388
	scratch_store_dwordx4 v39, v[2:5], off
                                        ; implicit-def: $vgpr4_vgpr5
	s_waitcnt vmcnt(2)
	v_cmp_ne_u16_e32 vcc, 0, v1
	v_cndmask_b32_e64 v2, 0, 1, s[2:3]
	scratch_store_byte off, v2, off offset:760
	scratch_store_dwordx4 off, v[8:11], off offset:368
	s_and_saveexec_b64 s[4:5], vcc
	s_xor_b64 s[4:5], exec, s[4:5]
	s_cbranch_execz .LBB2077_734
; %bb.733:
	scratch_load_dwordx4 v[2:5], off, off offset:368
.LBB2077_734:
	s_andn2_saveexec_b64 s[4:5], s[4:5]
	s_cbranch_execz .LBB2077_740
; %bb.735:
	s_waitcnt vmcnt(0)
	v_mov_b32_e32 v2, 0
	s_mov_b32 s6, 0
	v_mov_b32_e32 v3, v2
.LBB2077_736:                           ; =>This Inner Loop Header: Depth=1
	s_add_i32 s7, s6, 0x198
	s_add_i32 s6, s6, 8
	s_cmp_lg_u32 s6, 16
	scratch_store_dwordx2 off, v[2:3], s7
	s_cbranch_scc1 .LBB2077_736
; %bb.737:
	s_mov_b32 s6, 0
.LBB2077_738:                           ; =>This Inner Loop Header: Depth=1
	s_add_i32 s7, s6, 0x184
	s_add_i32 s8, s6, 0x170
	scratch_load_dwordx2 v[2:3], off, s7
	scratch_load_dwordx2 v[4:5], off, s8
	s_add_i32 s7, s6, 0x198
	s_add_i32 s6, s6, 8
	s_cmp_lg_u32 s6, 16
	s_waitcnt vmcnt(0)
	v_add_u32_e32 v3, v5, v3
	v_add_u32_e32 v2, v4, v2
	scratch_store_dwordx2 off, v[2:3], s7
	s_cbranch_scc1 .LBB2077_738
; %bb.739:
	scratch_load_dwordx4 v[2:5], off, off offset:408
.LBB2077_740:
	s_or_b64 exec, exec, s[4:5]
	scratch_load_dwordx4 v[8:11], v40, off
	scratch_load_ubyte v6, off, off offset:780
	v_and_b32_e32 v1, 1, v1
	v_cmp_eq_u32_e32 vcc, 1, v1
	s_or_b64 s[2:3], vcc, s[2:3]
	v_cndmask_b32_e64 v1, 0, 1, s[2:3]
	s_waitcnt vmcnt(2)
	scratch_store_dwordx4 off, v[2:5], off offset:388
	scratch_store_dwordx4 v40, v[2:5], off
                                        ; implicit-def: $vgpr4_vgpr5
	scratch_store_byte off, v1, off offset:780
	s_waitcnt vmcnt(4)
	scratch_store_dwordx4 off, v[8:11], off offset:368
	s_waitcnt vmcnt(4)
	v_cmp_ne_u16_e32 vcc, 0, v6
	s_and_saveexec_b64 s[4:5], vcc
	s_xor_b64 s[4:5], exec, s[4:5]
	s_cbranch_execz .LBB2077_742
; %bb.741:
	scratch_load_dwordx4 v[2:5], off, off offset:368
.LBB2077_742:
	s_andn2_saveexec_b64 s[4:5], s[4:5]
	s_cbranch_execz .LBB2077_748
; %bb.743:
	s_waitcnt vmcnt(0)
	v_mov_b32_e32 v2, 0
	s_mov_b32 s6, 0
	v_mov_b32_e32 v3, v2
.LBB2077_744:                           ; =>This Inner Loop Header: Depth=1
	s_add_i32 s7, s6, 0x198
	s_add_i32 s6, s6, 8
	s_cmp_lg_u32 s6, 16
	scratch_store_dwordx2 off, v[2:3], s7
	s_cbranch_scc1 .LBB2077_744
; %bb.745:
	s_mov_b32 s6, 0
.LBB2077_746:                           ; =>This Inner Loop Header: Depth=1
	s_add_i32 s7, s6, 0x184
	s_add_i32 s8, s6, 0x170
	scratch_load_dwordx2 v[2:3], off, s7
	scratch_load_dwordx2 v[4:5], off, s8
	s_add_i32 s7, s6, 0x198
	s_add_i32 s6, s6, 8
	s_cmp_lg_u32 s6, 16
	s_waitcnt vmcnt(0)
	v_add_u32_e32 v3, v5, v3
	v_add_u32_e32 v2, v4, v2
	scratch_store_dwordx2 off, v[2:3], s7
	s_cbranch_scc1 .LBB2077_746
; %bb.747:
	scratch_load_dwordx4 v[2:5], off, off offset:408
.LBB2077_748:
	s_or_b64 exec, exec, s[4:5]
	scratch_load_dwordx4 v[8:11], v41, off
	scratch_load_ubyte v1, off, off offset:800
	v_and_b32_e32 v6, 1, v6
	v_cmp_eq_u32_e32 vcc, 1, v6
	s_or_b64 s[2:3], vcc, s[2:3]
	s_waitcnt vmcnt(2)
	scratch_store_dwordx4 off, v[2:5], off offset:388
	scratch_store_dwordx4 v41, v[2:5], off
                                        ; implicit-def: $vgpr4_vgpr5
	s_waitcnt vmcnt(2)
	v_cmp_ne_u16_e32 vcc, 0, v1
	v_cndmask_b32_e64 v2, 0, 1, s[2:3]
	scratch_store_byte off, v2, off offset:800
	scratch_store_dwordx4 off, v[8:11], off offset:368
	s_and_saveexec_b64 s[4:5], vcc
	s_xor_b64 s[4:5], exec, s[4:5]
	s_cbranch_execz .LBB2077_750
; %bb.749:
	scratch_load_dwordx4 v[2:5], off, off offset:368
.LBB2077_750:
	s_andn2_saveexec_b64 s[4:5], s[4:5]
	s_cbranch_execz .LBB2077_756
; %bb.751:
	s_waitcnt vmcnt(0)
	v_mov_b32_e32 v2, 0
	s_mov_b32 s6, 0
	v_mov_b32_e32 v3, v2
.LBB2077_752:                           ; =>This Inner Loop Header: Depth=1
	s_add_i32 s7, s6, 0x198
	s_add_i32 s6, s6, 8
	s_cmp_lg_u32 s6, 16
	scratch_store_dwordx2 off, v[2:3], s7
	s_cbranch_scc1 .LBB2077_752
; %bb.753:
	s_mov_b32 s6, 0
.LBB2077_754:                           ; =>This Inner Loop Header: Depth=1
	s_add_i32 s7, s6, 0x184
	s_add_i32 s8, s6, 0x170
	scratch_load_dwordx2 v[2:3], off, s7
	scratch_load_dwordx2 v[4:5], off, s8
	s_add_i32 s7, s6, 0x198
	s_add_i32 s6, s6, 8
	s_cmp_lg_u32 s6, 16
	s_waitcnt vmcnt(0)
	v_add_u32_e32 v3, v5, v3
	v_add_u32_e32 v2, v4, v2
	scratch_store_dwordx2 off, v[2:3], s7
	s_cbranch_scc1 .LBB2077_754
; %bb.755:
	scratch_load_dwordx4 v[2:5], off, off offset:408
.LBB2077_756:
	s_or_b64 exec, exec, s[4:5]
	scratch_load_dwordx4 v[8:11], v42, off
	scratch_load_ubyte v6, off, off offset:820
	v_and_b32_e32 v1, 1, v1
	v_cmp_eq_u32_e32 vcc, 1, v1
	s_or_b64 s[2:3], vcc, s[2:3]
	v_cndmask_b32_e64 v1, 0, 1, s[2:3]
	s_waitcnt vmcnt(2)
	scratch_store_dwordx4 off, v[2:5], off offset:388
	scratch_store_dwordx4 v42, v[2:5], off
                                        ; implicit-def: $vgpr4_vgpr5
	scratch_store_byte off, v1, off offset:820
	s_waitcnt vmcnt(4)
	scratch_store_dwordx4 off, v[8:11], off offset:368
	s_waitcnt vmcnt(4)
	v_cmp_ne_u16_e32 vcc, 0, v6
	s_and_saveexec_b64 s[4:5], vcc
	s_xor_b64 s[4:5], exec, s[4:5]
	s_cbranch_execz .LBB2077_758
; %bb.757:
	scratch_load_dwordx4 v[2:5], off, off offset:368
.LBB2077_758:
	s_andn2_saveexec_b64 s[4:5], s[4:5]
	s_cbranch_execz .LBB2077_764
; %bb.759:
	s_waitcnt vmcnt(0)
	v_mov_b32_e32 v2, 0
	s_mov_b32 s6, 0
	v_mov_b32_e32 v3, v2
.LBB2077_760:                           ; =>This Inner Loop Header: Depth=1
	s_add_i32 s7, s6, 0x198
	s_add_i32 s6, s6, 8
	s_cmp_lg_u32 s6, 16
	scratch_store_dwordx2 off, v[2:3], s7
	s_cbranch_scc1 .LBB2077_760
; %bb.761:
	s_mov_b32 s6, 0
.LBB2077_762:                           ; =>This Inner Loop Header: Depth=1
	s_add_i32 s7, s6, 0x184
	s_add_i32 s8, s6, 0x170
	scratch_load_dwordx2 v[2:3], off, s7
	scratch_load_dwordx2 v[4:5], off, s8
	s_add_i32 s7, s6, 0x198
	s_add_i32 s6, s6, 8
	s_cmp_lg_u32 s6, 16
	s_waitcnt vmcnt(0)
	v_add_u32_e32 v3, v5, v3
	v_add_u32_e32 v2, v4, v2
	scratch_store_dwordx2 off, v[2:3], s7
	s_cbranch_scc1 .LBB2077_762
; %bb.763:
	scratch_load_dwordx4 v[2:5], off, off offset:408
.LBB2077_764:
	s_or_b64 exec, exec, s[4:5]
	scratch_load_dwordx4 v[8:11], v43, off
	scratch_load_ubyte v1, off, off offset:840
	v_and_b32_e32 v6, 1, v6
	v_cmp_eq_u32_e32 vcc, 1, v6
	s_or_b64 s[2:3], vcc, s[2:3]
	s_waitcnt vmcnt(2)
	scratch_store_dwordx4 off, v[2:5], off offset:388
	scratch_store_dwordx4 v43, v[2:5], off
                                        ; implicit-def: $vgpr4_vgpr5
	s_waitcnt vmcnt(2)
	v_cmp_ne_u16_e32 vcc, 0, v1
	v_cndmask_b32_e64 v2, 0, 1, s[2:3]
	scratch_store_byte off, v2, off offset:840
	scratch_store_dwordx4 off, v[8:11], off offset:368
	s_and_saveexec_b64 s[4:5], vcc
	s_xor_b64 s[4:5], exec, s[4:5]
	s_cbranch_execz .LBB2077_766
; %bb.765:
	scratch_load_dwordx4 v[2:5], off, off offset:368
.LBB2077_766:
	s_andn2_saveexec_b64 s[4:5], s[4:5]
	s_cbranch_execz .LBB2077_772
; %bb.767:
	s_waitcnt vmcnt(0)
	v_mov_b32_e32 v2, 0
	s_mov_b32 s6, 0
	v_mov_b32_e32 v3, v2
.LBB2077_768:                           ; =>This Inner Loop Header: Depth=1
	s_add_i32 s7, s6, 0x198
	s_add_i32 s6, s6, 8
	s_cmp_lg_u32 s6, 16
	scratch_store_dwordx2 off, v[2:3], s7
	s_cbranch_scc1 .LBB2077_768
; %bb.769:
	s_mov_b32 s6, 0
.LBB2077_770:                           ; =>This Inner Loop Header: Depth=1
	s_add_i32 s7, s6, 0x184
	s_add_i32 s8, s6, 0x170
	scratch_load_dwordx2 v[2:3], off, s7
	scratch_load_dwordx2 v[4:5], off, s8
	s_add_i32 s7, s6, 0x198
	s_add_i32 s6, s6, 8
	s_cmp_lg_u32 s6, 16
	s_waitcnt vmcnt(0)
	v_add_u32_e32 v3, v5, v3
	v_add_u32_e32 v2, v4, v2
	scratch_store_dwordx2 off, v[2:3], s7
	s_cbranch_scc1 .LBB2077_770
; %bb.771:
	scratch_load_dwordx4 v[2:5], off, off offset:408
.LBB2077_772:
	s_or_b64 exec, exec, s[4:5]
	scratch_load_dwordx4 v[8:11], v44, off
	scratch_load_ubyte v6, off, off offset:860
	v_and_b32_e32 v1, 1, v1
	v_cmp_eq_u32_e32 vcc, 1, v1
	s_or_b64 s[2:3], vcc, s[2:3]
	v_cndmask_b32_e64 v1, 0, 1, s[2:3]
	s_waitcnt vmcnt(2)
	scratch_store_dwordx4 off, v[2:5], off offset:388
	scratch_store_dwordx4 v44, v[2:5], off
                                        ; implicit-def: $vgpr4_vgpr5
	scratch_store_byte off, v1, off offset:860
	s_waitcnt vmcnt(4)
	scratch_store_dwordx4 off, v[8:11], off offset:368
	s_waitcnt vmcnt(4)
	v_cmp_ne_u16_e32 vcc, 0, v6
	s_and_saveexec_b64 s[4:5], vcc
	s_xor_b64 s[4:5], exec, s[4:5]
	s_cbranch_execz .LBB2077_774
; %bb.773:
	scratch_load_dwordx4 v[2:5], off, off offset:368
.LBB2077_774:
	s_andn2_saveexec_b64 s[4:5], s[4:5]
	s_cbranch_execz .LBB2077_780
; %bb.775:
	s_waitcnt vmcnt(0)
	v_mov_b32_e32 v2, 0
	s_mov_b32 s6, 0
	v_mov_b32_e32 v3, v2
.LBB2077_776:                           ; =>This Inner Loop Header: Depth=1
	s_add_i32 s7, s6, 0x198
	s_add_i32 s6, s6, 8
	s_cmp_lg_u32 s6, 16
	scratch_store_dwordx2 off, v[2:3], s7
	s_cbranch_scc1 .LBB2077_776
; %bb.777:
	s_mov_b32 s6, 0
.LBB2077_778:                           ; =>This Inner Loop Header: Depth=1
	s_add_i32 s7, s6, 0x184
	s_add_i32 s8, s6, 0x170
	scratch_load_dwordx2 v[2:3], off, s7
	scratch_load_dwordx2 v[4:5], off, s8
	s_add_i32 s7, s6, 0x198
	s_add_i32 s6, s6, 8
	s_cmp_lg_u32 s6, 16
	s_waitcnt vmcnt(0)
	v_add_u32_e32 v3, v5, v3
	v_add_u32_e32 v2, v4, v2
	scratch_store_dwordx2 off, v[2:3], s7
	s_cbranch_scc1 .LBB2077_778
; %bb.779:
	scratch_load_dwordx4 v[2:5], off, off offset:408
.LBB2077_780:
	s_or_b64 exec, exec, s[4:5]
	scratch_load_dwordx4 v[8:11], v45, off
	scratch_load_ubyte v1, off, off offset:880
	v_and_b32_e32 v6, 1, v6
	v_cmp_eq_u32_e32 vcc, 1, v6
	s_or_b64 s[2:3], vcc, s[2:3]
	s_waitcnt vmcnt(2)
	scratch_store_dwordx4 off, v[2:5], off offset:388
	scratch_store_dwordx4 v45, v[2:5], off
                                        ; implicit-def: $vgpr4_vgpr5
	s_waitcnt vmcnt(2)
	v_cmp_ne_u16_e32 vcc, 0, v1
	v_cndmask_b32_e64 v2, 0, 1, s[2:3]
	scratch_store_byte off, v2, off offset:880
	scratch_store_dwordx4 off, v[8:11], off offset:368
	s_and_saveexec_b64 s[4:5], vcc
	s_xor_b64 s[4:5], exec, s[4:5]
	s_cbranch_execz .LBB2077_782
; %bb.781:
	scratch_load_dwordx4 v[2:5], off, off offset:368
.LBB2077_782:
	s_andn2_saveexec_b64 s[4:5], s[4:5]
	s_cbranch_execz .LBB2077_788
; %bb.783:
	s_waitcnt vmcnt(0)
	v_mov_b32_e32 v2, 0
	s_mov_b32 s6, 0
	v_mov_b32_e32 v3, v2
.LBB2077_784:                           ; =>This Inner Loop Header: Depth=1
	s_add_i32 s7, s6, 0x198
	s_add_i32 s6, s6, 8
	s_cmp_lg_u32 s6, 16
	scratch_store_dwordx2 off, v[2:3], s7
	s_cbranch_scc1 .LBB2077_784
; %bb.785:
	s_mov_b32 s6, 0
.LBB2077_786:                           ; =>This Inner Loop Header: Depth=1
	s_add_i32 s7, s6, 0x184
	s_add_i32 s8, s6, 0x170
	scratch_load_dwordx2 v[2:3], off, s7
	scratch_load_dwordx2 v[4:5], off, s8
	s_add_i32 s7, s6, 0x198
	s_add_i32 s6, s6, 8
	s_cmp_lg_u32 s6, 16
	s_waitcnt vmcnt(0)
	v_add_u32_e32 v3, v5, v3
	v_add_u32_e32 v2, v4, v2
	scratch_store_dwordx2 off, v[2:3], s7
	s_cbranch_scc1 .LBB2077_786
; %bb.787:
	scratch_load_dwordx4 v[2:5], off, off offset:408
.LBB2077_788:
	s_or_b64 exec, exec, s[4:5]
	scratch_load_dwordx4 v[8:11], v46, off
	scratch_load_ubyte v6, off, off offset:900
	v_and_b32_e32 v1, 1, v1
	v_cmp_eq_u32_e32 vcc, 1, v1
	s_or_b64 s[2:3], vcc, s[2:3]
	v_cndmask_b32_e64 v1, 0, 1, s[2:3]
	s_waitcnt vmcnt(2)
	scratch_store_dwordx4 off, v[2:5], off offset:388
	scratch_store_dwordx4 v46, v[2:5], off
                                        ; implicit-def: $vgpr4_vgpr5
	scratch_store_byte off, v1, off offset:900
	s_waitcnt vmcnt(4)
	scratch_store_dwordx4 off, v[8:11], off offset:368
	s_waitcnt vmcnt(4)
	v_cmp_ne_u16_e32 vcc, 0, v6
	s_and_saveexec_b64 s[4:5], vcc
	s_xor_b64 s[4:5], exec, s[4:5]
	s_cbranch_execz .LBB2077_790
; %bb.789:
	scratch_load_dwordx4 v[2:5], off, off offset:368
.LBB2077_790:
	s_andn2_saveexec_b64 s[4:5], s[4:5]
	s_cbranch_execz .LBB2077_796
; %bb.791:
	s_waitcnt vmcnt(0)
	v_mov_b32_e32 v2, 0
	s_mov_b32 s6, 0
	v_mov_b32_e32 v3, v2
.LBB2077_792:                           ; =>This Inner Loop Header: Depth=1
	s_add_i32 s7, s6, 0x198
	s_add_i32 s6, s6, 8
	s_cmp_lg_u32 s6, 16
	scratch_store_dwordx2 off, v[2:3], s7
	s_cbranch_scc1 .LBB2077_792
; %bb.793:
	s_mov_b32 s6, 0
.LBB2077_794:                           ; =>This Inner Loop Header: Depth=1
	s_add_i32 s7, s6, 0x184
	s_add_i32 s8, s6, 0x170
	scratch_load_dwordx2 v[2:3], off, s7
	scratch_load_dwordx2 v[4:5], off, s8
	s_add_i32 s7, s6, 0x198
	s_add_i32 s6, s6, 8
	s_cmp_lg_u32 s6, 16
	s_waitcnt vmcnt(0)
	v_add_u32_e32 v3, v5, v3
	v_add_u32_e32 v2, v4, v2
	scratch_store_dwordx2 off, v[2:3], s7
	s_cbranch_scc1 .LBB2077_794
; %bb.795:
	scratch_load_dwordx4 v[2:5], off, off offset:408
.LBB2077_796:
	s_or_b64 exec, exec, s[4:5]
	v_and_b32_e32 v1, 1, v6
	v_cmp_eq_u32_e32 vcc, 1, v1
	s_or_b64 s[2:3], vcc, s[2:3]
	v_cndmask_b32_e64 v1, 0, 1, s[2:3]
	s_waitcnt vmcnt(0)
	scratch_store_dwordx4 v47, v[2:5], off
	scratch_store_byte off, v1, off offset:920
	s_branch .LBB2077_1275
.LBB2077_797:
	s_cbranch_execz .LBB2077_1275
; %bb.798:
	s_cmp_lg_u64 s[76:77], 0
	s_cselect_b32 s3, s75, 0
	s_cselect_b32 s2, s74, 0
	s_cmp_eq_u64 s[2:3], 0
	v_mov_b64_e32 v[2:3], s[68:69]
	v_mov_b64_e32 v[4:5], s[70:71]
	s_cbranch_scc1 .LBB2077_800
; %bb.799:
	v_mov_b32_e32 v1, 0
	global_load_dwordx4 v[2:5], v1, s[2:3]
.LBB2077_800:
	v_mov_b32_e32 v6, 0
	s_mov_b32 s2, 0
	v_mov_b32_e32 v7, v6
	v_mov_b32_e32 v8, v6
	;; [unrolled: 1-line block ×3, first 2 shown]
	scratch_store_dword off, v6, off offset:940
	scratch_store_dwordx4 off, v[6:9], off offset:924
.LBB2077_801:                           ; =>This Inner Loop Header: Depth=1
	s_add_i32 s3, s2, 0x39c
	s_add_i32 s2, s2, 8
	s_cmp_lg_u32 s2, 16
	scratch_store_dwordx2 off, v[6:7], s3
	s_cbranch_scc1 .LBB2077_801
; %bb.802:
	scratch_load_dwordx4 v[6:9], off, off offset:464
	scratch_load_dword v1, off, off offset:480
	scratch_load_ubyte v10, off, off offset:500
	v_mov_b32_e32 v11, 0
	s_waitcnt vmcnt(6)
	scratch_store_dwordx4 off, v[2:5], off offset:428
	scratch_store_byte off, v11, off offset:940
	scratch_store_byte off, v11, off offset:444
	s_waitcnt vmcnt(5)
	scratch_store_dwordx4 off, v[6:9], off offset:408
	s_waitcnt vmcnt(5)
	scratch_store_dword off, v1, off offset:424
	s_waitcnt vmcnt(5)
	v_cmp_ne_u16_e32 vcc, 0, v10
                                        ; implicit-def: $vgpr8_vgpr9
	s_and_saveexec_b64 s[2:3], vcc
	s_xor_b64 s[2:3], exec, s[2:3]
	s_cbranch_execz .LBB2077_804
; %bb.803:
	scratch_load_dwordx4 v[6:9], off, off offset:484
.LBB2077_804:
	s_andn2_saveexec_b64 s[2:3], s[2:3]
	s_cbranch_execz .LBB2077_810
; %bb.805:
	s_waitcnt vmcnt(0)
	v_mov_b32_e32 v6, 0
	s_mov_b32 s4, 0
	v_mov_b32_e32 v7, v6
.LBB2077_806:                           ; =>This Inner Loop Header: Depth=1
	s_add_i32 s5, s4, 0
	s_add_i32 s4, s4, 8
	s_cmp_lg_u32 s4, 16
	scratch_store_dwordx2 off, v[6:7], s5
	s_cbranch_scc1 .LBB2077_806
; %bb.807:
	s_mov_b32 s4, 0
.LBB2077_808:                           ; =>This Inner Loop Header: Depth=1
	s_add_i32 s5, s4, 0x198
	v_add_u32_e32 v11, s4, v26
	scratch_load_dwordx2 v[6:7], off, s5
	scratch_load_dwordx2 v[8:9], v11, off
	s_add_i32 s5, s4, 0
	s_add_i32 s4, s4, 8
	s_cmp_lg_u32 s4, 16
	s_waitcnt vmcnt(0)
	v_add_u32_e32 v7, v9, v7
	v_add_u32_e32 v6, v8, v6
	scratch_store_dwordx2 off, v[6:7], s5
	s_cbranch_scc1 .LBB2077_808
; %bb.809:
	scratch_load_dwordx4 v[6:9], off, off
.LBB2077_810:
	s_or_b64 exec, exec, s[2:3]
	scratch_load_ubyte v11, off, off offset:520
	s_waitcnt vmcnt(0)
	v_cmp_ne_u16_e32 vcc, 0, v11
	scratch_store_dwordx4 off, v[6:9], off offset:408
                                        ; implicit-def: $vgpr8_vgpr9
	s_and_saveexec_b64 s[2:3], vcc
	s_xor_b64 s[2:3], exec, s[2:3]
	s_cbranch_execz .LBB2077_812
; %bb.811:
	scratch_load_dwordx4 v[6:9], off, off offset:504
.LBB2077_812:
	s_andn2_saveexec_b64 s[2:3], s[2:3]
	s_cbranch_execz .LBB2077_818
; %bb.813:
	s_waitcnt vmcnt(0)
	v_mov_b32_e32 v6, 0
	s_mov_b32 s4, 0
	v_mov_b32_e32 v7, v6
.LBB2077_814:                           ; =>This Inner Loop Header: Depth=1
	s_add_i32 s5, s4, 0
	s_add_i32 s4, s4, 8
	s_cmp_lg_u32 s4, 16
	scratch_store_dwordx2 off, v[6:7], s5
	s_cbranch_scc1 .LBB2077_814
; %bb.815:
	s_mov_b32 s4, 0
.LBB2077_816:                           ; =>This Inner Loop Header: Depth=1
	s_add_i32 s5, s4, 0x198
	v_add_u32_e32 v12, s4, v27
	scratch_load_dwordx2 v[6:7], off, s5
	scratch_load_dwordx2 v[8:9], v12, off
	s_add_i32 s5, s4, 0
	s_add_i32 s4, s4, 8
	s_cmp_lg_u32 s4, 16
	s_waitcnt vmcnt(0)
	v_add_u32_e32 v7, v9, v7
	v_add_u32_e32 v6, v8, v6
	scratch_store_dwordx2 off, v[6:7], s5
	s_cbranch_scc1 .LBB2077_816
; %bb.817:
	scratch_load_dwordx4 v[6:9], off, off
.LBB2077_818:
	s_or_b64 exec, exec, s[2:3]
	scratch_load_ubyte v12, off, off offset:540
	s_waitcnt vmcnt(0)
	v_cmp_ne_u16_e32 vcc, 0, v12
	scratch_store_dwordx4 off, v[6:9], off offset:408
	;; [unrolled: 43-line block ×21, first 2 shown]
                                        ; implicit-def: $vgpr8_vgpr9
	s_and_saveexec_b64 s[2:3], vcc
	s_xor_b64 s[2:3], exec, s[2:3]
	s_cbranch_execz .LBB2077_972
; %bb.971:
	scratch_load_dwordx4 v[6:9], off, off offset:904
.LBB2077_972:
	s_andn2_saveexec_b64 s[2:3], s[2:3]
	s_cbranch_execz .LBB2077_978
; %bb.973:
	s_waitcnt vmcnt(0)
	v_mov_b32_e32 v6, 0
	s_mov_b32 s4, 0
	v_mov_b32_e32 v7, v6
.LBB2077_974:                           ; =>This Inner Loop Header: Depth=1
	s_add_i32 s5, s4, 0
	s_add_i32 s4, s4, 8
	s_cmp_lg_u32 s4, 16
	scratch_store_dwordx2 off, v[6:7], s5
	s_cbranch_scc1 .LBB2077_974
; %bb.975:
	s_mov_b32 s4, 0
.LBB2077_976:                           ; =>This Inner Loop Header: Depth=1
	s_add_i32 s5, s4, 0x198
	v_add_u32_e32 v54, s4, v47
	scratch_load_dwordx2 v[6:7], off, s5
	scratch_load_dwordx2 v[8:9], v54, off
	s_add_i32 s5, s4, 0
	s_add_i32 s4, s4, 8
	s_cmp_lg_u32 s4, 16
	s_waitcnt vmcnt(0)
	v_add_u32_e32 v7, v9, v7
	v_add_u32_e32 v6, v8, v6
	scratch_store_dwordx2 off, v[6:7], s5
	s_cbranch_scc1 .LBB2077_976
; %bb.977:
	scratch_load_dwordx4 v[6:9], off, off
.LBB2077_978:
	s_or_b64 exec, exec, s[2:3]
	v_or_b32_e32 v52, v53, v52
	v_or_b32_e32 v51, v52, v51
	;; [unrolled: 1-line block ×22, first 2 shown]
	v_and_b32_e32 v16, 1, v1
	v_mov_b32_e32 v1, 0
	s_waitcnt vmcnt(0)
	scratch_store_dwordx4 off, v[6:9], off offset:408
	scratch_store_byte off, v16, off offset:424
	scratch_store_dwordx4 off, v[2:5], off offset:388
	scratch_store_byte off, v1, off offset:404
	v_lshrrev_b32_e32 v1, 5, v0
	v_add_u32_e32 v1, v1, v0
	v_mul_u32_u24_e32 v1, 20, v1
	v_cmp_gt_u32_e32 vcc, 64, v0
	ds_write2_b32 v1, v6, v7 offset1:1
	ds_write2_b32 v1, v8, v9 offset0:2 offset1:3
	ds_write_b8 v1, v16 offset:16
	s_waitcnt lgkmcnt(0)
	s_barrier
	s_and_saveexec_b64 s[2:3], vcc
	s_xor_b64 s[4:5], exec, s[2:3]
	s_cbranch_execz .LBB2077_1054
; %bb.979:
	v_lshrrev_b32_e32 v1, 4, v0
	v_lshl_add_u32 v1, v0, 1, v1
	v_mul_u32_u24_e32 v17, 20, v1
	ds_read_u8 v14, v17 offset:36
	ds_read_b32 v15, v17 offset:16
	ds_read2_b32 v[12:13], v17 offset0:2 offset1:3
	ds_read2_b32 v[10:11], v17 offset1:1
	v_mad_u32_u24 v1, v1, 20, 20
	s_waitcnt lgkmcnt(3)
	v_cmp_ne_u16_e32 vcc, 0, v14
	s_waitcnt lgkmcnt(2)
	scratch_store_dword off, v15, off offset:384
	s_waitcnt lgkmcnt(0)
	scratch_store_dwordx4 off, v[10:13], off offset:368
                                        ; implicit-def: $vgpr10_vgpr11
	s_and_saveexec_b64 s[2:3], vcc
	s_xor_b64 s[2:3], exec, s[2:3]
	s_cbranch_execz .LBB2077_981
; %bb.980:
	ds_read2_b32 v[10:11], v1 offset1:1
	ds_read2_b32 v[12:13], v1 offset0:2 offset1:3
.LBB2077_981:
	s_andn2_saveexec_b64 s[2:3], s[2:3]
	s_cbranch_execz .LBB2077_987
; %bb.982:
	s_waitcnt lgkmcnt(1)
	v_mov_b32_e32 v10, 0
	s_mov_b32 s6, 0
	v_mov_b32_e32 v11, v10
.LBB2077_983:                           ; =>This Inner Loop Header: Depth=1
	s_add_i32 s7, s6, 0
	s_add_i32 s6, s6, 8
	s_cmp_lg_u32 s6, 16
	scratch_store_dwordx2 off, v[10:11], s7
	s_cbranch_scc1 .LBB2077_983
; %bb.984:
	s_mov_b32 s6, 0
.LBB2077_985:                           ; =>This Inner Loop Header: Depth=1
	s_add_i32 s7, s6, 0x170
	scratch_load_dwordx2 v[10:11], off, s7
	s_waitcnt lgkmcnt(0)
	v_add_u32_e32 v12, s6, v1
	ds_read2_b32 v[12:13], v12 offset1:1
	s_add_i32 s7, s6, 0
	s_add_i32 s6, s6, 8
	s_cmp_lg_u32 s6, 16
	s_waitcnt vmcnt(0) lgkmcnt(0)
	v_add_u32_e32 v11, v13, v11
	v_add_u32_e32 v10, v12, v10
	scratch_store_dwordx2 off, v[10:11], s7
	s_cbranch_scc1 .LBB2077_985
; %bb.986:
	scratch_load_dwordx4 v[10:13], off, off
.LBB2077_987:
	s_or_b64 exec, exec, s[2:3]
	scratch_load_ubyte v15, off, off offset:384
	s_waitcnt vmcnt(1) lgkmcnt(1)
	v_mov_b32_dpp v20, v10 row_shr:1 row_mask:0xf bank_mask:0xf
	v_mov_b32_dpp v21, v11 row_shr:1 row_mask:0xf bank_mask:0xf
	s_waitcnt lgkmcnt(0)
	v_mov_b32_dpp v22, v12 row_shr:1 row_mask:0xf bank_mask:0xf
	v_mov_b32_dpp v23, v13 row_shr:1 row_mask:0xf bank_mask:0xf
	scratch_store_dwordx4 off, v[20:23], off
	scratch_store_dwordx4 off, v[10:13], off offset:368
	s_waitcnt vmcnt(2)
	v_or_b32_e32 v14, v14, v15
	v_and_b32_e32 v14, 1, v14
	scratch_store_byte off, v14, off offset:384
	scratch_load_dword v19, off, off offset:384
	v_mbcnt_lo_u32_b32 v14, -1, 0
	v_mbcnt_hi_u32_b32 v18, -1, v14
	v_and_b32_e32 v20, 15, v18
	v_cmp_ne_u32_e32 vcc, 0, v20
	s_waitcnt vmcnt(0)
	v_mov_b32_dpp v21, v19 row_shr:1 row_mask:0xf bank_mask:0xf
	scratch_store_dword off, v21, off offset:16
	s_and_saveexec_b64 s[2:3], vcc
	s_cbranch_execz .LBB2077_995
; %bb.988:
	v_mov_b32_e32 v14, 0
	v_cmp_eq_u16_sdwa s[8:9], v19, v14 src0_sel:BYTE_0 src1_sel:DWORD
	s_and_saveexec_b64 s[6:7], s[8:9]
	s_cbranch_execz .LBB2077_994
; %bb.989:
	s_mov_b32 s8, 0
	v_mov_b32_e32 v15, v14
.LBB2077_990:                           ; =>This Inner Loop Header: Depth=1
	s_add_i32 s9, s8, 0x1c0
	s_add_i32 s8, s8, 8
	s_cmp_lg_u32 s8, 16
	scratch_store_dwordx2 off, v[14:15], s9
	s_cbranch_scc1 .LBB2077_990
; %bb.991:
	s_mov_b32 s8, 0
.LBB2077_992:                           ; =>This Inner Loop Header: Depth=1
	s_add_i32 s9, s8, 0
	s_add_i32 s10, s8, 0x170
	scratch_load_dwordx2 v[10:11], off, s9
	scratch_load_dwordx2 v[12:13], off, s10
	s_add_i32 s9, s8, 0x1c0
	s_add_i32 s8, s8, 8
	s_cmp_lg_u32 s8, 16
	s_waitcnt vmcnt(0)
	v_add_u32_e32 v11, v13, v11
	v_add_u32_e32 v10, v12, v10
	scratch_store_dwordx2 off, v[10:11], s9
	s_cbranch_scc1 .LBB2077_992
; %bb.993:
	scratch_load_dwordx4 v[10:13], off, off offset:448
.LBB2077_994:
	s_or_b64 exec, exec, s[6:7]
	v_or_b32_e32 v14, v21, v19
	v_and_b32_e32 v14, 1, v14
	scratch_store_byte off, v14, off offset:384
	scratch_load_dword v19, off, off offset:384
	s_waitcnt vmcnt(2)
	scratch_store_dwordx4 off, v[10:13], off offset:368
.LBB2077_995:
	s_or_b64 exec, exec, s[2:3]
	v_mov_b32_dpp v22, v10 row_shr:2 row_mask:0xf bank_mask:0xf
	v_mov_b32_dpp v23, v11 row_shr:2 row_mask:0xf bank_mask:0xf
	;; [unrolled: 1-line block ×4, first 2 shown]
	s_waitcnt vmcnt(1)
	v_mov_b32_dpp v21, v19 row_shr:2 row_mask:0xf bank_mask:0xf
	v_cmp_lt_u32_e32 vcc, 1, v20
	scratch_store_dwordx4 off, v[22:25], off
	scratch_store_dword off, v21, off offset:16
	s_and_saveexec_b64 s[6:7], vcc
	s_cbranch_execz .LBB2077_1003
; %bb.996:
	v_mov_b32_e32 v14, 0
	s_mov_b32 s8, 0
	v_cmp_eq_u16_sdwa s[10:11], v19, v14 src0_sel:BYTE_0 src1_sel:DWORD
	s_and_saveexec_b64 s[2:3], s[10:11]
	s_cbranch_execz .LBB2077_1002
; %bb.997:
	v_mov_b32_e32 v15, v14
.LBB2077_998:                           ; =>This Inner Loop Header: Depth=1
	s_add_i32 s9, s8, 0x1c0
	s_add_i32 s8, s8, 8
	s_cmp_lg_u32 s8, 16
	scratch_store_dwordx2 off, v[14:15], s9
	s_cbranch_scc1 .LBB2077_998
; %bb.999:
	s_mov_b32 s8, 0
.LBB2077_1000:                          ; =>This Inner Loop Header: Depth=1
	s_add_i32 s9, s8, 0
	s_add_i32 s10, s8, 0x170
	scratch_load_dwordx2 v[10:11], off, s9
	scratch_load_dwordx2 v[12:13], off, s10
	s_add_i32 s9, s8, 0x1c0
	s_add_i32 s8, s8, 8
	s_cmp_lg_u32 s8, 16
	s_waitcnt vmcnt(0)
	v_add_u32_e32 v11, v13, v11
	v_add_u32_e32 v10, v12, v10
	scratch_store_dwordx2 off, v[10:11], s9
	s_cbranch_scc1 .LBB2077_1000
; %bb.1001:
	scratch_load_dwordx4 v[10:13], off, off offset:448
.LBB2077_1002:
	s_or_b64 exec, exec, s[2:3]
	v_and_b32_e32 v14, 1, v19
	v_cmp_eq_u32_e32 vcc, 1, v14
	v_and_b32_e32 v14, 1, v21
	v_cmp_eq_u32_e64 s[2:3], 1, v14
	s_or_b64 s[2:3], vcc, s[2:3]
	s_waitcnt vmcnt(0)
	scratch_store_dwordx4 off, v[10:13], off offset:368
	v_cndmask_b32_e64 v14, 0, 1, s[2:3]
	scratch_store_byte off, v14, off offset:384
	scratch_load_dword v19, off, off offset:384
.LBB2077_1003:
	s_or_b64 exec, exec, s[6:7]
	v_mov_b32_dpp v22, v10 row_shr:4 row_mask:0xf bank_mask:0xf
	v_mov_b32_dpp v23, v11 row_shr:4 row_mask:0xf bank_mask:0xf
	;; [unrolled: 1-line block ×4, first 2 shown]
	s_waitcnt vmcnt(0)
	v_mov_b32_dpp v21, v19 row_shr:4 row_mask:0xf bank_mask:0xf
	v_cmp_lt_u32_e32 vcc, 3, v20
	scratch_store_dwordx4 off, v[22:25], off
	scratch_store_dword off, v21, off offset:16
	s_and_saveexec_b64 s[6:7], vcc
	s_cbranch_execz .LBB2077_1011
; %bb.1004:
	v_mov_b32_e32 v14, 0
	s_mov_b32 s8, 0
	v_cmp_eq_u16_sdwa s[10:11], v19, v14 src0_sel:BYTE_0 src1_sel:DWORD
	s_and_saveexec_b64 s[2:3], s[10:11]
	s_cbranch_execz .LBB2077_1010
; %bb.1005:
	v_mov_b32_e32 v15, v14
.LBB2077_1006:                          ; =>This Inner Loop Header: Depth=1
	s_add_i32 s9, s8, 0x1c0
	s_add_i32 s8, s8, 8
	s_cmp_lg_u32 s8, 16
	scratch_store_dwordx2 off, v[14:15], s9
	s_cbranch_scc1 .LBB2077_1006
; %bb.1007:
	s_mov_b32 s8, 0
.LBB2077_1008:                          ; =>This Inner Loop Header: Depth=1
	s_add_i32 s9, s8, 0
	s_add_i32 s10, s8, 0x170
	scratch_load_dwordx2 v[10:11], off, s9
	scratch_load_dwordx2 v[12:13], off, s10
	s_add_i32 s9, s8, 0x1c0
	s_add_i32 s8, s8, 8
	s_cmp_lg_u32 s8, 16
	s_waitcnt vmcnt(0)
	v_add_u32_e32 v11, v13, v11
	v_add_u32_e32 v10, v12, v10
	scratch_store_dwordx2 off, v[10:11], s9
	s_cbranch_scc1 .LBB2077_1008
; %bb.1009:
	scratch_load_dwordx4 v[10:13], off, off offset:448
.LBB2077_1010:
	s_or_b64 exec, exec, s[2:3]
	v_and_b32_e32 v14, 1, v19
	v_cmp_eq_u32_e32 vcc, 1, v14
	v_and_b32_e32 v14, 1, v21
	v_cmp_eq_u32_e64 s[2:3], 1, v14
	s_or_b64 s[2:3], vcc, s[2:3]
	s_waitcnt vmcnt(0)
	scratch_store_dwordx4 off, v[10:13], off offset:368
	v_cndmask_b32_e64 v14, 0, 1, s[2:3]
	scratch_store_byte off, v14, off offset:384
	scratch_load_dword v19, off, off offset:384
.LBB2077_1011:
	s_or_b64 exec, exec, s[6:7]
	v_mov_b32_dpp v22, v10 row_shr:8 row_mask:0xf bank_mask:0xf
	v_mov_b32_dpp v23, v11 row_shr:8 row_mask:0xf bank_mask:0xf
	;; [unrolled: 1-line block ×4, first 2 shown]
	s_waitcnt vmcnt(0)
	v_mov_b32_dpp v21, v19 row_shr:8 row_mask:0xf bank_mask:0xf
	v_cmp_lt_u32_e32 vcc, 7, v20
	scratch_store_dwordx4 off, v[22:25], off
	scratch_store_dword off, v21, off offset:16
	s_and_saveexec_b64 s[6:7], vcc
	s_cbranch_execz .LBB2077_1019
; %bb.1012:
	v_mov_b32_e32 v14, 0
	s_mov_b32 s8, 0
	v_cmp_eq_u16_sdwa s[10:11], v19, v14 src0_sel:BYTE_0 src1_sel:DWORD
	s_and_saveexec_b64 s[2:3], s[10:11]
	s_cbranch_execz .LBB2077_1018
; %bb.1013:
	v_mov_b32_e32 v15, v14
.LBB2077_1014:                          ; =>This Inner Loop Header: Depth=1
	s_add_i32 s9, s8, 0x1c0
	s_add_i32 s8, s8, 8
	s_cmp_lg_u32 s8, 16
	scratch_store_dwordx2 off, v[14:15], s9
	s_cbranch_scc1 .LBB2077_1014
; %bb.1015:
	s_mov_b32 s8, 0
.LBB2077_1016:                          ; =>This Inner Loop Header: Depth=1
	s_add_i32 s9, s8, 0
	s_add_i32 s10, s8, 0x170
	scratch_load_dwordx2 v[10:11], off, s9
	scratch_load_dwordx2 v[12:13], off, s10
	s_add_i32 s9, s8, 0x1c0
	s_add_i32 s8, s8, 8
	s_cmp_lg_u32 s8, 16
	s_waitcnt vmcnt(0)
	v_add_u32_e32 v11, v13, v11
	v_add_u32_e32 v10, v12, v10
	scratch_store_dwordx2 off, v[10:11], s9
	s_cbranch_scc1 .LBB2077_1016
; %bb.1017:
	scratch_load_dwordx4 v[10:13], off, off offset:448
.LBB2077_1018:
	s_or_b64 exec, exec, s[2:3]
	v_and_b32_e32 v14, 1, v19
	v_cmp_eq_u32_e32 vcc, 1, v14
	v_and_b32_e32 v14, 1, v21
	v_cmp_eq_u32_e64 s[2:3], 1, v14
	s_or_b64 s[2:3], vcc, s[2:3]
	s_waitcnt vmcnt(0)
	scratch_store_dwordx4 off, v[10:13], off offset:368
	v_cndmask_b32_e64 v14, 0, 1, s[2:3]
	scratch_store_byte off, v14, off offset:384
	scratch_load_dword v19, off, off offset:384
.LBB2077_1019:
	s_or_b64 exec, exec, s[6:7]
	v_and_b32_e32 v14, 16, v18
	v_mov_b32_dpp v22, v10 row_bcast:15 row_mask:0xf bank_mask:0xf
	v_mov_b32_dpp v23, v11 row_bcast:15 row_mask:0xf bank_mask:0xf
	v_mov_b32_dpp v24, v12 row_bcast:15 row_mask:0xf bank_mask:0xf
	v_mov_b32_dpp v25, v13 row_bcast:15 row_mask:0xf bank_mask:0xf
	s_waitcnt vmcnt(0)
	v_mov_b32_dpp v20, v19 row_bcast:15 row_mask:0xf bank_mask:0xf
	v_cmp_ne_u32_e32 vcc, 0, v14
	scratch_store_dwordx4 off, v[22:25], off
	scratch_store_dword off, v20, off offset:16
	s_and_saveexec_b64 s[6:7], vcc
	s_cbranch_execz .LBB2077_1027
; %bb.1020:
	v_mov_b32_e32 v14, 0
	s_mov_b32 s8, 0
	v_cmp_eq_u16_sdwa s[10:11], v19, v14 src0_sel:BYTE_0 src1_sel:DWORD
	s_and_saveexec_b64 s[2:3], s[10:11]
	s_cbranch_execz .LBB2077_1026
; %bb.1021:
	v_mov_b32_e32 v15, v14
.LBB2077_1022:                          ; =>This Inner Loop Header: Depth=1
	s_add_i32 s9, s8, 0x1c0
	s_add_i32 s8, s8, 8
	s_cmp_lg_u32 s8, 16
	scratch_store_dwordx2 off, v[14:15], s9
	s_cbranch_scc1 .LBB2077_1022
; %bb.1023:
	s_mov_b32 s8, 0
.LBB2077_1024:                          ; =>This Inner Loop Header: Depth=1
	s_add_i32 s9, s8, 0
	s_add_i32 s10, s8, 0x170
	scratch_load_dwordx2 v[10:11], off, s9
	scratch_load_dwordx2 v[12:13], off, s10
	s_add_i32 s9, s8, 0x1c0
	s_add_i32 s8, s8, 8
	s_cmp_lg_u32 s8, 16
	s_waitcnt vmcnt(0)
	v_add_u32_e32 v11, v13, v11
	v_add_u32_e32 v10, v12, v10
	scratch_store_dwordx2 off, v[10:11], s9
	s_cbranch_scc1 .LBB2077_1024
; %bb.1025:
	scratch_load_dwordx4 v[10:13], off, off offset:448
.LBB2077_1026:
	s_or_b64 exec, exec, s[2:3]
	v_and_b32_e32 v14, 1, v19
	v_cmp_eq_u32_e32 vcc, 1, v14
	v_and_b32_e32 v14, 1, v20
	v_cmp_eq_u32_e64 s[2:3], 1, v14
	s_or_b64 s[2:3], vcc, s[2:3]
	s_waitcnt vmcnt(0)
	scratch_store_dwordx4 off, v[10:13], off offset:368
	v_cndmask_b32_e64 v14, 0, 1, s[2:3]
	scratch_store_byte off, v14, off offset:384
	scratch_load_dword v19, off, off offset:384
.LBB2077_1027:
	s_or_b64 exec, exec, s[6:7]
	v_mov_b32_dpp v22, v10 row_bcast:31 row_mask:0xf bank_mask:0xf
	v_mov_b32_dpp v23, v11 row_bcast:31 row_mask:0xf bank_mask:0xf
	;; [unrolled: 1-line block ×4, first 2 shown]
	s_waitcnt vmcnt(0)
	v_mov_b32_dpp v20, v19 row_bcast:31 row_mask:0xf bank_mask:0xf
	v_cmp_lt_u32_e32 vcc, 31, v18
	scratch_store_dwordx4 off, v[22:25], off
	scratch_store_dword off, v20, off offset:16
	s_and_saveexec_b64 s[6:7], vcc
	s_cbranch_execz .LBB2077_1035
; %bb.1028:
	v_mov_b32_e32 v14, 0
	s_mov_b32 s8, 0
	v_cmp_eq_u16_sdwa s[10:11], v19, v14 src0_sel:BYTE_0 src1_sel:DWORD
	s_and_saveexec_b64 s[2:3], s[10:11]
	s_cbranch_execz .LBB2077_1034
; %bb.1029:
	v_mov_b32_e32 v15, v14
.LBB2077_1030:                          ; =>This Inner Loop Header: Depth=1
	s_add_i32 s9, s8, 0x1c0
	s_add_i32 s8, s8, 8
	s_cmp_lg_u32 s8, 16
	scratch_store_dwordx2 off, v[14:15], s9
	s_cbranch_scc1 .LBB2077_1030
; %bb.1031:
	s_mov_b32 s8, 0
.LBB2077_1032:                          ; =>This Inner Loop Header: Depth=1
	s_add_i32 s9, s8, 0
	s_add_i32 s10, s8, 0x170
	scratch_load_dwordx2 v[10:11], off, s9
	scratch_load_dwordx2 v[12:13], off, s10
	s_add_i32 s9, s8, 0x1c0
	s_add_i32 s8, s8, 8
	s_cmp_lg_u32 s8, 16
	s_waitcnt vmcnt(0)
	v_add_u32_e32 v11, v13, v11
	v_add_u32_e32 v10, v12, v10
	scratch_store_dwordx2 off, v[10:11], s9
	s_cbranch_scc1 .LBB2077_1032
; %bb.1033:
	scratch_load_dwordx4 v[10:13], off, off offset:448
.LBB2077_1034:
	s_or_b64 exec, exec, s[2:3]
	v_and_b32_e32 v14, 1, v19
	v_cmp_eq_u32_e32 vcc, 1, v14
	v_and_b32_e32 v14, 1, v20
	v_cmp_eq_u32_e64 s[2:3], 1, v14
	s_or_b64 s[2:3], vcc, s[2:3]
	s_nop 0
	v_cndmask_b32_e64 v14, 0, 1, s[2:3]
	scratch_store_byte off, v14, off offset:384
	scratch_load_dword v19, off, off offset:384
.LBB2077_1035:
	s_or_b64 exec, exec, s[6:7]
	v_add_u32_e32 v14, -1, v18
	v_and_b32_e32 v15, 64, v18
	v_cmp_lt_i32_e32 vcc, v14, v15
	ds_read_u8 v15, v17 offset:16
	s_nop 0
	v_cndmask_b32_e32 v14, v14, v18, vcc
	v_lshlrev_b32_e32 v14, 2, v14
	s_waitcnt vmcnt(2)
	ds_bpermute_b32 v10, v14, v10
	ds_bpermute_b32 v11, v14, v11
	;; [unrolled: 1-line block ×4, first 2 shown]
	s_waitcnt vmcnt(0)
	ds_bpermute_b32 v14, v14, v19
	s_waitcnt lgkmcnt(5)
	v_cmp_ne_u16_e32 vcc, 0, v15
	s_waitcnt lgkmcnt(1)
	scratch_store_dwordx4 off, v[10:13], off offset:368
                                        ; implicit-def: $vgpr12_vgpr13
	s_and_saveexec_b64 s[2:3], vcc
	s_xor_b64 s[2:3], exec, s[2:3]
	s_cbranch_execz .LBB2077_1037
; %bb.1036:
	ds_read2_b32 v[10:11], v17 offset1:1
	ds_read2_b32 v[12:13], v17 offset0:2 offset1:3
.LBB2077_1037:
	s_andn2_saveexec_b64 s[2:3], s[2:3]
	s_cbranch_execz .LBB2077_1043
; %bb.1038:
	s_waitcnt lgkmcnt(1)
	v_mov_b32_e32 v10, 0
	s_mov_b32 s6, 0
	v_mov_b32_e32 v11, v10
.LBB2077_1039:                          ; =>This Inner Loop Header: Depth=1
	s_add_i32 s7, s6, 0
	s_add_i32 s6, s6, 8
	s_cmp_lg_u32 s6, 16
	scratch_store_dwordx2 off, v[10:11], s7
	s_cbranch_scc1 .LBB2077_1039
; %bb.1040:
	s_mov_b32 s6, 0
.LBB2077_1041:                          ; =>This Inner Loop Header: Depth=1
	s_add_i32 s7, s6, 0x170
	scratch_load_dwordx2 v[10:11], off, s7
	s_waitcnt lgkmcnt(0)
	v_add_u32_e32 v12, s6, v17
	ds_read2_b32 v[12:13], v12 offset1:1
	s_add_i32 s7, s6, 0
	s_add_i32 s6, s6, 8
	s_cmp_lg_u32 s6, 16
	s_waitcnt vmcnt(0) lgkmcnt(0)
	v_add_u32_e32 v11, v13, v11
	v_add_u32_e32 v10, v12, v10
	scratch_store_dwordx2 off, v[10:11], s7
	s_cbranch_scc1 .LBB2077_1041
; %bb.1042:
	scratch_load_dwordx4 v[10:13], off, off
.LBB2077_1043:
	s_or_b64 exec, exec, s[2:3]
	v_and_b32_e32 v15, 1, v15
	s_waitcnt lgkmcnt(0)
	v_and_b32_e32 v14, 1, v14
	v_cmp_eq_u32_e32 vcc, 1, v15
	v_cmp_eq_u32_e64 s[2:3], 1, v14
	s_or_b64 s[2:3], s[2:3], vcc
	v_cmp_eq_u32_e32 vcc, 0, v0
	v_cndmask_b32_e64 v14, 0, 1, s[2:3]
	s_waitcnt vmcnt(0)
	scratch_store_dwordx4 off, v[10:13], off offset:368
	scratch_store_byte off, v14, off offset:384
	s_and_saveexec_b64 s[2:3], vcc
	s_cbranch_execz .LBB2077_1045
; %bb.1044:
	scratch_store_dwordx4 off, v[6:9], off offset:368
	scratch_store_byte off, v16, off offset:384
.LBB2077_1045:
	s_or_b64 exec, exec, s[2:3]
	; wave barrier
	scratch_load_dwordx4 v[6:9], off, off offset:368
	scratch_load_ubyte v10, off, off offset:384
	s_waitcnt vmcnt(1)
	ds_write2_b32 v17, v8, v9 offset0:2 offset1:3
	ds_write2_b32 v17, v6, v7 offset1:1
	s_waitcnt vmcnt(0)
	ds_write_b8 v17, v10 offset:16
	; wave barrier
	ds_read_u8 v10, v17 offset:36
                                        ; implicit-def: $vgpr8_vgpr9
	s_waitcnt lgkmcnt(0)
	v_cmp_ne_u16_e32 vcc, 0, v10
	s_and_saveexec_b64 s[2:3], vcc
	s_xor_b64 s[2:3], exec, s[2:3]
	s_cbranch_execz .LBB2077_1047
; %bb.1046:
	ds_read2_b32 v[6:7], v1 offset1:1
	ds_read2_b32 v[8:9], v1 offset0:2 offset1:3
.LBB2077_1047:
	s_andn2_saveexec_b64 s[2:3], s[2:3]
	s_cbranch_execz .LBB2077_1053
; %bb.1048:
	s_waitcnt lgkmcnt(1)
	v_mov_b32_e32 v6, 0
	s_mov_b32 s6, 0
	v_mov_b32_e32 v7, v6
.LBB2077_1049:                          ; =>This Inner Loop Header: Depth=1
	s_add_i32 s7, s6, 0
	s_add_i32 s6, s6, 8
	s_cmp_lg_u32 s6, 16
	scratch_store_dwordx2 off, v[6:7], s7
	s_cbranch_scc1 .LBB2077_1049
; %bb.1050:
	s_mov_b32 s6, 0
.LBB2077_1051:                          ; =>This Inner Loop Header: Depth=1
	s_add_i32 s7, s6, 0x170
	scratch_load_dwordx2 v[6:7], off, s7
	s_waitcnt lgkmcnt(0)
	v_add_u32_e32 v8, s6, v1
	ds_read2_b32 v[8:9], v8 offset1:1
	s_add_i32 s7, s6, 0
	s_add_i32 s6, s6, 8
	s_cmp_lg_u32 s6, 16
	s_waitcnt vmcnt(0) lgkmcnt(0)
	v_add_u32_e32 v7, v9, v7
	v_add_u32_e32 v6, v8, v6
	scratch_store_dwordx2 off, v[6:7], s7
	s_cbranch_scc1 .LBB2077_1051
; %bb.1052:
	scratch_load_dwordx4 v[6:9], off, off
.LBB2077_1053:
	s_or_b64 exec, exec, s[2:3]
	scratch_load_ubyte v11, off, off offset:384
	s_waitcnt vmcnt(1) lgkmcnt(0)
	ds_write2_b32 v1, v8, v9 offset0:2 offset1:3
	s_waitcnt vmcnt(0)
	v_or_b32_e32 v8, v10, v11
	v_and_b32_e32 v8, 1, v8
	ds_write2_b32 v1, v6, v7 offset1:1
	ds_write_b8 v1, v8 offset:16
.LBB2077_1054:
	s_or_b64 exec, exec, s[4:5]
	s_waitcnt lgkmcnt(0)
	s_barrier
	scratch_load_dwordx4 v[6:9], off, off offset:388
	scratch_load_ubyte v1, off, off offset:404
	v_cmp_eq_u32_e64 s[2:3], 0, v0
	v_cmp_ne_u32_e32 vcc, 0, v0
	s_waitcnt vmcnt(1)
	scratch_store_dwordx4 off, v[6:9], off offset:408
	s_waitcnt vmcnt(1)
	scratch_store_byte off, v1, off offset:424
	s_and_saveexec_b64 s[6:7], vcc
	s_cbranch_execz .LBB2077_1064
; %bb.1055:
	v_add_u32_e32 v6, -1, v0
	v_lshrrev_b32_e32 v7, 5, v6
	v_add_u32_e32 v6, v7, v6
	v_mul_lo_u32 v11, v6, 20
	ds_read_u8 v10, v11 offset:16
                                        ; implicit-def: $vgpr8_vgpr9
	s_waitcnt lgkmcnt(0)
	v_cmp_ne_u16_e64 s[4:5], 0, v10
	s_and_saveexec_b64 s[8:9], s[4:5]
	s_xor_b64 s[4:5], exec, s[8:9]
	s_cbranch_execz .LBB2077_1057
; %bb.1056:
	ds_read2_b32 v[6:7], v11 offset1:1
	ds_read2_b32 v[8:9], v11 offset0:2 offset1:3
                                        ; implicit-def: $vgpr11
.LBB2077_1057:
	s_andn2_saveexec_b64 s[4:5], s[4:5]
	s_cbranch_execz .LBB2077_1063
; %bb.1058:
	s_waitcnt lgkmcnt(1)
	v_mov_b32_e32 v6, 0
	s_mov_b32 s8, 0
	v_mov_b32_e32 v7, v6
.LBB2077_1059:                          ; =>This Inner Loop Header: Depth=1
	s_add_i32 s9, s8, 0
	s_add_i32 s8, s8, 8
	s_cmp_lg_u32 s8, 16
	scratch_store_dwordx2 off, v[6:7], s9
	s_cbranch_scc1 .LBB2077_1059
; %bb.1060:
	s_mov_b32 s8, 0
.LBB2077_1061:                          ; =>This Inner Loop Header: Depth=1
	s_add_i32 s9, s8, 0x184
	scratch_load_dwordx2 v[6:7], off, s9
	s_waitcnt lgkmcnt(0)
	v_add_u32_e32 v8, s8, v11
	ds_read2_b32 v[8:9], v8 offset1:1
	s_add_i32 s9, s8, 0
	s_add_i32 s8, s8, 8
	s_cmp_lg_u32 s8, 16
	s_waitcnt vmcnt(0) lgkmcnt(0)
	v_add_u32_e32 v7, v9, v7
	v_add_u32_e32 v6, v8, v6
	scratch_store_dwordx2 off, v[6:7], s9
	s_cbranch_scc1 .LBB2077_1061
; %bb.1062:
	scratch_load_dwordx4 v[6:9], off, off
.LBB2077_1063:
	s_or_b64 exec, exec, s[4:5]
	v_or_b32_e32 v1, v10, v1
	v_and_b32_e32 v1, 1, v1
	s_waitcnt vmcnt(0) lgkmcnt(0)
	scratch_store_dwordx4 off, v[6:9], off offset:408
	scratch_store_byte off, v1, off offset:424
.LBB2077_1064:
	s_or_b64 exec, exec, s[6:7]
	scratch_load_dwordx4 v[8:11], off, off offset:464
	scratch_load_dword v7, off, off offset:480
	v_mov_b32_e32 v6, 0
	scratch_store_dwordx4 off, v[2:5], off offset:368
	s_waitcnt vmcnt(2)
	scratch_store_dwordx4 off, v[8:11], off
	s_waitcnt vmcnt(2)
	scratch_store_dword off, v7, off offset:16
	scratch_store_byte off, v6, off offset:384
	s_and_saveexec_b64 s[4:5], vcc
	s_cbranch_execz .LBB2077_1066
; %bb.1065:
	scratch_load_dwordx4 v[2:5], off, off offset:408
	v_mov_b32_e32 v6, v1
	scratch_store_byte off, v1, off offset:384
	s_waitcnt vmcnt(1)
	scratch_store_dwordx4 off, v[2:5], off offset:368
.LBB2077_1066:
	s_or_b64 exec, exec, s[4:5]
	scratch_load_dwordx4 v[2:5], off, off offset:368
	scratch_load_ubyte v1, off, off offset:16
	s_nop 0
	scratch_store_byte off, v6, off offset:480
	s_waitcnt vmcnt(2)
	scratch_store_dwordx4 off, v[2:5], off offset:464
	s_waitcnt vmcnt(2)
	v_cmp_ne_u16_e32 vcc, 0, v1
                                        ; implicit-def: $vgpr4_vgpr5
	s_and_saveexec_b64 s[4:5], vcc
	s_xor_b64 s[4:5], exec, s[4:5]
	s_cbranch_execz .LBB2077_1068
; %bb.1067:
	scratch_load_dwordx4 v[2:5], off, off
.LBB2077_1068:
	s_andn2_saveexec_b64 s[4:5], s[4:5]
	s_cbranch_execz .LBB2077_1074
; %bb.1069:
	s_waitcnt vmcnt(0)
	v_mov_b32_e32 v2, 0
	s_mov_b32 s6, 0
	v_mov_b32_e32 v3, v2
.LBB2077_1070:                          ; =>This Inner Loop Header: Depth=1
	s_add_i32 s7, s6, 0x184
	s_add_i32 s6, s6, 8
	s_cmp_lg_u32 s6, 16
	scratch_store_dwordx2 off, v[2:3], s7
	s_cbranch_scc1 .LBB2077_1070
; %bb.1071:
	s_mov_b32 s6, 0
.LBB2077_1072:                          ; =>This Inner Loop Header: Depth=1
	s_add_i32 s7, s6, 0x170
	s_add_i32 s8, s6, 0
	scratch_load_dwordx2 v[2:3], off, s7
	scratch_load_dwordx2 v[4:5], off, s8
	s_add_i32 s7, s6, 0x184
	s_add_i32 s6, s6, 8
	s_cmp_lg_u32 s6, 16
	s_waitcnt vmcnt(0)
	v_add_u32_e32 v3, v5, v3
	v_add_u32_e32 v2, v4, v2
	scratch_store_dwordx2 off, v[2:3], s7
	s_cbranch_scc1 .LBB2077_1072
; %bb.1073:
	scratch_load_dwordx4 v[2:5], off, off offset:388
.LBB2077_1074:
	s_or_b64 exec, exec, s[4:5]
	scratch_load_dwordx4 v[8:11], v26, off
	scratch_load_ubyte v7, off, off offset:500
	v_or_b32_e32 v1, v1, v6
	v_and_b32_e32 v1, 1, v1
	v_cmp_eq_u32_e32 vcc, 1, v1
	s_waitcnt vmcnt(2)
	scratch_store_dwordx4 off, v[2:5], off offset:368
	scratch_store_dwordx4 v26, v[2:5], off
                                        ; implicit-def: $vgpr4_vgpr5
	scratch_store_byte off, v1, off offset:500
	s_waitcnt vmcnt(4)
	scratch_store_dwordx4 off, v[8:11], off
	s_waitcnt vmcnt(4)
	v_cmp_ne_u16_e64 s[4:5], 0, v7
	s_and_saveexec_b64 s[6:7], s[4:5]
	s_xor_b64 s[4:5], exec, s[6:7]
	s_cbranch_execz .LBB2077_1076
; %bb.1075:
	scratch_load_dwordx4 v[2:5], off, off
.LBB2077_1076:
	s_andn2_saveexec_b64 s[4:5], s[4:5]
	s_cbranch_execz .LBB2077_1082
; %bb.1077:
	s_waitcnt vmcnt(0)
	v_mov_b32_e32 v2, 0
	s_mov_b32 s6, 0
	v_mov_b32_e32 v3, v2
.LBB2077_1078:                          ; =>This Inner Loop Header: Depth=1
	s_add_i32 s7, s6, 0x184
	s_add_i32 s6, s6, 8
	s_cmp_lg_u32 s6, 16
	scratch_store_dwordx2 off, v[2:3], s7
	s_cbranch_scc1 .LBB2077_1078
; %bb.1079:
	s_mov_b32 s6, 0
.LBB2077_1080:                          ; =>This Inner Loop Header: Depth=1
	s_add_i32 s7, s6, 0x170
	s_add_i32 s8, s6, 0
	scratch_load_dwordx2 v[2:3], off, s7
	scratch_load_dwordx2 v[4:5], off, s8
	s_add_i32 s7, s6, 0x184
	s_add_i32 s6, s6, 8
	s_cmp_lg_u32 s6, 16
	s_waitcnt vmcnt(0)
	v_add_u32_e32 v3, v5, v3
	v_add_u32_e32 v2, v4, v2
	scratch_store_dwordx2 off, v[2:3], s7
	s_cbranch_scc1 .LBB2077_1080
; %bb.1081:
	scratch_load_dwordx4 v[2:5], off, off offset:388
.LBB2077_1082:
	s_or_b64 exec, exec, s[4:5]
	scratch_load_dwordx4 v[8:11], v27, off
	scratch_load_ubyte v1, off, off offset:520
	v_and_b32_e32 v6, 1, v7
	v_cmp_eq_u32_e64 s[4:5], 1, v6
	s_or_b64 s[4:5], s[4:5], vcc
	s_waitcnt vmcnt(2)
	scratch_store_dwordx4 off, v[2:5], off offset:368
	scratch_store_dwordx4 v27, v[2:5], off
                                        ; implicit-def: $vgpr4_vgpr5
	s_waitcnt vmcnt(2)
	v_cmp_ne_u16_e32 vcc, 0, v1
	v_cndmask_b32_e64 v2, 0, 1, s[4:5]
	scratch_store_byte off, v2, off offset:520
	scratch_store_dwordx4 off, v[8:11], off
	s_and_saveexec_b64 s[6:7], vcc
	s_xor_b64 s[6:7], exec, s[6:7]
	s_cbranch_execz .LBB2077_1084
; %bb.1083:
	scratch_load_dwordx4 v[2:5], off, off
.LBB2077_1084:
	s_andn2_saveexec_b64 s[6:7], s[6:7]
	s_cbranch_execz .LBB2077_1090
; %bb.1085:
	s_waitcnt vmcnt(0)
	v_mov_b32_e32 v2, 0
	s_mov_b32 s8, 0
	v_mov_b32_e32 v3, v2
.LBB2077_1086:                          ; =>This Inner Loop Header: Depth=1
	s_add_i32 s9, s8, 0x184
	s_add_i32 s8, s8, 8
	s_cmp_lg_u32 s8, 16
	scratch_store_dwordx2 off, v[2:3], s9
	s_cbranch_scc1 .LBB2077_1086
; %bb.1087:
	s_mov_b32 s8, 0
.LBB2077_1088:                          ; =>This Inner Loop Header: Depth=1
	s_add_i32 s9, s8, 0x170
	s_add_i32 s10, s8, 0
	scratch_load_dwordx2 v[2:3], off, s9
	scratch_load_dwordx2 v[4:5], off, s10
	s_add_i32 s9, s8, 0x184
	s_add_i32 s8, s8, 8
	s_cmp_lg_u32 s8, 16
	s_waitcnt vmcnt(0)
	v_add_u32_e32 v3, v5, v3
	v_add_u32_e32 v2, v4, v2
	scratch_store_dwordx2 off, v[2:3], s9
	s_cbranch_scc1 .LBB2077_1088
; %bb.1089:
	scratch_load_dwordx4 v[2:5], off, off offset:388
.LBB2077_1090:
	s_or_b64 exec, exec, s[6:7]
	scratch_load_dwordx4 v[8:11], v28, off
	scratch_load_ubyte v6, off, off offset:540
	v_and_b32_e32 v1, 1, v1
	v_cmp_eq_u32_e32 vcc, 1, v1
	s_or_b64 s[4:5], vcc, s[4:5]
	v_cndmask_b32_e64 v1, 0, 1, s[4:5]
	s_waitcnt vmcnt(2)
	scratch_store_dwordx4 off, v[2:5], off offset:368
	scratch_store_dwordx4 v28, v[2:5], off
                                        ; implicit-def: $vgpr4_vgpr5
	scratch_store_byte off, v1, off offset:540
	s_waitcnt vmcnt(4)
	scratch_store_dwordx4 off, v[8:11], off
	s_waitcnt vmcnt(4)
	v_cmp_ne_u16_e32 vcc, 0, v6
	s_and_saveexec_b64 s[6:7], vcc
	s_xor_b64 s[6:7], exec, s[6:7]
	s_cbranch_execz .LBB2077_1092
; %bb.1091:
	scratch_load_dwordx4 v[2:5], off, off
.LBB2077_1092:
	s_andn2_saveexec_b64 s[6:7], s[6:7]
	s_cbranch_execz .LBB2077_1098
; %bb.1093:
	s_waitcnt vmcnt(0)
	v_mov_b32_e32 v2, 0
	s_mov_b32 s8, 0
	v_mov_b32_e32 v3, v2
.LBB2077_1094:                          ; =>This Inner Loop Header: Depth=1
	s_add_i32 s9, s8, 0x184
	s_add_i32 s8, s8, 8
	s_cmp_lg_u32 s8, 16
	scratch_store_dwordx2 off, v[2:3], s9
	s_cbranch_scc1 .LBB2077_1094
; %bb.1095:
	s_mov_b32 s8, 0
.LBB2077_1096:                          ; =>This Inner Loop Header: Depth=1
	s_add_i32 s9, s8, 0x170
	s_add_i32 s10, s8, 0
	scratch_load_dwordx2 v[2:3], off, s9
	scratch_load_dwordx2 v[4:5], off, s10
	s_add_i32 s9, s8, 0x184
	s_add_i32 s8, s8, 8
	s_cmp_lg_u32 s8, 16
	s_waitcnt vmcnt(0)
	v_add_u32_e32 v3, v5, v3
	v_add_u32_e32 v2, v4, v2
	scratch_store_dwordx2 off, v[2:3], s9
	s_cbranch_scc1 .LBB2077_1096
; %bb.1097:
	scratch_load_dwordx4 v[2:5], off, off offset:388
.LBB2077_1098:
	s_or_b64 exec, exec, s[6:7]
	scratch_load_dwordx4 v[8:11], v29, off
	scratch_load_ubyte v1, off, off offset:560
	v_and_b32_e32 v6, 1, v6
	v_cmp_eq_u32_e32 vcc, 1, v6
	s_or_b64 s[4:5], vcc, s[4:5]
	s_waitcnt vmcnt(2)
	scratch_store_dwordx4 off, v[2:5], off offset:368
	scratch_store_dwordx4 v29, v[2:5], off
                                        ; implicit-def: $vgpr4_vgpr5
	s_waitcnt vmcnt(2)
	v_cmp_ne_u16_e32 vcc, 0, v1
	v_cndmask_b32_e64 v2, 0, 1, s[4:5]
	scratch_store_byte off, v2, off offset:560
	scratch_store_dwordx4 off, v[8:11], off
	s_and_saveexec_b64 s[6:7], vcc
	s_xor_b64 s[6:7], exec, s[6:7]
	s_cbranch_execz .LBB2077_1100
; %bb.1099:
	scratch_load_dwordx4 v[2:5], off, off
.LBB2077_1100:
	s_andn2_saveexec_b64 s[6:7], s[6:7]
	s_cbranch_execz .LBB2077_1106
; %bb.1101:
	s_waitcnt vmcnt(0)
	v_mov_b32_e32 v2, 0
	s_mov_b32 s8, 0
	v_mov_b32_e32 v3, v2
.LBB2077_1102:                          ; =>This Inner Loop Header: Depth=1
	s_add_i32 s9, s8, 0x184
	s_add_i32 s8, s8, 8
	s_cmp_lg_u32 s8, 16
	scratch_store_dwordx2 off, v[2:3], s9
	s_cbranch_scc1 .LBB2077_1102
; %bb.1103:
	s_mov_b32 s8, 0
.LBB2077_1104:                          ; =>This Inner Loop Header: Depth=1
	s_add_i32 s9, s8, 0x170
	s_add_i32 s10, s8, 0
	scratch_load_dwordx2 v[2:3], off, s9
	scratch_load_dwordx2 v[4:5], off, s10
	s_add_i32 s9, s8, 0x184
	s_add_i32 s8, s8, 8
	s_cmp_lg_u32 s8, 16
	s_waitcnt vmcnt(0)
	v_add_u32_e32 v3, v5, v3
	v_add_u32_e32 v2, v4, v2
	scratch_store_dwordx2 off, v[2:3], s9
	s_cbranch_scc1 .LBB2077_1104
; %bb.1105:
	scratch_load_dwordx4 v[2:5], off, off offset:388
.LBB2077_1106:
	s_or_b64 exec, exec, s[6:7]
	scratch_load_dwordx4 v[8:11], v30, off
	scratch_load_ubyte v6, off, off offset:580
	v_and_b32_e32 v1, 1, v1
	v_cmp_eq_u32_e32 vcc, 1, v1
	s_or_b64 s[4:5], vcc, s[4:5]
	v_cndmask_b32_e64 v1, 0, 1, s[4:5]
	s_waitcnt vmcnt(2)
	scratch_store_dwordx4 off, v[2:5], off offset:368
	scratch_store_dwordx4 v30, v[2:5], off
                                        ; implicit-def: $vgpr4_vgpr5
	scratch_store_byte off, v1, off offset:580
	s_waitcnt vmcnt(4)
	scratch_store_dwordx4 off, v[8:11], off
	s_waitcnt vmcnt(4)
	v_cmp_ne_u16_e32 vcc, 0, v6
	s_and_saveexec_b64 s[6:7], vcc
	s_xor_b64 s[6:7], exec, s[6:7]
	s_cbranch_execz .LBB2077_1108
; %bb.1107:
	scratch_load_dwordx4 v[2:5], off, off
.LBB2077_1108:
	s_andn2_saveexec_b64 s[6:7], s[6:7]
	s_cbranch_execz .LBB2077_1114
; %bb.1109:
	s_waitcnt vmcnt(0)
	v_mov_b32_e32 v2, 0
	s_mov_b32 s8, 0
	v_mov_b32_e32 v3, v2
.LBB2077_1110:                          ; =>This Inner Loop Header: Depth=1
	s_add_i32 s9, s8, 0x184
	s_add_i32 s8, s8, 8
	s_cmp_lg_u32 s8, 16
	scratch_store_dwordx2 off, v[2:3], s9
	s_cbranch_scc1 .LBB2077_1110
; %bb.1111:
	s_mov_b32 s8, 0
.LBB2077_1112:                          ; =>This Inner Loop Header: Depth=1
	s_add_i32 s9, s8, 0x170
	s_add_i32 s10, s8, 0
	scratch_load_dwordx2 v[2:3], off, s9
	scratch_load_dwordx2 v[4:5], off, s10
	s_add_i32 s9, s8, 0x184
	s_add_i32 s8, s8, 8
	s_cmp_lg_u32 s8, 16
	s_waitcnt vmcnt(0)
	v_add_u32_e32 v3, v5, v3
	v_add_u32_e32 v2, v4, v2
	scratch_store_dwordx2 off, v[2:3], s9
	s_cbranch_scc1 .LBB2077_1112
; %bb.1113:
	scratch_load_dwordx4 v[2:5], off, off offset:388
.LBB2077_1114:
	s_or_b64 exec, exec, s[6:7]
	scratch_load_dwordx4 v[8:11], v31, off
	scratch_load_ubyte v1, off, off offset:600
	v_and_b32_e32 v6, 1, v6
	v_cmp_eq_u32_e32 vcc, 1, v6
	s_or_b64 s[4:5], vcc, s[4:5]
	s_waitcnt vmcnt(2)
	scratch_store_dwordx4 off, v[2:5], off offset:368
	scratch_store_dwordx4 v31, v[2:5], off
                                        ; implicit-def: $vgpr4_vgpr5
	s_waitcnt vmcnt(2)
	v_cmp_ne_u16_e32 vcc, 0, v1
	v_cndmask_b32_e64 v2, 0, 1, s[4:5]
	scratch_store_byte off, v2, off offset:600
	scratch_store_dwordx4 off, v[8:11], off
	s_and_saveexec_b64 s[6:7], vcc
	s_xor_b64 s[6:7], exec, s[6:7]
	s_cbranch_execz .LBB2077_1116
; %bb.1115:
	scratch_load_dwordx4 v[2:5], off, off
.LBB2077_1116:
	s_andn2_saveexec_b64 s[6:7], s[6:7]
	s_cbranch_execz .LBB2077_1122
; %bb.1117:
	s_waitcnt vmcnt(0)
	v_mov_b32_e32 v2, 0
	s_mov_b32 s8, 0
	v_mov_b32_e32 v3, v2
.LBB2077_1118:                          ; =>This Inner Loop Header: Depth=1
	s_add_i32 s9, s8, 0x184
	s_add_i32 s8, s8, 8
	s_cmp_lg_u32 s8, 16
	scratch_store_dwordx2 off, v[2:3], s9
	s_cbranch_scc1 .LBB2077_1118
; %bb.1119:
	s_mov_b32 s8, 0
.LBB2077_1120:                          ; =>This Inner Loop Header: Depth=1
	s_add_i32 s9, s8, 0x170
	s_add_i32 s10, s8, 0
	scratch_load_dwordx2 v[2:3], off, s9
	scratch_load_dwordx2 v[4:5], off, s10
	s_add_i32 s9, s8, 0x184
	s_add_i32 s8, s8, 8
	s_cmp_lg_u32 s8, 16
	s_waitcnt vmcnt(0)
	v_add_u32_e32 v3, v5, v3
	v_add_u32_e32 v2, v4, v2
	scratch_store_dwordx2 off, v[2:3], s9
	s_cbranch_scc1 .LBB2077_1120
; %bb.1121:
	scratch_load_dwordx4 v[2:5], off, off offset:388
.LBB2077_1122:
	s_or_b64 exec, exec, s[6:7]
	scratch_load_dwordx4 v[8:11], v32, off
	scratch_load_ubyte v6, off, off offset:620
	v_and_b32_e32 v1, 1, v1
	v_cmp_eq_u32_e32 vcc, 1, v1
	s_or_b64 s[4:5], vcc, s[4:5]
	v_cndmask_b32_e64 v1, 0, 1, s[4:5]
	s_waitcnt vmcnt(2)
	scratch_store_dwordx4 off, v[2:5], off offset:368
	scratch_store_dwordx4 v32, v[2:5], off
                                        ; implicit-def: $vgpr4_vgpr5
	scratch_store_byte off, v1, off offset:620
	s_waitcnt vmcnt(4)
	scratch_store_dwordx4 off, v[8:11], off
	s_waitcnt vmcnt(4)
	v_cmp_ne_u16_e32 vcc, 0, v6
	s_and_saveexec_b64 s[6:7], vcc
	s_xor_b64 s[6:7], exec, s[6:7]
	s_cbranch_execz .LBB2077_1124
; %bb.1123:
	scratch_load_dwordx4 v[2:5], off, off
.LBB2077_1124:
	s_andn2_saveexec_b64 s[6:7], s[6:7]
	s_cbranch_execz .LBB2077_1130
; %bb.1125:
	s_waitcnt vmcnt(0)
	v_mov_b32_e32 v2, 0
	s_mov_b32 s8, 0
	v_mov_b32_e32 v3, v2
.LBB2077_1126:                          ; =>This Inner Loop Header: Depth=1
	s_add_i32 s9, s8, 0x184
	s_add_i32 s8, s8, 8
	s_cmp_lg_u32 s8, 16
	scratch_store_dwordx2 off, v[2:3], s9
	s_cbranch_scc1 .LBB2077_1126
; %bb.1127:
	s_mov_b32 s8, 0
.LBB2077_1128:                          ; =>This Inner Loop Header: Depth=1
	s_add_i32 s9, s8, 0x170
	s_add_i32 s10, s8, 0
	scratch_load_dwordx2 v[2:3], off, s9
	scratch_load_dwordx2 v[4:5], off, s10
	s_add_i32 s9, s8, 0x184
	s_add_i32 s8, s8, 8
	s_cmp_lg_u32 s8, 16
	s_waitcnt vmcnt(0)
	v_add_u32_e32 v3, v5, v3
	v_add_u32_e32 v2, v4, v2
	scratch_store_dwordx2 off, v[2:3], s9
	s_cbranch_scc1 .LBB2077_1128
; %bb.1129:
	scratch_load_dwordx4 v[2:5], off, off offset:388
.LBB2077_1130:
	s_or_b64 exec, exec, s[6:7]
	scratch_load_dwordx4 v[8:11], v33, off
	scratch_load_ubyte v1, off, off offset:640
	v_and_b32_e32 v6, 1, v6
	v_cmp_eq_u32_e32 vcc, 1, v6
	s_or_b64 s[4:5], vcc, s[4:5]
	s_waitcnt vmcnt(2)
	scratch_store_dwordx4 off, v[2:5], off offset:368
	scratch_store_dwordx4 v33, v[2:5], off
                                        ; implicit-def: $vgpr4_vgpr5
	s_waitcnt vmcnt(2)
	v_cmp_ne_u16_e32 vcc, 0, v1
	v_cndmask_b32_e64 v2, 0, 1, s[4:5]
	scratch_store_byte off, v2, off offset:640
	scratch_store_dwordx4 off, v[8:11], off
	s_and_saveexec_b64 s[6:7], vcc
	s_xor_b64 s[6:7], exec, s[6:7]
	s_cbranch_execz .LBB2077_1132
; %bb.1131:
	scratch_load_dwordx4 v[2:5], off, off
.LBB2077_1132:
	s_andn2_saveexec_b64 s[6:7], s[6:7]
	s_cbranch_execz .LBB2077_1138
; %bb.1133:
	s_waitcnt vmcnt(0)
	v_mov_b32_e32 v2, 0
	s_mov_b32 s8, 0
	v_mov_b32_e32 v3, v2
.LBB2077_1134:                          ; =>This Inner Loop Header: Depth=1
	s_add_i32 s9, s8, 0x184
	s_add_i32 s8, s8, 8
	s_cmp_lg_u32 s8, 16
	scratch_store_dwordx2 off, v[2:3], s9
	s_cbranch_scc1 .LBB2077_1134
; %bb.1135:
	s_mov_b32 s8, 0
.LBB2077_1136:                          ; =>This Inner Loop Header: Depth=1
	s_add_i32 s9, s8, 0x170
	s_add_i32 s10, s8, 0
	scratch_load_dwordx2 v[2:3], off, s9
	scratch_load_dwordx2 v[4:5], off, s10
	s_add_i32 s9, s8, 0x184
	s_add_i32 s8, s8, 8
	s_cmp_lg_u32 s8, 16
	s_waitcnt vmcnt(0)
	v_add_u32_e32 v3, v5, v3
	v_add_u32_e32 v2, v4, v2
	scratch_store_dwordx2 off, v[2:3], s9
	s_cbranch_scc1 .LBB2077_1136
; %bb.1137:
	scratch_load_dwordx4 v[2:5], off, off offset:388
.LBB2077_1138:
	s_or_b64 exec, exec, s[6:7]
	scratch_load_dwordx4 v[8:11], v34, off
	scratch_load_ubyte v6, off, off offset:660
	v_and_b32_e32 v1, 1, v1
	v_cmp_eq_u32_e32 vcc, 1, v1
	s_or_b64 s[4:5], vcc, s[4:5]
	v_cndmask_b32_e64 v1, 0, 1, s[4:5]
	s_waitcnt vmcnt(2)
	scratch_store_dwordx4 off, v[2:5], off offset:368
	scratch_store_dwordx4 v34, v[2:5], off
                                        ; implicit-def: $vgpr4_vgpr5
	scratch_store_byte off, v1, off offset:660
	s_waitcnt vmcnt(4)
	scratch_store_dwordx4 off, v[8:11], off
	s_waitcnt vmcnt(4)
	v_cmp_ne_u16_e32 vcc, 0, v6
	s_and_saveexec_b64 s[6:7], vcc
	s_xor_b64 s[6:7], exec, s[6:7]
	s_cbranch_execz .LBB2077_1140
; %bb.1139:
	scratch_load_dwordx4 v[2:5], off, off
.LBB2077_1140:
	s_andn2_saveexec_b64 s[6:7], s[6:7]
	s_cbranch_execz .LBB2077_1146
; %bb.1141:
	s_waitcnt vmcnt(0)
	v_mov_b32_e32 v2, 0
	s_mov_b32 s8, 0
	v_mov_b32_e32 v3, v2
.LBB2077_1142:                          ; =>This Inner Loop Header: Depth=1
	s_add_i32 s9, s8, 0x184
	s_add_i32 s8, s8, 8
	s_cmp_lg_u32 s8, 16
	scratch_store_dwordx2 off, v[2:3], s9
	s_cbranch_scc1 .LBB2077_1142
; %bb.1143:
	s_mov_b32 s8, 0
.LBB2077_1144:                          ; =>This Inner Loop Header: Depth=1
	s_add_i32 s9, s8, 0x170
	s_add_i32 s10, s8, 0
	scratch_load_dwordx2 v[2:3], off, s9
	scratch_load_dwordx2 v[4:5], off, s10
	s_add_i32 s9, s8, 0x184
	s_add_i32 s8, s8, 8
	s_cmp_lg_u32 s8, 16
	s_waitcnt vmcnt(0)
	v_add_u32_e32 v3, v5, v3
	v_add_u32_e32 v2, v4, v2
	scratch_store_dwordx2 off, v[2:3], s9
	s_cbranch_scc1 .LBB2077_1144
; %bb.1145:
	scratch_load_dwordx4 v[2:5], off, off offset:388
.LBB2077_1146:
	s_or_b64 exec, exec, s[6:7]
	scratch_load_dwordx4 v[8:11], v35, off
	scratch_load_ubyte v1, off, off offset:680
	v_and_b32_e32 v6, 1, v6
	v_cmp_eq_u32_e32 vcc, 1, v6
	s_or_b64 s[4:5], vcc, s[4:5]
	s_waitcnt vmcnt(2)
	scratch_store_dwordx4 off, v[2:5], off offset:368
	scratch_store_dwordx4 v35, v[2:5], off
                                        ; implicit-def: $vgpr4_vgpr5
	s_waitcnt vmcnt(2)
	v_cmp_ne_u16_e32 vcc, 0, v1
	v_cndmask_b32_e64 v2, 0, 1, s[4:5]
	scratch_store_byte off, v2, off offset:680
	scratch_store_dwordx4 off, v[8:11], off
	s_and_saveexec_b64 s[6:7], vcc
	s_xor_b64 s[6:7], exec, s[6:7]
	s_cbranch_execz .LBB2077_1148
; %bb.1147:
	scratch_load_dwordx4 v[2:5], off, off
.LBB2077_1148:
	s_andn2_saveexec_b64 s[6:7], s[6:7]
	s_cbranch_execz .LBB2077_1154
; %bb.1149:
	s_waitcnt vmcnt(0)
	v_mov_b32_e32 v2, 0
	s_mov_b32 s8, 0
	v_mov_b32_e32 v3, v2
.LBB2077_1150:                          ; =>This Inner Loop Header: Depth=1
	s_add_i32 s9, s8, 0x184
	s_add_i32 s8, s8, 8
	s_cmp_lg_u32 s8, 16
	scratch_store_dwordx2 off, v[2:3], s9
	s_cbranch_scc1 .LBB2077_1150
; %bb.1151:
	s_mov_b32 s8, 0
.LBB2077_1152:                          ; =>This Inner Loop Header: Depth=1
	s_add_i32 s9, s8, 0x170
	s_add_i32 s10, s8, 0
	scratch_load_dwordx2 v[2:3], off, s9
	scratch_load_dwordx2 v[4:5], off, s10
	s_add_i32 s9, s8, 0x184
	s_add_i32 s8, s8, 8
	s_cmp_lg_u32 s8, 16
	s_waitcnt vmcnt(0)
	v_add_u32_e32 v3, v5, v3
	v_add_u32_e32 v2, v4, v2
	scratch_store_dwordx2 off, v[2:3], s9
	s_cbranch_scc1 .LBB2077_1152
; %bb.1153:
	scratch_load_dwordx4 v[2:5], off, off offset:388
.LBB2077_1154:
	s_or_b64 exec, exec, s[6:7]
	scratch_load_dwordx4 v[8:11], v36, off
	scratch_load_ubyte v6, off, off offset:700
	v_and_b32_e32 v1, 1, v1
	v_cmp_eq_u32_e32 vcc, 1, v1
	s_or_b64 s[4:5], vcc, s[4:5]
	v_cndmask_b32_e64 v1, 0, 1, s[4:5]
	s_waitcnt vmcnt(2)
	scratch_store_dwordx4 off, v[2:5], off offset:368
	scratch_store_dwordx4 v36, v[2:5], off
                                        ; implicit-def: $vgpr4_vgpr5
	scratch_store_byte off, v1, off offset:700
	s_waitcnt vmcnt(4)
	scratch_store_dwordx4 off, v[8:11], off
	s_waitcnt vmcnt(4)
	v_cmp_ne_u16_e32 vcc, 0, v6
	s_and_saveexec_b64 s[6:7], vcc
	s_xor_b64 s[6:7], exec, s[6:7]
	s_cbranch_execz .LBB2077_1156
; %bb.1155:
	scratch_load_dwordx4 v[2:5], off, off
.LBB2077_1156:
	s_andn2_saveexec_b64 s[6:7], s[6:7]
	s_cbranch_execz .LBB2077_1162
; %bb.1157:
	s_waitcnt vmcnt(0)
	v_mov_b32_e32 v2, 0
	s_mov_b32 s8, 0
	v_mov_b32_e32 v3, v2
.LBB2077_1158:                          ; =>This Inner Loop Header: Depth=1
	s_add_i32 s9, s8, 0x184
	s_add_i32 s8, s8, 8
	s_cmp_lg_u32 s8, 16
	scratch_store_dwordx2 off, v[2:3], s9
	s_cbranch_scc1 .LBB2077_1158
; %bb.1159:
	s_mov_b32 s8, 0
.LBB2077_1160:                          ; =>This Inner Loop Header: Depth=1
	s_add_i32 s9, s8, 0x170
	s_add_i32 s10, s8, 0
	scratch_load_dwordx2 v[2:3], off, s9
	scratch_load_dwordx2 v[4:5], off, s10
	s_add_i32 s9, s8, 0x184
	s_add_i32 s8, s8, 8
	s_cmp_lg_u32 s8, 16
	s_waitcnt vmcnt(0)
	v_add_u32_e32 v3, v5, v3
	v_add_u32_e32 v2, v4, v2
	scratch_store_dwordx2 off, v[2:3], s9
	s_cbranch_scc1 .LBB2077_1160
; %bb.1161:
	scratch_load_dwordx4 v[2:5], off, off offset:388
.LBB2077_1162:
	s_or_b64 exec, exec, s[6:7]
	scratch_load_dwordx4 v[8:11], v37, off
	scratch_load_ubyte v1, off, off offset:720
	v_and_b32_e32 v6, 1, v6
	v_cmp_eq_u32_e32 vcc, 1, v6
	s_or_b64 s[4:5], vcc, s[4:5]
	s_waitcnt vmcnt(2)
	scratch_store_dwordx4 off, v[2:5], off offset:368
	scratch_store_dwordx4 v37, v[2:5], off
                                        ; implicit-def: $vgpr4_vgpr5
	s_waitcnt vmcnt(2)
	v_cmp_ne_u16_e32 vcc, 0, v1
	v_cndmask_b32_e64 v2, 0, 1, s[4:5]
	scratch_store_byte off, v2, off offset:720
	scratch_store_dwordx4 off, v[8:11], off
	s_and_saveexec_b64 s[6:7], vcc
	s_xor_b64 s[6:7], exec, s[6:7]
	s_cbranch_execz .LBB2077_1164
; %bb.1163:
	scratch_load_dwordx4 v[2:5], off, off
.LBB2077_1164:
	s_andn2_saveexec_b64 s[6:7], s[6:7]
	s_cbranch_execz .LBB2077_1170
; %bb.1165:
	s_waitcnt vmcnt(0)
	v_mov_b32_e32 v2, 0
	s_mov_b32 s8, 0
	v_mov_b32_e32 v3, v2
.LBB2077_1166:                          ; =>This Inner Loop Header: Depth=1
	s_add_i32 s9, s8, 0x184
	s_add_i32 s8, s8, 8
	s_cmp_lg_u32 s8, 16
	scratch_store_dwordx2 off, v[2:3], s9
	s_cbranch_scc1 .LBB2077_1166
; %bb.1167:
	s_mov_b32 s8, 0
.LBB2077_1168:                          ; =>This Inner Loop Header: Depth=1
	s_add_i32 s9, s8, 0x170
	s_add_i32 s10, s8, 0
	scratch_load_dwordx2 v[2:3], off, s9
	scratch_load_dwordx2 v[4:5], off, s10
	s_add_i32 s9, s8, 0x184
	s_add_i32 s8, s8, 8
	s_cmp_lg_u32 s8, 16
	s_waitcnt vmcnt(0)
	v_add_u32_e32 v3, v5, v3
	v_add_u32_e32 v2, v4, v2
	scratch_store_dwordx2 off, v[2:3], s9
	s_cbranch_scc1 .LBB2077_1168
; %bb.1169:
	scratch_load_dwordx4 v[2:5], off, off offset:388
.LBB2077_1170:
	s_or_b64 exec, exec, s[6:7]
	scratch_load_dwordx4 v[8:11], v38, off
	scratch_load_ubyte v6, off, off offset:740
	v_and_b32_e32 v1, 1, v1
	v_cmp_eq_u32_e32 vcc, 1, v1
	s_or_b64 s[4:5], vcc, s[4:5]
	v_cndmask_b32_e64 v1, 0, 1, s[4:5]
	s_waitcnt vmcnt(2)
	scratch_store_dwordx4 off, v[2:5], off offset:368
	scratch_store_dwordx4 v38, v[2:5], off
                                        ; implicit-def: $vgpr4_vgpr5
	scratch_store_byte off, v1, off offset:740
	s_waitcnt vmcnt(4)
	scratch_store_dwordx4 off, v[8:11], off
	s_waitcnt vmcnt(4)
	v_cmp_ne_u16_e32 vcc, 0, v6
	s_and_saveexec_b64 s[6:7], vcc
	s_xor_b64 s[6:7], exec, s[6:7]
	s_cbranch_execz .LBB2077_1172
; %bb.1171:
	scratch_load_dwordx4 v[2:5], off, off
.LBB2077_1172:
	s_andn2_saveexec_b64 s[6:7], s[6:7]
	s_cbranch_execz .LBB2077_1178
; %bb.1173:
	s_waitcnt vmcnt(0)
	v_mov_b32_e32 v2, 0
	s_mov_b32 s8, 0
	v_mov_b32_e32 v3, v2
.LBB2077_1174:                          ; =>This Inner Loop Header: Depth=1
	s_add_i32 s9, s8, 0x184
	s_add_i32 s8, s8, 8
	s_cmp_lg_u32 s8, 16
	scratch_store_dwordx2 off, v[2:3], s9
	s_cbranch_scc1 .LBB2077_1174
; %bb.1175:
	s_mov_b32 s8, 0
.LBB2077_1176:                          ; =>This Inner Loop Header: Depth=1
	s_add_i32 s9, s8, 0x170
	s_add_i32 s10, s8, 0
	scratch_load_dwordx2 v[2:3], off, s9
	scratch_load_dwordx2 v[4:5], off, s10
	s_add_i32 s9, s8, 0x184
	s_add_i32 s8, s8, 8
	s_cmp_lg_u32 s8, 16
	s_waitcnt vmcnt(0)
	v_add_u32_e32 v3, v5, v3
	v_add_u32_e32 v2, v4, v2
	scratch_store_dwordx2 off, v[2:3], s9
	s_cbranch_scc1 .LBB2077_1176
; %bb.1177:
	scratch_load_dwordx4 v[2:5], off, off offset:388
.LBB2077_1178:
	s_or_b64 exec, exec, s[6:7]
	scratch_load_dwordx4 v[8:11], v39, off
	scratch_load_ubyte v1, off, off offset:760
	v_and_b32_e32 v6, 1, v6
	v_cmp_eq_u32_e32 vcc, 1, v6
	s_or_b64 s[4:5], vcc, s[4:5]
	s_waitcnt vmcnt(2)
	scratch_store_dwordx4 off, v[2:5], off offset:368
	scratch_store_dwordx4 v39, v[2:5], off
                                        ; implicit-def: $vgpr4_vgpr5
	s_waitcnt vmcnt(2)
	v_cmp_ne_u16_e32 vcc, 0, v1
	v_cndmask_b32_e64 v2, 0, 1, s[4:5]
	scratch_store_byte off, v2, off offset:760
	scratch_store_dwordx4 off, v[8:11], off
	s_and_saveexec_b64 s[6:7], vcc
	s_xor_b64 s[6:7], exec, s[6:7]
	s_cbranch_execz .LBB2077_1180
; %bb.1179:
	scratch_load_dwordx4 v[2:5], off, off
.LBB2077_1180:
	s_andn2_saveexec_b64 s[6:7], s[6:7]
	s_cbranch_execz .LBB2077_1186
; %bb.1181:
	s_waitcnt vmcnt(0)
	v_mov_b32_e32 v2, 0
	s_mov_b32 s8, 0
	v_mov_b32_e32 v3, v2
.LBB2077_1182:                          ; =>This Inner Loop Header: Depth=1
	s_add_i32 s9, s8, 0x184
	s_add_i32 s8, s8, 8
	s_cmp_lg_u32 s8, 16
	scratch_store_dwordx2 off, v[2:3], s9
	s_cbranch_scc1 .LBB2077_1182
; %bb.1183:
	s_mov_b32 s8, 0
.LBB2077_1184:                          ; =>This Inner Loop Header: Depth=1
	s_add_i32 s9, s8, 0x170
	s_add_i32 s10, s8, 0
	scratch_load_dwordx2 v[2:3], off, s9
	scratch_load_dwordx2 v[4:5], off, s10
	s_add_i32 s9, s8, 0x184
	s_add_i32 s8, s8, 8
	s_cmp_lg_u32 s8, 16
	s_waitcnt vmcnt(0)
	v_add_u32_e32 v3, v5, v3
	v_add_u32_e32 v2, v4, v2
	scratch_store_dwordx2 off, v[2:3], s9
	s_cbranch_scc1 .LBB2077_1184
; %bb.1185:
	scratch_load_dwordx4 v[2:5], off, off offset:388
.LBB2077_1186:
	s_or_b64 exec, exec, s[6:7]
	scratch_load_dwordx4 v[8:11], v40, off
	scratch_load_ubyte v6, off, off offset:780
	v_and_b32_e32 v1, 1, v1
	v_cmp_eq_u32_e32 vcc, 1, v1
	s_or_b64 s[4:5], vcc, s[4:5]
	v_cndmask_b32_e64 v1, 0, 1, s[4:5]
	s_waitcnt vmcnt(2)
	scratch_store_dwordx4 off, v[2:5], off offset:368
	scratch_store_dwordx4 v40, v[2:5], off
                                        ; implicit-def: $vgpr4_vgpr5
	scratch_store_byte off, v1, off offset:780
	s_waitcnt vmcnt(4)
	scratch_store_dwordx4 off, v[8:11], off
	s_waitcnt vmcnt(4)
	v_cmp_ne_u16_e32 vcc, 0, v6
	s_and_saveexec_b64 s[6:7], vcc
	s_xor_b64 s[6:7], exec, s[6:7]
	s_cbranch_execz .LBB2077_1188
; %bb.1187:
	scratch_load_dwordx4 v[2:5], off, off
.LBB2077_1188:
	s_andn2_saveexec_b64 s[6:7], s[6:7]
	s_cbranch_execz .LBB2077_1194
; %bb.1189:
	s_waitcnt vmcnt(0)
	v_mov_b32_e32 v2, 0
	s_mov_b32 s8, 0
	v_mov_b32_e32 v3, v2
.LBB2077_1190:                          ; =>This Inner Loop Header: Depth=1
	s_add_i32 s9, s8, 0x184
	s_add_i32 s8, s8, 8
	s_cmp_lg_u32 s8, 16
	scratch_store_dwordx2 off, v[2:3], s9
	s_cbranch_scc1 .LBB2077_1190
; %bb.1191:
	s_mov_b32 s8, 0
.LBB2077_1192:                          ; =>This Inner Loop Header: Depth=1
	s_add_i32 s9, s8, 0x170
	s_add_i32 s10, s8, 0
	scratch_load_dwordx2 v[2:3], off, s9
	scratch_load_dwordx2 v[4:5], off, s10
	s_add_i32 s9, s8, 0x184
	s_add_i32 s8, s8, 8
	s_cmp_lg_u32 s8, 16
	s_waitcnt vmcnt(0)
	v_add_u32_e32 v3, v5, v3
	v_add_u32_e32 v2, v4, v2
	scratch_store_dwordx2 off, v[2:3], s9
	s_cbranch_scc1 .LBB2077_1192
; %bb.1193:
	scratch_load_dwordx4 v[2:5], off, off offset:388
.LBB2077_1194:
	s_or_b64 exec, exec, s[6:7]
	scratch_load_dwordx4 v[8:11], v41, off
	scratch_load_ubyte v1, off, off offset:800
	v_and_b32_e32 v6, 1, v6
	v_cmp_eq_u32_e32 vcc, 1, v6
	s_or_b64 s[4:5], vcc, s[4:5]
	s_waitcnt vmcnt(2)
	scratch_store_dwordx4 off, v[2:5], off offset:368
	scratch_store_dwordx4 v41, v[2:5], off
                                        ; implicit-def: $vgpr4_vgpr5
	s_waitcnt vmcnt(2)
	v_cmp_ne_u16_e32 vcc, 0, v1
	v_cndmask_b32_e64 v2, 0, 1, s[4:5]
	scratch_store_byte off, v2, off offset:800
	scratch_store_dwordx4 off, v[8:11], off
	s_and_saveexec_b64 s[6:7], vcc
	s_xor_b64 s[6:7], exec, s[6:7]
	s_cbranch_execz .LBB2077_1196
; %bb.1195:
	scratch_load_dwordx4 v[2:5], off, off
.LBB2077_1196:
	s_andn2_saveexec_b64 s[6:7], s[6:7]
	s_cbranch_execz .LBB2077_1202
; %bb.1197:
	s_waitcnt vmcnt(0)
	v_mov_b32_e32 v2, 0
	s_mov_b32 s8, 0
	v_mov_b32_e32 v3, v2
.LBB2077_1198:                          ; =>This Inner Loop Header: Depth=1
	s_add_i32 s9, s8, 0x184
	s_add_i32 s8, s8, 8
	s_cmp_lg_u32 s8, 16
	scratch_store_dwordx2 off, v[2:3], s9
	s_cbranch_scc1 .LBB2077_1198
; %bb.1199:
	s_mov_b32 s8, 0
.LBB2077_1200:                          ; =>This Inner Loop Header: Depth=1
	s_add_i32 s9, s8, 0x170
	s_add_i32 s10, s8, 0
	scratch_load_dwordx2 v[2:3], off, s9
	scratch_load_dwordx2 v[4:5], off, s10
	s_add_i32 s9, s8, 0x184
	s_add_i32 s8, s8, 8
	s_cmp_lg_u32 s8, 16
	s_waitcnt vmcnt(0)
	v_add_u32_e32 v3, v5, v3
	v_add_u32_e32 v2, v4, v2
	scratch_store_dwordx2 off, v[2:3], s9
	s_cbranch_scc1 .LBB2077_1200
; %bb.1201:
	scratch_load_dwordx4 v[2:5], off, off offset:388
.LBB2077_1202:
	s_or_b64 exec, exec, s[6:7]
	scratch_load_dwordx4 v[8:11], v42, off
	scratch_load_ubyte v6, off, off offset:820
	v_and_b32_e32 v1, 1, v1
	v_cmp_eq_u32_e32 vcc, 1, v1
	s_or_b64 s[4:5], vcc, s[4:5]
	v_cndmask_b32_e64 v1, 0, 1, s[4:5]
	s_waitcnt vmcnt(2)
	scratch_store_dwordx4 off, v[2:5], off offset:368
	scratch_store_dwordx4 v42, v[2:5], off
                                        ; implicit-def: $vgpr4_vgpr5
	scratch_store_byte off, v1, off offset:820
	s_waitcnt vmcnt(4)
	scratch_store_dwordx4 off, v[8:11], off
	s_waitcnt vmcnt(4)
	v_cmp_ne_u16_e32 vcc, 0, v6
	s_and_saveexec_b64 s[6:7], vcc
	s_xor_b64 s[6:7], exec, s[6:7]
	s_cbranch_execz .LBB2077_1204
; %bb.1203:
	scratch_load_dwordx4 v[2:5], off, off
.LBB2077_1204:
	s_andn2_saveexec_b64 s[6:7], s[6:7]
	s_cbranch_execz .LBB2077_1210
; %bb.1205:
	s_waitcnt vmcnt(0)
	v_mov_b32_e32 v2, 0
	s_mov_b32 s8, 0
	v_mov_b32_e32 v3, v2
.LBB2077_1206:                          ; =>This Inner Loop Header: Depth=1
	s_add_i32 s9, s8, 0x184
	s_add_i32 s8, s8, 8
	s_cmp_lg_u32 s8, 16
	scratch_store_dwordx2 off, v[2:3], s9
	s_cbranch_scc1 .LBB2077_1206
; %bb.1207:
	s_mov_b32 s8, 0
.LBB2077_1208:                          ; =>This Inner Loop Header: Depth=1
	s_add_i32 s9, s8, 0x170
	s_add_i32 s10, s8, 0
	scratch_load_dwordx2 v[2:3], off, s9
	scratch_load_dwordx2 v[4:5], off, s10
	s_add_i32 s9, s8, 0x184
	s_add_i32 s8, s8, 8
	s_cmp_lg_u32 s8, 16
	s_waitcnt vmcnt(0)
	v_add_u32_e32 v3, v5, v3
	v_add_u32_e32 v2, v4, v2
	scratch_store_dwordx2 off, v[2:3], s9
	s_cbranch_scc1 .LBB2077_1208
; %bb.1209:
	scratch_load_dwordx4 v[2:5], off, off offset:388
.LBB2077_1210:
	s_or_b64 exec, exec, s[6:7]
	scratch_load_dwordx4 v[8:11], v43, off
	scratch_load_ubyte v1, off, off offset:840
	v_and_b32_e32 v6, 1, v6
	v_cmp_eq_u32_e32 vcc, 1, v6
	s_or_b64 s[4:5], vcc, s[4:5]
	s_waitcnt vmcnt(2)
	scratch_store_dwordx4 off, v[2:5], off offset:368
	scratch_store_dwordx4 v43, v[2:5], off
                                        ; implicit-def: $vgpr4_vgpr5
	s_waitcnt vmcnt(2)
	v_cmp_ne_u16_e32 vcc, 0, v1
	v_cndmask_b32_e64 v2, 0, 1, s[4:5]
	scratch_store_byte off, v2, off offset:840
	scratch_store_dwordx4 off, v[8:11], off
	s_and_saveexec_b64 s[6:7], vcc
	s_xor_b64 s[6:7], exec, s[6:7]
	s_cbranch_execz .LBB2077_1212
; %bb.1211:
	scratch_load_dwordx4 v[2:5], off, off
.LBB2077_1212:
	s_andn2_saveexec_b64 s[6:7], s[6:7]
	s_cbranch_execz .LBB2077_1218
; %bb.1213:
	s_waitcnt vmcnt(0)
	v_mov_b32_e32 v2, 0
	s_mov_b32 s8, 0
	v_mov_b32_e32 v3, v2
.LBB2077_1214:                          ; =>This Inner Loop Header: Depth=1
	s_add_i32 s9, s8, 0x184
	s_add_i32 s8, s8, 8
	s_cmp_lg_u32 s8, 16
	scratch_store_dwordx2 off, v[2:3], s9
	s_cbranch_scc1 .LBB2077_1214
; %bb.1215:
	s_mov_b32 s8, 0
.LBB2077_1216:                          ; =>This Inner Loop Header: Depth=1
	s_add_i32 s9, s8, 0x170
	s_add_i32 s10, s8, 0
	scratch_load_dwordx2 v[2:3], off, s9
	scratch_load_dwordx2 v[4:5], off, s10
	s_add_i32 s9, s8, 0x184
	s_add_i32 s8, s8, 8
	s_cmp_lg_u32 s8, 16
	s_waitcnt vmcnt(0)
	v_add_u32_e32 v3, v5, v3
	v_add_u32_e32 v2, v4, v2
	scratch_store_dwordx2 off, v[2:3], s9
	s_cbranch_scc1 .LBB2077_1216
; %bb.1217:
	scratch_load_dwordx4 v[2:5], off, off offset:388
.LBB2077_1218:
	s_or_b64 exec, exec, s[6:7]
	scratch_load_dwordx4 v[8:11], v44, off
	scratch_load_ubyte v6, off, off offset:860
	v_and_b32_e32 v1, 1, v1
	v_cmp_eq_u32_e32 vcc, 1, v1
	s_or_b64 s[4:5], vcc, s[4:5]
	v_cndmask_b32_e64 v1, 0, 1, s[4:5]
	s_waitcnt vmcnt(2)
	scratch_store_dwordx4 off, v[2:5], off offset:368
	scratch_store_dwordx4 v44, v[2:5], off
                                        ; implicit-def: $vgpr4_vgpr5
	scratch_store_byte off, v1, off offset:860
	s_waitcnt vmcnt(4)
	scratch_store_dwordx4 off, v[8:11], off
	s_waitcnt vmcnt(4)
	v_cmp_ne_u16_e32 vcc, 0, v6
	s_and_saveexec_b64 s[6:7], vcc
	s_xor_b64 s[6:7], exec, s[6:7]
	s_cbranch_execz .LBB2077_1220
; %bb.1219:
	scratch_load_dwordx4 v[2:5], off, off
.LBB2077_1220:
	s_andn2_saveexec_b64 s[6:7], s[6:7]
	s_cbranch_execz .LBB2077_1226
; %bb.1221:
	s_waitcnt vmcnt(0)
	v_mov_b32_e32 v2, 0
	s_mov_b32 s8, 0
	v_mov_b32_e32 v3, v2
.LBB2077_1222:                          ; =>This Inner Loop Header: Depth=1
	s_add_i32 s9, s8, 0x184
	s_add_i32 s8, s8, 8
	s_cmp_lg_u32 s8, 16
	scratch_store_dwordx2 off, v[2:3], s9
	s_cbranch_scc1 .LBB2077_1222
; %bb.1223:
	s_mov_b32 s8, 0
.LBB2077_1224:                          ; =>This Inner Loop Header: Depth=1
	s_add_i32 s9, s8, 0x170
	s_add_i32 s10, s8, 0
	scratch_load_dwordx2 v[2:3], off, s9
	scratch_load_dwordx2 v[4:5], off, s10
	s_add_i32 s9, s8, 0x184
	s_add_i32 s8, s8, 8
	s_cmp_lg_u32 s8, 16
	s_waitcnt vmcnt(0)
	v_add_u32_e32 v3, v5, v3
	v_add_u32_e32 v2, v4, v2
	scratch_store_dwordx2 off, v[2:3], s9
	s_cbranch_scc1 .LBB2077_1224
; %bb.1225:
	scratch_load_dwordx4 v[2:5], off, off offset:388
.LBB2077_1226:
	s_or_b64 exec, exec, s[6:7]
	scratch_load_dwordx4 v[8:11], v45, off
	scratch_load_ubyte v1, off, off offset:880
	v_and_b32_e32 v6, 1, v6
	v_cmp_eq_u32_e32 vcc, 1, v6
	s_or_b64 s[4:5], vcc, s[4:5]
	s_waitcnt vmcnt(2)
	scratch_store_dwordx4 off, v[2:5], off offset:368
	scratch_store_dwordx4 v45, v[2:5], off
                                        ; implicit-def: $vgpr4_vgpr5
	s_waitcnt vmcnt(2)
	v_cmp_ne_u16_e32 vcc, 0, v1
	v_cndmask_b32_e64 v2, 0, 1, s[4:5]
	scratch_store_byte off, v2, off offset:880
	scratch_store_dwordx4 off, v[8:11], off
	s_and_saveexec_b64 s[6:7], vcc
	s_xor_b64 s[6:7], exec, s[6:7]
	s_cbranch_execz .LBB2077_1228
; %bb.1227:
	scratch_load_dwordx4 v[2:5], off, off
.LBB2077_1228:
	s_andn2_saveexec_b64 s[6:7], s[6:7]
	s_cbranch_execz .LBB2077_1234
; %bb.1229:
	s_waitcnt vmcnt(0)
	v_mov_b32_e32 v2, 0
	s_mov_b32 s8, 0
	v_mov_b32_e32 v3, v2
.LBB2077_1230:                          ; =>This Inner Loop Header: Depth=1
	s_add_i32 s9, s8, 0x184
	s_add_i32 s8, s8, 8
	s_cmp_lg_u32 s8, 16
	scratch_store_dwordx2 off, v[2:3], s9
	s_cbranch_scc1 .LBB2077_1230
; %bb.1231:
	s_mov_b32 s8, 0
.LBB2077_1232:                          ; =>This Inner Loop Header: Depth=1
	s_add_i32 s9, s8, 0x170
	s_add_i32 s10, s8, 0
	scratch_load_dwordx2 v[2:3], off, s9
	scratch_load_dwordx2 v[4:5], off, s10
	s_add_i32 s9, s8, 0x184
	s_add_i32 s8, s8, 8
	s_cmp_lg_u32 s8, 16
	s_waitcnt vmcnt(0)
	v_add_u32_e32 v3, v5, v3
	v_add_u32_e32 v2, v4, v2
	scratch_store_dwordx2 off, v[2:3], s9
	s_cbranch_scc1 .LBB2077_1232
; %bb.1233:
	scratch_load_dwordx4 v[2:5], off, off offset:388
.LBB2077_1234:
	s_or_b64 exec, exec, s[6:7]
	scratch_load_dwordx4 v[8:11], v46, off
	scratch_load_ubyte v6, off, off offset:900
	v_and_b32_e32 v1, 1, v1
	v_cmp_eq_u32_e32 vcc, 1, v1
	s_or_b64 s[4:5], vcc, s[4:5]
	v_cndmask_b32_e64 v1, 0, 1, s[4:5]
	s_waitcnt vmcnt(2)
	scratch_store_dwordx4 off, v[2:5], off offset:368
	scratch_store_dwordx4 v46, v[2:5], off
                                        ; implicit-def: $vgpr4_vgpr5
	scratch_store_byte off, v1, off offset:900
	s_waitcnt vmcnt(4)
	scratch_store_dwordx4 off, v[8:11], off
	s_waitcnt vmcnt(4)
	v_cmp_ne_u16_e32 vcc, 0, v6
	s_and_saveexec_b64 s[6:7], vcc
	s_xor_b64 s[6:7], exec, s[6:7]
	s_cbranch_execz .LBB2077_1236
; %bb.1235:
	scratch_load_dwordx4 v[2:5], off, off
.LBB2077_1236:
	s_andn2_saveexec_b64 s[6:7], s[6:7]
	s_cbranch_execz .LBB2077_1242
; %bb.1237:
	s_waitcnt vmcnt(0)
	v_mov_b32_e32 v2, 0
	s_mov_b32 s8, 0
	v_mov_b32_e32 v3, v2
.LBB2077_1238:                          ; =>This Inner Loop Header: Depth=1
	s_add_i32 s9, s8, 0x184
	s_add_i32 s8, s8, 8
	s_cmp_lg_u32 s8, 16
	scratch_store_dwordx2 off, v[2:3], s9
	s_cbranch_scc1 .LBB2077_1238
; %bb.1239:
	s_mov_b32 s8, 0
.LBB2077_1240:                          ; =>This Inner Loop Header: Depth=1
	s_add_i32 s9, s8, 0x170
	s_add_i32 s10, s8, 0
	scratch_load_dwordx2 v[2:3], off, s9
	scratch_load_dwordx2 v[4:5], off, s10
	s_add_i32 s9, s8, 0x184
	s_add_i32 s8, s8, 8
	s_cmp_lg_u32 s8, 16
	s_waitcnt vmcnt(0)
	v_add_u32_e32 v3, v5, v3
	v_add_u32_e32 v2, v4, v2
	scratch_store_dwordx2 off, v[2:3], s9
	s_cbranch_scc1 .LBB2077_1240
; %bb.1241:
	scratch_load_dwordx4 v[2:5], off, off offset:388
.LBB2077_1242:
	s_or_b64 exec, exec, s[6:7]
	v_and_b32_e32 v1, 1, v6
	v_cmp_eq_u32_e32 vcc, 1, v1
	v_mov_b32_e32 v1, 0xa28
	v_mov_b32_e32 v10, 0
	ds_read2_b64 v[6:9], v1 offset1:1
	ds_read_u8 v1, v10 offset:2616
	s_or_b64 s[4:5], vcc, s[4:5]
	v_cndmask_b32_e64 v10, 0, 1, s[4:5]
	s_waitcnt vmcnt(0)
	scratch_store_dwordx4 v47, v[2:5], off
	scratch_store_byte off, v10, off offset:920
	s_waitcnt lgkmcnt(1)
	scratch_store_dwordx4 off, v[6:9], off offset:924
	s_waitcnt lgkmcnt(0)
	v_cmp_ne_u16_e32 vcc, 0, v1
	s_cbranch_vccz .LBB2077_1266
; %bb.1243:
	scratch_load_dwordx4 v[2:5], off, off offset:924
	s_cbranch_execz .LBB2077_1267
	s_branch .LBB2077_1272
.LBB2077_1244:
	v_lshlrev_b32_e32 v24, 4, v0
	v_lshl_add_u64 v[24:25], s[64:65], 0, v[24:25]
	flat_load_dwordx4 v[92:95], v[24:25]
	s_waitcnt vmcnt(0) lgkmcnt(0)
	scratch_store_dwordx4 off, v[92:95], off
	s_or_b64 exec, exec, s[50:51]
	s_and_saveexec_b64 s[50:51], s[48:49]
	s_cbranch_execz .LBB2077_143
.LBB2077_1245:
	v_lshlrev_b32_e32 v24, 4, v0
	v_mov_b32_e32 v25, 0
	v_lshl_add_u64 v[24:25], s[64:65], 0, v[24:25]
	flat_load_dwordx4 v[92:95], v[24:25] offset:2048
	s_waitcnt vmcnt(0) lgkmcnt(0)
	scratch_store_dwordx4 off, v[92:95], off offset:16
	s_or_b64 exec, exec, s[50:51]
	s_and_saveexec_b64 s[48:49], s[4:5]
	s_cbranch_execz .LBB2077_144
.LBB2077_1246:
	v_lshlrev_b32_e32 v24, 4, v71
	v_mov_b32_e32 v25, 0
	v_lshl_add_u64 v[24:25], s[64:65], 0, v[24:25]
	flat_load_dwordx4 v[92:95], v[24:25]
	s_waitcnt vmcnt(0) lgkmcnt(0)
	scratch_store_dwordx4 off, v[92:95], off offset:32
	s_or_b64 exec, exec, s[48:49]
	s_and_saveexec_b64 s[4:5], s[6:7]
	s_cbranch_execz .LBB2077_145
.LBB2077_1247:
	v_lshlrev_b32_e32 v24, 4, v72
	v_mov_b32_e32 v25, 0
	v_lshl_add_u64 v[24:25], s[64:65], 0, v[24:25]
	flat_load_dwordx4 v[92:95], v[24:25]
	s_waitcnt vmcnt(0) lgkmcnt(0)
	scratch_store_dwordx4 off, v[92:95], off offset:48
	s_or_b64 exec, exec, s[4:5]
	s_and_saveexec_b64 s[4:5], s[8:9]
	s_cbranch_execz .LBB2077_146
.LBB2077_1248:
	v_lshlrev_b32_e32 v24, 4, v73
	v_mov_b32_e32 v25, 0
	v_lshl_add_u64 v[24:25], s[64:65], 0, v[24:25]
	flat_load_dwordx4 v[92:95], v[24:25]
	s_waitcnt vmcnt(0) lgkmcnt(0)
	scratch_store_dwordx4 off, v[92:95], off offset:64
	s_or_b64 exec, exec, s[4:5]
	s_and_saveexec_b64 s[4:5], s[10:11]
	s_cbranch_execz .LBB2077_147
.LBB2077_1249:
	v_lshlrev_b32_e32 v24, 4, v74
	v_mov_b32_e32 v25, 0
	v_lshl_add_u64 v[24:25], s[64:65], 0, v[24:25]
	flat_load_dwordx4 v[92:95], v[24:25]
	s_waitcnt vmcnt(0) lgkmcnt(0)
	scratch_store_dwordx4 off, v[92:95], off offset:80
	s_or_b64 exec, exec, s[4:5]
	s_and_saveexec_b64 s[4:5], s[12:13]
	s_cbranch_execz .LBB2077_148
.LBB2077_1250:
	v_lshlrev_b32_e32 v24, 4, v75
	v_mov_b32_e32 v25, 0
	v_lshl_add_u64 v[24:25], s[64:65], 0, v[24:25]
	flat_load_dwordx4 v[72:75], v[24:25]
	s_waitcnt vmcnt(0) lgkmcnt(0)
	scratch_store_dwordx4 off, v[72:75], off offset:96
	s_or_b64 exec, exec, s[4:5]
	s_and_saveexec_b64 s[4:5], s[14:15]
	s_cbranch_execz .LBB2077_149
.LBB2077_1251:
	v_lshlrev_b32_e32 v24, 4, v76
	v_mov_b32_e32 v25, 0
	v_lshl_add_u64 v[24:25], s[64:65], 0, v[24:25]
	flat_load_dwordx4 v[72:75], v[24:25]
	s_waitcnt vmcnt(0) lgkmcnt(0)
	scratch_store_dwordx4 off, v[72:75], off offset:112
	s_or_b64 exec, exec, s[4:5]
	s_and_saveexec_b64 s[4:5], s[16:17]
	s_cbranch_execz .LBB2077_150
.LBB2077_1252:
	v_lshlrev_b32_e32 v24, 4, v77
	v_mov_b32_e32 v25, 0
	v_lshl_add_u64 v[24:25], s[64:65], 0, v[24:25]
	flat_load_dwordx4 v[72:75], v[24:25]
	s_waitcnt vmcnt(0) lgkmcnt(0)
	scratch_store_dwordx4 off, v[72:75], off offset:128
	s_or_b64 exec, exec, s[4:5]
	s_and_saveexec_b64 s[4:5], s[18:19]
	s_cbranch_execz .LBB2077_151
.LBB2077_1253:
	v_lshlrev_b32_e32 v24, 4, v78
	v_mov_b32_e32 v25, 0
	v_lshl_add_u64 v[24:25], s[64:65], 0, v[24:25]
	flat_load_dwordx4 v[72:75], v[24:25]
	s_waitcnt vmcnt(0) lgkmcnt(0)
	scratch_store_dwordx4 off, v[72:75], off offset:144
	s_or_b64 exec, exec, s[4:5]
	s_and_saveexec_b64 s[4:5], s[20:21]
	s_cbranch_execz .LBB2077_152
.LBB2077_1254:
	v_lshlrev_b32_e32 v24, 4, v79
	v_mov_b32_e32 v25, 0
	v_lshl_add_u64 v[24:25], s[64:65], 0, v[24:25]
	flat_load_dwordx4 v[72:75], v[24:25]
	s_waitcnt vmcnt(0) lgkmcnt(0)
	scratch_store_dwordx4 off, v[72:75], off offset:160
	s_or_b64 exec, exec, s[4:5]
	s_and_saveexec_b64 s[4:5], s[22:23]
	s_cbranch_execz .LBB2077_153
.LBB2077_1255:
	v_lshlrev_b32_e32 v24, 4, v80
	v_mov_b32_e32 v25, 0
	v_lshl_add_u64 v[24:25], s[64:65], 0, v[24:25]
	flat_load_dwordx4 v[72:75], v[24:25]
	s_waitcnt vmcnt(0) lgkmcnt(0)
	scratch_store_dwordx4 off, v[72:75], off offset:176
	s_or_b64 exec, exec, s[4:5]
	s_and_saveexec_b64 s[4:5], s[24:25]
	s_cbranch_execz .LBB2077_154
.LBB2077_1256:
	v_lshlrev_b32_e32 v24, 4, v81
	v_mov_b32_e32 v25, 0
	v_lshl_add_u64 v[24:25], s[64:65], 0, v[24:25]
	flat_load_dwordx4 v[72:75], v[24:25]
	s_waitcnt vmcnt(0) lgkmcnt(0)
	scratch_store_dwordx4 off, v[72:75], off offset:192
	s_or_b64 exec, exec, s[4:5]
	s_and_saveexec_b64 s[4:5], s[26:27]
	s_cbranch_execz .LBB2077_155
.LBB2077_1257:
	v_lshlrev_b32_e32 v24, 4, v82
	v_mov_b32_e32 v25, 0
	v_lshl_add_u64 v[24:25], s[64:65], 0, v[24:25]
	flat_load_dwordx4 v[72:75], v[24:25]
	s_waitcnt vmcnt(0) lgkmcnt(0)
	scratch_store_dwordx4 off, v[72:75], off offset:208
	s_or_b64 exec, exec, s[4:5]
	s_and_saveexec_b64 s[4:5], s[28:29]
	s_cbranch_execz .LBB2077_156
.LBB2077_1258:
	v_lshlrev_b32_e32 v24, 4, v83
	v_mov_b32_e32 v25, 0
	v_lshl_add_u64 v[24:25], s[64:65], 0, v[24:25]
	flat_load_dwordx4 v[72:75], v[24:25]
	s_waitcnt vmcnt(0) lgkmcnt(0)
	scratch_store_dwordx4 off, v[72:75], off offset:224
	s_or_b64 exec, exec, s[4:5]
	s_and_saveexec_b64 s[4:5], s[30:31]
	s_cbranch_execz .LBB2077_157
.LBB2077_1259:
	v_lshlrev_b32_e32 v24, 4, v84
	v_mov_b32_e32 v25, 0
	v_lshl_add_u64 v[24:25], s[64:65], 0, v[24:25]
	flat_load_dwordx4 v[72:75], v[24:25]
	s_waitcnt vmcnt(0) lgkmcnt(0)
	scratch_store_dwordx4 off, v[72:75], off offset:240
	s_or_b64 exec, exec, s[4:5]
	s_and_saveexec_b64 s[4:5], s[34:35]
	s_cbranch_execz .LBB2077_158
.LBB2077_1260:
	v_lshlrev_b32_e32 v24, 4, v85
	v_mov_b32_e32 v25, 0
	v_lshl_add_u64 v[24:25], s[64:65], 0, v[24:25]
	flat_load_dwordx4 v[72:75], v[24:25]
	s_waitcnt vmcnt(0) lgkmcnt(0)
	scratch_store_dwordx4 off, v[72:75], off offset:256
	s_or_b64 exec, exec, s[4:5]
	s_and_saveexec_b64 s[4:5], s[36:37]
	s_cbranch_execz .LBB2077_159
.LBB2077_1261:
	v_lshlrev_b32_e32 v24, 4, v86
	v_mov_b32_e32 v25, 0
	v_lshl_add_u64 v[24:25], s[64:65], 0, v[24:25]
	flat_load_dwordx4 v[72:75], v[24:25]
	s_waitcnt vmcnt(0) lgkmcnt(0)
	scratch_store_dwordx4 off, v[72:75], off offset:272
	s_or_b64 exec, exec, s[4:5]
	s_and_saveexec_b64 s[4:5], s[38:39]
	s_cbranch_execz .LBB2077_160
.LBB2077_1262:
	v_lshlrev_b32_e32 v24, 4, v87
	v_mov_b32_e32 v25, 0
	v_lshl_add_u64 v[24:25], s[64:65], 0, v[24:25]
	flat_load_dwordx4 v[72:75], v[24:25]
	s_waitcnt vmcnt(0) lgkmcnt(0)
	scratch_store_dwordx4 off, v[72:75], off offset:288
	s_or_b64 exec, exec, s[4:5]
	s_and_saveexec_b64 s[4:5], s[40:41]
	s_cbranch_execz .LBB2077_161
.LBB2077_1263:
	v_lshlrev_b32_e32 v24, 4, v88
	v_mov_b32_e32 v25, 0
	v_lshl_add_u64 v[24:25], s[64:65], 0, v[24:25]
	flat_load_dwordx4 v[72:75], v[24:25]
	s_waitcnt vmcnt(0) lgkmcnt(0)
	scratch_store_dwordx4 off, v[72:75], off offset:304
	s_or_b64 exec, exec, s[4:5]
	s_and_saveexec_b64 s[4:5], s[42:43]
	s_cbranch_execz .LBB2077_162
.LBB2077_1264:
	v_lshlrev_b32_e32 v24, 4, v89
	v_mov_b32_e32 v25, 0
	v_lshl_add_u64 v[24:25], s[64:65], 0, v[24:25]
	flat_load_dwordx4 v[72:75], v[24:25]
	s_waitcnt vmcnt(0) lgkmcnt(0)
	scratch_store_dwordx4 off, v[72:75], off offset:320
	s_or_b64 exec, exec, s[4:5]
	s_and_saveexec_b64 s[4:5], s[44:45]
	s_cbranch_execz .LBB2077_163
.LBB2077_1265:
	v_lshlrev_b32_e32 v24, 4, v90
	v_mov_b32_e32 v25, 0
	v_lshl_add_u64 v[24:25], s[64:65], 0, v[24:25]
	flat_load_dwordx4 v[72:75], v[24:25]
	s_waitcnt vmcnt(0) lgkmcnt(0)
	scratch_store_dwordx4 off, v[72:75], off offset:336
	s_or_b64 exec, exec, s[4:5]
	v_mul_u32_u24_e32 v24, 23, v0
	s_and_saveexec_b64 s[4:5], s[46:47]
	s_cbranch_execnz .LBB2077_164
	s_branch .LBB2077_165
.LBB2077_1266:
                                        ; implicit-def: $vgpr4_vgpr5
.LBB2077_1267:
	s_waitcnt vmcnt(0)
	v_mov_b32_e32 v2, 0
	s_mov_b32 s4, 0
	v_mov_b32_e32 v3, v2
.LBB2077_1268:                          ; =>This Inner Loop Header: Depth=1
	s_add_i32 s5, s4, 0
	s_add_i32 s4, s4, 8
	s_cmp_lg_u32 s4, 16
	scratch_store_dwordx2 off, v[2:3], s5
	s_cbranch_scc1 .LBB2077_1268
; %bb.1269:
	s_mov_b32 s4, 0
.LBB2077_1270:                          ; =>This Inner Loop Header: Depth=1
	s_add_i32 s5, s4, 0x1ac
	s_add_i32 s6, s4, 0x39c
	scratch_load_dwordx2 v[2:3], off, s5
	scratch_load_dwordx2 v[4:5], off, s6
	s_add_i32 s5, s4, 0
	s_add_i32 s4, s4, 8
	s_cmp_lg_u32 s4, 16
	s_waitcnt vmcnt(0)
	v_add_u32_e32 v3, v5, v3
	v_add_u32_e32 v2, v4, v2
	scratch_store_dwordx2 off, v[2:3], s5
	s_cbranch_scc1 .LBB2077_1270
; %bb.1271:
	scratch_load_dwordx4 v[2:5], off, off
.LBB2077_1272:
	scratch_load_ubyte v6, off, off offset:444
	s_waitcnt vmcnt(0)
	v_or_b32_e32 v1, v1, v6
	v_and_b32_e32 v1, 1, v1
	v_cmp_eq_u32_e32 vcc, 1, v1
	scratch_store_dwordx4 off, v[2:5], off offset:924
	scratch_store_byte off, v1, off offset:940
	s_and_saveexec_b64 s[4:5], s[2:3]
	s_cbranch_execz .LBB2077_1274
; %bb.1273:
	scratch_load_ushort v1, off, off offset:941
	scratch_load_sbyte v6, off, off offset:943
	v_mov_b32_e32 v7, 0
	v_cndmask_b32_e64 v8, 0, 1, vcc
	global_store_dword v7, v2, s[54:55] offset:1280 sc1
	global_store_dword v7, v3, s[54:55] offset:1284 sc1
	;; [unrolled: 1-line block ×4, first 2 shown]
	v_mov_b32_e32 v9, 2
	s_waitcnt vmcnt(5)
	v_and_b32_e32 v2, 0xff, v1
	v_lshlrev_b32_e32 v1, 8, v1
	s_waitcnt vmcnt(4)
	v_lshlrev_b32_e32 v3, 24, v6
	v_lshl_or_b32 v2, v2, 8, v8
	v_and_b32_e32 v1, 0xff0000, v1
	v_or3_b32 v1, v2, v1, v3
	global_store_dword v7, v1, s[54:55] offset:1296 sc1
	s_waitcnt vmcnt(0)
	global_store_byte v7, v9, s[56:57] offset:64 sc1
.LBB2077_1274:
	s_or_b64 exec, exec, s[4:5]
.LBB2077_1275:
	v_mov_b32_e32 v2, 0
	s_mov_b32 s2, 0
	v_mov_b32_e32 v3, v2
.LBB2077_1276:                          ; =>This Inner Loop Header: Depth=1
	s_add_i32 s3, s2, 0
	s_add_i32 s2, s2, 8
	s_cmp_lg_u32 s2, 16
	scratch_store_dwordx2 off, v[2:3], s3
	s_cbranch_scc1 .LBB2077_1276
; %bb.1277:
	v_mov_b32_e32 v2, 0
	s_mov_b32 s2, 16
	v_mov_b32_e32 v3, v2
.LBB2077_1278:                          ; =>This Inner Loop Header: Depth=1
	s_add_i32 s3, s2, 0
	s_add_i32 s2, s2, 8
	s_cmp_lg_u32 s2, 32
	scratch_store_dwordx2 off, v[2:3], s3
	s_cbranch_scc1 .LBB2077_1278
; %bb.1279:
	;; [unrolled: 10-line block ×4, first 2 shown]
	v_mov_b32_e32 v2, 0
	s_mov_b32 s2, 64
	v_mov_b32_e32 v3, v2
.LBB2077_1284:                          ; =>This Inner Loop Header: Depth=1
	s_add_i32 s3, s2, 0
	s_add_i32 s2, s2, 8
	s_cmpk_lg_i32 s2, 0x50
	scratch_store_dwordx2 off, v[2:3], s3
	s_cbranch_scc1 .LBB2077_1284
; %bb.1285:
	v_mov_b32_e32 v2, 0
	s_movk_i32 s2, 0x50
	v_mov_b32_e32 v3, v2
.LBB2077_1286:                          ; =>This Inner Loop Header: Depth=1
	s_add_i32 s3, s2, 0
	s_add_i32 s2, s2, 8
	s_cmpk_lg_i32 s2, 0x60
	scratch_store_dwordx2 off, v[2:3], s3
	s_cbranch_scc1 .LBB2077_1286
; %bb.1287:
	v_mov_b32_e32 v2, 0
	s_movk_i32 s2, 0x60
	;; [unrolled: 10-line block ×18, first 2 shown]
	v_mov_b32_e32 v3, v2
.LBB2077_1320:                          ; =>This Inner Loop Header: Depth=1
	s_add_i32 s3, s2, 0
	s_add_i32 s2, s2, 8
	s_cmpk_lg_i32 s2, 0x170
	scratch_store_dwordx2 off, v[2:3], s3
	s_cbranch_scc1 .LBB2077_1320
; %bb.1321:
	s_add_u32 s2, s66, s60
	s_addc_u32 s3, s67, s61
	v_mov_b32_e32 v1, 0
	s_add_u32 s2, s2, s62
	v_add_u32_e32 v6, 0x160, v1
	v_add_u32_e32 v7, 0x150, v1
	;; [unrolled: 1-line block ×22, first 2 shown]
	s_addc_u32 s3, s3, s63
	s_and_b64 vcc, exec, s[0:1]
	s_cbranch_vccz .LBB2077_1391
; %bb.1322:
	s_add_i32 s33, s33, s58
	v_mul_u32_u24_e32 v1, 23, v0
	v_cmp_gt_u32_e32 vcc, s33, v1
	s_and_saveexec_b64 s[0:1], vcc
	s_cbranch_execz .LBB2077_1346
; %bb.1323:
	scratch_load_dwordx4 v[2:5], off, off offset:464
	v_add_u32_e32 v50, 1, v1
	v_cmp_gt_u32_e32 vcc, s33, v50
	s_waitcnt vmcnt(0)
	scratch_store_dwordx4 off, v[2:5], off
	s_and_b64 exec, exec, vcc
	s_cbranch_execz .LBB2077_1346
; %bb.1324:
	scratch_load_dwordx4 v[2:5], v26, off
	v_add_u32_e32 v50, 2, v1
	v_cmp_gt_u32_e32 vcc, s33, v50
	s_waitcnt vmcnt(0)
	scratch_store_dwordx4 v49, v[2:5], off
	s_and_b64 exec, exec, vcc
	s_cbranch_execz .LBB2077_1346
; %bb.1325:
	scratch_load_dwordx4 v[2:5], v27, off
	v_add_u32_e32 v50, 3, v1
	v_cmp_gt_u32_e32 vcc, s33, v50
	s_waitcnt vmcnt(0)
	scratch_store_dwordx4 v48, v[2:5], off
	;; [unrolled: 8-line block ×21, first 2 shown]
	s_and_b64 exec, exec, vcc
	s_cbranch_execz .LBB2077_1346
; %bb.1345:
	scratch_load_dwordx4 v[2:5], v47, off
	s_waitcnt vmcnt(0)
	scratch_store_dwordx4 v6, v[2:5], off
.LBB2077_1346:
	s_or_b64 exec, exec, s[0:1]
	s_waitcnt vmcnt(63) expcnt(7) lgkmcnt(15)
	s_barrier
	scratch_load_dwordx4 v[50:53], off, off
	scratch_load_dwordx4 v[54:57], v49, off
	scratch_load_dwordx4 v[58:61], v48, off
	;; [unrolled: 1-line block ×22, first 2 shown]
	v_lshlrev_b32_e32 v2, 4, v1
	s_movk_i32 s0, 0xfea0
	v_mad_i32_i24 v1, v0, s0, v2
	v_mov_b32_e32 v3, 0
	v_cmp_gt_u32_e32 vcc, s33, v0
	s_waitcnt vmcnt(22)
	ds_write_b128 v2, v[50:53]
	s_waitcnt vmcnt(21)
	ds_write_b128 v2, v[54:57] offset:16
	s_waitcnt vmcnt(20)
	ds_write_b128 v2, v[58:61] offset:32
	;; [unrolled: 2-line block ×22, first 2 shown]
	s_waitcnt lgkmcnt(0)
	s_barrier
	ds_read_b128 v[50:53], v1 offset:2048
	ds_read_b128 v[54:57], v1 offset:4096
	ds_read_b128 v[58:61], v1 offset:6144
	ds_read_b128 v[62:65], v1 offset:8192
	ds_read_b128 v[66:69], v1 offset:10240
	ds_read_b128 v[70:73], v1 offset:12288
	ds_read_b128 v[74:77], v1 offset:14336
	ds_read_b128 v[78:81], v1 offset:16384
	ds_read_b128 v[82:85], v1 offset:18432
	ds_read_b128 v[86:89], v1 offset:20480
	ds_read_b128 v[90:93], v1 offset:22528
	ds_read_b128 v[94:97], v1 offset:24576
	ds_read_b128 v[98:101], v1 offset:26624
	ds_read_b128 v[102:105], v1 offset:28672
	ds_read_b128 v[106:109], v1 offset:30720
	ds_read_b128 v[110:113], v1 offset:45056
	s_waitcnt lgkmcnt(14)
	scratch_store_dwordx4 v49, v[50:53], off
	scratch_store_dwordx4 v48, v[54:57], off
	s_waitcnt lgkmcnt(13)
	scratch_store_dwordx4 v25, v[58:61], off
	s_waitcnt lgkmcnt(12)
	;; [unrolled: 2-line block ×10, first 2 shown]
	scratch_store_dwordx4 v16, v[94:97], off
	ds_read_b128 v[50:53], v1 offset:32768
	s_waitcnt lgkmcnt(4)
	scratch_store_dwordx4 v15, v[98:101], off
	s_waitcnt lgkmcnt(3)
	scratch_store_dwordx4 v14, v[102:105], off
	;; [unrolled: 2-line block ×3, first 2 shown]
	ds_read_b128 v[54:57], v1 offset:34816
	v_lshlrev_b32_e32 v2, 4, v0
	s_waitcnt lgkmcnt(1)
	scratch_store_dwordx4 v12, v[50:53], off
	ds_read_b128 v[50:53], v1 offset:36864
	ds_read_b128 v[58:61], v1 offset:38912
	;; [unrolled: 1-line block ×4, first 2 shown]
	v_lshl_add_u64 v[4:5], s[2:3], 0, v[2:3]
	s_waitcnt lgkmcnt(4)
	scratch_store_dwordx4 v11, v[54:57], off
	s_waitcnt lgkmcnt(3)
	scratch_store_dwordx4 v10, v[50:53], off
	;; [unrolled: 2-line block ×5, first 2 shown]
	scratch_store_dwordx4 v6, v[110:113], off
	s_and_saveexec_b64 s[0:1], vcc
	s_cbranch_execz .LBB2077_1348
; %bb.1347:
	ds_read2_b32 v[52:53], v1 offset0:2 offset1:3
	ds_read2_b32 v[50:51], v1 offset1:1
	s_waitcnt lgkmcnt(0)
	flat_store_dwordx4 v[4:5], v[50:53]
.LBB2077_1348:
	s_or_b64 exec, exec, s[0:1]
	v_or_b32_e32 v1, 0x80, v0
	v_cmp_gt_u32_e32 vcc, s33, v1
	s_and_saveexec_b64 s[0:1], vcc
	s_cbranch_execz .LBB2077_1350
; %bb.1349:
	scratch_load_dwordx4 v[50:53], v49, off
	s_waitcnt vmcnt(0)
	flat_store_dwordx4 v[4:5], v[50:53] offset:2048
.LBB2077_1350:
	s_or_b64 exec, exec, s[0:1]
	v_or_b32_e32 v1, 0x100, v0
	v_cmp_gt_u32_e32 vcc, s33, v1
	s_and_saveexec_b64 s[0:1], vcc
	s_cbranch_execz .LBB2077_1352
; %bb.1351:
	scratch_load_dwordx4 v[50:53], v48, off
	v_add_co_u32_e32 v54, vcc, 0x1000, v4
	s_nop 1
	v_addc_co_u32_e32 v55, vcc, 0, v5, vcc
	s_waitcnt vmcnt(0)
	flat_store_dwordx4 v[54:55], v[50:53]
.LBB2077_1352:
	s_or_b64 exec, exec, s[0:1]
	v_or_b32_e32 v1, 0x180, v0
	v_cmp_gt_u32_e32 vcc, s33, v1
	s_and_saveexec_b64 s[0:1], vcc
	s_cbranch_execz .LBB2077_1354
; %bb.1353:
	scratch_load_dwordx4 v[50:53], v25, off
	v_add_co_u32_e32 v54, vcc, 0x1000, v4
	s_nop 1
	v_addc_co_u32_e32 v55, vcc, 0, v5, vcc
	s_waitcnt vmcnt(0)
	flat_store_dwordx4 v[54:55], v[50:53] offset:2048
.LBB2077_1354:
	s_or_b64 exec, exec, s[0:1]
	v_or_b32_e32 v1, 0x200, v0
	v_cmp_gt_u32_e32 vcc, s33, v1
	s_and_saveexec_b64 s[0:1], vcc
	s_cbranch_execz .LBB2077_1356
; %bb.1355:
	scratch_load_dwordx4 v[50:53], v24, off
	v_add_co_u32_e32 v54, vcc, 0x2000, v4
	s_nop 1
	v_addc_co_u32_e32 v55, vcc, 0, v5, vcc
	s_waitcnt vmcnt(0)
	flat_store_dwordx4 v[54:55], v[50:53]
.LBB2077_1356:
	s_or_b64 exec, exec, s[0:1]
	v_or_b32_e32 v1, 0x280, v0
	v_cmp_gt_u32_e32 vcc, s33, v1
	s_and_saveexec_b64 s[0:1], vcc
	s_cbranch_execz .LBB2077_1358
; %bb.1357:
	scratch_load_dwordx4 v[50:53], v23, off
	v_add_co_u32_e32 v54, vcc, 0x2000, v4
	s_nop 1
	v_addc_co_u32_e32 v55, vcc, 0, v5, vcc
	s_waitcnt vmcnt(0)
	flat_store_dwordx4 v[54:55], v[50:53] offset:2048
.LBB2077_1358:
	;; [unrolled: 26-line block ×10, first 2 shown]
	s_or_b64 exec, exec, s[0:1]
	v_or_b32_e32 v2, 0xb00, v0
	v_mov_b32_e32 v1, v3
	v_cmp_gt_u32_e64 s[0:1], s33, v2
	s_branch .LBB2077_1393
.LBB2077_1391:
	s_mov_b64 s[0:1], 0
	s_cbranch_execz .LBB2077_1393
; %bb.1392:
	scratch_load_dwordx4 v[2:5], off, off offset:464
	scratch_load_dwordx4 v[50:53], v26, off
	scratch_load_dwordx4 v[54:57], v27, off
	;; [unrolled: 1-line block ×15, first 2 shown]
                                        ; kill: killed $vgpr32
                                        ; kill: killed $vgpr39
                                        ; kill: killed $vgpr27
                                        ; kill: killed $vgpr34
                                        ; kill: killed $vgpr29
                                        ; kill: killed $vgpr36
                                        ; kill: killed $vgpr31
                                        ; kill: killed $vgpr38
                                        ; kill: killed $vgpr26
                                        ; kill: killed $vgpr33
                                        ; kill: killed $vgpr40
                                        ; kill: killed $vgpr28
                                        ; kill: killed $vgpr35
                                        ; kill: killed $vgpr30
                                        ; kill: killed $vgpr37
	scratch_load_dwordx4 v[26:29], v41, off
	scratch_load_dwordx4 v[30:33], v42, off
	;; [unrolled: 1-line block ×7, first 2 shown]
	s_movk_i32 s4, 0x170
	v_mul_i32_i24_e32 v47, 0xfffffea0, v0
	v_mov_b32_e32 v1, 0
	v_lshlrev_b32_e32 v46, 4, v0
	s_or_b64 s[0:1], s[0:1], exec
	s_waitcnt vmcnt(0)
	scratch_store_dwordx4 off, v[2:5], off
	scratch_store_dwordx4 v49, v[50:53], off
	scratch_store_dwordx4 v48, v[54:57], off
	;; [unrolled: 1-line block ×22, first 2 shown]
	s_waitcnt lgkmcnt(0)
	s_barrier
	scratch_load_dwordx4 v[2:5], off, off
	scratch_load_dwordx4 v[26:29], v49, off
	scratch_load_dwordx4 v[30:33], v48, off
	;; [unrolled: 1-line block ×22, first 2 shown]
	v_mul_u32_u24_e32 v118, 0x170, v0
	v_mad_u32_u24 v119, v0, s4, v47
	v_mov_b32_e32 v47, v1
	v_lshl_add_u64 v[46:47], s[2:3], 0, v[46:47]
	s_movk_i32 s4, 0x1000
	s_waitcnt vmcnt(22)
	ds_write_b128 v118, v[2:5]
	s_waitcnt vmcnt(21)
	ds_write_b128 v118, v[26:29] offset:16
	s_waitcnt vmcnt(20)
	ds_write_b128 v118, v[30:33] offset:32
	;; [unrolled: 2-line block ×22, first 2 shown]
	s_waitcnt lgkmcnt(0)
	s_barrier
	ds_read_b128 v[2:5], v119 offset:2048
	ds_read_b128 v[26:29], v119 offset:4096
	;; [unrolled: 1-line block ×21, first 2 shown]
	ds_read2_b32 v[112:113], v119 offset0:2 offset1:3
	ds_read_b128 v[114:117], v119 offset:45056
	ds_read2_b32 v[110:111], v119 offset1:1
	s_waitcnt lgkmcnt(14)
	scratch_store_dwordx4 v49, v[2:5], off
	scratch_store_dwordx4 v48, v[26:29], off
	;; [unrolled: 1-line block ×10, first 2 shown]
	s_waitcnt lgkmcnt(13)
	scratch_store_dwordx4 v17, v[66:69], off
	s_waitcnt lgkmcnt(12)
	scratch_store_dwordx4 v16, v[70:73], off
	;; [unrolled: 2-line block ×12, first 2 shown]
	s_waitcnt lgkmcnt(0)
	flat_store_dwordx4 v[46:47], v[110:113]
	scratch_load_dwordx4 v[2:5], v49, off
	v_add_co_u32_e32 v26, vcc, s4, v46
	s_movk_i32 s4, 0x2000
	s_nop 0
	v_addc_co_u32_e32 v27, vcc, 0, v47, vcc
	s_waitcnt vmcnt(0)
	flat_store_dwordx4 v[46:47], v[2:5] offset:2048
	scratch_load_dwordx4 v[2:5], v48, off
	s_waitcnt vmcnt(0)
	flat_store_dwordx4 v[26:27], v[2:5]
	scratch_load_dwordx4 v[2:5], v25, off
	s_waitcnt vmcnt(0)
	flat_store_dwordx4 v[26:27], v[2:5] offset:2048
	scratch_load_dwordx4 v[2:5], v24, off
	v_add_co_u32_e32 v24, vcc, s4, v46
	s_movk_i32 s4, 0x3000
	s_nop 0
	v_addc_co_u32_e32 v25, vcc, 0, v47, vcc
	s_waitcnt vmcnt(0)
	flat_store_dwordx4 v[24:25], v[2:5]
	scratch_load_dwordx4 v[2:5], v23, off
	s_waitcnt vmcnt(0)
	flat_store_dwordx4 v[24:25], v[2:5] offset:2048
	scratch_load_dwordx4 v[2:5], v22, off
	v_add_co_u32_e32 v22, vcc, s4, v46
	s_movk_i32 s4, 0x4000
	s_nop 0
	v_addc_co_u32_e32 v23, vcc, 0, v47, vcc
	s_waitcnt vmcnt(0)
	flat_store_dwordx4 v[22:23], v[2:5]
	scratch_load_dwordx4 v[2:5], v21, off
	s_waitcnt vmcnt(0)
	flat_store_dwordx4 v[22:23], v[2:5] offset:2048
	scratch_load_dwordx4 v[2:5], v20, off
	v_add_co_u32_e32 v20, vcc, s4, v46
	s_movk_i32 s4, 0x5000
	s_nop 0
	v_addc_co_u32_e32 v21, vcc, 0, v47, vcc
	s_waitcnt vmcnt(0)
	flat_store_dwordx4 v[20:21], v[2:5]
	scratch_load_dwordx4 v[2:5], v19, off
	s_waitcnt vmcnt(0)
	flat_store_dwordx4 v[20:21], v[2:5] offset:2048
	scratch_load_dwordx4 v[2:5], v18, off
	v_add_co_u32_e32 v18, vcc, s4, v46
	s_movk_i32 s4, 0x6000
	s_nop 0
	v_addc_co_u32_e32 v19, vcc, 0, v47, vcc
	s_waitcnt vmcnt(0)
	flat_store_dwordx4 v[18:19], v[2:5]
	scratch_load_dwordx4 v[2:5], v17, off
	s_waitcnt vmcnt(0)
	flat_store_dwordx4 v[18:19], v[2:5] offset:2048
	scratch_load_dwordx4 v[2:5], v16, off
	v_add_co_u32_e32 v16, vcc, s4, v46
	s_movk_i32 s4, 0x7000
	s_nop 0
	v_addc_co_u32_e32 v17, vcc, 0, v47, vcc
	s_waitcnt vmcnt(0)
	flat_store_dwordx4 v[16:17], v[2:5]
	scratch_load_dwordx4 v[2:5], v15, off
	s_waitcnt vmcnt(0)
	flat_store_dwordx4 v[16:17], v[2:5] offset:2048
	scratch_load_dwordx4 v[2:5], v14, off
	v_add_co_u32_e32 v14, vcc, s4, v46
	s_mov_b32 s4, 0x8000
	s_nop 0
	v_addc_co_u32_e32 v15, vcc, 0, v47, vcc
	s_waitcnt vmcnt(0)
	flat_store_dwordx4 v[14:15], v[2:5]
	scratch_load_dwordx4 v[2:5], v13, off
	s_waitcnt vmcnt(0)
	flat_store_dwordx4 v[14:15], v[2:5] offset:2048
	scratch_load_dwordx4 v[2:5], v12, off
	v_add_co_u32_e32 v12, vcc, s4, v46
	s_mov_b32 s4, 0x9000
	s_nop 0
	v_addc_co_u32_e32 v13, vcc, 0, v47, vcc
	s_waitcnt vmcnt(0)
	flat_store_dwordx4 v[12:13], v[2:5]
	scratch_load_dwordx4 v[2:5], v11, off
	s_waitcnt vmcnt(0)
	flat_store_dwordx4 v[12:13], v[2:5] offset:2048
	scratch_load_dwordx4 v[2:5], v10, off
	v_add_co_u32_e32 v10, vcc, s4, v46
	s_nop 1
	v_addc_co_u32_e32 v11, vcc, 0, v47, vcc
	s_waitcnt vmcnt(0)
	flat_store_dwordx4 v[10:11], v[2:5]
	scratch_load_dwordx4 v[2:5], v9, off
	s_waitcnt vmcnt(0)
	flat_store_dwordx4 v[10:11], v[2:5] offset:2048
	scratch_load_dwordx4 v[2:5], v8, off
	v_add_co_u32_e32 v8, vcc, 0xa000, v46
	s_nop 1
	v_addc_co_u32_e32 v9, vcc, 0, v47, vcc
	s_waitcnt vmcnt(0)
	flat_store_dwordx4 v[8:9], v[2:5]
	scratch_load_dwordx4 v[2:5], v7, off
	s_waitcnt vmcnt(0)
	flat_store_dwordx4 v[8:9], v[2:5] offset:2048
.LBB2077_1393:
	s_and_saveexec_b64 s[4:5], s[0:1]
	s_cbranch_execnz .LBB2077_1395
; %bb.1394:
	s_endpgm
.LBB2077_1395:
	scratch_load_dwordx4 v[2:5], v6, off
	v_lshl_add_u64 v[0:1], v[0:1], 4, s[2:3]
	v_add_co_u32_e32 v0, vcc, 0xb000, v0
	s_nop 1
	v_addc_co_u32_e32 v1, vcc, 0, v1, vcc
	s_waitcnt vmcnt(0)
	flat_store_dwordx4 v[0:1], v[2:5]
	s_endpgm
	.section	.rodata,"a",@progbits
	.p2align	6, 0x0
	.amdhsa_kernel _ZN7rocprim17ROCPRIM_400000_NS6detail17trampoline_kernelINS0_14default_configENS1_27scan_by_key_config_selectorIj11FixedVectorIiLj4EEEEZZNS1_16scan_by_key_implILNS1_25lookback_scan_determinismE0ELb1ES3_N6thrust23THRUST_200600_302600_NS6detail15normal_iteratorINSB_10device_ptrIjEEEENSD_INSE_IS6_EEEESI_S6_NSB_4plusIvEENSB_8equal_toIvEES6_EE10hipError_tPvRmT2_T3_T4_T5_mT6_T7_P12ihipStream_tbENKUlT_T0_E_clISt17integral_constantIbLb0EES13_EEDaSY_SZ_EUlSY_E_NS1_11comp_targetILNS1_3genE5ELNS1_11target_archE942ELNS1_3gpuE9ELNS1_3repE0EEENS1_30default_config_static_selectorELNS0_4arch9wavefront6targetE1EEEvT1_
		.amdhsa_group_segment_fixed_size 47104
		.amdhsa_private_segment_fixed_size 960
		.amdhsa_kernarg_size 144
		.amdhsa_user_sgpr_count 2
		.amdhsa_user_sgpr_dispatch_ptr 0
		.amdhsa_user_sgpr_queue_ptr 0
		.amdhsa_user_sgpr_kernarg_segment_ptr 1
		.amdhsa_user_sgpr_dispatch_id 0
		.amdhsa_user_sgpr_kernarg_preload_length 0
		.amdhsa_user_sgpr_kernarg_preload_offset 0
		.amdhsa_user_sgpr_private_segment_size 0
		.amdhsa_uses_dynamic_stack 0
		.amdhsa_enable_private_segment 1
		.amdhsa_system_sgpr_workgroup_id_x 1
		.amdhsa_system_sgpr_workgroup_id_y 0
		.amdhsa_system_sgpr_workgroup_id_z 0
		.amdhsa_system_sgpr_workgroup_info 0
		.amdhsa_system_vgpr_workitem_id 0
		.amdhsa_next_free_vgpr 203
		.amdhsa_next_free_sgpr 82
		.amdhsa_accum_offset 204
		.amdhsa_reserve_vcc 1
		.amdhsa_float_round_mode_32 0
		.amdhsa_float_round_mode_16_64 0
		.amdhsa_float_denorm_mode_32 3
		.amdhsa_float_denorm_mode_16_64 3
		.amdhsa_dx10_clamp 1
		.amdhsa_ieee_mode 1
		.amdhsa_fp16_overflow 0
		.amdhsa_tg_split 0
		.amdhsa_exception_fp_ieee_invalid_op 0
		.amdhsa_exception_fp_denorm_src 0
		.amdhsa_exception_fp_ieee_div_zero 0
		.amdhsa_exception_fp_ieee_overflow 0
		.amdhsa_exception_fp_ieee_underflow 0
		.amdhsa_exception_fp_ieee_inexact 0
		.amdhsa_exception_int_div_zero 0
	.end_amdhsa_kernel
	.section	.text._ZN7rocprim17ROCPRIM_400000_NS6detail17trampoline_kernelINS0_14default_configENS1_27scan_by_key_config_selectorIj11FixedVectorIiLj4EEEEZZNS1_16scan_by_key_implILNS1_25lookback_scan_determinismE0ELb1ES3_N6thrust23THRUST_200600_302600_NS6detail15normal_iteratorINSB_10device_ptrIjEEEENSD_INSE_IS6_EEEESI_S6_NSB_4plusIvEENSB_8equal_toIvEES6_EE10hipError_tPvRmT2_T3_T4_T5_mT6_T7_P12ihipStream_tbENKUlT_T0_E_clISt17integral_constantIbLb0EES13_EEDaSY_SZ_EUlSY_E_NS1_11comp_targetILNS1_3genE5ELNS1_11target_archE942ELNS1_3gpuE9ELNS1_3repE0EEENS1_30default_config_static_selectorELNS0_4arch9wavefront6targetE1EEEvT1_,"axG",@progbits,_ZN7rocprim17ROCPRIM_400000_NS6detail17trampoline_kernelINS0_14default_configENS1_27scan_by_key_config_selectorIj11FixedVectorIiLj4EEEEZZNS1_16scan_by_key_implILNS1_25lookback_scan_determinismE0ELb1ES3_N6thrust23THRUST_200600_302600_NS6detail15normal_iteratorINSB_10device_ptrIjEEEENSD_INSE_IS6_EEEESI_S6_NSB_4plusIvEENSB_8equal_toIvEES6_EE10hipError_tPvRmT2_T3_T4_T5_mT6_T7_P12ihipStream_tbENKUlT_T0_E_clISt17integral_constantIbLb0EES13_EEDaSY_SZ_EUlSY_E_NS1_11comp_targetILNS1_3genE5ELNS1_11target_archE942ELNS1_3gpuE9ELNS1_3repE0EEENS1_30default_config_static_selectorELNS0_4arch9wavefront6targetE1EEEvT1_,comdat
.Lfunc_end2077:
	.size	_ZN7rocprim17ROCPRIM_400000_NS6detail17trampoline_kernelINS0_14default_configENS1_27scan_by_key_config_selectorIj11FixedVectorIiLj4EEEEZZNS1_16scan_by_key_implILNS1_25lookback_scan_determinismE0ELb1ES3_N6thrust23THRUST_200600_302600_NS6detail15normal_iteratorINSB_10device_ptrIjEEEENSD_INSE_IS6_EEEESI_S6_NSB_4plusIvEENSB_8equal_toIvEES6_EE10hipError_tPvRmT2_T3_T4_T5_mT6_T7_P12ihipStream_tbENKUlT_T0_E_clISt17integral_constantIbLb0EES13_EEDaSY_SZ_EUlSY_E_NS1_11comp_targetILNS1_3genE5ELNS1_11target_archE942ELNS1_3gpuE9ELNS1_3repE0EEENS1_30default_config_static_selectorELNS0_4arch9wavefront6targetE1EEEvT1_, .Lfunc_end2077-_ZN7rocprim17ROCPRIM_400000_NS6detail17trampoline_kernelINS0_14default_configENS1_27scan_by_key_config_selectorIj11FixedVectorIiLj4EEEEZZNS1_16scan_by_key_implILNS1_25lookback_scan_determinismE0ELb1ES3_N6thrust23THRUST_200600_302600_NS6detail15normal_iteratorINSB_10device_ptrIjEEEENSD_INSE_IS6_EEEESI_S6_NSB_4plusIvEENSB_8equal_toIvEES6_EE10hipError_tPvRmT2_T3_T4_T5_mT6_T7_P12ihipStream_tbENKUlT_T0_E_clISt17integral_constantIbLb0EES13_EEDaSY_SZ_EUlSY_E_NS1_11comp_targetILNS1_3genE5ELNS1_11target_archE942ELNS1_3gpuE9ELNS1_3repE0EEENS1_30default_config_static_selectorELNS0_4arch9wavefront6targetE1EEEvT1_
                                        ; -- End function
	.section	.AMDGPU.csdata,"",@progbits
; Kernel info:
; codeLenInByte = 48296
; NumSgprs: 88
; NumVgprs: 203
; NumAgprs: 0
; TotalNumVgprs: 203
; ScratchSize: 960
; MemoryBound: 1
; FloatMode: 240
; IeeeMode: 1
; LDSByteSize: 47104 bytes/workgroup (compile time only)
; SGPRBlocks: 10
; VGPRBlocks: 25
; NumSGPRsForWavesPerEU: 88
; NumVGPRsForWavesPerEU: 203
; AccumOffset: 204
; Occupancy: 1
; WaveLimiterHint : 1
; COMPUTE_PGM_RSRC2:SCRATCH_EN: 1
; COMPUTE_PGM_RSRC2:USER_SGPR: 2
; COMPUTE_PGM_RSRC2:TRAP_HANDLER: 0
; COMPUTE_PGM_RSRC2:TGID_X_EN: 1
; COMPUTE_PGM_RSRC2:TGID_Y_EN: 0
; COMPUTE_PGM_RSRC2:TGID_Z_EN: 0
; COMPUTE_PGM_RSRC2:TIDIG_COMP_CNT: 0
; COMPUTE_PGM_RSRC3_GFX90A:ACCUM_OFFSET: 50
; COMPUTE_PGM_RSRC3_GFX90A:TG_SPLIT: 0
	.section	.text._ZN7rocprim17ROCPRIM_400000_NS6detail17trampoline_kernelINS0_14default_configENS1_27scan_by_key_config_selectorIj11FixedVectorIiLj4EEEEZZNS1_16scan_by_key_implILNS1_25lookback_scan_determinismE0ELb1ES3_N6thrust23THRUST_200600_302600_NS6detail15normal_iteratorINSB_10device_ptrIjEEEENSD_INSE_IS6_EEEESI_S6_NSB_4plusIvEENSB_8equal_toIvEES6_EE10hipError_tPvRmT2_T3_T4_T5_mT6_T7_P12ihipStream_tbENKUlT_T0_E_clISt17integral_constantIbLb0EES13_EEDaSY_SZ_EUlSY_E_NS1_11comp_targetILNS1_3genE4ELNS1_11target_archE910ELNS1_3gpuE8ELNS1_3repE0EEENS1_30default_config_static_selectorELNS0_4arch9wavefront6targetE1EEEvT1_,"axG",@progbits,_ZN7rocprim17ROCPRIM_400000_NS6detail17trampoline_kernelINS0_14default_configENS1_27scan_by_key_config_selectorIj11FixedVectorIiLj4EEEEZZNS1_16scan_by_key_implILNS1_25lookback_scan_determinismE0ELb1ES3_N6thrust23THRUST_200600_302600_NS6detail15normal_iteratorINSB_10device_ptrIjEEEENSD_INSE_IS6_EEEESI_S6_NSB_4plusIvEENSB_8equal_toIvEES6_EE10hipError_tPvRmT2_T3_T4_T5_mT6_T7_P12ihipStream_tbENKUlT_T0_E_clISt17integral_constantIbLb0EES13_EEDaSY_SZ_EUlSY_E_NS1_11comp_targetILNS1_3genE4ELNS1_11target_archE910ELNS1_3gpuE8ELNS1_3repE0EEENS1_30default_config_static_selectorELNS0_4arch9wavefront6targetE1EEEvT1_,comdat
	.protected	_ZN7rocprim17ROCPRIM_400000_NS6detail17trampoline_kernelINS0_14default_configENS1_27scan_by_key_config_selectorIj11FixedVectorIiLj4EEEEZZNS1_16scan_by_key_implILNS1_25lookback_scan_determinismE0ELb1ES3_N6thrust23THRUST_200600_302600_NS6detail15normal_iteratorINSB_10device_ptrIjEEEENSD_INSE_IS6_EEEESI_S6_NSB_4plusIvEENSB_8equal_toIvEES6_EE10hipError_tPvRmT2_T3_T4_T5_mT6_T7_P12ihipStream_tbENKUlT_T0_E_clISt17integral_constantIbLb0EES13_EEDaSY_SZ_EUlSY_E_NS1_11comp_targetILNS1_3genE4ELNS1_11target_archE910ELNS1_3gpuE8ELNS1_3repE0EEENS1_30default_config_static_selectorELNS0_4arch9wavefront6targetE1EEEvT1_ ; -- Begin function _ZN7rocprim17ROCPRIM_400000_NS6detail17trampoline_kernelINS0_14default_configENS1_27scan_by_key_config_selectorIj11FixedVectorIiLj4EEEEZZNS1_16scan_by_key_implILNS1_25lookback_scan_determinismE0ELb1ES3_N6thrust23THRUST_200600_302600_NS6detail15normal_iteratorINSB_10device_ptrIjEEEENSD_INSE_IS6_EEEESI_S6_NSB_4plusIvEENSB_8equal_toIvEES6_EE10hipError_tPvRmT2_T3_T4_T5_mT6_T7_P12ihipStream_tbENKUlT_T0_E_clISt17integral_constantIbLb0EES13_EEDaSY_SZ_EUlSY_E_NS1_11comp_targetILNS1_3genE4ELNS1_11target_archE910ELNS1_3gpuE8ELNS1_3repE0EEENS1_30default_config_static_selectorELNS0_4arch9wavefront6targetE1EEEvT1_
	.globl	_ZN7rocprim17ROCPRIM_400000_NS6detail17trampoline_kernelINS0_14default_configENS1_27scan_by_key_config_selectorIj11FixedVectorIiLj4EEEEZZNS1_16scan_by_key_implILNS1_25lookback_scan_determinismE0ELb1ES3_N6thrust23THRUST_200600_302600_NS6detail15normal_iteratorINSB_10device_ptrIjEEEENSD_INSE_IS6_EEEESI_S6_NSB_4plusIvEENSB_8equal_toIvEES6_EE10hipError_tPvRmT2_T3_T4_T5_mT6_T7_P12ihipStream_tbENKUlT_T0_E_clISt17integral_constantIbLb0EES13_EEDaSY_SZ_EUlSY_E_NS1_11comp_targetILNS1_3genE4ELNS1_11target_archE910ELNS1_3gpuE8ELNS1_3repE0EEENS1_30default_config_static_selectorELNS0_4arch9wavefront6targetE1EEEvT1_
	.p2align	8
	.type	_ZN7rocprim17ROCPRIM_400000_NS6detail17trampoline_kernelINS0_14default_configENS1_27scan_by_key_config_selectorIj11FixedVectorIiLj4EEEEZZNS1_16scan_by_key_implILNS1_25lookback_scan_determinismE0ELb1ES3_N6thrust23THRUST_200600_302600_NS6detail15normal_iteratorINSB_10device_ptrIjEEEENSD_INSE_IS6_EEEESI_S6_NSB_4plusIvEENSB_8equal_toIvEES6_EE10hipError_tPvRmT2_T3_T4_T5_mT6_T7_P12ihipStream_tbENKUlT_T0_E_clISt17integral_constantIbLb0EES13_EEDaSY_SZ_EUlSY_E_NS1_11comp_targetILNS1_3genE4ELNS1_11target_archE910ELNS1_3gpuE8ELNS1_3repE0EEENS1_30default_config_static_selectorELNS0_4arch9wavefront6targetE1EEEvT1_,@function
_ZN7rocprim17ROCPRIM_400000_NS6detail17trampoline_kernelINS0_14default_configENS1_27scan_by_key_config_selectorIj11FixedVectorIiLj4EEEEZZNS1_16scan_by_key_implILNS1_25lookback_scan_determinismE0ELb1ES3_N6thrust23THRUST_200600_302600_NS6detail15normal_iteratorINSB_10device_ptrIjEEEENSD_INSE_IS6_EEEESI_S6_NSB_4plusIvEENSB_8equal_toIvEES6_EE10hipError_tPvRmT2_T3_T4_T5_mT6_T7_P12ihipStream_tbENKUlT_T0_E_clISt17integral_constantIbLb0EES13_EEDaSY_SZ_EUlSY_E_NS1_11comp_targetILNS1_3genE4ELNS1_11target_archE910ELNS1_3gpuE8ELNS1_3repE0EEENS1_30default_config_static_selectorELNS0_4arch9wavefront6targetE1EEEvT1_: ; @_ZN7rocprim17ROCPRIM_400000_NS6detail17trampoline_kernelINS0_14default_configENS1_27scan_by_key_config_selectorIj11FixedVectorIiLj4EEEEZZNS1_16scan_by_key_implILNS1_25lookback_scan_determinismE0ELb1ES3_N6thrust23THRUST_200600_302600_NS6detail15normal_iteratorINSB_10device_ptrIjEEEENSD_INSE_IS6_EEEESI_S6_NSB_4plusIvEENSB_8equal_toIvEES6_EE10hipError_tPvRmT2_T3_T4_T5_mT6_T7_P12ihipStream_tbENKUlT_T0_E_clISt17integral_constantIbLb0EES13_EEDaSY_SZ_EUlSY_E_NS1_11comp_targetILNS1_3genE4ELNS1_11target_archE910ELNS1_3gpuE8ELNS1_3repE0EEENS1_30default_config_static_selectorELNS0_4arch9wavefront6targetE1EEEvT1_
; %bb.0:
	.section	.rodata,"a",@progbits
	.p2align	6, 0x0
	.amdhsa_kernel _ZN7rocprim17ROCPRIM_400000_NS6detail17trampoline_kernelINS0_14default_configENS1_27scan_by_key_config_selectorIj11FixedVectorIiLj4EEEEZZNS1_16scan_by_key_implILNS1_25lookback_scan_determinismE0ELb1ES3_N6thrust23THRUST_200600_302600_NS6detail15normal_iteratorINSB_10device_ptrIjEEEENSD_INSE_IS6_EEEESI_S6_NSB_4plusIvEENSB_8equal_toIvEES6_EE10hipError_tPvRmT2_T3_T4_T5_mT6_T7_P12ihipStream_tbENKUlT_T0_E_clISt17integral_constantIbLb0EES13_EEDaSY_SZ_EUlSY_E_NS1_11comp_targetILNS1_3genE4ELNS1_11target_archE910ELNS1_3gpuE8ELNS1_3repE0EEENS1_30default_config_static_selectorELNS0_4arch9wavefront6targetE1EEEvT1_
		.amdhsa_group_segment_fixed_size 0
		.amdhsa_private_segment_fixed_size 0
		.amdhsa_kernarg_size 144
		.amdhsa_user_sgpr_count 2
		.amdhsa_user_sgpr_dispatch_ptr 0
		.amdhsa_user_sgpr_queue_ptr 0
		.amdhsa_user_sgpr_kernarg_segment_ptr 1
		.amdhsa_user_sgpr_dispatch_id 0
		.amdhsa_user_sgpr_kernarg_preload_length 0
		.amdhsa_user_sgpr_kernarg_preload_offset 0
		.amdhsa_user_sgpr_private_segment_size 0
		.amdhsa_uses_dynamic_stack 0
		.amdhsa_enable_private_segment 0
		.amdhsa_system_sgpr_workgroup_id_x 1
		.amdhsa_system_sgpr_workgroup_id_y 0
		.amdhsa_system_sgpr_workgroup_id_z 0
		.amdhsa_system_sgpr_workgroup_info 0
		.amdhsa_system_vgpr_workitem_id 0
		.amdhsa_next_free_vgpr 1
		.amdhsa_next_free_sgpr 0
		.amdhsa_accum_offset 4
		.amdhsa_reserve_vcc 0
		.amdhsa_float_round_mode_32 0
		.amdhsa_float_round_mode_16_64 0
		.amdhsa_float_denorm_mode_32 3
		.amdhsa_float_denorm_mode_16_64 3
		.amdhsa_dx10_clamp 1
		.amdhsa_ieee_mode 1
		.amdhsa_fp16_overflow 0
		.amdhsa_tg_split 0
		.amdhsa_exception_fp_ieee_invalid_op 0
		.amdhsa_exception_fp_denorm_src 0
		.amdhsa_exception_fp_ieee_div_zero 0
		.amdhsa_exception_fp_ieee_overflow 0
		.amdhsa_exception_fp_ieee_underflow 0
		.amdhsa_exception_fp_ieee_inexact 0
		.amdhsa_exception_int_div_zero 0
	.end_amdhsa_kernel
	.section	.text._ZN7rocprim17ROCPRIM_400000_NS6detail17trampoline_kernelINS0_14default_configENS1_27scan_by_key_config_selectorIj11FixedVectorIiLj4EEEEZZNS1_16scan_by_key_implILNS1_25lookback_scan_determinismE0ELb1ES3_N6thrust23THRUST_200600_302600_NS6detail15normal_iteratorINSB_10device_ptrIjEEEENSD_INSE_IS6_EEEESI_S6_NSB_4plusIvEENSB_8equal_toIvEES6_EE10hipError_tPvRmT2_T3_T4_T5_mT6_T7_P12ihipStream_tbENKUlT_T0_E_clISt17integral_constantIbLb0EES13_EEDaSY_SZ_EUlSY_E_NS1_11comp_targetILNS1_3genE4ELNS1_11target_archE910ELNS1_3gpuE8ELNS1_3repE0EEENS1_30default_config_static_selectorELNS0_4arch9wavefront6targetE1EEEvT1_,"axG",@progbits,_ZN7rocprim17ROCPRIM_400000_NS6detail17trampoline_kernelINS0_14default_configENS1_27scan_by_key_config_selectorIj11FixedVectorIiLj4EEEEZZNS1_16scan_by_key_implILNS1_25lookback_scan_determinismE0ELb1ES3_N6thrust23THRUST_200600_302600_NS6detail15normal_iteratorINSB_10device_ptrIjEEEENSD_INSE_IS6_EEEESI_S6_NSB_4plusIvEENSB_8equal_toIvEES6_EE10hipError_tPvRmT2_T3_T4_T5_mT6_T7_P12ihipStream_tbENKUlT_T0_E_clISt17integral_constantIbLb0EES13_EEDaSY_SZ_EUlSY_E_NS1_11comp_targetILNS1_3genE4ELNS1_11target_archE910ELNS1_3gpuE8ELNS1_3repE0EEENS1_30default_config_static_selectorELNS0_4arch9wavefront6targetE1EEEvT1_,comdat
.Lfunc_end2078:
	.size	_ZN7rocprim17ROCPRIM_400000_NS6detail17trampoline_kernelINS0_14default_configENS1_27scan_by_key_config_selectorIj11FixedVectorIiLj4EEEEZZNS1_16scan_by_key_implILNS1_25lookback_scan_determinismE0ELb1ES3_N6thrust23THRUST_200600_302600_NS6detail15normal_iteratorINSB_10device_ptrIjEEEENSD_INSE_IS6_EEEESI_S6_NSB_4plusIvEENSB_8equal_toIvEES6_EE10hipError_tPvRmT2_T3_T4_T5_mT6_T7_P12ihipStream_tbENKUlT_T0_E_clISt17integral_constantIbLb0EES13_EEDaSY_SZ_EUlSY_E_NS1_11comp_targetILNS1_3genE4ELNS1_11target_archE910ELNS1_3gpuE8ELNS1_3repE0EEENS1_30default_config_static_selectorELNS0_4arch9wavefront6targetE1EEEvT1_, .Lfunc_end2078-_ZN7rocprim17ROCPRIM_400000_NS6detail17trampoline_kernelINS0_14default_configENS1_27scan_by_key_config_selectorIj11FixedVectorIiLj4EEEEZZNS1_16scan_by_key_implILNS1_25lookback_scan_determinismE0ELb1ES3_N6thrust23THRUST_200600_302600_NS6detail15normal_iteratorINSB_10device_ptrIjEEEENSD_INSE_IS6_EEEESI_S6_NSB_4plusIvEENSB_8equal_toIvEES6_EE10hipError_tPvRmT2_T3_T4_T5_mT6_T7_P12ihipStream_tbENKUlT_T0_E_clISt17integral_constantIbLb0EES13_EEDaSY_SZ_EUlSY_E_NS1_11comp_targetILNS1_3genE4ELNS1_11target_archE910ELNS1_3gpuE8ELNS1_3repE0EEENS1_30default_config_static_selectorELNS0_4arch9wavefront6targetE1EEEvT1_
                                        ; -- End function
	.section	.AMDGPU.csdata,"",@progbits
; Kernel info:
; codeLenInByte = 0
; NumSgprs: 6
; NumVgprs: 0
; NumAgprs: 0
; TotalNumVgprs: 0
; ScratchSize: 0
; MemoryBound: 0
; FloatMode: 240
; IeeeMode: 1
; LDSByteSize: 0 bytes/workgroup (compile time only)
; SGPRBlocks: 0
; VGPRBlocks: 0
; NumSGPRsForWavesPerEU: 6
; NumVGPRsForWavesPerEU: 1
; AccumOffset: 4
; Occupancy: 8
; WaveLimiterHint : 0
; COMPUTE_PGM_RSRC2:SCRATCH_EN: 0
; COMPUTE_PGM_RSRC2:USER_SGPR: 2
; COMPUTE_PGM_RSRC2:TRAP_HANDLER: 0
; COMPUTE_PGM_RSRC2:TGID_X_EN: 1
; COMPUTE_PGM_RSRC2:TGID_Y_EN: 0
; COMPUTE_PGM_RSRC2:TGID_Z_EN: 0
; COMPUTE_PGM_RSRC2:TIDIG_COMP_CNT: 0
; COMPUTE_PGM_RSRC3_GFX90A:ACCUM_OFFSET: 0
; COMPUTE_PGM_RSRC3_GFX90A:TG_SPLIT: 0
	.section	.text._ZN7rocprim17ROCPRIM_400000_NS6detail17trampoline_kernelINS0_14default_configENS1_27scan_by_key_config_selectorIj11FixedVectorIiLj4EEEEZZNS1_16scan_by_key_implILNS1_25lookback_scan_determinismE0ELb1ES3_N6thrust23THRUST_200600_302600_NS6detail15normal_iteratorINSB_10device_ptrIjEEEENSD_INSE_IS6_EEEESI_S6_NSB_4plusIvEENSB_8equal_toIvEES6_EE10hipError_tPvRmT2_T3_T4_T5_mT6_T7_P12ihipStream_tbENKUlT_T0_E_clISt17integral_constantIbLb0EES13_EEDaSY_SZ_EUlSY_E_NS1_11comp_targetILNS1_3genE3ELNS1_11target_archE908ELNS1_3gpuE7ELNS1_3repE0EEENS1_30default_config_static_selectorELNS0_4arch9wavefront6targetE1EEEvT1_,"axG",@progbits,_ZN7rocprim17ROCPRIM_400000_NS6detail17trampoline_kernelINS0_14default_configENS1_27scan_by_key_config_selectorIj11FixedVectorIiLj4EEEEZZNS1_16scan_by_key_implILNS1_25lookback_scan_determinismE0ELb1ES3_N6thrust23THRUST_200600_302600_NS6detail15normal_iteratorINSB_10device_ptrIjEEEENSD_INSE_IS6_EEEESI_S6_NSB_4plusIvEENSB_8equal_toIvEES6_EE10hipError_tPvRmT2_T3_T4_T5_mT6_T7_P12ihipStream_tbENKUlT_T0_E_clISt17integral_constantIbLb0EES13_EEDaSY_SZ_EUlSY_E_NS1_11comp_targetILNS1_3genE3ELNS1_11target_archE908ELNS1_3gpuE7ELNS1_3repE0EEENS1_30default_config_static_selectorELNS0_4arch9wavefront6targetE1EEEvT1_,comdat
	.protected	_ZN7rocprim17ROCPRIM_400000_NS6detail17trampoline_kernelINS0_14default_configENS1_27scan_by_key_config_selectorIj11FixedVectorIiLj4EEEEZZNS1_16scan_by_key_implILNS1_25lookback_scan_determinismE0ELb1ES3_N6thrust23THRUST_200600_302600_NS6detail15normal_iteratorINSB_10device_ptrIjEEEENSD_INSE_IS6_EEEESI_S6_NSB_4plusIvEENSB_8equal_toIvEES6_EE10hipError_tPvRmT2_T3_T4_T5_mT6_T7_P12ihipStream_tbENKUlT_T0_E_clISt17integral_constantIbLb0EES13_EEDaSY_SZ_EUlSY_E_NS1_11comp_targetILNS1_3genE3ELNS1_11target_archE908ELNS1_3gpuE7ELNS1_3repE0EEENS1_30default_config_static_selectorELNS0_4arch9wavefront6targetE1EEEvT1_ ; -- Begin function _ZN7rocprim17ROCPRIM_400000_NS6detail17trampoline_kernelINS0_14default_configENS1_27scan_by_key_config_selectorIj11FixedVectorIiLj4EEEEZZNS1_16scan_by_key_implILNS1_25lookback_scan_determinismE0ELb1ES3_N6thrust23THRUST_200600_302600_NS6detail15normal_iteratorINSB_10device_ptrIjEEEENSD_INSE_IS6_EEEESI_S6_NSB_4plusIvEENSB_8equal_toIvEES6_EE10hipError_tPvRmT2_T3_T4_T5_mT6_T7_P12ihipStream_tbENKUlT_T0_E_clISt17integral_constantIbLb0EES13_EEDaSY_SZ_EUlSY_E_NS1_11comp_targetILNS1_3genE3ELNS1_11target_archE908ELNS1_3gpuE7ELNS1_3repE0EEENS1_30default_config_static_selectorELNS0_4arch9wavefront6targetE1EEEvT1_
	.globl	_ZN7rocprim17ROCPRIM_400000_NS6detail17trampoline_kernelINS0_14default_configENS1_27scan_by_key_config_selectorIj11FixedVectorIiLj4EEEEZZNS1_16scan_by_key_implILNS1_25lookback_scan_determinismE0ELb1ES3_N6thrust23THRUST_200600_302600_NS6detail15normal_iteratorINSB_10device_ptrIjEEEENSD_INSE_IS6_EEEESI_S6_NSB_4plusIvEENSB_8equal_toIvEES6_EE10hipError_tPvRmT2_T3_T4_T5_mT6_T7_P12ihipStream_tbENKUlT_T0_E_clISt17integral_constantIbLb0EES13_EEDaSY_SZ_EUlSY_E_NS1_11comp_targetILNS1_3genE3ELNS1_11target_archE908ELNS1_3gpuE7ELNS1_3repE0EEENS1_30default_config_static_selectorELNS0_4arch9wavefront6targetE1EEEvT1_
	.p2align	8
	.type	_ZN7rocprim17ROCPRIM_400000_NS6detail17trampoline_kernelINS0_14default_configENS1_27scan_by_key_config_selectorIj11FixedVectorIiLj4EEEEZZNS1_16scan_by_key_implILNS1_25lookback_scan_determinismE0ELb1ES3_N6thrust23THRUST_200600_302600_NS6detail15normal_iteratorINSB_10device_ptrIjEEEENSD_INSE_IS6_EEEESI_S6_NSB_4plusIvEENSB_8equal_toIvEES6_EE10hipError_tPvRmT2_T3_T4_T5_mT6_T7_P12ihipStream_tbENKUlT_T0_E_clISt17integral_constantIbLb0EES13_EEDaSY_SZ_EUlSY_E_NS1_11comp_targetILNS1_3genE3ELNS1_11target_archE908ELNS1_3gpuE7ELNS1_3repE0EEENS1_30default_config_static_selectorELNS0_4arch9wavefront6targetE1EEEvT1_,@function
_ZN7rocprim17ROCPRIM_400000_NS6detail17trampoline_kernelINS0_14default_configENS1_27scan_by_key_config_selectorIj11FixedVectorIiLj4EEEEZZNS1_16scan_by_key_implILNS1_25lookback_scan_determinismE0ELb1ES3_N6thrust23THRUST_200600_302600_NS6detail15normal_iteratorINSB_10device_ptrIjEEEENSD_INSE_IS6_EEEESI_S6_NSB_4plusIvEENSB_8equal_toIvEES6_EE10hipError_tPvRmT2_T3_T4_T5_mT6_T7_P12ihipStream_tbENKUlT_T0_E_clISt17integral_constantIbLb0EES13_EEDaSY_SZ_EUlSY_E_NS1_11comp_targetILNS1_3genE3ELNS1_11target_archE908ELNS1_3gpuE7ELNS1_3repE0EEENS1_30default_config_static_selectorELNS0_4arch9wavefront6targetE1EEEvT1_: ; @_ZN7rocprim17ROCPRIM_400000_NS6detail17trampoline_kernelINS0_14default_configENS1_27scan_by_key_config_selectorIj11FixedVectorIiLj4EEEEZZNS1_16scan_by_key_implILNS1_25lookback_scan_determinismE0ELb1ES3_N6thrust23THRUST_200600_302600_NS6detail15normal_iteratorINSB_10device_ptrIjEEEENSD_INSE_IS6_EEEESI_S6_NSB_4plusIvEENSB_8equal_toIvEES6_EE10hipError_tPvRmT2_T3_T4_T5_mT6_T7_P12ihipStream_tbENKUlT_T0_E_clISt17integral_constantIbLb0EES13_EEDaSY_SZ_EUlSY_E_NS1_11comp_targetILNS1_3genE3ELNS1_11target_archE908ELNS1_3gpuE7ELNS1_3repE0EEENS1_30default_config_static_selectorELNS0_4arch9wavefront6targetE1EEEvT1_
; %bb.0:
	.section	.rodata,"a",@progbits
	.p2align	6, 0x0
	.amdhsa_kernel _ZN7rocprim17ROCPRIM_400000_NS6detail17trampoline_kernelINS0_14default_configENS1_27scan_by_key_config_selectorIj11FixedVectorIiLj4EEEEZZNS1_16scan_by_key_implILNS1_25lookback_scan_determinismE0ELb1ES3_N6thrust23THRUST_200600_302600_NS6detail15normal_iteratorINSB_10device_ptrIjEEEENSD_INSE_IS6_EEEESI_S6_NSB_4plusIvEENSB_8equal_toIvEES6_EE10hipError_tPvRmT2_T3_T4_T5_mT6_T7_P12ihipStream_tbENKUlT_T0_E_clISt17integral_constantIbLb0EES13_EEDaSY_SZ_EUlSY_E_NS1_11comp_targetILNS1_3genE3ELNS1_11target_archE908ELNS1_3gpuE7ELNS1_3repE0EEENS1_30default_config_static_selectorELNS0_4arch9wavefront6targetE1EEEvT1_
		.amdhsa_group_segment_fixed_size 0
		.amdhsa_private_segment_fixed_size 0
		.amdhsa_kernarg_size 144
		.amdhsa_user_sgpr_count 2
		.amdhsa_user_sgpr_dispatch_ptr 0
		.amdhsa_user_sgpr_queue_ptr 0
		.amdhsa_user_sgpr_kernarg_segment_ptr 1
		.amdhsa_user_sgpr_dispatch_id 0
		.amdhsa_user_sgpr_kernarg_preload_length 0
		.amdhsa_user_sgpr_kernarg_preload_offset 0
		.amdhsa_user_sgpr_private_segment_size 0
		.amdhsa_uses_dynamic_stack 0
		.amdhsa_enable_private_segment 0
		.amdhsa_system_sgpr_workgroup_id_x 1
		.amdhsa_system_sgpr_workgroup_id_y 0
		.amdhsa_system_sgpr_workgroup_id_z 0
		.amdhsa_system_sgpr_workgroup_info 0
		.amdhsa_system_vgpr_workitem_id 0
		.amdhsa_next_free_vgpr 1
		.amdhsa_next_free_sgpr 0
		.amdhsa_accum_offset 4
		.amdhsa_reserve_vcc 0
		.amdhsa_float_round_mode_32 0
		.amdhsa_float_round_mode_16_64 0
		.amdhsa_float_denorm_mode_32 3
		.amdhsa_float_denorm_mode_16_64 3
		.amdhsa_dx10_clamp 1
		.amdhsa_ieee_mode 1
		.amdhsa_fp16_overflow 0
		.amdhsa_tg_split 0
		.amdhsa_exception_fp_ieee_invalid_op 0
		.amdhsa_exception_fp_denorm_src 0
		.amdhsa_exception_fp_ieee_div_zero 0
		.amdhsa_exception_fp_ieee_overflow 0
		.amdhsa_exception_fp_ieee_underflow 0
		.amdhsa_exception_fp_ieee_inexact 0
		.amdhsa_exception_int_div_zero 0
	.end_amdhsa_kernel
	.section	.text._ZN7rocprim17ROCPRIM_400000_NS6detail17trampoline_kernelINS0_14default_configENS1_27scan_by_key_config_selectorIj11FixedVectorIiLj4EEEEZZNS1_16scan_by_key_implILNS1_25lookback_scan_determinismE0ELb1ES3_N6thrust23THRUST_200600_302600_NS6detail15normal_iteratorINSB_10device_ptrIjEEEENSD_INSE_IS6_EEEESI_S6_NSB_4plusIvEENSB_8equal_toIvEES6_EE10hipError_tPvRmT2_T3_T4_T5_mT6_T7_P12ihipStream_tbENKUlT_T0_E_clISt17integral_constantIbLb0EES13_EEDaSY_SZ_EUlSY_E_NS1_11comp_targetILNS1_3genE3ELNS1_11target_archE908ELNS1_3gpuE7ELNS1_3repE0EEENS1_30default_config_static_selectorELNS0_4arch9wavefront6targetE1EEEvT1_,"axG",@progbits,_ZN7rocprim17ROCPRIM_400000_NS6detail17trampoline_kernelINS0_14default_configENS1_27scan_by_key_config_selectorIj11FixedVectorIiLj4EEEEZZNS1_16scan_by_key_implILNS1_25lookback_scan_determinismE0ELb1ES3_N6thrust23THRUST_200600_302600_NS6detail15normal_iteratorINSB_10device_ptrIjEEEENSD_INSE_IS6_EEEESI_S6_NSB_4plusIvEENSB_8equal_toIvEES6_EE10hipError_tPvRmT2_T3_T4_T5_mT6_T7_P12ihipStream_tbENKUlT_T0_E_clISt17integral_constantIbLb0EES13_EEDaSY_SZ_EUlSY_E_NS1_11comp_targetILNS1_3genE3ELNS1_11target_archE908ELNS1_3gpuE7ELNS1_3repE0EEENS1_30default_config_static_selectorELNS0_4arch9wavefront6targetE1EEEvT1_,comdat
.Lfunc_end2079:
	.size	_ZN7rocprim17ROCPRIM_400000_NS6detail17trampoline_kernelINS0_14default_configENS1_27scan_by_key_config_selectorIj11FixedVectorIiLj4EEEEZZNS1_16scan_by_key_implILNS1_25lookback_scan_determinismE0ELb1ES3_N6thrust23THRUST_200600_302600_NS6detail15normal_iteratorINSB_10device_ptrIjEEEENSD_INSE_IS6_EEEESI_S6_NSB_4plusIvEENSB_8equal_toIvEES6_EE10hipError_tPvRmT2_T3_T4_T5_mT6_T7_P12ihipStream_tbENKUlT_T0_E_clISt17integral_constantIbLb0EES13_EEDaSY_SZ_EUlSY_E_NS1_11comp_targetILNS1_3genE3ELNS1_11target_archE908ELNS1_3gpuE7ELNS1_3repE0EEENS1_30default_config_static_selectorELNS0_4arch9wavefront6targetE1EEEvT1_, .Lfunc_end2079-_ZN7rocprim17ROCPRIM_400000_NS6detail17trampoline_kernelINS0_14default_configENS1_27scan_by_key_config_selectorIj11FixedVectorIiLj4EEEEZZNS1_16scan_by_key_implILNS1_25lookback_scan_determinismE0ELb1ES3_N6thrust23THRUST_200600_302600_NS6detail15normal_iteratorINSB_10device_ptrIjEEEENSD_INSE_IS6_EEEESI_S6_NSB_4plusIvEENSB_8equal_toIvEES6_EE10hipError_tPvRmT2_T3_T4_T5_mT6_T7_P12ihipStream_tbENKUlT_T0_E_clISt17integral_constantIbLb0EES13_EEDaSY_SZ_EUlSY_E_NS1_11comp_targetILNS1_3genE3ELNS1_11target_archE908ELNS1_3gpuE7ELNS1_3repE0EEENS1_30default_config_static_selectorELNS0_4arch9wavefront6targetE1EEEvT1_
                                        ; -- End function
	.section	.AMDGPU.csdata,"",@progbits
; Kernel info:
; codeLenInByte = 0
; NumSgprs: 6
; NumVgprs: 0
; NumAgprs: 0
; TotalNumVgprs: 0
; ScratchSize: 0
; MemoryBound: 0
; FloatMode: 240
; IeeeMode: 1
; LDSByteSize: 0 bytes/workgroup (compile time only)
; SGPRBlocks: 0
; VGPRBlocks: 0
; NumSGPRsForWavesPerEU: 6
; NumVGPRsForWavesPerEU: 1
; AccumOffset: 4
; Occupancy: 8
; WaveLimiterHint : 0
; COMPUTE_PGM_RSRC2:SCRATCH_EN: 0
; COMPUTE_PGM_RSRC2:USER_SGPR: 2
; COMPUTE_PGM_RSRC2:TRAP_HANDLER: 0
; COMPUTE_PGM_RSRC2:TGID_X_EN: 1
; COMPUTE_PGM_RSRC2:TGID_Y_EN: 0
; COMPUTE_PGM_RSRC2:TGID_Z_EN: 0
; COMPUTE_PGM_RSRC2:TIDIG_COMP_CNT: 0
; COMPUTE_PGM_RSRC3_GFX90A:ACCUM_OFFSET: 0
; COMPUTE_PGM_RSRC3_GFX90A:TG_SPLIT: 0
	.section	.text._ZN7rocprim17ROCPRIM_400000_NS6detail17trampoline_kernelINS0_14default_configENS1_27scan_by_key_config_selectorIj11FixedVectorIiLj4EEEEZZNS1_16scan_by_key_implILNS1_25lookback_scan_determinismE0ELb1ES3_N6thrust23THRUST_200600_302600_NS6detail15normal_iteratorINSB_10device_ptrIjEEEENSD_INSE_IS6_EEEESI_S6_NSB_4plusIvEENSB_8equal_toIvEES6_EE10hipError_tPvRmT2_T3_T4_T5_mT6_T7_P12ihipStream_tbENKUlT_T0_E_clISt17integral_constantIbLb0EES13_EEDaSY_SZ_EUlSY_E_NS1_11comp_targetILNS1_3genE2ELNS1_11target_archE906ELNS1_3gpuE6ELNS1_3repE0EEENS1_30default_config_static_selectorELNS0_4arch9wavefront6targetE1EEEvT1_,"axG",@progbits,_ZN7rocprim17ROCPRIM_400000_NS6detail17trampoline_kernelINS0_14default_configENS1_27scan_by_key_config_selectorIj11FixedVectorIiLj4EEEEZZNS1_16scan_by_key_implILNS1_25lookback_scan_determinismE0ELb1ES3_N6thrust23THRUST_200600_302600_NS6detail15normal_iteratorINSB_10device_ptrIjEEEENSD_INSE_IS6_EEEESI_S6_NSB_4plusIvEENSB_8equal_toIvEES6_EE10hipError_tPvRmT2_T3_T4_T5_mT6_T7_P12ihipStream_tbENKUlT_T0_E_clISt17integral_constantIbLb0EES13_EEDaSY_SZ_EUlSY_E_NS1_11comp_targetILNS1_3genE2ELNS1_11target_archE906ELNS1_3gpuE6ELNS1_3repE0EEENS1_30default_config_static_selectorELNS0_4arch9wavefront6targetE1EEEvT1_,comdat
	.protected	_ZN7rocprim17ROCPRIM_400000_NS6detail17trampoline_kernelINS0_14default_configENS1_27scan_by_key_config_selectorIj11FixedVectorIiLj4EEEEZZNS1_16scan_by_key_implILNS1_25lookback_scan_determinismE0ELb1ES3_N6thrust23THRUST_200600_302600_NS6detail15normal_iteratorINSB_10device_ptrIjEEEENSD_INSE_IS6_EEEESI_S6_NSB_4plusIvEENSB_8equal_toIvEES6_EE10hipError_tPvRmT2_T3_T4_T5_mT6_T7_P12ihipStream_tbENKUlT_T0_E_clISt17integral_constantIbLb0EES13_EEDaSY_SZ_EUlSY_E_NS1_11comp_targetILNS1_3genE2ELNS1_11target_archE906ELNS1_3gpuE6ELNS1_3repE0EEENS1_30default_config_static_selectorELNS0_4arch9wavefront6targetE1EEEvT1_ ; -- Begin function _ZN7rocprim17ROCPRIM_400000_NS6detail17trampoline_kernelINS0_14default_configENS1_27scan_by_key_config_selectorIj11FixedVectorIiLj4EEEEZZNS1_16scan_by_key_implILNS1_25lookback_scan_determinismE0ELb1ES3_N6thrust23THRUST_200600_302600_NS6detail15normal_iteratorINSB_10device_ptrIjEEEENSD_INSE_IS6_EEEESI_S6_NSB_4plusIvEENSB_8equal_toIvEES6_EE10hipError_tPvRmT2_T3_T4_T5_mT6_T7_P12ihipStream_tbENKUlT_T0_E_clISt17integral_constantIbLb0EES13_EEDaSY_SZ_EUlSY_E_NS1_11comp_targetILNS1_3genE2ELNS1_11target_archE906ELNS1_3gpuE6ELNS1_3repE0EEENS1_30default_config_static_selectorELNS0_4arch9wavefront6targetE1EEEvT1_
	.globl	_ZN7rocprim17ROCPRIM_400000_NS6detail17trampoline_kernelINS0_14default_configENS1_27scan_by_key_config_selectorIj11FixedVectorIiLj4EEEEZZNS1_16scan_by_key_implILNS1_25lookback_scan_determinismE0ELb1ES3_N6thrust23THRUST_200600_302600_NS6detail15normal_iteratorINSB_10device_ptrIjEEEENSD_INSE_IS6_EEEESI_S6_NSB_4plusIvEENSB_8equal_toIvEES6_EE10hipError_tPvRmT2_T3_T4_T5_mT6_T7_P12ihipStream_tbENKUlT_T0_E_clISt17integral_constantIbLb0EES13_EEDaSY_SZ_EUlSY_E_NS1_11comp_targetILNS1_3genE2ELNS1_11target_archE906ELNS1_3gpuE6ELNS1_3repE0EEENS1_30default_config_static_selectorELNS0_4arch9wavefront6targetE1EEEvT1_
	.p2align	8
	.type	_ZN7rocprim17ROCPRIM_400000_NS6detail17trampoline_kernelINS0_14default_configENS1_27scan_by_key_config_selectorIj11FixedVectorIiLj4EEEEZZNS1_16scan_by_key_implILNS1_25lookback_scan_determinismE0ELb1ES3_N6thrust23THRUST_200600_302600_NS6detail15normal_iteratorINSB_10device_ptrIjEEEENSD_INSE_IS6_EEEESI_S6_NSB_4plusIvEENSB_8equal_toIvEES6_EE10hipError_tPvRmT2_T3_T4_T5_mT6_T7_P12ihipStream_tbENKUlT_T0_E_clISt17integral_constantIbLb0EES13_EEDaSY_SZ_EUlSY_E_NS1_11comp_targetILNS1_3genE2ELNS1_11target_archE906ELNS1_3gpuE6ELNS1_3repE0EEENS1_30default_config_static_selectorELNS0_4arch9wavefront6targetE1EEEvT1_,@function
_ZN7rocprim17ROCPRIM_400000_NS6detail17trampoline_kernelINS0_14default_configENS1_27scan_by_key_config_selectorIj11FixedVectorIiLj4EEEEZZNS1_16scan_by_key_implILNS1_25lookback_scan_determinismE0ELb1ES3_N6thrust23THRUST_200600_302600_NS6detail15normal_iteratorINSB_10device_ptrIjEEEENSD_INSE_IS6_EEEESI_S6_NSB_4plusIvEENSB_8equal_toIvEES6_EE10hipError_tPvRmT2_T3_T4_T5_mT6_T7_P12ihipStream_tbENKUlT_T0_E_clISt17integral_constantIbLb0EES13_EEDaSY_SZ_EUlSY_E_NS1_11comp_targetILNS1_3genE2ELNS1_11target_archE906ELNS1_3gpuE6ELNS1_3repE0EEENS1_30default_config_static_selectorELNS0_4arch9wavefront6targetE1EEEvT1_: ; @_ZN7rocprim17ROCPRIM_400000_NS6detail17trampoline_kernelINS0_14default_configENS1_27scan_by_key_config_selectorIj11FixedVectorIiLj4EEEEZZNS1_16scan_by_key_implILNS1_25lookback_scan_determinismE0ELb1ES3_N6thrust23THRUST_200600_302600_NS6detail15normal_iteratorINSB_10device_ptrIjEEEENSD_INSE_IS6_EEEESI_S6_NSB_4plusIvEENSB_8equal_toIvEES6_EE10hipError_tPvRmT2_T3_T4_T5_mT6_T7_P12ihipStream_tbENKUlT_T0_E_clISt17integral_constantIbLb0EES13_EEDaSY_SZ_EUlSY_E_NS1_11comp_targetILNS1_3genE2ELNS1_11target_archE906ELNS1_3gpuE6ELNS1_3repE0EEENS1_30default_config_static_selectorELNS0_4arch9wavefront6targetE1EEEvT1_
; %bb.0:
	.section	.rodata,"a",@progbits
	.p2align	6, 0x0
	.amdhsa_kernel _ZN7rocprim17ROCPRIM_400000_NS6detail17trampoline_kernelINS0_14default_configENS1_27scan_by_key_config_selectorIj11FixedVectorIiLj4EEEEZZNS1_16scan_by_key_implILNS1_25lookback_scan_determinismE0ELb1ES3_N6thrust23THRUST_200600_302600_NS6detail15normal_iteratorINSB_10device_ptrIjEEEENSD_INSE_IS6_EEEESI_S6_NSB_4plusIvEENSB_8equal_toIvEES6_EE10hipError_tPvRmT2_T3_T4_T5_mT6_T7_P12ihipStream_tbENKUlT_T0_E_clISt17integral_constantIbLb0EES13_EEDaSY_SZ_EUlSY_E_NS1_11comp_targetILNS1_3genE2ELNS1_11target_archE906ELNS1_3gpuE6ELNS1_3repE0EEENS1_30default_config_static_selectorELNS0_4arch9wavefront6targetE1EEEvT1_
		.amdhsa_group_segment_fixed_size 0
		.amdhsa_private_segment_fixed_size 0
		.amdhsa_kernarg_size 144
		.amdhsa_user_sgpr_count 2
		.amdhsa_user_sgpr_dispatch_ptr 0
		.amdhsa_user_sgpr_queue_ptr 0
		.amdhsa_user_sgpr_kernarg_segment_ptr 1
		.amdhsa_user_sgpr_dispatch_id 0
		.amdhsa_user_sgpr_kernarg_preload_length 0
		.amdhsa_user_sgpr_kernarg_preload_offset 0
		.amdhsa_user_sgpr_private_segment_size 0
		.amdhsa_uses_dynamic_stack 0
		.amdhsa_enable_private_segment 0
		.amdhsa_system_sgpr_workgroup_id_x 1
		.amdhsa_system_sgpr_workgroup_id_y 0
		.amdhsa_system_sgpr_workgroup_id_z 0
		.amdhsa_system_sgpr_workgroup_info 0
		.amdhsa_system_vgpr_workitem_id 0
		.amdhsa_next_free_vgpr 1
		.amdhsa_next_free_sgpr 0
		.amdhsa_accum_offset 4
		.amdhsa_reserve_vcc 0
		.amdhsa_float_round_mode_32 0
		.amdhsa_float_round_mode_16_64 0
		.amdhsa_float_denorm_mode_32 3
		.amdhsa_float_denorm_mode_16_64 3
		.amdhsa_dx10_clamp 1
		.amdhsa_ieee_mode 1
		.amdhsa_fp16_overflow 0
		.amdhsa_tg_split 0
		.amdhsa_exception_fp_ieee_invalid_op 0
		.amdhsa_exception_fp_denorm_src 0
		.amdhsa_exception_fp_ieee_div_zero 0
		.amdhsa_exception_fp_ieee_overflow 0
		.amdhsa_exception_fp_ieee_underflow 0
		.amdhsa_exception_fp_ieee_inexact 0
		.amdhsa_exception_int_div_zero 0
	.end_amdhsa_kernel
	.section	.text._ZN7rocprim17ROCPRIM_400000_NS6detail17trampoline_kernelINS0_14default_configENS1_27scan_by_key_config_selectorIj11FixedVectorIiLj4EEEEZZNS1_16scan_by_key_implILNS1_25lookback_scan_determinismE0ELb1ES3_N6thrust23THRUST_200600_302600_NS6detail15normal_iteratorINSB_10device_ptrIjEEEENSD_INSE_IS6_EEEESI_S6_NSB_4plusIvEENSB_8equal_toIvEES6_EE10hipError_tPvRmT2_T3_T4_T5_mT6_T7_P12ihipStream_tbENKUlT_T0_E_clISt17integral_constantIbLb0EES13_EEDaSY_SZ_EUlSY_E_NS1_11comp_targetILNS1_3genE2ELNS1_11target_archE906ELNS1_3gpuE6ELNS1_3repE0EEENS1_30default_config_static_selectorELNS0_4arch9wavefront6targetE1EEEvT1_,"axG",@progbits,_ZN7rocprim17ROCPRIM_400000_NS6detail17trampoline_kernelINS0_14default_configENS1_27scan_by_key_config_selectorIj11FixedVectorIiLj4EEEEZZNS1_16scan_by_key_implILNS1_25lookback_scan_determinismE0ELb1ES3_N6thrust23THRUST_200600_302600_NS6detail15normal_iteratorINSB_10device_ptrIjEEEENSD_INSE_IS6_EEEESI_S6_NSB_4plusIvEENSB_8equal_toIvEES6_EE10hipError_tPvRmT2_T3_T4_T5_mT6_T7_P12ihipStream_tbENKUlT_T0_E_clISt17integral_constantIbLb0EES13_EEDaSY_SZ_EUlSY_E_NS1_11comp_targetILNS1_3genE2ELNS1_11target_archE906ELNS1_3gpuE6ELNS1_3repE0EEENS1_30default_config_static_selectorELNS0_4arch9wavefront6targetE1EEEvT1_,comdat
.Lfunc_end2080:
	.size	_ZN7rocprim17ROCPRIM_400000_NS6detail17trampoline_kernelINS0_14default_configENS1_27scan_by_key_config_selectorIj11FixedVectorIiLj4EEEEZZNS1_16scan_by_key_implILNS1_25lookback_scan_determinismE0ELb1ES3_N6thrust23THRUST_200600_302600_NS6detail15normal_iteratorINSB_10device_ptrIjEEEENSD_INSE_IS6_EEEESI_S6_NSB_4plusIvEENSB_8equal_toIvEES6_EE10hipError_tPvRmT2_T3_T4_T5_mT6_T7_P12ihipStream_tbENKUlT_T0_E_clISt17integral_constantIbLb0EES13_EEDaSY_SZ_EUlSY_E_NS1_11comp_targetILNS1_3genE2ELNS1_11target_archE906ELNS1_3gpuE6ELNS1_3repE0EEENS1_30default_config_static_selectorELNS0_4arch9wavefront6targetE1EEEvT1_, .Lfunc_end2080-_ZN7rocprim17ROCPRIM_400000_NS6detail17trampoline_kernelINS0_14default_configENS1_27scan_by_key_config_selectorIj11FixedVectorIiLj4EEEEZZNS1_16scan_by_key_implILNS1_25lookback_scan_determinismE0ELb1ES3_N6thrust23THRUST_200600_302600_NS6detail15normal_iteratorINSB_10device_ptrIjEEEENSD_INSE_IS6_EEEESI_S6_NSB_4plusIvEENSB_8equal_toIvEES6_EE10hipError_tPvRmT2_T3_T4_T5_mT6_T7_P12ihipStream_tbENKUlT_T0_E_clISt17integral_constantIbLb0EES13_EEDaSY_SZ_EUlSY_E_NS1_11comp_targetILNS1_3genE2ELNS1_11target_archE906ELNS1_3gpuE6ELNS1_3repE0EEENS1_30default_config_static_selectorELNS0_4arch9wavefront6targetE1EEEvT1_
                                        ; -- End function
	.section	.AMDGPU.csdata,"",@progbits
; Kernel info:
; codeLenInByte = 0
; NumSgprs: 6
; NumVgprs: 0
; NumAgprs: 0
; TotalNumVgprs: 0
; ScratchSize: 0
; MemoryBound: 0
; FloatMode: 240
; IeeeMode: 1
; LDSByteSize: 0 bytes/workgroup (compile time only)
; SGPRBlocks: 0
; VGPRBlocks: 0
; NumSGPRsForWavesPerEU: 6
; NumVGPRsForWavesPerEU: 1
; AccumOffset: 4
; Occupancy: 8
; WaveLimiterHint : 0
; COMPUTE_PGM_RSRC2:SCRATCH_EN: 0
; COMPUTE_PGM_RSRC2:USER_SGPR: 2
; COMPUTE_PGM_RSRC2:TRAP_HANDLER: 0
; COMPUTE_PGM_RSRC2:TGID_X_EN: 1
; COMPUTE_PGM_RSRC2:TGID_Y_EN: 0
; COMPUTE_PGM_RSRC2:TGID_Z_EN: 0
; COMPUTE_PGM_RSRC2:TIDIG_COMP_CNT: 0
; COMPUTE_PGM_RSRC3_GFX90A:ACCUM_OFFSET: 0
; COMPUTE_PGM_RSRC3_GFX90A:TG_SPLIT: 0
	.section	.text._ZN7rocprim17ROCPRIM_400000_NS6detail17trampoline_kernelINS0_14default_configENS1_27scan_by_key_config_selectorIj11FixedVectorIiLj4EEEEZZNS1_16scan_by_key_implILNS1_25lookback_scan_determinismE0ELb1ES3_N6thrust23THRUST_200600_302600_NS6detail15normal_iteratorINSB_10device_ptrIjEEEENSD_INSE_IS6_EEEESI_S6_NSB_4plusIvEENSB_8equal_toIvEES6_EE10hipError_tPvRmT2_T3_T4_T5_mT6_T7_P12ihipStream_tbENKUlT_T0_E_clISt17integral_constantIbLb0EES13_EEDaSY_SZ_EUlSY_E_NS1_11comp_targetILNS1_3genE10ELNS1_11target_archE1200ELNS1_3gpuE4ELNS1_3repE0EEENS1_30default_config_static_selectorELNS0_4arch9wavefront6targetE1EEEvT1_,"axG",@progbits,_ZN7rocprim17ROCPRIM_400000_NS6detail17trampoline_kernelINS0_14default_configENS1_27scan_by_key_config_selectorIj11FixedVectorIiLj4EEEEZZNS1_16scan_by_key_implILNS1_25lookback_scan_determinismE0ELb1ES3_N6thrust23THRUST_200600_302600_NS6detail15normal_iteratorINSB_10device_ptrIjEEEENSD_INSE_IS6_EEEESI_S6_NSB_4plusIvEENSB_8equal_toIvEES6_EE10hipError_tPvRmT2_T3_T4_T5_mT6_T7_P12ihipStream_tbENKUlT_T0_E_clISt17integral_constantIbLb0EES13_EEDaSY_SZ_EUlSY_E_NS1_11comp_targetILNS1_3genE10ELNS1_11target_archE1200ELNS1_3gpuE4ELNS1_3repE0EEENS1_30default_config_static_selectorELNS0_4arch9wavefront6targetE1EEEvT1_,comdat
	.protected	_ZN7rocprim17ROCPRIM_400000_NS6detail17trampoline_kernelINS0_14default_configENS1_27scan_by_key_config_selectorIj11FixedVectorIiLj4EEEEZZNS1_16scan_by_key_implILNS1_25lookback_scan_determinismE0ELb1ES3_N6thrust23THRUST_200600_302600_NS6detail15normal_iteratorINSB_10device_ptrIjEEEENSD_INSE_IS6_EEEESI_S6_NSB_4plusIvEENSB_8equal_toIvEES6_EE10hipError_tPvRmT2_T3_T4_T5_mT6_T7_P12ihipStream_tbENKUlT_T0_E_clISt17integral_constantIbLb0EES13_EEDaSY_SZ_EUlSY_E_NS1_11comp_targetILNS1_3genE10ELNS1_11target_archE1200ELNS1_3gpuE4ELNS1_3repE0EEENS1_30default_config_static_selectorELNS0_4arch9wavefront6targetE1EEEvT1_ ; -- Begin function _ZN7rocprim17ROCPRIM_400000_NS6detail17trampoline_kernelINS0_14default_configENS1_27scan_by_key_config_selectorIj11FixedVectorIiLj4EEEEZZNS1_16scan_by_key_implILNS1_25lookback_scan_determinismE0ELb1ES3_N6thrust23THRUST_200600_302600_NS6detail15normal_iteratorINSB_10device_ptrIjEEEENSD_INSE_IS6_EEEESI_S6_NSB_4plusIvEENSB_8equal_toIvEES6_EE10hipError_tPvRmT2_T3_T4_T5_mT6_T7_P12ihipStream_tbENKUlT_T0_E_clISt17integral_constantIbLb0EES13_EEDaSY_SZ_EUlSY_E_NS1_11comp_targetILNS1_3genE10ELNS1_11target_archE1200ELNS1_3gpuE4ELNS1_3repE0EEENS1_30default_config_static_selectorELNS0_4arch9wavefront6targetE1EEEvT1_
	.globl	_ZN7rocprim17ROCPRIM_400000_NS6detail17trampoline_kernelINS0_14default_configENS1_27scan_by_key_config_selectorIj11FixedVectorIiLj4EEEEZZNS1_16scan_by_key_implILNS1_25lookback_scan_determinismE0ELb1ES3_N6thrust23THRUST_200600_302600_NS6detail15normal_iteratorINSB_10device_ptrIjEEEENSD_INSE_IS6_EEEESI_S6_NSB_4plusIvEENSB_8equal_toIvEES6_EE10hipError_tPvRmT2_T3_T4_T5_mT6_T7_P12ihipStream_tbENKUlT_T0_E_clISt17integral_constantIbLb0EES13_EEDaSY_SZ_EUlSY_E_NS1_11comp_targetILNS1_3genE10ELNS1_11target_archE1200ELNS1_3gpuE4ELNS1_3repE0EEENS1_30default_config_static_selectorELNS0_4arch9wavefront6targetE1EEEvT1_
	.p2align	8
	.type	_ZN7rocprim17ROCPRIM_400000_NS6detail17trampoline_kernelINS0_14default_configENS1_27scan_by_key_config_selectorIj11FixedVectorIiLj4EEEEZZNS1_16scan_by_key_implILNS1_25lookback_scan_determinismE0ELb1ES3_N6thrust23THRUST_200600_302600_NS6detail15normal_iteratorINSB_10device_ptrIjEEEENSD_INSE_IS6_EEEESI_S6_NSB_4plusIvEENSB_8equal_toIvEES6_EE10hipError_tPvRmT2_T3_T4_T5_mT6_T7_P12ihipStream_tbENKUlT_T0_E_clISt17integral_constantIbLb0EES13_EEDaSY_SZ_EUlSY_E_NS1_11comp_targetILNS1_3genE10ELNS1_11target_archE1200ELNS1_3gpuE4ELNS1_3repE0EEENS1_30default_config_static_selectorELNS0_4arch9wavefront6targetE1EEEvT1_,@function
_ZN7rocprim17ROCPRIM_400000_NS6detail17trampoline_kernelINS0_14default_configENS1_27scan_by_key_config_selectorIj11FixedVectorIiLj4EEEEZZNS1_16scan_by_key_implILNS1_25lookback_scan_determinismE0ELb1ES3_N6thrust23THRUST_200600_302600_NS6detail15normal_iteratorINSB_10device_ptrIjEEEENSD_INSE_IS6_EEEESI_S6_NSB_4plusIvEENSB_8equal_toIvEES6_EE10hipError_tPvRmT2_T3_T4_T5_mT6_T7_P12ihipStream_tbENKUlT_T0_E_clISt17integral_constantIbLb0EES13_EEDaSY_SZ_EUlSY_E_NS1_11comp_targetILNS1_3genE10ELNS1_11target_archE1200ELNS1_3gpuE4ELNS1_3repE0EEENS1_30default_config_static_selectorELNS0_4arch9wavefront6targetE1EEEvT1_: ; @_ZN7rocprim17ROCPRIM_400000_NS6detail17trampoline_kernelINS0_14default_configENS1_27scan_by_key_config_selectorIj11FixedVectorIiLj4EEEEZZNS1_16scan_by_key_implILNS1_25lookback_scan_determinismE0ELb1ES3_N6thrust23THRUST_200600_302600_NS6detail15normal_iteratorINSB_10device_ptrIjEEEENSD_INSE_IS6_EEEESI_S6_NSB_4plusIvEENSB_8equal_toIvEES6_EE10hipError_tPvRmT2_T3_T4_T5_mT6_T7_P12ihipStream_tbENKUlT_T0_E_clISt17integral_constantIbLb0EES13_EEDaSY_SZ_EUlSY_E_NS1_11comp_targetILNS1_3genE10ELNS1_11target_archE1200ELNS1_3gpuE4ELNS1_3repE0EEENS1_30default_config_static_selectorELNS0_4arch9wavefront6targetE1EEEvT1_
; %bb.0:
	.section	.rodata,"a",@progbits
	.p2align	6, 0x0
	.amdhsa_kernel _ZN7rocprim17ROCPRIM_400000_NS6detail17trampoline_kernelINS0_14default_configENS1_27scan_by_key_config_selectorIj11FixedVectorIiLj4EEEEZZNS1_16scan_by_key_implILNS1_25lookback_scan_determinismE0ELb1ES3_N6thrust23THRUST_200600_302600_NS6detail15normal_iteratorINSB_10device_ptrIjEEEENSD_INSE_IS6_EEEESI_S6_NSB_4plusIvEENSB_8equal_toIvEES6_EE10hipError_tPvRmT2_T3_T4_T5_mT6_T7_P12ihipStream_tbENKUlT_T0_E_clISt17integral_constantIbLb0EES13_EEDaSY_SZ_EUlSY_E_NS1_11comp_targetILNS1_3genE10ELNS1_11target_archE1200ELNS1_3gpuE4ELNS1_3repE0EEENS1_30default_config_static_selectorELNS0_4arch9wavefront6targetE1EEEvT1_
		.amdhsa_group_segment_fixed_size 0
		.amdhsa_private_segment_fixed_size 0
		.amdhsa_kernarg_size 144
		.amdhsa_user_sgpr_count 2
		.amdhsa_user_sgpr_dispatch_ptr 0
		.amdhsa_user_sgpr_queue_ptr 0
		.amdhsa_user_sgpr_kernarg_segment_ptr 1
		.amdhsa_user_sgpr_dispatch_id 0
		.amdhsa_user_sgpr_kernarg_preload_length 0
		.amdhsa_user_sgpr_kernarg_preload_offset 0
		.amdhsa_user_sgpr_private_segment_size 0
		.amdhsa_uses_dynamic_stack 0
		.amdhsa_enable_private_segment 0
		.amdhsa_system_sgpr_workgroup_id_x 1
		.amdhsa_system_sgpr_workgroup_id_y 0
		.amdhsa_system_sgpr_workgroup_id_z 0
		.amdhsa_system_sgpr_workgroup_info 0
		.amdhsa_system_vgpr_workitem_id 0
		.amdhsa_next_free_vgpr 1
		.amdhsa_next_free_sgpr 0
		.amdhsa_accum_offset 4
		.amdhsa_reserve_vcc 0
		.amdhsa_float_round_mode_32 0
		.amdhsa_float_round_mode_16_64 0
		.amdhsa_float_denorm_mode_32 3
		.amdhsa_float_denorm_mode_16_64 3
		.amdhsa_dx10_clamp 1
		.amdhsa_ieee_mode 1
		.amdhsa_fp16_overflow 0
		.amdhsa_tg_split 0
		.amdhsa_exception_fp_ieee_invalid_op 0
		.amdhsa_exception_fp_denorm_src 0
		.amdhsa_exception_fp_ieee_div_zero 0
		.amdhsa_exception_fp_ieee_overflow 0
		.amdhsa_exception_fp_ieee_underflow 0
		.amdhsa_exception_fp_ieee_inexact 0
		.amdhsa_exception_int_div_zero 0
	.end_amdhsa_kernel
	.section	.text._ZN7rocprim17ROCPRIM_400000_NS6detail17trampoline_kernelINS0_14default_configENS1_27scan_by_key_config_selectorIj11FixedVectorIiLj4EEEEZZNS1_16scan_by_key_implILNS1_25lookback_scan_determinismE0ELb1ES3_N6thrust23THRUST_200600_302600_NS6detail15normal_iteratorINSB_10device_ptrIjEEEENSD_INSE_IS6_EEEESI_S6_NSB_4plusIvEENSB_8equal_toIvEES6_EE10hipError_tPvRmT2_T3_T4_T5_mT6_T7_P12ihipStream_tbENKUlT_T0_E_clISt17integral_constantIbLb0EES13_EEDaSY_SZ_EUlSY_E_NS1_11comp_targetILNS1_3genE10ELNS1_11target_archE1200ELNS1_3gpuE4ELNS1_3repE0EEENS1_30default_config_static_selectorELNS0_4arch9wavefront6targetE1EEEvT1_,"axG",@progbits,_ZN7rocprim17ROCPRIM_400000_NS6detail17trampoline_kernelINS0_14default_configENS1_27scan_by_key_config_selectorIj11FixedVectorIiLj4EEEEZZNS1_16scan_by_key_implILNS1_25lookback_scan_determinismE0ELb1ES3_N6thrust23THRUST_200600_302600_NS6detail15normal_iteratorINSB_10device_ptrIjEEEENSD_INSE_IS6_EEEESI_S6_NSB_4plusIvEENSB_8equal_toIvEES6_EE10hipError_tPvRmT2_T3_T4_T5_mT6_T7_P12ihipStream_tbENKUlT_T0_E_clISt17integral_constantIbLb0EES13_EEDaSY_SZ_EUlSY_E_NS1_11comp_targetILNS1_3genE10ELNS1_11target_archE1200ELNS1_3gpuE4ELNS1_3repE0EEENS1_30default_config_static_selectorELNS0_4arch9wavefront6targetE1EEEvT1_,comdat
.Lfunc_end2081:
	.size	_ZN7rocprim17ROCPRIM_400000_NS6detail17trampoline_kernelINS0_14default_configENS1_27scan_by_key_config_selectorIj11FixedVectorIiLj4EEEEZZNS1_16scan_by_key_implILNS1_25lookback_scan_determinismE0ELb1ES3_N6thrust23THRUST_200600_302600_NS6detail15normal_iteratorINSB_10device_ptrIjEEEENSD_INSE_IS6_EEEESI_S6_NSB_4plusIvEENSB_8equal_toIvEES6_EE10hipError_tPvRmT2_T3_T4_T5_mT6_T7_P12ihipStream_tbENKUlT_T0_E_clISt17integral_constantIbLb0EES13_EEDaSY_SZ_EUlSY_E_NS1_11comp_targetILNS1_3genE10ELNS1_11target_archE1200ELNS1_3gpuE4ELNS1_3repE0EEENS1_30default_config_static_selectorELNS0_4arch9wavefront6targetE1EEEvT1_, .Lfunc_end2081-_ZN7rocprim17ROCPRIM_400000_NS6detail17trampoline_kernelINS0_14default_configENS1_27scan_by_key_config_selectorIj11FixedVectorIiLj4EEEEZZNS1_16scan_by_key_implILNS1_25lookback_scan_determinismE0ELb1ES3_N6thrust23THRUST_200600_302600_NS6detail15normal_iteratorINSB_10device_ptrIjEEEENSD_INSE_IS6_EEEESI_S6_NSB_4plusIvEENSB_8equal_toIvEES6_EE10hipError_tPvRmT2_T3_T4_T5_mT6_T7_P12ihipStream_tbENKUlT_T0_E_clISt17integral_constantIbLb0EES13_EEDaSY_SZ_EUlSY_E_NS1_11comp_targetILNS1_3genE10ELNS1_11target_archE1200ELNS1_3gpuE4ELNS1_3repE0EEENS1_30default_config_static_selectorELNS0_4arch9wavefront6targetE1EEEvT1_
                                        ; -- End function
	.section	.AMDGPU.csdata,"",@progbits
; Kernel info:
; codeLenInByte = 0
; NumSgprs: 6
; NumVgprs: 0
; NumAgprs: 0
; TotalNumVgprs: 0
; ScratchSize: 0
; MemoryBound: 0
; FloatMode: 240
; IeeeMode: 1
; LDSByteSize: 0 bytes/workgroup (compile time only)
; SGPRBlocks: 0
; VGPRBlocks: 0
; NumSGPRsForWavesPerEU: 6
; NumVGPRsForWavesPerEU: 1
; AccumOffset: 4
; Occupancy: 8
; WaveLimiterHint : 0
; COMPUTE_PGM_RSRC2:SCRATCH_EN: 0
; COMPUTE_PGM_RSRC2:USER_SGPR: 2
; COMPUTE_PGM_RSRC2:TRAP_HANDLER: 0
; COMPUTE_PGM_RSRC2:TGID_X_EN: 1
; COMPUTE_PGM_RSRC2:TGID_Y_EN: 0
; COMPUTE_PGM_RSRC2:TGID_Z_EN: 0
; COMPUTE_PGM_RSRC2:TIDIG_COMP_CNT: 0
; COMPUTE_PGM_RSRC3_GFX90A:ACCUM_OFFSET: 0
; COMPUTE_PGM_RSRC3_GFX90A:TG_SPLIT: 0
	.section	.text._ZN7rocprim17ROCPRIM_400000_NS6detail17trampoline_kernelINS0_14default_configENS1_27scan_by_key_config_selectorIj11FixedVectorIiLj4EEEEZZNS1_16scan_by_key_implILNS1_25lookback_scan_determinismE0ELb1ES3_N6thrust23THRUST_200600_302600_NS6detail15normal_iteratorINSB_10device_ptrIjEEEENSD_INSE_IS6_EEEESI_S6_NSB_4plusIvEENSB_8equal_toIvEES6_EE10hipError_tPvRmT2_T3_T4_T5_mT6_T7_P12ihipStream_tbENKUlT_T0_E_clISt17integral_constantIbLb0EES13_EEDaSY_SZ_EUlSY_E_NS1_11comp_targetILNS1_3genE9ELNS1_11target_archE1100ELNS1_3gpuE3ELNS1_3repE0EEENS1_30default_config_static_selectorELNS0_4arch9wavefront6targetE1EEEvT1_,"axG",@progbits,_ZN7rocprim17ROCPRIM_400000_NS6detail17trampoline_kernelINS0_14default_configENS1_27scan_by_key_config_selectorIj11FixedVectorIiLj4EEEEZZNS1_16scan_by_key_implILNS1_25lookback_scan_determinismE0ELb1ES3_N6thrust23THRUST_200600_302600_NS6detail15normal_iteratorINSB_10device_ptrIjEEEENSD_INSE_IS6_EEEESI_S6_NSB_4plusIvEENSB_8equal_toIvEES6_EE10hipError_tPvRmT2_T3_T4_T5_mT6_T7_P12ihipStream_tbENKUlT_T0_E_clISt17integral_constantIbLb0EES13_EEDaSY_SZ_EUlSY_E_NS1_11comp_targetILNS1_3genE9ELNS1_11target_archE1100ELNS1_3gpuE3ELNS1_3repE0EEENS1_30default_config_static_selectorELNS0_4arch9wavefront6targetE1EEEvT1_,comdat
	.protected	_ZN7rocprim17ROCPRIM_400000_NS6detail17trampoline_kernelINS0_14default_configENS1_27scan_by_key_config_selectorIj11FixedVectorIiLj4EEEEZZNS1_16scan_by_key_implILNS1_25lookback_scan_determinismE0ELb1ES3_N6thrust23THRUST_200600_302600_NS6detail15normal_iteratorINSB_10device_ptrIjEEEENSD_INSE_IS6_EEEESI_S6_NSB_4plusIvEENSB_8equal_toIvEES6_EE10hipError_tPvRmT2_T3_T4_T5_mT6_T7_P12ihipStream_tbENKUlT_T0_E_clISt17integral_constantIbLb0EES13_EEDaSY_SZ_EUlSY_E_NS1_11comp_targetILNS1_3genE9ELNS1_11target_archE1100ELNS1_3gpuE3ELNS1_3repE0EEENS1_30default_config_static_selectorELNS0_4arch9wavefront6targetE1EEEvT1_ ; -- Begin function _ZN7rocprim17ROCPRIM_400000_NS6detail17trampoline_kernelINS0_14default_configENS1_27scan_by_key_config_selectorIj11FixedVectorIiLj4EEEEZZNS1_16scan_by_key_implILNS1_25lookback_scan_determinismE0ELb1ES3_N6thrust23THRUST_200600_302600_NS6detail15normal_iteratorINSB_10device_ptrIjEEEENSD_INSE_IS6_EEEESI_S6_NSB_4plusIvEENSB_8equal_toIvEES6_EE10hipError_tPvRmT2_T3_T4_T5_mT6_T7_P12ihipStream_tbENKUlT_T0_E_clISt17integral_constantIbLb0EES13_EEDaSY_SZ_EUlSY_E_NS1_11comp_targetILNS1_3genE9ELNS1_11target_archE1100ELNS1_3gpuE3ELNS1_3repE0EEENS1_30default_config_static_selectorELNS0_4arch9wavefront6targetE1EEEvT1_
	.globl	_ZN7rocprim17ROCPRIM_400000_NS6detail17trampoline_kernelINS0_14default_configENS1_27scan_by_key_config_selectorIj11FixedVectorIiLj4EEEEZZNS1_16scan_by_key_implILNS1_25lookback_scan_determinismE0ELb1ES3_N6thrust23THRUST_200600_302600_NS6detail15normal_iteratorINSB_10device_ptrIjEEEENSD_INSE_IS6_EEEESI_S6_NSB_4plusIvEENSB_8equal_toIvEES6_EE10hipError_tPvRmT2_T3_T4_T5_mT6_T7_P12ihipStream_tbENKUlT_T0_E_clISt17integral_constantIbLb0EES13_EEDaSY_SZ_EUlSY_E_NS1_11comp_targetILNS1_3genE9ELNS1_11target_archE1100ELNS1_3gpuE3ELNS1_3repE0EEENS1_30default_config_static_selectorELNS0_4arch9wavefront6targetE1EEEvT1_
	.p2align	8
	.type	_ZN7rocprim17ROCPRIM_400000_NS6detail17trampoline_kernelINS0_14default_configENS1_27scan_by_key_config_selectorIj11FixedVectorIiLj4EEEEZZNS1_16scan_by_key_implILNS1_25lookback_scan_determinismE0ELb1ES3_N6thrust23THRUST_200600_302600_NS6detail15normal_iteratorINSB_10device_ptrIjEEEENSD_INSE_IS6_EEEESI_S6_NSB_4plusIvEENSB_8equal_toIvEES6_EE10hipError_tPvRmT2_T3_T4_T5_mT6_T7_P12ihipStream_tbENKUlT_T0_E_clISt17integral_constantIbLb0EES13_EEDaSY_SZ_EUlSY_E_NS1_11comp_targetILNS1_3genE9ELNS1_11target_archE1100ELNS1_3gpuE3ELNS1_3repE0EEENS1_30default_config_static_selectorELNS0_4arch9wavefront6targetE1EEEvT1_,@function
_ZN7rocprim17ROCPRIM_400000_NS6detail17trampoline_kernelINS0_14default_configENS1_27scan_by_key_config_selectorIj11FixedVectorIiLj4EEEEZZNS1_16scan_by_key_implILNS1_25lookback_scan_determinismE0ELb1ES3_N6thrust23THRUST_200600_302600_NS6detail15normal_iteratorINSB_10device_ptrIjEEEENSD_INSE_IS6_EEEESI_S6_NSB_4plusIvEENSB_8equal_toIvEES6_EE10hipError_tPvRmT2_T3_T4_T5_mT6_T7_P12ihipStream_tbENKUlT_T0_E_clISt17integral_constantIbLb0EES13_EEDaSY_SZ_EUlSY_E_NS1_11comp_targetILNS1_3genE9ELNS1_11target_archE1100ELNS1_3gpuE3ELNS1_3repE0EEENS1_30default_config_static_selectorELNS0_4arch9wavefront6targetE1EEEvT1_: ; @_ZN7rocprim17ROCPRIM_400000_NS6detail17trampoline_kernelINS0_14default_configENS1_27scan_by_key_config_selectorIj11FixedVectorIiLj4EEEEZZNS1_16scan_by_key_implILNS1_25lookback_scan_determinismE0ELb1ES3_N6thrust23THRUST_200600_302600_NS6detail15normal_iteratorINSB_10device_ptrIjEEEENSD_INSE_IS6_EEEESI_S6_NSB_4plusIvEENSB_8equal_toIvEES6_EE10hipError_tPvRmT2_T3_T4_T5_mT6_T7_P12ihipStream_tbENKUlT_T0_E_clISt17integral_constantIbLb0EES13_EEDaSY_SZ_EUlSY_E_NS1_11comp_targetILNS1_3genE9ELNS1_11target_archE1100ELNS1_3gpuE3ELNS1_3repE0EEENS1_30default_config_static_selectorELNS0_4arch9wavefront6targetE1EEEvT1_
; %bb.0:
	.section	.rodata,"a",@progbits
	.p2align	6, 0x0
	.amdhsa_kernel _ZN7rocprim17ROCPRIM_400000_NS6detail17trampoline_kernelINS0_14default_configENS1_27scan_by_key_config_selectorIj11FixedVectorIiLj4EEEEZZNS1_16scan_by_key_implILNS1_25lookback_scan_determinismE0ELb1ES3_N6thrust23THRUST_200600_302600_NS6detail15normal_iteratorINSB_10device_ptrIjEEEENSD_INSE_IS6_EEEESI_S6_NSB_4plusIvEENSB_8equal_toIvEES6_EE10hipError_tPvRmT2_T3_T4_T5_mT6_T7_P12ihipStream_tbENKUlT_T0_E_clISt17integral_constantIbLb0EES13_EEDaSY_SZ_EUlSY_E_NS1_11comp_targetILNS1_3genE9ELNS1_11target_archE1100ELNS1_3gpuE3ELNS1_3repE0EEENS1_30default_config_static_selectorELNS0_4arch9wavefront6targetE1EEEvT1_
		.amdhsa_group_segment_fixed_size 0
		.amdhsa_private_segment_fixed_size 0
		.amdhsa_kernarg_size 144
		.amdhsa_user_sgpr_count 2
		.amdhsa_user_sgpr_dispatch_ptr 0
		.amdhsa_user_sgpr_queue_ptr 0
		.amdhsa_user_sgpr_kernarg_segment_ptr 1
		.amdhsa_user_sgpr_dispatch_id 0
		.amdhsa_user_sgpr_kernarg_preload_length 0
		.amdhsa_user_sgpr_kernarg_preload_offset 0
		.amdhsa_user_sgpr_private_segment_size 0
		.amdhsa_uses_dynamic_stack 0
		.amdhsa_enable_private_segment 0
		.amdhsa_system_sgpr_workgroup_id_x 1
		.amdhsa_system_sgpr_workgroup_id_y 0
		.amdhsa_system_sgpr_workgroup_id_z 0
		.amdhsa_system_sgpr_workgroup_info 0
		.amdhsa_system_vgpr_workitem_id 0
		.amdhsa_next_free_vgpr 1
		.amdhsa_next_free_sgpr 0
		.amdhsa_accum_offset 4
		.amdhsa_reserve_vcc 0
		.amdhsa_float_round_mode_32 0
		.amdhsa_float_round_mode_16_64 0
		.amdhsa_float_denorm_mode_32 3
		.amdhsa_float_denorm_mode_16_64 3
		.amdhsa_dx10_clamp 1
		.amdhsa_ieee_mode 1
		.amdhsa_fp16_overflow 0
		.amdhsa_tg_split 0
		.amdhsa_exception_fp_ieee_invalid_op 0
		.amdhsa_exception_fp_denorm_src 0
		.amdhsa_exception_fp_ieee_div_zero 0
		.amdhsa_exception_fp_ieee_overflow 0
		.amdhsa_exception_fp_ieee_underflow 0
		.amdhsa_exception_fp_ieee_inexact 0
		.amdhsa_exception_int_div_zero 0
	.end_amdhsa_kernel
	.section	.text._ZN7rocprim17ROCPRIM_400000_NS6detail17trampoline_kernelINS0_14default_configENS1_27scan_by_key_config_selectorIj11FixedVectorIiLj4EEEEZZNS1_16scan_by_key_implILNS1_25lookback_scan_determinismE0ELb1ES3_N6thrust23THRUST_200600_302600_NS6detail15normal_iteratorINSB_10device_ptrIjEEEENSD_INSE_IS6_EEEESI_S6_NSB_4plusIvEENSB_8equal_toIvEES6_EE10hipError_tPvRmT2_T3_T4_T5_mT6_T7_P12ihipStream_tbENKUlT_T0_E_clISt17integral_constantIbLb0EES13_EEDaSY_SZ_EUlSY_E_NS1_11comp_targetILNS1_3genE9ELNS1_11target_archE1100ELNS1_3gpuE3ELNS1_3repE0EEENS1_30default_config_static_selectorELNS0_4arch9wavefront6targetE1EEEvT1_,"axG",@progbits,_ZN7rocprim17ROCPRIM_400000_NS6detail17trampoline_kernelINS0_14default_configENS1_27scan_by_key_config_selectorIj11FixedVectorIiLj4EEEEZZNS1_16scan_by_key_implILNS1_25lookback_scan_determinismE0ELb1ES3_N6thrust23THRUST_200600_302600_NS6detail15normal_iteratorINSB_10device_ptrIjEEEENSD_INSE_IS6_EEEESI_S6_NSB_4plusIvEENSB_8equal_toIvEES6_EE10hipError_tPvRmT2_T3_T4_T5_mT6_T7_P12ihipStream_tbENKUlT_T0_E_clISt17integral_constantIbLb0EES13_EEDaSY_SZ_EUlSY_E_NS1_11comp_targetILNS1_3genE9ELNS1_11target_archE1100ELNS1_3gpuE3ELNS1_3repE0EEENS1_30default_config_static_selectorELNS0_4arch9wavefront6targetE1EEEvT1_,comdat
.Lfunc_end2082:
	.size	_ZN7rocprim17ROCPRIM_400000_NS6detail17trampoline_kernelINS0_14default_configENS1_27scan_by_key_config_selectorIj11FixedVectorIiLj4EEEEZZNS1_16scan_by_key_implILNS1_25lookback_scan_determinismE0ELb1ES3_N6thrust23THRUST_200600_302600_NS6detail15normal_iteratorINSB_10device_ptrIjEEEENSD_INSE_IS6_EEEESI_S6_NSB_4plusIvEENSB_8equal_toIvEES6_EE10hipError_tPvRmT2_T3_T4_T5_mT6_T7_P12ihipStream_tbENKUlT_T0_E_clISt17integral_constantIbLb0EES13_EEDaSY_SZ_EUlSY_E_NS1_11comp_targetILNS1_3genE9ELNS1_11target_archE1100ELNS1_3gpuE3ELNS1_3repE0EEENS1_30default_config_static_selectorELNS0_4arch9wavefront6targetE1EEEvT1_, .Lfunc_end2082-_ZN7rocprim17ROCPRIM_400000_NS6detail17trampoline_kernelINS0_14default_configENS1_27scan_by_key_config_selectorIj11FixedVectorIiLj4EEEEZZNS1_16scan_by_key_implILNS1_25lookback_scan_determinismE0ELb1ES3_N6thrust23THRUST_200600_302600_NS6detail15normal_iteratorINSB_10device_ptrIjEEEENSD_INSE_IS6_EEEESI_S6_NSB_4plusIvEENSB_8equal_toIvEES6_EE10hipError_tPvRmT2_T3_T4_T5_mT6_T7_P12ihipStream_tbENKUlT_T0_E_clISt17integral_constantIbLb0EES13_EEDaSY_SZ_EUlSY_E_NS1_11comp_targetILNS1_3genE9ELNS1_11target_archE1100ELNS1_3gpuE3ELNS1_3repE0EEENS1_30default_config_static_selectorELNS0_4arch9wavefront6targetE1EEEvT1_
                                        ; -- End function
	.section	.AMDGPU.csdata,"",@progbits
; Kernel info:
; codeLenInByte = 0
; NumSgprs: 6
; NumVgprs: 0
; NumAgprs: 0
; TotalNumVgprs: 0
; ScratchSize: 0
; MemoryBound: 0
; FloatMode: 240
; IeeeMode: 1
; LDSByteSize: 0 bytes/workgroup (compile time only)
; SGPRBlocks: 0
; VGPRBlocks: 0
; NumSGPRsForWavesPerEU: 6
; NumVGPRsForWavesPerEU: 1
; AccumOffset: 4
; Occupancy: 8
; WaveLimiterHint : 0
; COMPUTE_PGM_RSRC2:SCRATCH_EN: 0
; COMPUTE_PGM_RSRC2:USER_SGPR: 2
; COMPUTE_PGM_RSRC2:TRAP_HANDLER: 0
; COMPUTE_PGM_RSRC2:TGID_X_EN: 1
; COMPUTE_PGM_RSRC2:TGID_Y_EN: 0
; COMPUTE_PGM_RSRC2:TGID_Z_EN: 0
; COMPUTE_PGM_RSRC2:TIDIG_COMP_CNT: 0
; COMPUTE_PGM_RSRC3_GFX90A:ACCUM_OFFSET: 0
; COMPUTE_PGM_RSRC3_GFX90A:TG_SPLIT: 0
	.section	.text._ZN7rocprim17ROCPRIM_400000_NS6detail17trampoline_kernelINS0_14default_configENS1_27scan_by_key_config_selectorIj11FixedVectorIiLj4EEEEZZNS1_16scan_by_key_implILNS1_25lookback_scan_determinismE0ELb1ES3_N6thrust23THRUST_200600_302600_NS6detail15normal_iteratorINSB_10device_ptrIjEEEENSD_INSE_IS6_EEEESI_S6_NSB_4plusIvEENSB_8equal_toIvEES6_EE10hipError_tPvRmT2_T3_T4_T5_mT6_T7_P12ihipStream_tbENKUlT_T0_E_clISt17integral_constantIbLb0EES13_EEDaSY_SZ_EUlSY_E_NS1_11comp_targetILNS1_3genE8ELNS1_11target_archE1030ELNS1_3gpuE2ELNS1_3repE0EEENS1_30default_config_static_selectorELNS0_4arch9wavefront6targetE1EEEvT1_,"axG",@progbits,_ZN7rocprim17ROCPRIM_400000_NS6detail17trampoline_kernelINS0_14default_configENS1_27scan_by_key_config_selectorIj11FixedVectorIiLj4EEEEZZNS1_16scan_by_key_implILNS1_25lookback_scan_determinismE0ELb1ES3_N6thrust23THRUST_200600_302600_NS6detail15normal_iteratorINSB_10device_ptrIjEEEENSD_INSE_IS6_EEEESI_S6_NSB_4plusIvEENSB_8equal_toIvEES6_EE10hipError_tPvRmT2_T3_T4_T5_mT6_T7_P12ihipStream_tbENKUlT_T0_E_clISt17integral_constantIbLb0EES13_EEDaSY_SZ_EUlSY_E_NS1_11comp_targetILNS1_3genE8ELNS1_11target_archE1030ELNS1_3gpuE2ELNS1_3repE0EEENS1_30default_config_static_selectorELNS0_4arch9wavefront6targetE1EEEvT1_,comdat
	.protected	_ZN7rocprim17ROCPRIM_400000_NS6detail17trampoline_kernelINS0_14default_configENS1_27scan_by_key_config_selectorIj11FixedVectorIiLj4EEEEZZNS1_16scan_by_key_implILNS1_25lookback_scan_determinismE0ELb1ES3_N6thrust23THRUST_200600_302600_NS6detail15normal_iteratorINSB_10device_ptrIjEEEENSD_INSE_IS6_EEEESI_S6_NSB_4plusIvEENSB_8equal_toIvEES6_EE10hipError_tPvRmT2_T3_T4_T5_mT6_T7_P12ihipStream_tbENKUlT_T0_E_clISt17integral_constantIbLb0EES13_EEDaSY_SZ_EUlSY_E_NS1_11comp_targetILNS1_3genE8ELNS1_11target_archE1030ELNS1_3gpuE2ELNS1_3repE0EEENS1_30default_config_static_selectorELNS0_4arch9wavefront6targetE1EEEvT1_ ; -- Begin function _ZN7rocprim17ROCPRIM_400000_NS6detail17trampoline_kernelINS0_14default_configENS1_27scan_by_key_config_selectorIj11FixedVectorIiLj4EEEEZZNS1_16scan_by_key_implILNS1_25lookback_scan_determinismE0ELb1ES3_N6thrust23THRUST_200600_302600_NS6detail15normal_iteratorINSB_10device_ptrIjEEEENSD_INSE_IS6_EEEESI_S6_NSB_4plusIvEENSB_8equal_toIvEES6_EE10hipError_tPvRmT2_T3_T4_T5_mT6_T7_P12ihipStream_tbENKUlT_T0_E_clISt17integral_constantIbLb0EES13_EEDaSY_SZ_EUlSY_E_NS1_11comp_targetILNS1_3genE8ELNS1_11target_archE1030ELNS1_3gpuE2ELNS1_3repE0EEENS1_30default_config_static_selectorELNS0_4arch9wavefront6targetE1EEEvT1_
	.globl	_ZN7rocprim17ROCPRIM_400000_NS6detail17trampoline_kernelINS0_14default_configENS1_27scan_by_key_config_selectorIj11FixedVectorIiLj4EEEEZZNS1_16scan_by_key_implILNS1_25lookback_scan_determinismE0ELb1ES3_N6thrust23THRUST_200600_302600_NS6detail15normal_iteratorINSB_10device_ptrIjEEEENSD_INSE_IS6_EEEESI_S6_NSB_4plusIvEENSB_8equal_toIvEES6_EE10hipError_tPvRmT2_T3_T4_T5_mT6_T7_P12ihipStream_tbENKUlT_T0_E_clISt17integral_constantIbLb0EES13_EEDaSY_SZ_EUlSY_E_NS1_11comp_targetILNS1_3genE8ELNS1_11target_archE1030ELNS1_3gpuE2ELNS1_3repE0EEENS1_30default_config_static_selectorELNS0_4arch9wavefront6targetE1EEEvT1_
	.p2align	8
	.type	_ZN7rocprim17ROCPRIM_400000_NS6detail17trampoline_kernelINS0_14default_configENS1_27scan_by_key_config_selectorIj11FixedVectorIiLj4EEEEZZNS1_16scan_by_key_implILNS1_25lookback_scan_determinismE0ELb1ES3_N6thrust23THRUST_200600_302600_NS6detail15normal_iteratorINSB_10device_ptrIjEEEENSD_INSE_IS6_EEEESI_S6_NSB_4plusIvEENSB_8equal_toIvEES6_EE10hipError_tPvRmT2_T3_T4_T5_mT6_T7_P12ihipStream_tbENKUlT_T0_E_clISt17integral_constantIbLb0EES13_EEDaSY_SZ_EUlSY_E_NS1_11comp_targetILNS1_3genE8ELNS1_11target_archE1030ELNS1_3gpuE2ELNS1_3repE0EEENS1_30default_config_static_selectorELNS0_4arch9wavefront6targetE1EEEvT1_,@function
_ZN7rocprim17ROCPRIM_400000_NS6detail17trampoline_kernelINS0_14default_configENS1_27scan_by_key_config_selectorIj11FixedVectorIiLj4EEEEZZNS1_16scan_by_key_implILNS1_25lookback_scan_determinismE0ELb1ES3_N6thrust23THRUST_200600_302600_NS6detail15normal_iteratorINSB_10device_ptrIjEEEENSD_INSE_IS6_EEEESI_S6_NSB_4plusIvEENSB_8equal_toIvEES6_EE10hipError_tPvRmT2_T3_T4_T5_mT6_T7_P12ihipStream_tbENKUlT_T0_E_clISt17integral_constantIbLb0EES13_EEDaSY_SZ_EUlSY_E_NS1_11comp_targetILNS1_3genE8ELNS1_11target_archE1030ELNS1_3gpuE2ELNS1_3repE0EEENS1_30default_config_static_selectorELNS0_4arch9wavefront6targetE1EEEvT1_: ; @_ZN7rocprim17ROCPRIM_400000_NS6detail17trampoline_kernelINS0_14default_configENS1_27scan_by_key_config_selectorIj11FixedVectorIiLj4EEEEZZNS1_16scan_by_key_implILNS1_25lookback_scan_determinismE0ELb1ES3_N6thrust23THRUST_200600_302600_NS6detail15normal_iteratorINSB_10device_ptrIjEEEENSD_INSE_IS6_EEEESI_S6_NSB_4plusIvEENSB_8equal_toIvEES6_EE10hipError_tPvRmT2_T3_T4_T5_mT6_T7_P12ihipStream_tbENKUlT_T0_E_clISt17integral_constantIbLb0EES13_EEDaSY_SZ_EUlSY_E_NS1_11comp_targetILNS1_3genE8ELNS1_11target_archE1030ELNS1_3gpuE2ELNS1_3repE0EEENS1_30default_config_static_selectorELNS0_4arch9wavefront6targetE1EEEvT1_
; %bb.0:
	.section	.rodata,"a",@progbits
	.p2align	6, 0x0
	.amdhsa_kernel _ZN7rocprim17ROCPRIM_400000_NS6detail17trampoline_kernelINS0_14default_configENS1_27scan_by_key_config_selectorIj11FixedVectorIiLj4EEEEZZNS1_16scan_by_key_implILNS1_25lookback_scan_determinismE0ELb1ES3_N6thrust23THRUST_200600_302600_NS6detail15normal_iteratorINSB_10device_ptrIjEEEENSD_INSE_IS6_EEEESI_S6_NSB_4plusIvEENSB_8equal_toIvEES6_EE10hipError_tPvRmT2_T3_T4_T5_mT6_T7_P12ihipStream_tbENKUlT_T0_E_clISt17integral_constantIbLb0EES13_EEDaSY_SZ_EUlSY_E_NS1_11comp_targetILNS1_3genE8ELNS1_11target_archE1030ELNS1_3gpuE2ELNS1_3repE0EEENS1_30default_config_static_selectorELNS0_4arch9wavefront6targetE1EEEvT1_
		.amdhsa_group_segment_fixed_size 0
		.amdhsa_private_segment_fixed_size 0
		.amdhsa_kernarg_size 144
		.amdhsa_user_sgpr_count 2
		.amdhsa_user_sgpr_dispatch_ptr 0
		.amdhsa_user_sgpr_queue_ptr 0
		.amdhsa_user_sgpr_kernarg_segment_ptr 1
		.amdhsa_user_sgpr_dispatch_id 0
		.amdhsa_user_sgpr_kernarg_preload_length 0
		.amdhsa_user_sgpr_kernarg_preload_offset 0
		.amdhsa_user_sgpr_private_segment_size 0
		.amdhsa_uses_dynamic_stack 0
		.amdhsa_enable_private_segment 0
		.amdhsa_system_sgpr_workgroup_id_x 1
		.amdhsa_system_sgpr_workgroup_id_y 0
		.amdhsa_system_sgpr_workgroup_id_z 0
		.amdhsa_system_sgpr_workgroup_info 0
		.amdhsa_system_vgpr_workitem_id 0
		.amdhsa_next_free_vgpr 1
		.amdhsa_next_free_sgpr 0
		.amdhsa_accum_offset 4
		.amdhsa_reserve_vcc 0
		.amdhsa_float_round_mode_32 0
		.amdhsa_float_round_mode_16_64 0
		.amdhsa_float_denorm_mode_32 3
		.amdhsa_float_denorm_mode_16_64 3
		.amdhsa_dx10_clamp 1
		.amdhsa_ieee_mode 1
		.amdhsa_fp16_overflow 0
		.amdhsa_tg_split 0
		.amdhsa_exception_fp_ieee_invalid_op 0
		.amdhsa_exception_fp_denorm_src 0
		.amdhsa_exception_fp_ieee_div_zero 0
		.amdhsa_exception_fp_ieee_overflow 0
		.amdhsa_exception_fp_ieee_underflow 0
		.amdhsa_exception_fp_ieee_inexact 0
		.amdhsa_exception_int_div_zero 0
	.end_amdhsa_kernel
	.section	.text._ZN7rocprim17ROCPRIM_400000_NS6detail17trampoline_kernelINS0_14default_configENS1_27scan_by_key_config_selectorIj11FixedVectorIiLj4EEEEZZNS1_16scan_by_key_implILNS1_25lookback_scan_determinismE0ELb1ES3_N6thrust23THRUST_200600_302600_NS6detail15normal_iteratorINSB_10device_ptrIjEEEENSD_INSE_IS6_EEEESI_S6_NSB_4plusIvEENSB_8equal_toIvEES6_EE10hipError_tPvRmT2_T3_T4_T5_mT6_T7_P12ihipStream_tbENKUlT_T0_E_clISt17integral_constantIbLb0EES13_EEDaSY_SZ_EUlSY_E_NS1_11comp_targetILNS1_3genE8ELNS1_11target_archE1030ELNS1_3gpuE2ELNS1_3repE0EEENS1_30default_config_static_selectorELNS0_4arch9wavefront6targetE1EEEvT1_,"axG",@progbits,_ZN7rocprim17ROCPRIM_400000_NS6detail17trampoline_kernelINS0_14default_configENS1_27scan_by_key_config_selectorIj11FixedVectorIiLj4EEEEZZNS1_16scan_by_key_implILNS1_25lookback_scan_determinismE0ELb1ES3_N6thrust23THRUST_200600_302600_NS6detail15normal_iteratorINSB_10device_ptrIjEEEENSD_INSE_IS6_EEEESI_S6_NSB_4plusIvEENSB_8equal_toIvEES6_EE10hipError_tPvRmT2_T3_T4_T5_mT6_T7_P12ihipStream_tbENKUlT_T0_E_clISt17integral_constantIbLb0EES13_EEDaSY_SZ_EUlSY_E_NS1_11comp_targetILNS1_3genE8ELNS1_11target_archE1030ELNS1_3gpuE2ELNS1_3repE0EEENS1_30default_config_static_selectorELNS0_4arch9wavefront6targetE1EEEvT1_,comdat
.Lfunc_end2083:
	.size	_ZN7rocprim17ROCPRIM_400000_NS6detail17trampoline_kernelINS0_14default_configENS1_27scan_by_key_config_selectorIj11FixedVectorIiLj4EEEEZZNS1_16scan_by_key_implILNS1_25lookback_scan_determinismE0ELb1ES3_N6thrust23THRUST_200600_302600_NS6detail15normal_iteratorINSB_10device_ptrIjEEEENSD_INSE_IS6_EEEESI_S6_NSB_4plusIvEENSB_8equal_toIvEES6_EE10hipError_tPvRmT2_T3_T4_T5_mT6_T7_P12ihipStream_tbENKUlT_T0_E_clISt17integral_constantIbLb0EES13_EEDaSY_SZ_EUlSY_E_NS1_11comp_targetILNS1_3genE8ELNS1_11target_archE1030ELNS1_3gpuE2ELNS1_3repE0EEENS1_30default_config_static_selectorELNS0_4arch9wavefront6targetE1EEEvT1_, .Lfunc_end2083-_ZN7rocprim17ROCPRIM_400000_NS6detail17trampoline_kernelINS0_14default_configENS1_27scan_by_key_config_selectorIj11FixedVectorIiLj4EEEEZZNS1_16scan_by_key_implILNS1_25lookback_scan_determinismE0ELb1ES3_N6thrust23THRUST_200600_302600_NS6detail15normal_iteratorINSB_10device_ptrIjEEEENSD_INSE_IS6_EEEESI_S6_NSB_4plusIvEENSB_8equal_toIvEES6_EE10hipError_tPvRmT2_T3_T4_T5_mT6_T7_P12ihipStream_tbENKUlT_T0_E_clISt17integral_constantIbLb0EES13_EEDaSY_SZ_EUlSY_E_NS1_11comp_targetILNS1_3genE8ELNS1_11target_archE1030ELNS1_3gpuE2ELNS1_3repE0EEENS1_30default_config_static_selectorELNS0_4arch9wavefront6targetE1EEEvT1_
                                        ; -- End function
	.section	.AMDGPU.csdata,"",@progbits
; Kernel info:
; codeLenInByte = 0
; NumSgprs: 6
; NumVgprs: 0
; NumAgprs: 0
; TotalNumVgprs: 0
; ScratchSize: 0
; MemoryBound: 0
; FloatMode: 240
; IeeeMode: 1
; LDSByteSize: 0 bytes/workgroup (compile time only)
; SGPRBlocks: 0
; VGPRBlocks: 0
; NumSGPRsForWavesPerEU: 6
; NumVGPRsForWavesPerEU: 1
; AccumOffset: 4
; Occupancy: 8
; WaveLimiterHint : 0
; COMPUTE_PGM_RSRC2:SCRATCH_EN: 0
; COMPUTE_PGM_RSRC2:USER_SGPR: 2
; COMPUTE_PGM_RSRC2:TRAP_HANDLER: 0
; COMPUTE_PGM_RSRC2:TGID_X_EN: 1
; COMPUTE_PGM_RSRC2:TGID_Y_EN: 0
; COMPUTE_PGM_RSRC2:TGID_Z_EN: 0
; COMPUTE_PGM_RSRC2:TIDIG_COMP_CNT: 0
; COMPUTE_PGM_RSRC3_GFX90A:ACCUM_OFFSET: 0
; COMPUTE_PGM_RSRC3_GFX90A:TG_SPLIT: 0
	.section	.text._ZN7rocprim17ROCPRIM_400000_NS6detail17trampoline_kernelINS0_14default_configENS1_27scan_by_key_config_selectorIj11FixedVectorIiLj4EEEEZZNS1_16scan_by_key_implILNS1_25lookback_scan_determinismE0ELb1ES3_N6thrust23THRUST_200600_302600_NS6detail15normal_iteratorINSB_10device_ptrIjEEEENSD_INSE_IS6_EEEESI_S6_NSB_4plusIvEENSB_8equal_toIvEES6_EE10hipError_tPvRmT2_T3_T4_T5_mT6_T7_P12ihipStream_tbENKUlT_T0_E_clISt17integral_constantIbLb1EES13_EEDaSY_SZ_EUlSY_E_NS1_11comp_targetILNS1_3genE0ELNS1_11target_archE4294967295ELNS1_3gpuE0ELNS1_3repE0EEENS1_30default_config_static_selectorELNS0_4arch9wavefront6targetE1EEEvT1_,"axG",@progbits,_ZN7rocprim17ROCPRIM_400000_NS6detail17trampoline_kernelINS0_14default_configENS1_27scan_by_key_config_selectorIj11FixedVectorIiLj4EEEEZZNS1_16scan_by_key_implILNS1_25lookback_scan_determinismE0ELb1ES3_N6thrust23THRUST_200600_302600_NS6detail15normal_iteratorINSB_10device_ptrIjEEEENSD_INSE_IS6_EEEESI_S6_NSB_4plusIvEENSB_8equal_toIvEES6_EE10hipError_tPvRmT2_T3_T4_T5_mT6_T7_P12ihipStream_tbENKUlT_T0_E_clISt17integral_constantIbLb1EES13_EEDaSY_SZ_EUlSY_E_NS1_11comp_targetILNS1_3genE0ELNS1_11target_archE4294967295ELNS1_3gpuE0ELNS1_3repE0EEENS1_30default_config_static_selectorELNS0_4arch9wavefront6targetE1EEEvT1_,comdat
	.protected	_ZN7rocprim17ROCPRIM_400000_NS6detail17trampoline_kernelINS0_14default_configENS1_27scan_by_key_config_selectorIj11FixedVectorIiLj4EEEEZZNS1_16scan_by_key_implILNS1_25lookback_scan_determinismE0ELb1ES3_N6thrust23THRUST_200600_302600_NS6detail15normal_iteratorINSB_10device_ptrIjEEEENSD_INSE_IS6_EEEESI_S6_NSB_4plusIvEENSB_8equal_toIvEES6_EE10hipError_tPvRmT2_T3_T4_T5_mT6_T7_P12ihipStream_tbENKUlT_T0_E_clISt17integral_constantIbLb1EES13_EEDaSY_SZ_EUlSY_E_NS1_11comp_targetILNS1_3genE0ELNS1_11target_archE4294967295ELNS1_3gpuE0ELNS1_3repE0EEENS1_30default_config_static_selectorELNS0_4arch9wavefront6targetE1EEEvT1_ ; -- Begin function _ZN7rocprim17ROCPRIM_400000_NS6detail17trampoline_kernelINS0_14default_configENS1_27scan_by_key_config_selectorIj11FixedVectorIiLj4EEEEZZNS1_16scan_by_key_implILNS1_25lookback_scan_determinismE0ELb1ES3_N6thrust23THRUST_200600_302600_NS6detail15normal_iteratorINSB_10device_ptrIjEEEENSD_INSE_IS6_EEEESI_S6_NSB_4plusIvEENSB_8equal_toIvEES6_EE10hipError_tPvRmT2_T3_T4_T5_mT6_T7_P12ihipStream_tbENKUlT_T0_E_clISt17integral_constantIbLb1EES13_EEDaSY_SZ_EUlSY_E_NS1_11comp_targetILNS1_3genE0ELNS1_11target_archE4294967295ELNS1_3gpuE0ELNS1_3repE0EEENS1_30default_config_static_selectorELNS0_4arch9wavefront6targetE1EEEvT1_
	.globl	_ZN7rocprim17ROCPRIM_400000_NS6detail17trampoline_kernelINS0_14default_configENS1_27scan_by_key_config_selectorIj11FixedVectorIiLj4EEEEZZNS1_16scan_by_key_implILNS1_25lookback_scan_determinismE0ELb1ES3_N6thrust23THRUST_200600_302600_NS6detail15normal_iteratorINSB_10device_ptrIjEEEENSD_INSE_IS6_EEEESI_S6_NSB_4plusIvEENSB_8equal_toIvEES6_EE10hipError_tPvRmT2_T3_T4_T5_mT6_T7_P12ihipStream_tbENKUlT_T0_E_clISt17integral_constantIbLb1EES13_EEDaSY_SZ_EUlSY_E_NS1_11comp_targetILNS1_3genE0ELNS1_11target_archE4294967295ELNS1_3gpuE0ELNS1_3repE0EEENS1_30default_config_static_selectorELNS0_4arch9wavefront6targetE1EEEvT1_
	.p2align	8
	.type	_ZN7rocprim17ROCPRIM_400000_NS6detail17trampoline_kernelINS0_14default_configENS1_27scan_by_key_config_selectorIj11FixedVectorIiLj4EEEEZZNS1_16scan_by_key_implILNS1_25lookback_scan_determinismE0ELb1ES3_N6thrust23THRUST_200600_302600_NS6detail15normal_iteratorINSB_10device_ptrIjEEEENSD_INSE_IS6_EEEESI_S6_NSB_4plusIvEENSB_8equal_toIvEES6_EE10hipError_tPvRmT2_T3_T4_T5_mT6_T7_P12ihipStream_tbENKUlT_T0_E_clISt17integral_constantIbLb1EES13_EEDaSY_SZ_EUlSY_E_NS1_11comp_targetILNS1_3genE0ELNS1_11target_archE4294967295ELNS1_3gpuE0ELNS1_3repE0EEENS1_30default_config_static_selectorELNS0_4arch9wavefront6targetE1EEEvT1_,@function
_ZN7rocprim17ROCPRIM_400000_NS6detail17trampoline_kernelINS0_14default_configENS1_27scan_by_key_config_selectorIj11FixedVectorIiLj4EEEEZZNS1_16scan_by_key_implILNS1_25lookback_scan_determinismE0ELb1ES3_N6thrust23THRUST_200600_302600_NS6detail15normal_iteratorINSB_10device_ptrIjEEEENSD_INSE_IS6_EEEESI_S6_NSB_4plusIvEENSB_8equal_toIvEES6_EE10hipError_tPvRmT2_T3_T4_T5_mT6_T7_P12ihipStream_tbENKUlT_T0_E_clISt17integral_constantIbLb1EES13_EEDaSY_SZ_EUlSY_E_NS1_11comp_targetILNS1_3genE0ELNS1_11target_archE4294967295ELNS1_3gpuE0ELNS1_3repE0EEENS1_30default_config_static_selectorELNS0_4arch9wavefront6targetE1EEEvT1_: ; @_ZN7rocprim17ROCPRIM_400000_NS6detail17trampoline_kernelINS0_14default_configENS1_27scan_by_key_config_selectorIj11FixedVectorIiLj4EEEEZZNS1_16scan_by_key_implILNS1_25lookback_scan_determinismE0ELb1ES3_N6thrust23THRUST_200600_302600_NS6detail15normal_iteratorINSB_10device_ptrIjEEEENSD_INSE_IS6_EEEESI_S6_NSB_4plusIvEENSB_8equal_toIvEES6_EE10hipError_tPvRmT2_T3_T4_T5_mT6_T7_P12ihipStream_tbENKUlT_T0_E_clISt17integral_constantIbLb1EES13_EEDaSY_SZ_EUlSY_E_NS1_11comp_targetILNS1_3genE0ELNS1_11target_archE4294967295ELNS1_3gpuE0ELNS1_3repE0EEENS1_30default_config_static_selectorELNS0_4arch9wavefront6targetE1EEEvT1_
; %bb.0:
	.section	.rodata,"a",@progbits
	.p2align	6, 0x0
	.amdhsa_kernel _ZN7rocprim17ROCPRIM_400000_NS6detail17trampoline_kernelINS0_14default_configENS1_27scan_by_key_config_selectorIj11FixedVectorIiLj4EEEEZZNS1_16scan_by_key_implILNS1_25lookback_scan_determinismE0ELb1ES3_N6thrust23THRUST_200600_302600_NS6detail15normal_iteratorINSB_10device_ptrIjEEEENSD_INSE_IS6_EEEESI_S6_NSB_4plusIvEENSB_8equal_toIvEES6_EE10hipError_tPvRmT2_T3_T4_T5_mT6_T7_P12ihipStream_tbENKUlT_T0_E_clISt17integral_constantIbLb1EES13_EEDaSY_SZ_EUlSY_E_NS1_11comp_targetILNS1_3genE0ELNS1_11target_archE4294967295ELNS1_3gpuE0ELNS1_3repE0EEENS1_30default_config_static_selectorELNS0_4arch9wavefront6targetE1EEEvT1_
		.amdhsa_group_segment_fixed_size 0
		.amdhsa_private_segment_fixed_size 0
		.amdhsa_kernarg_size 144
		.amdhsa_user_sgpr_count 2
		.amdhsa_user_sgpr_dispatch_ptr 0
		.amdhsa_user_sgpr_queue_ptr 0
		.amdhsa_user_sgpr_kernarg_segment_ptr 1
		.amdhsa_user_sgpr_dispatch_id 0
		.amdhsa_user_sgpr_kernarg_preload_length 0
		.amdhsa_user_sgpr_kernarg_preload_offset 0
		.amdhsa_user_sgpr_private_segment_size 0
		.amdhsa_uses_dynamic_stack 0
		.amdhsa_enable_private_segment 0
		.amdhsa_system_sgpr_workgroup_id_x 1
		.amdhsa_system_sgpr_workgroup_id_y 0
		.amdhsa_system_sgpr_workgroup_id_z 0
		.amdhsa_system_sgpr_workgroup_info 0
		.amdhsa_system_vgpr_workitem_id 0
		.amdhsa_next_free_vgpr 1
		.amdhsa_next_free_sgpr 0
		.amdhsa_accum_offset 4
		.amdhsa_reserve_vcc 0
		.amdhsa_float_round_mode_32 0
		.amdhsa_float_round_mode_16_64 0
		.amdhsa_float_denorm_mode_32 3
		.amdhsa_float_denorm_mode_16_64 3
		.amdhsa_dx10_clamp 1
		.amdhsa_ieee_mode 1
		.amdhsa_fp16_overflow 0
		.amdhsa_tg_split 0
		.amdhsa_exception_fp_ieee_invalid_op 0
		.amdhsa_exception_fp_denorm_src 0
		.amdhsa_exception_fp_ieee_div_zero 0
		.amdhsa_exception_fp_ieee_overflow 0
		.amdhsa_exception_fp_ieee_underflow 0
		.amdhsa_exception_fp_ieee_inexact 0
		.amdhsa_exception_int_div_zero 0
	.end_amdhsa_kernel
	.section	.text._ZN7rocprim17ROCPRIM_400000_NS6detail17trampoline_kernelINS0_14default_configENS1_27scan_by_key_config_selectorIj11FixedVectorIiLj4EEEEZZNS1_16scan_by_key_implILNS1_25lookback_scan_determinismE0ELb1ES3_N6thrust23THRUST_200600_302600_NS6detail15normal_iteratorINSB_10device_ptrIjEEEENSD_INSE_IS6_EEEESI_S6_NSB_4plusIvEENSB_8equal_toIvEES6_EE10hipError_tPvRmT2_T3_T4_T5_mT6_T7_P12ihipStream_tbENKUlT_T0_E_clISt17integral_constantIbLb1EES13_EEDaSY_SZ_EUlSY_E_NS1_11comp_targetILNS1_3genE0ELNS1_11target_archE4294967295ELNS1_3gpuE0ELNS1_3repE0EEENS1_30default_config_static_selectorELNS0_4arch9wavefront6targetE1EEEvT1_,"axG",@progbits,_ZN7rocprim17ROCPRIM_400000_NS6detail17trampoline_kernelINS0_14default_configENS1_27scan_by_key_config_selectorIj11FixedVectorIiLj4EEEEZZNS1_16scan_by_key_implILNS1_25lookback_scan_determinismE0ELb1ES3_N6thrust23THRUST_200600_302600_NS6detail15normal_iteratorINSB_10device_ptrIjEEEENSD_INSE_IS6_EEEESI_S6_NSB_4plusIvEENSB_8equal_toIvEES6_EE10hipError_tPvRmT2_T3_T4_T5_mT6_T7_P12ihipStream_tbENKUlT_T0_E_clISt17integral_constantIbLb1EES13_EEDaSY_SZ_EUlSY_E_NS1_11comp_targetILNS1_3genE0ELNS1_11target_archE4294967295ELNS1_3gpuE0ELNS1_3repE0EEENS1_30default_config_static_selectorELNS0_4arch9wavefront6targetE1EEEvT1_,comdat
.Lfunc_end2084:
	.size	_ZN7rocprim17ROCPRIM_400000_NS6detail17trampoline_kernelINS0_14default_configENS1_27scan_by_key_config_selectorIj11FixedVectorIiLj4EEEEZZNS1_16scan_by_key_implILNS1_25lookback_scan_determinismE0ELb1ES3_N6thrust23THRUST_200600_302600_NS6detail15normal_iteratorINSB_10device_ptrIjEEEENSD_INSE_IS6_EEEESI_S6_NSB_4plusIvEENSB_8equal_toIvEES6_EE10hipError_tPvRmT2_T3_T4_T5_mT6_T7_P12ihipStream_tbENKUlT_T0_E_clISt17integral_constantIbLb1EES13_EEDaSY_SZ_EUlSY_E_NS1_11comp_targetILNS1_3genE0ELNS1_11target_archE4294967295ELNS1_3gpuE0ELNS1_3repE0EEENS1_30default_config_static_selectorELNS0_4arch9wavefront6targetE1EEEvT1_, .Lfunc_end2084-_ZN7rocprim17ROCPRIM_400000_NS6detail17trampoline_kernelINS0_14default_configENS1_27scan_by_key_config_selectorIj11FixedVectorIiLj4EEEEZZNS1_16scan_by_key_implILNS1_25lookback_scan_determinismE0ELb1ES3_N6thrust23THRUST_200600_302600_NS6detail15normal_iteratorINSB_10device_ptrIjEEEENSD_INSE_IS6_EEEESI_S6_NSB_4plusIvEENSB_8equal_toIvEES6_EE10hipError_tPvRmT2_T3_T4_T5_mT6_T7_P12ihipStream_tbENKUlT_T0_E_clISt17integral_constantIbLb1EES13_EEDaSY_SZ_EUlSY_E_NS1_11comp_targetILNS1_3genE0ELNS1_11target_archE4294967295ELNS1_3gpuE0ELNS1_3repE0EEENS1_30default_config_static_selectorELNS0_4arch9wavefront6targetE1EEEvT1_
                                        ; -- End function
	.section	.AMDGPU.csdata,"",@progbits
; Kernel info:
; codeLenInByte = 0
; NumSgprs: 6
; NumVgprs: 0
; NumAgprs: 0
; TotalNumVgprs: 0
; ScratchSize: 0
; MemoryBound: 0
; FloatMode: 240
; IeeeMode: 1
; LDSByteSize: 0 bytes/workgroup (compile time only)
; SGPRBlocks: 0
; VGPRBlocks: 0
; NumSGPRsForWavesPerEU: 6
; NumVGPRsForWavesPerEU: 1
; AccumOffset: 4
; Occupancy: 8
; WaveLimiterHint : 0
; COMPUTE_PGM_RSRC2:SCRATCH_EN: 0
; COMPUTE_PGM_RSRC2:USER_SGPR: 2
; COMPUTE_PGM_RSRC2:TRAP_HANDLER: 0
; COMPUTE_PGM_RSRC2:TGID_X_EN: 1
; COMPUTE_PGM_RSRC2:TGID_Y_EN: 0
; COMPUTE_PGM_RSRC2:TGID_Z_EN: 0
; COMPUTE_PGM_RSRC2:TIDIG_COMP_CNT: 0
; COMPUTE_PGM_RSRC3_GFX90A:ACCUM_OFFSET: 0
; COMPUTE_PGM_RSRC3_GFX90A:TG_SPLIT: 0
	.section	.text._ZN7rocprim17ROCPRIM_400000_NS6detail17trampoline_kernelINS0_14default_configENS1_27scan_by_key_config_selectorIj11FixedVectorIiLj4EEEEZZNS1_16scan_by_key_implILNS1_25lookback_scan_determinismE0ELb1ES3_N6thrust23THRUST_200600_302600_NS6detail15normal_iteratorINSB_10device_ptrIjEEEENSD_INSE_IS6_EEEESI_S6_NSB_4plusIvEENSB_8equal_toIvEES6_EE10hipError_tPvRmT2_T3_T4_T5_mT6_T7_P12ihipStream_tbENKUlT_T0_E_clISt17integral_constantIbLb1EES13_EEDaSY_SZ_EUlSY_E_NS1_11comp_targetILNS1_3genE10ELNS1_11target_archE1201ELNS1_3gpuE5ELNS1_3repE0EEENS1_30default_config_static_selectorELNS0_4arch9wavefront6targetE1EEEvT1_,"axG",@progbits,_ZN7rocprim17ROCPRIM_400000_NS6detail17trampoline_kernelINS0_14default_configENS1_27scan_by_key_config_selectorIj11FixedVectorIiLj4EEEEZZNS1_16scan_by_key_implILNS1_25lookback_scan_determinismE0ELb1ES3_N6thrust23THRUST_200600_302600_NS6detail15normal_iteratorINSB_10device_ptrIjEEEENSD_INSE_IS6_EEEESI_S6_NSB_4plusIvEENSB_8equal_toIvEES6_EE10hipError_tPvRmT2_T3_T4_T5_mT6_T7_P12ihipStream_tbENKUlT_T0_E_clISt17integral_constantIbLb1EES13_EEDaSY_SZ_EUlSY_E_NS1_11comp_targetILNS1_3genE10ELNS1_11target_archE1201ELNS1_3gpuE5ELNS1_3repE0EEENS1_30default_config_static_selectorELNS0_4arch9wavefront6targetE1EEEvT1_,comdat
	.protected	_ZN7rocprim17ROCPRIM_400000_NS6detail17trampoline_kernelINS0_14default_configENS1_27scan_by_key_config_selectorIj11FixedVectorIiLj4EEEEZZNS1_16scan_by_key_implILNS1_25lookback_scan_determinismE0ELb1ES3_N6thrust23THRUST_200600_302600_NS6detail15normal_iteratorINSB_10device_ptrIjEEEENSD_INSE_IS6_EEEESI_S6_NSB_4plusIvEENSB_8equal_toIvEES6_EE10hipError_tPvRmT2_T3_T4_T5_mT6_T7_P12ihipStream_tbENKUlT_T0_E_clISt17integral_constantIbLb1EES13_EEDaSY_SZ_EUlSY_E_NS1_11comp_targetILNS1_3genE10ELNS1_11target_archE1201ELNS1_3gpuE5ELNS1_3repE0EEENS1_30default_config_static_selectorELNS0_4arch9wavefront6targetE1EEEvT1_ ; -- Begin function _ZN7rocprim17ROCPRIM_400000_NS6detail17trampoline_kernelINS0_14default_configENS1_27scan_by_key_config_selectorIj11FixedVectorIiLj4EEEEZZNS1_16scan_by_key_implILNS1_25lookback_scan_determinismE0ELb1ES3_N6thrust23THRUST_200600_302600_NS6detail15normal_iteratorINSB_10device_ptrIjEEEENSD_INSE_IS6_EEEESI_S6_NSB_4plusIvEENSB_8equal_toIvEES6_EE10hipError_tPvRmT2_T3_T4_T5_mT6_T7_P12ihipStream_tbENKUlT_T0_E_clISt17integral_constantIbLb1EES13_EEDaSY_SZ_EUlSY_E_NS1_11comp_targetILNS1_3genE10ELNS1_11target_archE1201ELNS1_3gpuE5ELNS1_3repE0EEENS1_30default_config_static_selectorELNS0_4arch9wavefront6targetE1EEEvT1_
	.globl	_ZN7rocprim17ROCPRIM_400000_NS6detail17trampoline_kernelINS0_14default_configENS1_27scan_by_key_config_selectorIj11FixedVectorIiLj4EEEEZZNS1_16scan_by_key_implILNS1_25lookback_scan_determinismE0ELb1ES3_N6thrust23THRUST_200600_302600_NS6detail15normal_iteratorINSB_10device_ptrIjEEEENSD_INSE_IS6_EEEESI_S6_NSB_4plusIvEENSB_8equal_toIvEES6_EE10hipError_tPvRmT2_T3_T4_T5_mT6_T7_P12ihipStream_tbENKUlT_T0_E_clISt17integral_constantIbLb1EES13_EEDaSY_SZ_EUlSY_E_NS1_11comp_targetILNS1_3genE10ELNS1_11target_archE1201ELNS1_3gpuE5ELNS1_3repE0EEENS1_30default_config_static_selectorELNS0_4arch9wavefront6targetE1EEEvT1_
	.p2align	8
	.type	_ZN7rocprim17ROCPRIM_400000_NS6detail17trampoline_kernelINS0_14default_configENS1_27scan_by_key_config_selectorIj11FixedVectorIiLj4EEEEZZNS1_16scan_by_key_implILNS1_25lookback_scan_determinismE0ELb1ES3_N6thrust23THRUST_200600_302600_NS6detail15normal_iteratorINSB_10device_ptrIjEEEENSD_INSE_IS6_EEEESI_S6_NSB_4plusIvEENSB_8equal_toIvEES6_EE10hipError_tPvRmT2_T3_T4_T5_mT6_T7_P12ihipStream_tbENKUlT_T0_E_clISt17integral_constantIbLb1EES13_EEDaSY_SZ_EUlSY_E_NS1_11comp_targetILNS1_3genE10ELNS1_11target_archE1201ELNS1_3gpuE5ELNS1_3repE0EEENS1_30default_config_static_selectorELNS0_4arch9wavefront6targetE1EEEvT1_,@function
_ZN7rocprim17ROCPRIM_400000_NS6detail17trampoline_kernelINS0_14default_configENS1_27scan_by_key_config_selectorIj11FixedVectorIiLj4EEEEZZNS1_16scan_by_key_implILNS1_25lookback_scan_determinismE0ELb1ES3_N6thrust23THRUST_200600_302600_NS6detail15normal_iteratorINSB_10device_ptrIjEEEENSD_INSE_IS6_EEEESI_S6_NSB_4plusIvEENSB_8equal_toIvEES6_EE10hipError_tPvRmT2_T3_T4_T5_mT6_T7_P12ihipStream_tbENKUlT_T0_E_clISt17integral_constantIbLb1EES13_EEDaSY_SZ_EUlSY_E_NS1_11comp_targetILNS1_3genE10ELNS1_11target_archE1201ELNS1_3gpuE5ELNS1_3repE0EEENS1_30default_config_static_selectorELNS0_4arch9wavefront6targetE1EEEvT1_: ; @_ZN7rocprim17ROCPRIM_400000_NS6detail17trampoline_kernelINS0_14default_configENS1_27scan_by_key_config_selectorIj11FixedVectorIiLj4EEEEZZNS1_16scan_by_key_implILNS1_25lookback_scan_determinismE0ELb1ES3_N6thrust23THRUST_200600_302600_NS6detail15normal_iteratorINSB_10device_ptrIjEEEENSD_INSE_IS6_EEEESI_S6_NSB_4plusIvEENSB_8equal_toIvEES6_EE10hipError_tPvRmT2_T3_T4_T5_mT6_T7_P12ihipStream_tbENKUlT_T0_E_clISt17integral_constantIbLb1EES13_EEDaSY_SZ_EUlSY_E_NS1_11comp_targetILNS1_3genE10ELNS1_11target_archE1201ELNS1_3gpuE5ELNS1_3repE0EEENS1_30default_config_static_selectorELNS0_4arch9wavefront6targetE1EEEvT1_
; %bb.0:
	.section	.rodata,"a",@progbits
	.p2align	6, 0x0
	.amdhsa_kernel _ZN7rocprim17ROCPRIM_400000_NS6detail17trampoline_kernelINS0_14default_configENS1_27scan_by_key_config_selectorIj11FixedVectorIiLj4EEEEZZNS1_16scan_by_key_implILNS1_25lookback_scan_determinismE0ELb1ES3_N6thrust23THRUST_200600_302600_NS6detail15normal_iteratorINSB_10device_ptrIjEEEENSD_INSE_IS6_EEEESI_S6_NSB_4plusIvEENSB_8equal_toIvEES6_EE10hipError_tPvRmT2_T3_T4_T5_mT6_T7_P12ihipStream_tbENKUlT_T0_E_clISt17integral_constantIbLb1EES13_EEDaSY_SZ_EUlSY_E_NS1_11comp_targetILNS1_3genE10ELNS1_11target_archE1201ELNS1_3gpuE5ELNS1_3repE0EEENS1_30default_config_static_selectorELNS0_4arch9wavefront6targetE1EEEvT1_
		.amdhsa_group_segment_fixed_size 0
		.amdhsa_private_segment_fixed_size 0
		.amdhsa_kernarg_size 144
		.amdhsa_user_sgpr_count 2
		.amdhsa_user_sgpr_dispatch_ptr 0
		.amdhsa_user_sgpr_queue_ptr 0
		.amdhsa_user_sgpr_kernarg_segment_ptr 1
		.amdhsa_user_sgpr_dispatch_id 0
		.amdhsa_user_sgpr_kernarg_preload_length 0
		.amdhsa_user_sgpr_kernarg_preload_offset 0
		.amdhsa_user_sgpr_private_segment_size 0
		.amdhsa_uses_dynamic_stack 0
		.amdhsa_enable_private_segment 0
		.amdhsa_system_sgpr_workgroup_id_x 1
		.amdhsa_system_sgpr_workgroup_id_y 0
		.amdhsa_system_sgpr_workgroup_id_z 0
		.amdhsa_system_sgpr_workgroup_info 0
		.amdhsa_system_vgpr_workitem_id 0
		.amdhsa_next_free_vgpr 1
		.amdhsa_next_free_sgpr 0
		.amdhsa_accum_offset 4
		.amdhsa_reserve_vcc 0
		.amdhsa_float_round_mode_32 0
		.amdhsa_float_round_mode_16_64 0
		.amdhsa_float_denorm_mode_32 3
		.amdhsa_float_denorm_mode_16_64 3
		.amdhsa_dx10_clamp 1
		.amdhsa_ieee_mode 1
		.amdhsa_fp16_overflow 0
		.amdhsa_tg_split 0
		.amdhsa_exception_fp_ieee_invalid_op 0
		.amdhsa_exception_fp_denorm_src 0
		.amdhsa_exception_fp_ieee_div_zero 0
		.amdhsa_exception_fp_ieee_overflow 0
		.amdhsa_exception_fp_ieee_underflow 0
		.amdhsa_exception_fp_ieee_inexact 0
		.amdhsa_exception_int_div_zero 0
	.end_amdhsa_kernel
	.section	.text._ZN7rocprim17ROCPRIM_400000_NS6detail17trampoline_kernelINS0_14default_configENS1_27scan_by_key_config_selectorIj11FixedVectorIiLj4EEEEZZNS1_16scan_by_key_implILNS1_25lookback_scan_determinismE0ELb1ES3_N6thrust23THRUST_200600_302600_NS6detail15normal_iteratorINSB_10device_ptrIjEEEENSD_INSE_IS6_EEEESI_S6_NSB_4plusIvEENSB_8equal_toIvEES6_EE10hipError_tPvRmT2_T3_T4_T5_mT6_T7_P12ihipStream_tbENKUlT_T0_E_clISt17integral_constantIbLb1EES13_EEDaSY_SZ_EUlSY_E_NS1_11comp_targetILNS1_3genE10ELNS1_11target_archE1201ELNS1_3gpuE5ELNS1_3repE0EEENS1_30default_config_static_selectorELNS0_4arch9wavefront6targetE1EEEvT1_,"axG",@progbits,_ZN7rocprim17ROCPRIM_400000_NS6detail17trampoline_kernelINS0_14default_configENS1_27scan_by_key_config_selectorIj11FixedVectorIiLj4EEEEZZNS1_16scan_by_key_implILNS1_25lookback_scan_determinismE0ELb1ES3_N6thrust23THRUST_200600_302600_NS6detail15normal_iteratorINSB_10device_ptrIjEEEENSD_INSE_IS6_EEEESI_S6_NSB_4plusIvEENSB_8equal_toIvEES6_EE10hipError_tPvRmT2_T3_T4_T5_mT6_T7_P12ihipStream_tbENKUlT_T0_E_clISt17integral_constantIbLb1EES13_EEDaSY_SZ_EUlSY_E_NS1_11comp_targetILNS1_3genE10ELNS1_11target_archE1201ELNS1_3gpuE5ELNS1_3repE0EEENS1_30default_config_static_selectorELNS0_4arch9wavefront6targetE1EEEvT1_,comdat
.Lfunc_end2085:
	.size	_ZN7rocprim17ROCPRIM_400000_NS6detail17trampoline_kernelINS0_14default_configENS1_27scan_by_key_config_selectorIj11FixedVectorIiLj4EEEEZZNS1_16scan_by_key_implILNS1_25lookback_scan_determinismE0ELb1ES3_N6thrust23THRUST_200600_302600_NS6detail15normal_iteratorINSB_10device_ptrIjEEEENSD_INSE_IS6_EEEESI_S6_NSB_4plusIvEENSB_8equal_toIvEES6_EE10hipError_tPvRmT2_T3_T4_T5_mT6_T7_P12ihipStream_tbENKUlT_T0_E_clISt17integral_constantIbLb1EES13_EEDaSY_SZ_EUlSY_E_NS1_11comp_targetILNS1_3genE10ELNS1_11target_archE1201ELNS1_3gpuE5ELNS1_3repE0EEENS1_30default_config_static_selectorELNS0_4arch9wavefront6targetE1EEEvT1_, .Lfunc_end2085-_ZN7rocprim17ROCPRIM_400000_NS6detail17trampoline_kernelINS0_14default_configENS1_27scan_by_key_config_selectorIj11FixedVectorIiLj4EEEEZZNS1_16scan_by_key_implILNS1_25lookback_scan_determinismE0ELb1ES3_N6thrust23THRUST_200600_302600_NS6detail15normal_iteratorINSB_10device_ptrIjEEEENSD_INSE_IS6_EEEESI_S6_NSB_4plusIvEENSB_8equal_toIvEES6_EE10hipError_tPvRmT2_T3_T4_T5_mT6_T7_P12ihipStream_tbENKUlT_T0_E_clISt17integral_constantIbLb1EES13_EEDaSY_SZ_EUlSY_E_NS1_11comp_targetILNS1_3genE10ELNS1_11target_archE1201ELNS1_3gpuE5ELNS1_3repE0EEENS1_30default_config_static_selectorELNS0_4arch9wavefront6targetE1EEEvT1_
                                        ; -- End function
	.section	.AMDGPU.csdata,"",@progbits
; Kernel info:
; codeLenInByte = 0
; NumSgprs: 6
; NumVgprs: 0
; NumAgprs: 0
; TotalNumVgprs: 0
; ScratchSize: 0
; MemoryBound: 0
; FloatMode: 240
; IeeeMode: 1
; LDSByteSize: 0 bytes/workgroup (compile time only)
; SGPRBlocks: 0
; VGPRBlocks: 0
; NumSGPRsForWavesPerEU: 6
; NumVGPRsForWavesPerEU: 1
; AccumOffset: 4
; Occupancy: 8
; WaveLimiterHint : 0
; COMPUTE_PGM_RSRC2:SCRATCH_EN: 0
; COMPUTE_PGM_RSRC2:USER_SGPR: 2
; COMPUTE_PGM_RSRC2:TRAP_HANDLER: 0
; COMPUTE_PGM_RSRC2:TGID_X_EN: 1
; COMPUTE_PGM_RSRC2:TGID_Y_EN: 0
; COMPUTE_PGM_RSRC2:TGID_Z_EN: 0
; COMPUTE_PGM_RSRC2:TIDIG_COMP_CNT: 0
; COMPUTE_PGM_RSRC3_GFX90A:ACCUM_OFFSET: 0
; COMPUTE_PGM_RSRC3_GFX90A:TG_SPLIT: 0
	.text
	.p2align	2                               ; -- Begin function _ZN7rocprim17ROCPRIM_400000_NS6detail12unwrap_storeILj128ELj23E11FixedVectorIiLj4EELNS0_18block_store_methodE3ELNS0_4arch9wavefront6targetE1EE5storeIN6thrust23THRUST_200600_302600_NS6detail15normal_iteratorINSC_10device_ptrIS4_EEEEEEvT_jmmjmRA23_KNS0_5tupleIJS4_bEEERNS0_14block_exchangeIS4_Lj128ELj23ELj1ELj1ELNS0_18block_padding_hintE0ELS8_1EE13storage_type_E
	.type	_ZN7rocprim17ROCPRIM_400000_NS6detail12unwrap_storeILj128ELj23E11FixedVectorIiLj4EELNS0_18block_store_methodE3ELNS0_4arch9wavefront6targetE1EE5storeIN6thrust23THRUST_200600_302600_NS6detail15normal_iteratorINSC_10device_ptrIS4_EEEEEEvT_jmmjmRA23_KNS0_5tupleIJS4_bEEERNS0_14block_exchangeIS4_Lj128ELj23ELj1ELj1ELNS0_18block_padding_hintE0ELS8_1EE13storage_type_E,@function
_ZN7rocprim17ROCPRIM_400000_NS6detail12unwrap_storeILj128ELj23E11FixedVectorIiLj4EELNS0_18block_store_methodE3ELNS0_4arch9wavefront6targetE1EE5storeIN6thrust23THRUST_200600_302600_NS6detail15normal_iteratorINSC_10device_ptrIS4_EEEEEEvT_jmmjmRA23_KNS0_5tupleIJS4_bEEERNS0_14block_exchangeIS4_Lj128ELj23ELj1ELj1ELNS0_18block_padding_hintE0ELS8_1EE13storage_type_E: ; @_ZN7rocprim17ROCPRIM_400000_NS6detail12unwrap_storeILj128ELj23E11FixedVectorIiLj4EELNS0_18block_store_methodE3ELNS0_4arch9wavefront6targetE1EE5storeIN6thrust23THRUST_200600_302600_NS6detail15normal_iteratorINSC_10device_ptrIS4_EEEEEEvT_jmmjmRA23_KNS0_5tupleIJS4_bEEERNS0_14block_exchangeIS4_Lj128ELj23ELj1ELj1ELNS0_18block_padding_hintE0ELS8_1EE13storage_type_E
; %bb.0:
	s_waitcnt vmcnt(0) expcnt(0) lgkmcnt(0)
	v_mov_b32_e32 v16, 0
	v_mov_b32_e32 v15, v6
	;; [unrolled: 1-line block ×5, first 2 shown]
	s_mov_b32 s0, 0
	v_mov_b32_e32 v17, v16
.LBB2086_1:                             ; =>This Inner Loop Header: Depth=1
	s_add_i32 s1, s0, s32
	s_add_i32 s0, s0, 8
	s_cmp_lg_u32 s0, 16
	scratch_store_dwordx2 off, v[16:17], s1
	s_cbranch_scc1 .LBB2086_1
; %bb.2:
	v_mov_b32_e32 v16, 0
	s_mov_b32 s0, 16
	v_mov_b32_e32 v17, v16
.LBB2086_3:                             ; =>This Inner Loop Header: Depth=1
	s_add_i32 s1, s0, s32
	s_add_i32 s0, s0, 8
	s_cmp_lg_u32 s0, 32
	scratch_store_dwordx2 off, v[16:17], s1
	s_cbranch_scc1 .LBB2086_3
; %bb.4:
	v_mov_b32_e32 v16, 0
	s_mov_b32 s0, 32
	v_mov_b32_e32 v17, v16
.LBB2086_5:                             ; =>This Inner Loop Header: Depth=1
	s_add_i32 s1, s0, s32
	s_add_i32 s0, s0, 8
	s_cmp_lg_u32 s0, 48
	scratch_store_dwordx2 off, v[16:17], s1
	s_cbranch_scc1 .LBB2086_5
; %bb.6:
	v_mov_b32_e32 v16, 0
	s_mov_b32 s0, 48
	v_mov_b32_e32 v17, v16
.LBB2086_7:                             ; =>This Inner Loop Header: Depth=1
	s_add_i32 s1, s0, s32
	s_add_i32 s0, s0, 8
	s_cmp_lg_u32 s0, 64
	scratch_store_dwordx2 off, v[16:17], s1
	s_cbranch_scc1 .LBB2086_7
; %bb.8:
	v_mov_b32_e32 v16, 0
	s_mov_b32 s0, 64
	v_mov_b32_e32 v17, v16
.LBB2086_9:                             ; =>This Inner Loop Header: Depth=1
	s_add_i32 s1, s0, s32
	s_add_i32 s0, s0, 8
	s_cmpk_lg_i32 s0, 0x50
	scratch_store_dwordx2 off, v[16:17], s1
	s_cbranch_scc1 .LBB2086_9
; %bb.10:
	v_mov_b32_e32 v16, 0
	s_movk_i32 s0, 0x50
	v_mov_b32_e32 v17, v16
.LBB2086_11:                            ; =>This Inner Loop Header: Depth=1
	s_add_i32 s1, s0, s32
	s_add_i32 s0, s0, 8
	s_cmpk_lg_i32 s0, 0x60
	scratch_store_dwordx2 off, v[16:17], s1
	s_cbranch_scc1 .LBB2086_11
; %bb.12:
	v_mov_b32_e32 v16, 0
	s_movk_i32 s0, 0x60
	v_mov_b32_e32 v17, v16
.LBB2086_13:                            ; =>This Inner Loop Header: Depth=1
	s_add_i32 s1, s0, s32
	s_add_i32 s0, s0, 8
	s_cmpk_lg_i32 s0, 0x70
	scratch_store_dwordx2 off, v[16:17], s1
	s_cbranch_scc1 .LBB2086_13
	;; [unrolled: 10-line block ×18, first 2 shown]
; %bb.46:
	v_mov_b32_e32 v3, s32
	v_mov_b32_e32 v49, 0
	v_add_u32_e32 v16, 0x160, v3
	v_add_u32_e32 v17, 0x150, v3
	;; [unrolled: 1-line block ×22, first 2 shown]
	s_movk_i32 s0, 0xb80
	v_mov_b32_e32 v3, v49
	v_mul_lo_u32 v48, v2, s0
	v_lshl_add_u64 v[2:3], v[2:3], 0, v[4:5]
	v_lshl_add_u64 v[4:5], v[14:15], 0, -1
	v_lshl_add_u64 v[0:1], v[48:49], 4, v[0:1]
	v_cmp_ge_u64_e32 vcc, v[2:3], v[4:5]
	s_mov_b64 s[2:3], 0
                                        ; implicit-def: $vgpr2_vgpr3
	s_and_saveexec_b64 s[0:1], vcc
	s_xor_b64 s[0:1], exec, s[0:1]
	s_cbranch_execnz .LBB2086_50
; %bb.47:
	s_andn2_saveexec_b64 s[0:1], s[0:1]
	s_cbranch_execnz .LBB2086_119
.LBB2086_48:
	s_or_b64 exec, exec, s[0:1]
	s_and_saveexec_b64 s[0:1], s[2:3]
	s_cbranch_execnz .LBB2086_120
.LBB2086_49:
	s_or_b64 exec, exec, s[0:1]
	s_waitcnt vmcnt(0) lgkmcnt(0)
	s_setpc_b64 s[30:31]
.LBB2086_50:
	s_movk_i32 s2, 0xf480
	v_mad_u64_u32 v[4:5], s[2:3], v4, s2, v[8:9]
	v_mul_lo_u32 v2, v7, 23
	v_cmp_lt_u32_e32 vcc, v2, v4
	s_and_saveexec_b64 s[2:3], vcc
	s_cbranch_execz .LBB2086_74
; %bb.51:
	flat_load_dwordx4 v[6:9], v[10:11]
	v_add_u32_e32 v3, 1, v2
	v_cmp_lt_u32_e32 vcc, v3, v4
	s_waitcnt vmcnt(0) lgkmcnt(0)
	scratch_store_dwordx4 off, v[6:9], s32
	s_and_b64 exec, exec, vcc
	s_cbranch_execz .LBB2086_74
; %bb.52:
	flat_load_dwordx4 v[6:9], v[10:11] offset:20
	v_add_u32_e32 v3, 2, v2
	v_cmp_lt_u32_e32 vcc, v3, v4
	s_waitcnt vmcnt(0) lgkmcnt(0)
	scratch_store_dwordx4 v38, v[6:9], off
	s_and_b64 exec, exec, vcc
	s_cbranch_execz .LBB2086_74
; %bb.53:
	flat_load_dwordx4 v[6:9], v[10:11] offset:40
	v_add_u32_e32 v3, 3, v2
	v_cmp_lt_u32_e32 vcc, v3, v4
	s_waitcnt vmcnt(0) lgkmcnt(0)
	scratch_store_dwordx4 v37, v[6:9], off
	;; [unrolled: 8-line block ×21, first 2 shown]
	s_and_b64 exec, exec, vcc
	s_cbranch_execz .LBB2086_74
; %bb.73:
	flat_load_dwordx4 v[6:9], v[10:11] offset:440
	s_waitcnt vmcnt(0) lgkmcnt(0)
	scratch_store_dwordx4 v16, v[6:9], off
.LBB2086_74:
	s_or_b64 exec, exec, s[2:3]
	s_barrier
	scratch_load_dwordx4 v[8:11], off, s32
	scratch_load_dwordx4 v[48:51], v38, off
	v_and_b32_e32 v2, 0x3ff, v31
	v_mul_u32_u24_e32 v3, 23, v2
	v_mov_b32_e32 v7, 0
	v_lshlrev_b32_e32 v6, 4, v3
	v_lshl_add_u64 v[14:15], v[12:13], 0, v[6:7]
	scratch_load_dwordx4 v[52:55], v37, off
	scratch_load_dwordx4 v[64:67], v36, off
	;; [unrolled: 1-line block ×5, first 2 shown]
	v_lshlrev_b32_e32 v6, 4, v2
	s_movk_i32 s2, 0x1000
	v_or_b32_e32 v5, 0x400, v2
	s_movk_i32 s3, 0x4000
	s_movk_i32 s4, 0x5000
	v_or_b32_e32 v3, 0x800, v2
	s_waitcnt vmcnt(6)
	flat_store_dwordx4 v[14:15], v[8:11]
	scratch_load_dwordx4 v[8:11], v33, off
	s_waitcnt vmcnt(0)
	flat_store_dwordx4 v[14:15], v[48:51] offset:16
	scratch_load_dwordx4 v[48:51], v32, off
	s_nop 0
	flat_store_dwordx4 v[14:15], v[52:55] offset:32
	scratch_load_dwordx4 v[52:55], v30, off
	s_nop 0
	flat_store_dwordx4 v[14:15], v[64:67] offset:48
	flat_store_dwordx4 v[14:15], v[68:71] offset:64
	scratch_load_dwordx4 v[64:67], v29, off
	s_nop 0
	scratch_load_dwordx4 v[68:71], v28, off
	s_nop 0
	flat_store_dwordx4 v[14:15], v[80:83] offset:80
	flat_store_dwordx4 v[14:15], v[8:11] offset:96
	scratch_load_dwordx4 v[8:11], v27, off
	s_waitcnt vmcnt(0)
	flat_store_dwordx4 v[14:15], v[48:51] offset:112
	flat_store_dwordx4 v[14:15], v[52:55] offset:128
	scratch_load_dwordx4 v[48:51], v26, off
	s_nop 0
	scratch_load_dwordx4 v[52:55], v25, off
	s_nop 0
	flat_store_dwordx4 v[14:15], v[64:67] offset:144
	scratch_load_dwordx4 v[64:67], v24, off
	s_nop 0
	flat_store_dwordx4 v[14:15], v[68:71] offset:160
	;; [unrolled: 3-line block ×3, first 2 shown]
	scratch_load_dwordx4 v[8:11], v22, off
	s_waitcnt vmcnt(0)
	flat_store_dwordx4 v[14:15], v[48:51] offset:192
	scratch_load_dwordx4 v[48:51], v21, off
	s_nop 0
	flat_store_dwordx4 v[14:15], v[52:55] offset:208
	flat_store_dwordx4 v[14:15], v[64:67] offset:224
	scratch_load_dwordx4 v[52:55], v20, off
	s_nop 0
	scratch_load_dwordx4 v[64:67], v19, off
	s_nop 0
	flat_store_dwordx4 v[14:15], v[68:71] offset:240
	flat_store_dwordx4 v[14:15], v[8:11] offset:256
	scratch_load_dwordx4 v[68:71], v18, off
	s_nop 0
	scratch_load_dwordx4 v[80:83], v17, off
	v_lshl_add_u64 v[10:11], v[12:13], 0, v[6:7]
	v_add_co_u32_e32 v8, vcc, s2, v10
	s_movk_i32 s2, 0x2000
	s_nop 0
	v_addc_co_u32_e32 v9, vcc, 0, v11, vcc
	s_waitcnt vmcnt(0)
	flat_store_dwordx4 v[14:15], v[48:51] offset:272
	flat_store_dwordx4 v[14:15], v[52:55] offset:288
	;; [unrolled: 1-line block ×6, first 2 shown]
	s_waitcnt lgkmcnt(0)
	s_barrier
	flat_load_dwordx4 v[48:51], v[10:11] offset:2048
	flat_load_dwordx4 v[52:55], v[8:9]
	flat_load_dwordx4 v[64:67], v[8:9] offset:2048
	v_add_co_u32_e32 v8, vcc, s2, v10
	s_movk_i32 s2, 0x3000
	s_nop 0
	v_addc_co_u32_e32 v9, vcc, 0, v11, vcc
	flat_load_dwordx4 v[68:71], v[8:9]
	flat_load_dwordx4 v[80:83], v[8:9] offset:2048
	v_add_co_u32_e32 v8, vcc, s2, v10
	v_mov_b32_e32 v15, v7
	s_nop 0
	v_addc_co_u32_e32 v9, vcc, 0, v11, vcc
	v_lshlrev_b32_e32 v14, 4, v5
	flat_load_dwordx4 v[84:87], v[8:9]
	v_lshl_add_u64 v[14:15], v[12:13], 0, v[14:15]
	s_movk_i32 s2, 0x6000
	s_waitcnt vmcnt(0) lgkmcnt(0)
	scratch_store_dwordx4 v37, v[52:55], off
	scratch_store_dwordx4 v38, v[48:51], off
	flat_load_dwordx4 v[48:51], v[8:9] offset:2048
	s_nop 0
	flat_load_dwordx4 v[52:55], v[14:15]
	v_add_co_u32_e32 v8, vcc, s3, v10
	scratch_store_dwordx4 v36, v[64:67], off
	s_nop 0
	v_addc_co_u32_e32 v9, vcc, 0, v11, vcc
	flat_load_dwordx4 v[64:67], v[8:9] offset:2048
	v_add_co_u32_e32 v8, vcc, s4, v10
	scratch_store_dwordx4 v35, v[68:71], off
	s_nop 0
	v_addc_co_u32_e32 v9, vcc, 0, v11, vcc
	flat_load_dwordx4 v[68:71], v[8:9]
	v_add_co_u32_e32 v14, vcc, s2, v10
	scratch_store_dwordx4 v34, v[80:83], off
	flat_load_dwordx4 v[80:83], v[8:9] offset:2048
	s_movk_i32 s3, 0x7000
	v_addc_co_u32_e32 v15, vcc, 0, v11, vcc
	scratch_store_dwordx4 v33, v[84:87], off
	v_mov_b32_e32 v9, v7
	v_lshlrev_b32_e32 v8, 4, v3
	v_add_co_u32_e32 v84, vcc, s3, v10
	v_lshl_add_u64 v[8:9], v[12:13], 0, v[8:9]
	s_nop 0
	v_addc_co_u32_e32 v85, vcc, 0, v11, vcc
	s_mov_b32 s2, 0x8000
	s_mov_b32 s3, 0x9000
	;; [unrolled: 1-line block ×3, first 2 shown]
	s_waitcnt vmcnt(0) lgkmcnt(0)
	scratch_store_dwordx4 v32, v[48:51], off
	flat_load_dwordx4 v[48:51], v[14:15]
	s_nop 0
	flat_load_dwordx4 v[12:15], v[14:15] offset:2048
	s_nop 0
	scratch_store_dwordx4 v30, v[52:55], off
	scratch_store_dwordx4 v29, v[64:67], off
	flat_load_dwordx4 v[52:55], v[84:85]
	s_nop 0
	flat_load_dwordx4 v[64:67], v[84:85] offset:2048
	s_nop 0
	scratch_store_dwordx4 v28, v[68:71], off
	flat_load_dwordx4 v[68:71], v[8:9]
	v_add_co_u32_e32 v8, vcc, s2, v10
	scratch_store_dwordx4 v27, v[80:83], off
	s_nop 0
	v_addc_co_u32_e32 v9, vcc, 0, v11, vcc
	v_add_co_u32_e32 v80, vcc, s3, v10
	s_waitcnt vmcnt(0) lgkmcnt(0)
	scratch_store_dwordx4 v26, v[48:51], off
	v_addc_co_u32_e32 v81, vcc, 0, v11, vcc
	v_add_co_u32_e32 v84, vcc, s4, v10
	scratch_store_dwordx4 v25, v[12:15], off
	s_nop 0
	v_addc_co_u32_e32 v85, vcc, 0, v11, vcc
	flat_load_dwordx4 v[12:15], v[8:9] offset:2048
	flat_load_dwordx4 v[48:51], v[80:81]
	s_nop 0
	scratch_store_dwordx4 v24, v[52:55], off
	scratch_store_dwordx4 v23, v[64:67], off
	v_add_co_u32_e32 v86, vcc, 0xb000, v10
	flat_load_dwordx4 v[52:55], v[80:81] offset:2048
	flat_load_dwordx4 v[64:67], v[84:85]
	v_addc_co_u32_e32 v87, vcc, 0, v11, vcc
	scratch_store_dwordx4 v22, v[68:71], off
	flat_load_dwordx4 v[68:71], v[84:85] offset:2048
	s_nop 0
	flat_load_dwordx4 v[80:83], v[86:87]
	v_lshl_add_u64 v[8:9], v[0:1], 0, v[6:7]
	v_cmp_lt_u32_e32 vcc, v2, v4
	s_waitcnt vmcnt(0) lgkmcnt(0)
	scratch_store_dwordx4 v21, v[12:15], off
	scratch_store_dwordx4 v20, v[48:51], off
	;; [unrolled: 1-line block ×6, first 2 shown]
	s_and_saveexec_b64 s[2:3], vcc
	s_cbranch_execz .LBB2086_76
; %bb.75:
	flat_load_dwordx4 v[10:13], v[10:11]
	s_waitcnt vmcnt(0) lgkmcnt(0)
	flat_store_dwordx4 v[8:9], v[10:13]
.LBB2086_76:
	s_or_b64 exec, exec, s[2:3]
	v_add_u32_e32 v6, 0x80, v2
	v_cmp_lt_u32_e32 vcc, v6, v4
	s_and_saveexec_b64 s[2:3], vcc
	s_cbranch_execz .LBB2086_78
; %bb.77:
	scratch_load_dwordx4 v[10:13], v38, off
	s_waitcnt vmcnt(0)
	flat_store_dwordx4 v[8:9], v[10:13] offset:2048
.LBB2086_78:
	s_or_b64 exec, exec, s[2:3]
	v_add_u32_e32 v6, 0x100, v2
	v_cmp_lt_u32_e32 vcc, v6, v4
	s_and_saveexec_b64 s[2:3], vcc
	s_cbranch_execz .LBB2086_80
; %bb.79:
	scratch_load_dwordx4 v[10:13], v37, off
	v_add_co_u32_e32 v14, vcc, 0x1000, v8
	s_nop 1
	v_addc_co_u32_e32 v15, vcc, 0, v9, vcc
	s_waitcnt vmcnt(0)
	flat_store_dwordx4 v[14:15], v[10:13]
.LBB2086_80:
	s_or_b64 exec, exec, s[2:3]
	v_add_u32_e32 v6, 0x180, v2
	v_cmp_lt_u32_e32 vcc, v6, v4
	s_and_saveexec_b64 s[2:3], vcc
	s_cbranch_execz .LBB2086_82
; %bb.81:
	scratch_load_dwordx4 v[10:13], v36, off
	v_add_co_u32_e32 v14, vcc, 0x1000, v8
	s_nop 1
	v_addc_co_u32_e32 v15, vcc, 0, v9, vcc
	s_waitcnt vmcnt(0)
	flat_store_dwordx4 v[14:15], v[10:13] offset:2048
.LBB2086_82:
	s_or_b64 exec, exec, s[2:3]
	v_add_u32_e32 v6, 0x200, v2
	v_cmp_lt_u32_e32 vcc, v6, v4
	s_and_saveexec_b64 s[2:3], vcc
	s_cbranch_execz .LBB2086_84
; %bb.83:
	scratch_load_dwordx4 v[10:13], v35, off
	v_add_co_u32_e32 v14, vcc, 0x2000, v8
	s_nop 1
	v_addc_co_u32_e32 v15, vcc, 0, v9, vcc
	s_waitcnt vmcnt(0)
	flat_store_dwordx4 v[14:15], v[10:13]
.LBB2086_84:
	s_or_b64 exec, exec, s[2:3]
	v_add_u32_e32 v6, 0x280, v2
	v_cmp_lt_u32_e32 vcc, v6, v4
	s_and_saveexec_b64 s[2:3], vcc
	s_cbranch_execz .LBB2086_86
; %bb.85:
	scratch_load_dwordx4 v[10:13], v34, off
	v_add_co_u32_e32 v14, vcc, 0x2000, v8
	s_nop 1
	v_addc_co_u32_e32 v15, vcc, 0, v9, vcc
	s_waitcnt vmcnt(0)
	flat_store_dwordx4 v[14:15], v[10:13] offset:2048
.LBB2086_86:
	;; [unrolled: 26-line block ×3, first 2 shown]
	s_or_b64 exec, exec, s[2:3]
	v_cmp_lt_u32_e32 vcc, v5, v4
	s_and_saveexec_b64 s[2:3], vcc
	s_cbranch_execz .LBB2086_92
; %bb.91:
	scratch_load_dwordx4 v[10:13], v30, off
	v_add_co_u32_e32 v14, vcc, 0x4000, v8
	s_nop 1
	v_addc_co_u32_e32 v15, vcc, 0, v9, vcc
	s_waitcnt vmcnt(0)
	flat_store_dwordx4 v[14:15], v[10:13]
.LBB2086_92:
	s_or_b64 exec, exec, s[2:3]
	v_add_u32_e32 v5, 0x480, v2
	v_cmp_lt_u32_e32 vcc, v5, v4
	s_and_saveexec_b64 s[2:3], vcc
	s_cbranch_execz .LBB2086_94
; %bb.93:
	scratch_load_dwordx4 v[10:13], v29, off
	v_add_co_u32_e32 v14, vcc, 0x4000, v8
	s_nop 1
	v_addc_co_u32_e32 v15, vcc, 0, v9, vcc
	s_waitcnt vmcnt(0)
	flat_store_dwordx4 v[14:15], v[10:13] offset:2048
.LBB2086_94:
	s_or_b64 exec, exec, s[2:3]
	v_add_u32_e32 v5, 0x500, v2
	v_cmp_lt_u32_e32 vcc, v5, v4
	s_and_saveexec_b64 s[2:3], vcc
	s_cbranch_execz .LBB2086_96
; %bb.95:
	scratch_load_dwordx4 v[10:13], v28, off
	v_add_co_u32_e32 v14, vcc, 0x5000, v8
	s_nop 1
	v_addc_co_u32_e32 v15, vcc, 0, v9, vcc
	s_waitcnt vmcnt(0)
	flat_store_dwordx4 v[14:15], v[10:13]
.LBB2086_96:
	s_or_b64 exec, exec, s[2:3]
	v_add_u32_e32 v5, 0x580, v2
	v_cmp_lt_u32_e32 vcc, v5, v4
	s_and_saveexec_b64 s[2:3], vcc
	s_cbranch_execz .LBB2086_98
; %bb.97:
	scratch_load_dwordx4 v[10:13], v27, off
	v_add_co_u32_e32 v14, vcc, 0x5000, v8
	s_nop 1
	v_addc_co_u32_e32 v15, vcc, 0, v9, vcc
	s_waitcnt vmcnt(0)
	flat_store_dwordx4 v[14:15], v[10:13] offset:2048
.LBB2086_98:
	s_or_b64 exec, exec, s[2:3]
	v_add_u32_e32 v5, 0x600, v2
	v_cmp_lt_u32_e32 vcc, v5, v4
	s_and_saveexec_b64 s[2:3], vcc
	s_cbranch_execz .LBB2086_100
; %bb.99:
	scratch_load_dwordx4 v[10:13], v26, off
	v_add_co_u32_e32 v14, vcc, 0x6000, v8
	s_nop 1
	v_addc_co_u32_e32 v15, vcc, 0, v9, vcc
	s_waitcnt vmcnt(0)
	flat_store_dwordx4 v[14:15], v[10:13]
.LBB2086_100:
	s_or_b64 exec, exec, s[2:3]
	v_add_u32_e32 v5, 0x680, v2
	v_cmp_lt_u32_e32 vcc, v5, v4
	s_and_saveexec_b64 s[2:3], vcc
	s_cbranch_execz .LBB2086_102
; %bb.101:
	scratch_load_dwordx4 v[10:13], v25, off
	v_add_co_u32_e32 v14, vcc, 0x6000, v8
	s_nop 1
	v_addc_co_u32_e32 v15, vcc, 0, v9, vcc
	s_waitcnt vmcnt(0)
	flat_store_dwordx4 v[14:15], v[10:13] offset:2048
.LBB2086_102:
	s_or_b64 exec, exec, s[2:3]
	v_add_u32_e32 v5, 0x700, v2
	v_cmp_lt_u32_e32 vcc, v5, v4
	s_and_saveexec_b64 s[2:3], vcc
	s_cbranch_execz .LBB2086_104
; %bb.103:
	scratch_load_dwordx4 v[10:13], v24, off
	v_add_co_u32_e32 v14, vcc, 0x7000, v8
	s_nop 1
	v_addc_co_u32_e32 v15, vcc, 0, v9, vcc
	s_waitcnt vmcnt(0)
	flat_store_dwordx4 v[14:15], v[10:13]
.LBB2086_104:
	s_or_b64 exec, exec, s[2:3]
	v_add_u32_e32 v5, 0x780, v2
	v_cmp_lt_u32_e32 vcc, v5, v4
	s_and_saveexec_b64 s[2:3], vcc
	s_cbranch_execz .LBB2086_106
; %bb.105:
	scratch_load_dwordx4 v[10:13], v23, off
	v_add_co_u32_e32 v14, vcc, 0x7000, v8
	s_nop 1
	v_addc_co_u32_e32 v15, vcc, 0, v9, vcc
	s_waitcnt vmcnt(0)
	flat_store_dwordx4 v[14:15], v[10:13] offset:2048
.LBB2086_106:
	s_or_b64 exec, exec, s[2:3]
	v_cmp_lt_u32_e32 vcc, v3, v4
	s_and_saveexec_b64 s[2:3], vcc
	s_cbranch_execz .LBB2086_108
; %bb.107:
	scratch_load_dwordx4 v[10:13], v22, off
	v_add_co_u32_e32 v14, vcc, 0x8000, v8
	s_nop 1
	v_addc_co_u32_e32 v15, vcc, 0, v9, vcc
	s_waitcnt vmcnt(0)
	flat_store_dwordx4 v[14:15], v[10:13]
.LBB2086_108:
	s_or_b64 exec, exec, s[2:3]
	v_add_u32_e32 v3, 0x880, v2
	v_cmp_lt_u32_e32 vcc, v3, v4
	s_and_saveexec_b64 s[2:3], vcc
	s_cbranch_execz .LBB2086_110
; %bb.109:
	scratch_load_dwordx4 v[10:13], v21, off
	v_add_co_u32_e32 v14, vcc, 0x8000, v8
	s_nop 1
	v_addc_co_u32_e32 v15, vcc, 0, v9, vcc
	s_waitcnt vmcnt(0)
	flat_store_dwordx4 v[14:15], v[10:13] offset:2048
.LBB2086_110:
	s_or_b64 exec, exec, s[2:3]
	v_add_u32_e32 v3, 0x900, v2
	v_cmp_lt_u32_e32 vcc, v3, v4
	s_and_saveexec_b64 s[2:3], vcc
	s_cbranch_execz .LBB2086_112
; %bb.111:
	scratch_load_dwordx4 v[10:13], v20, off
	v_add_co_u32_e32 v14, vcc, 0x9000, v8
	s_nop 1
	v_addc_co_u32_e32 v15, vcc, 0, v9, vcc
	s_waitcnt vmcnt(0)
	flat_store_dwordx4 v[14:15], v[10:13]
.LBB2086_112:
	s_or_b64 exec, exec, s[2:3]
	v_add_u32_e32 v3, 0x980, v2
	v_cmp_lt_u32_e32 vcc, v3, v4
	s_and_saveexec_b64 s[2:3], vcc
	s_cbranch_execz .LBB2086_114
; %bb.113:
	scratch_load_dwordx4 v[10:13], v19, off
	v_add_co_u32_e32 v14, vcc, 0x9000, v8
	s_nop 1
	v_addc_co_u32_e32 v15, vcc, 0, v9, vcc
	s_waitcnt vmcnt(0)
	flat_store_dwordx4 v[14:15], v[10:13] offset:2048
.LBB2086_114:
	s_or_b64 exec, exec, s[2:3]
	v_add_u32_e32 v3, 0xa00, v2
	;; [unrolled: 26-line block ×3, first 2 shown]
	v_cmp_lt_u32_e32 vcc, v5, v4
	v_mov_b32_e32 v3, v7
	s_and_b64 s[2:3], vcc, exec
                                        ; implicit-def: $vgpr31
                                        ; implicit-def: $vgpr38
                                        ; implicit-def: $vgpr37
                                        ; implicit-def: $vgpr36
                                        ; implicit-def: $vgpr35
                                        ; implicit-def: $vgpr34
                                        ; implicit-def: $vgpr33
                                        ; implicit-def: $vgpr32
                                        ; implicit-def: $vgpr30
                                        ; implicit-def: $vgpr29
                                        ; implicit-def: $vgpr28
                                        ; implicit-def: $vgpr27
                                        ; implicit-def: $vgpr26
                                        ; implicit-def: $vgpr25
                                        ; implicit-def: $vgpr24
                                        ; implicit-def: $vgpr23
                                        ; implicit-def: $vgpr22
                                        ; implicit-def: $vgpr21
                                        ; implicit-def: $vgpr20
                                        ; implicit-def: $vgpr19
                                        ; implicit-def: $vgpr18
                                        ; implicit-def: $vgpr17
                                        ; implicit-def: $vgpr10_vgpr11
                                        ; implicit-def: $vgpr12_vgpr13
	s_andn2_saveexec_b64 s[0:1], s[0:1]
	s_cbranch_execz .LBB2086_48
.LBB2086_119:
	flat_load_dwordx4 v[2:5], v[10:11]
	s_movk_i32 s11, 0x1000
	s_movk_i32 s10, 0x2000
	;; [unrolled: 1-line block ×7, first 2 shown]
	s_mov_b32 s9, 0x8000
	s_mov_b32 s12, 0x9000
	s_or_b64 s[2:3], s[2:3], exec
	s_waitcnt vmcnt(0) lgkmcnt(0)
	scratch_store_dwordx4 off, v[2:5], s32
	flat_load_dwordx4 v[2:5], v[10:11] offset:20
	s_waitcnt vmcnt(0) lgkmcnt(0)
	scratch_store_dwordx4 v38, v[2:5], off
	flat_load_dwordx4 v[2:5], v[10:11] offset:40
	s_waitcnt vmcnt(0) lgkmcnt(0)
	scratch_store_dwordx4 v37, v[2:5], off
	;; [unrolled: 3-line block ×22, first 2 shown]
	s_barrier
	scratch_load_dwordx4 v[6:9], off, s32
	v_and_b32_e32 v2, 0x3ff, v31
	v_mul_u32_u24_e32 v3, 23, v2
	v_lshlrev_b32_e32 v4, 4, v3
	v_mov_b32_e32 v5, 0
	v_lshl_add_u64 v[10:11], v[12:13], 0, v[4:5]
	v_lshlrev_b32_e32 v4, 4, v2
	v_mov_b32_e32 v3, v5
	s_waitcnt vmcnt(0)
	flat_store_dwordx4 v[10:11], v[6:9]
	scratch_load_dwordx4 v[6:9], v38, off
	s_waitcnt vmcnt(0)
	flat_store_dwordx4 v[10:11], v[6:9] offset:16
	scratch_load_dwordx4 v[6:9], v37, off
	s_waitcnt vmcnt(0)
	flat_store_dwordx4 v[10:11], v[6:9] offset:32
	scratch_load_dwordx4 v[6:9], v36, off
	s_waitcnt vmcnt(0)
	flat_store_dwordx4 v[10:11], v[6:9] offset:48
	scratch_load_dwordx4 v[6:9], v35, off
	s_waitcnt vmcnt(0)
	flat_store_dwordx4 v[10:11], v[6:9] offset:64
	scratch_load_dwordx4 v[6:9], v34, off
	s_waitcnt vmcnt(0)
	flat_store_dwordx4 v[10:11], v[6:9] offset:80
	scratch_load_dwordx4 v[6:9], v33, off
	s_waitcnt vmcnt(0)
	flat_store_dwordx4 v[10:11], v[6:9] offset:96
	scratch_load_dwordx4 v[6:9], v32, off
	s_waitcnt vmcnt(0)
	flat_store_dwordx4 v[10:11], v[6:9] offset:112
	scratch_load_dwordx4 v[6:9], v30, off
	s_waitcnt vmcnt(0)
	flat_store_dwordx4 v[10:11], v[6:9] offset:128
	scratch_load_dwordx4 v[6:9], v29, off
	s_waitcnt vmcnt(0)
	flat_store_dwordx4 v[10:11], v[6:9] offset:144
	scratch_load_dwordx4 v[6:9], v28, off
	s_waitcnt vmcnt(0)
	flat_store_dwordx4 v[10:11], v[6:9] offset:160
	scratch_load_dwordx4 v[6:9], v27, off
	s_waitcnt vmcnt(0)
	flat_store_dwordx4 v[10:11], v[6:9] offset:176
	scratch_load_dwordx4 v[6:9], v26, off
	s_waitcnt vmcnt(0)
	flat_store_dwordx4 v[10:11], v[6:9] offset:192
	scratch_load_dwordx4 v[6:9], v25, off
	s_waitcnt vmcnt(0)
	flat_store_dwordx4 v[10:11], v[6:9] offset:208
	scratch_load_dwordx4 v[6:9], v24, off
	s_waitcnt vmcnt(0)
	flat_store_dwordx4 v[10:11], v[6:9] offset:224
	scratch_load_dwordx4 v[6:9], v23, off
	s_waitcnt vmcnt(0)
	flat_store_dwordx4 v[10:11], v[6:9] offset:240
	scratch_load_dwordx4 v[6:9], v22, off
	s_waitcnt vmcnt(0)
	flat_store_dwordx4 v[10:11], v[6:9] offset:256
	scratch_load_dwordx4 v[6:9], v21, off
	s_waitcnt vmcnt(0)
	flat_store_dwordx4 v[10:11], v[6:9] offset:272
	scratch_load_dwordx4 v[6:9], v20, off
	s_waitcnt vmcnt(0)
	flat_store_dwordx4 v[10:11], v[6:9] offset:288
	scratch_load_dwordx4 v[6:9], v19, off
	s_waitcnt vmcnt(0)
	flat_store_dwordx4 v[10:11], v[6:9] offset:304
	scratch_load_dwordx4 v[6:9], v18, off
	s_waitcnt vmcnt(0)
	flat_store_dwordx4 v[10:11], v[6:9] offset:320
	scratch_load_dwordx4 v[6:9], v17, off
	s_waitcnt vmcnt(0)
	flat_store_dwordx4 v[10:11], v[6:9] offset:336
	scratch_load_dwordx4 v[6:9], v16, off
	s_waitcnt vmcnt(0)
	flat_store_dwordx4 v[10:11], v[6:9] offset:352
	v_lshl_add_u64 v[10:11], v[12:13], 0, v[4:5]
	s_waitcnt lgkmcnt(0)
	s_barrier
	flat_load_dwordx4 v[6:9], v[10:11] offset:2048
	v_add_co_u32_e32 v14, vcc, s11, v10
	s_waitcnt vmcnt(0) lgkmcnt(0)
	scratch_store_dwordx4 v38, v[6:9], off
	v_addc_co_u32_e32 v15, vcc, 0, v11, vcc
	flat_load_dwordx4 v[6:9], v[14:15]
	s_waitcnt vmcnt(0) lgkmcnt(0)
	scratch_store_dwordx4 v37, v[6:9], off
	flat_load_dwordx4 v[6:9], v[14:15] offset:2048
	v_add_co_u32_e32 v14, vcc, s10, v10
	s_waitcnt vmcnt(0) lgkmcnt(0)
	scratch_store_dwordx4 v36, v[6:9], off
	v_addc_co_u32_e32 v15, vcc, 0, v11, vcc
	flat_load_dwordx4 v[6:9], v[14:15]
	s_waitcnt vmcnt(0) lgkmcnt(0)
	scratch_store_dwordx4 v35, v[6:9], off
	;; [unrolled: 8-line block ×3, first 2 shown]
	flat_load_dwordx4 v[6:9], v[14:15] offset:2048
	s_waitcnt vmcnt(0) lgkmcnt(0)
	scratch_store_dwordx4 v32, v[6:9], off
	s_nop 1
	v_or_b32_e32 v6, 0x4000, v4
	v_mov_b32_e32 v7, v5
	v_lshl_add_u64 v[6:7], v[12:13], 0, v[6:7]
	flat_load_dwordx4 v[6:9], v[6:7]
	s_waitcnt vmcnt(0) lgkmcnt(0)
	scratch_store_dwordx4 v30, v[6:9], off
	s_nop 1
	v_add_co_u32_e32 v6, vcc, s5, v10
	s_nop 1
	v_addc_co_u32_e32 v7, vcc, 0, v11, vcc
	flat_load_dwordx4 v[6:9], v[6:7] offset:2048
	v_add_co_u32_e32 v14, vcc, s6, v10
	s_waitcnt vmcnt(0) lgkmcnt(0)
	scratch_store_dwordx4 v29, v[6:9], off
	v_addc_co_u32_e32 v15, vcc, 0, v11, vcc
	flat_load_dwordx4 v[6:9], v[14:15]
	s_waitcnt vmcnt(0) lgkmcnt(0)
	scratch_store_dwordx4 v28, v[6:9], off
	flat_load_dwordx4 v[6:9], v[14:15] offset:2048
	v_add_co_u32_e32 v14, vcc, s7, v10
	s_waitcnt vmcnt(0) lgkmcnt(0)
	scratch_store_dwordx4 v27, v[6:9], off
	v_addc_co_u32_e32 v15, vcc, 0, v11, vcc
	flat_load_dwordx4 v[6:9], v[14:15]
	s_waitcnt vmcnt(0) lgkmcnt(0)
	scratch_store_dwordx4 v26, v[6:9], off
	;; [unrolled: 8-line block ×3, first 2 shown]
	flat_load_dwordx4 v[6:9], v[14:15] offset:2048
	s_waitcnt vmcnt(0) lgkmcnt(0)
	scratch_store_dwordx4 v23, v[6:9], off
	s_nop 1
	v_or_b32_e32 v6, 0x8000, v4
	v_mov_b32_e32 v7, v5
	v_lshl_add_u64 v[6:7], v[12:13], 0, v[6:7]
	flat_load_dwordx4 v[6:9], v[6:7]
	s_waitcnt vmcnt(0) lgkmcnt(0)
	scratch_store_dwordx4 v22, v[6:9], off
	s_nop 1
	v_add_co_u32_e32 v6, vcc, s9, v10
	s_nop 1
	v_addc_co_u32_e32 v7, vcc, 0, v11, vcc
	flat_load_dwordx4 v[6:9], v[6:7] offset:2048
	v_add_co_u32_e32 v12, vcc, s12, v10
	s_mov_b32 s12, 0xa000
	s_nop 0
	v_addc_co_u32_e32 v13, vcc, 0, v11, vcc
	s_waitcnt vmcnt(0) lgkmcnt(0)
	scratch_store_dwordx4 v21, v[6:9], off
	flat_load_dwordx4 v[6:9], v[12:13]
	s_waitcnt vmcnt(0) lgkmcnt(0)
	scratch_store_dwordx4 v20, v[6:9], off
	flat_load_dwordx4 v[6:9], v[12:13] offset:2048
	v_add_co_u32_e32 v12, vcc, s12, v10
	s_mov_b32 s12, 0xb000
	s_nop 0
	v_addc_co_u32_e32 v13, vcc, 0, v11, vcc
	s_waitcnt vmcnt(0) lgkmcnt(0)
	scratch_store_dwordx4 v19, v[6:9], off
	flat_load_dwordx4 v[6:9], v[12:13]
	s_waitcnt vmcnt(0) lgkmcnt(0)
	scratch_store_dwordx4 v18, v[6:9], off
	flat_load_dwordx4 v[6:9], v[12:13] offset:2048
	s_waitcnt vmcnt(0) lgkmcnt(0)
	scratch_store_dwordx4 v17, v[6:9], off
	s_nop 1
	v_add_co_u32_e32 v6, vcc, s12, v10
	s_nop 1
	v_addc_co_u32_e32 v7, vcc, 0, v11, vcc
	flat_load_dwordx4 v[6:9], v[6:7]
	s_waitcnt vmcnt(0) lgkmcnt(0)
	scratch_store_dwordx4 v16, v[6:9], off
	s_nop 1
	v_lshl_add_u64 v[8:9], v[0:1], 0, v[4:5]
	flat_load_dwordx4 v[4:7], v[10:11]
	v_add_co_u32_e32 v10, vcc, s11, v8
	s_waitcnt vmcnt(0) lgkmcnt(0)
	flat_store_dwordx4 v[8:9], v[4:7]
	scratch_load_dwordx4 v[4:7], v38, off
	v_addc_co_u32_e32 v11, vcc, 0, v9, vcc
	s_waitcnt vmcnt(0)
	flat_store_dwordx4 v[8:9], v[4:7] offset:2048
	scratch_load_dwordx4 v[4:7], v37, off
	s_waitcnt vmcnt(0)
	flat_store_dwordx4 v[10:11], v[4:7]
	scratch_load_dwordx4 v[4:7], v36, off
	s_waitcnt vmcnt(0)
	flat_store_dwordx4 v[10:11], v[4:7] offset:2048
	scratch_load_dwordx4 v[4:7], v35, off
	v_add_co_u32_e32 v10, vcc, s10, v8
	s_nop 1
	v_addc_co_u32_e32 v11, vcc, 0, v9, vcc
	s_waitcnt vmcnt(0)
	flat_store_dwordx4 v[10:11], v[4:7]
	scratch_load_dwordx4 v[4:7], v34, off
	s_waitcnt vmcnt(0)
	flat_store_dwordx4 v[10:11], v[4:7] offset:2048
	scratch_load_dwordx4 v[4:7], v33, off
	v_add_co_u32_e32 v10, vcc, s4, v8
	s_nop 1
	v_addc_co_u32_e32 v11, vcc, 0, v9, vcc
	;; [unrolled: 9-line block ×8, first 2 shown]
	v_add_co_u32_e32 v8, vcc, 0xa000, v8
	s_waitcnt vmcnt(0)
	flat_store_dwordx4 v[10:11], v[4:7]
	scratch_load_dwordx4 v[4:7], v19, off
	v_addc_co_u32_e32 v9, vcc, 0, v9, vcc
	s_waitcnt vmcnt(0)
	flat_store_dwordx4 v[10:11], v[4:7] offset:2048
	scratch_load_dwordx4 v[4:7], v18, off
	s_waitcnt vmcnt(0)
	flat_store_dwordx4 v[8:9], v[4:7]
	scratch_load_dwordx4 v[4:7], v17, off
	s_waitcnt vmcnt(0)
	flat_store_dwordx4 v[8:9], v[4:7] offset:2048
	s_or_b64 exec, exec, s[0:1]
	s_and_saveexec_b64 s[0:1], s[2:3]
	s_cbranch_execz .LBB2086_49
.LBB2086_120:
	scratch_load_dwordx4 v[4:7], v16, off
	v_lshl_add_u64 v[0:1], v[2:3], 4, v[0:1]
	v_add_co_u32_e32 v0, vcc, 0xb000, v0
	s_nop 1
	v_addc_co_u32_e32 v1, vcc, 0, v1, vcc
	s_waitcnt vmcnt(0)
	flat_store_dwordx4 v[0:1], v[4:7]
	s_or_b64 exec, exec, s[0:1]
	s_waitcnt vmcnt(0) lgkmcnt(0)
	s_setpc_b64 s[30:31]
.Lfunc_end2086:
	.size	_ZN7rocprim17ROCPRIM_400000_NS6detail12unwrap_storeILj128ELj23E11FixedVectorIiLj4EELNS0_18block_store_methodE3ELNS0_4arch9wavefront6targetE1EE5storeIN6thrust23THRUST_200600_302600_NS6detail15normal_iteratorINSC_10device_ptrIS4_EEEEEEvT_jmmjmRA23_KNS0_5tupleIJS4_bEEERNS0_14block_exchangeIS4_Lj128ELj23ELj1ELj1ELNS0_18block_padding_hintE0ELS8_1EE13storage_type_E, .Lfunc_end2086-_ZN7rocprim17ROCPRIM_400000_NS6detail12unwrap_storeILj128ELj23E11FixedVectorIiLj4EELNS0_18block_store_methodE3ELNS0_4arch9wavefront6targetE1EE5storeIN6thrust23THRUST_200600_302600_NS6detail15normal_iteratorINSC_10device_ptrIS4_EEEEEEvT_jmmjmRA23_KNS0_5tupleIJS4_bEEERNS0_14block_exchangeIS4_Lj128ELj23ELj1ELj1ELNS0_18block_padding_hintE0ELS8_1EE13storage_type_E
                                        ; -- End function
	.section	.AMDGPU.csdata,"",@progbits
; Function info:
; codeLenInByte = 6652
; NumSgprs: 39
; NumVgprs: 88
; NumAgprs: 0
; TotalNumVgprs: 88
; ScratchSize: 384
; MemoryBound: 0
	.section	.text._ZN7rocprim17ROCPRIM_400000_NS6detail17trampoline_kernelINS0_14default_configENS1_27scan_by_key_config_selectorIj11FixedVectorIiLj4EEEEZZNS1_16scan_by_key_implILNS1_25lookback_scan_determinismE0ELb1ES3_N6thrust23THRUST_200600_302600_NS6detail15normal_iteratorINSB_10device_ptrIjEEEENSD_INSE_IS6_EEEESI_S6_NSB_4plusIvEENSB_8equal_toIvEES6_EE10hipError_tPvRmT2_T3_T4_T5_mT6_T7_P12ihipStream_tbENKUlT_T0_E_clISt17integral_constantIbLb1EES13_EEDaSY_SZ_EUlSY_E_NS1_11comp_targetILNS1_3genE5ELNS1_11target_archE942ELNS1_3gpuE9ELNS1_3repE0EEENS1_30default_config_static_selectorELNS0_4arch9wavefront6targetE1EEEvT1_,"axG",@progbits,_ZN7rocprim17ROCPRIM_400000_NS6detail17trampoline_kernelINS0_14default_configENS1_27scan_by_key_config_selectorIj11FixedVectorIiLj4EEEEZZNS1_16scan_by_key_implILNS1_25lookback_scan_determinismE0ELb1ES3_N6thrust23THRUST_200600_302600_NS6detail15normal_iteratorINSB_10device_ptrIjEEEENSD_INSE_IS6_EEEESI_S6_NSB_4plusIvEENSB_8equal_toIvEES6_EE10hipError_tPvRmT2_T3_T4_T5_mT6_T7_P12ihipStream_tbENKUlT_T0_E_clISt17integral_constantIbLb1EES13_EEDaSY_SZ_EUlSY_E_NS1_11comp_targetILNS1_3genE5ELNS1_11target_archE942ELNS1_3gpuE9ELNS1_3repE0EEENS1_30default_config_static_selectorELNS0_4arch9wavefront6targetE1EEEvT1_,comdat
	.protected	_ZN7rocprim17ROCPRIM_400000_NS6detail17trampoline_kernelINS0_14default_configENS1_27scan_by_key_config_selectorIj11FixedVectorIiLj4EEEEZZNS1_16scan_by_key_implILNS1_25lookback_scan_determinismE0ELb1ES3_N6thrust23THRUST_200600_302600_NS6detail15normal_iteratorINSB_10device_ptrIjEEEENSD_INSE_IS6_EEEESI_S6_NSB_4plusIvEENSB_8equal_toIvEES6_EE10hipError_tPvRmT2_T3_T4_T5_mT6_T7_P12ihipStream_tbENKUlT_T0_E_clISt17integral_constantIbLb1EES13_EEDaSY_SZ_EUlSY_E_NS1_11comp_targetILNS1_3genE5ELNS1_11target_archE942ELNS1_3gpuE9ELNS1_3repE0EEENS1_30default_config_static_selectorELNS0_4arch9wavefront6targetE1EEEvT1_ ; -- Begin function _ZN7rocprim17ROCPRIM_400000_NS6detail17trampoline_kernelINS0_14default_configENS1_27scan_by_key_config_selectorIj11FixedVectorIiLj4EEEEZZNS1_16scan_by_key_implILNS1_25lookback_scan_determinismE0ELb1ES3_N6thrust23THRUST_200600_302600_NS6detail15normal_iteratorINSB_10device_ptrIjEEEENSD_INSE_IS6_EEEESI_S6_NSB_4plusIvEENSB_8equal_toIvEES6_EE10hipError_tPvRmT2_T3_T4_T5_mT6_T7_P12ihipStream_tbENKUlT_T0_E_clISt17integral_constantIbLb1EES13_EEDaSY_SZ_EUlSY_E_NS1_11comp_targetILNS1_3genE5ELNS1_11target_archE942ELNS1_3gpuE9ELNS1_3repE0EEENS1_30default_config_static_selectorELNS0_4arch9wavefront6targetE1EEEvT1_
	.globl	_ZN7rocprim17ROCPRIM_400000_NS6detail17trampoline_kernelINS0_14default_configENS1_27scan_by_key_config_selectorIj11FixedVectorIiLj4EEEEZZNS1_16scan_by_key_implILNS1_25lookback_scan_determinismE0ELb1ES3_N6thrust23THRUST_200600_302600_NS6detail15normal_iteratorINSB_10device_ptrIjEEEENSD_INSE_IS6_EEEESI_S6_NSB_4plusIvEENSB_8equal_toIvEES6_EE10hipError_tPvRmT2_T3_T4_T5_mT6_T7_P12ihipStream_tbENKUlT_T0_E_clISt17integral_constantIbLb1EES13_EEDaSY_SZ_EUlSY_E_NS1_11comp_targetILNS1_3genE5ELNS1_11target_archE942ELNS1_3gpuE9ELNS1_3repE0EEENS1_30default_config_static_selectorELNS0_4arch9wavefront6targetE1EEEvT1_
	.p2align	8
	.type	_ZN7rocprim17ROCPRIM_400000_NS6detail17trampoline_kernelINS0_14default_configENS1_27scan_by_key_config_selectorIj11FixedVectorIiLj4EEEEZZNS1_16scan_by_key_implILNS1_25lookback_scan_determinismE0ELb1ES3_N6thrust23THRUST_200600_302600_NS6detail15normal_iteratorINSB_10device_ptrIjEEEENSD_INSE_IS6_EEEESI_S6_NSB_4plusIvEENSB_8equal_toIvEES6_EE10hipError_tPvRmT2_T3_T4_T5_mT6_T7_P12ihipStream_tbENKUlT_T0_E_clISt17integral_constantIbLb1EES13_EEDaSY_SZ_EUlSY_E_NS1_11comp_targetILNS1_3genE5ELNS1_11target_archE942ELNS1_3gpuE9ELNS1_3repE0EEENS1_30default_config_static_selectorELNS0_4arch9wavefront6targetE1EEEvT1_,@function
_ZN7rocprim17ROCPRIM_400000_NS6detail17trampoline_kernelINS0_14default_configENS1_27scan_by_key_config_selectorIj11FixedVectorIiLj4EEEEZZNS1_16scan_by_key_implILNS1_25lookback_scan_determinismE0ELb1ES3_N6thrust23THRUST_200600_302600_NS6detail15normal_iteratorINSB_10device_ptrIjEEEENSD_INSE_IS6_EEEESI_S6_NSB_4plusIvEENSB_8equal_toIvEES6_EE10hipError_tPvRmT2_T3_T4_T5_mT6_T7_P12ihipStream_tbENKUlT_T0_E_clISt17integral_constantIbLb1EES13_EEDaSY_SZ_EUlSY_E_NS1_11comp_targetILNS1_3genE5ELNS1_11target_archE942ELNS1_3gpuE9ELNS1_3repE0EEENS1_30default_config_static_selectorELNS0_4arch9wavefront6targetE1EEEvT1_: ; @_ZN7rocprim17ROCPRIM_400000_NS6detail17trampoline_kernelINS0_14default_configENS1_27scan_by_key_config_selectorIj11FixedVectorIiLj4EEEEZZNS1_16scan_by_key_implILNS1_25lookback_scan_determinismE0ELb1ES3_N6thrust23THRUST_200600_302600_NS6detail15normal_iteratorINSB_10device_ptrIjEEEENSD_INSE_IS6_EEEESI_S6_NSB_4plusIvEENSB_8equal_toIvEES6_EE10hipError_tPvRmT2_T3_T4_T5_mT6_T7_P12ihipStream_tbENKUlT_T0_E_clISt17integral_constantIbLb1EES13_EEDaSY_SZ_EUlSY_E_NS1_11comp_targetILNS1_3genE5ELNS1_11target_archE942ELNS1_3gpuE9ELNS1_3repE0EEENS1_30default_config_static_selectorELNS0_4arch9wavefront6targetE1EEEvT1_
; %bb.0:
	s_load_dwordx8 s[52:59], s[0:1], 0x38
	s_load_dwordx2 s[76:77], s[0:1], 0x58
	v_mov_b32_e32 v7, v0
	v_cmp_ne_u32_e64 s[2:3], 0, v7
	v_cmp_eq_u32_e64 s[50:51], 0, v7
	s_movk_i32 s32, 0x3c0
	s_and_saveexec_b64 s[4:5], s[50:51]
	s_cbranch_execz .LBB2087_4
; %bb.1:
	s_mov_b64 s[8:9], exec
	v_mbcnt_lo_u32_b32 v0, s8, 0
	v_mbcnt_hi_u32_b32 v0, s9, v0
	v_cmp_eq_u32_e32 vcc, 0, v0
                                        ; implicit-def: $vgpr1
	s_and_saveexec_b64 s[6:7], vcc
	s_cbranch_execz .LBB2087_3
; %bb.2:
	s_load_dwordx2 s[10:11], s[0:1], 0x88
	s_bcnt1_i32_b64 s8, s[8:9]
	v_mov_b32_e32 v1, 0
	v_mov_b32_e32 v2, s8
	s_waitcnt lgkmcnt(0)
	global_atomic_add v1, v1, v2, s[10:11] sc0
.LBB2087_3:
	s_or_b64 exec, exec, s[6:7]
	s_waitcnt vmcnt(0)
	v_readfirstlane_b32 s6, v1
	v_mov_b32_e32 v1, 0
	s_nop 0
	v_add_u32_e32 v0, s6, v0
	ds_write_b32 v1, v0
.LBB2087_4:
	s_or_b64 exec, exec, s[4:5]
	s_load_dwordx8 s[60:67], s[0:1], 0x0
	s_load_dwordx4 s[72:75], s[0:1], 0x20
	s_load_dword s4, s[0:1], 0x60
	s_load_dwordx4 s[68:71], s[0:1], 0x68
	v_mov_b32_e32 v0, 0
	s_waitcnt lgkmcnt(0)
	s_barrier
	ds_read_b32 v1, v0
	s_mov_b32 s0, 0
	v_mov_b32_e32 v2, v0
	v_mov_b32_e32 v3, v0
	s_waitcnt lgkmcnt(0)
	v_readfirstlane_b32 s33, v1
	v_mov_b32_e32 v1, v0
	s_barrier
	s_barrier
	scratch_store_dword off, v0, off offset:480
	scratch_store_dwordx4 off, v[0:3], off offset:464
.LBB2087_5:                             ; =>This Inner Loop Header: Depth=1
	s_add_i32 s1, s0, 0x1d0
	s_add_i32 s0, s0, 8
	s_cmp_lg_u32 s0, 16
	scratch_store_dwordx2 off, v[0:1], s1
	s_cbranch_scc1 .LBB2087_5
; %bb.6:
	v_mov_b32_e32 v0, 0
	v_mov_b32_e32 v1, 0x1d0
	s_mov_b32 s0, 20
	v_add_u32_e32 v46, 20, v1
	v_mov_b32_e32 v1, v0
	v_mov_b32_e32 v2, v0
	v_mov_b32_e32 v3, v0
	scratch_store_byte off, v0, off offset:480
	scratch_store_dword off, v0, off offset:500
	scratch_store_dwordx4 off, v[0:3], off offset:484
.LBB2087_7:                             ; =>This Inner Loop Header: Depth=1
	s_add_i32 s1, s0, 0x1d0
	s_add_i32 s0, s0, 8
	s_cmp_lg_u32 s0, 36
	scratch_store_dwordx2 off, v[0:1], s1
	s_cbranch_scc1 .LBB2087_7
; %bb.8:
	v_mov_b32_e32 v0, 0
	v_mov_b32_e32 v1, 0x1d0
	s_mov_b32 s0, 40
	v_add_u32_e32 v45, 40, v1
	v_mov_b32_e32 v1, v0
	v_mov_b32_e32 v2, v0
	v_mov_b32_e32 v3, v0
	scratch_store_byte off, v0, off offset:500
	;; [unrolled: 17-line block ×3, first 2 shown]
	scratch_store_dword off, v0, off offset:540
	scratch_store_dwordx4 off, v[0:3], off offset:524
.LBB2087_11:                            ; =>This Inner Loop Header: Depth=1
	s_add_i32 s1, s0, 0x1d0
	s_add_i32 s0, s0, 8
	s_cmpk_lg_i32 s0, 0x4c
	scratch_store_dwordx2 off, v[0:1], s1
	s_cbranch_scc1 .LBB2087_11
; %bb.12:
	v_mov_b32_e32 v0, 0
	v_mov_b32_e32 v1, 0x1d0
	s_movk_i32 s0, 0x50
	v_add_u32_e32 v43, 0x50, v1
	v_mov_b32_e32 v1, v0
	v_mov_b32_e32 v2, v0
	v_mov_b32_e32 v3, v0
	scratch_store_byte off, v0, off offset:540
	scratch_store_dword off, v0, off offset:560
	scratch_store_dwordx4 off, v[0:3], off offset:544
.LBB2087_13:                            ; =>This Inner Loop Header: Depth=1
	s_add_i32 s1, s0, 0x1d0
	s_add_i32 s0, s0, 8
	s_cmpk_lg_i32 s0, 0x60
	scratch_store_dwordx2 off, v[0:1], s1
	s_cbranch_scc1 .LBB2087_13
; %bb.14:
	v_mov_b32_e32 v0, 0
	v_mov_b32_e32 v1, 0x1d0
	s_movk_i32 s0, 0x64
	v_add_u32_e32 v42, 0x64, v1
	v_mov_b32_e32 v1, v0
	v_mov_b32_e32 v2, v0
	v_mov_b32_e32 v3, v0
	scratch_store_byte off, v0, off offset:560
	;; [unrolled: 17-line block ×19, first 2 shown]
	scratch_store_dword off, v0, off offset:920
	scratch_store_dwordx4 off, v[0:3], off offset:904
.LBB2087_49:                            ; =>This Inner Loop Header: Depth=1
	s_add_i32 s1, s0, 0x1d0
	s_add_i32 s0, s0, 8
	s_cmpk_lg_i32 s0, 0x1c8
	scratch_store_dwordx2 off, v[0:1], s1
	s_cbranch_scc1 .LBB2087_49
; %bb.50:
	v_mov_b32_e32 v0, 0
	v_mov_b64_e32 v[2:3], s[72:73]
	s_mov_b32 s0, 0
	v_mov_b64_e32 v[4:5], s[74:75]
	v_mov_b32_e32 v1, v0
	scratch_store_byte off, v0, off offset:920
	scratch_store_dwordx4 off, v[2:5], off
.LBB2087_51:                            ; =>This Inner Loop Header: Depth=1
	s_add_i32 s1, s0, 0x60
	s_add_i32 s0, s0, 8
	s_cmp_lg_u32 s0, 16
	scratch_store_dwordx2 off, v[0:1], s1
	s_cbranch_scc1 .LBB2087_51
; %bb.52:
	v_mov_b32_e32 v0, 0
	s_mov_b32 s0, 16
	v_mov_b32_e32 v1, v0
.LBB2087_53:                            ; =>This Inner Loop Header: Depth=1
	s_add_i32 s1, s0, 0x60
	s_add_i32 s0, s0, 8
	s_cmp_lg_u32 s0, 32
	scratch_store_dwordx2 off, v[0:1], s1
	s_cbranch_scc1 .LBB2087_53
; %bb.54:
	v_mov_b32_e32 v0, 0
	s_mov_b32 s0, 32
	v_mov_b32_e32 v1, v0
	;; [unrolled: 10-line block ×4, first 2 shown]
.LBB2087_59:                            ; =>This Inner Loop Header: Depth=1
	s_add_i32 s1, s0, 0x60
	s_add_i32 s0, s0, 8
	s_cmpk_lg_i32 s0, 0x50
	scratch_store_dwordx2 off, v[0:1], s1
	s_cbranch_scc1 .LBB2087_59
; %bb.60:
	v_mov_b32_e32 v0, 0
	s_movk_i32 s0, 0x50
	v_mov_b32_e32 v1, v0
.LBB2087_61:                            ; =>This Inner Loop Header: Depth=1
	s_add_i32 s1, s0, 0x60
	s_add_i32 s0, s0, 8
	s_cmpk_lg_i32 s0, 0x60
	scratch_store_dwordx2 off, v[0:1], s1
	s_cbranch_scc1 .LBB2087_61
; %bb.62:
	v_mov_b32_e32 v0, 0
	s_movk_i32 s0, 0x60
	v_mov_b32_e32 v1, v0
	;; [unrolled: 10-line block ×18, first 2 shown]
.LBB2087_95:                            ; =>This Inner Loop Header: Depth=1
	s_add_i32 s1, s0, 0x60
	s_add_i32 s0, s0, 8
	s_cmpk_lg_i32 s0, 0x170
	scratch_store_dwordx2 off, v[0:1], s1
	s_cbranch_scc1 .LBB2087_95
; %bb.96:
	s_lshl_b64 s[0:1], s[62:63], 2
	s_add_u32 s6, s60, s0
	s_addc_u32 s7, s61, s1
	s_lshl_b64 s[60:61], s[62:63], 4
	s_add_u32 s8, s64, s60
	s_mul_i32 s0, s77, s4
	s_mul_hi_u32 s1, s76, s4
	s_addc_u32 s9, s65, s61
	s_add_i32 s82, s1, s0
	s_mul_i32 s0, s33, 0xb80
	s_mov_b32 s1, 0
	s_mul_i32 s83, s76, s4
	s_lshl_b64 s[4:5], s[0:1], 2
	s_add_u32 s64, s6, s4
	s_addc_u32 s65, s7, s5
	s_lshl_b64 s[0:1], s[0:1], 4
	s_add_u32 s62, s8, s0
	s_addc_u32 s63, s9, s1
	s_add_u32 s6, s83, s33
	s_addc_u32 s7, s82, 0
	s_add_u32 s0, s68, -1
	v_mov_b32_e32 v0, 0x60
	s_addc_u32 s1, s69, -1
	v_add_u32_e32 v47, 0x160, v0
	v_add_u32_e32 v48, 0x150, v0
	;; [unrolled: 1-line block ×22, first 2 shown]
	v_mov_b64_e32 v[0:1], s[0:1]
	v_cmp_ge_u64_e32 vcc, s[6:7], v[0:1]
	s_mov_b64 s[4:5], -1
	s_cbranch_vccz .LBB2087_214
; %bb.97:
	v_mov_b64_e32 v[0:1], s[64:65]
	flat_load_dword v0, v[0:1]
	s_mul_i32 s84, s0, 0xfffff480
	s_add_i32 s84, s84, s58
	v_cmp_gt_u32_e32 vcc, s84, v7
	s_waitcnt vmcnt(0) lgkmcnt(0)
	v_mov_b32_e32 v1, v0
	s_and_saveexec_b64 s[0:1], vcc
	s_cbranch_execz .LBB2087_99
; %bb.98:
	v_lshlrev_b32_e32 v2, 2, v7
	v_mov_b32_e32 v3, 0
	v_lshl_add_u64 v[2:3], s[64:65], 0, v[2:3]
	flat_load_dword v1, v[2:3]
.LBB2087_99:
	s_or_b64 exec, exec, s[0:1]
	v_or_b32_e32 v2, 0x80, v7
	v_cmp_gt_u32_e64 s[4:5], s84, v2
	v_mov_b32_e32 v2, v0
	s_and_saveexec_b64 s[0:1], s[4:5]
	s_cbranch_execz .LBB2087_101
; %bb.100:
	v_lshlrev_b32_e32 v2, 2, v7
	v_mov_b32_e32 v3, 0
	v_lshl_add_u64 v[2:3], s[64:65], 0, v[2:3]
	flat_load_dword v2, v[2:3] offset:512
.LBB2087_101:
	s_or_b64 exec, exec, s[0:1]
	v_or_b32_e32 v71, 0x100, v7
	v_cmp_gt_u32_e64 s[6:7], s84, v71
	v_mov_b32_e32 v3, v0
	s_and_saveexec_b64 s[0:1], s[6:7]
	s_cbranch_execz .LBB2087_103
; %bb.102:
	v_lshlrev_b32_e32 v4, 2, v7
	v_mov_b32_e32 v5, 0
	v_lshl_add_u64 v[4:5], s[64:65], 0, v[4:5]
	flat_load_dword v3, v[4:5] offset:1024
.LBB2087_103:
	;; [unrolled: 12-line block ×7, first 2 shown]
	s_or_b64 exec, exec, s[0:1]
	v_or_b32_e32 v77, 0x400, v7
	v_cmp_gt_u32_e64 s[18:19], s84, v77
	v_mov_b32_e32 v11, v0
	s_and_saveexec_b64 s[0:1], s[18:19]
	s_cbranch_execz .LBB2087_115
; %bb.114:
	v_lshlrev_b32_e32 v12, 2, v77
	v_mov_b32_e32 v13, 0
	v_lshl_add_u64 v[12:13], s[64:65], 0, v[12:13]
	flat_load_dword v11, v[12:13]
.LBB2087_115:
	s_or_b64 exec, exec, s[0:1]
	v_or_b32_e32 v78, 0x480, v7
	v_cmp_gt_u32_e64 s[20:21], s84, v78
	v_mov_b32_e32 v12, v0
	s_and_saveexec_b64 s[0:1], s[20:21]
	s_cbranch_execz .LBB2087_117
; %bb.116:
	v_lshlrev_b32_e32 v12, 2, v78
	v_mov_b32_e32 v13, 0
	v_lshl_add_u64 v[12:13], s[64:65], 0, v[12:13]
	flat_load_dword v12, v[12:13]
.LBB2087_117:
	;; [unrolled: 12-line block ×14, first 2 shown]
	s_or_b64 exec, exec, s[0:1]
	v_or_b32_e32 v91, 0xb00, v7
	v_cmp_gt_u32_e64 s[48:49], s84, v91
	s_and_saveexec_b64 s[0:1], s[48:49]
	s_cbranch_execz .LBB2087_143
; %bb.142:
	v_lshlrev_b32_e32 v92, 2, v91
	v_mov_b32_e32 v93, 0
	v_lshl_add_u64 v[92:93], s[64:65], 0, v[92:93]
	flat_load_dword v0, v[92:93]
.LBB2087_143:
	s_or_b64 exec, exec, s[0:1]
	v_lshlrev_b32_e32 v24, 2, v7
	s_waitcnt vmcnt(0) lgkmcnt(0)
	ds_write2st64_b32 v24, v1, v2 offset1:2
	ds_write2st64_b32 v24, v3, v4 offset0:4 offset1:6
	ds_write2st64_b32 v24, v5, v8 offset0:8 offset1:10
	;; [unrolled: 1-line block ×10, first 2 shown]
	ds_write_b32 v24, v0 offset:11264
	v_mov_b64_e32 v[0:1], s[64:65]
	s_waitcnt lgkmcnt(0)
	s_barrier
	flat_load_dword v69, v[0:1]
	s_movk_i32 s0, 0x58
	v_mad_u32_u24 v25, v7, s0, v24
	s_movk_i32 s0, 0xffa8
	ds_read_b32 v70, v25
	ds_read2_b32 v[22:23], v25 offset0:1 offset1:2
	ds_read2_b32 v[20:21], v25 offset0:3 offset1:4
	;; [unrolled: 1-line block ×11, first 2 shown]
	v_mad_i32_i24 v25, v7, s0, v25
	s_movk_i32 s0, 0x7f
	v_cmp_ne_u32_e64 s[0:1], s0, v7
	s_waitcnt lgkmcnt(0)
	ds_write_b32 v25, v70 offset:12288
	s_waitcnt lgkmcnt(0)
	s_barrier
	s_and_saveexec_b64 s[78:79], s[0:1]
	s_cbranch_execz .LBB2087_145
; %bb.144:
	s_waitcnt vmcnt(0)
	ds_read_b32 v69, v24 offset:12292
.LBB2087_145:
	s_or_b64 exec, exec, s[78:79]
	v_mov_b32_e32 v25, 0
	s_waitcnt lgkmcnt(0)
	s_barrier
	s_and_saveexec_b64 s[0:1], vcc
	s_cbranch_execnz .LBB2087_1252
; %bb.146:
	s_or_b64 exec, exec, s[0:1]
	s_and_saveexec_b64 s[0:1], s[4:5]
	s_cbranch_execnz .LBB2087_1253
.LBB2087_147:
	s_or_b64 exec, exec, s[0:1]
	s_and_saveexec_b64 s[0:1], s[6:7]
	s_cbranch_execnz .LBB2087_1254
.LBB2087_148:
	s_or_b64 exec, exec, s[0:1]
	s_and_saveexec_b64 s[0:1], s[8:9]
	s_cbranch_execnz .LBB2087_1255
.LBB2087_149:
	s_or_b64 exec, exec, s[0:1]
	s_and_saveexec_b64 s[0:1], s[10:11]
	s_cbranch_execnz .LBB2087_1256
.LBB2087_150:
	s_or_b64 exec, exec, s[0:1]
	s_and_saveexec_b64 s[0:1], s[12:13]
	s_cbranch_execnz .LBB2087_1257
.LBB2087_151:
	s_or_b64 exec, exec, s[0:1]
	s_and_saveexec_b64 s[0:1], s[14:15]
	s_cbranch_execnz .LBB2087_1258
.LBB2087_152:
	s_or_b64 exec, exec, s[0:1]
	s_and_saveexec_b64 s[0:1], s[16:17]
	s_cbranch_execnz .LBB2087_1259
.LBB2087_153:
	s_or_b64 exec, exec, s[0:1]
	s_and_saveexec_b64 s[0:1], s[18:19]
	s_cbranch_execnz .LBB2087_1260
.LBB2087_154:
	s_or_b64 exec, exec, s[0:1]
	s_and_saveexec_b64 s[0:1], s[20:21]
	s_cbranch_execnz .LBB2087_1261
.LBB2087_155:
	s_or_b64 exec, exec, s[0:1]
	s_and_saveexec_b64 s[0:1], s[22:23]
	s_cbranch_execnz .LBB2087_1262
.LBB2087_156:
	s_or_b64 exec, exec, s[0:1]
	s_and_saveexec_b64 s[0:1], s[24:25]
	s_cbranch_execnz .LBB2087_1263
.LBB2087_157:
	s_or_b64 exec, exec, s[0:1]
	s_and_saveexec_b64 s[0:1], s[26:27]
	s_cbranch_execnz .LBB2087_1264
.LBB2087_158:
	s_or_b64 exec, exec, s[0:1]
	s_and_saveexec_b64 s[0:1], s[28:29]
	s_cbranch_execnz .LBB2087_1265
.LBB2087_159:
	s_or_b64 exec, exec, s[0:1]
	s_and_saveexec_b64 s[0:1], s[30:31]
	s_cbranch_execnz .LBB2087_1266
.LBB2087_160:
	s_or_b64 exec, exec, s[0:1]
	s_and_saveexec_b64 s[0:1], s[34:35]
	s_cbranch_execnz .LBB2087_1267
.LBB2087_161:
	s_or_b64 exec, exec, s[0:1]
	s_and_saveexec_b64 s[0:1], s[36:37]
	s_cbranch_execnz .LBB2087_1268
.LBB2087_162:
	s_or_b64 exec, exec, s[0:1]
	s_and_saveexec_b64 s[0:1], s[38:39]
	s_cbranch_execnz .LBB2087_1269
.LBB2087_163:
	s_or_b64 exec, exec, s[0:1]
	s_and_saveexec_b64 s[0:1], s[40:41]
	s_cbranch_execnz .LBB2087_1270
.LBB2087_164:
	s_or_b64 exec, exec, s[0:1]
	s_and_saveexec_b64 s[0:1], s[42:43]
	s_cbranch_execnz .LBB2087_1271
.LBB2087_165:
	s_or_b64 exec, exec, s[0:1]
	s_and_saveexec_b64 s[0:1], s[44:45]
	s_cbranch_execnz .LBB2087_1272
.LBB2087_166:
	s_or_b64 exec, exec, s[0:1]
	s_and_saveexec_b64 s[0:1], s[46:47]
	s_cbranch_execnz .LBB2087_1273
.LBB2087_167:
	s_or_b64 exec, exec, s[0:1]
	v_mul_u32_u24_e32 v24, 23, v7
	s_and_saveexec_b64 s[0:1], s[48:49]
	s_cbranch_execz .LBB2087_169
.LBB2087_168:
	v_lshlrev_b32_e32 v72, 4, v91
	v_mov_b32_e32 v73, 0
	v_lshl_add_u64 v[72:73], s[62:63], 0, v[72:73]
	flat_load_dwordx4 v[72:75], v[72:73]
	s_waitcnt vmcnt(0) lgkmcnt(0)
	scratch_store_dwordx4 off, v[72:75], off offset:448
.LBB2087_169:
	s_or_b64 exec, exec, s[0:1]
	scratch_load_dwordx4 v[72:75], off, off offset:96
	scratch_load_dwordx4 v[76:79], v68, off
	scratch_load_dwordx4 v[80:83], v67, off
	;; [unrolled: 1-line block ×22, first 2 shown]
	v_lshlrev_b32_e32 v25, 4, v7
	s_movk_i32 s0, 0x160
	v_mad_u32_u24 v71, v7, s0, v25
	v_cmp_gt_u32_e32 vcc, s84, v24
	s_mov_b64 s[4:5], 0
	s_mov_b64 s[8:9], 0
                                        ; implicit-def: $sgpr0_sgpr1
	s_waitcnt vmcnt(0)
	ds_write_b128 v25, v[72:75]
	ds_write_b128 v25, v[76:79] offset:2048
	ds_write_b128 v25, v[80:83] offset:4096
	;; [unrolled: 1-line block ×22, first 2 shown]
	s_waitcnt lgkmcnt(0)
	s_barrier
	ds_read_b128 v[72:75], v71
	ds_read_b128 v[76:79], v71 offset:16
	ds_read_b128 v[80:83], v71 offset:32
	;; [unrolled: 1-line block ×17, first 2 shown]
	s_waitcnt lgkmcnt(14)
	scratch_store_dwordx4 off, v[72:75], off offset:96
	scratch_store_dwordx4 v68, v[76:79], off
	scratch_store_dwordx4 v67, v[80:83], off
	;; [unrolled: 1-line block ×3, first 2 shown]
	s_waitcnt lgkmcnt(13)
	scratch_store_dwordx4 v65, v[88:91], off
	s_waitcnt lgkmcnt(12)
	scratch_store_dwordx4 v64, v[92:95], off
	;; [unrolled: 2-line block ×14, first 2 shown]
	ds_read_b128 v[72:75], v71 offset:288
	ds_read_b128 v[76:79], v71 offset:304
	ds_read_b128 v[80:83], v71 offset:320
	ds_read_b128 v[84:87], v71 offset:336
	ds_read_b128 v[88:91], v71 offset:352
	s_waitcnt lgkmcnt(4)
	scratch_store_dwordx4 v51, v[72:75], off
	s_waitcnt lgkmcnt(3)
	scratch_store_dwordx4 v50, v[76:79], off
	;; [unrolled: 2-line block ×5, first 2 shown]
	s_and_saveexec_b64 s[6:7], vcc
	s_cbranch_execz .LBB2087_213
; %bb.170:
	v_cmp_ne_u32_e32 vcc, v70, v22
	v_mov_b32_e32 v25, 0
	v_mov_b32_e32 v70, 0x60
	v_cndmask_b32_e32 v70, v70, v25, vcc
	scratch_load_dwordx4 v[70:73], v70, off
	v_add_u32_e32 v75, 1, v24
	v_cndmask_b32_e64 v74, 0, 1, vcc
	v_cmp_gt_u32_e32 vcc, s84, v75
	s_mov_b64 s[10:11], 0
	scratch_store_byte off, v74, off offset:480
                                        ; implicit-def: $sgpr12_sgpr13
	s_waitcnt vmcnt(1)
	scratch_store_dwordx4 off, v[70:73], off offset:464
	s_and_saveexec_b64 s[8:9], vcc
	s_cbranch_execz .LBB2087_212
; %bb.171:
	v_cmp_ne_u32_e32 vcc, v22, v23
	s_mov_b64 s[0:1], 0
                                        ; implicit-def: $sgpr12_sgpr13
	s_nop 0
	v_cndmask_b32_e32 v25, v68, v25, vcc
	scratch_load_dwordx4 v[70:73], v25, off
	v_add_u32_e32 v25, 2, v24
	v_cndmask_b32_e64 v22, 0, 1, vcc
	v_cmp_gt_u32_e32 vcc, s84, v25
	scratch_store_byte off, v22, off offset:500
	s_waitcnt vmcnt(1)
	scratch_store_dwordx4 v46, v[70:73], off
	s_and_saveexec_b64 s[10:11], vcc
	s_cbranch_execz .LBB2087_211
; %bb.172:
	v_cmp_ne_u32_e32 vcc, v23, v20
	v_mov_b32_e32 v22, 0
                                        ; implicit-def: $sgpr14_sgpr15
	s_nop 0
	v_cndmask_b32_e32 v25, v67, v22, vcc
	scratch_load_dwordx4 v[70:73], v25, off
	v_add_u32_e32 v25, 3, v24
	v_cndmask_b32_e64 v23, 0, 1, vcc
	v_cmp_gt_u32_e32 vcc, s84, v25
	scratch_store_byte off, v23, off offset:520
	s_waitcnt vmcnt(1)
	scratch_store_dwordx4 v45, v[70:73], off
	s_and_saveexec_b64 s[12:13], vcc
	s_cbranch_execz .LBB2087_210
; %bb.173:
	v_cmp_ne_u32_e32 vcc, v20, v21
                                        ; implicit-def: $sgpr16_sgpr17
	s_nop 1
	v_cndmask_b32_e32 v22, v66, v22, vcc
	scratch_load_dwordx4 v[70:73], v22, off
	v_add_u32_e32 v22, 4, v24
	v_cndmask_b32_e64 v20, 0, 1, vcc
	v_cmp_gt_u32_e32 vcc, s84, v22
	scratch_store_byte off, v20, off offset:540
	s_waitcnt vmcnt(1)
	scratch_store_dwordx4 v44, v[70:73], off
	s_and_saveexec_b64 s[14:15], vcc
	s_cbranch_execz .LBB2087_209
; %bb.174:
	v_cmp_ne_u32_e32 vcc, v21, v18
	v_mov_b32_e32 v20, 0
                                        ; implicit-def: $sgpr18_sgpr19
	s_nop 0
	v_cndmask_b32_e32 v22, v65, v20, vcc
	scratch_load_dwordx4 v[70:73], v22, off
	v_add_u32_e32 v22, 5, v24
	v_cndmask_b32_e64 v21, 0, 1, vcc
	v_cmp_gt_u32_e32 vcc, s84, v22
	scratch_store_byte off, v21, off offset:560
	s_waitcnt vmcnt(1)
	scratch_store_dwordx4 v43, v[70:73], off
	s_and_saveexec_b64 s[16:17], vcc
	s_cbranch_execz .LBB2087_208
; %bb.175:
	v_cmp_ne_u32_e32 vcc, v18, v19
	v_add_u32_e32 v25, 6, v24
                                        ; implicit-def: $sgpr20_sgpr21
	s_nop 0
	v_cndmask_b32_e32 v20, v64, v20, vcc
	scratch_load_dwordx4 v[20:23], v20, off
	v_cndmask_b32_e64 v18, 0, 1, vcc
	v_cmp_gt_u32_e32 vcc, s84, v25
	scratch_store_byte off, v18, off offset:580
	s_waitcnt vmcnt(1)
	scratch_store_dwordx4 v42, v[20:23], off
	s_and_saveexec_b64 s[18:19], vcc
	s_cbranch_execz .LBB2087_207
; %bb.176:
	v_cmp_ne_u32_e32 vcc, v19, v16
	v_mov_b32_e32 v18, 0
	v_add_u32_e32 v25, 7, v24
	v_cndmask_b32_e32 v20, v63, v18, vcc
	scratch_load_dwordx4 v[20:23], v20, off
	v_cndmask_b32_e64 v19, 0, 1, vcc
	v_cmp_gt_u32_e32 vcc, s84, v25
	scratch_store_byte off, v19, off offset:600
                                        ; implicit-def: $sgpr22_sgpr23
	s_waitcnt vmcnt(1)
	scratch_store_dwordx4 v41, v[20:23], off
	s_and_saveexec_b64 s[20:21], vcc
	s_cbranch_execz .LBB2087_206
; %bb.177:
	v_cmp_ne_u32_e32 vcc, v16, v17
	v_add_u32_e32 v22, 8, v24
                                        ; implicit-def: $sgpr24_sgpr25
	s_nop 0
	v_cndmask_b32_e32 v18, v62, v18, vcc
	scratch_load_dwordx4 v[18:21], v18, off
	v_cndmask_b32_e64 v16, 0, 1, vcc
	v_cmp_gt_u32_e32 vcc, s84, v22
	scratch_store_byte off, v16, off offset:620
	s_waitcnt vmcnt(1)
	scratch_store_dwordx4 v40, v[18:21], off
	s_and_saveexec_b64 s[22:23], vcc
	s_cbranch_execz .LBB2087_205
; %bb.178:
	v_cmp_ne_u32_e32 vcc, v17, v14
	v_mov_b32_e32 v16, 0
	v_add_u32_e32 v22, 9, v24
	v_cndmask_b32_e32 v18, v61, v16, vcc
	scratch_load_dwordx4 v[18:21], v18, off
	v_cndmask_b32_e64 v17, 0, 1, vcc
	v_cmp_gt_u32_e32 vcc, s84, v22
	scratch_store_byte off, v17, off offset:640
                                        ; implicit-def: $sgpr26_sgpr27
	s_waitcnt vmcnt(1)
	scratch_store_dwordx4 v39, v[18:21], off
	s_and_saveexec_b64 s[24:25], vcc
	s_cbranch_execz .LBB2087_204
; %bb.179:
	v_cmp_ne_u32_e32 vcc, v14, v15
	v_add_u32_e32 v20, 10, v24
                                        ; implicit-def: $sgpr28_sgpr29
	s_nop 0
	v_cndmask_b32_e32 v16, v60, v16, vcc
	scratch_load_dwordx4 v[16:19], v16, off
	v_cndmask_b32_e64 v14, 0, 1, vcc
	v_cmp_gt_u32_e32 vcc, s84, v20
	scratch_store_byte off, v14, off offset:660
	s_waitcnt vmcnt(1)
	scratch_store_dwordx4 v38, v[16:19], off
	s_and_saveexec_b64 s[26:27], vcc
	s_cbranch_execz .LBB2087_203
; %bb.180:
	v_cmp_ne_u32_e32 vcc, v15, v12
	v_mov_b32_e32 v14, 0
	v_add_u32_e32 v20, 11, v24
	v_cndmask_b32_e32 v16, v59, v14, vcc
	scratch_load_dwordx4 v[16:19], v16, off
	v_cndmask_b32_e64 v15, 0, 1, vcc
	v_cmp_gt_u32_e32 vcc, s84, v20
	scratch_store_byte off, v15, off offset:680
                                        ; implicit-def: $sgpr30_sgpr31
	s_waitcnt vmcnt(1)
	scratch_store_dwordx4 v37, v[16:19], off
	s_and_saveexec_b64 s[28:29], vcc
	s_cbranch_execz .LBB2087_202
; %bb.181:
	v_cmp_ne_u32_e32 vcc, v12, v13
	v_add_u32_e32 v18, 12, v24
                                        ; implicit-def: $sgpr34_sgpr35
	s_nop 0
	v_cndmask_b32_e32 v14, v58, v14, vcc
	scratch_load_dwordx4 v[14:17], v14, off
	v_cndmask_b32_e64 v12, 0, 1, vcc
	v_cmp_gt_u32_e32 vcc, s84, v18
	scratch_store_byte off, v12, off offset:700
	s_waitcnt vmcnt(1)
	scratch_store_dwordx4 v36, v[14:17], off
	s_and_saveexec_b64 s[30:31], vcc
	s_cbranch_execz .LBB2087_201
; %bb.182:
	v_cmp_ne_u32_e32 vcc, v13, v10
	v_mov_b32_e32 v12, 0
	v_add_u32_e32 v18, 13, v24
	v_cndmask_b32_e32 v14, v57, v12, vcc
	scratch_load_dwordx4 v[14:17], v14, off
	v_cndmask_b32_e64 v13, 0, 1, vcc
	v_cmp_gt_u32_e32 vcc, s84, v18
	scratch_store_byte off, v13, off offset:720
                                        ; implicit-def: $sgpr36_sgpr37
	s_waitcnt vmcnt(1)
	scratch_store_dwordx4 v35, v[14:17], off
	s_and_saveexec_b64 s[34:35], vcc
	s_cbranch_execz .LBB2087_200
; %bb.183:
	v_cmp_ne_u32_e32 vcc, v10, v11
	v_add_u32_e32 v16, 14, v24
                                        ; implicit-def: $sgpr38_sgpr39
	s_nop 0
	v_cndmask_b32_e32 v12, v56, v12, vcc
	scratch_load_dwordx4 v[12:15], v12, off
	v_cndmask_b32_e64 v10, 0, 1, vcc
	v_cmp_gt_u32_e32 vcc, s84, v16
	scratch_store_byte off, v10, off offset:740
	s_waitcnt vmcnt(1)
	scratch_store_dwordx4 v34, v[12:15], off
	s_and_saveexec_b64 s[36:37], vcc
	s_cbranch_execz .LBB2087_199
; %bb.184:
	v_cmp_ne_u32_e32 vcc, v11, v8
	v_mov_b32_e32 v10, 0
	v_add_u32_e32 v16, 15, v24
	v_cndmask_b32_e32 v12, v55, v10, vcc
	scratch_load_dwordx4 v[12:15], v12, off
	v_cndmask_b32_e64 v11, 0, 1, vcc
	v_cmp_gt_u32_e32 vcc, s84, v16
	scratch_store_byte off, v11, off offset:760
                                        ; implicit-def: $sgpr40_sgpr41
	s_waitcnt vmcnt(1)
	scratch_store_dwordx4 v33, v[12:15], off
	s_and_saveexec_b64 s[38:39], vcc
	s_cbranch_execz .LBB2087_198
; %bb.185:
	v_cmp_ne_u32_e32 vcc, v8, v9
	v_add_u32_e32 v14, 16, v24
                                        ; implicit-def: $sgpr42_sgpr43
	s_nop 0
	v_cndmask_b32_e32 v10, v54, v10, vcc
	scratch_load_dwordx4 v[10:13], v10, off
	v_cndmask_b32_e64 v8, 0, 1, vcc
	v_cmp_gt_u32_e32 vcc, s84, v14
	scratch_store_byte off, v8, off offset:780
	s_waitcnt vmcnt(1)
	scratch_store_dwordx4 v32, v[10:13], off
	s_and_saveexec_b64 s[40:41], vcc
	s_cbranch_execz .LBB2087_197
; %bb.186:
	v_cmp_ne_u32_e32 vcc, v9, v4
	v_mov_b32_e32 v8, 0
	v_add_u32_e32 v14, 17, v24
	v_cndmask_b32_e32 v10, v53, v8, vcc
	scratch_load_dwordx4 v[10:13], v10, off
	v_cndmask_b32_e64 v9, 0, 1, vcc
	v_cmp_gt_u32_e32 vcc, s84, v14
	scratch_store_byte off, v9, off offset:800
                                        ; implicit-def: $sgpr44_sgpr45
	s_waitcnt vmcnt(1)
	scratch_store_dwordx4 v31, v[10:13], off
	s_and_saveexec_b64 s[42:43], vcc
	s_cbranch_execz .LBB2087_196
; %bb.187:
	v_cmp_ne_u32_e32 vcc, v4, v5
	v_add_u32_e32 v12, 18, v24
                                        ; implicit-def: $sgpr46_sgpr47
	s_nop 0
	v_cndmask_b32_e32 v8, v52, v8, vcc
	scratch_load_dwordx4 v[8:11], v8, off
	v_cndmask_b32_e64 v4, 0, 1, vcc
	v_cmp_gt_u32_e32 vcc, s84, v12
	scratch_store_byte off, v4, off offset:820
	s_waitcnt vmcnt(1)
	scratch_store_dwordx4 v30, v[8:11], off
	s_and_saveexec_b64 s[44:45], vcc
	s_cbranch_execz .LBB2087_195
; %bb.188:
	v_cmp_ne_u32_e32 vcc, v5, v2
	v_mov_b32_e32 v4, 0
	v_add_u32_e32 v12, 19, v24
	v_cndmask_b32_e32 v8, v51, v4, vcc
	scratch_load_dwordx4 v[8:11], v8, off
	v_cndmask_b32_e64 v5, 0, 1, vcc
	v_cmp_gt_u32_e32 vcc, s84, v12
	scratch_store_byte off, v5, off offset:840
                                        ; implicit-def: $sgpr48_sgpr49
	s_waitcnt vmcnt(1)
	scratch_store_dwordx4 v29, v[8:11], off
	s_and_saveexec_b64 s[46:47], vcc
	s_cbranch_execz .LBB2087_194
; %bb.189:
	v_cmp_ne_u32_e32 vcc, v2, v3
                                        ; implicit-def: $sgpr78_sgpr79
	s_nop 1
	v_cndmask_b32_e32 v4, v50, v4, vcc
	scratch_load_dwordx4 v[8:11], v4, off
	v_add_u32_e32 v4, 20, v24
	v_cndmask_b32_e64 v2, 0, 1, vcc
	v_cmp_gt_u32_e32 vcc, s84, v4
	scratch_store_byte off, v2, off offset:860
	s_waitcnt vmcnt(1)
	scratch_store_dwordx4 v28, v[8:11], off
	s_and_saveexec_b64 s[48:49], vcc
	s_cbranch_execz .LBB2087_193
; %bb.190:
	v_cmp_ne_u32_e32 vcc, v3, v0
	v_mov_b32_e32 v2, 0
                                        ; implicit-def: $sgpr80_sgpr81
	s_nop 0
	v_cndmask_b32_e32 v4, v49, v2, vcc
	scratch_load_dwordx4 v[8:11], v4, off
	v_add_u32_e32 v4, 21, v24
	v_cndmask_b32_e64 v3, 0, 1, vcc
	v_cmp_gt_u32_e32 vcc, s84, v4
	scratch_store_byte off, v3, off offset:880
	s_waitcnt vmcnt(1)
	scratch_store_dwordx4 v27, v[8:11], off
	s_and_saveexec_b64 s[78:79], vcc
	s_xor_b64 s[78:79], exec, s[78:79]
	s_cbranch_execz .LBB2087_192
; %bb.191:
	v_cmp_ne_u32_e32 vcc, v0, v1
	s_nop 1
	v_cndmask_b32_e32 v2, v48, v2, vcc
	scratch_load_dwordx4 v[2:5], v2, off
	v_cndmask_b32_e64 v0, 0, 1, vcc
	v_cmp_ne_u32_e32 vcc, v1, v69
	v_add_u32_e32 v1, 22, v24
	v_cmp_gt_u32_e64 s[0:1], s84, v1
	s_and_b64 s[80:81], vcc, exec
	s_and_b64 s[0:1], s[0:1], exec
	scratch_store_byte off, v0, off offset:900
	s_waitcnt vmcnt(1)
	scratch_store_dwordx4 v26, v[2:5], off
.LBB2087_192:
	s_or_b64 exec, exec, s[78:79]
	s_and_b64 s[78:79], s[80:81], exec
	s_and_b64 s[0:1], s[0:1], exec
.LBB2087_193:
	s_or_b64 exec, exec, s[48:49]
	s_and_b64 s[48:49], s[78:79], exec
	s_and_b64 s[0:1], s[0:1], exec
.LBB2087_194:
	s_or_b64 exec, exec, s[46:47]
	s_and_b64 s[46:47], s[48:49], exec
	s_and_b64 s[0:1], s[0:1], exec
.LBB2087_195:
	s_or_b64 exec, exec, s[44:45]
	s_and_b64 s[44:45], s[46:47], exec
	s_and_b64 s[0:1], s[0:1], exec
.LBB2087_196:
	s_or_b64 exec, exec, s[42:43]
	s_and_b64 s[42:43], s[44:45], exec
	s_and_b64 s[0:1], s[0:1], exec
.LBB2087_197:
	s_or_b64 exec, exec, s[40:41]
	s_and_b64 s[40:41], s[42:43], exec
	s_and_b64 s[0:1], s[0:1], exec
.LBB2087_198:
	s_or_b64 exec, exec, s[38:39]
	s_and_b64 s[38:39], s[40:41], exec
	s_and_b64 s[0:1], s[0:1], exec
.LBB2087_199:
	s_or_b64 exec, exec, s[36:37]
	s_and_b64 s[36:37], s[38:39], exec
	s_and_b64 s[0:1], s[0:1], exec
.LBB2087_200:
	s_or_b64 exec, exec, s[34:35]
	s_and_b64 s[34:35], s[36:37], exec
	s_and_b64 s[0:1], s[0:1], exec
.LBB2087_201:
	s_or_b64 exec, exec, s[30:31]
	s_and_b64 s[30:31], s[34:35], exec
	s_and_b64 s[0:1], s[0:1], exec
.LBB2087_202:
	s_or_b64 exec, exec, s[28:29]
	s_and_b64 s[28:29], s[30:31], exec
	s_and_b64 s[0:1], s[0:1], exec
.LBB2087_203:
	s_or_b64 exec, exec, s[26:27]
	s_and_b64 s[26:27], s[28:29], exec
	s_and_b64 s[0:1], s[0:1], exec
.LBB2087_204:
	s_or_b64 exec, exec, s[24:25]
	s_and_b64 s[24:25], s[26:27], exec
	s_and_b64 s[0:1], s[0:1], exec
.LBB2087_205:
	s_or_b64 exec, exec, s[22:23]
	s_and_b64 s[22:23], s[24:25], exec
	s_and_b64 s[0:1], s[0:1], exec
.LBB2087_206:
	s_or_b64 exec, exec, s[20:21]
	s_and_b64 s[20:21], s[22:23], exec
	s_and_b64 s[0:1], s[0:1], exec
.LBB2087_207:
	s_or_b64 exec, exec, s[18:19]
	s_and_b64 s[18:19], s[20:21], exec
	s_and_b64 s[0:1], s[0:1], exec
.LBB2087_208:
	s_or_b64 exec, exec, s[16:17]
	s_and_b64 s[16:17], s[18:19], exec
	s_and_b64 s[0:1], s[0:1], exec
.LBB2087_209:
	s_or_b64 exec, exec, s[14:15]
	s_and_b64 s[14:15], s[16:17], exec
	s_and_b64 s[0:1], s[0:1], exec
.LBB2087_210:
	s_or_b64 exec, exec, s[12:13]
	s_and_b64 s[12:13], s[14:15], exec
	s_and_b64 s[0:1], s[0:1], exec
.LBB2087_211:
	s_or_b64 exec, exec, s[10:11]
	s_and_b64 s[12:13], s[12:13], exec
	s_and_b64 s[10:11], s[0:1], exec
.LBB2087_212:
	s_or_b64 exec, exec, s[8:9]
	s_and_b64 s[0:1], s[12:13], exec
	s_and_b64 s[8:9], s[10:11], exec
.LBB2087_213:
	s_or_b64 exec, exec, s[6:7]
	s_and_b64 vcc, exec, s[4:5]
	s_cbranch_vccnz .LBB2087_215
	s_branch .LBB2087_218
.LBB2087_214:
	s_mov_b64 s[8:9], 0
                                        ; implicit-def: $sgpr0_sgpr1
	s_and_b64 vcc, exec, s[4:5]
	s_cbranch_vccz .LBB2087_218
.LBB2087_215:
	v_mov_b32_e32 v1, 0
	v_lshlrev_b32_e32 v0, 2, v7
	v_lshl_add_u64 v[2:3], s[64:65], 0, v[0:1]
	v_add_co_u32_e32 v4, vcc, 0x1000, v2
	flat_load_dword v8, v[2:3]
	flat_load_dword v9, v[2:3] offset:512
	flat_load_dword v10, v[2:3] offset:1024
	;; [unrolled: 1-line block ×7, first 2 shown]
	v_addc_co_u32_e32 v5, vcc, 0, v3, vcc
	v_add_co_u32_e32 v2, vcc, 0x2000, v2
	flat_load_dword v16, v[4:5]
	flat_load_dword v17, v[4:5] offset:512
	flat_load_dword v18, v[4:5] offset:1024
	;; [unrolled: 1-line block ×7, first 2 shown]
	v_addc_co_u32_e32 v3, vcc, 0, v3, vcc
	flat_load_dword v4, v[2:3]
	flat_load_dword v5, v[2:3] offset:512
	flat_load_dword v24, v[2:3] offset:1024
	;; [unrolled: 1-line block ×6, first 2 shown]
	v_mov_b32_e32 v2, s64
	v_mov_b32_e32 v3, s65
	v_add_co_u32_e32 v2, vcc, 0x2000, v2
	s_movk_i32 s0, 0x58
	s_nop 0
	v_addc_co_u32_e32 v3, vcc, 0, v3, vcc
	s_movk_i32 s5, 0x1000
	s_movk_i32 s4, 0x2000
	s_waitcnt vmcnt(0) lgkmcnt(0)
	ds_write2st64_b32 v0, v8, v9 offset1:2
	ds_write2st64_b32 v0, v10, v11 offset0:4 offset1:6
	ds_write2st64_b32 v0, v12, v13 offset0:8 offset1:10
	;; [unrolled: 1-line block ×10, first 2 shown]
	ds_write_b32 v0, v71 offset:11264
	s_waitcnt lgkmcnt(0)
	s_barrier
	flat_load_dword v69, v[2:3] offset:3584
	v_mad_u32_u24 v71, v7, s0, v0
	s_movk_i32 s0, 0xffa8
	ds_read_b32 v70, v71
	ds_read2_b32 v[24:25], v71 offset0:1 offset1:2
	ds_read2_b32 v[22:23], v71 offset0:3 offset1:4
	;; [unrolled: 1-line block ×11, first 2 shown]
	v_mad_i32_i24 v71, v7, s0, v71
	s_movk_i32 s0, 0x7f
	v_cmp_ne_u32_e32 vcc, s0, v7
	s_waitcnt lgkmcnt(0)
	ds_write_b32 v71, v70 offset:12288
	s_waitcnt lgkmcnt(0)
	s_barrier
	s_and_saveexec_b64 s[0:1], vcc
	s_cbranch_execz .LBB2087_217
; %bb.216:
	s_waitcnt vmcnt(0)
	ds_read_b32 v69, v0 offset:12292
.LBB2087_217:
	s_or_b64 exec, exec, s[0:1]
	v_lshlrev_b32_e32 v0, 4, v7
	v_lshl_add_u64 v[76:77], s[62:63], 0, v[0:1]
	s_waitcnt lgkmcnt(0)
	s_barrier
	flat_load_dwordx4 v[72:75], v[76:77]
	v_add_co_u32_e32 v78, vcc, s5, v76
	s_movk_i32 s0, 0x3000
	s_nop 0
	v_addc_co_u32_e32 v79, vcc, 0, v77, vcc
	v_cmp_ne_u32_e64 s[12:13], v70, v24
	v_cmp_ne_u32_e64 s[10:11], v24, v25
	;; [unrolled: 1-line block ×19, first 2 shown]
	v_mov_b32_e32 v1, 0
	v_mov_b32_e32 v2, 0x60
	v_cmp_ne_u32_e64 s[18:19], v4, v5
	v_cndmask_b32_e64 v2, v2, v1, s[12:13]
	v_cndmask_b32_e64 v181, v68, v1, s[10:11]
	v_cndmask_b32_e64 v182, v67, v1, s[8:9]
	v_cndmask_b32_e64 v183, v66, v1, s[6:7]
	v_cndmask_b32_e64 v186, v63, v1, s[46:47]
	v_cndmask_b32_e64 v187, v62, v1, s[44:45]
	v_cndmask_b32_e64 v188, v61, v1, s[42:43]
	v_cndmask_b32_e64 v189, v60, v1, s[40:41]
	v_cndmask_b32_e64 v190, v59, v1, s[38:39]
	v_cndmask_b32_e64 v191, v58, v1, s[36:37]
	v_cndmask_b32_e64 v192, v57, v1, s[34:35]
	v_cndmask_b32_e64 v193, v56, v1, s[30:31]
	v_cndmask_b32_e64 v194, v55, v1, s[28:29]
	v_cndmask_b32_e64 v195, v54, v1, s[26:27]
	v_cndmask_b32_e64 v196, v53, v1, s[24:25]
	v_cndmask_b32_e64 v197, v52, v1, s[22:23]
	v_cndmask_b32_e64 v198, v51, v1, s[20:21]
	v_cndmask_b32_e64 v199, v50, v1, s[18:19]
	v_cndmask_b32_e64 v200, v49, v1, s[16:17]
	v_cndmask_b32_e64 v160, 0, 1, s[12:13]
	v_cndmask_b32_e64 v162, 0, 1, s[8:9]
	s_mov_b64 s[8:9], -1
	v_cndmask_b32_e64 v161, 0, 1, s[10:11]
	v_cndmask_b32_e64 v163, 0, 1, s[6:7]
	;; [unrolled: 1-line block ×18, first 2 shown]
	s_waitcnt vmcnt(0) lgkmcnt(0)
	scratch_store_dwordx4 off, v[72:75], off offset:96
	flat_load_dwordx4 v[72:75], v[76:77] offset:2048
	s_waitcnt vmcnt(0) lgkmcnt(0)
	scratch_store_dwordx4 off, v[72:75], off offset:112
	flat_load_dwordx4 v[72:75], v[78:79]
	s_waitcnt vmcnt(0) lgkmcnt(0)
	scratch_store_dwordx4 off, v[72:75], off offset:128
	flat_load_dwordx4 v[72:75], v[78:79] offset:2048
	v_add_co_u32_e32 v78, vcc, s4, v76
	v_cmp_ne_u32_e64 s[4:5], v23, v20
	s_nop 0
	v_addc_co_u32_e32 v79, vcc, 0, v77, vcc
	v_cndmask_b32_e64 v184, v65, v1, s[4:5]
	v_cndmask_b32_e64 v164, 0, 1, s[4:5]
	s_waitcnt vmcnt(0) lgkmcnt(0)
	scratch_store_dwordx4 off, v[72:75], off offset:144
	flat_load_dwordx4 v[72:75], v[78:79]
	s_waitcnt vmcnt(0) lgkmcnt(0)
	scratch_store_dwordx4 off, v[72:75], off offset:160
	flat_load_dwordx4 v[72:75], v[78:79] offset:2048
	v_add_co_u32_e32 v78, vcc, s0, v76
	s_movk_i32 s0, 0x4000
	s_nop 0
	v_addc_co_u32_e32 v79, vcc, 0, v77, vcc
	s_waitcnt vmcnt(0) lgkmcnt(0)
	scratch_store_dwordx4 off, v[72:75], off offset:176
	flat_load_dwordx4 v[72:75], v[78:79]
	s_waitcnt vmcnt(0) lgkmcnt(0)
	scratch_store_dwordx4 off, v[72:75], off offset:192
	flat_load_dwordx4 v[72:75], v[78:79] offset:2048
	v_add_co_u32_e32 v78, vcc, s0, v76
	s_movk_i32 s0, 0x5000
	s_nop 0
	v_addc_co_u32_e32 v79, vcc, 0, v77, vcc
	;; [unrolled: 10-line block ×4, first 2 shown]
	s_waitcnt vmcnt(0) lgkmcnt(0)
	scratch_store_dwordx4 off, v[72:75], off offset:272
	flat_load_dwordx4 v[72:75], v[78:79]
	s_waitcnt vmcnt(0) lgkmcnt(0)
	scratch_store_dwordx4 off, v[72:75], off offset:288
	flat_load_dwordx4 v[72:75], v[78:79] offset:2048
	v_add_co_u32_e32 v78, vcc, s0, v76
	s_mov_b32 s0, 0x8000
	s_nop 0
	v_addc_co_u32_e32 v79, vcc, 0, v77, vcc
	s_waitcnt vmcnt(0) lgkmcnt(0)
	scratch_store_dwordx4 off, v[72:75], off offset:304
	flat_load_dwordx4 v[72:75], v[78:79]
	s_waitcnt vmcnt(0) lgkmcnt(0)
	scratch_store_dwordx4 off, v[72:75], off offset:320
	flat_load_dwordx4 v[72:75], v[78:79] offset:2048
	v_add_co_u32_e32 v78, vcc, s0, v76
	s_mov_b32 s0, 0x9000
	s_nop 0
	v_addc_co_u32_e32 v79, vcc, 0, v77, vcc
	;; [unrolled: 10-line block ×4, first 2 shown]
	v_add_co_u32_e32 v76, vcc, s0, v76
	s_movk_i32 s0, 0x160
	s_nop 0
	v_addc_co_u32_e32 v77, vcc, 0, v77, vcc
	v_mad_u32_u24 v180, v7, s0, v0
	v_cmp_ne_u32_e32 vcc, v20, v21
	v_cmp_ne_u32_e64 s[0:1], v3, v69
	s_waitcnt vmcnt(0) lgkmcnt(0)
	scratch_store_dwordx4 off, v[72:75], off offset:400
	flat_load_dwordx4 v[72:75], v[78:79]
	v_cndmask_b32_e32 v185, v64, v1, vcc
	v_cndmask_b32_e64 v1, v48, v1, s[14:15]
	v_cndmask_b32_e64 v165, 0, 1, vcc
	s_waitcnt vmcnt(0) lgkmcnt(0)
	scratch_store_dwordx4 off, v[72:75], off offset:416
	flat_load_dwordx4 v[72:75], v[78:79] offset:2048
	s_waitcnt vmcnt(0) lgkmcnt(0)
	scratch_store_dwordx4 off, v[72:75], off offset:432
	flat_load_dwordx4 v[72:75], v[76:77]
	s_nop 0
	scratch_load_dwordx4 v[22:25], off, off offset:96
	scratch_load_dwordx4 v[76:79], v68, off
	scratch_load_dwordx4 v[80:83], v67, off
	scratch_load_dwordx4 v[84:87], v66, off
	scratch_load_dwordx4 v[88:91], v65, off
	scratch_load_dwordx4 v[92:95], v64, off
	scratch_load_dwordx4 v[96:99], v63, off
	scratch_load_dwordx4 v[100:103], v62, off
	scratch_load_dwordx4 v[104:107], v61, off
	scratch_load_dwordx4 v[108:111], v60, off
	scratch_load_dwordx4 v[112:115], v59, off
	scratch_load_dwordx4 v[116:119], v58, off
	scratch_load_dwordx4 v[120:123], v57, off
	scratch_load_dwordx4 v[124:127], v56, off
	scratch_load_dwordx4 v[128:131], v55, off
	scratch_load_dwordx4 v[132:135], v54, off
	scratch_load_dwordx4 v[136:139], v53, off
	scratch_load_dwordx4 v[140:143], v52, off
	scratch_load_dwordx4 v[144:147], v51, off
	scratch_load_dwordx4 v[148:151], v50, off
	scratch_load_dwordx4 v[152:155], v49, off
	s_waitcnt vmcnt(0) lgkmcnt(0)
	scratch_store_dwordx4 off, v[72:75], off offset:448
	scratch_load_dwordx4 v[70:73], v48, off
	s_nop 0
	scratch_load_dwordx4 v[156:159], v47, off
	ds_write_b128 v0, v[22:25]
	ds_write_b128 v0, v[76:79] offset:2048
	ds_write_b128 v0, v[80:83] offset:4096
	;; [unrolled: 1-line block ×20, first 2 shown]
	s_waitcnt vmcnt(1)
	ds_write_b128 v0, v[70:73] offset:43008
	s_waitcnt vmcnt(0)
	ds_write_b128 v0, v[156:159] offset:45056
	s_waitcnt lgkmcnt(0)
	s_barrier
	ds_read_b128 v[8:11], v180
	ds_read_b128 v[12:15], v180 offset:16
	ds_read_b128 v[16:19], v180 offset:32
	;; [unrolled: 1-line block ×21, first 2 shown]
	s_waitcnt lgkmcnt(14)
	scratch_store_dwordx4 off, v[8:11], off offset:96
	scratch_store_dwordx4 v68, v[12:15], off
	scratch_store_dwordx4 v67, v[16:19], off
	;; [unrolled: 1-line block ×7, first 2 shown]
	s_waitcnt lgkmcnt(13)
	scratch_store_dwordx4 v61, v[86:89], off
	s_waitcnt lgkmcnt(12)
	scratch_store_dwordx4 v60, v[90:93], off
	;; [unrolled: 2-line block ×14, first 2 shown]
	scratch_load_dwordx4 v[8:11], v2, off
	scratch_load_dwordx4 v[12:15], v181, off
	scratch_load_dwordx4 v[16:19], v182, off
	scratch_load_dwordx4 v[20:23], v183, off
	s_nop 0
	scratch_load_dwordx4 v[48:51], v184, off
	scratch_load_dwordx4 v[52:55], v185, off
	;; [unrolled: 1-line block ×10, first 2 shown]
                                        ; kill: killed $vgpr184
                                        ; kill: killed $vgpr188
                                        ; kill: killed $vgpr192
                                        ; kill: killed $vgpr181
                                        ; kill: killed $vgpr185
                                        ; kill: killed $vgpr189
                                        ; kill: killed $vgpr193
                                        ; kill: killed $vgpr182
                                        ; kill: killed $vgpr186
                                        ; kill: killed $vgpr190
                                        ; kill: killed $vgpr183
                                        ; kill: killed $vgpr187
                                        ; kill: killed $vgpr191
	scratch_load_dwordx4 v[90:93], v194, off
	scratch_load_dwordx4 v[94:97], v195, off
	;; [unrolled: 1-line block ×3, first 2 shown]
                                        ; kill: killed $vgpr195
                                        ; kill: killed $vgpr196
                                        ; kill: killed $vgpr194
	scratch_load_dwordx4 v[102:105], v197, off
	scratch_load_dwordx4 v[106:109], v198, off
	;; [unrolled: 1-line block ×5, first 2 shown]
	ds_read_b128 v[0:3], v180 offset:352
	scratch_store_byte off, v160, off offset:480
	scratch_store_byte off, v161, off offset:500
	;; [unrolled: 1-line block ×22, first 2 shown]
	s_waitcnt lgkmcnt(0)
	scratch_store_dwordx4 v47, v[0:3], off
	s_waitcnt vmcnt(44)
	scratch_store_dwordx4 off, v[8:11], off offset:464
	s_waitcnt vmcnt(44)
	scratch_store_dwordx4 v46, v[12:15], off
	s_waitcnt vmcnt(44)
	scratch_store_dwordx4 v45, v[16:19], off
	;; [unrolled: 2-line block ×21, first 2 shown]
.LBB2087_218:
	s_and_saveexec_b64 s[4:5], s[8:9]
	s_cbranch_execz .LBB2087_220
; %bb.219:
	v_mov_b32_e32 v0, 0
	v_cndmask_b32_e64 v0, v47, v0, s[0:1]
	scratch_load_dwordx4 v[0:3], v0, off
	v_cndmask_b32_e64 v4, 0, 1, s[0:1]
	s_waitcnt vmcnt(0)
	scratch_store_dwordx4 v6, v[0:3], off
	scratch_store_byte off, v4, off offset:920
.LBB2087_220:
	s_or_b64 exec, exec, s[4:5]
	s_cmp_lg_u32 s33, 0
	s_waitcnt vmcnt(63) expcnt(7) lgkmcnt(15)
	s_barrier
	s_cbranch_scc0 .LBB2087_805
; %bb.221:
	scratch_load_dwordx4 v[0:3], off, off offset:464
	scratch_load_dword v4, off, off offset:480
	scratch_load_ubyte v5, off, off offset:500
	s_waitcnt vmcnt(2)
	scratch_store_dwordx4 off, v[0:3], off offset:60
	s_waitcnt vmcnt(2)
	scratch_store_dword off, v4, off offset:76
	s_waitcnt vmcnt(2)
	v_cmp_ne_u16_e32 vcc, 0, v5
                                        ; implicit-def: $vgpr2_vgpr3
	s_and_saveexec_b64 s[0:1], vcc
	s_xor_b64 s[0:1], exec, s[0:1]
	s_cbranch_execz .LBB2087_223
; %bb.222:
	scratch_load_dwordx4 v[0:3], off, off offset:484
.LBB2087_223:
	s_andn2_saveexec_b64 s[0:1], s[0:1]
	s_cbranch_execz .LBB2087_229
; %bb.224:
	s_waitcnt vmcnt(0)
	v_mov_b32_e32 v0, 0
	s_mov_b32 s4, 0
	v_mov_b32_e32 v1, v0
.LBB2087_225:                           ; =>This Inner Loop Header: Depth=1
	s_add_i32 s5, s4, 0x60
	s_add_i32 s4, s4, 8
	s_cmp_lg_u32 s4, 16
	scratch_store_dwordx2 off, v[0:1], s5
	s_cbranch_scc1 .LBB2087_225
; %bb.226:
	s_mov_b32 s4, 0
.LBB2087_227:                           ; =>This Inner Loop Header: Depth=1
	s_add_i32 s5, s4, 60
	v_add_u32_e32 v8, s4, v46
	scratch_load_dwordx2 v[0:1], off, s5
	scratch_load_dwordx2 v[2:3], v8, off
	s_add_i32 s5, s4, 0x60
	s_add_i32 s4, s4, 8
	s_cmp_lg_u32 s4, 16
	s_waitcnt vmcnt(0)
	v_add_u32_e32 v1, v3, v1
	v_add_u32_e32 v0, v2, v0
	scratch_store_dwordx2 off, v[0:1], s5
	s_cbranch_scc1 .LBB2087_227
; %bb.228:
	scratch_load_dwordx4 v[0:3], off, off offset:96
.LBB2087_229:
	s_or_b64 exec, exec, s[0:1]
	scratch_load_ubyte v8, off, off offset:520
	s_waitcnt vmcnt(0)
	v_cmp_ne_u16_e32 vcc, 0, v8
	scratch_store_dwordx4 off, v[0:3], off offset:60
                                        ; implicit-def: $vgpr2_vgpr3
	s_and_saveexec_b64 s[0:1], vcc
	s_xor_b64 s[0:1], exec, s[0:1]
	s_cbranch_execz .LBB2087_231
; %bb.230:
	scratch_load_dwordx4 v[0:3], off, off offset:504
.LBB2087_231:
	s_andn2_saveexec_b64 s[0:1], s[0:1]
	s_cbranch_execz .LBB2087_237
; %bb.232:
	s_waitcnt vmcnt(0)
	v_mov_b32_e32 v0, 0
	s_mov_b32 s4, 0
	v_mov_b32_e32 v1, v0
.LBB2087_233:                           ; =>This Inner Loop Header: Depth=1
	s_add_i32 s5, s4, 0x60
	s_add_i32 s4, s4, 8
	s_cmp_lg_u32 s4, 16
	scratch_store_dwordx2 off, v[0:1], s5
	s_cbranch_scc1 .LBB2087_233
; %bb.234:
	s_mov_b32 s4, 0
.LBB2087_235:                           ; =>This Inner Loop Header: Depth=1
	s_add_i32 s5, s4, 60
	v_add_u32_e32 v9, s4, v45
	scratch_load_dwordx2 v[0:1], off, s5
	scratch_load_dwordx2 v[2:3], v9, off
	s_add_i32 s5, s4, 0x60
	s_add_i32 s4, s4, 8
	s_cmp_lg_u32 s4, 16
	s_waitcnt vmcnt(0)
	v_add_u32_e32 v1, v3, v1
	v_add_u32_e32 v0, v2, v0
	scratch_store_dwordx2 off, v[0:1], s5
	s_cbranch_scc1 .LBB2087_235
; %bb.236:
	scratch_load_dwordx4 v[0:3], off, off offset:96
.LBB2087_237:
	s_or_b64 exec, exec, s[0:1]
	scratch_load_ubyte v9, off, off offset:540
	s_waitcnt vmcnt(0)
	v_cmp_ne_u16_e32 vcc, 0, v9
	scratch_store_dwordx4 off, v[0:3], off offset:60
	;; [unrolled: 43-line block ×21, first 2 shown]
                                        ; implicit-def: $vgpr2_vgpr3
	s_and_saveexec_b64 s[0:1], vcc
	s_xor_b64 s[0:1], exec, s[0:1]
	s_cbranch_execz .LBB2087_391
; %bb.390:
	scratch_load_dwordx4 v[0:3], off, off offset:904
.LBB2087_391:
	s_andn2_saveexec_b64 s[0:1], s[0:1]
	s_cbranch_execz .LBB2087_397
; %bb.392:
	s_waitcnt vmcnt(0)
	v_mov_b32_e32 v0, 0
	s_mov_b32 s4, 0
	v_mov_b32_e32 v1, v0
.LBB2087_393:                           ; =>This Inner Loop Header: Depth=1
	s_add_i32 s5, s4, 0x60
	s_add_i32 s4, s4, 8
	s_cmp_lg_u32 s4, 16
	scratch_store_dwordx2 off, v[0:1], s5
	s_cbranch_scc1 .LBB2087_393
; %bb.394:
	s_mov_b32 s4, 0
.LBB2087_395:                           ; =>This Inner Loop Header: Depth=1
	s_add_i32 s5, s4, 60
	v_add_u32_e32 v50, s4, v6
	scratch_load_dwordx2 v[0:1], off, s5
	scratch_load_dwordx2 v[2:3], v50, off
	s_add_i32 s5, s4, 0x60
	s_add_i32 s4, s4, 8
	s_cmp_lg_u32 s4, 16
	s_waitcnt vmcnt(0)
	v_add_u32_e32 v1, v3, v1
	v_add_u32_e32 v0, v2, v0
	scratch_store_dwordx2 off, v[0:1], s5
	s_cbranch_scc1 .LBB2087_395
; %bb.396:
	scratch_load_dwordx4 v[0:3], off, off offset:96
.LBB2087_397:
	s_or_b64 exec, exec, s[0:1]
	v_or_b32_e32 v48, v49, v48
	v_or_b32_e32 v47, v48, v47
	;; [unrolled: 1-line block ×22, first 2 shown]
	v_and_b32_e32 v13, 1, v4
	v_lshrrev_b32_e32 v4, 5, v7
	v_add_u32_e32 v4, v4, v7
	v_mul_u32_u24_e32 v4, 20, v4
	v_cmp_gt_u32_e32 vcc, 64, v7
	s_waitcnt vmcnt(0)
	scratch_store_dwordx4 off, v[0:3], off offset:60
	scratch_store_byte off, v13, off offset:76
	ds_write2_b32 v4, v0, v1 offset1:1
	ds_write2_b32 v4, v2, v3 offset0:2 offset1:3
	ds_write_b8 v4, v13 offset:16
	s_waitcnt lgkmcnt(0)
	s_barrier
	s_and_saveexec_b64 s[0:1], vcc
	s_xor_b64 s[6:7], exec, s[0:1]
	s_cbranch_execz .LBB2087_473
; %bb.398:
	v_lshrrev_b32_e32 v4, 4, v7
	v_lshl_add_u32 v4, v7, 1, v4
	v_mul_u32_u24_e32 v14, 20, v4
	ds_read_u8 v15, v14 offset:36
	ds_read_b32 v5, v14 offset:16
	ds_read2_b32 v[10:11], v14 offset0:2 offset1:3
	ds_read2_b32 v[8:9], v14 offset1:1
	v_mad_u32_u24 v12, v4, 20, 20
	s_waitcnt lgkmcnt(3)
	v_cmp_ne_u16_e64 s[0:1], 0, v15
	s_waitcnt lgkmcnt(2)
	scratch_store_dword off, v5, off offset:16
	s_waitcnt lgkmcnt(0)
	scratch_store_dwordx4 off, v[8:11], off
                                        ; implicit-def: $vgpr8_vgpr9
	s_and_saveexec_b64 s[4:5], s[0:1]
	s_xor_b64 s[0:1], exec, s[4:5]
	s_cbranch_execz .LBB2087_400
; %bb.399:
	ds_read2_b32 v[8:9], v12 offset1:1
	ds_read2_b32 v[10:11], v12 offset0:2 offset1:3
.LBB2087_400:
	s_andn2_saveexec_b64 s[0:1], s[0:1]
	s_cbranch_execz .LBB2087_406
; %bb.401:
	v_mov_b32_e32 v4, 0
	s_mov_b32 s4, 0
	v_mov_b32_e32 v5, v4
.LBB2087_402:                           ; =>This Inner Loop Header: Depth=1
	s_add_i32 s5, s4, 0x60
	s_add_i32 s4, s4, 8
	s_cmp_lg_u32 s4, 16
	scratch_store_dwordx2 off, v[4:5], s5
	s_cbranch_scc1 .LBB2087_402
; %bb.403:
	s_mov_b32 s4, 0
.LBB2087_404:                           ; =>This Inner Loop Header: Depth=1
	s_add_i32 s5, s4, 0
	scratch_load_dwordx2 v[4:5], off, s5
	s_waitcnt lgkmcnt(1)
	v_add_u32_e32 v8, s4, v12
	ds_read2_b32 v[8:9], v8 offset1:1
	s_add_i32 s5, s4, 0x60
	s_add_i32 s4, s4, 8
	s_cmp_lg_u32 s4, 16
	s_waitcnt vmcnt(0) lgkmcnt(0)
	v_add_u32_e32 v5, v9, v5
	v_add_u32_e32 v4, v8, v4
	scratch_store_dwordx2 off, v[4:5], s5
	s_cbranch_scc1 .LBB2087_404
; %bb.405:
	scratch_load_dwordx4 v[8:11], off, off offset:96
.LBB2087_406:
	s_or_b64 exec, exec, s[0:1]
	scratch_load_ubyte v4, off, off offset:16
	s_waitcnt vmcnt(1) lgkmcnt(1)
	v_mov_b32_dpp v18, v8 row_shr:1 row_mask:0xf bank_mask:0xf
	v_mov_b32_dpp v19, v9 row_shr:1 row_mask:0xf bank_mask:0xf
	s_waitcnt lgkmcnt(0)
	v_mov_b32_dpp v20, v10 row_shr:1 row_mask:0xf bank_mask:0xf
	v_mov_b32_dpp v21, v11 row_shr:1 row_mask:0xf bank_mask:0xf
	scratch_store_dwordx4 off, v[18:21], off offset:96
	scratch_store_dwordx4 off, v[8:11], off
	s_waitcnt vmcnt(2)
	v_or_b32_e32 v4, v15, v4
	v_and_b32_e32 v4, 1, v4
	scratch_store_byte off, v4, off offset:16
	scratch_load_dword v16, off, off offset:16
	v_mbcnt_lo_u32_b32 v4, -1, 0
	v_mbcnt_hi_u32_b32 v15, -1, v4
	v_and_b32_e32 v17, 15, v15
	v_cmp_ne_u32_e64 s[0:1], 0, v17
	s_waitcnt vmcnt(0)
	v_mov_b32_dpp v18, v16 row_shr:1 row_mask:0xf bank_mask:0xf
	scratch_store_dword off, v18, off offset:112
	s_and_saveexec_b64 s[4:5], s[0:1]
	s_cbranch_execz .LBB2087_414
; %bb.407:
	v_mov_b32_e32 v4, 0
	v_cmp_eq_u16_sdwa s[8:9], v16, v4 src0_sel:BYTE_0 src1_sel:DWORD
	s_and_saveexec_b64 s[0:1], s[8:9]
	s_cbranch_execz .LBB2087_413
; %bb.408:
	s_mov_b32 s8, 0
	v_mov_b32_e32 v5, v4
.LBB2087_409:                           ; =>This Inner Loop Header: Depth=1
	s_add_i32 s9, s8, 20
	s_add_i32 s8, s8, 8
	s_cmp_lg_u32 s8, 16
	scratch_store_dwordx2 off, v[4:5], s9
	s_cbranch_scc1 .LBB2087_409
; %bb.410:
	s_mov_b32 s8, 0
.LBB2087_411:                           ; =>This Inner Loop Header: Depth=1
	s_add_i32 s9, s8, 0x60
	s_add_i32 s10, s8, 0
	scratch_load_dwordx2 v[4:5], off, s9
	scratch_load_dwordx2 v[8:9], off, s10
	s_add_i32 s9, s8, 20
	s_add_i32 s8, s8, 8
	s_cmp_lg_u32 s8, 16
	s_waitcnt vmcnt(0)
	v_add_u32_e32 v5, v9, v5
	v_add_u32_e32 v4, v8, v4
	scratch_store_dwordx2 off, v[4:5], s9
	s_cbranch_scc1 .LBB2087_411
; %bb.412:
	scratch_load_dwordx4 v[8:11], off, off offset:20
.LBB2087_413:
	s_or_b64 exec, exec, s[0:1]
	v_or_b32_e32 v4, v18, v16
	v_and_b32_e32 v4, 1, v4
	scratch_store_byte off, v4, off offset:16
	scratch_load_dword v16, off, off offset:16
	s_waitcnt vmcnt(2)
	scratch_store_dwordx4 off, v[8:11], off
.LBB2087_414:
	s_or_b64 exec, exec, s[4:5]
	v_mov_b32_dpp v20, v8 row_shr:2 row_mask:0xf bank_mask:0xf
	v_mov_b32_dpp v21, v9 row_shr:2 row_mask:0xf bank_mask:0xf
	v_mov_b32_dpp v22, v10 row_shr:2 row_mask:0xf bank_mask:0xf
	v_mov_b32_dpp v23, v11 row_shr:2 row_mask:0xf bank_mask:0xf
	s_waitcnt vmcnt(1)
	v_mov_b32_dpp v18, v16 row_shr:2 row_mask:0xf bank_mask:0xf
	v_cmp_lt_u32_e64 s[0:1], 1, v17
	scratch_store_dwordx4 off, v[20:23], off offset:96
	scratch_store_dword off, v18, off offset:112
	s_and_saveexec_b64 s[8:9], s[0:1]
	s_cbranch_execz .LBB2087_422
; %bb.415:
	v_mov_b32_e32 v4, 0
	s_mov_b32 s4, 0
	v_cmp_eq_u16_sdwa s[10:11], v16, v4 src0_sel:BYTE_0 src1_sel:DWORD
	s_and_saveexec_b64 s[0:1], s[10:11]
	s_cbranch_execz .LBB2087_421
; %bb.416:
	v_mov_b32_e32 v5, v4
.LBB2087_417:                           ; =>This Inner Loop Header: Depth=1
	s_add_i32 s5, s4, 20
	s_add_i32 s4, s4, 8
	s_cmp_lg_u32 s4, 16
	scratch_store_dwordx2 off, v[4:5], s5
	s_cbranch_scc1 .LBB2087_417
; %bb.418:
	s_mov_b32 s4, 0
.LBB2087_419:                           ; =>This Inner Loop Header: Depth=1
	s_add_i32 s5, s4, 0x60
	s_add_i32 s10, s4, 0
	scratch_load_dwordx2 v[4:5], off, s5
	scratch_load_dwordx2 v[8:9], off, s10
	s_add_i32 s5, s4, 20
	s_add_i32 s4, s4, 8
	s_cmp_lg_u32 s4, 16
	s_waitcnt vmcnt(0)
	v_add_u32_e32 v5, v9, v5
	v_add_u32_e32 v4, v8, v4
	scratch_store_dwordx2 off, v[4:5], s5
	s_cbranch_scc1 .LBB2087_419
; %bb.420:
	scratch_load_dwordx4 v[8:11], off, off offset:20
.LBB2087_421:
	s_or_b64 exec, exec, s[0:1]
	v_and_b32_e32 v4, 1, v16
	v_cmp_eq_u32_e64 s[0:1], 1, v4
	v_and_b32_e32 v4, 1, v18
	v_cmp_eq_u32_e64 s[4:5], 1, v4
	s_or_b64 s[0:1], s[0:1], s[4:5]
	v_cndmask_b32_e64 v4, 0, 1, s[0:1]
	scratch_store_byte off, v4, off offset:16
	scratch_load_dword v16, off, off offset:16
	s_waitcnt vmcnt(2)
	scratch_store_dwordx4 off, v[8:11], off
.LBB2087_422:
	s_or_b64 exec, exec, s[8:9]
	v_mov_b32_dpp v20, v8 row_shr:4 row_mask:0xf bank_mask:0xf
	v_mov_b32_dpp v21, v9 row_shr:4 row_mask:0xf bank_mask:0xf
	v_mov_b32_dpp v22, v10 row_shr:4 row_mask:0xf bank_mask:0xf
	v_mov_b32_dpp v23, v11 row_shr:4 row_mask:0xf bank_mask:0xf
	s_waitcnt vmcnt(1)
	v_mov_b32_dpp v18, v16 row_shr:4 row_mask:0xf bank_mask:0xf
	v_cmp_lt_u32_e64 s[0:1], 3, v17
	scratch_store_dwordx4 off, v[20:23], off offset:96
	scratch_store_dword off, v18, off offset:112
	s_and_saveexec_b64 s[8:9], s[0:1]
	s_cbranch_execz .LBB2087_430
; %bb.423:
	v_mov_b32_e32 v4, 0
	s_mov_b32 s4, 0
	v_cmp_eq_u16_sdwa s[10:11], v16, v4 src0_sel:BYTE_0 src1_sel:DWORD
	s_and_saveexec_b64 s[0:1], s[10:11]
	s_cbranch_execz .LBB2087_429
; %bb.424:
	v_mov_b32_e32 v5, v4
.LBB2087_425:                           ; =>This Inner Loop Header: Depth=1
	s_add_i32 s5, s4, 20
	s_add_i32 s4, s4, 8
	s_cmp_lg_u32 s4, 16
	scratch_store_dwordx2 off, v[4:5], s5
	s_cbranch_scc1 .LBB2087_425
; %bb.426:
	s_mov_b32 s4, 0
.LBB2087_427:                           ; =>This Inner Loop Header: Depth=1
	s_add_i32 s5, s4, 0x60
	s_add_i32 s10, s4, 0
	scratch_load_dwordx2 v[4:5], off, s5
	scratch_load_dwordx2 v[8:9], off, s10
	s_add_i32 s5, s4, 20
	s_add_i32 s4, s4, 8
	s_cmp_lg_u32 s4, 16
	s_waitcnt vmcnt(0)
	v_add_u32_e32 v5, v9, v5
	v_add_u32_e32 v4, v8, v4
	scratch_store_dwordx2 off, v[4:5], s5
	s_cbranch_scc1 .LBB2087_427
; %bb.428:
	scratch_load_dwordx4 v[8:11], off, off offset:20
.LBB2087_429:
	s_or_b64 exec, exec, s[0:1]
	v_and_b32_e32 v4, 1, v16
	v_cmp_eq_u32_e64 s[0:1], 1, v4
	v_and_b32_e32 v4, 1, v18
	v_cmp_eq_u32_e64 s[4:5], 1, v4
	s_or_b64 s[0:1], s[0:1], s[4:5]
	v_cndmask_b32_e64 v4, 0, 1, s[0:1]
	scratch_store_byte off, v4, off offset:16
	scratch_load_dword v16, off, off offset:16
	s_waitcnt vmcnt(2)
	scratch_store_dwordx4 off, v[8:11], off
.LBB2087_430:
	;; [unrolled: 56-line block ×3, first 2 shown]
	s_or_b64 exec, exec, s[8:9]
	v_and_b32_e32 v4, 16, v15
	v_mov_b32_dpp v18, v8 row_bcast:15 row_mask:0xf bank_mask:0xf
	v_mov_b32_dpp v19, v9 row_bcast:15 row_mask:0xf bank_mask:0xf
	;; [unrolled: 1-line block ×4, first 2 shown]
	s_waitcnt vmcnt(1)
	v_mov_b32_dpp v17, v16 row_bcast:15 row_mask:0xf bank_mask:0xf
	v_cmp_ne_u32_e64 s[0:1], 0, v4
	scratch_store_dwordx4 off, v[18:21], off offset:96
	scratch_store_dword off, v17, off offset:112
	s_and_saveexec_b64 s[8:9], s[0:1]
	s_cbranch_execz .LBB2087_446
; %bb.439:
	v_mov_b32_e32 v4, 0
	s_mov_b32 s4, 0
	v_cmp_eq_u16_sdwa s[10:11], v16, v4 src0_sel:BYTE_0 src1_sel:DWORD
	s_and_saveexec_b64 s[0:1], s[10:11]
	s_cbranch_execz .LBB2087_445
; %bb.440:
	v_mov_b32_e32 v5, v4
.LBB2087_441:                           ; =>This Inner Loop Header: Depth=1
	s_add_i32 s5, s4, 20
	s_add_i32 s4, s4, 8
	s_cmp_lg_u32 s4, 16
	scratch_store_dwordx2 off, v[4:5], s5
	s_cbranch_scc1 .LBB2087_441
; %bb.442:
	s_mov_b32 s4, 0
.LBB2087_443:                           ; =>This Inner Loop Header: Depth=1
	s_add_i32 s5, s4, 0x60
	s_add_i32 s10, s4, 0
	scratch_load_dwordx2 v[4:5], off, s5
	scratch_load_dwordx2 v[8:9], off, s10
	s_add_i32 s5, s4, 20
	s_add_i32 s4, s4, 8
	s_cmp_lg_u32 s4, 16
	s_waitcnt vmcnt(0)
	v_add_u32_e32 v5, v9, v5
	v_add_u32_e32 v4, v8, v4
	scratch_store_dwordx2 off, v[4:5], s5
	s_cbranch_scc1 .LBB2087_443
; %bb.444:
	scratch_load_dwordx4 v[8:11], off, off offset:20
.LBB2087_445:
	s_or_b64 exec, exec, s[0:1]
	v_and_b32_e32 v4, 1, v16
	v_cmp_eq_u32_e64 s[0:1], 1, v4
	v_and_b32_e32 v4, 1, v17
	v_cmp_eq_u32_e64 s[4:5], 1, v4
	s_or_b64 s[0:1], s[0:1], s[4:5]
	v_cndmask_b32_e64 v4, 0, 1, s[0:1]
	scratch_store_byte off, v4, off offset:16
	scratch_load_dword v16, off, off offset:16
	s_waitcnt vmcnt(2)
	scratch_store_dwordx4 off, v[8:11], off
.LBB2087_446:
	s_or_b64 exec, exec, s[8:9]
	v_mov_b32_dpp v18, v8 row_bcast:31 row_mask:0xf bank_mask:0xf
	v_mov_b32_dpp v19, v9 row_bcast:31 row_mask:0xf bank_mask:0xf
	;; [unrolled: 1-line block ×4, first 2 shown]
	s_waitcnt vmcnt(1)
	v_mov_b32_dpp v17, v16 row_bcast:31 row_mask:0xf bank_mask:0xf
	v_cmp_lt_u32_e64 s[0:1], 31, v15
	scratch_store_dwordx4 off, v[18:21], off offset:96
	scratch_store_dword off, v17, off offset:112
	s_and_saveexec_b64 s[8:9], s[0:1]
	s_cbranch_execz .LBB2087_454
; %bb.447:
	v_mov_b32_e32 v4, 0
	s_mov_b32 s4, 0
	v_cmp_eq_u16_sdwa s[10:11], v16, v4 src0_sel:BYTE_0 src1_sel:DWORD
	s_and_saveexec_b64 s[0:1], s[10:11]
	s_cbranch_execz .LBB2087_453
; %bb.448:
	v_mov_b32_e32 v5, v4
.LBB2087_449:                           ; =>This Inner Loop Header: Depth=1
	s_add_i32 s5, s4, 20
	s_add_i32 s4, s4, 8
	s_cmp_lg_u32 s4, 16
	scratch_store_dwordx2 off, v[4:5], s5
	s_cbranch_scc1 .LBB2087_449
; %bb.450:
	s_mov_b32 s4, 0
.LBB2087_451:                           ; =>This Inner Loop Header: Depth=1
	s_add_i32 s5, s4, 0x60
	s_add_i32 s10, s4, 0
	scratch_load_dwordx2 v[4:5], off, s5
	scratch_load_dwordx2 v[8:9], off, s10
	s_add_i32 s5, s4, 20
	s_add_i32 s4, s4, 8
	s_cmp_lg_u32 s4, 16
	s_waitcnt vmcnt(0)
	v_add_u32_e32 v5, v9, v5
	v_add_u32_e32 v4, v8, v4
	scratch_store_dwordx2 off, v[4:5], s5
	s_cbranch_scc1 .LBB2087_451
; %bb.452:
	scratch_load_dwordx4 v[8:11], off, off offset:20
.LBB2087_453:
	s_or_b64 exec, exec, s[0:1]
	v_and_b32_e32 v4, 1, v16
	v_cmp_eq_u32_e64 s[0:1], 1, v4
	v_and_b32_e32 v4, 1, v17
	v_cmp_eq_u32_e64 s[4:5], 1, v4
	s_or_b64 s[0:1], s[0:1], s[4:5]
	v_cndmask_b32_e64 v4, 0, 1, s[0:1]
	scratch_store_byte off, v4, off offset:16
	scratch_load_dword v16, off, off offset:16
.LBB2087_454:
	s_or_b64 exec, exec, s[8:9]
	v_add_u32_e32 v4, -1, v15
	v_and_b32_e32 v5, 64, v15
	v_cmp_lt_i32_e64 s[0:1], v4, v5
	ds_read_u8 v17, v14 offset:16
	s_nop 0
	v_cndmask_b32_e64 v4, v4, v15, s[0:1]
	v_lshlrev_b32_e32 v4, 2, v4
	s_waitcnt vmcnt(2)
	ds_bpermute_b32 v8, v4, v8
	ds_bpermute_b32 v9, v4, v9
	;; [unrolled: 1-line block ×4, first 2 shown]
	s_waitcnt vmcnt(0)
	ds_bpermute_b32 v15, v4, v16
	s_waitcnt lgkmcnt(5)
	v_cmp_ne_u16_e64 s[0:1], 0, v17
	s_waitcnt lgkmcnt(1)
	scratch_store_dwordx4 off, v[8:11], off
                                        ; implicit-def: $vgpr10_vgpr11
	s_and_saveexec_b64 s[4:5], s[0:1]
	s_xor_b64 s[0:1], exec, s[4:5]
	s_cbranch_execz .LBB2087_456
; %bb.455:
	ds_read2_b32 v[8:9], v14 offset1:1
	ds_read2_b32 v[10:11], v14 offset0:2 offset1:3
.LBB2087_456:
	s_andn2_saveexec_b64 s[0:1], s[0:1]
	s_cbranch_execz .LBB2087_462
; %bb.457:
	v_mov_b32_e32 v4, 0
	s_mov_b32 s4, 0
	v_mov_b32_e32 v5, v4
.LBB2087_458:                           ; =>This Inner Loop Header: Depth=1
	s_add_i32 s5, s4, 0x60
	s_add_i32 s4, s4, 8
	s_cmp_lg_u32 s4, 16
	scratch_store_dwordx2 off, v[4:5], s5
	s_cbranch_scc1 .LBB2087_458
; %bb.459:
	s_mov_b32 s4, 0
.LBB2087_460:                           ; =>This Inner Loop Header: Depth=1
	s_add_i32 s5, s4, 0
	scratch_load_dwordx2 v[4:5], off, s5
	s_waitcnt lgkmcnt(1)
	v_add_u32_e32 v8, s4, v14
	ds_read2_b32 v[8:9], v8 offset1:1
	s_add_i32 s5, s4, 0x60
	s_add_i32 s4, s4, 8
	s_cmp_lg_u32 s4, 16
	s_waitcnt vmcnt(0) lgkmcnt(0)
	v_add_u32_e32 v5, v9, v5
	v_add_u32_e32 v4, v8, v4
	scratch_store_dwordx2 off, v[4:5], s5
	s_cbranch_scc1 .LBB2087_460
; %bb.461:
	scratch_load_dwordx4 v[8:11], off, off offset:96
.LBB2087_462:
	s_or_b64 exec, exec, s[0:1]
	v_and_b32_e32 v4, 1, v17
	v_cmp_eq_u32_e64 s[0:1], 1, v4
	s_waitcnt lgkmcnt(0)
	v_and_b32_e32 v4, 1, v15
	v_cmp_eq_u32_e64 s[4:5], 1, v4
	s_or_b64 s[0:1], s[4:5], s[0:1]
	v_cndmask_b32_e64 v4, 0, 1, s[0:1]
	s_waitcnt vmcnt(0)
	scratch_store_dwordx4 off, v[8:11], off
	scratch_store_byte off, v4, off offset:16
	s_and_saveexec_b64 s[0:1], s[50:51]
	s_cbranch_execz .LBB2087_464
; %bb.463:
	scratch_store_dwordx4 off, v[0:3], off
	scratch_store_byte off, v13, off offset:16
.LBB2087_464:
	s_or_b64 exec, exec, s[0:1]
	; wave barrier
	scratch_load_dwordx4 v[0:3], off, off
	scratch_load_ubyte v4, off, off offset:16
	s_waitcnt vmcnt(1)
	ds_write2_b32 v14, v2, v3 offset0:2 offset1:3
	ds_write2_b32 v14, v0, v1 offset1:1
	s_waitcnt vmcnt(0)
	ds_write_b8 v14, v4 offset:16
	; wave barrier
	ds_read_u8 v4, v14 offset:36
                                        ; implicit-def: $vgpr2_vgpr3
	s_waitcnt lgkmcnt(0)
	v_cmp_ne_u16_e64 s[0:1], 0, v4
	s_and_saveexec_b64 s[4:5], s[0:1]
	s_xor_b64 s[0:1], exec, s[4:5]
	s_cbranch_execz .LBB2087_466
; %bb.465:
	ds_read2_b32 v[0:1], v12 offset1:1
	ds_read2_b32 v[2:3], v12 offset0:2 offset1:3
.LBB2087_466:
	s_andn2_saveexec_b64 s[0:1], s[0:1]
	s_cbranch_execz .LBB2087_472
; %bb.467:
	s_waitcnt lgkmcnt(1)
	v_mov_b32_e32 v0, 0
	s_mov_b32 s4, 0
	v_mov_b32_e32 v1, v0
.LBB2087_468:                           ; =>This Inner Loop Header: Depth=1
	s_add_i32 s5, s4, 0x60
	s_add_i32 s4, s4, 8
	s_cmp_lg_u32 s4, 16
	scratch_store_dwordx2 off, v[0:1], s5
	s_cbranch_scc1 .LBB2087_468
; %bb.469:
	s_mov_b32 s4, 0
.LBB2087_470:                           ; =>This Inner Loop Header: Depth=1
	s_add_i32 s5, s4, 0
	scratch_load_dwordx2 v[0:1], off, s5
	s_waitcnt lgkmcnt(0)
	v_add_u32_e32 v2, s4, v12
	ds_read2_b32 v[2:3], v2 offset1:1
	s_add_i32 s5, s4, 0x60
	s_add_i32 s4, s4, 8
	s_cmp_lg_u32 s4, 16
	s_waitcnt vmcnt(0) lgkmcnt(0)
	v_add_u32_e32 v1, v3, v1
	v_add_u32_e32 v0, v2, v0
	scratch_store_dwordx2 off, v[0:1], s5
	s_cbranch_scc1 .LBB2087_470
; %bb.471:
	scratch_load_dwordx4 v[0:3], off, off offset:96
.LBB2087_472:
	s_or_b64 exec, exec, s[0:1]
	scratch_load_ubyte v5, off, off offset:16
	s_waitcnt vmcnt(1) lgkmcnt(0)
	ds_write2_b32 v12, v2, v3 offset0:2 offset1:3
	s_waitcnt vmcnt(0)
	v_or_b32_e32 v2, v4, v5
	v_and_b32_e32 v2, 1, v2
	ds_write2_b32 v12, v0, v1 offset1:1
	ds_write_b8 v12, v2 offset:16
.LBB2087_473:
	s_or_b64 exec, exec, s[6:7]
	s_waitcnt lgkmcnt(0)
	s_barrier
	s_and_saveexec_b64 s[0:1], s[2:3]
	s_cbranch_execz .LBB2087_475
; %bb.474:
	v_add_u32_e32 v0, -1, v7
	v_lshrrev_b32_e32 v1, 5, v0
	v_add_u32_e32 v0, v1, v0
	v_mul_lo_u32 v0, v0, 20
	ds_read_u8 v4, v0 offset:16
	ds_read2_b32 v[2:3], v0 offset0:2 offset1:3
	ds_read2_b32 v[0:1], v0 offset1:1
	s_waitcnt lgkmcnt(0)
	scratch_store_dwordx4 off, v[0:3], off offset:60
	scratch_store_byte off, v4, off offset:76
.LBB2087_475:
	s_or_b64 exec, exec, s[0:1]
	s_and_saveexec_b64 s[6:7], vcc
	s_cbranch_execz .LBB2087_616
; %bb.476:
	v_mov_b32_e32 v1, 0xa28
	v_mov_b32_e32 v0, 0
	ds_read2_b64 v[2:5], v1 offset1:1
	ds_read_b32 v1, v0 offset:2616
	v_mbcnt_lo_u32_b32 v8, -1, 0
	v_mbcnt_hi_u32_b32 v23, -1, v8
	v_cmp_eq_u32_e64 s[4:5], 0, v23
	s_waitcnt lgkmcnt(1)
	scratch_store_dwordx4 off, v[2:5], off offset:40
	s_waitcnt lgkmcnt(0)
	scratch_store_dword off, v1, off offset:56
	s_and_saveexec_b64 s[0:1], s[4:5]
	s_cbranch_execz .LBB2087_478
; %bb.477:
	v_lshrrev_b32_e32 v8, 8, v1
	s_movk_i32 s8, 0xff
	v_mov_b32_e32 v11, 8
	v_and_b32_sdwa v10, v1, s8 dst_sel:DWORD dst_unused:UNUSED_PAD src0_sel:WORD_1 src1_sel:DWORD
	v_lshlrev_b32_sdwa v8, v11, v8 dst_sel:DWORD dst_unused:UNUSED_PAD src0_sel:DWORD src1_sel:BYTE_0
	s_add_i32 s10, s33, 64
	v_lshrrev_b32_e32 v9, 24, v1
	v_or_b32_sdwa v1, v8, v1 dst_sel:DWORD dst_unused:UNUSED_PAD src0_sel:DWORD src1_sel:BYTE_0
	v_lshlrev_b32_e32 v8, 16, v10
	s_mul_i32 s8, s10, 20
	v_or_b32_e32 v1, v1, v8
	v_lshlrev_b32_e32 v8, 24, v9
	s_mul_hi_u32 s9, s10, 20
	s_add_u32 s8, s52, s8
	v_or_b32_e32 v1, v1, v8
	s_addc_u32 s9, s53, s9
	global_store_dword v0, v2, s[8:9] sc1
	global_store_dword v0, v3, s[8:9] offset:4 sc1
	global_store_dword v0, v4, s[8:9] offset:8 sc1
	;; [unrolled: 1-line block ×4, first 2 shown]
	v_mov_b32_e32 v1, s10
	v_mov_b32_e32 v2, 1
	s_waitcnt vmcnt(0)
	global_store_byte v1, v2, s[56:57] sc1
.LBB2087_478:
	s_or_b64 exec, exec, s[0:1]
	v_mov_b32_e32 v1, v0
	v_mov_b32_e32 v2, v0
	;; [unrolled: 1-line block ×3, first 2 shown]
	scratch_store_dword off, v0, off offset:36
	s_mov_b32 s0, 0
	scratch_store_dwordx4 off, v[0:3], off offset:20
.LBB2087_479:                           ; =>This Inner Loop Header: Depth=1
	s_add_i32 s1, s0, 20
	s_add_i32 s0, s0, 8
	s_cmp_lg_u32 s0, 16
	scratch_store_dwordx2 off, v[0:1], s1
	s_cbranch_scc1 .LBB2087_479
; %bb.480:
	v_mov_b32_e32 v1, 0
	v_xad_u32 v4, v23, -1, s33
	scratch_store_byte off, v1, off offset:36
	v_add_u32_e32 v0, 64, v4
	global_load_ubyte v12, v0, s[56:57] sc1
	s_waitcnt vmcnt(0)
	v_cmp_eq_u16_e32 vcc, 0, v12
	s_and_saveexec_b64 s[0:1], vcc
	s_cbranch_execz .LBB2087_486
; %bb.481:
	v_lshl_add_u64 v[2:3], s[56:57], 0, v[0:1]
	s_mov_b32 s10, 1
	s_mov_b64 s[8:9], 0
.LBB2087_482:                           ; =>This Loop Header: Depth=1
                                        ;     Child Loop BB2087_483 Depth 2
	s_max_u32 s11, s10, 1
.LBB2087_483:                           ;   Parent Loop BB2087_482 Depth=1
                                        ; =>  This Inner Loop Header: Depth=2
	s_add_i32 s11, s11, -1
	s_cmp_eq_u32 s11, 0
	s_sleep 1
	s_cbranch_scc0 .LBB2087_483
; %bb.484:                              ;   in Loop: Header=BB2087_482 Depth=1
	global_load_ubyte v12, v[2:3], off sc1
	s_cmp_lt_u32 s10, 32
	s_cselect_b64 s[12:13], -1, 0
	s_cmp_lg_u64 s[12:13], 0
	s_addc_u32 s10, s10, 0
	s_waitcnt vmcnt(0)
	v_cmp_ne_u16_e32 vcc, 0, v12
	s_or_b64 s[8:9], vcc, s[8:9]
	s_andn2_b64 exec, exec, s[8:9]
	s_cbranch_execnz .LBB2087_482
; %bb.485:
	s_or_b64 exec, exec, s[8:9]
.LBB2087_486:
	s_or_b64 exec, exec, s[0:1]
	v_mov_b32_e32 v1, s55
	v_mov_b32_e32 v2, s53
	v_cmp_eq_u16_e32 vcc, 1, v12
	s_waitcnt vmcnt(0)
	s_nop 0
	v_cndmask_b32_e32 v3, v1, v2, vcc
	v_mov_b32_e32 v1, s54
	v_mov_b32_e32 v2, s52
	v_cndmask_b32_e32 v2, v1, v2, vcc
	v_mad_u64_u32 v[8:9], s[0:1], v0, 20, v[2:3]
	global_load_dword v0, v[8:9], off sc1
	global_load_dword v1, v[8:9], off offset:4 sc1
	global_load_dword v2, v[8:9], off offset:8 sc1
	;; [unrolled: 1-line block ×4, first 2 shown]
	v_mov_b32_e32 v8, 0
	s_mov_b32 s0, 0
	v_mov_b32_e32 v9, v8
	scratch_store_dword off, v8, off offset:112
	s_waitcnt vmcnt(2)
	scratch_store_dwordx4 off, v[0:3], off offset:20
	s_waitcnt vmcnt(2)
	scratch_store_byte off, v5, off offset:36
.LBB2087_487:                           ; =>This Inner Loop Header: Depth=1
	s_add_i32 s1, s0, 0x60
	s_add_i32 s0, s0, 8
	s_cmp_lg_u32 s0, 16
	scratch_store_dwordx2 off, v[8:9], s1
	s_cbranch_scc1 .LBB2087_487
; %bb.488:
	scratch_load_dword v5, off, off offset:36
	v_lshlrev_b64 v[8:9], v23, -1
	v_cmp_eq_u16_e32 vcc, 2, v12
	v_and_b32_e32 v13, 63, v23
	s_nop 0
	v_and_b32_e32 v10, vcc_hi, v9
	v_and_b32_e32 v11, vcc_lo, v8
	v_cmp_ne_u32_e32 vcc, 63, v13
	v_or_b32_e32 v10, 0x80000000, v10
	v_ffbl_b32_e32 v10, v10
	v_addc_co_u32_e32 v14, vcc, 0, v23, vcc
	v_lshlrev_b32_e32 v14, 2, v14
	ds_bpermute_b32 v16, v14, v0
	ds_bpermute_b32 v17, v14, v1
	;; [unrolled: 1-line block ×4, first 2 shown]
	v_add_u32_e32 v10, 32, v10
	v_ffbl_b32_e32 v11, v11
	v_min_u32_e32 v25, v11, v10
	v_cmp_lt_u32_e32 vcc, v13, v25
	s_waitcnt lgkmcnt(0)
	scratch_store_dwordx4 off, v[16:19], off offset:96
	s_waitcnt vmcnt(1)
	ds_bpermute_b32 v15, v14, v5
	s_and_saveexec_b64 s[0:1], vcc
	s_cbranch_execz .LBB2087_496
; %bb.489:
	v_mov_b32_e32 v10, 0
	v_cmp_eq_u16_sdwa s[10:11], v5, v10 src0_sel:BYTE_0 src1_sel:DWORD
	s_and_saveexec_b64 s[8:9], s[10:11]
	s_cbranch_execz .LBB2087_495
; %bb.490:
	s_mov_b32 s10, 0
	v_mov_b32_e32 v11, v10
.LBB2087_491:                           ; =>This Inner Loop Header: Depth=1
	s_add_i32 s11, s10, 0
	s_add_i32 s10, s10, 8
	s_cmp_lg_u32 s10, 16
	scratch_store_dwordx2 off, v[10:11], s11
	s_cbranch_scc1 .LBB2087_491
; %bb.492:
	s_mov_b32 s10, 0
.LBB2087_493:                           ; =>This Inner Loop Header: Depth=1
	s_add_i32 s11, s10, 0x60
	s_add_i32 s12, s10, 20
	scratch_load_dwordx2 v[0:1], off, s11
	scratch_load_dwordx2 v[2:3], off, s12
	s_add_i32 s11, s10, 0
	s_add_i32 s10, s10, 8
	s_cmp_lg_u32 s10, 16
	s_waitcnt vmcnt(0)
	v_add_u32_e32 v1, v3, v1
	v_add_u32_e32 v0, v2, v0
	scratch_store_dwordx2 off, v[0:1], s11
	s_cbranch_scc1 .LBB2087_493
; %bb.494:
	scratch_load_dwordx4 v[0:3], off, off
.LBB2087_495:
	s_or_b64 exec, exec, s[8:9]
	s_waitcnt lgkmcnt(0)
	v_or_b32_e32 v5, v15, v5
	v_and_b32_e32 v5, 1, v5
	scratch_store_byte off, v5, off offset:36
	scratch_load_dword v5, off, off offset:36
	s_waitcnt vmcnt(2)
	scratch_store_dwordx4 off, v[0:3], off offset:20
.LBB2087_496:
	s_or_b64 exec, exec, s[0:1]
	v_cmp_gt_u32_e32 vcc, 62, v13
	v_add_u32_e32 v16, 2, v13
	s_nop 0
	v_cndmask_b32_e64 v10, 0, 1, vcc
	v_lshlrev_b32_e32 v10, 1, v10
	s_waitcnt lgkmcnt(0)
	v_add_lshl_u32 v15, v10, v23, 2
	ds_bpermute_b32 v18, v15, v0
	ds_bpermute_b32 v19, v15, v1
	ds_bpermute_b32 v20, v15, v2
	ds_bpermute_b32 v21, v15, v3
	s_waitcnt vmcnt(1)
	ds_bpermute_b32 v17, v15, v5
	v_cmp_le_u32_e32 vcc, v16, v25
	s_waitcnt lgkmcnt(1)
	scratch_store_dwordx4 off, v[18:21], off offset:96
	s_and_saveexec_b64 s[8:9], vcc
	s_cbranch_execz .LBB2087_504
; %bb.497:
	v_mov_b32_e32 v10, 0
	s_mov_b32 s10, 0
	v_cmp_eq_u16_sdwa s[12:13], v5, v10 src0_sel:BYTE_0 src1_sel:DWORD
	s_and_saveexec_b64 s[0:1], s[12:13]
	s_cbranch_execz .LBB2087_503
; %bb.498:
	v_mov_b32_e32 v11, v10
.LBB2087_499:                           ; =>This Inner Loop Header: Depth=1
	s_add_i32 s11, s10, 0
	s_add_i32 s10, s10, 8
	s_cmp_lg_u32 s10, 16
	scratch_store_dwordx2 off, v[10:11], s11
	s_cbranch_scc1 .LBB2087_499
; %bb.500:
	s_mov_b32 s10, 0
.LBB2087_501:                           ; =>This Inner Loop Header: Depth=1
	s_add_i32 s11, s10, 0x60
	s_add_i32 s12, s10, 20
	scratch_load_dwordx2 v[0:1], off, s11
	scratch_load_dwordx2 v[2:3], off, s12
	s_add_i32 s11, s10, 0
	s_add_i32 s10, s10, 8
	s_cmp_lg_u32 s10, 16
	s_waitcnt vmcnt(0)
	v_add_u32_e32 v1, v3, v1
	v_add_u32_e32 v0, v2, v0
	scratch_store_dwordx2 off, v[0:1], s11
	s_cbranch_scc1 .LBB2087_501
; %bb.502:
	scratch_load_dwordx4 v[0:3], off, off
.LBB2087_503:
	s_or_b64 exec, exec, s[0:1]
	v_and_b32_e32 v5, 1, v5
	v_cmp_eq_u32_e32 vcc, 1, v5
	s_waitcnt lgkmcnt(0)
	v_and_b32_e32 v5, 1, v17
	v_cmp_eq_u32_e64 s[0:1], 1, v5
	s_or_b64 s[0:1], vcc, s[0:1]
	s_waitcnt vmcnt(0)
	scratch_store_dwordx4 off, v[0:3], off offset:20
	v_cndmask_b32_e64 v5, 0, 1, s[0:1]
	scratch_store_byte off, v5, off offset:36
	scratch_load_dword v5, off, off offset:36
.LBB2087_504:
	s_or_b64 exec, exec, s[8:9]
	v_cmp_gt_u32_e32 vcc, 60, v13
	v_add_u32_e32 v18, 4, v13
	s_nop 0
	v_cndmask_b32_e64 v10, 0, 1, vcc
	v_lshlrev_b32_e32 v10, 2, v10
	s_waitcnt lgkmcnt(0)
	v_add_lshl_u32 v17, v10, v23, 2
	ds_bpermute_b32 v48, v17, v0
	ds_bpermute_b32 v49, v17, v1
	ds_bpermute_b32 v50, v17, v2
	ds_bpermute_b32 v51, v17, v3
	s_waitcnt vmcnt(0)
	ds_bpermute_b32 v19, v17, v5
	v_cmp_le_u32_e32 vcc, v18, v25
	s_waitcnt lgkmcnt(1)
	scratch_store_dwordx4 off, v[48:51], off offset:96
	s_and_saveexec_b64 s[8:9], vcc
	s_cbranch_execz .LBB2087_512
; %bb.505:
	v_mov_b32_e32 v10, 0
	s_mov_b32 s10, 0
	v_cmp_eq_u16_sdwa s[12:13], v5, v10 src0_sel:BYTE_0 src1_sel:DWORD
	s_and_saveexec_b64 s[0:1], s[12:13]
	s_cbranch_execz .LBB2087_511
; %bb.506:
	v_mov_b32_e32 v11, v10
.LBB2087_507:                           ; =>This Inner Loop Header: Depth=1
	s_add_i32 s11, s10, 0
	s_add_i32 s10, s10, 8
	s_cmp_lg_u32 s10, 16
	scratch_store_dwordx2 off, v[10:11], s11
	s_cbranch_scc1 .LBB2087_507
; %bb.508:
	s_mov_b32 s10, 0
.LBB2087_509:                           ; =>This Inner Loop Header: Depth=1
	s_add_i32 s11, s10, 0x60
	s_add_i32 s12, s10, 20
	scratch_load_dwordx2 v[0:1], off, s11
	scratch_load_dwordx2 v[2:3], off, s12
	s_add_i32 s11, s10, 0
	s_add_i32 s10, s10, 8
	s_cmp_lg_u32 s10, 16
	s_waitcnt vmcnt(0)
	v_add_u32_e32 v1, v3, v1
	v_add_u32_e32 v0, v2, v0
	scratch_store_dwordx2 off, v[0:1], s11
	s_cbranch_scc1 .LBB2087_509
; %bb.510:
	scratch_load_dwordx4 v[0:3], off, off
.LBB2087_511:
	s_or_b64 exec, exec, s[0:1]
	v_and_b32_e32 v5, 1, v5
	v_cmp_eq_u32_e32 vcc, 1, v5
	s_waitcnt lgkmcnt(0)
	v_and_b32_e32 v5, 1, v19
	v_cmp_eq_u32_e64 s[0:1], 1, v5
	s_or_b64 s[0:1], vcc, s[0:1]
	s_waitcnt vmcnt(0)
	scratch_store_dwordx4 off, v[0:3], off offset:20
	v_cndmask_b32_e64 v5, 0, 1, s[0:1]
	scratch_store_byte off, v5, off offset:36
	scratch_load_dword v5, off, off offset:36
.LBB2087_512:
	;; [unrolled: 64-line block ×4, first 2 shown]
	s_or_b64 exec, exec, s[8:9]
	v_cmp_gt_u32_e32 vcc, 32, v13
	s_waitcnt lgkmcnt(0)
	v_add_u32_e32 v24, 32, v13
	v_cndmask_b32_e64 v10, 0, 1, vcc
	v_lshlrev_b32_e32 v10, 5, v10
	v_add_lshl_u32 v23, v10, v23, 2
	ds_bpermute_b32 v48, v23, v0
	ds_bpermute_b32 v49, v23, v1
	ds_bpermute_b32 v50, v23, v2
	ds_bpermute_b32 v51, v23, v3
	s_waitcnt vmcnt(0)
	ds_bpermute_b32 v47, v23, v5
	v_cmp_le_u32_e32 vcc, v24, v25
	s_waitcnt lgkmcnt(1)
	scratch_store_dwordx4 off, v[48:51], off offset:96
	s_and_saveexec_b64 s[8:9], vcc
	s_cbranch_execz .LBB2087_536
; %bb.529:
	v_mov_b32_e32 v10, 0
	s_mov_b32 s10, 0
	v_cmp_eq_u16_sdwa s[12:13], v5, v10 src0_sel:BYTE_0 src1_sel:DWORD
	s_and_saveexec_b64 s[0:1], s[12:13]
	s_cbranch_execz .LBB2087_535
; %bb.530:
	v_mov_b32_e32 v11, v10
.LBB2087_531:                           ; =>This Inner Loop Header: Depth=1
	s_add_i32 s11, s10, 0
	s_add_i32 s10, s10, 8
	s_cmp_lg_u32 s10, 16
	scratch_store_dwordx2 off, v[10:11], s11
	s_cbranch_scc1 .LBB2087_531
; %bb.532:
	s_mov_b32 s10, 0
.LBB2087_533:                           ; =>This Inner Loop Header: Depth=1
	s_add_i32 s11, s10, 0x60
	s_add_i32 s12, s10, 20
	scratch_load_dwordx2 v[0:1], off, s11
	scratch_load_dwordx2 v[2:3], off, s12
	s_add_i32 s11, s10, 0
	s_add_i32 s10, s10, 8
	s_cmp_lg_u32 s10, 16
	s_waitcnt vmcnt(0)
	v_add_u32_e32 v1, v3, v1
	v_add_u32_e32 v0, v2, v0
	scratch_store_dwordx2 off, v[0:1], s11
	s_cbranch_scc1 .LBB2087_533
; %bb.534:
	scratch_load_dwordx4 v[0:3], off, off
.LBB2087_535:
	s_or_b64 exec, exec, s[0:1]
	v_and_b32_e32 v5, 1, v5
	v_cmp_eq_u32_e32 vcc, 1, v5
	s_waitcnt lgkmcnt(0)
	v_and_b32_e32 v5, 1, v47
	v_cmp_eq_u32_e64 s[0:1], 1, v5
	s_or_b64 s[0:1], vcc, s[0:1]
	s_nop 0
	v_cndmask_b32_e64 v5, 0, 1, s[0:1]
	s_waitcnt vmcnt(0)
	scratch_store_dwordx4 off, v[0:3], off offset:20
	scratch_store_byte off, v5, off offset:36
.LBB2087_536:
	s_or_b64 exec, exec, s[8:9]
	scratch_load_dwordx4 v[0:3], off, off offset:20
	scratch_load_dword v5, off, off offset:36
	v_mov_b32_e32 v10, 0
	v_mov_b32_e32 v25, 2
	s_waitcnt vmcnt(1)
	scratch_store_dwordx4 off, v[0:3], off
	s_waitcnt vmcnt(1)
	scratch_store_dword off, v5, off offset:16
	s_branch .LBB2087_538
.LBB2087_537:                           ;   in Loop: Header=BB2087_538 Depth=1
	s_or_b64 exec, exec, s[8:9]
	v_and_b32_e32 v5, 1, v5
	v_cmp_eq_u32_e32 vcc, 1, v5
	s_or_b64 s[0:1], vcc, s[0:1]
	v_subrev_u32_e32 v4, 64, v4
	v_cndmask_b32_e64 v5, 0, 1, s[0:1]
	s_waitcnt vmcnt(0)
	scratch_store_dwordx4 off, v[0:3], off
	scratch_store_byte off, v5, off offset:16
.LBB2087_538:                           ; =>This Loop Header: Depth=1
                                        ;     Child Loop BB2087_541 Depth 2
                                        ;       Child Loop BB2087_542 Depth 3
                                        ;     Child Loop BB2087_546 Depth 2
                                        ;     Child Loop BB2087_550 Depth 2
                                        ;     Child Loop BB2087_552 Depth 2
                                        ;     Child Loop BB2087_558 Depth 2
                                        ;     Child Loop BB2087_560 Depth 2
                                        ;     Child Loop BB2087_566 Depth 2
                                        ;     Child Loop BB2087_568 Depth 2
                                        ;     Child Loop BB2087_574 Depth 2
                                        ;     Child Loop BB2087_576 Depth 2
                                        ;     Child Loop BB2087_582 Depth 2
                                        ;     Child Loop BB2087_584 Depth 2
                                        ;     Child Loop BB2087_590 Depth 2
                                        ;     Child Loop BB2087_592 Depth 2
                                        ;     Child Loop BB2087_599 Depth 2
                                        ;     Child Loop BB2087_601 Depth 2
	v_cmp_ne_u16_sdwa s[0:1], v12, v25 src0_sel:BYTE_0 src1_sel:DWORD
	s_nop 1
	v_cndmask_b32_e64 v0, 0, 1, s[0:1]
	;;#ASMSTART
	;;#ASMEND
	s_nop 0
	v_cmp_ne_u32_e32 vcc, 0, v0
	s_cmp_lg_u64 vcc, exec
	s_cbranch_scc1 .LBB2087_603
; %bb.539:                              ;   in Loop: Header=BB2087_538 Depth=1
	global_load_ubyte v12, v4, s[56:57] sc1
	v_mov_b32_e32 v5, v10
	s_waitcnt vmcnt(0)
	v_cmp_eq_u16_e32 vcc, 0, v12
	s_and_saveexec_b64 s[0:1], vcc
	s_cbranch_execz .LBB2087_545
; %bb.540:                              ;   in Loop: Header=BB2087_538 Depth=1
	v_lshl_add_u64 v[0:1], s[56:57], 0, v[4:5]
	s_mov_b32 s10, 1
	s_mov_b64 s[8:9], 0
.LBB2087_541:                           ;   Parent Loop BB2087_538 Depth=1
                                        ; =>  This Loop Header: Depth=2
                                        ;       Child Loop BB2087_542 Depth 3
	s_max_u32 s11, s10, 1
.LBB2087_542:                           ;   Parent Loop BB2087_538 Depth=1
                                        ;     Parent Loop BB2087_541 Depth=2
                                        ; =>    This Inner Loop Header: Depth=3
	s_add_i32 s11, s11, -1
	s_cmp_eq_u32 s11, 0
	s_sleep 1
	s_cbranch_scc0 .LBB2087_542
; %bb.543:                              ;   in Loop: Header=BB2087_541 Depth=2
	global_load_ubyte v12, v[0:1], off sc1
	s_cmp_lt_u32 s10, 32
	s_cselect_b64 s[12:13], -1, 0
	s_cmp_lg_u64 s[12:13], 0
	s_addc_u32 s10, s10, 0
	s_waitcnt vmcnt(0)
	v_cmp_ne_u16_e32 vcc, 0, v12
	s_or_b64 s[8:9], vcc, s[8:9]
	s_andn2_b64 exec, exec, s[8:9]
	s_cbranch_execnz .LBB2087_541
; %bb.544:                              ;   in Loop: Header=BB2087_538 Depth=1
	s_or_b64 exec, exec, s[8:9]
.LBB2087_545:                           ;   in Loop: Header=BB2087_538 Depth=1
	s_or_b64 exec, exec, s[0:1]
	v_mov_b32_e32 v0, s55
	v_mov_b32_e32 v1, s53
	v_cmp_eq_u16_e32 vcc, 1, v12
	v_mov_b32_e32 v2, s52
	s_waitcnt vmcnt(0)
	v_cndmask_b32_e32 v1, v0, v1, vcc
	v_mov_b32_e32 v0, s54
	v_cndmask_b32_e32 v0, v0, v2, vcc
	s_waitcnt lgkmcnt(0)
	v_mad_u64_u32 v[48:49], s[0:1], v4, 20, v[0:1]
	s_waitcnt lgkmcnt(0)
	global_load_dword v0, v[48:49], off sc1
	global_load_dword v1, v[48:49], off offset:4 sc1
	global_load_dword v2, v[48:49], off offset:8 sc1
	;; [unrolled: 1-line block ×4, first 2 shown]
	s_mov_b32 s0, 0
	scratch_store_dword off, v10, off offset:112
	s_waitcnt vmcnt(2)
	scratch_store_dwordx4 off, v[0:3], off offset:20
	s_waitcnt vmcnt(2)
	scratch_store_byte off, v5, off offset:36
.LBB2087_546:                           ;   Parent Loop BB2087_538 Depth=1
                                        ; =>  This Inner Loop Header: Depth=2
	s_add_i32 s1, s0, 0x60
	s_add_i32 s0, s0, 8
	v_mov_b32_e32 v11, v10
	s_cmp_lg_u32 s0, 16
	scratch_store_dwordx2 off, v[10:11], s1
	s_cbranch_scc1 .LBB2087_546
; %bb.547:                              ;   in Loop: Header=BB2087_538 Depth=1
	scratch_load_dword v47, off, off offset:36
	v_cmp_eq_u16_e32 vcc, 2, v12
	ds_bpermute_b32 v50, v14, v0
	ds_bpermute_b32 v51, v14, v1
	v_and_b32_e32 v5, vcc_hi, v9
	v_or_b32_e32 v5, 0x80000000, v5
	ds_bpermute_b32 v52, v14, v2
	ds_bpermute_b32 v53, v14, v3
	v_and_b32_e32 v11, vcc_lo, v8
	v_ffbl_b32_e32 v5, v5
	v_add_u32_e32 v5, 32, v5
	v_ffbl_b32_e32 v11, v11
	v_min_u32_e32 v5, v11, v5
	v_cmp_lt_u32_e32 vcc, v13, v5
	s_waitcnt lgkmcnt(0)
	scratch_store_dwordx4 off, v[50:53], off offset:96
	s_waitcnt vmcnt(1)
	ds_bpermute_b32 v48, v14, v47
	s_and_saveexec_b64 s[0:1], vcc
	s_cbranch_execz .LBB2087_555
; %bb.548:                              ;   in Loop: Header=BB2087_538 Depth=1
	v_cmp_eq_u16_sdwa s[10:11], v47, v10 src0_sel:BYTE_0 src1_sel:DWORD
	s_and_saveexec_b64 s[8:9], s[10:11]
	s_cbranch_execz .LBB2087_554
; %bb.549:                              ;   in Loop: Header=BB2087_538 Depth=1
	s_mov_b32 s10, 0
.LBB2087_550:                           ;   Parent Loop BB2087_538 Depth=1
                                        ; =>  This Inner Loop Header: Depth=2
	s_add_i32 s11, s10, 0x39c
	s_add_i32 s10, s10, 8
	v_mov_b32_e32 v11, v10
	s_cmp_lg_u32 s10, 16
	scratch_store_dwordx2 off, v[10:11], s11
	s_cbranch_scc1 .LBB2087_550
; %bb.551:                              ;   in Loop: Header=BB2087_538 Depth=1
	s_mov_b32 s10, 0
.LBB2087_552:                           ;   Parent Loop BB2087_538 Depth=1
                                        ; =>  This Inner Loop Header: Depth=2
	s_add_i32 s11, s10, 0x60
	s_add_i32 s12, s10, 20
	scratch_load_dwordx2 v[0:1], off, s11
	scratch_load_dwordx2 v[2:3], off, s12
	s_add_i32 s11, s10, 0x39c
	s_add_i32 s10, s10, 8
	s_cmp_lg_u32 s10, 16
	s_waitcnt vmcnt(0)
	v_add_u32_e32 v1, v3, v1
	v_add_u32_e32 v0, v2, v0
	scratch_store_dwordx2 off, v[0:1], s11
	s_cbranch_scc1 .LBB2087_552
; %bb.553:                              ;   in Loop: Header=BB2087_538 Depth=1
	scratch_load_dwordx4 v[0:3], off, off offset:924
.LBB2087_554:                           ;   in Loop: Header=BB2087_538 Depth=1
	s_or_b64 exec, exec, s[8:9]
	s_waitcnt lgkmcnt(0)
	v_or_b32_e32 v11, v48, v47
	v_and_b32_e32 v11, 1, v11
	scratch_store_byte off, v11, off offset:36
	scratch_load_dword v47, off, off offset:36
	s_waitcnt vmcnt(2)
	scratch_store_dwordx4 off, v[0:3], off offset:20
.LBB2087_555:                           ;   in Loop: Header=BB2087_538 Depth=1
	s_or_b64 exec, exec, s[0:1]
	ds_bpermute_b32 v50, v15, v0
	ds_bpermute_b32 v51, v15, v1
	ds_bpermute_b32 v52, v15, v2
	ds_bpermute_b32 v53, v15, v3
	s_waitcnt vmcnt(1) lgkmcnt(4)
	ds_bpermute_b32 v48, v15, v47
	v_cmp_le_u32_e32 vcc, v16, v5
	s_waitcnt lgkmcnt(1)
	scratch_store_dwordx4 off, v[50:53], off offset:96
	s_and_saveexec_b64 s[8:9], vcc
	s_cbranch_execz .LBB2087_563
; %bb.556:                              ;   in Loop: Header=BB2087_538 Depth=1
	v_cmp_eq_u16_sdwa s[10:11], v47, v10 src0_sel:BYTE_0 src1_sel:DWORD
	s_and_saveexec_b64 s[0:1], s[10:11]
	s_cbranch_execz .LBB2087_562
; %bb.557:                              ;   in Loop: Header=BB2087_538 Depth=1
	s_mov_b32 s10, 0
.LBB2087_558:                           ;   Parent Loop BB2087_538 Depth=1
                                        ; =>  This Inner Loop Header: Depth=2
	s_add_i32 s11, s10, 0x39c
	s_add_i32 s10, s10, 8
	v_mov_b32_e32 v11, v10
	s_cmp_lg_u32 s10, 16
	scratch_store_dwordx2 off, v[10:11], s11
	s_cbranch_scc1 .LBB2087_558
; %bb.559:                              ;   in Loop: Header=BB2087_538 Depth=1
	s_mov_b32 s10, 0
.LBB2087_560:                           ;   Parent Loop BB2087_538 Depth=1
                                        ; =>  This Inner Loop Header: Depth=2
	s_add_i32 s11, s10, 0x60
	s_add_i32 s12, s10, 20
	scratch_load_dwordx2 v[0:1], off, s11
	scratch_load_dwordx2 v[2:3], off, s12
	s_add_i32 s11, s10, 0x39c
	s_add_i32 s10, s10, 8
	s_cmp_lg_u32 s10, 16
	s_waitcnt vmcnt(0)
	v_add_u32_e32 v1, v3, v1
	v_add_u32_e32 v0, v2, v0
	scratch_store_dwordx2 off, v[0:1], s11
	s_cbranch_scc1 .LBB2087_560
; %bb.561:                              ;   in Loop: Header=BB2087_538 Depth=1
	scratch_load_dwordx4 v[0:3], off, off offset:924
.LBB2087_562:                           ;   in Loop: Header=BB2087_538 Depth=1
	s_or_b64 exec, exec, s[0:1]
	v_and_b32_e32 v11, 1, v47
	v_cmp_eq_u32_e32 vcc, 1, v11
	s_waitcnt lgkmcnt(0)
	v_and_b32_e32 v11, 1, v48
	v_cmp_eq_u32_e64 s[0:1], 1, v11
	s_or_b64 s[0:1], vcc, s[0:1]
	s_waitcnt vmcnt(0)
	scratch_store_dwordx4 off, v[0:3], off offset:20
	v_cndmask_b32_e64 v11, 0, 1, s[0:1]
	scratch_store_byte off, v11, off offset:36
	scratch_load_dword v47, off, off offset:36
.LBB2087_563:                           ;   in Loop: Header=BB2087_538 Depth=1
	s_or_b64 exec, exec, s[8:9]
	ds_bpermute_b32 v50, v17, v0
	ds_bpermute_b32 v51, v17, v1
	ds_bpermute_b32 v52, v17, v2
	ds_bpermute_b32 v53, v17, v3
	s_waitcnt vmcnt(0) lgkmcnt(4)
	ds_bpermute_b32 v48, v17, v47
	v_cmp_le_u32_e32 vcc, v18, v5
	s_waitcnt lgkmcnt(1)
	scratch_store_dwordx4 off, v[50:53], off offset:96
	s_and_saveexec_b64 s[8:9], vcc
	s_cbranch_execz .LBB2087_571
; %bb.564:                              ;   in Loop: Header=BB2087_538 Depth=1
	v_cmp_eq_u16_sdwa s[10:11], v47, v10 src0_sel:BYTE_0 src1_sel:DWORD
	s_and_saveexec_b64 s[0:1], s[10:11]
	s_cbranch_execz .LBB2087_570
; %bb.565:                              ;   in Loop: Header=BB2087_538 Depth=1
	s_mov_b32 s10, 0
.LBB2087_566:                           ;   Parent Loop BB2087_538 Depth=1
                                        ; =>  This Inner Loop Header: Depth=2
	s_add_i32 s11, s10, 0x39c
	s_add_i32 s10, s10, 8
	v_mov_b32_e32 v11, v10
	s_cmp_lg_u32 s10, 16
	scratch_store_dwordx2 off, v[10:11], s11
	s_cbranch_scc1 .LBB2087_566
; %bb.567:                              ;   in Loop: Header=BB2087_538 Depth=1
	s_mov_b32 s10, 0
.LBB2087_568:                           ;   Parent Loop BB2087_538 Depth=1
                                        ; =>  This Inner Loop Header: Depth=2
	s_add_i32 s11, s10, 0x60
	s_add_i32 s12, s10, 20
	scratch_load_dwordx2 v[0:1], off, s11
	scratch_load_dwordx2 v[2:3], off, s12
	s_add_i32 s11, s10, 0x39c
	s_add_i32 s10, s10, 8
	s_cmp_lg_u32 s10, 16
	s_waitcnt vmcnt(0)
	v_add_u32_e32 v1, v3, v1
	v_add_u32_e32 v0, v2, v0
	scratch_store_dwordx2 off, v[0:1], s11
	s_cbranch_scc1 .LBB2087_568
; %bb.569:                              ;   in Loop: Header=BB2087_538 Depth=1
	scratch_load_dwordx4 v[0:3], off, off offset:924
.LBB2087_570:                           ;   in Loop: Header=BB2087_538 Depth=1
	s_or_b64 exec, exec, s[0:1]
	v_and_b32_e32 v11, 1, v47
	v_cmp_eq_u32_e32 vcc, 1, v11
	s_waitcnt lgkmcnt(0)
	v_and_b32_e32 v11, 1, v48
	v_cmp_eq_u32_e64 s[0:1], 1, v11
	s_or_b64 s[0:1], vcc, s[0:1]
	s_waitcnt vmcnt(0)
	scratch_store_dwordx4 off, v[0:3], off offset:20
	v_cndmask_b32_e64 v11, 0, 1, s[0:1]
	scratch_store_byte off, v11, off offset:36
	scratch_load_dword v47, off, off offset:36
.LBB2087_571:                           ;   in Loop: Header=BB2087_538 Depth=1
	;; [unrolled: 58-line block ×4, first 2 shown]
	s_or_b64 exec, exec, s[8:9]
	ds_bpermute_b32 v50, v23, v0
	ds_bpermute_b32 v51, v23, v1
	ds_bpermute_b32 v52, v23, v2
	ds_bpermute_b32 v53, v23, v3
	s_waitcnt vmcnt(0) lgkmcnt(4)
	ds_bpermute_b32 v48, v23, v47
	v_cmp_le_u32_e32 vcc, v24, v5
	v_and_b32_e32 v5, 1, v47
	v_cmp_eq_u32_e64 s[0:1], 1, v5
	s_waitcnt lgkmcnt(1)
	scratch_store_dwordx4 off, v[50:53], off offset:96
	s_and_saveexec_b64 s[8:9], vcc
	s_cbranch_execz .LBB2087_595
; %bb.588:                              ;   in Loop: Header=BB2087_538 Depth=1
	v_cmp_eq_u16_sdwa s[12:13], v47, v10 src0_sel:BYTE_0 src1_sel:DWORD
	s_and_saveexec_b64 s[10:11], s[12:13]
	s_cbranch_execz .LBB2087_594
; %bb.589:                              ;   in Loop: Header=BB2087_538 Depth=1
	s_mov_b32 s12, 0
.LBB2087_590:                           ;   Parent Loop BB2087_538 Depth=1
                                        ; =>  This Inner Loop Header: Depth=2
	s_add_i32 s13, s12, 0x39c
	s_add_i32 s12, s12, 8
	v_mov_b32_e32 v11, v10
	s_cmp_lg_u32 s12, 16
	scratch_store_dwordx2 off, v[10:11], s13
	s_cbranch_scc1 .LBB2087_590
; %bb.591:                              ;   in Loop: Header=BB2087_538 Depth=1
	s_mov_b32 s12, 0
.LBB2087_592:                           ;   Parent Loop BB2087_538 Depth=1
                                        ; =>  This Inner Loop Header: Depth=2
	s_add_i32 s13, s12, 0x60
	s_add_i32 s14, s12, 20
	scratch_load_dwordx2 v[0:1], off, s13
	scratch_load_dwordx2 v[2:3], off, s14
	s_add_i32 s13, s12, 0x39c
	s_add_i32 s12, s12, 8
	s_cmp_lg_u32 s12, 16
	s_waitcnt vmcnt(0)
	v_add_u32_e32 v1, v3, v1
	v_add_u32_e32 v0, v2, v0
	scratch_store_dwordx2 off, v[0:1], s13
	s_cbranch_scc1 .LBB2087_592
; %bb.593:                              ;   in Loop: Header=BB2087_538 Depth=1
	scratch_load_dwordx4 v[0:3], off, off offset:924
.LBB2087_594:                           ;   in Loop: Header=BB2087_538 Depth=1
	s_or_b64 exec, exec, s[10:11]
	s_waitcnt lgkmcnt(0)
	v_and_b32_e32 v5, 1, v48
	v_cmp_eq_u32_e32 vcc, 1, v5
	s_or_b64 s[10:11], s[0:1], vcc
	v_cndmask_b32_e64 v5, 0, 1, s[10:11]
	s_andn2_b64 s[0:1], s[0:1], exec
	s_and_b64 s[10:11], s[10:11], exec
	s_or_b64 s[0:1], s[0:1], s[10:11]
	s_waitcnt vmcnt(0)
	scratch_store_dwordx4 off, v[0:3], off offset:20
	scratch_store_byte off, v5, off offset:36
.LBB2087_595:                           ;   in Loop: Header=BB2087_538 Depth=1
	s_or_b64 exec, exec, s[8:9]
	scratch_load_ubyte v5, off, off offset:16
                                        ; implicit-def: $vgpr2_vgpr3
	s_waitcnt vmcnt(0)
	v_cmp_ne_u16_e32 vcc, 0, v5
	s_and_saveexec_b64 s[8:9], vcc
	s_xor_b64 s[8:9], exec, s[8:9]
	s_cbranch_execz .LBB2087_597
; %bb.596:                              ;   in Loop: Header=BB2087_538 Depth=1
	scratch_load_dwordx4 v[0:3], off, off
.LBB2087_597:                           ;   in Loop: Header=BB2087_538 Depth=1
	s_andn2_saveexec_b64 s[8:9], s[8:9]
	s_cbranch_execz .LBB2087_537
; %bb.598:                              ;   in Loop: Header=BB2087_538 Depth=1
	s_mov_b32 s10, 0
.LBB2087_599:                           ;   Parent Loop BB2087_538 Depth=1
                                        ; =>  This Inner Loop Header: Depth=2
	s_add_i32 s11, s10, 0x60
	s_add_i32 s10, s10, 8
	v_mov_b32_e32 v11, v10
	s_cmp_lg_u32 s10, 16
	scratch_store_dwordx2 off, v[10:11], s11
	s_cbranch_scc1 .LBB2087_599
; %bb.600:                              ;   in Loop: Header=BB2087_538 Depth=1
	s_mov_b32 s10, 0
.LBB2087_601:                           ;   Parent Loop BB2087_538 Depth=1
                                        ; =>  This Inner Loop Header: Depth=2
	s_add_i32 s11, s10, 20
	s_add_i32 s12, s10, 0
	scratch_load_dwordx2 v[0:1], off, s11
	scratch_load_dwordx2 v[2:3], off, s12
	s_add_i32 s11, s10, 0x60
	s_add_i32 s10, s10, 8
	s_cmp_lg_u32 s10, 16
	s_waitcnt vmcnt(0)
	v_add_u32_e32 v1, v3, v1
	v_add_u32_e32 v0, v2, v0
	scratch_store_dwordx2 off, v[0:1], s11
	s_cbranch_scc1 .LBB2087_601
; %bb.602:                              ;   in Loop: Header=BB2087_538 Depth=1
	scratch_load_dwordx4 v[0:3], off, off offset:96
	s_branch .LBB2087_537
.LBB2087_603:                           ;   in Loop: Header=BB2087_538 Depth=1
                                        ; implicit-def: $vgpr4
                                        ; implicit-def: $vgpr12
	s_cbranch_execz .LBB2087_538
; %bb.604:
	scratch_load_dwordx4 v[0:3], off, off
	scratch_load_dword v12, off, off offset:16
	s_waitcnt vmcnt(1)
	scratch_store_dwordx4 off, v[0:3], off offset:96
	s_waitcnt vmcnt(1)
	scratch_store_dword off, v12, off offset:112
	s_and_saveexec_b64 s[0:1], s[4:5]
	s_cbranch_execz .LBB2087_614
; %bb.605:
	scratch_load_ubyte v13, off, off offset:56
                                        ; implicit-def: $vgpr4_vgpr5
                                        ; implicit-def: $vgpr11
	s_waitcnt vmcnt(0)
	v_cmp_ne_u16_e32 vcc, 0, v13
	s_and_saveexec_b64 s[4:5], vcc
	s_xor_b64 s[4:5], exec, s[4:5]
	s_cbranch_execz .LBB2087_607
; %bb.606:
	scratch_load_dwordx4 v[8:11], off, off offset:40
	s_waitcnt vmcnt(0)
	v_mov_b32_e32 v4, v9
	v_mov_b32_e32 v5, v10
.LBB2087_607:
	s_andn2_saveexec_b64 s[4:5], s[4:5]
	s_cbranch_execz .LBB2087_613
; %bb.608:
	v_mov_b32_e32 v4, 0
	s_mov_b32 s8, 0
	v_mov_b32_e32 v5, v4
.LBB2087_609:                           ; =>This Inner Loop Header: Depth=1
	s_add_i32 s9, s8, 0
	s_add_i32 s8, s8, 8
	s_cmp_lg_u32 s8, 16
	scratch_store_dwordx2 off, v[4:5], s9
	s_cbranch_scc1 .LBB2087_609
; %bb.610:
	s_mov_b32 s8, 0
.LBB2087_611:                           ; =>This Inner Loop Header: Depth=1
	s_add_i32 s9, s8, 0x60
	s_add_i32 s10, s8, 40
	scratch_load_dwordx2 v[4:5], off, s9
	scratch_load_dwordx2 v[8:9], off, s10
	s_add_i32 s9, s8, 0
	s_add_i32 s8, s8, 8
	s_cmp_lg_u32 s8, 16
	s_waitcnt vmcnt(0)
	v_add_u32_e32 v5, v9, v5
	v_add_u32_e32 v4, v8, v4
	scratch_store_dwordx2 off, v[4:5], s9
	s_cbranch_scc1 .LBB2087_611
; %bb.612:
	scratch_load_dwordx4 v[8:11], off, off
	s_waitcnt vmcnt(0)
	v_mov_b32_e32 v4, v9
	v_mov_b32_e32 v5, v10
.LBB2087_613:
	s_or_b64 exec, exec, s[4:5]
	s_add_i32 s8, s33, 64
	v_and_b32_e32 v9, 1, v13
	s_mul_i32 s4, s8, 20
	v_and_b32_e32 v10, 1, v12
	v_cmp_eq_u32_e32 vcc, 1, v9
	s_mul_hi_u32 s5, s8, 20
	s_add_u32 s4, s54, s4
	v_cndmask_b32_e64 v9, v10, 1, vcc
	s_addc_u32 s5, s55, s5
	v_mov_b32_e32 v10, 0
	global_store_dword v10, v8, s[4:5] sc1
	global_store_dword v10, v4, s[4:5] offset:4 sc1
	global_store_dword v10, v5, s[4:5] offset:8 sc1
	;; [unrolled: 1-line block ×4, first 2 shown]
	v_mov_b32_e32 v4, s8
	v_mov_b32_e32 v5, 2
	s_waitcnt vmcnt(0) lgkmcnt(0)
	global_store_byte v4, v5, s[56:57] sc1
.LBB2087_614:
	s_or_b64 exec, exec, s[0:1]
	s_and_b64 exec, exec, s[50:51]
	s_cbranch_execz .LBB2087_616
; %bb.615:
	v_mov_b32_e32 v4, 0
	ds_write_b128 v4, v[0:3]
	ds_write_b8 v4, v12 offset:16
.LBB2087_616:
	s_or_b64 exec, exec, s[6:7]
	s_waitcnt lgkmcnt(0)
	s_barrier
	scratch_load_dwordx4 v[0:3], off, off offset:464
	scratch_load_dword v4, off, off offset:480
	v_mov_b32_e32 v5, 0
	ds_read_b128 v[8:11], v5
	ds_read_b32 v5, v5 offset:16
	s_waitcnt lgkmcnt(1)
	scratch_store_dwordx4 off, v[8:11], off offset:96
	s_waitcnt lgkmcnt(0)
	scratch_store_dword off, v5, off offset:112
	scratch_store_dwordx4 off, v[8:11], off offset:20
	s_waitcnt vmcnt(4)
	scratch_store_dwordx4 off, v[0:3], off
	s_waitcnt vmcnt(4)
	scratch_store_dword off, v4, off offset:16
	scratch_store_dword off, v5, off offset:36
                                        ; implicit-def: $vgpr4
	s_and_saveexec_b64 s[0:1], s[2:3]
	s_xor_b64 s[0:1], exec, s[0:1]
	s_cbranch_execz .LBB2087_626
; %bb.617:
	scratch_load_ubyte v4, off, off offset:76
                                        ; implicit-def: $vgpr2_vgpr3
	s_waitcnt vmcnt(0)
	v_cmp_ne_u16_e32 vcc, 0, v4
	s_and_saveexec_b64 s[4:5], vcc
	s_xor_b64 s[4:5], exec, s[4:5]
	s_cbranch_execz .LBB2087_619
; %bb.618:
	scratch_load_dwordx4 v[0:3], off, off offset:60
.LBB2087_619:
	s_andn2_saveexec_b64 s[4:5], s[4:5]
	s_cbranch_execz .LBB2087_625
; %bb.620:
	s_waitcnt vmcnt(0)
	v_mov_b32_e32 v0, 0
	s_mov_b32 s6, 0
	v_mov_b32_e32 v1, v0
.LBB2087_621:                           ; =>This Inner Loop Header: Depth=1
	s_add_i32 s7, s6, 40
	s_add_i32 s6, s6, 8
	s_cmp_lg_u32 s6, 16
	scratch_store_dwordx2 off, v[0:1], s7
	s_cbranch_scc1 .LBB2087_621
; %bb.622:
	s_mov_b32 s6, 0
.LBB2087_623:                           ; =>This Inner Loop Header: Depth=1
	s_add_i32 s7, s6, 0x60
	s_add_i32 s8, s6, 60
	scratch_load_dwordx2 v[0:1], off, s7
	scratch_load_dwordx2 v[2:3], off, s8
	s_add_i32 s7, s6, 40
	s_add_i32 s6, s6, 8
	s_cmp_lg_u32 s6, 16
	s_waitcnt vmcnt(0)
	v_add_u32_e32 v1, v3, v1
	v_add_u32_e32 v0, v2, v0
	scratch_store_dwordx2 off, v[0:1], s7
	s_cbranch_scc1 .LBB2087_623
; %bb.624:
	scratch_load_dwordx4 v[0:3], off, off offset:40
.LBB2087_625:
	s_or_b64 exec, exec, s[4:5]
	v_or_b32_e32 v4, v4, v5
	v_and_b32_e32 v4, 1, v4
	s_waitcnt vmcnt(0)
	scratch_store_dwordx4 off, v[0:3], off offset:20
	scratch_store_byte off, v4, off offset:36
.LBB2087_626:
	s_andn2_saveexec_b64 s[0:1], s[0:1]
	s_cbranch_execz .LBB2087_628
; %bb.627:
	scratch_load_ubyte v4, off, off offset:36
.LBB2087_628:
	s_or_b64 exec, exec, s[0:1]
	scratch_load_dwordx4 v[0:3], off, off offset:20
	scratch_load_ubyte v8, off, off offset:16
	s_waitcnt vmcnt(2)
	scratch_store_byte off, v4, off offset:480
	s_waitcnt vmcnt(2)
	scratch_store_dwordx4 off, v[0:3], off offset:464
	s_waitcnt vmcnt(2)
	v_cmp_ne_u16_e32 vcc, 0, v8
                                        ; implicit-def: $vgpr2_vgpr3
	s_and_saveexec_b64 s[0:1], vcc
	s_xor_b64 s[0:1], exec, s[0:1]
	s_cbranch_execz .LBB2087_630
; %bb.629:
	scratch_load_dwordx4 v[0:3], off, off
.LBB2087_630:
	s_andn2_saveexec_b64 s[0:1], s[0:1]
	s_cbranch_execz .LBB2087_636
; %bb.631:
	s_waitcnt vmcnt(0)
	v_mov_b32_e32 v0, 0
	s_mov_b32 s4, 0
	v_mov_b32_e32 v1, v0
.LBB2087_632:                           ; =>This Inner Loop Header: Depth=1
	s_add_i32 s5, s4, 40
	s_add_i32 s4, s4, 8
	s_cmp_lg_u32 s4, 16
	scratch_store_dwordx2 off, v[0:1], s5
	s_cbranch_scc1 .LBB2087_632
; %bb.633:
	s_mov_b32 s4, 0
.LBB2087_634:                           ; =>This Inner Loop Header: Depth=1
	s_add_i32 s5, s4, 20
	s_add_i32 s6, s4, 0
	scratch_load_dwordx2 v[0:1], off, s5
	scratch_load_dwordx2 v[2:3], off, s6
	s_add_i32 s5, s4, 40
	s_add_i32 s4, s4, 8
	s_cmp_lg_u32 s4, 16
	s_waitcnt vmcnt(0)
	v_add_u32_e32 v1, v3, v1
	v_add_u32_e32 v0, v2, v0
	scratch_store_dwordx2 off, v[0:1], s5
	s_cbranch_scc1 .LBB2087_634
; %bb.635:
	scratch_load_dwordx4 v[0:3], off, off offset:40
.LBB2087_636:
	s_or_b64 exec, exec, s[0:1]
	scratch_load_dwordx4 v[10:13], v46, off
	scratch_load_ubyte v5, off, off offset:500
	v_or_b32_e32 v4, v8, v4
	s_waitcnt vmcnt(2)
	scratch_store_dwordx4 off, v[0:3], off offset:20
	scratch_store_dwordx4 v46, v[0:3], off
                                        ; implicit-def: $vgpr2_vgpr3
	s_waitcnt vmcnt(2)
	v_cmp_ne_u16_e64 s[0:1], 0, v5
	v_and_b32_e32 v0, 1, v4
	v_cmp_eq_u32_e32 vcc, 1, v0
	scratch_store_byte off, v0, off offset:500
	scratch_store_dwordx4 off, v[10:13], off
	s_and_saveexec_b64 s[4:5], s[0:1]
	s_xor_b64 s[0:1], exec, s[4:5]
	s_cbranch_execz .LBB2087_638
; %bb.637:
	scratch_load_dwordx4 v[0:3], off, off
.LBB2087_638:
	s_andn2_saveexec_b64 s[0:1], s[0:1]
	s_cbranch_execz .LBB2087_644
; %bb.639:
	s_waitcnt vmcnt(0)
	v_mov_b32_e32 v0, 0
	s_mov_b32 s4, 0
	v_mov_b32_e32 v1, v0
.LBB2087_640:                           ; =>This Inner Loop Header: Depth=1
	s_add_i32 s5, s4, 40
	s_add_i32 s4, s4, 8
	s_cmp_lg_u32 s4, 16
	scratch_store_dwordx2 off, v[0:1], s5
	s_cbranch_scc1 .LBB2087_640
; %bb.641:
	s_mov_b32 s4, 0
.LBB2087_642:                           ; =>This Inner Loop Header: Depth=1
	s_add_i32 s5, s4, 20
	s_add_i32 s6, s4, 0
	scratch_load_dwordx2 v[0:1], off, s5
	scratch_load_dwordx2 v[2:3], off, s6
	s_add_i32 s5, s4, 40
	s_add_i32 s4, s4, 8
	s_cmp_lg_u32 s4, 16
	s_waitcnt vmcnt(0)
	v_add_u32_e32 v1, v3, v1
	v_add_u32_e32 v0, v2, v0
	scratch_store_dwordx2 off, v[0:1], s5
	s_cbranch_scc1 .LBB2087_642
; %bb.643:
	scratch_load_dwordx4 v[0:3], off, off offset:40
.LBB2087_644:
	s_or_b64 exec, exec, s[0:1]
	scratch_load_dwordx4 v[8:11], v45, off
	scratch_load_ubyte v4, off, off offset:520
	v_and_b32_e32 v5, 1, v5
	v_cmp_eq_u32_e64 s[0:1], 1, v5
	s_or_b64 s[0:1], s[0:1], vcc
	s_waitcnt vmcnt(2)
	scratch_store_dwordx4 off, v[0:3], off offset:20
	scratch_store_dwordx4 v45, v[0:3], off
                                        ; implicit-def: $vgpr2_vgpr3
	s_waitcnt vmcnt(2)
	v_cmp_ne_u16_e32 vcc, 0, v4
	v_cndmask_b32_e64 v0, 0, 1, s[0:1]
	scratch_store_byte off, v0, off offset:520
	scratch_store_dwordx4 off, v[8:11], off
	s_and_saveexec_b64 s[4:5], vcc
	s_xor_b64 s[4:5], exec, s[4:5]
	s_cbranch_execz .LBB2087_646
; %bb.645:
	scratch_load_dwordx4 v[0:3], off, off
.LBB2087_646:
	s_andn2_saveexec_b64 s[4:5], s[4:5]
	s_cbranch_execz .LBB2087_652
; %bb.647:
	s_waitcnt vmcnt(0)
	v_mov_b32_e32 v0, 0
	s_mov_b32 s6, 0
	v_mov_b32_e32 v1, v0
.LBB2087_648:                           ; =>This Inner Loop Header: Depth=1
	s_add_i32 s7, s6, 40
	s_add_i32 s6, s6, 8
	s_cmp_lg_u32 s6, 16
	scratch_store_dwordx2 off, v[0:1], s7
	s_cbranch_scc1 .LBB2087_648
; %bb.649:
	s_mov_b32 s6, 0
.LBB2087_650:                           ; =>This Inner Loop Header: Depth=1
	s_add_i32 s7, s6, 20
	s_add_i32 s8, s6, 0
	scratch_load_dwordx2 v[0:1], off, s7
	scratch_load_dwordx2 v[2:3], off, s8
	s_add_i32 s7, s6, 40
	s_add_i32 s6, s6, 8
	s_cmp_lg_u32 s6, 16
	s_waitcnt vmcnt(0)
	v_add_u32_e32 v1, v3, v1
	v_add_u32_e32 v0, v2, v0
	scratch_store_dwordx2 off, v[0:1], s7
	s_cbranch_scc1 .LBB2087_650
; %bb.651:
	scratch_load_dwordx4 v[0:3], off, off offset:40
.LBB2087_652:
	s_or_b64 exec, exec, s[4:5]
	scratch_load_dwordx4 v[8:11], v44, off
	scratch_load_ubyte v5, off, off offset:540
	v_and_b32_e32 v4, 1, v4
	v_cmp_eq_u32_e32 vcc, 1, v4
	s_or_b64 s[0:1], vcc, s[0:1]
	s_waitcnt vmcnt(2)
	scratch_store_dwordx4 off, v[0:3], off offset:20
	scratch_store_dwordx4 v44, v[0:3], off
                                        ; implicit-def: $vgpr2_vgpr3
	s_waitcnt vmcnt(2)
	v_cmp_ne_u16_e32 vcc, 0, v5
	v_cndmask_b32_e64 v0, 0, 1, s[0:1]
	scratch_store_byte off, v0, off offset:540
	scratch_store_dwordx4 off, v[8:11], off
	s_and_saveexec_b64 s[4:5], vcc
	s_xor_b64 s[4:5], exec, s[4:5]
	s_cbranch_execz .LBB2087_654
; %bb.653:
	scratch_load_dwordx4 v[0:3], off, off
.LBB2087_654:
	s_andn2_saveexec_b64 s[4:5], s[4:5]
	s_cbranch_execz .LBB2087_660
; %bb.655:
	s_waitcnt vmcnt(0)
	v_mov_b32_e32 v0, 0
	s_mov_b32 s6, 0
	v_mov_b32_e32 v1, v0
.LBB2087_656:                           ; =>This Inner Loop Header: Depth=1
	s_add_i32 s7, s6, 40
	s_add_i32 s6, s6, 8
	s_cmp_lg_u32 s6, 16
	scratch_store_dwordx2 off, v[0:1], s7
	s_cbranch_scc1 .LBB2087_656
; %bb.657:
	s_mov_b32 s6, 0
.LBB2087_658:                           ; =>This Inner Loop Header: Depth=1
	s_add_i32 s7, s6, 20
	s_add_i32 s8, s6, 0
	scratch_load_dwordx2 v[0:1], off, s7
	scratch_load_dwordx2 v[2:3], off, s8
	s_add_i32 s7, s6, 40
	s_add_i32 s6, s6, 8
	s_cmp_lg_u32 s6, 16
	s_waitcnt vmcnt(0)
	v_add_u32_e32 v1, v3, v1
	v_add_u32_e32 v0, v2, v0
	scratch_store_dwordx2 off, v[0:1], s7
	s_cbranch_scc1 .LBB2087_658
; %bb.659:
	scratch_load_dwordx4 v[0:3], off, off offset:40
.LBB2087_660:
	s_or_b64 exec, exec, s[4:5]
	scratch_load_dwordx4 v[8:11], v43, off
	scratch_load_ubyte v4, off, off offset:560
	v_and_b32_e32 v5, 1, v5
	v_cmp_eq_u32_e32 vcc, 1, v5
	s_or_b64 s[0:1], vcc, s[0:1]
	;; [unrolled: 52-line block ×19, first 2 shown]
	s_waitcnt vmcnt(2)
	scratch_store_dwordx4 off, v[0:3], off offset:20
	scratch_store_dwordx4 v26, v[0:3], off
                                        ; implicit-def: $vgpr2_vgpr3
	s_waitcnt vmcnt(2)
	v_cmp_ne_u16_e32 vcc, 0, v5
	v_cndmask_b32_e64 v0, 0, 1, s[0:1]
	scratch_store_byte off, v0, off offset:900
	scratch_store_dwordx4 off, v[8:11], off
	s_and_saveexec_b64 s[4:5], vcc
	s_xor_b64 s[4:5], exec, s[4:5]
	s_cbranch_execz .LBB2087_798
; %bb.797:
	scratch_load_dwordx4 v[0:3], off, off
.LBB2087_798:
	s_andn2_saveexec_b64 s[4:5], s[4:5]
	s_cbranch_execz .LBB2087_804
; %bb.799:
	s_waitcnt vmcnt(0)
	v_mov_b32_e32 v0, 0
	s_mov_b32 s6, 0
	v_mov_b32_e32 v1, v0
.LBB2087_800:                           ; =>This Inner Loop Header: Depth=1
	s_add_i32 s7, s6, 40
	s_add_i32 s6, s6, 8
	s_cmp_lg_u32 s6, 16
	scratch_store_dwordx2 off, v[0:1], s7
	s_cbranch_scc1 .LBB2087_800
; %bb.801:
	s_mov_b32 s6, 0
.LBB2087_802:                           ; =>This Inner Loop Header: Depth=1
	s_add_i32 s7, s6, 20
	s_add_i32 s8, s6, 0
	scratch_load_dwordx2 v[0:1], off, s7
	scratch_load_dwordx2 v[2:3], off, s8
	s_add_i32 s7, s6, 40
	s_add_i32 s6, s6, 8
	s_cmp_lg_u32 s6, 16
	s_waitcnt vmcnt(0)
	v_add_u32_e32 v1, v3, v1
	v_add_u32_e32 v0, v2, v0
	scratch_store_dwordx2 off, v[0:1], s7
	s_cbranch_scc1 .LBB2087_802
; %bb.803:
	scratch_load_dwordx4 v[0:3], off, off offset:40
.LBB2087_804:
	s_or_b64 exec, exec, s[4:5]
	v_and_b32_e32 v4, 1, v5
	v_cmp_eq_u32_e32 vcc, 1, v4
	s_or_b64 s[0:1], vcc, s[0:1]
	v_cndmask_b32_e64 v4, 0, 1, s[0:1]
	s_waitcnt vmcnt(0)
	scratch_store_dwordx4 v6, v[0:3], off
	scratch_store_byte off, v4, off offset:920
	s_branch .LBB2087_1283
.LBB2087_805:
	s_cbranch_execz .LBB2087_1283
; %bb.806:
	s_cmp_lg_u64 s[76:77], 0
	s_cselect_b32 s1, s71, 0
	s_cselect_b32 s0, s70, 0
	s_cmp_eq_u64 s[0:1], 0
	v_mov_b64_e32 v[0:1], s[72:73]
	v_mov_b64_e32 v[2:3], s[74:75]
	s_cbranch_scc1 .LBB2087_808
; %bb.807:
	v_mov_b32_e32 v0, 0
	global_load_dwordx4 v[0:3], v0, s[0:1]
.LBB2087_808:
	v_mov_b32_e32 v8, 0
	s_mov_b32 s0, 0
	v_mov_b32_e32 v9, v8
	v_mov_b32_e32 v10, v8
	;; [unrolled: 1-line block ×3, first 2 shown]
	scratch_store_dword off, v8, off offset:940
	scratch_store_dwordx4 off, v[8:11], off offset:924
.LBB2087_809:                           ; =>This Inner Loop Header: Depth=1
	s_add_i32 s1, s0, 0x39c
	s_add_i32 s0, s0, 8
	s_cmp_lg_u32 s0, 16
	scratch_store_dwordx2 off, v[8:9], s1
	s_cbranch_scc1 .LBB2087_809
; %bb.810:
	scratch_load_dwordx4 v[8:11], off, off offset:464
	scratch_load_dword v12, off, off offset:480
	scratch_load_ubyte v13, off, off offset:500
	v_mov_b32_e32 v4, 0
	s_waitcnt vmcnt(6)
	scratch_store_dwordx4 off, v[0:3], off offset:60
	scratch_store_byte off, v4, off offset:940
	scratch_store_byte off, v4, off offset:76
	s_waitcnt vmcnt(5)
	scratch_store_dwordx4 off, v[8:11], off offset:40
	s_waitcnt vmcnt(5)
	scratch_store_dword off, v12, off offset:56
	s_waitcnt vmcnt(5)
	v_cmp_ne_u16_e32 vcc, 0, v13
                                        ; implicit-def: $vgpr10_vgpr11
	s_and_saveexec_b64 s[0:1], vcc
	s_xor_b64 s[0:1], exec, s[0:1]
	s_cbranch_execz .LBB2087_812
; %bb.811:
	scratch_load_dwordx4 v[8:11], off, off offset:484
.LBB2087_812:
	s_andn2_saveexec_b64 s[0:1], s[0:1]
	s_cbranch_execz .LBB2087_818
; %bb.813:
	v_mov_b32_e32 v4, 0
	s_mov_b32 s4, 0
	v_mov_b32_e32 v5, v4
.LBB2087_814:                           ; =>This Inner Loop Header: Depth=1
	s_add_i32 s5, s4, 0x60
	s_add_i32 s4, s4, 8
	s_cmp_lg_u32 s4, 16
	scratch_store_dwordx2 off, v[4:5], s5
	s_cbranch_scc1 .LBB2087_814
; %bb.815:
	s_mov_b32 s4, 0
.LBB2087_816:                           ; =>This Inner Loop Header: Depth=1
	s_add_i32 s5, s4, 40
	s_waitcnt vmcnt(1)
	v_add_u32_e32 v10, s4, v46
	scratch_load_dwordx2 v[4:5], off, s5
	scratch_load_dwordx2 v[8:9], v10, off
	s_add_i32 s5, s4, 0x60
	s_add_i32 s4, s4, 8
	s_cmp_lg_u32 s4, 16
	s_waitcnt vmcnt(0)
	v_add_u32_e32 v5, v9, v5
	v_add_u32_e32 v4, v8, v4
	scratch_store_dwordx2 off, v[4:5], s5
	s_cbranch_scc1 .LBB2087_816
; %bb.817:
	scratch_load_dwordx4 v[8:11], off, off offset:96
.LBB2087_818:
	s_or_b64 exec, exec, s[0:1]
	scratch_load_ubyte v14, off, off offset:520
	s_waitcnt vmcnt(0)
	v_cmp_ne_u16_e32 vcc, 0, v14
	scratch_store_dwordx4 off, v[8:11], off offset:40
                                        ; implicit-def: $vgpr10_vgpr11
	s_and_saveexec_b64 s[0:1], vcc
	s_xor_b64 s[0:1], exec, s[0:1]
	s_cbranch_execz .LBB2087_820
; %bb.819:
	scratch_load_dwordx4 v[8:11], off, off offset:504
.LBB2087_820:
	s_andn2_saveexec_b64 s[0:1], s[0:1]
	s_cbranch_execz .LBB2087_826
; %bb.821:
	v_mov_b32_e32 v4, 0
	s_mov_b32 s4, 0
	v_mov_b32_e32 v5, v4
.LBB2087_822:                           ; =>This Inner Loop Header: Depth=1
	s_add_i32 s5, s4, 0x60
	s_add_i32 s4, s4, 8
	s_cmp_lg_u32 s4, 16
	scratch_store_dwordx2 off, v[4:5], s5
	s_cbranch_scc1 .LBB2087_822
; %bb.823:
	s_mov_b32 s4, 0
.LBB2087_824:                           ; =>This Inner Loop Header: Depth=1
	s_add_i32 s5, s4, 40
	s_waitcnt vmcnt(1)
	v_add_u32_e32 v10, s4, v45
	scratch_load_dwordx2 v[4:5], off, s5
	scratch_load_dwordx2 v[8:9], v10, off
	s_add_i32 s5, s4, 0x60
	s_add_i32 s4, s4, 8
	s_cmp_lg_u32 s4, 16
	s_waitcnt vmcnt(0)
	v_add_u32_e32 v5, v9, v5
	v_add_u32_e32 v4, v8, v4
	scratch_store_dwordx2 off, v[4:5], s5
	s_cbranch_scc1 .LBB2087_824
; %bb.825:
	scratch_load_dwordx4 v[8:11], off, off offset:96
.LBB2087_826:
	s_or_b64 exec, exec, s[0:1]
	scratch_load_ubyte v15, off, off offset:540
	s_waitcnt vmcnt(0)
	v_cmp_ne_u16_e32 vcc, 0, v15
	scratch_store_dwordx4 off, v[8:11], off offset:40
	;; [unrolled: 43-line block ×21, first 2 shown]
                                        ; implicit-def: $vgpr10_vgpr11
	s_and_saveexec_b64 s[0:1], vcc
	s_xor_b64 s[0:1], exec, s[0:1]
	s_cbranch_execz .LBB2087_980
; %bb.979:
	scratch_load_dwordx4 v[8:11], off, off offset:904
.LBB2087_980:
	s_andn2_saveexec_b64 s[0:1], s[0:1]
	s_cbranch_execz .LBB2087_986
; %bb.981:
	v_mov_b32_e32 v4, 0
	s_mov_b32 s4, 0
	v_mov_b32_e32 v5, v4
.LBB2087_982:                           ; =>This Inner Loop Header: Depth=1
	s_add_i32 s5, s4, 0x60
	s_add_i32 s4, s4, 8
	s_cmp_lg_u32 s4, 16
	scratch_store_dwordx2 off, v[4:5], s5
	s_cbranch_scc1 .LBB2087_982
; %bb.983:
	s_mov_b32 s4, 0
.LBB2087_984:                           ; =>This Inner Loop Header: Depth=1
	s_add_i32 s5, s4, 40
	s_waitcnt vmcnt(1)
	v_add_u32_e32 v10, s4, v6
	scratch_load_dwordx2 v[4:5], off, s5
	scratch_load_dwordx2 v[8:9], v10, off
	s_add_i32 s5, s4, 0x60
	s_add_i32 s4, s4, 8
	s_cmp_lg_u32 s4, 16
	s_waitcnt vmcnt(0)
	v_add_u32_e32 v5, v9, v5
	v_add_u32_e32 v4, v8, v4
	scratch_store_dwordx2 off, v[4:5], s5
	s_cbranch_scc1 .LBB2087_984
; %bb.985:
	scratch_load_dwordx4 v[8:11], off, off offset:96
.LBB2087_986:
	s_or_b64 exec, exec, s[0:1]
	v_or_b32_e32 v4, v55, v54
	v_or_b32_e32 v4, v4, v53
	;; [unrolled: 1-line block ×22, first 2 shown]
	v_and_b32_e32 v17, 1, v4
	v_mov_b32_e32 v4, 0
	s_waitcnt vmcnt(0)
	scratch_store_dwordx4 off, v[8:11], off offset:40
	scratch_store_byte off, v17, off offset:56
	scratch_store_dwordx4 off, v[0:3], off offset:20
	scratch_store_byte off, v4, off offset:36
	v_lshrrev_b32_e32 v4, 5, v7
	v_add_u32_e32 v4, v4, v7
	v_mul_u32_u24_e32 v4, 20, v4
	v_cmp_gt_u32_e32 vcc, 64, v7
	ds_write2_b32 v4, v8, v9 offset1:1
	ds_write2_b32 v4, v10, v11 offset0:2 offset1:3
	ds_write_b8 v4, v17 offset:16
	s_waitcnt lgkmcnt(0)
	s_barrier
	s_and_saveexec_b64 s[0:1], vcc
	s_xor_b64 s[4:5], exec, s[0:1]
	s_cbranch_execz .LBB2087_1062
; %bb.987:
	v_lshrrev_b32_e32 v4, 4, v7
	v_lshl_add_u32 v4, v7, 1, v4
	v_mul_u32_u24_e32 v18, 20, v4
	ds_read_u8 v19, v18 offset:36
	ds_read_b32 v5, v18 offset:16
	ds_read2_b32 v[14:15], v18 offset0:2 offset1:3
	ds_read2_b32 v[12:13], v18 offset1:1
	v_mad_u32_u24 v16, v4, 20, 20
	s_waitcnt lgkmcnt(3)
	v_cmp_ne_u16_e32 vcc, 0, v19
	s_waitcnt lgkmcnt(2)
	scratch_store_dword off, v5, off offset:16
	s_waitcnt lgkmcnt(0)
	scratch_store_dwordx4 off, v[12:15], off
                                        ; implicit-def: $vgpr12_vgpr13
	s_and_saveexec_b64 s[0:1], vcc
	s_xor_b64 s[0:1], exec, s[0:1]
	s_cbranch_execz .LBB2087_989
; %bb.988:
	ds_read2_b32 v[12:13], v16 offset1:1
	ds_read2_b32 v[14:15], v16 offset0:2 offset1:3
.LBB2087_989:
	s_andn2_saveexec_b64 s[0:1], s[0:1]
	s_cbranch_execz .LBB2087_995
; %bb.990:
	v_mov_b32_e32 v4, 0
	s_mov_b32 s6, 0
	v_mov_b32_e32 v5, v4
.LBB2087_991:                           ; =>This Inner Loop Header: Depth=1
	s_add_i32 s7, s6, 0x60
	s_add_i32 s6, s6, 8
	s_cmp_lg_u32 s6, 16
	scratch_store_dwordx2 off, v[4:5], s7
	s_cbranch_scc1 .LBB2087_991
; %bb.992:
	s_mov_b32 s6, 0
.LBB2087_993:                           ; =>This Inner Loop Header: Depth=1
	s_add_i32 s7, s6, 0
	scratch_load_dwordx2 v[4:5], off, s7
	s_waitcnt lgkmcnt(1)
	v_add_u32_e32 v12, s6, v16
	ds_read2_b32 v[12:13], v12 offset1:1
	s_add_i32 s7, s6, 0x60
	s_add_i32 s6, s6, 8
	s_cmp_lg_u32 s6, 16
	s_waitcnt vmcnt(0) lgkmcnt(0)
	v_add_u32_e32 v5, v13, v5
	v_add_u32_e32 v4, v12, v4
	scratch_store_dwordx2 off, v[4:5], s7
	s_cbranch_scc1 .LBB2087_993
; %bb.994:
	scratch_load_dwordx4 v[12:15], off, off offset:96
.LBB2087_995:
	s_or_b64 exec, exec, s[0:1]
	scratch_load_ubyte v4, off, off offset:16
	s_waitcnt vmcnt(1) lgkmcnt(1)
	v_mov_b32_dpp v22, v12 row_shr:1 row_mask:0xf bank_mask:0xf
	v_mov_b32_dpp v23, v13 row_shr:1 row_mask:0xf bank_mask:0xf
	s_waitcnt lgkmcnt(0)
	v_mov_b32_dpp v24, v14 row_shr:1 row_mask:0xf bank_mask:0xf
	v_mov_b32_dpp v25, v15 row_shr:1 row_mask:0xf bank_mask:0xf
	scratch_store_dwordx4 off, v[22:25], off offset:96
	scratch_store_dwordx4 off, v[12:15], off
	s_waitcnt vmcnt(2)
	v_or_b32_e32 v4, v19, v4
	v_and_b32_e32 v4, 1, v4
	scratch_store_byte off, v4, off offset:16
	scratch_load_dword v20, off, off offset:16
	v_mbcnt_lo_u32_b32 v4, -1, 0
	v_mbcnt_hi_u32_b32 v19, -1, v4
	v_and_b32_e32 v21, 15, v19
	v_cmp_ne_u32_e32 vcc, 0, v21
	s_waitcnt vmcnt(0)
	v_mov_b32_dpp v22, v20 row_shr:1 row_mask:0xf bank_mask:0xf
	scratch_store_dword off, v22, off offset:112
	s_and_saveexec_b64 s[0:1], vcc
	s_cbranch_execz .LBB2087_1003
; %bb.996:
	v_mov_b32_e32 v4, 0
	v_cmp_eq_u16_sdwa s[8:9], v20, v4 src0_sel:BYTE_0 src1_sel:DWORD
	s_and_saveexec_b64 s[6:7], s[8:9]
	s_cbranch_execz .LBB2087_1002
; %bb.997:
	s_mov_b32 s8, 0
	v_mov_b32_e32 v5, v4
.LBB2087_998:                           ; =>This Inner Loop Header: Depth=1
	s_add_i32 s9, s8, 0x50
	s_add_i32 s8, s8, 8
	s_cmp_lg_u32 s8, 16
	scratch_store_dwordx2 off, v[4:5], s9
	s_cbranch_scc1 .LBB2087_998
; %bb.999:
	s_mov_b32 s8, 0
.LBB2087_1000:                          ; =>This Inner Loop Header: Depth=1
	s_add_i32 s9, s8, 0x60
	s_add_i32 s10, s8, 0
	scratch_load_dwordx2 v[4:5], off, s9
	scratch_load_dwordx2 v[12:13], off, s10
	s_add_i32 s9, s8, 0x50
	s_add_i32 s8, s8, 8
	s_cmp_lg_u32 s8, 16
	s_waitcnt vmcnt(0)
	v_add_u32_e32 v5, v13, v5
	v_add_u32_e32 v4, v12, v4
	scratch_store_dwordx2 off, v[4:5], s9
	s_cbranch_scc1 .LBB2087_1000
; %bb.1001:
	scratch_load_dwordx4 v[12:15], off, off offset:80
.LBB2087_1002:
	s_or_b64 exec, exec, s[6:7]
	v_or_b32_e32 v4, v22, v20
	v_and_b32_e32 v4, 1, v4
	scratch_store_byte off, v4, off offset:16
	scratch_load_dword v20, off, off offset:16
	s_waitcnt vmcnt(2)
	scratch_store_dwordx4 off, v[12:15], off
.LBB2087_1003:
	s_or_b64 exec, exec, s[0:1]
	v_mov_b32_dpp v48, v12 row_shr:2 row_mask:0xf bank_mask:0xf
	v_mov_b32_dpp v49, v13 row_shr:2 row_mask:0xf bank_mask:0xf
	v_mov_b32_dpp v50, v14 row_shr:2 row_mask:0xf bank_mask:0xf
	v_mov_b32_dpp v51, v15 row_shr:2 row_mask:0xf bank_mask:0xf
	s_waitcnt vmcnt(1)
	v_mov_b32_dpp v22, v20 row_shr:2 row_mask:0xf bank_mask:0xf
	v_cmp_lt_u32_e32 vcc, 1, v21
	scratch_store_dwordx4 off, v[48:51], off offset:96
	scratch_store_dword off, v22, off offset:112
	s_and_saveexec_b64 s[6:7], vcc
	s_cbranch_execz .LBB2087_1011
; %bb.1004:
	v_mov_b32_e32 v4, 0
	s_mov_b32 s8, 0
	v_cmp_eq_u16_sdwa s[10:11], v20, v4 src0_sel:BYTE_0 src1_sel:DWORD
	s_and_saveexec_b64 s[0:1], s[10:11]
	s_cbranch_execz .LBB2087_1010
; %bb.1005:
	v_mov_b32_e32 v5, v4
.LBB2087_1006:                          ; =>This Inner Loop Header: Depth=1
	s_add_i32 s9, s8, 0x50
	s_add_i32 s8, s8, 8
	s_cmp_lg_u32 s8, 16
	scratch_store_dwordx2 off, v[4:5], s9
	s_cbranch_scc1 .LBB2087_1006
; %bb.1007:
	s_mov_b32 s8, 0
.LBB2087_1008:                          ; =>This Inner Loop Header: Depth=1
	s_add_i32 s9, s8, 0x60
	s_add_i32 s10, s8, 0
	scratch_load_dwordx2 v[4:5], off, s9
	scratch_load_dwordx2 v[12:13], off, s10
	s_add_i32 s9, s8, 0x50
	s_add_i32 s8, s8, 8
	s_cmp_lg_u32 s8, 16
	s_waitcnt vmcnt(0)
	v_add_u32_e32 v5, v13, v5
	v_add_u32_e32 v4, v12, v4
	scratch_store_dwordx2 off, v[4:5], s9
	s_cbranch_scc1 .LBB2087_1008
; %bb.1009:
	scratch_load_dwordx4 v[12:15], off, off offset:80
.LBB2087_1010:
	s_or_b64 exec, exec, s[0:1]
	v_and_b32_e32 v4, 1, v20
	v_cmp_eq_u32_e32 vcc, 1, v4
	v_and_b32_e32 v4, 1, v22
	v_cmp_eq_u32_e64 s[0:1], 1, v4
	s_or_b64 s[0:1], vcc, s[0:1]
	s_waitcnt vmcnt(0)
	scratch_store_dwordx4 off, v[12:15], off
	v_cndmask_b32_e64 v4, 0, 1, s[0:1]
	scratch_store_byte off, v4, off offset:16
	scratch_load_dword v20, off, off offset:16
.LBB2087_1011:
	s_or_b64 exec, exec, s[6:7]
	v_mov_b32_dpp v48, v12 row_shr:4 row_mask:0xf bank_mask:0xf
	v_mov_b32_dpp v49, v13 row_shr:4 row_mask:0xf bank_mask:0xf
	v_mov_b32_dpp v50, v14 row_shr:4 row_mask:0xf bank_mask:0xf
	v_mov_b32_dpp v51, v15 row_shr:4 row_mask:0xf bank_mask:0xf
	s_waitcnt vmcnt(0)
	v_mov_b32_dpp v22, v20 row_shr:4 row_mask:0xf bank_mask:0xf
	v_cmp_lt_u32_e32 vcc, 3, v21
	scratch_store_dwordx4 off, v[48:51], off offset:96
	scratch_store_dword off, v22, off offset:112
	s_and_saveexec_b64 s[6:7], vcc
	s_cbranch_execz .LBB2087_1019
; %bb.1012:
	v_mov_b32_e32 v4, 0
	s_mov_b32 s8, 0
	v_cmp_eq_u16_sdwa s[10:11], v20, v4 src0_sel:BYTE_0 src1_sel:DWORD
	s_and_saveexec_b64 s[0:1], s[10:11]
	s_cbranch_execz .LBB2087_1018
; %bb.1013:
	v_mov_b32_e32 v5, v4
.LBB2087_1014:                          ; =>This Inner Loop Header: Depth=1
	s_add_i32 s9, s8, 0x50
	s_add_i32 s8, s8, 8
	s_cmp_lg_u32 s8, 16
	scratch_store_dwordx2 off, v[4:5], s9
	s_cbranch_scc1 .LBB2087_1014
; %bb.1015:
	s_mov_b32 s8, 0
.LBB2087_1016:                          ; =>This Inner Loop Header: Depth=1
	s_add_i32 s9, s8, 0x60
	s_add_i32 s10, s8, 0
	scratch_load_dwordx2 v[4:5], off, s9
	scratch_load_dwordx2 v[12:13], off, s10
	s_add_i32 s9, s8, 0x50
	s_add_i32 s8, s8, 8
	s_cmp_lg_u32 s8, 16
	s_waitcnt vmcnt(0)
	v_add_u32_e32 v5, v13, v5
	v_add_u32_e32 v4, v12, v4
	scratch_store_dwordx2 off, v[4:5], s9
	s_cbranch_scc1 .LBB2087_1016
; %bb.1017:
	scratch_load_dwordx4 v[12:15], off, off offset:80
.LBB2087_1018:
	s_or_b64 exec, exec, s[0:1]
	v_and_b32_e32 v4, 1, v20
	v_cmp_eq_u32_e32 vcc, 1, v4
	v_and_b32_e32 v4, 1, v22
	v_cmp_eq_u32_e64 s[0:1], 1, v4
	s_or_b64 s[0:1], vcc, s[0:1]
	s_waitcnt vmcnt(0)
	scratch_store_dwordx4 off, v[12:15], off
	v_cndmask_b32_e64 v4, 0, 1, s[0:1]
	scratch_store_byte off, v4, off offset:16
	scratch_load_dword v20, off, off offset:16
.LBB2087_1019:
	;; [unrolled: 56-line block ×3, first 2 shown]
	s_or_b64 exec, exec, s[6:7]
	v_and_b32_e32 v4, 16, v19
	v_mov_b32_dpp v22, v12 row_bcast:15 row_mask:0xf bank_mask:0xf
	v_mov_b32_dpp v23, v13 row_bcast:15 row_mask:0xf bank_mask:0xf
	;; [unrolled: 1-line block ×4, first 2 shown]
	s_waitcnt vmcnt(0)
	v_mov_b32_dpp v21, v20 row_bcast:15 row_mask:0xf bank_mask:0xf
	v_cmp_ne_u32_e32 vcc, 0, v4
	scratch_store_dwordx4 off, v[22:25], off offset:96
	scratch_store_dword off, v21, off offset:112
	s_and_saveexec_b64 s[6:7], vcc
	s_cbranch_execz .LBB2087_1035
; %bb.1028:
	v_mov_b32_e32 v4, 0
	s_mov_b32 s8, 0
	v_cmp_eq_u16_sdwa s[10:11], v20, v4 src0_sel:BYTE_0 src1_sel:DWORD
	s_and_saveexec_b64 s[0:1], s[10:11]
	s_cbranch_execz .LBB2087_1034
; %bb.1029:
	v_mov_b32_e32 v5, v4
.LBB2087_1030:                          ; =>This Inner Loop Header: Depth=1
	s_add_i32 s9, s8, 0x50
	s_add_i32 s8, s8, 8
	s_cmp_lg_u32 s8, 16
	scratch_store_dwordx2 off, v[4:5], s9
	s_cbranch_scc1 .LBB2087_1030
; %bb.1031:
	s_mov_b32 s8, 0
.LBB2087_1032:                          ; =>This Inner Loop Header: Depth=1
	s_add_i32 s9, s8, 0x60
	s_add_i32 s10, s8, 0
	scratch_load_dwordx2 v[4:5], off, s9
	scratch_load_dwordx2 v[12:13], off, s10
	s_add_i32 s9, s8, 0x50
	s_add_i32 s8, s8, 8
	s_cmp_lg_u32 s8, 16
	s_waitcnt vmcnt(0)
	v_add_u32_e32 v5, v13, v5
	v_add_u32_e32 v4, v12, v4
	scratch_store_dwordx2 off, v[4:5], s9
	s_cbranch_scc1 .LBB2087_1032
; %bb.1033:
	scratch_load_dwordx4 v[12:15], off, off offset:80
.LBB2087_1034:
	s_or_b64 exec, exec, s[0:1]
	v_and_b32_e32 v4, 1, v20
	v_cmp_eq_u32_e32 vcc, 1, v4
	v_and_b32_e32 v4, 1, v21
	v_cmp_eq_u32_e64 s[0:1], 1, v4
	s_or_b64 s[0:1], vcc, s[0:1]
	s_waitcnt vmcnt(0)
	scratch_store_dwordx4 off, v[12:15], off
	v_cndmask_b32_e64 v4, 0, 1, s[0:1]
	scratch_store_byte off, v4, off offset:16
	scratch_load_dword v20, off, off offset:16
.LBB2087_1035:
	s_or_b64 exec, exec, s[6:7]
	v_mov_b32_dpp v22, v12 row_bcast:31 row_mask:0xf bank_mask:0xf
	v_mov_b32_dpp v23, v13 row_bcast:31 row_mask:0xf bank_mask:0xf
	;; [unrolled: 1-line block ×4, first 2 shown]
	s_waitcnt vmcnt(0)
	v_mov_b32_dpp v21, v20 row_bcast:31 row_mask:0xf bank_mask:0xf
	v_cmp_lt_u32_e32 vcc, 31, v19
	scratch_store_dwordx4 off, v[22:25], off offset:96
	scratch_store_dword off, v21, off offset:112
	s_and_saveexec_b64 s[6:7], vcc
	s_cbranch_execz .LBB2087_1043
; %bb.1036:
	v_mov_b32_e32 v4, 0
	s_mov_b32 s8, 0
	v_cmp_eq_u16_sdwa s[10:11], v20, v4 src0_sel:BYTE_0 src1_sel:DWORD
	s_and_saveexec_b64 s[0:1], s[10:11]
	s_cbranch_execz .LBB2087_1042
; %bb.1037:
	v_mov_b32_e32 v5, v4
.LBB2087_1038:                          ; =>This Inner Loop Header: Depth=1
	s_add_i32 s9, s8, 0x50
	s_add_i32 s8, s8, 8
	s_cmp_lg_u32 s8, 16
	scratch_store_dwordx2 off, v[4:5], s9
	s_cbranch_scc1 .LBB2087_1038
; %bb.1039:
	s_mov_b32 s8, 0
.LBB2087_1040:                          ; =>This Inner Loop Header: Depth=1
	s_add_i32 s9, s8, 0x60
	s_add_i32 s10, s8, 0
	scratch_load_dwordx2 v[4:5], off, s9
	scratch_load_dwordx2 v[12:13], off, s10
	s_add_i32 s9, s8, 0x50
	s_add_i32 s8, s8, 8
	s_cmp_lg_u32 s8, 16
	s_waitcnt vmcnt(0)
	v_add_u32_e32 v5, v13, v5
	v_add_u32_e32 v4, v12, v4
	scratch_store_dwordx2 off, v[4:5], s9
	s_cbranch_scc1 .LBB2087_1040
; %bb.1041:
	scratch_load_dwordx4 v[12:15], off, off offset:80
.LBB2087_1042:
	s_or_b64 exec, exec, s[0:1]
	v_and_b32_e32 v4, 1, v20
	v_cmp_eq_u32_e32 vcc, 1, v4
	v_and_b32_e32 v4, 1, v21
	v_cmp_eq_u32_e64 s[0:1], 1, v4
	s_or_b64 s[0:1], vcc, s[0:1]
	s_nop 0
	v_cndmask_b32_e64 v4, 0, 1, s[0:1]
	scratch_store_byte off, v4, off offset:16
	scratch_load_dword v20, off, off offset:16
.LBB2087_1043:
	s_or_b64 exec, exec, s[6:7]
	v_add_u32_e32 v4, -1, v19
	v_and_b32_e32 v5, 64, v19
	v_cmp_lt_i32_e32 vcc, v4, v5
	ds_read_u8 v21, v18 offset:16
	s_nop 0
	v_cndmask_b32_e32 v4, v4, v19, vcc
	v_lshlrev_b32_e32 v4, 2, v4
	s_waitcnt vmcnt(2)
	ds_bpermute_b32 v12, v4, v12
	ds_bpermute_b32 v13, v4, v13
	ds_bpermute_b32 v14, v4, v14
	ds_bpermute_b32 v15, v4, v15
	s_waitcnt vmcnt(0)
	ds_bpermute_b32 v19, v4, v20
	s_waitcnt lgkmcnt(5)
	v_cmp_ne_u16_e32 vcc, 0, v21
	s_waitcnt lgkmcnt(1)
	scratch_store_dwordx4 off, v[12:15], off
                                        ; implicit-def: $vgpr14_vgpr15
	s_and_saveexec_b64 s[0:1], vcc
	s_xor_b64 s[0:1], exec, s[0:1]
	s_cbranch_execz .LBB2087_1045
; %bb.1044:
	ds_read2_b32 v[12:13], v18 offset1:1
	ds_read2_b32 v[14:15], v18 offset0:2 offset1:3
.LBB2087_1045:
	s_andn2_saveexec_b64 s[0:1], s[0:1]
	s_cbranch_execz .LBB2087_1051
; %bb.1046:
	v_mov_b32_e32 v4, 0
	s_mov_b32 s6, 0
	v_mov_b32_e32 v5, v4
.LBB2087_1047:                          ; =>This Inner Loop Header: Depth=1
	s_add_i32 s7, s6, 0x60
	s_add_i32 s6, s6, 8
	s_cmp_lg_u32 s6, 16
	scratch_store_dwordx2 off, v[4:5], s7
	s_cbranch_scc1 .LBB2087_1047
; %bb.1048:
	s_mov_b32 s6, 0
.LBB2087_1049:                          ; =>This Inner Loop Header: Depth=1
	s_add_i32 s7, s6, 0
	scratch_load_dwordx2 v[4:5], off, s7
	s_waitcnt lgkmcnt(1)
	v_add_u32_e32 v12, s6, v18
	ds_read2_b32 v[12:13], v12 offset1:1
	s_add_i32 s7, s6, 0x60
	s_add_i32 s6, s6, 8
	s_cmp_lg_u32 s6, 16
	s_waitcnt vmcnt(0) lgkmcnt(0)
	v_add_u32_e32 v5, v13, v5
	v_add_u32_e32 v4, v12, v4
	scratch_store_dwordx2 off, v[4:5], s7
	s_cbranch_scc1 .LBB2087_1049
; %bb.1050:
	scratch_load_dwordx4 v[12:15], off, off offset:96
.LBB2087_1051:
	s_or_b64 exec, exec, s[0:1]
	v_and_b32_e32 v4, 1, v21
	v_cmp_eq_u32_e32 vcc, 1, v4
	s_waitcnt lgkmcnt(0)
	v_and_b32_e32 v4, 1, v19
	v_cmp_eq_u32_e64 s[0:1], 1, v4
	s_or_b64 s[0:1], s[0:1], vcc
	s_nop 0
	v_cndmask_b32_e64 v4, 0, 1, s[0:1]
	s_waitcnt vmcnt(0)
	scratch_store_dwordx4 off, v[12:15], off
	scratch_store_byte off, v4, off offset:16
	s_and_saveexec_b64 s[0:1], s[50:51]
	s_cbranch_execz .LBB2087_1053
; %bb.1052:
	scratch_store_dwordx4 off, v[8:11], off
	scratch_store_byte off, v17, off offset:16
.LBB2087_1053:
	s_or_b64 exec, exec, s[0:1]
	; wave barrier
	scratch_load_dwordx4 v[8:11], off, off
	scratch_load_ubyte v4, off, off offset:16
	s_waitcnt vmcnt(1)
	ds_write2_b32 v18, v10, v11 offset0:2 offset1:3
	ds_write2_b32 v18, v8, v9 offset1:1
	s_waitcnt vmcnt(0)
	ds_write_b8 v18, v4 offset:16
	; wave barrier
	ds_read_u8 v12, v18 offset:36
                                        ; implicit-def: $vgpr10_vgpr11
	s_waitcnt lgkmcnt(0)
	v_cmp_ne_u16_e32 vcc, 0, v12
	s_and_saveexec_b64 s[0:1], vcc
	s_xor_b64 s[0:1], exec, s[0:1]
	s_cbranch_execz .LBB2087_1055
; %bb.1054:
	ds_read2_b32 v[8:9], v16 offset1:1
	ds_read2_b32 v[10:11], v16 offset0:2 offset1:3
.LBB2087_1055:
	s_andn2_saveexec_b64 s[0:1], s[0:1]
	s_cbranch_execz .LBB2087_1061
; %bb.1056:
	v_mov_b32_e32 v4, 0
	s_mov_b32 s6, 0
	v_mov_b32_e32 v5, v4
.LBB2087_1057:                          ; =>This Inner Loop Header: Depth=1
	s_add_i32 s7, s6, 0x60
	s_add_i32 s6, s6, 8
	s_cmp_lg_u32 s6, 16
	scratch_store_dwordx2 off, v[4:5], s7
	s_cbranch_scc1 .LBB2087_1057
; %bb.1058:
	s_mov_b32 s6, 0
.LBB2087_1059:                          ; =>This Inner Loop Header: Depth=1
	s_add_i32 s7, s6, 0
	scratch_load_dwordx2 v[4:5], off, s7
	s_waitcnt lgkmcnt(1)
	v_add_u32_e32 v8, s6, v16
	ds_read2_b32 v[8:9], v8 offset1:1
	s_add_i32 s7, s6, 0x60
	s_add_i32 s6, s6, 8
	s_cmp_lg_u32 s6, 16
	s_waitcnt vmcnt(0) lgkmcnt(0)
	v_add_u32_e32 v5, v9, v5
	v_add_u32_e32 v4, v8, v4
	scratch_store_dwordx2 off, v[4:5], s7
	s_cbranch_scc1 .LBB2087_1059
; %bb.1060:
	scratch_load_dwordx4 v[8:11], off, off offset:96
.LBB2087_1061:
	s_or_b64 exec, exec, s[0:1]
	scratch_load_ubyte v4, off, off offset:16
	s_waitcnt vmcnt(1) lgkmcnt(0)
	ds_write2_b32 v16, v10, v11 offset0:2 offset1:3
	s_waitcnt vmcnt(0)
	v_or_b32_e32 v4, v12, v4
	v_and_b32_e32 v4, 1, v4
	ds_write2_b32 v16, v8, v9 offset1:1
	ds_write_b8 v16, v4 offset:16
.LBB2087_1062:
	s_or_b64 exec, exec, s[4:5]
	s_waitcnt lgkmcnt(0)
	s_barrier
	scratch_load_dwordx4 v[8:11], off, off offset:20
	scratch_load_ubyte v12, off, off offset:36
	s_waitcnt vmcnt(1)
	scratch_store_dwordx4 off, v[8:11], off offset:40
	s_waitcnt vmcnt(1)
	scratch_store_byte off, v12, off offset:56
	s_and_saveexec_b64 s[0:1], s[2:3]
	s_cbranch_execz .LBB2087_1072
; %bb.1063:
	v_add_u32_e32 v4, -1, v7
	v_lshrrev_b32_e32 v5, 5, v4
	v_add_u32_e32 v4, v5, v4
	v_mul_lo_u32 v14, v4, 20
	ds_read_u8 v13, v14 offset:16
                                        ; implicit-def: $vgpr10_vgpr11
	s_waitcnt lgkmcnt(0)
	v_cmp_ne_u16_e32 vcc, 0, v13
	s_and_saveexec_b64 s[4:5], vcc
	s_xor_b64 s[4:5], exec, s[4:5]
	s_cbranch_execz .LBB2087_1065
; %bb.1064:
	ds_read2_b32 v[8:9], v14 offset1:1
	ds_read2_b32 v[10:11], v14 offset0:2 offset1:3
                                        ; implicit-def: $vgpr14
.LBB2087_1065:
	s_andn2_saveexec_b64 s[4:5], s[4:5]
	s_cbranch_execz .LBB2087_1071
; %bb.1066:
	v_mov_b32_e32 v4, 0
	s_mov_b32 s6, 0
	v_mov_b32_e32 v5, v4
.LBB2087_1067:                          ; =>This Inner Loop Header: Depth=1
	s_add_i32 s7, s6, 0x60
	s_add_i32 s6, s6, 8
	s_cmp_lg_u32 s6, 16
	scratch_store_dwordx2 off, v[4:5], s7
	s_cbranch_scc1 .LBB2087_1067
; %bb.1068:
	s_mov_b32 s6, 0
.LBB2087_1069:                          ; =>This Inner Loop Header: Depth=1
	s_add_i32 s7, s6, 20
	scratch_load_dwordx2 v[4:5], off, s7
	s_waitcnt lgkmcnt(1)
	v_add_u32_e32 v8, s6, v14
	ds_read2_b32 v[8:9], v8 offset1:1
	s_add_i32 s7, s6, 0x60
	s_add_i32 s6, s6, 8
	s_cmp_lg_u32 s6, 16
	s_waitcnt vmcnt(0) lgkmcnt(0)
	v_add_u32_e32 v5, v9, v5
	v_add_u32_e32 v4, v8, v4
	scratch_store_dwordx2 off, v[4:5], s7
	s_cbranch_scc1 .LBB2087_1069
; %bb.1070:
	scratch_load_dwordx4 v[8:11], off, off offset:96
.LBB2087_1071:
	s_or_b64 exec, exec, s[4:5]
	v_or_b32_e32 v4, v13, v12
	v_and_b32_e32 v12, 1, v4
	s_waitcnt vmcnt(0) lgkmcnt(0)
	scratch_store_dwordx4 off, v[8:11], off offset:40
	scratch_store_byte off, v12, off offset:56
.LBB2087_1072:
	s_or_b64 exec, exec, s[0:1]
	scratch_load_dwordx4 v[8:11], off, off offset:464
	scratch_load_dword v5, off, off offset:480
	v_mov_b32_e32 v4, 0
	scratch_store_dwordx4 off, v[0:3], off
	s_waitcnt vmcnt(2)
	scratch_store_dwordx4 off, v[8:11], off offset:96
	s_waitcnt vmcnt(2)
	scratch_store_dword off, v5, off offset:112
	scratch_store_byte off, v4, off offset:16
	s_and_saveexec_b64 s[0:1], s[2:3]
	s_cbranch_execz .LBB2087_1074
; %bb.1073:
	scratch_load_dwordx4 v[0:3], off, off offset:40
	v_mov_b32_e32 v4, v12
	scratch_store_byte off, v12, off offset:16
	s_waitcnt vmcnt(1)
	scratch_store_dwordx4 off, v[0:3], off
.LBB2087_1074:
	s_or_b64 exec, exec, s[0:1]
	scratch_load_dwordx4 v[0:3], off, off
	scratch_load_ubyte v8, off, off offset:112
	s_nop 0
	scratch_store_byte off, v4, off offset:480
	s_waitcnt vmcnt(2)
	scratch_store_dwordx4 off, v[0:3], off offset:464
	s_waitcnt vmcnt(2)
	v_cmp_ne_u16_e32 vcc, 0, v8
                                        ; implicit-def: $vgpr2_vgpr3
	s_and_saveexec_b64 s[0:1], vcc
	s_xor_b64 s[0:1], exec, s[0:1]
	s_cbranch_execz .LBB2087_1076
; %bb.1075:
	scratch_load_dwordx4 v[0:3], off, off offset:96
.LBB2087_1076:
	s_andn2_saveexec_b64 s[0:1], s[0:1]
	s_cbranch_execz .LBB2087_1082
; %bb.1077:
	s_waitcnt vmcnt(0)
	v_mov_b32_e32 v0, 0
	s_mov_b32 s2, 0
	v_mov_b32_e32 v1, v0
.LBB2087_1078:                          ; =>This Inner Loop Header: Depth=1
	s_add_i32 s3, s2, 20
	s_add_i32 s2, s2, 8
	s_cmp_lg_u32 s2, 16
	scratch_store_dwordx2 off, v[0:1], s3
	s_cbranch_scc1 .LBB2087_1078
; %bb.1079:
	s_mov_b32 s2, 0
.LBB2087_1080:                          ; =>This Inner Loop Header: Depth=1
	s_add_i32 s3, s2, 0
	s_add_i32 s4, s2, 0x60
	scratch_load_dwordx2 v[0:1], off, s3
	scratch_load_dwordx2 v[2:3], off, s4
	s_add_i32 s3, s2, 20
	s_add_i32 s2, s2, 8
	s_cmp_lg_u32 s2, 16
	s_waitcnt vmcnt(0)
	v_add_u32_e32 v1, v3, v1
	v_add_u32_e32 v0, v2, v0
	scratch_store_dwordx2 off, v[0:1], s3
	s_cbranch_scc1 .LBB2087_1080
; %bb.1081:
	scratch_load_dwordx4 v[0:3], off, off offset:20
.LBB2087_1082:
	s_or_b64 exec, exec, s[0:1]
	scratch_load_dwordx4 v[10:13], v46, off
	scratch_load_ubyte v5, off, off offset:500
	v_or_b32_e32 v4, v8, v4
	s_waitcnt vmcnt(2)
	scratch_store_dwordx4 off, v[0:3], off
	scratch_store_dwordx4 v46, v[0:3], off
                                        ; implicit-def: $vgpr2_vgpr3
	s_waitcnt vmcnt(2)
	v_cmp_ne_u16_e64 s[0:1], 0, v5
	v_and_b32_e32 v0, 1, v4
	v_cmp_eq_u32_e32 vcc, 1, v0
	scratch_store_byte off, v0, off offset:500
	scratch_store_dwordx4 off, v[10:13], off offset:96
	s_and_saveexec_b64 s[2:3], s[0:1]
	s_xor_b64 s[0:1], exec, s[2:3]
	s_cbranch_execz .LBB2087_1084
; %bb.1083:
	scratch_load_dwordx4 v[0:3], off, off offset:96
.LBB2087_1084:
	s_andn2_saveexec_b64 s[0:1], s[0:1]
	s_cbranch_execz .LBB2087_1090
; %bb.1085:
	s_waitcnt vmcnt(0)
	v_mov_b32_e32 v0, 0
	s_mov_b32 s2, 0
	v_mov_b32_e32 v1, v0
.LBB2087_1086:                          ; =>This Inner Loop Header: Depth=1
	s_add_i32 s3, s2, 20
	s_add_i32 s2, s2, 8
	s_cmp_lg_u32 s2, 16
	scratch_store_dwordx2 off, v[0:1], s3
	s_cbranch_scc1 .LBB2087_1086
; %bb.1087:
	s_mov_b32 s2, 0
.LBB2087_1088:                          ; =>This Inner Loop Header: Depth=1
	s_add_i32 s3, s2, 0
	s_add_i32 s4, s2, 0x60
	scratch_load_dwordx2 v[0:1], off, s3
	scratch_load_dwordx2 v[2:3], off, s4
	s_add_i32 s3, s2, 20
	s_add_i32 s2, s2, 8
	s_cmp_lg_u32 s2, 16
	s_waitcnt vmcnt(0)
	v_add_u32_e32 v1, v3, v1
	v_add_u32_e32 v0, v2, v0
	scratch_store_dwordx2 off, v[0:1], s3
	s_cbranch_scc1 .LBB2087_1088
; %bb.1089:
	scratch_load_dwordx4 v[0:3], off, off offset:20
.LBB2087_1090:
	s_or_b64 exec, exec, s[0:1]
	scratch_load_dwordx4 v[8:11], v45, off
	scratch_load_ubyte v4, off, off offset:520
	v_and_b32_e32 v5, 1, v5
	v_cmp_eq_u32_e64 s[0:1], 1, v5
	s_or_b64 s[0:1], s[0:1], vcc
	s_waitcnt vmcnt(2)
	scratch_store_dwordx4 off, v[0:3], off
	scratch_store_dwordx4 v45, v[0:3], off
                                        ; implicit-def: $vgpr2_vgpr3
	s_waitcnt vmcnt(2)
	v_cmp_ne_u16_e32 vcc, 0, v4
	v_cndmask_b32_e64 v0, 0, 1, s[0:1]
	scratch_store_byte off, v0, off offset:520
	scratch_store_dwordx4 off, v[8:11], off offset:96
	s_and_saveexec_b64 s[2:3], vcc
	s_xor_b64 s[2:3], exec, s[2:3]
	s_cbranch_execz .LBB2087_1092
; %bb.1091:
	scratch_load_dwordx4 v[0:3], off, off offset:96
.LBB2087_1092:
	s_andn2_saveexec_b64 s[2:3], s[2:3]
	s_cbranch_execz .LBB2087_1098
; %bb.1093:
	s_waitcnt vmcnt(0)
	v_mov_b32_e32 v0, 0
	s_mov_b32 s4, 0
	v_mov_b32_e32 v1, v0
.LBB2087_1094:                          ; =>This Inner Loop Header: Depth=1
	s_add_i32 s5, s4, 20
	s_add_i32 s4, s4, 8
	s_cmp_lg_u32 s4, 16
	scratch_store_dwordx2 off, v[0:1], s5
	s_cbranch_scc1 .LBB2087_1094
; %bb.1095:
	s_mov_b32 s4, 0
.LBB2087_1096:                          ; =>This Inner Loop Header: Depth=1
	s_add_i32 s5, s4, 0
	s_add_i32 s6, s4, 0x60
	scratch_load_dwordx2 v[0:1], off, s5
	scratch_load_dwordx2 v[2:3], off, s6
	s_add_i32 s5, s4, 20
	s_add_i32 s4, s4, 8
	s_cmp_lg_u32 s4, 16
	s_waitcnt vmcnt(0)
	v_add_u32_e32 v1, v3, v1
	v_add_u32_e32 v0, v2, v0
	scratch_store_dwordx2 off, v[0:1], s5
	s_cbranch_scc1 .LBB2087_1096
; %bb.1097:
	scratch_load_dwordx4 v[0:3], off, off offset:20
.LBB2087_1098:
	s_or_b64 exec, exec, s[2:3]
	scratch_load_dwordx4 v[8:11], v44, off
	scratch_load_ubyte v5, off, off offset:540
	v_and_b32_e32 v4, 1, v4
	v_cmp_eq_u32_e32 vcc, 1, v4
	s_or_b64 s[0:1], vcc, s[0:1]
	s_waitcnt vmcnt(2)
	scratch_store_dwordx4 off, v[0:3], off
	scratch_store_dwordx4 v44, v[0:3], off
                                        ; implicit-def: $vgpr2_vgpr3
	s_waitcnt vmcnt(2)
	v_cmp_ne_u16_e32 vcc, 0, v5
	v_cndmask_b32_e64 v0, 0, 1, s[0:1]
	scratch_store_byte off, v0, off offset:540
	scratch_store_dwordx4 off, v[8:11], off offset:96
	s_and_saveexec_b64 s[2:3], vcc
	s_xor_b64 s[2:3], exec, s[2:3]
	s_cbranch_execz .LBB2087_1100
; %bb.1099:
	scratch_load_dwordx4 v[0:3], off, off offset:96
.LBB2087_1100:
	s_andn2_saveexec_b64 s[2:3], s[2:3]
	s_cbranch_execz .LBB2087_1106
; %bb.1101:
	s_waitcnt vmcnt(0)
	v_mov_b32_e32 v0, 0
	s_mov_b32 s4, 0
	v_mov_b32_e32 v1, v0
.LBB2087_1102:                          ; =>This Inner Loop Header: Depth=1
	s_add_i32 s5, s4, 20
	s_add_i32 s4, s4, 8
	s_cmp_lg_u32 s4, 16
	scratch_store_dwordx2 off, v[0:1], s5
	s_cbranch_scc1 .LBB2087_1102
; %bb.1103:
	s_mov_b32 s4, 0
.LBB2087_1104:                          ; =>This Inner Loop Header: Depth=1
	s_add_i32 s5, s4, 0
	s_add_i32 s6, s4, 0x60
	scratch_load_dwordx2 v[0:1], off, s5
	scratch_load_dwordx2 v[2:3], off, s6
	s_add_i32 s5, s4, 20
	s_add_i32 s4, s4, 8
	s_cmp_lg_u32 s4, 16
	s_waitcnt vmcnt(0)
	v_add_u32_e32 v1, v3, v1
	v_add_u32_e32 v0, v2, v0
	scratch_store_dwordx2 off, v[0:1], s5
	s_cbranch_scc1 .LBB2087_1104
; %bb.1105:
	scratch_load_dwordx4 v[0:3], off, off offset:20
.LBB2087_1106:
	s_or_b64 exec, exec, s[2:3]
	scratch_load_dwordx4 v[8:11], v43, off
	scratch_load_ubyte v4, off, off offset:560
	v_and_b32_e32 v5, 1, v5
	v_cmp_eq_u32_e32 vcc, 1, v5
	s_or_b64 s[0:1], vcc, s[0:1]
	;; [unrolled: 52-line block ×19, first 2 shown]
	s_waitcnt vmcnt(2)
	scratch_store_dwordx4 off, v[0:3], off
	scratch_store_dwordx4 v26, v[0:3], off
                                        ; implicit-def: $vgpr2_vgpr3
	s_waitcnt vmcnt(2)
	v_cmp_ne_u16_e32 vcc, 0, v5
	v_cndmask_b32_e64 v0, 0, 1, s[0:1]
	scratch_store_byte off, v0, off offset:900
	scratch_store_dwordx4 off, v[8:11], off offset:96
	s_and_saveexec_b64 s[2:3], vcc
	s_xor_b64 s[2:3], exec, s[2:3]
	s_cbranch_execz .LBB2087_1244
; %bb.1243:
	scratch_load_dwordx4 v[0:3], off, off offset:96
.LBB2087_1244:
	s_andn2_saveexec_b64 s[2:3], s[2:3]
	s_cbranch_execz .LBB2087_1250
; %bb.1245:
	s_waitcnt vmcnt(0)
	v_mov_b32_e32 v0, 0
	s_mov_b32 s4, 0
	v_mov_b32_e32 v1, v0
.LBB2087_1246:                          ; =>This Inner Loop Header: Depth=1
	s_add_i32 s5, s4, 20
	s_add_i32 s4, s4, 8
	s_cmp_lg_u32 s4, 16
	scratch_store_dwordx2 off, v[0:1], s5
	s_cbranch_scc1 .LBB2087_1246
; %bb.1247:
	s_mov_b32 s4, 0
.LBB2087_1248:                          ; =>This Inner Loop Header: Depth=1
	s_add_i32 s5, s4, 0
	s_add_i32 s6, s4, 0x60
	scratch_load_dwordx2 v[0:1], off, s5
	scratch_load_dwordx2 v[2:3], off, s6
	s_add_i32 s5, s4, 20
	s_add_i32 s4, s4, 8
	s_cmp_lg_u32 s4, 16
	s_waitcnt vmcnt(0)
	v_add_u32_e32 v1, v3, v1
	v_add_u32_e32 v0, v2, v0
	scratch_store_dwordx2 off, v[0:1], s5
	s_cbranch_scc1 .LBB2087_1248
; %bb.1249:
	scratch_load_dwordx4 v[0:3], off, off offset:20
.LBB2087_1250:
	s_or_b64 exec, exec, s[2:3]
	v_and_b32_e32 v4, 1, v5
	v_cmp_eq_u32_e32 vcc, 1, v4
	v_mov_b32_e32 v4, 0xa28
	v_mov_b32_e32 v5, 0
	ds_read2_b64 v[8:11], v4 offset1:1
	ds_read_u8 v4, v5 offset:2616
	s_or_b64 s[0:1], vcc, s[0:1]
	v_cndmask_b32_e64 v5, 0, 1, s[0:1]
	s_waitcnt vmcnt(0)
	scratch_store_dwordx4 v6, v[0:3], off
	scratch_store_byte off, v5, off offset:920
	s_waitcnt lgkmcnt(1)
	scratch_store_dwordx4 off, v[8:11], off offset:924
	s_waitcnt lgkmcnt(0)
	v_cmp_ne_u16_e32 vcc, 0, v4
	s_cbranch_vccz .LBB2087_1274
; %bb.1251:
	scratch_load_dwordx4 v[0:3], off, off offset:924
	s_cbranch_execz .LBB2087_1275
	s_branch .LBB2087_1280
.LBB2087_1252:
	v_lshlrev_b32_e32 v24, 4, v7
	v_lshl_add_u64 v[24:25], s[62:63], 0, v[24:25]
	flat_load_dwordx4 v[92:95], v[24:25]
	s_waitcnt vmcnt(0) lgkmcnt(0)
	scratch_store_dwordx4 off, v[92:95], off offset:96
	s_or_b64 exec, exec, s[0:1]
	s_and_saveexec_b64 s[0:1], s[4:5]
	s_cbranch_execz .LBB2087_147
.LBB2087_1253:
	v_lshlrev_b32_e32 v24, 4, v7
	v_mov_b32_e32 v25, 0
	v_lshl_add_u64 v[24:25], s[62:63], 0, v[24:25]
	flat_load_dwordx4 v[92:95], v[24:25] offset:2048
	s_waitcnt vmcnt(0) lgkmcnt(0)
	scratch_store_dwordx4 off, v[92:95], off offset:112
	s_or_b64 exec, exec, s[0:1]
	s_and_saveexec_b64 s[0:1], s[6:7]
	s_cbranch_execz .LBB2087_148
.LBB2087_1254:
	v_lshlrev_b32_e32 v24, 4, v71
	v_mov_b32_e32 v25, 0
	v_lshl_add_u64 v[24:25], s[62:63], 0, v[24:25]
	flat_load_dwordx4 v[92:95], v[24:25]
	s_waitcnt vmcnt(0) lgkmcnt(0)
	scratch_store_dwordx4 off, v[92:95], off offset:128
	s_or_b64 exec, exec, s[0:1]
	s_and_saveexec_b64 s[0:1], s[8:9]
	s_cbranch_execz .LBB2087_149
.LBB2087_1255:
	v_lshlrev_b32_e32 v24, 4, v72
	v_mov_b32_e32 v25, 0
	v_lshl_add_u64 v[24:25], s[62:63], 0, v[24:25]
	flat_load_dwordx4 v[92:95], v[24:25]
	s_waitcnt vmcnt(0) lgkmcnt(0)
	scratch_store_dwordx4 off, v[92:95], off offset:144
	s_or_b64 exec, exec, s[0:1]
	s_and_saveexec_b64 s[0:1], s[10:11]
	s_cbranch_execz .LBB2087_150
.LBB2087_1256:
	v_lshlrev_b32_e32 v24, 4, v73
	v_mov_b32_e32 v25, 0
	v_lshl_add_u64 v[24:25], s[62:63], 0, v[24:25]
	flat_load_dwordx4 v[92:95], v[24:25]
	s_waitcnt vmcnt(0) lgkmcnt(0)
	scratch_store_dwordx4 off, v[92:95], off offset:160
	s_or_b64 exec, exec, s[0:1]
	s_and_saveexec_b64 s[0:1], s[12:13]
	s_cbranch_execz .LBB2087_151
.LBB2087_1257:
	v_lshlrev_b32_e32 v24, 4, v74
	v_mov_b32_e32 v25, 0
	v_lshl_add_u64 v[24:25], s[62:63], 0, v[24:25]
	flat_load_dwordx4 v[92:95], v[24:25]
	s_waitcnt vmcnt(0) lgkmcnt(0)
	scratch_store_dwordx4 off, v[92:95], off offset:176
	s_or_b64 exec, exec, s[0:1]
	s_and_saveexec_b64 s[0:1], s[14:15]
	s_cbranch_execz .LBB2087_152
.LBB2087_1258:
	v_lshlrev_b32_e32 v24, 4, v75
	v_mov_b32_e32 v25, 0
	v_lshl_add_u64 v[24:25], s[62:63], 0, v[24:25]
	flat_load_dwordx4 v[72:75], v[24:25]
	s_waitcnt vmcnt(0) lgkmcnt(0)
	scratch_store_dwordx4 off, v[72:75], off offset:192
	s_or_b64 exec, exec, s[0:1]
	s_and_saveexec_b64 s[0:1], s[16:17]
	s_cbranch_execz .LBB2087_153
.LBB2087_1259:
	v_lshlrev_b32_e32 v24, 4, v76
	v_mov_b32_e32 v25, 0
	v_lshl_add_u64 v[24:25], s[62:63], 0, v[24:25]
	flat_load_dwordx4 v[72:75], v[24:25]
	s_waitcnt vmcnt(0) lgkmcnt(0)
	scratch_store_dwordx4 off, v[72:75], off offset:208
	s_or_b64 exec, exec, s[0:1]
	s_and_saveexec_b64 s[0:1], s[18:19]
	s_cbranch_execz .LBB2087_154
.LBB2087_1260:
	v_lshlrev_b32_e32 v24, 4, v77
	v_mov_b32_e32 v25, 0
	v_lshl_add_u64 v[24:25], s[62:63], 0, v[24:25]
	flat_load_dwordx4 v[72:75], v[24:25]
	s_waitcnt vmcnt(0) lgkmcnt(0)
	scratch_store_dwordx4 off, v[72:75], off offset:224
	s_or_b64 exec, exec, s[0:1]
	s_and_saveexec_b64 s[0:1], s[20:21]
	s_cbranch_execz .LBB2087_155
.LBB2087_1261:
	v_lshlrev_b32_e32 v24, 4, v78
	v_mov_b32_e32 v25, 0
	v_lshl_add_u64 v[24:25], s[62:63], 0, v[24:25]
	flat_load_dwordx4 v[72:75], v[24:25]
	s_waitcnt vmcnt(0) lgkmcnt(0)
	scratch_store_dwordx4 off, v[72:75], off offset:240
	s_or_b64 exec, exec, s[0:1]
	s_and_saveexec_b64 s[0:1], s[22:23]
	s_cbranch_execz .LBB2087_156
.LBB2087_1262:
	v_lshlrev_b32_e32 v24, 4, v79
	v_mov_b32_e32 v25, 0
	v_lshl_add_u64 v[24:25], s[62:63], 0, v[24:25]
	flat_load_dwordx4 v[72:75], v[24:25]
	s_waitcnt vmcnt(0) lgkmcnt(0)
	scratch_store_dwordx4 off, v[72:75], off offset:256
	s_or_b64 exec, exec, s[0:1]
	s_and_saveexec_b64 s[0:1], s[24:25]
	s_cbranch_execz .LBB2087_157
.LBB2087_1263:
	v_lshlrev_b32_e32 v24, 4, v80
	v_mov_b32_e32 v25, 0
	v_lshl_add_u64 v[24:25], s[62:63], 0, v[24:25]
	flat_load_dwordx4 v[72:75], v[24:25]
	s_waitcnt vmcnt(0) lgkmcnt(0)
	scratch_store_dwordx4 off, v[72:75], off offset:272
	s_or_b64 exec, exec, s[0:1]
	s_and_saveexec_b64 s[0:1], s[26:27]
	s_cbranch_execz .LBB2087_158
.LBB2087_1264:
	v_lshlrev_b32_e32 v24, 4, v81
	v_mov_b32_e32 v25, 0
	v_lshl_add_u64 v[24:25], s[62:63], 0, v[24:25]
	flat_load_dwordx4 v[72:75], v[24:25]
	s_waitcnt vmcnt(0) lgkmcnt(0)
	scratch_store_dwordx4 off, v[72:75], off offset:288
	s_or_b64 exec, exec, s[0:1]
	s_and_saveexec_b64 s[0:1], s[28:29]
	s_cbranch_execz .LBB2087_159
.LBB2087_1265:
	v_lshlrev_b32_e32 v24, 4, v82
	v_mov_b32_e32 v25, 0
	v_lshl_add_u64 v[24:25], s[62:63], 0, v[24:25]
	flat_load_dwordx4 v[72:75], v[24:25]
	s_waitcnt vmcnt(0) lgkmcnt(0)
	scratch_store_dwordx4 off, v[72:75], off offset:304
	s_or_b64 exec, exec, s[0:1]
	s_and_saveexec_b64 s[0:1], s[30:31]
	s_cbranch_execz .LBB2087_160
.LBB2087_1266:
	v_lshlrev_b32_e32 v24, 4, v83
	v_mov_b32_e32 v25, 0
	v_lshl_add_u64 v[24:25], s[62:63], 0, v[24:25]
	flat_load_dwordx4 v[72:75], v[24:25]
	s_waitcnt vmcnt(0) lgkmcnt(0)
	scratch_store_dwordx4 off, v[72:75], off offset:320
	s_or_b64 exec, exec, s[0:1]
	s_and_saveexec_b64 s[0:1], s[34:35]
	s_cbranch_execz .LBB2087_161
.LBB2087_1267:
	v_lshlrev_b32_e32 v24, 4, v84
	v_mov_b32_e32 v25, 0
	v_lshl_add_u64 v[24:25], s[62:63], 0, v[24:25]
	flat_load_dwordx4 v[72:75], v[24:25]
	s_waitcnt vmcnt(0) lgkmcnt(0)
	scratch_store_dwordx4 off, v[72:75], off offset:336
	s_or_b64 exec, exec, s[0:1]
	s_and_saveexec_b64 s[0:1], s[36:37]
	s_cbranch_execz .LBB2087_162
.LBB2087_1268:
	v_lshlrev_b32_e32 v24, 4, v85
	v_mov_b32_e32 v25, 0
	v_lshl_add_u64 v[24:25], s[62:63], 0, v[24:25]
	flat_load_dwordx4 v[72:75], v[24:25]
	s_waitcnt vmcnt(0) lgkmcnt(0)
	scratch_store_dwordx4 off, v[72:75], off offset:352
	s_or_b64 exec, exec, s[0:1]
	s_and_saveexec_b64 s[0:1], s[38:39]
	s_cbranch_execz .LBB2087_163
.LBB2087_1269:
	v_lshlrev_b32_e32 v24, 4, v86
	v_mov_b32_e32 v25, 0
	v_lshl_add_u64 v[24:25], s[62:63], 0, v[24:25]
	flat_load_dwordx4 v[72:75], v[24:25]
	s_waitcnt vmcnt(0) lgkmcnt(0)
	scratch_store_dwordx4 off, v[72:75], off offset:368
	s_or_b64 exec, exec, s[0:1]
	s_and_saveexec_b64 s[0:1], s[40:41]
	s_cbranch_execz .LBB2087_164
.LBB2087_1270:
	v_lshlrev_b32_e32 v24, 4, v87
	v_mov_b32_e32 v25, 0
	v_lshl_add_u64 v[24:25], s[62:63], 0, v[24:25]
	flat_load_dwordx4 v[72:75], v[24:25]
	s_waitcnt vmcnt(0) lgkmcnt(0)
	scratch_store_dwordx4 off, v[72:75], off offset:384
	s_or_b64 exec, exec, s[0:1]
	s_and_saveexec_b64 s[0:1], s[42:43]
	s_cbranch_execz .LBB2087_165
.LBB2087_1271:
	v_lshlrev_b32_e32 v24, 4, v88
	v_mov_b32_e32 v25, 0
	v_lshl_add_u64 v[24:25], s[62:63], 0, v[24:25]
	flat_load_dwordx4 v[72:75], v[24:25]
	s_waitcnt vmcnt(0) lgkmcnt(0)
	scratch_store_dwordx4 off, v[72:75], off offset:400
	s_or_b64 exec, exec, s[0:1]
	s_and_saveexec_b64 s[0:1], s[44:45]
	s_cbranch_execz .LBB2087_166
.LBB2087_1272:
	v_lshlrev_b32_e32 v24, 4, v89
	v_mov_b32_e32 v25, 0
	v_lshl_add_u64 v[24:25], s[62:63], 0, v[24:25]
	flat_load_dwordx4 v[72:75], v[24:25]
	s_waitcnt vmcnt(0) lgkmcnt(0)
	scratch_store_dwordx4 off, v[72:75], off offset:416
	s_or_b64 exec, exec, s[0:1]
	s_and_saveexec_b64 s[0:1], s[46:47]
	s_cbranch_execz .LBB2087_167
.LBB2087_1273:
	v_lshlrev_b32_e32 v24, 4, v90
	v_mov_b32_e32 v25, 0
	v_lshl_add_u64 v[24:25], s[62:63], 0, v[24:25]
	flat_load_dwordx4 v[72:75], v[24:25]
	s_waitcnt vmcnt(0) lgkmcnt(0)
	scratch_store_dwordx4 off, v[72:75], off offset:432
	s_or_b64 exec, exec, s[0:1]
	v_mul_u32_u24_e32 v24, 23, v7
	s_and_saveexec_b64 s[0:1], s[48:49]
	s_cbranch_execnz .LBB2087_168
	s_branch .LBB2087_169
.LBB2087_1274:
                                        ; implicit-def: $vgpr2_vgpr3
.LBB2087_1275:
	s_waitcnt vmcnt(0)
	v_mov_b32_e32 v0, 0
	s_mov_b32 s0, 0
	v_mov_b32_e32 v1, v0
.LBB2087_1276:                          ; =>This Inner Loop Header: Depth=1
	s_add_i32 s1, s0, 0x60
	s_add_i32 s0, s0, 8
	s_cmp_lg_u32 s0, 16
	scratch_store_dwordx2 off, v[0:1], s1
	s_cbranch_scc1 .LBB2087_1276
; %bb.1277:
	s_mov_b32 s0, 0
.LBB2087_1278:                          ; =>This Inner Loop Header: Depth=1
	s_add_i32 s1, s0, 60
	s_add_i32 s2, s0, 0x39c
	scratch_load_dwordx2 v[0:1], off, s1
	scratch_load_dwordx2 v[2:3], off, s2
	s_add_i32 s1, s0, 0x60
	s_add_i32 s0, s0, 8
	s_cmp_lg_u32 s0, 16
	s_waitcnt vmcnt(0)
	v_add_u32_e32 v1, v3, v1
	v_add_u32_e32 v0, v2, v0
	scratch_store_dwordx2 off, v[0:1], s1
	s_cbranch_scc1 .LBB2087_1278
; %bb.1279:
	scratch_load_dwordx4 v[0:3], off, off offset:96
.LBB2087_1280:
	scratch_load_ubyte v5, off, off offset:76
	s_waitcnt vmcnt(0)
	v_or_b32_e32 v4, v4, v5
	v_and_b32_e32 v4, 1, v4
	v_cmp_eq_u32_e32 vcc, 1, v4
	scratch_store_dwordx4 off, v[0:3], off offset:924
	scratch_store_byte off, v4, off offset:940
	s_and_saveexec_b64 s[0:1], s[50:51]
	s_cbranch_execz .LBB2087_1282
; %bb.1281:
	scratch_load_ushort v4, off, off offset:941
	scratch_load_sbyte v5, off, off offset:943
	v_mov_b32_e32 v6, 0
	v_cndmask_b32_e64 v8, 0, 1, vcc
	global_store_dword v6, v0, s[54:55] offset:1280 sc1
	global_store_dword v6, v1, s[54:55] offset:1284 sc1
	;; [unrolled: 1-line block ×4, first 2 shown]
	v_mov_b32_e32 v9, 2
	s_waitcnt vmcnt(5)
	v_and_b32_e32 v0, 0xff, v4
	v_lshlrev_b32_e32 v1, 8, v4
	s_waitcnt vmcnt(4)
	v_lshlrev_b32_e32 v2, 24, v5
	v_lshl_or_b32 v0, v0, 8, v8
	v_and_b32_e32 v1, 0xff0000, v1
	v_or3_b32 v0, v0, v1, v2
	global_store_dword v6, v0, s[54:55] offset:1296 sc1
	s_waitcnt vmcnt(0)
	global_store_byte v6, v9, s[56:57] offset:64 sc1
.LBB2087_1282:
	s_or_b64 exec, exec, s[0:1]
.LBB2087_1283:
	s_add_u32 s6, s66, s60
	s_addc_u32 s7, s67, s61
	s_mov_b64 s[0:1], src_private_base
	s_mov_b64 s[2:3], src_shared_base
	v_mov_b32_e32 v31, v7
	v_mov_b32_e32 v0, s6
	;; [unrolled: 1-line block ×14, first 2 shown]
	s_getpc_b64 s[4:5]
	s_add_u32 s4, s4, _ZN7rocprim17ROCPRIM_400000_NS6detail12unwrap_storeILj128ELj23E11FixedVectorIiLj4EELNS0_18block_store_methodE3ELNS0_4arch9wavefront6targetE1EE5storeIN6thrust23THRUST_200600_302600_NS6detail15normal_iteratorINSC_10device_ptrIS4_EEEEEEvT_jmmjmRA23_KNS0_5tupleIJS4_bEEERNS0_14block_exchangeIS4_Lj128ELj23ELj1ELj1ELNS0_18block_padding_hintE0ELS8_1EE13storage_type_E@rel32@lo+4
	s_addc_u32 s5, s5, _ZN7rocprim17ROCPRIM_400000_NS6detail12unwrap_storeILj128ELj23E11FixedVectorIiLj4EELNS0_18block_store_methodE3ELNS0_4arch9wavefront6targetE1EE5storeIN6thrust23THRUST_200600_302600_NS6detail15normal_iteratorINSC_10device_ptrIS4_EEEEEEvT_jmmjmRA23_KNS0_5tupleIJS4_bEEERNS0_14block_exchangeIS4_Lj128ELj23ELj1ELj1ELNS0_18block_padding_hintE0ELS8_1EE13storage_type_E@rel32@hi+12
	s_swappc_b64 s[30:31], s[4:5]
	s_endpgm
	.section	.rodata,"a",@progbits
	.p2align	6, 0x0
	.amdhsa_kernel _ZN7rocprim17ROCPRIM_400000_NS6detail17trampoline_kernelINS0_14default_configENS1_27scan_by_key_config_selectorIj11FixedVectorIiLj4EEEEZZNS1_16scan_by_key_implILNS1_25lookback_scan_determinismE0ELb1ES3_N6thrust23THRUST_200600_302600_NS6detail15normal_iteratorINSB_10device_ptrIjEEEENSD_INSE_IS6_EEEESI_S6_NSB_4plusIvEENSB_8equal_toIvEES6_EE10hipError_tPvRmT2_T3_T4_T5_mT6_T7_P12ihipStream_tbENKUlT_T0_E_clISt17integral_constantIbLb1EES13_EEDaSY_SZ_EUlSY_E_NS1_11comp_targetILNS1_3genE5ELNS1_11target_archE942ELNS1_3gpuE9ELNS1_3repE0EEENS1_30default_config_static_selectorELNS0_4arch9wavefront6targetE1EEEvT1_
		.amdhsa_group_segment_fixed_size 47104
		.amdhsa_private_segment_fixed_size 1344
		.amdhsa_kernarg_size 144
		.amdhsa_user_sgpr_count 2
		.amdhsa_user_sgpr_dispatch_ptr 0
		.amdhsa_user_sgpr_queue_ptr 0
		.amdhsa_user_sgpr_kernarg_segment_ptr 1
		.amdhsa_user_sgpr_dispatch_id 0
		.amdhsa_user_sgpr_kernarg_preload_length 0
		.amdhsa_user_sgpr_kernarg_preload_offset 0
		.amdhsa_user_sgpr_private_segment_size 0
		.amdhsa_uses_dynamic_stack 0
		.amdhsa_enable_private_segment 1
		.amdhsa_system_sgpr_workgroup_id_x 1
		.amdhsa_system_sgpr_workgroup_id_y 0
		.amdhsa_system_sgpr_workgroup_id_z 0
		.amdhsa_system_sgpr_workgroup_info 0
		.amdhsa_system_vgpr_workitem_id 0
		.amdhsa_next_free_vgpr 201
		.amdhsa_next_free_sgpr 85
		.amdhsa_accum_offset 204
		.amdhsa_reserve_vcc 1
		.amdhsa_float_round_mode_32 0
		.amdhsa_float_round_mode_16_64 0
		.amdhsa_float_denorm_mode_32 3
		.amdhsa_float_denorm_mode_16_64 3
		.amdhsa_dx10_clamp 1
		.amdhsa_ieee_mode 1
		.amdhsa_fp16_overflow 0
		.amdhsa_tg_split 0
		.amdhsa_exception_fp_ieee_invalid_op 0
		.amdhsa_exception_fp_denorm_src 0
		.amdhsa_exception_fp_ieee_div_zero 0
		.amdhsa_exception_fp_ieee_overflow 0
		.amdhsa_exception_fp_ieee_underflow 0
		.amdhsa_exception_fp_ieee_inexact 0
		.amdhsa_exception_int_div_zero 0
	.end_amdhsa_kernel
	.section	.text._ZN7rocprim17ROCPRIM_400000_NS6detail17trampoline_kernelINS0_14default_configENS1_27scan_by_key_config_selectorIj11FixedVectorIiLj4EEEEZZNS1_16scan_by_key_implILNS1_25lookback_scan_determinismE0ELb1ES3_N6thrust23THRUST_200600_302600_NS6detail15normal_iteratorINSB_10device_ptrIjEEEENSD_INSE_IS6_EEEESI_S6_NSB_4plusIvEENSB_8equal_toIvEES6_EE10hipError_tPvRmT2_T3_T4_T5_mT6_T7_P12ihipStream_tbENKUlT_T0_E_clISt17integral_constantIbLb1EES13_EEDaSY_SZ_EUlSY_E_NS1_11comp_targetILNS1_3genE5ELNS1_11target_archE942ELNS1_3gpuE9ELNS1_3repE0EEENS1_30default_config_static_selectorELNS0_4arch9wavefront6targetE1EEEvT1_,"axG",@progbits,_ZN7rocprim17ROCPRIM_400000_NS6detail17trampoline_kernelINS0_14default_configENS1_27scan_by_key_config_selectorIj11FixedVectorIiLj4EEEEZZNS1_16scan_by_key_implILNS1_25lookback_scan_determinismE0ELb1ES3_N6thrust23THRUST_200600_302600_NS6detail15normal_iteratorINSB_10device_ptrIjEEEENSD_INSE_IS6_EEEESI_S6_NSB_4plusIvEENSB_8equal_toIvEES6_EE10hipError_tPvRmT2_T3_T4_T5_mT6_T7_P12ihipStream_tbENKUlT_T0_E_clISt17integral_constantIbLb1EES13_EEDaSY_SZ_EUlSY_E_NS1_11comp_targetILNS1_3genE5ELNS1_11target_archE942ELNS1_3gpuE9ELNS1_3repE0EEENS1_30default_config_static_selectorELNS0_4arch9wavefront6targetE1EEEvT1_,comdat
.Lfunc_end2087:
	.size	_ZN7rocprim17ROCPRIM_400000_NS6detail17trampoline_kernelINS0_14default_configENS1_27scan_by_key_config_selectorIj11FixedVectorIiLj4EEEEZZNS1_16scan_by_key_implILNS1_25lookback_scan_determinismE0ELb1ES3_N6thrust23THRUST_200600_302600_NS6detail15normal_iteratorINSB_10device_ptrIjEEEENSD_INSE_IS6_EEEESI_S6_NSB_4plusIvEENSB_8equal_toIvEES6_EE10hipError_tPvRmT2_T3_T4_T5_mT6_T7_P12ihipStream_tbENKUlT_T0_E_clISt17integral_constantIbLb1EES13_EEDaSY_SZ_EUlSY_E_NS1_11comp_targetILNS1_3genE5ELNS1_11target_archE942ELNS1_3gpuE9ELNS1_3repE0EEENS1_30default_config_static_selectorELNS0_4arch9wavefront6targetE1EEEvT1_, .Lfunc_end2087-_ZN7rocprim17ROCPRIM_400000_NS6detail17trampoline_kernelINS0_14default_configENS1_27scan_by_key_config_selectorIj11FixedVectorIiLj4EEEEZZNS1_16scan_by_key_implILNS1_25lookback_scan_determinismE0ELb1ES3_N6thrust23THRUST_200600_302600_NS6detail15normal_iteratorINSB_10device_ptrIjEEEENSD_INSE_IS6_EEEESI_S6_NSB_4plusIvEENSB_8equal_toIvEES6_EE10hipError_tPvRmT2_T3_T4_T5_mT6_T7_P12ihipStream_tbENKUlT_T0_E_clISt17integral_constantIbLb1EES13_EEDaSY_SZ_EUlSY_E_NS1_11comp_targetILNS1_3genE5ELNS1_11target_archE942ELNS1_3gpuE9ELNS1_3repE0EEENS1_30default_config_static_selectorELNS0_4arch9wavefront6targetE1EEEvT1_
                                        ; -- End function
	.section	.AMDGPU.csdata,"",@progbits
; Kernel info:
; codeLenInByte = 42012
; NumSgprs: 91
; NumVgprs: 201
; NumAgprs: 0
; TotalNumVgprs: 201
; ScratchSize: 1344
; MemoryBound: 1
; FloatMode: 240
; IeeeMode: 1
; LDSByteSize: 47104 bytes/workgroup (compile time only)
; SGPRBlocks: 11
; VGPRBlocks: 25
; NumSGPRsForWavesPerEU: 91
; NumVGPRsForWavesPerEU: 201
; AccumOffset: 204
; Occupancy: 1
; WaveLimiterHint : 1
; COMPUTE_PGM_RSRC2:SCRATCH_EN: 1
; COMPUTE_PGM_RSRC2:USER_SGPR: 2
; COMPUTE_PGM_RSRC2:TRAP_HANDLER: 0
; COMPUTE_PGM_RSRC2:TGID_X_EN: 1
; COMPUTE_PGM_RSRC2:TGID_Y_EN: 0
; COMPUTE_PGM_RSRC2:TGID_Z_EN: 0
; COMPUTE_PGM_RSRC2:TIDIG_COMP_CNT: 0
; COMPUTE_PGM_RSRC3_GFX90A:ACCUM_OFFSET: 50
; COMPUTE_PGM_RSRC3_GFX90A:TG_SPLIT: 0
	.section	.text._ZN7rocprim17ROCPRIM_400000_NS6detail17trampoline_kernelINS0_14default_configENS1_27scan_by_key_config_selectorIj11FixedVectorIiLj4EEEEZZNS1_16scan_by_key_implILNS1_25lookback_scan_determinismE0ELb1ES3_N6thrust23THRUST_200600_302600_NS6detail15normal_iteratorINSB_10device_ptrIjEEEENSD_INSE_IS6_EEEESI_S6_NSB_4plusIvEENSB_8equal_toIvEES6_EE10hipError_tPvRmT2_T3_T4_T5_mT6_T7_P12ihipStream_tbENKUlT_T0_E_clISt17integral_constantIbLb1EES13_EEDaSY_SZ_EUlSY_E_NS1_11comp_targetILNS1_3genE4ELNS1_11target_archE910ELNS1_3gpuE8ELNS1_3repE0EEENS1_30default_config_static_selectorELNS0_4arch9wavefront6targetE1EEEvT1_,"axG",@progbits,_ZN7rocprim17ROCPRIM_400000_NS6detail17trampoline_kernelINS0_14default_configENS1_27scan_by_key_config_selectorIj11FixedVectorIiLj4EEEEZZNS1_16scan_by_key_implILNS1_25lookback_scan_determinismE0ELb1ES3_N6thrust23THRUST_200600_302600_NS6detail15normal_iteratorINSB_10device_ptrIjEEEENSD_INSE_IS6_EEEESI_S6_NSB_4plusIvEENSB_8equal_toIvEES6_EE10hipError_tPvRmT2_T3_T4_T5_mT6_T7_P12ihipStream_tbENKUlT_T0_E_clISt17integral_constantIbLb1EES13_EEDaSY_SZ_EUlSY_E_NS1_11comp_targetILNS1_3genE4ELNS1_11target_archE910ELNS1_3gpuE8ELNS1_3repE0EEENS1_30default_config_static_selectorELNS0_4arch9wavefront6targetE1EEEvT1_,comdat
	.protected	_ZN7rocprim17ROCPRIM_400000_NS6detail17trampoline_kernelINS0_14default_configENS1_27scan_by_key_config_selectorIj11FixedVectorIiLj4EEEEZZNS1_16scan_by_key_implILNS1_25lookback_scan_determinismE0ELb1ES3_N6thrust23THRUST_200600_302600_NS6detail15normal_iteratorINSB_10device_ptrIjEEEENSD_INSE_IS6_EEEESI_S6_NSB_4plusIvEENSB_8equal_toIvEES6_EE10hipError_tPvRmT2_T3_T4_T5_mT6_T7_P12ihipStream_tbENKUlT_T0_E_clISt17integral_constantIbLb1EES13_EEDaSY_SZ_EUlSY_E_NS1_11comp_targetILNS1_3genE4ELNS1_11target_archE910ELNS1_3gpuE8ELNS1_3repE0EEENS1_30default_config_static_selectorELNS0_4arch9wavefront6targetE1EEEvT1_ ; -- Begin function _ZN7rocprim17ROCPRIM_400000_NS6detail17trampoline_kernelINS0_14default_configENS1_27scan_by_key_config_selectorIj11FixedVectorIiLj4EEEEZZNS1_16scan_by_key_implILNS1_25lookback_scan_determinismE0ELb1ES3_N6thrust23THRUST_200600_302600_NS6detail15normal_iteratorINSB_10device_ptrIjEEEENSD_INSE_IS6_EEEESI_S6_NSB_4plusIvEENSB_8equal_toIvEES6_EE10hipError_tPvRmT2_T3_T4_T5_mT6_T7_P12ihipStream_tbENKUlT_T0_E_clISt17integral_constantIbLb1EES13_EEDaSY_SZ_EUlSY_E_NS1_11comp_targetILNS1_3genE4ELNS1_11target_archE910ELNS1_3gpuE8ELNS1_3repE0EEENS1_30default_config_static_selectorELNS0_4arch9wavefront6targetE1EEEvT1_
	.globl	_ZN7rocprim17ROCPRIM_400000_NS6detail17trampoline_kernelINS0_14default_configENS1_27scan_by_key_config_selectorIj11FixedVectorIiLj4EEEEZZNS1_16scan_by_key_implILNS1_25lookback_scan_determinismE0ELb1ES3_N6thrust23THRUST_200600_302600_NS6detail15normal_iteratorINSB_10device_ptrIjEEEENSD_INSE_IS6_EEEESI_S6_NSB_4plusIvEENSB_8equal_toIvEES6_EE10hipError_tPvRmT2_T3_T4_T5_mT6_T7_P12ihipStream_tbENKUlT_T0_E_clISt17integral_constantIbLb1EES13_EEDaSY_SZ_EUlSY_E_NS1_11comp_targetILNS1_3genE4ELNS1_11target_archE910ELNS1_3gpuE8ELNS1_3repE0EEENS1_30default_config_static_selectorELNS0_4arch9wavefront6targetE1EEEvT1_
	.p2align	8
	.type	_ZN7rocprim17ROCPRIM_400000_NS6detail17trampoline_kernelINS0_14default_configENS1_27scan_by_key_config_selectorIj11FixedVectorIiLj4EEEEZZNS1_16scan_by_key_implILNS1_25lookback_scan_determinismE0ELb1ES3_N6thrust23THRUST_200600_302600_NS6detail15normal_iteratorINSB_10device_ptrIjEEEENSD_INSE_IS6_EEEESI_S6_NSB_4plusIvEENSB_8equal_toIvEES6_EE10hipError_tPvRmT2_T3_T4_T5_mT6_T7_P12ihipStream_tbENKUlT_T0_E_clISt17integral_constantIbLb1EES13_EEDaSY_SZ_EUlSY_E_NS1_11comp_targetILNS1_3genE4ELNS1_11target_archE910ELNS1_3gpuE8ELNS1_3repE0EEENS1_30default_config_static_selectorELNS0_4arch9wavefront6targetE1EEEvT1_,@function
_ZN7rocprim17ROCPRIM_400000_NS6detail17trampoline_kernelINS0_14default_configENS1_27scan_by_key_config_selectorIj11FixedVectorIiLj4EEEEZZNS1_16scan_by_key_implILNS1_25lookback_scan_determinismE0ELb1ES3_N6thrust23THRUST_200600_302600_NS6detail15normal_iteratorINSB_10device_ptrIjEEEENSD_INSE_IS6_EEEESI_S6_NSB_4plusIvEENSB_8equal_toIvEES6_EE10hipError_tPvRmT2_T3_T4_T5_mT6_T7_P12ihipStream_tbENKUlT_T0_E_clISt17integral_constantIbLb1EES13_EEDaSY_SZ_EUlSY_E_NS1_11comp_targetILNS1_3genE4ELNS1_11target_archE910ELNS1_3gpuE8ELNS1_3repE0EEENS1_30default_config_static_selectorELNS0_4arch9wavefront6targetE1EEEvT1_: ; @_ZN7rocprim17ROCPRIM_400000_NS6detail17trampoline_kernelINS0_14default_configENS1_27scan_by_key_config_selectorIj11FixedVectorIiLj4EEEEZZNS1_16scan_by_key_implILNS1_25lookback_scan_determinismE0ELb1ES3_N6thrust23THRUST_200600_302600_NS6detail15normal_iteratorINSB_10device_ptrIjEEEENSD_INSE_IS6_EEEESI_S6_NSB_4plusIvEENSB_8equal_toIvEES6_EE10hipError_tPvRmT2_T3_T4_T5_mT6_T7_P12ihipStream_tbENKUlT_T0_E_clISt17integral_constantIbLb1EES13_EEDaSY_SZ_EUlSY_E_NS1_11comp_targetILNS1_3genE4ELNS1_11target_archE910ELNS1_3gpuE8ELNS1_3repE0EEENS1_30default_config_static_selectorELNS0_4arch9wavefront6targetE1EEEvT1_
; %bb.0:
	.section	.rodata,"a",@progbits
	.p2align	6, 0x0
	.amdhsa_kernel _ZN7rocprim17ROCPRIM_400000_NS6detail17trampoline_kernelINS0_14default_configENS1_27scan_by_key_config_selectorIj11FixedVectorIiLj4EEEEZZNS1_16scan_by_key_implILNS1_25lookback_scan_determinismE0ELb1ES3_N6thrust23THRUST_200600_302600_NS6detail15normal_iteratorINSB_10device_ptrIjEEEENSD_INSE_IS6_EEEESI_S6_NSB_4plusIvEENSB_8equal_toIvEES6_EE10hipError_tPvRmT2_T3_T4_T5_mT6_T7_P12ihipStream_tbENKUlT_T0_E_clISt17integral_constantIbLb1EES13_EEDaSY_SZ_EUlSY_E_NS1_11comp_targetILNS1_3genE4ELNS1_11target_archE910ELNS1_3gpuE8ELNS1_3repE0EEENS1_30default_config_static_selectorELNS0_4arch9wavefront6targetE1EEEvT1_
		.amdhsa_group_segment_fixed_size 0
		.amdhsa_private_segment_fixed_size 0
		.amdhsa_kernarg_size 144
		.amdhsa_user_sgpr_count 2
		.amdhsa_user_sgpr_dispatch_ptr 0
		.amdhsa_user_sgpr_queue_ptr 0
		.amdhsa_user_sgpr_kernarg_segment_ptr 1
		.amdhsa_user_sgpr_dispatch_id 0
		.amdhsa_user_sgpr_kernarg_preload_length 0
		.amdhsa_user_sgpr_kernarg_preload_offset 0
		.amdhsa_user_sgpr_private_segment_size 0
		.amdhsa_uses_dynamic_stack 0
		.amdhsa_enable_private_segment 0
		.amdhsa_system_sgpr_workgroup_id_x 1
		.amdhsa_system_sgpr_workgroup_id_y 0
		.amdhsa_system_sgpr_workgroup_id_z 0
		.amdhsa_system_sgpr_workgroup_info 0
		.amdhsa_system_vgpr_workitem_id 0
		.amdhsa_next_free_vgpr 1
		.amdhsa_next_free_sgpr 0
		.amdhsa_accum_offset 4
		.amdhsa_reserve_vcc 0
		.amdhsa_float_round_mode_32 0
		.amdhsa_float_round_mode_16_64 0
		.amdhsa_float_denorm_mode_32 3
		.amdhsa_float_denorm_mode_16_64 3
		.amdhsa_dx10_clamp 1
		.amdhsa_ieee_mode 1
		.amdhsa_fp16_overflow 0
		.amdhsa_tg_split 0
		.amdhsa_exception_fp_ieee_invalid_op 0
		.amdhsa_exception_fp_denorm_src 0
		.amdhsa_exception_fp_ieee_div_zero 0
		.amdhsa_exception_fp_ieee_overflow 0
		.amdhsa_exception_fp_ieee_underflow 0
		.amdhsa_exception_fp_ieee_inexact 0
		.amdhsa_exception_int_div_zero 0
	.end_amdhsa_kernel
	.section	.text._ZN7rocprim17ROCPRIM_400000_NS6detail17trampoline_kernelINS0_14default_configENS1_27scan_by_key_config_selectorIj11FixedVectorIiLj4EEEEZZNS1_16scan_by_key_implILNS1_25lookback_scan_determinismE0ELb1ES3_N6thrust23THRUST_200600_302600_NS6detail15normal_iteratorINSB_10device_ptrIjEEEENSD_INSE_IS6_EEEESI_S6_NSB_4plusIvEENSB_8equal_toIvEES6_EE10hipError_tPvRmT2_T3_T4_T5_mT6_T7_P12ihipStream_tbENKUlT_T0_E_clISt17integral_constantIbLb1EES13_EEDaSY_SZ_EUlSY_E_NS1_11comp_targetILNS1_3genE4ELNS1_11target_archE910ELNS1_3gpuE8ELNS1_3repE0EEENS1_30default_config_static_selectorELNS0_4arch9wavefront6targetE1EEEvT1_,"axG",@progbits,_ZN7rocprim17ROCPRIM_400000_NS6detail17trampoline_kernelINS0_14default_configENS1_27scan_by_key_config_selectorIj11FixedVectorIiLj4EEEEZZNS1_16scan_by_key_implILNS1_25lookback_scan_determinismE0ELb1ES3_N6thrust23THRUST_200600_302600_NS6detail15normal_iteratorINSB_10device_ptrIjEEEENSD_INSE_IS6_EEEESI_S6_NSB_4plusIvEENSB_8equal_toIvEES6_EE10hipError_tPvRmT2_T3_T4_T5_mT6_T7_P12ihipStream_tbENKUlT_T0_E_clISt17integral_constantIbLb1EES13_EEDaSY_SZ_EUlSY_E_NS1_11comp_targetILNS1_3genE4ELNS1_11target_archE910ELNS1_3gpuE8ELNS1_3repE0EEENS1_30default_config_static_selectorELNS0_4arch9wavefront6targetE1EEEvT1_,comdat
.Lfunc_end2088:
	.size	_ZN7rocprim17ROCPRIM_400000_NS6detail17trampoline_kernelINS0_14default_configENS1_27scan_by_key_config_selectorIj11FixedVectorIiLj4EEEEZZNS1_16scan_by_key_implILNS1_25lookback_scan_determinismE0ELb1ES3_N6thrust23THRUST_200600_302600_NS6detail15normal_iteratorINSB_10device_ptrIjEEEENSD_INSE_IS6_EEEESI_S6_NSB_4plusIvEENSB_8equal_toIvEES6_EE10hipError_tPvRmT2_T3_T4_T5_mT6_T7_P12ihipStream_tbENKUlT_T0_E_clISt17integral_constantIbLb1EES13_EEDaSY_SZ_EUlSY_E_NS1_11comp_targetILNS1_3genE4ELNS1_11target_archE910ELNS1_3gpuE8ELNS1_3repE0EEENS1_30default_config_static_selectorELNS0_4arch9wavefront6targetE1EEEvT1_, .Lfunc_end2088-_ZN7rocprim17ROCPRIM_400000_NS6detail17trampoline_kernelINS0_14default_configENS1_27scan_by_key_config_selectorIj11FixedVectorIiLj4EEEEZZNS1_16scan_by_key_implILNS1_25lookback_scan_determinismE0ELb1ES3_N6thrust23THRUST_200600_302600_NS6detail15normal_iteratorINSB_10device_ptrIjEEEENSD_INSE_IS6_EEEESI_S6_NSB_4plusIvEENSB_8equal_toIvEES6_EE10hipError_tPvRmT2_T3_T4_T5_mT6_T7_P12ihipStream_tbENKUlT_T0_E_clISt17integral_constantIbLb1EES13_EEDaSY_SZ_EUlSY_E_NS1_11comp_targetILNS1_3genE4ELNS1_11target_archE910ELNS1_3gpuE8ELNS1_3repE0EEENS1_30default_config_static_selectorELNS0_4arch9wavefront6targetE1EEEvT1_
                                        ; -- End function
	.section	.AMDGPU.csdata,"",@progbits
; Kernel info:
; codeLenInByte = 0
; NumSgprs: 6
; NumVgprs: 0
; NumAgprs: 0
; TotalNumVgprs: 0
; ScratchSize: 0
; MemoryBound: 0
; FloatMode: 240
; IeeeMode: 1
; LDSByteSize: 0 bytes/workgroup (compile time only)
; SGPRBlocks: 0
; VGPRBlocks: 0
; NumSGPRsForWavesPerEU: 6
; NumVGPRsForWavesPerEU: 1
; AccumOffset: 4
; Occupancy: 8
; WaveLimiterHint : 0
; COMPUTE_PGM_RSRC2:SCRATCH_EN: 0
; COMPUTE_PGM_RSRC2:USER_SGPR: 2
; COMPUTE_PGM_RSRC2:TRAP_HANDLER: 0
; COMPUTE_PGM_RSRC2:TGID_X_EN: 1
; COMPUTE_PGM_RSRC2:TGID_Y_EN: 0
; COMPUTE_PGM_RSRC2:TGID_Z_EN: 0
; COMPUTE_PGM_RSRC2:TIDIG_COMP_CNT: 0
; COMPUTE_PGM_RSRC3_GFX90A:ACCUM_OFFSET: 0
; COMPUTE_PGM_RSRC3_GFX90A:TG_SPLIT: 0
	.section	.text._ZN7rocprim17ROCPRIM_400000_NS6detail17trampoline_kernelINS0_14default_configENS1_27scan_by_key_config_selectorIj11FixedVectorIiLj4EEEEZZNS1_16scan_by_key_implILNS1_25lookback_scan_determinismE0ELb1ES3_N6thrust23THRUST_200600_302600_NS6detail15normal_iteratorINSB_10device_ptrIjEEEENSD_INSE_IS6_EEEESI_S6_NSB_4plusIvEENSB_8equal_toIvEES6_EE10hipError_tPvRmT2_T3_T4_T5_mT6_T7_P12ihipStream_tbENKUlT_T0_E_clISt17integral_constantIbLb1EES13_EEDaSY_SZ_EUlSY_E_NS1_11comp_targetILNS1_3genE3ELNS1_11target_archE908ELNS1_3gpuE7ELNS1_3repE0EEENS1_30default_config_static_selectorELNS0_4arch9wavefront6targetE1EEEvT1_,"axG",@progbits,_ZN7rocprim17ROCPRIM_400000_NS6detail17trampoline_kernelINS0_14default_configENS1_27scan_by_key_config_selectorIj11FixedVectorIiLj4EEEEZZNS1_16scan_by_key_implILNS1_25lookback_scan_determinismE0ELb1ES3_N6thrust23THRUST_200600_302600_NS6detail15normal_iteratorINSB_10device_ptrIjEEEENSD_INSE_IS6_EEEESI_S6_NSB_4plusIvEENSB_8equal_toIvEES6_EE10hipError_tPvRmT2_T3_T4_T5_mT6_T7_P12ihipStream_tbENKUlT_T0_E_clISt17integral_constantIbLb1EES13_EEDaSY_SZ_EUlSY_E_NS1_11comp_targetILNS1_3genE3ELNS1_11target_archE908ELNS1_3gpuE7ELNS1_3repE0EEENS1_30default_config_static_selectorELNS0_4arch9wavefront6targetE1EEEvT1_,comdat
	.protected	_ZN7rocprim17ROCPRIM_400000_NS6detail17trampoline_kernelINS0_14default_configENS1_27scan_by_key_config_selectorIj11FixedVectorIiLj4EEEEZZNS1_16scan_by_key_implILNS1_25lookback_scan_determinismE0ELb1ES3_N6thrust23THRUST_200600_302600_NS6detail15normal_iteratorINSB_10device_ptrIjEEEENSD_INSE_IS6_EEEESI_S6_NSB_4plusIvEENSB_8equal_toIvEES6_EE10hipError_tPvRmT2_T3_T4_T5_mT6_T7_P12ihipStream_tbENKUlT_T0_E_clISt17integral_constantIbLb1EES13_EEDaSY_SZ_EUlSY_E_NS1_11comp_targetILNS1_3genE3ELNS1_11target_archE908ELNS1_3gpuE7ELNS1_3repE0EEENS1_30default_config_static_selectorELNS0_4arch9wavefront6targetE1EEEvT1_ ; -- Begin function _ZN7rocprim17ROCPRIM_400000_NS6detail17trampoline_kernelINS0_14default_configENS1_27scan_by_key_config_selectorIj11FixedVectorIiLj4EEEEZZNS1_16scan_by_key_implILNS1_25lookback_scan_determinismE0ELb1ES3_N6thrust23THRUST_200600_302600_NS6detail15normal_iteratorINSB_10device_ptrIjEEEENSD_INSE_IS6_EEEESI_S6_NSB_4plusIvEENSB_8equal_toIvEES6_EE10hipError_tPvRmT2_T3_T4_T5_mT6_T7_P12ihipStream_tbENKUlT_T0_E_clISt17integral_constantIbLb1EES13_EEDaSY_SZ_EUlSY_E_NS1_11comp_targetILNS1_3genE3ELNS1_11target_archE908ELNS1_3gpuE7ELNS1_3repE0EEENS1_30default_config_static_selectorELNS0_4arch9wavefront6targetE1EEEvT1_
	.globl	_ZN7rocprim17ROCPRIM_400000_NS6detail17trampoline_kernelINS0_14default_configENS1_27scan_by_key_config_selectorIj11FixedVectorIiLj4EEEEZZNS1_16scan_by_key_implILNS1_25lookback_scan_determinismE0ELb1ES3_N6thrust23THRUST_200600_302600_NS6detail15normal_iteratorINSB_10device_ptrIjEEEENSD_INSE_IS6_EEEESI_S6_NSB_4plusIvEENSB_8equal_toIvEES6_EE10hipError_tPvRmT2_T3_T4_T5_mT6_T7_P12ihipStream_tbENKUlT_T0_E_clISt17integral_constantIbLb1EES13_EEDaSY_SZ_EUlSY_E_NS1_11comp_targetILNS1_3genE3ELNS1_11target_archE908ELNS1_3gpuE7ELNS1_3repE0EEENS1_30default_config_static_selectorELNS0_4arch9wavefront6targetE1EEEvT1_
	.p2align	8
	.type	_ZN7rocprim17ROCPRIM_400000_NS6detail17trampoline_kernelINS0_14default_configENS1_27scan_by_key_config_selectorIj11FixedVectorIiLj4EEEEZZNS1_16scan_by_key_implILNS1_25lookback_scan_determinismE0ELb1ES3_N6thrust23THRUST_200600_302600_NS6detail15normal_iteratorINSB_10device_ptrIjEEEENSD_INSE_IS6_EEEESI_S6_NSB_4plusIvEENSB_8equal_toIvEES6_EE10hipError_tPvRmT2_T3_T4_T5_mT6_T7_P12ihipStream_tbENKUlT_T0_E_clISt17integral_constantIbLb1EES13_EEDaSY_SZ_EUlSY_E_NS1_11comp_targetILNS1_3genE3ELNS1_11target_archE908ELNS1_3gpuE7ELNS1_3repE0EEENS1_30default_config_static_selectorELNS0_4arch9wavefront6targetE1EEEvT1_,@function
_ZN7rocprim17ROCPRIM_400000_NS6detail17trampoline_kernelINS0_14default_configENS1_27scan_by_key_config_selectorIj11FixedVectorIiLj4EEEEZZNS1_16scan_by_key_implILNS1_25lookback_scan_determinismE0ELb1ES3_N6thrust23THRUST_200600_302600_NS6detail15normal_iteratorINSB_10device_ptrIjEEEENSD_INSE_IS6_EEEESI_S6_NSB_4plusIvEENSB_8equal_toIvEES6_EE10hipError_tPvRmT2_T3_T4_T5_mT6_T7_P12ihipStream_tbENKUlT_T0_E_clISt17integral_constantIbLb1EES13_EEDaSY_SZ_EUlSY_E_NS1_11comp_targetILNS1_3genE3ELNS1_11target_archE908ELNS1_3gpuE7ELNS1_3repE0EEENS1_30default_config_static_selectorELNS0_4arch9wavefront6targetE1EEEvT1_: ; @_ZN7rocprim17ROCPRIM_400000_NS6detail17trampoline_kernelINS0_14default_configENS1_27scan_by_key_config_selectorIj11FixedVectorIiLj4EEEEZZNS1_16scan_by_key_implILNS1_25lookback_scan_determinismE0ELb1ES3_N6thrust23THRUST_200600_302600_NS6detail15normal_iteratorINSB_10device_ptrIjEEEENSD_INSE_IS6_EEEESI_S6_NSB_4plusIvEENSB_8equal_toIvEES6_EE10hipError_tPvRmT2_T3_T4_T5_mT6_T7_P12ihipStream_tbENKUlT_T0_E_clISt17integral_constantIbLb1EES13_EEDaSY_SZ_EUlSY_E_NS1_11comp_targetILNS1_3genE3ELNS1_11target_archE908ELNS1_3gpuE7ELNS1_3repE0EEENS1_30default_config_static_selectorELNS0_4arch9wavefront6targetE1EEEvT1_
; %bb.0:
	.section	.rodata,"a",@progbits
	.p2align	6, 0x0
	.amdhsa_kernel _ZN7rocprim17ROCPRIM_400000_NS6detail17trampoline_kernelINS0_14default_configENS1_27scan_by_key_config_selectorIj11FixedVectorIiLj4EEEEZZNS1_16scan_by_key_implILNS1_25lookback_scan_determinismE0ELb1ES3_N6thrust23THRUST_200600_302600_NS6detail15normal_iteratorINSB_10device_ptrIjEEEENSD_INSE_IS6_EEEESI_S6_NSB_4plusIvEENSB_8equal_toIvEES6_EE10hipError_tPvRmT2_T3_T4_T5_mT6_T7_P12ihipStream_tbENKUlT_T0_E_clISt17integral_constantIbLb1EES13_EEDaSY_SZ_EUlSY_E_NS1_11comp_targetILNS1_3genE3ELNS1_11target_archE908ELNS1_3gpuE7ELNS1_3repE0EEENS1_30default_config_static_selectorELNS0_4arch9wavefront6targetE1EEEvT1_
		.amdhsa_group_segment_fixed_size 0
		.amdhsa_private_segment_fixed_size 0
		.amdhsa_kernarg_size 144
		.amdhsa_user_sgpr_count 2
		.amdhsa_user_sgpr_dispatch_ptr 0
		.amdhsa_user_sgpr_queue_ptr 0
		.amdhsa_user_sgpr_kernarg_segment_ptr 1
		.amdhsa_user_sgpr_dispatch_id 0
		.amdhsa_user_sgpr_kernarg_preload_length 0
		.amdhsa_user_sgpr_kernarg_preload_offset 0
		.amdhsa_user_sgpr_private_segment_size 0
		.amdhsa_uses_dynamic_stack 0
		.amdhsa_enable_private_segment 0
		.amdhsa_system_sgpr_workgroup_id_x 1
		.amdhsa_system_sgpr_workgroup_id_y 0
		.amdhsa_system_sgpr_workgroup_id_z 0
		.amdhsa_system_sgpr_workgroup_info 0
		.amdhsa_system_vgpr_workitem_id 0
		.amdhsa_next_free_vgpr 1
		.amdhsa_next_free_sgpr 0
		.amdhsa_accum_offset 4
		.amdhsa_reserve_vcc 0
		.amdhsa_float_round_mode_32 0
		.amdhsa_float_round_mode_16_64 0
		.amdhsa_float_denorm_mode_32 3
		.amdhsa_float_denorm_mode_16_64 3
		.amdhsa_dx10_clamp 1
		.amdhsa_ieee_mode 1
		.amdhsa_fp16_overflow 0
		.amdhsa_tg_split 0
		.amdhsa_exception_fp_ieee_invalid_op 0
		.amdhsa_exception_fp_denorm_src 0
		.amdhsa_exception_fp_ieee_div_zero 0
		.amdhsa_exception_fp_ieee_overflow 0
		.amdhsa_exception_fp_ieee_underflow 0
		.amdhsa_exception_fp_ieee_inexact 0
		.amdhsa_exception_int_div_zero 0
	.end_amdhsa_kernel
	.section	.text._ZN7rocprim17ROCPRIM_400000_NS6detail17trampoline_kernelINS0_14default_configENS1_27scan_by_key_config_selectorIj11FixedVectorIiLj4EEEEZZNS1_16scan_by_key_implILNS1_25lookback_scan_determinismE0ELb1ES3_N6thrust23THRUST_200600_302600_NS6detail15normal_iteratorINSB_10device_ptrIjEEEENSD_INSE_IS6_EEEESI_S6_NSB_4plusIvEENSB_8equal_toIvEES6_EE10hipError_tPvRmT2_T3_T4_T5_mT6_T7_P12ihipStream_tbENKUlT_T0_E_clISt17integral_constantIbLb1EES13_EEDaSY_SZ_EUlSY_E_NS1_11comp_targetILNS1_3genE3ELNS1_11target_archE908ELNS1_3gpuE7ELNS1_3repE0EEENS1_30default_config_static_selectorELNS0_4arch9wavefront6targetE1EEEvT1_,"axG",@progbits,_ZN7rocprim17ROCPRIM_400000_NS6detail17trampoline_kernelINS0_14default_configENS1_27scan_by_key_config_selectorIj11FixedVectorIiLj4EEEEZZNS1_16scan_by_key_implILNS1_25lookback_scan_determinismE0ELb1ES3_N6thrust23THRUST_200600_302600_NS6detail15normal_iteratorINSB_10device_ptrIjEEEENSD_INSE_IS6_EEEESI_S6_NSB_4plusIvEENSB_8equal_toIvEES6_EE10hipError_tPvRmT2_T3_T4_T5_mT6_T7_P12ihipStream_tbENKUlT_T0_E_clISt17integral_constantIbLb1EES13_EEDaSY_SZ_EUlSY_E_NS1_11comp_targetILNS1_3genE3ELNS1_11target_archE908ELNS1_3gpuE7ELNS1_3repE0EEENS1_30default_config_static_selectorELNS0_4arch9wavefront6targetE1EEEvT1_,comdat
.Lfunc_end2089:
	.size	_ZN7rocprim17ROCPRIM_400000_NS6detail17trampoline_kernelINS0_14default_configENS1_27scan_by_key_config_selectorIj11FixedVectorIiLj4EEEEZZNS1_16scan_by_key_implILNS1_25lookback_scan_determinismE0ELb1ES3_N6thrust23THRUST_200600_302600_NS6detail15normal_iteratorINSB_10device_ptrIjEEEENSD_INSE_IS6_EEEESI_S6_NSB_4plusIvEENSB_8equal_toIvEES6_EE10hipError_tPvRmT2_T3_T4_T5_mT6_T7_P12ihipStream_tbENKUlT_T0_E_clISt17integral_constantIbLb1EES13_EEDaSY_SZ_EUlSY_E_NS1_11comp_targetILNS1_3genE3ELNS1_11target_archE908ELNS1_3gpuE7ELNS1_3repE0EEENS1_30default_config_static_selectorELNS0_4arch9wavefront6targetE1EEEvT1_, .Lfunc_end2089-_ZN7rocprim17ROCPRIM_400000_NS6detail17trampoline_kernelINS0_14default_configENS1_27scan_by_key_config_selectorIj11FixedVectorIiLj4EEEEZZNS1_16scan_by_key_implILNS1_25lookback_scan_determinismE0ELb1ES3_N6thrust23THRUST_200600_302600_NS6detail15normal_iteratorINSB_10device_ptrIjEEEENSD_INSE_IS6_EEEESI_S6_NSB_4plusIvEENSB_8equal_toIvEES6_EE10hipError_tPvRmT2_T3_T4_T5_mT6_T7_P12ihipStream_tbENKUlT_T0_E_clISt17integral_constantIbLb1EES13_EEDaSY_SZ_EUlSY_E_NS1_11comp_targetILNS1_3genE3ELNS1_11target_archE908ELNS1_3gpuE7ELNS1_3repE0EEENS1_30default_config_static_selectorELNS0_4arch9wavefront6targetE1EEEvT1_
                                        ; -- End function
	.section	.AMDGPU.csdata,"",@progbits
; Kernel info:
; codeLenInByte = 0
; NumSgprs: 6
; NumVgprs: 0
; NumAgprs: 0
; TotalNumVgprs: 0
; ScratchSize: 0
; MemoryBound: 0
; FloatMode: 240
; IeeeMode: 1
; LDSByteSize: 0 bytes/workgroup (compile time only)
; SGPRBlocks: 0
; VGPRBlocks: 0
; NumSGPRsForWavesPerEU: 6
; NumVGPRsForWavesPerEU: 1
; AccumOffset: 4
; Occupancy: 8
; WaveLimiterHint : 0
; COMPUTE_PGM_RSRC2:SCRATCH_EN: 0
; COMPUTE_PGM_RSRC2:USER_SGPR: 2
; COMPUTE_PGM_RSRC2:TRAP_HANDLER: 0
; COMPUTE_PGM_RSRC2:TGID_X_EN: 1
; COMPUTE_PGM_RSRC2:TGID_Y_EN: 0
; COMPUTE_PGM_RSRC2:TGID_Z_EN: 0
; COMPUTE_PGM_RSRC2:TIDIG_COMP_CNT: 0
; COMPUTE_PGM_RSRC3_GFX90A:ACCUM_OFFSET: 0
; COMPUTE_PGM_RSRC3_GFX90A:TG_SPLIT: 0
	.section	.text._ZN7rocprim17ROCPRIM_400000_NS6detail17trampoline_kernelINS0_14default_configENS1_27scan_by_key_config_selectorIj11FixedVectorIiLj4EEEEZZNS1_16scan_by_key_implILNS1_25lookback_scan_determinismE0ELb1ES3_N6thrust23THRUST_200600_302600_NS6detail15normal_iteratorINSB_10device_ptrIjEEEENSD_INSE_IS6_EEEESI_S6_NSB_4plusIvEENSB_8equal_toIvEES6_EE10hipError_tPvRmT2_T3_T4_T5_mT6_T7_P12ihipStream_tbENKUlT_T0_E_clISt17integral_constantIbLb1EES13_EEDaSY_SZ_EUlSY_E_NS1_11comp_targetILNS1_3genE2ELNS1_11target_archE906ELNS1_3gpuE6ELNS1_3repE0EEENS1_30default_config_static_selectorELNS0_4arch9wavefront6targetE1EEEvT1_,"axG",@progbits,_ZN7rocprim17ROCPRIM_400000_NS6detail17trampoline_kernelINS0_14default_configENS1_27scan_by_key_config_selectorIj11FixedVectorIiLj4EEEEZZNS1_16scan_by_key_implILNS1_25lookback_scan_determinismE0ELb1ES3_N6thrust23THRUST_200600_302600_NS6detail15normal_iteratorINSB_10device_ptrIjEEEENSD_INSE_IS6_EEEESI_S6_NSB_4plusIvEENSB_8equal_toIvEES6_EE10hipError_tPvRmT2_T3_T4_T5_mT6_T7_P12ihipStream_tbENKUlT_T0_E_clISt17integral_constantIbLb1EES13_EEDaSY_SZ_EUlSY_E_NS1_11comp_targetILNS1_3genE2ELNS1_11target_archE906ELNS1_3gpuE6ELNS1_3repE0EEENS1_30default_config_static_selectorELNS0_4arch9wavefront6targetE1EEEvT1_,comdat
	.protected	_ZN7rocprim17ROCPRIM_400000_NS6detail17trampoline_kernelINS0_14default_configENS1_27scan_by_key_config_selectorIj11FixedVectorIiLj4EEEEZZNS1_16scan_by_key_implILNS1_25lookback_scan_determinismE0ELb1ES3_N6thrust23THRUST_200600_302600_NS6detail15normal_iteratorINSB_10device_ptrIjEEEENSD_INSE_IS6_EEEESI_S6_NSB_4plusIvEENSB_8equal_toIvEES6_EE10hipError_tPvRmT2_T3_T4_T5_mT6_T7_P12ihipStream_tbENKUlT_T0_E_clISt17integral_constantIbLb1EES13_EEDaSY_SZ_EUlSY_E_NS1_11comp_targetILNS1_3genE2ELNS1_11target_archE906ELNS1_3gpuE6ELNS1_3repE0EEENS1_30default_config_static_selectorELNS0_4arch9wavefront6targetE1EEEvT1_ ; -- Begin function _ZN7rocprim17ROCPRIM_400000_NS6detail17trampoline_kernelINS0_14default_configENS1_27scan_by_key_config_selectorIj11FixedVectorIiLj4EEEEZZNS1_16scan_by_key_implILNS1_25lookback_scan_determinismE0ELb1ES3_N6thrust23THRUST_200600_302600_NS6detail15normal_iteratorINSB_10device_ptrIjEEEENSD_INSE_IS6_EEEESI_S6_NSB_4plusIvEENSB_8equal_toIvEES6_EE10hipError_tPvRmT2_T3_T4_T5_mT6_T7_P12ihipStream_tbENKUlT_T0_E_clISt17integral_constantIbLb1EES13_EEDaSY_SZ_EUlSY_E_NS1_11comp_targetILNS1_3genE2ELNS1_11target_archE906ELNS1_3gpuE6ELNS1_3repE0EEENS1_30default_config_static_selectorELNS0_4arch9wavefront6targetE1EEEvT1_
	.globl	_ZN7rocprim17ROCPRIM_400000_NS6detail17trampoline_kernelINS0_14default_configENS1_27scan_by_key_config_selectorIj11FixedVectorIiLj4EEEEZZNS1_16scan_by_key_implILNS1_25lookback_scan_determinismE0ELb1ES3_N6thrust23THRUST_200600_302600_NS6detail15normal_iteratorINSB_10device_ptrIjEEEENSD_INSE_IS6_EEEESI_S6_NSB_4plusIvEENSB_8equal_toIvEES6_EE10hipError_tPvRmT2_T3_T4_T5_mT6_T7_P12ihipStream_tbENKUlT_T0_E_clISt17integral_constantIbLb1EES13_EEDaSY_SZ_EUlSY_E_NS1_11comp_targetILNS1_3genE2ELNS1_11target_archE906ELNS1_3gpuE6ELNS1_3repE0EEENS1_30default_config_static_selectorELNS0_4arch9wavefront6targetE1EEEvT1_
	.p2align	8
	.type	_ZN7rocprim17ROCPRIM_400000_NS6detail17trampoline_kernelINS0_14default_configENS1_27scan_by_key_config_selectorIj11FixedVectorIiLj4EEEEZZNS1_16scan_by_key_implILNS1_25lookback_scan_determinismE0ELb1ES3_N6thrust23THRUST_200600_302600_NS6detail15normal_iteratorINSB_10device_ptrIjEEEENSD_INSE_IS6_EEEESI_S6_NSB_4plusIvEENSB_8equal_toIvEES6_EE10hipError_tPvRmT2_T3_T4_T5_mT6_T7_P12ihipStream_tbENKUlT_T0_E_clISt17integral_constantIbLb1EES13_EEDaSY_SZ_EUlSY_E_NS1_11comp_targetILNS1_3genE2ELNS1_11target_archE906ELNS1_3gpuE6ELNS1_3repE0EEENS1_30default_config_static_selectorELNS0_4arch9wavefront6targetE1EEEvT1_,@function
_ZN7rocprim17ROCPRIM_400000_NS6detail17trampoline_kernelINS0_14default_configENS1_27scan_by_key_config_selectorIj11FixedVectorIiLj4EEEEZZNS1_16scan_by_key_implILNS1_25lookback_scan_determinismE0ELb1ES3_N6thrust23THRUST_200600_302600_NS6detail15normal_iteratorINSB_10device_ptrIjEEEENSD_INSE_IS6_EEEESI_S6_NSB_4plusIvEENSB_8equal_toIvEES6_EE10hipError_tPvRmT2_T3_T4_T5_mT6_T7_P12ihipStream_tbENKUlT_T0_E_clISt17integral_constantIbLb1EES13_EEDaSY_SZ_EUlSY_E_NS1_11comp_targetILNS1_3genE2ELNS1_11target_archE906ELNS1_3gpuE6ELNS1_3repE0EEENS1_30default_config_static_selectorELNS0_4arch9wavefront6targetE1EEEvT1_: ; @_ZN7rocprim17ROCPRIM_400000_NS6detail17trampoline_kernelINS0_14default_configENS1_27scan_by_key_config_selectorIj11FixedVectorIiLj4EEEEZZNS1_16scan_by_key_implILNS1_25lookback_scan_determinismE0ELb1ES3_N6thrust23THRUST_200600_302600_NS6detail15normal_iteratorINSB_10device_ptrIjEEEENSD_INSE_IS6_EEEESI_S6_NSB_4plusIvEENSB_8equal_toIvEES6_EE10hipError_tPvRmT2_T3_T4_T5_mT6_T7_P12ihipStream_tbENKUlT_T0_E_clISt17integral_constantIbLb1EES13_EEDaSY_SZ_EUlSY_E_NS1_11comp_targetILNS1_3genE2ELNS1_11target_archE906ELNS1_3gpuE6ELNS1_3repE0EEENS1_30default_config_static_selectorELNS0_4arch9wavefront6targetE1EEEvT1_
; %bb.0:
	.section	.rodata,"a",@progbits
	.p2align	6, 0x0
	.amdhsa_kernel _ZN7rocprim17ROCPRIM_400000_NS6detail17trampoline_kernelINS0_14default_configENS1_27scan_by_key_config_selectorIj11FixedVectorIiLj4EEEEZZNS1_16scan_by_key_implILNS1_25lookback_scan_determinismE0ELb1ES3_N6thrust23THRUST_200600_302600_NS6detail15normal_iteratorINSB_10device_ptrIjEEEENSD_INSE_IS6_EEEESI_S6_NSB_4plusIvEENSB_8equal_toIvEES6_EE10hipError_tPvRmT2_T3_T4_T5_mT6_T7_P12ihipStream_tbENKUlT_T0_E_clISt17integral_constantIbLb1EES13_EEDaSY_SZ_EUlSY_E_NS1_11comp_targetILNS1_3genE2ELNS1_11target_archE906ELNS1_3gpuE6ELNS1_3repE0EEENS1_30default_config_static_selectorELNS0_4arch9wavefront6targetE1EEEvT1_
		.amdhsa_group_segment_fixed_size 0
		.amdhsa_private_segment_fixed_size 0
		.amdhsa_kernarg_size 144
		.amdhsa_user_sgpr_count 2
		.amdhsa_user_sgpr_dispatch_ptr 0
		.amdhsa_user_sgpr_queue_ptr 0
		.amdhsa_user_sgpr_kernarg_segment_ptr 1
		.amdhsa_user_sgpr_dispatch_id 0
		.amdhsa_user_sgpr_kernarg_preload_length 0
		.amdhsa_user_sgpr_kernarg_preload_offset 0
		.amdhsa_user_sgpr_private_segment_size 0
		.amdhsa_uses_dynamic_stack 0
		.amdhsa_enable_private_segment 0
		.amdhsa_system_sgpr_workgroup_id_x 1
		.amdhsa_system_sgpr_workgroup_id_y 0
		.amdhsa_system_sgpr_workgroup_id_z 0
		.amdhsa_system_sgpr_workgroup_info 0
		.amdhsa_system_vgpr_workitem_id 0
		.amdhsa_next_free_vgpr 1
		.amdhsa_next_free_sgpr 0
		.amdhsa_accum_offset 4
		.amdhsa_reserve_vcc 0
		.amdhsa_float_round_mode_32 0
		.amdhsa_float_round_mode_16_64 0
		.amdhsa_float_denorm_mode_32 3
		.amdhsa_float_denorm_mode_16_64 3
		.amdhsa_dx10_clamp 1
		.amdhsa_ieee_mode 1
		.amdhsa_fp16_overflow 0
		.amdhsa_tg_split 0
		.amdhsa_exception_fp_ieee_invalid_op 0
		.amdhsa_exception_fp_denorm_src 0
		.amdhsa_exception_fp_ieee_div_zero 0
		.amdhsa_exception_fp_ieee_overflow 0
		.amdhsa_exception_fp_ieee_underflow 0
		.amdhsa_exception_fp_ieee_inexact 0
		.amdhsa_exception_int_div_zero 0
	.end_amdhsa_kernel
	.section	.text._ZN7rocprim17ROCPRIM_400000_NS6detail17trampoline_kernelINS0_14default_configENS1_27scan_by_key_config_selectorIj11FixedVectorIiLj4EEEEZZNS1_16scan_by_key_implILNS1_25lookback_scan_determinismE0ELb1ES3_N6thrust23THRUST_200600_302600_NS6detail15normal_iteratorINSB_10device_ptrIjEEEENSD_INSE_IS6_EEEESI_S6_NSB_4plusIvEENSB_8equal_toIvEES6_EE10hipError_tPvRmT2_T3_T4_T5_mT6_T7_P12ihipStream_tbENKUlT_T0_E_clISt17integral_constantIbLb1EES13_EEDaSY_SZ_EUlSY_E_NS1_11comp_targetILNS1_3genE2ELNS1_11target_archE906ELNS1_3gpuE6ELNS1_3repE0EEENS1_30default_config_static_selectorELNS0_4arch9wavefront6targetE1EEEvT1_,"axG",@progbits,_ZN7rocprim17ROCPRIM_400000_NS6detail17trampoline_kernelINS0_14default_configENS1_27scan_by_key_config_selectorIj11FixedVectorIiLj4EEEEZZNS1_16scan_by_key_implILNS1_25lookback_scan_determinismE0ELb1ES3_N6thrust23THRUST_200600_302600_NS6detail15normal_iteratorINSB_10device_ptrIjEEEENSD_INSE_IS6_EEEESI_S6_NSB_4plusIvEENSB_8equal_toIvEES6_EE10hipError_tPvRmT2_T3_T4_T5_mT6_T7_P12ihipStream_tbENKUlT_T0_E_clISt17integral_constantIbLb1EES13_EEDaSY_SZ_EUlSY_E_NS1_11comp_targetILNS1_3genE2ELNS1_11target_archE906ELNS1_3gpuE6ELNS1_3repE0EEENS1_30default_config_static_selectorELNS0_4arch9wavefront6targetE1EEEvT1_,comdat
.Lfunc_end2090:
	.size	_ZN7rocprim17ROCPRIM_400000_NS6detail17trampoline_kernelINS0_14default_configENS1_27scan_by_key_config_selectorIj11FixedVectorIiLj4EEEEZZNS1_16scan_by_key_implILNS1_25lookback_scan_determinismE0ELb1ES3_N6thrust23THRUST_200600_302600_NS6detail15normal_iteratorINSB_10device_ptrIjEEEENSD_INSE_IS6_EEEESI_S6_NSB_4plusIvEENSB_8equal_toIvEES6_EE10hipError_tPvRmT2_T3_T4_T5_mT6_T7_P12ihipStream_tbENKUlT_T0_E_clISt17integral_constantIbLb1EES13_EEDaSY_SZ_EUlSY_E_NS1_11comp_targetILNS1_3genE2ELNS1_11target_archE906ELNS1_3gpuE6ELNS1_3repE0EEENS1_30default_config_static_selectorELNS0_4arch9wavefront6targetE1EEEvT1_, .Lfunc_end2090-_ZN7rocprim17ROCPRIM_400000_NS6detail17trampoline_kernelINS0_14default_configENS1_27scan_by_key_config_selectorIj11FixedVectorIiLj4EEEEZZNS1_16scan_by_key_implILNS1_25lookback_scan_determinismE0ELb1ES3_N6thrust23THRUST_200600_302600_NS6detail15normal_iteratorINSB_10device_ptrIjEEEENSD_INSE_IS6_EEEESI_S6_NSB_4plusIvEENSB_8equal_toIvEES6_EE10hipError_tPvRmT2_T3_T4_T5_mT6_T7_P12ihipStream_tbENKUlT_T0_E_clISt17integral_constantIbLb1EES13_EEDaSY_SZ_EUlSY_E_NS1_11comp_targetILNS1_3genE2ELNS1_11target_archE906ELNS1_3gpuE6ELNS1_3repE0EEENS1_30default_config_static_selectorELNS0_4arch9wavefront6targetE1EEEvT1_
                                        ; -- End function
	.section	.AMDGPU.csdata,"",@progbits
; Kernel info:
; codeLenInByte = 0
; NumSgprs: 6
; NumVgprs: 0
; NumAgprs: 0
; TotalNumVgprs: 0
; ScratchSize: 0
; MemoryBound: 0
; FloatMode: 240
; IeeeMode: 1
; LDSByteSize: 0 bytes/workgroup (compile time only)
; SGPRBlocks: 0
; VGPRBlocks: 0
; NumSGPRsForWavesPerEU: 6
; NumVGPRsForWavesPerEU: 1
; AccumOffset: 4
; Occupancy: 8
; WaveLimiterHint : 0
; COMPUTE_PGM_RSRC2:SCRATCH_EN: 0
; COMPUTE_PGM_RSRC2:USER_SGPR: 2
; COMPUTE_PGM_RSRC2:TRAP_HANDLER: 0
; COMPUTE_PGM_RSRC2:TGID_X_EN: 1
; COMPUTE_PGM_RSRC2:TGID_Y_EN: 0
; COMPUTE_PGM_RSRC2:TGID_Z_EN: 0
; COMPUTE_PGM_RSRC2:TIDIG_COMP_CNT: 0
; COMPUTE_PGM_RSRC3_GFX90A:ACCUM_OFFSET: 0
; COMPUTE_PGM_RSRC3_GFX90A:TG_SPLIT: 0
	.section	.text._ZN7rocprim17ROCPRIM_400000_NS6detail17trampoline_kernelINS0_14default_configENS1_27scan_by_key_config_selectorIj11FixedVectorIiLj4EEEEZZNS1_16scan_by_key_implILNS1_25lookback_scan_determinismE0ELb1ES3_N6thrust23THRUST_200600_302600_NS6detail15normal_iteratorINSB_10device_ptrIjEEEENSD_INSE_IS6_EEEESI_S6_NSB_4plusIvEENSB_8equal_toIvEES6_EE10hipError_tPvRmT2_T3_T4_T5_mT6_T7_P12ihipStream_tbENKUlT_T0_E_clISt17integral_constantIbLb1EES13_EEDaSY_SZ_EUlSY_E_NS1_11comp_targetILNS1_3genE10ELNS1_11target_archE1200ELNS1_3gpuE4ELNS1_3repE0EEENS1_30default_config_static_selectorELNS0_4arch9wavefront6targetE1EEEvT1_,"axG",@progbits,_ZN7rocprim17ROCPRIM_400000_NS6detail17trampoline_kernelINS0_14default_configENS1_27scan_by_key_config_selectorIj11FixedVectorIiLj4EEEEZZNS1_16scan_by_key_implILNS1_25lookback_scan_determinismE0ELb1ES3_N6thrust23THRUST_200600_302600_NS6detail15normal_iteratorINSB_10device_ptrIjEEEENSD_INSE_IS6_EEEESI_S6_NSB_4plusIvEENSB_8equal_toIvEES6_EE10hipError_tPvRmT2_T3_T4_T5_mT6_T7_P12ihipStream_tbENKUlT_T0_E_clISt17integral_constantIbLb1EES13_EEDaSY_SZ_EUlSY_E_NS1_11comp_targetILNS1_3genE10ELNS1_11target_archE1200ELNS1_3gpuE4ELNS1_3repE0EEENS1_30default_config_static_selectorELNS0_4arch9wavefront6targetE1EEEvT1_,comdat
	.protected	_ZN7rocprim17ROCPRIM_400000_NS6detail17trampoline_kernelINS0_14default_configENS1_27scan_by_key_config_selectorIj11FixedVectorIiLj4EEEEZZNS1_16scan_by_key_implILNS1_25lookback_scan_determinismE0ELb1ES3_N6thrust23THRUST_200600_302600_NS6detail15normal_iteratorINSB_10device_ptrIjEEEENSD_INSE_IS6_EEEESI_S6_NSB_4plusIvEENSB_8equal_toIvEES6_EE10hipError_tPvRmT2_T3_T4_T5_mT6_T7_P12ihipStream_tbENKUlT_T0_E_clISt17integral_constantIbLb1EES13_EEDaSY_SZ_EUlSY_E_NS1_11comp_targetILNS1_3genE10ELNS1_11target_archE1200ELNS1_3gpuE4ELNS1_3repE0EEENS1_30default_config_static_selectorELNS0_4arch9wavefront6targetE1EEEvT1_ ; -- Begin function _ZN7rocprim17ROCPRIM_400000_NS6detail17trampoline_kernelINS0_14default_configENS1_27scan_by_key_config_selectorIj11FixedVectorIiLj4EEEEZZNS1_16scan_by_key_implILNS1_25lookback_scan_determinismE0ELb1ES3_N6thrust23THRUST_200600_302600_NS6detail15normal_iteratorINSB_10device_ptrIjEEEENSD_INSE_IS6_EEEESI_S6_NSB_4plusIvEENSB_8equal_toIvEES6_EE10hipError_tPvRmT2_T3_T4_T5_mT6_T7_P12ihipStream_tbENKUlT_T0_E_clISt17integral_constantIbLb1EES13_EEDaSY_SZ_EUlSY_E_NS1_11comp_targetILNS1_3genE10ELNS1_11target_archE1200ELNS1_3gpuE4ELNS1_3repE0EEENS1_30default_config_static_selectorELNS0_4arch9wavefront6targetE1EEEvT1_
	.globl	_ZN7rocprim17ROCPRIM_400000_NS6detail17trampoline_kernelINS0_14default_configENS1_27scan_by_key_config_selectorIj11FixedVectorIiLj4EEEEZZNS1_16scan_by_key_implILNS1_25lookback_scan_determinismE0ELb1ES3_N6thrust23THRUST_200600_302600_NS6detail15normal_iteratorINSB_10device_ptrIjEEEENSD_INSE_IS6_EEEESI_S6_NSB_4plusIvEENSB_8equal_toIvEES6_EE10hipError_tPvRmT2_T3_T4_T5_mT6_T7_P12ihipStream_tbENKUlT_T0_E_clISt17integral_constantIbLb1EES13_EEDaSY_SZ_EUlSY_E_NS1_11comp_targetILNS1_3genE10ELNS1_11target_archE1200ELNS1_3gpuE4ELNS1_3repE0EEENS1_30default_config_static_selectorELNS0_4arch9wavefront6targetE1EEEvT1_
	.p2align	8
	.type	_ZN7rocprim17ROCPRIM_400000_NS6detail17trampoline_kernelINS0_14default_configENS1_27scan_by_key_config_selectorIj11FixedVectorIiLj4EEEEZZNS1_16scan_by_key_implILNS1_25lookback_scan_determinismE0ELb1ES3_N6thrust23THRUST_200600_302600_NS6detail15normal_iteratorINSB_10device_ptrIjEEEENSD_INSE_IS6_EEEESI_S6_NSB_4plusIvEENSB_8equal_toIvEES6_EE10hipError_tPvRmT2_T3_T4_T5_mT6_T7_P12ihipStream_tbENKUlT_T0_E_clISt17integral_constantIbLb1EES13_EEDaSY_SZ_EUlSY_E_NS1_11comp_targetILNS1_3genE10ELNS1_11target_archE1200ELNS1_3gpuE4ELNS1_3repE0EEENS1_30default_config_static_selectorELNS0_4arch9wavefront6targetE1EEEvT1_,@function
_ZN7rocprim17ROCPRIM_400000_NS6detail17trampoline_kernelINS0_14default_configENS1_27scan_by_key_config_selectorIj11FixedVectorIiLj4EEEEZZNS1_16scan_by_key_implILNS1_25lookback_scan_determinismE0ELb1ES3_N6thrust23THRUST_200600_302600_NS6detail15normal_iteratorINSB_10device_ptrIjEEEENSD_INSE_IS6_EEEESI_S6_NSB_4plusIvEENSB_8equal_toIvEES6_EE10hipError_tPvRmT2_T3_T4_T5_mT6_T7_P12ihipStream_tbENKUlT_T0_E_clISt17integral_constantIbLb1EES13_EEDaSY_SZ_EUlSY_E_NS1_11comp_targetILNS1_3genE10ELNS1_11target_archE1200ELNS1_3gpuE4ELNS1_3repE0EEENS1_30default_config_static_selectorELNS0_4arch9wavefront6targetE1EEEvT1_: ; @_ZN7rocprim17ROCPRIM_400000_NS6detail17trampoline_kernelINS0_14default_configENS1_27scan_by_key_config_selectorIj11FixedVectorIiLj4EEEEZZNS1_16scan_by_key_implILNS1_25lookback_scan_determinismE0ELb1ES3_N6thrust23THRUST_200600_302600_NS6detail15normal_iteratorINSB_10device_ptrIjEEEENSD_INSE_IS6_EEEESI_S6_NSB_4plusIvEENSB_8equal_toIvEES6_EE10hipError_tPvRmT2_T3_T4_T5_mT6_T7_P12ihipStream_tbENKUlT_T0_E_clISt17integral_constantIbLb1EES13_EEDaSY_SZ_EUlSY_E_NS1_11comp_targetILNS1_3genE10ELNS1_11target_archE1200ELNS1_3gpuE4ELNS1_3repE0EEENS1_30default_config_static_selectorELNS0_4arch9wavefront6targetE1EEEvT1_
; %bb.0:
	.section	.rodata,"a",@progbits
	.p2align	6, 0x0
	.amdhsa_kernel _ZN7rocprim17ROCPRIM_400000_NS6detail17trampoline_kernelINS0_14default_configENS1_27scan_by_key_config_selectorIj11FixedVectorIiLj4EEEEZZNS1_16scan_by_key_implILNS1_25lookback_scan_determinismE0ELb1ES3_N6thrust23THRUST_200600_302600_NS6detail15normal_iteratorINSB_10device_ptrIjEEEENSD_INSE_IS6_EEEESI_S6_NSB_4plusIvEENSB_8equal_toIvEES6_EE10hipError_tPvRmT2_T3_T4_T5_mT6_T7_P12ihipStream_tbENKUlT_T0_E_clISt17integral_constantIbLb1EES13_EEDaSY_SZ_EUlSY_E_NS1_11comp_targetILNS1_3genE10ELNS1_11target_archE1200ELNS1_3gpuE4ELNS1_3repE0EEENS1_30default_config_static_selectorELNS0_4arch9wavefront6targetE1EEEvT1_
		.amdhsa_group_segment_fixed_size 0
		.amdhsa_private_segment_fixed_size 0
		.amdhsa_kernarg_size 144
		.amdhsa_user_sgpr_count 2
		.amdhsa_user_sgpr_dispatch_ptr 0
		.amdhsa_user_sgpr_queue_ptr 0
		.amdhsa_user_sgpr_kernarg_segment_ptr 1
		.amdhsa_user_sgpr_dispatch_id 0
		.amdhsa_user_sgpr_kernarg_preload_length 0
		.amdhsa_user_sgpr_kernarg_preload_offset 0
		.amdhsa_user_sgpr_private_segment_size 0
		.amdhsa_uses_dynamic_stack 0
		.amdhsa_enable_private_segment 0
		.amdhsa_system_sgpr_workgroup_id_x 1
		.amdhsa_system_sgpr_workgroup_id_y 0
		.amdhsa_system_sgpr_workgroup_id_z 0
		.amdhsa_system_sgpr_workgroup_info 0
		.amdhsa_system_vgpr_workitem_id 0
		.amdhsa_next_free_vgpr 1
		.amdhsa_next_free_sgpr 0
		.amdhsa_accum_offset 4
		.amdhsa_reserve_vcc 0
		.amdhsa_float_round_mode_32 0
		.amdhsa_float_round_mode_16_64 0
		.amdhsa_float_denorm_mode_32 3
		.amdhsa_float_denorm_mode_16_64 3
		.amdhsa_dx10_clamp 1
		.amdhsa_ieee_mode 1
		.amdhsa_fp16_overflow 0
		.amdhsa_tg_split 0
		.amdhsa_exception_fp_ieee_invalid_op 0
		.amdhsa_exception_fp_denorm_src 0
		.amdhsa_exception_fp_ieee_div_zero 0
		.amdhsa_exception_fp_ieee_overflow 0
		.amdhsa_exception_fp_ieee_underflow 0
		.amdhsa_exception_fp_ieee_inexact 0
		.amdhsa_exception_int_div_zero 0
	.end_amdhsa_kernel
	.section	.text._ZN7rocprim17ROCPRIM_400000_NS6detail17trampoline_kernelINS0_14default_configENS1_27scan_by_key_config_selectorIj11FixedVectorIiLj4EEEEZZNS1_16scan_by_key_implILNS1_25lookback_scan_determinismE0ELb1ES3_N6thrust23THRUST_200600_302600_NS6detail15normal_iteratorINSB_10device_ptrIjEEEENSD_INSE_IS6_EEEESI_S6_NSB_4plusIvEENSB_8equal_toIvEES6_EE10hipError_tPvRmT2_T3_T4_T5_mT6_T7_P12ihipStream_tbENKUlT_T0_E_clISt17integral_constantIbLb1EES13_EEDaSY_SZ_EUlSY_E_NS1_11comp_targetILNS1_3genE10ELNS1_11target_archE1200ELNS1_3gpuE4ELNS1_3repE0EEENS1_30default_config_static_selectorELNS0_4arch9wavefront6targetE1EEEvT1_,"axG",@progbits,_ZN7rocprim17ROCPRIM_400000_NS6detail17trampoline_kernelINS0_14default_configENS1_27scan_by_key_config_selectorIj11FixedVectorIiLj4EEEEZZNS1_16scan_by_key_implILNS1_25lookback_scan_determinismE0ELb1ES3_N6thrust23THRUST_200600_302600_NS6detail15normal_iteratorINSB_10device_ptrIjEEEENSD_INSE_IS6_EEEESI_S6_NSB_4plusIvEENSB_8equal_toIvEES6_EE10hipError_tPvRmT2_T3_T4_T5_mT6_T7_P12ihipStream_tbENKUlT_T0_E_clISt17integral_constantIbLb1EES13_EEDaSY_SZ_EUlSY_E_NS1_11comp_targetILNS1_3genE10ELNS1_11target_archE1200ELNS1_3gpuE4ELNS1_3repE0EEENS1_30default_config_static_selectorELNS0_4arch9wavefront6targetE1EEEvT1_,comdat
.Lfunc_end2091:
	.size	_ZN7rocprim17ROCPRIM_400000_NS6detail17trampoline_kernelINS0_14default_configENS1_27scan_by_key_config_selectorIj11FixedVectorIiLj4EEEEZZNS1_16scan_by_key_implILNS1_25lookback_scan_determinismE0ELb1ES3_N6thrust23THRUST_200600_302600_NS6detail15normal_iteratorINSB_10device_ptrIjEEEENSD_INSE_IS6_EEEESI_S6_NSB_4plusIvEENSB_8equal_toIvEES6_EE10hipError_tPvRmT2_T3_T4_T5_mT6_T7_P12ihipStream_tbENKUlT_T0_E_clISt17integral_constantIbLb1EES13_EEDaSY_SZ_EUlSY_E_NS1_11comp_targetILNS1_3genE10ELNS1_11target_archE1200ELNS1_3gpuE4ELNS1_3repE0EEENS1_30default_config_static_selectorELNS0_4arch9wavefront6targetE1EEEvT1_, .Lfunc_end2091-_ZN7rocprim17ROCPRIM_400000_NS6detail17trampoline_kernelINS0_14default_configENS1_27scan_by_key_config_selectorIj11FixedVectorIiLj4EEEEZZNS1_16scan_by_key_implILNS1_25lookback_scan_determinismE0ELb1ES3_N6thrust23THRUST_200600_302600_NS6detail15normal_iteratorINSB_10device_ptrIjEEEENSD_INSE_IS6_EEEESI_S6_NSB_4plusIvEENSB_8equal_toIvEES6_EE10hipError_tPvRmT2_T3_T4_T5_mT6_T7_P12ihipStream_tbENKUlT_T0_E_clISt17integral_constantIbLb1EES13_EEDaSY_SZ_EUlSY_E_NS1_11comp_targetILNS1_3genE10ELNS1_11target_archE1200ELNS1_3gpuE4ELNS1_3repE0EEENS1_30default_config_static_selectorELNS0_4arch9wavefront6targetE1EEEvT1_
                                        ; -- End function
	.section	.AMDGPU.csdata,"",@progbits
; Kernel info:
; codeLenInByte = 0
; NumSgprs: 6
; NumVgprs: 0
; NumAgprs: 0
; TotalNumVgprs: 0
; ScratchSize: 0
; MemoryBound: 0
; FloatMode: 240
; IeeeMode: 1
; LDSByteSize: 0 bytes/workgroup (compile time only)
; SGPRBlocks: 0
; VGPRBlocks: 0
; NumSGPRsForWavesPerEU: 6
; NumVGPRsForWavesPerEU: 1
; AccumOffset: 4
; Occupancy: 8
; WaveLimiterHint : 0
; COMPUTE_PGM_RSRC2:SCRATCH_EN: 0
; COMPUTE_PGM_RSRC2:USER_SGPR: 2
; COMPUTE_PGM_RSRC2:TRAP_HANDLER: 0
; COMPUTE_PGM_RSRC2:TGID_X_EN: 1
; COMPUTE_PGM_RSRC2:TGID_Y_EN: 0
; COMPUTE_PGM_RSRC2:TGID_Z_EN: 0
; COMPUTE_PGM_RSRC2:TIDIG_COMP_CNT: 0
; COMPUTE_PGM_RSRC3_GFX90A:ACCUM_OFFSET: 0
; COMPUTE_PGM_RSRC3_GFX90A:TG_SPLIT: 0
	.section	.text._ZN7rocprim17ROCPRIM_400000_NS6detail17trampoline_kernelINS0_14default_configENS1_27scan_by_key_config_selectorIj11FixedVectorIiLj4EEEEZZNS1_16scan_by_key_implILNS1_25lookback_scan_determinismE0ELb1ES3_N6thrust23THRUST_200600_302600_NS6detail15normal_iteratorINSB_10device_ptrIjEEEENSD_INSE_IS6_EEEESI_S6_NSB_4plusIvEENSB_8equal_toIvEES6_EE10hipError_tPvRmT2_T3_T4_T5_mT6_T7_P12ihipStream_tbENKUlT_T0_E_clISt17integral_constantIbLb1EES13_EEDaSY_SZ_EUlSY_E_NS1_11comp_targetILNS1_3genE9ELNS1_11target_archE1100ELNS1_3gpuE3ELNS1_3repE0EEENS1_30default_config_static_selectorELNS0_4arch9wavefront6targetE1EEEvT1_,"axG",@progbits,_ZN7rocprim17ROCPRIM_400000_NS6detail17trampoline_kernelINS0_14default_configENS1_27scan_by_key_config_selectorIj11FixedVectorIiLj4EEEEZZNS1_16scan_by_key_implILNS1_25lookback_scan_determinismE0ELb1ES3_N6thrust23THRUST_200600_302600_NS6detail15normal_iteratorINSB_10device_ptrIjEEEENSD_INSE_IS6_EEEESI_S6_NSB_4plusIvEENSB_8equal_toIvEES6_EE10hipError_tPvRmT2_T3_T4_T5_mT6_T7_P12ihipStream_tbENKUlT_T0_E_clISt17integral_constantIbLb1EES13_EEDaSY_SZ_EUlSY_E_NS1_11comp_targetILNS1_3genE9ELNS1_11target_archE1100ELNS1_3gpuE3ELNS1_3repE0EEENS1_30default_config_static_selectorELNS0_4arch9wavefront6targetE1EEEvT1_,comdat
	.protected	_ZN7rocprim17ROCPRIM_400000_NS6detail17trampoline_kernelINS0_14default_configENS1_27scan_by_key_config_selectorIj11FixedVectorIiLj4EEEEZZNS1_16scan_by_key_implILNS1_25lookback_scan_determinismE0ELb1ES3_N6thrust23THRUST_200600_302600_NS6detail15normal_iteratorINSB_10device_ptrIjEEEENSD_INSE_IS6_EEEESI_S6_NSB_4plusIvEENSB_8equal_toIvEES6_EE10hipError_tPvRmT2_T3_T4_T5_mT6_T7_P12ihipStream_tbENKUlT_T0_E_clISt17integral_constantIbLb1EES13_EEDaSY_SZ_EUlSY_E_NS1_11comp_targetILNS1_3genE9ELNS1_11target_archE1100ELNS1_3gpuE3ELNS1_3repE0EEENS1_30default_config_static_selectorELNS0_4arch9wavefront6targetE1EEEvT1_ ; -- Begin function _ZN7rocprim17ROCPRIM_400000_NS6detail17trampoline_kernelINS0_14default_configENS1_27scan_by_key_config_selectorIj11FixedVectorIiLj4EEEEZZNS1_16scan_by_key_implILNS1_25lookback_scan_determinismE0ELb1ES3_N6thrust23THRUST_200600_302600_NS6detail15normal_iteratorINSB_10device_ptrIjEEEENSD_INSE_IS6_EEEESI_S6_NSB_4plusIvEENSB_8equal_toIvEES6_EE10hipError_tPvRmT2_T3_T4_T5_mT6_T7_P12ihipStream_tbENKUlT_T0_E_clISt17integral_constantIbLb1EES13_EEDaSY_SZ_EUlSY_E_NS1_11comp_targetILNS1_3genE9ELNS1_11target_archE1100ELNS1_3gpuE3ELNS1_3repE0EEENS1_30default_config_static_selectorELNS0_4arch9wavefront6targetE1EEEvT1_
	.globl	_ZN7rocprim17ROCPRIM_400000_NS6detail17trampoline_kernelINS0_14default_configENS1_27scan_by_key_config_selectorIj11FixedVectorIiLj4EEEEZZNS1_16scan_by_key_implILNS1_25lookback_scan_determinismE0ELb1ES3_N6thrust23THRUST_200600_302600_NS6detail15normal_iteratorINSB_10device_ptrIjEEEENSD_INSE_IS6_EEEESI_S6_NSB_4plusIvEENSB_8equal_toIvEES6_EE10hipError_tPvRmT2_T3_T4_T5_mT6_T7_P12ihipStream_tbENKUlT_T0_E_clISt17integral_constantIbLb1EES13_EEDaSY_SZ_EUlSY_E_NS1_11comp_targetILNS1_3genE9ELNS1_11target_archE1100ELNS1_3gpuE3ELNS1_3repE0EEENS1_30default_config_static_selectorELNS0_4arch9wavefront6targetE1EEEvT1_
	.p2align	8
	.type	_ZN7rocprim17ROCPRIM_400000_NS6detail17trampoline_kernelINS0_14default_configENS1_27scan_by_key_config_selectorIj11FixedVectorIiLj4EEEEZZNS1_16scan_by_key_implILNS1_25lookback_scan_determinismE0ELb1ES3_N6thrust23THRUST_200600_302600_NS6detail15normal_iteratorINSB_10device_ptrIjEEEENSD_INSE_IS6_EEEESI_S6_NSB_4plusIvEENSB_8equal_toIvEES6_EE10hipError_tPvRmT2_T3_T4_T5_mT6_T7_P12ihipStream_tbENKUlT_T0_E_clISt17integral_constantIbLb1EES13_EEDaSY_SZ_EUlSY_E_NS1_11comp_targetILNS1_3genE9ELNS1_11target_archE1100ELNS1_3gpuE3ELNS1_3repE0EEENS1_30default_config_static_selectorELNS0_4arch9wavefront6targetE1EEEvT1_,@function
_ZN7rocprim17ROCPRIM_400000_NS6detail17trampoline_kernelINS0_14default_configENS1_27scan_by_key_config_selectorIj11FixedVectorIiLj4EEEEZZNS1_16scan_by_key_implILNS1_25lookback_scan_determinismE0ELb1ES3_N6thrust23THRUST_200600_302600_NS6detail15normal_iteratorINSB_10device_ptrIjEEEENSD_INSE_IS6_EEEESI_S6_NSB_4plusIvEENSB_8equal_toIvEES6_EE10hipError_tPvRmT2_T3_T4_T5_mT6_T7_P12ihipStream_tbENKUlT_T0_E_clISt17integral_constantIbLb1EES13_EEDaSY_SZ_EUlSY_E_NS1_11comp_targetILNS1_3genE9ELNS1_11target_archE1100ELNS1_3gpuE3ELNS1_3repE0EEENS1_30default_config_static_selectorELNS0_4arch9wavefront6targetE1EEEvT1_: ; @_ZN7rocprim17ROCPRIM_400000_NS6detail17trampoline_kernelINS0_14default_configENS1_27scan_by_key_config_selectorIj11FixedVectorIiLj4EEEEZZNS1_16scan_by_key_implILNS1_25lookback_scan_determinismE0ELb1ES3_N6thrust23THRUST_200600_302600_NS6detail15normal_iteratorINSB_10device_ptrIjEEEENSD_INSE_IS6_EEEESI_S6_NSB_4plusIvEENSB_8equal_toIvEES6_EE10hipError_tPvRmT2_T3_T4_T5_mT6_T7_P12ihipStream_tbENKUlT_T0_E_clISt17integral_constantIbLb1EES13_EEDaSY_SZ_EUlSY_E_NS1_11comp_targetILNS1_3genE9ELNS1_11target_archE1100ELNS1_3gpuE3ELNS1_3repE0EEENS1_30default_config_static_selectorELNS0_4arch9wavefront6targetE1EEEvT1_
; %bb.0:
	.section	.rodata,"a",@progbits
	.p2align	6, 0x0
	.amdhsa_kernel _ZN7rocprim17ROCPRIM_400000_NS6detail17trampoline_kernelINS0_14default_configENS1_27scan_by_key_config_selectorIj11FixedVectorIiLj4EEEEZZNS1_16scan_by_key_implILNS1_25lookback_scan_determinismE0ELb1ES3_N6thrust23THRUST_200600_302600_NS6detail15normal_iteratorINSB_10device_ptrIjEEEENSD_INSE_IS6_EEEESI_S6_NSB_4plusIvEENSB_8equal_toIvEES6_EE10hipError_tPvRmT2_T3_T4_T5_mT6_T7_P12ihipStream_tbENKUlT_T0_E_clISt17integral_constantIbLb1EES13_EEDaSY_SZ_EUlSY_E_NS1_11comp_targetILNS1_3genE9ELNS1_11target_archE1100ELNS1_3gpuE3ELNS1_3repE0EEENS1_30default_config_static_selectorELNS0_4arch9wavefront6targetE1EEEvT1_
		.amdhsa_group_segment_fixed_size 0
		.amdhsa_private_segment_fixed_size 0
		.amdhsa_kernarg_size 144
		.amdhsa_user_sgpr_count 2
		.amdhsa_user_sgpr_dispatch_ptr 0
		.amdhsa_user_sgpr_queue_ptr 0
		.amdhsa_user_sgpr_kernarg_segment_ptr 1
		.amdhsa_user_sgpr_dispatch_id 0
		.amdhsa_user_sgpr_kernarg_preload_length 0
		.amdhsa_user_sgpr_kernarg_preload_offset 0
		.amdhsa_user_sgpr_private_segment_size 0
		.amdhsa_uses_dynamic_stack 0
		.amdhsa_enable_private_segment 0
		.amdhsa_system_sgpr_workgroup_id_x 1
		.amdhsa_system_sgpr_workgroup_id_y 0
		.amdhsa_system_sgpr_workgroup_id_z 0
		.amdhsa_system_sgpr_workgroup_info 0
		.amdhsa_system_vgpr_workitem_id 0
		.amdhsa_next_free_vgpr 1
		.amdhsa_next_free_sgpr 0
		.amdhsa_accum_offset 4
		.amdhsa_reserve_vcc 0
		.amdhsa_float_round_mode_32 0
		.amdhsa_float_round_mode_16_64 0
		.amdhsa_float_denorm_mode_32 3
		.amdhsa_float_denorm_mode_16_64 3
		.amdhsa_dx10_clamp 1
		.amdhsa_ieee_mode 1
		.amdhsa_fp16_overflow 0
		.amdhsa_tg_split 0
		.amdhsa_exception_fp_ieee_invalid_op 0
		.amdhsa_exception_fp_denorm_src 0
		.amdhsa_exception_fp_ieee_div_zero 0
		.amdhsa_exception_fp_ieee_overflow 0
		.amdhsa_exception_fp_ieee_underflow 0
		.amdhsa_exception_fp_ieee_inexact 0
		.amdhsa_exception_int_div_zero 0
	.end_amdhsa_kernel
	.section	.text._ZN7rocprim17ROCPRIM_400000_NS6detail17trampoline_kernelINS0_14default_configENS1_27scan_by_key_config_selectorIj11FixedVectorIiLj4EEEEZZNS1_16scan_by_key_implILNS1_25lookback_scan_determinismE0ELb1ES3_N6thrust23THRUST_200600_302600_NS6detail15normal_iteratorINSB_10device_ptrIjEEEENSD_INSE_IS6_EEEESI_S6_NSB_4plusIvEENSB_8equal_toIvEES6_EE10hipError_tPvRmT2_T3_T4_T5_mT6_T7_P12ihipStream_tbENKUlT_T0_E_clISt17integral_constantIbLb1EES13_EEDaSY_SZ_EUlSY_E_NS1_11comp_targetILNS1_3genE9ELNS1_11target_archE1100ELNS1_3gpuE3ELNS1_3repE0EEENS1_30default_config_static_selectorELNS0_4arch9wavefront6targetE1EEEvT1_,"axG",@progbits,_ZN7rocprim17ROCPRIM_400000_NS6detail17trampoline_kernelINS0_14default_configENS1_27scan_by_key_config_selectorIj11FixedVectorIiLj4EEEEZZNS1_16scan_by_key_implILNS1_25lookback_scan_determinismE0ELb1ES3_N6thrust23THRUST_200600_302600_NS6detail15normal_iteratorINSB_10device_ptrIjEEEENSD_INSE_IS6_EEEESI_S6_NSB_4plusIvEENSB_8equal_toIvEES6_EE10hipError_tPvRmT2_T3_T4_T5_mT6_T7_P12ihipStream_tbENKUlT_T0_E_clISt17integral_constantIbLb1EES13_EEDaSY_SZ_EUlSY_E_NS1_11comp_targetILNS1_3genE9ELNS1_11target_archE1100ELNS1_3gpuE3ELNS1_3repE0EEENS1_30default_config_static_selectorELNS0_4arch9wavefront6targetE1EEEvT1_,comdat
.Lfunc_end2092:
	.size	_ZN7rocprim17ROCPRIM_400000_NS6detail17trampoline_kernelINS0_14default_configENS1_27scan_by_key_config_selectorIj11FixedVectorIiLj4EEEEZZNS1_16scan_by_key_implILNS1_25lookback_scan_determinismE0ELb1ES3_N6thrust23THRUST_200600_302600_NS6detail15normal_iteratorINSB_10device_ptrIjEEEENSD_INSE_IS6_EEEESI_S6_NSB_4plusIvEENSB_8equal_toIvEES6_EE10hipError_tPvRmT2_T3_T4_T5_mT6_T7_P12ihipStream_tbENKUlT_T0_E_clISt17integral_constantIbLb1EES13_EEDaSY_SZ_EUlSY_E_NS1_11comp_targetILNS1_3genE9ELNS1_11target_archE1100ELNS1_3gpuE3ELNS1_3repE0EEENS1_30default_config_static_selectorELNS0_4arch9wavefront6targetE1EEEvT1_, .Lfunc_end2092-_ZN7rocprim17ROCPRIM_400000_NS6detail17trampoline_kernelINS0_14default_configENS1_27scan_by_key_config_selectorIj11FixedVectorIiLj4EEEEZZNS1_16scan_by_key_implILNS1_25lookback_scan_determinismE0ELb1ES3_N6thrust23THRUST_200600_302600_NS6detail15normal_iteratorINSB_10device_ptrIjEEEENSD_INSE_IS6_EEEESI_S6_NSB_4plusIvEENSB_8equal_toIvEES6_EE10hipError_tPvRmT2_T3_T4_T5_mT6_T7_P12ihipStream_tbENKUlT_T0_E_clISt17integral_constantIbLb1EES13_EEDaSY_SZ_EUlSY_E_NS1_11comp_targetILNS1_3genE9ELNS1_11target_archE1100ELNS1_3gpuE3ELNS1_3repE0EEENS1_30default_config_static_selectorELNS0_4arch9wavefront6targetE1EEEvT1_
                                        ; -- End function
	.section	.AMDGPU.csdata,"",@progbits
; Kernel info:
; codeLenInByte = 0
; NumSgprs: 6
; NumVgprs: 0
; NumAgprs: 0
; TotalNumVgprs: 0
; ScratchSize: 0
; MemoryBound: 0
; FloatMode: 240
; IeeeMode: 1
; LDSByteSize: 0 bytes/workgroup (compile time only)
; SGPRBlocks: 0
; VGPRBlocks: 0
; NumSGPRsForWavesPerEU: 6
; NumVGPRsForWavesPerEU: 1
; AccumOffset: 4
; Occupancy: 8
; WaveLimiterHint : 0
; COMPUTE_PGM_RSRC2:SCRATCH_EN: 0
; COMPUTE_PGM_RSRC2:USER_SGPR: 2
; COMPUTE_PGM_RSRC2:TRAP_HANDLER: 0
; COMPUTE_PGM_RSRC2:TGID_X_EN: 1
; COMPUTE_PGM_RSRC2:TGID_Y_EN: 0
; COMPUTE_PGM_RSRC2:TGID_Z_EN: 0
; COMPUTE_PGM_RSRC2:TIDIG_COMP_CNT: 0
; COMPUTE_PGM_RSRC3_GFX90A:ACCUM_OFFSET: 0
; COMPUTE_PGM_RSRC3_GFX90A:TG_SPLIT: 0
	.section	.text._ZN7rocprim17ROCPRIM_400000_NS6detail17trampoline_kernelINS0_14default_configENS1_27scan_by_key_config_selectorIj11FixedVectorIiLj4EEEEZZNS1_16scan_by_key_implILNS1_25lookback_scan_determinismE0ELb1ES3_N6thrust23THRUST_200600_302600_NS6detail15normal_iteratorINSB_10device_ptrIjEEEENSD_INSE_IS6_EEEESI_S6_NSB_4plusIvEENSB_8equal_toIvEES6_EE10hipError_tPvRmT2_T3_T4_T5_mT6_T7_P12ihipStream_tbENKUlT_T0_E_clISt17integral_constantIbLb1EES13_EEDaSY_SZ_EUlSY_E_NS1_11comp_targetILNS1_3genE8ELNS1_11target_archE1030ELNS1_3gpuE2ELNS1_3repE0EEENS1_30default_config_static_selectorELNS0_4arch9wavefront6targetE1EEEvT1_,"axG",@progbits,_ZN7rocprim17ROCPRIM_400000_NS6detail17trampoline_kernelINS0_14default_configENS1_27scan_by_key_config_selectorIj11FixedVectorIiLj4EEEEZZNS1_16scan_by_key_implILNS1_25lookback_scan_determinismE0ELb1ES3_N6thrust23THRUST_200600_302600_NS6detail15normal_iteratorINSB_10device_ptrIjEEEENSD_INSE_IS6_EEEESI_S6_NSB_4plusIvEENSB_8equal_toIvEES6_EE10hipError_tPvRmT2_T3_T4_T5_mT6_T7_P12ihipStream_tbENKUlT_T0_E_clISt17integral_constantIbLb1EES13_EEDaSY_SZ_EUlSY_E_NS1_11comp_targetILNS1_3genE8ELNS1_11target_archE1030ELNS1_3gpuE2ELNS1_3repE0EEENS1_30default_config_static_selectorELNS0_4arch9wavefront6targetE1EEEvT1_,comdat
	.protected	_ZN7rocprim17ROCPRIM_400000_NS6detail17trampoline_kernelINS0_14default_configENS1_27scan_by_key_config_selectorIj11FixedVectorIiLj4EEEEZZNS1_16scan_by_key_implILNS1_25lookback_scan_determinismE0ELb1ES3_N6thrust23THRUST_200600_302600_NS6detail15normal_iteratorINSB_10device_ptrIjEEEENSD_INSE_IS6_EEEESI_S6_NSB_4plusIvEENSB_8equal_toIvEES6_EE10hipError_tPvRmT2_T3_T4_T5_mT6_T7_P12ihipStream_tbENKUlT_T0_E_clISt17integral_constantIbLb1EES13_EEDaSY_SZ_EUlSY_E_NS1_11comp_targetILNS1_3genE8ELNS1_11target_archE1030ELNS1_3gpuE2ELNS1_3repE0EEENS1_30default_config_static_selectorELNS0_4arch9wavefront6targetE1EEEvT1_ ; -- Begin function _ZN7rocprim17ROCPRIM_400000_NS6detail17trampoline_kernelINS0_14default_configENS1_27scan_by_key_config_selectorIj11FixedVectorIiLj4EEEEZZNS1_16scan_by_key_implILNS1_25lookback_scan_determinismE0ELb1ES3_N6thrust23THRUST_200600_302600_NS6detail15normal_iteratorINSB_10device_ptrIjEEEENSD_INSE_IS6_EEEESI_S6_NSB_4plusIvEENSB_8equal_toIvEES6_EE10hipError_tPvRmT2_T3_T4_T5_mT6_T7_P12ihipStream_tbENKUlT_T0_E_clISt17integral_constantIbLb1EES13_EEDaSY_SZ_EUlSY_E_NS1_11comp_targetILNS1_3genE8ELNS1_11target_archE1030ELNS1_3gpuE2ELNS1_3repE0EEENS1_30default_config_static_selectorELNS0_4arch9wavefront6targetE1EEEvT1_
	.globl	_ZN7rocprim17ROCPRIM_400000_NS6detail17trampoline_kernelINS0_14default_configENS1_27scan_by_key_config_selectorIj11FixedVectorIiLj4EEEEZZNS1_16scan_by_key_implILNS1_25lookback_scan_determinismE0ELb1ES3_N6thrust23THRUST_200600_302600_NS6detail15normal_iteratorINSB_10device_ptrIjEEEENSD_INSE_IS6_EEEESI_S6_NSB_4plusIvEENSB_8equal_toIvEES6_EE10hipError_tPvRmT2_T3_T4_T5_mT6_T7_P12ihipStream_tbENKUlT_T0_E_clISt17integral_constantIbLb1EES13_EEDaSY_SZ_EUlSY_E_NS1_11comp_targetILNS1_3genE8ELNS1_11target_archE1030ELNS1_3gpuE2ELNS1_3repE0EEENS1_30default_config_static_selectorELNS0_4arch9wavefront6targetE1EEEvT1_
	.p2align	8
	.type	_ZN7rocprim17ROCPRIM_400000_NS6detail17trampoline_kernelINS0_14default_configENS1_27scan_by_key_config_selectorIj11FixedVectorIiLj4EEEEZZNS1_16scan_by_key_implILNS1_25lookback_scan_determinismE0ELb1ES3_N6thrust23THRUST_200600_302600_NS6detail15normal_iteratorINSB_10device_ptrIjEEEENSD_INSE_IS6_EEEESI_S6_NSB_4plusIvEENSB_8equal_toIvEES6_EE10hipError_tPvRmT2_T3_T4_T5_mT6_T7_P12ihipStream_tbENKUlT_T0_E_clISt17integral_constantIbLb1EES13_EEDaSY_SZ_EUlSY_E_NS1_11comp_targetILNS1_3genE8ELNS1_11target_archE1030ELNS1_3gpuE2ELNS1_3repE0EEENS1_30default_config_static_selectorELNS0_4arch9wavefront6targetE1EEEvT1_,@function
_ZN7rocprim17ROCPRIM_400000_NS6detail17trampoline_kernelINS0_14default_configENS1_27scan_by_key_config_selectorIj11FixedVectorIiLj4EEEEZZNS1_16scan_by_key_implILNS1_25lookback_scan_determinismE0ELb1ES3_N6thrust23THRUST_200600_302600_NS6detail15normal_iteratorINSB_10device_ptrIjEEEENSD_INSE_IS6_EEEESI_S6_NSB_4plusIvEENSB_8equal_toIvEES6_EE10hipError_tPvRmT2_T3_T4_T5_mT6_T7_P12ihipStream_tbENKUlT_T0_E_clISt17integral_constantIbLb1EES13_EEDaSY_SZ_EUlSY_E_NS1_11comp_targetILNS1_3genE8ELNS1_11target_archE1030ELNS1_3gpuE2ELNS1_3repE0EEENS1_30default_config_static_selectorELNS0_4arch9wavefront6targetE1EEEvT1_: ; @_ZN7rocprim17ROCPRIM_400000_NS6detail17trampoline_kernelINS0_14default_configENS1_27scan_by_key_config_selectorIj11FixedVectorIiLj4EEEEZZNS1_16scan_by_key_implILNS1_25lookback_scan_determinismE0ELb1ES3_N6thrust23THRUST_200600_302600_NS6detail15normal_iteratorINSB_10device_ptrIjEEEENSD_INSE_IS6_EEEESI_S6_NSB_4plusIvEENSB_8equal_toIvEES6_EE10hipError_tPvRmT2_T3_T4_T5_mT6_T7_P12ihipStream_tbENKUlT_T0_E_clISt17integral_constantIbLb1EES13_EEDaSY_SZ_EUlSY_E_NS1_11comp_targetILNS1_3genE8ELNS1_11target_archE1030ELNS1_3gpuE2ELNS1_3repE0EEENS1_30default_config_static_selectorELNS0_4arch9wavefront6targetE1EEEvT1_
; %bb.0:
	.section	.rodata,"a",@progbits
	.p2align	6, 0x0
	.amdhsa_kernel _ZN7rocprim17ROCPRIM_400000_NS6detail17trampoline_kernelINS0_14default_configENS1_27scan_by_key_config_selectorIj11FixedVectorIiLj4EEEEZZNS1_16scan_by_key_implILNS1_25lookback_scan_determinismE0ELb1ES3_N6thrust23THRUST_200600_302600_NS6detail15normal_iteratorINSB_10device_ptrIjEEEENSD_INSE_IS6_EEEESI_S6_NSB_4plusIvEENSB_8equal_toIvEES6_EE10hipError_tPvRmT2_T3_T4_T5_mT6_T7_P12ihipStream_tbENKUlT_T0_E_clISt17integral_constantIbLb1EES13_EEDaSY_SZ_EUlSY_E_NS1_11comp_targetILNS1_3genE8ELNS1_11target_archE1030ELNS1_3gpuE2ELNS1_3repE0EEENS1_30default_config_static_selectorELNS0_4arch9wavefront6targetE1EEEvT1_
		.amdhsa_group_segment_fixed_size 0
		.amdhsa_private_segment_fixed_size 0
		.amdhsa_kernarg_size 144
		.amdhsa_user_sgpr_count 2
		.amdhsa_user_sgpr_dispatch_ptr 0
		.amdhsa_user_sgpr_queue_ptr 0
		.amdhsa_user_sgpr_kernarg_segment_ptr 1
		.amdhsa_user_sgpr_dispatch_id 0
		.amdhsa_user_sgpr_kernarg_preload_length 0
		.amdhsa_user_sgpr_kernarg_preload_offset 0
		.amdhsa_user_sgpr_private_segment_size 0
		.amdhsa_uses_dynamic_stack 0
		.amdhsa_enable_private_segment 0
		.amdhsa_system_sgpr_workgroup_id_x 1
		.amdhsa_system_sgpr_workgroup_id_y 0
		.amdhsa_system_sgpr_workgroup_id_z 0
		.amdhsa_system_sgpr_workgroup_info 0
		.amdhsa_system_vgpr_workitem_id 0
		.amdhsa_next_free_vgpr 1
		.amdhsa_next_free_sgpr 0
		.amdhsa_accum_offset 4
		.amdhsa_reserve_vcc 0
		.amdhsa_float_round_mode_32 0
		.amdhsa_float_round_mode_16_64 0
		.amdhsa_float_denorm_mode_32 3
		.amdhsa_float_denorm_mode_16_64 3
		.amdhsa_dx10_clamp 1
		.amdhsa_ieee_mode 1
		.amdhsa_fp16_overflow 0
		.amdhsa_tg_split 0
		.amdhsa_exception_fp_ieee_invalid_op 0
		.amdhsa_exception_fp_denorm_src 0
		.amdhsa_exception_fp_ieee_div_zero 0
		.amdhsa_exception_fp_ieee_overflow 0
		.amdhsa_exception_fp_ieee_underflow 0
		.amdhsa_exception_fp_ieee_inexact 0
		.amdhsa_exception_int_div_zero 0
	.end_amdhsa_kernel
	.section	.text._ZN7rocprim17ROCPRIM_400000_NS6detail17trampoline_kernelINS0_14default_configENS1_27scan_by_key_config_selectorIj11FixedVectorIiLj4EEEEZZNS1_16scan_by_key_implILNS1_25lookback_scan_determinismE0ELb1ES3_N6thrust23THRUST_200600_302600_NS6detail15normal_iteratorINSB_10device_ptrIjEEEENSD_INSE_IS6_EEEESI_S6_NSB_4plusIvEENSB_8equal_toIvEES6_EE10hipError_tPvRmT2_T3_T4_T5_mT6_T7_P12ihipStream_tbENKUlT_T0_E_clISt17integral_constantIbLb1EES13_EEDaSY_SZ_EUlSY_E_NS1_11comp_targetILNS1_3genE8ELNS1_11target_archE1030ELNS1_3gpuE2ELNS1_3repE0EEENS1_30default_config_static_selectorELNS0_4arch9wavefront6targetE1EEEvT1_,"axG",@progbits,_ZN7rocprim17ROCPRIM_400000_NS6detail17trampoline_kernelINS0_14default_configENS1_27scan_by_key_config_selectorIj11FixedVectorIiLj4EEEEZZNS1_16scan_by_key_implILNS1_25lookback_scan_determinismE0ELb1ES3_N6thrust23THRUST_200600_302600_NS6detail15normal_iteratorINSB_10device_ptrIjEEEENSD_INSE_IS6_EEEESI_S6_NSB_4plusIvEENSB_8equal_toIvEES6_EE10hipError_tPvRmT2_T3_T4_T5_mT6_T7_P12ihipStream_tbENKUlT_T0_E_clISt17integral_constantIbLb1EES13_EEDaSY_SZ_EUlSY_E_NS1_11comp_targetILNS1_3genE8ELNS1_11target_archE1030ELNS1_3gpuE2ELNS1_3repE0EEENS1_30default_config_static_selectorELNS0_4arch9wavefront6targetE1EEEvT1_,comdat
.Lfunc_end2093:
	.size	_ZN7rocprim17ROCPRIM_400000_NS6detail17trampoline_kernelINS0_14default_configENS1_27scan_by_key_config_selectorIj11FixedVectorIiLj4EEEEZZNS1_16scan_by_key_implILNS1_25lookback_scan_determinismE0ELb1ES3_N6thrust23THRUST_200600_302600_NS6detail15normal_iteratorINSB_10device_ptrIjEEEENSD_INSE_IS6_EEEESI_S6_NSB_4plusIvEENSB_8equal_toIvEES6_EE10hipError_tPvRmT2_T3_T4_T5_mT6_T7_P12ihipStream_tbENKUlT_T0_E_clISt17integral_constantIbLb1EES13_EEDaSY_SZ_EUlSY_E_NS1_11comp_targetILNS1_3genE8ELNS1_11target_archE1030ELNS1_3gpuE2ELNS1_3repE0EEENS1_30default_config_static_selectorELNS0_4arch9wavefront6targetE1EEEvT1_, .Lfunc_end2093-_ZN7rocprim17ROCPRIM_400000_NS6detail17trampoline_kernelINS0_14default_configENS1_27scan_by_key_config_selectorIj11FixedVectorIiLj4EEEEZZNS1_16scan_by_key_implILNS1_25lookback_scan_determinismE0ELb1ES3_N6thrust23THRUST_200600_302600_NS6detail15normal_iteratorINSB_10device_ptrIjEEEENSD_INSE_IS6_EEEESI_S6_NSB_4plusIvEENSB_8equal_toIvEES6_EE10hipError_tPvRmT2_T3_T4_T5_mT6_T7_P12ihipStream_tbENKUlT_T0_E_clISt17integral_constantIbLb1EES13_EEDaSY_SZ_EUlSY_E_NS1_11comp_targetILNS1_3genE8ELNS1_11target_archE1030ELNS1_3gpuE2ELNS1_3repE0EEENS1_30default_config_static_selectorELNS0_4arch9wavefront6targetE1EEEvT1_
                                        ; -- End function
	.section	.AMDGPU.csdata,"",@progbits
; Kernel info:
; codeLenInByte = 0
; NumSgprs: 6
; NumVgprs: 0
; NumAgprs: 0
; TotalNumVgprs: 0
; ScratchSize: 0
; MemoryBound: 0
; FloatMode: 240
; IeeeMode: 1
; LDSByteSize: 0 bytes/workgroup (compile time only)
; SGPRBlocks: 0
; VGPRBlocks: 0
; NumSGPRsForWavesPerEU: 6
; NumVGPRsForWavesPerEU: 1
; AccumOffset: 4
; Occupancy: 8
; WaveLimiterHint : 0
; COMPUTE_PGM_RSRC2:SCRATCH_EN: 0
; COMPUTE_PGM_RSRC2:USER_SGPR: 2
; COMPUTE_PGM_RSRC2:TRAP_HANDLER: 0
; COMPUTE_PGM_RSRC2:TGID_X_EN: 1
; COMPUTE_PGM_RSRC2:TGID_Y_EN: 0
; COMPUTE_PGM_RSRC2:TGID_Z_EN: 0
; COMPUTE_PGM_RSRC2:TIDIG_COMP_CNT: 0
; COMPUTE_PGM_RSRC3_GFX90A:ACCUM_OFFSET: 0
; COMPUTE_PGM_RSRC3_GFX90A:TG_SPLIT: 0
	.section	.text._ZN7rocprim17ROCPRIM_400000_NS6detail17trampoline_kernelINS0_14default_configENS1_27scan_by_key_config_selectorIj11FixedVectorIiLj4EEEEZZNS1_16scan_by_key_implILNS1_25lookback_scan_determinismE0ELb1ES3_N6thrust23THRUST_200600_302600_NS6detail15normal_iteratorINSB_10device_ptrIjEEEENSD_INSE_IS6_EEEESI_S6_NSB_4plusIvEENSB_8equal_toIvEES6_EE10hipError_tPvRmT2_T3_T4_T5_mT6_T7_P12ihipStream_tbENKUlT_T0_E_clISt17integral_constantIbLb1EES12_IbLb0EEEEDaSY_SZ_EUlSY_E_NS1_11comp_targetILNS1_3genE0ELNS1_11target_archE4294967295ELNS1_3gpuE0ELNS1_3repE0EEENS1_30default_config_static_selectorELNS0_4arch9wavefront6targetE1EEEvT1_,"axG",@progbits,_ZN7rocprim17ROCPRIM_400000_NS6detail17trampoline_kernelINS0_14default_configENS1_27scan_by_key_config_selectorIj11FixedVectorIiLj4EEEEZZNS1_16scan_by_key_implILNS1_25lookback_scan_determinismE0ELb1ES3_N6thrust23THRUST_200600_302600_NS6detail15normal_iteratorINSB_10device_ptrIjEEEENSD_INSE_IS6_EEEESI_S6_NSB_4plusIvEENSB_8equal_toIvEES6_EE10hipError_tPvRmT2_T3_T4_T5_mT6_T7_P12ihipStream_tbENKUlT_T0_E_clISt17integral_constantIbLb1EES12_IbLb0EEEEDaSY_SZ_EUlSY_E_NS1_11comp_targetILNS1_3genE0ELNS1_11target_archE4294967295ELNS1_3gpuE0ELNS1_3repE0EEENS1_30default_config_static_selectorELNS0_4arch9wavefront6targetE1EEEvT1_,comdat
	.protected	_ZN7rocprim17ROCPRIM_400000_NS6detail17trampoline_kernelINS0_14default_configENS1_27scan_by_key_config_selectorIj11FixedVectorIiLj4EEEEZZNS1_16scan_by_key_implILNS1_25lookback_scan_determinismE0ELb1ES3_N6thrust23THRUST_200600_302600_NS6detail15normal_iteratorINSB_10device_ptrIjEEEENSD_INSE_IS6_EEEESI_S6_NSB_4plusIvEENSB_8equal_toIvEES6_EE10hipError_tPvRmT2_T3_T4_T5_mT6_T7_P12ihipStream_tbENKUlT_T0_E_clISt17integral_constantIbLb1EES12_IbLb0EEEEDaSY_SZ_EUlSY_E_NS1_11comp_targetILNS1_3genE0ELNS1_11target_archE4294967295ELNS1_3gpuE0ELNS1_3repE0EEENS1_30default_config_static_selectorELNS0_4arch9wavefront6targetE1EEEvT1_ ; -- Begin function _ZN7rocprim17ROCPRIM_400000_NS6detail17trampoline_kernelINS0_14default_configENS1_27scan_by_key_config_selectorIj11FixedVectorIiLj4EEEEZZNS1_16scan_by_key_implILNS1_25lookback_scan_determinismE0ELb1ES3_N6thrust23THRUST_200600_302600_NS6detail15normal_iteratorINSB_10device_ptrIjEEEENSD_INSE_IS6_EEEESI_S6_NSB_4plusIvEENSB_8equal_toIvEES6_EE10hipError_tPvRmT2_T3_T4_T5_mT6_T7_P12ihipStream_tbENKUlT_T0_E_clISt17integral_constantIbLb1EES12_IbLb0EEEEDaSY_SZ_EUlSY_E_NS1_11comp_targetILNS1_3genE0ELNS1_11target_archE4294967295ELNS1_3gpuE0ELNS1_3repE0EEENS1_30default_config_static_selectorELNS0_4arch9wavefront6targetE1EEEvT1_
	.globl	_ZN7rocprim17ROCPRIM_400000_NS6detail17trampoline_kernelINS0_14default_configENS1_27scan_by_key_config_selectorIj11FixedVectorIiLj4EEEEZZNS1_16scan_by_key_implILNS1_25lookback_scan_determinismE0ELb1ES3_N6thrust23THRUST_200600_302600_NS6detail15normal_iteratorINSB_10device_ptrIjEEEENSD_INSE_IS6_EEEESI_S6_NSB_4plusIvEENSB_8equal_toIvEES6_EE10hipError_tPvRmT2_T3_T4_T5_mT6_T7_P12ihipStream_tbENKUlT_T0_E_clISt17integral_constantIbLb1EES12_IbLb0EEEEDaSY_SZ_EUlSY_E_NS1_11comp_targetILNS1_3genE0ELNS1_11target_archE4294967295ELNS1_3gpuE0ELNS1_3repE0EEENS1_30default_config_static_selectorELNS0_4arch9wavefront6targetE1EEEvT1_
	.p2align	8
	.type	_ZN7rocprim17ROCPRIM_400000_NS6detail17trampoline_kernelINS0_14default_configENS1_27scan_by_key_config_selectorIj11FixedVectorIiLj4EEEEZZNS1_16scan_by_key_implILNS1_25lookback_scan_determinismE0ELb1ES3_N6thrust23THRUST_200600_302600_NS6detail15normal_iteratorINSB_10device_ptrIjEEEENSD_INSE_IS6_EEEESI_S6_NSB_4plusIvEENSB_8equal_toIvEES6_EE10hipError_tPvRmT2_T3_T4_T5_mT6_T7_P12ihipStream_tbENKUlT_T0_E_clISt17integral_constantIbLb1EES12_IbLb0EEEEDaSY_SZ_EUlSY_E_NS1_11comp_targetILNS1_3genE0ELNS1_11target_archE4294967295ELNS1_3gpuE0ELNS1_3repE0EEENS1_30default_config_static_selectorELNS0_4arch9wavefront6targetE1EEEvT1_,@function
_ZN7rocprim17ROCPRIM_400000_NS6detail17trampoline_kernelINS0_14default_configENS1_27scan_by_key_config_selectorIj11FixedVectorIiLj4EEEEZZNS1_16scan_by_key_implILNS1_25lookback_scan_determinismE0ELb1ES3_N6thrust23THRUST_200600_302600_NS6detail15normal_iteratorINSB_10device_ptrIjEEEENSD_INSE_IS6_EEEESI_S6_NSB_4plusIvEENSB_8equal_toIvEES6_EE10hipError_tPvRmT2_T3_T4_T5_mT6_T7_P12ihipStream_tbENKUlT_T0_E_clISt17integral_constantIbLb1EES12_IbLb0EEEEDaSY_SZ_EUlSY_E_NS1_11comp_targetILNS1_3genE0ELNS1_11target_archE4294967295ELNS1_3gpuE0ELNS1_3repE0EEENS1_30default_config_static_selectorELNS0_4arch9wavefront6targetE1EEEvT1_: ; @_ZN7rocprim17ROCPRIM_400000_NS6detail17trampoline_kernelINS0_14default_configENS1_27scan_by_key_config_selectorIj11FixedVectorIiLj4EEEEZZNS1_16scan_by_key_implILNS1_25lookback_scan_determinismE0ELb1ES3_N6thrust23THRUST_200600_302600_NS6detail15normal_iteratorINSB_10device_ptrIjEEEENSD_INSE_IS6_EEEESI_S6_NSB_4plusIvEENSB_8equal_toIvEES6_EE10hipError_tPvRmT2_T3_T4_T5_mT6_T7_P12ihipStream_tbENKUlT_T0_E_clISt17integral_constantIbLb1EES12_IbLb0EEEEDaSY_SZ_EUlSY_E_NS1_11comp_targetILNS1_3genE0ELNS1_11target_archE4294967295ELNS1_3gpuE0ELNS1_3repE0EEENS1_30default_config_static_selectorELNS0_4arch9wavefront6targetE1EEEvT1_
; %bb.0:
	.section	.rodata,"a",@progbits
	.p2align	6, 0x0
	.amdhsa_kernel _ZN7rocprim17ROCPRIM_400000_NS6detail17trampoline_kernelINS0_14default_configENS1_27scan_by_key_config_selectorIj11FixedVectorIiLj4EEEEZZNS1_16scan_by_key_implILNS1_25lookback_scan_determinismE0ELb1ES3_N6thrust23THRUST_200600_302600_NS6detail15normal_iteratorINSB_10device_ptrIjEEEENSD_INSE_IS6_EEEESI_S6_NSB_4plusIvEENSB_8equal_toIvEES6_EE10hipError_tPvRmT2_T3_T4_T5_mT6_T7_P12ihipStream_tbENKUlT_T0_E_clISt17integral_constantIbLb1EES12_IbLb0EEEEDaSY_SZ_EUlSY_E_NS1_11comp_targetILNS1_3genE0ELNS1_11target_archE4294967295ELNS1_3gpuE0ELNS1_3repE0EEENS1_30default_config_static_selectorELNS0_4arch9wavefront6targetE1EEEvT1_
		.amdhsa_group_segment_fixed_size 0
		.amdhsa_private_segment_fixed_size 0
		.amdhsa_kernarg_size 144
		.amdhsa_user_sgpr_count 2
		.amdhsa_user_sgpr_dispatch_ptr 0
		.amdhsa_user_sgpr_queue_ptr 0
		.amdhsa_user_sgpr_kernarg_segment_ptr 1
		.amdhsa_user_sgpr_dispatch_id 0
		.amdhsa_user_sgpr_kernarg_preload_length 0
		.amdhsa_user_sgpr_kernarg_preload_offset 0
		.amdhsa_user_sgpr_private_segment_size 0
		.amdhsa_uses_dynamic_stack 0
		.amdhsa_enable_private_segment 0
		.amdhsa_system_sgpr_workgroup_id_x 1
		.amdhsa_system_sgpr_workgroup_id_y 0
		.amdhsa_system_sgpr_workgroup_id_z 0
		.amdhsa_system_sgpr_workgroup_info 0
		.amdhsa_system_vgpr_workitem_id 0
		.amdhsa_next_free_vgpr 1
		.amdhsa_next_free_sgpr 0
		.amdhsa_accum_offset 4
		.amdhsa_reserve_vcc 0
		.amdhsa_float_round_mode_32 0
		.amdhsa_float_round_mode_16_64 0
		.amdhsa_float_denorm_mode_32 3
		.amdhsa_float_denorm_mode_16_64 3
		.amdhsa_dx10_clamp 1
		.amdhsa_ieee_mode 1
		.amdhsa_fp16_overflow 0
		.amdhsa_tg_split 0
		.amdhsa_exception_fp_ieee_invalid_op 0
		.amdhsa_exception_fp_denorm_src 0
		.amdhsa_exception_fp_ieee_div_zero 0
		.amdhsa_exception_fp_ieee_overflow 0
		.amdhsa_exception_fp_ieee_underflow 0
		.amdhsa_exception_fp_ieee_inexact 0
		.amdhsa_exception_int_div_zero 0
	.end_amdhsa_kernel
	.section	.text._ZN7rocprim17ROCPRIM_400000_NS6detail17trampoline_kernelINS0_14default_configENS1_27scan_by_key_config_selectorIj11FixedVectorIiLj4EEEEZZNS1_16scan_by_key_implILNS1_25lookback_scan_determinismE0ELb1ES3_N6thrust23THRUST_200600_302600_NS6detail15normal_iteratorINSB_10device_ptrIjEEEENSD_INSE_IS6_EEEESI_S6_NSB_4plusIvEENSB_8equal_toIvEES6_EE10hipError_tPvRmT2_T3_T4_T5_mT6_T7_P12ihipStream_tbENKUlT_T0_E_clISt17integral_constantIbLb1EES12_IbLb0EEEEDaSY_SZ_EUlSY_E_NS1_11comp_targetILNS1_3genE0ELNS1_11target_archE4294967295ELNS1_3gpuE0ELNS1_3repE0EEENS1_30default_config_static_selectorELNS0_4arch9wavefront6targetE1EEEvT1_,"axG",@progbits,_ZN7rocprim17ROCPRIM_400000_NS6detail17trampoline_kernelINS0_14default_configENS1_27scan_by_key_config_selectorIj11FixedVectorIiLj4EEEEZZNS1_16scan_by_key_implILNS1_25lookback_scan_determinismE0ELb1ES3_N6thrust23THRUST_200600_302600_NS6detail15normal_iteratorINSB_10device_ptrIjEEEENSD_INSE_IS6_EEEESI_S6_NSB_4plusIvEENSB_8equal_toIvEES6_EE10hipError_tPvRmT2_T3_T4_T5_mT6_T7_P12ihipStream_tbENKUlT_T0_E_clISt17integral_constantIbLb1EES12_IbLb0EEEEDaSY_SZ_EUlSY_E_NS1_11comp_targetILNS1_3genE0ELNS1_11target_archE4294967295ELNS1_3gpuE0ELNS1_3repE0EEENS1_30default_config_static_selectorELNS0_4arch9wavefront6targetE1EEEvT1_,comdat
.Lfunc_end2094:
	.size	_ZN7rocprim17ROCPRIM_400000_NS6detail17trampoline_kernelINS0_14default_configENS1_27scan_by_key_config_selectorIj11FixedVectorIiLj4EEEEZZNS1_16scan_by_key_implILNS1_25lookback_scan_determinismE0ELb1ES3_N6thrust23THRUST_200600_302600_NS6detail15normal_iteratorINSB_10device_ptrIjEEEENSD_INSE_IS6_EEEESI_S6_NSB_4plusIvEENSB_8equal_toIvEES6_EE10hipError_tPvRmT2_T3_T4_T5_mT6_T7_P12ihipStream_tbENKUlT_T0_E_clISt17integral_constantIbLb1EES12_IbLb0EEEEDaSY_SZ_EUlSY_E_NS1_11comp_targetILNS1_3genE0ELNS1_11target_archE4294967295ELNS1_3gpuE0ELNS1_3repE0EEENS1_30default_config_static_selectorELNS0_4arch9wavefront6targetE1EEEvT1_, .Lfunc_end2094-_ZN7rocprim17ROCPRIM_400000_NS6detail17trampoline_kernelINS0_14default_configENS1_27scan_by_key_config_selectorIj11FixedVectorIiLj4EEEEZZNS1_16scan_by_key_implILNS1_25lookback_scan_determinismE0ELb1ES3_N6thrust23THRUST_200600_302600_NS6detail15normal_iteratorINSB_10device_ptrIjEEEENSD_INSE_IS6_EEEESI_S6_NSB_4plusIvEENSB_8equal_toIvEES6_EE10hipError_tPvRmT2_T3_T4_T5_mT6_T7_P12ihipStream_tbENKUlT_T0_E_clISt17integral_constantIbLb1EES12_IbLb0EEEEDaSY_SZ_EUlSY_E_NS1_11comp_targetILNS1_3genE0ELNS1_11target_archE4294967295ELNS1_3gpuE0ELNS1_3repE0EEENS1_30default_config_static_selectorELNS0_4arch9wavefront6targetE1EEEvT1_
                                        ; -- End function
	.section	.AMDGPU.csdata,"",@progbits
; Kernel info:
; codeLenInByte = 0
; NumSgprs: 6
; NumVgprs: 0
; NumAgprs: 0
; TotalNumVgprs: 0
; ScratchSize: 0
; MemoryBound: 0
; FloatMode: 240
; IeeeMode: 1
; LDSByteSize: 0 bytes/workgroup (compile time only)
; SGPRBlocks: 0
; VGPRBlocks: 0
; NumSGPRsForWavesPerEU: 6
; NumVGPRsForWavesPerEU: 1
; AccumOffset: 4
; Occupancy: 8
; WaveLimiterHint : 0
; COMPUTE_PGM_RSRC2:SCRATCH_EN: 0
; COMPUTE_PGM_RSRC2:USER_SGPR: 2
; COMPUTE_PGM_RSRC2:TRAP_HANDLER: 0
; COMPUTE_PGM_RSRC2:TGID_X_EN: 1
; COMPUTE_PGM_RSRC2:TGID_Y_EN: 0
; COMPUTE_PGM_RSRC2:TGID_Z_EN: 0
; COMPUTE_PGM_RSRC2:TIDIG_COMP_CNT: 0
; COMPUTE_PGM_RSRC3_GFX90A:ACCUM_OFFSET: 0
; COMPUTE_PGM_RSRC3_GFX90A:TG_SPLIT: 0
	.section	.text._ZN7rocprim17ROCPRIM_400000_NS6detail17trampoline_kernelINS0_14default_configENS1_27scan_by_key_config_selectorIj11FixedVectorIiLj4EEEEZZNS1_16scan_by_key_implILNS1_25lookback_scan_determinismE0ELb1ES3_N6thrust23THRUST_200600_302600_NS6detail15normal_iteratorINSB_10device_ptrIjEEEENSD_INSE_IS6_EEEESI_S6_NSB_4plusIvEENSB_8equal_toIvEES6_EE10hipError_tPvRmT2_T3_T4_T5_mT6_T7_P12ihipStream_tbENKUlT_T0_E_clISt17integral_constantIbLb1EES12_IbLb0EEEEDaSY_SZ_EUlSY_E_NS1_11comp_targetILNS1_3genE10ELNS1_11target_archE1201ELNS1_3gpuE5ELNS1_3repE0EEENS1_30default_config_static_selectorELNS0_4arch9wavefront6targetE1EEEvT1_,"axG",@progbits,_ZN7rocprim17ROCPRIM_400000_NS6detail17trampoline_kernelINS0_14default_configENS1_27scan_by_key_config_selectorIj11FixedVectorIiLj4EEEEZZNS1_16scan_by_key_implILNS1_25lookback_scan_determinismE0ELb1ES3_N6thrust23THRUST_200600_302600_NS6detail15normal_iteratorINSB_10device_ptrIjEEEENSD_INSE_IS6_EEEESI_S6_NSB_4plusIvEENSB_8equal_toIvEES6_EE10hipError_tPvRmT2_T3_T4_T5_mT6_T7_P12ihipStream_tbENKUlT_T0_E_clISt17integral_constantIbLb1EES12_IbLb0EEEEDaSY_SZ_EUlSY_E_NS1_11comp_targetILNS1_3genE10ELNS1_11target_archE1201ELNS1_3gpuE5ELNS1_3repE0EEENS1_30default_config_static_selectorELNS0_4arch9wavefront6targetE1EEEvT1_,comdat
	.protected	_ZN7rocprim17ROCPRIM_400000_NS6detail17trampoline_kernelINS0_14default_configENS1_27scan_by_key_config_selectorIj11FixedVectorIiLj4EEEEZZNS1_16scan_by_key_implILNS1_25lookback_scan_determinismE0ELb1ES3_N6thrust23THRUST_200600_302600_NS6detail15normal_iteratorINSB_10device_ptrIjEEEENSD_INSE_IS6_EEEESI_S6_NSB_4plusIvEENSB_8equal_toIvEES6_EE10hipError_tPvRmT2_T3_T4_T5_mT6_T7_P12ihipStream_tbENKUlT_T0_E_clISt17integral_constantIbLb1EES12_IbLb0EEEEDaSY_SZ_EUlSY_E_NS1_11comp_targetILNS1_3genE10ELNS1_11target_archE1201ELNS1_3gpuE5ELNS1_3repE0EEENS1_30default_config_static_selectorELNS0_4arch9wavefront6targetE1EEEvT1_ ; -- Begin function _ZN7rocprim17ROCPRIM_400000_NS6detail17trampoline_kernelINS0_14default_configENS1_27scan_by_key_config_selectorIj11FixedVectorIiLj4EEEEZZNS1_16scan_by_key_implILNS1_25lookback_scan_determinismE0ELb1ES3_N6thrust23THRUST_200600_302600_NS6detail15normal_iteratorINSB_10device_ptrIjEEEENSD_INSE_IS6_EEEESI_S6_NSB_4plusIvEENSB_8equal_toIvEES6_EE10hipError_tPvRmT2_T3_T4_T5_mT6_T7_P12ihipStream_tbENKUlT_T0_E_clISt17integral_constantIbLb1EES12_IbLb0EEEEDaSY_SZ_EUlSY_E_NS1_11comp_targetILNS1_3genE10ELNS1_11target_archE1201ELNS1_3gpuE5ELNS1_3repE0EEENS1_30default_config_static_selectorELNS0_4arch9wavefront6targetE1EEEvT1_
	.globl	_ZN7rocprim17ROCPRIM_400000_NS6detail17trampoline_kernelINS0_14default_configENS1_27scan_by_key_config_selectorIj11FixedVectorIiLj4EEEEZZNS1_16scan_by_key_implILNS1_25lookback_scan_determinismE0ELb1ES3_N6thrust23THRUST_200600_302600_NS6detail15normal_iteratorINSB_10device_ptrIjEEEENSD_INSE_IS6_EEEESI_S6_NSB_4plusIvEENSB_8equal_toIvEES6_EE10hipError_tPvRmT2_T3_T4_T5_mT6_T7_P12ihipStream_tbENKUlT_T0_E_clISt17integral_constantIbLb1EES12_IbLb0EEEEDaSY_SZ_EUlSY_E_NS1_11comp_targetILNS1_3genE10ELNS1_11target_archE1201ELNS1_3gpuE5ELNS1_3repE0EEENS1_30default_config_static_selectorELNS0_4arch9wavefront6targetE1EEEvT1_
	.p2align	8
	.type	_ZN7rocprim17ROCPRIM_400000_NS6detail17trampoline_kernelINS0_14default_configENS1_27scan_by_key_config_selectorIj11FixedVectorIiLj4EEEEZZNS1_16scan_by_key_implILNS1_25lookback_scan_determinismE0ELb1ES3_N6thrust23THRUST_200600_302600_NS6detail15normal_iteratorINSB_10device_ptrIjEEEENSD_INSE_IS6_EEEESI_S6_NSB_4plusIvEENSB_8equal_toIvEES6_EE10hipError_tPvRmT2_T3_T4_T5_mT6_T7_P12ihipStream_tbENKUlT_T0_E_clISt17integral_constantIbLb1EES12_IbLb0EEEEDaSY_SZ_EUlSY_E_NS1_11comp_targetILNS1_3genE10ELNS1_11target_archE1201ELNS1_3gpuE5ELNS1_3repE0EEENS1_30default_config_static_selectorELNS0_4arch9wavefront6targetE1EEEvT1_,@function
_ZN7rocprim17ROCPRIM_400000_NS6detail17trampoline_kernelINS0_14default_configENS1_27scan_by_key_config_selectorIj11FixedVectorIiLj4EEEEZZNS1_16scan_by_key_implILNS1_25lookback_scan_determinismE0ELb1ES3_N6thrust23THRUST_200600_302600_NS6detail15normal_iteratorINSB_10device_ptrIjEEEENSD_INSE_IS6_EEEESI_S6_NSB_4plusIvEENSB_8equal_toIvEES6_EE10hipError_tPvRmT2_T3_T4_T5_mT6_T7_P12ihipStream_tbENKUlT_T0_E_clISt17integral_constantIbLb1EES12_IbLb0EEEEDaSY_SZ_EUlSY_E_NS1_11comp_targetILNS1_3genE10ELNS1_11target_archE1201ELNS1_3gpuE5ELNS1_3repE0EEENS1_30default_config_static_selectorELNS0_4arch9wavefront6targetE1EEEvT1_: ; @_ZN7rocprim17ROCPRIM_400000_NS6detail17trampoline_kernelINS0_14default_configENS1_27scan_by_key_config_selectorIj11FixedVectorIiLj4EEEEZZNS1_16scan_by_key_implILNS1_25lookback_scan_determinismE0ELb1ES3_N6thrust23THRUST_200600_302600_NS6detail15normal_iteratorINSB_10device_ptrIjEEEENSD_INSE_IS6_EEEESI_S6_NSB_4plusIvEENSB_8equal_toIvEES6_EE10hipError_tPvRmT2_T3_T4_T5_mT6_T7_P12ihipStream_tbENKUlT_T0_E_clISt17integral_constantIbLb1EES12_IbLb0EEEEDaSY_SZ_EUlSY_E_NS1_11comp_targetILNS1_3genE10ELNS1_11target_archE1201ELNS1_3gpuE5ELNS1_3repE0EEENS1_30default_config_static_selectorELNS0_4arch9wavefront6targetE1EEEvT1_
; %bb.0:
	.section	.rodata,"a",@progbits
	.p2align	6, 0x0
	.amdhsa_kernel _ZN7rocprim17ROCPRIM_400000_NS6detail17trampoline_kernelINS0_14default_configENS1_27scan_by_key_config_selectorIj11FixedVectorIiLj4EEEEZZNS1_16scan_by_key_implILNS1_25lookback_scan_determinismE0ELb1ES3_N6thrust23THRUST_200600_302600_NS6detail15normal_iteratorINSB_10device_ptrIjEEEENSD_INSE_IS6_EEEESI_S6_NSB_4plusIvEENSB_8equal_toIvEES6_EE10hipError_tPvRmT2_T3_T4_T5_mT6_T7_P12ihipStream_tbENKUlT_T0_E_clISt17integral_constantIbLb1EES12_IbLb0EEEEDaSY_SZ_EUlSY_E_NS1_11comp_targetILNS1_3genE10ELNS1_11target_archE1201ELNS1_3gpuE5ELNS1_3repE0EEENS1_30default_config_static_selectorELNS0_4arch9wavefront6targetE1EEEvT1_
		.amdhsa_group_segment_fixed_size 0
		.amdhsa_private_segment_fixed_size 0
		.amdhsa_kernarg_size 144
		.amdhsa_user_sgpr_count 2
		.amdhsa_user_sgpr_dispatch_ptr 0
		.amdhsa_user_sgpr_queue_ptr 0
		.amdhsa_user_sgpr_kernarg_segment_ptr 1
		.amdhsa_user_sgpr_dispatch_id 0
		.amdhsa_user_sgpr_kernarg_preload_length 0
		.amdhsa_user_sgpr_kernarg_preload_offset 0
		.amdhsa_user_sgpr_private_segment_size 0
		.amdhsa_uses_dynamic_stack 0
		.amdhsa_enable_private_segment 0
		.amdhsa_system_sgpr_workgroup_id_x 1
		.amdhsa_system_sgpr_workgroup_id_y 0
		.amdhsa_system_sgpr_workgroup_id_z 0
		.amdhsa_system_sgpr_workgroup_info 0
		.amdhsa_system_vgpr_workitem_id 0
		.amdhsa_next_free_vgpr 1
		.amdhsa_next_free_sgpr 0
		.amdhsa_accum_offset 4
		.amdhsa_reserve_vcc 0
		.amdhsa_float_round_mode_32 0
		.amdhsa_float_round_mode_16_64 0
		.amdhsa_float_denorm_mode_32 3
		.amdhsa_float_denorm_mode_16_64 3
		.amdhsa_dx10_clamp 1
		.amdhsa_ieee_mode 1
		.amdhsa_fp16_overflow 0
		.amdhsa_tg_split 0
		.amdhsa_exception_fp_ieee_invalid_op 0
		.amdhsa_exception_fp_denorm_src 0
		.amdhsa_exception_fp_ieee_div_zero 0
		.amdhsa_exception_fp_ieee_overflow 0
		.amdhsa_exception_fp_ieee_underflow 0
		.amdhsa_exception_fp_ieee_inexact 0
		.amdhsa_exception_int_div_zero 0
	.end_amdhsa_kernel
	.section	.text._ZN7rocprim17ROCPRIM_400000_NS6detail17trampoline_kernelINS0_14default_configENS1_27scan_by_key_config_selectorIj11FixedVectorIiLj4EEEEZZNS1_16scan_by_key_implILNS1_25lookback_scan_determinismE0ELb1ES3_N6thrust23THRUST_200600_302600_NS6detail15normal_iteratorINSB_10device_ptrIjEEEENSD_INSE_IS6_EEEESI_S6_NSB_4plusIvEENSB_8equal_toIvEES6_EE10hipError_tPvRmT2_T3_T4_T5_mT6_T7_P12ihipStream_tbENKUlT_T0_E_clISt17integral_constantIbLb1EES12_IbLb0EEEEDaSY_SZ_EUlSY_E_NS1_11comp_targetILNS1_3genE10ELNS1_11target_archE1201ELNS1_3gpuE5ELNS1_3repE0EEENS1_30default_config_static_selectorELNS0_4arch9wavefront6targetE1EEEvT1_,"axG",@progbits,_ZN7rocprim17ROCPRIM_400000_NS6detail17trampoline_kernelINS0_14default_configENS1_27scan_by_key_config_selectorIj11FixedVectorIiLj4EEEEZZNS1_16scan_by_key_implILNS1_25lookback_scan_determinismE0ELb1ES3_N6thrust23THRUST_200600_302600_NS6detail15normal_iteratorINSB_10device_ptrIjEEEENSD_INSE_IS6_EEEESI_S6_NSB_4plusIvEENSB_8equal_toIvEES6_EE10hipError_tPvRmT2_T3_T4_T5_mT6_T7_P12ihipStream_tbENKUlT_T0_E_clISt17integral_constantIbLb1EES12_IbLb0EEEEDaSY_SZ_EUlSY_E_NS1_11comp_targetILNS1_3genE10ELNS1_11target_archE1201ELNS1_3gpuE5ELNS1_3repE0EEENS1_30default_config_static_selectorELNS0_4arch9wavefront6targetE1EEEvT1_,comdat
.Lfunc_end2095:
	.size	_ZN7rocprim17ROCPRIM_400000_NS6detail17trampoline_kernelINS0_14default_configENS1_27scan_by_key_config_selectorIj11FixedVectorIiLj4EEEEZZNS1_16scan_by_key_implILNS1_25lookback_scan_determinismE0ELb1ES3_N6thrust23THRUST_200600_302600_NS6detail15normal_iteratorINSB_10device_ptrIjEEEENSD_INSE_IS6_EEEESI_S6_NSB_4plusIvEENSB_8equal_toIvEES6_EE10hipError_tPvRmT2_T3_T4_T5_mT6_T7_P12ihipStream_tbENKUlT_T0_E_clISt17integral_constantIbLb1EES12_IbLb0EEEEDaSY_SZ_EUlSY_E_NS1_11comp_targetILNS1_3genE10ELNS1_11target_archE1201ELNS1_3gpuE5ELNS1_3repE0EEENS1_30default_config_static_selectorELNS0_4arch9wavefront6targetE1EEEvT1_, .Lfunc_end2095-_ZN7rocprim17ROCPRIM_400000_NS6detail17trampoline_kernelINS0_14default_configENS1_27scan_by_key_config_selectorIj11FixedVectorIiLj4EEEEZZNS1_16scan_by_key_implILNS1_25lookback_scan_determinismE0ELb1ES3_N6thrust23THRUST_200600_302600_NS6detail15normal_iteratorINSB_10device_ptrIjEEEENSD_INSE_IS6_EEEESI_S6_NSB_4plusIvEENSB_8equal_toIvEES6_EE10hipError_tPvRmT2_T3_T4_T5_mT6_T7_P12ihipStream_tbENKUlT_T0_E_clISt17integral_constantIbLb1EES12_IbLb0EEEEDaSY_SZ_EUlSY_E_NS1_11comp_targetILNS1_3genE10ELNS1_11target_archE1201ELNS1_3gpuE5ELNS1_3repE0EEENS1_30default_config_static_selectorELNS0_4arch9wavefront6targetE1EEEvT1_
                                        ; -- End function
	.section	.AMDGPU.csdata,"",@progbits
; Kernel info:
; codeLenInByte = 0
; NumSgprs: 6
; NumVgprs: 0
; NumAgprs: 0
; TotalNumVgprs: 0
; ScratchSize: 0
; MemoryBound: 0
; FloatMode: 240
; IeeeMode: 1
; LDSByteSize: 0 bytes/workgroup (compile time only)
; SGPRBlocks: 0
; VGPRBlocks: 0
; NumSGPRsForWavesPerEU: 6
; NumVGPRsForWavesPerEU: 1
; AccumOffset: 4
; Occupancy: 8
; WaveLimiterHint : 0
; COMPUTE_PGM_RSRC2:SCRATCH_EN: 0
; COMPUTE_PGM_RSRC2:USER_SGPR: 2
; COMPUTE_PGM_RSRC2:TRAP_HANDLER: 0
; COMPUTE_PGM_RSRC2:TGID_X_EN: 1
; COMPUTE_PGM_RSRC2:TGID_Y_EN: 0
; COMPUTE_PGM_RSRC2:TGID_Z_EN: 0
; COMPUTE_PGM_RSRC2:TIDIG_COMP_CNT: 0
; COMPUTE_PGM_RSRC3_GFX90A:ACCUM_OFFSET: 0
; COMPUTE_PGM_RSRC3_GFX90A:TG_SPLIT: 0
	.section	.text._ZN7rocprim17ROCPRIM_400000_NS6detail17trampoline_kernelINS0_14default_configENS1_27scan_by_key_config_selectorIj11FixedVectorIiLj4EEEEZZNS1_16scan_by_key_implILNS1_25lookback_scan_determinismE0ELb1ES3_N6thrust23THRUST_200600_302600_NS6detail15normal_iteratorINSB_10device_ptrIjEEEENSD_INSE_IS6_EEEESI_S6_NSB_4plusIvEENSB_8equal_toIvEES6_EE10hipError_tPvRmT2_T3_T4_T5_mT6_T7_P12ihipStream_tbENKUlT_T0_E_clISt17integral_constantIbLb1EES12_IbLb0EEEEDaSY_SZ_EUlSY_E_NS1_11comp_targetILNS1_3genE5ELNS1_11target_archE942ELNS1_3gpuE9ELNS1_3repE0EEENS1_30default_config_static_selectorELNS0_4arch9wavefront6targetE1EEEvT1_,"axG",@progbits,_ZN7rocprim17ROCPRIM_400000_NS6detail17trampoline_kernelINS0_14default_configENS1_27scan_by_key_config_selectorIj11FixedVectorIiLj4EEEEZZNS1_16scan_by_key_implILNS1_25lookback_scan_determinismE0ELb1ES3_N6thrust23THRUST_200600_302600_NS6detail15normal_iteratorINSB_10device_ptrIjEEEENSD_INSE_IS6_EEEESI_S6_NSB_4plusIvEENSB_8equal_toIvEES6_EE10hipError_tPvRmT2_T3_T4_T5_mT6_T7_P12ihipStream_tbENKUlT_T0_E_clISt17integral_constantIbLb1EES12_IbLb0EEEEDaSY_SZ_EUlSY_E_NS1_11comp_targetILNS1_3genE5ELNS1_11target_archE942ELNS1_3gpuE9ELNS1_3repE0EEENS1_30default_config_static_selectorELNS0_4arch9wavefront6targetE1EEEvT1_,comdat
	.protected	_ZN7rocprim17ROCPRIM_400000_NS6detail17trampoline_kernelINS0_14default_configENS1_27scan_by_key_config_selectorIj11FixedVectorIiLj4EEEEZZNS1_16scan_by_key_implILNS1_25lookback_scan_determinismE0ELb1ES3_N6thrust23THRUST_200600_302600_NS6detail15normal_iteratorINSB_10device_ptrIjEEEENSD_INSE_IS6_EEEESI_S6_NSB_4plusIvEENSB_8equal_toIvEES6_EE10hipError_tPvRmT2_T3_T4_T5_mT6_T7_P12ihipStream_tbENKUlT_T0_E_clISt17integral_constantIbLb1EES12_IbLb0EEEEDaSY_SZ_EUlSY_E_NS1_11comp_targetILNS1_3genE5ELNS1_11target_archE942ELNS1_3gpuE9ELNS1_3repE0EEENS1_30default_config_static_selectorELNS0_4arch9wavefront6targetE1EEEvT1_ ; -- Begin function _ZN7rocprim17ROCPRIM_400000_NS6detail17trampoline_kernelINS0_14default_configENS1_27scan_by_key_config_selectorIj11FixedVectorIiLj4EEEEZZNS1_16scan_by_key_implILNS1_25lookback_scan_determinismE0ELb1ES3_N6thrust23THRUST_200600_302600_NS6detail15normal_iteratorINSB_10device_ptrIjEEEENSD_INSE_IS6_EEEESI_S6_NSB_4plusIvEENSB_8equal_toIvEES6_EE10hipError_tPvRmT2_T3_T4_T5_mT6_T7_P12ihipStream_tbENKUlT_T0_E_clISt17integral_constantIbLb1EES12_IbLb0EEEEDaSY_SZ_EUlSY_E_NS1_11comp_targetILNS1_3genE5ELNS1_11target_archE942ELNS1_3gpuE9ELNS1_3repE0EEENS1_30default_config_static_selectorELNS0_4arch9wavefront6targetE1EEEvT1_
	.globl	_ZN7rocprim17ROCPRIM_400000_NS6detail17trampoline_kernelINS0_14default_configENS1_27scan_by_key_config_selectorIj11FixedVectorIiLj4EEEEZZNS1_16scan_by_key_implILNS1_25lookback_scan_determinismE0ELb1ES3_N6thrust23THRUST_200600_302600_NS6detail15normal_iteratorINSB_10device_ptrIjEEEENSD_INSE_IS6_EEEESI_S6_NSB_4plusIvEENSB_8equal_toIvEES6_EE10hipError_tPvRmT2_T3_T4_T5_mT6_T7_P12ihipStream_tbENKUlT_T0_E_clISt17integral_constantIbLb1EES12_IbLb0EEEEDaSY_SZ_EUlSY_E_NS1_11comp_targetILNS1_3genE5ELNS1_11target_archE942ELNS1_3gpuE9ELNS1_3repE0EEENS1_30default_config_static_selectorELNS0_4arch9wavefront6targetE1EEEvT1_
	.p2align	8
	.type	_ZN7rocprim17ROCPRIM_400000_NS6detail17trampoline_kernelINS0_14default_configENS1_27scan_by_key_config_selectorIj11FixedVectorIiLj4EEEEZZNS1_16scan_by_key_implILNS1_25lookback_scan_determinismE0ELb1ES3_N6thrust23THRUST_200600_302600_NS6detail15normal_iteratorINSB_10device_ptrIjEEEENSD_INSE_IS6_EEEESI_S6_NSB_4plusIvEENSB_8equal_toIvEES6_EE10hipError_tPvRmT2_T3_T4_T5_mT6_T7_P12ihipStream_tbENKUlT_T0_E_clISt17integral_constantIbLb1EES12_IbLb0EEEEDaSY_SZ_EUlSY_E_NS1_11comp_targetILNS1_3genE5ELNS1_11target_archE942ELNS1_3gpuE9ELNS1_3repE0EEENS1_30default_config_static_selectorELNS0_4arch9wavefront6targetE1EEEvT1_,@function
_ZN7rocprim17ROCPRIM_400000_NS6detail17trampoline_kernelINS0_14default_configENS1_27scan_by_key_config_selectorIj11FixedVectorIiLj4EEEEZZNS1_16scan_by_key_implILNS1_25lookback_scan_determinismE0ELb1ES3_N6thrust23THRUST_200600_302600_NS6detail15normal_iteratorINSB_10device_ptrIjEEEENSD_INSE_IS6_EEEESI_S6_NSB_4plusIvEENSB_8equal_toIvEES6_EE10hipError_tPvRmT2_T3_T4_T5_mT6_T7_P12ihipStream_tbENKUlT_T0_E_clISt17integral_constantIbLb1EES12_IbLb0EEEEDaSY_SZ_EUlSY_E_NS1_11comp_targetILNS1_3genE5ELNS1_11target_archE942ELNS1_3gpuE9ELNS1_3repE0EEENS1_30default_config_static_selectorELNS0_4arch9wavefront6targetE1EEEvT1_: ; @_ZN7rocprim17ROCPRIM_400000_NS6detail17trampoline_kernelINS0_14default_configENS1_27scan_by_key_config_selectorIj11FixedVectorIiLj4EEEEZZNS1_16scan_by_key_implILNS1_25lookback_scan_determinismE0ELb1ES3_N6thrust23THRUST_200600_302600_NS6detail15normal_iteratorINSB_10device_ptrIjEEEENSD_INSE_IS6_EEEESI_S6_NSB_4plusIvEENSB_8equal_toIvEES6_EE10hipError_tPvRmT2_T3_T4_T5_mT6_T7_P12ihipStream_tbENKUlT_T0_E_clISt17integral_constantIbLb1EES12_IbLb0EEEEDaSY_SZ_EUlSY_E_NS1_11comp_targetILNS1_3genE5ELNS1_11target_archE942ELNS1_3gpuE9ELNS1_3repE0EEENS1_30default_config_static_selectorELNS0_4arch9wavefront6targetE1EEEvT1_
; %bb.0:
	s_load_dwordx8 s[44:51], s[0:1], 0x0
	s_load_dwordx4 s[64:67], s[0:1], 0x20
	s_load_dwordx8 s[52:59], s[0:1], 0x38
	s_load_dwordx2 s[70:71], s[0:1], 0x58
	s_load_dword s4, s[0:1], 0x60
	s_load_dwordx4 s[60:63], s[0:1], 0x68
	v_mov_b32_e32 v7, v0
	v_mov_b32_e32 v0, 0
	s_mov_b32 s0, 0
	v_mov_b32_e32 v1, v0
	v_mov_b32_e32 v2, v0
	;; [unrolled: 1-line block ×3, first 2 shown]
	s_movk_i32 s32, 0x3c0
	s_waitcnt lgkmcnt(0)
	s_barrier
	scratch_store_dword off, v0, off offset:480
	scratch_store_dwordx4 off, v[0:3], off offset:464
.LBB2096_1:                             ; =>This Inner Loop Header: Depth=1
	s_add_i32 s1, s0, 0x1d0
	s_add_i32 s0, s0, 8
	s_cmp_lg_u32 s0, 16
	scratch_store_dwordx2 off, v[0:1], s1
	s_cbranch_scc1 .LBB2096_1
; %bb.2:
	v_mov_b32_e32 v0, 0
	v_mov_b32_e32 v1, 0x1d0
	s_mov_b32 s0, 20
	v_add_u32_e32 v46, 20, v1
	v_mov_b32_e32 v1, v0
	v_mov_b32_e32 v2, v0
	v_mov_b32_e32 v3, v0
	scratch_store_byte off, v0, off offset:480
	scratch_store_dword off, v0, off offset:500
	scratch_store_dwordx4 off, v[0:3], off offset:484
.LBB2096_3:                             ; =>This Inner Loop Header: Depth=1
	s_add_i32 s1, s0, 0x1d0
	s_add_i32 s0, s0, 8
	s_cmp_lg_u32 s0, 36
	scratch_store_dwordx2 off, v[0:1], s1
	s_cbranch_scc1 .LBB2096_3
; %bb.4:
	v_mov_b32_e32 v0, 0
	v_mov_b32_e32 v1, 0x1d0
	s_mov_b32 s0, 40
	v_add_u32_e32 v45, 40, v1
	v_mov_b32_e32 v1, v0
	v_mov_b32_e32 v2, v0
	v_mov_b32_e32 v3, v0
	scratch_store_byte off, v0, off offset:500
	;; [unrolled: 17-line block ×3, first 2 shown]
	scratch_store_dword off, v0, off offset:540
	scratch_store_dwordx4 off, v[0:3], off offset:524
.LBB2096_7:                             ; =>This Inner Loop Header: Depth=1
	s_add_i32 s1, s0, 0x1d0
	s_add_i32 s0, s0, 8
	s_cmpk_lg_i32 s0, 0x4c
	scratch_store_dwordx2 off, v[0:1], s1
	s_cbranch_scc1 .LBB2096_7
; %bb.8:
	v_mov_b32_e32 v0, 0
	v_mov_b32_e32 v1, 0x1d0
	s_movk_i32 s0, 0x50
	v_add_u32_e32 v43, 0x50, v1
	v_mov_b32_e32 v1, v0
	v_mov_b32_e32 v2, v0
	;; [unrolled: 1-line block ×3, first 2 shown]
	scratch_store_byte off, v0, off offset:540
	scratch_store_dword off, v0, off offset:560
	scratch_store_dwordx4 off, v[0:3], off offset:544
.LBB2096_9:                             ; =>This Inner Loop Header: Depth=1
	s_add_i32 s1, s0, 0x1d0
	s_add_i32 s0, s0, 8
	s_cmpk_lg_i32 s0, 0x60
	scratch_store_dwordx2 off, v[0:1], s1
	s_cbranch_scc1 .LBB2096_9
; %bb.10:
	v_mov_b32_e32 v0, 0
	v_mov_b32_e32 v1, 0x1d0
	s_movk_i32 s0, 0x64
	v_add_u32_e32 v42, 0x64, v1
	v_mov_b32_e32 v1, v0
	v_mov_b32_e32 v2, v0
	v_mov_b32_e32 v3, v0
	scratch_store_byte off, v0, off offset:560
	scratch_store_dword off, v0, off offset:580
	scratch_store_dwordx4 off, v[0:3], off offset:564
.LBB2096_11:                            ; =>This Inner Loop Header: Depth=1
	s_add_i32 s1, s0, 0x1d0
	s_add_i32 s0, s0, 8
	s_cmpk_lg_i32 s0, 0x74
	scratch_store_dwordx2 off, v[0:1], s1
	s_cbranch_scc1 .LBB2096_11
; %bb.12:
	v_mov_b32_e32 v0, 0
	v_mov_b32_e32 v1, 0x1d0
	s_movk_i32 s0, 0x78
	v_add_u32_e32 v41, 0x78, v1
	v_mov_b32_e32 v1, v0
	v_mov_b32_e32 v2, v0
	v_mov_b32_e32 v3, v0
	scratch_store_byte off, v0, off offset:580
	scratch_store_dword off, v0, off offset:600
	scratch_store_dwordx4 off, v[0:3], off offset:584
.LBB2096_13:                            ; =>This Inner Loop Header: Depth=1
	s_add_i32 s1, s0, 0x1d0
	s_add_i32 s0, s0, 8
	s_cmpk_lg_i32 s0, 0x88
	scratch_store_dwordx2 off, v[0:1], s1
	s_cbranch_scc1 .LBB2096_13
	;; [unrolled: 17-line block ×18, first 2 shown]
; %bb.46:
	v_mov_b32_e32 v0, 0
	v_mov_b64_e32 v[2:3], s[64:65]
	s_mov_b32 s0, 0
	v_mov_b64_e32 v[4:5], s[66:67]
	v_mov_b32_e32 v1, v0
	scratch_store_byte off, v0, off offset:920
	scratch_store_dwordx4 off, v[2:5], off
.LBB2096_47:                            ; =>This Inner Loop Header: Depth=1
	s_add_i32 s1, s0, 0x60
	s_add_i32 s0, s0, 8
	s_cmp_lg_u32 s0, 16
	scratch_store_dwordx2 off, v[0:1], s1
	s_cbranch_scc1 .LBB2096_47
; %bb.48:
	v_mov_b32_e32 v0, 0
	s_mov_b32 s0, 16
	v_mov_b32_e32 v1, v0
.LBB2096_49:                            ; =>This Inner Loop Header: Depth=1
	s_add_i32 s1, s0, 0x60
	s_add_i32 s0, s0, 8
	s_cmp_lg_u32 s0, 32
	scratch_store_dwordx2 off, v[0:1], s1
	s_cbranch_scc1 .LBB2096_49
; %bb.50:
	v_mov_b32_e32 v0, 0
	s_mov_b32 s0, 32
	v_mov_b32_e32 v1, v0
.LBB2096_51:                            ; =>This Inner Loop Header: Depth=1
	s_add_i32 s1, s0, 0x60
	s_add_i32 s0, s0, 8
	s_cmp_lg_u32 s0, 48
	scratch_store_dwordx2 off, v[0:1], s1
	s_cbranch_scc1 .LBB2096_51
; %bb.52:
	v_mov_b32_e32 v0, 0
	s_mov_b32 s0, 48
	v_mov_b32_e32 v1, v0
.LBB2096_53:                            ; =>This Inner Loop Header: Depth=1
	s_add_i32 s1, s0, 0x60
	s_add_i32 s0, s0, 8
	s_cmp_lg_u32 s0, 64
	scratch_store_dwordx2 off, v[0:1], s1
	s_cbranch_scc1 .LBB2096_53
; %bb.54:
	v_mov_b32_e32 v0, 0
	s_mov_b32 s0, 64
	v_mov_b32_e32 v1, v0
.LBB2096_55:                            ; =>This Inner Loop Header: Depth=1
	s_add_i32 s1, s0, 0x60
	s_add_i32 s0, s0, 8
	s_cmpk_lg_i32 s0, 0x50
	scratch_store_dwordx2 off, v[0:1], s1
	s_cbranch_scc1 .LBB2096_55
; %bb.56:
	v_mov_b32_e32 v0, 0
	s_movk_i32 s0, 0x50
	v_mov_b32_e32 v1, v0
.LBB2096_57:                            ; =>This Inner Loop Header: Depth=1
	s_add_i32 s1, s0, 0x60
	s_add_i32 s0, s0, 8
	s_cmpk_lg_i32 s0, 0x60
	scratch_store_dwordx2 off, v[0:1], s1
	s_cbranch_scc1 .LBB2096_57
; %bb.58:
	v_mov_b32_e32 v0, 0
	s_movk_i32 s0, 0x60
	v_mov_b32_e32 v1, v0
	;; [unrolled: 10-line block ×18, first 2 shown]
.LBB2096_91:                            ; =>This Inner Loop Header: Depth=1
	s_add_i32 s1, s0, 0x60
	s_add_i32 s0, s0, 8
	s_cmpk_lg_i32 s0, 0x170
	scratch_store_dwordx2 off, v[0:1], s1
	s_cbranch_scc1 .LBB2096_91
; %bb.92:
	s_lshl_b64 s[68:69], s[46:47], 4
	s_add_u32 s8, s48, s68
	s_addc_u32 s9, s49, s69
	s_lshl_b64 s[6:7], s[46:47], 2
	s_add_u32 s6, s44, s6
	s_mul_i32 s1, s71, s4
	s_mul_hi_u32 s3, s70, s4
	s_mul_i32 s0, s2, 0xb80
	s_addc_u32 s7, s45, s7
	s_add_i32 s3, s3, s1
	s_mov_b32 s1, 0
	s_mul_i32 s33, s70, s4
	s_lshl_b64 s[4:5], s[0:1], 2
	s_add_u32 s74, s6, s4
	s_addc_u32 s75, s7, s5
	s_lshl_b64 s[0:1], s[0:1], 4
	s_add_u32 s72, s8, s0
	s_addc_u32 s73, s9, s1
	s_add_u32 s6, s33, s2
	s_addc_u32 s7, s3, 0
	s_add_u32 s0, s60, -1
	v_mov_b32_e32 v0, 0x60
	s_addc_u32 s1, s61, -1
	v_add_u32_e32 v47, 0x160, v0
	v_add_u32_e32 v48, 0x150, v0
	;; [unrolled: 1-line block ×22, first 2 shown]
	v_mov_b64_e32 v[0:1], s[0:1]
	v_cmp_ge_u64_e32 vcc, s[6:7], v[0:1]
	s_mov_b64 s[4:5], -1
	s_cbranch_vccz .LBB2096_210
; %bb.93:
	v_mov_b64_e32 v[0:1], s[74:75]
	flat_load_dword v0, v[0:1]
	s_mul_i32 s80, s0, 0xfffff480
	s_add_i32 s80, s80, s58
	v_cmp_gt_u32_e32 vcc, s80, v7
	s_waitcnt vmcnt(0) lgkmcnt(0)
	v_mov_b32_e32 v1, v0
	s_and_saveexec_b64 s[0:1], vcc
	s_cbranch_execz .LBB2096_95
; %bb.94:
	v_lshlrev_b32_e32 v2, 2, v7
	v_mov_b32_e32 v3, 0
	v_lshl_add_u64 v[2:3], s[74:75], 0, v[2:3]
	flat_load_dword v1, v[2:3]
.LBB2096_95:
	s_or_b64 exec, exec, s[0:1]
	v_or_b32_e32 v2, 0x80, v7
	v_cmp_gt_u32_e64 s[0:1], s80, v2
	v_mov_b32_e32 v2, v0
	s_and_saveexec_b64 s[4:5], s[0:1]
	s_cbranch_execz .LBB2096_97
; %bb.96:
	v_lshlrev_b32_e32 v2, 2, v7
	v_mov_b32_e32 v3, 0
	v_lshl_add_u64 v[2:3], s[74:75], 0, v[2:3]
	flat_load_dword v2, v[2:3] offset:512
.LBB2096_97:
	s_or_b64 exec, exec, s[4:5]
	v_or_b32_e32 v71, 0x100, v7
	v_cmp_gt_u32_e64 s[46:47], s80, v71
	v_mov_b32_e32 v3, v0
	s_and_saveexec_b64 s[4:5], s[46:47]
	s_cbranch_execz .LBB2096_99
; %bb.98:
	v_lshlrev_b32_e32 v4, 2, v7
	v_mov_b32_e32 v5, 0
	v_lshl_add_u64 v[4:5], s[74:75], 0, v[4:5]
	flat_load_dword v3, v[4:5] offset:1024
.LBB2096_99:
	;; [unrolled: 12-line block ×7, first 2 shown]
	s_or_b64 exec, exec, s[14:15]
	v_or_b32_e32 v77, 0x400, v7
	v_cmp_gt_u32_e64 s[14:15], s80, v77
	v_mov_b32_e32 v11, v0
	s_and_saveexec_b64 s[16:17], s[14:15]
	s_cbranch_execz .LBB2096_111
; %bb.110:
	v_lshlrev_b32_e32 v12, 2, v77
	v_mov_b32_e32 v13, 0
	v_lshl_add_u64 v[12:13], s[74:75], 0, v[12:13]
	flat_load_dword v11, v[12:13]
.LBB2096_111:
	s_or_b64 exec, exec, s[16:17]
	v_or_b32_e32 v78, 0x480, v7
	v_cmp_gt_u32_e64 s[16:17], s80, v78
	v_mov_b32_e32 v12, v0
	s_and_saveexec_b64 s[18:19], s[16:17]
	s_cbranch_execz .LBB2096_113
; %bb.112:
	v_lshlrev_b32_e32 v12, 2, v78
	v_mov_b32_e32 v13, 0
	v_lshl_add_u64 v[12:13], s[74:75], 0, v[12:13]
	flat_load_dword v12, v[12:13]
.LBB2096_113:
	;; [unrolled: 12-line block ×14, first 2 shown]
	s_or_b64 exec, exec, s[44:45]
	v_or_b32_e32 v91, 0xb00, v7
	v_cmp_gt_u32_e64 s[44:45], s80, v91
	s_and_saveexec_b64 s[48:49], s[44:45]
	s_cbranch_execz .LBB2096_139
; %bb.138:
	v_lshlrev_b32_e32 v92, 2, v91
	v_mov_b32_e32 v93, 0
	v_lshl_add_u64 v[92:93], s[74:75], 0, v[92:93]
	flat_load_dword v0, v[92:93]
.LBB2096_139:
	s_or_b64 exec, exec, s[48:49]
	v_lshlrev_b32_e32 v24, 2, v7
	s_waitcnt vmcnt(0) lgkmcnt(0)
	ds_write2st64_b32 v24, v1, v2 offset1:2
	ds_write2st64_b32 v24, v3, v4 offset0:4 offset1:6
	ds_write2st64_b32 v24, v5, v8 offset0:8 offset1:10
	;; [unrolled: 1-line block ×10, first 2 shown]
	ds_write_b32 v24, v0 offset:11264
	v_mov_b64_e32 v[0:1], s[74:75]
	s_waitcnt lgkmcnt(0)
	s_barrier
	flat_load_dword v69, v[0:1]
	s_movk_i32 s48, 0x58
	v_mad_u32_u24 v25, v7, s48, v24
	s_movk_i32 s48, 0xffa8
	ds_read_b32 v70, v25
	ds_read2_b32 v[22:23], v25 offset0:1 offset1:2
	ds_read2_b32 v[20:21], v25 offset0:3 offset1:4
	;; [unrolled: 1-line block ×11, first 2 shown]
	v_mad_i32_i24 v25, v7, s48, v25
	s_movk_i32 s48, 0x7f
	v_cmp_ne_u32_e64 s[48:49], s48, v7
	s_waitcnt lgkmcnt(0)
	ds_write_b32 v25, v70 offset:12288
	s_waitcnt lgkmcnt(0)
	s_barrier
	s_and_saveexec_b64 s[76:77], s[48:49]
	s_cbranch_execz .LBB2096_141
; %bb.140:
	s_waitcnt vmcnt(0)
	ds_read_b32 v69, v24 offset:12292
.LBB2096_141:
	s_or_b64 exec, exec, s[76:77]
	v_mov_b32_e32 v25, 0
	s_waitcnt lgkmcnt(0)
	s_barrier
	s_and_saveexec_b64 s[48:49], vcc
	s_cbranch_execnz .LBB2096_1248
; %bb.142:
	s_or_b64 exec, exec, s[48:49]
	s_and_saveexec_b64 s[48:49], s[0:1]
	s_cbranch_execnz .LBB2096_1249
.LBB2096_143:
	s_or_b64 exec, exec, s[48:49]
	s_and_saveexec_b64 s[0:1], s[46:47]
	s_cbranch_execnz .LBB2096_1250
.LBB2096_144:
	s_or_b64 exec, exec, s[0:1]
	s_and_saveexec_b64 s[0:1], s[4:5]
	s_cbranch_execnz .LBB2096_1251
.LBB2096_145:
	s_or_b64 exec, exec, s[0:1]
	s_and_saveexec_b64 s[0:1], s[6:7]
	s_cbranch_execnz .LBB2096_1252
.LBB2096_146:
	s_or_b64 exec, exec, s[0:1]
	s_and_saveexec_b64 s[0:1], s[8:9]
	s_cbranch_execnz .LBB2096_1253
.LBB2096_147:
	s_or_b64 exec, exec, s[0:1]
	s_and_saveexec_b64 s[0:1], s[10:11]
	s_cbranch_execnz .LBB2096_1254
.LBB2096_148:
	s_or_b64 exec, exec, s[0:1]
	s_and_saveexec_b64 s[0:1], s[12:13]
	s_cbranch_execnz .LBB2096_1255
.LBB2096_149:
	s_or_b64 exec, exec, s[0:1]
	s_and_saveexec_b64 s[0:1], s[14:15]
	s_cbranch_execnz .LBB2096_1256
.LBB2096_150:
	s_or_b64 exec, exec, s[0:1]
	s_and_saveexec_b64 s[0:1], s[16:17]
	s_cbranch_execnz .LBB2096_1257
.LBB2096_151:
	s_or_b64 exec, exec, s[0:1]
	s_and_saveexec_b64 s[0:1], s[18:19]
	s_cbranch_execnz .LBB2096_1258
.LBB2096_152:
	s_or_b64 exec, exec, s[0:1]
	s_and_saveexec_b64 s[0:1], s[20:21]
	s_cbranch_execnz .LBB2096_1259
.LBB2096_153:
	s_or_b64 exec, exec, s[0:1]
	s_and_saveexec_b64 s[0:1], s[22:23]
	s_cbranch_execnz .LBB2096_1260
.LBB2096_154:
	s_or_b64 exec, exec, s[0:1]
	s_and_saveexec_b64 s[0:1], s[24:25]
	s_cbranch_execnz .LBB2096_1261
.LBB2096_155:
	s_or_b64 exec, exec, s[0:1]
	s_and_saveexec_b64 s[0:1], s[26:27]
	s_cbranch_execnz .LBB2096_1262
.LBB2096_156:
	s_or_b64 exec, exec, s[0:1]
	s_and_saveexec_b64 s[0:1], s[28:29]
	s_cbranch_execnz .LBB2096_1263
.LBB2096_157:
	s_or_b64 exec, exec, s[0:1]
	s_and_saveexec_b64 s[0:1], s[30:31]
	s_cbranch_execnz .LBB2096_1264
.LBB2096_158:
	s_or_b64 exec, exec, s[0:1]
	s_and_saveexec_b64 s[0:1], s[34:35]
	s_cbranch_execnz .LBB2096_1265
.LBB2096_159:
	s_or_b64 exec, exec, s[0:1]
	s_and_saveexec_b64 s[0:1], s[36:37]
	s_cbranch_execnz .LBB2096_1266
.LBB2096_160:
	s_or_b64 exec, exec, s[0:1]
	s_and_saveexec_b64 s[0:1], s[38:39]
	s_cbranch_execnz .LBB2096_1267
.LBB2096_161:
	s_or_b64 exec, exec, s[0:1]
	s_and_saveexec_b64 s[0:1], s[40:41]
	s_cbranch_execnz .LBB2096_1268
.LBB2096_162:
	s_or_b64 exec, exec, s[0:1]
	s_and_saveexec_b64 s[0:1], s[42:43]
	s_cbranch_execnz .LBB2096_1269
.LBB2096_163:
	s_or_b64 exec, exec, s[0:1]
	v_mul_u32_u24_e32 v24, 23, v7
	s_and_saveexec_b64 s[0:1], s[44:45]
	s_cbranch_execz .LBB2096_165
.LBB2096_164:
	v_lshlrev_b32_e32 v72, 4, v91
	v_mov_b32_e32 v73, 0
	v_lshl_add_u64 v[72:73], s[72:73], 0, v[72:73]
	flat_load_dwordx4 v[72:75], v[72:73]
	s_waitcnt vmcnt(0) lgkmcnt(0)
	scratch_store_dwordx4 off, v[72:75], off offset:448
.LBB2096_165:
	s_or_b64 exec, exec, s[0:1]
	scratch_load_dwordx4 v[72:75], off, off offset:96
	scratch_load_dwordx4 v[76:79], v68, off
	scratch_load_dwordx4 v[80:83], v67, off
	;; [unrolled: 1-line block ×22, first 2 shown]
	v_lshlrev_b32_e32 v25, 4, v7
	s_movk_i32 s0, 0x160
	v_mad_u32_u24 v71, v7, s0, v25
	v_cmp_gt_u32_e32 vcc, s80, v24
	s_mov_b64 s[4:5], 0
	s_mov_b64 s[8:9], 0
                                        ; implicit-def: $sgpr0_sgpr1
	s_waitcnt vmcnt(0)
	ds_write_b128 v25, v[72:75]
	ds_write_b128 v25, v[76:79] offset:2048
	ds_write_b128 v25, v[80:83] offset:4096
	;; [unrolled: 1-line block ×22, first 2 shown]
	s_waitcnt lgkmcnt(0)
	s_barrier
	ds_read_b128 v[72:75], v71
	ds_read_b128 v[76:79], v71 offset:16
	ds_read_b128 v[80:83], v71 offset:32
	;; [unrolled: 1-line block ×17, first 2 shown]
	s_waitcnt lgkmcnt(14)
	scratch_store_dwordx4 off, v[72:75], off offset:96
	scratch_store_dwordx4 v68, v[76:79], off
	scratch_store_dwordx4 v67, v[80:83], off
	;; [unrolled: 1-line block ×3, first 2 shown]
	s_waitcnt lgkmcnt(13)
	scratch_store_dwordx4 v65, v[88:91], off
	s_waitcnt lgkmcnt(12)
	scratch_store_dwordx4 v64, v[92:95], off
	;; [unrolled: 2-line block ×14, first 2 shown]
	ds_read_b128 v[72:75], v71 offset:288
	ds_read_b128 v[76:79], v71 offset:304
	;; [unrolled: 1-line block ×5, first 2 shown]
	s_waitcnt lgkmcnt(4)
	scratch_store_dwordx4 v51, v[72:75], off
	s_waitcnt lgkmcnt(3)
	scratch_store_dwordx4 v50, v[76:79], off
	;; [unrolled: 2-line block ×5, first 2 shown]
	s_and_saveexec_b64 s[6:7], vcc
	s_cbranch_execz .LBB2096_209
; %bb.166:
	v_cmp_ne_u32_e32 vcc, v70, v22
	v_mov_b32_e32 v25, 0
	v_mov_b32_e32 v70, 0x60
	v_cndmask_b32_e32 v70, v70, v25, vcc
	scratch_load_dwordx4 v[70:73], v70, off
	v_add_u32_e32 v75, 1, v24
	v_cndmask_b32_e64 v74, 0, 1, vcc
	v_cmp_gt_u32_e32 vcc, s80, v75
	s_mov_b64 s[10:11], 0
	scratch_store_byte off, v74, off offset:480
                                        ; implicit-def: $sgpr12_sgpr13
	s_waitcnt vmcnt(1)
	scratch_store_dwordx4 off, v[70:73], off offset:464
	s_and_saveexec_b64 s[8:9], vcc
	s_cbranch_execz .LBB2096_208
; %bb.167:
	v_cmp_ne_u32_e32 vcc, v22, v23
	s_mov_b64 s[0:1], 0
                                        ; implicit-def: $sgpr12_sgpr13
	s_nop 0
	v_cndmask_b32_e32 v25, v68, v25, vcc
	scratch_load_dwordx4 v[70:73], v25, off
	v_add_u32_e32 v25, 2, v24
	v_cndmask_b32_e64 v22, 0, 1, vcc
	v_cmp_gt_u32_e32 vcc, s80, v25
	scratch_store_byte off, v22, off offset:500
	s_waitcnt vmcnt(1)
	scratch_store_dwordx4 v46, v[70:73], off
	s_and_saveexec_b64 s[10:11], vcc
	s_cbranch_execz .LBB2096_207
; %bb.168:
	v_cmp_ne_u32_e32 vcc, v23, v20
	v_mov_b32_e32 v22, 0
                                        ; implicit-def: $sgpr14_sgpr15
	s_nop 0
	v_cndmask_b32_e32 v25, v67, v22, vcc
	scratch_load_dwordx4 v[70:73], v25, off
	v_add_u32_e32 v25, 3, v24
	v_cndmask_b32_e64 v23, 0, 1, vcc
	v_cmp_gt_u32_e32 vcc, s80, v25
	scratch_store_byte off, v23, off offset:520
	s_waitcnt vmcnt(1)
	scratch_store_dwordx4 v45, v[70:73], off
	s_and_saveexec_b64 s[12:13], vcc
	s_cbranch_execz .LBB2096_206
; %bb.169:
	v_cmp_ne_u32_e32 vcc, v20, v21
                                        ; implicit-def: $sgpr16_sgpr17
	s_nop 1
	v_cndmask_b32_e32 v22, v66, v22, vcc
	scratch_load_dwordx4 v[70:73], v22, off
	v_add_u32_e32 v22, 4, v24
	v_cndmask_b32_e64 v20, 0, 1, vcc
	v_cmp_gt_u32_e32 vcc, s80, v22
	scratch_store_byte off, v20, off offset:540
	s_waitcnt vmcnt(1)
	scratch_store_dwordx4 v44, v[70:73], off
	s_and_saveexec_b64 s[14:15], vcc
	s_cbranch_execz .LBB2096_205
; %bb.170:
	v_cmp_ne_u32_e32 vcc, v21, v18
	v_mov_b32_e32 v20, 0
                                        ; implicit-def: $sgpr18_sgpr19
	s_nop 0
	v_cndmask_b32_e32 v22, v65, v20, vcc
	scratch_load_dwordx4 v[70:73], v22, off
	v_add_u32_e32 v22, 5, v24
	v_cndmask_b32_e64 v21, 0, 1, vcc
	v_cmp_gt_u32_e32 vcc, s80, v22
	scratch_store_byte off, v21, off offset:560
	s_waitcnt vmcnt(1)
	scratch_store_dwordx4 v43, v[70:73], off
	s_and_saveexec_b64 s[16:17], vcc
	s_cbranch_execz .LBB2096_204
; %bb.171:
	v_cmp_ne_u32_e32 vcc, v18, v19
	v_add_u32_e32 v25, 6, v24
                                        ; implicit-def: $sgpr20_sgpr21
	s_nop 0
	v_cndmask_b32_e32 v20, v64, v20, vcc
	scratch_load_dwordx4 v[20:23], v20, off
	v_cndmask_b32_e64 v18, 0, 1, vcc
	v_cmp_gt_u32_e32 vcc, s80, v25
	scratch_store_byte off, v18, off offset:580
	s_waitcnt vmcnt(1)
	scratch_store_dwordx4 v42, v[20:23], off
	s_and_saveexec_b64 s[18:19], vcc
	s_cbranch_execz .LBB2096_203
; %bb.172:
	v_cmp_ne_u32_e32 vcc, v19, v16
	v_mov_b32_e32 v18, 0
	v_add_u32_e32 v25, 7, v24
	v_cndmask_b32_e32 v20, v63, v18, vcc
	scratch_load_dwordx4 v[20:23], v20, off
	v_cndmask_b32_e64 v19, 0, 1, vcc
	v_cmp_gt_u32_e32 vcc, s80, v25
	scratch_store_byte off, v19, off offset:600
                                        ; implicit-def: $sgpr22_sgpr23
	s_waitcnt vmcnt(1)
	scratch_store_dwordx4 v41, v[20:23], off
	s_and_saveexec_b64 s[20:21], vcc
	s_cbranch_execz .LBB2096_202
; %bb.173:
	v_cmp_ne_u32_e32 vcc, v16, v17
	v_add_u32_e32 v22, 8, v24
                                        ; implicit-def: $sgpr24_sgpr25
	s_nop 0
	v_cndmask_b32_e32 v18, v62, v18, vcc
	scratch_load_dwordx4 v[18:21], v18, off
	v_cndmask_b32_e64 v16, 0, 1, vcc
	v_cmp_gt_u32_e32 vcc, s80, v22
	scratch_store_byte off, v16, off offset:620
	s_waitcnt vmcnt(1)
	scratch_store_dwordx4 v40, v[18:21], off
	s_and_saveexec_b64 s[22:23], vcc
	s_cbranch_execz .LBB2096_201
; %bb.174:
	v_cmp_ne_u32_e32 vcc, v17, v14
	v_mov_b32_e32 v16, 0
	v_add_u32_e32 v22, 9, v24
	v_cndmask_b32_e32 v18, v61, v16, vcc
	scratch_load_dwordx4 v[18:21], v18, off
	v_cndmask_b32_e64 v17, 0, 1, vcc
	v_cmp_gt_u32_e32 vcc, s80, v22
	scratch_store_byte off, v17, off offset:640
                                        ; implicit-def: $sgpr26_sgpr27
	s_waitcnt vmcnt(1)
	scratch_store_dwordx4 v39, v[18:21], off
	s_and_saveexec_b64 s[24:25], vcc
	s_cbranch_execz .LBB2096_200
; %bb.175:
	v_cmp_ne_u32_e32 vcc, v14, v15
	v_add_u32_e32 v20, 10, v24
                                        ; implicit-def: $sgpr28_sgpr29
	s_nop 0
	v_cndmask_b32_e32 v16, v60, v16, vcc
	scratch_load_dwordx4 v[16:19], v16, off
	v_cndmask_b32_e64 v14, 0, 1, vcc
	v_cmp_gt_u32_e32 vcc, s80, v20
	scratch_store_byte off, v14, off offset:660
	s_waitcnt vmcnt(1)
	scratch_store_dwordx4 v38, v[16:19], off
	s_and_saveexec_b64 s[26:27], vcc
	s_cbranch_execz .LBB2096_199
; %bb.176:
	v_cmp_ne_u32_e32 vcc, v15, v12
	v_mov_b32_e32 v14, 0
	v_add_u32_e32 v20, 11, v24
	v_cndmask_b32_e32 v16, v59, v14, vcc
	scratch_load_dwordx4 v[16:19], v16, off
	v_cndmask_b32_e64 v15, 0, 1, vcc
	v_cmp_gt_u32_e32 vcc, s80, v20
	scratch_store_byte off, v15, off offset:680
                                        ; implicit-def: $sgpr30_sgpr31
	s_waitcnt vmcnt(1)
	scratch_store_dwordx4 v37, v[16:19], off
	s_and_saveexec_b64 s[28:29], vcc
	s_cbranch_execz .LBB2096_198
; %bb.177:
	v_cmp_ne_u32_e32 vcc, v12, v13
	v_add_u32_e32 v18, 12, v24
                                        ; implicit-def: $sgpr34_sgpr35
	s_nop 0
	v_cndmask_b32_e32 v14, v58, v14, vcc
	scratch_load_dwordx4 v[14:17], v14, off
	v_cndmask_b32_e64 v12, 0, 1, vcc
	v_cmp_gt_u32_e32 vcc, s80, v18
	scratch_store_byte off, v12, off offset:700
	s_waitcnt vmcnt(1)
	scratch_store_dwordx4 v36, v[14:17], off
	s_and_saveexec_b64 s[30:31], vcc
	s_cbranch_execz .LBB2096_197
; %bb.178:
	v_cmp_ne_u32_e32 vcc, v13, v10
	v_mov_b32_e32 v12, 0
	v_add_u32_e32 v18, 13, v24
	v_cndmask_b32_e32 v14, v57, v12, vcc
	scratch_load_dwordx4 v[14:17], v14, off
	v_cndmask_b32_e64 v13, 0, 1, vcc
	v_cmp_gt_u32_e32 vcc, s80, v18
	scratch_store_byte off, v13, off offset:720
                                        ; implicit-def: $sgpr36_sgpr37
	s_waitcnt vmcnt(1)
	scratch_store_dwordx4 v35, v[14:17], off
	s_and_saveexec_b64 s[34:35], vcc
	s_cbranch_execz .LBB2096_196
; %bb.179:
	v_cmp_ne_u32_e32 vcc, v10, v11
	v_add_u32_e32 v16, 14, v24
                                        ; implicit-def: $sgpr38_sgpr39
	s_nop 0
	v_cndmask_b32_e32 v12, v56, v12, vcc
	scratch_load_dwordx4 v[12:15], v12, off
	v_cndmask_b32_e64 v10, 0, 1, vcc
	v_cmp_gt_u32_e32 vcc, s80, v16
	scratch_store_byte off, v10, off offset:740
	s_waitcnt vmcnt(1)
	scratch_store_dwordx4 v34, v[12:15], off
	s_and_saveexec_b64 s[36:37], vcc
	s_cbranch_execz .LBB2096_195
; %bb.180:
	v_cmp_ne_u32_e32 vcc, v11, v8
	v_mov_b32_e32 v10, 0
	v_add_u32_e32 v16, 15, v24
	v_cndmask_b32_e32 v12, v55, v10, vcc
	scratch_load_dwordx4 v[12:15], v12, off
	v_cndmask_b32_e64 v11, 0, 1, vcc
	v_cmp_gt_u32_e32 vcc, s80, v16
	scratch_store_byte off, v11, off offset:760
                                        ; implicit-def: $sgpr40_sgpr41
	s_waitcnt vmcnt(1)
	scratch_store_dwordx4 v33, v[12:15], off
	s_and_saveexec_b64 s[38:39], vcc
	s_cbranch_execz .LBB2096_194
; %bb.181:
	v_cmp_ne_u32_e32 vcc, v8, v9
	v_add_u32_e32 v14, 16, v24
                                        ; implicit-def: $sgpr42_sgpr43
	s_nop 0
	v_cndmask_b32_e32 v10, v54, v10, vcc
	scratch_load_dwordx4 v[10:13], v10, off
	v_cndmask_b32_e64 v8, 0, 1, vcc
	v_cmp_gt_u32_e32 vcc, s80, v14
	scratch_store_byte off, v8, off offset:780
	s_waitcnt vmcnt(1)
	scratch_store_dwordx4 v32, v[10:13], off
	s_and_saveexec_b64 s[40:41], vcc
	s_cbranch_execz .LBB2096_193
; %bb.182:
	v_cmp_ne_u32_e32 vcc, v9, v4
	v_mov_b32_e32 v8, 0
	v_add_u32_e32 v14, 17, v24
	v_cndmask_b32_e32 v10, v53, v8, vcc
	scratch_load_dwordx4 v[10:13], v10, off
	v_cndmask_b32_e64 v9, 0, 1, vcc
	v_cmp_gt_u32_e32 vcc, s80, v14
	scratch_store_byte off, v9, off offset:800
                                        ; implicit-def: $sgpr44_sgpr45
	s_waitcnt vmcnt(1)
	scratch_store_dwordx4 v31, v[10:13], off
	s_and_saveexec_b64 s[42:43], vcc
	s_cbranch_execz .LBB2096_192
; %bb.183:
	v_cmp_ne_u32_e32 vcc, v4, v5
	v_add_u32_e32 v12, 18, v24
                                        ; implicit-def: $sgpr46_sgpr47
	s_nop 0
	v_cndmask_b32_e32 v8, v52, v8, vcc
	scratch_load_dwordx4 v[8:11], v8, off
	v_cndmask_b32_e64 v4, 0, 1, vcc
	v_cmp_gt_u32_e32 vcc, s80, v12
	scratch_store_byte off, v4, off offset:820
	s_waitcnt vmcnt(1)
	scratch_store_dwordx4 v30, v[8:11], off
	s_and_saveexec_b64 s[44:45], vcc
	s_cbranch_execz .LBB2096_191
; %bb.184:
	v_cmp_ne_u32_e32 vcc, v5, v2
	v_mov_b32_e32 v4, 0
	v_add_u32_e32 v12, 19, v24
	v_cndmask_b32_e32 v8, v51, v4, vcc
	scratch_load_dwordx4 v[8:11], v8, off
	v_cndmask_b32_e64 v5, 0, 1, vcc
	v_cmp_gt_u32_e32 vcc, s80, v12
	scratch_store_byte off, v5, off offset:840
                                        ; implicit-def: $sgpr48_sgpr49
	s_waitcnt vmcnt(1)
	scratch_store_dwordx4 v29, v[8:11], off
	s_and_saveexec_b64 s[46:47], vcc
	s_cbranch_execz .LBB2096_190
; %bb.185:
	v_cmp_ne_u32_e32 vcc, v2, v3
                                        ; implicit-def: $sgpr76_sgpr77
	s_nop 1
	v_cndmask_b32_e32 v4, v50, v4, vcc
	scratch_load_dwordx4 v[8:11], v4, off
	v_add_u32_e32 v4, 20, v24
	v_cndmask_b32_e64 v2, 0, 1, vcc
	v_cmp_gt_u32_e32 vcc, s80, v4
	scratch_store_byte off, v2, off offset:860
	s_waitcnt vmcnt(1)
	scratch_store_dwordx4 v28, v[8:11], off
	s_and_saveexec_b64 s[48:49], vcc
	s_cbranch_execz .LBB2096_189
; %bb.186:
	v_cmp_ne_u32_e32 vcc, v3, v0
	v_mov_b32_e32 v2, 0
                                        ; implicit-def: $sgpr78_sgpr79
	s_nop 0
	v_cndmask_b32_e32 v4, v49, v2, vcc
	scratch_load_dwordx4 v[8:11], v4, off
	v_add_u32_e32 v4, 21, v24
	v_cndmask_b32_e64 v3, 0, 1, vcc
	v_cmp_gt_u32_e32 vcc, s80, v4
	scratch_store_byte off, v3, off offset:880
	s_waitcnt vmcnt(1)
	scratch_store_dwordx4 v27, v[8:11], off
	s_and_saveexec_b64 s[76:77], vcc
	s_xor_b64 s[76:77], exec, s[76:77]
	s_cbranch_execz .LBB2096_188
; %bb.187:
	v_cmp_ne_u32_e32 vcc, v0, v1
	s_nop 1
	v_cndmask_b32_e32 v2, v48, v2, vcc
	scratch_load_dwordx4 v[2:5], v2, off
	v_cndmask_b32_e64 v0, 0, 1, vcc
	v_cmp_ne_u32_e32 vcc, v1, v69
	v_add_u32_e32 v1, 22, v24
	v_cmp_gt_u32_e64 s[0:1], s80, v1
	s_and_b64 s[78:79], vcc, exec
	s_and_b64 s[0:1], s[0:1], exec
	scratch_store_byte off, v0, off offset:900
	s_waitcnt vmcnt(1)
	scratch_store_dwordx4 v26, v[2:5], off
.LBB2096_188:
	s_or_b64 exec, exec, s[76:77]
	s_and_b64 s[76:77], s[78:79], exec
	s_and_b64 s[0:1], s[0:1], exec
.LBB2096_189:
	s_or_b64 exec, exec, s[48:49]
	s_and_b64 s[48:49], s[76:77], exec
	s_and_b64 s[0:1], s[0:1], exec
.LBB2096_190:
	s_or_b64 exec, exec, s[46:47]
	s_and_b64 s[46:47], s[48:49], exec
	s_and_b64 s[0:1], s[0:1], exec
.LBB2096_191:
	s_or_b64 exec, exec, s[44:45]
	s_and_b64 s[44:45], s[46:47], exec
	s_and_b64 s[0:1], s[0:1], exec
.LBB2096_192:
	s_or_b64 exec, exec, s[42:43]
	s_and_b64 s[42:43], s[44:45], exec
	s_and_b64 s[0:1], s[0:1], exec
.LBB2096_193:
	s_or_b64 exec, exec, s[40:41]
	s_and_b64 s[40:41], s[42:43], exec
	s_and_b64 s[0:1], s[0:1], exec
.LBB2096_194:
	s_or_b64 exec, exec, s[38:39]
	s_and_b64 s[38:39], s[40:41], exec
	s_and_b64 s[0:1], s[0:1], exec
.LBB2096_195:
	s_or_b64 exec, exec, s[36:37]
	s_and_b64 s[36:37], s[38:39], exec
	s_and_b64 s[0:1], s[0:1], exec
.LBB2096_196:
	s_or_b64 exec, exec, s[34:35]
	s_and_b64 s[34:35], s[36:37], exec
	s_and_b64 s[0:1], s[0:1], exec
.LBB2096_197:
	s_or_b64 exec, exec, s[30:31]
	s_and_b64 s[30:31], s[34:35], exec
	s_and_b64 s[0:1], s[0:1], exec
.LBB2096_198:
	s_or_b64 exec, exec, s[28:29]
	s_and_b64 s[28:29], s[30:31], exec
	s_and_b64 s[0:1], s[0:1], exec
.LBB2096_199:
	s_or_b64 exec, exec, s[26:27]
	s_and_b64 s[26:27], s[28:29], exec
	s_and_b64 s[0:1], s[0:1], exec
.LBB2096_200:
	s_or_b64 exec, exec, s[24:25]
	s_and_b64 s[24:25], s[26:27], exec
	s_and_b64 s[0:1], s[0:1], exec
.LBB2096_201:
	s_or_b64 exec, exec, s[22:23]
	s_and_b64 s[22:23], s[24:25], exec
	s_and_b64 s[0:1], s[0:1], exec
.LBB2096_202:
	s_or_b64 exec, exec, s[20:21]
	s_and_b64 s[20:21], s[22:23], exec
	s_and_b64 s[0:1], s[0:1], exec
.LBB2096_203:
	s_or_b64 exec, exec, s[18:19]
	s_and_b64 s[18:19], s[20:21], exec
	s_and_b64 s[0:1], s[0:1], exec
.LBB2096_204:
	s_or_b64 exec, exec, s[16:17]
	s_and_b64 s[16:17], s[18:19], exec
	s_and_b64 s[0:1], s[0:1], exec
.LBB2096_205:
	s_or_b64 exec, exec, s[14:15]
	s_and_b64 s[14:15], s[16:17], exec
	s_and_b64 s[0:1], s[0:1], exec
.LBB2096_206:
	s_or_b64 exec, exec, s[12:13]
	s_and_b64 s[12:13], s[14:15], exec
	s_and_b64 s[0:1], s[0:1], exec
.LBB2096_207:
	s_or_b64 exec, exec, s[10:11]
	s_and_b64 s[12:13], s[12:13], exec
	s_and_b64 s[10:11], s[0:1], exec
.LBB2096_208:
	s_or_b64 exec, exec, s[8:9]
	s_and_b64 s[0:1], s[12:13], exec
	s_and_b64 s[8:9], s[10:11], exec
.LBB2096_209:
	s_or_b64 exec, exec, s[6:7]
	s_and_b64 vcc, exec, s[4:5]
	s_cbranch_vccnz .LBB2096_211
	s_branch .LBB2096_214
.LBB2096_210:
	s_mov_b64 s[8:9], 0
                                        ; implicit-def: $sgpr0_sgpr1
	s_and_b64 vcc, exec, s[4:5]
	s_cbranch_vccz .LBB2096_214
.LBB2096_211:
	v_mov_b32_e32 v1, 0
	v_lshlrev_b32_e32 v0, 2, v7
	v_lshl_add_u64 v[2:3], s[74:75], 0, v[0:1]
	v_add_co_u32_e32 v4, vcc, 0x1000, v2
	flat_load_dword v8, v[2:3]
	flat_load_dword v9, v[2:3] offset:512
	flat_load_dword v10, v[2:3] offset:1024
	;; [unrolled: 1-line block ×7, first 2 shown]
	v_addc_co_u32_e32 v5, vcc, 0, v3, vcc
	v_add_co_u32_e32 v2, vcc, 0x2000, v2
	flat_load_dword v16, v[4:5]
	flat_load_dword v17, v[4:5] offset:512
	flat_load_dword v18, v[4:5] offset:1024
	;; [unrolled: 1-line block ×7, first 2 shown]
	v_addc_co_u32_e32 v3, vcc, 0, v3, vcc
	flat_load_dword v4, v[2:3]
	flat_load_dword v5, v[2:3] offset:512
	flat_load_dword v24, v[2:3] offset:1024
	;; [unrolled: 1-line block ×6, first 2 shown]
	v_mov_b32_e32 v2, s74
	v_mov_b32_e32 v3, s75
	v_add_co_u32_e32 v2, vcc, 0x2000, v2
	s_movk_i32 s0, 0x58
	s_nop 0
	v_addc_co_u32_e32 v3, vcc, 0, v3, vcc
	s_movk_i32 s5, 0x1000
	s_movk_i32 s4, 0x2000
	s_waitcnt vmcnt(0) lgkmcnt(0)
	ds_write2st64_b32 v0, v8, v9 offset1:2
	ds_write2st64_b32 v0, v10, v11 offset0:4 offset1:6
	ds_write2st64_b32 v0, v12, v13 offset0:8 offset1:10
	;; [unrolled: 1-line block ×10, first 2 shown]
	ds_write_b32 v0, v71 offset:11264
	s_waitcnt lgkmcnt(0)
	s_barrier
	flat_load_dword v69, v[2:3] offset:3584
	v_mad_u32_u24 v71, v7, s0, v0
	s_movk_i32 s0, 0xffa8
	ds_read_b32 v70, v71
	ds_read2_b32 v[24:25], v71 offset0:1 offset1:2
	ds_read2_b32 v[22:23], v71 offset0:3 offset1:4
	;; [unrolled: 1-line block ×11, first 2 shown]
	v_mad_i32_i24 v71, v7, s0, v71
	s_movk_i32 s0, 0x7f
	v_cmp_ne_u32_e32 vcc, s0, v7
	s_waitcnt lgkmcnt(0)
	ds_write_b32 v71, v70 offset:12288
	s_waitcnt lgkmcnt(0)
	s_barrier
	s_and_saveexec_b64 s[0:1], vcc
	s_cbranch_execz .LBB2096_213
; %bb.212:
	s_waitcnt vmcnt(0)
	ds_read_b32 v69, v0 offset:12292
.LBB2096_213:
	s_or_b64 exec, exec, s[0:1]
	v_lshlrev_b32_e32 v0, 4, v7
	v_lshl_add_u64 v[76:77], s[72:73], 0, v[0:1]
	s_waitcnt lgkmcnt(0)
	s_barrier
	flat_load_dwordx4 v[72:75], v[76:77]
	v_add_co_u32_e32 v78, vcc, s5, v76
	s_movk_i32 s0, 0x3000
	s_nop 0
	v_addc_co_u32_e32 v79, vcc, 0, v77, vcc
	v_cmp_ne_u32_e64 s[8:9], v70, v24
	v_cmp_ne_u32_e64 s[6:7], v24, v25
	;; [unrolled: 1-line block ×3, first 2 shown]
	s_movk_i32 s46, 0x160
	v_mad_u32_u24 v180, v7, s46, v0
	v_cmp_ne_u32_e64 s[42:43], v21, v18
	v_cmp_ne_u32_e64 s[40:41], v18, v19
	;; [unrolled: 1-line block ×15, first 2 shown]
	v_mov_b32_e32 v1, 0
	v_mov_b32_e32 v2, 0x60
	v_cmp_ne_u32_e64 s[14:15], v4, v5
	v_cndmask_b32_e64 v2, v2, v1, s[8:9]
	v_cndmask_b32_e64 v181, v68, v1, s[6:7]
	;; [unrolled: 1-line block ×19, first 2 shown]
	s_mov_b64 s[8:9], -1
	v_cndmask_b32_e64 v161, 0, 1, s[6:7]
	v_cndmask_b32_e64 v163, 0, 1, s[44:45]
	;; [unrolled: 1-line block ×18, first 2 shown]
	s_waitcnt vmcnt(0) lgkmcnt(0)
	scratch_store_dwordx4 off, v[72:75], off offset:96
	flat_load_dwordx4 v[72:75], v[76:77] offset:2048
	s_waitcnt vmcnt(0) lgkmcnt(0)
	scratch_store_dwordx4 off, v[72:75], off offset:112
	flat_load_dwordx4 v[72:75], v[78:79]
	s_waitcnt vmcnt(0) lgkmcnt(0)
	scratch_store_dwordx4 off, v[72:75], off offset:128
	flat_load_dwordx4 v[72:75], v[78:79] offset:2048
	v_add_co_u32_e32 v78, vcc, s4, v76
	v_cmp_ne_u32_e64 s[4:5], v25, v22
	s_nop 0
	v_addc_co_u32_e32 v79, vcc, 0, v77, vcc
	v_cndmask_b32_e64 v182, v67, v1, s[4:5]
	v_cndmask_b32_e64 v162, 0, 1, s[4:5]
	s_waitcnt vmcnt(0) lgkmcnt(0)
	scratch_store_dwordx4 off, v[72:75], off offset:144
	flat_load_dwordx4 v[72:75], v[78:79]
	s_waitcnt vmcnt(0) lgkmcnt(0)
	scratch_store_dwordx4 off, v[72:75], off offset:160
	flat_load_dwordx4 v[72:75], v[78:79] offset:2048
	v_add_co_u32_e32 v78, vcc, s0, v76
	s_movk_i32 s0, 0x4000
	s_nop 0
	v_addc_co_u32_e32 v79, vcc, 0, v77, vcc
	s_waitcnt vmcnt(0) lgkmcnt(0)
	scratch_store_dwordx4 off, v[72:75], off offset:176
	flat_load_dwordx4 v[72:75], v[78:79]
	s_waitcnt vmcnt(0) lgkmcnt(0)
	scratch_store_dwordx4 off, v[72:75], off offset:192
	flat_load_dwordx4 v[72:75], v[78:79] offset:2048
	v_add_co_u32_e32 v78, vcc, s0, v76
	s_movk_i32 s0, 0x5000
	s_nop 0
	v_addc_co_u32_e32 v79, vcc, 0, v77, vcc
	;; [unrolled: 10-line block ×4, first 2 shown]
	s_waitcnt vmcnt(0) lgkmcnt(0)
	scratch_store_dwordx4 off, v[72:75], off offset:272
	flat_load_dwordx4 v[72:75], v[78:79]
	s_waitcnt vmcnt(0) lgkmcnt(0)
	scratch_store_dwordx4 off, v[72:75], off offset:288
	flat_load_dwordx4 v[72:75], v[78:79] offset:2048
	v_add_co_u32_e32 v78, vcc, s0, v76
	s_mov_b32 s0, 0x8000
	s_nop 0
	v_addc_co_u32_e32 v79, vcc, 0, v77, vcc
	s_waitcnt vmcnt(0) lgkmcnt(0)
	scratch_store_dwordx4 off, v[72:75], off offset:304
	flat_load_dwordx4 v[72:75], v[78:79]
	s_waitcnt vmcnt(0) lgkmcnt(0)
	scratch_store_dwordx4 off, v[72:75], off offset:320
	flat_load_dwordx4 v[72:75], v[78:79] offset:2048
	v_add_co_u32_e32 v78, vcc, s0, v76
	s_mov_b32 s0, 0x9000
	s_nop 0
	v_addc_co_u32_e32 v79, vcc, 0, v77, vcc
	;; [unrolled: 10-line block ×4, first 2 shown]
	v_add_co_u32_e32 v76, vcc, s0, v76
	v_cmp_ne_u32_e64 s[0:1], v23, v20
	s_nop 0
	v_addc_co_u32_e32 v77, vcc, 0, v77, vcc
	v_cmp_ne_u32_e32 vcc, v20, v21
	v_cndmask_b32_e64 v184, v65, v1, s[0:1]
	v_cndmask_b32_e64 v164, 0, 1, s[0:1]
	v_cndmask_b32_e32 v185, v64, v1, vcc
	v_cndmask_b32_e64 v1, v48, v1, s[10:11]
	v_cmp_ne_u32_e64 s[0:1], v3, v69
	v_cndmask_b32_e64 v165, 0, 1, vcc
	s_waitcnt vmcnt(0) lgkmcnt(0)
	scratch_store_dwordx4 off, v[72:75], off offset:400
	flat_load_dwordx4 v[72:75], v[78:79]
	s_waitcnt vmcnt(0) lgkmcnt(0)
	scratch_store_dwordx4 off, v[72:75], off offset:416
	flat_load_dwordx4 v[72:75], v[78:79] offset:2048
	s_waitcnt vmcnt(0) lgkmcnt(0)
	scratch_store_dwordx4 off, v[72:75], off offset:432
	flat_load_dwordx4 v[72:75], v[76:77]
	s_nop 0
	scratch_load_dwordx4 v[22:25], off, off offset:96
	scratch_load_dwordx4 v[76:79], v68, off
	scratch_load_dwordx4 v[80:83], v67, off
	;; [unrolled: 1-line block ×20, first 2 shown]
	s_waitcnt vmcnt(0) lgkmcnt(0)
	scratch_store_dwordx4 off, v[72:75], off offset:448
	scratch_load_dwordx4 v[70:73], v48, off
	s_nop 0
	scratch_load_dwordx4 v[156:159], v47, off
	ds_write_b128 v0, v[22:25]
	ds_write_b128 v0, v[76:79] offset:2048
	ds_write_b128 v0, v[80:83] offset:4096
	;; [unrolled: 1-line block ×20, first 2 shown]
	s_waitcnt vmcnt(1)
	ds_write_b128 v0, v[70:73] offset:43008
	s_waitcnt vmcnt(0)
	ds_write_b128 v0, v[156:159] offset:45056
	s_waitcnt lgkmcnt(0)
	s_barrier
	ds_read_b128 v[8:11], v180
	ds_read_b128 v[12:15], v180 offset:16
	ds_read_b128 v[16:19], v180 offset:32
	;; [unrolled: 1-line block ×21, first 2 shown]
	s_waitcnt lgkmcnt(14)
	scratch_store_dwordx4 off, v[8:11], off offset:96
	scratch_store_dwordx4 v68, v[12:15], off
	scratch_store_dwordx4 v67, v[16:19], off
	;; [unrolled: 1-line block ×7, first 2 shown]
	s_waitcnt lgkmcnt(13)
	scratch_store_dwordx4 v61, v[86:89], off
	s_waitcnt lgkmcnt(12)
	scratch_store_dwordx4 v60, v[90:93], off
	s_waitcnt lgkmcnt(11)
	scratch_store_dwordx4 v59, v[94:97], off
	s_waitcnt lgkmcnt(10)
	scratch_store_dwordx4 v58, v[98:101], off
	s_waitcnt lgkmcnt(9)
	scratch_store_dwordx4 v57, v[102:105], off
	s_waitcnt lgkmcnt(8)
	scratch_store_dwordx4 v56, v[106:109], off
	s_waitcnt lgkmcnt(7)
	scratch_store_dwordx4 v55, v[110:113], off
	s_waitcnt lgkmcnt(6)
	scratch_store_dwordx4 v54, v[114:117], off
	s_waitcnt lgkmcnt(5)
	scratch_store_dwordx4 v53, v[118:121], off
	s_waitcnt lgkmcnt(4)
	scratch_store_dwordx4 v52, v[122:125], off
	s_waitcnt lgkmcnt(3)
	scratch_store_dwordx4 v51, v[126:129], off
	s_waitcnt lgkmcnt(2)
	scratch_store_dwordx4 v50, v[130:133], off
	s_waitcnt lgkmcnt(1)
	scratch_store_dwordx4 v49, v[134:137], off
	s_waitcnt lgkmcnt(0)
	scratch_store_dwordx4 v48, v[138:141], off
	scratch_load_dwordx4 v[8:11], v2, off
	scratch_load_dwordx4 v[12:15], v181, off
	;; [unrolled: 1-line block ×4, first 2 shown]
	s_nop 0
	scratch_load_dwordx4 v[48:51], v184, off
	scratch_load_dwordx4 v[52:55], v185, off
	;; [unrolled: 1-line block ×10, first 2 shown]
                                        ; kill: killed $vgpr183
                                        ; kill: killed $vgpr187
                                        ; kill: killed $vgpr191
                                        ; kill: killed $vgpr184
                                        ; kill: killed $vgpr188
                                        ; kill: killed $vgpr192
                                        ; kill: killed $vgpr181
                                        ; kill: killed $vgpr185
                                        ; kill: killed $vgpr189
                                        ; kill: killed $vgpr193
                                        ; kill: killed $vgpr182
                                        ; kill: killed $vgpr186
                                        ; kill: killed $vgpr190
	scratch_load_dwordx4 v[90:93], v194, off
	scratch_load_dwordx4 v[94:97], v195, off
	;; [unrolled: 1-line block ×3, first 2 shown]
                                        ; kill: killed $vgpr195
                                        ; kill: killed $vgpr196
                                        ; kill: killed $vgpr194
	scratch_load_dwordx4 v[102:105], v197, off
	scratch_load_dwordx4 v[106:109], v198, off
	;; [unrolled: 1-line block ×5, first 2 shown]
	ds_read_b128 v[0:3], v180 offset:352
	scratch_store_byte off, v160, off offset:480
	scratch_store_byte off, v161, off offset:500
	;; [unrolled: 1-line block ×22, first 2 shown]
	s_waitcnt lgkmcnt(0)
	scratch_store_dwordx4 v47, v[0:3], off
	s_waitcnt vmcnt(44)
	scratch_store_dwordx4 off, v[8:11], off offset:464
	s_waitcnt vmcnt(44)
	scratch_store_dwordx4 v46, v[12:15], off
	s_waitcnt vmcnt(44)
	scratch_store_dwordx4 v45, v[16:19], off
	;; [unrolled: 2-line block ×21, first 2 shown]
.LBB2096_214:
	s_and_saveexec_b64 s[4:5], s[8:9]
	s_cbranch_execz .LBB2096_216
; %bb.215:
	v_mov_b32_e32 v0, 0
	v_cndmask_b32_e64 v0, v47, v0, s[0:1]
	scratch_load_dwordx4 v[0:3], v0, off
	v_cndmask_b32_e64 v4, 0, 1, s[0:1]
	s_waitcnt vmcnt(0)
	scratch_store_dwordx4 v6, v[0:3], off
	scratch_store_byte off, v4, off offset:920
.LBB2096_216:
	s_or_b64 exec, exec, s[4:5]
	s_cmp_lg_u32 s2, 0
	s_waitcnt vmcnt(63) expcnt(7) lgkmcnt(15)
	s_barrier
	s_cbranch_scc0 .LBB2096_801
; %bb.217:
	scratch_load_dwordx4 v[0:3], off, off offset:464
	scratch_load_dword v4, off, off offset:480
	scratch_load_ubyte v5, off, off offset:500
	s_waitcnt vmcnt(2)
	scratch_store_dwordx4 off, v[0:3], off offset:60
	s_waitcnt vmcnt(2)
	scratch_store_dword off, v4, off offset:76
	s_waitcnt vmcnt(2)
	v_cmp_ne_u16_e32 vcc, 0, v5
                                        ; implicit-def: $vgpr2_vgpr3
	s_and_saveexec_b64 s[0:1], vcc
	s_xor_b64 s[0:1], exec, s[0:1]
	s_cbranch_execz .LBB2096_219
; %bb.218:
	scratch_load_dwordx4 v[0:3], off, off offset:484
.LBB2096_219:
	s_andn2_saveexec_b64 s[0:1], s[0:1]
	s_cbranch_execz .LBB2096_225
; %bb.220:
	s_waitcnt vmcnt(0)
	v_mov_b32_e32 v0, 0
	s_mov_b32 s4, 0
	v_mov_b32_e32 v1, v0
.LBB2096_221:                           ; =>This Inner Loop Header: Depth=1
	s_add_i32 s5, s4, 0x60
	s_add_i32 s4, s4, 8
	s_cmp_lg_u32 s4, 16
	scratch_store_dwordx2 off, v[0:1], s5
	s_cbranch_scc1 .LBB2096_221
; %bb.222:
	s_mov_b32 s4, 0
.LBB2096_223:                           ; =>This Inner Loop Header: Depth=1
	s_add_i32 s5, s4, 60
	v_add_u32_e32 v8, s4, v46
	scratch_load_dwordx2 v[0:1], off, s5
	scratch_load_dwordx2 v[2:3], v8, off
	s_add_i32 s5, s4, 0x60
	s_add_i32 s4, s4, 8
	s_cmp_lg_u32 s4, 16
	s_waitcnt vmcnt(0)
	v_add_u32_e32 v1, v3, v1
	v_add_u32_e32 v0, v2, v0
	scratch_store_dwordx2 off, v[0:1], s5
	s_cbranch_scc1 .LBB2096_223
; %bb.224:
	scratch_load_dwordx4 v[0:3], off, off offset:96
.LBB2096_225:
	s_or_b64 exec, exec, s[0:1]
	scratch_load_ubyte v8, off, off offset:520
	s_waitcnt vmcnt(0)
	v_cmp_ne_u16_e32 vcc, 0, v8
	scratch_store_dwordx4 off, v[0:3], off offset:60
                                        ; implicit-def: $vgpr2_vgpr3
	s_and_saveexec_b64 s[0:1], vcc
	s_xor_b64 s[0:1], exec, s[0:1]
	s_cbranch_execz .LBB2096_227
; %bb.226:
	scratch_load_dwordx4 v[0:3], off, off offset:504
.LBB2096_227:
	s_andn2_saveexec_b64 s[0:1], s[0:1]
	s_cbranch_execz .LBB2096_233
; %bb.228:
	s_waitcnt vmcnt(0)
	v_mov_b32_e32 v0, 0
	s_mov_b32 s4, 0
	v_mov_b32_e32 v1, v0
.LBB2096_229:                           ; =>This Inner Loop Header: Depth=1
	s_add_i32 s5, s4, 0x60
	s_add_i32 s4, s4, 8
	s_cmp_lg_u32 s4, 16
	scratch_store_dwordx2 off, v[0:1], s5
	s_cbranch_scc1 .LBB2096_229
; %bb.230:
	s_mov_b32 s4, 0
.LBB2096_231:                           ; =>This Inner Loop Header: Depth=1
	s_add_i32 s5, s4, 60
	v_add_u32_e32 v9, s4, v45
	scratch_load_dwordx2 v[0:1], off, s5
	scratch_load_dwordx2 v[2:3], v9, off
	s_add_i32 s5, s4, 0x60
	s_add_i32 s4, s4, 8
	s_cmp_lg_u32 s4, 16
	s_waitcnt vmcnt(0)
	v_add_u32_e32 v1, v3, v1
	v_add_u32_e32 v0, v2, v0
	scratch_store_dwordx2 off, v[0:1], s5
	s_cbranch_scc1 .LBB2096_231
; %bb.232:
	scratch_load_dwordx4 v[0:3], off, off offset:96
.LBB2096_233:
	s_or_b64 exec, exec, s[0:1]
	scratch_load_ubyte v9, off, off offset:540
	s_waitcnt vmcnt(0)
	v_cmp_ne_u16_e32 vcc, 0, v9
	scratch_store_dwordx4 off, v[0:3], off offset:60
	;; [unrolled: 43-line block ×21, first 2 shown]
                                        ; implicit-def: $vgpr2_vgpr3
	s_and_saveexec_b64 s[0:1], vcc
	s_xor_b64 s[0:1], exec, s[0:1]
	s_cbranch_execz .LBB2096_387
; %bb.386:
	scratch_load_dwordx4 v[0:3], off, off offset:904
.LBB2096_387:
	s_andn2_saveexec_b64 s[0:1], s[0:1]
	s_cbranch_execz .LBB2096_393
; %bb.388:
	s_waitcnt vmcnt(0)
	v_mov_b32_e32 v0, 0
	s_mov_b32 s4, 0
	v_mov_b32_e32 v1, v0
.LBB2096_389:                           ; =>This Inner Loop Header: Depth=1
	s_add_i32 s5, s4, 0x60
	s_add_i32 s4, s4, 8
	s_cmp_lg_u32 s4, 16
	scratch_store_dwordx2 off, v[0:1], s5
	s_cbranch_scc1 .LBB2096_389
; %bb.390:
	s_mov_b32 s4, 0
.LBB2096_391:                           ; =>This Inner Loop Header: Depth=1
	s_add_i32 s5, s4, 60
	v_add_u32_e32 v50, s4, v6
	scratch_load_dwordx2 v[0:1], off, s5
	scratch_load_dwordx2 v[2:3], v50, off
	s_add_i32 s5, s4, 0x60
	s_add_i32 s4, s4, 8
	s_cmp_lg_u32 s4, 16
	s_waitcnt vmcnt(0)
	v_add_u32_e32 v1, v3, v1
	v_add_u32_e32 v0, v2, v0
	scratch_store_dwordx2 off, v[0:1], s5
	s_cbranch_scc1 .LBB2096_391
; %bb.392:
	scratch_load_dwordx4 v[0:3], off, off offset:96
.LBB2096_393:
	s_or_b64 exec, exec, s[0:1]
	v_or_b32_e32 v48, v49, v48
	v_or_b32_e32 v47, v48, v47
	;; [unrolled: 1-line block ×22, first 2 shown]
	v_and_b32_e32 v13, 1, v4
	v_lshrrev_b32_e32 v4, 5, v7
	v_add_u32_e32 v4, v4, v7
	v_mul_u32_u24_e32 v4, 20, v4
	v_cmp_gt_u32_e32 vcc, 64, v7
	s_waitcnt vmcnt(0)
	scratch_store_dwordx4 off, v[0:3], off offset:60
	scratch_store_byte off, v13, off offset:76
	ds_write2_b32 v4, v0, v1 offset1:1
	ds_write2_b32 v4, v2, v3 offset0:2 offset1:3
	ds_write_b8 v4, v13 offset:16
	s_waitcnt lgkmcnt(0)
	s_barrier
	s_and_saveexec_b64 s[0:1], vcc
	s_xor_b64 s[6:7], exec, s[0:1]
	s_cbranch_execz .LBB2096_469
; %bb.394:
	v_lshrrev_b32_e32 v4, 4, v7
	v_lshl_add_u32 v4, v7, 1, v4
	v_mul_u32_u24_e32 v14, 20, v4
	ds_read_u8 v15, v14 offset:36
	ds_read_b32 v5, v14 offset:16
	ds_read2_b32 v[10:11], v14 offset0:2 offset1:3
	ds_read2_b32 v[8:9], v14 offset1:1
	v_mad_u32_u24 v12, v4, 20, 20
	s_waitcnt lgkmcnt(3)
	v_cmp_ne_u16_e64 s[0:1], 0, v15
	s_waitcnt lgkmcnt(2)
	scratch_store_dword off, v5, off offset:16
	s_waitcnt lgkmcnt(0)
	scratch_store_dwordx4 off, v[8:11], off
                                        ; implicit-def: $vgpr8_vgpr9
	s_and_saveexec_b64 s[4:5], s[0:1]
	s_xor_b64 s[0:1], exec, s[4:5]
	s_cbranch_execz .LBB2096_396
; %bb.395:
	ds_read2_b32 v[8:9], v12 offset1:1
	ds_read2_b32 v[10:11], v12 offset0:2 offset1:3
.LBB2096_396:
	s_andn2_saveexec_b64 s[0:1], s[0:1]
	s_cbranch_execz .LBB2096_402
; %bb.397:
	v_mov_b32_e32 v4, 0
	s_mov_b32 s4, 0
	v_mov_b32_e32 v5, v4
.LBB2096_398:                           ; =>This Inner Loop Header: Depth=1
	s_add_i32 s5, s4, 0x60
	s_add_i32 s4, s4, 8
	s_cmp_lg_u32 s4, 16
	scratch_store_dwordx2 off, v[4:5], s5
	s_cbranch_scc1 .LBB2096_398
; %bb.399:
	s_mov_b32 s4, 0
.LBB2096_400:                           ; =>This Inner Loop Header: Depth=1
	s_add_i32 s5, s4, 0
	scratch_load_dwordx2 v[4:5], off, s5
	s_waitcnt lgkmcnt(1)
	v_add_u32_e32 v8, s4, v12
	ds_read2_b32 v[8:9], v8 offset1:1
	s_add_i32 s5, s4, 0x60
	s_add_i32 s4, s4, 8
	s_cmp_lg_u32 s4, 16
	s_waitcnt vmcnt(0) lgkmcnt(0)
	v_add_u32_e32 v5, v9, v5
	v_add_u32_e32 v4, v8, v4
	scratch_store_dwordx2 off, v[4:5], s5
	s_cbranch_scc1 .LBB2096_400
; %bb.401:
	scratch_load_dwordx4 v[8:11], off, off offset:96
.LBB2096_402:
	s_or_b64 exec, exec, s[0:1]
	scratch_load_ubyte v4, off, off offset:16
	s_waitcnt vmcnt(1) lgkmcnt(1)
	v_mov_b32_dpp v18, v8 row_shr:1 row_mask:0xf bank_mask:0xf
	v_mov_b32_dpp v19, v9 row_shr:1 row_mask:0xf bank_mask:0xf
	s_waitcnt lgkmcnt(0)
	v_mov_b32_dpp v20, v10 row_shr:1 row_mask:0xf bank_mask:0xf
	v_mov_b32_dpp v21, v11 row_shr:1 row_mask:0xf bank_mask:0xf
	scratch_store_dwordx4 off, v[18:21], off offset:96
	scratch_store_dwordx4 off, v[8:11], off
	s_waitcnt vmcnt(2)
	v_or_b32_e32 v4, v15, v4
	v_and_b32_e32 v4, 1, v4
	scratch_store_byte off, v4, off offset:16
	scratch_load_dword v16, off, off offset:16
	v_mbcnt_lo_u32_b32 v4, -1, 0
	v_mbcnt_hi_u32_b32 v15, -1, v4
	v_and_b32_e32 v17, 15, v15
	v_cmp_ne_u32_e64 s[0:1], 0, v17
	s_waitcnt vmcnt(0)
	v_mov_b32_dpp v18, v16 row_shr:1 row_mask:0xf bank_mask:0xf
	scratch_store_dword off, v18, off offset:112
	s_and_saveexec_b64 s[4:5], s[0:1]
	s_cbranch_execz .LBB2096_410
; %bb.403:
	v_mov_b32_e32 v4, 0
	v_cmp_eq_u16_sdwa s[8:9], v16, v4 src0_sel:BYTE_0 src1_sel:DWORD
	s_and_saveexec_b64 s[0:1], s[8:9]
	s_cbranch_execz .LBB2096_409
; %bb.404:
	s_mov_b32 s8, 0
	v_mov_b32_e32 v5, v4
.LBB2096_405:                           ; =>This Inner Loop Header: Depth=1
	s_add_i32 s9, s8, 20
	s_add_i32 s8, s8, 8
	s_cmp_lg_u32 s8, 16
	scratch_store_dwordx2 off, v[4:5], s9
	s_cbranch_scc1 .LBB2096_405
; %bb.406:
	s_mov_b32 s8, 0
.LBB2096_407:                           ; =>This Inner Loop Header: Depth=1
	s_add_i32 s9, s8, 0x60
	s_add_i32 s10, s8, 0
	scratch_load_dwordx2 v[4:5], off, s9
	scratch_load_dwordx2 v[8:9], off, s10
	s_add_i32 s9, s8, 20
	s_add_i32 s8, s8, 8
	s_cmp_lg_u32 s8, 16
	s_waitcnt vmcnt(0)
	v_add_u32_e32 v5, v9, v5
	v_add_u32_e32 v4, v8, v4
	scratch_store_dwordx2 off, v[4:5], s9
	s_cbranch_scc1 .LBB2096_407
; %bb.408:
	scratch_load_dwordx4 v[8:11], off, off offset:20
.LBB2096_409:
	s_or_b64 exec, exec, s[0:1]
	v_or_b32_e32 v4, v18, v16
	v_and_b32_e32 v4, 1, v4
	scratch_store_byte off, v4, off offset:16
	scratch_load_dword v16, off, off offset:16
	s_waitcnt vmcnt(2)
	scratch_store_dwordx4 off, v[8:11], off
.LBB2096_410:
	s_or_b64 exec, exec, s[4:5]
	v_mov_b32_dpp v20, v8 row_shr:2 row_mask:0xf bank_mask:0xf
	v_mov_b32_dpp v21, v9 row_shr:2 row_mask:0xf bank_mask:0xf
	v_mov_b32_dpp v22, v10 row_shr:2 row_mask:0xf bank_mask:0xf
	v_mov_b32_dpp v23, v11 row_shr:2 row_mask:0xf bank_mask:0xf
	s_waitcnt vmcnt(1)
	v_mov_b32_dpp v18, v16 row_shr:2 row_mask:0xf bank_mask:0xf
	v_cmp_lt_u32_e64 s[0:1], 1, v17
	scratch_store_dwordx4 off, v[20:23], off offset:96
	scratch_store_dword off, v18, off offset:112
	s_and_saveexec_b64 s[8:9], s[0:1]
	s_cbranch_execz .LBB2096_418
; %bb.411:
	v_mov_b32_e32 v4, 0
	s_mov_b32 s4, 0
	v_cmp_eq_u16_sdwa s[10:11], v16, v4 src0_sel:BYTE_0 src1_sel:DWORD
	s_and_saveexec_b64 s[0:1], s[10:11]
	s_cbranch_execz .LBB2096_417
; %bb.412:
	v_mov_b32_e32 v5, v4
.LBB2096_413:                           ; =>This Inner Loop Header: Depth=1
	s_add_i32 s5, s4, 20
	s_add_i32 s4, s4, 8
	s_cmp_lg_u32 s4, 16
	scratch_store_dwordx2 off, v[4:5], s5
	s_cbranch_scc1 .LBB2096_413
; %bb.414:
	s_mov_b32 s4, 0
.LBB2096_415:                           ; =>This Inner Loop Header: Depth=1
	s_add_i32 s5, s4, 0x60
	s_add_i32 s10, s4, 0
	scratch_load_dwordx2 v[4:5], off, s5
	scratch_load_dwordx2 v[8:9], off, s10
	s_add_i32 s5, s4, 20
	s_add_i32 s4, s4, 8
	s_cmp_lg_u32 s4, 16
	s_waitcnt vmcnt(0)
	v_add_u32_e32 v5, v9, v5
	v_add_u32_e32 v4, v8, v4
	scratch_store_dwordx2 off, v[4:5], s5
	s_cbranch_scc1 .LBB2096_415
; %bb.416:
	scratch_load_dwordx4 v[8:11], off, off offset:20
.LBB2096_417:
	s_or_b64 exec, exec, s[0:1]
	v_and_b32_e32 v4, 1, v16
	v_cmp_eq_u32_e64 s[0:1], 1, v4
	v_and_b32_e32 v4, 1, v18
	v_cmp_eq_u32_e64 s[4:5], 1, v4
	s_or_b64 s[0:1], s[0:1], s[4:5]
	v_cndmask_b32_e64 v4, 0, 1, s[0:1]
	scratch_store_byte off, v4, off offset:16
	scratch_load_dword v16, off, off offset:16
	s_waitcnt vmcnt(2)
	scratch_store_dwordx4 off, v[8:11], off
.LBB2096_418:
	s_or_b64 exec, exec, s[8:9]
	v_mov_b32_dpp v20, v8 row_shr:4 row_mask:0xf bank_mask:0xf
	v_mov_b32_dpp v21, v9 row_shr:4 row_mask:0xf bank_mask:0xf
	v_mov_b32_dpp v22, v10 row_shr:4 row_mask:0xf bank_mask:0xf
	v_mov_b32_dpp v23, v11 row_shr:4 row_mask:0xf bank_mask:0xf
	s_waitcnt vmcnt(1)
	v_mov_b32_dpp v18, v16 row_shr:4 row_mask:0xf bank_mask:0xf
	v_cmp_lt_u32_e64 s[0:1], 3, v17
	scratch_store_dwordx4 off, v[20:23], off offset:96
	scratch_store_dword off, v18, off offset:112
	s_and_saveexec_b64 s[8:9], s[0:1]
	s_cbranch_execz .LBB2096_426
; %bb.419:
	v_mov_b32_e32 v4, 0
	s_mov_b32 s4, 0
	v_cmp_eq_u16_sdwa s[10:11], v16, v4 src0_sel:BYTE_0 src1_sel:DWORD
	s_and_saveexec_b64 s[0:1], s[10:11]
	s_cbranch_execz .LBB2096_425
; %bb.420:
	v_mov_b32_e32 v5, v4
.LBB2096_421:                           ; =>This Inner Loop Header: Depth=1
	s_add_i32 s5, s4, 20
	s_add_i32 s4, s4, 8
	s_cmp_lg_u32 s4, 16
	scratch_store_dwordx2 off, v[4:5], s5
	s_cbranch_scc1 .LBB2096_421
; %bb.422:
	s_mov_b32 s4, 0
.LBB2096_423:                           ; =>This Inner Loop Header: Depth=1
	s_add_i32 s5, s4, 0x60
	s_add_i32 s10, s4, 0
	scratch_load_dwordx2 v[4:5], off, s5
	scratch_load_dwordx2 v[8:9], off, s10
	s_add_i32 s5, s4, 20
	s_add_i32 s4, s4, 8
	s_cmp_lg_u32 s4, 16
	s_waitcnt vmcnt(0)
	v_add_u32_e32 v5, v9, v5
	v_add_u32_e32 v4, v8, v4
	scratch_store_dwordx2 off, v[4:5], s5
	s_cbranch_scc1 .LBB2096_423
; %bb.424:
	scratch_load_dwordx4 v[8:11], off, off offset:20
.LBB2096_425:
	s_or_b64 exec, exec, s[0:1]
	v_and_b32_e32 v4, 1, v16
	v_cmp_eq_u32_e64 s[0:1], 1, v4
	v_and_b32_e32 v4, 1, v18
	v_cmp_eq_u32_e64 s[4:5], 1, v4
	s_or_b64 s[0:1], s[0:1], s[4:5]
	v_cndmask_b32_e64 v4, 0, 1, s[0:1]
	scratch_store_byte off, v4, off offset:16
	scratch_load_dword v16, off, off offset:16
	s_waitcnt vmcnt(2)
	scratch_store_dwordx4 off, v[8:11], off
.LBB2096_426:
	s_or_b64 exec, exec, s[8:9]
	v_mov_b32_dpp v20, v8 row_shr:8 row_mask:0xf bank_mask:0xf
	v_mov_b32_dpp v21, v9 row_shr:8 row_mask:0xf bank_mask:0xf
	v_mov_b32_dpp v22, v10 row_shr:8 row_mask:0xf bank_mask:0xf
	v_mov_b32_dpp v23, v11 row_shr:8 row_mask:0xf bank_mask:0xf
	s_waitcnt vmcnt(1)
	v_mov_b32_dpp v18, v16 row_shr:8 row_mask:0xf bank_mask:0xf
	v_cmp_lt_u32_e64 s[0:1], 7, v17
	scratch_store_dwordx4 off, v[20:23], off offset:96
	scratch_store_dword off, v18, off offset:112
	s_and_saveexec_b64 s[8:9], s[0:1]
	s_cbranch_execz .LBB2096_434
; %bb.427:
	v_mov_b32_e32 v4, 0
	s_mov_b32 s4, 0
	v_cmp_eq_u16_sdwa s[10:11], v16, v4 src0_sel:BYTE_0 src1_sel:DWORD
	s_and_saveexec_b64 s[0:1], s[10:11]
	s_cbranch_execz .LBB2096_433
; %bb.428:
	v_mov_b32_e32 v5, v4
.LBB2096_429:                           ; =>This Inner Loop Header: Depth=1
	s_add_i32 s5, s4, 20
	s_add_i32 s4, s4, 8
	s_cmp_lg_u32 s4, 16
	scratch_store_dwordx2 off, v[4:5], s5
	s_cbranch_scc1 .LBB2096_429
; %bb.430:
	s_mov_b32 s4, 0
.LBB2096_431:                           ; =>This Inner Loop Header: Depth=1
	s_add_i32 s5, s4, 0x60
	s_add_i32 s10, s4, 0
	scratch_load_dwordx2 v[4:5], off, s5
	scratch_load_dwordx2 v[8:9], off, s10
	s_add_i32 s5, s4, 20
	s_add_i32 s4, s4, 8
	s_cmp_lg_u32 s4, 16
	s_waitcnt vmcnt(0)
	v_add_u32_e32 v5, v9, v5
	v_add_u32_e32 v4, v8, v4
	scratch_store_dwordx2 off, v[4:5], s5
	s_cbranch_scc1 .LBB2096_431
; %bb.432:
	scratch_load_dwordx4 v[8:11], off, off offset:20
.LBB2096_433:
	s_or_b64 exec, exec, s[0:1]
	v_and_b32_e32 v4, 1, v16
	v_cmp_eq_u32_e64 s[0:1], 1, v4
	v_and_b32_e32 v4, 1, v18
	v_cmp_eq_u32_e64 s[4:5], 1, v4
	s_or_b64 s[0:1], s[0:1], s[4:5]
	v_cndmask_b32_e64 v4, 0, 1, s[0:1]
	scratch_store_byte off, v4, off offset:16
	scratch_load_dword v16, off, off offset:16
	s_waitcnt vmcnt(2)
	scratch_store_dwordx4 off, v[8:11], off
.LBB2096_434:
	s_or_b64 exec, exec, s[8:9]
	v_and_b32_e32 v4, 16, v15
	v_mov_b32_dpp v18, v8 row_bcast:15 row_mask:0xf bank_mask:0xf
	v_mov_b32_dpp v19, v9 row_bcast:15 row_mask:0xf bank_mask:0xf
	;; [unrolled: 1-line block ×4, first 2 shown]
	s_waitcnt vmcnt(1)
	v_mov_b32_dpp v17, v16 row_bcast:15 row_mask:0xf bank_mask:0xf
	v_cmp_ne_u32_e64 s[0:1], 0, v4
	scratch_store_dwordx4 off, v[18:21], off offset:96
	scratch_store_dword off, v17, off offset:112
	s_and_saveexec_b64 s[8:9], s[0:1]
	s_cbranch_execz .LBB2096_442
; %bb.435:
	v_mov_b32_e32 v4, 0
	s_mov_b32 s4, 0
	v_cmp_eq_u16_sdwa s[10:11], v16, v4 src0_sel:BYTE_0 src1_sel:DWORD
	s_and_saveexec_b64 s[0:1], s[10:11]
	s_cbranch_execz .LBB2096_441
; %bb.436:
	v_mov_b32_e32 v5, v4
.LBB2096_437:                           ; =>This Inner Loop Header: Depth=1
	s_add_i32 s5, s4, 20
	s_add_i32 s4, s4, 8
	s_cmp_lg_u32 s4, 16
	scratch_store_dwordx2 off, v[4:5], s5
	s_cbranch_scc1 .LBB2096_437
; %bb.438:
	s_mov_b32 s4, 0
.LBB2096_439:                           ; =>This Inner Loop Header: Depth=1
	s_add_i32 s5, s4, 0x60
	s_add_i32 s10, s4, 0
	scratch_load_dwordx2 v[4:5], off, s5
	scratch_load_dwordx2 v[8:9], off, s10
	s_add_i32 s5, s4, 20
	s_add_i32 s4, s4, 8
	s_cmp_lg_u32 s4, 16
	s_waitcnt vmcnt(0)
	v_add_u32_e32 v5, v9, v5
	v_add_u32_e32 v4, v8, v4
	scratch_store_dwordx2 off, v[4:5], s5
	s_cbranch_scc1 .LBB2096_439
; %bb.440:
	scratch_load_dwordx4 v[8:11], off, off offset:20
.LBB2096_441:
	s_or_b64 exec, exec, s[0:1]
	v_and_b32_e32 v4, 1, v16
	v_cmp_eq_u32_e64 s[0:1], 1, v4
	v_and_b32_e32 v4, 1, v17
	v_cmp_eq_u32_e64 s[4:5], 1, v4
	s_or_b64 s[0:1], s[0:1], s[4:5]
	v_cndmask_b32_e64 v4, 0, 1, s[0:1]
	scratch_store_byte off, v4, off offset:16
	scratch_load_dword v16, off, off offset:16
	s_waitcnt vmcnt(2)
	scratch_store_dwordx4 off, v[8:11], off
.LBB2096_442:
	s_or_b64 exec, exec, s[8:9]
	v_mov_b32_dpp v18, v8 row_bcast:31 row_mask:0xf bank_mask:0xf
	v_mov_b32_dpp v19, v9 row_bcast:31 row_mask:0xf bank_mask:0xf
	;; [unrolled: 1-line block ×4, first 2 shown]
	s_waitcnt vmcnt(1)
	v_mov_b32_dpp v17, v16 row_bcast:31 row_mask:0xf bank_mask:0xf
	v_cmp_lt_u32_e64 s[0:1], 31, v15
	scratch_store_dwordx4 off, v[18:21], off offset:96
	scratch_store_dword off, v17, off offset:112
	s_and_saveexec_b64 s[8:9], s[0:1]
	s_cbranch_execz .LBB2096_450
; %bb.443:
	v_mov_b32_e32 v4, 0
	s_mov_b32 s4, 0
	v_cmp_eq_u16_sdwa s[10:11], v16, v4 src0_sel:BYTE_0 src1_sel:DWORD
	s_and_saveexec_b64 s[0:1], s[10:11]
	s_cbranch_execz .LBB2096_449
; %bb.444:
	v_mov_b32_e32 v5, v4
.LBB2096_445:                           ; =>This Inner Loop Header: Depth=1
	s_add_i32 s5, s4, 20
	s_add_i32 s4, s4, 8
	s_cmp_lg_u32 s4, 16
	scratch_store_dwordx2 off, v[4:5], s5
	s_cbranch_scc1 .LBB2096_445
; %bb.446:
	s_mov_b32 s4, 0
.LBB2096_447:                           ; =>This Inner Loop Header: Depth=1
	s_add_i32 s5, s4, 0x60
	s_add_i32 s10, s4, 0
	scratch_load_dwordx2 v[4:5], off, s5
	scratch_load_dwordx2 v[8:9], off, s10
	s_add_i32 s5, s4, 20
	s_add_i32 s4, s4, 8
	s_cmp_lg_u32 s4, 16
	s_waitcnt vmcnt(0)
	v_add_u32_e32 v5, v9, v5
	v_add_u32_e32 v4, v8, v4
	scratch_store_dwordx2 off, v[4:5], s5
	s_cbranch_scc1 .LBB2096_447
; %bb.448:
	scratch_load_dwordx4 v[8:11], off, off offset:20
.LBB2096_449:
	s_or_b64 exec, exec, s[0:1]
	v_and_b32_e32 v4, 1, v16
	v_cmp_eq_u32_e64 s[0:1], 1, v4
	v_and_b32_e32 v4, 1, v17
	v_cmp_eq_u32_e64 s[4:5], 1, v4
	s_or_b64 s[0:1], s[0:1], s[4:5]
	v_cndmask_b32_e64 v4, 0, 1, s[0:1]
	scratch_store_byte off, v4, off offset:16
	scratch_load_dword v16, off, off offset:16
.LBB2096_450:
	s_or_b64 exec, exec, s[8:9]
	v_add_u32_e32 v4, -1, v15
	v_and_b32_e32 v5, 64, v15
	v_cmp_lt_i32_e64 s[0:1], v4, v5
	ds_read_u8 v17, v14 offset:16
	s_nop 0
	v_cndmask_b32_e64 v4, v4, v15, s[0:1]
	v_lshlrev_b32_e32 v4, 2, v4
	s_waitcnt vmcnt(2)
	ds_bpermute_b32 v8, v4, v8
	ds_bpermute_b32 v9, v4, v9
	;; [unrolled: 1-line block ×4, first 2 shown]
	s_waitcnt vmcnt(0)
	ds_bpermute_b32 v15, v4, v16
	s_waitcnt lgkmcnt(5)
	v_cmp_ne_u16_e64 s[0:1], 0, v17
	s_waitcnt lgkmcnt(1)
	scratch_store_dwordx4 off, v[8:11], off
                                        ; implicit-def: $vgpr10_vgpr11
	s_and_saveexec_b64 s[4:5], s[0:1]
	s_xor_b64 s[0:1], exec, s[4:5]
	s_cbranch_execz .LBB2096_452
; %bb.451:
	ds_read2_b32 v[8:9], v14 offset1:1
	ds_read2_b32 v[10:11], v14 offset0:2 offset1:3
.LBB2096_452:
	s_andn2_saveexec_b64 s[0:1], s[0:1]
	s_cbranch_execz .LBB2096_458
; %bb.453:
	v_mov_b32_e32 v4, 0
	s_mov_b32 s4, 0
	v_mov_b32_e32 v5, v4
.LBB2096_454:                           ; =>This Inner Loop Header: Depth=1
	s_add_i32 s5, s4, 0x60
	s_add_i32 s4, s4, 8
	s_cmp_lg_u32 s4, 16
	scratch_store_dwordx2 off, v[4:5], s5
	s_cbranch_scc1 .LBB2096_454
; %bb.455:
	s_mov_b32 s4, 0
.LBB2096_456:                           ; =>This Inner Loop Header: Depth=1
	s_add_i32 s5, s4, 0
	scratch_load_dwordx2 v[4:5], off, s5
	s_waitcnt lgkmcnt(1)
	v_add_u32_e32 v8, s4, v14
	ds_read2_b32 v[8:9], v8 offset1:1
	s_add_i32 s5, s4, 0x60
	s_add_i32 s4, s4, 8
	s_cmp_lg_u32 s4, 16
	s_waitcnt vmcnt(0) lgkmcnt(0)
	v_add_u32_e32 v5, v9, v5
	v_add_u32_e32 v4, v8, v4
	scratch_store_dwordx2 off, v[4:5], s5
	s_cbranch_scc1 .LBB2096_456
; %bb.457:
	scratch_load_dwordx4 v[8:11], off, off offset:96
.LBB2096_458:
	s_or_b64 exec, exec, s[0:1]
	v_and_b32_e32 v4, 1, v17
	v_cmp_eq_u32_e64 s[0:1], 1, v4
	s_waitcnt lgkmcnt(0)
	v_and_b32_e32 v4, 1, v15
	v_cmp_eq_u32_e64 s[4:5], 1, v4
	s_or_b64 s[0:1], s[4:5], s[0:1]
	v_cndmask_b32_e64 v4, 0, 1, s[0:1]
	v_cmp_eq_u32_e64 s[0:1], 0, v7
	s_waitcnt vmcnt(0)
	scratch_store_dwordx4 off, v[8:11], off
	scratch_store_byte off, v4, off offset:16
	s_and_saveexec_b64 s[4:5], s[0:1]
	s_cbranch_execz .LBB2096_460
; %bb.459:
	scratch_store_dwordx4 off, v[0:3], off
	scratch_store_byte off, v13, off offset:16
.LBB2096_460:
	s_or_b64 exec, exec, s[4:5]
	; wave barrier
	scratch_load_dwordx4 v[0:3], off, off
	scratch_load_ubyte v4, off, off offset:16
	s_waitcnt vmcnt(1)
	ds_write2_b32 v14, v2, v3 offset0:2 offset1:3
	ds_write2_b32 v14, v0, v1 offset1:1
	s_waitcnt vmcnt(0)
	ds_write_b8 v14, v4 offset:16
	; wave barrier
	ds_read_u8 v4, v14 offset:36
                                        ; implicit-def: $vgpr2_vgpr3
	s_waitcnt lgkmcnt(0)
	v_cmp_ne_u16_e64 s[0:1], 0, v4
	s_and_saveexec_b64 s[4:5], s[0:1]
	s_xor_b64 s[0:1], exec, s[4:5]
	s_cbranch_execz .LBB2096_462
; %bb.461:
	ds_read2_b32 v[0:1], v12 offset1:1
	ds_read2_b32 v[2:3], v12 offset0:2 offset1:3
.LBB2096_462:
	s_andn2_saveexec_b64 s[0:1], s[0:1]
	s_cbranch_execz .LBB2096_468
; %bb.463:
	s_waitcnt lgkmcnt(1)
	v_mov_b32_e32 v0, 0
	s_mov_b32 s4, 0
	v_mov_b32_e32 v1, v0
.LBB2096_464:                           ; =>This Inner Loop Header: Depth=1
	s_add_i32 s5, s4, 0x60
	s_add_i32 s4, s4, 8
	s_cmp_lg_u32 s4, 16
	scratch_store_dwordx2 off, v[0:1], s5
	s_cbranch_scc1 .LBB2096_464
; %bb.465:
	s_mov_b32 s4, 0
.LBB2096_466:                           ; =>This Inner Loop Header: Depth=1
	s_add_i32 s5, s4, 0
	scratch_load_dwordx2 v[0:1], off, s5
	s_waitcnt lgkmcnt(0)
	v_add_u32_e32 v2, s4, v12
	ds_read2_b32 v[2:3], v2 offset1:1
	s_add_i32 s5, s4, 0x60
	s_add_i32 s4, s4, 8
	s_cmp_lg_u32 s4, 16
	s_waitcnt vmcnt(0) lgkmcnt(0)
	v_add_u32_e32 v1, v3, v1
	v_add_u32_e32 v0, v2, v0
	scratch_store_dwordx2 off, v[0:1], s5
	s_cbranch_scc1 .LBB2096_466
; %bb.467:
	scratch_load_dwordx4 v[0:3], off, off offset:96
.LBB2096_468:
	s_or_b64 exec, exec, s[0:1]
	scratch_load_ubyte v5, off, off offset:16
	s_waitcnt vmcnt(1) lgkmcnt(0)
	ds_write2_b32 v12, v2, v3 offset0:2 offset1:3
	s_waitcnt vmcnt(0)
	v_or_b32_e32 v2, v4, v5
	v_and_b32_e32 v2, 1, v2
	ds_write2_b32 v12, v0, v1 offset1:1
	ds_write_b8 v12, v2 offset:16
.LBB2096_469:
	s_or_b64 exec, exec, s[6:7]
	v_cmp_eq_u32_e64 s[6:7], 0, v7
	v_cmp_ne_u32_e64 s[0:1], 0, v7
	s_waitcnt lgkmcnt(0)
	s_barrier
	s_and_saveexec_b64 s[4:5], s[0:1]
	s_cbranch_execz .LBB2096_471
; %bb.470:
	v_add_u32_e32 v0, -1, v7
	v_lshrrev_b32_e32 v1, 5, v0
	v_add_u32_e32 v0, v1, v0
	v_mul_lo_u32 v0, v0, 20
	ds_read_u8 v4, v0 offset:16
	ds_read2_b32 v[2:3], v0 offset0:2 offset1:3
	ds_read2_b32 v[0:1], v0 offset1:1
	s_waitcnt lgkmcnt(0)
	scratch_store_dwordx4 off, v[0:3], off offset:60
	scratch_store_byte off, v4, off offset:76
.LBB2096_471:
	s_or_b64 exec, exec, s[4:5]
	s_and_saveexec_b64 s[10:11], vcc
	s_cbranch_execz .LBB2096_612
; %bb.472:
	v_mov_b32_e32 v1, 0xa28
	v_mov_b32_e32 v0, 0
	ds_read2_b64 v[2:5], v1 offset1:1
	ds_read_b32 v1, v0 offset:2616
	v_mbcnt_lo_u32_b32 v8, -1, 0
	v_mbcnt_hi_u32_b32 v23, -1, v8
	v_cmp_eq_u32_e64 s[4:5], 0, v23
	s_waitcnt lgkmcnt(1)
	scratch_store_dwordx4 off, v[2:5], off offset:40
	s_waitcnt lgkmcnt(0)
	scratch_store_dword off, v1, off offset:56
	s_and_saveexec_b64 s[8:9], s[4:5]
	s_cbranch_execz .LBB2096_474
; %bb.473:
	v_lshrrev_b32_e32 v8, 8, v1
	s_movk_i32 s12, 0xff
	v_mov_b32_e32 v11, 8
	v_and_b32_sdwa v10, v1, s12 dst_sel:DWORD dst_unused:UNUSED_PAD src0_sel:WORD_1 src1_sel:DWORD
	v_lshlrev_b32_sdwa v8, v11, v8 dst_sel:DWORD dst_unused:UNUSED_PAD src0_sel:DWORD src1_sel:BYTE_0
	s_add_i32 s14, s2, 64
	v_lshrrev_b32_e32 v9, 24, v1
	v_or_b32_sdwa v1, v8, v1 dst_sel:DWORD dst_unused:UNUSED_PAD src0_sel:DWORD src1_sel:BYTE_0
	v_lshlrev_b32_e32 v8, 16, v10
	s_mul_i32 s12, s14, 20
	v_or_b32_e32 v1, v1, v8
	v_lshlrev_b32_e32 v8, 24, v9
	s_mul_hi_u32 s13, s14, 20
	s_add_u32 s12, s52, s12
	v_or_b32_e32 v1, v1, v8
	s_addc_u32 s13, s53, s13
	global_store_dword v0, v2, s[12:13] sc1
	global_store_dword v0, v3, s[12:13] offset:4 sc1
	global_store_dword v0, v4, s[12:13] offset:8 sc1
	global_store_dword v0, v5, s[12:13] offset:12 sc1
	global_store_dword v0, v1, s[12:13] offset:16 sc1
	v_mov_b32_e32 v1, s14
	v_mov_b32_e32 v2, 1
	s_waitcnt vmcnt(0)
	global_store_byte v1, v2, s[56:57] sc1
.LBB2096_474:
	s_or_b64 exec, exec, s[8:9]
	v_mov_b32_e32 v1, v0
	v_mov_b32_e32 v2, v0
	;; [unrolled: 1-line block ×3, first 2 shown]
	scratch_store_dword off, v0, off offset:36
	s_mov_b32 s8, 0
	scratch_store_dwordx4 off, v[0:3], off offset:20
.LBB2096_475:                           ; =>This Inner Loop Header: Depth=1
	s_add_i32 s9, s8, 20
	s_add_i32 s8, s8, 8
	s_cmp_lg_u32 s8, 16
	scratch_store_dwordx2 off, v[0:1], s9
	s_cbranch_scc1 .LBB2096_475
; %bb.476:
	v_mov_b32_e32 v1, 0
	v_xad_u32 v4, v23, -1, s2
	scratch_store_byte off, v1, off offset:36
	v_add_u32_e32 v0, 64, v4
	global_load_ubyte v12, v0, s[56:57] sc1
	s_waitcnt vmcnt(0)
	v_cmp_eq_u16_e32 vcc, 0, v12
	s_and_saveexec_b64 s[8:9], vcc
	s_cbranch_execz .LBB2096_482
; %bb.477:
	v_lshl_add_u64 v[2:3], s[56:57], 0, v[0:1]
	s_mov_b32 s14, 1
	s_mov_b64 s[12:13], 0
.LBB2096_478:                           ; =>This Loop Header: Depth=1
                                        ;     Child Loop BB2096_479 Depth 2
	s_max_u32 s15, s14, 1
.LBB2096_479:                           ;   Parent Loop BB2096_478 Depth=1
                                        ; =>  This Inner Loop Header: Depth=2
	s_add_i32 s15, s15, -1
	s_cmp_eq_u32 s15, 0
	s_sleep 1
	s_cbranch_scc0 .LBB2096_479
; %bb.480:                              ;   in Loop: Header=BB2096_478 Depth=1
	global_load_ubyte v12, v[2:3], off sc1
	s_cmp_lt_u32 s14, 32
	s_cselect_b64 s[16:17], -1, 0
	s_cmp_lg_u64 s[16:17], 0
	s_addc_u32 s14, s14, 0
	s_waitcnt vmcnt(0)
	v_cmp_ne_u16_e32 vcc, 0, v12
	s_or_b64 s[12:13], vcc, s[12:13]
	s_andn2_b64 exec, exec, s[12:13]
	s_cbranch_execnz .LBB2096_478
; %bb.481:
	s_or_b64 exec, exec, s[12:13]
.LBB2096_482:
	s_or_b64 exec, exec, s[8:9]
	v_mov_b32_e32 v1, s55
	v_mov_b32_e32 v2, s53
	v_cmp_eq_u16_e32 vcc, 1, v12
	s_waitcnt vmcnt(0)
	s_nop 0
	v_cndmask_b32_e32 v3, v1, v2, vcc
	v_mov_b32_e32 v1, s54
	v_mov_b32_e32 v2, s52
	v_cndmask_b32_e32 v2, v1, v2, vcc
	v_mad_u64_u32 v[8:9], s[8:9], v0, 20, v[2:3]
	global_load_dword v0, v[8:9], off sc1
	global_load_dword v1, v[8:9], off offset:4 sc1
	global_load_dword v2, v[8:9], off offset:8 sc1
	;; [unrolled: 1-line block ×4, first 2 shown]
	v_mov_b32_e32 v8, 0
	s_mov_b32 s8, 0
	v_mov_b32_e32 v9, v8
	scratch_store_dword off, v8, off offset:112
	s_waitcnt vmcnt(2)
	scratch_store_dwordx4 off, v[0:3], off offset:20
	s_waitcnt vmcnt(2)
	scratch_store_byte off, v5, off offset:36
.LBB2096_483:                           ; =>This Inner Loop Header: Depth=1
	s_add_i32 s9, s8, 0x60
	s_add_i32 s8, s8, 8
	s_cmp_lg_u32 s8, 16
	scratch_store_dwordx2 off, v[8:9], s9
	s_cbranch_scc1 .LBB2096_483
; %bb.484:
	scratch_load_dword v5, off, off offset:36
	v_lshlrev_b64 v[8:9], v23, -1
	v_cmp_eq_u16_e32 vcc, 2, v12
	v_and_b32_e32 v13, 63, v23
	s_nop 0
	v_and_b32_e32 v10, vcc_hi, v9
	v_and_b32_e32 v11, vcc_lo, v8
	v_cmp_ne_u32_e32 vcc, 63, v13
	v_or_b32_e32 v10, 0x80000000, v10
	v_ffbl_b32_e32 v10, v10
	v_addc_co_u32_e32 v14, vcc, 0, v23, vcc
	v_lshlrev_b32_e32 v14, 2, v14
	ds_bpermute_b32 v16, v14, v0
	ds_bpermute_b32 v17, v14, v1
	;; [unrolled: 1-line block ×4, first 2 shown]
	v_add_u32_e32 v10, 32, v10
	v_ffbl_b32_e32 v11, v11
	v_min_u32_e32 v25, v11, v10
	v_cmp_lt_u32_e32 vcc, v13, v25
	s_waitcnt lgkmcnt(0)
	scratch_store_dwordx4 off, v[16:19], off offset:96
	s_waitcnt vmcnt(1)
	ds_bpermute_b32 v15, v14, v5
	s_and_saveexec_b64 s[8:9], vcc
	s_cbranch_execz .LBB2096_492
; %bb.485:
	v_mov_b32_e32 v10, 0
	v_cmp_eq_u16_sdwa s[14:15], v5, v10 src0_sel:BYTE_0 src1_sel:DWORD
	s_and_saveexec_b64 s[12:13], s[14:15]
	s_cbranch_execz .LBB2096_491
; %bb.486:
	s_mov_b32 s14, 0
	v_mov_b32_e32 v11, v10
.LBB2096_487:                           ; =>This Inner Loop Header: Depth=1
	s_add_i32 s15, s14, 0
	s_add_i32 s14, s14, 8
	s_cmp_lg_u32 s14, 16
	scratch_store_dwordx2 off, v[10:11], s15
	s_cbranch_scc1 .LBB2096_487
; %bb.488:
	s_mov_b32 s14, 0
.LBB2096_489:                           ; =>This Inner Loop Header: Depth=1
	s_add_i32 s15, s14, 0x60
	s_add_i32 s16, s14, 20
	scratch_load_dwordx2 v[0:1], off, s15
	scratch_load_dwordx2 v[2:3], off, s16
	s_add_i32 s15, s14, 0
	s_add_i32 s14, s14, 8
	s_cmp_lg_u32 s14, 16
	s_waitcnt vmcnt(0)
	v_add_u32_e32 v1, v3, v1
	v_add_u32_e32 v0, v2, v0
	scratch_store_dwordx2 off, v[0:1], s15
	s_cbranch_scc1 .LBB2096_489
; %bb.490:
	scratch_load_dwordx4 v[0:3], off, off
.LBB2096_491:
	s_or_b64 exec, exec, s[12:13]
	s_waitcnt lgkmcnt(0)
	v_or_b32_e32 v5, v15, v5
	v_and_b32_e32 v5, 1, v5
	scratch_store_byte off, v5, off offset:36
	scratch_load_dword v5, off, off offset:36
	s_waitcnt vmcnt(2)
	scratch_store_dwordx4 off, v[0:3], off offset:20
.LBB2096_492:
	s_or_b64 exec, exec, s[8:9]
	v_cmp_gt_u32_e32 vcc, 62, v13
	v_add_u32_e32 v16, 2, v13
	s_nop 0
	v_cndmask_b32_e64 v10, 0, 1, vcc
	v_lshlrev_b32_e32 v10, 1, v10
	s_waitcnt lgkmcnt(0)
	v_add_lshl_u32 v15, v10, v23, 2
	ds_bpermute_b32 v18, v15, v0
	ds_bpermute_b32 v19, v15, v1
	ds_bpermute_b32 v20, v15, v2
	ds_bpermute_b32 v21, v15, v3
	s_waitcnt vmcnt(1)
	ds_bpermute_b32 v17, v15, v5
	v_cmp_le_u32_e32 vcc, v16, v25
	s_waitcnt lgkmcnt(1)
	scratch_store_dwordx4 off, v[18:21], off offset:96
	s_and_saveexec_b64 s[12:13], vcc
	s_cbranch_execz .LBB2096_500
; %bb.493:
	v_mov_b32_e32 v10, 0
	s_mov_b32 s14, 0
	v_cmp_eq_u16_sdwa s[16:17], v5, v10 src0_sel:BYTE_0 src1_sel:DWORD
	s_and_saveexec_b64 s[8:9], s[16:17]
	s_cbranch_execz .LBB2096_499
; %bb.494:
	v_mov_b32_e32 v11, v10
.LBB2096_495:                           ; =>This Inner Loop Header: Depth=1
	s_add_i32 s15, s14, 0
	s_add_i32 s14, s14, 8
	s_cmp_lg_u32 s14, 16
	scratch_store_dwordx2 off, v[10:11], s15
	s_cbranch_scc1 .LBB2096_495
; %bb.496:
	s_mov_b32 s14, 0
.LBB2096_497:                           ; =>This Inner Loop Header: Depth=1
	s_add_i32 s15, s14, 0x60
	s_add_i32 s16, s14, 20
	scratch_load_dwordx2 v[0:1], off, s15
	scratch_load_dwordx2 v[2:3], off, s16
	s_add_i32 s15, s14, 0
	s_add_i32 s14, s14, 8
	s_cmp_lg_u32 s14, 16
	s_waitcnt vmcnt(0)
	v_add_u32_e32 v1, v3, v1
	v_add_u32_e32 v0, v2, v0
	scratch_store_dwordx2 off, v[0:1], s15
	s_cbranch_scc1 .LBB2096_497
; %bb.498:
	scratch_load_dwordx4 v[0:3], off, off
.LBB2096_499:
	s_or_b64 exec, exec, s[8:9]
	v_and_b32_e32 v5, 1, v5
	v_cmp_eq_u32_e32 vcc, 1, v5
	s_waitcnt lgkmcnt(0)
	v_and_b32_e32 v5, 1, v17
	v_cmp_eq_u32_e64 s[8:9], 1, v5
	s_or_b64 s[8:9], vcc, s[8:9]
	s_waitcnt vmcnt(0)
	scratch_store_dwordx4 off, v[0:3], off offset:20
	v_cndmask_b32_e64 v5, 0, 1, s[8:9]
	scratch_store_byte off, v5, off offset:36
	scratch_load_dword v5, off, off offset:36
.LBB2096_500:
	s_or_b64 exec, exec, s[12:13]
	v_cmp_gt_u32_e32 vcc, 60, v13
	v_add_u32_e32 v18, 4, v13
	s_nop 0
	v_cndmask_b32_e64 v10, 0, 1, vcc
	v_lshlrev_b32_e32 v10, 2, v10
	s_waitcnt lgkmcnt(0)
	v_add_lshl_u32 v17, v10, v23, 2
	ds_bpermute_b32 v48, v17, v0
	ds_bpermute_b32 v49, v17, v1
	ds_bpermute_b32 v50, v17, v2
	ds_bpermute_b32 v51, v17, v3
	s_waitcnt vmcnt(0)
	ds_bpermute_b32 v19, v17, v5
	v_cmp_le_u32_e32 vcc, v18, v25
	s_waitcnt lgkmcnt(1)
	scratch_store_dwordx4 off, v[48:51], off offset:96
	s_and_saveexec_b64 s[12:13], vcc
	s_cbranch_execz .LBB2096_508
; %bb.501:
	v_mov_b32_e32 v10, 0
	s_mov_b32 s14, 0
	v_cmp_eq_u16_sdwa s[16:17], v5, v10 src0_sel:BYTE_0 src1_sel:DWORD
	s_and_saveexec_b64 s[8:9], s[16:17]
	s_cbranch_execz .LBB2096_507
; %bb.502:
	v_mov_b32_e32 v11, v10
.LBB2096_503:                           ; =>This Inner Loop Header: Depth=1
	s_add_i32 s15, s14, 0
	s_add_i32 s14, s14, 8
	s_cmp_lg_u32 s14, 16
	scratch_store_dwordx2 off, v[10:11], s15
	s_cbranch_scc1 .LBB2096_503
; %bb.504:
	s_mov_b32 s14, 0
.LBB2096_505:                           ; =>This Inner Loop Header: Depth=1
	s_add_i32 s15, s14, 0x60
	s_add_i32 s16, s14, 20
	scratch_load_dwordx2 v[0:1], off, s15
	scratch_load_dwordx2 v[2:3], off, s16
	s_add_i32 s15, s14, 0
	s_add_i32 s14, s14, 8
	s_cmp_lg_u32 s14, 16
	s_waitcnt vmcnt(0)
	v_add_u32_e32 v1, v3, v1
	v_add_u32_e32 v0, v2, v0
	scratch_store_dwordx2 off, v[0:1], s15
	s_cbranch_scc1 .LBB2096_505
; %bb.506:
	scratch_load_dwordx4 v[0:3], off, off
.LBB2096_507:
	s_or_b64 exec, exec, s[8:9]
	v_and_b32_e32 v5, 1, v5
	v_cmp_eq_u32_e32 vcc, 1, v5
	s_waitcnt lgkmcnt(0)
	v_and_b32_e32 v5, 1, v19
	v_cmp_eq_u32_e64 s[8:9], 1, v5
	s_or_b64 s[8:9], vcc, s[8:9]
	s_waitcnt vmcnt(0)
	scratch_store_dwordx4 off, v[0:3], off offset:20
	v_cndmask_b32_e64 v5, 0, 1, s[8:9]
	scratch_store_byte off, v5, off offset:36
	scratch_load_dword v5, off, off offset:36
.LBB2096_508:
	;; [unrolled: 64-line block ×4, first 2 shown]
	s_or_b64 exec, exec, s[12:13]
	v_cmp_gt_u32_e32 vcc, 32, v13
	s_waitcnt lgkmcnt(0)
	v_add_u32_e32 v24, 32, v13
	v_cndmask_b32_e64 v10, 0, 1, vcc
	v_lshlrev_b32_e32 v10, 5, v10
	v_add_lshl_u32 v23, v10, v23, 2
	ds_bpermute_b32 v48, v23, v0
	ds_bpermute_b32 v49, v23, v1
	;; [unrolled: 1-line block ×4, first 2 shown]
	s_waitcnt vmcnt(0)
	ds_bpermute_b32 v47, v23, v5
	v_cmp_le_u32_e32 vcc, v24, v25
	s_waitcnt lgkmcnt(1)
	scratch_store_dwordx4 off, v[48:51], off offset:96
	s_and_saveexec_b64 s[12:13], vcc
	s_cbranch_execz .LBB2096_532
; %bb.525:
	v_mov_b32_e32 v10, 0
	s_mov_b32 s14, 0
	v_cmp_eq_u16_sdwa s[16:17], v5, v10 src0_sel:BYTE_0 src1_sel:DWORD
	s_and_saveexec_b64 s[8:9], s[16:17]
	s_cbranch_execz .LBB2096_531
; %bb.526:
	v_mov_b32_e32 v11, v10
.LBB2096_527:                           ; =>This Inner Loop Header: Depth=1
	s_add_i32 s15, s14, 0
	s_add_i32 s14, s14, 8
	s_cmp_lg_u32 s14, 16
	scratch_store_dwordx2 off, v[10:11], s15
	s_cbranch_scc1 .LBB2096_527
; %bb.528:
	s_mov_b32 s14, 0
.LBB2096_529:                           ; =>This Inner Loop Header: Depth=1
	s_add_i32 s15, s14, 0x60
	s_add_i32 s16, s14, 20
	scratch_load_dwordx2 v[0:1], off, s15
	scratch_load_dwordx2 v[2:3], off, s16
	s_add_i32 s15, s14, 0
	s_add_i32 s14, s14, 8
	s_cmp_lg_u32 s14, 16
	s_waitcnt vmcnt(0)
	v_add_u32_e32 v1, v3, v1
	v_add_u32_e32 v0, v2, v0
	scratch_store_dwordx2 off, v[0:1], s15
	s_cbranch_scc1 .LBB2096_529
; %bb.530:
	scratch_load_dwordx4 v[0:3], off, off
.LBB2096_531:
	s_or_b64 exec, exec, s[8:9]
	v_and_b32_e32 v5, 1, v5
	v_cmp_eq_u32_e32 vcc, 1, v5
	s_waitcnt lgkmcnt(0)
	v_and_b32_e32 v5, 1, v47
	v_cmp_eq_u32_e64 s[8:9], 1, v5
	s_or_b64 s[8:9], vcc, s[8:9]
	s_nop 0
	v_cndmask_b32_e64 v5, 0, 1, s[8:9]
	s_waitcnt vmcnt(0)
	scratch_store_dwordx4 off, v[0:3], off offset:20
	scratch_store_byte off, v5, off offset:36
.LBB2096_532:
	s_or_b64 exec, exec, s[12:13]
	scratch_load_dwordx4 v[0:3], off, off offset:20
	scratch_load_dword v5, off, off offset:36
	v_mov_b32_e32 v10, 0
	v_mov_b32_e32 v25, 2
	s_waitcnt vmcnt(1)
	scratch_store_dwordx4 off, v[0:3], off
	s_waitcnt vmcnt(1)
	scratch_store_dword off, v5, off offset:16
	s_branch .LBB2096_534
.LBB2096_533:                           ;   in Loop: Header=BB2096_534 Depth=1
	s_or_b64 exec, exec, s[12:13]
	v_and_b32_e32 v5, 1, v5
	v_cmp_eq_u32_e32 vcc, 1, v5
	s_or_b64 s[8:9], vcc, s[8:9]
	v_subrev_u32_e32 v4, 64, v4
	v_cndmask_b32_e64 v5, 0, 1, s[8:9]
	s_waitcnt vmcnt(0)
	scratch_store_dwordx4 off, v[0:3], off
	scratch_store_byte off, v5, off offset:16
.LBB2096_534:                           ; =>This Loop Header: Depth=1
                                        ;     Child Loop BB2096_537 Depth 2
                                        ;       Child Loop BB2096_538 Depth 3
                                        ;     Child Loop BB2096_542 Depth 2
                                        ;     Child Loop BB2096_546 Depth 2
	;; [unrolled: 1-line block ×15, first 2 shown]
	v_cmp_ne_u16_sdwa s[8:9], v12, v25 src0_sel:BYTE_0 src1_sel:DWORD
	s_nop 1
	v_cndmask_b32_e64 v0, 0, 1, s[8:9]
	;;#ASMSTART
	;;#ASMEND
	s_nop 0
	v_cmp_ne_u32_e32 vcc, 0, v0
	s_cmp_lg_u64 vcc, exec
	s_cbranch_scc1 .LBB2096_599
; %bb.535:                              ;   in Loop: Header=BB2096_534 Depth=1
	global_load_ubyte v12, v4, s[56:57] sc1
	v_mov_b32_e32 v5, v10
	s_waitcnt vmcnt(0)
	v_cmp_eq_u16_e32 vcc, 0, v12
	s_and_saveexec_b64 s[8:9], vcc
	s_cbranch_execz .LBB2096_541
; %bb.536:                              ;   in Loop: Header=BB2096_534 Depth=1
	v_lshl_add_u64 v[0:1], s[56:57], 0, v[4:5]
	s_mov_b32 s14, 1
	s_mov_b64 s[12:13], 0
.LBB2096_537:                           ;   Parent Loop BB2096_534 Depth=1
                                        ; =>  This Loop Header: Depth=2
                                        ;       Child Loop BB2096_538 Depth 3
	s_max_u32 s15, s14, 1
.LBB2096_538:                           ;   Parent Loop BB2096_534 Depth=1
                                        ;     Parent Loop BB2096_537 Depth=2
                                        ; =>    This Inner Loop Header: Depth=3
	s_add_i32 s15, s15, -1
	s_cmp_eq_u32 s15, 0
	s_sleep 1
	s_cbranch_scc0 .LBB2096_538
; %bb.539:                              ;   in Loop: Header=BB2096_537 Depth=2
	global_load_ubyte v12, v[0:1], off sc1
	s_cmp_lt_u32 s14, 32
	s_cselect_b64 s[16:17], -1, 0
	s_cmp_lg_u64 s[16:17], 0
	s_addc_u32 s14, s14, 0
	s_waitcnt vmcnt(0)
	v_cmp_ne_u16_e32 vcc, 0, v12
	s_or_b64 s[12:13], vcc, s[12:13]
	s_andn2_b64 exec, exec, s[12:13]
	s_cbranch_execnz .LBB2096_537
; %bb.540:                              ;   in Loop: Header=BB2096_534 Depth=1
	s_or_b64 exec, exec, s[12:13]
.LBB2096_541:                           ;   in Loop: Header=BB2096_534 Depth=1
	s_or_b64 exec, exec, s[8:9]
	v_mov_b32_e32 v0, s55
	v_mov_b32_e32 v1, s53
	v_cmp_eq_u16_e32 vcc, 1, v12
	v_mov_b32_e32 v2, s52
	s_waitcnt vmcnt(0)
	v_cndmask_b32_e32 v1, v0, v1, vcc
	v_mov_b32_e32 v0, s54
	v_cndmask_b32_e32 v0, v0, v2, vcc
	s_waitcnt lgkmcnt(0)
	v_mad_u64_u32 v[48:49], s[8:9], v4, 20, v[0:1]
	s_waitcnt lgkmcnt(0)
	global_load_dword v0, v[48:49], off sc1
	global_load_dword v1, v[48:49], off offset:4 sc1
	global_load_dword v2, v[48:49], off offset:8 sc1
	;; [unrolled: 1-line block ×4, first 2 shown]
	s_mov_b32 s8, 0
	scratch_store_dword off, v10, off offset:112
	s_waitcnt vmcnt(2)
	scratch_store_dwordx4 off, v[0:3], off offset:20
	s_waitcnt vmcnt(2)
	scratch_store_byte off, v5, off offset:36
.LBB2096_542:                           ;   Parent Loop BB2096_534 Depth=1
                                        ; =>  This Inner Loop Header: Depth=2
	s_add_i32 s9, s8, 0x60
	s_add_i32 s8, s8, 8
	v_mov_b32_e32 v11, v10
	s_cmp_lg_u32 s8, 16
	scratch_store_dwordx2 off, v[10:11], s9
	s_cbranch_scc1 .LBB2096_542
; %bb.543:                              ;   in Loop: Header=BB2096_534 Depth=1
	scratch_load_dword v47, off, off offset:36
	v_cmp_eq_u16_e32 vcc, 2, v12
	ds_bpermute_b32 v50, v14, v0
	ds_bpermute_b32 v51, v14, v1
	v_and_b32_e32 v5, vcc_hi, v9
	v_or_b32_e32 v5, 0x80000000, v5
	ds_bpermute_b32 v52, v14, v2
	ds_bpermute_b32 v53, v14, v3
	v_and_b32_e32 v11, vcc_lo, v8
	v_ffbl_b32_e32 v5, v5
	v_add_u32_e32 v5, 32, v5
	v_ffbl_b32_e32 v11, v11
	v_min_u32_e32 v5, v11, v5
	v_cmp_lt_u32_e32 vcc, v13, v5
	s_waitcnt lgkmcnt(0)
	scratch_store_dwordx4 off, v[50:53], off offset:96
	s_waitcnt vmcnt(1)
	ds_bpermute_b32 v48, v14, v47
	s_and_saveexec_b64 s[8:9], vcc
	s_cbranch_execz .LBB2096_551
; %bb.544:                              ;   in Loop: Header=BB2096_534 Depth=1
	v_cmp_eq_u16_sdwa s[14:15], v47, v10 src0_sel:BYTE_0 src1_sel:DWORD
	s_and_saveexec_b64 s[12:13], s[14:15]
	s_cbranch_execz .LBB2096_550
; %bb.545:                              ;   in Loop: Header=BB2096_534 Depth=1
	s_mov_b32 s14, 0
.LBB2096_546:                           ;   Parent Loop BB2096_534 Depth=1
                                        ; =>  This Inner Loop Header: Depth=2
	s_add_i32 s15, s14, 0x39c
	s_add_i32 s14, s14, 8
	v_mov_b32_e32 v11, v10
	s_cmp_lg_u32 s14, 16
	scratch_store_dwordx2 off, v[10:11], s15
	s_cbranch_scc1 .LBB2096_546
; %bb.547:                              ;   in Loop: Header=BB2096_534 Depth=1
	s_mov_b32 s14, 0
.LBB2096_548:                           ;   Parent Loop BB2096_534 Depth=1
                                        ; =>  This Inner Loop Header: Depth=2
	s_add_i32 s15, s14, 0x60
	s_add_i32 s16, s14, 20
	scratch_load_dwordx2 v[0:1], off, s15
	scratch_load_dwordx2 v[2:3], off, s16
	s_add_i32 s15, s14, 0x39c
	s_add_i32 s14, s14, 8
	s_cmp_lg_u32 s14, 16
	s_waitcnt vmcnt(0)
	v_add_u32_e32 v1, v3, v1
	v_add_u32_e32 v0, v2, v0
	scratch_store_dwordx2 off, v[0:1], s15
	s_cbranch_scc1 .LBB2096_548
; %bb.549:                              ;   in Loop: Header=BB2096_534 Depth=1
	scratch_load_dwordx4 v[0:3], off, off offset:924
.LBB2096_550:                           ;   in Loop: Header=BB2096_534 Depth=1
	s_or_b64 exec, exec, s[12:13]
	s_waitcnt lgkmcnt(0)
	v_or_b32_e32 v11, v48, v47
	v_and_b32_e32 v11, 1, v11
	scratch_store_byte off, v11, off offset:36
	scratch_load_dword v47, off, off offset:36
	s_waitcnt vmcnt(2)
	scratch_store_dwordx4 off, v[0:3], off offset:20
.LBB2096_551:                           ;   in Loop: Header=BB2096_534 Depth=1
	s_or_b64 exec, exec, s[8:9]
	ds_bpermute_b32 v50, v15, v0
	ds_bpermute_b32 v51, v15, v1
	ds_bpermute_b32 v52, v15, v2
	ds_bpermute_b32 v53, v15, v3
	s_waitcnt vmcnt(1) lgkmcnt(4)
	ds_bpermute_b32 v48, v15, v47
	v_cmp_le_u32_e32 vcc, v16, v5
	s_waitcnt lgkmcnt(1)
	scratch_store_dwordx4 off, v[50:53], off offset:96
	s_and_saveexec_b64 s[12:13], vcc
	s_cbranch_execz .LBB2096_559
; %bb.552:                              ;   in Loop: Header=BB2096_534 Depth=1
	v_cmp_eq_u16_sdwa s[14:15], v47, v10 src0_sel:BYTE_0 src1_sel:DWORD
	s_and_saveexec_b64 s[8:9], s[14:15]
	s_cbranch_execz .LBB2096_558
; %bb.553:                              ;   in Loop: Header=BB2096_534 Depth=1
	s_mov_b32 s14, 0
.LBB2096_554:                           ;   Parent Loop BB2096_534 Depth=1
                                        ; =>  This Inner Loop Header: Depth=2
	s_add_i32 s15, s14, 0x39c
	s_add_i32 s14, s14, 8
	v_mov_b32_e32 v11, v10
	s_cmp_lg_u32 s14, 16
	scratch_store_dwordx2 off, v[10:11], s15
	s_cbranch_scc1 .LBB2096_554
; %bb.555:                              ;   in Loop: Header=BB2096_534 Depth=1
	s_mov_b32 s14, 0
.LBB2096_556:                           ;   Parent Loop BB2096_534 Depth=1
                                        ; =>  This Inner Loop Header: Depth=2
	s_add_i32 s15, s14, 0x60
	s_add_i32 s16, s14, 20
	scratch_load_dwordx2 v[0:1], off, s15
	scratch_load_dwordx2 v[2:3], off, s16
	s_add_i32 s15, s14, 0x39c
	s_add_i32 s14, s14, 8
	s_cmp_lg_u32 s14, 16
	s_waitcnt vmcnt(0)
	v_add_u32_e32 v1, v3, v1
	v_add_u32_e32 v0, v2, v0
	scratch_store_dwordx2 off, v[0:1], s15
	s_cbranch_scc1 .LBB2096_556
; %bb.557:                              ;   in Loop: Header=BB2096_534 Depth=1
	scratch_load_dwordx4 v[0:3], off, off offset:924
.LBB2096_558:                           ;   in Loop: Header=BB2096_534 Depth=1
	s_or_b64 exec, exec, s[8:9]
	v_and_b32_e32 v11, 1, v47
	v_cmp_eq_u32_e32 vcc, 1, v11
	s_waitcnt lgkmcnt(0)
	v_and_b32_e32 v11, 1, v48
	v_cmp_eq_u32_e64 s[8:9], 1, v11
	s_or_b64 s[8:9], vcc, s[8:9]
	s_waitcnt vmcnt(0)
	scratch_store_dwordx4 off, v[0:3], off offset:20
	v_cndmask_b32_e64 v11, 0, 1, s[8:9]
	scratch_store_byte off, v11, off offset:36
	scratch_load_dword v47, off, off offset:36
.LBB2096_559:                           ;   in Loop: Header=BB2096_534 Depth=1
	s_or_b64 exec, exec, s[12:13]
	ds_bpermute_b32 v50, v17, v0
	ds_bpermute_b32 v51, v17, v1
	ds_bpermute_b32 v52, v17, v2
	ds_bpermute_b32 v53, v17, v3
	s_waitcnt vmcnt(0) lgkmcnt(4)
	ds_bpermute_b32 v48, v17, v47
	v_cmp_le_u32_e32 vcc, v18, v5
	s_waitcnt lgkmcnt(1)
	scratch_store_dwordx4 off, v[50:53], off offset:96
	s_and_saveexec_b64 s[12:13], vcc
	s_cbranch_execz .LBB2096_567
; %bb.560:                              ;   in Loop: Header=BB2096_534 Depth=1
	v_cmp_eq_u16_sdwa s[14:15], v47, v10 src0_sel:BYTE_0 src1_sel:DWORD
	s_and_saveexec_b64 s[8:9], s[14:15]
	s_cbranch_execz .LBB2096_566
; %bb.561:                              ;   in Loop: Header=BB2096_534 Depth=1
	s_mov_b32 s14, 0
.LBB2096_562:                           ;   Parent Loop BB2096_534 Depth=1
                                        ; =>  This Inner Loop Header: Depth=2
	s_add_i32 s15, s14, 0x39c
	s_add_i32 s14, s14, 8
	v_mov_b32_e32 v11, v10
	s_cmp_lg_u32 s14, 16
	scratch_store_dwordx2 off, v[10:11], s15
	s_cbranch_scc1 .LBB2096_562
; %bb.563:                              ;   in Loop: Header=BB2096_534 Depth=1
	s_mov_b32 s14, 0
.LBB2096_564:                           ;   Parent Loop BB2096_534 Depth=1
                                        ; =>  This Inner Loop Header: Depth=2
	s_add_i32 s15, s14, 0x60
	s_add_i32 s16, s14, 20
	scratch_load_dwordx2 v[0:1], off, s15
	scratch_load_dwordx2 v[2:3], off, s16
	s_add_i32 s15, s14, 0x39c
	s_add_i32 s14, s14, 8
	s_cmp_lg_u32 s14, 16
	s_waitcnt vmcnt(0)
	v_add_u32_e32 v1, v3, v1
	v_add_u32_e32 v0, v2, v0
	scratch_store_dwordx2 off, v[0:1], s15
	s_cbranch_scc1 .LBB2096_564
; %bb.565:                              ;   in Loop: Header=BB2096_534 Depth=1
	scratch_load_dwordx4 v[0:3], off, off offset:924
.LBB2096_566:                           ;   in Loop: Header=BB2096_534 Depth=1
	s_or_b64 exec, exec, s[8:9]
	v_and_b32_e32 v11, 1, v47
	v_cmp_eq_u32_e32 vcc, 1, v11
	s_waitcnt lgkmcnt(0)
	v_and_b32_e32 v11, 1, v48
	v_cmp_eq_u32_e64 s[8:9], 1, v11
	s_or_b64 s[8:9], vcc, s[8:9]
	s_waitcnt vmcnt(0)
	scratch_store_dwordx4 off, v[0:3], off offset:20
	v_cndmask_b32_e64 v11, 0, 1, s[8:9]
	scratch_store_byte off, v11, off offset:36
	scratch_load_dword v47, off, off offset:36
.LBB2096_567:                           ;   in Loop: Header=BB2096_534 Depth=1
	s_or_b64 exec, exec, s[12:13]
	ds_bpermute_b32 v50, v19, v0
	ds_bpermute_b32 v51, v19, v1
	ds_bpermute_b32 v52, v19, v2
	ds_bpermute_b32 v53, v19, v3
	s_waitcnt vmcnt(0) lgkmcnt(4)
	ds_bpermute_b32 v48, v19, v47
	v_cmp_le_u32_e32 vcc, v20, v5
	s_waitcnt lgkmcnt(1)
	scratch_store_dwordx4 off, v[50:53], off offset:96
	s_and_saveexec_b64 s[12:13], vcc
	s_cbranch_execz .LBB2096_575
; %bb.568:                              ;   in Loop: Header=BB2096_534 Depth=1
	v_cmp_eq_u16_sdwa s[14:15], v47, v10 src0_sel:BYTE_0 src1_sel:DWORD
	s_and_saveexec_b64 s[8:9], s[14:15]
	s_cbranch_execz .LBB2096_574
; %bb.569:                              ;   in Loop: Header=BB2096_534 Depth=1
	s_mov_b32 s14, 0
.LBB2096_570:                           ;   Parent Loop BB2096_534 Depth=1
                                        ; =>  This Inner Loop Header: Depth=2
	s_add_i32 s15, s14, 0x39c
	s_add_i32 s14, s14, 8
	v_mov_b32_e32 v11, v10
	s_cmp_lg_u32 s14, 16
	scratch_store_dwordx2 off, v[10:11], s15
	s_cbranch_scc1 .LBB2096_570
; %bb.571:                              ;   in Loop: Header=BB2096_534 Depth=1
	s_mov_b32 s14, 0
.LBB2096_572:                           ;   Parent Loop BB2096_534 Depth=1
                                        ; =>  This Inner Loop Header: Depth=2
	s_add_i32 s15, s14, 0x60
	s_add_i32 s16, s14, 20
	scratch_load_dwordx2 v[0:1], off, s15
	scratch_load_dwordx2 v[2:3], off, s16
	s_add_i32 s15, s14, 0x39c
	s_add_i32 s14, s14, 8
	s_cmp_lg_u32 s14, 16
	s_waitcnt vmcnt(0)
	v_add_u32_e32 v1, v3, v1
	v_add_u32_e32 v0, v2, v0
	scratch_store_dwordx2 off, v[0:1], s15
	s_cbranch_scc1 .LBB2096_572
; %bb.573:                              ;   in Loop: Header=BB2096_534 Depth=1
	scratch_load_dwordx4 v[0:3], off, off offset:924
.LBB2096_574:                           ;   in Loop: Header=BB2096_534 Depth=1
	s_or_b64 exec, exec, s[8:9]
	v_and_b32_e32 v11, 1, v47
	v_cmp_eq_u32_e32 vcc, 1, v11
	s_waitcnt lgkmcnt(0)
	v_and_b32_e32 v11, 1, v48
	v_cmp_eq_u32_e64 s[8:9], 1, v11
	s_or_b64 s[8:9], vcc, s[8:9]
	s_waitcnt vmcnt(0)
	scratch_store_dwordx4 off, v[0:3], off offset:20
	v_cndmask_b32_e64 v11, 0, 1, s[8:9]
	scratch_store_byte off, v11, off offset:36
	scratch_load_dword v47, off, off offset:36
.LBB2096_575:                           ;   in Loop: Header=BB2096_534 Depth=1
	s_or_b64 exec, exec, s[12:13]
	ds_bpermute_b32 v50, v21, v0
	ds_bpermute_b32 v51, v21, v1
	ds_bpermute_b32 v52, v21, v2
	ds_bpermute_b32 v53, v21, v3
	s_waitcnt vmcnt(0) lgkmcnt(4)
	ds_bpermute_b32 v48, v21, v47
	v_cmp_le_u32_e32 vcc, v22, v5
	s_waitcnt lgkmcnt(1)
	scratch_store_dwordx4 off, v[50:53], off offset:96
	s_and_saveexec_b64 s[12:13], vcc
	s_cbranch_execz .LBB2096_583
; %bb.576:                              ;   in Loop: Header=BB2096_534 Depth=1
	v_cmp_eq_u16_sdwa s[14:15], v47, v10 src0_sel:BYTE_0 src1_sel:DWORD
	s_and_saveexec_b64 s[8:9], s[14:15]
	s_cbranch_execz .LBB2096_582
; %bb.577:                              ;   in Loop: Header=BB2096_534 Depth=1
	s_mov_b32 s14, 0
.LBB2096_578:                           ;   Parent Loop BB2096_534 Depth=1
                                        ; =>  This Inner Loop Header: Depth=2
	s_add_i32 s15, s14, 0x39c
	s_add_i32 s14, s14, 8
	v_mov_b32_e32 v11, v10
	s_cmp_lg_u32 s14, 16
	scratch_store_dwordx2 off, v[10:11], s15
	s_cbranch_scc1 .LBB2096_578
; %bb.579:                              ;   in Loop: Header=BB2096_534 Depth=1
	s_mov_b32 s14, 0
.LBB2096_580:                           ;   Parent Loop BB2096_534 Depth=1
                                        ; =>  This Inner Loop Header: Depth=2
	s_add_i32 s15, s14, 0x60
	s_add_i32 s16, s14, 20
	scratch_load_dwordx2 v[0:1], off, s15
	scratch_load_dwordx2 v[2:3], off, s16
	s_add_i32 s15, s14, 0x39c
	s_add_i32 s14, s14, 8
	s_cmp_lg_u32 s14, 16
	s_waitcnt vmcnt(0)
	v_add_u32_e32 v1, v3, v1
	v_add_u32_e32 v0, v2, v0
	scratch_store_dwordx2 off, v[0:1], s15
	s_cbranch_scc1 .LBB2096_580
; %bb.581:                              ;   in Loop: Header=BB2096_534 Depth=1
	scratch_load_dwordx4 v[0:3], off, off offset:924
.LBB2096_582:                           ;   in Loop: Header=BB2096_534 Depth=1
	s_or_b64 exec, exec, s[8:9]
	v_and_b32_e32 v11, 1, v47
	v_cmp_eq_u32_e32 vcc, 1, v11
	s_waitcnt lgkmcnt(0)
	v_and_b32_e32 v11, 1, v48
	v_cmp_eq_u32_e64 s[8:9], 1, v11
	s_or_b64 s[8:9], vcc, s[8:9]
	s_waitcnt vmcnt(0)
	scratch_store_dwordx4 off, v[0:3], off offset:20
	v_cndmask_b32_e64 v11, 0, 1, s[8:9]
	scratch_store_byte off, v11, off offset:36
	scratch_load_dword v47, off, off offset:36
.LBB2096_583:                           ;   in Loop: Header=BB2096_534 Depth=1
	s_or_b64 exec, exec, s[12:13]
	ds_bpermute_b32 v50, v23, v0
	ds_bpermute_b32 v51, v23, v1
	;; [unrolled: 1-line block ×4, first 2 shown]
	s_waitcnt vmcnt(0) lgkmcnt(4)
	ds_bpermute_b32 v48, v23, v47
	v_cmp_le_u32_e32 vcc, v24, v5
	v_and_b32_e32 v5, 1, v47
	v_cmp_eq_u32_e64 s[8:9], 1, v5
	s_waitcnt lgkmcnt(1)
	scratch_store_dwordx4 off, v[50:53], off offset:96
	s_and_saveexec_b64 s[12:13], vcc
	s_cbranch_execz .LBB2096_591
; %bb.584:                              ;   in Loop: Header=BB2096_534 Depth=1
	v_cmp_eq_u16_sdwa s[16:17], v47, v10 src0_sel:BYTE_0 src1_sel:DWORD
	s_and_saveexec_b64 s[14:15], s[16:17]
	s_cbranch_execz .LBB2096_590
; %bb.585:                              ;   in Loop: Header=BB2096_534 Depth=1
	s_mov_b32 s16, 0
.LBB2096_586:                           ;   Parent Loop BB2096_534 Depth=1
                                        ; =>  This Inner Loop Header: Depth=2
	s_add_i32 s17, s16, 0x39c
	s_add_i32 s16, s16, 8
	v_mov_b32_e32 v11, v10
	s_cmp_lg_u32 s16, 16
	scratch_store_dwordx2 off, v[10:11], s17
	s_cbranch_scc1 .LBB2096_586
; %bb.587:                              ;   in Loop: Header=BB2096_534 Depth=1
	s_mov_b32 s16, 0
.LBB2096_588:                           ;   Parent Loop BB2096_534 Depth=1
                                        ; =>  This Inner Loop Header: Depth=2
	s_add_i32 s17, s16, 0x60
	s_add_i32 s18, s16, 20
	scratch_load_dwordx2 v[0:1], off, s17
	scratch_load_dwordx2 v[2:3], off, s18
	s_add_i32 s17, s16, 0x39c
	s_add_i32 s16, s16, 8
	s_cmp_lg_u32 s16, 16
	s_waitcnt vmcnt(0)
	v_add_u32_e32 v1, v3, v1
	v_add_u32_e32 v0, v2, v0
	scratch_store_dwordx2 off, v[0:1], s17
	s_cbranch_scc1 .LBB2096_588
; %bb.589:                              ;   in Loop: Header=BB2096_534 Depth=1
	scratch_load_dwordx4 v[0:3], off, off offset:924
.LBB2096_590:                           ;   in Loop: Header=BB2096_534 Depth=1
	s_or_b64 exec, exec, s[14:15]
	s_waitcnt lgkmcnt(0)
	v_and_b32_e32 v5, 1, v48
	v_cmp_eq_u32_e32 vcc, 1, v5
	s_or_b64 s[14:15], s[8:9], vcc
	v_cndmask_b32_e64 v5, 0, 1, s[14:15]
	s_andn2_b64 s[8:9], s[8:9], exec
	s_and_b64 s[14:15], s[14:15], exec
	s_or_b64 s[8:9], s[8:9], s[14:15]
	s_waitcnt vmcnt(0)
	scratch_store_dwordx4 off, v[0:3], off offset:20
	scratch_store_byte off, v5, off offset:36
.LBB2096_591:                           ;   in Loop: Header=BB2096_534 Depth=1
	s_or_b64 exec, exec, s[12:13]
	scratch_load_ubyte v5, off, off offset:16
                                        ; implicit-def: $vgpr2_vgpr3
	s_waitcnt vmcnt(0)
	v_cmp_ne_u16_e32 vcc, 0, v5
	s_and_saveexec_b64 s[12:13], vcc
	s_xor_b64 s[12:13], exec, s[12:13]
	s_cbranch_execz .LBB2096_593
; %bb.592:                              ;   in Loop: Header=BB2096_534 Depth=1
	scratch_load_dwordx4 v[0:3], off, off
.LBB2096_593:                           ;   in Loop: Header=BB2096_534 Depth=1
	s_andn2_saveexec_b64 s[12:13], s[12:13]
	s_cbranch_execz .LBB2096_533
; %bb.594:                              ;   in Loop: Header=BB2096_534 Depth=1
	s_mov_b32 s14, 0
.LBB2096_595:                           ;   Parent Loop BB2096_534 Depth=1
                                        ; =>  This Inner Loop Header: Depth=2
	s_add_i32 s15, s14, 0x60
	s_add_i32 s14, s14, 8
	v_mov_b32_e32 v11, v10
	s_cmp_lg_u32 s14, 16
	scratch_store_dwordx2 off, v[10:11], s15
	s_cbranch_scc1 .LBB2096_595
; %bb.596:                              ;   in Loop: Header=BB2096_534 Depth=1
	s_mov_b32 s14, 0
.LBB2096_597:                           ;   Parent Loop BB2096_534 Depth=1
                                        ; =>  This Inner Loop Header: Depth=2
	s_add_i32 s15, s14, 20
	s_add_i32 s16, s14, 0
	scratch_load_dwordx2 v[0:1], off, s15
	scratch_load_dwordx2 v[2:3], off, s16
	s_add_i32 s15, s14, 0x60
	s_add_i32 s14, s14, 8
	s_cmp_lg_u32 s14, 16
	s_waitcnt vmcnt(0)
	v_add_u32_e32 v1, v3, v1
	v_add_u32_e32 v0, v2, v0
	scratch_store_dwordx2 off, v[0:1], s15
	s_cbranch_scc1 .LBB2096_597
; %bb.598:                              ;   in Loop: Header=BB2096_534 Depth=1
	scratch_load_dwordx4 v[0:3], off, off offset:96
	s_branch .LBB2096_533
.LBB2096_599:                           ;   in Loop: Header=BB2096_534 Depth=1
                                        ; implicit-def: $vgpr4
                                        ; implicit-def: $vgpr12
	s_cbranch_execz .LBB2096_534
; %bb.600:
	scratch_load_dwordx4 v[0:3], off, off
	scratch_load_dword v12, off, off offset:16
	s_waitcnt vmcnt(1)
	scratch_store_dwordx4 off, v[0:3], off offset:96
	s_waitcnt vmcnt(1)
	scratch_store_dword off, v12, off offset:112
	s_and_saveexec_b64 s[8:9], s[4:5]
	s_cbranch_execz .LBB2096_610
; %bb.601:
	scratch_load_ubyte v13, off, off offset:56
                                        ; implicit-def: $vgpr4_vgpr5
                                        ; implicit-def: $vgpr11
	s_waitcnt vmcnt(0)
	v_cmp_ne_u16_e32 vcc, 0, v13
	s_and_saveexec_b64 s[4:5], vcc
	s_xor_b64 s[4:5], exec, s[4:5]
	s_cbranch_execz .LBB2096_603
; %bb.602:
	scratch_load_dwordx4 v[8:11], off, off offset:40
	s_waitcnt vmcnt(0)
	v_mov_b32_e32 v4, v9
	v_mov_b32_e32 v5, v10
.LBB2096_603:
	s_andn2_saveexec_b64 s[4:5], s[4:5]
	s_cbranch_execz .LBB2096_609
; %bb.604:
	v_mov_b32_e32 v4, 0
	s_mov_b32 s12, 0
	v_mov_b32_e32 v5, v4
.LBB2096_605:                           ; =>This Inner Loop Header: Depth=1
	s_add_i32 s13, s12, 0
	s_add_i32 s12, s12, 8
	s_cmp_lg_u32 s12, 16
	scratch_store_dwordx2 off, v[4:5], s13
	s_cbranch_scc1 .LBB2096_605
; %bb.606:
	s_mov_b32 s12, 0
.LBB2096_607:                           ; =>This Inner Loop Header: Depth=1
	s_add_i32 s13, s12, 0x60
	s_add_i32 s14, s12, 40
	scratch_load_dwordx2 v[4:5], off, s13
	scratch_load_dwordx2 v[8:9], off, s14
	s_add_i32 s13, s12, 0
	s_add_i32 s12, s12, 8
	s_cmp_lg_u32 s12, 16
	s_waitcnt vmcnt(0)
	v_add_u32_e32 v5, v9, v5
	v_add_u32_e32 v4, v8, v4
	scratch_store_dwordx2 off, v[4:5], s13
	s_cbranch_scc1 .LBB2096_607
; %bb.608:
	scratch_load_dwordx4 v[8:11], off, off
	s_waitcnt vmcnt(0)
	v_mov_b32_e32 v4, v9
	v_mov_b32_e32 v5, v10
.LBB2096_609:
	s_or_b64 exec, exec, s[4:5]
	s_add_i32 s12, s2, 64
	v_and_b32_e32 v9, 1, v13
	s_mul_i32 s4, s12, 20
	v_and_b32_e32 v10, 1, v12
	v_cmp_eq_u32_e32 vcc, 1, v9
	s_mul_hi_u32 s5, s12, 20
	s_add_u32 s4, s54, s4
	v_cndmask_b32_e64 v9, v10, 1, vcc
	s_addc_u32 s5, s55, s5
	v_mov_b32_e32 v10, 0
	global_store_dword v10, v8, s[4:5] sc1
	global_store_dword v10, v4, s[4:5] offset:4 sc1
	global_store_dword v10, v5, s[4:5] offset:8 sc1
	;; [unrolled: 1-line block ×4, first 2 shown]
	v_mov_b32_e32 v4, s12
	v_mov_b32_e32 v5, 2
	s_waitcnt vmcnt(0) lgkmcnt(0)
	global_store_byte v4, v5, s[56:57] sc1
.LBB2096_610:
	s_or_b64 exec, exec, s[8:9]
	s_and_b64 exec, exec, s[6:7]
	s_cbranch_execz .LBB2096_612
; %bb.611:
	v_mov_b32_e32 v4, 0
	ds_write_b128 v4, v[0:3]
	ds_write_b8 v4, v12 offset:16
.LBB2096_612:
	s_or_b64 exec, exec, s[10:11]
	s_waitcnt lgkmcnt(0)
	s_barrier
	scratch_load_dwordx4 v[0:3], off, off offset:464
	scratch_load_dword v4, off, off offset:480
	v_mov_b32_e32 v5, 0
	ds_read_b128 v[8:11], v5
	ds_read_b32 v5, v5 offset:16
	s_waitcnt lgkmcnt(1)
	scratch_store_dwordx4 off, v[8:11], off offset:96
	s_waitcnt lgkmcnt(0)
	scratch_store_dword off, v5, off offset:112
	scratch_store_dwordx4 off, v[8:11], off offset:20
	s_waitcnt vmcnt(4)
	scratch_store_dwordx4 off, v[0:3], off
	s_waitcnt vmcnt(4)
	scratch_store_dword off, v4, off offset:16
	scratch_store_dword off, v5, off offset:36
                                        ; implicit-def: $vgpr4
	s_and_saveexec_b64 s[4:5], s[0:1]
	s_xor_b64 s[0:1], exec, s[4:5]
	s_cbranch_execz .LBB2096_622
; %bb.613:
	scratch_load_ubyte v4, off, off offset:76
                                        ; implicit-def: $vgpr2_vgpr3
	s_waitcnt vmcnt(0)
	v_cmp_ne_u16_e32 vcc, 0, v4
	s_and_saveexec_b64 s[4:5], vcc
	s_xor_b64 s[4:5], exec, s[4:5]
	s_cbranch_execz .LBB2096_615
; %bb.614:
	scratch_load_dwordx4 v[0:3], off, off offset:60
.LBB2096_615:
	s_andn2_saveexec_b64 s[4:5], s[4:5]
	s_cbranch_execz .LBB2096_621
; %bb.616:
	s_waitcnt vmcnt(0)
	v_mov_b32_e32 v0, 0
	s_mov_b32 s6, 0
	v_mov_b32_e32 v1, v0
.LBB2096_617:                           ; =>This Inner Loop Header: Depth=1
	s_add_i32 s7, s6, 40
	s_add_i32 s6, s6, 8
	s_cmp_lg_u32 s6, 16
	scratch_store_dwordx2 off, v[0:1], s7
	s_cbranch_scc1 .LBB2096_617
; %bb.618:
	s_mov_b32 s6, 0
.LBB2096_619:                           ; =>This Inner Loop Header: Depth=1
	s_add_i32 s7, s6, 0x60
	s_add_i32 s8, s6, 60
	scratch_load_dwordx2 v[0:1], off, s7
	scratch_load_dwordx2 v[2:3], off, s8
	s_add_i32 s7, s6, 40
	s_add_i32 s6, s6, 8
	s_cmp_lg_u32 s6, 16
	s_waitcnt vmcnt(0)
	v_add_u32_e32 v1, v3, v1
	v_add_u32_e32 v0, v2, v0
	scratch_store_dwordx2 off, v[0:1], s7
	s_cbranch_scc1 .LBB2096_619
; %bb.620:
	scratch_load_dwordx4 v[0:3], off, off offset:40
.LBB2096_621:
	s_or_b64 exec, exec, s[4:5]
	v_or_b32_e32 v4, v4, v5
	v_and_b32_e32 v4, 1, v4
	s_waitcnt vmcnt(0)
	scratch_store_dwordx4 off, v[0:3], off offset:20
	scratch_store_byte off, v4, off offset:36
.LBB2096_622:
	s_andn2_saveexec_b64 s[0:1], s[0:1]
	s_cbranch_execz .LBB2096_624
; %bb.623:
	scratch_load_ubyte v4, off, off offset:36
.LBB2096_624:
	s_or_b64 exec, exec, s[0:1]
	scratch_load_dwordx4 v[0:3], off, off offset:20
	scratch_load_ubyte v8, off, off offset:16
	s_waitcnt vmcnt(2)
	scratch_store_byte off, v4, off offset:480
	s_waitcnt vmcnt(2)
	scratch_store_dwordx4 off, v[0:3], off offset:464
	s_waitcnt vmcnt(2)
	v_cmp_ne_u16_e32 vcc, 0, v8
                                        ; implicit-def: $vgpr2_vgpr3
	s_and_saveexec_b64 s[0:1], vcc
	s_xor_b64 s[0:1], exec, s[0:1]
	s_cbranch_execz .LBB2096_626
; %bb.625:
	scratch_load_dwordx4 v[0:3], off, off
.LBB2096_626:
	s_andn2_saveexec_b64 s[0:1], s[0:1]
	s_cbranch_execz .LBB2096_632
; %bb.627:
	s_waitcnt vmcnt(0)
	v_mov_b32_e32 v0, 0
	s_mov_b32 s4, 0
	v_mov_b32_e32 v1, v0
.LBB2096_628:                           ; =>This Inner Loop Header: Depth=1
	s_add_i32 s5, s4, 40
	s_add_i32 s4, s4, 8
	s_cmp_lg_u32 s4, 16
	scratch_store_dwordx2 off, v[0:1], s5
	s_cbranch_scc1 .LBB2096_628
; %bb.629:
	s_mov_b32 s4, 0
.LBB2096_630:                           ; =>This Inner Loop Header: Depth=1
	s_add_i32 s5, s4, 20
	s_add_i32 s6, s4, 0
	scratch_load_dwordx2 v[0:1], off, s5
	scratch_load_dwordx2 v[2:3], off, s6
	s_add_i32 s5, s4, 40
	s_add_i32 s4, s4, 8
	s_cmp_lg_u32 s4, 16
	s_waitcnt vmcnt(0)
	v_add_u32_e32 v1, v3, v1
	v_add_u32_e32 v0, v2, v0
	scratch_store_dwordx2 off, v[0:1], s5
	s_cbranch_scc1 .LBB2096_630
; %bb.631:
	scratch_load_dwordx4 v[0:3], off, off offset:40
.LBB2096_632:
	s_or_b64 exec, exec, s[0:1]
	scratch_load_dwordx4 v[10:13], v46, off
	scratch_load_ubyte v5, off, off offset:500
	v_or_b32_e32 v4, v8, v4
	s_waitcnt vmcnt(2)
	scratch_store_dwordx4 off, v[0:3], off offset:20
	scratch_store_dwordx4 v46, v[0:3], off
                                        ; implicit-def: $vgpr2_vgpr3
	s_waitcnt vmcnt(2)
	v_cmp_ne_u16_e64 s[0:1], 0, v5
	v_and_b32_e32 v0, 1, v4
	v_cmp_eq_u32_e32 vcc, 1, v0
	scratch_store_byte off, v0, off offset:500
	scratch_store_dwordx4 off, v[10:13], off
	s_and_saveexec_b64 s[4:5], s[0:1]
	s_xor_b64 s[0:1], exec, s[4:5]
	s_cbranch_execz .LBB2096_634
; %bb.633:
	scratch_load_dwordx4 v[0:3], off, off
.LBB2096_634:
	s_andn2_saveexec_b64 s[0:1], s[0:1]
	s_cbranch_execz .LBB2096_640
; %bb.635:
	s_waitcnt vmcnt(0)
	v_mov_b32_e32 v0, 0
	s_mov_b32 s4, 0
	v_mov_b32_e32 v1, v0
.LBB2096_636:                           ; =>This Inner Loop Header: Depth=1
	s_add_i32 s5, s4, 40
	s_add_i32 s4, s4, 8
	s_cmp_lg_u32 s4, 16
	scratch_store_dwordx2 off, v[0:1], s5
	s_cbranch_scc1 .LBB2096_636
; %bb.637:
	s_mov_b32 s4, 0
.LBB2096_638:                           ; =>This Inner Loop Header: Depth=1
	s_add_i32 s5, s4, 20
	s_add_i32 s6, s4, 0
	scratch_load_dwordx2 v[0:1], off, s5
	scratch_load_dwordx2 v[2:3], off, s6
	s_add_i32 s5, s4, 40
	s_add_i32 s4, s4, 8
	s_cmp_lg_u32 s4, 16
	s_waitcnt vmcnt(0)
	v_add_u32_e32 v1, v3, v1
	v_add_u32_e32 v0, v2, v0
	scratch_store_dwordx2 off, v[0:1], s5
	s_cbranch_scc1 .LBB2096_638
; %bb.639:
	scratch_load_dwordx4 v[0:3], off, off offset:40
.LBB2096_640:
	s_or_b64 exec, exec, s[0:1]
	scratch_load_dwordx4 v[8:11], v45, off
	scratch_load_ubyte v4, off, off offset:520
	v_and_b32_e32 v5, 1, v5
	v_cmp_eq_u32_e64 s[0:1], 1, v5
	s_or_b64 s[0:1], s[0:1], vcc
	s_waitcnt vmcnt(2)
	scratch_store_dwordx4 off, v[0:3], off offset:20
	scratch_store_dwordx4 v45, v[0:3], off
                                        ; implicit-def: $vgpr2_vgpr3
	s_waitcnt vmcnt(2)
	v_cmp_ne_u16_e32 vcc, 0, v4
	v_cndmask_b32_e64 v0, 0, 1, s[0:1]
	scratch_store_byte off, v0, off offset:520
	scratch_store_dwordx4 off, v[8:11], off
	s_and_saveexec_b64 s[4:5], vcc
	s_xor_b64 s[4:5], exec, s[4:5]
	s_cbranch_execz .LBB2096_642
; %bb.641:
	scratch_load_dwordx4 v[0:3], off, off
.LBB2096_642:
	s_andn2_saveexec_b64 s[4:5], s[4:5]
	s_cbranch_execz .LBB2096_648
; %bb.643:
	s_waitcnt vmcnt(0)
	v_mov_b32_e32 v0, 0
	s_mov_b32 s6, 0
	v_mov_b32_e32 v1, v0
.LBB2096_644:                           ; =>This Inner Loop Header: Depth=1
	s_add_i32 s7, s6, 40
	s_add_i32 s6, s6, 8
	s_cmp_lg_u32 s6, 16
	scratch_store_dwordx2 off, v[0:1], s7
	s_cbranch_scc1 .LBB2096_644
; %bb.645:
	s_mov_b32 s6, 0
.LBB2096_646:                           ; =>This Inner Loop Header: Depth=1
	s_add_i32 s7, s6, 20
	s_add_i32 s8, s6, 0
	scratch_load_dwordx2 v[0:1], off, s7
	scratch_load_dwordx2 v[2:3], off, s8
	s_add_i32 s7, s6, 40
	s_add_i32 s6, s6, 8
	s_cmp_lg_u32 s6, 16
	s_waitcnt vmcnt(0)
	v_add_u32_e32 v1, v3, v1
	v_add_u32_e32 v0, v2, v0
	scratch_store_dwordx2 off, v[0:1], s7
	s_cbranch_scc1 .LBB2096_646
; %bb.647:
	scratch_load_dwordx4 v[0:3], off, off offset:40
.LBB2096_648:
	s_or_b64 exec, exec, s[4:5]
	scratch_load_dwordx4 v[8:11], v44, off
	scratch_load_ubyte v5, off, off offset:540
	v_and_b32_e32 v4, 1, v4
	v_cmp_eq_u32_e32 vcc, 1, v4
	s_or_b64 s[0:1], vcc, s[0:1]
	s_waitcnt vmcnt(2)
	scratch_store_dwordx4 off, v[0:3], off offset:20
	scratch_store_dwordx4 v44, v[0:3], off
                                        ; implicit-def: $vgpr2_vgpr3
	s_waitcnt vmcnt(2)
	v_cmp_ne_u16_e32 vcc, 0, v5
	v_cndmask_b32_e64 v0, 0, 1, s[0:1]
	scratch_store_byte off, v0, off offset:540
	scratch_store_dwordx4 off, v[8:11], off
	s_and_saveexec_b64 s[4:5], vcc
	s_xor_b64 s[4:5], exec, s[4:5]
	s_cbranch_execz .LBB2096_650
; %bb.649:
	scratch_load_dwordx4 v[0:3], off, off
.LBB2096_650:
	s_andn2_saveexec_b64 s[4:5], s[4:5]
	s_cbranch_execz .LBB2096_656
; %bb.651:
	s_waitcnt vmcnt(0)
	v_mov_b32_e32 v0, 0
	s_mov_b32 s6, 0
	v_mov_b32_e32 v1, v0
.LBB2096_652:                           ; =>This Inner Loop Header: Depth=1
	s_add_i32 s7, s6, 40
	s_add_i32 s6, s6, 8
	s_cmp_lg_u32 s6, 16
	scratch_store_dwordx2 off, v[0:1], s7
	s_cbranch_scc1 .LBB2096_652
; %bb.653:
	s_mov_b32 s6, 0
.LBB2096_654:                           ; =>This Inner Loop Header: Depth=1
	s_add_i32 s7, s6, 20
	s_add_i32 s8, s6, 0
	scratch_load_dwordx2 v[0:1], off, s7
	scratch_load_dwordx2 v[2:3], off, s8
	s_add_i32 s7, s6, 40
	s_add_i32 s6, s6, 8
	s_cmp_lg_u32 s6, 16
	s_waitcnt vmcnt(0)
	v_add_u32_e32 v1, v3, v1
	v_add_u32_e32 v0, v2, v0
	scratch_store_dwordx2 off, v[0:1], s7
	s_cbranch_scc1 .LBB2096_654
; %bb.655:
	scratch_load_dwordx4 v[0:3], off, off offset:40
.LBB2096_656:
	s_or_b64 exec, exec, s[4:5]
	scratch_load_dwordx4 v[8:11], v43, off
	scratch_load_ubyte v4, off, off offset:560
	v_and_b32_e32 v5, 1, v5
	v_cmp_eq_u32_e32 vcc, 1, v5
	s_or_b64 s[0:1], vcc, s[0:1]
	;; [unrolled: 52-line block ×19, first 2 shown]
	s_waitcnt vmcnt(2)
	scratch_store_dwordx4 off, v[0:3], off offset:20
	scratch_store_dwordx4 v26, v[0:3], off
                                        ; implicit-def: $vgpr2_vgpr3
	s_waitcnt vmcnt(2)
	v_cmp_ne_u16_e32 vcc, 0, v5
	v_cndmask_b32_e64 v0, 0, 1, s[0:1]
	scratch_store_byte off, v0, off offset:900
	scratch_store_dwordx4 off, v[8:11], off
	s_and_saveexec_b64 s[4:5], vcc
	s_xor_b64 s[4:5], exec, s[4:5]
	s_cbranch_execz .LBB2096_794
; %bb.793:
	scratch_load_dwordx4 v[0:3], off, off
.LBB2096_794:
	s_andn2_saveexec_b64 s[4:5], s[4:5]
	s_cbranch_execz .LBB2096_800
; %bb.795:
	s_waitcnt vmcnt(0)
	v_mov_b32_e32 v0, 0
	s_mov_b32 s6, 0
	v_mov_b32_e32 v1, v0
.LBB2096_796:                           ; =>This Inner Loop Header: Depth=1
	s_add_i32 s7, s6, 40
	s_add_i32 s6, s6, 8
	s_cmp_lg_u32 s6, 16
	scratch_store_dwordx2 off, v[0:1], s7
	s_cbranch_scc1 .LBB2096_796
; %bb.797:
	s_mov_b32 s6, 0
.LBB2096_798:                           ; =>This Inner Loop Header: Depth=1
	s_add_i32 s7, s6, 20
	s_add_i32 s8, s6, 0
	scratch_load_dwordx2 v[0:1], off, s7
	scratch_load_dwordx2 v[2:3], off, s8
	s_add_i32 s7, s6, 40
	s_add_i32 s6, s6, 8
	s_cmp_lg_u32 s6, 16
	s_waitcnt vmcnt(0)
	v_add_u32_e32 v1, v3, v1
	v_add_u32_e32 v0, v2, v0
	scratch_store_dwordx2 off, v[0:1], s7
	s_cbranch_scc1 .LBB2096_798
; %bb.799:
	scratch_load_dwordx4 v[0:3], off, off offset:40
.LBB2096_800:
	s_or_b64 exec, exec, s[4:5]
	v_and_b32_e32 v4, 1, v5
	v_cmp_eq_u32_e32 vcc, 1, v4
	s_or_b64 s[0:1], vcc, s[0:1]
	v_cndmask_b32_e64 v4, 0, 1, s[0:1]
	s_waitcnt vmcnt(0)
	scratch_store_dwordx4 v6, v[0:3], off
	scratch_store_byte off, v4, off offset:920
	s_branch .LBB2096_1279
.LBB2096_801:
	s_cbranch_execz .LBB2096_1279
; %bb.802:
	s_cmp_lg_u64 s[70:71], 0
	s_cselect_b32 s1, s63, 0
	s_cselect_b32 s0, s62, 0
	s_cmp_eq_u64 s[0:1], 0
	v_mov_b64_e32 v[0:1], s[64:65]
	v_mov_b64_e32 v[2:3], s[66:67]
	s_cbranch_scc1 .LBB2096_804
; %bb.803:
	v_mov_b32_e32 v0, 0
	global_load_dwordx4 v[0:3], v0, s[0:1]
.LBB2096_804:
	v_mov_b32_e32 v8, 0
	s_mov_b32 s0, 0
	v_mov_b32_e32 v9, v8
	v_mov_b32_e32 v10, v8
	;; [unrolled: 1-line block ×3, first 2 shown]
	scratch_store_dword off, v8, off offset:940
	scratch_store_dwordx4 off, v[8:11], off offset:924
.LBB2096_805:                           ; =>This Inner Loop Header: Depth=1
	s_add_i32 s1, s0, 0x39c
	s_add_i32 s0, s0, 8
	s_cmp_lg_u32 s0, 16
	scratch_store_dwordx2 off, v[8:9], s1
	s_cbranch_scc1 .LBB2096_805
; %bb.806:
	scratch_load_dwordx4 v[8:11], off, off offset:464
	scratch_load_dword v12, off, off offset:480
	scratch_load_ubyte v13, off, off offset:500
	v_mov_b32_e32 v4, 0
	s_waitcnt vmcnt(6)
	scratch_store_dwordx4 off, v[0:3], off offset:60
	scratch_store_byte off, v4, off offset:940
	scratch_store_byte off, v4, off offset:76
	s_waitcnt vmcnt(5)
	scratch_store_dwordx4 off, v[8:11], off offset:40
	s_waitcnt vmcnt(5)
	scratch_store_dword off, v12, off offset:56
	s_waitcnt vmcnt(5)
	v_cmp_ne_u16_e32 vcc, 0, v13
                                        ; implicit-def: $vgpr10_vgpr11
	s_and_saveexec_b64 s[0:1], vcc
	s_xor_b64 s[0:1], exec, s[0:1]
	s_cbranch_execz .LBB2096_808
; %bb.807:
	scratch_load_dwordx4 v[8:11], off, off offset:484
.LBB2096_808:
	s_andn2_saveexec_b64 s[0:1], s[0:1]
	s_cbranch_execz .LBB2096_814
; %bb.809:
	v_mov_b32_e32 v4, 0
	s_mov_b32 s4, 0
	v_mov_b32_e32 v5, v4
.LBB2096_810:                           ; =>This Inner Loop Header: Depth=1
	s_add_i32 s5, s4, 0x60
	s_add_i32 s4, s4, 8
	s_cmp_lg_u32 s4, 16
	scratch_store_dwordx2 off, v[4:5], s5
	s_cbranch_scc1 .LBB2096_810
; %bb.811:
	s_mov_b32 s4, 0
.LBB2096_812:                           ; =>This Inner Loop Header: Depth=1
	s_add_i32 s5, s4, 40
	s_waitcnt vmcnt(1)
	v_add_u32_e32 v10, s4, v46
	scratch_load_dwordx2 v[4:5], off, s5
	scratch_load_dwordx2 v[8:9], v10, off
	s_add_i32 s5, s4, 0x60
	s_add_i32 s4, s4, 8
	s_cmp_lg_u32 s4, 16
	s_waitcnt vmcnt(0)
	v_add_u32_e32 v5, v9, v5
	v_add_u32_e32 v4, v8, v4
	scratch_store_dwordx2 off, v[4:5], s5
	s_cbranch_scc1 .LBB2096_812
; %bb.813:
	scratch_load_dwordx4 v[8:11], off, off offset:96
.LBB2096_814:
	s_or_b64 exec, exec, s[0:1]
	scratch_load_ubyte v14, off, off offset:520
	s_waitcnt vmcnt(0)
	v_cmp_ne_u16_e32 vcc, 0, v14
	scratch_store_dwordx4 off, v[8:11], off offset:40
                                        ; implicit-def: $vgpr10_vgpr11
	s_and_saveexec_b64 s[0:1], vcc
	s_xor_b64 s[0:1], exec, s[0:1]
	s_cbranch_execz .LBB2096_816
; %bb.815:
	scratch_load_dwordx4 v[8:11], off, off offset:504
.LBB2096_816:
	s_andn2_saveexec_b64 s[0:1], s[0:1]
	s_cbranch_execz .LBB2096_822
; %bb.817:
	v_mov_b32_e32 v4, 0
	s_mov_b32 s4, 0
	v_mov_b32_e32 v5, v4
.LBB2096_818:                           ; =>This Inner Loop Header: Depth=1
	s_add_i32 s5, s4, 0x60
	s_add_i32 s4, s4, 8
	s_cmp_lg_u32 s4, 16
	scratch_store_dwordx2 off, v[4:5], s5
	s_cbranch_scc1 .LBB2096_818
; %bb.819:
	s_mov_b32 s4, 0
.LBB2096_820:                           ; =>This Inner Loop Header: Depth=1
	s_add_i32 s5, s4, 40
	s_waitcnt vmcnt(1)
	v_add_u32_e32 v10, s4, v45
	scratch_load_dwordx2 v[4:5], off, s5
	scratch_load_dwordx2 v[8:9], v10, off
	s_add_i32 s5, s4, 0x60
	s_add_i32 s4, s4, 8
	s_cmp_lg_u32 s4, 16
	s_waitcnt vmcnt(0)
	v_add_u32_e32 v5, v9, v5
	v_add_u32_e32 v4, v8, v4
	scratch_store_dwordx2 off, v[4:5], s5
	s_cbranch_scc1 .LBB2096_820
; %bb.821:
	scratch_load_dwordx4 v[8:11], off, off offset:96
.LBB2096_822:
	s_or_b64 exec, exec, s[0:1]
	scratch_load_ubyte v15, off, off offset:540
	s_waitcnt vmcnt(0)
	v_cmp_ne_u16_e32 vcc, 0, v15
	scratch_store_dwordx4 off, v[8:11], off offset:40
	;; [unrolled: 43-line block ×21, first 2 shown]
                                        ; implicit-def: $vgpr10_vgpr11
	s_and_saveexec_b64 s[0:1], vcc
	s_xor_b64 s[0:1], exec, s[0:1]
	s_cbranch_execz .LBB2096_976
; %bb.975:
	scratch_load_dwordx4 v[8:11], off, off offset:904
.LBB2096_976:
	s_andn2_saveexec_b64 s[0:1], s[0:1]
	s_cbranch_execz .LBB2096_982
; %bb.977:
	v_mov_b32_e32 v4, 0
	s_mov_b32 s4, 0
	v_mov_b32_e32 v5, v4
.LBB2096_978:                           ; =>This Inner Loop Header: Depth=1
	s_add_i32 s5, s4, 0x60
	s_add_i32 s4, s4, 8
	s_cmp_lg_u32 s4, 16
	scratch_store_dwordx2 off, v[4:5], s5
	s_cbranch_scc1 .LBB2096_978
; %bb.979:
	s_mov_b32 s4, 0
.LBB2096_980:                           ; =>This Inner Loop Header: Depth=1
	s_add_i32 s5, s4, 40
	s_waitcnt vmcnt(1)
	v_add_u32_e32 v10, s4, v6
	scratch_load_dwordx2 v[4:5], off, s5
	scratch_load_dwordx2 v[8:9], v10, off
	s_add_i32 s5, s4, 0x60
	s_add_i32 s4, s4, 8
	s_cmp_lg_u32 s4, 16
	s_waitcnt vmcnt(0)
	v_add_u32_e32 v5, v9, v5
	v_add_u32_e32 v4, v8, v4
	scratch_store_dwordx2 off, v[4:5], s5
	s_cbranch_scc1 .LBB2096_980
; %bb.981:
	scratch_load_dwordx4 v[8:11], off, off offset:96
.LBB2096_982:
	s_or_b64 exec, exec, s[0:1]
	v_or_b32_e32 v4, v55, v54
	v_or_b32_e32 v4, v4, v53
	;; [unrolled: 1-line block ×22, first 2 shown]
	v_and_b32_e32 v17, 1, v4
	v_mov_b32_e32 v4, 0
	s_waitcnt vmcnt(0)
	scratch_store_dwordx4 off, v[8:11], off offset:40
	scratch_store_byte off, v17, off offset:56
	scratch_store_dwordx4 off, v[0:3], off offset:20
	scratch_store_byte off, v4, off offset:36
	v_lshrrev_b32_e32 v4, 5, v7
	v_add_u32_e32 v4, v4, v7
	v_mul_u32_u24_e32 v4, 20, v4
	v_cmp_gt_u32_e32 vcc, 64, v7
	ds_write2_b32 v4, v8, v9 offset1:1
	ds_write2_b32 v4, v10, v11 offset0:2 offset1:3
	ds_write_b8 v4, v17 offset:16
	s_waitcnt lgkmcnt(0)
	s_barrier
	s_and_saveexec_b64 s[0:1], vcc
	s_xor_b64 s[4:5], exec, s[0:1]
	s_cbranch_execz .LBB2096_1058
; %bb.983:
	v_lshrrev_b32_e32 v4, 4, v7
	v_lshl_add_u32 v4, v7, 1, v4
	v_mul_u32_u24_e32 v18, 20, v4
	ds_read_u8 v19, v18 offset:36
	ds_read_b32 v5, v18 offset:16
	ds_read2_b32 v[14:15], v18 offset0:2 offset1:3
	ds_read2_b32 v[12:13], v18 offset1:1
	v_mad_u32_u24 v16, v4, 20, 20
	s_waitcnt lgkmcnt(3)
	v_cmp_ne_u16_e32 vcc, 0, v19
	s_waitcnt lgkmcnt(2)
	scratch_store_dword off, v5, off offset:16
	s_waitcnt lgkmcnt(0)
	scratch_store_dwordx4 off, v[12:15], off
                                        ; implicit-def: $vgpr12_vgpr13
	s_and_saveexec_b64 s[0:1], vcc
	s_xor_b64 s[0:1], exec, s[0:1]
	s_cbranch_execz .LBB2096_985
; %bb.984:
	ds_read2_b32 v[12:13], v16 offset1:1
	ds_read2_b32 v[14:15], v16 offset0:2 offset1:3
.LBB2096_985:
	s_andn2_saveexec_b64 s[0:1], s[0:1]
	s_cbranch_execz .LBB2096_991
; %bb.986:
	v_mov_b32_e32 v4, 0
	s_mov_b32 s6, 0
	v_mov_b32_e32 v5, v4
.LBB2096_987:                           ; =>This Inner Loop Header: Depth=1
	s_add_i32 s7, s6, 0x60
	s_add_i32 s6, s6, 8
	s_cmp_lg_u32 s6, 16
	scratch_store_dwordx2 off, v[4:5], s7
	s_cbranch_scc1 .LBB2096_987
; %bb.988:
	s_mov_b32 s6, 0
.LBB2096_989:                           ; =>This Inner Loop Header: Depth=1
	s_add_i32 s7, s6, 0
	scratch_load_dwordx2 v[4:5], off, s7
	s_waitcnt lgkmcnt(1)
	v_add_u32_e32 v12, s6, v16
	ds_read2_b32 v[12:13], v12 offset1:1
	s_add_i32 s7, s6, 0x60
	s_add_i32 s6, s6, 8
	s_cmp_lg_u32 s6, 16
	s_waitcnt vmcnt(0) lgkmcnt(0)
	v_add_u32_e32 v5, v13, v5
	v_add_u32_e32 v4, v12, v4
	scratch_store_dwordx2 off, v[4:5], s7
	s_cbranch_scc1 .LBB2096_989
; %bb.990:
	scratch_load_dwordx4 v[12:15], off, off offset:96
.LBB2096_991:
	s_or_b64 exec, exec, s[0:1]
	scratch_load_ubyte v4, off, off offset:16
	s_waitcnt vmcnt(1) lgkmcnt(1)
	v_mov_b32_dpp v22, v12 row_shr:1 row_mask:0xf bank_mask:0xf
	v_mov_b32_dpp v23, v13 row_shr:1 row_mask:0xf bank_mask:0xf
	s_waitcnt lgkmcnt(0)
	v_mov_b32_dpp v24, v14 row_shr:1 row_mask:0xf bank_mask:0xf
	v_mov_b32_dpp v25, v15 row_shr:1 row_mask:0xf bank_mask:0xf
	scratch_store_dwordx4 off, v[22:25], off offset:96
	scratch_store_dwordx4 off, v[12:15], off
	s_waitcnt vmcnt(2)
	v_or_b32_e32 v4, v19, v4
	v_and_b32_e32 v4, 1, v4
	scratch_store_byte off, v4, off offset:16
	scratch_load_dword v20, off, off offset:16
	v_mbcnt_lo_u32_b32 v4, -1, 0
	v_mbcnt_hi_u32_b32 v19, -1, v4
	v_and_b32_e32 v21, 15, v19
	v_cmp_ne_u32_e32 vcc, 0, v21
	s_waitcnt vmcnt(0)
	v_mov_b32_dpp v22, v20 row_shr:1 row_mask:0xf bank_mask:0xf
	scratch_store_dword off, v22, off offset:112
	s_and_saveexec_b64 s[0:1], vcc
	s_cbranch_execz .LBB2096_999
; %bb.992:
	v_mov_b32_e32 v4, 0
	v_cmp_eq_u16_sdwa s[8:9], v20, v4 src0_sel:BYTE_0 src1_sel:DWORD
	s_and_saveexec_b64 s[6:7], s[8:9]
	s_cbranch_execz .LBB2096_998
; %bb.993:
	s_mov_b32 s8, 0
	v_mov_b32_e32 v5, v4
.LBB2096_994:                           ; =>This Inner Loop Header: Depth=1
	s_add_i32 s9, s8, 0x50
	s_add_i32 s8, s8, 8
	s_cmp_lg_u32 s8, 16
	scratch_store_dwordx2 off, v[4:5], s9
	s_cbranch_scc1 .LBB2096_994
; %bb.995:
	s_mov_b32 s8, 0
.LBB2096_996:                           ; =>This Inner Loop Header: Depth=1
	s_add_i32 s9, s8, 0x60
	s_add_i32 s10, s8, 0
	scratch_load_dwordx2 v[4:5], off, s9
	scratch_load_dwordx2 v[12:13], off, s10
	s_add_i32 s9, s8, 0x50
	s_add_i32 s8, s8, 8
	s_cmp_lg_u32 s8, 16
	s_waitcnt vmcnt(0)
	v_add_u32_e32 v5, v13, v5
	v_add_u32_e32 v4, v12, v4
	scratch_store_dwordx2 off, v[4:5], s9
	s_cbranch_scc1 .LBB2096_996
; %bb.997:
	scratch_load_dwordx4 v[12:15], off, off offset:80
.LBB2096_998:
	s_or_b64 exec, exec, s[6:7]
	v_or_b32_e32 v4, v22, v20
	v_and_b32_e32 v4, 1, v4
	scratch_store_byte off, v4, off offset:16
	scratch_load_dword v20, off, off offset:16
	s_waitcnt vmcnt(2)
	scratch_store_dwordx4 off, v[12:15], off
.LBB2096_999:
	s_or_b64 exec, exec, s[0:1]
	v_mov_b32_dpp v48, v12 row_shr:2 row_mask:0xf bank_mask:0xf
	v_mov_b32_dpp v49, v13 row_shr:2 row_mask:0xf bank_mask:0xf
	v_mov_b32_dpp v50, v14 row_shr:2 row_mask:0xf bank_mask:0xf
	v_mov_b32_dpp v51, v15 row_shr:2 row_mask:0xf bank_mask:0xf
	s_waitcnt vmcnt(1)
	v_mov_b32_dpp v22, v20 row_shr:2 row_mask:0xf bank_mask:0xf
	v_cmp_lt_u32_e32 vcc, 1, v21
	scratch_store_dwordx4 off, v[48:51], off offset:96
	scratch_store_dword off, v22, off offset:112
	s_and_saveexec_b64 s[6:7], vcc
	s_cbranch_execz .LBB2096_1007
; %bb.1000:
	v_mov_b32_e32 v4, 0
	s_mov_b32 s8, 0
	v_cmp_eq_u16_sdwa s[10:11], v20, v4 src0_sel:BYTE_0 src1_sel:DWORD
	s_and_saveexec_b64 s[0:1], s[10:11]
	s_cbranch_execz .LBB2096_1006
; %bb.1001:
	v_mov_b32_e32 v5, v4
.LBB2096_1002:                          ; =>This Inner Loop Header: Depth=1
	s_add_i32 s9, s8, 0x50
	s_add_i32 s8, s8, 8
	s_cmp_lg_u32 s8, 16
	scratch_store_dwordx2 off, v[4:5], s9
	s_cbranch_scc1 .LBB2096_1002
; %bb.1003:
	s_mov_b32 s8, 0
.LBB2096_1004:                          ; =>This Inner Loop Header: Depth=1
	s_add_i32 s9, s8, 0x60
	s_add_i32 s10, s8, 0
	scratch_load_dwordx2 v[4:5], off, s9
	scratch_load_dwordx2 v[12:13], off, s10
	s_add_i32 s9, s8, 0x50
	s_add_i32 s8, s8, 8
	s_cmp_lg_u32 s8, 16
	s_waitcnt vmcnt(0)
	v_add_u32_e32 v5, v13, v5
	v_add_u32_e32 v4, v12, v4
	scratch_store_dwordx2 off, v[4:5], s9
	s_cbranch_scc1 .LBB2096_1004
; %bb.1005:
	scratch_load_dwordx4 v[12:15], off, off offset:80
.LBB2096_1006:
	s_or_b64 exec, exec, s[0:1]
	v_and_b32_e32 v4, 1, v20
	v_cmp_eq_u32_e32 vcc, 1, v4
	v_and_b32_e32 v4, 1, v22
	v_cmp_eq_u32_e64 s[0:1], 1, v4
	s_or_b64 s[0:1], vcc, s[0:1]
	s_waitcnt vmcnt(0)
	scratch_store_dwordx4 off, v[12:15], off
	v_cndmask_b32_e64 v4, 0, 1, s[0:1]
	scratch_store_byte off, v4, off offset:16
	scratch_load_dword v20, off, off offset:16
.LBB2096_1007:
	s_or_b64 exec, exec, s[6:7]
	v_mov_b32_dpp v48, v12 row_shr:4 row_mask:0xf bank_mask:0xf
	v_mov_b32_dpp v49, v13 row_shr:4 row_mask:0xf bank_mask:0xf
	v_mov_b32_dpp v50, v14 row_shr:4 row_mask:0xf bank_mask:0xf
	v_mov_b32_dpp v51, v15 row_shr:4 row_mask:0xf bank_mask:0xf
	s_waitcnt vmcnt(0)
	v_mov_b32_dpp v22, v20 row_shr:4 row_mask:0xf bank_mask:0xf
	v_cmp_lt_u32_e32 vcc, 3, v21
	scratch_store_dwordx4 off, v[48:51], off offset:96
	scratch_store_dword off, v22, off offset:112
	s_and_saveexec_b64 s[6:7], vcc
	s_cbranch_execz .LBB2096_1015
; %bb.1008:
	v_mov_b32_e32 v4, 0
	s_mov_b32 s8, 0
	v_cmp_eq_u16_sdwa s[10:11], v20, v4 src0_sel:BYTE_0 src1_sel:DWORD
	s_and_saveexec_b64 s[0:1], s[10:11]
	s_cbranch_execz .LBB2096_1014
; %bb.1009:
	v_mov_b32_e32 v5, v4
.LBB2096_1010:                          ; =>This Inner Loop Header: Depth=1
	s_add_i32 s9, s8, 0x50
	s_add_i32 s8, s8, 8
	s_cmp_lg_u32 s8, 16
	scratch_store_dwordx2 off, v[4:5], s9
	s_cbranch_scc1 .LBB2096_1010
; %bb.1011:
	s_mov_b32 s8, 0
.LBB2096_1012:                          ; =>This Inner Loop Header: Depth=1
	s_add_i32 s9, s8, 0x60
	s_add_i32 s10, s8, 0
	scratch_load_dwordx2 v[4:5], off, s9
	scratch_load_dwordx2 v[12:13], off, s10
	s_add_i32 s9, s8, 0x50
	s_add_i32 s8, s8, 8
	s_cmp_lg_u32 s8, 16
	s_waitcnt vmcnt(0)
	v_add_u32_e32 v5, v13, v5
	v_add_u32_e32 v4, v12, v4
	scratch_store_dwordx2 off, v[4:5], s9
	s_cbranch_scc1 .LBB2096_1012
; %bb.1013:
	scratch_load_dwordx4 v[12:15], off, off offset:80
.LBB2096_1014:
	s_or_b64 exec, exec, s[0:1]
	v_and_b32_e32 v4, 1, v20
	v_cmp_eq_u32_e32 vcc, 1, v4
	v_and_b32_e32 v4, 1, v22
	v_cmp_eq_u32_e64 s[0:1], 1, v4
	s_or_b64 s[0:1], vcc, s[0:1]
	s_waitcnt vmcnt(0)
	scratch_store_dwordx4 off, v[12:15], off
	v_cndmask_b32_e64 v4, 0, 1, s[0:1]
	scratch_store_byte off, v4, off offset:16
	scratch_load_dword v20, off, off offset:16
.LBB2096_1015:
	;; [unrolled: 56-line block ×3, first 2 shown]
	s_or_b64 exec, exec, s[6:7]
	v_and_b32_e32 v4, 16, v19
	v_mov_b32_dpp v22, v12 row_bcast:15 row_mask:0xf bank_mask:0xf
	v_mov_b32_dpp v23, v13 row_bcast:15 row_mask:0xf bank_mask:0xf
	;; [unrolled: 1-line block ×4, first 2 shown]
	s_waitcnt vmcnt(0)
	v_mov_b32_dpp v21, v20 row_bcast:15 row_mask:0xf bank_mask:0xf
	v_cmp_ne_u32_e32 vcc, 0, v4
	scratch_store_dwordx4 off, v[22:25], off offset:96
	scratch_store_dword off, v21, off offset:112
	s_and_saveexec_b64 s[6:7], vcc
	s_cbranch_execz .LBB2096_1031
; %bb.1024:
	v_mov_b32_e32 v4, 0
	s_mov_b32 s8, 0
	v_cmp_eq_u16_sdwa s[10:11], v20, v4 src0_sel:BYTE_0 src1_sel:DWORD
	s_and_saveexec_b64 s[0:1], s[10:11]
	s_cbranch_execz .LBB2096_1030
; %bb.1025:
	v_mov_b32_e32 v5, v4
.LBB2096_1026:                          ; =>This Inner Loop Header: Depth=1
	s_add_i32 s9, s8, 0x50
	s_add_i32 s8, s8, 8
	s_cmp_lg_u32 s8, 16
	scratch_store_dwordx2 off, v[4:5], s9
	s_cbranch_scc1 .LBB2096_1026
; %bb.1027:
	s_mov_b32 s8, 0
.LBB2096_1028:                          ; =>This Inner Loop Header: Depth=1
	s_add_i32 s9, s8, 0x60
	s_add_i32 s10, s8, 0
	scratch_load_dwordx2 v[4:5], off, s9
	scratch_load_dwordx2 v[12:13], off, s10
	s_add_i32 s9, s8, 0x50
	s_add_i32 s8, s8, 8
	s_cmp_lg_u32 s8, 16
	s_waitcnt vmcnt(0)
	v_add_u32_e32 v5, v13, v5
	v_add_u32_e32 v4, v12, v4
	scratch_store_dwordx2 off, v[4:5], s9
	s_cbranch_scc1 .LBB2096_1028
; %bb.1029:
	scratch_load_dwordx4 v[12:15], off, off offset:80
.LBB2096_1030:
	s_or_b64 exec, exec, s[0:1]
	v_and_b32_e32 v4, 1, v20
	v_cmp_eq_u32_e32 vcc, 1, v4
	v_and_b32_e32 v4, 1, v21
	v_cmp_eq_u32_e64 s[0:1], 1, v4
	s_or_b64 s[0:1], vcc, s[0:1]
	s_waitcnt vmcnt(0)
	scratch_store_dwordx4 off, v[12:15], off
	v_cndmask_b32_e64 v4, 0, 1, s[0:1]
	scratch_store_byte off, v4, off offset:16
	scratch_load_dword v20, off, off offset:16
.LBB2096_1031:
	s_or_b64 exec, exec, s[6:7]
	v_mov_b32_dpp v22, v12 row_bcast:31 row_mask:0xf bank_mask:0xf
	v_mov_b32_dpp v23, v13 row_bcast:31 row_mask:0xf bank_mask:0xf
	;; [unrolled: 1-line block ×4, first 2 shown]
	s_waitcnt vmcnt(0)
	v_mov_b32_dpp v21, v20 row_bcast:31 row_mask:0xf bank_mask:0xf
	v_cmp_lt_u32_e32 vcc, 31, v19
	scratch_store_dwordx4 off, v[22:25], off offset:96
	scratch_store_dword off, v21, off offset:112
	s_and_saveexec_b64 s[6:7], vcc
	s_cbranch_execz .LBB2096_1039
; %bb.1032:
	v_mov_b32_e32 v4, 0
	s_mov_b32 s8, 0
	v_cmp_eq_u16_sdwa s[10:11], v20, v4 src0_sel:BYTE_0 src1_sel:DWORD
	s_and_saveexec_b64 s[0:1], s[10:11]
	s_cbranch_execz .LBB2096_1038
; %bb.1033:
	v_mov_b32_e32 v5, v4
.LBB2096_1034:                          ; =>This Inner Loop Header: Depth=1
	s_add_i32 s9, s8, 0x50
	s_add_i32 s8, s8, 8
	s_cmp_lg_u32 s8, 16
	scratch_store_dwordx2 off, v[4:5], s9
	s_cbranch_scc1 .LBB2096_1034
; %bb.1035:
	s_mov_b32 s8, 0
.LBB2096_1036:                          ; =>This Inner Loop Header: Depth=1
	s_add_i32 s9, s8, 0x60
	s_add_i32 s10, s8, 0
	scratch_load_dwordx2 v[4:5], off, s9
	scratch_load_dwordx2 v[12:13], off, s10
	s_add_i32 s9, s8, 0x50
	s_add_i32 s8, s8, 8
	s_cmp_lg_u32 s8, 16
	s_waitcnt vmcnt(0)
	v_add_u32_e32 v5, v13, v5
	v_add_u32_e32 v4, v12, v4
	scratch_store_dwordx2 off, v[4:5], s9
	s_cbranch_scc1 .LBB2096_1036
; %bb.1037:
	scratch_load_dwordx4 v[12:15], off, off offset:80
.LBB2096_1038:
	s_or_b64 exec, exec, s[0:1]
	v_and_b32_e32 v4, 1, v20
	v_cmp_eq_u32_e32 vcc, 1, v4
	v_and_b32_e32 v4, 1, v21
	v_cmp_eq_u32_e64 s[0:1], 1, v4
	s_or_b64 s[0:1], vcc, s[0:1]
	s_nop 0
	v_cndmask_b32_e64 v4, 0, 1, s[0:1]
	scratch_store_byte off, v4, off offset:16
	scratch_load_dword v20, off, off offset:16
.LBB2096_1039:
	s_or_b64 exec, exec, s[6:7]
	v_add_u32_e32 v4, -1, v19
	v_and_b32_e32 v5, 64, v19
	v_cmp_lt_i32_e32 vcc, v4, v5
	ds_read_u8 v21, v18 offset:16
	s_nop 0
	v_cndmask_b32_e32 v4, v4, v19, vcc
	v_lshlrev_b32_e32 v4, 2, v4
	s_waitcnt vmcnt(2)
	ds_bpermute_b32 v12, v4, v12
	ds_bpermute_b32 v13, v4, v13
	;; [unrolled: 1-line block ×4, first 2 shown]
	s_waitcnt vmcnt(0)
	ds_bpermute_b32 v19, v4, v20
	s_waitcnt lgkmcnt(5)
	v_cmp_ne_u16_e32 vcc, 0, v21
	s_waitcnt lgkmcnt(1)
	scratch_store_dwordx4 off, v[12:15], off
                                        ; implicit-def: $vgpr14_vgpr15
	s_and_saveexec_b64 s[0:1], vcc
	s_xor_b64 s[0:1], exec, s[0:1]
	s_cbranch_execz .LBB2096_1041
; %bb.1040:
	ds_read2_b32 v[12:13], v18 offset1:1
	ds_read2_b32 v[14:15], v18 offset0:2 offset1:3
.LBB2096_1041:
	s_andn2_saveexec_b64 s[0:1], s[0:1]
	s_cbranch_execz .LBB2096_1047
; %bb.1042:
	v_mov_b32_e32 v4, 0
	s_mov_b32 s6, 0
	v_mov_b32_e32 v5, v4
.LBB2096_1043:                          ; =>This Inner Loop Header: Depth=1
	s_add_i32 s7, s6, 0x60
	s_add_i32 s6, s6, 8
	s_cmp_lg_u32 s6, 16
	scratch_store_dwordx2 off, v[4:5], s7
	s_cbranch_scc1 .LBB2096_1043
; %bb.1044:
	s_mov_b32 s6, 0
.LBB2096_1045:                          ; =>This Inner Loop Header: Depth=1
	s_add_i32 s7, s6, 0
	scratch_load_dwordx2 v[4:5], off, s7
	s_waitcnt lgkmcnt(1)
	v_add_u32_e32 v12, s6, v18
	ds_read2_b32 v[12:13], v12 offset1:1
	s_add_i32 s7, s6, 0x60
	s_add_i32 s6, s6, 8
	s_cmp_lg_u32 s6, 16
	s_waitcnt vmcnt(0) lgkmcnt(0)
	v_add_u32_e32 v5, v13, v5
	v_add_u32_e32 v4, v12, v4
	scratch_store_dwordx2 off, v[4:5], s7
	s_cbranch_scc1 .LBB2096_1045
; %bb.1046:
	scratch_load_dwordx4 v[12:15], off, off offset:96
.LBB2096_1047:
	s_or_b64 exec, exec, s[0:1]
	v_and_b32_e32 v4, 1, v21
	v_cmp_eq_u32_e32 vcc, 1, v4
	s_waitcnt lgkmcnt(0)
	v_and_b32_e32 v4, 1, v19
	v_cmp_eq_u32_e64 s[0:1], 1, v4
	s_or_b64 s[0:1], s[0:1], vcc
	v_cmp_eq_u32_e32 vcc, 0, v7
	v_cndmask_b32_e64 v4, 0, 1, s[0:1]
	s_waitcnt vmcnt(0)
	scratch_store_dwordx4 off, v[12:15], off
	scratch_store_byte off, v4, off offset:16
	s_and_saveexec_b64 s[0:1], vcc
	s_cbranch_execz .LBB2096_1049
; %bb.1048:
	scratch_store_dwordx4 off, v[8:11], off
	scratch_store_byte off, v17, off offset:16
.LBB2096_1049:
	s_or_b64 exec, exec, s[0:1]
	; wave barrier
	scratch_load_dwordx4 v[8:11], off, off
	scratch_load_ubyte v4, off, off offset:16
	s_waitcnt vmcnt(1)
	ds_write2_b32 v18, v10, v11 offset0:2 offset1:3
	ds_write2_b32 v18, v8, v9 offset1:1
	s_waitcnt vmcnt(0)
	ds_write_b8 v18, v4 offset:16
	; wave barrier
	ds_read_u8 v12, v18 offset:36
                                        ; implicit-def: $vgpr10_vgpr11
	s_waitcnt lgkmcnt(0)
	v_cmp_ne_u16_e32 vcc, 0, v12
	s_and_saveexec_b64 s[0:1], vcc
	s_xor_b64 s[0:1], exec, s[0:1]
	s_cbranch_execz .LBB2096_1051
; %bb.1050:
	ds_read2_b32 v[8:9], v16 offset1:1
	ds_read2_b32 v[10:11], v16 offset0:2 offset1:3
.LBB2096_1051:
	s_andn2_saveexec_b64 s[0:1], s[0:1]
	s_cbranch_execz .LBB2096_1057
; %bb.1052:
	v_mov_b32_e32 v4, 0
	s_mov_b32 s6, 0
	v_mov_b32_e32 v5, v4
.LBB2096_1053:                          ; =>This Inner Loop Header: Depth=1
	s_add_i32 s7, s6, 0x60
	s_add_i32 s6, s6, 8
	s_cmp_lg_u32 s6, 16
	scratch_store_dwordx2 off, v[4:5], s7
	s_cbranch_scc1 .LBB2096_1053
; %bb.1054:
	s_mov_b32 s6, 0
.LBB2096_1055:                          ; =>This Inner Loop Header: Depth=1
	s_add_i32 s7, s6, 0
	scratch_load_dwordx2 v[4:5], off, s7
	s_waitcnt lgkmcnt(1)
	v_add_u32_e32 v8, s6, v16
	ds_read2_b32 v[8:9], v8 offset1:1
	s_add_i32 s7, s6, 0x60
	s_add_i32 s6, s6, 8
	s_cmp_lg_u32 s6, 16
	s_waitcnt vmcnt(0) lgkmcnt(0)
	v_add_u32_e32 v5, v9, v5
	v_add_u32_e32 v4, v8, v4
	scratch_store_dwordx2 off, v[4:5], s7
	s_cbranch_scc1 .LBB2096_1055
; %bb.1056:
	scratch_load_dwordx4 v[8:11], off, off offset:96
.LBB2096_1057:
	s_or_b64 exec, exec, s[0:1]
	scratch_load_ubyte v4, off, off offset:16
	s_waitcnt vmcnt(1) lgkmcnt(0)
	ds_write2_b32 v16, v10, v11 offset0:2 offset1:3
	s_waitcnt vmcnt(0)
	v_or_b32_e32 v4, v12, v4
	v_and_b32_e32 v4, 1, v4
	ds_write2_b32 v16, v8, v9 offset1:1
	ds_write_b8 v16, v4 offset:16
.LBB2096_1058:
	s_or_b64 exec, exec, s[4:5]
	s_waitcnt lgkmcnt(0)
	s_barrier
	scratch_load_dwordx4 v[8:11], off, off offset:20
	scratch_load_ubyte v12, off, off offset:36
	v_cmp_eq_u32_e64 s[0:1], 0, v7
	v_cmp_ne_u32_e32 vcc, 0, v7
	s_waitcnt vmcnt(1)
	scratch_store_dwordx4 off, v[8:11], off offset:40
	s_waitcnt vmcnt(1)
	scratch_store_byte off, v12, off offset:56
	s_and_saveexec_b64 s[6:7], vcc
	s_cbranch_execz .LBB2096_1068
; %bb.1059:
	v_add_u32_e32 v4, -1, v7
	v_lshrrev_b32_e32 v5, 5, v4
	v_add_u32_e32 v4, v5, v4
	v_mul_lo_u32 v14, v4, 20
	ds_read_u8 v13, v14 offset:16
                                        ; implicit-def: $vgpr10_vgpr11
	s_waitcnt lgkmcnt(0)
	v_cmp_ne_u16_e64 s[4:5], 0, v13
	s_and_saveexec_b64 s[8:9], s[4:5]
	s_xor_b64 s[4:5], exec, s[8:9]
	s_cbranch_execz .LBB2096_1061
; %bb.1060:
	ds_read2_b32 v[8:9], v14 offset1:1
	ds_read2_b32 v[10:11], v14 offset0:2 offset1:3
                                        ; implicit-def: $vgpr14
.LBB2096_1061:
	s_andn2_saveexec_b64 s[4:5], s[4:5]
	s_cbranch_execz .LBB2096_1067
; %bb.1062:
	v_mov_b32_e32 v4, 0
	s_mov_b32 s8, 0
	v_mov_b32_e32 v5, v4
.LBB2096_1063:                          ; =>This Inner Loop Header: Depth=1
	s_add_i32 s9, s8, 0x60
	s_add_i32 s8, s8, 8
	s_cmp_lg_u32 s8, 16
	scratch_store_dwordx2 off, v[4:5], s9
	s_cbranch_scc1 .LBB2096_1063
; %bb.1064:
	s_mov_b32 s8, 0
.LBB2096_1065:                          ; =>This Inner Loop Header: Depth=1
	s_add_i32 s9, s8, 20
	scratch_load_dwordx2 v[4:5], off, s9
	s_waitcnt lgkmcnt(1)
	v_add_u32_e32 v8, s8, v14
	ds_read2_b32 v[8:9], v8 offset1:1
	s_add_i32 s9, s8, 0x60
	s_add_i32 s8, s8, 8
	s_cmp_lg_u32 s8, 16
	s_waitcnt vmcnt(0) lgkmcnt(0)
	v_add_u32_e32 v5, v9, v5
	v_add_u32_e32 v4, v8, v4
	scratch_store_dwordx2 off, v[4:5], s9
	s_cbranch_scc1 .LBB2096_1065
; %bb.1066:
	scratch_load_dwordx4 v[8:11], off, off offset:96
.LBB2096_1067:
	s_or_b64 exec, exec, s[4:5]
	v_or_b32_e32 v4, v13, v12
	v_and_b32_e32 v12, 1, v4
	s_waitcnt vmcnt(0) lgkmcnt(0)
	scratch_store_dwordx4 off, v[8:11], off offset:40
	scratch_store_byte off, v12, off offset:56
.LBB2096_1068:
	s_or_b64 exec, exec, s[6:7]
	scratch_load_dwordx4 v[8:11], off, off offset:464
	scratch_load_dword v5, off, off offset:480
	v_mov_b32_e32 v4, 0
	scratch_store_dwordx4 off, v[0:3], off
	s_waitcnt vmcnt(2)
	scratch_store_dwordx4 off, v[8:11], off offset:96
	s_waitcnt vmcnt(2)
	scratch_store_dword off, v5, off offset:112
	scratch_store_byte off, v4, off offset:16
	s_and_saveexec_b64 s[4:5], vcc
	s_cbranch_execz .LBB2096_1070
; %bb.1069:
	scratch_load_dwordx4 v[0:3], off, off offset:40
	v_mov_b32_e32 v4, v12
	scratch_store_byte off, v12, off offset:16
	s_waitcnt vmcnt(1)
	scratch_store_dwordx4 off, v[0:3], off
.LBB2096_1070:
	s_or_b64 exec, exec, s[4:5]
	scratch_load_dwordx4 v[0:3], off, off
	scratch_load_ubyte v8, off, off offset:112
	s_nop 0
	scratch_store_byte off, v4, off offset:480
	s_waitcnt vmcnt(2)
	scratch_store_dwordx4 off, v[0:3], off offset:464
	s_waitcnt vmcnt(2)
	v_cmp_ne_u16_e32 vcc, 0, v8
                                        ; implicit-def: $vgpr2_vgpr3
	s_and_saveexec_b64 s[4:5], vcc
	s_xor_b64 s[4:5], exec, s[4:5]
	s_cbranch_execz .LBB2096_1072
; %bb.1071:
	scratch_load_dwordx4 v[0:3], off, off offset:96
.LBB2096_1072:
	s_andn2_saveexec_b64 s[4:5], s[4:5]
	s_cbranch_execz .LBB2096_1078
; %bb.1073:
	s_waitcnt vmcnt(0)
	v_mov_b32_e32 v0, 0
	s_mov_b32 s6, 0
	v_mov_b32_e32 v1, v0
.LBB2096_1074:                          ; =>This Inner Loop Header: Depth=1
	s_add_i32 s7, s6, 20
	s_add_i32 s6, s6, 8
	s_cmp_lg_u32 s6, 16
	scratch_store_dwordx2 off, v[0:1], s7
	s_cbranch_scc1 .LBB2096_1074
; %bb.1075:
	s_mov_b32 s6, 0
.LBB2096_1076:                          ; =>This Inner Loop Header: Depth=1
	s_add_i32 s7, s6, 0
	s_add_i32 s8, s6, 0x60
	scratch_load_dwordx2 v[0:1], off, s7
	scratch_load_dwordx2 v[2:3], off, s8
	s_add_i32 s7, s6, 20
	s_add_i32 s6, s6, 8
	s_cmp_lg_u32 s6, 16
	s_waitcnt vmcnt(0)
	v_add_u32_e32 v1, v3, v1
	v_add_u32_e32 v0, v2, v0
	scratch_store_dwordx2 off, v[0:1], s7
	s_cbranch_scc1 .LBB2096_1076
; %bb.1077:
	scratch_load_dwordx4 v[0:3], off, off offset:20
.LBB2096_1078:
	s_or_b64 exec, exec, s[4:5]
	scratch_load_dwordx4 v[10:13], v46, off
	scratch_load_ubyte v5, off, off offset:500
	v_or_b32_e32 v4, v8, v4
	s_waitcnt vmcnt(2)
	scratch_store_dwordx4 off, v[0:3], off
	scratch_store_dwordx4 v46, v[0:3], off
                                        ; implicit-def: $vgpr2_vgpr3
	s_waitcnt vmcnt(2)
	v_cmp_ne_u16_e64 s[4:5], 0, v5
	v_and_b32_e32 v0, 1, v4
	v_cmp_eq_u32_e32 vcc, 1, v0
	scratch_store_byte off, v0, off offset:500
	scratch_store_dwordx4 off, v[10:13], off offset:96
	s_and_saveexec_b64 s[6:7], s[4:5]
	s_xor_b64 s[4:5], exec, s[6:7]
	s_cbranch_execz .LBB2096_1080
; %bb.1079:
	scratch_load_dwordx4 v[0:3], off, off offset:96
.LBB2096_1080:
	s_andn2_saveexec_b64 s[4:5], s[4:5]
	s_cbranch_execz .LBB2096_1086
; %bb.1081:
	s_waitcnt vmcnt(0)
	v_mov_b32_e32 v0, 0
	s_mov_b32 s6, 0
	v_mov_b32_e32 v1, v0
.LBB2096_1082:                          ; =>This Inner Loop Header: Depth=1
	s_add_i32 s7, s6, 20
	s_add_i32 s6, s6, 8
	s_cmp_lg_u32 s6, 16
	scratch_store_dwordx2 off, v[0:1], s7
	s_cbranch_scc1 .LBB2096_1082
; %bb.1083:
	s_mov_b32 s6, 0
.LBB2096_1084:                          ; =>This Inner Loop Header: Depth=1
	s_add_i32 s7, s6, 0
	s_add_i32 s8, s6, 0x60
	scratch_load_dwordx2 v[0:1], off, s7
	scratch_load_dwordx2 v[2:3], off, s8
	s_add_i32 s7, s6, 20
	s_add_i32 s6, s6, 8
	s_cmp_lg_u32 s6, 16
	s_waitcnt vmcnt(0)
	v_add_u32_e32 v1, v3, v1
	v_add_u32_e32 v0, v2, v0
	scratch_store_dwordx2 off, v[0:1], s7
	s_cbranch_scc1 .LBB2096_1084
; %bb.1085:
	scratch_load_dwordx4 v[0:3], off, off offset:20
.LBB2096_1086:
	s_or_b64 exec, exec, s[4:5]
	scratch_load_dwordx4 v[8:11], v45, off
	scratch_load_ubyte v4, off, off offset:520
	v_and_b32_e32 v5, 1, v5
	v_cmp_eq_u32_e64 s[4:5], 1, v5
	s_or_b64 s[4:5], s[4:5], vcc
	s_waitcnt vmcnt(2)
	scratch_store_dwordx4 off, v[0:3], off
	scratch_store_dwordx4 v45, v[0:3], off
                                        ; implicit-def: $vgpr2_vgpr3
	s_waitcnt vmcnt(2)
	v_cmp_ne_u16_e32 vcc, 0, v4
	v_cndmask_b32_e64 v0, 0, 1, s[4:5]
	scratch_store_byte off, v0, off offset:520
	scratch_store_dwordx4 off, v[8:11], off offset:96
	s_and_saveexec_b64 s[6:7], vcc
	s_xor_b64 s[6:7], exec, s[6:7]
	s_cbranch_execz .LBB2096_1088
; %bb.1087:
	scratch_load_dwordx4 v[0:3], off, off offset:96
.LBB2096_1088:
	s_andn2_saveexec_b64 s[6:7], s[6:7]
	s_cbranch_execz .LBB2096_1094
; %bb.1089:
	s_waitcnt vmcnt(0)
	v_mov_b32_e32 v0, 0
	s_mov_b32 s8, 0
	v_mov_b32_e32 v1, v0
.LBB2096_1090:                          ; =>This Inner Loop Header: Depth=1
	s_add_i32 s9, s8, 20
	s_add_i32 s8, s8, 8
	s_cmp_lg_u32 s8, 16
	scratch_store_dwordx2 off, v[0:1], s9
	s_cbranch_scc1 .LBB2096_1090
; %bb.1091:
	s_mov_b32 s8, 0
.LBB2096_1092:                          ; =>This Inner Loop Header: Depth=1
	s_add_i32 s9, s8, 0
	s_add_i32 s10, s8, 0x60
	scratch_load_dwordx2 v[0:1], off, s9
	scratch_load_dwordx2 v[2:3], off, s10
	s_add_i32 s9, s8, 20
	s_add_i32 s8, s8, 8
	s_cmp_lg_u32 s8, 16
	s_waitcnt vmcnt(0)
	v_add_u32_e32 v1, v3, v1
	v_add_u32_e32 v0, v2, v0
	scratch_store_dwordx2 off, v[0:1], s9
	s_cbranch_scc1 .LBB2096_1092
; %bb.1093:
	scratch_load_dwordx4 v[0:3], off, off offset:20
.LBB2096_1094:
	s_or_b64 exec, exec, s[6:7]
	scratch_load_dwordx4 v[8:11], v44, off
	scratch_load_ubyte v5, off, off offset:540
	v_and_b32_e32 v4, 1, v4
	v_cmp_eq_u32_e32 vcc, 1, v4
	s_or_b64 s[4:5], vcc, s[4:5]
	s_waitcnt vmcnt(2)
	scratch_store_dwordx4 off, v[0:3], off
	scratch_store_dwordx4 v44, v[0:3], off
                                        ; implicit-def: $vgpr2_vgpr3
	s_waitcnt vmcnt(2)
	v_cmp_ne_u16_e32 vcc, 0, v5
	v_cndmask_b32_e64 v0, 0, 1, s[4:5]
	scratch_store_byte off, v0, off offset:540
	scratch_store_dwordx4 off, v[8:11], off offset:96
	s_and_saveexec_b64 s[6:7], vcc
	s_xor_b64 s[6:7], exec, s[6:7]
	s_cbranch_execz .LBB2096_1096
; %bb.1095:
	scratch_load_dwordx4 v[0:3], off, off offset:96
.LBB2096_1096:
	s_andn2_saveexec_b64 s[6:7], s[6:7]
	s_cbranch_execz .LBB2096_1102
; %bb.1097:
	s_waitcnt vmcnt(0)
	v_mov_b32_e32 v0, 0
	s_mov_b32 s8, 0
	v_mov_b32_e32 v1, v0
.LBB2096_1098:                          ; =>This Inner Loop Header: Depth=1
	s_add_i32 s9, s8, 20
	s_add_i32 s8, s8, 8
	s_cmp_lg_u32 s8, 16
	scratch_store_dwordx2 off, v[0:1], s9
	s_cbranch_scc1 .LBB2096_1098
; %bb.1099:
	s_mov_b32 s8, 0
.LBB2096_1100:                          ; =>This Inner Loop Header: Depth=1
	s_add_i32 s9, s8, 0
	s_add_i32 s10, s8, 0x60
	scratch_load_dwordx2 v[0:1], off, s9
	scratch_load_dwordx2 v[2:3], off, s10
	s_add_i32 s9, s8, 20
	s_add_i32 s8, s8, 8
	s_cmp_lg_u32 s8, 16
	s_waitcnt vmcnt(0)
	v_add_u32_e32 v1, v3, v1
	v_add_u32_e32 v0, v2, v0
	scratch_store_dwordx2 off, v[0:1], s9
	s_cbranch_scc1 .LBB2096_1100
; %bb.1101:
	scratch_load_dwordx4 v[0:3], off, off offset:20
.LBB2096_1102:
	s_or_b64 exec, exec, s[6:7]
	scratch_load_dwordx4 v[8:11], v43, off
	scratch_load_ubyte v4, off, off offset:560
	v_and_b32_e32 v5, 1, v5
	v_cmp_eq_u32_e32 vcc, 1, v5
	s_or_b64 s[4:5], vcc, s[4:5]
	;; [unrolled: 52-line block ×19, first 2 shown]
	s_waitcnt vmcnt(2)
	scratch_store_dwordx4 off, v[0:3], off
	scratch_store_dwordx4 v26, v[0:3], off
                                        ; implicit-def: $vgpr2_vgpr3
	s_waitcnt vmcnt(2)
	v_cmp_ne_u16_e32 vcc, 0, v5
	v_cndmask_b32_e64 v0, 0, 1, s[4:5]
	scratch_store_byte off, v0, off offset:900
	scratch_store_dwordx4 off, v[8:11], off offset:96
	s_and_saveexec_b64 s[6:7], vcc
	s_xor_b64 s[6:7], exec, s[6:7]
	s_cbranch_execz .LBB2096_1240
; %bb.1239:
	scratch_load_dwordx4 v[0:3], off, off offset:96
.LBB2096_1240:
	s_andn2_saveexec_b64 s[6:7], s[6:7]
	s_cbranch_execz .LBB2096_1246
; %bb.1241:
	s_waitcnt vmcnt(0)
	v_mov_b32_e32 v0, 0
	s_mov_b32 s8, 0
	v_mov_b32_e32 v1, v0
.LBB2096_1242:                          ; =>This Inner Loop Header: Depth=1
	s_add_i32 s9, s8, 20
	s_add_i32 s8, s8, 8
	s_cmp_lg_u32 s8, 16
	scratch_store_dwordx2 off, v[0:1], s9
	s_cbranch_scc1 .LBB2096_1242
; %bb.1243:
	s_mov_b32 s8, 0
.LBB2096_1244:                          ; =>This Inner Loop Header: Depth=1
	s_add_i32 s9, s8, 0
	s_add_i32 s10, s8, 0x60
	scratch_load_dwordx2 v[0:1], off, s9
	scratch_load_dwordx2 v[2:3], off, s10
	s_add_i32 s9, s8, 20
	s_add_i32 s8, s8, 8
	s_cmp_lg_u32 s8, 16
	s_waitcnt vmcnt(0)
	v_add_u32_e32 v1, v3, v1
	v_add_u32_e32 v0, v2, v0
	scratch_store_dwordx2 off, v[0:1], s9
	s_cbranch_scc1 .LBB2096_1244
; %bb.1245:
	scratch_load_dwordx4 v[0:3], off, off offset:20
.LBB2096_1246:
	s_or_b64 exec, exec, s[6:7]
	v_and_b32_e32 v4, 1, v5
	v_cmp_eq_u32_e32 vcc, 1, v4
	v_mov_b32_e32 v4, 0xa28
	v_mov_b32_e32 v5, 0
	ds_read2_b64 v[8:11], v4 offset1:1
	ds_read_u8 v4, v5 offset:2616
	s_or_b64 s[4:5], vcc, s[4:5]
	v_cndmask_b32_e64 v5, 0, 1, s[4:5]
	s_waitcnt vmcnt(0)
	scratch_store_dwordx4 v6, v[0:3], off
	scratch_store_byte off, v5, off offset:920
	s_waitcnt lgkmcnt(1)
	scratch_store_dwordx4 off, v[8:11], off offset:924
	s_waitcnt lgkmcnt(0)
	v_cmp_ne_u16_e32 vcc, 0, v4
	s_cbranch_vccz .LBB2096_1270
; %bb.1247:
	scratch_load_dwordx4 v[0:3], off, off offset:924
	s_cbranch_execz .LBB2096_1271
	s_branch .LBB2096_1276
.LBB2096_1248:
	v_lshlrev_b32_e32 v24, 4, v7
	v_lshl_add_u64 v[24:25], s[72:73], 0, v[24:25]
	flat_load_dwordx4 v[92:95], v[24:25]
	s_waitcnt vmcnt(0) lgkmcnt(0)
	scratch_store_dwordx4 off, v[92:95], off offset:96
	s_or_b64 exec, exec, s[48:49]
	s_and_saveexec_b64 s[48:49], s[0:1]
	s_cbranch_execz .LBB2096_143
.LBB2096_1249:
	v_lshlrev_b32_e32 v24, 4, v7
	v_mov_b32_e32 v25, 0
	v_lshl_add_u64 v[24:25], s[72:73], 0, v[24:25]
	flat_load_dwordx4 v[92:95], v[24:25] offset:2048
	s_waitcnt vmcnt(0) lgkmcnt(0)
	scratch_store_dwordx4 off, v[92:95], off offset:112
	s_or_b64 exec, exec, s[48:49]
	s_and_saveexec_b64 s[0:1], s[46:47]
	s_cbranch_execz .LBB2096_144
.LBB2096_1250:
	v_lshlrev_b32_e32 v24, 4, v71
	v_mov_b32_e32 v25, 0
	v_lshl_add_u64 v[24:25], s[72:73], 0, v[24:25]
	flat_load_dwordx4 v[92:95], v[24:25]
	s_waitcnt vmcnt(0) lgkmcnt(0)
	scratch_store_dwordx4 off, v[92:95], off offset:128
	s_or_b64 exec, exec, s[0:1]
	s_and_saveexec_b64 s[0:1], s[4:5]
	s_cbranch_execz .LBB2096_145
.LBB2096_1251:
	v_lshlrev_b32_e32 v24, 4, v72
	v_mov_b32_e32 v25, 0
	v_lshl_add_u64 v[24:25], s[72:73], 0, v[24:25]
	flat_load_dwordx4 v[92:95], v[24:25]
	s_waitcnt vmcnt(0) lgkmcnt(0)
	scratch_store_dwordx4 off, v[92:95], off offset:144
	s_or_b64 exec, exec, s[0:1]
	s_and_saveexec_b64 s[0:1], s[6:7]
	s_cbranch_execz .LBB2096_146
.LBB2096_1252:
	v_lshlrev_b32_e32 v24, 4, v73
	v_mov_b32_e32 v25, 0
	v_lshl_add_u64 v[24:25], s[72:73], 0, v[24:25]
	flat_load_dwordx4 v[92:95], v[24:25]
	s_waitcnt vmcnt(0) lgkmcnt(0)
	scratch_store_dwordx4 off, v[92:95], off offset:160
	s_or_b64 exec, exec, s[0:1]
	s_and_saveexec_b64 s[0:1], s[8:9]
	s_cbranch_execz .LBB2096_147
.LBB2096_1253:
	v_lshlrev_b32_e32 v24, 4, v74
	v_mov_b32_e32 v25, 0
	v_lshl_add_u64 v[24:25], s[72:73], 0, v[24:25]
	flat_load_dwordx4 v[92:95], v[24:25]
	s_waitcnt vmcnt(0) lgkmcnt(0)
	scratch_store_dwordx4 off, v[92:95], off offset:176
	s_or_b64 exec, exec, s[0:1]
	s_and_saveexec_b64 s[0:1], s[10:11]
	s_cbranch_execz .LBB2096_148
.LBB2096_1254:
	v_lshlrev_b32_e32 v24, 4, v75
	v_mov_b32_e32 v25, 0
	v_lshl_add_u64 v[24:25], s[72:73], 0, v[24:25]
	flat_load_dwordx4 v[72:75], v[24:25]
	s_waitcnt vmcnt(0) lgkmcnt(0)
	scratch_store_dwordx4 off, v[72:75], off offset:192
	s_or_b64 exec, exec, s[0:1]
	s_and_saveexec_b64 s[0:1], s[12:13]
	s_cbranch_execz .LBB2096_149
.LBB2096_1255:
	v_lshlrev_b32_e32 v24, 4, v76
	v_mov_b32_e32 v25, 0
	v_lshl_add_u64 v[24:25], s[72:73], 0, v[24:25]
	flat_load_dwordx4 v[72:75], v[24:25]
	s_waitcnt vmcnt(0) lgkmcnt(0)
	scratch_store_dwordx4 off, v[72:75], off offset:208
	s_or_b64 exec, exec, s[0:1]
	s_and_saveexec_b64 s[0:1], s[14:15]
	s_cbranch_execz .LBB2096_150
.LBB2096_1256:
	v_lshlrev_b32_e32 v24, 4, v77
	v_mov_b32_e32 v25, 0
	v_lshl_add_u64 v[24:25], s[72:73], 0, v[24:25]
	flat_load_dwordx4 v[72:75], v[24:25]
	s_waitcnt vmcnt(0) lgkmcnt(0)
	scratch_store_dwordx4 off, v[72:75], off offset:224
	s_or_b64 exec, exec, s[0:1]
	s_and_saveexec_b64 s[0:1], s[16:17]
	s_cbranch_execz .LBB2096_151
.LBB2096_1257:
	v_lshlrev_b32_e32 v24, 4, v78
	v_mov_b32_e32 v25, 0
	v_lshl_add_u64 v[24:25], s[72:73], 0, v[24:25]
	flat_load_dwordx4 v[72:75], v[24:25]
	s_waitcnt vmcnt(0) lgkmcnt(0)
	scratch_store_dwordx4 off, v[72:75], off offset:240
	s_or_b64 exec, exec, s[0:1]
	s_and_saveexec_b64 s[0:1], s[18:19]
	s_cbranch_execz .LBB2096_152
.LBB2096_1258:
	v_lshlrev_b32_e32 v24, 4, v79
	v_mov_b32_e32 v25, 0
	v_lshl_add_u64 v[24:25], s[72:73], 0, v[24:25]
	flat_load_dwordx4 v[72:75], v[24:25]
	s_waitcnt vmcnt(0) lgkmcnt(0)
	scratch_store_dwordx4 off, v[72:75], off offset:256
	s_or_b64 exec, exec, s[0:1]
	s_and_saveexec_b64 s[0:1], s[20:21]
	s_cbranch_execz .LBB2096_153
.LBB2096_1259:
	v_lshlrev_b32_e32 v24, 4, v80
	v_mov_b32_e32 v25, 0
	v_lshl_add_u64 v[24:25], s[72:73], 0, v[24:25]
	flat_load_dwordx4 v[72:75], v[24:25]
	s_waitcnt vmcnt(0) lgkmcnt(0)
	scratch_store_dwordx4 off, v[72:75], off offset:272
	s_or_b64 exec, exec, s[0:1]
	s_and_saveexec_b64 s[0:1], s[22:23]
	s_cbranch_execz .LBB2096_154
.LBB2096_1260:
	v_lshlrev_b32_e32 v24, 4, v81
	v_mov_b32_e32 v25, 0
	v_lshl_add_u64 v[24:25], s[72:73], 0, v[24:25]
	flat_load_dwordx4 v[72:75], v[24:25]
	s_waitcnt vmcnt(0) lgkmcnt(0)
	scratch_store_dwordx4 off, v[72:75], off offset:288
	s_or_b64 exec, exec, s[0:1]
	s_and_saveexec_b64 s[0:1], s[24:25]
	s_cbranch_execz .LBB2096_155
.LBB2096_1261:
	v_lshlrev_b32_e32 v24, 4, v82
	v_mov_b32_e32 v25, 0
	v_lshl_add_u64 v[24:25], s[72:73], 0, v[24:25]
	flat_load_dwordx4 v[72:75], v[24:25]
	s_waitcnt vmcnt(0) lgkmcnt(0)
	scratch_store_dwordx4 off, v[72:75], off offset:304
	s_or_b64 exec, exec, s[0:1]
	s_and_saveexec_b64 s[0:1], s[26:27]
	s_cbranch_execz .LBB2096_156
.LBB2096_1262:
	v_lshlrev_b32_e32 v24, 4, v83
	v_mov_b32_e32 v25, 0
	v_lshl_add_u64 v[24:25], s[72:73], 0, v[24:25]
	flat_load_dwordx4 v[72:75], v[24:25]
	s_waitcnt vmcnt(0) lgkmcnt(0)
	scratch_store_dwordx4 off, v[72:75], off offset:320
	s_or_b64 exec, exec, s[0:1]
	s_and_saveexec_b64 s[0:1], s[28:29]
	s_cbranch_execz .LBB2096_157
.LBB2096_1263:
	v_lshlrev_b32_e32 v24, 4, v84
	v_mov_b32_e32 v25, 0
	v_lshl_add_u64 v[24:25], s[72:73], 0, v[24:25]
	flat_load_dwordx4 v[72:75], v[24:25]
	s_waitcnt vmcnt(0) lgkmcnt(0)
	scratch_store_dwordx4 off, v[72:75], off offset:336
	s_or_b64 exec, exec, s[0:1]
	s_and_saveexec_b64 s[0:1], s[30:31]
	s_cbranch_execz .LBB2096_158
.LBB2096_1264:
	v_lshlrev_b32_e32 v24, 4, v85
	v_mov_b32_e32 v25, 0
	v_lshl_add_u64 v[24:25], s[72:73], 0, v[24:25]
	flat_load_dwordx4 v[72:75], v[24:25]
	s_waitcnt vmcnt(0) lgkmcnt(0)
	scratch_store_dwordx4 off, v[72:75], off offset:352
	s_or_b64 exec, exec, s[0:1]
	s_and_saveexec_b64 s[0:1], s[34:35]
	s_cbranch_execz .LBB2096_159
.LBB2096_1265:
	v_lshlrev_b32_e32 v24, 4, v86
	v_mov_b32_e32 v25, 0
	v_lshl_add_u64 v[24:25], s[72:73], 0, v[24:25]
	flat_load_dwordx4 v[72:75], v[24:25]
	s_waitcnt vmcnt(0) lgkmcnt(0)
	scratch_store_dwordx4 off, v[72:75], off offset:368
	s_or_b64 exec, exec, s[0:1]
	s_and_saveexec_b64 s[0:1], s[36:37]
	s_cbranch_execz .LBB2096_160
.LBB2096_1266:
	v_lshlrev_b32_e32 v24, 4, v87
	v_mov_b32_e32 v25, 0
	v_lshl_add_u64 v[24:25], s[72:73], 0, v[24:25]
	flat_load_dwordx4 v[72:75], v[24:25]
	s_waitcnt vmcnt(0) lgkmcnt(0)
	scratch_store_dwordx4 off, v[72:75], off offset:384
	s_or_b64 exec, exec, s[0:1]
	s_and_saveexec_b64 s[0:1], s[38:39]
	s_cbranch_execz .LBB2096_161
.LBB2096_1267:
	v_lshlrev_b32_e32 v24, 4, v88
	v_mov_b32_e32 v25, 0
	v_lshl_add_u64 v[24:25], s[72:73], 0, v[24:25]
	flat_load_dwordx4 v[72:75], v[24:25]
	s_waitcnt vmcnt(0) lgkmcnt(0)
	scratch_store_dwordx4 off, v[72:75], off offset:400
	s_or_b64 exec, exec, s[0:1]
	s_and_saveexec_b64 s[0:1], s[40:41]
	s_cbranch_execz .LBB2096_162
.LBB2096_1268:
	v_lshlrev_b32_e32 v24, 4, v89
	v_mov_b32_e32 v25, 0
	v_lshl_add_u64 v[24:25], s[72:73], 0, v[24:25]
	flat_load_dwordx4 v[72:75], v[24:25]
	s_waitcnt vmcnt(0) lgkmcnt(0)
	scratch_store_dwordx4 off, v[72:75], off offset:416
	s_or_b64 exec, exec, s[0:1]
	s_and_saveexec_b64 s[0:1], s[42:43]
	s_cbranch_execz .LBB2096_163
.LBB2096_1269:
	v_lshlrev_b32_e32 v24, 4, v90
	v_mov_b32_e32 v25, 0
	v_lshl_add_u64 v[24:25], s[72:73], 0, v[24:25]
	flat_load_dwordx4 v[72:75], v[24:25]
	s_waitcnt vmcnt(0) lgkmcnt(0)
	scratch_store_dwordx4 off, v[72:75], off offset:432
	s_or_b64 exec, exec, s[0:1]
	v_mul_u32_u24_e32 v24, 23, v7
	s_and_saveexec_b64 s[0:1], s[44:45]
	s_cbranch_execnz .LBB2096_164
	s_branch .LBB2096_165
.LBB2096_1270:
                                        ; implicit-def: $vgpr2_vgpr3
.LBB2096_1271:
	s_waitcnt vmcnt(0)
	v_mov_b32_e32 v0, 0
	s_mov_b32 s4, 0
	v_mov_b32_e32 v1, v0
.LBB2096_1272:                          ; =>This Inner Loop Header: Depth=1
	s_add_i32 s5, s4, 0x60
	s_add_i32 s4, s4, 8
	s_cmp_lg_u32 s4, 16
	scratch_store_dwordx2 off, v[0:1], s5
	s_cbranch_scc1 .LBB2096_1272
; %bb.1273:
	s_mov_b32 s4, 0
.LBB2096_1274:                          ; =>This Inner Loop Header: Depth=1
	s_add_i32 s5, s4, 60
	s_add_i32 s6, s4, 0x39c
	scratch_load_dwordx2 v[0:1], off, s5
	scratch_load_dwordx2 v[2:3], off, s6
	s_add_i32 s5, s4, 0x60
	s_add_i32 s4, s4, 8
	s_cmp_lg_u32 s4, 16
	s_waitcnt vmcnt(0)
	v_add_u32_e32 v1, v3, v1
	v_add_u32_e32 v0, v2, v0
	scratch_store_dwordx2 off, v[0:1], s5
	s_cbranch_scc1 .LBB2096_1274
; %bb.1275:
	scratch_load_dwordx4 v[0:3], off, off offset:96
.LBB2096_1276:
	scratch_load_ubyte v5, off, off offset:76
	s_waitcnt vmcnt(0)
	v_or_b32_e32 v4, v4, v5
	v_and_b32_e32 v4, 1, v4
	v_cmp_eq_u32_e32 vcc, 1, v4
	scratch_store_dwordx4 off, v[0:3], off offset:924
	scratch_store_byte off, v4, off offset:940
	s_and_saveexec_b64 s[4:5], s[0:1]
	s_cbranch_execz .LBB2096_1278
; %bb.1277:
	scratch_load_ushort v4, off, off offset:941
	scratch_load_sbyte v5, off, off offset:943
	v_mov_b32_e32 v6, 0
	v_cndmask_b32_e64 v8, 0, 1, vcc
	global_store_dword v6, v0, s[54:55] offset:1280 sc1
	global_store_dword v6, v1, s[54:55] offset:1284 sc1
	;; [unrolled: 1-line block ×4, first 2 shown]
	v_mov_b32_e32 v9, 2
	s_waitcnt vmcnt(5)
	v_and_b32_e32 v0, 0xff, v4
	v_lshlrev_b32_e32 v1, 8, v4
	s_waitcnt vmcnt(4)
	v_lshlrev_b32_e32 v2, 24, v5
	v_lshl_or_b32 v0, v0, 8, v8
	v_and_b32_e32 v1, 0xff0000, v1
	v_or3_b32 v0, v0, v1, v2
	global_store_dword v6, v0, s[54:55] offset:1296 sc1
	s_waitcnt vmcnt(0)
	global_store_byte v6, v9, s[56:57] offset:64 sc1
.LBB2096_1278:
	s_or_b64 exec, exec, s[4:5]
.LBB2096_1279:
	s_add_u32 s8, s50, s68
	s_addc_u32 s9, s51, s69
	s_mov_b64 s[0:1], src_private_base
	s_mov_b64 s[4:5], src_shared_base
	v_mov_b32_e32 v31, v7
	v_mov_b32_e32 v0, s8
	;; [unrolled: 1-line block ×14, first 2 shown]
	s_getpc_b64 s[6:7]
	s_add_u32 s6, s6, _ZN7rocprim17ROCPRIM_400000_NS6detail12unwrap_storeILj128ELj23E11FixedVectorIiLj4EELNS0_18block_store_methodE3ELNS0_4arch9wavefront6targetE1EE5storeIN6thrust23THRUST_200600_302600_NS6detail15normal_iteratorINSC_10device_ptrIS4_EEEEEEvT_jmmjmRA23_KNS0_5tupleIJS4_bEEERNS0_14block_exchangeIS4_Lj128ELj23ELj1ELj1ELNS0_18block_padding_hintE0ELS8_1EE13storage_type_E@rel32@lo+4
	s_addc_u32 s7, s7, _ZN7rocprim17ROCPRIM_400000_NS6detail12unwrap_storeILj128ELj23E11FixedVectorIiLj4EELNS0_18block_store_methodE3ELNS0_4arch9wavefront6targetE1EE5storeIN6thrust23THRUST_200600_302600_NS6detail15normal_iteratorINSC_10device_ptrIS4_EEEEEEvT_jmmjmRA23_KNS0_5tupleIJS4_bEEERNS0_14block_exchangeIS4_Lj128ELj23ELj1ELj1ELNS0_18block_padding_hintE0ELS8_1EE13storage_type_E@rel32@hi+12
	s_swappc_b64 s[30:31], s[6:7]
	s_endpgm
	.section	.rodata,"a",@progbits
	.p2align	6, 0x0
	.amdhsa_kernel _ZN7rocprim17ROCPRIM_400000_NS6detail17trampoline_kernelINS0_14default_configENS1_27scan_by_key_config_selectorIj11FixedVectorIiLj4EEEEZZNS1_16scan_by_key_implILNS1_25lookback_scan_determinismE0ELb1ES3_N6thrust23THRUST_200600_302600_NS6detail15normal_iteratorINSB_10device_ptrIjEEEENSD_INSE_IS6_EEEESI_S6_NSB_4plusIvEENSB_8equal_toIvEES6_EE10hipError_tPvRmT2_T3_T4_T5_mT6_T7_P12ihipStream_tbENKUlT_T0_E_clISt17integral_constantIbLb1EES12_IbLb0EEEEDaSY_SZ_EUlSY_E_NS1_11comp_targetILNS1_3genE5ELNS1_11target_archE942ELNS1_3gpuE9ELNS1_3repE0EEENS1_30default_config_static_selectorELNS0_4arch9wavefront6targetE1EEEvT1_
		.amdhsa_group_segment_fixed_size 47104
		.amdhsa_private_segment_fixed_size 1344
		.amdhsa_kernarg_size 144
		.amdhsa_user_sgpr_count 2
		.amdhsa_user_sgpr_dispatch_ptr 0
		.amdhsa_user_sgpr_queue_ptr 0
		.amdhsa_user_sgpr_kernarg_segment_ptr 1
		.amdhsa_user_sgpr_dispatch_id 0
		.amdhsa_user_sgpr_kernarg_preload_length 0
		.amdhsa_user_sgpr_kernarg_preload_offset 0
		.amdhsa_user_sgpr_private_segment_size 0
		.amdhsa_uses_dynamic_stack 0
		.amdhsa_enable_private_segment 1
		.amdhsa_system_sgpr_workgroup_id_x 1
		.amdhsa_system_sgpr_workgroup_id_y 0
		.amdhsa_system_sgpr_workgroup_id_z 0
		.amdhsa_system_sgpr_workgroup_info 0
		.amdhsa_system_vgpr_workitem_id 0
		.amdhsa_next_free_vgpr 201
		.amdhsa_next_free_sgpr 81
		.amdhsa_accum_offset 204
		.amdhsa_reserve_vcc 1
		.amdhsa_float_round_mode_32 0
		.amdhsa_float_round_mode_16_64 0
		.amdhsa_float_denorm_mode_32 3
		.amdhsa_float_denorm_mode_16_64 3
		.amdhsa_dx10_clamp 1
		.amdhsa_ieee_mode 1
		.amdhsa_fp16_overflow 0
		.amdhsa_tg_split 0
		.amdhsa_exception_fp_ieee_invalid_op 0
		.amdhsa_exception_fp_denorm_src 0
		.amdhsa_exception_fp_ieee_div_zero 0
		.amdhsa_exception_fp_ieee_overflow 0
		.amdhsa_exception_fp_ieee_underflow 0
		.amdhsa_exception_fp_ieee_inexact 0
		.amdhsa_exception_int_div_zero 0
	.end_amdhsa_kernel
	.section	.text._ZN7rocprim17ROCPRIM_400000_NS6detail17trampoline_kernelINS0_14default_configENS1_27scan_by_key_config_selectorIj11FixedVectorIiLj4EEEEZZNS1_16scan_by_key_implILNS1_25lookback_scan_determinismE0ELb1ES3_N6thrust23THRUST_200600_302600_NS6detail15normal_iteratorINSB_10device_ptrIjEEEENSD_INSE_IS6_EEEESI_S6_NSB_4plusIvEENSB_8equal_toIvEES6_EE10hipError_tPvRmT2_T3_T4_T5_mT6_T7_P12ihipStream_tbENKUlT_T0_E_clISt17integral_constantIbLb1EES12_IbLb0EEEEDaSY_SZ_EUlSY_E_NS1_11comp_targetILNS1_3genE5ELNS1_11target_archE942ELNS1_3gpuE9ELNS1_3repE0EEENS1_30default_config_static_selectorELNS0_4arch9wavefront6targetE1EEEvT1_,"axG",@progbits,_ZN7rocprim17ROCPRIM_400000_NS6detail17trampoline_kernelINS0_14default_configENS1_27scan_by_key_config_selectorIj11FixedVectorIiLj4EEEEZZNS1_16scan_by_key_implILNS1_25lookback_scan_determinismE0ELb1ES3_N6thrust23THRUST_200600_302600_NS6detail15normal_iteratorINSB_10device_ptrIjEEEENSD_INSE_IS6_EEEESI_S6_NSB_4plusIvEENSB_8equal_toIvEES6_EE10hipError_tPvRmT2_T3_T4_T5_mT6_T7_P12ihipStream_tbENKUlT_T0_E_clISt17integral_constantIbLb1EES12_IbLb0EEEEDaSY_SZ_EUlSY_E_NS1_11comp_targetILNS1_3genE5ELNS1_11target_archE942ELNS1_3gpuE9ELNS1_3repE0EEENS1_30default_config_static_selectorELNS0_4arch9wavefront6targetE1EEEvT1_,comdat
.Lfunc_end2096:
	.size	_ZN7rocprim17ROCPRIM_400000_NS6detail17trampoline_kernelINS0_14default_configENS1_27scan_by_key_config_selectorIj11FixedVectorIiLj4EEEEZZNS1_16scan_by_key_implILNS1_25lookback_scan_determinismE0ELb1ES3_N6thrust23THRUST_200600_302600_NS6detail15normal_iteratorINSB_10device_ptrIjEEEENSD_INSE_IS6_EEEESI_S6_NSB_4plusIvEENSB_8equal_toIvEES6_EE10hipError_tPvRmT2_T3_T4_T5_mT6_T7_P12ihipStream_tbENKUlT_T0_E_clISt17integral_constantIbLb1EES12_IbLb0EEEEDaSY_SZ_EUlSY_E_NS1_11comp_targetILNS1_3genE5ELNS1_11target_archE942ELNS1_3gpuE9ELNS1_3repE0EEENS1_30default_config_static_selectorELNS0_4arch9wavefront6targetE1EEEvT1_, .Lfunc_end2096-_ZN7rocprim17ROCPRIM_400000_NS6detail17trampoline_kernelINS0_14default_configENS1_27scan_by_key_config_selectorIj11FixedVectorIiLj4EEEEZZNS1_16scan_by_key_implILNS1_25lookback_scan_determinismE0ELb1ES3_N6thrust23THRUST_200600_302600_NS6detail15normal_iteratorINSB_10device_ptrIjEEEENSD_INSE_IS6_EEEESI_S6_NSB_4plusIvEENSB_8equal_toIvEES6_EE10hipError_tPvRmT2_T3_T4_T5_mT6_T7_P12ihipStream_tbENKUlT_T0_E_clISt17integral_constantIbLb1EES12_IbLb0EEEEDaSY_SZ_EUlSY_E_NS1_11comp_targetILNS1_3genE5ELNS1_11target_archE942ELNS1_3gpuE9ELNS1_3repE0EEENS1_30default_config_static_selectorELNS0_4arch9wavefront6targetE1EEEvT1_
                                        ; -- End function
	.section	.AMDGPU.csdata,"",@progbits
; Kernel info:
; codeLenInByte = 41904
; NumSgprs: 87
; NumVgprs: 201
; NumAgprs: 0
; TotalNumVgprs: 201
; ScratchSize: 1344
; MemoryBound: 1
; FloatMode: 240
; IeeeMode: 1
; LDSByteSize: 47104 bytes/workgroup (compile time only)
; SGPRBlocks: 10
; VGPRBlocks: 25
; NumSGPRsForWavesPerEU: 87
; NumVGPRsForWavesPerEU: 201
; AccumOffset: 204
; Occupancy: 1
; WaveLimiterHint : 1
; COMPUTE_PGM_RSRC2:SCRATCH_EN: 1
; COMPUTE_PGM_RSRC2:USER_SGPR: 2
; COMPUTE_PGM_RSRC2:TRAP_HANDLER: 0
; COMPUTE_PGM_RSRC2:TGID_X_EN: 1
; COMPUTE_PGM_RSRC2:TGID_Y_EN: 0
; COMPUTE_PGM_RSRC2:TGID_Z_EN: 0
; COMPUTE_PGM_RSRC2:TIDIG_COMP_CNT: 0
; COMPUTE_PGM_RSRC3_GFX90A:ACCUM_OFFSET: 50
; COMPUTE_PGM_RSRC3_GFX90A:TG_SPLIT: 0
	.section	.text._ZN7rocprim17ROCPRIM_400000_NS6detail17trampoline_kernelINS0_14default_configENS1_27scan_by_key_config_selectorIj11FixedVectorIiLj4EEEEZZNS1_16scan_by_key_implILNS1_25lookback_scan_determinismE0ELb1ES3_N6thrust23THRUST_200600_302600_NS6detail15normal_iteratorINSB_10device_ptrIjEEEENSD_INSE_IS6_EEEESI_S6_NSB_4plusIvEENSB_8equal_toIvEES6_EE10hipError_tPvRmT2_T3_T4_T5_mT6_T7_P12ihipStream_tbENKUlT_T0_E_clISt17integral_constantIbLb1EES12_IbLb0EEEEDaSY_SZ_EUlSY_E_NS1_11comp_targetILNS1_3genE4ELNS1_11target_archE910ELNS1_3gpuE8ELNS1_3repE0EEENS1_30default_config_static_selectorELNS0_4arch9wavefront6targetE1EEEvT1_,"axG",@progbits,_ZN7rocprim17ROCPRIM_400000_NS6detail17trampoline_kernelINS0_14default_configENS1_27scan_by_key_config_selectorIj11FixedVectorIiLj4EEEEZZNS1_16scan_by_key_implILNS1_25lookback_scan_determinismE0ELb1ES3_N6thrust23THRUST_200600_302600_NS6detail15normal_iteratorINSB_10device_ptrIjEEEENSD_INSE_IS6_EEEESI_S6_NSB_4plusIvEENSB_8equal_toIvEES6_EE10hipError_tPvRmT2_T3_T4_T5_mT6_T7_P12ihipStream_tbENKUlT_T0_E_clISt17integral_constantIbLb1EES12_IbLb0EEEEDaSY_SZ_EUlSY_E_NS1_11comp_targetILNS1_3genE4ELNS1_11target_archE910ELNS1_3gpuE8ELNS1_3repE0EEENS1_30default_config_static_selectorELNS0_4arch9wavefront6targetE1EEEvT1_,comdat
	.protected	_ZN7rocprim17ROCPRIM_400000_NS6detail17trampoline_kernelINS0_14default_configENS1_27scan_by_key_config_selectorIj11FixedVectorIiLj4EEEEZZNS1_16scan_by_key_implILNS1_25lookback_scan_determinismE0ELb1ES3_N6thrust23THRUST_200600_302600_NS6detail15normal_iteratorINSB_10device_ptrIjEEEENSD_INSE_IS6_EEEESI_S6_NSB_4plusIvEENSB_8equal_toIvEES6_EE10hipError_tPvRmT2_T3_T4_T5_mT6_T7_P12ihipStream_tbENKUlT_T0_E_clISt17integral_constantIbLb1EES12_IbLb0EEEEDaSY_SZ_EUlSY_E_NS1_11comp_targetILNS1_3genE4ELNS1_11target_archE910ELNS1_3gpuE8ELNS1_3repE0EEENS1_30default_config_static_selectorELNS0_4arch9wavefront6targetE1EEEvT1_ ; -- Begin function _ZN7rocprim17ROCPRIM_400000_NS6detail17trampoline_kernelINS0_14default_configENS1_27scan_by_key_config_selectorIj11FixedVectorIiLj4EEEEZZNS1_16scan_by_key_implILNS1_25lookback_scan_determinismE0ELb1ES3_N6thrust23THRUST_200600_302600_NS6detail15normal_iteratorINSB_10device_ptrIjEEEENSD_INSE_IS6_EEEESI_S6_NSB_4plusIvEENSB_8equal_toIvEES6_EE10hipError_tPvRmT2_T3_T4_T5_mT6_T7_P12ihipStream_tbENKUlT_T0_E_clISt17integral_constantIbLb1EES12_IbLb0EEEEDaSY_SZ_EUlSY_E_NS1_11comp_targetILNS1_3genE4ELNS1_11target_archE910ELNS1_3gpuE8ELNS1_3repE0EEENS1_30default_config_static_selectorELNS0_4arch9wavefront6targetE1EEEvT1_
	.globl	_ZN7rocprim17ROCPRIM_400000_NS6detail17trampoline_kernelINS0_14default_configENS1_27scan_by_key_config_selectorIj11FixedVectorIiLj4EEEEZZNS1_16scan_by_key_implILNS1_25lookback_scan_determinismE0ELb1ES3_N6thrust23THRUST_200600_302600_NS6detail15normal_iteratorINSB_10device_ptrIjEEEENSD_INSE_IS6_EEEESI_S6_NSB_4plusIvEENSB_8equal_toIvEES6_EE10hipError_tPvRmT2_T3_T4_T5_mT6_T7_P12ihipStream_tbENKUlT_T0_E_clISt17integral_constantIbLb1EES12_IbLb0EEEEDaSY_SZ_EUlSY_E_NS1_11comp_targetILNS1_3genE4ELNS1_11target_archE910ELNS1_3gpuE8ELNS1_3repE0EEENS1_30default_config_static_selectorELNS0_4arch9wavefront6targetE1EEEvT1_
	.p2align	8
	.type	_ZN7rocprim17ROCPRIM_400000_NS6detail17trampoline_kernelINS0_14default_configENS1_27scan_by_key_config_selectorIj11FixedVectorIiLj4EEEEZZNS1_16scan_by_key_implILNS1_25lookback_scan_determinismE0ELb1ES3_N6thrust23THRUST_200600_302600_NS6detail15normal_iteratorINSB_10device_ptrIjEEEENSD_INSE_IS6_EEEESI_S6_NSB_4plusIvEENSB_8equal_toIvEES6_EE10hipError_tPvRmT2_T3_T4_T5_mT6_T7_P12ihipStream_tbENKUlT_T0_E_clISt17integral_constantIbLb1EES12_IbLb0EEEEDaSY_SZ_EUlSY_E_NS1_11comp_targetILNS1_3genE4ELNS1_11target_archE910ELNS1_3gpuE8ELNS1_3repE0EEENS1_30default_config_static_selectorELNS0_4arch9wavefront6targetE1EEEvT1_,@function
_ZN7rocprim17ROCPRIM_400000_NS6detail17trampoline_kernelINS0_14default_configENS1_27scan_by_key_config_selectorIj11FixedVectorIiLj4EEEEZZNS1_16scan_by_key_implILNS1_25lookback_scan_determinismE0ELb1ES3_N6thrust23THRUST_200600_302600_NS6detail15normal_iteratorINSB_10device_ptrIjEEEENSD_INSE_IS6_EEEESI_S6_NSB_4plusIvEENSB_8equal_toIvEES6_EE10hipError_tPvRmT2_T3_T4_T5_mT6_T7_P12ihipStream_tbENKUlT_T0_E_clISt17integral_constantIbLb1EES12_IbLb0EEEEDaSY_SZ_EUlSY_E_NS1_11comp_targetILNS1_3genE4ELNS1_11target_archE910ELNS1_3gpuE8ELNS1_3repE0EEENS1_30default_config_static_selectorELNS0_4arch9wavefront6targetE1EEEvT1_: ; @_ZN7rocprim17ROCPRIM_400000_NS6detail17trampoline_kernelINS0_14default_configENS1_27scan_by_key_config_selectorIj11FixedVectorIiLj4EEEEZZNS1_16scan_by_key_implILNS1_25lookback_scan_determinismE0ELb1ES3_N6thrust23THRUST_200600_302600_NS6detail15normal_iteratorINSB_10device_ptrIjEEEENSD_INSE_IS6_EEEESI_S6_NSB_4plusIvEENSB_8equal_toIvEES6_EE10hipError_tPvRmT2_T3_T4_T5_mT6_T7_P12ihipStream_tbENKUlT_T0_E_clISt17integral_constantIbLb1EES12_IbLb0EEEEDaSY_SZ_EUlSY_E_NS1_11comp_targetILNS1_3genE4ELNS1_11target_archE910ELNS1_3gpuE8ELNS1_3repE0EEENS1_30default_config_static_selectorELNS0_4arch9wavefront6targetE1EEEvT1_
; %bb.0:
	.section	.rodata,"a",@progbits
	.p2align	6, 0x0
	.amdhsa_kernel _ZN7rocprim17ROCPRIM_400000_NS6detail17trampoline_kernelINS0_14default_configENS1_27scan_by_key_config_selectorIj11FixedVectorIiLj4EEEEZZNS1_16scan_by_key_implILNS1_25lookback_scan_determinismE0ELb1ES3_N6thrust23THRUST_200600_302600_NS6detail15normal_iteratorINSB_10device_ptrIjEEEENSD_INSE_IS6_EEEESI_S6_NSB_4plusIvEENSB_8equal_toIvEES6_EE10hipError_tPvRmT2_T3_T4_T5_mT6_T7_P12ihipStream_tbENKUlT_T0_E_clISt17integral_constantIbLb1EES12_IbLb0EEEEDaSY_SZ_EUlSY_E_NS1_11comp_targetILNS1_3genE4ELNS1_11target_archE910ELNS1_3gpuE8ELNS1_3repE0EEENS1_30default_config_static_selectorELNS0_4arch9wavefront6targetE1EEEvT1_
		.amdhsa_group_segment_fixed_size 0
		.amdhsa_private_segment_fixed_size 0
		.amdhsa_kernarg_size 144
		.amdhsa_user_sgpr_count 2
		.amdhsa_user_sgpr_dispatch_ptr 0
		.amdhsa_user_sgpr_queue_ptr 0
		.amdhsa_user_sgpr_kernarg_segment_ptr 1
		.amdhsa_user_sgpr_dispatch_id 0
		.amdhsa_user_sgpr_kernarg_preload_length 0
		.amdhsa_user_sgpr_kernarg_preload_offset 0
		.amdhsa_user_sgpr_private_segment_size 0
		.amdhsa_uses_dynamic_stack 0
		.amdhsa_enable_private_segment 0
		.amdhsa_system_sgpr_workgroup_id_x 1
		.amdhsa_system_sgpr_workgroup_id_y 0
		.amdhsa_system_sgpr_workgroup_id_z 0
		.amdhsa_system_sgpr_workgroup_info 0
		.amdhsa_system_vgpr_workitem_id 0
		.amdhsa_next_free_vgpr 1
		.amdhsa_next_free_sgpr 0
		.amdhsa_accum_offset 4
		.amdhsa_reserve_vcc 0
		.amdhsa_float_round_mode_32 0
		.amdhsa_float_round_mode_16_64 0
		.amdhsa_float_denorm_mode_32 3
		.amdhsa_float_denorm_mode_16_64 3
		.amdhsa_dx10_clamp 1
		.amdhsa_ieee_mode 1
		.amdhsa_fp16_overflow 0
		.amdhsa_tg_split 0
		.amdhsa_exception_fp_ieee_invalid_op 0
		.amdhsa_exception_fp_denorm_src 0
		.amdhsa_exception_fp_ieee_div_zero 0
		.amdhsa_exception_fp_ieee_overflow 0
		.amdhsa_exception_fp_ieee_underflow 0
		.amdhsa_exception_fp_ieee_inexact 0
		.amdhsa_exception_int_div_zero 0
	.end_amdhsa_kernel
	.section	.text._ZN7rocprim17ROCPRIM_400000_NS6detail17trampoline_kernelINS0_14default_configENS1_27scan_by_key_config_selectorIj11FixedVectorIiLj4EEEEZZNS1_16scan_by_key_implILNS1_25lookback_scan_determinismE0ELb1ES3_N6thrust23THRUST_200600_302600_NS6detail15normal_iteratorINSB_10device_ptrIjEEEENSD_INSE_IS6_EEEESI_S6_NSB_4plusIvEENSB_8equal_toIvEES6_EE10hipError_tPvRmT2_T3_T4_T5_mT6_T7_P12ihipStream_tbENKUlT_T0_E_clISt17integral_constantIbLb1EES12_IbLb0EEEEDaSY_SZ_EUlSY_E_NS1_11comp_targetILNS1_3genE4ELNS1_11target_archE910ELNS1_3gpuE8ELNS1_3repE0EEENS1_30default_config_static_selectorELNS0_4arch9wavefront6targetE1EEEvT1_,"axG",@progbits,_ZN7rocprim17ROCPRIM_400000_NS6detail17trampoline_kernelINS0_14default_configENS1_27scan_by_key_config_selectorIj11FixedVectorIiLj4EEEEZZNS1_16scan_by_key_implILNS1_25lookback_scan_determinismE0ELb1ES3_N6thrust23THRUST_200600_302600_NS6detail15normal_iteratorINSB_10device_ptrIjEEEENSD_INSE_IS6_EEEESI_S6_NSB_4plusIvEENSB_8equal_toIvEES6_EE10hipError_tPvRmT2_T3_T4_T5_mT6_T7_P12ihipStream_tbENKUlT_T0_E_clISt17integral_constantIbLb1EES12_IbLb0EEEEDaSY_SZ_EUlSY_E_NS1_11comp_targetILNS1_3genE4ELNS1_11target_archE910ELNS1_3gpuE8ELNS1_3repE0EEENS1_30default_config_static_selectorELNS0_4arch9wavefront6targetE1EEEvT1_,comdat
.Lfunc_end2097:
	.size	_ZN7rocprim17ROCPRIM_400000_NS6detail17trampoline_kernelINS0_14default_configENS1_27scan_by_key_config_selectorIj11FixedVectorIiLj4EEEEZZNS1_16scan_by_key_implILNS1_25lookback_scan_determinismE0ELb1ES3_N6thrust23THRUST_200600_302600_NS6detail15normal_iteratorINSB_10device_ptrIjEEEENSD_INSE_IS6_EEEESI_S6_NSB_4plusIvEENSB_8equal_toIvEES6_EE10hipError_tPvRmT2_T3_T4_T5_mT6_T7_P12ihipStream_tbENKUlT_T0_E_clISt17integral_constantIbLb1EES12_IbLb0EEEEDaSY_SZ_EUlSY_E_NS1_11comp_targetILNS1_3genE4ELNS1_11target_archE910ELNS1_3gpuE8ELNS1_3repE0EEENS1_30default_config_static_selectorELNS0_4arch9wavefront6targetE1EEEvT1_, .Lfunc_end2097-_ZN7rocprim17ROCPRIM_400000_NS6detail17trampoline_kernelINS0_14default_configENS1_27scan_by_key_config_selectorIj11FixedVectorIiLj4EEEEZZNS1_16scan_by_key_implILNS1_25lookback_scan_determinismE0ELb1ES3_N6thrust23THRUST_200600_302600_NS6detail15normal_iteratorINSB_10device_ptrIjEEEENSD_INSE_IS6_EEEESI_S6_NSB_4plusIvEENSB_8equal_toIvEES6_EE10hipError_tPvRmT2_T3_T4_T5_mT6_T7_P12ihipStream_tbENKUlT_T0_E_clISt17integral_constantIbLb1EES12_IbLb0EEEEDaSY_SZ_EUlSY_E_NS1_11comp_targetILNS1_3genE4ELNS1_11target_archE910ELNS1_3gpuE8ELNS1_3repE0EEENS1_30default_config_static_selectorELNS0_4arch9wavefront6targetE1EEEvT1_
                                        ; -- End function
	.section	.AMDGPU.csdata,"",@progbits
; Kernel info:
; codeLenInByte = 0
; NumSgprs: 6
; NumVgprs: 0
; NumAgprs: 0
; TotalNumVgprs: 0
; ScratchSize: 0
; MemoryBound: 0
; FloatMode: 240
; IeeeMode: 1
; LDSByteSize: 0 bytes/workgroup (compile time only)
; SGPRBlocks: 0
; VGPRBlocks: 0
; NumSGPRsForWavesPerEU: 6
; NumVGPRsForWavesPerEU: 1
; AccumOffset: 4
; Occupancy: 8
; WaveLimiterHint : 0
; COMPUTE_PGM_RSRC2:SCRATCH_EN: 0
; COMPUTE_PGM_RSRC2:USER_SGPR: 2
; COMPUTE_PGM_RSRC2:TRAP_HANDLER: 0
; COMPUTE_PGM_RSRC2:TGID_X_EN: 1
; COMPUTE_PGM_RSRC2:TGID_Y_EN: 0
; COMPUTE_PGM_RSRC2:TGID_Z_EN: 0
; COMPUTE_PGM_RSRC2:TIDIG_COMP_CNT: 0
; COMPUTE_PGM_RSRC3_GFX90A:ACCUM_OFFSET: 0
; COMPUTE_PGM_RSRC3_GFX90A:TG_SPLIT: 0
	.section	.text._ZN7rocprim17ROCPRIM_400000_NS6detail17trampoline_kernelINS0_14default_configENS1_27scan_by_key_config_selectorIj11FixedVectorIiLj4EEEEZZNS1_16scan_by_key_implILNS1_25lookback_scan_determinismE0ELb1ES3_N6thrust23THRUST_200600_302600_NS6detail15normal_iteratorINSB_10device_ptrIjEEEENSD_INSE_IS6_EEEESI_S6_NSB_4plusIvEENSB_8equal_toIvEES6_EE10hipError_tPvRmT2_T3_T4_T5_mT6_T7_P12ihipStream_tbENKUlT_T0_E_clISt17integral_constantIbLb1EES12_IbLb0EEEEDaSY_SZ_EUlSY_E_NS1_11comp_targetILNS1_3genE3ELNS1_11target_archE908ELNS1_3gpuE7ELNS1_3repE0EEENS1_30default_config_static_selectorELNS0_4arch9wavefront6targetE1EEEvT1_,"axG",@progbits,_ZN7rocprim17ROCPRIM_400000_NS6detail17trampoline_kernelINS0_14default_configENS1_27scan_by_key_config_selectorIj11FixedVectorIiLj4EEEEZZNS1_16scan_by_key_implILNS1_25lookback_scan_determinismE0ELb1ES3_N6thrust23THRUST_200600_302600_NS6detail15normal_iteratorINSB_10device_ptrIjEEEENSD_INSE_IS6_EEEESI_S6_NSB_4plusIvEENSB_8equal_toIvEES6_EE10hipError_tPvRmT2_T3_T4_T5_mT6_T7_P12ihipStream_tbENKUlT_T0_E_clISt17integral_constantIbLb1EES12_IbLb0EEEEDaSY_SZ_EUlSY_E_NS1_11comp_targetILNS1_3genE3ELNS1_11target_archE908ELNS1_3gpuE7ELNS1_3repE0EEENS1_30default_config_static_selectorELNS0_4arch9wavefront6targetE1EEEvT1_,comdat
	.protected	_ZN7rocprim17ROCPRIM_400000_NS6detail17trampoline_kernelINS0_14default_configENS1_27scan_by_key_config_selectorIj11FixedVectorIiLj4EEEEZZNS1_16scan_by_key_implILNS1_25lookback_scan_determinismE0ELb1ES3_N6thrust23THRUST_200600_302600_NS6detail15normal_iteratorINSB_10device_ptrIjEEEENSD_INSE_IS6_EEEESI_S6_NSB_4plusIvEENSB_8equal_toIvEES6_EE10hipError_tPvRmT2_T3_T4_T5_mT6_T7_P12ihipStream_tbENKUlT_T0_E_clISt17integral_constantIbLb1EES12_IbLb0EEEEDaSY_SZ_EUlSY_E_NS1_11comp_targetILNS1_3genE3ELNS1_11target_archE908ELNS1_3gpuE7ELNS1_3repE0EEENS1_30default_config_static_selectorELNS0_4arch9wavefront6targetE1EEEvT1_ ; -- Begin function _ZN7rocprim17ROCPRIM_400000_NS6detail17trampoline_kernelINS0_14default_configENS1_27scan_by_key_config_selectorIj11FixedVectorIiLj4EEEEZZNS1_16scan_by_key_implILNS1_25lookback_scan_determinismE0ELb1ES3_N6thrust23THRUST_200600_302600_NS6detail15normal_iteratorINSB_10device_ptrIjEEEENSD_INSE_IS6_EEEESI_S6_NSB_4plusIvEENSB_8equal_toIvEES6_EE10hipError_tPvRmT2_T3_T4_T5_mT6_T7_P12ihipStream_tbENKUlT_T0_E_clISt17integral_constantIbLb1EES12_IbLb0EEEEDaSY_SZ_EUlSY_E_NS1_11comp_targetILNS1_3genE3ELNS1_11target_archE908ELNS1_3gpuE7ELNS1_3repE0EEENS1_30default_config_static_selectorELNS0_4arch9wavefront6targetE1EEEvT1_
	.globl	_ZN7rocprim17ROCPRIM_400000_NS6detail17trampoline_kernelINS0_14default_configENS1_27scan_by_key_config_selectorIj11FixedVectorIiLj4EEEEZZNS1_16scan_by_key_implILNS1_25lookback_scan_determinismE0ELb1ES3_N6thrust23THRUST_200600_302600_NS6detail15normal_iteratorINSB_10device_ptrIjEEEENSD_INSE_IS6_EEEESI_S6_NSB_4plusIvEENSB_8equal_toIvEES6_EE10hipError_tPvRmT2_T3_T4_T5_mT6_T7_P12ihipStream_tbENKUlT_T0_E_clISt17integral_constantIbLb1EES12_IbLb0EEEEDaSY_SZ_EUlSY_E_NS1_11comp_targetILNS1_3genE3ELNS1_11target_archE908ELNS1_3gpuE7ELNS1_3repE0EEENS1_30default_config_static_selectorELNS0_4arch9wavefront6targetE1EEEvT1_
	.p2align	8
	.type	_ZN7rocprim17ROCPRIM_400000_NS6detail17trampoline_kernelINS0_14default_configENS1_27scan_by_key_config_selectorIj11FixedVectorIiLj4EEEEZZNS1_16scan_by_key_implILNS1_25lookback_scan_determinismE0ELb1ES3_N6thrust23THRUST_200600_302600_NS6detail15normal_iteratorINSB_10device_ptrIjEEEENSD_INSE_IS6_EEEESI_S6_NSB_4plusIvEENSB_8equal_toIvEES6_EE10hipError_tPvRmT2_T3_T4_T5_mT6_T7_P12ihipStream_tbENKUlT_T0_E_clISt17integral_constantIbLb1EES12_IbLb0EEEEDaSY_SZ_EUlSY_E_NS1_11comp_targetILNS1_3genE3ELNS1_11target_archE908ELNS1_3gpuE7ELNS1_3repE0EEENS1_30default_config_static_selectorELNS0_4arch9wavefront6targetE1EEEvT1_,@function
_ZN7rocprim17ROCPRIM_400000_NS6detail17trampoline_kernelINS0_14default_configENS1_27scan_by_key_config_selectorIj11FixedVectorIiLj4EEEEZZNS1_16scan_by_key_implILNS1_25lookback_scan_determinismE0ELb1ES3_N6thrust23THRUST_200600_302600_NS6detail15normal_iteratorINSB_10device_ptrIjEEEENSD_INSE_IS6_EEEESI_S6_NSB_4plusIvEENSB_8equal_toIvEES6_EE10hipError_tPvRmT2_T3_T4_T5_mT6_T7_P12ihipStream_tbENKUlT_T0_E_clISt17integral_constantIbLb1EES12_IbLb0EEEEDaSY_SZ_EUlSY_E_NS1_11comp_targetILNS1_3genE3ELNS1_11target_archE908ELNS1_3gpuE7ELNS1_3repE0EEENS1_30default_config_static_selectorELNS0_4arch9wavefront6targetE1EEEvT1_: ; @_ZN7rocprim17ROCPRIM_400000_NS6detail17trampoline_kernelINS0_14default_configENS1_27scan_by_key_config_selectorIj11FixedVectorIiLj4EEEEZZNS1_16scan_by_key_implILNS1_25lookback_scan_determinismE0ELb1ES3_N6thrust23THRUST_200600_302600_NS6detail15normal_iteratorINSB_10device_ptrIjEEEENSD_INSE_IS6_EEEESI_S6_NSB_4plusIvEENSB_8equal_toIvEES6_EE10hipError_tPvRmT2_T3_T4_T5_mT6_T7_P12ihipStream_tbENKUlT_T0_E_clISt17integral_constantIbLb1EES12_IbLb0EEEEDaSY_SZ_EUlSY_E_NS1_11comp_targetILNS1_3genE3ELNS1_11target_archE908ELNS1_3gpuE7ELNS1_3repE0EEENS1_30default_config_static_selectorELNS0_4arch9wavefront6targetE1EEEvT1_
; %bb.0:
	.section	.rodata,"a",@progbits
	.p2align	6, 0x0
	.amdhsa_kernel _ZN7rocprim17ROCPRIM_400000_NS6detail17trampoline_kernelINS0_14default_configENS1_27scan_by_key_config_selectorIj11FixedVectorIiLj4EEEEZZNS1_16scan_by_key_implILNS1_25lookback_scan_determinismE0ELb1ES3_N6thrust23THRUST_200600_302600_NS6detail15normal_iteratorINSB_10device_ptrIjEEEENSD_INSE_IS6_EEEESI_S6_NSB_4plusIvEENSB_8equal_toIvEES6_EE10hipError_tPvRmT2_T3_T4_T5_mT6_T7_P12ihipStream_tbENKUlT_T0_E_clISt17integral_constantIbLb1EES12_IbLb0EEEEDaSY_SZ_EUlSY_E_NS1_11comp_targetILNS1_3genE3ELNS1_11target_archE908ELNS1_3gpuE7ELNS1_3repE0EEENS1_30default_config_static_selectorELNS0_4arch9wavefront6targetE1EEEvT1_
		.amdhsa_group_segment_fixed_size 0
		.amdhsa_private_segment_fixed_size 0
		.amdhsa_kernarg_size 144
		.amdhsa_user_sgpr_count 2
		.amdhsa_user_sgpr_dispatch_ptr 0
		.amdhsa_user_sgpr_queue_ptr 0
		.amdhsa_user_sgpr_kernarg_segment_ptr 1
		.amdhsa_user_sgpr_dispatch_id 0
		.amdhsa_user_sgpr_kernarg_preload_length 0
		.amdhsa_user_sgpr_kernarg_preload_offset 0
		.amdhsa_user_sgpr_private_segment_size 0
		.amdhsa_uses_dynamic_stack 0
		.amdhsa_enable_private_segment 0
		.amdhsa_system_sgpr_workgroup_id_x 1
		.amdhsa_system_sgpr_workgroup_id_y 0
		.amdhsa_system_sgpr_workgroup_id_z 0
		.amdhsa_system_sgpr_workgroup_info 0
		.amdhsa_system_vgpr_workitem_id 0
		.amdhsa_next_free_vgpr 1
		.amdhsa_next_free_sgpr 0
		.amdhsa_accum_offset 4
		.amdhsa_reserve_vcc 0
		.amdhsa_float_round_mode_32 0
		.amdhsa_float_round_mode_16_64 0
		.amdhsa_float_denorm_mode_32 3
		.amdhsa_float_denorm_mode_16_64 3
		.amdhsa_dx10_clamp 1
		.amdhsa_ieee_mode 1
		.amdhsa_fp16_overflow 0
		.amdhsa_tg_split 0
		.amdhsa_exception_fp_ieee_invalid_op 0
		.amdhsa_exception_fp_denorm_src 0
		.amdhsa_exception_fp_ieee_div_zero 0
		.amdhsa_exception_fp_ieee_overflow 0
		.amdhsa_exception_fp_ieee_underflow 0
		.amdhsa_exception_fp_ieee_inexact 0
		.amdhsa_exception_int_div_zero 0
	.end_amdhsa_kernel
	.section	.text._ZN7rocprim17ROCPRIM_400000_NS6detail17trampoline_kernelINS0_14default_configENS1_27scan_by_key_config_selectorIj11FixedVectorIiLj4EEEEZZNS1_16scan_by_key_implILNS1_25lookback_scan_determinismE0ELb1ES3_N6thrust23THRUST_200600_302600_NS6detail15normal_iteratorINSB_10device_ptrIjEEEENSD_INSE_IS6_EEEESI_S6_NSB_4plusIvEENSB_8equal_toIvEES6_EE10hipError_tPvRmT2_T3_T4_T5_mT6_T7_P12ihipStream_tbENKUlT_T0_E_clISt17integral_constantIbLb1EES12_IbLb0EEEEDaSY_SZ_EUlSY_E_NS1_11comp_targetILNS1_3genE3ELNS1_11target_archE908ELNS1_3gpuE7ELNS1_3repE0EEENS1_30default_config_static_selectorELNS0_4arch9wavefront6targetE1EEEvT1_,"axG",@progbits,_ZN7rocprim17ROCPRIM_400000_NS6detail17trampoline_kernelINS0_14default_configENS1_27scan_by_key_config_selectorIj11FixedVectorIiLj4EEEEZZNS1_16scan_by_key_implILNS1_25lookback_scan_determinismE0ELb1ES3_N6thrust23THRUST_200600_302600_NS6detail15normal_iteratorINSB_10device_ptrIjEEEENSD_INSE_IS6_EEEESI_S6_NSB_4plusIvEENSB_8equal_toIvEES6_EE10hipError_tPvRmT2_T3_T4_T5_mT6_T7_P12ihipStream_tbENKUlT_T0_E_clISt17integral_constantIbLb1EES12_IbLb0EEEEDaSY_SZ_EUlSY_E_NS1_11comp_targetILNS1_3genE3ELNS1_11target_archE908ELNS1_3gpuE7ELNS1_3repE0EEENS1_30default_config_static_selectorELNS0_4arch9wavefront6targetE1EEEvT1_,comdat
.Lfunc_end2098:
	.size	_ZN7rocprim17ROCPRIM_400000_NS6detail17trampoline_kernelINS0_14default_configENS1_27scan_by_key_config_selectorIj11FixedVectorIiLj4EEEEZZNS1_16scan_by_key_implILNS1_25lookback_scan_determinismE0ELb1ES3_N6thrust23THRUST_200600_302600_NS6detail15normal_iteratorINSB_10device_ptrIjEEEENSD_INSE_IS6_EEEESI_S6_NSB_4plusIvEENSB_8equal_toIvEES6_EE10hipError_tPvRmT2_T3_T4_T5_mT6_T7_P12ihipStream_tbENKUlT_T0_E_clISt17integral_constantIbLb1EES12_IbLb0EEEEDaSY_SZ_EUlSY_E_NS1_11comp_targetILNS1_3genE3ELNS1_11target_archE908ELNS1_3gpuE7ELNS1_3repE0EEENS1_30default_config_static_selectorELNS0_4arch9wavefront6targetE1EEEvT1_, .Lfunc_end2098-_ZN7rocprim17ROCPRIM_400000_NS6detail17trampoline_kernelINS0_14default_configENS1_27scan_by_key_config_selectorIj11FixedVectorIiLj4EEEEZZNS1_16scan_by_key_implILNS1_25lookback_scan_determinismE0ELb1ES3_N6thrust23THRUST_200600_302600_NS6detail15normal_iteratorINSB_10device_ptrIjEEEENSD_INSE_IS6_EEEESI_S6_NSB_4plusIvEENSB_8equal_toIvEES6_EE10hipError_tPvRmT2_T3_T4_T5_mT6_T7_P12ihipStream_tbENKUlT_T0_E_clISt17integral_constantIbLb1EES12_IbLb0EEEEDaSY_SZ_EUlSY_E_NS1_11comp_targetILNS1_3genE3ELNS1_11target_archE908ELNS1_3gpuE7ELNS1_3repE0EEENS1_30default_config_static_selectorELNS0_4arch9wavefront6targetE1EEEvT1_
                                        ; -- End function
	.section	.AMDGPU.csdata,"",@progbits
; Kernel info:
; codeLenInByte = 0
; NumSgprs: 6
; NumVgprs: 0
; NumAgprs: 0
; TotalNumVgprs: 0
; ScratchSize: 0
; MemoryBound: 0
; FloatMode: 240
; IeeeMode: 1
; LDSByteSize: 0 bytes/workgroup (compile time only)
; SGPRBlocks: 0
; VGPRBlocks: 0
; NumSGPRsForWavesPerEU: 6
; NumVGPRsForWavesPerEU: 1
; AccumOffset: 4
; Occupancy: 8
; WaveLimiterHint : 0
; COMPUTE_PGM_RSRC2:SCRATCH_EN: 0
; COMPUTE_PGM_RSRC2:USER_SGPR: 2
; COMPUTE_PGM_RSRC2:TRAP_HANDLER: 0
; COMPUTE_PGM_RSRC2:TGID_X_EN: 1
; COMPUTE_PGM_RSRC2:TGID_Y_EN: 0
; COMPUTE_PGM_RSRC2:TGID_Z_EN: 0
; COMPUTE_PGM_RSRC2:TIDIG_COMP_CNT: 0
; COMPUTE_PGM_RSRC3_GFX90A:ACCUM_OFFSET: 0
; COMPUTE_PGM_RSRC3_GFX90A:TG_SPLIT: 0
	.section	.text._ZN7rocprim17ROCPRIM_400000_NS6detail17trampoline_kernelINS0_14default_configENS1_27scan_by_key_config_selectorIj11FixedVectorIiLj4EEEEZZNS1_16scan_by_key_implILNS1_25lookback_scan_determinismE0ELb1ES3_N6thrust23THRUST_200600_302600_NS6detail15normal_iteratorINSB_10device_ptrIjEEEENSD_INSE_IS6_EEEESI_S6_NSB_4plusIvEENSB_8equal_toIvEES6_EE10hipError_tPvRmT2_T3_T4_T5_mT6_T7_P12ihipStream_tbENKUlT_T0_E_clISt17integral_constantIbLb1EES12_IbLb0EEEEDaSY_SZ_EUlSY_E_NS1_11comp_targetILNS1_3genE2ELNS1_11target_archE906ELNS1_3gpuE6ELNS1_3repE0EEENS1_30default_config_static_selectorELNS0_4arch9wavefront6targetE1EEEvT1_,"axG",@progbits,_ZN7rocprim17ROCPRIM_400000_NS6detail17trampoline_kernelINS0_14default_configENS1_27scan_by_key_config_selectorIj11FixedVectorIiLj4EEEEZZNS1_16scan_by_key_implILNS1_25lookback_scan_determinismE0ELb1ES3_N6thrust23THRUST_200600_302600_NS6detail15normal_iteratorINSB_10device_ptrIjEEEENSD_INSE_IS6_EEEESI_S6_NSB_4plusIvEENSB_8equal_toIvEES6_EE10hipError_tPvRmT2_T3_T4_T5_mT6_T7_P12ihipStream_tbENKUlT_T0_E_clISt17integral_constantIbLb1EES12_IbLb0EEEEDaSY_SZ_EUlSY_E_NS1_11comp_targetILNS1_3genE2ELNS1_11target_archE906ELNS1_3gpuE6ELNS1_3repE0EEENS1_30default_config_static_selectorELNS0_4arch9wavefront6targetE1EEEvT1_,comdat
	.protected	_ZN7rocprim17ROCPRIM_400000_NS6detail17trampoline_kernelINS0_14default_configENS1_27scan_by_key_config_selectorIj11FixedVectorIiLj4EEEEZZNS1_16scan_by_key_implILNS1_25lookback_scan_determinismE0ELb1ES3_N6thrust23THRUST_200600_302600_NS6detail15normal_iteratorINSB_10device_ptrIjEEEENSD_INSE_IS6_EEEESI_S6_NSB_4plusIvEENSB_8equal_toIvEES6_EE10hipError_tPvRmT2_T3_T4_T5_mT6_T7_P12ihipStream_tbENKUlT_T0_E_clISt17integral_constantIbLb1EES12_IbLb0EEEEDaSY_SZ_EUlSY_E_NS1_11comp_targetILNS1_3genE2ELNS1_11target_archE906ELNS1_3gpuE6ELNS1_3repE0EEENS1_30default_config_static_selectorELNS0_4arch9wavefront6targetE1EEEvT1_ ; -- Begin function _ZN7rocprim17ROCPRIM_400000_NS6detail17trampoline_kernelINS0_14default_configENS1_27scan_by_key_config_selectorIj11FixedVectorIiLj4EEEEZZNS1_16scan_by_key_implILNS1_25lookback_scan_determinismE0ELb1ES3_N6thrust23THRUST_200600_302600_NS6detail15normal_iteratorINSB_10device_ptrIjEEEENSD_INSE_IS6_EEEESI_S6_NSB_4plusIvEENSB_8equal_toIvEES6_EE10hipError_tPvRmT2_T3_T4_T5_mT6_T7_P12ihipStream_tbENKUlT_T0_E_clISt17integral_constantIbLb1EES12_IbLb0EEEEDaSY_SZ_EUlSY_E_NS1_11comp_targetILNS1_3genE2ELNS1_11target_archE906ELNS1_3gpuE6ELNS1_3repE0EEENS1_30default_config_static_selectorELNS0_4arch9wavefront6targetE1EEEvT1_
	.globl	_ZN7rocprim17ROCPRIM_400000_NS6detail17trampoline_kernelINS0_14default_configENS1_27scan_by_key_config_selectorIj11FixedVectorIiLj4EEEEZZNS1_16scan_by_key_implILNS1_25lookback_scan_determinismE0ELb1ES3_N6thrust23THRUST_200600_302600_NS6detail15normal_iteratorINSB_10device_ptrIjEEEENSD_INSE_IS6_EEEESI_S6_NSB_4plusIvEENSB_8equal_toIvEES6_EE10hipError_tPvRmT2_T3_T4_T5_mT6_T7_P12ihipStream_tbENKUlT_T0_E_clISt17integral_constantIbLb1EES12_IbLb0EEEEDaSY_SZ_EUlSY_E_NS1_11comp_targetILNS1_3genE2ELNS1_11target_archE906ELNS1_3gpuE6ELNS1_3repE0EEENS1_30default_config_static_selectorELNS0_4arch9wavefront6targetE1EEEvT1_
	.p2align	8
	.type	_ZN7rocprim17ROCPRIM_400000_NS6detail17trampoline_kernelINS0_14default_configENS1_27scan_by_key_config_selectorIj11FixedVectorIiLj4EEEEZZNS1_16scan_by_key_implILNS1_25lookback_scan_determinismE0ELb1ES3_N6thrust23THRUST_200600_302600_NS6detail15normal_iteratorINSB_10device_ptrIjEEEENSD_INSE_IS6_EEEESI_S6_NSB_4plusIvEENSB_8equal_toIvEES6_EE10hipError_tPvRmT2_T3_T4_T5_mT6_T7_P12ihipStream_tbENKUlT_T0_E_clISt17integral_constantIbLb1EES12_IbLb0EEEEDaSY_SZ_EUlSY_E_NS1_11comp_targetILNS1_3genE2ELNS1_11target_archE906ELNS1_3gpuE6ELNS1_3repE0EEENS1_30default_config_static_selectorELNS0_4arch9wavefront6targetE1EEEvT1_,@function
_ZN7rocprim17ROCPRIM_400000_NS6detail17trampoline_kernelINS0_14default_configENS1_27scan_by_key_config_selectorIj11FixedVectorIiLj4EEEEZZNS1_16scan_by_key_implILNS1_25lookback_scan_determinismE0ELb1ES3_N6thrust23THRUST_200600_302600_NS6detail15normal_iteratorINSB_10device_ptrIjEEEENSD_INSE_IS6_EEEESI_S6_NSB_4plusIvEENSB_8equal_toIvEES6_EE10hipError_tPvRmT2_T3_T4_T5_mT6_T7_P12ihipStream_tbENKUlT_T0_E_clISt17integral_constantIbLb1EES12_IbLb0EEEEDaSY_SZ_EUlSY_E_NS1_11comp_targetILNS1_3genE2ELNS1_11target_archE906ELNS1_3gpuE6ELNS1_3repE0EEENS1_30default_config_static_selectorELNS0_4arch9wavefront6targetE1EEEvT1_: ; @_ZN7rocprim17ROCPRIM_400000_NS6detail17trampoline_kernelINS0_14default_configENS1_27scan_by_key_config_selectorIj11FixedVectorIiLj4EEEEZZNS1_16scan_by_key_implILNS1_25lookback_scan_determinismE0ELb1ES3_N6thrust23THRUST_200600_302600_NS6detail15normal_iteratorINSB_10device_ptrIjEEEENSD_INSE_IS6_EEEESI_S6_NSB_4plusIvEENSB_8equal_toIvEES6_EE10hipError_tPvRmT2_T3_T4_T5_mT6_T7_P12ihipStream_tbENKUlT_T0_E_clISt17integral_constantIbLb1EES12_IbLb0EEEEDaSY_SZ_EUlSY_E_NS1_11comp_targetILNS1_3genE2ELNS1_11target_archE906ELNS1_3gpuE6ELNS1_3repE0EEENS1_30default_config_static_selectorELNS0_4arch9wavefront6targetE1EEEvT1_
; %bb.0:
	.section	.rodata,"a",@progbits
	.p2align	6, 0x0
	.amdhsa_kernel _ZN7rocprim17ROCPRIM_400000_NS6detail17trampoline_kernelINS0_14default_configENS1_27scan_by_key_config_selectorIj11FixedVectorIiLj4EEEEZZNS1_16scan_by_key_implILNS1_25lookback_scan_determinismE0ELb1ES3_N6thrust23THRUST_200600_302600_NS6detail15normal_iteratorINSB_10device_ptrIjEEEENSD_INSE_IS6_EEEESI_S6_NSB_4plusIvEENSB_8equal_toIvEES6_EE10hipError_tPvRmT2_T3_T4_T5_mT6_T7_P12ihipStream_tbENKUlT_T0_E_clISt17integral_constantIbLb1EES12_IbLb0EEEEDaSY_SZ_EUlSY_E_NS1_11comp_targetILNS1_3genE2ELNS1_11target_archE906ELNS1_3gpuE6ELNS1_3repE0EEENS1_30default_config_static_selectorELNS0_4arch9wavefront6targetE1EEEvT1_
		.amdhsa_group_segment_fixed_size 0
		.amdhsa_private_segment_fixed_size 0
		.amdhsa_kernarg_size 144
		.amdhsa_user_sgpr_count 2
		.amdhsa_user_sgpr_dispatch_ptr 0
		.amdhsa_user_sgpr_queue_ptr 0
		.amdhsa_user_sgpr_kernarg_segment_ptr 1
		.amdhsa_user_sgpr_dispatch_id 0
		.amdhsa_user_sgpr_kernarg_preload_length 0
		.amdhsa_user_sgpr_kernarg_preload_offset 0
		.amdhsa_user_sgpr_private_segment_size 0
		.amdhsa_uses_dynamic_stack 0
		.amdhsa_enable_private_segment 0
		.amdhsa_system_sgpr_workgroup_id_x 1
		.amdhsa_system_sgpr_workgroup_id_y 0
		.amdhsa_system_sgpr_workgroup_id_z 0
		.amdhsa_system_sgpr_workgroup_info 0
		.amdhsa_system_vgpr_workitem_id 0
		.amdhsa_next_free_vgpr 1
		.amdhsa_next_free_sgpr 0
		.amdhsa_accum_offset 4
		.amdhsa_reserve_vcc 0
		.amdhsa_float_round_mode_32 0
		.amdhsa_float_round_mode_16_64 0
		.amdhsa_float_denorm_mode_32 3
		.amdhsa_float_denorm_mode_16_64 3
		.amdhsa_dx10_clamp 1
		.amdhsa_ieee_mode 1
		.amdhsa_fp16_overflow 0
		.amdhsa_tg_split 0
		.amdhsa_exception_fp_ieee_invalid_op 0
		.amdhsa_exception_fp_denorm_src 0
		.amdhsa_exception_fp_ieee_div_zero 0
		.amdhsa_exception_fp_ieee_overflow 0
		.amdhsa_exception_fp_ieee_underflow 0
		.amdhsa_exception_fp_ieee_inexact 0
		.amdhsa_exception_int_div_zero 0
	.end_amdhsa_kernel
	.section	.text._ZN7rocprim17ROCPRIM_400000_NS6detail17trampoline_kernelINS0_14default_configENS1_27scan_by_key_config_selectorIj11FixedVectorIiLj4EEEEZZNS1_16scan_by_key_implILNS1_25lookback_scan_determinismE0ELb1ES3_N6thrust23THRUST_200600_302600_NS6detail15normal_iteratorINSB_10device_ptrIjEEEENSD_INSE_IS6_EEEESI_S6_NSB_4plusIvEENSB_8equal_toIvEES6_EE10hipError_tPvRmT2_T3_T4_T5_mT6_T7_P12ihipStream_tbENKUlT_T0_E_clISt17integral_constantIbLb1EES12_IbLb0EEEEDaSY_SZ_EUlSY_E_NS1_11comp_targetILNS1_3genE2ELNS1_11target_archE906ELNS1_3gpuE6ELNS1_3repE0EEENS1_30default_config_static_selectorELNS0_4arch9wavefront6targetE1EEEvT1_,"axG",@progbits,_ZN7rocprim17ROCPRIM_400000_NS6detail17trampoline_kernelINS0_14default_configENS1_27scan_by_key_config_selectorIj11FixedVectorIiLj4EEEEZZNS1_16scan_by_key_implILNS1_25lookback_scan_determinismE0ELb1ES3_N6thrust23THRUST_200600_302600_NS6detail15normal_iteratorINSB_10device_ptrIjEEEENSD_INSE_IS6_EEEESI_S6_NSB_4plusIvEENSB_8equal_toIvEES6_EE10hipError_tPvRmT2_T3_T4_T5_mT6_T7_P12ihipStream_tbENKUlT_T0_E_clISt17integral_constantIbLb1EES12_IbLb0EEEEDaSY_SZ_EUlSY_E_NS1_11comp_targetILNS1_3genE2ELNS1_11target_archE906ELNS1_3gpuE6ELNS1_3repE0EEENS1_30default_config_static_selectorELNS0_4arch9wavefront6targetE1EEEvT1_,comdat
.Lfunc_end2099:
	.size	_ZN7rocprim17ROCPRIM_400000_NS6detail17trampoline_kernelINS0_14default_configENS1_27scan_by_key_config_selectorIj11FixedVectorIiLj4EEEEZZNS1_16scan_by_key_implILNS1_25lookback_scan_determinismE0ELb1ES3_N6thrust23THRUST_200600_302600_NS6detail15normal_iteratorINSB_10device_ptrIjEEEENSD_INSE_IS6_EEEESI_S6_NSB_4plusIvEENSB_8equal_toIvEES6_EE10hipError_tPvRmT2_T3_T4_T5_mT6_T7_P12ihipStream_tbENKUlT_T0_E_clISt17integral_constantIbLb1EES12_IbLb0EEEEDaSY_SZ_EUlSY_E_NS1_11comp_targetILNS1_3genE2ELNS1_11target_archE906ELNS1_3gpuE6ELNS1_3repE0EEENS1_30default_config_static_selectorELNS0_4arch9wavefront6targetE1EEEvT1_, .Lfunc_end2099-_ZN7rocprim17ROCPRIM_400000_NS6detail17trampoline_kernelINS0_14default_configENS1_27scan_by_key_config_selectorIj11FixedVectorIiLj4EEEEZZNS1_16scan_by_key_implILNS1_25lookback_scan_determinismE0ELb1ES3_N6thrust23THRUST_200600_302600_NS6detail15normal_iteratorINSB_10device_ptrIjEEEENSD_INSE_IS6_EEEESI_S6_NSB_4plusIvEENSB_8equal_toIvEES6_EE10hipError_tPvRmT2_T3_T4_T5_mT6_T7_P12ihipStream_tbENKUlT_T0_E_clISt17integral_constantIbLb1EES12_IbLb0EEEEDaSY_SZ_EUlSY_E_NS1_11comp_targetILNS1_3genE2ELNS1_11target_archE906ELNS1_3gpuE6ELNS1_3repE0EEENS1_30default_config_static_selectorELNS0_4arch9wavefront6targetE1EEEvT1_
                                        ; -- End function
	.section	.AMDGPU.csdata,"",@progbits
; Kernel info:
; codeLenInByte = 0
; NumSgprs: 6
; NumVgprs: 0
; NumAgprs: 0
; TotalNumVgprs: 0
; ScratchSize: 0
; MemoryBound: 0
; FloatMode: 240
; IeeeMode: 1
; LDSByteSize: 0 bytes/workgroup (compile time only)
; SGPRBlocks: 0
; VGPRBlocks: 0
; NumSGPRsForWavesPerEU: 6
; NumVGPRsForWavesPerEU: 1
; AccumOffset: 4
; Occupancy: 8
; WaveLimiterHint : 0
; COMPUTE_PGM_RSRC2:SCRATCH_EN: 0
; COMPUTE_PGM_RSRC2:USER_SGPR: 2
; COMPUTE_PGM_RSRC2:TRAP_HANDLER: 0
; COMPUTE_PGM_RSRC2:TGID_X_EN: 1
; COMPUTE_PGM_RSRC2:TGID_Y_EN: 0
; COMPUTE_PGM_RSRC2:TGID_Z_EN: 0
; COMPUTE_PGM_RSRC2:TIDIG_COMP_CNT: 0
; COMPUTE_PGM_RSRC3_GFX90A:ACCUM_OFFSET: 0
; COMPUTE_PGM_RSRC3_GFX90A:TG_SPLIT: 0
	.section	.text._ZN7rocprim17ROCPRIM_400000_NS6detail17trampoline_kernelINS0_14default_configENS1_27scan_by_key_config_selectorIj11FixedVectorIiLj4EEEEZZNS1_16scan_by_key_implILNS1_25lookback_scan_determinismE0ELb1ES3_N6thrust23THRUST_200600_302600_NS6detail15normal_iteratorINSB_10device_ptrIjEEEENSD_INSE_IS6_EEEESI_S6_NSB_4plusIvEENSB_8equal_toIvEES6_EE10hipError_tPvRmT2_T3_T4_T5_mT6_T7_P12ihipStream_tbENKUlT_T0_E_clISt17integral_constantIbLb1EES12_IbLb0EEEEDaSY_SZ_EUlSY_E_NS1_11comp_targetILNS1_3genE10ELNS1_11target_archE1200ELNS1_3gpuE4ELNS1_3repE0EEENS1_30default_config_static_selectorELNS0_4arch9wavefront6targetE1EEEvT1_,"axG",@progbits,_ZN7rocprim17ROCPRIM_400000_NS6detail17trampoline_kernelINS0_14default_configENS1_27scan_by_key_config_selectorIj11FixedVectorIiLj4EEEEZZNS1_16scan_by_key_implILNS1_25lookback_scan_determinismE0ELb1ES3_N6thrust23THRUST_200600_302600_NS6detail15normal_iteratorINSB_10device_ptrIjEEEENSD_INSE_IS6_EEEESI_S6_NSB_4plusIvEENSB_8equal_toIvEES6_EE10hipError_tPvRmT2_T3_T4_T5_mT6_T7_P12ihipStream_tbENKUlT_T0_E_clISt17integral_constantIbLb1EES12_IbLb0EEEEDaSY_SZ_EUlSY_E_NS1_11comp_targetILNS1_3genE10ELNS1_11target_archE1200ELNS1_3gpuE4ELNS1_3repE0EEENS1_30default_config_static_selectorELNS0_4arch9wavefront6targetE1EEEvT1_,comdat
	.protected	_ZN7rocprim17ROCPRIM_400000_NS6detail17trampoline_kernelINS0_14default_configENS1_27scan_by_key_config_selectorIj11FixedVectorIiLj4EEEEZZNS1_16scan_by_key_implILNS1_25lookback_scan_determinismE0ELb1ES3_N6thrust23THRUST_200600_302600_NS6detail15normal_iteratorINSB_10device_ptrIjEEEENSD_INSE_IS6_EEEESI_S6_NSB_4plusIvEENSB_8equal_toIvEES6_EE10hipError_tPvRmT2_T3_T4_T5_mT6_T7_P12ihipStream_tbENKUlT_T0_E_clISt17integral_constantIbLb1EES12_IbLb0EEEEDaSY_SZ_EUlSY_E_NS1_11comp_targetILNS1_3genE10ELNS1_11target_archE1200ELNS1_3gpuE4ELNS1_3repE0EEENS1_30default_config_static_selectorELNS0_4arch9wavefront6targetE1EEEvT1_ ; -- Begin function _ZN7rocprim17ROCPRIM_400000_NS6detail17trampoline_kernelINS0_14default_configENS1_27scan_by_key_config_selectorIj11FixedVectorIiLj4EEEEZZNS1_16scan_by_key_implILNS1_25lookback_scan_determinismE0ELb1ES3_N6thrust23THRUST_200600_302600_NS6detail15normal_iteratorINSB_10device_ptrIjEEEENSD_INSE_IS6_EEEESI_S6_NSB_4plusIvEENSB_8equal_toIvEES6_EE10hipError_tPvRmT2_T3_T4_T5_mT6_T7_P12ihipStream_tbENKUlT_T0_E_clISt17integral_constantIbLb1EES12_IbLb0EEEEDaSY_SZ_EUlSY_E_NS1_11comp_targetILNS1_3genE10ELNS1_11target_archE1200ELNS1_3gpuE4ELNS1_3repE0EEENS1_30default_config_static_selectorELNS0_4arch9wavefront6targetE1EEEvT1_
	.globl	_ZN7rocprim17ROCPRIM_400000_NS6detail17trampoline_kernelINS0_14default_configENS1_27scan_by_key_config_selectorIj11FixedVectorIiLj4EEEEZZNS1_16scan_by_key_implILNS1_25lookback_scan_determinismE0ELb1ES3_N6thrust23THRUST_200600_302600_NS6detail15normal_iteratorINSB_10device_ptrIjEEEENSD_INSE_IS6_EEEESI_S6_NSB_4plusIvEENSB_8equal_toIvEES6_EE10hipError_tPvRmT2_T3_T4_T5_mT6_T7_P12ihipStream_tbENKUlT_T0_E_clISt17integral_constantIbLb1EES12_IbLb0EEEEDaSY_SZ_EUlSY_E_NS1_11comp_targetILNS1_3genE10ELNS1_11target_archE1200ELNS1_3gpuE4ELNS1_3repE0EEENS1_30default_config_static_selectorELNS0_4arch9wavefront6targetE1EEEvT1_
	.p2align	8
	.type	_ZN7rocprim17ROCPRIM_400000_NS6detail17trampoline_kernelINS0_14default_configENS1_27scan_by_key_config_selectorIj11FixedVectorIiLj4EEEEZZNS1_16scan_by_key_implILNS1_25lookback_scan_determinismE0ELb1ES3_N6thrust23THRUST_200600_302600_NS6detail15normal_iteratorINSB_10device_ptrIjEEEENSD_INSE_IS6_EEEESI_S6_NSB_4plusIvEENSB_8equal_toIvEES6_EE10hipError_tPvRmT2_T3_T4_T5_mT6_T7_P12ihipStream_tbENKUlT_T0_E_clISt17integral_constantIbLb1EES12_IbLb0EEEEDaSY_SZ_EUlSY_E_NS1_11comp_targetILNS1_3genE10ELNS1_11target_archE1200ELNS1_3gpuE4ELNS1_3repE0EEENS1_30default_config_static_selectorELNS0_4arch9wavefront6targetE1EEEvT1_,@function
_ZN7rocprim17ROCPRIM_400000_NS6detail17trampoline_kernelINS0_14default_configENS1_27scan_by_key_config_selectorIj11FixedVectorIiLj4EEEEZZNS1_16scan_by_key_implILNS1_25lookback_scan_determinismE0ELb1ES3_N6thrust23THRUST_200600_302600_NS6detail15normal_iteratorINSB_10device_ptrIjEEEENSD_INSE_IS6_EEEESI_S6_NSB_4plusIvEENSB_8equal_toIvEES6_EE10hipError_tPvRmT2_T3_T4_T5_mT6_T7_P12ihipStream_tbENKUlT_T0_E_clISt17integral_constantIbLb1EES12_IbLb0EEEEDaSY_SZ_EUlSY_E_NS1_11comp_targetILNS1_3genE10ELNS1_11target_archE1200ELNS1_3gpuE4ELNS1_3repE0EEENS1_30default_config_static_selectorELNS0_4arch9wavefront6targetE1EEEvT1_: ; @_ZN7rocprim17ROCPRIM_400000_NS6detail17trampoline_kernelINS0_14default_configENS1_27scan_by_key_config_selectorIj11FixedVectorIiLj4EEEEZZNS1_16scan_by_key_implILNS1_25lookback_scan_determinismE0ELb1ES3_N6thrust23THRUST_200600_302600_NS6detail15normal_iteratorINSB_10device_ptrIjEEEENSD_INSE_IS6_EEEESI_S6_NSB_4plusIvEENSB_8equal_toIvEES6_EE10hipError_tPvRmT2_T3_T4_T5_mT6_T7_P12ihipStream_tbENKUlT_T0_E_clISt17integral_constantIbLb1EES12_IbLb0EEEEDaSY_SZ_EUlSY_E_NS1_11comp_targetILNS1_3genE10ELNS1_11target_archE1200ELNS1_3gpuE4ELNS1_3repE0EEENS1_30default_config_static_selectorELNS0_4arch9wavefront6targetE1EEEvT1_
; %bb.0:
	.section	.rodata,"a",@progbits
	.p2align	6, 0x0
	.amdhsa_kernel _ZN7rocprim17ROCPRIM_400000_NS6detail17trampoline_kernelINS0_14default_configENS1_27scan_by_key_config_selectorIj11FixedVectorIiLj4EEEEZZNS1_16scan_by_key_implILNS1_25lookback_scan_determinismE0ELb1ES3_N6thrust23THRUST_200600_302600_NS6detail15normal_iteratorINSB_10device_ptrIjEEEENSD_INSE_IS6_EEEESI_S6_NSB_4plusIvEENSB_8equal_toIvEES6_EE10hipError_tPvRmT2_T3_T4_T5_mT6_T7_P12ihipStream_tbENKUlT_T0_E_clISt17integral_constantIbLb1EES12_IbLb0EEEEDaSY_SZ_EUlSY_E_NS1_11comp_targetILNS1_3genE10ELNS1_11target_archE1200ELNS1_3gpuE4ELNS1_3repE0EEENS1_30default_config_static_selectorELNS0_4arch9wavefront6targetE1EEEvT1_
		.amdhsa_group_segment_fixed_size 0
		.amdhsa_private_segment_fixed_size 0
		.amdhsa_kernarg_size 144
		.amdhsa_user_sgpr_count 2
		.amdhsa_user_sgpr_dispatch_ptr 0
		.amdhsa_user_sgpr_queue_ptr 0
		.amdhsa_user_sgpr_kernarg_segment_ptr 1
		.amdhsa_user_sgpr_dispatch_id 0
		.amdhsa_user_sgpr_kernarg_preload_length 0
		.amdhsa_user_sgpr_kernarg_preload_offset 0
		.amdhsa_user_sgpr_private_segment_size 0
		.amdhsa_uses_dynamic_stack 0
		.amdhsa_enable_private_segment 0
		.amdhsa_system_sgpr_workgroup_id_x 1
		.amdhsa_system_sgpr_workgroup_id_y 0
		.amdhsa_system_sgpr_workgroup_id_z 0
		.amdhsa_system_sgpr_workgroup_info 0
		.amdhsa_system_vgpr_workitem_id 0
		.amdhsa_next_free_vgpr 1
		.amdhsa_next_free_sgpr 0
		.amdhsa_accum_offset 4
		.amdhsa_reserve_vcc 0
		.amdhsa_float_round_mode_32 0
		.amdhsa_float_round_mode_16_64 0
		.amdhsa_float_denorm_mode_32 3
		.amdhsa_float_denorm_mode_16_64 3
		.amdhsa_dx10_clamp 1
		.amdhsa_ieee_mode 1
		.amdhsa_fp16_overflow 0
		.amdhsa_tg_split 0
		.amdhsa_exception_fp_ieee_invalid_op 0
		.amdhsa_exception_fp_denorm_src 0
		.amdhsa_exception_fp_ieee_div_zero 0
		.amdhsa_exception_fp_ieee_overflow 0
		.amdhsa_exception_fp_ieee_underflow 0
		.amdhsa_exception_fp_ieee_inexact 0
		.amdhsa_exception_int_div_zero 0
	.end_amdhsa_kernel
	.section	.text._ZN7rocprim17ROCPRIM_400000_NS6detail17trampoline_kernelINS0_14default_configENS1_27scan_by_key_config_selectorIj11FixedVectorIiLj4EEEEZZNS1_16scan_by_key_implILNS1_25lookback_scan_determinismE0ELb1ES3_N6thrust23THRUST_200600_302600_NS6detail15normal_iteratorINSB_10device_ptrIjEEEENSD_INSE_IS6_EEEESI_S6_NSB_4plusIvEENSB_8equal_toIvEES6_EE10hipError_tPvRmT2_T3_T4_T5_mT6_T7_P12ihipStream_tbENKUlT_T0_E_clISt17integral_constantIbLb1EES12_IbLb0EEEEDaSY_SZ_EUlSY_E_NS1_11comp_targetILNS1_3genE10ELNS1_11target_archE1200ELNS1_3gpuE4ELNS1_3repE0EEENS1_30default_config_static_selectorELNS0_4arch9wavefront6targetE1EEEvT1_,"axG",@progbits,_ZN7rocprim17ROCPRIM_400000_NS6detail17trampoline_kernelINS0_14default_configENS1_27scan_by_key_config_selectorIj11FixedVectorIiLj4EEEEZZNS1_16scan_by_key_implILNS1_25lookback_scan_determinismE0ELb1ES3_N6thrust23THRUST_200600_302600_NS6detail15normal_iteratorINSB_10device_ptrIjEEEENSD_INSE_IS6_EEEESI_S6_NSB_4plusIvEENSB_8equal_toIvEES6_EE10hipError_tPvRmT2_T3_T4_T5_mT6_T7_P12ihipStream_tbENKUlT_T0_E_clISt17integral_constantIbLb1EES12_IbLb0EEEEDaSY_SZ_EUlSY_E_NS1_11comp_targetILNS1_3genE10ELNS1_11target_archE1200ELNS1_3gpuE4ELNS1_3repE0EEENS1_30default_config_static_selectorELNS0_4arch9wavefront6targetE1EEEvT1_,comdat
.Lfunc_end2100:
	.size	_ZN7rocprim17ROCPRIM_400000_NS6detail17trampoline_kernelINS0_14default_configENS1_27scan_by_key_config_selectorIj11FixedVectorIiLj4EEEEZZNS1_16scan_by_key_implILNS1_25lookback_scan_determinismE0ELb1ES3_N6thrust23THRUST_200600_302600_NS6detail15normal_iteratorINSB_10device_ptrIjEEEENSD_INSE_IS6_EEEESI_S6_NSB_4plusIvEENSB_8equal_toIvEES6_EE10hipError_tPvRmT2_T3_T4_T5_mT6_T7_P12ihipStream_tbENKUlT_T0_E_clISt17integral_constantIbLb1EES12_IbLb0EEEEDaSY_SZ_EUlSY_E_NS1_11comp_targetILNS1_3genE10ELNS1_11target_archE1200ELNS1_3gpuE4ELNS1_3repE0EEENS1_30default_config_static_selectorELNS0_4arch9wavefront6targetE1EEEvT1_, .Lfunc_end2100-_ZN7rocprim17ROCPRIM_400000_NS6detail17trampoline_kernelINS0_14default_configENS1_27scan_by_key_config_selectorIj11FixedVectorIiLj4EEEEZZNS1_16scan_by_key_implILNS1_25lookback_scan_determinismE0ELb1ES3_N6thrust23THRUST_200600_302600_NS6detail15normal_iteratorINSB_10device_ptrIjEEEENSD_INSE_IS6_EEEESI_S6_NSB_4plusIvEENSB_8equal_toIvEES6_EE10hipError_tPvRmT2_T3_T4_T5_mT6_T7_P12ihipStream_tbENKUlT_T0_E_clISt17integral_constantIbLb1EES12_IbLb0EEEEDaSY_SZ_EUlSY_E_NS1_11comp_targetILNS1_3genE10ELNS1_11target_archE1200ELNS1_3gpuE4ELNS1_3repE0EEENS1_30default_config_static_selectorELNS0_4arch9wavefront6targetE1EEEvT1_
                                        ; -- End function
	.section	.AMDGPU.csdata,"",@progbits
; Kernel info:
; codeLenInByte = 0
; NumSgprs: 6
; NumVgprs: 0
; NumAgprs: 0
; TotalNumVgprs: 0
; ScratchSize: 0
; MemoryBound: 0
; FloatMode: 240
; IeeeMode: 1
; LDSByteSize: 0 bytes/workgroup (compile time only)
; SGPRBlocks: 0
; VGPRBlocks: 0
; NumSGPRsForWavesPerEU: 6
; NumVGPRsForWavesPerEU: 1
; AccumOffset: 4
; Occupancy: 8
; WaveLimiterHint : 0
; COMPUTE_PGM_RSRC2:SCRATCH_EN: 0
; COMPUTE_PGM_RSRC2:USER_SGPR: 2
; COMPUTE_PGM_RSRC2:TRAP_HANDLER: 0
; COMPUTE_PGM_RSRC2:TGID_X_EN: 1
; COMPUTE_PGM_RSRC2:TGID_Y_EN: 0
; COMPUTE_PGM_RSRC2:TGID_Z_EN: 0
; COMPUTE_PGM_RSRC2:TIDIG_COMP_CNT: 0
; COMPUTE_PGM_RSRC3_GFX90A:ACCUM_OFFSET: 0
; COMPUTE_PGM_RSRC3_GFX90A:TG_SPLIT: 0
	.section	.text._ZN7rocprim17ROCPRIM_400000_NS6detail17trampoline_kernelINS0_14default_configENS1_27scan_by_key_config_selectorIj11FixedVectorIiLj4EEEEZZNS1_16scan_by_key_implILNS1_25lookback_scan_determinismE0ELb1ES3_N6thrust23THRUST_200600_302600_NS6detail15normal_iteratorINSB_10device_ptrIjEEEENSD_INSE_IS6_EEEESI_S6_NSB_4plusIvEENSB_8equal_toIvEES6_EE10hipError_tPvRmT2_T3_T4_T5_mT6_T7_P12ihipStream_tbENKUlT_T0_E_clISt17integral_constantIbLb1EES12_IbLb0EEEEDaSY_SZ_EUlSY_E_NS1_11comp_targetILNS1_3genE9ELNS1_11target_archE1100ELNS1_3gpuE3ELNS1_3repE0EEENS1_30default_config_static_selectorELNS0_4arch9wavefront6targetE1EEEvT1_,"axG",@progbits,_ZN7rocprim17ROCPRIM_400000_NS6detail17trampoline_kernelINS0_14default_configENS1_27scan_by_key_config_selectorIj11FixedVectorIiLj4EEEEZZNS1_16scan_by_key_implILNS1_25lookback_scan_determinismE0ELb1ES3_N6thrust23THRUST_200600_302600_NS6detail15normal_iteratorINSB_10device_ptrIjEEEENSD_INSE_IS6_EEEESI_S6_NSB_4plusIvEENSB_8equal_toIvEES6_EE10hipError_tPvRmT2_T3_T4_T5_mT6_T7_P12ihipStream_tbENKUlT_T0_E_clISt17integral_constantIbLb1EES12_IbLb0EEEEDaSY_SZ_EUlSY_E_NS1_11comp_targetILNS1_3genE9ELNS1_11target_archE1100ELNS1_3gpuE3ELNS1_3repE0EEENS1_30default_config_static_selectorELNS0_4arch9wavefront6targetE1EEEvT1_,comdat
	.protected	_ZN7rocprim17ROCPRIM_400000_NS6detail17trampoline_kernelINS0_14default_configENS1_27scan_by_key_config_selectorIj11FixedVectorIiLj4EEEEZZNS1_16scan_by_key_implILNS1_25lookback_scan_determinismE0ELb1ES3_N6thrust23THRUST_200600_302600_NS6detail15normal_iteratorINSB_10device_ptrIjEEEENSD_INSE_IS6_EEEESI_S6_NSB_4plusIvEENSB_8equal_toIvEES6_EE10hipError_tPvRmT2_T3_T4_T5_mT6_T7_P12ihipStream_tbENKUlT_T0_E_clISt17integral_constantIbLb1EES12_IbLb0EEEEDaSY_SZ_EUlSY_E_NS1_11comp_targetILNS1_3genE9ELNS1_11target_archE1100ELNS1_3gpuE3ELNS1_3repE0EEENS1_30default_config_static_selectorELNS0_4arch9wavefront6targetE1EEEvT1_ ; -- Begin function _ZN7rocprim17ROCPRIM_400000_NS6detail17trampoline_kernelINS0_14default_configENS1_27scan_by_key_config_selectorIj11FixedVectorIiLj4EEEEZZNS1_16scan_by_key_implILNS1_25lookback_scan_determinismE0ELb1ES3_N6thrust23THRUST_200600_302600_NS6detail15normal_iteratorINSB_10device_ptrIjEEEENSD_INSE_IS6_EEEESI_S6_NSB_4plusIvEENSB_8equal_toIvEES6_EE10hipError_tPvRmT2_T3_T4_T5_mT6_T7_P12ihipStream_tbENKUlT_T0_E_clISt17integral_constantIbLb1EES12_IbLb0EEEEDaSY_SZ_EUlSY_E_NS1_11comp_targetILNS1_3genE9ELNS1_11target_archE1100ELNS1_3gpuE3ELNS1_3repE0EEENS1_30default_config_static_selectorELNS0_4arch9wavefront6targetE1EEEvT1_
	.globl	_ZN7rocprim17ROCPRIM_400000_NS6detail17trampoline_kernelINS0_14default_configENS1_27scan_by_key_config_selectorIj11FixedVectorIiLj4EEEEZZNS1_16scan_by_key_implILNS1_25lookback_scan_determinismE0ELb1ES3_N6thrust23THRUST_200600_302600_NS6detail15normal_iteratorINSB_10device_ptrIjEEEENSD_INSE_IS6_EEEESI_S6_NSB_4plusIvEENSB_8equal_toIvEES6_EE10hipError_tPvRmT2_T3_T4_T5_mT6_T7_P12ihipStream_tbENKUlT_T0_E_clISt17integral_constantIbLb1EES12_IbLb0EEEEDaSY_SZ_EUlSY_E_NS1_11comp_targetILNS1_3genE9ELNS1_11target_archE1100ELNS1_3gpuE3ELNS1_3repE0EEENS1_30default_config_static_selectorELNS0_4arch9wavefront6targetE1EEEvT1_
	.p2align	8
	.type	_ZN7rocprim17ROCPRIM_400000_NS6detail17trampoline_kernelINS0_14default_configENS1_27scan_by_key_config_selectorIj11FixedVectorIiLj4EEEEZZNS1_16scan_by_key_implILNS1_25lookback_scan_determinismE0ELb1ES3_N6thrust23THRUST_200600_302600_NS6detail15normal_iteratorINSB_10device_ptrIjEEEENSD_INSE_IS6_EEEESI_S6_NSB_4plusIvEENSB_8equal_toIvEES6_EE10hipError_tPvRmT2_T3_T4_T5_mT6_T7_P12ihipStream_tbENKUlT_T0_E_clISt17integral_constantIbLb1EES12_IbLb0EEEEDaSY_SZ_EUlSY_E_NS1_11comp_targetILNS1_3genE9ELNS1_11target_archE1100ELNS1_3gpuE3ELNS1_3repE0EEENS1_30default_config_static_selectorELNS0_4arch9wavefront6targetE1EEEvT1_,@function
_ZN7rocprim17ROCPRIM_400000_NS6detail17trampoline_kernelINS0_14default_configENS1_27scan_by_key_config_selectorIj11FixedVectorIiLj4EEEEZZNS1_16scan_by_key_implILNS1_25lookback_scan_determinismE0ELb1ES3_N6thrust23THRUST_200600_302600_NS6detail15normal_iteratorINSB_10device_ptrIjEEEENSD_INSE_IS6_EEEESI_S6_NSB_4plusIvEENSB_8equal_toIvEES6_EE10hipError_tPvRmT2_T3_T4_T5_mT6_T7_P12ihipStream_tbENKUlT_T0_E_clISt17integral_constantIbLb1EES12_IbLb0EEEEDaSY_SZ_EUlSY_E_NS1_11comp_targetILNS1_3genE9ELNS1_11target_archE1100ELNS1_3gpuE3ELNS1_3repE0EEENS1_30default_config_static_selectorELNS0_4arch9wavefront6targetE1EEEvT1_: ; @_ZN7rocprim17ROCPRIM_400000_NS6detail17trampoline_kernelINS0_14default_configENS1_27scan_by_key_config_selectorIj11FixedVectorIiLj4EEEEZZNS1_16scan_by_key_implILNS1_25lookback_scan_determinismE0ELb1ES3_N6thrust23THRUST_200600_302600_NS6detail15normal_iteratorINSB_10device_ptrIjEEEENSD_INSE_IS6_EEEESI_S6_NSB_4plusIvEENSB_8equal_toIvEES6_EE10hipError_tPvRmT2_T3_T4_T5_mT6_T7_P12ihipStream_tbENKUlT_T0_E_clISt17integral_constantIbLb1EES12_IbLb0EEEEDaSY_SZ_EUlSY_E_NS1_11comp_targetILNS1_3genE9ELNS1_11target_archE1100ELNS1_3gpuE3ELNS1_3repE0EEENS1_30default_config_static_selectorELNS0_4arch9wavefront6targetE1EEEvT1_
; %bb.0:
	.section	.rodata,"a",@progbits
	.p2align	6, 0x0
	.amdhsa_kernel _ZN7rocprim17ROCPRIM_400000_NS6detail17trampoline_kernelINS0_14default_configENS1_27scan_by_key_config_selectorIj11FixedVectorIiLj4EEEEZZNS1_16scan_by_key_implILNS1_25lookback_scan_determinismE0ELb1ES3_N6thrust23THRUST_200600_302600_NS6detail15normal_iteratorINSB_10device_ptrIjEEEENSD_INSE_IS6_EEEESI_S6_NSB_4plusIvEENSB_8equal_toIvEES6_EE10hipError_tPvRmT2_T3_T4_T5_mT6_T7_P12ihipStream_tbENKUlT_T0_E_clISt17integral_constantIbLb1EES12_IbLb0EEEEDaSY_SZ_EUlSY_E_NS1_11comp_targetILNS1_3genE9ELNS1_11target_archE1100ELNS1_3gpuE3ELNS1_3repE0EEENS1_30default_config_static_selectorELNS0_4arch9wavefront6targetE1EEEvT1_
		.amdhsa_group_segment_fixed_size 0
		.amdhsa_private_segment_fixed_size 0
		.amdhsa_kernarg_size 144
		.amdhsa_user_sgpr_count 2
		.amdhsa_user_sgpr_dispatch_ptr 0
		.amdhsa_user_sgpr_queue_ptr 0
		.amdhsa_user_sgpr_kernarg_segment_ptr 1
		.amdhsa_user_sgpr_dispatch_id 0
		.amdhsa_user_sgpr_kernarg_preload_length 0
		.amdhsa_user_sgpr_kernarg_preload_offset 0
		.amdhsa_user_sgpr_private_segment_size 0
		.amdhsa_uses_dynamic_stack 0
		.amdhsa_enable_private_segment 0
		.amdhsa_system_sgpr_workgroup_id_x 1
		.amdhsa_system_sgpr_workgroup_id_y 0
		.amdhsa_system_sgpr_workgroup_id_z 0
		.amdhsa_system_sgpr_workgroup_info 0
		.amdhsa_system_vgpr_workitem_id 0
		.amdhsa_next_free_vgpr 1
		.amdhsa_next_free_sgpr 0
		.amdhsa_accum_offset 4
		.amdhsa_reserve_vcc 0
		.amdhsa_float_round_mode_32 0
		.amdhsa_float_round_mode_16_64 0
		.amdhsa_float_denorm_mode_32 3
		.amdhsa_float_denorm_mode_16_64 3
		.amdhsa_dx10_clamp 1
		.amdhsa_ieee_mode 1
		.amdhsa_fp16_overflow 0
		.amdhsa_tg_split 0
		.amdhsa_exception_fp_ieee_invalid_op 0
		.amdhsa_exception_fp_denorm_src 0
		.amdhsa_exception_fp_ieee_div_zero 0
		.amdhsa_exception_fp_ieee_overflow 0
		.amdhsa_exception_fp_ieee_underflow 0
		.amdhsa_exception_fp_ieee_inexact 0
		.amdhsa_exception_int_div_zero 0
	.end_amdhsa_kernel
	.section	.text._ZN7rocprim17ROCPRIM_400000_NS6detail17trampoline_kernelINS0_14default_configENS1_27scan_by_key_config_selectorIj11FixedVectorIiLj4EEEEZZNS1_16scan_by_key_implILNS1_25lookback_scan_determinismE0ELb1ES3_N6thrust23THRUST_200600_302600_NS6detail15normal_iteratorINSB_10device_ptrIjEEEENSD_INSE_IS6_EEEESI_S6_NSB_4plusIvEENSB_8equal_toIvEES6_EE10hipError_tPvRmT2_T3_T4_T5_mT6_T7_P12ihipStream_tbENKUlT_T0_E_clISt17integral_constantIbLb1EES12_IbLb0EEEEDaSY_SZ_EUlSY_E_NS1_11comp_targetILNS1_3genE9ELNS1_11target_archE1100ELNS1_3gpuE3ELNS1_3repE0EEENS1_30default_config_static_selectorELNS0_4arch9wavefront6targetE1EEEvT1_,"axG",@progbits,_ZN7rocprim17ROCPRIM_400000_NS6detail17trampoline_kernelINS0_14default_configENS1_27scan_by_key_config_selectorIj11FixedVectorIiLj4EEEEZZNS1_16scan_by_key_implILNS1_25lookback_scan_determinismE0ELb1ES3_N6thrust23THRUST_200600_302600_NS6detail15normal_iteratorINSB_10device_ptrIjEEEENSD_INSE_IS6_EEEESI_S6_NSB_4plusIvEENSB_8equal_toIvEES6_EE10hipError_tPvRmT2_T3_T4_T5_mT6_T7_P12ihipStream_tbENKUlT_T0_E_clISt17integral_constantIbLb1EES12_IbLb0EEEEDaSY_SZ_EUlSY_E_NS1_11comp_targetILNS1_3genE9ELNS1_11target_archE1100ELNS1_3gpuE3ELNS1_3repE0EEENS1_30default_config_static_selectorELNS0_4arch9wavefront6targetE1EEEvT1_,comdat
.Lfunc_end2101:
	.size	_ZN7rocprim17ROCPRIM_400000_NS6detail17trampoline_kernelINS0_14default_configENS1_27scan_by_key_config_selectorIj11FixedVectorIiLj4EEEEZZNS1_16scan_by_key_implILNS1_25lookback_scan_determinismE0ELb1ES3_N6thrust23THRUST_200600_302600_NS6detail15normal_iteratorINSB_10device_ptrIjEEEENSD_INSE_IS6_EEEESI_S6_NSB_4plusIvEENSB_8equal_toIvEES6_EE10hipError_tPvRmT2_T3_T4_T5_mT6_T7_P12ihipStream_tbENKUlT_T0_E_clISt17integral_constantIbLb1EES12_IbLb0EEEEDaSY_SZ_EUlSY_E_NS1_11comp_targetILNS1_3genE9ELNS1_11target_archE1100ELNS1_3gpuE3ELNS1_3repE0EEENS1_30default_config_static_selectorELNS0_4arch9wavefront6targetE1EEEvT1_, .Lfunc_end2101-_ZN7rocprim17ROCPRIM_400000_NS6detail17trampoline_kernelINS0_14default_configENS1_27scan_by_key_config_selectorIj11FixedVectorIiLj4EEEEZZNS1_16scan_by_key_implILNS1_25lookback_scan_determinismE0ELb1ES3_N6thrust23THRUST_200600_302600_NS6detail15normal_iteratorINSB_10device_ptrIjEEEENSD_INSE_IS6_EEEESI_S6_NSB_4plusIvEENSB_8equal_toIvEES6_EE10hipError_tPvRmT2_T3_T4_T5_mT6_T7_P12ihipStream_tbENKUlT_T0_E_clISt17integral_constantIbLb1EES12_IbLb0EEEEDaSY_SZ_EUlSY_E_NS1_11comp_targetILNS1_3genE9ELNS1_11target_archE1100ELNS1_3gpuE3ELNS1_3repE0EEENS1_30default_config_static_selectorELNS0_4arch9wavefront6targetE1EEEvT1_
                                        ; -- End function
	.section	.AMDGPU.csdata,"",@progbits
; Kernel info:
; codeLenInByte = 0
; NumSgprs: 6
; NumVgprs: 0
; NumAgprs: 0
; TotalNumVgprs: 0
; ScratchSize: 0
; MemoryBound: 0
; FloatMode: 240
; IeeeMode: 1
; LDSByteSize: 0 bytes/workgroup (compile time only)
; SGPRBlocks: 0
; VGPRBlocks: 0
; NumSGPRsForWavesPerEU: 6
; NumVGPRsForWavesPerEU: 1
; AccumOffset: 4
; Occupancy: 8
; WaveLimiterHint : 0
; COMPUTE_PGM_RSRC2:SCRATCH_EN: 0
; COMPUTE_PGM_RSRC2:USER_SGPR: 2
; COMPUTE_PGM_RSRC2:TRAP_HANDLER: 0
; COMPUTE_PGM_RSRC2:TGID_X_EN: 1
; COMPUTE_PGM_RSRC2:TGID_Y_EN: 0
; COMPUTE_PGM_RSRC2:TGID_Z_EN: 0
; COMPUTE_PGM_RSRC2:TIDIG_COMP_CNT: 0
; COMPUTE_PGM_RSRC3_GFX90A:ACCUM_OFFSET: 0
; COMPUTE_PGM_RSRC3_GFX90A:TG_SPLIT: 0
	.section	.text._ZN7rocprim17ROCPRIM_400000_NS6detail17trampoline_kernelINS0_14default_configENS1_27scan_by_key_config_selectorIj11FixedVectorIiLj4EEEEZZNS1_16scan_by_key_implILNS1_25lookback_scan_determinismE0ELb1ES3_N6thrust23THRUST_200600_302600_NS6detail15normal_iteratorINSB_10device_ptrIjEEEENSD_INSE_IS6_EEEESI_S6_NSB_4plusIvEENSB_8equal_toIvEES6_EE10hipError_tPvRmT2_T3_T4_T5_mT6_T7_P12ihipStream_tbENKUlT_T0_E_clISt17integral_constantIbLb1EES12_IbLb0EEEEDaSY_SZ_EUlSY_E_NS1_11comp_targetILNS1_3genE8ELNS1_11target_archE1030ELNS1_3gpuE2ELNS1_3repE0EEENS1_30default_config_static_selectorELNS0_4arch9wavefront6targetE1EEEvT1_,"axG",@progbits,_ZN7rocprim17ROCPRIM_400000_NS6detail17trampoline_kernelINS0_14default_configENS1_27scan_by_key_config_selectorIj11FixedVectorIiLj4EEEEZZNS1_16scan_by_key_implILNS1_25lookback_scan_determinismE0ELb1ES3_N6thrust23THRUST_200600_302600_NS6detail15normal_iteratorINSB_10device_ptrIjEEEENSD_INSE_IS6_EEEESI_S6_NSB_4plusIvEENSB_8equal_toIvEES6_EE10hipError_tPvRmT2_T3_T4_T5_mT6_T7_P12ihipStream_tbENKUlT_T0_E_clISt17integral_constantIbLb1EES12_IbLb0EEEEDaSY_SZ_EUlSY_E_NS1_11comp_targetILNS1_3genE8ELNS1_11target_archE1030ELNS1_3gpuE2ELNS1_3repE0EEENS1_30default_config_static_selectorELNS0_4arch9wavefront6targetE1EEEvT1_,comdat
	.protected	_ZN7rocprim17ROCPRIM_400000_NS6detail17trampoline_kernelINS0_14default_configENS1_27scan_by_key_config_selectorIj11FixedVectorIiLj4EEEEZZNS1_16scan_by_key_implILNS1_25lookback_scan_determinismE0ELb1ES3_N6thrust23THRUST_200600_302600_NS6detail15normal_iteratorINSB_10device_ptrIjEEEENSD_INSE_IS6_EEEESI_S6_NSB_4plusIvEENSB_8equal_toIvEES6_EE10hipError_tPvRmT2_T3_T4_T5_mT6_T7_P12ihipStream_tbENKUlT_T0_E_clISt17integral_constantIbLb1EES12_IbLb0EEEEDaSY_SZ_EUlSY_E_NS1_11comp_targetILNS1_3genE8ELNS1_11target_archE1030ELNS1_3gpuE2ELNS1_3repE0EEENS1_30default_config_static_selectorELNS0_4arch9wavefront6targetE1EEEvT1_ ; -- Begin function _ZN7rocprim17ROCPRIM_400000_NS6detail17trampoline_kernelINS0_14default_configENS1_27scan_by_key_config_selectorIj11FixedVectorIiLj4EEEEZZNS1_16scan_by_key_implILNS1_25lookback_scan_determinismE0ELb1ES3_N6thrust23THRUST_200600_302600_NS6detail15normal_iteratorINSB_10device_ptrIjEEEENSD_INSE_IS6_EEEESI_S6_NSB_4plusIvEENSB_8equal_toIvEES6_EE10hipError_tPvRmT2_T3_T4_T5_mT6_T7_P12ihipStream_tbENKUlT_T0_E_clISt17integral_constantIbLb1EES12_IbLb0EEEEDaSY_SZ_EUlSY_E_NS1_11comp_targetILNS1_3genE8ELNS1_11target_archE1030ELNS1_3gpuE2ELNS1_3repE0EEENS1_30default_config_static_selectorELNS0_4arch9wavefront6targetE1EEEvT1_
	.globl	_ZN7rocprim17ROCPRIM_400000_NS6detail17trampoline_kernelINS0_14default_configENS1_27scan_by_key_config_selectorIj11FixedVectorIiLj4EEEEZZNS1_16scan_by_key_implILNS1_25lookback_scan_determinismE0ELb1ES3_N6thrust23THRUST_200600_302600_NS6detail15normal_iteratorINSB_10device_ptrIjEEEENSD_INSE_IS6_EEEESI_S6_NSB_4plusIvEENSB_8equal_toIvEES6_EE10hipError_tPvRmT2_T3_T4_T5_mT6_T7_P12ihipStream_tbENKUlT_T0_E_clISt17integral_constantIbLb1EES12_IbLb0EEEEDaSY_SZ_EUlSY_E_NS1_11comp_targetILNS1_3genE8ELNS1_11target_archE1030ELNS1_3gpuE2ELNS1_3repE0EEENS1_30default_config_static_selectorELNS0_4arch9wavefront6targetE1EEEvT1_
	.p2align	8
	.type	_ZN7rocprim17ROCPRIM_400000_NS6detail17trampoline_kernelINS0_14default_configENS1_27scan_by_key_config_selectorIj11FixedVectorIiLj4EEEEZZNS1_16scan_by_key_implILNS1_25lookback_scan_determinismE0ELb1ES3_N6thrust23THRUST_200600_302600_NS6detail15normal_iteratorINSB_10device_ptrIjEEEENSD_INSE_IS6_EEEESI_S6_NSB_4plusIvEENSB_8equal_toIvEES6_EE10hipError_tPvRmT2_T3_T4_T5_mT6_T7_P12ihipStream_tbENKUlT_T0_E_clISt17integral_constantIbLb1EES12_IbLb0EEEEDaSY_SZ_EUlSY_E_NS1_11comp_targetILNS1_3genE8ELNS1_11target_archE1030ELNS1_3gpuE2ELNS1_3repE0EEENS1_30default_config_static_selectorELNS0_4arch9wavefront6targetE1EEEvT1_,@function
_ZN7rocprim17ROCPRIM_400000_NS6detail17trampoline_kernelINS0_14default_configENS1_27scan_by_key_config_selectorIj11FixedVectorIiLj4EEEEZZNS1_16scan_by_key_implILNS1_25lookback_scan_determinismE0ELb1ES3_N6thrust23THRUST_200600_302600_NS6detail15normal_iteratorINSB_10device_ptrIjEEEENSD_INSE_IS6_EEEESI_S6_NSB_4plusIvEENSB_8equal_toIvEES6_EE10hipError_tPvRmT2_T3_T4_T5_mT6_T7_P12ihipStream_tbENKUlT_T0_E_clISt17integral_constantIbLb1EES12_IbLb0EEEEDaSY_SZ_EUlSY_E_NS1_11comp_targetILNS1_3genE8ELNS1_11target_archE1030ELNS1_3gpuE2ELNS1_3repE0EEENS1_30default_config_static_selectorELNS0_4arch9wavefront6targetE1EEEvT1_: ; @_ZN7rocprim17ROCPRIM_400000_NS6detail17trampoline_kernelINS0_14default_configENS1_27scan_by_key_config_selectorIj11FixedVectorIiLj4EEEEZZNS1_16scan_by_key_implILNS1_25lookback_scan_determinismE0ELb1ES3_N6thrust23THRUST_200600_302600_NS6detail15normal_iteratorINSB_10device_ptrIjEEEENSD_INSE_IS6_EEEESI_S6_NSB_4plusIvEENSB_8equal_toIvEES6_EE10hipError_tPvRmT2_T3_T4_T5_mT6_T7_P12ihipStream_tbENKUlT_T0_E_clISt17integral_constantIbLb1EES12_IbLb0EEEEDaSY_SZ_EUlSY_E_NS1_11comp_targetILNS1_3genE8ELNS1_11target_archE1030ELNS1_3gpuE2ELNS1_3repE0EEENS1_30default_config_static_selectorELNS0_4arch9wavefront6targetE1EEEvT1_
; %bb.0:
	.section	.rodata,"a",@progbits
	.p2align	6, 0x0
	.amdhsa_kernel _ZN7rocprim17ROCPRIM_400000_NS6detail17trampoline_kernelINS0_14default_configENS1_27scan_by_key_config_selectorIj11FixedVectorIiLj4EEEEZZNS1_16scan_by_key_implILNS1_25lookback_scan_determinismE0ELb1ES3_N6thrust23THRUST_200600_302600_NS6detail15normal_iteratorINSB_10device_ptrIjEEEENSD_INSE_IS6_EEEESI_S6_NSB_4plusIvEENSB_8equal_toIvEES6_EE10hipError_tPvRmT2_T3_T4_T5_mT6_T7_P12ihipStream_tbENKUlT_T0_E_clISt17integral_constantIbLb1EES12_IbLb0EEEEDaSY_SZ_EUlSY_E_NS1_11comp_targetILNS1_3genE8ELNS1_11target_archE1030ELNS1_3gpuE2ELNS1_3repE0EEENS1_30default_config_static_selectorELNS0_4arch9wavefront6targetE1EEEvT1_
		.amdhsa_group_segment_fixed_size 0
		.amdhsa_private_segment_fixed_size 0
		.amdhsa_kernarg_size 144
		.amdhsa_user_sgpr_count 2
		.amdhsa_user_sgpr_dispatch_ptr 0
		.amdhsa_user_sgpr_queue_ptr 0
		.amdhsa_user_sgpr_kernarg_segment_ptr 1
		.amdhsa_user_sgpr_dispatch_id 0
		.amdhsa_user_sgpr_kernarg_preload_length 0
		.amdhsa_user_sgpr_kernarg_preload_offset 0
		.amdhsa_user_sgpr_private_segment_size 0
		.amdhsa_uses_dynamic_stack 0
		.amdhsa_enable_private_segment 0
		.amdhsa_system_sgpr_workgroup_id_x 1
		.amdhsa_system_sgpr_workgroup_id_y 0
		.amdhsa_system_sgpr_workgroup_id_z 0
		.amdhsa_system_sgpr_workgroup_info 0
		.amdhsa_system_vgpr_workitem_id 0
		.amdhsa_next_free_vgpr 1
		.amdhsa_next_free_sgpr 0
		.amdhsa_accum_offset 4
		.amdhsa_reserve_vcc 0
		.amdhsa_float_round_mode_32 0
		.amdhsa_float_round_mode_16_64 0
		.amdhsa_float_denorm_mode_32 3
		.amdhsa_float_denorm_mode_16_64 3
		.amdhsa_dx10_clamp 1
		.amdhsa_ieee_mode 1
		.amdhsa_fp16_overflow 0
		.amdhsa_tg_split 0
		.amdhsa_exception_fp_ieee_invalid_op 0
		.amdhsa_exception_fp_denorm_src 0
		.amdhsa_exception_fp_ieee_div_zero 0
		.amdhsa_exception_fp_ieee_overflow 0
		.amdhsa_exception_fp_ieee_underflow 0
		.amdhsa_exception_fp_ieee_inexact 0
		.amdhsa_exception_int_div_zero 0
	.end_amdhsa_kernel
	.section	.text._ZN7rocprim17ROCPRIM_400000_NS6detail17trampoline_kernelINS0_14default_configENS1_27scan_by_key_config_selectorIj11FixedVectorIiLj4EEEEZZNS1_16scan_by_key_implILNS1_25lookback_scan_determinismE0ELb1ES3_N6thrust23THRUST_200600_302600_NS6detail15normal_iteratorINSB_10device_ptrIjEEEENSD_INSE_IS6_EEEESI_S6_NSB_4plusIvEENSB_8equal_toIvEES6_EE10hipError_tPvRmT2_T3_T4_T5_mT6_T7_P12ihipStream_tbENKUlT_T0_E_clISt17integral_constantIbLb1EES12_IbLb0EEEEDaSY_SZ_EUlSY_E_NS1_11comp_targetILNS1_3genE8ELNS1_11target_archE1030ELNS1_3gpuE2ELNS1_3repE0EEENS1_30default_config_static_selectorELNS0_4arch9wavefront6targetE1EEEvT1_,"axG",@progbits,_ZN7rocprim17ROCPRIM_400000_NS6detail17trampoline_kernelINS0_14default_configENS1_27scan_by_key_config_selectorIj11FixedVectorIiLj4EEEEZZNS1_16scan_by_key_implILNS1_25lookback_scan_determinismE0ELb1ES3_N6thrust23THRUST_200600_302600_NS6detail15normal_iteratorINSB_10device_ptrIjEEEENSD_INSE_IS6_EEEESI_S6_NSB_4plusIvEENSB_8equal_toIvEES6_EE10hipError_tPvRmT2_T3_T4_T5_mT6_T7_P12ihipStream_tbENKUlT_T0_E_clISt17integral_constantIbLb1EES12_IbLb0EEEEDaSY_SZ_EUlSY_E_NS1_11comp_targetILNS1_3genE8ELNS1_11target_archE1030ELNS1_3gpuE2ELNS1_3repE0EEENS1_30default_config_static_selectorELNS0_4arch9wavefront6targetE1EEEvT1_,comdat
.Lfunc_end2102:
	.size	_ZN7rocprim17ROCPRIM_400000_NS6detail17trampoline_kernelINS0_14default_configENS1_27scan_by_key_config_selectorIj11FixedVectorIiLj4EEEEZZNS1_16scan_by_key_implILNS1_25lookback_scan_determinismE0ELb1ES3_N6thrust23THRUST_200600_302600_NS6detail15normal_iteratorINSB_10device_ptrIjEEEENSD_INSE_IS6_EEEESI_S6_NSB_4plusIvEENSB_8equal_toIvEES6_EE10hipError_tPvRmT2_T3_T4_T5_mT6_T7_P12ihipStream_tbENKUlT_T0_E_clISt17integral_constantIbLb1EES12_IbLb0EEEEDaSY_SZ_EUlSY_E_NS1_11comp_targetILNS1_3genE8ELNS1_11target_archE1030ELNS1_3gpuE2ELNS1_3repE0EEENS1_30default_config_static_selectorELNS0_4arch9wavefront6targetE1EEEvT1_, .Lfunc_end2102-_ZN7rocprim17ROCPRIM_400000_NS6detail17trampoline_kernelINS0_14default_configENS1_27scan_by_key_config_selectorIj11FixedVectorIiLj4EEEEZZNS1_16scan_by_key_implILNS1_25lookback_scan_determinismE0ELb1ES3_N6thrust23THRUST_200600_302600_NS6detail15normal_iteratorINSB_10device_ptrIjEEEENSD_INSE_IS6_EEEESI_S6_NSB_4plusIvEENSB_8equal_toIvEES6_EE10hipError_tPvRmT2_T3_T4_T5_mT6_T7_P12ihipStream_tbENKUlT_T0_E_clISt17integral_constantIbLb1EES12_IbLb0EEEEDaSY_SZ_EUlSY_E_NS1_11comp_targetILNS1_3genE8ELNS1_11target_archE1030ELNS1_3gpuE2ELNS1_3repE0EEENS1_30default_config_static_selectorELNS0_4arch9wavefront6targetE1EEEvT1_
                                        ; -- End function
	.section	.AMDGPU.csdata,"",@progbits
; Kernel info:
; codeLenInByte = 0
; NumSgprs: 6
; NumVgprs: 0
; NumAgprs: 0
; TotalNumVgprs: 0
; ScratchSize: 0
; MemoryBound: 0
; FloatMode: 240
; IeeeMode: 1
; LDSByteSize: 0 bytes/workgroup (compile time only)
; SGPRBlocks: 0
; VGPRBlocks: 0
; NumSGPRsForWavesPerEU: 6
; NumVGPRsForWavesPerEU: 1
; AccumOffset: 4
; Occupancy: 8
; WaveLimiterHint : 0
; COMPUTE_PGM_RSRC2:SCRATCH_EN: 0
; COMPUTE_PGM_RSRC2:USER_SGPR: 2
; COMPUTE_PGM_RSRC2:TRAP_HANDLER: 0
; COMPUTE_PGM_RSRC2:TGID_X_EN: 1
; COMPUTE_PGM_RSRC2:TGID_Y_EN: 0
; COMPUTE_PGM_RSRC2:TGID_Z_EN: 0
; COMPUTE_PGM_RSRC2:TIDIG_COMP_CNT: 0
; COMPUTE_PGM_RSRC3_GFX90A:ACCUM_OFFSET: 0
; COMPUTE_PGM_RSRC3_GFX90A:TG_SPLIT: 0
	.section	.text._ZN7rocprim17ROCPRIM_400000_NS6detail17trampoline_kernelINS0_14default_configENS1_27scan_by_key_config_selectorIj11FixedVectorIiLj4EEEEZZNS1_16scan_by_key_implILNS1_25lookback_scan_determinismE0ELb1ES3_N6thrust23THRUST_200600_302600_NS6detail15normal_iteratorINSB_10device_ptrIjEEEENSD_INSE_IS6_EEEESI_S6_NSB_4plusIvEENSB_8equal_toIvEES6_EE10hipError_tPvRmT2_T3_T4_T5_mT6_T7_P12ihipStream_tbENKUlT_T0_E_clISt17integral_constantIbLb0EES12_IbLb1EEEEDaSY_SZ_EUlSY_E_NS1_11comp_targetILNS1_3genE0ELNS1_11target_archE4294967295ELNS1_3gpuE0ELNS1_3repE0EEENS1_30default_config_static_selectorELNS0_4arch9wavefront6targetE1EEEvT1_,"axG",@progbits,_ZN7rocprim17ROCPRIM_400000_NS6detail17trampoline_kernelINS0_14default_configENS1_27scan_by_key_config_selectorIj11FixedVectorIiLj4EEEEZZNS1_16scan_by_key_implILNS1_25lookback_scan_determinismE0ELb1ES3_N6thrust23THRUST_200600_302600_NS6detail15normal_iteratorINSB_10device_ptrIjEEEENSD_INSE_IS6_EEEESI_S6_NSB_4plusIvEENSB_8equal_toIvEES6_EE10hipError_tPvRmT2_T3_T4_T5_mT6_T7_P12ihipStream_tbENKUlT_T0_E_clISt17integral_constantIbLb0EES12_IbLb1EEEEDaSY_SZ_EUlSY_E_NS1_11comp_targetILNS1_3genE0ELNS1_11target_archE4294967295ELNS1_3gpuE0ELNS1_3repE0EEENS1_30default_config_static_selectorELNS0_4arch9wavefront6targetE1EEEvT1_,comdat
	.protected	_ZN7rocprim17ROCPRIM_400000_NS6detail17trampoline_kernelINS0_14default_configENS1_27scan_by_key_config_selectorIj11FixedVectorIiLj4EEEEZZNS1_16scan_by_key_implILNS1_25lookback_scan_determinismE0ELb1ES3_N6thrust23THRUST_200600_302600_NS6detail15normal_iteratorINSB_10device_ptrIjEEEENSD_INSE_IS6_EEEESI_S6_NSB_4plusIvEENSB_8equal_toIvEES6_EE10hipError_tPvRmT2_T3_T4_T5_mT6_T7_P12ihipStream_tbENKUlT_T0_E_clISt17integral_constantIbLb0EES12_IbLb1EEEEDaSY_SZ_EUlSY_E_NS1_11comp_targetILNS1_3genE0ELNS1_11target_archE4294967295ELNS1_3gpuE0ELNS1_3repE0EEENS1_30default_config_static_selectorELNS0_4arch9wavefront6targetE1EEEvT1_ ; -- Begin function _ZN7rocprim17ROCPRIM_400000_NS6detail17trampoline_kernelINS0_14default_configENS1_27scan_by_key_config_selectorIj11FixedVectorIiLj4EEEEZZNS1_16scan_by_key_implILNS1_25lookback_scan_determinismE0ELb1ES3_N6thrust23THRUST_200600_302600_NS6detail15normal_iteratorINSB_10device_ptrIjEEEENSD_INSE_IS6_EEEESI_S6_NSB_4plusIvEENSB_8equal_toIvEES6_EE10hipError_tPvRmT2_T3_T4_T5_mT6_T7_P12ihipStream_tbENKUlT_T0_E_clISt17integral_constantIbLb0EES12_IbLb1EEEEDaSY_SZ_EUlSY_E_NS1_11comp_targetILNS1_3genE0ELNS1_11target_archE4294967295ELNS1_3gpuE0ELNS1_3repE0EEENS1_30default_config_static_selectorELNS0_4arch9wavefront6targetE1EEEvT1_
	.globl	_ZN7rocprim17ROCPRIM_400000_NS6detail17trampoline_kernelINS0_14default_configENS1_27scan_by_key_config_selectorIj11FixedVectorIiLj4EEEEZZNS1_16scan_by_key_implILNS1_25lookback_scan_determinismE0ELb1ES3_N6thrust23THRUST_200600_302600_NS6detail15normal_iteratorINSB_10device_ptrIjEEEENSD_INSE_IS6_EEEESI_S6_NSB_4plusIvEENSB_8equal_toIvEES6_EE10hipError_tPvRmT2_T3_T4_T5_mT6_T7_P12ihipStream_tbENKUlT_T0_E_clISt17integral_constantIbLb0EES12_IbLb1EEEEDaSY_SZ_EUlSY_E_NS1_11comp_targetILNS1_3genE0ELNS1_11target_archE4294967295ELNS1_3gpuE0ELNS1_3repE0EEENS1_30default_config_static_selectorELNS0_4arch9wavefront6targetE1EEEvT1_
	.p2align	8
	.type	_ZN7rocprim17ROCPRIM_400000_NS6detail17trampoline_kernelINS0_14default_configENS1_27scan_by_key_config_selectorIj11FixedVectorIiLj4EEEEZZNS1_16scan_by_key_implILNS1_25lookback_scan_determinismE0ELb1ES3_N6thrust23THRUST_200600_302600_NS6detail15normal_iteratorINSB_10device_ptrIjEEEENSD_INSE_IS6_EEEESI_S6_NSB_4plusIvEENSB_8equal_toIvEES6_EE10hipError_tPvRmT2_T3_T4_T5_mT6_T7_P12ihipStream_tbENKUlT_T0_E_clISt17integral_constantIbLb0EES12_IbLb1EEEEDaSY_SZ_EUlSY_E_NS1_11comp_targetILNS1_3genE0ELNS1_11target_archE4294967295ELNS1_3gpuE0ELNS1_3repE0EEENS1_30default_config_static_selectorELNS0_4arch9wavefront6targetE1EEEvT1_,@function
_ZN7rocprim17ROCPRIM_400000_NS6detail17trampoline_kernelINS0_14default_configENS1_27scan_by_key_config_selectorIj11FixedVectorIiLj4EEEEZZNS1_16scan_by_key_implILNS1_25lookback_scan_determinismE0ELb1ES3_N6thrust23THRUST_200600_302600_NS6detail15normal_iteratorINSB_10device_ptrIjEEEENSD_INSE_IS6_EEEESI_S6_NSB_4plusIvEENSB_8equal_toIvEES6_EE10hipError_tPvRmT2_T3_T4_T5_mT6_T7_P12ihipStream_tbENKUlT_T0_E_clISt17integral_constantIbLb0EES12_IbLb1EEEEDaSY_SZ_EUlSY_E_NS1_11comp_targetILNS1_3genE0ELNS1_11target_archE4294967295ELNS1_3gpuE0ELNS1_3repE0EEENS1_30default_config_static_selectorELNS0_4arch9wavefront6targetE1EEEvT1_: ; @_ZN7rocprim17ROCPRIM_400000_NS6detail17trampoline_kernelINS0_14default_configENS1_27scan_by_key_config_selectorIj11FixedVectorIiLj4EEEEZZNS1_16scan_by_key_implILNS1_25lookback_scan_determinismE0ELb1ES3_N6thrust23THRUST_200600_302600_NS6detail15normal_iteratorINSB_10device_ptrIjEEEENSD_INSE_IS6_EEEESI_S6_NSB_4plusIvEENSB_8equal_toIvEES6_EE10hipError_tPvRmT2_T3_T4_T5_mT6_T7_P12ihipStream_tbENKUlT_T0_E_clISt17integral_constantIbLb0EES12_IbLb1EEEEDaSY_SZ_EUlSY_E_NS1_11comp_targetILNS1_3genE0ELNS1_11target_archE4294967295ELNS1_3gpuE0ELNS1_3repE0EEENS1_30default_config_static_selectorELNS0_4arch9wavefront6targetE1EEEvT1_
; %bb.0:
	.section	.rodata,"a",@progbits
	.p2align	6, 0x0
	.amdhsa_kernel _ZN7rocprim17ROCPRIM_400000_NS6detail17trampoline_kernelINS0_14default_configENS1_27scan_by_key_config_selectorIj11FixedVectorIiLj4EEEEZZNS1_16scan_by_key_implILNS1_25lookback_scan_determinismE0ELb1ES3_N6thrust23THRUST_200600_302600_NS6detail15normal_iteratorINSB_10device_ptrIjEEEENSD_INSE_IS6_EEEESI_S6_NSB_4plusIvEENSB_8equal_toIvEES6_EE10hipError_tPvRmT2_T3_T4_T5_mT6_T7_P12ihipStream_tbENKUlT_T0_E_clISt17integral_constantIbLb0EES12_IbLb1EEEEDaSY_SZ_EUlSY_E_NS1_11comp_targetILNS1_3genE0ELNS1_11target_archE4294967295ELNS1_3gpuE0ELNS1_3repE0EEENS1_30default_config_static_selectorELNS0_4arch9wavefront6targetE1EEEvT1_
		.amdhsa_group_segment_fixed_size 0
		.amdhsa_private_segment_fixed_size 0
		.amdhsa_kernarg_size 144
		.amdhsa_user_sgpr_count 2
		.amdhsa_user_sgpr_dispatch_ptr 0
		.amdhsa_user_sgpr_queue_ptr 0
		.amdhsa_user_sgpr_kernarg_segment_ptr 1
		.amdhsa_user_sgpr_dispatch_id 0
		.amdhsa_user_sgpr_kernarg_preload_length 0
		.amdhsa_user_sgpr_kernarg_preload_offset 0
		.amdhsa_user_sgpr_private_segment_size 0
		.amdhsa_uses_dynamic_stack 0
		.amdhsa_enable_private_segment 0
		.amdhsa_system_sgpr_workgroup_id_x 1
		.amdhsa_system_sgpr_workgroup_id_y 0
		.amdhsa_system_sgpr_workgroup_id_z 0
		.amdhsa_system_sgpr_workgroup_info 0
		.amdhsa_system_vgpr_workitem_id 0
		.amdhsa_next_free_vgpr 1
		.amdhsa_next_free_sgpr 0
		.amdhsa_accum_offset 4
		.amdhsa_reserve_vcc 0
		.amdhsa_float_round_mode_32 0
		.amdhsa_float_round_mode_16_64 0
		.amdhsa_float_denorm_mode_32 3
		.amdhsa_float_denorm_mode_16_64 3
		.amdhsa_dx10_clamp 1
		.amdhsa_ieee_mode 1
		.amdhsa_fp16_overflow 0
		.amdhsa_tg_split 0
		.amdhsa_exception_fp_ieee_invalid_op 0
		.amdhsa_exception_fp_denorm_src 0
		.amdhsa_exception_fp_ieee_div_zero 0
		.amdhsa_exception_fp_ieee_overflow 0
		.amdhsa_exception_fp_ieee_underflow 0
		.amdhsa_exception_fp_ieee_inexact 0
		.amdhsa_exception_int_div_zero 0
	.end_amdhsa_kernel
	.section	.text._ZN7rocprim17ROCPRIM_400000_NS6detail17trampoline_kernelINS0_14default_configENS1_27scan_by_key_config_selectorIj11FixedVectorIiLj4EEEEZZNS1_16scan_by_key_implILNS1_25lookback_scan_determinismE0ELb1ES3_N6thrust23THRUST_200600_302600_NS6detail15normal_iteratorINSB_10device_ptrIjEEEENSD_INSE_IS6_EEEESI_S6_NSB_4plusIvEENSB_8equal_toIvEES6_EE10hipError_tPvRmT2_T3_T4_T5_mT6_T7_P12ihipStream_tbENKUlT_T0_E_clISt17integral_constantIbLb0EES12_IbLb1EEEEDaSY_SZ_EUlSY_E_NS1_11comp_targetILNS1_3genE0ELNS1_11target_archE4294967295ELNS1_3gpuE0ELNS1_3repE0EEENS1_30default_config_static_selectorELNS0_4arch9wavefront6targetE1EEEvT1_,"axG",@progbits,_ZN7rocprim17ROCPRIM_400000_NS6detail17trampoline_kernelINS0_14default_configENS1_27scan_by_key_config_selectorIj11FixedVectorIiLj4EEEEZZNS1_16scan_by_key_implILNS1_25lookback_scan_determinismE0ELb1ES3_N6thrust23THRUST_200600_302600_NS6detail15normal_iteratorINSB_10device_ptrIjEEEENSD_INSE_IS6_EEEESI_S6_NSB_4plusIvEENSB_8equal_toIvEES6_EE10hipError_tPvRmT2_T3_T4_T5_mT6_T7_P12ihipStream_tbENKUlT_T0_E_clISt17integral_constantIbLb0EES12_IbLb1EEEEDaSY_SZ_EUlSY_E_NS1_11comp_targetILNS1_3genE0ELNS1_11target_archE4294967295ELNS1_3gpuE0ELNS1_3repE0EEENS1_30default_config_static_selectorELNS0_4arch9wavefront6targetE1EEEvT1_,comdat
.Lfunc_end2103:
	.size	_ZN7rocprim17ROCPRIM_400000_NS6detail17trampoline_kernelINS0_14default_configENS1_27scan_by_key_config_selectorIj11FixedVectorIiLj4EEEEZZNS1_16scan_by_key_implILNS1_25lookback_scan_determinismE0ELb1ES3_N6thrust23THRUST_200600_302600_NS6detail15normal_iteratorINSB_10device_ptrIjEEEENSD_INSE_IS6_EEEESI_S6_NSB_4plusIvEENSB_8equal_toIvEES6_EE10hipError_tPvRmT2_T3_T4_T5_mT6_T7_P12ihipStream_tbENKUlT_T0_E_clISt17integral_constantIbLb0EES12_IbLb1EEEEDaSY_SZ_EUlSY_E_NS1_11comp_targetILNS1_3genE0ELNS1_11target_archE4294967295ELNS1_3gpuE0ELNS1_3repE0EEENS1_30default_config_static_selectorELNS0_4arch9wavefront6targetE1EEEvT1_, .Lfunc_end2103-_ZN7rocprim17ROCPRIM_400000_NS6detail17trampoline_kernelINS0_14default_configENS1_27scan_by_key_config_selectorIj11FixedVectorIiLj4EEEEZZNS1_16scan_by_key_implILNS1_25lookback_scan_determinismE0ELb1ES3_N6thrust23THRUST_200600_302600_NS6detail15normal_iteratorINSB_10device_ptrIjEEEENSD_INSE_IS6_EEEESI_S6_NSB_4plusIvEENSB_8equal_toIvEES6_EE10hipError_tPvRmT2_T3_T4_T5_mT6_T7_P12ihipStream_tbENKUlT_T0_E_clISt17integral_constantIbLb0EES12_IbLb1EEEEDaSY_SZ_EUlSY_E_NS1_11comp_targetILNS1_3genE0ELNS1_11target_archE4294967295ELNS1_3gpuE0ELNS1_3repE0EEENS1_30default_config_static_selectorELNS0_4arch9wavefront6targetE1EEEvT1_
                                        ; -- End function
	.section	.AMDGPU.csdata,"",@progbits
; Kernel info:
; codeLenInByte = 0
; NumSgprs: 6
; NumVgprs: 0
; NumAgprs: 0
; TotalNumVgprs: 0
; ScratchSize: 0
; MemoryBound: 0
; FloatMode: 240
; IeeeMode: 1
; LDSByteSize: 0 bytes/workgroup (compile time only)
; SGPRBlocks: 0
; VGPRBlocks: 0
; NumSGPRsForWavesPerEU: 6
; NumVGPRsForWavesPerEU: 1
; AccumOffset: 4
; Occupancy: 8
; WaveLimiterHint : 0
; COMPUTE_PGM_RSRC2:SCRATCH_EN: 0
; COMPUTE_PGM_RSRC2:USER_SGPR: 2
; COMPUTE_PGM_RSRC2:TRAP_HANDLER: 0
; COMPUTE_PGM_RSRC2:TGID_X_EN: 1
; COMPUTE_PGM_RSRC2:TGID_Y_EN: 0
; COMPUTE_PGM_RSRC2:TGID_Z_EN: 0
; COMPUTE_PGM_RSRC2:TIDIG_COMP_CNT: 0
; COMPUTE_PGM_RSRC3_GFX90A:ACCUM_OFFSET: 0
; COMPUTE_PGM_RSRC3_GFX90A:TG_SPLIT: 0
	.section	.text._ZN7rocprim17ROCPRIM_400000_NS6detail17trampoline_kernelINS0_14default_configENS1_27scan_by_key_config_selectorIj11FixedVectorIiLj4EEEEZZNS1_16scan_by_key_implILNS1_25lookback_scan_determinismE0ELb1ES3_N6thrust23THRUST_200600_302600_NS6detail15normal_iteratorINSB_10device_ptrIjEEEENSD_INSE_IS6_EEEESI_S6_NSB_4plusIvEENSB_8equal_toIvEES6_EE10hipError_tPvRmT2_T3_T4_T5_mT6_T7_P12ihipStream_tbENKUlT_T0_E_clISt17integral_constantIbLb0EES12_IbLb1EEEEDaSY_SZ_EUlSY_E_NS1_11comp_targetILNS1_3genE10ELNS1_11target_archE1201ELNS1_3gpuE5ELNS1_3repE0EEENS1_30default_config_static_selectorELNS0_4arch9wavefront6targetE1EEEvT1_,"axG",@progbits,_ZN7rocprim17ROCPRIM_400000_NS6detail17trampoline_kernelINS0_14default_configENS1_27scan_by_key_config_selectorIj11FixedVectorIiLj4EEEEZZNS1_16scan_by_key_implILNS1_25lookback_scan_determinismE0ELb1ES3_N6thrust23THRUST_200600_302600_NS6detail15normal_iteratorINSB_10device_ptrIjEEEENSD_INSE_IS6_EEEESI_S6_NSB_4plusIvEENSB_8equal_toIvEES6_EE10hipError_tPvRmT2_T3_T4_T5_mT6_T7_P12ihipStream_tbENKUlT_T0_E_clISt17integral_constantIbLb0EES12_IbLb1EEEEDaSY_SZ_EUlSY_E_NS1_11comp_targetILNS1_3genE10ELNS1_11target_archE1201ELNS1_3gpuE5ELNS1_3repE0EEENS1_30default_config_static_selectorELNS0_4arch9wavefront6targetE1EEEvT1_,comdat
	.protected	_ZN7rocprim17ROCPRIM_400000_NS6detail17trampoline_kernelINS0_14default_configENS1_27scan_by_key_config_selectorIj11FixedVectorIiLj4EEEEZZNS1_16scan_by_key_implILNS1_25lookback_scan_determinismE0ELb1ES3_N6thrust23THRUST_200600_302600_NS6detail15normal_iteratorINSB_10device_ptrIjEEEENSD_INSE_IS6_EEEESI_S6_NSB_4plusIvEENSB_8equal_toIvEES6_EE10hipError_tPvRmT2_T3_T4_T5_mT6_T7_P12ihipStream_tbENKUlT_T0_E_clISt17integral_constantIbLb0EES12_IbLb1EEEEDaSY_SZ_EUlSY_E_NS1_11comp_targetILNS1_3genE10ELNS1_11target_archE1201ELNS1_3gpuE5ELNS1_3repE0EEENS1_30default_config_static_selectorELNS0_4arch9wavefront6targetE1EEEvT1_ ; -- Begin function _ZN7rocprim17ROCPRIM_400000_NS6detail17trampoline_kernelINS0_14default_configENS1_27scan_by_key_config_selectorIj11FixedVectorIiLj4EEEEZZNS1_16scan_by_key_implILNS1_25lookback_scan_determinismE0ELb1ES3_N6thrust23THRUST_200600_302600_NS6detail15normal_iteratorINSB_10device_ptrIjEEEENSD_INSE_IS6_EEEESI_S6_NSB_4plusIvEENSB_8equal_toIvEES6_EE10hipError_tPvRmT2_T3_T4_T5_mT6_T7_P12ihipStream_tbENKUlT_T0_E_clISt17integral_constantIbLb0EES12_IbLb1EEEEDaSY_SZ_EUlSY_E_NS1_11comp_targetILNS1_3genE10ELNS1_11target_archE1201ELNS1_3gpuE5ELNS1_3repE0EEENS1_30default_config_static_selectorELNS0_4arch9wavefront6targetE1EEEvT1_
	.globl	_ZN7rocprim17ROCPRIM_400000_NS6detail17trampoline_kernelINS0_14default_configENS1_27scan_by_key_config_selectorIj11FixedVectorIiLj4EEEEZZNS1_16scan_by_key_implILNS1_25lookback_scan_determinismE0ELb1ES3_N6thrust23THRUST_200600_302600_NS6detail15normal_iteratorINSB_10device_ptrIjEEEENSD_INSE_IS6_EEEESI_S6_NSB_4plusIvEENSB_8equal_toIvEES6_EE10hipError_tPvRmT2_T3_T4_T5_mT6_T7_P12ihipStream_tbENKUlT_T0_E_clISt17integral_constantIbLb0EES12_IbLb1EEEEDaSY_SZ_EUlSY_E_NS1_11comp_targetILNS1_3genE10ELNS1_11target_archE1201ELNS1_3gpuE5ELNS1_3repE0EEENS1_30default_config_static_selectorELNS0_4arch9wavefront6targetE1EEEvT1_
	.p2align	8
	.type	_ZN7rocprim17ROCPRIM_400000_NS6detail17trampoline_kernelINS0_14default_configENS1_27scan_by_key_config_selectorIj11FixedVectorIiLj4EEEEZZNS1_16scan_by_key_implILNS1_25lookback_scan_determinismE0ELb1ES3_N6thrust23THRUST_200600_302600_NS6detail15normal_iteratorINSB_10device_ptrIjEEEENSD_INSE_IS6_EEEESI_S6_NSB_4plusIvEENSB_8equal_toIvEES6_EE10hipError_tPvRmT2_T3_T4_T5_mT6_T7_P12ihipStream_tbENKUlT_T0_E_clISt17integral_constantIbLb0EES12_IbLb1EEEEDaSY_SZ_EUlSY_E_NS1_11comp_targetILNS1_3genE10ELNS1_11target_archE1201ELNS1_3gpuE5ELNS1_3repE0EEENS1_30default_config_static_selectorELNS0_4arch9wavefront6targetE1EEEvT1_,@function
_ZN7rocprim17ROCPRIM_400000_NS6detail17trampoline_kernelINS0_14default_configENS1_27scan_by_key_config_selectorIj11FixedVectorIiLj4EEEEZZNS1_16scan_by_key_implILNS1_25lookback_scan_determinismE0ELb1ES3_N6thrust23THRUST_200600_302600_NS6detail15normal_iteratorINSB_10device_ptrIjEEEENSD_INSE_IS6_EEEESI_S6_NSB_4plusIvEENSB_8equal_toIvEES6_EE10hipError_tPvRmT2_T3_T4_T5_mT6_T7_P12ihipStream_tbENKUlT_T0_E_clISt17integral_constantIbLb0EES12_IbLb1EEEEDaSY_SZ_EUlSY_E_NS1_11comp_targetILNS1_3genE10ELNS1_11target_archE1201ELNS1_3gpuE5ELNS1_3repE0EEENS1_30default_config_static_selectorELNS0_4arch9wavefront6targetE1EEEvT1_: ; @_ZN7rocprim17ROCPRIM_400000_NS6detail17trampoline_kernelINS0_14default_configENS1_27scan_by_key_config_selectorIj11FixedVectorIiLj4EEEEZZNS1_16scan_by_key_implILNS1_25lookback_scan_determinismE0ELb1ES3_N6thrust23THRUST_200600_302600_NS6detail15normal_iteratorINSB_10device_ptrIjEEEENSD_INSE_IS6_EEEESI_S6_NSB_4plusIvEENSB_8equal_toIvEES6_EE10hipError_tPvRmT2_T3_T4_T5_mT6_T7_P12ihipStream_tbENKUlT_T0_E_clISt17integral_constantIbLb0EES12_IbLb1EEEEDaSY_SZ_EUlSY_E_NS1_11comp_targetILNS1_3genE10ELNS1_11target_archE1201ELNS1_3gpuE5ELNS1_3repE0EEENS1_30default_config_static_selectorELNS0_4arch9wavefront6targetE1EEEvT1_
; %bb.0:
	.section	.rodata,"a",@progbits
	.p2align	6, 0x0
	.amdhsa_kernel _ZN7rocprim17ROCPRIM_400000_NS6detail17trampoline_kernelINS0_14default_configENS1_27scan_by_key_config_selectorIj11FixedVectorIiLj4EEEEZZNS1_16scan_by_key_implILNS1_25lookback_scan_determinismE0ELb1ES3_N6thrust23THRUST_200600_302600_NS6detail15normal_iteratorINSB_10device_ptrIjEEEENSD_INSE_IS6_EEEESI_S6_NSB_4plusIvEENSB_8equal_toIvEES6_EE10hipError_tPvRmT2_T3_T4_T5_mT6_T7_P12ihipStream_tbENKUlT_T0_E_clISt17integral_constantIbLb0EES12_IbLb1EEEEDaSY_SZ_EUlSY_E_NS1_11comp_targetILNS1_3genE10ELNS1_11target_archE1201ELNS1_3gpuE5ELNS1_3repE0EEENS1_30default_config_static_selectorELNS0_4arch9wavefront6targetE1EEEvT1_
		.amdhsa_group_segment_fixed_size 0
		.amdhsa_private_segment_fixed_size 0
		.amdhsa_kernarg_size 144
		.amdhsa_user_sgpr_count 2
		.amdhsa_user_sgpr_dispatch_ptr 0
		.amdhsa_user_sgpr_queue_ptr 0
		.amdhsa_user_sgpr_kernarg_segment_ptr 1
		.amdhsa_user_sgpr_dispatch_id 0
		.amdhsa_user_sgpr_kernarg_preload_length 0
		.amdhsa_user_sgpr_kernarg_preload_offset 0
		.amdhsa_user_sgpr_private_segment_size 0
		.amdhsa_uses_dynamic_stack 0
		.amdhsa_enable_private_segment 0
		.amdhsa_system_sgpr_workgroup_id_x 1
		.amdhsa_system_sgpr_workgroup_id_y 0
		.amdhsa_system_sgpr_workgroup_id_z 0
		.amdhsa_system_sgpr_workgroup_info 0
		.amdhsa_system_vgpr_workitem_id 0
		.amdhsa_next_free_vgpr 1
		.amdhsa_next_free_sgpr 0
		.amdhsa_accum_offset 4
		.amdhsa_reserve_vcc 0
		.amdhsa_float_round_mode_32 0
		.amdhsa_float_round_mode_16_64 0
		.amdhsa_float_denorm_mode_32 3
		.amdhsa_float_denorm_mode_16_64 3
		.amdhsa_dx10_clamp 1
		.amdhsa_ieee_mode 1
		.amdhsa_fp16_overflow 0
		.amdhsa_tg_split 0
		.amdhsa_exception_fp_ieee_invalid_op 0
		.amdhsa_exception_fp_denorm_src 0
		.amdhsa_exception_fp_ieee_div_zero 0
		.amdhsa_exception_fp_ieee_overflow 0
		.amdhsa_exception_fp_ieee_underflow 0
		.amdhsa_exception_fp_ieee_inexact 0
		.amdhsa_exception_int_div_zero 0
	.end_amdhsa_kernel
	.section	.text._ZN7rocprim17ROCPRIM_400000_NS6detail17trampoline_kernelINS0_14default_configENS1_27scan_by_key_config_selectorIj11FixedVectorIiLj4EEEEZZNS1_16scan_by_key_implILNS1_25lookback_scan_determinismE0ELb1ES3_N6thrust23THRUST_200600_302600_NS6detail15normal_iteratorINSB_10device_ptrIjEEEENSD_INSE_IS6_EEEESI_S6_NSB_4plusIvEENSB_8equal_toIvEES6_EE10hipError_tPvRmT2_T3_T4_T5_mT6_T7_P12ihipStream_tbENKUlT_T0_E_clISt17integral_constantIbLb0EES12_IbLb1EEEEDaSY_SZ_EUlSY_E_NS1_11comp_targetILNS1_3genE10ELNS1_11target_archE1201ELNS1_3gpuE5ELNS1_3repE0EEENS1_30default_config_static_selectorELNS0_4arch9wavefront6targetE1EEEvT1_,"axG",@progbits,_ZN7rocprim17ROCPRIM_400000_NS6detail17trampoline_kernelINS0_14default_configENS1_27scan_by_key_config_selectorIj11FixedVectorIiLj4EEEEZZNS1_16scan_by_key_implILNS1_25lookback_scan_determinismE0ELb1ES3_N6thrust23THRUST_200600_302600_NS6detail15normal_iteratorINSB_10device_ptrIjEEEENSD_INSE_IS6_EEEESI_S6_NSB_4plusIvEENSB_8equal_toIvEES6_EE10hipError_tPvRmT2_T3_T4_T5_mT6_T7_P12ihipStream_tbENKUlT_T0_E_clISt17integral_constantIbLb0EES12_IbLb1EEEEDaSY_SZ_EUlSY_E_NS1_11comp_targetILNS1_3genE10ELNS1_11target_archE1201ELNS1_3gpuE5ELNS1_3repE0EEENS1_30default_config_static_selectorELNS0_4arch9wavefront6targetE1EEEvT1_,comdat
.Lfunc_end2104:
	.size	_ZN7rocprim17ROCPRIM_400000_NS6detail17trampoline_kernelINS0_14default_configENS1_27scan_by_key_config_selectorIj11FixedVectorIiLj4EEEEZZNS1_16scan_by_key_implILNS1_25lookback_scan_determinismE0ELb1ES3_N6thrust23THRUST_200600_302600_NS6detail15normal_iteratorINSB_10device_ptrIjEEEENSD_INSE_IS6_EEEESI_S6_NSB_4plusIvEENSB_8equal_toIvEES6_EE10hipError_tPvRmT2_T3_T4_T5_mT6_T7_P12ihipStream_tbENKUlT_T0_E_clISt17integral_constantIbLb0EES12_IbLb1EEEEDaSY_SZ_EUlSY_E_NS1_11comp_targetILNS1_3genE10ELNS1_11target_archE1201ELNS1_3gpuE5ELNS1_3repE0EEENS1_30default_config_static_selectorELNS0_4arch9wavefront6targetE1EEEvT1_, .Lfunc_end2104-_ZN7rocprim17ROCPRIM_400000_NS6detail17trampoline_kernelINS0_14default_configENS1_27scan_by_key_config_selectorIj11FixedVectorIiLj4EEEEZZNS1_16scan_by_key_implILNS1_25lookback_scan_determinismE0ELb1ES3_N6thrust23THRUST_200600_302600_NS6detail15normal_iteratorINSB_10device_ptrIjEEEENSD_INSE_IS6_EEEESI_S6_NSB_4plusIvEENSB_8equal_toIvEES6_EE10hipError_tPvRmT2_T3_T4_T5_mT6_T7_P12ihipStream_tbENKUlT_T0_E_clISt17integral_constantIbLb0EES12_IbLb1EEEEDaSY_SZ_EUlSY_E_NS1_11comp_targetILNS1_3genE10ELNS1_11target_archE1201ELNS1_3gpuE5ELNS1_3repE0EEENS1_30default_config_static_selectorELNS0_4arch9wavefront6targetE1EEEvT1_
                                        ; -- End function
	.section	.AMDGPU.csdata,"",@progbits
; Kernel info:
; codeLenInByte = 0
; NumSgprs: 6
; NumVgprs: 0
; NumAgprs: 0
; TotalNumVgprs: 0
; ScratchSize: 0
; MemoryBound: 0
; FloatMode: 240
; IeeeMode: 1
; LDSByteSize: 0 bytes/workgroup (compile time only)
; SGPRBlocks: 0
; VGPRBlocks: 0
; NumSGPRsForWavesPerEU: 6
; NumVGPRsForWavesPerEU: 1
; AccumOffset: 4
; Occupancy: 8
; WaveLimiterHint : 0
; COMPUTE_PGM_RSRC2:SCRATCH_EN: 0
; COMPUTE_PGM_RSRC2:USER_SGPR: 2
; COMPUTE_PGM_RSRC2:TRAP_HANDLER: 0
; COMPUTE_PGM_RSRC2:TGID_X_EN: 1
; COMPUTE_PGM_RSRC2:TGID_Y_EN: 0
; COMPUTE_PGM_RSRC2:TGID_Z_EN: 0
; COMPUTE_PGM_RSRC2:TIDIG_COMP_CNT: 0
; COMPUTE_PGM_RSRC3_GFX90A:ACCUM_OFFSET: 0
; COMPUTE_PGM_RSRC3_GFX90A:TG_SPLIT: 0
	.section	.text._ZN7rocprim17ROCPRIM_400000_NS6detail17trampoline_kernelINS0_14default_configENS1_27scan_by_key_config_selectorIj11FixedVectorIiLj4EEEEZZNS1_16scan_by_key_implILNS1_25lookback_scan_determinismE0ELb1ES3_N6thrust23THRUST_200600_302600_NS6detail15normal_iteratorINSB_10device_ptrIjEEEENSD_INSE_IS6_EEEESI_S6_NSB_4plusIvEENSB_8equal_toIvEES6_EE10hipError_tPvRmT2_T3_T4_T5_mT6_T7_P12ihipStream_tbENKUlT_T0_E_clISt17integral_constantIbLb0EES12_IbLb1EEEEDaSY_SZ_EUlSY_E_NS1_11comp_targetILNS1_3genE5ELNS1_11target_archE942ELNS1_3gpuE9ELNS1_3repE0EEENS1_30default_config_static_selectorELNS0_4arch9wavefront6targetE1EEEvT1_,"axG",@progbits,_ZN7rocprim17ROCPRIM_400000_NS6detail17trampoline_kernelINS0_14default_configENS1_27scan_by_key_config_selectorIj11FixedVectorIiLj4EEEEZZNS1_16scan_by_key_implILNS1_25lookback_scan_determinismE0ELb1ES3_N6thrust23THRUST_200600_302600_NS6detail15normal_iteratorINSB_10device_ptrIjEEEENSD_INSE_IS6_EEEESI_S6_NSB_4plusIvEENSB_8equal_toIvEES6_EE10hipError_tPvRmT2_T3_T4_T5_mT6_T7_P12ihipStream_tbENKUlT_T0_E_clISt17integral_constantIbLb0EES12_IbLb1EEEEDaSY_SZ_EUlSY_E_NS1_11comp_targetILNS1_3genE5ELNS1_11target_archE942ELNS1_3gpuE9ELNS1_3repE0EEENS1_30default_config_static_selectorELNS0_4arch9wavefront6targetE1EEEvT1_,comdat
	.protected	_ZN7rocprim17ROCPRIM_400000_NS6detail17trampoline_kernelINS0_14default_configENS1_27scan_by_key_config_selectorIj11FixedVectorIiLj4EEEEZZNS1_16scan_by_key_implILNS1_25lookback_scan_determinismE0ELb1ES3_N6thrust23THRUST_200600_302600_NS6detail15normal_iteratorINSB_10device_ptrIjEEEENSD_INSE_IS6_EEEESI_S6_NSB_4plusIvEENSB_8equal_toIvEES6_EE10hipError_tPvRmT2_T3_T4_T5_mT6_T7_P12ihipStream_tbENKUlT_T0_E_clISt17integral_constantIbLb0EES12_IbLb1EEEEDaSY_SZ_EUlSY_E_NS1_11comp_targetILNS1_3genE5ELNS1_11target_archE942ELNS1_3gpuE9ELNS1_3repE0EEENS1_30default_config_static_selectorELNS0_4arch9wavefront6targetE1EEEvT1_ ; -- Begin function _ZN7rocprim17ROCPRIM_400000_NS6detail17trampoline_kernelINS0_14default_configENS1_27scan_by_key_config_selectorIj11FixedVectorIiLj4EEEEZZNS1_16scan_by_key_implILNS1_25lookback_scan_determinismE0ELb1ES3_N6thrust23THRUST_200600_302600_NS6detail15normal_iteratorINSB_10device_ptrIjEEEENSD_INSE_IS6_EEEESI_S6_NSB_4plusIvEENSB_8equal_toIvEES6_EE10hipError_tPvRmT2_T3_T4_T5_mT6_T7_P12ihipStream_tbENKUlT_T0_E_clISt17integral_constantIbLb0EES12_IbLb1EEEEDaSY_SZ_EUlSY_E_NS1_11comp_targetILNS1_3genE5ELNS1_11target_archE942ELNS1_3gpuE9ELNS1_3repE0EEENS1_30default_config_static_selectorELNS0_4arch9wavefront6targetE1EEEvT1_
	.globl	_ZN7rocprim17ROCPRIM_400000_NS6detail17trampoline_kernelINS0_14default_configENS1_27scan_by_key_config_selectorIj11FixedVectorIiLj4EEEEZZNS1_16scan_by_key_implILNS1_25lookback_scan_determinismE0ELb1ES3_N6thrust23THRUST_200600_302600_NS6detail15normal_iteratorINSB_10device_ptrIjEEEENSD_INSE_IS6_EEEESI_S6_NSB_4plusIvEENSB_8equal_toIvEES6_EE10hipError_tPvRmT2_T3_T4_T5_mT6_T7_P12ihipStream_tbENKUlT_T0_E_clISt17integral_constantIbLb0EES12_IbLb1EEEEDaSY_SZ_EUlSY_E_NS1_11comp_targetILNS1_3genE5ELNS1_11target_archE942ELNS1_3gpuE9ELNS1_3repE0EEENS1_30default_config_static_selectorELNS0_4arch9wavefront6targetE1EEEvT1_
	.p2align	8
	.type	_ZN7rocprim17ROCPRIM_400000_NS6detail17trampoline_kernelINS0_14default_configENS1_27scan_by_key_config_selectorIj11FixedVectorIiLj4EEEEZZNS1_16scan_by_key_implILNS1_25lookback_scan_determinismE0ELb1ES3_N6thrust23THRUST_200600_302600_NS6detail15normal_iteratorINSB_10device_ptrIjEEEENSD_INSE_IS6_EEEESI_S6_NSB_4plusIvEENSB_8equal_toIvEES6_EE10hipError_tPvRmT2_T3_T4_T5_mT6_T7_P12ihipStream_tbENKUlT_T0_E_clISt17integral_constantIbLb0EES12_IbLb1EEEEDaSY_SZ_EUlSY_E_NS1_11comp_targetILNS1_3genE5ELNS1_11target_archE942ELNS1_3gpuE9ELNS1_3repE0EEENS1_30default_config_static_selectorELNS0_4arch9wavefront6targetE1EEEvT1_,@function
_ZN7rocprim17ROCPRIM_400000_NS6detail17trampoline_kernelINS0_14default_configENS1_27scan_by_key_config_selectorIj11FixedVectorIiLj4EEEEZZNS1_16scan_by_key_implILNS1_25lookback_scan_determinismE0ELb1ES3_N6thrust23THRUST_200600_302600_NS6detail15normal_iteratorINSB_10device_ptrIjEEEENSD_INSE_IS6_EEEESI_S6_NSB_4plusIvEENSB_8equal_toIvEES6_EE10hipError_tPvRmT2_T3_T4_T5_mT6_T7_P12ihipStream_tbENKUlT_T0_E_clISt17integral_constantIbLb0EES12_IbLb1EEEEDaSY_SZ_EUlSY_E_NS1_11comp_targetILNS1_3genE5ELNS1_11target_archE942ELNS1_3gpuE9ELNS1_3repE0EEENS1_30default_config_static_selectorELNS0_4arch9wavefront6targetE1EEEvT1_: ; @_ZN7rocprim17ROCPRIM_400000_NS6detail17trampoline_kernelINS0_14default_configENS1_27scan_by_key_config_selectorIj11FixedVectorIiLj4EEEEZZNS1_16scan_by_key_implILNS1_25lookback_scan_determinismE0ELb1ES3_N6thrust23THRUST_200600_302600_NS6detail15normal_iteratorINSB_10device_ptrIjEEEENSD_INSE_IS6_EEEESI_S6_NSB_4plusIvEENSB_8equal_toIvEES6_EE10hipError_tPvRmT2_T3_T4_T5_mT6_T7_P12ihipStream_tbENKUlT_T0_E_clISt17integral_constantIbLb0EES12_IbLb1EEEEDaSY_SZ_EUlSY_E_NS1_11comp_targetILNS1_3genE5ELNS1_11target_archE942ELNS1_3gpuE9ELNS1_3repE0EEENS1_30default_config_static_selectorELNS0_4arch9wavefront6targetE1EEEvT1_
; %bb.0:
	s_load_dwordx8 s[52:59], s[0:1], 0x38
	s_load_dwordx2 s[76:77], s[0:1], 0x58
	v_mov_b32_e32 v7, v0
	v_cmp_ne_u32_e64 s[2:3], 0, v7
	v_cmp_eq_u32_e64 s[50:51], 0, v7
	s_movk_i32 s32, 0x3c0
	s_and_saveexec_b64 s[4:5], s[50:51]
	s_cbranch_execz .LBB2105_4
; %bb.1:
	s_mov_b64 s[8:9], exec
	v_mbcnt_lo_u32_b32 v0, s8, 0
	v_mbcnt_hi_u32_b32 v0, s9, v0
	v_cmp_eq_u32_e32 vcc, 0, v0
                                        ; implicit-def: $vgpr1
	s_and_saveexec_b64 s[6:7], vcc
	s_cbranch_execz .LBB2105_3
; %bb.2:
	s_load_dwordx2 s[10:11], s[0:1], 0x88
	s_bcnt1_i32_b64 s8, s[8:9]
	v_mov_b32_e32 v1, 0
	v_mov_b32_e32 v2, s8
	s_waitcnt lgkmcnt(0)
	global_atomic_add v1, v1, v2, s[10:11] sc0
.LBB2105_3:
	s_or_b64 exec, exec, s[6:7]
	s_waitcnt vmcnt(0)
	v_readfirstlane_b32 s6, v1
	v_mov_b32_e32 v1, 0
	s_nop 0
	v_add_u32_e32 v0, s6, v0
	ds_write_b32 v1, v0
.LBB2105_4:
	s_or_b64 exec, exec, s[4:5]
	s_load_dwordx8 s[60:67], s[0:1], 0x0
	s_load_dwordx4 s[72:75], s[0:1], 0x20
	s_load_dword s4, s[0:1], 0x60
	s_load_dwordx4 s[68:71], s[0:1], 0x68
	v_mov_b32_e32 v0, 0
	s_waitcnt lgkmcnt(0)
	s_barrier
	ds_read_b32 v1, v0
	s_mov_b32 s0, 0
	v_mov_b32_e32 v2, v0
	v_mov_b32_e32 v3, v0
	s_waitcnt lgkmcnt(0)
	v_readfirstlane_b32 s33, v1
	v_mov_b32_e32 v1, v0
	s_barrier
	s_barrier
	scratch_store_dword off, v0, off offset:480
	scratch_store_dwordx4 off, v[0:3], off offset:464
.LBB2105_5:                             ; =>This Inner Loop Header: Depth=1
	s_add_i32 s1, s0, 0x1d0
	s_add_i32 s0, s0, 8
	s_cmp_lg_u32 s0, 16
	scratch_store_dwordx2 off, v[0:1], s1
	s_cbranch_scc1 .LBB2105_5
; %bb.6:
	v_mov_b32_e32 v0, 0
	v_mov_b32_e32 v1, 0x1d0
	s_mov_b32 s0, 20
	v_add_u32_e32 v46, 20, v1
	v_mov_b32_e32 v1, v0
	v_mov_b32_e32 v2, v0
	v_mov_b32_e32 v3, v0
	scratch_store_byte off, v0, off offset:480
	scratch_store_dword off, v0, off offset:500
	scratch_store_dwordx4 off, v[0:3], off offset:484
.LBB2105_7:                             ; =>This Inner Loop Header: Depth=1
	s_add_i32 s1, s0, 0x1d0
	s_add_i32 s0, s0, 8
	s_cmp_lg_u32 s0, 36
	scratch_store_dwordx2 off, v[0:1], s1
	s_cbranch_scc1 .LBB2105_7
; %bb.8:
	v_mov_b32_e32 v0, 0
	v_mov_b32_e32 v1, 0x1d0
	s_mov_b32 s0, 40
	v_add_u32_e32 v45, 40, v1
	v_mov_b32_e32 v1, v0
	v_mov_b32_e32 v2, v0
	v_mov_b32_e32 v3, v0
	scratch_store_byte off, v0, off offset:500
	;; [unrolled: 17-line block ×3, first 2 shown]
	scratch_store_dword off, v0, off offset:540
	scratch_store_dwordx4 off, v[0:3], off offset:524
.LBB2105_11:                            ; =>This Inner Loop Header: Depth=1
	s_add_i32 s1, s0, 0x1d0
	s_add_i32 s0, s0, 8
	s_cmpk_lg_i32 s0, 0x4c
	scratch_store_dwordx2 off, v[0:1], s1
	s_cbranch_scc1 .LBB2105_11
; %bb.12:
	v_mov_b32_e32 v0, 0
	v_mov_b32_e32 v1, 0x1d0
	s_movk_i32 s0, 0x50
	v_add_u32_e32 v43, 0x50, v1
	v_mov_b32_e32 v1, v0
	v_mov_b32_e32 v2, v0
	v_mov_b32_e32 v3, v0
	scratch_store_byte off, v0, off offset:540
	scratch_store_dword off, v0, off offset:560
	scratch_store_dwordx4 off, v[0:3], off offset:544
.LBB2105_13:                            ; =>This Inner Loop Header: Depth=1
	s_add_i32 s1, s0, 0x1d0
	s_add_i32 s0, s0, 8
	s_cmpk_lg_i32 s0, 0x60
	scratch_store_dwordx2 off, v[0:1], s1
	s_cbranch_scc1 .LBB2105_13
; %bb.14:
	v_mov_b32_e32 v0, 0
	v_mov_b32_e32 v1, 0x1d0
	s_movk_i32 s0, 0x64
	v_add_u32_e32 v42, 0x64, v1
	v_mov_b32_e32 v1, v0
	v_mov_b32_e32 v2, v0
	v_mov_b32_e32 v3, v0
	scratch_store_byte off, v0, off offset:560
	;; [unrolled: 17-line block ×19, first 2 shown]
	scratch_store_dword off, v0, off offset:920
	scratch_store_dwordx4 off, v[0:3], off offset:904
.LBB2105_49:                            ; =>This Inner Loop Header: Depth=1
	s_add_i32 s1, s0, 0x1d0
	s_add_i32 s0, s0, 8
	s_cmpk_lg_i32 s0, 0x1c8
	scratch_store_dwordx2 off, v[0:1], s1
	s_cbranch_scc1 .LBB2105_49
; %bb.50:
	v_mov_b32_e32 v0, 0
	v_mov_b64_e32 v[2:3], s[72:73]
	s_mov_b32 s0, 0
	v_mov_b64_e32 v[4:5], s[74:75]
	v_mov_b32_e32 v1, v0
	scratch_store_byte off, v0, off offset:920
	scratch_store_dwordx4 off, v[2:5], off
.LBB2105_51:                            ; =>This Inner Loop Header: Depth=1
	s_add_i32 s1, s0, 0x60
	s_add_i32 s0, s0, 8
	s_cmp_lg_u32 s0, 16
	scratch_store_dwordx2 off, v[0:1], s1
	s_cbranch_scc1 .LBB2105_51
; %bb.52:
	v_mov_b32_e32 v0, 0
	s_mov_b32 s0, 16
	v_mov_b32_e32 v1, v0
.LBB2105_53:                            ; =>This Inner Loop Header: Depth=1
	s_add_i32 s1, s0, 0x60
	s_add_i32 s0, s0, 8
	s_cmp_lg_u32 s0, 32
	scratch_store_dwordx2 off, v[0:1], s1
	s_cbranch_scc1 .LBB2105_53
; %bb.54:
	v_mov_b32_e32 v0, 0
	s_mov_b32 s0, 32
	v_mov_b32_e32 v1, v0
	;; [unrolled: 10-line block ×4, first 2 shown]
.LBB2105_59:                            ; =>This Inner Loop Header: Depth=1
	s_add_i32 s1, s0, 0x60
	s_add_i32 s0, s0, 8
	s_cmpk_lg_i32 s0, 0x50
	scratch_store_dwordx2 off, v[0:1], s1
	s_cbranch_scc1 .LBB2105_59
; %bb.60:
	v_mov_b32_e32 v0, 0
	s_movk_i32 s0, 0x50
	v_mov_b32_e32 v1, v0
.LBB2105_61:                            ; =>This Inner Loop Header: Depth=1
	s_add_i32 s1, s0, 0x60
	s_add_i32 s0, s0, 8
	s_cmpk_lg_i32 s0, 0x60
	scratch_store_dwordx2 off, v[0:1], s1
	s_cbranch_scc1 .LBB2105_61
; %bb.62:
	v_mov_b32_e32 v0, 0
	s_movk_i32 s0, 0x60
	v_mov_b32_e32 v1, v0
	;; [unrolled: 10-line block ×18, first 2 shown]
.LBB2105_95:                            ; =>This Inner Loop Header: Depth=1
	s_add_i32 s1, s0, 0x60
	s_add_i32 s0, s0, 8
	s_cmpk_lg_i32 s0, 0x170
	scratch_store_dwordx2 off, v[0:1], s1
	s_cbranch_scc1 .LBB2105_95
; %bb.96:
	s_lshl_b64 s[0:1], s[62:63], 2
	s_add_u32 s6, s60, s0
	s_addc_u32 s7, s61, s1
	s_lshl_b64 s[60:61], s[62:63], 4
	s_add_u32 s8, s64, s60
	s_mul_i32 s0, s77, s4
	s_mul_hi_u32 s1, s76, s4
	s_addc_u32 s9, s65, s61
	s_add_i32 s82, s1, s0
	s_mul_i32 s0, s33, 0xb80
	s_mov_b32 s1, 0
	s_mul_i32 s83, s76, s4
	s_lshl_b64 s[4:5], s[0:1], 2
	s_add_u32 s64, s6, s4
	s_addc_u32 s65, s7, s5
	s_lshl_b64 s[0:1], s[0:1], 4
	s_add_u32 s62, s8, s0
	s_addc_u32 s63, s9, s1
	s_add_u32 s6, s83, s33
	s_addc_u32 s7, s82, 0
	s_add_u32 s0, s68, -1
	v_mov_b32_e32 v0, 0x60
	s_addc_u32 s1, s69, -1
	v_add_u32_e32 v47, 0x160, v0
	v_add_u32_e32 v48, 0x150, v0
	v_add_u32_e32 v49, 0x140, v0
	v_add_u32_e32 v50, 0x130, v0
	v_add_u32_e32 v51, 0x120, v0
	v_add_u32_e32 v52, 0x110, v0
	v_add_u32_e32 v53, 0x100, v0
	v_add_u32_e32 v54, 0xf0, v0
	v_add_u32_e32 v55, 0xe0, v0
	v_add_u32_e32 v56, 0xd0, v0
	v_add_u32_e32 v57, 0xc0, v0
	v_add_u32_e32 v58, 0xb0, v0
	v_add_u32_e32 v59, 0xa0, v0
	v_add_u32_e32 v60, 0x90, v0
	v_add_u32_e32 v61, 0x80, v0
	v_add_u32_e32 v62, 0x70, v0
	v_add_u32_e32 v63, 0x60, v0
	v_add_u32_e32 v64, 0x50, v0
	v_add_u32_e32 v65, 64, v0
	v_add_u32_e32 v66, 48, v0
	v_add_u32_e32 v67, 32, v0
	v_add_u32_e32 v68, 16, v0
	v_mov_b64_e32 v[0:1], s[0:1]
	v_cmp_ge_u64_e32 vcc, s[6:7], v[0:1]
	s_mov_b64 s[4:5], -1
	s_cbranch_vccz .LBB2105_214
; %bb.97:
	v_mov_b64_e32 v[0:1], s[64:65]
	flat_load_dword v0, v[0:1]
	s_mul_i32 s84, s0, 0xfffff480
	s_add_i32 s84, s84, s58
	v_cmp_gt_u32_e32 vcc, s84, v7
	s_waitcnt vmcnt(0) lgkmcnt(0)
	v_mov_b32_e32 v1, v0
	s_and_saveexec_b64 s[0:1], vcc
	s_cbranch_execz .LBB2105_99
; %bb.98:
	v_lshlrev_b32_e32 v2, 2, v7
	v_mov_b32_e32 v3, 0
	v_lshl_add_u64 v[2:3], s[64:65], 0, v[2:3]
	flat_load_dword v1, v[2:3]
.LBB2105_99:
	s_or_b64 exec, exec, s[0:1]
	v_or_b32_e32 v2, 0x80, v7
	v_cmp_gt_u32_e64 s[4:5], s84, v2
	v_mov_b32_e32 v2, v0
	s_and_saveexec_b64 s[0:1], s[4:5]
	s_cbranch_execz .LBB2105_101
; %bb.100:
	v_lshlrev_b32_e32 v2, 2, v7
	v_mov_b32_e32 v3, 0
	v_lshl_add_u64 v[2:3], s[64:65], 0, v[2:3]
	flat_load_dword v2, v[2:3] offset:512
.LBB2105_101:
	s_or_b64 exec, exec, s[0:1]
	v_or_b32_e32 v71, 0x100, v7
	v_cmp_gt_u32_e64 s[6:7], s84, v71
	v_mov_b32_e32 v3, v0
	s_and_saveexec_b64 s[0:1], s[6:7]
	s_cbranch_execz .LBB2105_103
; %bb.102:
	v_lshlrev_b32_e32 v4, 2, v7
	v_mov_b32_e32 v5, 0
	v_lshl_add_u64 v[4:5], s[64:65], 0, v[4:5]
	flat_load_dword v3, v[4:5] offset:1024
.LBB2105_103:
	;; [unrolled: 12-line block ×7, first 2 shown]
	s_or_b64 exec, exec, s[0:1]
	v_or_b32_e32 v77, 0x400, v7
	v_cmp_gt_u32_e64 s[18:19], s84, v77
	v_mov_b32_e32 v11, v0
	s_and_saveexec_b64 s[0:1], s[18:19]
	s_cbranch_execz .LBB2105_115
; %bb.114:
	v_lshlrev_b32_e32 v12, 2, v77
	v_mov_b32_e32 v13, 0
	v_lshl_add_u64 v[12:13], s[64:65], 0, v[12:13]
	flat_load_dword v11, v[12:13]
.LBB2105_115:
	s_or_b64 exec, exec, s[0:1]
	v_or_b32_e32 v78, 0x480, v7
	v_cmp_gt_u32_e64 s[20:21], s84, v78
	v_mov_b32_e32 v12, v0
	s_and_saveexec_b64 s[0:1], s[20:21]
	s_cbranch_execz .LBB2105_117
; %bb.116:
	v_lshlrev_b32_e32 v12, 2, v78
	v_mov_b32_e32 v13, 0
	v_lshl_add_u64 v[12:13], s[64:65], 0, v[12:13]
	flat_load_dword v12, v[12:13]
.LBB2105_117:
	;; [unrolled: 12-line block ×14, first 2 shown]
	s_or_b64 exec, exec, s[0:1]
	v_or_b32_e32 v91, 0xb00, v7
	v_cmp_gt_u32_e64 s[48:49], s84, v91
	s_and_saveexec_b64 s[0:1], s[48:49]
	s_cbranch_execz .LBB2105_143
; %bb.142:
	v_lshlrev_b32_e32 v92, 2, v91
	v_mov_b32_e32 v93, 0
	v_lshl_add_u64 v[92:93], s[64:65], 0, v[92:93]
	flat_load_dword v0, v[92:93]
.LBB2105_143:
	s_or_b64 exec, exec, s[0:1]
	v_lshlrev_b32_e32 v24, 2, v7
	s_waitcnt vmcnt(0) lgkmcnt(0)
	ds_write2st64_b32 v24, v1, v2 offset1:2
	ds_write2st64_b32 v24, v3, v4 offset0:4 offset1:6
	ds_write2st64_b32 v24, v5, v8 offset0:8 offset1:10
	ds_write2st64_b32 v24, v9, v10 offset0:12 offset1:14
	ds_write2st64_b32 v24, v11, v12 offset0:16 offset1:18
	ds_write2st64_b32 v24, v13, v14 offset0:20 offset1:22
	ds_write2st64_b32 v24, v15, v16 offset0:24 offset1:26
	ds_write2st64_b32 v24, v17, v18 offset0:28 offset1:30
	ds_write2st64_b32 v24, v19, v20 offset0:32 offset1:34
	ds_write2st64_b32 v24, v21, v22 offset0:36 offset1:38
	ds_write2st64_b32 v24, v23, v25 offset0:40 offset1:42
	ds_write_b32 v24, v0 offset:11264
	v_mov_b64_e32 v[0:1], s[64:65]
	s_waitcnt lgkmcnt(0)
	s_barrier
	flat_load_dword v69, v[0:1]
	s_movk_i32 s0, 0x58
	v_mad_u32_u24 v25, v7, s0, v24
	s_movk_i32 s0, 0xffa8
	ds_read_b32 v70, v25
	ds_read2_b32 v[22:23], v25 offset0:1 offset1:2
	ds_read2_b32 v[20:21], v25 offset0:3 offset1:4
	;; [unrolled: 1-line block ×11, first 2 shown]
	v_mad_i32_i24 v25, v7, s0, v25
	s_movk_i32 s0, 0x7f
	v_cmp_ne_u32_e64 s[0:1], s0, v7
	s_waitcnt lgkmcnt(0)
	ds_write_b32 v25, v70 offset:12288
	s_waitcnt lgkmcnt(0)
	s_barrier
	s_and_saveexec_b64 s[78:79], s[0:1]
	s_cbranch_execz .LBB2105_145
; %bb.144:
	s_waitcnt vmcnt(0)
	ds_read_b32 v69, v24 offset:12292
.LBB2105_145:
	s_or_b64 exec, exec, s[78:79]
	v_mov_b32_e32 v25, 0
	s_waitcnt lgkmcnt(0)
	s_barrier
	s_and_saveexec_b64 s[0:1], vcc
	s_cbranch_execnz .LBB2105_1248
; %bb.146:
	s_or_b64 exec, exec, s[0:1]
	s_and_saveexec_b64 s[0:1], s[4:5]
	s_cbranch_execnz .LBB2105_1249
.LBB2105_147:
	s_or_b64 exec, exec, s[0:1]
	s_and_saveexec_b64 s[0:1], s[6:7]
	s_cbranch_execnz .LBB2105_1250
.LBB2105_148:
	s_or_b64 exec, exec, s[0:1]
	s_and_saveexec_b64 s[0:1], s[8:9]
	s_cbranch_execnz .LBB2105_1251
.LBB2105_149:
	s_or_b64 exec, exec, s[0:1]
	s_and_saveexec_b64 s[0:1], s[10:11]
	s_cbranch_execnz .LBB2105_1252
.LBB2105_150:
	s_or_b64 exec, exec, s[0:1]
	s_and_saveexec_b64 s[0:1], s[12:13]
	s_cbranch_execnz .LBB2105_1253
.LBB2105_151:
	s_or_b64 exec, exec, s[0:1]
	s_and_saveexec_b64 s[0:1], s[14:15]
	s_cbranch_execnz .LBB2105_1254
.LBB2105_152:
	s_or_b64 exec, exec, s[0:1]
	s_and_saveexec_b64 s[0:1], s[16:17]
	s_cbranch_execnz .LBB2105_1255
.LBB2105_153:
	s_or_b64 exec, exec, s[0:1]
	s_and_saveexec_b64 s[0:1], s[18:19]
	s_cbranch_execnz .LBB2105_1256
.LBB2105_154:
	s_or_b64 exec, exec, s[0:1]
	s_and_saveexec_b64 s[0:1], s[20:21]
	s_cbranch_execnz .LBB2105_1257
.LBB2105_155:
	s_or_b64 exec, exec, s[0:1]
	s_and_saveexec_b64 s[0:1], s[22:23]
	s_cbranch_execnz .LBB2105_1258
.LBB2105_156:
	s_or_b64 exec, exec, s[0:1]
	s_and_saveexec_b64 s[0:1], s[24:25]
	s_cbranch_execnz .LBB2105_1259
.LBB2105_157:
	s_or_b64 exec, exec, s[0:1]
	s_and_saveexec_b64 s[0:1], s[26:27]
	s_cbranch_execnz .LBB2105_1260
.LBB2105_158:
	s_or_b64 exec, exec, s[0:1]
	s_and_saveexec_b64 s[0:1], s[28:29]
	s_cbranch_execnz .LBB2105_1261
.LBB2105_159:
	s_or_b64 exec, exec, s[0:1]
	s_and_saveexec_b64 s[0:1], s[30:31]
	s_cbranch_execnz .LBB2105_1262
.LBB2105_160:
	s_or_b64 exec, exec, s[0:1]
	s_and_saveexec_b64 s[0:1], s[34:35]
	s_cbranch_execnz .LBB2105_1263
.LBB2105_161:
	s_or_b64 exec, exec, s[0:1]
	s_and_saveexec_b64 s[0:1], s[36:37]
	s_cbranch_execnz .LBB2105_1264
.LBB2105_162:
	s_or_b64 exec, exec, s[0:1]
	s_and_saveexec_b64 s[0:1], s[38:39]
	s_cbranch_execnz .LBB2105_1265
.LBB2105_163:
	s_or_b64 exec, exec, s[0:1]
	s_and_saveexec_b64 s[0:1], s[40:41]
	s_cbranch_execnz .LBB2105_1266
.LBB2105_164:
	s_or_b64 exec, exec, s[0:1]
	s_and_saveexec_b64 s[0:1], s[42:43]
	s_cbranch_execnz .LBB2105_1267
.LBB2105_165:
	s_or_b64 exec, exec, s[0:1]
	s_and_saveexec_b64 s[0:1], s[44:45]
	s_cbranch_execnz .LBB2105_1268
.LBB2105_166:
	s_or_b64 exec, exec, s[0:1]
	s_and_saveexec_b64 s[0:1], s[46:47]
	s_cbranch_execnz .LBB2105_1269
.LBB2105_167:
	s_or_b64 exec, exec, s[0:1]
	v_mul_u32_u24_e32 v24, 23, v7
	s_and_saveexec_b64 s[0:1], s[48:49]
	s_cbranch_execz .LBB2105_169
.LBB2105_168:
	v_lshlrev_b32_e32 v72, 4, v91
	v_mov_b32_e32 v73, 0
	v_lshl_add_u64 v[72:73], s[62:63], 0, v[72:73]
	flat_load_dwordx4 v[72:75], v[72:73]
	s_waitcnt vmcnt(0) lgkmcnt(0)
	scratch_store_dwordx4 off, v[72:75], off offset:448
.LBB2105_169:
	s_or_b64 exec, exec, s[0:1]
	scratch_load_dwordx4 v[72:75], off, off offset:96
	scratch_load_dwordx4 v[76:79], v68, off
	scratch_load_dwordx4 v[80:83], v67, off
	;; [unrolled: 1-line block ×22, first 2 shown]
	v_lshlrev_b32_e32 v25, 4, v7
	s_movk_i32 s0, 0x160
	v_mad_u32_u24 v71, v7, s0, v25
	v_cmp_gt_u32_e32 vcc, s84, v24
	s_mov_b64 s[4:5], 0
	s_mov_b64 s[8:9], 0
                                        ; implicit-def: $sgpr0_sgpr1
	s_waitcnt vmcnt(0)
	ds_write_b128 v25, v[72:75]
	ds_write_b128 v25, v[76:79] offset:2048
	ds_write_b128 v25, v[80:83] offset:4096
	;; [unrolled: 1-line block ×22, first 2 shown]
	s_waitcnt lgkmcnt(0)
	s_barrier
	ds_read_b128 v[72:75], v71
	ds_read_b128 v[76:79], v71 offset:16
	ds_read_b128 v[80:83], v71 offset:32
	;; [unrolled: 1-line block ×17, first 2 shown]
	s_waitcnt lgkmcnt(14)
	scratch_store_dwordx4 off, v[72:75], off offset:96
	scratch_store_dwordx4 v68, v[76:79], off
	scratch_store_dwordx4 v67, v[80:83], off
	;; [unrolled: 1-line block ×3, first 2 shown]
	s_waitcnt lgkmcnt(13)
	scratch_store_dwordx4 v65, v[88:91], off
	s_waitcnt lgkmcnt(12)
	scratch_store_dwordx4 v64, v[92:95], off
	s_waitcnt lgkmcnt(11)
	scratch_store_dwordx4 v63, v[96:99], off
	s_waitcnt lgkmcnt(10)
	scratch_store_dwordx4 v62, v[100:103], off
	s_waitcnt lgkmcnt(9)
	scratch_store_dwordx4 v61, v[104:107], off
	s_waitcnt lgkmcnt(8)
	scratch_store_dwordx4 v60, v[108:111], off
	s_waitcnt lgkmcnt(7)
	scratch_store_dwordx4 v59, v[112:115], off
	s_waitcnt lgkmcnt(6)
	scratch_store_dwordx4 v58, v[116:119], off
	s_waitcnt lgkmcnt(5)
	scratch_store_dwordx4 v57, v[120:123], off
	s_waitcnt lgkmcnt(4)
	scratch_store_dwordx4 v56, v[124:127], off
	s_waitcnt lgkmcnt(3)
	scratch_store_dwordx4 v55, v[128:131], off
	s_waitcnt lgkmcnt(2)
	scratch_store_dwordx4 v54, v[132:135], off
	s_waitcnt lgkmcnt(1)
	scratch_store_dwordx4 v53, v[136:139], off
	s_waitcnt lgkmcnt(0)
	scratch_store_dwordx4 v52, v[140:143], off
	ds_read_b128 v[72:75], v71 offset:288
	ds_read_b128 v[76:79], v71 offset:304
	;; [unrolled: 1-line block ×5, first 2 shown]
	s_waitcnt lgkmcnt(4)
	scratch_store_dwordx4 v51, v[72:75], off
	s_waitcnt lgkmcnt(3)
	scratch_store_dwordx4 v50, v[76:79], off
	;; [unrolled: 2-line block ×5, first 2 shown]
	s_and_saveexec_b64 s[6:7], vcc
	s_cbranch_execz .LBB2105_213
; %bb.170:
	v_cmp_ne_u32_e32 vcc, v70, v22
	v_mov_b32_e32 v25, 0
	v_mov_b32_e32 v70, 0x60
	v_cndmask_b32_e32 v70, v70, v25, vcc
	scratch_load_dwordx4 v[70:73], v70, off
	v_add_u32_e32 v75, 1, v24
	v_cndmask_b32_e64 v74, 0, 1, vcc
	v_cmp_gt_u32_e32 vcc, s84, v75
	s_mov_b64 s[10:11], 0
	scratch_store_byte off, v74, off offset:480
                                        ; implicit-def: $sgpr12_sgpr13
	s_waitcnt vmcnt(1)
	scratch_store_dwordx4 off, v[70:73], off offset:464
	s_and_saveexec_b64 s[8:9], vcc
	s_cbranch_execz .LBB2105_212
; %bb.171:
	v_cmp_ne_u32_e32 vcc, v22, v23
	s_mov_b64 s[0:1], 0
                                        ; implicit-def: $sgpr12_sgpr13
	s_nop 0
	v_cndmask_b32_e32 v25, v68, v25, vcc
	scratch_load_dwordx4 v[70:73], v25, off
	v_add_u32_e32 v25, 2, v24
	v_cndmask_b32_e64 v22, 0, 1, vcc
	v_cmp_gt_u32_e32 vcc, s84, v25
	scratch_store_byte off, v22, off offset:500
	s_waitcnt vmcnt(1)
	scratch_store_dwordx4 v46, v[70:73], off
	s_and_saveexec_b64 s[10:11], vcc
	s_cbranch_execz .LBB2105_211
; %bb.172:
	v_cmp_ne_u32_e32 vcc, v23, v20
	v_mov_b32_e32 v22, 0
                                        ; implicit-def: $sgpr14_sgpr15
	s_nop 0
	v_cndmask_b32_e32 v25, v67, v22, vcc
	scratch_load_dwordx4 v[70:73], v25, off
	v_add_u32_e32 v25, 3, v24
	v_cndmask_b32_e64 v23, 0, 1, vcc
	v_cmp_gt_u32_e32 vcc, s84, v25
	scratch_store_byte off, v23, off offset:520
	s_waitcnt vmcnt(1)
	scratch_store_dwordx4 v45, v[70:73], off
	s_and_saveexec_b64 s[12:13], vcc
	s_cbranch_execz .LBB2105_210
; %bb.173:
	v_cmp_ne_u32_e32 vcc, v20, v21
                                        ; implicit-def: $sgpr16_sgpr17
	s_nop 1
	v_cndmask_b32_e32 v22, v66, v22, vcc
	scratch_load_dwordx4 v[70:73], v22, off
	v_add_u32_e32 v22, 4, v24
	v_cndmask_b32_e64 v20, 0, 1, vcc
	v_cmp_gt_u32_e32 vcc, s84, v22
	scratch_store_byte off, v20, off offset:540
	s_waitcnt vmcnt(1)
	scratch_store_dwordx4 v44, v[70:73], off
	s_and_saveexec_b64 s[14:15], vcc
	s_cbranch_execz .LBB2105_209
; %bb.174:
	v_cmp_ne_u32_e32 vcc, v21, v18
	v_mov_b32_e32 v20, 0
                                        ; implicit-def: $sgpr18_sgpr19
	s_nop 0
	v_cndmask_b32_e32 v22, v65, v20, vcc
	scratch_load_dwordx4 v[70:73], v22, off
	v_add_u32_e32 v22, 5, v24
	v_cndmask_b32_e64 v21, 0, 1, vcc
	v_cmp_gt_u32_e32 vcc, s84, v22
	scratch_store_byte off, v21, off offset:560
	s_waitcnt vmcnt(1)
	scratch_store_dwordx4 v43, v[70:73], off
	s_and_saveexec_b64 s[16:17], vcc
	s_cbranch_execz .LBB2105_208
; %bb.175:
	v_cmp_ne_u32_e32 vcc, v18, v19
	v_add_u32_e32 v25, 6, v24
                                        ; implicit-def: $sgpr20_sgpr21
	s_nop 0
	v_cndmask_b32_e32 v20, v64, v20, vcc
	scratch_load_dwordx4 v[20:23], v20, off
	v_cndmask_b32_e64 v18, 0, 1, vcc
	v_cmp_gt_u32_e32 vcc, s84, v25
	scratch_store_byte off, v18, off offset:580
	s_waitcnt vmcnt(1)
	scratch_store_dwordx4 v42, v[20:23], off
	s_and_saveexec_b64 s[18:19], vcc
	s_cbranch_execz .LBB2105_207
; %bb.176:
	v_cmp_ne_u32_e32 vcc, v19, v16
	v_mov_b32_e32 v18, 0
	v_add_u32_e32 v25, 7, v24
	v_cndmask_b32_e32 v20, v63, v18, vcc
	scratch_load_dwordx4 v[20:23], v20, off
	v_cndmask_b32_e64 v19, 0, 1, vcc
	v_cmp_gt_u32_e32 vcc, s84, v25
	scratch_store_byte off, v19, off offset:600
                                        ; implicit-def: $sgpr22_sgpr23
	s_waitcnt vmcnt(1)
	scratch_store_dwordx4 v41, v[20:23], off
	s_and_saveexec_b64 s[20:21], vcc
	s_cbranch_execz .LBB2105_206
; %bb.177:
	v_cmp_ne_u32_e32 vcc, v16, v17
	v_add_u32_e32 v22, 8, v24
                                        ; implicit-def: $sgpr24_sgpr25
	s_nop 0
	v_cndmask_b32_e32 v18, v62, v18, vcc
	scratch_load_dwordx4 v[18:21], v18, off
	v_cndmask_b32_e64 v16, 0, 1, vcc
	v_cmp_gt_u32_e32 vcc, s84, v22
	scratch_store_byte off, v16, off offset:620
	s_waitcnt vmcnt(1)
	scratch_store_dwordx4 v40, v[18:21], off
	s_and_saveexec_b64 s[22:23], vcc
	s_cbranch_execz .LBB2105_205
; %bb.178:
	v_cmp_ne_u32_e32 vcc, v17, v14
	v_mov_b32_e32 v16, 0
	v_add_u32_e32 v22, 9, v24
	v_cndmask_b32_e32 v18, v61, v16, vcc
	scratch_load_dwordx4 v[18:21], v18, off
	v_cndmask_b32_e64 v17, 0, 1, vcc
	v_cmp_gt_u32_e32 vcc, s84, v22
	scratch_store_byte off, v17, off offset:640
                                        ; implicit-def: $sgpr26_sgpr27
	s_waitcnt vmcnt(1)
	scratch_store_dwordx4 v39, v[18:21], off
	s_and_saveexec_b64 s[24:25], vcc
	s_cbranch_execz .LBB2105_204
; %bb.179:
	v_cmp_ne_u32_e32 vcc, v14, v15
	v_add_u32_e32 v20, 10, v24
                                        ; implicit-def: $sgpr28_sgpr29
	s_nop 0
	v_cndmask_b32_e32 v16, v60, v16, vcc
	scratch_load_dwordx4 v[16:19], v16, off
	v_cndmask_b32_e64 v14, 0, 1, vcc
	v_cmp_gt_u32_e32 vcc, s84, v20
	scratch_store_byte off, v14, off offset:660
	s_waitcnt vmcnt(1)
	scratch_store_dwordx4 v38, v[16:19], off
	s_and_saveexec_b64 s[26:27], vcc
	s_cbranch_execz .LBB2105_203
; %bb.180:
	v_cmp_ne_u32_e32 vcc, v15, v12
	v_mov_b32_e32 v14, 0
	v_add_u32_e32 v20, 11, v24
	v_cndmask_b32_e32 v16, v59, v14, vcc
	scratch_load_dwordx4 v[16:19], v16, off
	v_cndmask_b32_e64 v15, 0, 1, vcc
	v_cmp_gt_u32_e32 vcc, s84, v20
	scratch_store_byte off, v15, off offset:680
                                        ; implicit-def: $sgpr30_sgpr31
	s_waitcnt vmcnt(1)
	scratch_store_dwordx4 v37, v[16:19], off
	s_and_saveexec_b64 s[28:29], vcc
	s_cbranch_execz .LBB2105_202
; %bb.181:
	v_cmp_ne_u32_e32 vcc, v12, v13
	v_add_u32_e32 v18, 12, v24
                                        ; implicit-def: $sgpr34_sgpr35
	s_nop 0
	v_cndmask_b32_e32 v14, v58, v14, vcc
	scratch_load_dwordx4 v[14:17], v14, off
	v_cndmask_b32_e64 v12, 0, 1, vcc
	v_cmp_gt_u32_e32 vcc, s84, v18
	scratch_store_byte off, v12, off offset:700
	s_waitcnt vmcnt(1)
	scratch_store_dwordx4 v36, v[14:17], off
	s_and_saveexec_b64 s[30:31], vcc
	s_cbranch_execz .LBB2105_201
; %bb.182:
	v_cmp_ne_u32_e32 vcc, v13, v10
	v_mov_b32_e32 v12, 0
	v_add_u32_e32 v18, 13, v24
	v_cndmask_b32_e32 v14, v57, v12, vcc
	scratch_load_dwordx4 v[14:17], v14, off
	v_cndmask_b32_e64 v13, 0, 1, vcc
	v_cmp_gt_u32_e32 vcc, s84, v18
	scratch_store_byte off, v13, off offset:720
                                        ; implicit-def: $sgpr36_sgpr37
	s_waitcnt vmcnt(1)
	scratch_store_dwordx4 v35, v[14:17], off
	s_and_saveexec_b64 s[34:35], vcc
	s_cbranch_execz .LBB2105_200
; %bb.183:
	v_cmp_ne_u32_e32 vcc, v10, v11
	v_add_u32_e32 v16, 14, v24
                                        ; implicit-def: $sgpr38_sgpr39
	s_nop 0
	v_cndmask_b32_e32 v12, v56, v12, vcc
	scratch_load_dwordx4 v[12:15], v12, off
	v_cndmask_b32_e64 v10, 0, 1, vcc
	v_cmp_gt_u32_e32 vcc, s84, v16
	scratch_store_byte off, v10, off offset:740
	s_waitcnt vmcnt(1)
	scratch_store_dwordx4 v34, v[12:15], off
	s_and_saveexec_b64 s[36:37], vcc
	s_cbranch_execz .LBB2105_199
; %bb.184:
	v_cmp_ne_u32_e32 vcc, v11, v8
	v_mov_b32_e32 v10, 0
	v_add_u32_e32 v16, 15, v24
	v_cndmask_b32_e32 v12, v55, v10, vcc
	scratch_load_dwordx4 v[12:15], v12, off
	v_cndmask_b32_e64 v11, 0, 1, vcc
	v_cmp_gt_u32_e32 vcc, s84, v16
	scratch_store_byte off, v11, off offset:760
                                        ; implicit-def: $sgpr40_sgpr41
	s_waitcnt vmcnt(1)
	scratch_store_dwordx4 v33, v[12:15], off
	s_and_saveexec_b64 s[38:39], vcc
	s_cbranch_execz .LBB2105_198
; %bb.185:
	v_cmp_ne_u32_e32 vcc, v8, v9
	v_add_u32_e32 v14, 16, v24
                                        ; implicit-def: $sgpr42_sgpr43
	s_nop 0
	v_cndmask_b32_e32 v10, v54, v10, vcc
	scratch_load_dwordx4 v[10:13], v10, off
	v_cndmask_b32_e64 v8, 0, 1, vcc
	v_cmp_gt_u32_e32 vcc, s84, v14
	scratch_store_byte off, v8, off offset:780
	s_waitcnt vmcnt(1)
	scratch_store_dwordx4 v32, v[10:13], off
	s_and_saveexec_b64 s[40:41], vcc
	s_cbranch_execz .LBB2105_197
; %bb.186:
	v_cmp_ne_u32_e32 vcc, v9, v4
	v_mov_b32_e32 v8, 0
	v_add_u32_e32 v14, 17, v24
	v_cndmask_b32_e32 v10, v53, v8, vcc
	scratch_load_dwordx4 v[10:13], v10, off
	v_cndmask_b32_e64 v9, 0, 1, vcc
	v_cmp_gt_u32_e32 vcc, s84, v14
	scratch_store_byte off, v9, off offset:800
                                        ; implicit-def: $sgpr44_sgpr45
	s_waitcnt vmcnt(1)
	scratch_store_dwordx4 v31, v[10:13], off
	s_and_saveexec_b64 s[42:43], vcc
	s_cbranch_execz .LBB2105_196
; %bb.187:
	v_cmp_ne_u32_e32 vcc, v4, v5
	v_add_u32_e32 v12, 18, v24
                                        ; implicit-def: $sgpr46_sgpr47
	s_nop 0
	v_cndmask_b32_e32 v8, v52, v8, vcc
	scratch_load_dwordx4 v[8:11], v8, off
	v_cndmask_b32_e64 v4, 0, 1, vcc
	v_cmp_gt_u32_e32 vcc, s84, v12
	scratch_store_byte off, v4, off offset:820
	s_waitcnt vmcnt(1)
	scratch_store_dwordx4 v30, v[8:11], off
	s_and_saveexec_b64 s[44:45], vcc
	s_cbranch_execz .LBB2105_195
; %bb.188:
	v_cmp_ne_u32_e32 vcc, v5, v2
	v_mov_b32_e32 v4, 0
	v_add_u32_e32 v12, 19, v24
	v_cndmask_b32_e32 v8, v51, v4, vcc
	scratch_load_dwordx4 v[8:11], v8, off
	v_cndmask_b32_e64 v5, 0, 1, vcc
	v_cmp_gt_u32_e32 vcc, s84, v12
	scratch_store_byte off, v5, off offset:840
                                        ; implicit-def: $sgpr48_sgpr49
	s_waitcnt vmcnt(1)
	scratch_store_dwordx4 v29, v[8:11], off
	s_and_saveexec_b64 s[46:47], vcc
	s_cbranch_execz .LBB2105_194
; %bb.189:
	v_cmp_ne_u32_e32 vcc, v2, v3
                                        ; implicit-def: $sgpr78_sgpr79
	s_nop 1
	v_cndmask_b32_e32 v4, v50, v4, vcc
	scratch_load_dwordx4 v[8:11], v4, off
	v_add_u32_e32 v4, 20, v24
	v_cndmask_b32_e64 v2, 0, 1, vcc
	v_cmp_gt_u32_e32 vcc, s84, v4
	scratch_store_byte off, v2, off offset:860
	s_waitcnt vmcnt(1)
	scratch_store_dwordx4 v28, v[8:11], off
	s_and_saveexec_b64 s[48:49], vcc
	s_cbranch_execz .LBB2105_193
; %bb.190:
	v_cmp_ne_u32_e32 vcc, v3, v0
	v_mov_b32_e32 v2, 0
                                        ; implicit-def: $sgpr80_sgpr81
	s_nop 0
	v_cndmask_b32_e32 v4, v49, v2, vcc
	scratch_load_dwordx4 v[8:11], v4, off
	v_add_u32_e32 v4, 21, v24
	v_cndmask_b32_e64 v3, 0, 1, vcc
	v_cmp_gt_u32_e32 vcc, s84, v4
	scratch_store_byte off, v3, off offset:880
	s_waitcnt vmcnt(1)
	scratch_store_dwordx4 v27, v[8:11], off
	s_and_saveexec_b64 s[78:79], vcc
	s_xor_b64 s[78:79], exec, s[78:79]
	s_cbranch_execz .LBB2105_192
; %bb.191:
	v_cmp_ne_u32_e32 vcc, v0, v1
	s_nop 1
	v_cndmask_b32_e32 v2, v48, v2, vcc
	scratch_load_dwordx4 v[2:5], v2, off
	v_cndmask_b32_e64 v0, 0, 1, vcc
	v_cmp_ne_u32_e32 vcc, v1, v69
	v_add_u32_e32 v1, 22, v24
	v_cmp_gt_u32_e64 s[0:1], s84, v1
	s_and_b64 s[80:81], vcc, exec
	s_and_b64 s[0:1], s[0:1], exec
	scratch_store_byte off, v0, off offset:900
	s_waitcnt vmcnt(1)
	scratch_store_dwordx4 v26, v[2:5], off
.LBB2105_192:
	s_or_b64 exec, exec, s[78:79]
	s_and_b64 s[78:79], s[80:81], exec
	s_and_b64 s[0:1], s[0:1], exec
.LBB2105_193:
	s_or_b64 exec, exec, s[48:49]
	s_and_b64 s[48:49], s[78:79], exec
	s_and_b64 s[0:1], s[0:1], exec
.LBB2105_194:
	s_or_b64 exec, exec, s[46:47]
	s_and_b64 s[46:47], s[48:49], exec
	s_and_b64 s[0:1], s[0:1], exec
.LBB2105_195:
	s_or_b64 exec, exec, s[44:45]
	s_and_b64 s[44:45], s[46:47], exec
	s_and_b64 s[0:1], s[0:1], exec
.LBB2105_196:
	s_or_b64 exec, exec, s[42:43]
	s_and_b64 s[42:43], s[44:45], exec
	s_and_b64 s[0:1], s[0:1], exec
.LBB2105_197:
	s_or_b64 exec, exec, s[40:41]
	s_and_b64 s[40:41], s[42:43], exec
	s_and_b64 s[0:1], s[0:1], exec
.LBB2105_198:
	s_or_b64 exec, exec, s[38:39]
	s_and_b64 s[38:39], s[40:41], exec
	s_and_b64 s[0:1], s[0:1], exec
.LBB2105_199:
	s_or_b64 exec, exec, s[36:37]
	s_and_b64 s[36:37], s[38:39], exec
	s_and_b64 s[0:1], s[0:1], exec
.LBB2105_200:
	s_or_b64 exec, exec, s[34:35]
	s_and_b64 s[34:35], s[36:37], exec
	s_and_b64 s[0:1], s[0:1], exec
.LBB2105_201:
	s_or_b64 exec, exec, s[30:31]
	s_and_b64 s[30:31], s[34:35], exec
	s_and_b64 s[0:1], s[0:1], exec
.LBB2105_202:
	s_or_b64 exec, exec, s[28:29]
	s_and_b64 s[28:29], s[30:31], exec
	s_and_b64 s[0:1], s[0:1], exec
.LBB2105_203:
	s_or_b64 exec, exec, s[26:27]
	s_and_b64 s[26:27], s[28:29], exec
	s_and_b64 s[0:1], s[0:1], exec
.LBB2105_204:
	s_or_b64 exec, exec, s[24:25]
	s_and_b64 s[24:25], s[26:27], exec
	s_and_b64 s[0:1], s[0:1], exec
.LBB2105_205:
	s_or_b64 exec, exec, s[22:23]
	s_and_b64 s[22:23], s[24:25], exec
	s_and_b64 s[0:1], s[0:1], exec
.LBB2105_206:
	s_or_b64 exec, exec, s[20:21]
	s_and_b64 s[20:21], s[22:23], exec
	s_and_b64 s[0:1], s[0:1], exec
.LBB2105_207:
	s_or_b64 exec, exec, s[18:19]
	s_and_b64 s[18:19], s[20:21], exec
	s_and_b64 s[0:1], s[0:1], exec
.LBB2105_208:
	s_or_b64 exec, exec, s[16:17]
	s_and_b64 s[16:17], s[18:19], exec
	s_and_b64 s[0:1], s[0:1], exec
.LBB2105_209:
	s_or_b64 exec, exec, s[14:15]
	s_and_b64 s[14:15], s[16:17], exec
	s_and_b64 s[0:1], s[0:1], exec
.LBB2105_210:
	s_or_b64 exec, exec, s[12:13]
	s_and_b64 s[12:13], s[14:15], exec
	s_and_b64 s[0:1], s[0:1], exec
.LBB2105_211:
	s_or_b64 exec, exec, s[10:11]
	s_and_b64 s[12:13], s[12:13], exec
	s_and_b64 s[10:11], s[0:1], exec
.LBB2105_212:
	s_or_b64 exec, exec, s[8:9]
	s_and_b64 s[0:1], s[12:13], exec
	s_and_b64 s[8:9], s[10:11], exec
.LBB2105_213:
	s_or_b64 exec, exec, s[6:7]
	s_and_b64 vcc, exec, s[4:5]
	s_cbranch_vccnz .LBB2105_215
	s_branch .LBB2105_218
.LBB2105_214:
	s_mov_b64 s[8:9], 0
                                        ; implicit-def: $sgpr0_sgpr1
	s_and_b64 vcc, exec, s[4:5]
	s_cbranch_vccz .LBB2105_218
.LBB2105_215:
	v_mov_b32_e32 v1, 0
	v_lshlrev_b32_e32 v0, 2, v7
	v_lshl_add_u64 v[2:3], s[64:65], 0, v[0:1]
	v_add_co_u32_e32 v4, vcc, 0x1000, v2
	flat_load_dword v8, v[2:3]
	flat_load_dword v9, v[2:3] offset:512
	flat_load_dword v10, v[2:3] offset:1024
	;; [unrolled: 1-line block ×7, first 2 shown]
	v_addc_co_u32_e32 v5, vcc, 0, v3, vcc
	v_add_co_u32_e32 v2, vcc, 0x2000, v2
	flat_load_dword v16, v[4:5]
	flat_load_dword v17, v[4:5] offset:512
	flat_load_dword v18, v[4:5] offset:1024
	;; [unrolled: 1-line block ×7, first 2 shown]
	v_addc_co_u32_e32 v3, vcc, 0, v3, vcc
	flat_load_dword v4, v[2:3]
	flat_load_dword v5, v[2:3] offset:512
	flat_load_dword v24, v[2:3] offset:1024
	;; [unrolled: 1-line block ×6, first 2 shown]
	v_mov_b32_e32 v2, s64
	v_mov_b32_e32 v3, s65
	v_add_co_u32_e32 v2, vcc, 0x2000, v2
	s_movk_i32 s0, 0x58
	s_nop 0
	v_addc_co_u32_e32 v3, vcc, 0, v3, vcc
	s_movk_i32 s5, 0x1000
	s_movk_i32 s4, 0x2000
	s_waitcnt vmcnt(0) lgkmcnt(0)
	ds_write2st64_b32 v0, v8, v9 offset1:2
	ds_write2st64_b32 v0, v10, v11 offset0:4 offset1:6
	ds_write2st64_b32 v0, v12, v13 offset0:8 offset1:10
	;; [unrolled: 1-line block ×10, first 2 shown]
	ds_write_b32 v0, v71 offset:11264
	s_waitcnt lgkmcnt(0)
	s_barrier
	flat_load_dword v69, v[2:3] offset:3584
	v_mad_u32_u24 v71, v7, s0, v0
	s_movk_i32 s0, 0xffa8
	ds_read_b32 v70, v71
	ds_read2_b32 v[24:25], v71 offset0:1 offset1:2
	ds_read2_b32 v[22:23], v71 offset0:3 offset1:4
	;; [unrolled: 1-line block ×11, first 2 shown]
	v_mad_i32_i24 v71, v7, s0, v71
	s_movk_i32 s0, 0x7f
	v_cmp_ne_u32_e32 vcc, s0, v7
	s_waitcnt lgkmcnt(0)
	ds_write_b32 v71, v70 offset:12288
	s_waitcnt lgkmcnt(0)
	s_barrier
	s_and_saveexec_b64 s[0:1], vcc
	s_cbranch_execz .LBB2105_217
; %bb.216:
	s_waitcnt vmcnt(0)
	ds_read_b32 v69, v0 offset:12292
.LBB2105_217:
	s_or_b64 exec, exec, s[0:1]
	v_lshlrev_b32_e32 v0, 4, v7
	v_lshl_add_u64 v[76:77], s[62:63], 0, v[0:1]
	s_waitcnt lgkmcnt(0)
	s_barrier
	flat_load_dwordx4 v[72:75], v[76:77]
	v_add_co_u32_e32 v78, vcc, s5, v76
	s_movk_i32 s0, 0x3000
	s_nop 0
	v_addc_co_u32_e32 v79, vcc, 0, v77, vcc
	v_cmp_ne_u32_e64 s[12:13], v70, v24
	v_cmp_ne_u32_e64 s[10:11], v24, v25
	;; [unrolled: 1-line block ×19, first 2 shown]
	v_mov_b32_e32 v1, 0
	v_mov_b32_e32 v2, 0x60
	v_cmp_ne_u32_e64 s[18:19], v4, v5
	v_cndmask_b32_e64 v2, v2, v1, s[12:13]
	v_cndmask_b32_e64 v181, v68, v1, s[10:11]
	;; [unrolled: 1-line block ×21, first 2 shown]
	s_mov_b64 s[8:9], -1
	v_cndmask_b32_e64 v161, 0, 1, s[10:11]
	v_cndmask_b32_e64 v163, 0, 1, s[6:7]
	;; [unrolled: 1-line block ×18, first 2 shown]
	s_waitcnt vmcnt(0) lgkmcnt(0)
	scratch_store_dwordx4 off, v[72:75], off offset:96
	flat_load_dwordx4 v[72:75], v[76:77] offset:2048
	s_waitcnt vmcnt(0) lgkmcnt(0)
	scratch_store_dwordx4 off, v[72:75], off offset:112
	flat_load_dwordx4 v[72:75], v[78:79]
	s_waitcnt vmcnt(0) lgkmcnt(0)
	scratch_store_dwordx4 off, v[72:75], off offset:128
	flat_load_dwordx4 v[72:75], v[78:79] offset:2048
	v_add_co_u32_e32 v78, vcc, s4, v76
	v_cmp_ne_u32_e64 s[4:5], v23, v20
	s_nop 0
	v_addc_co_u32_e32 v79, vcc, 0, v77, vcc
	v_cndmask_b32_e64 v184, v65, v1, s[4:5]
	v_cndmask_b32_e64 v164, 0, 1, s[4:5]
	s_waitcnt vmcnt(0) lgkmcnt(0)
	scratch_store_dwordx4 off, v[72:75], off offset:144
	flat_load_dwordx4 v[72:75], v[78:79]
	s_waitcnt vmcnt(0) lgkmcnt(0)
	scratch_store_dwordx4 off, v[72:75], off offset:160
	flat_load_dwordx4 v[72:75], v[78:79] offset:2048
	v_add_co_u32_e32 v78, vcc, s0, v76
	s_movk_i32 s0, 0x4000
	s_nop 0
	v_addc_co_u32_e32 v79, vcc, 0, v77, vcc
	s_waitcnt vmcnt(0) lgkmcnt(0)
	scratch_store_dwordx4 off, v[72:75], off offset:176
	flat_load_dwordx4 v[72:75], v[78:79]
	s_waitcnt vmcnt(0) lgkmcnt(0)
	scratch_store_dwordx4 off, v[72:75], off offset:192
	flat_load_dwordx4 v[72:75], v[78:79] offset:2048
	v_add_co_u32_e32 v78, vcc, s0, v76
	s_movk_i32 s0, 0x5000
	s_nop 0
	v_addc_co_u32_e32 v79, vcc, 0, v77, vcc
	;; [unrolled: 10-line block ×4, first 2 shown]
	s_waitcnt vmcnt(0) lgkmcnt(0)
	scratch_store_dwordx4 off, v[72:75], off offset:272
	flat_load_dwordx4 v[72:75], v[78:79]
	s_waitcnt vmcnt(0) lgkmcnt(0)
	scratch_store_dwordx4 off, v[72:75], off offset:288
	flat_load_dwordx4 v[72:75], v[78:79] offset:2048
	v_add_co_u32_e32 v78, vcc, s0, v76
	s_mov_b32 s0, 0x8000
	s_nop 0
	v_addc_co_u32_e32 v79, vcc, 0, v77, vcc
	s_waitcnt vmcnt(0) lgkmcnt(0)
	scratch_store_dwordx4 off, v[72:75], off offset:304
	flat_load_dwordx4 v[72:75], v[78:79]
	s_waitcnt vmcnt(0) lgkmcnt(0)
	scratch_store_dwordx4 off, v[72:75], off offset:320
	flat_load_dwordx4 v[72:75], v[78:79] offset:2048
	v_add_co_u32_e32 v78, vcc, s0, v76
	s_mov_b32 s0, 0x9000
	s_nop 0
	v_addc_co_u32_e32 v79, vcc, 0, v77, vcc
	;; [unrolled: 10-line block ×4, first 2 shown]
	v_add_co_u32_e32 v76, vcc, s0, v76
	s_movk_i32 s0, 0x160
	s_nop 0
	v_addc_co_u32_e32 v77, vcc, 0, v77, vcc
	v_mad_u32_u24 v180, v7, s0, v0
	v_cmp_ne_u32_e32 vcc, v20, v21
	v_cmp_ne_u32_e64 s[0:1], v3, v69
	s_waitcnt vmcnt(0) lgkmcnt(0)
	scratch_store_dwordx4 off, v[72:75], off offset:400
	flat_load_dwordx4 v[72:75], v[78:79]
	v_cndmask_b32_e32 v185, v64, v1, vcc
	v_cndmask_b32_e64 v1, v48, v1, s[14:15]
	v_cndmask_b32_e64 v165, 0, 1, vcc
	s_waitcnt vmcnt(0) lgkmcnt(0)
	scratch_store_dwordx4 off, v[72:75], off offset:416
	flat_load_dwordx4 v[72:75], v[78:79] offset:2048
	s_waitcnt vmcnt(0) lgkmcnt(0)
	scratch_store_dwordx4 off, v[72:75], off offset:432
	flat_load_dwordx4 v[72:75], v[76:77]
	s_nop 0
	scratch_load_dwordx4 v[22:25], off, off offset:96
	scratch_load_dwordx4 v[76:79], v68, off
	scratch_load_dwordx4 v[80:83], v67, off
	;; [unrolled: 1-line block ×20, first 2 shown]
	s_waitcnt vmcnt(0) lgkmcnt(0)
	scratch_store_dwordx4 off, v[72:75], off offset:448
	scratch_load_dwordx4 v[70:73], v48, off
	s_nop 0
	scratch_load_dwordx4 v[156:159], v47, off
	ds_write_b128 v0, v[22:25]
	ds_write_b128 v0, v[76:79] offset:2048
	ds_write_b128 v0, v[80:83] offset:4096
	;; [unrolled: 1-line block ×20, first 2 shown]
	s_waitcnt vmcnt(1)
	ds_write_b128 v0, v[70:73] offset:43008
	s_waitcnt vmcnt(0)
	ds_write_b128 v0, v[156:159] offset:45056
	s_waitcnt lgkmcnt(0)
	s_barrier
	ds_read_b128 v[8:11], v180
	ds_read_b128 v[12:15], v180 offset:16
	ds_read_b128 v[16:19], v180 offset:32
	;; [unrolled: 1-line block ×21, first 2 shown]
	s_waitcnt lgkmcnt(14)
	scratch_store_dwordx4 off, v[8:11], off offset:96
	scratch_store_dwordx4 v68, v[12:15], off
	scratch_store_dwordx4 v67, v[16:19], off
	;; [unrolled: 1-line block ×7, first 2 shown]
	s_waitcnt lgkmcnt(13)
	scratch_store_dwordx4 v61, v[86:89], off
	s_waitcnt lgkmcnt(12)
	scratch_store_dwordx4 v60, v[90:93], off
	;; [unrolled: 2-line block ×14, first 2 shown]
	scratch_load_dwordx4 v[8:11], v2, off
	scratch_load_dwordx4 v[12:15], v181, off
	scratch_load_dwordx4 v[16:19], v182, off
	scratch_load_dwordx4 v[20:23], v183, off
	s_nop 0
	scratch_load_dwordx4 v[48:51], v184, off
	scratch_load_dwordx4 v[52:55], v185, off
	;; [unrolled: 1-line block ×10, first 2 shown]
                                        ; kill: killed $vgpr192
                                        ; kill: killed $vgpr181
                                        ; kill: killed $vgpr185
                                        ; kill: killed $vgpr189
                                        ; kill: killed $vgpr193
                                        ; kill: killed $vgpr182
                                        ; kill: killed $vgpr186
                                        ; kill: killed $vgpr190
                                        ; kill: killed $vgpr183
                                        ; kill: killed $vgpr187
                                        ; kill: killed $vgpr191
                                        ; kill: killed $vgpr184
                                        ; kill: killed $vgpr188
	scratch_load_dwordx4 v[90:93], v194, off
	scratch_load_dwordx4 v[94:97], v195, off
	;; [unrolled: 1-line block ×3, first 2 shown]
                                        ; kill: killed $vgpr196
                                        ; kill: killed $vgpr194
                                        ; kill: killed $vgpr195
	scratch_load_dwordx4 v[102:105], v197, off
	scratch_load_dwordx4 v[106:109], v198, off
	;; [unrolled: 1-line block ×5, first 2 shown]
	ds_read_b128 v[0:3], v180 offset:352
	scratch_store_byte off, v160, off offset:480
	scratch_store_byte off, v161, off offset:500
	;; [unrolled: 1-line block ×22, first 2 shown]
	s_waitcnt lgkmcnt(0)
	scratch_store_dwordx4 v47, v[0:3], off
	s_waitcnt vmcnt(44)
	scratch_store_dwordx4 off, v[8:11], off offset:464
	s_waitcnt vmcnt(44)
	scratch_store_dwordx4 v46, v[12:15], off
	s_waitcnt vmcnt(44)
	scratch_store_dwordx4 v45, v[16:19], off
	;; [unrolled: 2-line block ×21, first 2 shown]
.LBB2105_218:
	s_and_saveexec_b64 s[4:5], s[8:9]
	s_cbranch_execz .LBB2105_220
; %bb.219:
	v_mov_b32_e32 v0, 0
	v_cndmask_b32_e64 v0, v47, v0, s[0:1]
	scratch_load_dwordx4 v[0:3], v0, off
	v_cndmask_b32_e64 v4, 0, 1, s[0:1]
	s_waitcnt vmcnt(0)
	scratch_store_dwordx4 v6, v[0:3], off
	scratch_store_byte off, v4, off offset:920
.LBB2105_220:
	s_or_b64 exec, exec, s[4:5]
	s_cmp_lg_u32 s33, 0
	s_waitcnt vmcnt(63) expcnt(7) lgkmcnt(15)
	s_barrier
	s_cbranch_scc0 .LBB2105_801
; %bb.221:
	scratch_load_dwordx4 v[0:3], off, off offset:464
	scratch_load_dword v4, off, off offset:480
	scratch_load_ubyte v5, off, off offset:500
	s_waitcnt vmcnt(2)
	scratch_store_dwordx4 off, v[0:3], off offset:60
	s_waitcnt vmcnt(2)
	scratch_store_dword off, v4, off offset:76
	s_waitcnt vmcnt(2)
	v_cmp_ne_u16_e32 vcc, 0, v5
                                        ; implicit-def: $vgpr2_vgpr3
	s_and_saveexec_b64 s[0:1], vcc
	s_xor_b64 s[0:1], exec, s[0:1]
	s_cbranch_execz .LBB2105_223
; %bb.222:
	scratch_load_dwordx4 v[0:3], off, off offset:484
.LBB2105_223:
	s_andn2_saveexec_b64 s[0:1], s[0:1]
	s_cbranch_execz .LBB2105_229
; %bb.224:
	s_waitcnt vmcnt(0)
	v_mov_b32_e32 v0, 0
	s_mov_b32 s4, 0
	v_mov_b32_e32 v1, v0
.LBB2105_225:                           ; =>This Inner Loop Header: Depth=1
	s_add_i32 s5, s4, 0x60
	s_add_i32 s4, s4, 8
	s_cmp_lg_u32 s4, 16
	scratch_store_dwordx2 off, v[0:1], s5
	s_cbranch_scc1 .LBB2105_225
; %bb.226:
	s_mov_b32 s4, 0
.LBB2105_227:                           ; =>This Inner Loop Header: Depth=1
	s_add_i32 s5, s4, 60
	v_add_u32_e32 v8, s4, v46
	scratch_load_dwordx2 v[0:1], off, s5
	scratch_load_dwordx2 v[2:3], v8, off
	s_add_i32 s5, s4, 0x60
	s_add_i32 s4, s4, 8
	s_cmp_lg_u32 s4, 16
	s_waitcnt vmcnt(0)
	v_add_u32_e32 v1, v3, v1
	v_add_u32_e32 v0, v2, v0
	scratch_store_dwordx2 off, v[0:1], s5
	s_cbranch_scc1 .LBB2105_227
; %bb.228:
	scratch_load_dwordx4 v[0:3], off, off offset:96
.LBB2105_229:
	s_or_b64 exec, exec, s[0:1]
	scratch_load_ubyte v8, off, off offset:520
	s_waitcnt vmcnt(0)
	v_cmp_ne_u16_e32 vcc, 0, v8
	scratch_store_dwordx4 off, v[0:3], off offset:60
                                        ; implicit-def: $vgpr2_vgpr3
	s_and_saveexec_b64 s[0:1], vcc
	s_xor_b64 s[0:1], exec, s[0:1]
	s_cbranch_execz .LBB2105_231
; %bb.230:
	scratch_load_dwordx4 v[0:3], off, off offset:504
.LBB2105_231:
	s_andn2_saveexec_b64 s[0:1], s[0:1]
	s_cbranch_execz .LBB2105_237
; %bb.232:
	s_waitcnt vmcnt(0)
	v_mov_b32_e32 v0, 0
	s_mov_b32 s4, 0
	v_mov_b32_e32 v1, v0
.LBB2105_233:                           ; =>This Inner Loop Header: Depth=1
	s_add_i32 s5, s4, 0x60
	s_add_i32 s4, s4, 8
	s_cmp_lg_u32 s4, 16
	scratch_store_dwordx2 off, v[0:1], s5
	s_cbranch_scc1 .LBB2105_233
; %bb.234:
	s_mov_b32 s4, 0
.LBB2105_235:                           ; =>This Inner Loop Header: Depth=1
	s_add_i32 s5, s4, 60
	v_add_u32_e32 v9, s4, v45
	scratch_load_dwordx2 v[0:1], off, s5
	scratch_load_dwordx2 v[2:3], v9, off
	s_add_i32 s5, s4, 0x60
	s_add_i32 s4, s4, 8
	s_cmp_lg_u32 s4, 16
	s_waitcnt vmcnt(0)
	v_add_u32_e32 v1, v3, v1
	v_add_u32_e32 v0, v2, v0
	scratch_store_dwordx2 off, v[0:1], s5
	s_cbranch_scc1 .LBB2105_235
; %bb.236:
	scratch_load_dwordx4 v[0:3], off, off offset:96
.LBB2105_237:
	s_or_b64 exec, exec, s[0:1]
	scratch_load_ubyte v9, off, off offset:540
	s_waitcnt vmcnt(0)
	v_cmp_ne_u16_e32 vcc, 0, v9
	scratch_store_dwordx4 off, v[0:3], off offset:60
	;; [unrolled: 43-line block ×21, first 2 shown]
                                        ; implicit-def: $vgpr2_vgpr3
	s_and_saveexec_b64 s[0:1], vcc
	s_xor_b64 s[0:1], exec, s[0:1]
	s_cbranch_execz .LBB2105_391
; %bb.390:
	scratch_load_dwordx4 v[0:3], off, off offset:904
.LBB2105_391:
	s_andn2_saveexec_b64 s[0:1], s[0:1]
	s_cbranch_execz .LBB2105_397
; %bb.392:
	s_waitcnt vmcnt(0)
	v_mov_b32_e32 v0, 0
	s_mov_b32 s4, 0
	v_mov_b32_e32 v1, v0
.LBB2105_393:                           ; =>This Inner Loop Header: Depth=1
	s_add_i32 s5, s4, 0x60
	s_add_i32 s4, s4, 8
	s_cmp_lg_u32 s4, 16
	scratch_store_dwordx2 off, v[0:1], s5
	s_cbranch_scc1 .LBB2105_393
; %bb.394:
	s_mov_b32 s4, 0
.LBB2105_395:                           ; =>This Inner Loop Header: Depth=1
	s_add_i32 s5, s4, 60
	v_add_u32_e32 v50, s4, v6
	scratch_load_dwordx2 v[0:1], off, s5
	scratch_load_dwordx2 v[2:3], v50, off
	s_add_i32 s5, s4, 0x60
	s_add_i32 s4, s4, 8
	s_cmp_lg_u32 s4, 16
	s_waitcnt vmcnt(0)
	v_add_u32_e32 v1, v3, v1
	v_add_u32_e32 v0, v2, v0
	scratch_store_dwordx2 off, v[0:1], s5
	s_cbranch_scc1 .LBB2105_395
; %bb.396:
	scratch_load_dwordx4 v[0:3], off, off offset:96
.LBB2105_397:
	s_or_b64 exec, exec, s[0:1]
	v_or_b32_e32 v48, v49, v48
	v_or_b32_e32 v47, v48, v47
	;; [unrolled: 1-line block ×22, first 2 shown]
	v_and_b32_e32 v13, 1, v4
	v_lshrrev_b32_e32 v4, 5, v7
	v_add_u32_e32 v4, v4, v7
	v_mul_u32_u24_e32 v4, 20, v4
	v_cmp_gt_u32_e32 vcc, 64, v7
	s_waitcnt vmcnt(0)
	scratch_store_dwordx4 off, v[0:3], off offset:60
	scratch_store_byte off, v13, off offset:76
	ds_write2_b32 v4, v0, v1 offset1:1
	ds_write2_b32 v4, v2, v3 offset0:2 offset1:3
	ds_write_b8 v4, v13 offset:16
	s_waitcnt lgkmcnt(0)
	s_barrier
	s_and_saveexec_b64 s[0:1], vcc
	s_xor_b64 s[6:7], exec, s[0:1]
	s_cbranch_execz .LBB2105_473
; %bb.398:
	v_lshrrev_b32_e32 v4, 4, v7
	v_lshl_add_u32 v4, v7, 1, v4
	v_mul_u32_u24_e32 v14, 20, v4
	ds_read_u8 v15, v14 offset:36
	ds_read_b32 v5, v14 offset:16
	ds_read2_b32 v[10:11], v14 offset0:2 offset1:3
	ds_read2_b32 v[8:9], v14 offset1:1
	v_mad_u32_u24 v12, v4, 20, 20
	s_waitcnt lgkmcnt(3)
	v_cmp_ne_u16_e64 s[0:1], 0, v15
	s_waitcnt lgkmcnt(2)
	scratch_store_dword off, v5, off offset:16
	s_waitcnt lgkmcnt(0)
	scratch_store_dwordx4 off, v[8:11], off
                                        ; implicit-def: $vgpr8_vgpr9
	s_and_saveexec_b64 s[4:5], s[0:1]
	s_xor_b64 s[0:1], exec, s[4:5]
	s_cbranch_execz .LBB2105_400
; %bb.399:
	ds_read2_b32 v[8:9], v12 offset1:1
	ds_read2_b32 v[10:11], v12 offset0:2 offset1:3
.LBB2105_400:
	s_andn2_saveexec_b64 s[0:1], s[0:1]
	s_cbranch_execz .LBB2105_406
; %bb.401:
	v_mov_b32_e32 v4, 0
	s_mov_b32 s4, 0
	v_mov_b32_e32 v5, v4
.LBB2105_402:                           ; =>This Inner Loop Header: Depth=1
	s_add_i32 s5, s4, 0x60
	s_add_i32 s4, s4, 8
	s_cmp_lg_u32 s4, 16
	scratch_store_dwordx2 off, v[4:5], s5
	s_cbranch_scc1 .LBB2105_402
; %bb.403:
	s_mov_b32 s4, 0
.LBB2105_404:                           ; =>This Inner Loop Header: Depth=1
	s_add_i32 s5, s4, 0
	scratch_load_dwordx2 v[4:5], off, s5
	s_waitcnt lgkmcnt(1)
	v_add_u32_e32 v8, s4, v12
	ds_read2_b32 v[8:9], v8 offset1:1
	s_add_i32 s5, s4, 0x60
	s_add_i32 s4, s4, 8
	s_cmp_lg_u32 s4, 16
	s_waitcnt vmcnt(0) lgkmcnt(0)
	v_add_u32_e32 v5, v9, v5
	v_add_u32_e32 v4, v8, v4
	scratch_store_dwordx2 off, v[4:5], s5
	s_cbranch_scc1 .LBB2105_404
; %bb.405:
	scratch_load_dwordx4 v[8:11], off, off offset:96
.LBB2105_406:
	s_or_b64 exec, exec, s[0:1]
	scratch_load_ubyte v4, off, off offset:16
	s_waitcnt vmcnt(1) lgkmcnt(1)
	v_mov_b32_dpp v18, v8 row_shr:1 row_mask:0xf bank_mask:0xf
	v_mov_b32_dpp v19, v9 row_shr:1 row_mask:0xf bank_mask:0xf
	s_waitcnt lgkmcnt(0)
	v_mov_b32_dpp v20, v10 row_shr:1 row_mask:0xf bank_mask:0xf
	v_mov_b32_dpp v21, v11 row_shr:1 row_mask:0xf bank_mask:0xf
	scratch_store_dwordx4 off, v[18:21], off offset:96
	scratch_store_dwordx4 off, v[8:11], off
	s_waitcnt vmcnt(2)
	v_or_b32_e32 v4, v15, v4
	v_and_b32_e32 v4, 1, v4
	scratch_store_byte off, v4, off offset:16
	scratch_load_dword v16, off, off offset:16
	v_mbcnt_lo_u32_b32 v4, -1, 0
	v_mbcnt_hi_u32_b32 v15, -1, v4
	v_and_b32_e32 v17, 15, v15
	v_cmp_ne_u32_e64 s[0:1], 0, v17
	s_waitcnt vmcnt(0)
	v_mov_b32_dpp v18, v16 row_shr:1 row_mask:0xf bank_mask:0xf
	scratch_store_dword off, v18, off offset:112
	s_and_saveexec_b64 s[4:5], s[0:1]
	s_cbranch_execz .LBB2105_414
; %bb.407:
	v_mov_b32_e32 v4, 0
	v_cmp_eq_u16_sdwa s[8:9], v16, v4 src0_sel:BYTE_0 src1_sel:DWORD
	s_and_saveexec_b64 s[0:1], s[8:9]
	s_cbranch_execz .LBB2105_413
; %bb.408:
	s_mov_b32 s8, 0
	v_mov_b32_e32 v5, v4
.LBB2105_409:                           ; =>This Inner Loop Header: Depth=1
	s_add_i32 s9, s8, 20
	s_add_i32 s8, s8, 8
	s_cmp_lg_u32 s8, 16
	scratch_store_dwordx2 off, v[4:5], s9
	s_cbranch_scc1 .LBB2105_409
; %bb.410:
	s_mov_b32 s8, 0
.LBB2105_411:                           ; =>This Inner Loop Header: Depth=1
	s_add_i32 s9, s8, 0x60
	s_add_i32 s10, s8, 0
	scratch_load_dwordx2 v[4:5], off, s9
	scratch_load_dwordx2 v[8:9], off, s10
	s_add_i32 s9, s8, 20
	s_add_i32 s8, s8, 8
	s_cmp_lg_u32 s8, 16
	s_waitcnt vmcnt(0)
	v_add_u32_e32 v5, v9, v5
	v_add_u32_e32 v4, v8, v4
	scratch_store_dwordx2 off, v[4:5], s9
	s_cbranch_scc1 .LBB2105_411
; %bb.412:
	scratch_load_dwordx4 v[8:11], off, off offset:20
.LBB2105_413:
	s_or_b64 exec, exec, s[0:1]
	v_or_b32_e32 v4, v18, v16
	v_and_b32_e32 v4, 1, v4
	scratch_store_byte off, v4, off offset:16
	scratch_load_dword v16, off, off offset:16
	s_waitcnt vmcnt(2)
	scratch_store_dwordx4 off, v[8:11], off
.LBB2105_414:
	s_or_b64 exec, exec, s[4:5]
	v_mov_b32_dpp v20, v8 row_shr:2 row_mask:0xf bank_mask:0xf
	v_mov_b32_dpp v21, v9 row_shr:2 row_mask:0xf bank_mask:0xf
	v_mov_b32_dpp v22, v10 row_shr:2 row_mask:0xf bank_mask:0xf
	v_mov_b32_dpp v23, v11 row_shr:2 row_mask:0xf bank_mask:0xf
	s_waitcnt vmcnt(1)
	v_mov_b32_dpp v18, v16 row_shr:2 row_mask:0xf bank_mask:0xf
	v_cmp_lt_u32_e64 s[0:1], 1, v17
	scratch_store_dwordx4 off, v[20:23], off offset:96
	scratch_store_dword off, v18, off offset:112
	s_and_saveexec_b64 s[8:9], s[0:1]
	s_cbranch_execz .LBB2105_422
; %bb.415:
	v_mov_b32_e32 v4, 0
	s_mov_b32 s4, 0
	v_cmp_eq_u16_sdwa s[10:11], v16, v4 src0_sel:BYTE_0 src1_sel:DWORD
	s_and_saveexec_b64 s[0:1], s[10:11]
	s_cbranch_execz .LBB2105_421
; %bb.416:
	v_mov_b32_e32 v5, v4
.LBB2105_417:                           ; =>This Inner Loop Header: Depth=1
	s_add_i32 s5, s4, 20
	s_add_i32 s4, s4, 8
	s_cmp_lg_u32 s4, 16
	scratch_store_dwordx2 off, v[4:5], s5
	s_cbranch_scc1 .LBB2105_417
; %bb.418:
	s_mov_b32 s4, 0
.LBB2105_419:                           ; =>This Inner Loop Header: Depth=1
	s_add_i32 s5, s4, 0x60
	s_add_i32 s10, s4, 0
	scratch_load_dwordx2 v[4:5], off, s5
	scratch_load_dwordx2 v[8:9], off, s10
	s_add_i32 s5, s4, 20
	s_add_i32 s4, s4, 8
	s_cmp_lg_u32 s4, 16
	s_waitcnt vmcnt(0)
	v_add_u32_e32 v5, v9, v5
	v_add_u32_e32 v4, v8, v4
	scratch_store_dwordx2 off, v[4:5], s5
	s_cbranch_scc1 .LBB2105_419
; %bb.420:
	scratch_load_dwordx4 v[8:11], off, off offset:20
.LBB2105_421:
	s_or_b64 exec, exec, s[0:1]
	v_and_b32_e32 v4, 1, v16
	v_cmp_eq_u32_e64 s[0:1], 1, v4
	v_and_b32_e32 v4, 1, v18
	v_cmp_eq_u32_e64 s[4:5], 1, v4
	s_or_b64 s[0:1], s[0:1], s[4:5]
	v_cndmask_b32_e64 v4, 0, 1, s[0:1]
	scratch_store_byte off, v4, off offset:16
	scratch_load_dword v16, off, off offset:16
	s_waitcnt vmcnt(2)
	scratch_store_dwordx4 off, v[8:11], off
.LBB2105_422:
	s_or_b64 exec, exec, s[8:9]
	v_mov_b32_dpp v20, v8 row_shr:4 row_mask:0xf bank_mask:0xf
	v_mov_b32_dpp v21, v9 row_shr:4 row_mask:0xf bank_mask:0xf
	v_mov_b32_dpp v22, v10 row_shr:4 row_mask:0xf bank_mask:0xf
	v_mov_b32_dpp v23, v11 row_shr:4 row_mask:0xf bank_mask:0xf
	s_waitcnt vmcnt(1)
	v_mov_b32_dpp v18, v16 row_shr:4 row_mask:0xf bank_mask:0xf
	v_cmp_lt_u32_e64 s[0:1], 3, v17
	scratch_store_dwordx4 off, v[20:23], off offset:96
	scratch_store_dword off, v18, off offset:112
	s_and_saveexec_b64 s[8:9], s[0:1]
	s_cbranch_execz .LBB2105_430
; %bb.423:
	v_mov_b32_e32 v4, 0
	s_mov_b32 s4, 0
	v_cmp_eq_u16_sdwa s[10:11], v16, v4 src0_sel:BYTE_0 src1_sel:DWORD
	s_and_saveexec_b64 s[0:1], s[10:11]
	s_cbranch_execz .LBB2105_429
; %bb.424:
	v_mov_b32_e32 v5, v4
.LBB2105_425:                           ; =>This Inner Loop Header: Depth=1
	s_add_i32 s5, s4, 20
	s_add_i32 s4, s4, 8
	s_cmp_lg_u32 s4, 16
	scratch_store_dwordx2 off, v[4:5], s5
	s_cbranch_scc1 .LBB2105_425
; %bb.426:
	s_mov_b32 s4, 0
.LBB2105_427:                           ; =>This Inner Loop Header: Depth=1
	s_add_i32 s5, s4, 0x60
	s_add_i32 s10, s4, 0
	scratch_load_dwordx2 v[4:5], off, s5
	scratch_load_dwordx2 v[8:9], off, s10
	s_add_i32 s5, s4, 20
	s_add_i32 s4, s4, 8
	s_cmp_lg_u32 s4, 16
	s_waitcnt vmcnt(0)
	v_add_u32_e32 v5, v9, v5
	v_add_u32_e32 v4, v8, v4
	scratch_store_dwordx2 off, v[4:5], s5
	s_cbranch_scc1 .LBB2105_427
; %bb.428:
	scratch_load_dwordx4 v[8:11], off, off offset:20
.LBB2105_429:
	s_or_b64 exec, exec, s[0:1]
	v_and_b32_e32 v4, 1, v16
	v_cmp_eq_u32_e64 s[0:1], 1, v4
	v_and_b32_e32 v4, 1, v18
	v_cmp_eq_u32_e64 s[4:5], 1, v4
	s_or_b64 s[0:1], s[0:1], s[4:5]
	v_cndmask_b32_e64 v4, 0, 1, s[0:1]
	scratch_store_byte off, v4, off offset:16
	scratch_load_dword v16, off, off offset:16
	s_waitcnt vmcnt(2)
	scratch_store_dwordx4 off, v[8:11], off
.LBB2105_430:
	;; [unrolled: 56-line block ×3, first 2 shown]
	s_or_b64 exec, exec, s[8:9]
	v_and_b32_e32 v4, 16, v15
	v_mov_b32_dpp v18, v8 row_bcast:15 row_mask:0xf bank_mask:0xf
	v_mov_b32_dpp v19, v9 row_bcast:15 row_mask:0xf bank_mask:0xf
	;; [unrolled: 1-line block ×4, first 2 shown]
	s_waitcnt vmcnt(1)
	v_mov_b32_dpp v17, v16 row_bcast:15 row_mask:0xf bank_mask:0xf
	v_cmp_ne_u32_e64 s[0:1], 0, v4
	scratch_store_dwordx4 off, v[18:21], off offset:96
	scratch_store_dword off, v17, off offset:112
	s_and_saveexec_b64 s[8:9], s[0:1]
	s_cbranch_execz .LBB2105_446
; %bb.439:
	v_mov_b32_e32 v4, 0
	s_mov_b32 s4, 0
	v_cmp_eq_u16_sdwa s[10:11], v16, v4 src0_sel:BYTE_0 src1_sel:DWORD
	s_and_saveexec_b64 s[0:1], s[10:11]
	s_cbranch_execz .LBB2105_445
; %bb.440:
	v_mov_b32_e32 v5, v4
.LBB2105_441:                           ; =>This Inner Loop Header: Depth=1
	s_add_i32 s5, s4, 20
	s_add_i32 s4, s4, 8
	s_cmp_lg_u32 s4, 16
	scratch_store_dwordx2 off, v[4:5], s5
	s_cbranch_scc1 .LBB2105_441
; %bb.442:
	s_mov_b32 s4, 0
.LBB2105_443:                           ; =>This Inner Loop Header: Depth=1
	s_add_i32 s5, s4, 0x60
	s_add_i32 s10, s4, 0
	scratch_load_dwordx2 v[4:5], off, s5
	scratch_load_dwordx2 v[8:9], off, s10
	s_add_i32 s5, s4, 20
	s_add_i32 s4, s4, 8
	s_cmp_lg_u32 s4, 16
	s_waitcnt vmcnt(0)
	v_add_u32_e32 v5, v9, v5
	v_add_u32_e32 v4, v8, v4
	scratch_store_dwordx2 off, v[4:5], s5
	s_cbranch_scc1 .LBB2105_443
; %bb.444:
	scratch_load_dwordx4 v[8:11], off, off offset:20
.LBB2105_445:
	s_or_b64 exec, exec, s[0:1]
	v_and_b32_e32 v4, 1, v16
	v_cmp_eq_u32_e64 s[0:1], 1, v4
	v_and_b32_e32 v4, 1, v17
	v_cmp_eq_u32_e64 s[4:5], 1, v4
	s_or_b64 s[0:1], s[0:1], s[4:5]
	v_cndmask_b32_e64 v4, 0, 1, s[0:1]
	scratch_store_byte off, v4, off offset:16
	scratch_load_dword v16, off, off offset:16
	s_waitcnt vmcnt(2)
	scratch_store_dwordx4 off, v[8:11], off
.LBB2105_446:
	s_or_b64 exec, exec, s[8:9]
	v_mov_b32_dpp v18, v8 row_bcast:31 row_mask:0xf bank_mask:0xf
	v_mov_b32_dpp v19, v9 row_bcast:31 row_mask:0xf bank_mask:0xf
	v_mov_b32_dpp v20, v10 row_bcast:31 row_mask:0xf bank_mask:0xf
	v_mov_b32_dpp v21, v11 row_bcast:31 row_mask:0xf bank_mask:0xf
	s_waitcnt vmcnt(1)
	v_mov_b32_dpp v17, v16 row_bcast:31 row_mask:0xf bank_mask:0xf
	v_cmp_lt_u32_e64 s[0:1], 31, v15
	scratch_store_dwordx4 off, v[18:21], off offset:96
	scratch_store_dword off, v17, off offset:112
	s_and_saveexec_b64 s[8:9], s[0:1]
	s_cbranch_execz .LBB2105_454
; %bb.447:
	v_mov_b32_e32 v4, 0
	s_mov_b32 s4, 0
	v_cmp_eq_u16_sdwa s[10:11], v16, v4 src0_sel:BYTE_0 src1_sel:DWORD
	s_and_saveexec_b64 s[0:1], s[10:11]
	s_cbranch_execz .LBB2105_453
; %bb.448:
	v_mov_b32_e32 v5, v4
.LBB2105_449:                           ; =>This Inner Loop Header: Depth=1
	s_add_i32 s5, s4, 20
	s_add_i32 s4, s4, 8
	s_cmp_lg_u32 s4, 16
	scratch_store_dwordx2 off, v[4:5], s5
	s_cbranch_scc1 .LBB2105_449
; %bb.450:
	s_mov_b32 s4, 0
.LBB2105_451:                           ; =>This Inner Loop Header: Depth=1
	s_add_i32 s5, s4, 0x60
	s_add_i32 s10, s4, 0
	scratch_load_dwordx2 v[4:5], off, s5
	scratch_load_dwordx2 v[8:9], off, s10
	s_add_i32 s5, s4, 20
	s_add_i32 s4, s4, 8
	s_cmp_lg_u32 s4, 16
	s_waitcnt vmcnt(0)
	v_add_u32_e32 v5, v9, v5
	v_add_u32_e32 v4, v8, v4
	scratch_store_dwordx2 off, v[4:5], s5
	s_cbranch_scc1 .LBB2105_451
; %bb.452:
	scratch_load_dwordx4 v[8:11], off, off offset:20
.LBB2105_453:
	s_or_b64 exec, exec, s[0:1]
	v_and_b32_e32 v4, 1, v16
	v_cmp_eq_u32_e64 s[0:1], 1, v4
	v_and_b32_e32 v4, 1, v17
	v_cmp_eq_u32_e64 s[4:5], 1, v4
	s_or_b64 s[0:1], s[0:1], s[4:5]
	v_cndmask_b32_e64 v4, 0, 1, s[0:1]
	scratch_store_byte off, v4, off offset:16
	scratch_load_dword v16, off, off offset:16
.LBB2105_454:
	s_or_b64 exec, exec, s[8:9]
	v_add_u32_e32 v4, -1, v15
	v_and_b32_e32 v5, 64, v15
	v_cmp_lt_i32_e64 s[0:1], v4, v5
	ds_read_u8 v17, v14 offset:16
	s_nop 0
	v_cndmask_b32_e64 v4, v4, v15, s[0:1]
	v_lshlrev_b32_e32 v4, 2, v4
	s_waitcnt vmcnt(2)
	ds_bpermute_b32 v8, v4, v8
	ds_bpermute_b32 v9, v4, v9
	;; [unrolled: 1-line block ×4, first 2 shown]
	s_waitcnt vmcnt(0)
	ds_bpermute_b32 v15, v4, v16
	s_waitcnt lgkmcnt(5)
	v_cmp_ne_u16_e64 s[0:1], 0, v17
	s_waitcnt lgkmcnt(1)
	scratch_store_dwordx4 off, v[8:11], off
                                        ; implicit-def: $vgpr10_vgpr11
	s_and_saveexec_b64 s[4:5], s[0:1]
	s_xor_b64 s[0:1], exec, s[4:5]
	s_cbranch_execz .LBB2105_456
; %bb.455:
	ds_read2_b32 v[8:9], v14 offset1:1
	ds_read2_b32 v[10:11], v14 offset0:2 offset1:3
.LBB2105_456:
	s_andn2_saveexec_b64 s[0:1], s[0:1]
	s_cbranch_execz .LBB2105_462
; %bb.457:
	v_mov_b32_e32 v4, 0
	s_mov_b32 s4, 0
	v_mov_b32_e32 v5, v4
.LBB2105_458:                           ; =>This Inner Loop Header: Depth=1
	s_add_i32 s5, s4, 0x60
	s_add_i32 s4, s4, 8
	s_cmp_lg_u32 s4, 16
	scratch_store_dwordx2 off, v[4:5], s5
	s_cbranch_scc1 .LBB2105_458
; %bb.459:
	s_mov_b32 s4, 0
.LBB2105_460:                           ; =>This Inner Loop Header: Depth=1
	s_add_i32 s5, s4, 0
	scratch_load_dwordx2 v[4:5], off, s5
	s_waitcnt lgkmcnt(1)
	v_add_u32_e32 v8, s4, v14
	ds_read2_b32 v[8:9], v8 offset1:1
	s_add_i32 s5, s4, 0x60
	s_add_i32 s4, s4, 8
	s_cmp_lg_u32 s4, 16
	s_waitcnt vmcnt(0) lgkmcnt(0)
	v_add_u32_e32 v5, v9, v5
	v_add_u32_e32 v4, v8, v4
	scratch_store_dwordx2 off, v[4:5], s5
	s_cbranch_scc1 .LBB2105_460
; %bb.461:
	scratch_load_dwordx4 v[8:11], off, off offset:96
.LBB2105_462:
	s_or_b64 exec, exec, s[0:1]
	v_and_b32_e32 v4, 1, v17
	v_cmp_eq_u32_e64 s[0:1], 1, v4
	s_waitcnt lgkmcnt(0)
	v_and_b32_e32 v4, 1, v15
	v_cmp_eq_u32_e64 s[4:5], 1, v4
	s_or_b64 s[0:1], s[4:5], s[0:1]
	v_cndmask_b32_e64 v4, 0, 1, s[0:1]
	s_waitcnt vmcnt(0)
	scratch_store_dwordx4 off, v[8:11], off
	scratch_store_byte off, v4, off offset:16
	s_and_saveexec_b64 s[0:1], s[50:51]
	s_cbranch_execz .LBB2105_464
; %bb.463:
	scratch_store_dwordx4 off, v[0:3], off
	scratch_store_byte off, v13, off offset:16
.LBB2105_464:
	s_or_b64 exec, exec, s[0:1]
	; wave barrier
	scratch_load_dwordx4 v[0:3], off, off
	scratch_load_ubyte v4, off, off offset:16
	s_waitcnt vmcnt(1)
	ds_write2_b32 v14, v2, v3 offset0:2 offset1:3
	ds_write2_b32 v14, v0, v1 offset1:1
	s_waitcnt vmcnt(0)
	ds_write_b8 v14, v4 offset:16
	; wave barrier
	ds_read_u8 v4, v14 offset:36
                                        ; implicit-def: $vgpr2_vgpr3
	s_waitcnt lgkmcnt(0)
	v_cmp_ne_u16_e64 s[0:1], 0, v4
	s_and_saveexec_b64 s[4:5], s[0:1]
	s_xor_b64 s[0:1], exec, s[4:5]
	s_cbranch_execz .LBB2105_466
; %bb.465:
	ds_read2_b32 v[0:1], v12 offset1:1
	ds_read2_b32 v[2:3], v12 offset0:2 offset1:3
.LBB2105_466:
	s_andn2_saveexec_b64 s[0:1], s[0:1]
	s_cbranch_execz .LBB2105_472
; %bb.467:
	s_waitcnt lgkmcnt(1)
	v_mov_b32_e32 v0, 0
	s_mov_b32 s4, 0
	v_mov_b32_e32 v1, v0
.LBB2105_468:                           ; =>This Inner Loop Header: Depth=1
	s_add_i32 s5, s4, 0x60
	s_add_i32 s4, s4, 8
	s_cmp_lg_u32 s4, 16
	scratch_store_dwordx2 off, v[0:1], s5
	s_cbranch_scc1 .LBB2105_468
; %bb.469:
	s_mov_b32 s4, 0
.LBB2105_470:                           ; =>This Inner Loop Header: Depth=1
	s_add_i32 s5, s4, 0
	scratch_load_dwordx2 v[0:1], off, s5
	s_waitcnt lgkmcnt(0)
	v_add_u32_e32 v2, s4, v12
	ds_read2_b32 v[2:3], v2 offset1:1
	s_add_i32 s5, s4, 0x60
	s_add_i32 s4, s4, 8
	s_cmp_lg_u32 s4, 16
	s_waitcnt vmcnt(0) lgkmcnt(0)
	v_add_u32_e32 v1, v3, v1
	v_add_u32_e32 v0, v2, v0
	scratch_store_dwordx2 off, v[0:1], s5
	s_cbranch_scc1 .LBB2105_470
; %bb.471:
	scratch_load_dwordx4 v[0:3], off, off offset:96
.LBB2105_472:
	s_or_b64 exec, exec, s[0:1]
	scratch_load_ubyte v5, off, off offset:16
	s_waitcnt vmcnt(1) lgkmcnt(0)
	ds_write2_b32 v12, v2, v3 offset0:2 offset1:3
	s_waitcnt vmcnt(0)
	v_or_b32_e32 v2, v4, v5
	v_and_b32_e32 v2, 1, v2
	ds_write2_b32 v12, v0, v1 offset1:1
	ds_write_b8 v12, v2 offset:16
.LBB2105_473:
	s_or_b64 exec, exec, s[6:7]
	s_waitcnt lgkmcnt(0)
	s_barrier
	s_and_saveexec_b64 s[0:1], s[2:3]
	s_cbranch_execz .LBB2105_475
; %bb.474:
	v_add_u32_e32 v0, -1, v7
	v_lshrrev_b32_e32 v1, 5, v0
	v_add_u32_e32 v0, v1, v0
	v_mul_lo_u32 v0, v0, 20
	ds_read_u8 v4, v0 offset:16
	ds_read2_b32 v[2:3], v0 offset0:2 offset1:3
	ds_read2_b32 v[0:1], v0 offset1:1
	s_waitcnt lgkmcnt(0)
	scratch_store_dwordx4 off, v[0:3], off offset:60
	scratch_store_byte off, v4, off offset:76
.LBB2105_475:
	s_or_b64 exec, exec, s[0:1]
	s_and_saveexec_b64 s[6:7], vcc
	s_cbranch_execz .LBB2105_612
; %bb.476:
	v_mov_b32_e32 v1, 0xa28
	v_mov_b32_e32 v0, 0
	ds_read2_b64 v[2:5], v1 offset1:1
	ds_read_b32 v1, v0 offset:2616
	v_mbcnt_lo_u32_b32 v8, -1, 0
	v_mbcnt_hi_u32_b32 v23, -1, v8
	v_cmp_eq_u32_e64 s[4:5], 0, v23
	s_waitcnt lgkmcnt(1)
	scratch_store_dwordx4 off, v[2:5], off offset:40
	s_waitcnt lgkmcnt(0)
	scratch_store_dword off, v1, off offset:56
	s_and_saveexec_b64 s[0:1], s[4:5]
	s_cbranch_execz .LBB2105_478
; %bb.477:
	v_lshrrev_b32_e32 v8, 8, v1
	s_movk_i32 s8, 0xff
	v_mov_b32_e32 v11, 8
	v_and_b32_sdwa v10, v1, s8 dst_sel:DWORD dst_unused:UNUSED_PAD src0_sel:WORD_1 src1_sel:DWORD
	v_lshlrev_b32_sdwa v8, v11, v8 dst_sel:DWORD dst_unused:UNUSED_PAD src0_sel:DWORD src1_sel:BYTE_0
	s_add_i32 s10, s33, 64
	v_lshrrev_b32_e32 v9, 24, v1
	v_or_b32_sdwa v1, v8, v1 dst_sel:DWORD dst_unused:UNUSED_PAD src0_sel:DWORD src1_sel:BYTE_0
	v_lshlrev_b32_e32 v8, 16, v10
	s_mul_i32 s8, s10, 20
	v_or_b32_e32 v1, v1, v8
	v_lshlrev_b32_e32 v8, 24, v9
	s_mul_hi_u32 s9, s10, 20
	s_add_u32 s8, s52, s8
	v_or_b32_e32 v1, v1, v8
	s_addc_u32 s9, s53, s9
	global_store_dword v0, v2, s[8:9] sc1
	global_store_dword v0, v3, s[8:9] offset:4 sc1
	global_store_dword v0, v4, s[8:9] offset:8 sc1
	;; [unrolled: 1-line block ×4, first 2 shown]
	v_mov_b32_e32 v1, s10
	v_mov_b32_e32 v2, 1
	s_waitcnt vmcnt(0)
	global_store_byte v1, v2, s[56:57] sc1
.LBB2105_478:
	s_or_b64 exec, exec, s[0:1]
	v_mov_b32_e32 v1, v0
	v_mov_b32_e32 v2, v0
	;; [unrolled: 1-line block ×3, first 2 shown]
	scratch_store_dword off, v0, off offset:36
	s_mov_b32 s0, 0
	scratch_store_dwordx4 off, v[0:3], off offset:20
.LBB2105_479:                           ; =>This Inner Loop Header: Depth=1
	s_add_i32 s1, s0, 20
	s_add_i32 s0, s0, 8
	s_cmp_lg_u32 s0, 16
	scratch_store_dwordx2 off, v[0:1], s1
	s_cbranch_scc1 .LBB2105_479
; %bb.480:
	v_mov_b32_e32 v1, 0
	v_xad_u32 v4, v23, -1, s33
	scratch_store_byte off, v1, off offset:36
	v_add_u32_e32 v0, 64, v4
	global_load_ubyte v12, v0, s[56:57] sc1
	s_waitcnt vmcnt(0)
	v_cmp_eq_u16_e32 vcc, 0, v12
	s_and_saveexec_b64 s[0:1], vcc
	s_cbranch_execz .LBB2105_484
; %bb.481:
	v_lshl_add_u64 v[2:3], s[56:57], 0, v[0:1]
	s_mov_b64 s[8:9], 0
.LBB2105_482:                           ; =>This Inner Loop Header: Depth=1
	global_load_ubyte v12, v[2:3], off sc1
	s_waitcnt vmcnt(0)
	v_cmp_ne_u16_e32 vcc, 0, v12
	s_or_b64 s[8:9], vcc, s[8:9]
	s_andn2_b64 exec, exec, s[8:9]
	s_cbranch_execnz .LBB2105_482
; %bb.483:
	s_or_b64 exec, exec, s[8:9]
.LBB2105_484:
	s_or_b64 exec, exec, s[0:1]
	v_mov_b32_e32 v1, s55
	v_mov_b32_e32 v2, s53
	v_cmp_eq_u16_e32 vcc, 1, v12
	s_waitcnt vmcnt(0)
	s_nop 0
	v_cndmask_b32_e32 v3, v1, v2, vcc
	v_mov_b32_e32 v1, s54
	v_mov_b32_e32 v2, s52
	v_cndmask_b32_e32 v2, v1, v2, vcc
	v_mad_u64_u32 v[8:9], s[0:1], v0, 20, v[2:3]
	global_load_dword v0, v[8:9], off sc1
	global_load_dword v1, v[8:9], off offset:4 sc1
	global_load_dword v2, v[8:9], off offset:8 sc1
	;; [unrolled: 1-line block ×4, first 2 shown]
	v_mov_b32_e32 v8, 0
	s_mov_b32 s0, 0
	v_mov_b32_e32 v9, v8
	scratch_store_dword off, v8, off offset:112
	s_waitcnt vmcnt(2)
	scratch_store_dwordx4 off, v[0:3], off offset:20
	s_waitcnt vmcnt(2)
	scratch_store_byte off, v5, off offset:36
.LBB2105_485:                           ; =>This Inner Loop Header: Depth=1
	s_add_i32 s1, s0, 0x60
	s_add_i32 s0, s0, 8
	s_cmp_lg_u32 s0, 16
	scratch_store_dwordx2 off, v[8:9], s1
	s_cbranch_scc1 .LBB2105_485
; %bb.486:
	scratch_load_dword v5, off, off offset:36
	v_lshlrev_b64 v[8:9], v23, -1
	v_cmp_eq_u16_e32 vcc, 2, v12
	v_and_b32_e32 v13, 63, v23
	s_nop 0
	v_and_b32_e32 v10, vcc_hi, v9
	v_and_b32_e32 v11, vcc_lo, v8
	v_cmp_ne_u32_e32 vcc, 63, v13
	v_or_b32_e32 v10, 0x80000000, v10
	v_ffbl_b32_e32 v10, v10
	v_addc_co_u32_e32 v14, vcc, 0, v23, vcc
	v_lshlrev_b32_e32 v14, 2, v14
	ds_bpermute_b32 v16, v14, v0
	ds_bpermute_b32 v17, v14, v1
	ds_bpermute_b32 v18, v14, v2
	ds_bpermute_b32 v19, v14, v3
	v_add_u32_e32 v10, 32, v10
	v_ffbl_b32_e32 v11, v11
	v_min_u32_e32 v25, v11, v10
	v_cmp_lt_u32_e32 vcc, v13, v25
	s_waitcnt lgkmcnt(0)
	scratch_store_dwordx4 off, v[16:19], off offset:96
	s_waitcnt vmcnt(1)
	ds_bpermute_b32 v15, v14, v5
	s_and_saveexec_b64 s[0:1], vcc
	s_cbranch_execz .LBB2105_494
; %bb.487:
	v_mov_b32_e32 v10, 0
	v_cmp_eq_u16_sdwa s[10:11], v5, v10 src0_sel:BYTE_0 src1_sel:DWORD
	s_and_saveexec_b64 s[8:9], s[10:11]
	s_cbranch_execz .LBB2105_493
; %bb.488:
	s_mov_b32 s10, 0
	v_mov_b32_e32 v11, v10
.LBB2105_489:                           ; =>This Inner Loop Header: Depth=1
	s_add_i32 s11, s10, 0
	s_add_i32 s10, s10, 8
	s_cmp_lg_u32 s10, 16
	scratch_store_dwordx2 off, v[10:11], s11
	s_cbranch_scc1 .LBB2105_489
; %bb.490:
	s_mov_b32 s10, 0
.LBB2105_491:                           ; =>This Inner Loop Header: Depth=1
	s_add_i32 s11, s10, 0x60
	s_add_i32 s12, s10, 20
	scratch_load_dwordx2 v[0:1], off, s11
	scratch_load_dwordx2 v[2:3], off, s12
	s_add_i32 s11, s10, 0
	s_add_i32 s10, s10, 8
	s_cmp_lg_u32 s10, 16
	s_waitcnt vmcnt(0)
	v_add_u32_e32 v1, v3, v1
	v_add_u32_e32 v0, v2, v0
	scratch_store_dwordx2 off, v[0:1], s11
	s_cbranch_scc1 .LBB2105_491
; %bb.492:
	scratch_load_dwordx4 v[0:3], off, off
.LBB2105_493:
	s_or_b64 exec, exec, s[8:9]
	s_waitcnt lgkmcnt(0)
	v_or_b32_e32 v5, v15, v5
	v_and_b32_e32 v5, 1, v5
	scratch_store_byte off, v5, off offset:36
	scratch_load_dword v5, off, off offset:36
	s_waitcnt vmcnt(2)
	scratch_store_dwordx4 off, v[0:3], off offset:20
.LBB2105_494:
	s_or_b64 exec, exec, s[0:1]
	v_cmp_gt_u32_e32 vcc, 62, v13
	v_add_u32_e32 v16, 2, v13
	s_nop 0
	v_cndmask_b32_e64 v10, 0, 1, vcc
	v_lshlrev_b32_e32 v10, 1, v10
	s_waitcnt lgkmcnt(0)
	v_add_lshl_u32 v15, v10, v23, 2
	ds_bpermute_b32 v18, v15, v0
	ds_bpermute_b32 v19, v15, v1
	ds_bpermute_b32 v20, v15, v2
	ds_bpermute_b32 v21, v15, v3
	s_waitcnt vmcnt(1)
	ds_bpermute_b32 v17, v15, v5
	v_cmp_le_u32_e32 vcc, v16, v25
	s_waitcnt lgkmcnt(1)
	scratch_store_dwordx4 off, v[18:21], off offset:96
	s_and_saveexec_b64 s[8:9], vcc
	s_cbranch_execz .LBB2105_502
; %bb.495:
	v_mov_b32_e32 v10, 0
	s_mov_b32 s10, 0
	v_cmp_eq_u16_sdwa s[12:13], v5, v10 src0_sel:BYTE_0 src1_sel:DWORD
	s_and_saveexec_b64 s[0:1], s[12:13]
	s_cbranch_execz .LBB2105_501
; %bb.496:
	v_mov_b32_e32 v11, v10
.LBB2105_497:                           ; =>This Inner Loop Header: Depth=1
	s_add_i32 s11, s10, 0
	s_add_i32 s10, s10, 8
	s_cmp_lg_u32 s10, 16
	scratch_store_dwordx2 off, v[10:11], s11
	s_cbranch_scc1 .LBB2105_497
; %bb.498:
	s_mov_b32 s10, 0
.LBB2105_499:                           ; =>This Inner Loop Header: Depth=1
	s_add_i32 s11, s10, 0x60
	s_add_i32 s12, s10, 20
	scratch_load_dwordx2 v[0:1], off, s11
	scratch_load_dwordx2 v[2:3], off, s12
	s_add_i32 s11, s10, 0
	s_add_i32 s10, s10, 8
	s_cmp_lg_u32 s10, 16
	s_waitcnt vmcnt(0)
	v_add_u32_e32 v1, v3, v1
	v_add_u32_e32 v0, v2, v0
	scratch_store_dwordx2 off, v[0:1], s11
	s_cbranch_scc1 .LBB2105_499
; %bb.500:
	scratch_load_dwordx4 v[0:3], off, off
.LBB2105_501:
	s_or_b64 exec, exec, s[0:1]
	v_and_b32_e32 v5, 1, v5
	v_cmp_eq_u32_e32 vcc, 1, v5
	s_waitcnt lgkmcnt(0)
	v_and_b32_e32 v5, 1, v17
	v_cmp_eq_u32_e64 s[0:1], 1, v5
	s_or_b64 s[0:1], vcc, s[0:1]
	s_waitcnt vmcnt(0)
	scratch_store_dwordx4 off, v[0:3], off offset:20
	v_cndmask_b32_e64 v5, 0, 1, s[0:1]
	scratch_store_byte off, v5, off offset:36
	scratch_load_dword v5, off, off offset:36
.LBB2105_502:
	s_or_b64 exec, exec, s[8:9]
	v_cmp_gt_u32_e32 vcc, 60, v13
	v_add_u32_e32 v18, 4, v13
	s_nop 0
	v_cndmask_b32_e64 v10, 0, 1, vcc
	v_lshlrev_b32_e32 v10, 2, v10
	s_waitcnt lgkmcnt(0)
	v_add_lshl_u32 v17, v10, v23, 2
	ds_bpermute_b32 v48, v17, v0
	ds_bpermute_b32 v49, v17, v1
	ds_bpermute_b32 v50, v17, v2
	ds_bpermute_b32 v51, v17, v3
	s_waitcnt vmcnt(0)
	ds_bpermute_b32 v19, v17, v5
	v_cmp_le_u32_e32 vcc, v18, v25
	s_waitcnt lgkmcnt(1)
	scratch_store_dwordx4 off, v[48:51], off offset:96
	s_and_saveexec_b64 s[8:9], vcc
	s_cbranch_execz .LBB2105_510
; %bb.503:
	v_mov_b32_e32 v10, 0
	s_mov_b32 s10, 0
	v_cmp_eq_u16_sdwa s[12:13], v5, v10 src0_sel:BYTE_0 src1_sel:DWORD
	s_and_saveexec_b64 s[0:1], s[12:13]
	s_cbranch_execz .LBB2105_509
; %bb.504:
	v_mov_b32_e32 v11, v10
.LBB2105_505:                           ; =>This Inner Loop Header: Depth=1
	s_add_i32 s11, s10, 0
	s_add_i32 s10, s10, 8
	s_cmp_lg_u32 s10, 16
	scratch_store_dwordx2 off, v[10:11], s11
	s_cbranch_scc1 .LBB2105_505
; %bb.506:
	s_mov_b32 s10, 0
.LBB2105_507:                           ; =>This Inner Loop Header: Depth=1
	s_add_i32 s11, s10, 0x60
	s_add_i32 s12, s10, 20
	scratch_load_dwordx2 v[0:1], off, s11
	scratch_load_dwordx2 v[2:3], off, s12
	s_add_i32 s11, s10, 0
	s_add_i32 s10, s10, 8
	s_cmp_lg_u32 s10, 16
	s_waitcnt vmcnt(0)
	v_add_u32_e32 v1, v3, v1
	v_add_u32_e32 v0, v2, v0
	scratch_store_dwordx2 off, v[0:1], s11
	s_cbranch_scc1 .LBB2105_507
; %bb.508:
	scratch_load_dwordx4 v[0:3], off, off
.LBB2105_509:
	s_or_b64 exec, exec, s[0:1]
	v_and_b32_e32 v5, 1, v5
	v_cmp_eq_u32_e32 vcc, 1, v5
	s_waitcnt lgkmcnt(0)
	v_and_b32_e32 v5, 1, v19
	v_cmp_eq_u32_e64 s[0:1], 1, v5
	s_or_b64 s[0:1], vcc, s[0:1]
	s_waitcnt vmcnt(0)
	scratch_store_dwordx4 off, v[0:3], off offset:20
	v_cndmask_b32_e64 v5, 0, 1, s[0:1]
	scratch_store_byte off, v5, off offset:36
	scratch_load_dword v5, off, off offset:36
.LBB2105_510:
	;; [unrolled: 64-line block ×4, first 2 shown]
	s_or_b64 exec, exec, s[8:9]
	v_cmp_gt_u32_e32 vcc, 32, v13
	s_waitcnt lgkmcnt(0)
	v_add_u32_e32 v24, 32, v13
	v_cndmask_b32_e64 v10, 0, 1, vcc
	v_lshlrev_b32_e32 v10, 5, v10
	v_add_lshl_u32 v23, v10, v23, 2
	ds_bpermute_b32 v48, v23, v0
	ds_bpermute_b32 v49, v23, v1
	;; [unrolled: 1-line block ×4, first 2 shown]
	s_waitcnt vmcnt(0)
	ds_bpermute_b32 v47, v23, v5
	v_cmp_le_u32_e32 vcc, v24, v25
	s_waitcnt lgkmcnt(1)
	scratch_store_dwordx4 off, v[48:51], off offset:96
	s_and_saveexec_b64 s[8:9], vcc
	s_cbranch_execz .LBB2105_534
; %bb.527:
	v_mov_b32_e32 v10, 0
	s_mov_b32 s10, 0
	v_cmp_eq_u16_sdwa s[12:13], v5, v10 src0_sel:BYTE_0 src1_sel:DWORD
	s_and_saveexec_b64 s[0:1], s[12:13]
	s_cbranch_execz .LBB2105_533
; %bb.528:
	v_mov_b32_e32 v11, v10
.LBB2105_529:                           ; =>This Inner Loop Header: Depth=1
	s_add_i32 s11, s10, 0
	s_add_i32 s10, s10, 8
	s_cmp_lg_u32 s10, 16
	scratch_store_dwordx2 off, v[10:11], s11
	s_cbranch_scc1 .LBB2105_529
; %bb.530:
	s_mov_b32 s10, 0
.LBB2105_531:                           ; =>This Inner Loop Header: Depth=1
	s_add_i32 s11, s10, 0x60
	s_add_i32 s12, s10, 20
	scratch_load_dwordx2 v[0:1], off, s11
	scratch_load_dwordx2 v[2:3], off, s12
	s_add_i32 s11, s10, 0
	s_add_i32 s10, s10, 8
	s_cmp_lg_u32 s10, 16
	s_waitcnt vmcnt(0)
	v_add_u32_e32 v1, v3, v1
	v_add_u32_e32 v0, v2, v0
	scratch_store_dwordx2 off, v[0:1], s11
	s_cbranch_scc1 .LBB2105_531
; %bb.532:
	scratch_load_dwordx4 v[0:3], off, off
.LBB2105_533:
	s_or_b64 exec, exec, s[0:1]
	v_and_b32_e32 v5, 1, v5
	v_cmp_eq_u32_e32 vcc, 1, v5
	s_waitcnt lgkmcnt(0)
	v_and_b32_e32 v5, 1, v47
	v_cmp_eq_u32_e64 s[0:1], 1, v5
	s_or_b64 s[0:1], vcc, s[0:1]
	s_nop 0
	v_cndmask_b32_e64 v5, 0, 1, s[0:1]
	s_waitcnt vmcnt(0)
	scratch_store_dwordx4 off, v[0:3], off offset:20
	scratch_store_byte off, v5, off offset:36
.LBB2105_534:
	s_or_b64 exec, exec, s[8:9]
	scratch_load_dwordx4 v[0:3], off, off offset:20
	scratch_load_dword v5, off, off offset:36
	v_mov_b32_e32 v10, 0
	v_mov_b32_e32 v25, 2
	s_waitcnt vmcnt(1)
	scratch_store_dwordx4 off, v[0:3], off
	s_waitcnt vmcnt(1)
	scratch_store_dword off, v5, off offset:16
	s_branch .LBB2105_536
.LBB2105_535:                           ;   in Loop: Header=BB2105_536 Depth=1
	s_or_b64 exec, exec, s[8:9]
	v_and_b32_e32 v5, 1, v5
	v_cmp_eq_u32_e32 vcc, 1, v5
	s_or_b64 s[0:1], vcc, s[0:1]
	v_subrev_u32_e32 v4, 64, v4
	v_cndmask_b32_e64 v5, 0, 1, s[0:1]
	s_waitcnt vmcnt(0)
	scratch_store_dwordx4 off, v[0:3], off
	scratch_store_byte off, v5, off offset:16
.LBB2105_536:                           ; =>This Loop Header: Depth=1
                                        ;     Child Loop BB2105_539 Depth 2
                                        ;     Child Loop BB2105_542 Depth 2
	;; [unrolled: 1-line block ×16, first 2 shown]
	v_cmp_ne_u16_sdwa s[0:1], v12, v25 src0_sel:BYTE_0 src1_sel:DWORD
	s_nop 1
	v_cndmask_b32_e64 v0, 0, 1, s[0:1]
	;;#ASMSTART
	;;#ASMEND
	s_nop 0
	v_cmp_ne_u32_e32 vcc, 0, v0
	s_cmp_lg_u64 vcc, exec
	s_cbranch_scc1 .LBB2105_599
; %bb.537:                              ;   in Loop: Header=BB2105_536 Depth=1
	global_load_ubyte v12, v4, s[56:57] sc1
	v_mov_b32_e32 v5, v10
	s_waitcnt vmcnt(0)
	v_cmp_eq_u16_e32 vcc, 0, v12
	s_and_saveexec_b64 s[0:1], vcc
	s_cbranch_execz .LBB2105_541
; %bb.538:                              ;   in Loop: Header=BB2105_536 Depth=1
	v_lshl_add_u64 v[0:1], s[56:57], 0, v[4:5]
	s_mov_b64 s[8:9], 0
.LBB2105_539:                           ;   Parent Loop BB2105_536 Depth=1
                                        ; =>  This Inner Loop Header: Depth=2
	global_load_ubyte v12, v[0:1], off sc1
	s_waitcnt vmcnt(0)
	v_cmp_ne_u16_e32 vcc, 0, v12
	s_or_b64 s[8:9], vcc, s[8:9]
	s_andn2_b64 exec, exec, s[8:9]
	s_cbranch_execnz .LBB2105_539
; %bb.540:                              ;   in Loop: Header=BB2105_536 Depth=1
	s_or_b64 exec, exec, s[8:9]
.LBB2105_541:                           ;   in Loop: Header=BB2105_536 Depth=1
	s_or_b64 exec, exec, s[0:1]
	v_mov_b32_e32 v0, s55
	v_mov_b32_e32 v1, s53
	v_cmp_eq_u16_e32 vcc, 1, v12
	v_mov_b32_e32 v2, s52
	s_waitcnt vmcnt(0)
	v_cndmask_b32_e32 v1, v0, v1, vcc
	v_mov_b32_e32 v0, s54
	v_cndmask_b32_e32 v0, v0, v2, vcc
	s_waitcnt lgkmcnt(0)
	v_mad_u64_u32 v[48:49], s[0:1], v4, 20, v[0:1]
	s_waitcnt lgkmcnt(0)
	global_load_dword v0, v[48:49], off sc1
	global_load_dword v1, v[48:49], off offset:4 sc1
	global_load_dword v2, v[48:49], off offset:8 sc1
	;; [unrolled: 1-line block ×4, first 2 shown]
	s_mov_b32 s0, 0
	scratch_store_dword off, v10, off offset:112
	s_waitcnt vmcnt(2)
	scratch_store_dwordx4 off, v[0:3], off offset:20
	s_waitcnt vmcnt(2)
	scratch_store_byte off, v5, off offset:36
.LBB2105_542:                           ;   Parent Loop BB2105_536 Depth=1
                                        ; =>  This Inner Loop Header: Depth=2
	s_add_i32 s1, s0, 0x60
	s_add_i32 s0, s0, 8
	v_mov_b32_e32 v11, v10
	s_cmp_lg_u32 s0, 16
	scratch_store_dwordx2 off, v[10:11], s1
	s_cbranch_scc1 .LBB2105_542
; %bb.543:                              ;   in Loop: Header=BB2105_536 Depth=1
	scratch_load_dword v47, off, off offset:36
	v_cmp_eq_u16_e32 vcc, 2, v12
	ds_bpermute_b32 v50, v14, v0
	ds_bpermute_b32 v51, v14, v1
	v_and_b32_e32 v5, vcc_hi, v9
	v_or_b32_e32 v5, 0x80000000, v5
	ds_bpermute_b32 v52, v14, v2
	ds_bpermute_b32 v53, v14, v3
	v_and_b32_e32 v11, vcc_lo, v8
	v_ffbl_b32_e32 v5, v5
	v_add_u32_e32 v5, 32, v5
	v_ffbl_b32_e32 v11, v11
	v_min_u32_e32 v5, v11, v5
	v_cmp_lt_u32_e32 vcc, v13, v5
	s_waitcnt lgkmcnt(0)
	scratch_store_dwordx4 off, v[50:53], off offset:96
	s_waitcnt vmcnt(1)
	ds_bpermute_b32 v48, v14, v47
	s_and_saveexec_b64 s[0:1], vcc
	s_cbranch_execz .LBB2105_551
; %bb.544:                              ;   in Loop: Header=BB2105_536 Depth=1
	v_cmp_eq_u16_sdwa s[10:11], v47, v10 src0_sel:BYTE_0 src1_sel:DWORD
	s_and_saveexec_b64 s[8:9], s[10:11]
	s_cbranch_execz .LBB2105_550
; %bb.545:                              ;   in Loop: Header=BB2105_536 Depth=1
	s_mov_b32 s10, 0
.LBB2105_546:                           ;   Parent Loop BB2105_536 Depth=1
                                        ; =>  This Inner Loop Header: Depth=2
	s_add_i32 s11, s10, 0x39c
	s_add_i32 s10, s10, 8
	v_mov_b32_e32 v11, v10
	s_cmp_lg_u32 s10, 16
	scratch_store_dwordx2 off, v[10:11], s11
	s_cbranch_scc1 .LBB2105_546
; %bb.547:                              ;   in Loop: Header=BB2105_536 Depth=1
	s_mov_b32 s10, 0
.LBB2105_548:                           ;   Parent Loop BB2105_536 Depth=1
                                        ; =>  This Inner Loop Header: Depth=2
	s_add_i32 s11, s10, 0x60
	s_add_i32 s12, s10, 20
	scratch_load_dwordx2 v[0:1], off, s11
	scratch_load_dwordx2 v[2:3], off, s12
	s_add_i32 s11, s10, 0x39c
	s_add_i32 s10, s10, 8
	s_cmp_lg_u32 s10, 16
	s_waitcnt vmcnt(0)
	v_add_u32_e32 v1, v3, v1
	v_add_u32_e32 v0, v2, v0
	scratch_store_dwordx2 off, v[0:1], s11
	s_cbranch_scc1 .LBB2105_548
; %bb.549:                              ;   in Loop: Header=BB2105_536 Depth=1
	scratch_load_dwordx4 v[0:3], off, off offset:924
.LBB2105_550:                           ;   in Loop: Header=BB2105_536 Depth=1
	s_or_b64 exec, exec, s[8:9]
	s_waitcnt lgkmcnt(0)
	v_or_b32_e32 v11, v48, v47
	v_and_b32_e32 v11, 1, v11
	scratch_store_byte off, v11, off offset:36
	scratch_load_dword v47, off, off offset:36
	s_waitcnt vmcnt(2)
	scratch_store_dwordx4 off, v[0:3], off offset:20
.LBB2105_551:                           ;   in Loop: Header=BB2105_536 Depth=1
	s_or_b64 exec, exec, s[0:1]
	ds_bpermute_b32 v50, v15, v0
	ds_bpermute_b32 v51, v15, v1
	ds_bpermute_b32 v52, v15, v2
	ds_bpermute_b32 v53, v15, v3
	s_waitcnt vmcnt(1) lgkmcnt(4)
	ds_bpermute_b32 v48, v15, v47
	v_cmp_le_u32_e32 vcc, v16, v5
	s_waitcnt lgkmcnt(1)
	scratch_store_dwordx4 off, v[50:53], off offset:96
	s_and_saveexec_b64 s[8:9], vcc
	s_cbranch_execz .LBB2105_559
; %bb.552:                              ;   in Loop: Header=BB2105_536 Depth=1
	v_cmp_eq_u16_sdwa s[10:11], v47, v10 src0_sel:BYTE_0 src1_sel:DWORD
	s_and_saveexec_b64 s[0:1], s[10:11]
	s_cbranch_execz .LBB2105_558
; %bb.553:                              ;   in Loop: Header=BB2105_536 Depth=1
	s_mov_b32 s10, 0
.LBB2105_554:                           ;   Parent Loop BB2105_536 Depth=1
                                        ; =>  This Inner Loop Header: Depth=2
	s_add_i32 s11, s10, 0x39c
	s_add_i32 s10, s10, 8
	v_mov_b32_e32 v11, v10
	s_cmp_lg_u32 s10, 16
	scratch_store_dwordx2 off, v[10:11], s11
	s_cbranch_scc1 .LBB2105_554
; %bb.555:                              ;   in Loop: Header=BB2105_536 Depth=1
	s_mov_b32 s10, 0
.LBB2105_556:                           ;   Parent Loop BB2105_536 Depth=1
                                        ; =>  This Inner Loop Header: Depth=2
	s_add_i32 s11, s10, 0x60
	s_add_i32 s12, s10, 20
	scratch_load_dwordx2 v[0:1], off, s11
	scratch_load_dwordx2 v[2:3], off, s12
	s_add_i32 s11, s10, 0x39c
	s_add_i32 s10, s10, 8
	s_cmp_lg_u32 s10, 16
	s_waitcnt vmcnt(0)
	v_add_u32_e32 v1, v3, v1
	v_add_u32_e32 v0, v2, v0
	scratch_store_dwordx2 off, v[0:1], s11
	s_cbranch_scc1 .LBB2105_556
; %bb.557:                              ;   in Loop: Header=BB2105_536 Depth=1
	scratch_load_dwordx4 v[0:3], off, off offset:924
.LBB2105_558:                           ;   in Loop: Header=BB2105_536 Depth=1
	s_or_b64 exec, exec, s[0:1]
	v_and_b32_e32 v11, 1, v47
	v_cmp_eq_u32_e32 vcc, 1, v11
	s_waitcnt lgkmcnt(0)
	v_and_b32_e32 v11, 1, v48
	v_cmp_eq_u32_e64 s[0:1], 1, v11
	s_or_b64 s[0:1], vcc, s[0:1]
	s_waitcnt vmcnt(0)
	scratch_store_dwordx4 off, v[0:3], off offset:20
	v_cndmask_b32_e64 v11, 0, 1, s[0:1]
	scratch_store_byte off, v11, off offset:36
	scratch_load_dword v47, off, off offset:36
.LBB2105_559:                           ;   in Loop: Header=BB2105_536 Depth=1
	s_or_b64 exec, exec, s[8:9]
	ds_bpermute_b32 v50, v17, v0
	ds_bpermute_b32 v51, v17, v1
	ds_bpermute_b32 v52, v17, v2
	ds_bpermute_b32 v53, v17, v3
	s_waitcnt vmcnt(0) lgkmcnt(4)
	ds_bpermute_b32 v48, v17, v47
	v_cmp_le_u32_e32 vcc, v18, v5
	s_waitcnt lgkmcnt(1)
	scratch_store_dwordx4 off, v[50:53], off offset:96
	s_and_saveexec_b64 s[8:9], vcc
	s_cbranch_execz .LBB2105_567
; %bb.560:                              ;   in Loop: Header=BB2105_536 Depth=1
	v_cmp_eq_u16_sdwa s[10:11], v47, v10 src0_sel:BYTE_0 src1_sel:DWORD
	s_and_saveexec_b64 s[0:1], s[10:11]
	s_cbranch_execz .LBB2105_566
; %bb.561:                              ;   in Loop: Header=BB2105_536 Depth=1
	s_mov_b32 s10, 0
.LBB2105_562:                           ;   Parent Loop BB2105_536 Depth=1
                                        ; =>  This Inner Loop Header: Depth=2
	s_add_i32 s11, s10, 0x39c
	s_add_i32 s10, s10, 8
	v_mov_b32_e32 v11, v10
	s_cmp_lg_u32 s10, 16
	scratch_store_dwordx2 off, v[10:11], s11
	s_cbranch_scc1 .LBB2105_562
; %bb.563:                              ;   in Loop: Header=BB2105_536 Depth=1
	s_mov_b32 s10, 0
.LBB2105_564:                           ;   Parent Loop BB2105_536 Depth=1
                                        ; =>  This Inner Loop Header: Depth=2
	s_add_i32 s11, s10, 0x60
	s_add_i32 s12, s10, 20
	scratch_load_dwordx2 v[0:1], off, s11
	scratch_load_dwordx2 v[2:3], off, s12
	s_add_i32 s11, s10, 0x39c
	s_add_i32 s10, s10, 8
	s_cmp_lg_u32 s10, 16
	s_waitcnt vmcnt(0)
	v_add_u32_e32 v1, v3, v1
	v_add_u32_e32 v0, v2, v0
	scratch_store_dwordx2 off, v[0:1], s11
	s_cbranch_scc1 .LBB2105_564
; %bb.565:                              ;   in Loop: Header=BB2105_536 Depth=1
	scratch_load_dwordx4 v[0:3], off, off offset:924
.LBB2105_566:                           ;   in Loop: Header=BB2105_536 Depth=1
	s_or_b64 exec, exec, s[0:1]
	v_and_b32_e32 v11, 1, v47
	v_cmp_eq_u32_e32 vcc, 1, v11
	s_waitcnt lgkmcnt(0)
	v_and_b32_e32 v11, 1, v48
	v_cmp_eq_u32_e64 s[0:1], 1, v11
	s_or_b64 s[0:1], vcc, s[0:1]
	s_waitcnt vmcnt(0)
	scratch_store_dwordx4 off, v[0:3], off offset:20
	v_cndmask_b32_e64 v11, 0, 1, s[0:1]
	scratch_store_byte off, v11, off offset:36
	scratch_load_dword v47, off, off offset:36
.LBB2105_567:                           ;   in Loop: Header=BB2105_536 Depth=1
	;; [unrolled: 58-line block ×4, first 2 shown]
	s_or_b64 exec, exec, s[8:9]
	ds_bpermute_b32 v50, v23, v0
	ds_bpermute_b32 v51, v23, v1
	;; [unrolled: 1-line block ×4, first 2 shown]
	s_waitcnt vmcnt(0) lgkmcnt(4)
	ds_bpermute_b32 v48, v23, v47
	v_cmp_le_u32_e32 vcc, v24, v5
	v_and_b32_e32 v5, 1, v47
	v_cmp_eq_u32_e64 s[0:1], 1, v5
	s_waitcnt lgkmcnt(1)
	scratch_store_dwordx4 off, v[50:53], off offset:96
	s_and_saveexec_b64 s[8:9], vcc
	s_cbranch_execz .LBB2105_591
; %bb.584:                              ;   in Loop: Header=BB2105_536 Depth=1
	v_cmp_eq_u16_sdwa s[12:13], v47, v10 src0_sel:BYTE_0 src1_sel:DWORD
	s_and_saveexec_b64 s[10:11], s[12:13]
	s_cbranch_execz .LBB2105_590
; %bb.585:                              ;   in Loop: Header=BB2105_536 Depth=1
	s_mov_b32 s12, 0
.LBB2105_586:                           ;   Parent Loop BB2105_536 Depth=1
                                        ; =>  This Inner Loop Header: Depth=2
	s_add_i32 s13, s12, 0x39c
	s_add_i32 s12, s12, 8
	v_mov_b32_e32 v11, v10
	s_cmp_lg_u32 s12, 16
	scratch_store_dwordx2 off, v[10:11], s13
	s_cbranch_scc1 .LBB2105_586
; %bb.587:                              ;   in Loop: Header=BB2105_536 Depth=1
	s_mov_b32 s12, 0
.LBB2105_588:                           ;   Parent Loop BB2105_536 Depth=1
                                        ; =>  This Inner Loop Header: Depth=2
	s_add_i32 s13, s12, 0x60
	s_add_i32 s14, s12, 20
	scratch_load_dwordx2 v[0:1], off, s13
	scratch_load_dwordx2 v[2:3], off, s14
	s_add_i32 s13, s12, 0x39c
	s_add_i32 s12, s12, 8
	s_cmp_lg_u32 s12, 16
	s_waitcnt vmcnt(0)
	v_add_u32_e32 v1, v3, v1
	v_add_u32_e32 v0, v2, v0
	scratch_store_dwordx2 off, v[0:1], s13
	s_cbranch_scc1 .LBB2105_588
; %bb.589:                              ;   in Loop: Header=BB2105_536 Depth=1
	scratch_load_dwordx4 v[0:3], off, off offset:924
.LBB2105_590:                           ;   in Loop: Header=BB2105_536 Depth=1
	s_or_b64 exec, exec, s[10:11]
	s_waitcnt lgkmcnt(0)
	v_and_b32_e32 v5, 1, v48
	v_cmp_eq_u32_e32 vcc, 1, v5
	s_or_b64 s[10:11], s[0:1], vcc
	v_cndmask_b32_e64 v5, 0, 1, s[10:11]
	s_andn2_b64 s[0:1], s[0:1], exec
	s_and_b64 s[10:11], s[10:11], exec
	s_or_b64 s[0:1], s[0:1], s[10:11]
	s_waitcnt vmcnt(0)
	scratch_store_dwordx4 off, v[0:3], off offset:20
	scratch_store_byte off, v5, off offset:36
.LBB2105_591:                           ;   in Loop: Header=BB2105_536 Depth=1
	s_or_b64 exec, exec, s[8:9]
	scratch_load_ubyte v5, off, off offset:16
                                        ; implicit-def: $vgpr2_vgpr3
	s_waitcnt vmcnt(0)
	v_cmp_ne_u16_e32 vcc, 0, v5
	s_and_saveexec_b64 s[8:9], vcc
	s_xor_b64 s[8:9], exec, s[8:9]
	s_cbranch_execz .LBB2105_593
; %bb.592:                              ;   in Loop: Header=BB2105_536 Depth=1
	scratch_load_dwordx4 v[0:3], off, off
.LBB2105_593:                           ;   in Loop: Header=BB2105_536 Depth=1
	s_andn2_saveexec_b64 s[8:9], s[8:9]
	s_cbranch_execz .LBB2105_535
; %bb.594:                              ;   in Loop: Header=BB2105_536 Depth=1
	s_mov_b32 s10, 0
.LBB2105_595:                           ;   Parent Loop BB2105_536 Depth=1
                                        ; =>  This Inner Loop Header: Depth=2
	s_add_i32 s11, s10, 0x60
	s_add_i32 s10, s10, 8
	v_mov_b32_e32 v11, v10
	s_cmp_lg_u32 s10, 16
	scratch_store_dwordx2 off, v[10:11], s11
	s_cbranch_scc1 .LBB2105_595
; %bb.596:                              ;   in Loop: Header=BB2105_536 Depth=1
	s_mov_b32 s10, 0
.LBB2105_597:                           ;   Parent Loop BB2105_536 Depth=1
                                        ; =>  This Inner Loop Header: Depth=2
	s_add_i32 s11, s10, 20
	s_add_i32 s12, s10, 0
	scratch_load_dwordx2 v[0:1], off, s11
	scratch_load_dwordx2 v[2:3], off, s12
	s_add_i32 s11, s10, 0x60
	s_add_i32 s10, s10, 8
	s_cmp_lg_u32 s10, 16
	s_waitcnt vmcnt(0)
	v_add_u32_e32 v1, v3, v1
	v_add_u32_e32 v0, v2, v0
	scratch_store_dwordx2 off, v[0:1], s11
	s_cbranch_scc1 .LBB2105_597
; %bb.598:                              ;   in Loop: Header=BB2105_536 Depth=1
	scratch_load_dwordx4 v[0:3], off, off offset:96
	s_branch .LBB2105_535
.LBB2105_599:                           ;   in Loop: Header=BB2105_536 Depth=1
                                        ; implicit-def: $vgpr4
                                        ; implicit-def: $vgpr12
	s_cbranch_execz .LBB2105_536
; %bb.600:
	scratch_load_dwordx4 v[0:3], off, off
	scratch_load_dword v12, off, off offset:16
	s_waitcnt vmcnt(1)
	scratch_store_dwordx4 off, v[0:3], off offset:96
	s_waitcnt vmcnt(1)
	scratch_store_dword off, v12, off offset:112
	s_and_saveexec_b64 s[0:1], s[4:5]
	s_cbranch_execz .LBB2105_610
; %bb.601:
	scratch_load_ubyte v13, off, off offset:56
                                        ; implicit-def: $vgpr4_vgpr5
                                        ; implicit-def: $vgpr11
	s_waitcnt vmcnt(0)
	v_cmp_ne_u16_e32 vcc, 0, v13
	s_and_saveexec_b64 s[4:5], vcc
	s_xor_b64 s[4:5], exec, s[4:5]
	s_cbranch_execz .LBB2105_603
; %bb.602:
	scratch_load_dwordx4 v[8:11], off, off offset:40
	s_waitcnt vmcnt(0)
	v_mov_b32_e32 v4, v9
	v_mov_b32_e32 v5, v10
.LBB2105_603:
	s_andn2_saveexec_b64 s[4:5], s[4:5]
	s_cbranch_execz .LBB2105_609
; %bb.604:
	v_mov_b32_e32 v4, 0
	s_mov_b32 s8, 0
	v_mov_b32_e32 v5, v4
.LBB2105_605:                           ; =>This Inner Loop Header: Depth=1
	s_add_i32 s9, s8, 0
	s_add_i32 s8, s8, 8
	s_cmp_lg_u32 s8, 16
	scratch_store_dwordx2 off, v[4:5], s9
	s_cbranch_scc1 .LBB2105_605
; %bb.606:
	s_mov_b32 s8, 0
.LBB2105_607:                           ; =>This Inner Loop Header: Depth=1
	s_add_i32 s9, s8, 0x60
	s_add_i32 s10, s8, 40
	scratch_load_dwordx2 v[4:5], off, s9
	scratch_load_dwordx2 v[8:9], off, s10
	s_add_i32 s9, s8, 0
	s_add_i32 s8, s8, 8
	s_cmp_lg_u32 s8, 16
	s_waitcnt vmcnt(0)
	v_add_u32_e32 v5, v9, v5
	v_add_u32_e32 v4, v8, v4
	scratch_store_dwordx2 off, v[4:5], s9
	s_cbranch_scc1 .LBB2105_607
; %bb.608:
	scratch_load_dwordx4 v[8:11], off, off
	s_waitcnt vmcnt(0)
	v_mov_b32_e32 v4, v9
	v_mov_b32_e32 v5, v10
.LBB2105_609:
	s_or_b64 exec, exec, s[4:5]
	s_add_i32 s8, s33, 64
	v_and_b32_e32 v9, 1, v13
	s_mul_i32 s4, s8, 20
	v_and_b32_e32 v10, 1, v12
	v_cmp_eq_u32_e32 vcc, 1, v9
	s_mul_hi_u32 s5, s8, 20
	s_add_u32 s4, s54, s4
	v_cndmask_b32_e64 v9, v10, 1, vcc
	s_addc_u32 s5, s55, s5
	v_mov_b32_e32 v10, 0
	global_store_dword v10, v8, s[4:5] sc1
	global_store_dword v10, v4, s[4:5] offset:4 sc1
	global_store_dword v10, v5, s[4:5] offset:8 sc1
	;; [unrolled: 1-line block ×4, first 2 shown]
	v_mov_b32_e32 v4, s8
	v_mov_b32_e32 v5, 2
	s_waitcnt vmcnt(0) lgkmcnt(0)
	global_store_byte v4, v5, s[56:57] sc1
.LBB2105_610:
	s_or_b64 exec, exec, s[0:1]
	s_and_b64 exec, exec, s[50:51]
	s_cbranch_execz .LBB2105_612
; %bb.611:
	v_mov_b32_e32 v4, 0
	ds_write_b128 v4, v[0:3]
	ds_write_b8 v4, v12 offset:16
.LBB2105_612:
	s_or_b64 exec, exec, s[6:7]
	s_waitcnt lgkmcnt(0)
	s_barrier
	scratch_load_dwordx4 v[0:3], off, off offset:464
	scratch_load_dword v4, off, off offset:480
	v_mov_b32_e32 v5, 0
	ds_read_b128 v[8:11], v5
	ds_read_b32 v5, v5 offset:16
	s_waitcnt lgkmcnt(1)
	scratch_store_dwordx4 off, v[8:11], off offset:96
	s_waitcnt lgkmcnt(0)
	scratch_store_dword off, v5, off offset:112
	scratch_store_dwordx4 off, v[8:11], off offset:20
	s_waitcnt vmcnt(4)
	scratch_store_dwordx4 off, v[0:3], off
	s_waitcnt vmcnt(4)
	scratch_store_dword off, v4, off offset:16
	scratch_store_dword off, v5, off offset:36
                                        ; implicit-def: $vgpr4
	s_and_saveexec_b64 s[0:1], s[2:3]
	s_xor_b64 s[0:1], exec, s[0:1]
	s_cbranch_execz .LBB2105_622
; %bb.613:
	scratch_load_ubyte v4, off, off offset:76
                                        ; implicit-def: $vgpr2_vgpr3
	s_waitcnt vmcnt(0)
	v_cmp_ne_u16_e32 vcc, 0, v4
	s_and_saveexec_b64 s[4:5], vcc
	s_xor_b64 s[4:5], exec, s[4:5]
	s_cbranch_execz .LBB2105_615
; %bb.614:
	scratch_load_dwordx4 v[0:3], off, off offset:60
.LBB2105_615:
	s_andn2_saveexec_b64 s[4:5], s[4:5]
	s_cbranch_execz .LBB2105_621
; %bb.616:
	s_waitcnt vmcnt(0)
	v_mov_b32_e32 v0, 0
	s_mov_b32 s6, 0
	v_mov_b32_e32 v1, v0
.LBB2105_617:                           ; =>This Inner Loop Header: Depth=1
	s_add_i32 s7, s6, 40
	s_add_i32 s6, s6, 8
	s_cmp_lg_u32 s6, 16
	scratch_store_dwordx2 off, v[0:1], s7
	s_cbranch_scc1 .LBB2105_617
; %bb.618:
	s_mov_b32 s6, 0
.LBB2105_619:                           ; =>This Inner Loop Header: Depth=1
	s_add_i32 s7, s6, 0x60
	s_add_i32 s8, s6, 60
	scratch_load_dwordx2 v[0:1], off, s7
	scratch_load_dwordx2 v[2:3], off, s8
	s_add_i32 s7, s6, 40
	s_add_i32 s6, s6, 8
	s_cmp_lg_u32 s6, 16
	s_waitcnt vmcnt(0)
	v_add_u32_e32 v1, v3, v1
	v_add_u32_e32 v0, v2, v0
	scratch_store_dwordx2 off, v[0:1], s7
	s_cbranch_scc1 .LBB2105_619
; %bb.620:
	scratch_load_dwordx4 v[0:3], off, off offset:40
.LBB2105_621:
	s_or_b64 exec, exec, s[4:5]
	v_or_b32_e32 v4, v4, v5
	v_and_b32_e32 v4, 1, v4
	s_waitcnt vmcnt(0)
	scratch_store_dwordx4 off, v[0:3], off offset:20
	scratch_store_byte off, v4, off offset:36
.LBB2105_622:
	s_andn2_saveexec_b64 s[0:1], s[0:1]
	s_cbranch_execz .LBB2105_624
; %bb.623:
	scratch_load_ubyte v4, off, off offset:36
.LBB2105_624:
	s_or_b64 exec, exec, s[0:1]
	scratch_load_dwordx4 v[0:3], off, off offset:20
	scratch_load_ubyte v8, off, off offset:16
	s_waitcnt vmcnt(2)
	scratch_store_byte off, v4, off offset:480
	s_waitcnt vmcnt(2)
	scratch_store_dwordx4 off, v[0:3], off offset:464
	s_waitcnt vmcnt(2)
	v_cmp_ne_u16_e32 vcc, 0, v8
                                        ; implicit-def: $vgpr2_vgpr3
	s_and_saveexec_b64 s[0:1], vcc
	s_xor_b64 s[0:1], exec, s[0:1]
	s_cbranch_execz .LBB2105_626
; %bb.625:
	scratch_load_dwordx4 v[0:3], off, off
.LBB2105_626:
	s_andn2_saveexec_b64 s[0:1], s[0:1]
	s_cbranch_execz .LBB2105_632
; %bb.627:
	s_waitcnt vmcnt(0)
	v_mov_b32_e32 v0, 0
	s_mov_b32 s4, 0
	v_mov_b32_e32 v1, v0
.LBB2105_628:                           ; =>This Inner Loop Header: Depth=1
	s_add_i32 s5, s4, 40
	s_add_i32 s4, s4, 8
	s_cmp_lg_u32 s4, 16
	scratch_store_dwordx2 off, v[0:1], s5
	s_cbranch_scc1 .LBB2105_628
; %bb.629:
	s_mov_b32 s4, 0
.LBB2105_630:                           ; =>This Inner Loop Header: Depth=1
	s_add_i32 s5, s4, 20
	s_add_i32 s6, s4, 0
	scratch_load_dwordx2 v[0:1], off, s5
	scratch_load_dwordx2 v[2:3], off, s6
	s_add_i32 s5, s4, 40
	s_add_i32 s4, s4, 8
	s_cmp_lg_u32 s4, 16
	s_waitcnt vmcnt(0)
	v_add_u32_e32 v1, v3, v1
	v_add_u32_e32 v0, v2, v0
	scratch_store_dwordx2 off, v[0:1], s5
	s_cbranch_scc1 .LBB2105_630
; %bb.631:
	scratch_load_dwordx4 v[0:3], off, off offset:40
.LBB2105_632:
	s_or_b64 exec, exec, s[0:1]
	scratch_load_dwordx4 v[10:13], v46, off
	scratch_load_ubyte v5, off, off offset:500
	v_or_b32_e32 v4, v8, v4
	s_waitcnt vmcnt(2)
	scratch_store_dwordx4 off, v[0:3], off offset:20
	scratch_store_dwordx4 v46, v[0:3], off
                                        ; implicit-def: $vgpr2_vgpr3
	s_waitcnt vmcnt(2)
	v_cmp_ne_u16_e64 s[0:1], 0, v5
	v_and_b32_e32 v0, 1, v4
	v_cmp_eq_u32_e32 vcc, 1, v0
	scratch_store_byte off, v0, off offset:500
	scratch_store_dwordx4 off, v[10:13], off
	s_and_saveexec_b64 s[4:5], s[0:1]
	s_xor_b64 s[0:1], exec, s[4:5]
	s_cbranch_execz .LBB2105_634
; %bb.633:
	scratch_load_dwordx4 v[0:3], off, off
.LBB2105_634:
	s_andn2_saveexec_b64 s[0:1], s[0:1]
	s_cbranch_execz .LBB2105_640
; %bb.635:
	s_waitcnt vmcnt(0)
	v_mov_b32_e32 v0, 0
	s_mov_b32 s4, 0
	v_mov_b32_e32 v1, v0
.LBB2105_636:                           ; =>This Inner Loop Header: Depth=1
	s_add_i32 s5, s4, 40
	s_add_i32 s4, s4, 8
	s_cmp_lg_u32 s4, 16
	scratch_store_dwordx2 off, v[0:1], s5
	s_cbranch_scc1 .LBB2105_636
; %bb.637:
	s_mov_b32 s4, 0
.LBB2105_638:                           ; =>This Inner Loop Header: Depth=1
	s_add_i32 s5, s4, 20
	s_add_i32 s6, s4, 0
	scratch_load_dwordx2 v[0:1], off, s5
	scratch_load_dwordx2 v[2:3], off, s6
	s_add_i32 s5, s4, 40
	s_add_i32 s4, s4, 8
	s_cmp_lg_u32 s4, 16
	s_waitcnt vmcnt(0)
	v_add_u32_e32 v1, v3, v1
	v_add_u32_e32 v0, v2, v0
	scratch_store_dwordx2 off, v[0:1], s5
	s_cbranch_scc1 .LBB2105_638
; %bb.639:
	scratch_load_dwordx4 v[0:3], off, off offset:40
.LBB2105_640:
	s_or_b64 exec, exec, s[0:1]
	scratch_load_dwordx4 v[8:11], v45, off
	scratch_load_ubyte v4, off, off offset:520
	v_and_b32_e32 v5, 1, v5
	v_cmp_eq_u32_e64 s[0:1], 1, v5
	s_or_b64 s[0:1], s[0:1], vcc
	s_waitcnt vmcnt(2)
	scratch_store_dwordx4 off, v[0:3], off offset:20
	scratch_store_dwordx4 v45, v[0:3], off
                                        ; implicit-def: $vgpr2_vgpr3
	s_waitcnt vmcnt(2)
	v_cmp_ne_u16_e32 vcc, 0, v4
	v_cndmask_b32_e64 v0, 0, 1, s[0:1]
	scratch_store_byte off, v0, off offset:520
	scratch_store_dwordx4 off, v[8:11], off
	s_and_saveexec_b64 s[4:5], vcc
	s_xor_b64 s[4:5], exec, s[4:5]
	s_cbranch_execz .LBB2105_642
; %bb.641:
	scratch_load_dwordx4 v[0:3], off, off
.LBB2105_642:
	s_andn2_saveexec_b64 s[4:5], s[4:5]
	s_cbranch_execz .LBB2105_648
; %bb.643:
	s_waitcnt vmcnt(0)
	v_mov_b32_e32 v0, 0
	s_mov_b32 s6, 0
	v_mov_b32_e32 v1, v0
.LBB2105_644:                           ; =>This Inner Loop Header: Depth=1
	s_add_i32 s7, s6, 40
	s_add_i32 s6, s6, 8
	s_cmp_lg_u32 s6, 16
	scratch_store_dwordx2 off, v[0:1], s7
	s_cbranch_scc1 .LBB2105_644
; %bb.645:
	s_mov_b32 s6, 0
.LBB2105_646:                           ; =>This Inner Loop Header: Depth=1
	s_add_i32 s7, s6, 20
	s_add_i32 s8, s6, 0
	scratch_load_dwordx2 v[0:1], off, s7
	scratch_load_dwordx2 v[2:3], off, s8
	s_add_i32 s7, s6, 40
	s_add_i32 s6, s6, 8
	s_cmp_lg_u32 s6, 16
	s_waitcnt vmcnt(0)
	v_add_u32_e32 v1, v3, v1
	v_add_u32_e32 v0, v2, v0
	scratch_store_dwordx2 off, v[0:1], s7
	s_cbranch_scc1 .LBB2105_646
; %bb.647:
	scratch_load_dwordx4 v[0:3], off, off offset:40
.LBB2105_648:
	s_or_b64 exec, exec, s[4:5]
	scratch_load_dwordx4 v[8:11], v44, off
	scratch_load_ubyte v5, off, off offset:540
	v_and_b32_e32 v4, 1, v4
	v_cmp_eq_u32_e32 vcc, 1, v4
	s_or_b64 s[0:1], vcc, s[0:1]
	s_waitcnt vmcnt(2)
	scratch_store_dwordx4 off, v[0:3], off offset:20
	scratch_store_dwordx4 v44, v[0:3], off
                                        ; implicit-def: $vgpr2_vgpr3
	s_waitcnt vmcnt(2)
	v_cmp_ne_u16_e32 vcc, 0, v5
	v_cndmask_b32_e64 v0, 0, 1, s[0:1]
	scratch_store_byte off, v0, off offset:540
	scratch_store_dwordx4 off, v[8:11], off
	s_and_saveexec_b64 s[4:5], vcc
	s_xor_b64 s[4:5], exec, s[4:5]
	s_cbranch_execz .LBB2105_650
; %bb.649:
	scratch_load_dwordx4 v[0:3], off, off
.LBB2105_650:
	s_andn2_saveexec_b64 s[4:5], s[4:5]
	s_cbranch_execz .LBB2105_656
; %bb.651:
	s_waitcnt vmcnt(0)
	v_mov_b32_e32 v0, 0
	s_mov_b32 s6, 0
	v_mov_b32_e32 v1, v0
.LBB2105_652:                           ; =>This Inner Loop Header: Depth=1
	s_add_i32 s7, s6, 40
	s_add_i32 s6, s6, 8
	s_cmp_lg_u32 s6, 16
	scratch_store_dwordx2 off, v[0:1], s7
	s_cbranch_scc1 .LBB2105_652
; %bb.653:
	s_mov_b32 s6, 0
.LBB2105_654:                           ; =>This Inner Loop Header: Depth=1
	s_add_i32 s7, s6, 20
	s_add_i32 s8, s6, 0
	scratch_load_dwordx2 v[0:1], off, s7
	scratch_load_dwordx2 v[2:3], off, s8
	s_add_i32 s7, s6, 40
	s_add_i32 s6, s6, 8
	s_cmp_lg_u32 s6, 16
	s_waitcnt vmcnt(0)
	v_add_u32_e32 v1, v3, v1
	v_add_u32_e32 v0, v2, v0
	scratch_store_dwordx2 off, v[0:1], s7
	s_cbranch_scc1 .LBB2105_654
; %bb.655:
	scratch_load_dwordx4 v[0:3], off, off offset:40
.LBB2105_656:
	s_or_b64 exec, exec, s[4:5]
	scratch_load_dwordx4 v[8:11], v43, off
	scratch_load_ubyte v4, off, off offset:560
	v_and_b32_e32 v5, 1, v5
	v_cmp_eq_u32_e32 vcc, 1, v5
	s_or_b64 s[0:1], vcc, s[0:1]
	;; [unrolled: 52-line block ×19, first 2 shown]
	s_waitcnt vmcnt(2)
	scratch_store_dwordx4 off, v[0:3], off offset:20
	scratch_store_dwordx4 v26, v[0:3], off
                                        ; implicit-def: $vgpr2_vgpr3
	s_waitcnt vmcnt(2)
	v_cmp_ne_u16_e32 vcc, 0, v5
	v_cndmask_b32_e64 v0, 0, 1, s[0:1]
	scratch_store_byte off, v0, off offset:900
	scratch_store_dwordx4 off, v[8:11], off
	s_and_saveexec_b64 s[4:5], vcc
	s_xor_b64 s[4:5], exec, s[4:5]
	s_cbranch_execz .LBB2105_794
; %bb.793:
	scratch_load_dwordx4 v[0:3], off, off
.LBB2105_794:
	s_andn2_saveexec_b64 s[4:5], s[4:5]
	s_cbranch_execz .LBB2105_800
; %bb.795:
	s_waitcnt vmcnt(0)
	v_mov_b32_e32 v0, 0
	s_mov_b32 s6, 0
	v_mov_b32_e32 v1, v0
.LBB2105_796:                           ; =>This Inner Loop Header: Depth=1
	s_add_i32 s7, s6, 40
	s_add_i32 s6, s6, 8
	s_cmp_lg_u32 s6, 16
	scratch_store_dwordx2 off, v[0:1], s7
	s_cbranch_scc1 .LBB2105_796
; %bb.797:
	s_mov_b32 s6, 0
.LBB2105_798:                           ; =>This Inner Loop Header: Depth=1
	s_add_i32 s7, s6, 20
	s_add_i32 s8, s6, 0
	scratch_load_dwordx2 v[0:1], off, s7
	scratch_load_dwordx2 v[2:3], off, s8
	s_add_i32 s7, s6, 40
	s_add_i32 s6, s6, 8
	s_cmp_lg_u32 s6, 16
	s_waitcnt vmcnt(0)
	v_add_u32_e32 v1, v3, v1
	v_add_u32_e32 v0, v2, v0
	scratch_store_dwordx2 off, v[0:1], s7
	s_cbranch_scc1 .LBB2105_798
; %bb.799:
	scratch_load_dwordx4 v[0:3], off, off offset:40
.LBB2105_800:
	s_or_b64 exec, exec, s[4:5]
	v_and_b32_e32 v4, 1, v5
	v_cmp_eq_u32_e32 vcc, 1, v4
	s_or_b64 s[0:1], vcc, s[0:1]
	v_cndmask_b32_e64 v4, 0, 1, s[0:1]
	s_waitcnt vmcnt(0)
	scratch_store_dwordx4 v6, v[0:3], off
	scratch_store_byte off, v4, off offset:920
	s_branch .LBB2105_1279
.LBB2105_801:
	s_cbranch_execz .LBB2105_1279
; %bb.802:
	s_cmp_lg_u64 s[76:77], 0
	s_cselect_b32 s1, s71, 0
	s_cselect_b32 s0, s70, 0
	s_cmp_eq_u64 s[0:1], 0
	v_mov_b64_e32 v[0:1], s[72:73]
	v_mov_b64_e32 v[2:3], s[74:75]
	s_cbranch_scc1 .LBB2105_804
; %bb.803:
	v_mov_b32_e32 v0, 0
	global_load_dwordx4 v[0:3], v0, s[0:1]
.LBB2105_804:
	v_mov_b32_e32 v8, 0
	s_mov_b32 s0, 0
	v_mov_b32_e32 v9, v8
	v_mov_b32_e32 v10, v8
	;; [unrolled: 1-line block ×3, first 2 shown]
	scratch_store_dword off, v8, off offset:940
	scratch_store_dwordx4 off, v[8:11], off offset:924
.LBB2105_805:                           ; =>This Inner Loop Header: Depth=1
	s_add_i32 s1, s0, 0x39c
	s_add_i32 s0, s0, 8
	s_cmp_lg_u32 s0, 16
	scratch_store_dwordx2 off, v[8:9], s1
	s_cbranch_scc1 .LBB2105_805
; %bb.806:
	scratch_load_dwordx4 v[8:11], off, off offset:464
	scratch_load_dword v12, off, off offset:480
	scratch_load_ubyte v13, off, off offset:500
	v_mov_b32_e32 v4, 0
	s_waitcnt vmcnt(6)
	scratch_store_dwordx4 off, v[0:3], off offset:60
	scratch_store_byte off, v4, off offset:940
	scratch_store_byte off, v4, off offset:76
	s_waitcnt vmcnt(5)
	scratch_store_dwordx4 off, v[8:11], off offset:40
	s_waitcnt vmcnt(5)
	scratch_store_dword off, v12, off offset:56
	s_waitcnt vmcnt(5)
	v_cmp_ne_u16_e32 vcc, 0, v13
                                        ; implicit-def: $vgpr10_vgpr11
	s_and_saveexec_b64 s[0:1], vcc
	s_xor_b64 s[0:1], exec, s[0:1]
	s_cbranch_execz .LBB2105_808
; %bb.807:
	scratch_load_dwordx4 v[8:11], off, off offset:484
.LBB2105_808:
	s_andn2_saveexec_b64 s[0:1], s[0:1]
	s_cbranch_execz .LBB2105_814
; %bb.809:
	v_mov_b32_e32 v4, 0
	s_mov_b32 s4, 0
	v_mov_b32_e32 v5, v4
.LBB2105_810:                           ; =>This Inner Loop Header: Depth=1
	s_add_i32 s5, s4, 0x60
	s_add_i32 s4, s4, 8
	s_cmp_lg_u32 s4, 16
	scratch_store_dwordx2 off, v[4:5], s5
	s_cbranch_scc1 .LBB2105_810
; %bb.811:
	s_mov_b32 s4, 0
.LBB2105_812:                           ; =>This Inner Loop Header: Depth=1
	s_add_i32 s5, s4, 40
	s_waitcnt vmcnt(1)
	v_add_u32_e32 v10, s4, v46
	scratch_load_dwordx2 v[4:5], off, s5
	scratch_load_dwordx2 v[8:9], v10, off
	s_add_i32 s5, s4, 0x60
	s_add_i32 s4, s4, 8
	s_cmp_lg_u32 s4, 16
	s_waitcnt vmcnt(0)
	v_add_u32_e32 v5, v9, v5
	v_add_u32_e32 v4, v8, v4
	scratch_store_dwordx2 off, v[4:5], s5
	s_cbranch_scc1 .LBB2105_812
; %bb.813:
	scratch_load_dwordx4 v[8:11], off, off offset:96
.LBB2105_814:
	s_or_b64 exec, exec, s[0:1]
	scratch_load_ubyte v14, off, off offset:520
	s_waitcnt vmcnt(0)
	v_cmp_ne_u16_e32 vcc, 0, v14
	scratch_store_dwordx4 off, v[8:11], off offset:40
                                        ; implicit-def: $vgpr10_vgpr11
	s_and_saveexec_b64 s[0:1], vcc
	s_xor_b64 s[0:1], exec, s[0:1]
	s_cbranch_execz .LBB2105_816
; %bb.815:
	scratch_load_dwordx4 v[8:11], off, off offset:504
.LBB2105_816:
	s_andn2_saveexec_b64 s[0:1], s[0:1]
	s_cbranch_execz .LBB2105_822
; %bb.817:
	v_mov_b32_e32 v4, 0
	s_mov_b32 s4, 0
	v_mov_b32_e32 v5, v4
.LBB2105_818:                           ; =>This Inner Loop Header: Depth=1
	s_add_i32 s5, s4, 0x60
	s_add_i32 s4, s4, 8
	s_cmp_lg_u32 s4, 16
	scratch_store_dwordx2 off, v[4:5], s5
	s_cbranch_scc1 .LBB2105_818
; %bb.819:
	s_mov_b32 s4, 0
.LBB2105_820:                           ; =>This Inner Loop Header: Depth=1
	s_add_i32 s5, s4, 40
	s_waitcnt vmcnt(1)
	v_add_u32_e32 v10, s4, v45
	scratch_load_dwordx2 v[4:5], off, s5
	scratch_load_dwordx2 v[8:9], v10, off
	s_add_i32 s5, s4, 0x60
	s_add_i32 s4, s4, 8
	s_cmp_lg_u32 s4, 16
	s_waitcnt vmcnt(0)
	v_add_u32_e32 v5, v9, v5
	v_add_u32_e32 v4, v8, v4
	scratch_store_dwordx2 off, v[4:5], s5
	s_cbranch_scc1 .LBB2105_820
; %bb.821:
	scratch_load_dwordx4 v[8:11], off, off offset:96
.LBB2105_822:
	s_or_b64 exec, exec, s[0:1]
	scratch_load_ubyte v15, off, off offset:540
	s_waitcnt vmcnt(0)
	v_cmp_ne_u16_e32 vcc, 0, v15
	scratch_store_dwordx4 off, v[8:11], off offset:40
	;; [unrolled: 43-line block ×21, first 2 shown]
                                        ; implicit-def: $vgpr10_vgpr11
	s_and_saveexec_b64 s[0:1], vcc
	s_xor_b64 s[0:1], exec, s[0:1]
	s_cbranch_execz .LBB2105_976
; %bb.975:
	scratch_load_dwordx4 v[8:11], off, off offset:904
.LBB2105_976:
	s_andn2_saveexec_b64 s[0:1], s[0:1]
	s_cbranch_execz .LBB2105_982
; %bb.977:
	v_mov_b32_e32 v4, 0
	s_mov_b32 s4, 0
	v_mov_b32_e32 v5, v4
.LBB2105_978:                           ; =>This Inner Loop Header: Depth=1
	s_add_i32 s5, s4, 0x60
	s_add_i32 s4, s4, 8
	s_cmp_lg_u32 s4, 16
	scratch_store_dwordx2 off, v[4:5], s5
	s_cbranch_scc1 .LBB2105_978
; %bb.979:
	s_mov_b32 s4, 0
.LBB2105_980:                           ; =>This Inner Loop Header: Depth=1
	s_add_i32 s5, s4, 40
	s_waitcnt vmcnt(1)
	v_add_u32_e32 v10, s4, v6
	scratch_load_dwordx2 v[4:5], off, s5
	scratch_load_dwordx2 v[8:9], v10, off
	s_add_i32 s5, s4, 0x60
	s_add_i32 s4, s4, 8
	s_cmp_lg_u32 s4, 16
	s_waitcnt vmcnt(0)
	v_add_u32_e32 v5, v9, v5
	v_add_u32_e32 v4, v8, v4
	scratch_store_dwordx2 off, v[4:5], s5
	s_cbranch_scc1 .LBB2105_980
; %bb.981:
	scratch_load_dwordx4 v[8:11], off, off offset:96
.LBB2105_982:
	s_or_b64 exec, exec, s[0:1]
	v_or_b32_e32 v4, v55, v54
	v_or_b32_e32 v4, v4, v53
	;; [unrolled: 1-line block ×22, first 2 shown]
	v_and_b32_e32 v17, 1, v4
	v_mov_b32_e32 v4, 0
	s_waitcnt vmcnt(0)
	scratch_store_dwordx4 off, v[8:11], off offset:40
	scratch_store_byte off, v17, off offset:56
	scratch_store_dwordx4 off, v[0:3], off offset:20
	scratch_store_byte off, v4, off offset:36
	v_lshrrev_b32_e32 v4, 5, v7
	v_add_u32_e32 v4, v4, v7
	v_mul_u32_u24_e32 v4, 20, v4
	v_cmp_gt_u32_e32 vcc, 64, v7
	ds_write2_b32 v4, v8, v9 offset1:1
	ds_write2_b32 v4, v10, v11 offset0:2 offset1:3
	ds_write_b8 v4, v17 offset:16
	s_waitcnt lgkmcnt(0)
	s_barrier
	s_and_saveexec_b64 s[0:1], vcc
	s_xor_b64 s[4:5], exec, s[0:1]
	s_cbranch_execz .LBB2105_1058
; %bb.983:
	v_lshrrev_b32_e32 v4, 4, v7
	v_lshl_add_u32 v4, v7, 1, v4
	v_mul_u32_u24_e32 v18, 20, v4
	ds_read_u8 v19, v18 offset:36
	ds_read_b32 v5, v18 offset:16
	ds_read2_b32 v[14:15], v18 offset0:2 offset1:3
	ds_read2_b32 v[12:13], v18 offset1:1
	v_mad_u32_u24 v16, v4, 20, 20
	s_waitcnt lgkmcnt(3)
	v_cmp_ne_u16_e32 vcc, 0, v19
	s_waitcnt lgkmcnt(2)
	scratch_store_dword off, v5, off offset:16
	s_waitcnt lgkmcnt(0)
	scratch_store_dwordx4 off, v[12:15], off
                                        ; implicit-def: $vgpr12_vgpr13
	s_and_saveexec_b64 s[0:1], vcc
	s_xor_b64 s[0:1], exec, s[0:1]
	s_cbranch_execz .LBB2105_985
; %bb.984:
	ds_read2_b32 v[12:13], v16 offset1:1
	ds_read2_b32 v[14:15], v16 offset0:2 offset1:3
.LBB2105_985:
	s_andn2_saveexec_b64 s[0:1], s[0:1]
	s_cbranch_execz .LBB2105_991
; %bb.986:
	v_mov_b32_e32 v4, 0
	s_mov_b32 s6, 0
	v_mov_b32_e32 v5, v4
.LBB2105_987:                           ; =>This Inner Loop Header: Depth=1
	s_add_i32 s7, s6, 0x60
	s_add_i32 s6, s6, 8
	s_cmp_lg_u32 s6, 16
	scratch_store_dwordx2 off, v[4:5], s7
	s_cbranch_scc1 .LBB2105_987
; %bb.988:
	s_mov_b32 s6, 0
.LBB2105_989:                           ; =>This Inner Loop Header: Depth=1
	s_add_i32 s7, s6, 0
	scratch_load_dwordx2 v[4:5], off, s7
	s_waitcnt lgkmcnt(1)
	v_add_u32_e32 v12, s6, v16
	ds_read2_b32 v[12:13], v12 offset1:1
	s_add_i32 s7, s6, 0x60
	s_add_i32 s6, s6, 8
	s_cmp_lg_u32 s6, 16
	s_waitcnt vmcnt(0) lgkmcnt(0)
	v_add_u32_e32 v5, v13, v5
	v_add_u32_e32 v4, v12, v4
	scratch_store_dwordx2 off, v[4:5], s7
	s_cbranch_scc1 .LBB2105_989
; %bb.990:
	scratch_load_dwordx4 v[12:15], off, off offset:96
.LBB2105_991:
	s_or_b64 exec, exec, s[0:1]
	scratch_load_ubyte v4, off, off offset:16
	s_waitcnt vmcnt(1) lgkmcnt(1)
	v_mov_b32_dpp v22, v12 row_shr:1 row_mask:0xf bank_mask:0xf
	v_mov_b32_dpp v23, v13 row_shr:1 row_mask:0xf bank_mask:0xf
	s_waitcnt lgkmcnt(0)
	v_mov_b32_dpp v24, v14 row_shr:1 row_mask:0xf bank_mask:0xf
	v_mov_b32_dpp v25, v15 row_shr:1 row_mask:0xf bank_mask:0xf
	scratch_store_dwordx4 off, v[22:25], off offset:96
	scratch_store_dwordx4 off, v[12:15], off
	s_waitcnt vmcnt(2)
	v_or_b32_e32 v4, v19, v4
	v_and_b32_e32 v4, 1, v4
	scratch_store_byte off, v4, off offset:16
	scratch_load_dword v20, off, off offset:16
	v_mbcnt_lo_u32_b32 v4, -1, 0
	v_mbcnt_hi_u32_b32 v19, -1, v4
	v_and_b32_e32 v21, 15, v19
	v_cmp_ne_u32_e32 vcc, 0, v21
	s_waitcnt vmcnt(0)
	v_mov_b32_dpp v22, v20 row_shr:1 row_mask:0xf bank_mask:0xf
	scratch_store_dword off, v22, off offset:112
	s_and_saveexec_b64 s[0:1], vcc
	s_cbranch_execz .LBB2105_999
; %bb.992:
	v_mov_b32_e32 v4, 0
	v_cmp_eq_u16_sdwa s[8:9], v20, v4 src0_sel:BYTE_0 src1_sel:DWORD
	s_and_saveexec_b64 s[6:7], s[8:9]
	s_cbranch_execz .LBB2105_998
; %bb.993:
	s_mov_b32 s8, 0
	v_mov_b32_e32 v5, v4
.LBB2105_994:                           ; =>This Inner Loop Header: Depth=1
	s_add_i32 s9, s8, 0x50
	s_add_i32 s8, s8, 8
	s_cmp_lg_u32 s8, 16
	scratch_store_dwordx2 off, v[4:5], s9
	s_cbranch_scc1 .LBB2105_994
; %bb.995:
	s_mov_b32 s8, 0
.LBB2105_996:                           ; =>This Inner Loop Header: Depth=1
	s_add_i32 s9, s8, 0x60
	s_add_i32 s10, s8, 0
	scratch_load_dwordx2 v[4:5], off, s9
	scratch_load_dwordx2 v[12:13], off, s10
	s_add_i32 s9, s8, 0x50
	s_add_i32 s8, s8, 8
	s_cmp_lg_u32 s8, 16
	s_waitcnt vmcnt(0)
	v_add_u32_e32 v5, v13, v5
	v_add_u32_e32 v4, v12, v4
	scratch_store_dwordx2 off, v[4:5], s9
	s_cbranch_scc1 .LBB2105_996
; %bb.997:
	scratch_load_dwordx4 v[12:15], off, off offset:80
.LBB2105_998:
	s_or_b64 exec, exec, s[6:7]
	v_or_b32_e32 v4, v22, v20
	v_and_b32_e32 v4, 1, v4
	scratch_store_byte off, v4, off offset:16
	scratch_load_dword v20, off, off offset:16
	s_waitcnt vmcnt(2)
	scratch_store_dwordx4 off, v[12:15], off
.LBB2105_999:
	s_or_b64 exec, exec, s[0:1]
	v_mov_b32_dpp v48, v12 row_shr:2 row_mask:0xf bank_mask:0xf
	v_mov_b32_dpp v49, v13 row_shr:2 row_mask:0xf bank_mask:0xf
	v_mov_b32_dpp v50, v14 row_shr:2 row_mask:0xf bank_mask:0xf
	v_mov_b32_dpp v51, v15 row_shr:2 row_mask:0xf bank_mask:0xf
	s_waitcnt vmcnt(1)
	v_mov_b32_dpp v22, v20 row_shr:2 row_mask:0xf bank_mask:0xf
	v_cmp_lt_u32_e32 vcc, 1, v21
	scratch_store_dwordx4 off, v[48:51], off offset:96
	scratch_store_dword off, v22, off offset:112
	s_and_saveexec_b64 s[6:7], vcc
	s_cbranch_execz .LBB2105_1007
; %bb.1000:
	v_mov_b32_e32 v4, 0
	s_mov_b32 s8, 0
	v_cmp_eq_u16_sdwa s[10:11], v20, v4 src0_sel:BYTE_0 src1_sel:DWORD
	s_and_saveexec_b64 s[0:1], s[10:11]
	s_cbranch_execz .LBB2105_1006
; %bb.1001:
	v_mov_b32_e32 v5, v4
.LBB2105_1002:                          ; =>This Inner Loop Header: Depth=1
	s_add_i32 s9, s8, 0x50
	s_add_i32 s8, s8, 8
	s_cmp_lg_u32 s8, 16
	scratch_store_dwordx2 off, v[4:5], s9
	s_cbranch_scc1 .LBB2105_1002
; %bb.1003:
	s_mov_b32 s8, 0
.LBB2105_1004:                          ; =>This Inner Loop Header: Depth=1
	s_add_i32 s9, s8, 0x60
	s_add_i32 s10, s8, 0
	scratch_load_dwordx2 v[4:5], off, s9
	scratch_load_dwordx2 v[12:13], off, s10
	s_add_i32 s9, s8, 0x50
	s_add_i32 s8, s8, 8
	s_cmp_lg_u32 s8, 16
	s_waitcnt vmcnt(0)
	v_add_u32_e32 v5, v13, v5
	v_add_u32_e32 v4, v12, v4
	scratch_store_dwordx2 off, v[4:5], s9
	s_cbranch_scc1 .LBB2105_1004
; %bb.1005:
	scratch_load_dwordx4 v[12:15], off, off offset:80
.LBB2105_1006:
	s_or_b64 exec, exec, s[0:1]
	v_and_b32_e32 v4, 1, v20
	v_cmp_eq_u32_e32 vcc, 1, v4
	v_and_b32_e32 v4, 1, v22
	v_cmp_eq_u32_e64 s[0:1], 1, v4
	s_or_b64 s[0:1], vcc, s[0:1]
	s_waitcnt vmcnt(0)
	scratch_store_dwordx4 off, v[12:15], off
	v_cndmask_b32_e64 v4, 0, 1, s[0:1]
	scratch_store_byte off, v4, off offset:16
	scratch_load_dword v20, off, off offset:16
.LBB2105_1007:
	s_or_b64 exec, exec, s[6:7]
	v_mov_b32_dpp v48, v12 row_shr:4 row_mask:0xf bank_mask:0xf
	v_mov_b32_dpp v49, v13 row_shr:4 row_mask:0xf bank_mask:0xf
	v_mov_b32_dpp v50, v14 row_shr:4 row_mask:0xf bank_mask:0xf
	v_mov_b32_dpp v51, v15 row_shr:4 row_mask:0xf bank_mask:0xf
	s_waitcnt vmcnt(0)
	v_mov_b32_dpp v22, v20 row_shr:4 row_mask:0xf bank_mask:0xf
	v_cmp_lt_u32_e32 vcc, 3, v21
	scratch_store_dwordx4 off, v[48:51], off offset:96
	scratch_store_dword off, v22, off offset:112
	s_and_saveexec_b64 s[6:7], vcc
	s_cbranch_execz .LBB2105_1015
; %bb.1008:
	v_mov_b32_e32 v4, 0
	s_mov_b32 s8, 0
	v_cmp_eq_u16_sdwa s[10:11], v20, v4 src0_sel:BYTE_0 src1_sel:DWORD
	s_and_saveexec_b64 s[0:1], s[10:11]
	s_cbranch_execz .LBB2105_1014
; %bb.1009:
	v_mov_b32_e32 v5, v4
.LBB2105_1010:                          ; =>This Inner Loop Header: Depth=1
	s_add_i32 s9, s8, 0x50
	s_add_i32 s8, s8, 8
	s_cmp_lg_u32 s8, 16
	scratch_store_dwordx2 off, v[4:5], s9
	s_cbranch_scc1 .LBB2105_1010
; %bb.1011:
	s_mov_b32 s8, 0
.LBB2105_1012:                          ; =>This Inner Loop Header: Depth=1
	s_add_i32 s9, s8, 0x60
	s_add_i32 s10, s8, 0
	scratch_load_dwordx2 v[4:5], off, s9
	scratch_load_dwordx2 v[12:13], off, s10
	s_add_i32 s9, s8, 0x50
	s_add_i32 s8, s8, 8
	s_cmp_lg_u32 s8, 16
	s_waitcnt vmcnt(0)
	v_add_u32_e32 v5, v13, v5
	v_add_u32_e32 v4, v12, v4
	scratch_store_dwordx2 off, v[4:5], s9
	s_cbranch_scc1 .LBB2105_1012
; %bb.1013:
	scratch_load_dwordx4 v[12:15], off, off offset:80
.LBB2105_1014:
	s_or_b64 exec, exec, s[0:1]
	v_and_b32_e32 v4, 1, v20
	v_cmp_eq_u32_e32 vcc, 1, v4
	v_and_b32_e32 v4, 1, v22
	v_cmp_eq_u32_e64 s[0:1], 1, v4
	s_or_b64 s[0:1], vcc, s[0:1]
	s_waitcnt vmcnt(0)
	scratch_store_dwordx4 off, v[12:15], off
	v_cndmask_b32_e64 v4, 0, 1, s[0:1]
	scratch_store_byte off, v4, off offset:16
	scratch_load_dword v20, off, off offset:16
.LBB2105_1015:
	;; [unrolled: 56-line block ×3, first 2 shown]
	s_or_b64 exec, exec, s[6:7]
	v_and_b32_e32 v4, 16, v19
	v_mov_b32_dpp v22, v12 row_bcast:15 row_mask:0xf bank_mask:0xf
	v_mov_b32_dpp v23, v13 row_bcast:15 row_mask:0xf bank_mask:0xf
	;; [unrolled: 1-line block ×4, first 2 shown]
	s_waitcnt vmcnt(0)
	v_mov_b32_dpp v21, v20 row_bcast:15 row_mask:0xf bank_mask:0xf
	v_cmp_ne_u32_e32 vcc, 0, v4
	scratch_store_dwordx4 off, v[22:25], off offset:96
	scratch_store_dword off, v21, off offset:112
	s_and_saveexec_b64 s[6:7], vcc
	s_cbranch_execz .LBB2105_1031
; %bb.1024:
	v_mov_b32_e32 v4, 0
	s_mov_b32 s8, 0
	v_cmp_eq_u16_sdwa s[10:11], v20, v4 src0_sel:BYTE_0 src1_sel:DWORD
	s_and_saveexec_b64 s[0:1], s[10:11]
	s_cbranch_execz .LBB2105_1030
; %bb.1025:
	v_mov_b32_e32 v5, v4
.LBB2105_1026:                          ; =>This Inner Loop Header: Depth=1
	s_add_i32 s9, s8, 0x50
	s_add_i32 s8, s8, 8
	s_cmp_lg_u32 s8, 16
	scratch_store_dwordx2 off, v[4:5], s9
	s_cbranch_scc1 .LBB2105_1026
; %bb.1027:
	s_mov_b32 s8, 0
.LBB2105_1028:                          ; =>This Inner Loop Header: Depth=1
	s_add_i32 s9, s8, 0x60
	s_add_i32 s10, s8, 0
	scratch_load_dwordx2 v[4:5], off, s9
	scratch_load_dwordx2 v[12:13], off, s10
	s_add_i32 s9, s8, 0x50
	s_add_i32 s8, s8, 8
	s_cmp_lg_u32 s8, 16
	s_waitcnt vmcnt(0)
	v_add_u32_e32 v5, v13, v5
	v_add_u32_e32 v4, v12, v4
	scratch_store_dwordx2 off, v[4:5], s9
	s_cbranch_scc1 .LBB2105_1028
; %bb.1029:
	scratch_load_dwordx4 v[12:15], off, off offset:80
.LBB2105_1030:
	s_or_b64 exec, exec, s[0:1]
	v_and_b32_e32 v4, 1, v20
	v_cmp_eq_u32_e32 vcc, 1, v4
	v_and_b32_e32 v4, 1, v21
	v_cmp_eq_u32_e64 s[0:1], 1, v4
	s_or_b64 s[0:1], vcc, s[0:1]
	s_waitcnt vmcnt(0)
	scratch_store_dwordx4 off, v[12:15], off
	v_cndmask_b32_e64 v4, 0, 1, s[0:1]
	scratch_store_byte off, v4, off offset:16
	scratch_load_dword v20, off, off offset:16
.LBB2105_1031:
	s_or_b64 exec, exec, s[6:7]
	v_mov_b32_dpp v22, v12 row_bcast:31 row_mask:0xf bank_mask:0xf
	v_mov_b32_dpp v23, v13 row_bcast:31 row_mask:0xf bank_mask:0xf
	;; [unrolled: 1-line block ×4, first 2 shown]
	s_waitcnt vmcnt(0)
	v_mov_b32_dpp v21, v20 row_bcast:31 row_mask:0xf bank_mask:0xf
	v_cmp_lt_u32_e32 vcc, 31, v19
	scratch_store_dwordx4 off, v[22:25], off offset:96
	scratch_store_dword off, v21, off offset:112
	s_and_saveexec_b64 s[6:7], vcc
	s_cbranch_execz .LBB2105_1039
; %bb.1032:
	v_mov_b32_e32 v4, 0
	s_mov_b32 s8, 0
	v_cmp_eq_u16_sdwa s[10:11], v20, v4 src0_sel:BYTE_0 src1_sel:DWORD
	s_and_saveexec_b64 s[0:1], s[10:11]
	s_cbranch_execz .LBB2105_1038
; %bb.1033:
	v_mov_b32_e32 v5, v4
.LBB2105_1034:                          ; =>This Inner Loop Header: Depth=1
	s_add_i32 s9, s8, 0x50
	s_add_i32 s8, s8, 8
	s_cmp_lg_u32 s8, 16
	scratch_store_dwordx2 off, v[4:5], s9
	s_cbranch_scc1 .LBB2105_1034
; %bb.1035:
	s_mov_b32 s8, 0
.LBB2105_1036:                          ; =>This Inner Loop Header: Depth=1
	s_add_i32 s9, s8, 0x60
	s_add_i32 s10, s8, 0
	scratch_load_dwordx2 v[4:5], off, s9
	scratch_load_dwordx2 v[12:13], off, s10
	s_add_i32 s9, s8, 0x50
	s_add_i32 s8, s8, 8
	s_cmp_lg_u32 s8, 16
	s_waitcnt vmcnt(0)
	v_add_u32_e32 v5, v13, v5
	v_add_u32_e32 v4, v12, v4
	scratch_store_dwordx2 off, v[4:5], s9
	s_cbranch_scc1 .LBB2105_1036
; %bb.1037:
	scratch_load_dwordx4 v[12:15], off, off offset:80
.LBB2105_1038:
	s_or_b64 exec, exec, s[0:1]
	v_and_b32_e32 v4, 1, v20
	v_cmp_eq_u32_e32 vcc, 1, v4
	v_and_b32_e32 v4, 1, v21
	v_cmp_eq_u32_e64 s[0:1], 1, v4
	s_or_b64 s[0:1], vcc, s[0:1]
	s_nop 0
	v_cndmask_b32_e64 v4, 0, 1, s[0:1]
	scratch_store_byte off, v4, off offset:16
	scratch_load_dword v20, off, off offset:16
.LBB2105_1039:
	s_or_b64 exec, exec, s[6:7]
	v_add_u32_e32 v4, -1, v19
	v_and_b32_e32 v5, 64, v19
	v_cmp_lt_i32_e32 vcc, v4, v5
	ds_read_u8 v21, v18 offset:16
	s_nop 0
	v_cndmask_b32_e32 v4, v4, v19, vcc
	v_lshlrev_b32_e32 v4, 2, v4
	s_waitcnt vmcnt(2)
	ds_bpermute_b32 v12, v4, v12
	ds_bpermute_b32 v13, v4, v13
	;; [unrolled: 1-line block ×4, first 2 shown]
	s_waitcnt vmcnt(0)
	ds_bpermute_b32 v19, v4, v20
	s_waitcnt lgkmcnt(5)
	v_cmp_ne_u16_e32 vcc, 0, v21
	s_waitcnt lgkmcnt(1)
	scratch_store_dwordx4 off, v[12:15], off
                                        ; implicit-def: $vgpr14_vgpr15
	s_and_saveexec_b64 s[0:1], vcc
	s_xor_b64 s[0:1], exec, s[0:1]
	s_cbranch_execz .LBB2105_1041
; %bb.1040:
	ds_read2_b32 v[12:13], v18 offset1:1
	ds_read2_b32 v[14:15], v18 offset0:2 offset1:3
.LBB2105_1041:
	s_andn2_saveexec_b64 s[0:1], s[0:1]
	s_cbranch_execz .LBB2105_1047
; %bb.1042:
	v_mov_b32_e32 v4, 0
	s_mov_b32 s6, 0
	v_mov_b32_e32 v5, v4
.LBB2105_1043:                          ; =>This Inner Loop Header: Depth=1
	s_add_i32 s7, s6, 0x60
	s_add_i32 s6, s6, 8
	s_cmp_lg_u32 s6, 16
	scratch_store_dwordx2 off, v[4:5], s7
	s_cbranch_scc1 .LBB2105_1043
; %bb.1044:
	s_mov_b32 s6, 0
.LBB2105_1045:                          ; =>This Inner Loop Header: Depth=1
	s_add_i32 s7, s6, 0
	scratch_load_dwordx2 v[4:5], off, s7
	s_waitcnt lgkmcnt(1)
	v_add_u32_e32 v12, s6, v18
	ds_read2_b32 v[12:13], v12 offset1:1
	s_add_i32 s7, s6, 0x60
	s_add_i32 s6, s6, 8
	s_cmp_lg_u32 s6, 16
	s_waitcnt vmcnt(0) lgkmcnt(0)
	v_add_u32_e32 v5, v13, v5
	v_add_u32_e32 v4, v12, v4
	scratch_store_dwordx2 off, v[4:5], s7
	s_cbranch_scc1 .LBB2105_1045
; %bb.1046:
	scratch_load_dwordx4 v[12:15], off, off offset:96
.LBB2105_1047:
	s_or_b64 exec, exec, s[0:1]
	v_and_b32_e32 v4, 1, v21
	v_cmp_eq_u32_e32 vcc, 1, v4
	s_waitcnt lgkmcnt(0)
	v_and_b32_e32 v4, 1, v19
	v_cmp_eq_u32_e64 s[0:1], 1, v4
	s_or_b64 s[0:1], s[0:1], vcc
	s_nop 0
	v_cndmask_b32_e64 v4, 0, 1, s[0:1]
	s_waitcnt vmcnt(0)
	scratch_store_dwordx4 off, v[12:15], off
	scratch_store_byte off, v4, off offset:16
	s_and_saveexec_b64 s[0:1], s[50:51]
	s_cbranch_execz .LBB2105_1049
; %bb.1048:
	scratch_store_dwordx4 off, v[8:11], off
	scratch_store_byte off, v17, off offset:16
.LBB2105_1049:
	s_or_b64 exec, exec, s[0:1]
	; wave barrier
	scratch_load_dwordx4 v[8:11], off, off
	scratch_load_ubyte v4, off, off offset:16
	s_waitcnt vmcnt(1)
	ds_write2_b32 v18, v10, v11 offset0:2 offset1:3
	ds_write2_b32 v18, v8, v9 offset1:1
	s_waitcnt vmcnt(0)
	ds_write_b8 v18, v4 offset:16
	; wave barrier
	ds_read_u8 v12, v18 offset:36
                                        ; implicit-def: $vgpr10_vgpr11
	s_waitcnt lgkmcnt(0)
	v_cmp_ne_u16_e32 vcc, 0, v12
	s_and_saveexec_b64 s[0:1], vcc
	s_xor_b64 s[0:1], exec, s[0:1]
	s_cbranch_execz .LBB2105_1051
; %bb.1050:
	ds_read2_b32 v[8:9], v16 offset1:1
	ds_read2_b32 v[10:11], v16 offset0:2 offset1:3
.LBB2105_1051:
	s_andn2_saveexec_b64 s[0:1], s[0:1]
	s_cbranch_execz .LBB2105_1057
; %bb.1052:
	v_mov_b32_e32 v4, 0
	s_mov_b32 s6, 0
	v_mov_b32_e32 v5, v4
.LBB2105_1053:                          ; =>This Inner Loop Header: Depth=1
	s_add_i32 s7, s6, 0x60
	s_add_i32 s6, s6, 8
	s_cmp_lg_u32 s6, 16
	scratch_store_dwordx2 off, v[4:5], s7
	s_cbranch_scc1 .LBB2105_1053
; %bb.1054:
	s_mov_b32 s6, 0
.LBB2105_1055:                          ; =>This Inner Loop Header: Depth=1
	s_add_i32 s7, s6, 0
	scratch_load_dwordx2 v[4:5], off, s7
	s_waitcnt lgkmcnt(1)
	v_add_u32_e32 v8, s6, v16
	ds_read2_b32 v[8:9], v8 offset1:1
	s_add_i32 s7, s6, 0x60
	s_add_i32 s6, s6, 8
	s_cmp_lg_u32 s6, 16
	s_waitcnt vmcnt(0) lgkmcnt(0)
	v_add_u32_e32 v5, v9, v5
	v_add_u32_e32 v4, v8, v4
	scratch_store_dwordx2 off, v[4:5], s7
	s_cbranch_scc1 .LBB2105_1055
; %bb.1056:
	scratch_load_dwordx4 v[8:11], off, off offset:96
.LBB2105_1057:
	s_or_b64 exec, exec, s[0:1]
	scratch_load_ubyte v4, off, off offset:16
	s_waitcnt vmcnt(1) lgkmcnt(0)
	ds_write2_b32 v16, v10, v11 offset0:2 offset1:3
	s_waitcnt vmcnt(0)
	v_or_b32_e32 v4, v12, v4
	v_and_b32_e32 v4, 1, v4
	ds_write2_b32 v16, v8, v9 offset1:1
	ds_write_b8 v16, v4 offset:16
.LBB2105_1058:
	s_or_b64 exec, exec, s[4:5]
	s_waitcnt lgkmcnt(0)
	s_barrier
	scratch_load_dwordx4 v[8:11], off, off offset:20
	scratch_load_ubyte v12, off, off offset:36
	s_waitcnt vmcnt(1)
	scratch_store_dwordx4 off, v[8:11], off offset:40
	s_waitcnt vmcnt(1)
	scratch_store_byte off, v12, off offset:56
	s_and_saveexec_b64 s[0:1], s[2:3]
	s_cbranch_execz .LBB2105_1068
; %bb.1059:
	v_add_u32_e32 v4, -1, v7
	v_lshrrev_b32_e32 v5, 5, v4
	v_add_u32_e32 v4, v5, v4
	v_mul_lo_u32 v14, v4, 20
	ds_read_u8 v13, v14 offset:16
                                        ; implicit-def: $vgpr10_vgpr11
	s_waitcnt lgkmcnt(0)
	v_cmp_ne_u16_e32 vcc, 0, v13
	s_and_saveexec_b64 s[4:5], vcc
	s_xor_b64 s[4:5], exec, s[4:5]
	s_cbranch_execz .LBB2105_1061
; %bb.1060:
	ds_read2_b32 v[8:9], v14 offset1:1
	ds_read2_b32 v[10:11], v14 offset0:2 offset1:3
                                        ; implicit-def: $vgpr14
.LBB2105_1061:
	s_andn2_saveexec_b64 s[4:5], s[4:5]
	s_cbranch_execz .LBB2105_1067
; %bb.1062:
	v_mov_b32_e32 v4, 0
	s_mov_b32 s6, 0
	v_mov_b32_e32 v5, v4
.LBB2105_1063:                          ; =>This Inner Loop Header: Depth=1
	s_add_i32 s7, s6, 0x60
	s_add_i32 s6, s6, 8
	s_cmp_lg_u32 s6, 16
	scratch_store_dwordx2 off, v[4:5], s7
	s_cbranch_scc1 .LBB2105_1063
; %bb.1064:
	s_mov_b32 s6, 0
.LBB2105_1065:                          ; =>This Inner Loop Header: Depth=1
	s_add_i32 s7, s6, 20
	scratch_load_dwordx2 v[4:5], off, s7
	s_waitcnt lgkmcnt(1)
	v_add_u32_e32 v8, s6, v14
	ds_read2_b32 v[8:9], v8 offset1:1
	s_add_i32 s7, s6, 0x60
	s_add_i32 s6, s6, 8
	s_cmp_lg_u32 s6, 16
	s_waitcnt vmcnt(0) lgkmcnt(0)
	v_add_u32_e32 v5, v9, v5
	v_add_u32_e32 v4, v8, v4
	scratch_store_dwordx2 off, v[4:5], s7
	s_cbranch_scc1 .LBB2105_1065
; %bb.1066:
	scratch_load_dwordx4 v[8:11], off, off offset:96
.LBB2105_1067:
	s_or_b64 exec, exec, s[4:5]
	v_or_b32_e32 v4, v13, v12
	v_and_b32_e32 v12, 1, v4
	s_waitcnt vmcnt(0) lgkmcnt(0)
	scratch_store_dwordx4 off, v[8:11], off offset:40
	scratch_store_byte off, v12, off offset:56
.LBB2105_1068:
	s_or_b64 exec, exec, s[0:1]
	scratch_load_dwordx4 v[8:11], off, off offset:464
	scratch_load_dword v5, off, off offset:480
	v_mov_b32_e32 v4, 0
	scratch_store_dwordx4 off, v[0:3], off
	s_waitcnt vmcnt(2)
	scratch_store_dwordx4 off, v[8:11], off offset:96
	s_waitcnt vmcnt(2)
	scratch_store_dword off, v5, off offset:112
	scratch_store_byte off, v4, off offset:16
	s_and_saveexec_b64 s[0:1], s[2:3]
	s_cbranch_execz .LBB2105_1070
; %bb.1069:
	scratch_load_dwordx4 v[0:3], off, off offset:40
	v_mov_b32_e32 v4, v12
	scratch_store_byte off, v12, off offset:16
	s_waitcnt vmcnt(1)
	scratch_store_dwordx4 off, v[0:3], off
.LBB2105_1070:
	s_or_b64 exec, exec, s[0:1]
	scratch_load_dwordx4 v[0:3], off, off
	scratch_load_ubyte v8, off, off offset:112
	s_nop 0
	scratch_store_byte off, v4, off offset:480
	s_waitcnt vmcnt(2)
	scratch_store_dwordx4 off, v[0:3], off offset:464
	s_waitcnt vmcnt(2)
	v_cmp_ne_u16_e32 vcc, 0, v8
                                        ; implicit-def: $vgpr2_vgpr3
	s_and_saveexec_b64 s[0:1], vcc
	s_xor_b64 s[0:1], exec, s[0:1]
	s_cbranch_execz .LBB2105_1072
; %bb.1071:
	scratch_load_dwordx4 v[0:3], off, off offset:96
.LBB2105_1072:
	s_andn2_saveexec_b64 s[0:1], s[0:1]
	s_cbranch_execz .LBB2105_1078
; %bb.1073:
	s_waitcnt vmcnt(0)
	v_mov_b32_e32 v0, 0
	s_mov_b32 s2, 0
	v_mov_b32_e32 v1, v0
.LBB2105_1074:                          ; =>This Inner Loop Header: Depth=1
	s_add_i32 s3, s2, 20
	s_add_i32 s2, s2, 8
	s_cmp_lg_u32 s2, 16
	scratch_store_dwordx2 off, v[0:1], s3
	s_cbranch_scc1 .LBB2105_1074
; %bb.1075:
	s_mov_b32 s2, 0
.LBB2105_1076:                          ; =>This Inner Loop Header: Depth=1
	s_add_i32 s3, s2, 0
	s_add_i32 s4, s2, 0x60
	scratch_load_dwordx2 v[0:1], off, s3
	scratch_load_dwordx2 v[2:3], off, s4
	s_add_i32 s3, s2, 20
	s_add_i32 s2, s2, 8
	s_cmp_lg_u32 s2, 16
	s_waitcnt vmcnt(0)
	v_add_u32_e32 v1, v3, v1
	v_add_u32_e32 v0, v2, v0
	scratch_store_dwordx2 off, v[0:1], s3
	s_cbranch_scc1 .LBB2105_1076
; %bb.1077:
	scratch_load_dwordx4 v[0:3], off, off offset:20
.LBB2105_1078:
	s_or_b64 exec, exec, s[0:1]
	scratch_load_dwordx4 v[10:13], v46, off
	scratch_load_ubyte v5, off, off offset:500
	v_or_b32_e32 v4, v8, v4
	s_waitcnt vmcnt(2)
	scratch_store_dwordx4 off, v[0:3], off
	scratch_store_dwordx4 v46, v[0:3], off
                                        ; implicit-def: $vgpr2_vgpr3
	s_waitcnt vmcnt(2)
	v_cmp_ne_u16_e64 s[0:1], 0, v5
	v_and_b32_e32 v0, 1, v4
	v_cmp_eq_u32_e32 vcc, 1, v0
	scratch_store_byte off, v0, off offset:500
	scratch_store_dwordx4 off, v[10:13], off offset:96
	s_and_saveexec_b64 s[2:3], s[0:1]
	s_xor_b64 s[0:1], exec, s[2:3]
	s_cbranch_execz .LBB2105_1080
; %bb.1079:
	scratch_load_dwordx4 v[0:3], off, off offset:96
.LBB2105_1080:
	s_andn2_saveexec_b64 s[0:1], s[0:1]
	s_cbranch_execz .LBB2105_1086
; %bb.1081:
	s_waitcnt vmcnt(0)
	v_mov_b32_e32 v0, 0
	s_mov_b32 s2, 0
	v_mov_b32_e32 v1, v0
.LBB2105_1082:                          ; =>This Inner Loop Header: Depth=1
	s_add_i32 s3, s2, 20
	s_add_i32 s2, s2, 8
	s_cmp_lg_u32 s2, 16
	scratch_store_dwordx2 off, v[0:1], s3
	s_cbranch_scc1 .LBB2105_1082
; %bb.1083:
	s_mov_b32 s2, 0
.LBB2105_1084:                          ; =>This Inner Loop Header: Depth=1
	s_add_i32 s3, s2, 0
	s_add_i32 s4, s2, 0x60
	scratch_load_dwordx2 v[0:1], off, s3
	scratch_load_dwordx2 v[2:3], off, s4
	s_add_i32 s3, s2, 20
	s_add_i32 s2, s2, 8
	s_cmp_lg_u32 s2, 16
	s_waitcnt vmcnt(0)
	v_add_u32_e32 v1, v3, v1
	v_add_u32_e32 v0, v2, v0
	scratch_store_dwordx2 off, v[0:1], s3
	s_cbranch_scc1 .LBB2105_1084
; %bb.1085:
	scratch_load_dwordx4 v[0:3], off, off offset:20
.LBB2105_1086:
	s_or_b64 exec, exec, s[0:1]
	scratch_load_dwordx4 v[8:11], v45, off
	scratch_load_ubyte v4, off, off offset:520
	v_and_b32_e32 v5, 1, v5
	v_cmp_eq_u32_e64 s[0:1], 1, v5
	s_or_b64 s[0:1], s[0:1], vcc
	s_waitcnt vmcnt(2)
	scratch_store_dwordx4 off, v[0:3], off
	scratch_store_dwordx4 v45, v[0:3], off
                                        ; implicit-def: $vgpr2_vgpr3
	s_waitcnt vmcnt(2)
	v_cmp_ne_u16_e32 vcc, 0, v4
	v_cndmask_b32_e64 v0, 0, 1, s[0:1]
	scratch_store_byte off, v0, off offset:520
	scratch_store_dwordx4 off, v[8:11], off offset:96
	s_and_saveexec_b64 s[2:3], vcc
	s_xor_b64 s[2:3], exec, s[2:3]
	s_cbranch_execz .LBB2105_1088
; %bb.1087:
	scratch_load_dwordx4 v[0:3], off, off offset:96
.LBB2105_1088:
	s_andn2_saveexec_b64 s[2:3], s[2:3]
	s_cbranch_execz .LBB2105_1094
; %bb.1089:
	s_waitcnt vmcnt(0)
	v_mov_b32_e32 v0, 0
	s_mov_b32 s4, 0
	v_mov_b32_e32 v1, v0
.LBB2105_1090:                          ; =>This Inner Loop Header: Depth=1
	s_add_i32 s5, s4, 20
	s_add_i32 s4, s4, 8
	s_cmp_lg_u32 s4, 16
	scratch_store_dwordx2 off, v[0:1], s5
	s_cbranch_scc1 .LBB2105_1090
; %bb.1091:
	s_mov_b32 s4, 0
.LBB2105_1092:                          ; =>This Inner Loop Header: Depth=1
	s_add_i32 s5, s4, 0
	s_add_i32 s6, s4, 0x60
	scratch_load_dwordx2 v[0:1], off, s5
	scratch_load_dwordx2 v[2:3], off, s6
	s_add_i32 s5, s4, 20
	s_add_i32 s4, s4, 8
	s_cmp_lg_u32 s4, 16
	s_waitcnt vmcnt(0)
	v_add_u32_e32 v1, v3, v1
	v_add_u32_e32 v0, v2, v0
	scratch_store_dwordx2 off, v[0:1], s5
	s_cbranch_scc1 .LBB2105_1092
; %bb.1093:
	scratch_load_dwordx4 v[0:3], off, off offset:20
.LBB2105_1094:
	s_or_b64 exec, exec, s[2:3]
	scratch_load_dwordx4 v[8:11], v44, off
	scratch_load_ubyte v5, off, off offset:540
	v_and_b32_e32 v4, 1, v4
	v_cmp_eq_u32_e32 vcc, 1, v4
	s_or_b64 s[0:1], vcc, s[0:1]
	s_waitcnt vmcnt(2)
	scratch_store_dwordx4 off, v[0:3], off
	scratch_store_dwordx4 v44, v[0:3], off
                                        ; implicit-def: $vgpr2_vgpr3
	s_waitcnt vmcnt(2)
	v_cmp_ne_u16_e32 vcc, 0, v5
	v_cndmask_b32_e64 v0, 0, 1, s[0:1]
	scratch_store_byte off, v0, off offset:540
	scratch_store_dwordx4 off, v[8:11], off offset:96
	s_and_saveexec_b64 s[2:3], vcc
	s_xor_b64 s[2:3], exec, s[2:3]
	s_cbranch_execz .LBB2105_1096
; %bb.1095:
	scratch_load_dwordx4 v[0:3], off, off offset:96
.LBB2105_1096:
	s_andn2_saveexec_b64 s[2:3], s[2:3]
	s_cbranch_execz .LBB2105_1102
; %bb.1097:
	s_waitcnt vmcnt(0)
	v_mov_b32_e32 v0, 0
	s_mov_b32 s4, 0
	v_mov_b32_e32 v1, v0
.LBB2105_1098:                          ; =>This Inner Loop Header: Depth=1
	s_add_i32 s5, s4, 20
	s_add_i32 s4, s4, 8
	s_cmp_lg_u32 s4, 16
	scratch_store_dwordx2 off, v[0:1], s5
	s_cbranch_scc1 .LBB2105_1098
; %bb.1099:
	s_mov_b32 s4, 0
.LBB2105_1100:                          ; =>This Inner Loop Header: Depth=1
	s_add_i32 s5, s4, 0
	s_add_i32 s6, s4, 0x60
	scratch_load_dwordx2 v[0:1], off, s5
	scratch_load_dwordx2 v[2:3], off, s6
	s_add_i32 s5, s4, 20
	s_add_i32 s4, s4, 8
	s_cmp_lg_u32 s4, 16
	s_waitcnt vmcnt(0)
	v_add_u32_e32 v1, v3, v1
	v_add_u32_e32 v0, v2, v0
	scratch_store_dwordx2 off, v[0:1], s5
	s_cbranch_scc1 .LBB2105_1100
; %bb.1101:
	scratch_load_dwordx4 v[0:3], off, off offset:20
.LBB2105_1102:
	s_or_b64 exec, exec, s[2:3]
	scratch_load_dwordx4 v[8:11], v43, off
	scratch_load_ubyte v4, off, off offset:560
	v_and_b32_e32 v5, 1, v5
	v_cmp_eq_u32_e32 vcc, 1, v5
	s_or_b64 s[0:1], vcc, s[0:1]
	;; [unrolled: 52-line block ×19, first 2 shown]
	s_waitcnt vmcnt(2)
	scratch_store_dwordx4 off, v[0:3], off
	scratch_store_dwordx4 v26, v[0:3], off
                                        ; implicit-def: $vgpr2_vgpr3
	s_waitcnt vmcnt(2)
	v_cmp_ne_u16_e32 vcc, 0, v5
	v_cndmask_b32_e64 v0, 0, 1, s[0:1]
	scratch_store_byte off, v0, off offset:900
	scratch_store_dwordx4 off, v[8:11], off offset:96
	s_and_saveexec_b64 s[2:3], vcc
	s_xor_b64 s[2:3], exec, s[2:3]
	s_cbranch_execz .LBB2105_1240
; %bb.1239:
	scratch_load_dwordx4 v[0:3], off, off offset:96
.LBB2105_1240:
	s_andn2_saveexec_b64 s[2:3], s[2:3]
	s_cbranch_execz .LBB2105_1246
; %bb.1241:
	s_waitcnt vmcnt(0)
	v_mov_b32_e32 v0, 0
	s_mov_b32 s4, 0
	v_mov_b32_e32 v1, v0
.LBB2105_1242:                          ; =>This Inner Loop Header: Depth=1
	s_add_i32 s5, s4, 20
	s_add_i32 s4, s4, 8
	s_cmp_lg_u32 s4, 16
	scratch_store_dwordx2 off, v[0:1], s5
	s_cbranch_scc1 .LBB2105_1242
; %bb.1243:
	s_mov_b32 s4, 0
.LBB2105_1244:                          ; =>This Inner Loop Header: Depth=1
	s_add_i32 s5, s4, 0
	s_add_i32 s6, s4, 0x60
	scratch_load_dwordx2 v[0:1], off, s5
	scratch_load_dwordx2 v[2:3], off, s6
	s_add_i32 s5, s4, 20
	s_add_i32 s4, s4, 8
	s_cmp_lg_u32 s4, 16
	s_waitcnt vmcnt(0)
	v_add_u32_e32 v1, v3, v1
	v_add_u32_e32 v0, v2, v0
	scratch_store_dwordx2 off, v[0:1], s5
	s_cbranch_scc1 .LBB2105_1244
; %bb.1245:
	scratch_load_dwordx4 v[0:3], off, off offset:20
.LBB2105_1246:
	s_or_b64 exec, exec, s[2:3]
	v_and_b32_e32 v4, 1, v5
	v_cmp_eq_u32_e32 vcc, 1, v4
	v_mov_b32_e32 v4, 0xa28
	v_mov_b32_e32 v5, 0
	ds_read2_b64 v[8:11], v4 offset1:1
	ds_read_u8 v4, v5 offset:2616
	s_or_b64 s[0:1], vcc, s[0:1]
	v_cndmask_b32_e64 v5, 0, 1, s[0:1]
	s_waitcnt vmcnt(0)
	scratch_store_dwordx4 v6, v[0:3], off
	scratch_store_byte off, v5, off offset:920
	s_waitcnt lgkmcnt(1)
	scratch_store_dwordx4 off, v[8:11], off offset:924
	s_waitcnt lgkmcnt(0)
	v_cmp_ne_u16_e32 vcc, 0, v4
	s_cbranch_vccz .LBB2105_1270
; %bb.1247:
	scratch_load_dwordx4 v[0:3], off, off offset:924
	s_cbranch_execz .LBB2105_1271
	s_branch .LBB2105_1276
.LBB2105_1248:
	v_lshlrev_b32_e32 v24, 4, v7
	v_lshl_add_u64 v[24:25], s[62:63], 0, v[24:25]
	flat_load_dwordx4 v[92:95], v[24:25]
	s_waitcnt vmcnt(0) lgkmcnt(0)
	scratch_store_dwordx4 off, v[92:95], off offset:96
	s_or_b64 exec, exec, s[0:1]
	s_and_saveexec_b64 s[0:1], s[4:5]
	s_cbranch_execz .LBB2105_147
.LBB2105_1249:
	v_lshlrev_b32_e32 v24, 4, v7
	v_mov_b32_e32 v25, 0
	v_lshl_add_u64 v[24:25], s[62:63], 0, v[24:25]
	flat_load_dwordx4 v[92:95], v[24:25] offset:2048
	s_waitcnt vmcnt(0) lgkmcnt(0)
	scratch_store_dwordx4 off, v[92:95], off offset:112
	s_or_b64 exec, exec, s[0:1]
	s_and_saveexec_b64 s[0:1], s[6:7]
	s_cbranch_execz .LBB2105_148
.LBB2105_1250:
	v_lshlrev_b32_e32 v24, 4, v71
	v_mov_b32_e32 v25, 0
	v_lshl_add_u64 v[24:25], s[62:63], 0, v[24:25]
	flat_load_dwordx4 v[92:95], v[24:25]
	s_waitcnt vmcnt(0) lgkmcnt(0)
	scratch_store_dwordx4 off, v[92:95], off offset:128
	s_or_b64 exec, exec, s[0:1]
	s_and_saveexec_b64 s[0:1], s[8:9]
	s_cbranch_execz .LBB2105_149
.LBB2105_1251:
	v_lshlrev_b32_e32 v24, 4, v72
	v_mov_b32_e32 v25, 0
	v_lshl_add_u64 v[24:25], s[62:63], 0, v[24:25]
	flat_load_dwordx4 v[92:95], v[24:25]
	s_waitcnt vmcnt(0) lgkmcnt(0)
	scratch_store_dwordx4 off, v[92:95], off offset:144
	s_or_b64 exec, exec, s[0:1]
	s_and_saveexec_b64 s[0:1], s[10:11]
	s_cbranch_execz .LBB2105_150
.LBB2105_1252:
	v_lshlrev_b32_e32 v24, 4, v73
	v_mov_b32_e32 v25, 0
	v_lshl_add_u64 v[24:25], s[62:63], 0, v[24:25]
	flat_load_dwordx4 v[92:95], v[24:25]
	s_waitcnt vmcnt(0) lgkmcnt(0)
	scratch_store_dwordx4 off, v[92:95], off offset:160
	s_or_b64 exec, exec, s[0:1]
	s_and_saveexec_b64 s[0:1], s[12:13]
	s_cbranch_execz .LBB2105_151
.LBB2105_1253:
	v_lshlrev_b32_e32 v24, 4, v74
	v_mov_b32_e32 v25, 0
	v_lshl_add_u64 v[24:25], s[62:63], 0, v[24:25]
	flat_load_dwordx4 v[92:95], v[24:25]
	s_waitcnt vmcnt(0) lgkmcnt(0)
	scratch_store_dwordx4 off, v[92:95], off offset:176
	s_or_b64 exec, exec, s[0:1]
	s_and_saveexec_b64 s[0:1], s[14:15]
	s_cbranch_execz .LBB2105_152
.LBB2105_1254:
	v_lshlrev_b32_e32 v24, 4, v75
	v_mov_b32_e32 v25, 0
	v_lshl_add_u64 v[24:25], s[62:63], 0, v[24:25]
	flat_load_dwordx4 v[72:75], v[24:25]
	s_waitcnt vmcnt(0) lgkmcnt(0)
	scratch_store_dwordx4 off, v[72:75], off offset:192
	s_or_b64 exec, exec, s[0:1]
	s_and_saveexec_b64 s[0:1], s[16:17]
	s_cbranch_execz .LBB2105_153
.LBB2105_1255:
	v_lshlrev_b32_e32 v24, 4, v76
	v_mov_b32_e32 v25, 0
	v_lshl_add_u64 v[24:25], s[62:63], 0, v[24:25]
	flat_load_dwordx4 v[72:75], v[24:25]
	s_waitcnt vmcnt(0) lgkmcnt(0)
	scratch_store_dwordx4 off, v[72:75], off offset:208
	s_or_b64 exec, exec, s[0:1]
	s_and_saveexec_b64 s[0:1], s[18:19]
	s_cbranch_execz .LBB2105_154
.LBB2105_1256:
	v_lshlrev_b32_e32 v24, 4, v77
	v_mov_b32_e32 v25, 0
	v_lshl_add_u64 v[24:25], s[62:63], 0, v[24:25]
	flat_load_dwordx4 v[72:75], v[24:25]
	s_waitcnt vmcnt(0) lgkmcnt(0)
	scratch_store_dwordx4 off, v[72:75], off offset:224
	s_or_b64 exec, exec, s[0:1]
	s_and_saveexec_b64 s[0:1], s[20:21]
	s_cbranch_execz .LBB2105_155
.LBB2105_1257:
	v_lshlrev_b32_e32 v24, 4, v78
	v_mov_b32_e32 v25, 0
	v_lshl_add_u64 v[24:25], s[62:63], 0, v[24:25]
	flat_load_dwordx4 v[72:75], v[24:25]
	s_waitcnt vmcnt(0) lgkmcnt(0)
	scratch_store_dwordx4 off, v[72:75], off offset:240
	s_or_b64 exec, exec, s[0:1]
	s_and_saveexec_b64 s[0:1], s[22:23]
	s_cbranch_execz .LBB2105_156
.LBB2105_1258:
	v_lshlrev_b32_e32 v24, 4, v79
	v_mov_b32_e32 v25, 0
	v_lshl_add_u64 v[24:25], s[62:63], 0, v[24:25]
	flat_load_dwordx4 v[72:75], v[24:25]
	s_waitcnt vmcnt(0) lgkmcnt(0)
	scratch_store_dwordx4 off, v[72:75], off offset:256
	s_or_b64 exec, exec, s[0:1]
	s_and_saveexec_b64 s[0:1], s[24:25]
	s_cbranch_execz .LBB2105_157
.LBB2105_1259:
	v_lshlrev_b32_e32 v24, 4, v80
	v_mov_b32_e32 v25, 0
	v_lshl_add_u64 v[24:25], s[62:63], 0, v[24:25]
	flat_load_dwordx4 v[72:75], v[24:25]
	s_waitcnt vmcnt(0) lgkmcnt(0)
	scratch_store_dwordx4 off, v[72:75], off offset:272
	s_or_b64 exec, exec, s[0:1]
	s_and_saveexec_b64 s[0:1], s[26:27]
	s_cbranch_execz .LBB2105_158
.LBB2105_1260:
	v_lshlrev_b32_e32 v24, 4, v81
	v_mov_b32_e32 v25, 0
	v_lshl_add_u64 v[24:25], s[62:63], 0, v[24:25]
	flat_load_dwordx4 v[72:75], v[24:25]
	s_waitcnt vmcnt(0) lgkmcnt(0)
	scratch_store_dwordx4 off, v[72:75], off offset:288
	s_or_b64 exec, exec, s[0:1]
	s_and_saveexec_b64 s[0:1], s[28:29]
	s_cbranch_execz .LBB2105_159
.LBB2105_1261:
	v_lshlrev_b32_e32 v24, 4, v82
	v_mov_b32_e32 v25, 0
	v_lshl_add_u64 v[24:25], s[62:63], 0, v[24:25]
	flat_load_dwordx4 v[72:75], v[24:25]
	s_waitcnt vmcnt(0) lgkmcnt(0)
	scratch_store_dwordx4 off, v[72:75], off offset:304
	s_or_b64 exec, exec, s[0:1]
	s_and_saveexec_b64 s[0:1], s[30:31]
	s_cbranch_execz .LBB2105_160
.LBB2105_1262:
	v_lshlrev_b32_e32 v24, 4, v83
	v_mov_b32_e32 v25, 0
	v_lshl_add_u64 v[24:25], s[62:63], 0, v[24:25]
	flat_load_dwordx4 v[72:75], v[24:25]
	s_waitcnt vmcnt(0) lgkmcnt(0)
	scratch_store_dwordx4 off, v[72:75], off offset:320
	s_or_b64 exec, exec, s[0:1]
	s_and_saveexec_b64 s[0:1], s[34:35]
	s_cbranch_execz .LBB2105_161
.LBB2105_1263:
	v_lshlrev_b32_e32 v24, 4, v84
	v_mov_b32_e32 v25, 0
	v_lshl_add_u64 v[24:25], s[62:63], 0, v[24:25]
	flat_load_dwordx4 v[72:75], v[24:25]
	s_waitcnt vmcnt(0) lgkmcnt(0)
	scratch_store_dwordx4 off, v[72:75], off offset:336
	s_or_b64 exec, exec, s[0:1]
	s_and_saveexec_b64 s[0:1], s[36:37]
	s_cbranch_execz .LBB2105_162
.LBB2105_1264:
	v_lshlrev_b32_e32 v24, 4, v85
	v_mov_b32_e32 v25, 0
	v_lshl_add_u64 v[24:25], s[62:63], 0, v[24:25]
	flat_load_dwordx4 v[72:75], v[24:25]
	s_waitcnt vmcnt(0) lgkmcnt(0)
	scratch_store_dwordx4 off, v[72:75], off offset:352
	s_or_b64 exec, exec, s[0:1]
	s_and_saveexec_b64 s[0:1], s[38:39]
	s_cbranch_execz .LBB2105_163
.LBB2105_1265:
	v_lshlrev_b32_e32 v24, 4, v86
	v_mov_b32_e32 v25, 0
	v_lshl_add_u64 v[24:25], s[62:63], 0, v[24:25]
	flat_load_dwordx4 v[72:75], v[24:25]
	s_waitcnt vmcnt(0) lgkmcnt(0)
	scratch_store_dwordx4 off, v[72:75], off offset:368
	s_or_b64 exec, exec, s[0:1]
	s_and_saveexec_b64 s[0:1], s[40:41]
	s_cbranch_execz .LBB2105_164
.LBB2105_1266:
	v_lshlrev_b32_e32 v24, 4, v87
	v_mov_b32_e32 v25, 0
	v_lshl_add_u64 v[24:25], s[62:63], 0, v[24:25]
	flat_load_dwordx4 v[72:75], v[24:25]
	s_waitcnt vmcnt(0) lgkmcnt(0)
	scratch_store_dwordx4 off, v[72:75], off offset:384
	s_or_b64 exec, exec, s[0:1]
	s_and_saveexec_b64 s[0:1], s[42:43]
	s_cbranch_execz .LBB2105_165
.LBB2105_1267:
	v_lshlrev_b32_e32 v24, 4, v88
	v_mov_b32_e32 v25, 0
	v_lshl_add_u64 v[24:25], s[62:63], 0, v[24:25]
	flat_load_dwordx4 v[72:75], v[24:25]
	s_waitcnt vmcnt(0) lgkmcnt(0)
	scratch_store_dwordx4 off, v[72:75], off offset:400
	s_or_b64 exec, exec, s[0:1]
	s_and_saveexec_b64 s[0:1], s[44:45]
	s_cbranch_execz .LBB2105_166
.LBB2105_1268:
	v_lshlrev_b32_e32 v24, 4, v89
	v_mov_b32_e32 v25, 0
	v_lshl_add_u64 v[24:25], s[62:63], 0, v[24:25]
	flat_load_dwordx4 v[72:75], v[24:25]
	s_waitcnt vmcnt(0) lgkmcnt(0)
	scratch_store_dwordx4 off, v[72:75], off offset:416
	s_or_b64 exec, exec, s[0:1]
	s_and_saveexec_b64 s[0:1], s[46:47]
	s_cbranch_execz .LBB2105_167
.LBB2105_1269:
	v_lshlrev_b32_e32 v24, 4, v90
	v_mov_b32_e32 v25, 0
	v_lshl_add_u64 v[24:25], s[62:63], 0, v[24:25]
	flat_load_dwordx4 v[72:75], v[24:25]
	s_waitcnt vmcnt(0) lgkmcnt(0)
	scratch_store_dwordx4 off, v[72:75], off offset:432
	s_or_b64 exec, exec, s[0:1]
	v_mul_u32_u24_e32 v24, 23, v7
	s_and_saveexec_b64 s[0:1], s[48:49]
	s_cbranch_execnz .LBB2105_168
	s_branch .LBB2105_169
.LBB2105_1270:
                                        ; implicit-def: $vgpr2_vgpr3
.LBB2105_1271:
	s_waitcnt vmcnt(0)
	v_mov_b32_e32 v0, 0
	s_mov_b32 s0, 0
	v_mov_b32_e32 v1, v0
.LBB2105_1272:                          ; =>This Inner Loop Header: Depth=1
	s_add_i32 s1, s0, 0x60
	s_add_i32 s0, s0, 8
	s_cmp_lg_u32 s0, 16
	scratch_store_dwordx2 off, v[0:1], s1
	s_cbranch_scc1 .LBB2105_1272
; %bb.1273:
	s_mov_b32 s0, 0
.LBB2105_1274:                          ; =>This Inner Loop Header: Depth=1
	s_add_i32 s1, s0, 60
	s_add_i32 s2, s0, 0x39c
	scratch_load_dwordx2 v[0:1], off, s1
	scratch_load_dwordx2 v[2:3], off, s2
	s_add_i32 s1, s0, 0x60
	s_add_i32 s0, s0, 8
	s_cmp_lg_u32 s0, 16
	s_waitcnt vmcnt(0)
	v_add_u32_e32 v1, v3, v1
	v_add_u32_e32 v0, v2, v0
	scratch_store_dwordx2 off, v[0:1], s1
	s_cbranch_scc1 .LBB2105_1274
; %bb.1275:
	scratch_load_dwordx4 v[0:3], off, off offset:96
.LBB2105_1276:
	scratch_load_ubyte v5, off, off offset:76
	s_waitcnt vmcnt(0)
	v_or_b32_e32 v4, v4, v5
	v_and_b32_e32 v4, 1, v4
	v_cmp_eq_u32_e32 vcc, 1, v4
	scratch_store_dwordx4 off, v[0:3], off offset:924
	scratch_store_byte off, v4, off offset:940
	s_and_saveexec_b64 s[0:1], s[50:51]
	s_cbranch_execz .LBB2105_1278
; %bb.1277:
	scratch_load_ushort v4, off, off offset:941
	scratch_load_sbyte v5, off, off offset:943
	v_mov_b32_e32 v6, 0
	v_cndmask_b32_e64 v8, 0, 1, vcc
	global_store_dword v6, v0, s[54:55] offset:1280 sc1
	global_store_dword v6, v1, s[54:55] offset:1284 sc1
	;; [unrolled: 1-line block ×4, first 2 shown]
	v_mov_b32_e32 v9, 2
	s_waitcnt vmcnt(5)
	v_and_b32_e32 v0, 0xff, v4
	v_lshlrev_b32_e32 v1, 8, v4
	s_waitcnt vmcnt(4)
	v_lshlrev_b32_e32 v2, 24, v5
	v_lshl_or_b32 v0, v0, 8, v8
	v_and_b32_e32 v1, 0xff0000, v1
	v_or3_b32 v0, v0, v1, v2
	global_store_dword v6, v0, s[54:55] offset:1296 sc1
	s_waitcnt vmcnt(0)
	global_store_byte v6, v9, s[56:57] offset:64 sc1
.LBB2105_1278:
	s_or_b64 exec, exec, s[0:1]
.LBB2105_1279:
	s_add_u32 s6, s66, s60
	s_addc_u32 s7, s67, s61
	s_mov_b64 s[0:1], src_private_base
	s_mov_b64 s[2:3], src_shared_base
	v_mov_b32_e32 v31, v7
	v_mov_b32_e32 v0, s6
	v_mov_b32_e32 v1, s7
	v_mov_b32_e32 v2, s33
	v_mov_b32_e32 v3, s83
	v_mov_b32_e32 v4, s82
	v_mov_b32_e32 v5, s68
	v_mov_b32_e32 v6, s69
	v_mov_b32_e32 v8, s58
	v_mov_b32_e32 v9, s59
	v_mov_b32_e32 v10, 0x1d0
	v_mov_b32_e32 v11, s1
	v_mov_b32_e32 v12, 0
	v_mov_b32_e32 v13, s3
	s_getpc_b64 s[4:5]
	s_add_u32 s4, s4, _ZN7rocprim17ROCPRIM_400000_NS6detail12unwrap_storeILj128ELj23E11FixedVectorIiLj4EELNS0_18block_store_methodE3ELNS0_4arch9wavefront6targetE1EE5storeIN6thrust23THRUST_200600_302600_NS6detail15normal_iteratorINSC_10device_ptrIS4_EEEEEEvT_jmmjmRA23_KNS0_5tupleIJS4_bEEERNS0_14block_exchangeIS4_Lj128ELj23ELj1ELj1ELNS0_18block_padding_hintE0ELS8_1EE13storage_type_E@rel32@lo+4
	s_addc_u32 s5, s5, _ZN7rocprim17ROCPRIM_400000_NS6detail12unwrap_storeILj128ELj23E11FixedVectorIiLj4EELNS0_18block_store_methodE3ELNS0_4arch9wavefront6targetE1EE5storeIN6thrust23THRUST_200600_302600_NS6detail15normal_iteratorINSC_10device_ptrIS4_EEEEEEvT_jmmjmRA23_KNS0_5tupleIJS4_bEEERNS0_14block_exchangeIS4_Lj128ELj23ELj1ELj1ELNS0_18block_padding_hintE0ELS8_1EE13storage_type_E@rel32@hi+12
	s_swappc_b64 s[30:31], s[4:5]
	s_endpgm
	.section	.rodata,"a",@progbits
	.p2align	6, 0x0
	.amdhsa_kernel _ZN7rocprim17ROCPRIM_400000_NS6detail17trampoline_kernelINS0_14default_configENS1_27scan_by_key_config_selectorIj11FixedVectorIiLj4EEEEZZNS1_16scan_by_key_implILNS1_25lookback_scan_determinismE0ELb1ES3_N6thrust23THRUST_200600_302600_NS6detail15normal_iteratorINSB_10device_ptrIjEEEENSD_INSE_IS6_EEEESI_S6_NSB_4plusIvEENSB_8equal_toIvEES6_EE10hipError_tPvRmT2_T3_T4_T5_mT6_T7_P12ihipStream_tbENKUlT_T0_E_clISt17integral_constantIbLb0EES12_IbLb1EEEEDaSY_SZ_EUlSY_E_NS1_11comp_targetILNS1_3genE5ELNS1_11target_archE942ELNS1_3gpuE9ELNS1_3repE0EEENS1_30default_config_static_selectorELNS0_4arch9wavefront6targetE1EEEvT1_
		.amdhsa_group_segment_fixed_size 47104
		.amdhsa_private_segment_fixed_size 1344
		.amdhsa_kernarg_size 144
		.amdhsa_user_sgpr_count 2
		.amdhsa_user_sgpr_dispatch_ptr 0
		.amdhsa_user_sgpr_queue_ptr 0
		.amdhsa_user_sgpr_kernarg_segment_ptr 1
		.amdhsa_user_sgpr_dispatch_id 0
		.amdhsa_user_sgpr_kernarg_preload_length 0
		.amdhsa_user_sgpr_kernarg_preload_offset 0
		.amdhsa_user_sgpr_private_segment_size 0
		.amdhsa_uses_dynamic_stack 0
		.amdhsa_enable_private_segment 1
		.amdhsa_system_sgpr_workgroup_id_x 1
		.amdhsa_system_sgpr_workgroup_id_y 0
		.amdhsa_system_sgpr_workgroup_id_z 0
		.amdhsa_system_sgpr_workgroup_info 0
		.amdhsa_system_vgpr_workitem_id 0
		.amdhsa_next_free_vgpr 201
		.amdhsa_next_free_sgpr 85
		.amdhsa_accum_offset 204
		.amdhsa_reserve_vcc 1
		.amdhsa_float_round_mode_32 0
		.amdhsa_float_round_mode_16_64 0
		.amdhsa_float_denorm_mode_32 3
		.amdhsa_float_denorm_mode_16_64 3
		.amdhsa_dx10_clamp 1
		.amdhsa_ieee_mode 1
		.amdhsa_fp16_overflow 0
		.amdhsa_tg_split 0
		.amdhsa_exception_fp_ieee_invalid_op 0
		.amdhsa_exception_fp_denorm_src 0
		.amdhsa_exception_fp_ieee_div_zero 0
		.amdhsa_exception_fp_ieee_overflow 0
		.amdhsa_exception_fp_ieee_underflow 0
		.amdhsa_exception_fp_ieee_inexact 0
		.amdhsa_exception_int_div_zero 0
	.end_amdhsa_kernel
	.section	.text._ZN7rocprim17ROCPRIM_400000_NS6detail17trampoline_kernelINS0_14default_configENS1_27scan_by_key_config_selectorIj11FixedVectorIiLj4EEEEZZNS1_16scan_by_key_implILNS1_25lookback_scan_determinismE0ELb1ES3_N6thrust23THRUST_200600_302600_NS6detail15normal_iteratorINSB_10device_ptrIjEEEENSD_INSE_IS6_EEEESI_S6_NSB_4plusIvEENSB_8equal_toIvEES6_EE10hipError_tPvRmT2_T3_T4_T5_mT6_T7_P12ihipStream_tbENKUlT_T0_E_clISt17integral_constantIbLb0EES12_IbLb1EEEEDaSY_SZ_EUlSY_E_NS1_11comp_targetILNS1_3genE5ELNS1_11target_archE942ELNS1_3gpuE9ELNS1_3repE0EEENS1_30default_config_static_selectorELNS0_4arch9wavefront6targetE1EEEvT1_,"axG",@progbits,_ZN7rocprim17ROCPRIM_400000_NS6detail17trampoline_kernelINS0_14default_configENS1_27scan_by_key_config_selectorIj11FixedVectorIiLj4EEEEZZNS1_16scan_by_key_implILNS1_25lookback_scan_determinismE0ELb1ES3_N6thrust23THRUST_200600_302600_NS6detail15normal_iteratorINSB_10device_ptrIjEEEENSD_INSE_IS6_EEEESI_S6_NSB_4plusIvEENSB_8equal_toIvEES6_EE10hipError_tPvRmT2_T3_T4_T5_mT6_T7_P12ihipStream_tbENKUlT_T0_E_clISt17integral_constantIbLb0EES12_IbLb1EEEEDaSY_SZ_EUlSY_E_NS1_11comp_targetILNS1_3genE5ELNS1_11target_archE942ELNS1_3gpuE9ELNS1_3repE0EEENS1_30default_config_static_selectorELNS0_4arch9wavefront6targetE1EEEvT1_,comdat
.Lfunc_end2105:
	.size	_ZN7rocprim17ROCPRIM_400000_NS6detail17trampoline_kernelINS0_14default_configENS1_27scan_by_key_config_selectorIj11FixedVectorIiLj4EEEEZZNS1_16scan_by_key_implILNS1_25lookback_scan_determinismE0ELb1ES3_N6thrust23THRUST_200600_302600_NS6detail15normal_iteratorINSB_10device_ptrIjEEEENSD_INSE_IS6_EEEESI_S6_NSB_4plusIvEENSB_8equal_toIvEES6_EE10hipError_tPvRmT2_T3_T4_T5_mT6_T7_P12ihipStream_tbENKUlT_T0_E_clISt17integral_constantIbLb0EES12_IbLb1EEEEDaSY_SZ_EUlSY_E_NS1_11comp_targetILNS1_3genE5ELNS1_11target_archE942ELNS1_3gpuE9ELNS1_3repE0EEENS1_30default_config_static_selectorELNS0_4arch9wavefront6targetE1EEEvT1_, .Lfunc_end2105-_ZN7rocprim17ROCPRIM_400000_NS6detail17trampoline_kernelINS0_14default_configENS1_27scan_by_key_config_selectorIj11FixedVectorIiLj4EEEEZZNS1_16scan_by_key_implILNS1_25lookback_scan_determinismE0ELb1ES3_N6thrust23THRUST_200600_302600_NS6detail15normal_iteratorINSB_10device_ptrIjEEEENSD_INSE_IS6_EEEESI_S6_NSB_4plusIvEENSB_8equal_toIvEES6_EE10hipError_tPvRmT2_T3_T4_T5_mT6_T7_P12ihipStream_tbENKUlT_T0_E_clISt17integral_constantIbLb0EES12_IbLb1EEEEDaSY_SZ_EUlSY_E_NS1_11comp_targetILNS1_3genE5ELNS1_11target_archE942ELNS1_3gpuE9ELNS1_3repE0EEENS1_30default_config_static_selectorELNS0_4arch9wavefront6targetE1EEEvT1_
                                        ; -- End function
	.section	.AMDGPU.csdata,"",@progbits
; Kernel info:
; codeLenInByte = 41932
; NumSgprs: 91
; NumVgprs: 201
; NumAgprs: 0
; TotalNumVgprs: 201
; ScratchSize: 1344
; MemoryBound: 1
; FloatMode: 240
; IeeeMode: 1
; LDSByteSize: 47104 bytes/workgroup (compile time only)
; SGPRBlocks: 11
; VGPRBlocks: 25
; NumSGPRsForWavesPerEU: 91
; NumVGPRsForWavesPerEU: 201
; AccumOffset: 204
; Occupancy: 1
; WaveLimiterHint : 1
; COMPUTE_PGM_RSRC2:SCRATCH_EN: 1
; COMPUTE_PGM_RSRC2:USER_SGPR: 2
; COMPUTE_PGM_RSRC2:TRAP_HANDLER: 0
; COMPUTE_PGM_RSRC2:TGID_X_EN: 1
; COMPUTE_PGM_RSRC2:TGID_Y_EN: 0
; COMPUTE_PGM_RSRC2:TGID_Z_EN: 0
; COMPUTE_PGM_RSRC2:TIDIG_COMP_CNT: 0
; COMPUTE_PGM_RSRC3_GFX90A:ACCUM_OFFSET: 50
; COMPUTE_PGM_RSRC3_GFX90A:TG_SPLIT: 0
	.section	.text._ZN7rocprim17ROCPRIM_400000_NS6detail17trampoline_kernelINS0_14default_configENS1_27scan_by_key_config_selectorIj11FixedVectorIiLj4EEEEZZNS1_16scan_by_key_implILNS1_25lookback_scan_determinismE0ELb1ES3_N6thrust23THRUST_200600_302600_NS6detail15normal_iteratorINSB_10device_ptrIjEEEENSD_INSE_IS6_EEEESI_S6_NSB_4plusIvEENSB_8equal_toIvEES6_EE10hipError_tPvRmT2_T3_T4_T5_mT6_T7_P12ihipStream_tbENKUlT_T0_E_clISt17integral_constantIbLb0EES12_IbLb1EEEEDaSY_SZ_EUlSY_E_NS1_11comp_targetILNS1_3genE4ELNS1_11target_archE910ELNS1_3gpuE8ELNS1_3repE0EEENS1_30default_config_static_selectorELNS0_4arch9wavefront6targetE1EEEvT1_,"axG",@progbits,_ZN7rocprim17ROCPRIM_400000_NS6detail17trampoline_kernelINS0_14default_configENS1_27scan_by_key_config_selectorIj11FixedVectorIiLj4EEEEZZNS1_16scan_by_key_implILNS1_25lookback_scan_determinismE0ELb1ES3_N6thrust23THRUST_200600_302600_NS6detail15normal_iteratorINSB_10device_ptrIjEEEENSD_INSE_IS6_EEEESI_S6_NSB_4plusIvEENSB_8equal_toIvEES6_EE10hipError_tPvRmT2_T3_T4_T5_mT6_T7_P12ihipStream_tbENKUlT_T0_E_clISt17integral_constantIbLb0EES12_IbLb1EEEEDaSY_SZ_EUlSY_E_NS1_11comp_targetILNS1_3genE4ELNS1_11target_archE910ELNS1_3gpuE8ELNS1_3repE0EEENS1_30default_config_static_selectorELNS0_4arch9wavefront6targetE1EEEvT1_,comdat
	.protected	_ZN7rocprim17ROCPRIM_400000_NS6detail17trampoline_kernelINS0_14default_configENS1_27scan_by_key_config_selectorIj11FixedVectorIiLj4EEEEZZNS1_16scan_by_key_implILNS1_25lookback_scan_determinismE0ELb1ES3_N6thrust23THRUST_200600_302600_NS6detail15normal_iteratorINSB_10device_ptrIjEEEENSD_INSE_IS6_EEEESI_S6_NSB_4plusIvEENSB_8equal_toIvEES6_EE10hipError_tPvRmT2_T3_T4_T5_mT6_T7_P12ihipStream_tbENKUlT_T0_E_clISt17integral_constantIbLb0EES12_IbLb1EEEEDaSY_SZ_EUlSY_E_NS1_11comp_targetILNS1_3genE4ELNS1_11target_archE910ELNS1_3gpuE8ELNS1_3repE0EEENS1_30default_config_static_selectorELNS0_4arch9wavefront6targetE1EEEvT1_ ; -- Begin function _ZN7rocprim17ROCPRIM_400000_NS6detail17trampoline_kernelINS0_14default_configENS1_27scan_by_key_config_selectorIj11FixedVectorIiLj4EEEEZZNS1_16scan_by_key_implILNS1_25lookback_scan_determinismE0ELb1ES3_N6thrust23THRUST_200600_302600_NS6detail15normal_iteratorINSB_10device_ptrIjEEEENSD_INSE_IS6_EEEESI_S6_NSB_4plusIvEENSB_8equal_toIvEES6_EE10hipError_tPvRmT2_T3_T4_T5_mT6_T7_P12ihipStream_tbENKUlT_T0_E_clISt17integral_constantIbLb0EES12_IbLb1EEEEDaSY_SZ_EUlSY_E_NS1_11comp_targetILNS1_3genE4ELNS1_11target_archE910ELNS1_3gpuE8ELNS1_3repE0EEENS1_30default_config_static_selectorELNS0_4arch9wavefront6targetE1EEEvT1_
	.globl	_ZN7rocprim17ROCPRIM_400000_NS6detail17trampoline_kernelINS0_14default_configENS1_27scan_by_key_config_selectorIj11FixedVectorIiLj4EEEEZZNS1_16scan_by_key_implILNS1_25lookback_scan_determinismE0ELb1ES3_N6thrust23THRUST_200600_302600_NS6detail15normal_iteratorINSB_10device_ptrIjEEEENSD_INSE_IS6_EEEESI_S6_NSB_4plusIvEENSB_8equal_toIvEES6_EE10hipError_tPvRmT2_T3_T4_T5_mT6_T7_P12ihipStream_tbENKUlT_T0_E_clISt17integral_constantIbLb0EES12_IbLb1EEEEDaSY_SZ_EUlSY_E_NS1_11comp_targetILNS1_3genE4ELNS1_11target_archE910ELNS1_3gpuE8ELNS1_3repE0EEENS1_30default_config_static_selectorELNS0_4arch9wavefront6targetE1EEEvT1_
	.p2align	8
	.type	_ZN7rocprim17ROCPRIM_400000_NS6detail17trampoline_kernelINS0_14default_configENS1_27scan_by_key_config_selectorIj11FixedVectorIiLj4EEEEZZNS1_16scan_by_key_implILNS1_25lookback_scan_determinismE0ELb1ES3_N6thrust23THRUST_200600_302600_NS6detail15normal_iteratorINSB_10device_ptrIjEEEENSD_INSE_IS6_EEEESI_S6_NSB_4plusIvEENSB_8equal_toIvEES6_EE10hipError_tPvRmT2_T3_T4_T5_mT6_T7_P12ihipStream_tbENKUlT_T0_E_clISt17integral_constantIbLb0EES12_IbLb1EEEEDaSY_SZ_EUlSY_E_NS1_11comp_targetILNS1_3genE4ELNS1_11target_archE910ELNS1_3gpuE8ELNS1_3repE0EEENS1_30default_config_static_selectorELNS0_4arch9wavefront6targetE1EEEvT1_,@function
_ZN7rocprim17ROCPRIM_400000_NS6detail17trampoline_kernelINS0_14default_configENS1_27scan_by_key_config_selectorIj11FixedVectorIiLj4EEEEZZNS1_16scan_by_key_implILNS1_25lookback_scan_determinismE0ELb1ES3_N6thrust23THRUST_200600_302600_NS6detail15normal_iteratorINSB_10device_ptrIjEEEENSD_INSE_IS6_EEEESI_S6_NSB_4plusIvEENSB_8equal_toIvEES6_EE10hipError_tPvRmT2_T3_T4_T5_mT6_T7_P12ihipStream_tbENKUlT_T0_E_clISt17integral_constantIbLb0EES12_IbLb1EEEEDaSY_SZ_EUlSY_E_NS1_11comp_targetILNS1_3genE4ELNS1_11target_archE910ELNS1_3gpuE8ELNS1_3repE0EEENS1_30default_config_static_selectorELNS0_4arch9wavefront6targetE1EEEvT1_: ; @_ZN7rocprim17ROCPRIM_400000_NS6detail17trampoline_kernelINS0_14default_configENS1_27scan_by_key_config_selectorIj11FixedVectorIiLj4EEEEZZNS1_16scan_by_key_implILNS1_25lookback_scan_determinismE0ELb1ES3_N6thrust23THRUST_200600_302600_NS6detail15normal_iteratorINSB_10device_ptrIjEEEENSD_INSE_IS6_EEEESI_S6_NSB_4plusIvEENSB_8equal_toIvEES6_EE10hipError_tPvRmT2_T3_T4_T5_mT6_T7_P12ihipStream_tbENKUlT_T0_E_clISt17integral_constantIbLb0EES12_IbLb1EEEEDaSY_SZ_EUlSY_E_NS1_11comp_targetILNS1_3genE4ELNS1_11target_archE910ELNS1_3gpuE8ELNS1_3repE0EEENS1_30default_config_static_selectorELNS0_4arch9wavefront6targetE1EEEvT1_
; %bb.0:
	.section	.rodata,"a",@progbits
	.p2align	6, 0x0
	.amdhsa_kernel _ZN7rocprim17ROCPRIM_400000_NS6detail17trampoline_kernelINS0_14default_configENS1_27scan_by_key_config_selectorIj11FixedVectorIiLj4EEEEZZNS1_16scan_by_key_implILNS1_25lookback_scan_determinismE0ELb1ES3_N6thrust23THRUST_200600_302600_NS6detail15normal_iteratorINSB_10device_ptrIjEEEENSD_INSE_IS6_EEEESI_S6_NSB_4plusIvEENSB_8equal_toIvEES6_EE10hipError_tPvRmT2_T3_T4_T5_mT6_T7_P12ihipStream_tbENKUlT_T0_E_clISt17integral_constantIbLb0EES12_IbLb1EEEEDaSY_SZ_EUlSY_E_NS1_11comp_targetILNS1_3genE4ELNS1_11target_archE910ELNS1_3gpuE8ELNS1_3repE0EEENS1_30default_config_static_selectorELNS0_4arch9wavefront6targetE1EEEvT1_
		.amdhsa_group_segment_fixed_size 0
		.amdhsa_private_segment_fixed_size 0
		.amdhsa_kernarg_size 144
		.amdhsa_user_sgpr_count 2
		.amdhsa_user_sgpr_dispatch_ptr 0
		.amdhsa_user_sgpr_queue_ptr 0
		.amdhsa_user_sgpr_kernarg_segment_ptr 1
		.amdhsa_user_sgpr_dispatch_id 0
		.amdhsa_user_sgpr_kernarg_preload_length 0
		.amdhsa_user_sgpr_kernarg_preload_offset 0
		.amdhsa_user_sgpr_private_segment_size 0
		.amdhsa_uses_dynamic_stack 0
		.amdhsa_enable_private_segment 0
		.amdhsa_system_sgpr_workgroup_id_x 1
		.amdhsa_system_sgpr_workgroup_id_y 0
		.amdhsa_system_sgpr_workgroup_id_z 0
		.amdhsa_system_sgpr_workgroup_info 0
		.amdhsa_system_vgpr_workitem_id 0
		.amdhsa_next_free_vgpr 1
		.amdhsa_next_free_sgpr 0
		.amdhsa_accum_offset 4
		.amdhsa_reserve_vcc 0
		.amdhsa_float_round_mode_32 0
		.amdhsa_float_round_mode_16_64 0
		.amdhsa_float_denorm_mode_32 3
		.amdhsa_float_denorm_mode_16_64 3
		.amdhsa_dx10_clamp 1
		.amdhsa_ieee_mode 1
		.amdhsa_fp16_overflow 0
		.amdhsa_tg_split 0
		.amdhsa_exception_fp_ieee_invalid_op 0
		.amdhsa_exception_fp_denorm_src 0
		.amdhsa_exception_fp_ieee_div_zero 0
		.amdhsa_exception_fp_ieee_overflow 0
		.amdhsa_exception_fp_ieee_underflow 0
		.amdhsa_exception_fp_ieee_inexact 0
		.amdhsa_exception_int_div_zero 0
	.end_amdhsa_kernel
	.section	.text._ZN7rocprim17ROCPRIM_400000_NS6detail17trampoline_kernelINS0_14default_configENS1_27scan_by_key_config_selectorIj11FixedVectorIiLj4EEEEZZNS1_16scan_by_key_implILNS1_25lookback_scan_determinismE0ELb1ES3_N6thrust23THRUST_200600_302600_NS6detail15normal_iteratorINSB_10device_ptrIjEEEENSD_INSE_IS6_EEEESI_S6_NSB_4plusIvEENSB_8equal_toIvEES6_EE10hipError_tPvRmT2_T3_T4_T5_mT6_T7_P12ihipStream_tbENKUlT_T0_E_clISt17integral_constantIbLb0EES12_IbLb1EEEEDaSY_SZ_EUlSY_E_NS1_11comp_targetILNS1_3genE4ELNS1_11target_archE910ELNS1_3gpuE8ELNS1_3repE0EEENS1_30default_config_static_selectorELNS0_4arch9wavefront6targetE1EEEvT1_,"axG",@progbits,_ZN7rocprim17ROCPRIM_400000_NS6detail17trampoline_kernelINS0_14default_configENS1_27scan_by_key_config_selectorIj11FixedVectorIiLj4EEEEZZNS1_16scan_by_key_implILNS1_25lookback_scan_determinismE0ELb1ES3_N6thrust23THRUST_200600_302600_NS6detail15normal_iteratorINSB_10device_ptrIjEEEENSD_INSE_IS6_EEEESI_S6_NSB_4plusIvEENSB_8equal_toIvEES6_EE10hipError_tPvRmT2_T3_T4_T5_mT6_T7_P12ihipStream_tbENKUlT_T0_E_clISt17integral_constantIbLb0EES12_IbLb1EEEEDaSY_SZ_EUlSY_E_NS1_11comp_targetILNS1_3genE4ELNS1_11target_archE910ELNS1_3gpuE8ELNS1_3repE0EEENS1_30default_config_static_selectorELNS0_4arch9wavefront6targetE1EEEvT1_,comdat
.Lfunc_end2106:
	.size	_ZN7rocprim17ROCPRIM_400000_NS6detail17trampoline_kernelINS0_14default_configENS1_27scan_by_key_config_selectorIj11FixedVectorIiLj4EEEEZZNS1_16scan_by_key_implILNS1_25lookback_scan_determinismE0ELb1ES3_N6thrust23THRUST_200600_302600_NS6detail15normal_iteratorINSB_10device_ptrIjEEEENSD_INSE_IS6_EEEESI_S6_NSB_4plusIvEENSB_8equal_toIvEES6_EE10hipError_tPvRmT2_T3_T4_T5_mT6_T7_P12ihipStream_tbENKUlT_T0_E_clISt17integral_constantIbLb0EES12_IbLb1EEEEDaSY_SZ_EUlSY_E_NS1_11comp_targetILNS1_3genE4ELNS1_11target_archE910ELNS1_3gpuE8ELNS1_3repE0EEENS1_30default_config_static_selectorELNS0_4arch9wavefront6targetE1EEEvT1_, .Lfunc_end2106-_ZN7rocprim17ROCPRIM_400000_NS6detail17trampoline_kernelINS0_14default_configENS1_27scan_by_key_config_selectorIj11FixedVectorIiLj4EEEEZZNS1_16scan_by_key_implILNS1_25lookback_scan_determinismE0ELb1ES3_N6thrust23THRUST_200600_302600_NS6detail15normal_iteratorINSB_10device_ptrIjEEEENSD_INSE_IS6_EEEESI_S6_NSB_4plusIvEENSB_8equal_toIvEES6_EE10hipError_tPvRmT2_T3_T4_T5_mT6_T7_P12ihipStream_tbENKUlT_T0_E_clISt17integral_constantIbLb0EES12_IbLb1EEEEDaSY_SZ_EUlSY_E_NS1_11comp_targetILNS1_3genE4ELNS1_11target_archE910ELNS1_3gpuE8ELNS1_3repE0EEENS1_30default_config_static_selectorELNS0_4arch9wavefront6targetE1EEEvT1_
                                        ; -- End function
	.section	.AMDGPU.csdata,"",@progbits
; Kernel info:
; codeLenInByte = 0
; NumSgprs: 6
; NumVgprs: 0
; NumAgprs: 0
; TotalNumVgprs: 0
; ScratchSize: 0
; MemoryBound: 0
; FloatMode: 240
; IeeeMode: 1
; LDSByteSize: 0 bytes/workgroup (compile time only)
; SGPRBlocks: 0
; VGPRBlocks: 0
; NumSGPRsForWavesPerEU: 6
; NumVGPRsForWavesPerEU: 1
; AccumOffset: 4
; Occupancy: 8
; WaveLimiterHint : 0
; COMPUTE_PGM_RSRC2:SCRATCH_EN: 0
; COMPUTE_PGM_RSRC2:USER_SGPR: 2
; COMPUTE_PGM_RSRC2:TRAP_HANDLER: 0
; COMPUTE_PGM_RSRC2:TGID_X_EN: 1
; COMPUTE_PGM_RSRC2:TGID_Y_EN: 0
; COMPUTE_PGM_RSRC2:TGID_Z_EN: 0
; COMPUTE_PGM_RSRC2:TIDIG_COMP_CNT: 0
; COMPUTE_PGM_RSRC3_GFX90A:ACCUM_OFFSET: 0
; COMPUTE_PGM_RSRC3_GFX90A:TG_SPLIT: 0
	.section	.text._ZN7rocprim17ROCPRIM_400000_NS6detail17trampoline_kernelINS0_14default_configENS1_27scan_by_key_config_selectorIj11FixedVectorIiLj4EEEEZZNS1_16scan_by_key_implILNS1_25lookback_scan_determinismE0ELb1ES3_N6thrust23THRUST_200600_302600_NS6detail15normal_iteratorINSB_10device_ptrIjEEEENSD_INSE_IS6_EEEESI_S6_NSB_4plusIvEENSB_8equal_toIvEES6_EE10hipError_tPvRmT2_T3_T4_T5_mT6_T7_P12ihipStream_tbENKUlT_T0_E_clISt17integral_constantIbLb0EES12_IbLb1EEEEDaSY_SZ_EUlSY_E_NS1_11comp_targetILNS1_3genE3ELNS1_11target_archE908ELNS1_3gpuE7ELNS1_3repE0EEENS1_30default_config_static_selectorELNS0_4arch9wavefront6targetE1EEEvT1_,"axG",@progbits,_ZN7rocprim17ROCPRIM_400000_NS6detail17trampoline_kernelINS0_14default_configENS1_27scan_by_key_config_selectorIj11FixedVectorIiLj4EEEEZZNS1_16scan_by_key_implILNS1_25lookback_scan_determinismE0ELb1ES3_N6thrust23THRUST_200600_302600_NS6detail15normal_iteratorINSB_10device_ptrIjEEEENSD_INSE_IS6_EEEESI_S6_NSB_4plusIvEENSB_8equal_toIvEES6_EE10hipError_tPvRmT2_T3_T4_T5_mT6_T7_P12ihipStream_tbENKUlT_T0_E_clISt17integral_constantIbLb0EES12_IbLb1EEEEDaSY_SZ_EUlSY_E_NS1_11comp_targetILNS1_3genE3ELNS1_11target_archE908ELNS1_3gpuE7ELNS1_3repE0EEENS1_30default_config_static_selectorELNS0_4arch9wavefront6targetE1EEEvT1_,comdat
	.protected	_ZN7rocprim17ROCPRIM_400000_NS6detail17trampoline_kernelINS0_14default_configENS1_27scan_by_key_config_selectorIj11FixedVectorIiLj4EEEEZZNS1_16scan_by_key_implILNS1_25lookback_scan_determinismE0ELb1ES3_N6thrust23THRUST_200600_302600_NS6detail15normal_iteratorINSB_10device_ptrIjEEEENSD_INSE_IS6_EEEESI_S6_NSB_4plusIvEENSB_8equal_toIvEES6_EE10hipError_tPvRmT2_T3_T4_T5_mT6_T7_P12ihipStream_tbENKUlT_T0_E_clISt17integral_constantIbLb0EES12_IbLb1EEEEDaSY_SZ_EUlSY_E_NS1_11comp_targetILNS1_3genE3ELNS1_11target_archE908ELNS1_3gpuE7ELNS1_3repE0EEENS1_30default_config_static_selectorELNS0_4arch9wavefront6targetE1EEEvT1_ ; -- Begin function _ZN7rocprim17ROCPRIM_400000_NS6detail17trampoline_kernelINS0_14default_configENS1_27scan_by_key_config_selectorIj11FixedVectorIiLj4EEEEZZNS1_16scan_by_key_implILNS1_25lookback_scan_determinismE0ELb1ES3_N6thrust23THRUST_200600_302600_NS6detail15normal_iteratorINSB_10device_ptrIjEEEENSD_INSE_IS6_EEEESI_S6_NSB_4plusIvEENSB_8equal_toIvEES6_EE10hipError_tPvRmT2_T3_T4_T5_mT6_T7_P12ihipStream_tbENKUlT_T0_E_clISt17integral_constantIbLb0EES12_IbLb1EEEEDaSY_SZ_EUlSY_E_NS1_11comp_targetILNS1_3genE3ELNS1_11target_archE908ELNS1_3gpuE7ELNS1_3repE0EEENS1_30default_config_static_selectorELNS0_4arch9wavefront6targetE1EEEvT1_
	.globl	_ZN7rocprim17ROCPRIM_400000_NS6detail17trampoline_kernelINS0_14default_configENS1_27scan_by_key_config_selectorIj11FixedVectorIiLj4EEEEZZNS1_16scan_by_key_implILNS1_25lookback_scan_determinismE0ELb1ES3_N6thrust23THRUST_200600_302600_NS6detail15normal_iteratorINSB_10device_ptrIjEEEENSD_INSE_IS6_EEEESI_S6_NSB_4plusIvEENSB_8equal_toIvEES6_EE10hipError_tPvRmT2_T3_T4_T5_mT6_T7_P12ihipStream_tbENKUlT_T0_E_clISt17integral_constantIbLb0EES12_IbLb1EEEEDaSY_SZ_EUlSY_E_NS1_11comp_targetILNS1_3genE3ELNS1_11target_archE908ELNS1_3gpuE7ELNS1_3repE0EEENS1_30default_config_static_selectorELNS0_4arch9wavefront6targetE1EEEvT1_
	.p2align	8
	.type	_ZN7rocprim17ROCPRIM_400000_NS6detail17trampoline_kernelINS0_14default_configENS1_27scan_by_key_config_selectorIj11FixedVectorIiLj4EEEEZZNS1_16scan_by_key_implILNS1_25lookback_scan_determinismE0ELb1ES3_N6thrust23THRUST_200600_302600_NS6detail15normal_iteratorINSB_10device_ptrIjEEEENSD_INSE_IS6_EEEESI_S6_NSB_4plusIvEENSB_8equal_toIvEES6_EE10hipError_tPvRmT2_T3_T4_T5_mT6_T7_P12ihipStream_tbENKUlT_T0_E_clISt17integral_constantIbLb0EES12_IbLb1EEEEDaSY_SZ_EUlSY_E_NS1_11comp_targetILNS1_3genE3ELNS1_11target_archE908ELNS1_3gpuE7ELNS1_3repE0EEENS1_30default_config_static_selectorELNS0_4arch9wavefront6targetE1EEEvT1_,@function
_ZN7rocprim17ROCPRIM_400000_NS6detail17trampoline_kernelINS0_14default_configENS1_27scan_by_key_config_selectorIj11FixedVectorIiLj4EEEEZZNS1_16scan_by_key_implILNS1_25lookback_scan_determinismE0ELb1ES3_N6thrust23THRUST_200600_302600_NS6detail15normal_iteratorINSB_10device_ptrIjEEEENSD_INSE_IS6_EEEESI_S6_NSB_4plusIvEENSB_8equal_toIvEES6_EE10hipError_tPvRmT2_T3_T4_T5_mT6_T7_P12ihipStream_tbENKUlT_T0_E_clISt17integral_constantIbLb0EES12_IbLb1EEEEDaSY_SZ_EUlSY_E_NS1_11comp_targetILNS1_3genE3ELNS1_11target_archE908ELNS1_3gpuE7ELNS1_3repE0EEENS1_30default_config_static_selectorELNS0_4arch9wavefront6targetE1EEEvT1_: ; @_ZN7rocprim17ROCPRIM_400000_NS6detail17trampoline_kernelINS0_14default_configENS1_27scan_by_key_config_selectorIj11FixedVectorIiLj4EEEEZZNS1_16scan_by_key_implILNS1_25lookback_scan_determinismE0ELb1ES3_N6thrust23THRUST_200600_302600_NS6detail15normal_iteratorINSB_10device_ptrIjEEEENSD_INSE_IS6_EEEESI_S6_NSB_4plusIvEENSB_8equal_toIvEES6_EE10hipError_tPvRmT2_T3_T4_T5_mT6_T7_P12ihipStream_tbENKUlT_T0_E_clISt17integral_constantIbLb0EES12_IbLb1EEEEDaSY_SZ_EUlSY_E_NS1_11comp_targetILNS1_3genE3ELNS1_11target_archE908ELNS1_3gpuE7ELNS1_3repE0EEENS1_30default_config_static_selectorELNS0_4arch9wavefront6targetE1EEEvT1_
; %bb.0:
	.section	.rodata,"a",@progbits
	.p2align	6, 0x0
	.amdhsa_kernel _ZN7rocprim17ROCPRIM_400000_NS6detail17trampoline_kernelINS0_14default_configENS1_27scan_by_key_config_selectorIj11FixedVectorIiLj4EEEEZZNS1_16scan_by_key_implILNS1_25lookback_scan_determinismE0ELb1ES3_N6thrust23THRUST_200600_302600_NS6detail15normal_iteratorINSB_10device_ptrIjEEEENSD_INSE_IS6_EEEESI_S6_NSB_4plusIvEENSB_8equal_toIvEES6_EE10hipError_tPvRmT2_T3_T4_T5_mT6_T7_P12ihipStream_tbENKUlT_T0_E_clISt17integral_constantIbLb0EES12_IbLb1EEEEDaSY_SZ_EUlSY_E_NS1_11comp_targetILNS1_3genE3ELNS1_11target_archE908ELNS1_3gpuE7ELNS1_3repE0EEENS1_30default_config_static_selectorELNS0_4arch9wavefront6targetE1EEEvT1_
		.amdhsa_group_segment_fixed_size 0
		.amdhsa_private_segment_fixed_size 0
		.amdhsa_kernarg_size 144
		.amdhsa_user_sgpr_count 2
		.amdhsa_user_sgpr_dispatch_ptr 0
		.amdhsa_user_sgpr_queue_ptr 0
		.amdhsa_user_sgpr_kernarg_segment_ptr 1
		.amdhsa_user_sgpr_dispatch_id 0
		.amdhsa_user_sgpr_kernarg_preload_length 0
		.amdhsa_user_sgpr_kernarg_preload_offset 0
		.amdhsa_user_sgpr_private_segment_size 0
		.amdhsa_uses_dynamic_stack 0
		.amdhsa_enable_private_segment 0
		.amdhsa_system_sgpr_workgroup_id_x 1
		.amdhsa_system_sgpr_workgroup_id_y 0
		.amdhsa_system_sgpr_workgroup_id_z 0
		.amdhsa_system_sgpr_workgroup_info 0
		.amdhsa_system_vgpr_workitem_id 0
		.amdhsa_next_free_vgpr 1
		.amdhsa_next_free_sgpr 0
		.amdhsa_accum_offset 4
		.amdhsa_reserve_vcc 0
		.amdhsa_float_round_mode_32 0
		.amdhsa_float_round_mode_16_64 0
		.amdhsa_float_denorm_mode_32 3
		.amdhsa_float_denorm_mode_16_64 3
		.amdhsa_dx10_clamp 1
		.amdhsa_ieee_mode 1
		.amdhsa_fp16_overflow 0
		.amdhsa_tg_split 0
		.amdhsa_exception_fp_ieee_invalid_op 0
		.amdhsa_exception_fp_denorm_src 0
		.amdhsa_exception_fp_ieee_div_zero 0
		.amdhsa_exception_fp_ieee_overflow 0
		.amdhsa_exception_fp_ieee_underflow 0
		.amdhsa_exception_fp_ieee_inexact 0
		.amdhsa_exception_int_div_zero 0
	.end_amdhsa_kernel
	.section	.text._ZN7rocprim17ROCPRIM_400000_NS6detail17trampoline_kernelINS0_14default_configENS1_27scan_by_key_config_selectorIj11FixedVectorIiLj4EEEEZZNS1_16scan_by_key_implILNS1_25lookback_scan_determinismE0ELb1ES3_N6thrust23THRUST_200600_302600_NS6detail15normal_iteratorINSB_10device_ptrIjEEEENSD_INSE_IS6_EEEESI_S6_NSB_4plusIvEENSB_8equal_toIvEES6_EE10hipError_tPvRmT2_T3_T4_T5_mT6_T7_P12ihipStream_tbENKUlT_T0_E_clISt17integral_constantIbLb0EES12_IbLb1EEEEDaSY_SZ_EUlSY_E_NS1_11comp_targetILNS1_3genE3ELNS1_11target_archE908ELNS1_3gpuE7ELNS1_3repE0EEENS1_30default_config_static_selectorELNS0_4arch9wavefront6targetE1EEEvT1_,"axG",@progbits,_ZN7rocprim17ROCPRIM_400000_NS6detail17trampoline_kernelINS0_14default_configENS1_27scan_by_key_config_selectorIj11FixedVectorIiLj4EEEEZZNS1_16scan_by_key_implILNS1_25lookback_scan_determinismE0ELb1ES3_N6thrust23THRUST_200600_302600_NS6detail15normal_iteratorINSB_10device_ptrIjEEEENSD_INSE_IS6_EEEESI_S6_NSB_4plusIvEENSB_8equal_toIvEES6_EE10hipError_tPvRmT2_T3_T4_T5_mT6_T7_P12ihipStream_tbENKUlT_T0_E_clISt17integral_constantIbLb0EES12_IbLb1EEEEDaSY_SZ_EUlSY_E_NS1_11comp_targetILNS1_3genE3ELNS1_11target_archE908ELNS1_3gpuE7ELNS1_3repE0EEENS1_30default_config_static_selectorELNS0_4arch9wavefront6targetE1EEEvT1_,comdat
.Lfunc_end2107:
	.size	_ZN7rocprim17ROCPRIM_400000_NS6detail17trampoline_kernelINS0_14default_configENS1_27scan_by_key_config_selectorIj11FixedVectorIiLj4EEEEZZNS1_16scan_by_key_implILNS1_25lookback_scan_determinismE0ELb1ES3_N6thrust23THRUST_200600_302600_NS6detail15normal_iteratorINSB_10device_ptrIjEEEENSD_INSE_IS6_EEEESI_S6_NSB_4plusIvEENSB_8equal_toIvEES6_EE10hipError_tPvRmT2_T3_T4_T5_mT6_T7_P12ihipStream_tbENKUlT_T0_E_clISt17integral_constantIbLb0EES12_IbLb1EEEEDaSY_SZ_EUlSY_E_NS1_11comp_targetILNS1_3genE3ELNS1_11target_archE908ELNS1_3gpuE7ELNS1_3repE0EEENS1_30default_config_static_selectorELNS0_4arch9wavefront6targetE1EEEvT1_, .Lfunc_end2107-_ZN7rocprim17ROCPRIM_400000_NS6detail17trampoline_kernelINS0_14default_configENS1_27scan_by_key_config_selectorIj11FixedVectorIiLj4EEEEZZNS1_16scan_by_key_implILNS1_25lookback_scan_determinismE0ELb1ES3_N6thrust23THRUST_200600_302600_NS6detail15normal_iteratorINSB_10device_ptrIjEEEENSD_INSE_IS6_EEEESI_S6_NSB_4plusIvEENSB_8equal_toIvEES6_EE10hipError_tPvRmT2_T3_T4_T5_mT6_T7_P12ihipStream_tbENKUlT_T0_E_clISt17integral_constantIbLb0EES12_IbLb1EEEEDaSY_SZ_EUlSY_E_NS1_11comp_targetILNS1_3genE3ELNS1_11target_archE908ELNS1_3gpuE7ELNS1_3repE0EEENS1_30default_config_static_selectorELNS0_4arch9wavefront6targetE1EEEvT1_
                                        ; -- End function
	.section	.AMDGPU.csdata,"",@progbits
; Kernel info:
; codeLenInByte = 0
; NumSgprs: 6
; NumVgprs: 0
; NumAgprs: 0
; TotalNumVgprs: 0
; ScratchSize: 0
; MemoryBound: 0
; FloatMode: 240
; IeeeMode: 1
; LDSByteSize: 0 bytes/workgroup (compile time only)
; SGPRBlocks: 0
; VGPRBlocks: 0
; NumSGPRsForWavesPerEU: 6
; NumVGPRsForWavesPerEU: 1
; AccumOffset: 4
; Occupancy: 8
; WaveLimiterHint : 0
; COMPUTE_PGM_RSRC2:SCRATCH_EN: 0
; COMPUTE_PGM_RSRC2:USER_SGPR: 2
; COMPUTE_PGM_RSRC2:TRAP_HANDLER: 0
; COMPUTE_PGM_RSRC2:TGID_X_EN: 1
; COMPUTE_PGM_RSRC2:TGID_Y_EN: 0
; COMPUTE_PGM_RSRC2:TGID_Z_EN: 0
; COMPUTE_PGM_RSRC2:TIDIG_COMP_CNT: 0
; COMPUTE_PGM_RSRC3_GFX90A:ACCUM_OFFSET: 0
; COMPUTE_PGM_RSRC3_GFX90A:TG_SPLIT: 0
	.section	.text._ZN7rocprim17ROCPRIM_400000_NS6detail17trampoline_kernelINS0_14default_configENS1_27scan_by_key_config_selectorIj11FixedVectorIiLj4EEEEZZNS1_16scan_by_key_implILNS1_25lookback_scan_determinismE0ELb1ES3_N6thrust23THRUST_200600_302600_NS6detail15normal_iteratorINSB_10device_ptrIjEEEENSD_INSE_IS6_EEEESI_S6_NSB_4plusIvEENSB_8equal_toIvEES6_EE10hipError_tPvRmT2_T3_T4_T5_mT6_T7_P12ihipStream_tbENKUlT_T0_E_clISt17integral_constantIbLb0EES12_IbLb1EEEEDaSY_SZ_EUlSY_E_NS1_11comp_targetILNS1_3genE2ELNS1_11target_archE906ELNS1_3gpuE6ELNS1_3repE0EEENS1_30default_config_static_selectorELNS0_4arch9wavefront6targetE1EEEvT1_,"axG",@progbits,_ZN7rocprim17ROCPRIM_400000_NS6detail17trampoline_kernelINS0_14default_configENS1_27scan_by_key_config_selectorIj11FixedVectorIiLj4EEEEZZNS1_16scan_by_key_implILNS1_25lookback_scan_determinismE0ELb1ES3_N6thrust23THRUST_200600_302600_NS6detail15normal_iteratorINSB_10device_ptrIjEEEENSD_INSE_IS6_EEEESI_S6_NSB_4plusIvEENSB_8equal_toIvEES6_EE10hipError_tPvRmT2_T3_T4_T5_mT6_T7_P12ihipStream_tbENKUlT_T0_E_clISt17integral_constantIbLb0EES12_IbLb1EEEEDaSY_SZ_EUlSY_E_NS1_11comp_targetILNS1_3genE2ELNS1_11target_archE906ELNS1_3gpuE6ELNS1_3repE0EEENS1_30default_config_static_selectorELNS0_4arch9wavefront6targetE1EEEvT1_,comdat
	.protected	_ZN7rocprim17ROCPRIM_400000_NS6detail17trampoline_kernelINS0_14default_configENS1_27scan_by_key_config_selectorIj11FixedVectorIiLj4EEEEZZNS1_16scan_by_key_implILNS1_25lookback_scan_determinismE0ELb1ES3_N6thrust23THRUST_200600_302600_NS6detail15normal_iteratorINSB_10device_ptrIjEEEENSD_INSE_IS6_EEEESI_S6_NSB_4plusIvEENSB_8equal_toIvEES6_EE10hipError_tPvRmT2_T3_T4_T5_mT6_T7_P12ihipStream_tbENKUlT_T0_E_clISt17integral_constantIbLb0EES12_IbLb1EEEEDaSY_SZ_EUlSY_E_NS1_11comp_targetILNS1_3genE2ELNS1_11target_archE906ELNS1_3gpuE6ELNS1_3repE0EEENS1_30default_config_static_selectorELNS0_4arch9wavefront6targetE1EEEvT1_ ; -- Begin function _ZN7rocprim17ROCPRIM_400000_NS6detail17trampoline_kernelINS0_14default_configENS1_27scan_by_key_config_selectorIj11FixedVectorIiLj4EEEEZZNS1_16scan_by_key_implILNS1_25lookback_scan_determinismE0ELb1ES3_N6thrust23THRUST_200600_302600_NS6detail15normal_iteratorINSB_10device_ptrIjEEEENSD_INSE_IS6_EEEESI_S6_NSB_4plusIvEENSB_8equal_toIvEES6_EE10hipError_tPvRmT2_T3_T4_T5_mT6_T7_P12ihipStream_tbENKUlT_T0_E_clISt17integral_constantIbLb0EES12_IbLb1EEEEDaSY_SZ_EUlSY_E_NS1_11comp_targetILNS1_3genE2ELNS1_11target_archE906ELNS1_3gpuE6ELNS1_3repE0EEENS1_30default_config_static_selectorELNS0_4arch9wavefront6targetE1EEEvT1_
	.globl	_ZN7rocprim17ROCPRIM_400000_NS6detail17trampoline_kernelINS0_14default_configENS1_27scan_by_key_config_selectorIj11FixedVectorIiLj4EEEEZZNS1_16scan_by_key_implILNS1_25lookback_scan_determinismE0ELb1ES3_N6thrust23THRUST_200600_302600_NS6detail15normal_iteratorINSB_10device_ptrIjEEEENSD_INSE_IS6_EEEESI_S6_NSB_4plusIvEENSB_8equal_toIvEES6_EE10hipError_tPvRmT2_T3_T4_T5_mT6_T7_P12ihipStream_tbENKUlT_T0_E_clISt17integral_constantIbLb0EES12_IbLb1EEEEDaSY_SZ_EUlSY_E_NS1_11comp_targetILNS1_3genE2ELNS1_11target_archE906ELNS1_3gpuE6ELNS1_3repE0EEENS1_30default_config_static_selectorELNS0_4arch9wavefront6targetE1EEEvT1_
	.p2align	8
	.type	_ZN7rocprim17ROCPRIM_400000_NS6detail17trampoline_kernelINS0_14default_configENS1_27scan_by_key_config_selectorIj11FixedVectorIiLj4EEEEZZNS1_16scan_by_key_implILNS1_25lookback_scan_determinismE0ELb1ES3_N6thrust23THRUST_200600_302600_NS6detail15normal_iteratorINSB_10device_ptrIjEEEENSD_INSE_IS6_EEEESI_S6_NSB_4plusIvEENSB_8equal_toIvEES6_EE10hipError_tPvRmT2_T3_T4_T5_mT6_T7_P12ihipStream_tbENKUlT_T0_E_clISt17integral_constantIbLb0EES12_IbLb1EEEEDaSY_SZ_EUlSY_E_NS1_11comp_targetILNS1_3genE2ELNS1_11target_archE906ELNS1_3gpuE6ELNS1_3repE0EEENS1_30default_config_static_selectorELNS0_4arch9wavefront6targetE1EEEvT1_,@function
_ZN7rocprim17ROCPRIM_400000_NS6detail17trampoline_kernelINS0_14default_configENS1_27scan_by_key_config_selectorIj11FixedVectorIiLj4EEEEZZNS1_16scan_by_key_implILNS1_25lookback_scan_determinismE0ELb1ES3_N6thrust23THRUST_200600_302600_NS6detail15normal_iteratorINSB_10device_ptrIjEEEENSD_INSE_IS6_EEEESI_S6_NSB_4plusIvEENSB_8equal_toIvEES6_EE10hipError_tPvRmT2_T3_T4_T5_mT6_T7_P12ihipStream_tbENKUlT_T0_E_clISt17integral_constantIbLb0EES12_IbLb1EEEEDaSY_SZ_EUlSY_E_NS1_11comp_targetILNS1_3genE2ELNS1_11target_archE906ELNS1_3gpuE6ELNS1_3repE0EEENS1_30default_config_static_selectorELNS0_4arch9wavefront6targetE1EEEvT1_: ; @_ZN7rocprim17ROCPRIM_400000_NS6detail17trampoline_kernelINS0_14default_configENS1_27scan_by_key_config_selectorIj11FixedVectorIiLj4EEEEZZNS1_16scan_by_key_implILNS1_25lookback_scan_determinismE0ELb1ES3_N6thrust23THRUST_200600_302600_NS6detail15normal_iteratorINSB_10device_ptrIjEEEENSD_INSE_IS6_EEEESI_S6_NSB_4plusIvEENSB_8equal_toIvEES6_EE10hipError_tPvRmT2_T3_T4_T5_mT6_T7_P12ihipStream_tbENKUlT_T0_E_clISt17integral_constantIbLb0EES12_IbLb1EEEEDaSY_SZ_EUlSY_E_NS1_11comp_targetILNS1_3genE2ELNS1_11target_archE906ELNS1_3gpuE6ELNS1_3repE0EEENS1_30default_config_static_selectorELNS0_4arch9wavefront6targetE1EEEvT1_
; %bb.0:
	.section	.rodata,"a",@progbits
	.p2align	6, 0x0
	.amdhsa_kernel _ZN7rocprim17ROCPRIM_400000_NS6detail17trampoline_kernelINS0_14default_configENS1_27scan_by_key_config_selectorIj11FixedVectorIiLj4EEEEZZNS1_16scan_by_key_implILNS1_25lookback_scan_determinismE0ELb1ES3_N6thrust23THRUST_200600_302600_NS6detail15normal_iteratorINSB_10device_ptrIjEEEENSD_INSE_IS6_EEEESI_S6_NSB_4plusIvEENSB_8equal_toIvEES6_EE10hipError_tPvRmT2_T3_T4_T5_mT6_T7_P12ihipStream_tbENKUlT_T0_E_clISt17integral_constantIbLb0EES12_IbLb1EEEEDaSY_SZ_EUlSY_E_NS1_11comp_targetILNS1_3genE2ELNS1_11target_archE906ELNS1_3gpuE6ELNS1_3repE0EEENS1_30default_config_static_selectorELNS0_4arch9wavefront6targetE1EEEvT1_
		.amdhsa_group_segment_fixed_size 0
		.amdhsa_private_segment_fixed_size 0
		.amdhsa_kernarg_size 144
		.amdhsa_user_sgpr_count 2
		.amdhsa_user_sgpr_dispatch_ptr 0
		.amdhsa_user_sgpr_queue_ptr 0
		.amdhsa_user_sgpr_kernarg_segment_ptr 1
		.amdhsa_user_sgpr_dispatch_id 0
		.amdhsa_user_sgpr_kernarg_preload_length 0
		.amdhsa_user_sgpr_kernarg_preload_offset 0
		.amdhsa_user_sgpr_private_segment_size 0
		.amdhsa_uses_dynamic_stack 0
		.amdhsa_enable_private_segment 0
		.amdhsa_system_sgpr_workgroup_id_x 1
		.amdhsa_system_sgpr_workgroup_id_y 0
		.amdhsa_system_sgpr_workgroup_id_z 0
		.amdhsa_system_sgpr_workgroup_info 0
		.amdhsa_system_vgpr_workitem_id 0
		.amdhsa_next_free_vgpr 1
		.amdhsa_next_free_sgpr 0
		.amdhsa_accum_offset 4
		.amdhsa_reserve_vcc 0
		.amdhsa_float_round_mode_32 0
		.amdhsa_float_round_mode_16_64 0
		.amdhsa_float_denorm_mode_32 3
		.amdhsa_float_denorm_mode_16_64 3
		.amdhsa_dx10_clamp 1
		.amdhsa_ieee_mode 1
		.amdhsa_fp16_overflow 0
		.amdhsa_tg_split 0
		.amdhsa_exception_fp_ieee_invalid_op 0
		.amdhsa_exception_fp_denorm_src 0
		.amdhsa_exception_fp_ieee_div_zero 0
		.amdhsa_exception_fp_ieee_overflow 0
		.amdhsa_exception_fp_ieee_underflow 0
		.amdhsa_exception_fp_ieee_inexact 0
		.amdhsa_exception_int_div_zero 0
	.end_amdhsa_kernel
	.section	.text._ZN7rocprim17ROCPRIM_400000_NS6detail17trampoline_kernelINS0_14default_configENS1_27scan_by_key_config_selectorIj11FixedVectorIiLj4EEEEZZNS1_16scan_by_key_implILNS1_25lookback_scan_determinismE0ELb1ES3_N6thrust23THRUST_200600_302600_NS6detail15normal_iteratorINSB_10device_ptrIjEEEENSD_INSE_IS6_EEEESI_S6_NSB_4plusIvEENSB_8equal_toIvEES6_EE10hipError_tPvRmT2_T3_T4_T5_mT6_T7_P12ihipStream_tbENKUlT_T0_E_clISt17integral_constantIbLb0EES12_IbLb1EEEEDaSY_SZ_EUlSY_E_NS1_11comp_targetILNS1_3genE2ELNS1_11target_archE906ELNS1_3gpuE6ELNS1_3repE0EEENS1_30default_config_static_selectorELNS0_4arch9wavefront6targetE1EEEvT1_,"axG",@progbits,_ZN7rocprim17ROCPRIM_400000_NS6detail17trampoline_kernelINS0_14default_configENS1_27scan_by_key_config_selectorIj11FixedVectorIiLj4EEEEZZNS1_16scan_by_key_implILNS1_25lookback_scan_determinismE0ELb1ES3_N6thrust23THRUST_200600_302600_NS6detail15normal_iteratorINSB_10device_ptrIjEEEENSD_INSE_IS6_EEEESI_S6_NSB_4plusIvEENSB_8equal_toIvEES6_EE10hipError_tPvRmT2_T3_T4_T5_mT6_T7_P12ihipStream_tbENKUlT_T0_E_clISt17integral_constantIbLb0EES12_IbLb1EEEEDaSY_SZ_EUlSY_E_NS1_11comp_targetILNS1_3genE2ELNS1_11target_archE906ELNS1_3gpuE6ELNS1_3repE0EEENS1_30default_config_static_selectorELNS0_4arch9wavefront6targetE1EEEvT1_,comdat
.Lfunc_end2108:
	.size	_ZN7rocprim17ROCPRIM_400000_NS6detail17trampoline_kernelINS0_14default_configENS1_27scan_by_key_config_selectorIj11FixedVectorIiLj4EEEEZZNS1_16scan_by_key_implILNS1_25lookback_scan_determinismE0ELb1ES3_N6thrust23THRUST_200600_302600_NS6detail15normal_iteratorINSB_10device_ptrIjEEEENSD_INSE_IS6_EEEESI_S6_NSB_4plusIvEENSB_8equal_toIvEES6_EE10hipError_tPvRmT2_T3_T4_T5_mT6_T7_P12ihipStream_tbENKUlT_T0_E_clISt17integral_constantIbLb0EES12_IbLb1EEEEDaSY_SZ_EUlSY_E_NS1_11comp_targetILNS1_3genE2ELNS1_11target_archE906ELNS1_3gpuE6ELNS1_3repE0EEENS1_30default_config_static_selectorELNS0_4arch9wavefront6targetE1EEEvT1_, .Lfunc_end2108-_ZN7rocprim17ROCPRIM_400000_NS6detail17trampoline_kernelINS0_14default_configENS1_27scan_by_key_config_selectorIj11FixedVectorIiLj4EEEEZZNS1_16scan_by_key_implILNS1_25lookback_scan_determinismE0ELb1ES3_N6thrust23THRUST_200600_302600_NS6detail15normal_iteratorINSB_10device_ptrIjEEEENSD_INSE_IS6_EEEESI_S6_NSB_4plusIvEENSB_8equal_toIvEES6_EE10hipError_tPvRmT2_T3_T4_T5_mT6_T7_P12ihipStream_tbENKUlT_T0_E_clISt17integral_constantIbLb0EES12_IbLb1EEEEDaSY_SZ_EUlSY_E_NS1_11comp_targetILNS1_3genE2ELNS1_11target_archE906ELNS1_3gpuE6ELNS1_3repE0EEENS1_30default_config_static_selectorELNS0_4arch9wavefront6targetE1EEEvT1_
                                        ; -- End function
	.section	.AMDGPU.csdata,"",@progbits
; Kernel info:
; codeLenInByte = 0
; NumSgprs: 6
; NumVgprs: 0
; NumAgprs: 0
; TotalNumVgprs: 0
; ScratchSize: 0
; MemoryBound: 0
; FloatMode: 240
; IeeeMode: 1
; LDSByteSize: 0 bytes/workgroup (compile time only)
; SGPRBlocks: 0
; VGPRBlocks: 0
; NumSGPRsForWavesPerEU: 6
; NumVGPRsForWavesPerEU: 1
; AccumOffset: 4
; Occupancy: 8
; WaveLimiterHint : 0
; COMPUTE_PGM_RSRC2:SCRATCH_EN: 0
; COMPUTE_PGM_RSRC2:USER_SGPR: 2
; COMPUTE_PGM_RSRC2:TRAP_HANDLER: 0
; COMPUTE_PGM_RSRC2:TGID_X_EN: 1
; COMPUTE_PGM_RSRC2:TGID_Y_EN: 0
; COMPUTE_PGM_RSRC2:TGID_Z_EN: 0
; COMPUTE_PGM_RSRC2:TIDIG_COMP_CNT: 0
; COMPUTE_PGM_RSRC3_GFX90A:ACCUM_OFFSET: 0
; COMPUTE_PGM_RSRC3_GFX90A:TG_SPLIT: 0
	.section	.text._ZN7rocprim17ROCPRIM_400000_NS6detail17trampoline_kernelINS0_14default_configENS1_27scan_by_key_config_selectorIj11FixedVectorIiLj4EEEEZZNS1_16scan_by_key_implILNS1_25lookback_scan_determinismE0ELb1ES3_N6thrust23THRUST_200600_302600_NS6detail15normal_iteratorINSB_10device_ptrIjEEEENSD_INSE_IS6_EEEESI_S6_NSB_4plusIvEENSB_8equal_toIvEES6_EE10hipError_tPvRmT2_T3_T4_T5_mT6_T7_P12ihipStream_tbENKUlT_T0_E_clISt17integral_constantIbLb0EES12_IbLb1EEEEDaSY_SZ_EUlSY_E_NS1_11comp_targetILNS1_3genE10ELNS1_11target_archE1200ELNS1_3gpuE4ELNS1_3repE0EEENS1_30default_config_static_selectorELNS0_4arch9wavefront6targetE1EEEvT1_,"axG",@progbits,_ZN7rocprim17ROCPRIM_400000_NS6detail17trampoline_kernelINS0_14default_configENS1_27scan_by_key_config_selectorIj11FixedVectorIiLj4EEEEZZNS1_16scan_by_key_implILNS1_25lookback_scan_determinismE0ELb1ES3_N6thrust23THRUST_200600_302600_NS6detail15normal_iteratorINSB_10device_ptrIjEEEENSD_INSE_IS6_EEEESI_S6_NSB_4plusIvEENSB_8equal_toIvEES6_EE10hipError_tPvRmT2_T3_T4_T5_mT6_T7_P12ihipStream_tbENKUlT_T0_E_clISt17integral_constantIbLb0EES12_IbLb1EEEEDaSY_SZ_EUlSY_E_NS1_11comp_targetILNS1_3genE10ELNS1_11target_archE1200ELNS1_3gpuE4ELNS1_3repE0EEENS1_30default_config_static_selectorELNS0_4arch9wavefront6targetE1EEEvT1_,comdat
	.protected	_ZN7rocprim17ROCPRIM_400000_NS6detail17trampoline_kernelINS0_14default_configENS1_27scan_by_key_config_selectorIj11FixedVectorIiLj4EEEEZZNS1_16scan_by_key_implILNS1_25lookback_scan_determinismE0ELb1ES3_N6thrust23THRUST_200600_302600_NS6detail15normal_iteratorINSB_10device_ptrIjEEEENSD_INSE_IS6_EEEESI_S6_NSB_4plusIvEENSB_8equal_toIvEES6_EE10hipError_tPvRmT2_T3_T4_T5_mT6_T7_P12ihipStream_tbENKUlT_T0_E_clISt17integral_constantIbLb0EES12_IbLb1EEEEDaSY_SZ_EUlSY_E_NS1_11comp_targetILNS1_3genE10ELNS1_11target_archE1200ELNS1_3gpuE4ELNS1_3repE0EEENS1_30default_config_static_selectorELNS0_4arch9wavefront6targetE1EEEvT1_ ; -- Begin function _ZN7rocprim17ROCPRIM_400000_NS6detail17trampoline_kernelINS0_14default_configENS1_27scan_by_key_config_selectorIj11FixedVectorIiLj4EEEEZZNS1_16scan_by_key_implILNS1_25lookback_scan_determinismE0ELb1ES3_N6thrust23THRUST_200600_302600_NS6detail15normal_iteratorINSB_10device_ptrIjEEEENSD_INSE_IS6_EEEESI_S6_NSB_4plusIvEENSB_8equal_toIvEES6_EE10hipError_tPvRmT2_T3_T4_T5_mT6_T7_P12ihipStream_tbENKUlT_T0_E_clISt17integral_constantIbLb0EES12_IbLb1EEEEDaSY_SZ_EUlSY_E_NS1_11comp_targetILNS1_3genE10ELNS1_11target_archE1200ELNS1_3gpuE4ELNS1_3repE0EEENS1_30default_config_static_selectorELNS0_4arch9wavefront6targetE1EEEvT1_
	.globl	_ZN7rocprim17ROCPRIM_400000_NS6detail17trampoline_kernelINS0_14default_configENS1_27scan_by_key_config_selectorIj11FixedVectorIiLj4EEEEZZNS1_16scan_by_key_implILNS1_25lookback_scan_determinismE0ELb1ES3_N6thrust23THRUST_200600_302600_NS6detail15normal_iteratorINSB_10device_ptrIjEEEENSD_INSE_IS6_EEEESI_S6_NSB_4plusIvEENSB_8equal_toIvEES6_EE10hipError_tPvRmT2_T3_T4_T5_mT6_T7_P12ihipStream_tbENKUlT_T0_E_clISt17integral_constantIbLb0EES12_IbLb1EEEEDaSY_SZ_EUlSY_E_NS1_11comp_targetILNS1_3genE10ELNS1_11target_archE1200ELNS1_3gpuE4ELNS1_3repE0EEENS1_30default_config_static_selectorELNS0_4arch9wavefront6targetE1EEEvT1_
	.p2align	8
	.type	_ZN7rocprim17ROCPRIM_400000_NS6detail17trampoline_kernelINS0_14default_configENS1_27scan_by_key_config_selectorIj11FixedVectorIiLj4EEEEZZNS1_16scan_by_key_implILNS1_25lookback_scan_determinismE0ELb1ES3_N6thrust23THRUST_200600_302600_NS6detail15normal_iteratorINSB_10device_ptrIjEEEENSD_INSE_IS6_EEEESI_S6_NSB_4plusIvEENSB_8equal_toIvEES6_EE10hipError_tPvRmT2_T3_T4_T5_mT6_T7_P12ihipStream_tbENKUlT_T0_E_clISt17integral_constantIbLb0EES12_IbLb1EEEEDaSY_SZ_EUlSY_E_NS1_11comp_targetILNS1_3genE10ELNS1_11target_archE1200ELNS1_3gpuE4ELNS1_3repE0EEENS1_30default_config_static_selectorELNS0_4arch9wavefront6targetE1EEEvT1_,@function
_ZN7rocprim17ROCPRIM_400000_NS6detail17trampoline_kernelINS0_14default_configENS1_27scan_by_key_config_selectorIj11FixedVectorIiLj4EEEEZZNS1_16scan_by_key_implILNS1_25lookback_scan_determinismE0ELb1ES3_N6thrust23THRUST_200600_302600_NS6detail15normal_iteratorINSB_10device_ptrIjEEEENSD_INSE_IS6_EEEESI_S6_NSB_4plusIvEENSB_8equal_toIvEES6_EE10hipError_tPvRmT2_T3_T4_T5_mT6_T7_P12ihipStream_tbENKUlT_T0_E_clISt17integral_constantIbLb0EES12_IbLb1EEEEDaSY_SZ_EUlSY_E_NS1_11comp_targetILNS1_3genE10ELNS1_11target_archE1200ELNS1_3gpuE4ELNS1_3repE0EEENS1_30default_config_static_selectorELNS0_4arch9wavefront6targetE1EEEvT1_: ; @_ZN7rocprim17ROCPRIM_400000_NS6detail17trampoline_kernelINS0_14default_configENS1_27scan_by_key_config_selectorIj11FixedVectorIiLj4EEEEZZNS1_16scan_by_key_implILNS1_25lookback_scan_determinismE0ELb1ES3_N6thrust23THRUST_200600_302600_NS6detail15normal_iteratorINSB_10device_ptrIjEEEENSD_INSE_IS6_EEEESI_S6_NSB_4plusIvEENSB_8equal_toIvEES6_EE10hipError_tPvRmT2_T3_T4_T5_mT6_T7_P12ihipStream_tbENKUlT_T0_E_clISt17integral_constantIbLb0EES12_IbLb1EEEEDaSY_SZ_EUlSY_E_NS1_11comp_targetILNS1_3genE10ELNS1_11target_archE1200ELNS1_3gpuE4ELNS1_3repE0EEENS1_30default_config_static_selectorELNS0_4arch9wavefront6targetE1EEEvT1_
; %bb.0:
	.section	.rodata,"a",@progbits
	.p2align	6, 0x0
	.amdhsa_kernel _ZN7rocprim17ROCPRIM_400000_NS6detail17trampoline_kernelINS0_14default_configENS1_27scan_by_key_config_selectorIj11FixedVectorIiLj4EEEEZZNS1_16scan_by_key_implILNS1_25lookback_scan_determinismE0ELb1ES3_N6thrust23THRUST_200600_302600_NS6detail15normal_iteratorINSB_10device_ptrIjEEEENSD_INSE_IS6_EEEESI_S6_NSB_4plusIvEENSB_8equal_toIvEES6_EE10hipError_tPvRmT2_T3_T4_T5_mT6_T7_P12ihipStream_tbENKUlT_T0_E_clISt17integral_constantIbLb0EES12_IbLb1EEEEDaSY_SZ_EUlSY_E_NS1_11comp_targetILNS1_3genE10ELNS1_11target_archE1200ELNS1_3gpuE4ELNS1_3repE0EEENS1_30default_config_static_selectorELNS0_4arch9wavefront6targetE1EEEvT1_
		.amdhsa_group_segment_fixed_size 0
		.amdhsa_private_segment_fixed_size 0
		.amdhsa_kernarg_size 144
		.amdhsa_user_sgpr_count 2
		.amdhsa_user_sgpr_dispatch_ptr 0
		.amdhsa_user_sgpr_queue_ptr 0
		.amdhsa_user_sgpr_kernarg_segment_ptr 1
		.amdhsa_user_sgpr_dispatch_id 0
		.amdhsa_user_sgpr_kernarg_preload_length 0
		.amdhsa_user_sgpr_kernarg_preload_offset 0
		.amdhsa_user_sgpr_private_segment_size 0
		.amdhsa_uses_dynamic_stack 0
		.amdhsa_enable_private_segment 0
		.amdhsa_system_sgpr_workgroup_id_x 1
		.amdhsa_system_sgpr_workgroup_id_y 0
		.amdhsa_system_sgpr_workgroup_id_z 0
		.amdhsa_system_sgpr_workgroup_info 0
		.amdhsa_system_vgpr_workitem_id 0
		.amdhsa_next_free_vgpr 1
		.amdhsa_next_free_sgpr 0
		.amdhsa_accum_offset 4
		.amdhsa_reserve_vcc 0
		.amdhsa_float_round_mode_32 0
		.amdhsa_float_round_mode_16_64 0
		.amdhsa_float_denorm_mode_32 3
		.amdhsa_float_denorm_mode_16_64 3
		.amdhsa_dx10_clamp 1
		.amdhsa_ieee_mode 1
		.amdhsa_fp16_overflow 0
		.amdhsa_tg_split 0
		.amdhsa_exception_fp_ieee_invalid_op 0
		.amdhsa_exception_fp_denorm_src 0
		.amdhsa_exception_fp_ieee_div_zero 0
		.amdhsa_exception_fp_ieee_overflow 0
		.amdhsa_exception_fp_ieee_underflow 0
		.amdhsa_exception_fp_ieee_inexact 0
		.amdhsa_exception_int_div_zero 0
	.end_amdhsa_kernel
	.section	.text._ZN7rocprim17ROCPRIM_400000_NS6detail17trampoline_kernelINS0_14default_configENS1_27scan_by_key_config_selectorIj11FixedVectorIiLj4EEEEZZNS1_16scan_by_key_implILNS1_25lookback_scan_determinismE0ELb1ES3_N6thrust23THRUST_200600_302600_NS6detail15normal_iteratorINSB_10device_ptrIjEEEENSD_INSE_IS6_EEEESI_S6_NSB_4plusIvEENSB_8equal_toIvEES6_EE10hipError_tPvRmT2_T3_T4_T5_mT6_T7_P12ihipStream_tbENKUlT_T0_E_clISt17integral_constantIbLb0EES12_IbLb1EEEEDaSY_SZ_EUlSY_E_NS1_11comp_targetILNS1_3genE10ELNS1_11target_archE1200ELNS1_3gpuE4ELNS1_3repE0EEENS1_30default_config_static_selectorELNS0_4arch9wavefront6targetE1EEEvT1_,"axG",@progbits,_ZN7rocprim17ROCPRIM_400000_NS6detail17trampoline_kernelINS0_14default_configENS1_27scan_by_key_config_selectorIj11FixedVectorIiLj4EEEEZZNS1_16scan_by_key_implILNS1_25lookback_scan_determinismE0ELb1ES3_N6thrust23THRUST_200600_302600_NS6detail15normal_iteratorINSB_10device_ptrIjEEEENSD_INSE_IS6_EEEESI_S6_NSB_4plusIvEENSB_8equal_toIvEES6_EE10hipError_tPvRmT2_T3_T4_T5_mT6_T7_P12ihipStream_tbENKUlT_T0_E_clISt17integral_constantIbLb0EES12_IbLb1EEEEDaSY_SZ_EUlSY_E_NS1_11comp_targetILNS1_3genE10ELNS1_11target_archE1200ELNS1_3gpuE4ELNS1_3repE0EEENS1_30default_config_static_selectorELNS0_4arch9wavefront6targetE1EEEvT1_,comdat
.Lfunc_end2109:
	.size	_ZN7rocprim17ROCPRIM_400000_NS6detail17trampoline_kernelINS0_14default_configENS1_27scan_by_key_config_selectorIj11FixedVectorIiLj4EEEEZZNS1_16scan_by_key_implILNS1_25lookback_scan_determinismE0ELb1ES3_N6thrust23THRUST_200600_302600_NS6detail15normal_iteratorINSB_10device_ptrIjEEEENSD_INSE_IS6_EEEESI_S6_NSB_4plusIvEENSB_8equal_toIvEES6_EE10hipError_tPvRmT2_T3_T4_T5_mT6_T7_P12ihipStream_tbENKUlT_T0_E_clISt17integral_constantIbLb0EES12_IbLb1EEEEDaSY_SZ_EUlSY_E_NS1_11comp_targetILNS1_3genE10ELNS1_11target_archE1200ELNS1_3gpuE4ELNS1_3repE0EEENS1_30default_config_static_selectorELNS0_4arch9wavefront6targetE1EEEvT1_, .Lfunc_end2109-_ZN7rocprim17ROCPRIM_400000_NS6detail17trampoline_kernelINS0_14default_configENS1_27scan_by_key_config_selectorIj11FixedVectorIiLj4EEEEZZNS1_16scan_by_key_implILNS1_25lookback_scan_determinismE0ELb1ES3_N6thrust23THRUST_200600_302600_NS6detail15normal_iteratorINSB_10device_ptrIjEEEENSD_INSE_IS6_EEEESI_S6_NSB_4plusIvEENSB_8equal_toIvEES6_EE10hipError_tPvRmT2_T3_T4_T5_mT6_T7_P12ihipStream_tbENKUlT_T0_E_clISt17integral_constantIbLb0EES12_IbLb1EEEEDaSY_SZ_EUlSY_E_NS1_11comp_targetILNS1_3genE10ELNS1_11target_archE1200ELNS1_3gpuE4ELNS1_3repE0EEENS1_30default_config_static_selectorELNS0_4arch9wavefront6targetE1EEEvT1_
                                        ; -- End function
	.section	.AMDGPU.csdata,"",@progbits
; Kernel info:
; codeLenInByte = 0
; NumSgprs: 6
; NumVgprs: 0
; NumAgprs: 0
; TotalNumVgprs: 0
; ScratchSize: 0
; MemoryBound: 0
; FloatMode: 240
; IeeeMode: 1
; LDSByteSize: 0 bytes/workgroup (compile time only)
; SGPRBlocks: 0
; VGPRBlocks: 0
; NumSGPRsForWavesPerEU: 6
; NumVGPRsForWavesPerEU: 1
; AccumOffset: 4
; Occupancy: 8
; WaveLimiterHint : 0
; COMPUTE_PGM_RSRC2:SCRATCH_EN: 0
; COMPUTE_PGM_RSRC2:USER_SGPR: 2
; COMPUTE_PGM_RSRC2:TRAP_HANDLER: 0
; COMPUTE_PGM_RSRC2:TGID_X_EN: 1
; COMPUTE_PGM_RSRC2:TGID_Y_EN: 0
; COMPUTE_PGM_RSRC2:TGID_Z_EN: 0
; COMPUTE_PGM_RSRC2:TIDIG_COMP_CNT: 0
; COMPUTE_PGM_RSRC3_GFX90A:ACCUM_OFFSET: 0
; COMPUTE_PGM_RSRC3_GFX90A:TG_SPLIT: 0
	.section	.text._ZN7rocprim17ROCPRIM_400000_NS6detail17trampoline_kernelINS0_14default_configENS1_27scan_by_key_config_selectorIj11FixedVectorIiLj4EEEEZZNS1_16scan_by_key_implILNS1_25lookback_scan_determinismE0ELb1ES3_N6thrust23THRUST_200600_302600_NS6detail15normal_iteratorINSB_10device_ptrIjEEEENSD_INSE_IS6_EEEESI_S6_NSB_4plusIvEENSB_8equal_toIvEES6_EE10hipError_tPvRmT2_T3_T4_T5_mT6_T7_P12ihipStream_tbENKUlT_T0_E_clISt17integral_constantIbLb0EES12_IbLb1EEEEDaSY_SZ_EUlSY_E_NS1_11comp_targetILNS1_3genE9ELNS1_11target_archE1100ELNS1_3gpuE3ELNS1_3repE0EEENS1_30default_config_static_selectorELNS0_4arch9wavefront6targetE1EEEvT1_,"axG",@progbits,_ZN7rocprim17ROCPRIM_400000_NS6detail17trampoline_kernelINS0_14default_configENS1_27scan_by_key_config_selectorIj11FixedVectorIiLj4EEEEZZNS1_16scan_by_key_implILNS1_25lookback_scan_determinismE0ELb1ES3_N6thrust23THRUST_200600_302600_NS6detail15normal_iteratorINSB_10device_ptrIjEEEENSD_INSE_IS6_EEEESI_S6_NSB_4plusIvEENSB_8equal_toIvEES6_EE10hipError_tPvRmT2_T3_T4_T5_mT6_T7_P12ihipStream_tbENKUlT_T0_E_clISt17integral_constantIbLb0EES12_IbLb1EEEEDaSY_SZ_EUlSY_E_NS1_11comp_targetILNS1_3genE9ELNS1_11target_archE1100ELNS1_3gpuE3ELNS1_3repE0EEENS1_30default_config_static_selectorELNS0_4arch9wavefront6targetE1EEEvT1_,comdat
	.protected	_ZN7rocprim17ROCPRIM_400000_NS6detail17trampoline_kernelINS0_14default_configENS1_27scan_by_key_config_selectorIj11FixedVectorIiLj4EEEEZZNS1_16scan_by_key_implILNS1_25lookback_scan_determinismE0ELb1ES3_N6thrust23THRUST_200600_302600_NS6detail15normal_iteratorINSB_10device_ptrIjEEEENSD_INSE_IS6_EEEESI_S6_NSB_4plusIvEENSB_8equal_toIvEES6_EE10hipError_tPvRmT2_T3_T4_T5_mT6_T7_P12ihipStream_tbENKUlT_T0_E_clISt17integral_constantIbLb0EES12_IbLb1EEEEDaSY_SZ_EUlSY_E_NS1_11comp_targetILNS1_3genE9ELNS1_11target_archE1100ELNS1_3gpuE3ELNS1_3repE0EEENS1_30default_config_static_selectorELNS0_4arch9wavefront6targetE1EEEvT1_ ; -- Begin function _ZN7rocprim17ROCPRIM_400000_NS6detail17trampoline_kernelINS0_14default_configENS1_27scan_by_key_config_selectorIj11FixedVectorIiLj4EEEEZZNS1_16scan_by_key_implILNS1_25lookback_scan_determinismE0ELb1ES3_N6thrust23THRUST_200600_302600_NS6detail15normal_iteratorINSB_10device_ptrIjEEEENSD_INSE_IS6_EEEESI_S6_NSB_4plusIvEENSB_8equal_toIvEES6_EE10hipError_tPvRmT2_T3_T4_T5_mT6_T7_P12ihipStream_tbENKUlT_T0_E_clISt17integral_constantIbLb0EES12_IbLb1EEEEDaSY_SZ_EUlSY_E_NS1_11comp_targetILNS1_3genE9ELNS1_11target_archE1100ELNS1_3gpuE3ELNS1_3repE0EEENS1_30default_config_static_selectorELNS0_4arch9wavefront6targetE1EEEvT1_
	.globl	_ZN7rocprim17ROCPRIM_400000_NS6detail17trampoline_kernelINS0_14default_configENS1_27scan_by_key_config_selectorIj11FixedVectorIiLj4EEEEZZNS1_16scan_by_key_implILNS1_25lookback_scan_determinismE0ELb1ES3_N6thrust23THRUST_200600_302600_NS6detail15normal_iteratorINSB_10device_ptrIjEEEENSD_INSE_IS6_EEEESI_S6_NSB_4plusIvEENSB_8equal_toIvEES6_EE10hipError_tPvRmT2_T3_T4_T5_mT6_T7_P12ihipStream_tbENKUlT_T0_E_clISt17integral_constantIbLb0EES12_IbLb1EEEEDaSY_SZ_EUlSY_E_NS1_11comp_targetILNS1_3genE9ELNS1_11target_archE1100ELNS1_3gpuE3ELNS1_3repE0EEENS1_30default_config_static_selectorELNS0_4arch9wavefront6targetE1EEEvT1_
	.p2align	8
	.type	_ZN7rocprim17ROCPRIM_400000_NS6detail17trampoline_kernelINS0_14default_configENS1_27scan_by_key_config_selectorIj11FixedVectorIiLj4EEEEZZNS1_16scan_by_key_implILNS1_25lookback_scan_determinismE0ELb1ES3_N6thrust23THRUST_200600_302600_NS6detail15normal_iteratorINSB_10device_ptrIjEEEENSD_INSE_IS6_EEEESI_S6_NSB_4plusIvEENSB_8equal_toIvEES6_EE10hipError_tPvRmT2_T3_T4_T5_mT6_T7_P12ihipStream_tbENKUlT_T0_E_clISt17integral_constantIbLb0EES12_IbLb1EEEEDaSY_SZ_EUlSY_E_NS1_11comp_targetILNS1_3genE9ELNS1_11target_archE1100ELNS1_3gpuE3ELNS1_3repE0EEENS1_30default_config_static_selectorELNS0_4arch9wavefront6targetE1EEEvT1_,@function
_ZN7rocprim17ROCPRIM_400000_NS6detail17trampoline_kernelINS0_14default_configENS1_27scan_by_key_config_selectorIj11FixedVectorIiLj4EEEEZZNS1_16scan_by_key_implILNS1_25lookback_scan_determinismE0ELb1ES3_N6thrust23THRUST_200600_302600_NS6detail15normal_iteratorINSB_10device_ptrIjEEEENSD_INSE_IS6_EEEESI_S6_NSB_4plusIvEENSB_8equal_toIvEES6_EE10hipError_tPvRmT2_T3_T4_T5_mT6_T7_P12ihipStream_tbENKUlT_T0_E_clISt17integral_constantIbLb0EES12_IbLb1EEEEDaSY_SZ_EUlSY_E_NS1_11comp_targetILNS1_3genE9ELNS1_11target_archE1100ELNS1_3gpuE3ELNS1_3repE0EEENS1_30default_config_static_selectorELNS0_4arch9wavefront6targetE1EEEvT1_: ; @_ZN7rocprim17ROCPRIM_400000_NS6detail17trampoline_kernelINS0_14default_configENS1_27scan_by_key_config_selectorIj11FixedVectorIiLj4EEEEZZNS1_16scan_by_key_implILNS1_25lookback_scan_determinismE0ELb1ES3_N6thrust23THRUST_200600_302600_NS6detail15normal_iteratorINSB_10device_ptrIjEEEENSD_INSE_IS6_EEEESI_S6_NSB_4plusIvEENSB_8equal_toIvEES6_EE10hipError_tPvRmT2_T3_T4_T5_mT6_T7_P12ihipStream_tbENKUlT_T0_E_clISt17integral_constantIbLb0EES12_IbLb1EEEEDaSY_SZ_EUlSY_E_NS1_11comp_targetILNS1_3genE9ELNS1_11target_archE1100ELNS1_3gpuE3ELNS1_3repE0EEENS1_30default_config_static_selectorELNS0_4arch9wavefront6targetE1EEEvT1_
; %bb.0:
	.section	.rodata,"a",@progbits
	.p2align	6, 0x0
	.amdhsa_kernel _ZN7rocprim17ROCPRIM_400000_NS6detail17trampoline_kernelINS0_14default_configENS1_27scan_by_key_config_selectorIj11FixedVectorIiLj4EEEEZZNS1_16scan_by_key_implILNS1_25lookback_scan_determinismE0ELb1ES3_N6thrust23THRUST_200600_302600_NS6detail15normal_iteratorINSB_10device_ptrIjEEEENSD_INSE_IS6_EEEESI_S6_NSB_4plusIvEENSB_8equal_toIvEES6_EE10hipError_tPvRmT2_T3_T4_T5_mT6_T7_P12ihipStream_tbENKUlT_T0_E_clISt17integral_constantIbLb0EES12_IbLb1EEEEDaSY_SZ_EUlSY_E_NS1_11comp_targetILNS1_3genE9ELNS1_11target_archE1100ELNS1_3gpuE3ELNS1_3repE0EEENS1_30default_config_static_selectorELNS0_4arch9wavefront6targetE1EEEvT1_
		.amdhsa_group_segment_fixed_size 0
		.amdhsa_private_segment_fixed_size 0
		.amdhsa_kernarg_size 144
		.amdhsa_user_sgpr_count 2
		.amdhsa_user_sgpr_dispatch_ptr 0
		.amdhsa_user_sgpr_queue_ptr 0
		.amdhsa_user_sgpr_kernarg_segment_ptr 1
		.amdhsa_user_sgpr_dispatch_id 0
		.amdhsa_user_sgpr_kernarg_preload_length 0
		.amdhsa_user_sgpr_kernarg_preload_offset 0
		.amdhsa_user_sgpr_private_segment_size 0
		.amdhsa_uses_dynamic_stack 0
		.amdhsa_enable_private_segment 0
		.amdhsa_system_sgpr_workgroup_id_x 1
		.amdhsa_system_sgpr_workgroup_id_y 0
		.amdhsa_system_sgpr_workgroup_id_z 0
		.amdhsa_system_sgpr_workgroup_info 0
		.amdhsa_system_vgpr_workitem_id 0
		.amdhsa_next_free_vgpr 1
		.amdhsa_next_free_sgpr 0
		.amdhsa_accum_offset 4
		.amdhsa_reserve_vcc 0
		.amdhsa_float_round_mode_32 0
		.amdhsa_float_round_mode_16_64 0
		.amdhsa_float_denorm_mode_32 3
		.amdhsa_float_denorm_mode_16_64 3
		.amdhsa_dx10_clamp 1
		.amdhsa_ieee_mode 1
		.amdhsa_fp16_overflow 0
		.amdhsa_tg_split 0
		.amdhsa_exception_fp_ieee_invalid_op 0
		.amdhsa_exception_fp_denorm_src 0
		.amdhsa_exception_fp_ieee_div_zero 0
		.amdhsa_exception_fp_ieee_overflow 0
		.amdhsa_exception_fp_ieee_underflow 0
		.amdhsa_exception_fp_ieee_inexact 0
		.amdhsa_exception_int_div_zero 0
	.end_amdhsa_kernel
	.section	.text._ZN7rocprim17ROCPRIM_400000_NS6detail17trampoline_kernelINS0_14default_configENS1_27scan_by_key_config_selectorIj11FixedVectorIiLj4EEEEZZNS1_16scan_by_key_implILNS1_25lookback_scan_determinismE0ELb1ES3_N6thrust23THRUST_200600_302600_NS6detail15normal_iteratorINSB_10device_ptrIjEEEENSD_INSE_IS6_EEEESI_S6_NSB_4plusIvEENSB_8equal_toIvEES6_EE10hipError_tPvRmT2_T3_T4_T5_mT6_T7_P12ihipStream_tbENKUlT_T0_E_clISt17integral_constantIbLb0EES12_IbLb1EEEEDaSY_SZ_EUlSY_E_NS1_11comp_targetILNS1_3genE9ELNS1_11target_archE1100ELNS1_3gpuE3ELNS1_3repE0EEENS1_30default_config_static_selectorELNS0_4arch9wavefront6targetE1EEEvT1_,"axG",@progbits,_ZN7rocprim17ROCPRIM_400000_NS6detail17trampoline_kernelINS0_14default_configENS1_27scan_by_key_config_selectorIj11FixedVectorIiLj4EEEEZZNS1_16scan_by_key_implILNS1_25lookback_scan_determinismE0ELb1ES3_N6thrust23THRUST_200600_302600_NS6detail15normal_iteratorINSB_10device_ptrIjEEEENSD_INSE_IS6_EEEESI_S6_NSB_4plusIvEENSB_8equal_toIvEES6_EE10hipError_tPvRmT2_T3_T4_T5_mT6_T7_P12ihipStream_tbENKUlT_T0_E_clISt17integral_constantIbLb0EES12_IbLb1EEEEDaSY_SZ_EUlSY_E_NS1_11comp_targetILNS1_3genE9ELNS1_11target_archE1100ELNS1_3gpuE3ELNS1_3repE0EEENS1_30default_config_static_selectorELNS0_4arch9wavefront6targetE1EEEvT1_,comdat
.Lfunc_end2110:
	.size	_ZN7rocprim17ROCPRIM_400000_NS6detail17trampoline_kernelINS0_14default_configENS1_27scan_by_key_config_selectorIj11FixedVectorIiLj4EEEEZZNS1_16scan_by_key_implILNS1_25lookback_scan_determinismE0ELb1ES3_N6thrust23THRUST_200600_302600_NS6detail15normal_iteratorINSB_10device_ptrIjEEEENSD_INSE_IS6_EEEESI_S6_NSB_4plusIvEENSB_8equal_toIvEES6_EE10hipError_tPvRmT2_T3_T4_T5_mT6_T7_P12ihipStream_tbENKUlT_T0_E_clISt17integral_constantIbLb0EES12_IbLb1EEEEDaSY_SZ_EUlSY_E_NS1_11comp_targetILNS1_3genE9ELNS1_11target_archE1100ELNS1_3gpuE3ELNS1_3repE0EEENS1_30default_config_static_selectorELNS0_4arch9wavefront6targetE1EEEvT1_, .Lfunc_end2110-_ZN7rocprim17ROCPRIM_400000_NS6detail17trampoline_kernelINS0_14default_configENS1_27scan_by_key_config_selectorIj11FixedVectorIiLj4EEEEZZNS1_16scan_by_key_implILNS1_25lookback_scan_determinismE0ELb1ES3_N6thrust23THRUST_200600_302600_NS6detail15normal_iteratorINSB_10device_ptrIjEEEENSD_INSE_IS6_EEEESI_S6_NSB_4plusIvEENSB_8equal_toIvEES6_EE10hipError_tPvRmT2_T3_T4_T5_mT6_T7_P12ihipStream_tbENKUlT_T0_E_clISt17integral_constantIbLb0EES12_IbLb1EEEEDaSY_SZ_EUlSY_E_NS1_11comp_targetILNS1_3genE9ELNS1_11target_archE1100ELNS1_3gpuE3ELNS1_3repE0EEENS1_30default_config_static_selectorELNS0_4arch9wavefront6targetE1EEEvT1_
                                        ; -- End function
	.section	.AMDGPU.csdata,"",@progbits
; Kernel info:
; codeLenInByte = 0
; NumSgprs: 6
; NumVgprs: 0
; NumAgprs: 0
; TotalNumVgprs: 0
; ScratchSize: 0
; MemoryBound: 0
; FloatMode: 240
; IeeeMode: 1
; LDSByteSize: 0 bytes/workgroup (compile time only)
; SGPRBlocks: 0
; VGPRBlocks: 0
; NumSGPRsForWavesPerEU: 6
; NumVGPRsForWavesPerEU: 1
; AccumOffset: 4
; Occupancy: 8
; WaveLimiterHint : 0
; COMPUTE_PGM_RSRC2:SCRATCH_EN: 0
; COMPUTE_PGM_RSRC2:USER_SGPR: 2
; COMPUTE_PGM_RSRC2:TRAP_HANDLER: 0
; COMPUTE_PGM_RSRC2:TGID_X_EN: 1
; COMPUTE_PGM_RSRC2:TGID_Y_EN: 0
; COMPUTE_PGM_RSRC2:TGID_Z_EN: 0
; COMPUTE_PGM_RSRC2:TIDIG_COMP_CNT: 0
; COMPUTE_PGM_RSRC3_GFX90A:ACCUM_OFFSET: 0
; COMPUTE_PGM_RSRC3_GFX90A:TG_SPLIT: 0
	.section	.text._ZN7rocprim17ROCPRIM_400000_NS6detail17trampoline_kernelINS0_14default_configENS1_27scan_by_key_config_selectorIj11FixedVectorIiLj4EEEEZZNS1_16scan_by_key_implILNS1_25lookback_scan_determinismE0ELb1ES3_N6thrust23THRUST_200600_302600_NS6detail15normal_iteratorINSB_10device_ptrIjEEEENSD_INSE_IS6_EEEESI_S6_NSB_4plusIvEENSB_8equal_toIvEES6_EE10hipError_tPvRmT2_T3_T4_T5_mT6_T7_P12ihipStream_tbENKUlT_T0_E_clISt17integral_constantIbLb0EES12_IbLb1EEEEDaSY_SZ_EUlSY_E_NS1_11comp_targetILNS1_3genE8ELNS1_11target_archE1030ELNS1_3gpuE2ELNS1_3repE0EEENS1_30default_config_static_selectorELNS0_4arch9wavefront6targetE1EEEvT1_,"axG",@progbits,_ZN7rocprim17ROCPRIM_400000_NS6detail17trampoline_kernelINS0_14default_configENS1_27scan_by_key_config_selectorIj11FixedVectorIiLj4EEEEZZNS1_16scan_by_key_implILNS1_25lookback_scan_determinismE0ELb1ES3_N6thrust23THRUST_200600_302600_NS6detail15normal_iteratorINSB_10device_ptrIjEEEENSD_INSE_IS6_EEEESI_S6_NSB_4plusIvEENSB_8equal_toIvEES6_EE10hipError_tPvRmT2_T3_T4_T5_mT6_T7_P12ihipStream_tbENKUlT_T0_E_clISt17integral_constantIbLb0EES12_IbLb1EEEEDaSY_SZ_EUlSY_E_NS1_11comp_targetILNS1_3genE8ELNS1_11target_archE1030ELNS1_3gpuE2ELNS1_3repE0EEENS1_30default_config_static_selectorELNS0_4arch9wavefront6targetE1EEEvT1_,comdat
	.protected	_ZN7rocprim17ROCPRIM_400000_NS6detail17trampoline_kernelINS0_14default_configENS1_27scan_by_key_config_selectorIj11FixedVectorIiLj4EEEEZZNS1_16scan_by_key_implILNS1_25lookback_scan_determinismE0ELb1ES3_N6thrust23THRUST_200600_302600_NS6detail15normal_iteratorINSB_10device_ptrIjEEEENSD_INSE_IS6_EEEESI_S6_NSB_4plusIvEENSB_8equal_toIvEES6_EE10hipError_tPvRmT2_T3_T4_T5_mT6_T7_P12ihipStream_tbENKUlT_T0_E_clISt17integral_constantIbLb0EES12_IbLb1EEEEDaSY_SZ_EUlSY_E_NS1_11comp_targetILNS1_3genE8ELNS1_11target_archE1030ELNS1_3gpuE2ELNS1_3repE0EEENS1_30default_config_static_selectorELNS0_4arch9wavefront6targetE1EEEvT1_ ; -- Begin function _ZN7rocprim17ROCPRIM_400000_NS6detail17trampoline_kernelINS0_14default_configENS1_27scan_by_key_config_selectorIj11FixedVectorIiLj4EEEEZZNS1_16scan_by_key_implILNS1_25lookback_scan_determinismE0ELb1ES3_N6thrust23THRUST_200600_302600_NS6detail15normal_iteratorINSB_10device_ptrIjEEEENSD_INSE_IS6_EEEESI_S6_NSB_4plusIvEENSB_8equal_toIvEES6_EE10hipError_tPvRmT2_T3_T4_T5_mT6_T7_P12ihipStream_tbENKUlT_T0_E_clISt17integral_constantIbLb0EES12_IbLb1EEEEDaSY_SZ_EUlSY_E_NS1_11comp_targetILNS1_3genE8ELNS1_11target_archE1030ELNS1_3gpuE2ELNS1_3repE0EEENS1_30default_config_static_selectorELNS0_4arch9wavefront6targetE1EEEvT1_
	.globl	_ZN7rocprim17ROCPRIM_400000_NS6detail17trampoline_kernelINS0_14default_configENS1_27scan_by_key_config_selectorIj11FixedVectorIiLj4EEEEZZNS1_16scan_by_key_implILNS1_25lookback_scan_determinismE0ELb1ES3_N6thrust23THRUST_200600_302600_NS6detail15normal_iteratorINSB_10device_ptrIjEEEENSD_INSE_IS6_EEEESI_S6_NSB_4plusIvEENSB_8equal_toIvEES6_EE10hipError_tPvRmT2_T3_T4_T5_mT6_T7_P12ihipStream_tbENKUlT_T0_E_clISt17integral_constantIbLb0EES12_IbLb1EEEEDaSY_SZ_EUlSY_E_NS1_11comp_targetILNS1_3genE8ELNS1_11target_archE1030ELNS1_3gpuE2ELNS1_3repE0EEENS1_30default_config_static_selectorELNS0_4arch9wavefront6targetE1EEEvT1_
	.p2align	8
	.type	_ZN7rocprim17ROCPRIM_400000_NS6detail17trampoline_kernelINS0_14default_configENS1_27scan_by_key_config_selectorIj11FixedVectorIiLj4EEEEZZNS1_16scan_by_key_implILNS1_25lookback_scan_determinismE0ELb1ES3_N6thrust23THRUST_200600_302600_NS6detail15normal_iteratorINSB_10device_ptrIjEEEENSD_INSE_IS6_EEEESI_S6_NSB_4plusIvEENSB_8equal_toIvEES6_EE10hipError_tPvRmT2_T3_T4_T5_mT6_T7_P12ihipStream_tbENKUlT_T0_E_clISt17integral_constantIbLb0EES12_IbLb1EEEEDaSY_SZ_EUlSY_E_NS1_11comp_targetILNS1_3genE8ELNS1_11target_archE1030ELNS1_3gpuE2ELNS1_3repE0EEENS1_30default_config_static_selectorELNS0_4arch9wavefront6targetE1EEEvT1_,@function
_ZN7rocprim17ROCPRIM_400000_NS6detail17trampoline_kernelINS0_14default_configENS1_27scan_by_key_config_selectorIj11FixedVectorIiLj4EEEEZZNS1_16scan_by_key_implILNS1_25lookback_scan_determinismE0ELb1ES3_N6thrust23THRUST_200600_302600_NS6detail15normal_iteratorINSB_10device_ptrIjEEEENSD_INSE_IS6_EEEESI_S6_NSB_4plusIvEENSB_8equal_toIvEES6_EE10hipError_tPvRmT2_T3_T4_T5_mT6_T7_P12ihipStream_tbENKUlT_T0_E_clISt17integral_constantIbLb0EES12_IbLb1EEEEDaSY_SZ_EUlSY_E_NS1_11comp_targetILNS1_3genE8ELNS1_11target_archE1030ELNS1_3gpuE2ELNS1_3repE0EEENS1_30default_config_static_selectorELNS0_4arch9wavefront6targetE1EEEvT1_: ; @_ZN7rocprim17ROCPRIM_400000_NS6detail17trampoline_kernelINS0_14default_configENS1_27scan_by_key_config_selectorIj11FixedVectorIiLj4EEEEZZNS1_16scan_by_key_implILNS1_25lookback_scan_determinismE0ELb1ES3_N6thrust23THRUST_200600_302600_NS6detail15normal_iteratorINSB_10device_ptrIjEEEENSD_INSE_IS6_EEEESI_S6_NSB_4plusIvEENSB_8equal_toIvEES6_EE10hipError_tPvRmT2_T3_T4_T5_mT6_T7_P12ihipStream_tbENKUlT_T0_E_clISt17integral_constantIbLb0EES12_IbLb1EEEEDaSY_SZ_EUlSY_E_NS1_11comp_targetILNS1_3genE8ELNS1_11target_archE1030ELNS1_3gpuE2ELNS1_3repE0EEENS1_30default_config_static_selectorELNS0_4arch9wavefront6targetE1EEEvT1_
; %bb.0:
	.section	.rodata,"a",@progbits
	.p2align	6, 0x0
	.amdhsa_kernel _ZN7rocprim17ROCPRIM_400000_NS6detail17trampoline_kernelINS0_14default_configENS1_27scan_by_key_config_selectorIj11FixedVectorIiLj4EEEEZZNS1_16scan_by_key_implILNS1_25lookback_scan_determinismE0ELb1ES3_N6thrust23THRUST_200600_302600_NS6detail15normal_iteratorINSB_10device_ptrIjEEEENSD_INSE_IS6_EEEESI_S6_NSB_4plusIvEENSB_8equal_toIvEES6_EE10hipError_tPvRmT2_T3_T4_T5_mT6_T7_P12ihipStream_tbENKUlT_T0_E_clISt17integral_constantIbLb0EES12_IbLb1EEEEDaSY_SZ_EUlSY_E_NS1_11comp_targetILNS1_3genE8ELNS1_11target_archE1030ELNS1_3gpuE2ELNS1_3repE0EEENS1_30default_config_static_selectorELNS0_4arch9wavefront6targetE1EEEvT1_
		.amdhsa_group_segment_fixed_size 0
		.amdhsa_private_segment_fixed_size 0
		.amdhsa_kernarg_size 144
		.amdhsa_user_sgpr_count 2
		.amdhsa_user_sgpr_dispatch_ptr 0
		.amdhsa_user_sgpr_queue_ptr 0
		.amdhsa_user_sgpr_kernarg_segment_ptr 1
		.amdhsa_user_sgpr_dispatch_id 0
		.amdhsa_user_sgpr_kernarg_preload_length 0
		.amdhsa_user_sgpr_kernarg_preload_offset 0
		.amdhsa_user_sgpr_private_segment_size 0
		.amdhsa_uses_dynamic_stack 0
		.amdhsa_enable_private_segment 0
		.amdhsa_system_sgpr_workgroup_id_x 1
		.amdhsa_system_sgpr_workgroup_id_y 0
		.amdhsa_system_sgpr_workgroup_id_z 0
		.amdhsa_system_sgpr_workgroup_info 0
		.amdhsa_system_vgpr_workitem_id 0
		.amdhsa_next_free_vgpr 1
		.amdhsa_next_free_sgpr 0
		.amdhsa_accum_offset 4
		.amdhsa_reserve_vcc 0
		.amdhsa_float_round_mode_32 0
		.amdhsa_float_round_mode_16_64 0
		.amdhsa_float_denorm_mode_32 3
		.amdhsa_float_denorm_mode_16_64 3
		.amdhsa_dx10_clamp 1
		.amdhsa_ieee_mode 1
		.amdhsa_fp16_overflow 0
		.amdhsa_tg_split 0
		.amdhsa_exception_fp_ieee_invalid_op 0
		.amdhsa_exception_fp_denorm_src 0
		.amdhsa_exception_fp_ieee_div_zero 0
		.amdhsa_exception_fp_ieee_overflow 0
		.amdhsa_exception_fp_ieee_underflow 0
		.amdhsa_exception_fp_ieee_inexact 0
		.amdhsa_exception_int_div_zero 0
	.end_amdhsa_kernel
	.section	.text._ZN7rocprim17ROCPRIM_400000_NS6detail17trampoline_kernelINS0_14default_configENS1_27scan_by_key_config_selectorIj11FixedVectorIiLj4EEEEZZNS1_16scan_by_key_implILNS1_25lookback_scan_determinismE0ELb1ES3_N6thrust23THRUST_200600_302600_NS6detail15normal_iteratorINSB_10device_ptrIjEEEENSD_INSE_IS6_EEEESI_S6_NSB_4plusIvEENSB_8equal_toIvEES6_EE10hipError_tPvRmT2_T3_T4_T5_mT6_T7_P12ihipStream_tbENKUlT_T0_E_clISt17integral_constantIbLb0EES12_IbLb1EEEEDaSY_SZ_EUlSY_E_NS1_11comp_targetILNS1_3genE8ELNS1_11target_archE1030ELNS1_3gpuE2ELNS1_3repE0EEENS1_30default_config_static_selectorELNS0_4arch9wavefront6targetE1EEEvT1_,"axG",@progbits,_ZN7rocprim17ROCPRIM_400000_NS6detail17trampoline_kernelINS0_14default_configENS1_27scan_by_key_config_selectorIj11FixedVectorIiLj4EEEEZZNS1_16scan_by_key_implILNS1_25lookback_scan_determinismE0ELb1ES3_N6thrust23THRUST_200600_302600_NS6detail15normal_iteratorINSB_10device_ptrIjEEEENSD_INSE_IS6_EEEESI_S6_NSB_4plusIvEENSB_8equal_toIvEES6_EE10hipError_tPvRmT2_T3_T4_T5_mT6_T7_P12ihipStream_tbENKUlT_T0_E_clISt17integral_constantIbLb0EES12_IbLb1EEEEDaSY_SZ_EUlSY_E_NS1_11comp_targetILNS1_3genE8ELNS1_11target_archE1030ELNS1_3gpuE2ELNS1_3repE0EEENS1_30default_config_static_selectorELNS0_4arch9wavefront6targetE1EEEvT1_,comdat
.Lfunc_end2111:
	.size	_ZN7rocprim17ROCPRIM_400000_NS6detail17trampoline_kernelINS0_14default_configENS1_27scan_by_key_config_selectorIj11FixedVectorIiLj4EEEEZZNS1_16scan_by_key_implILNS1_25lookback_scan_determinismE0ELb1ES3_N6thrust23THRUST_200600_302600_NS6detail15normal_iteratorINSB_10device_ptrIjEEEENSD_INSE_IS6_EEEESI_S6_NSB_4plusIvEENSB_8equal_toIvEES6_EE10hipError_tPvRmT2_T3_T4_T5_mT6_T7_P12ihipStream_tbENKUlT_T0_E_clISt17integral_constantIbLb0EES12_IbLb1EEEEDaSY_SZ_EUlSY_E_NS1_11comp_targetILNS1_3genE8ELNS1_11target_archE1030ELNS1_3gpuE2ELNS1_3repE0EEENS1_30default_config_static_selectorELNS0_4arch9wavefront6targetE1EEEvT1_, .Lfunc_end2111-_ZN7rocprim17ROCPRIM_400000_NS6detail17trampoline_kernelINS0_14default_configENS1_27scan_by_key_config_selectorIj11FixedVectorIiLj4EEEEZZNS1_16scan_by_key_implILNS1_25lookback_scan_determinismE0ELb1ES3_N6thrust23THRUST_200600_302600_NS6detail15normal_iteratorINSB_10device_ptrIjEEEENSD_INSE_IS6_EEEESI_S6_NSB_4plusIvEENSB_8equal_toIvEES6_EE10hipError_tPvRmT2_T3_T4_T5_mT6_T7_P12ihipStream_tbENKUlT_T0_E_clISt17integral_constantIbLb0EES12_IbLb1EEEEDaSY_SZ_EUlSY_E_NS1_11comp_targetILNS1_3genE8ELNS1_11target_archE1030ELNS1_3gpuE2ELNS1_3repE0EEENS1_30default_config_static_selectorELNS0_4arch9wavefront6targetE1EEEvT1_
                                        ; -- End function
	.section	.AMDGPU.csdata,"",@progbits
; Kernel info:
; codeLenInByte = 0
; NumSgprs: 6
; NumVgprs: 0
; NumAgprs: 0
; TotalNumVgprs: 0
; ScratchSize: 0
; MemoryBound: 0
; FloatMode: 240
; IeeeMode: 1
; LDSByteSize: 0 bytes/workgroup (compile time only)
; SGPRBlocks: 0
; VGPRBlocks: 0
; NumSGPRsForWavesPerEU: 6
; NumVGPRsForWavesPerEU: 1
; AccumOffset: 4
; Occupancy: 8
; WaveLimiterHint : 0
; COMPUTE_PGM_RSRC2:SCRATCH_EN: 0
; COMPUTE_PGM_RSRC2:USER_SGPR: 2
; COMPUTE_PGM_RSRC2:TRAP_HANDLER: 0
; COMPUTE_PGM_RSRC2:TGID_X_EN: 1
; COMPUTE_PGM_RSRC2:TGID_Y_EN: 0
; COMPUTE_PGM_RSRC2:TGID_Z_EN: 0
; COMPUTE_PGM_RSRC2:TIDIG_COMP_CNT: 0
; COMPUTE_PGM_RSRC3_GFX90A:ACCUM_OFFSET: 0
; COMPUTE_PGM_RSRC3_GFX90A:TG_SPLIT: 0
	.section	.text._ZN6thrust23THRUST_200600_302600_NS11hip_rocprim14__parallel_for6kernelILj256ENS1_10for_each_fINS0_10device_ptrI11FixedVectorIiLj8EEEENS0_6detail16wrapped_functionINS9_23allocator_traits_detail5gozerEvEEEElLj1EEEvT0_T1_SG_,"axG",@progbits,_ZN6thrust23THRUST_200600_302600_NS11hip_rocprim14__parallel_for6kernelILj256ENS1_10for_each_fINS0_10device_ptrI11FixedVectorIiLj8EEEENS0_6detail16wrapped_functionINS9_23allocator_traits_detail5gozerEvEEEElLj1EEEvT0_T1_SG_,comdat
	.protected	_ZN6thrust23THRUST_200600_302600_NS11hip_rocprim14__parallel_for6kernelILj256ENS1_10for_each_fINS0_10device_ptrI11FixedVectorIiLj8EEEENS0_6detail16wrapped_functionINS9_23allocator_traits_detail5gozerEvEEEElLj1EEEvT0_T1_SG_ ; -- Begin function _ZN6thrust23THRUST_200600_302600_NS11hip_rocprim14__parallel_for6kernelILj256ENS1_10for_each_fINS0_10device_ptrI11FixedVectorIiLj8EEEENS0_6detail16wrapped_functionINS9_23allocator_traits_detail5gozerEvEEEElLj1EEEvT0_T1_SG_
	.globl	_ZN6thrust23THRUST_200600_302600_NS11hip_rocprim14__parallel_for6kernelILj256ENS1_10for_each_fINS0_10device_ptrI11FixedVectorIiLj8EEEENS0_6detail16wrapped_functionINS9_23allocator_traits_detail5gozerEvEEEElLj1EEEvT0_T1_SG_
	.p2align	8
	.type	_ZN6thrust23THRUST_200600_302600_NS11hip_rocprim14__parallel_for6kernelILj256ENS1_10for_each_fINS0_10device_ptrI11FixedVectorIiLj8EEEENS0_6detail16wrapped_functionINS9_23allocator_traits_detail5gozerEvEEEElLj1EEEvT0_T1_SG_,@function
_ZN6thrust23THRUST_200600_302600_NS11hip_rocprim14__parallel_for6kernelILj256ENS1_10for_each_fINS0_10device_ptrI11FixedVectorIiLj8EEEENS0_6detail16wrapped_functionINS9_23allocator_traits_detail5gozerEvEEEElLj1EEEvT0_T1_SG_: ; @_ZN6thrust23THRUST_200600_302600_NS11hip_rocprim14__parallel_for6kernelILj256ENS1_10for_each_fINS0_10device_ptrI11FixedVectorIiLj8EEEENS0_6detail16wrapped_functionINS9_23allocator_traits_detail5gozerEvEEEElLj1EEEvT0_T1_SG_
; %bb.0:
	s_endpgm
	.section	.rodata,"a",@progbits
	.p2align	6, 0x0
	.amdhsa_kernel _ZN6thrust23THRUST_200600_302600_NS11hip_rocprim14__parallel_for6kernelILj256ENS1_10for_each_fINS0_10device_ptrI11FixedVectorIiLj8EEEENS0_6detail16wrapped_functionINS9_23allocator_traits_detail5gozerEvEEEElLj1EEEvT0_T1_SG_
		.amdhsa_group_segment_fixed_size 0
		.amdhsa_private_segment_fixed_size 0
		.amdhsa_kernarg_size 32
		.amdhsa_user_sgpr_count 2
		.amdhsa_user_sgpr_dispatch_ptr 0
		.amdhsa_user_sgpr_queue_ptr 0
		.amdhsa_user_sgpr_kernarg_segment_ptr 1
		.amdhsa_user_sgpr_dispatch_id 0
		.amdhsa_user_sgpr_kernarg_preload_length 0
		.amdhsa_user_sgpr_kernarg_preload_offset 0
		.amdhsa_user_sgpr_private_segment_size 0
		.amdhsa_uses_dynamic_stack 0
		.amdhsa_enable_private_segment 0
		.amdhsa_system_sgpr_workgroup_id_x 1
		.amdhsa_system_sgpr_workgroup_id_y 0
		.amdhsa_system_sgpr_workgroup_id_z 0
		.amdhsa_system_sgpr_workgroup_info 0
		.amdhsa_system_vgpr_workitem_id 0
		.amdhsa_next_free_vgpr 1
		.amdhsa_next_free_sgpr 0
		.amdhsa_accum_offset 4
		.amdhsa_reserve_vcc 0
		.amdhsa_float_round_mode_32 0
		.amdhsa_float_round_mode_16_64 0
		.amdhsa_float_denorm_mode_32 3
		.amdhsa_float_denorm_mode_16_64 3
		.amdhsa_dx10_clamp 1
		.amdhsa_ieee_mode 1
		.amdhsa_fp16_overflow 0
		.amdhsa_tg_split 0
		.amdhsa_exception_fp_ieee_invalid_op 0
		.amdhsa_exception_fp_denorm_src 0
		.amdhsa_exception_fp_ieee_div_zero 0
		.amdhsa_exception_fp_ieee_overflow 0
		.amdhsa_exception_fp_ieee_underflow 0
		.amdhsa_exception_fp_ieee_inexact 0
		.amdhsa_exception_int_div_zero 0
	.end_amdhsa_kernel
	.section	.text._ZN6thrust23THRUST_200600_302600_NS11hip_rocprim14__parallel_for6kernelILj256ENS1_10for_each_fINS0_10device_ptrI11FixedVectorIiLj8EEEENS0_6detail16wrapped_functionINS9_23allocator_traits_detail5gozerEvEEEElLj1EEEvT0_T1_SG_,"axG",@progbits,_ZN6thrust23THRUST_200600_302600_NS11hip_rocprim14__parallel_for6kernelILj256ENS1_10for_each_fINS0_10device_ptrI11FixedVectorIiLj8EEEENS0_6detail16wrapped_functionINS9_23allocator_traits_detail5gozerEvEEEElLj1EEEvT0_T1_SG_,comdat
.Lfunc_end2112:
	.size	_ZN6thrust23THRUST_200600_302600_NS11hip_rocprim14__parallel_for6kernelILj256ENS1_10for_each_fINS0_10device_ptrI11FixedVectorIiLj8EEEENS0_6detail16wrapped_functionINS9_23allocator_traits_detail5gozerEvEEEElLj1EEEvT0_T1_SG_, .Lfunc_end2112-_ZN6thrust23THRUST_200600_302600_NS11hip_rocprim14__parallel_for6kernelILj256ENS1_10for_each_fINS0_10device_ptrI11FixedVectorIiLj8EEEENS0_6detail16wrapped_functionINS9_23allocator_traits_detail5gozerEvEEEElLj1EEEvT0_T1_SG_
                                        ; -- End function
	.section	.AMDGPU.csdata,"",@progbits
; Kernel info:
; codeLenInByte = 4
; NumSgprs: 6
; NumVgprs: 0
; NumAgprs: 0
; TotalNumVgprs: 0
; ScratchSize: 0
; MemoryBound: 0
; FloatMode: 240
; IeeeMode: 1
; LDSByteSize: 0 bytes/workgroup (compile time only)
; SGPRBlocks: 0
; VGPRBlocks: 0
; NumSGPRsForWavesPerEU: 6
; NumVGPRsForWavesPerEU: 1
; AccumOffset: 4
; Occupancy: 8
; WaveLimiterHint : 0
; COMPUTE_PGM_RSRC2:SCRATCH_EN: 0
; COMPUTE_PGM_RSRC2:USER_SGPR: 2
; COMPUTE_PGM_RSRC2:TRAP_HANDLER: 0
; COMPUTE_PGM_RSRC2:TGID_X_EN: 1
; COMPUTE_PGM_RSRC2:TGID_Y_EN: 0
; COMPUTE_PGM_RSRC2:TGID_Z_EN: 0
; COMPUTE_PGM_RSRC2:TIDIG_COMP_CNT: 0
; COMPUTE_PGM_RSRC3_GFX90A:ACCUM_OFFSET: 0
; COMPUTE_PGM_RSRC3_GFX90A:TG_SPLIT: 0
	.section	.text._ZN6thrust23THRUST_200600_302600_NS11hip_rocprim14__parallel_for6kernelILj256ENS1_10for_each_fINS0_10device_ptrI11FixedVectorIiLj8EEEENS0_6detail16wrapped_functionINS9_23allocator_traits_detail24construct1_via_allocatorINS0_16device_allocatorIS7_EEEEvEEEEmLj1EEEvT0_T1_SJ_,"axG",@progbits,_ZN6thrust23THRUST_200600_302600_NS11hip_rocprim14__parallel_for6kernelILj256ENS1_10for_each_fINS0_10device_ptrI11FixedVectorIiLj8EEEENS0_6detail16wrapped_functionINS9_23allocator_traits_detail24construct1_via_allocatorINS0_16device_allocatorIS7_EEEEvEEEEmLj1EEEvT0_T1_SJ_,comdat
	.protected	_ZN6thrust23THRUST_200600_302600_NS11hip_rocprim14__parallel_for6kernelILj256ENS1_10for_each_fINS0_10device_ptrI11FixedVectorIiLj8EEEENS0_6detail16wrapped_functionINS9_23allocator_traits_detail24construct1_via_allocatorINS0_16device_allocatorIS7_EEEEvEEEEmLj1EEEvT0_T1_SJ_ ; -- Begin function _ZN6thrust23THRUST_200600_302600_NS11hip_rocprim14__parallel_for6kernelILj256ENS1_10for_each_fINS0_10device_ptrI11FixedVectorIiLj8EEEENS0_6detail16wrapped_functionINS9_23allocator_traits_detail24construct1_via_allocatorINS0_16device_allocatorIS7_EEEEvEEEEmLj1EEEvT0_T1_SJ_
	.globl	_ZN6thrust23THRUST_200600_302600_NS11hip_rocprim14__parallel_for6kernelILj256ENS1_10for_each_fINS0_10device_ptrI11FixedVectorIiLj8EEEENS0_6detail16wrapped_functionINS9_23allocator_traits_detail24construct1_via_allocatorINS0_16device_allocatorIS7_EEEEvEEEEmLj1EEEvT0_T1_SJ_
	.p2align	8
	.type	_ZN6thrust23THRUST_200600_302600_NS11hip_rocprim14__parallel_for6kernelILj256ENS1_10for_each_fINS0_10device_ptrI11FixedVectorIiLj8EEEENS0_6detail16wrapped_functionINS9_23allocator_traits_detail24construct1_via_allocatorINS0_16device_allocatorIS7_EEEEvEEEEmLj1EEEvT0_T1_SJ_,@function
_ZN6thrust23THRUST_200600_302600_NS11hip_rocprim14__parallel_for6kernelILj256ENS1_10for_each_fINS0_10device_ptrI11FixedVectorIiLj8EEEENS0_6detail16wrapped_functionINS9_23allocator_traits_detail24construct1_via_allocatorINS0_16device_allocatorIS7_EEEEvEEEEmLj1EEEvT0_T1_SJ_: ; @_ZN6thrust23THRUST_200600_302600_NS11hip_rocprim14__parallel_for6kernelILj256ENS1_10for_each_fINS0_10device_ptrI11FixedVectorIiLj8EEEENS0_6detail16wrapped_functionINS9_23allocator_traits_detail24construct1_via_allocatorINS0_16device_allocatorIS7_EEEEvEEEEmLj1EEEvT0_T1_SJ_
; %bb.0:
	s_load_dwordx4 s[8:11], s[0:1], 0x10
	s_load_dwordx2 s[4:5], s[0:1], 0x0
	s_lshl_b32 s0, s2, 8
	v_mov_b64_e32 v[2:3], 0x100
	s_mov_b64 s[6:7], -1
	s_waitcnt lgkmcnt(0)
	s_add_u32 s0, s0, s10
	s_addc_u32 s1, 0, s11
	s_sub_u32 s2, s8, s0
	s_subb_u32 s3, s9, s1
	v_cmp_lt_u64_e32 vcc, s[2:3], v[2:3]
	s_cbranch_vccz .LBB2113_5
; %bb.1:
	v_cmp_gt_u32_e32 vcc, s2, v0
	s_and_saveexec_b64 s[2:3], vcc
	s_cbranch_execz .LBB2113_4
; %bb.2:
	s_lshl_b64 s[6:7], s[0:1], 5
	s_add_u32 s6, s4, s6
	s_addc_u32 s7, s5, s7
	v_lshlrev_b32_e32 v2, 5, v0
	v_mov_b32_e32 v3, 0
	v_lshl_add_u64 v[4:5], s[6:7], 0, v[2:3]
	s_mov_b64 s[6:7], 0
	v_mov_b32_e32 v2, v3
.LBB2113_3:                             ; =>This Inner Loop Header: Depth=1
	v_lshl_add_u64 v[6:7], v[4:5], 0, s[6:7]
	s_add_u32 s6, s6, 8
	s_addc_u32 s7, s7, 0
	s_cmp_lg_u32 s6, 32
	flat_store_dwordx2 v[6:7], v[2:3]
	s_cbranch_scc1 .LBB2113_3
.LBB2113_4:
	s_or_b64 exec, exec, s[2:3]
	s_mov_b64 s[6:7], 0
.LBB2113_5:
	s_andn2_b64 vcc, exec, s[6:7]
	s_cbranch_vccnz .LBB2113_8
; %bb.6:
	s_lshl_b64 s[0:1], s[0:1], 5
	s_add_u32 s0, s4, s0
	s_addc_u32 s1, s5, s1
	v_lshlrev_b32_e32 v0, 5, v0
	v_mov_b32_e32 v1, 0
	v_lshl_add_u64 v[2:3], s[0:1], 0, v[0:1]
	s_mov_b64 s[0:1], 0
	v_mov_b32_e32 v0, v1
.LBB2113_7:                             ; =>This Inner Loop Header: Depth=1
	v_lshl_add_u64 v[4:5], v[2:3], 0, s[0:1]
	s_add_u32 s0, s0, 8
	s_addc_u32 s1, s1, 0
	s_cmp_eq_u32 s0, 32
	flat_store_dwordx2 v[4:5], v[0:1]
	s_cbranch_scc0 .LBB2113_7
.LBB2113_8:
	s_endpgm
	.section	.rodata,"a",@progbits
	.p2align	6, 0x0
	.amdhsa_kernel _ZN6thrust23THRUST_200600_302600_NS11hip_rocprim14__parallel_for6kernelILj256ENS1_10for_each_fINS0_10device_ptrI11FixedVectorIiLj8EEEENS0_6detail16wrapped_functionINS9_23allocator_traits_detail24construct1_via_allocatorINS0_16device_allocatorIS7_EEEEvEEEEmLj1EEEvT0_T1_SJ_
		.amdhsa_group_segment_fixed_size 0
		.amdhsa_private_segment_fixed_size 0
		.amdhsa_kernarg_size 32
		.amdhsa_user_sgpr_count 2
		.amdhsa_user_sgpr_dispatch_ptr 0
		.amdhsa_user_sgpr_queue_ptr 0
		.amdhsa_user_sgpr_kernarg_segment_ptr 1
		.amdhsa_user_sgpr_dispatch_id 0
		.amdhsa_user_sgpr_kernarg_preload_length 0
		.amdhsa_user_sgpr_kernarg_preload_offset 0
		.amdhsa_user_sgpr_private_segment_size 0
		.amdhsa_uses_dynamic_stack 0
		.amdhsa_enable_private_segment 0
		.amdhsa_system_sgpr_workgroup_id_x 1
		.amdhsa_system_sgpr_workgroup_id_y 0
		.amdhsa_system_sgpr_workgroup_id_z 0
		.amdhsa_system_sgpr_workgroup_info 0
		.amdhsa_system_vgpr_workitem_id 0
		.amdhsa_next_free_vgpr 8
		.amdhsa_next_free_sgpr 12
		.amdhsa_accum_offset 8
		.amdhsa_reserve_vcc 1
		.amdhsa_float_round_mode_32 0
		.amdhsa_float_round_mode_16_64 0
		.amdhsa_float_denorm_mode_32 3
		.amdhsa_float_denorm_mode_16_64 3
		.amdhsa_dx10_clamp 1
		.amdhsa_ieee_mode 1
		.amdhsa_fp16_overflow 0
		.amdhsa_tg_split 0
		.amdhsa_exception_fp_ieee_invalid_op 0
		.amdhsa_exception_fp_denorm_src 0
		.amdhsa_exception_fp_ieee_div_zero 0
		.amdhsa_exception_fp_ieee_overflow 0
		.amdhsa_exception_fp_ieee_underflow 0
		.amdhsa_exception_fp_ieee_inexact 0
		.amdhsa_exception_int_div_zero 0
	.end_amdhsa_kernel
	.section	.text._ZN6thrust23THRUST_200600_302600_NS11hip_rocprim14__parallel_for6kernelILj256ENS1_10for_each_fINS0_10device_ptrI11FixedVectorIiLj8EEEENS0_6detail16wrapped_functionINS9_23allocator_traits_detail24construct1_via_allocatorINS0_16device_allocatorIS7_EEEEvEEEEmLj1EEEvT0_T1_SJ_,"axG",@progbits,_ZN6thrust23THRUST_200600_302600_NS11hip_rocprim14__parallel_for6kernelILj256ENS1_10for_each_fINS0_10device_ptrI11FixedVectorIiLj8EEEENS0_6detail16wrapped_functionINS9_23allocator_traits_detail24construct1_via_allocatorINS0_16device_allocatorIS7_EEEEvEEEEmLj1EEEvT0_T1_SJ_,comdat
.Lfunc_end2113:
	.size	_ZN6thrust23THRUST_200600_302600_NS11hip_rocprim14__parallel_for6kernelILj256ENS1_10for_each_fINS0_10device_ptrI11FixedVectorIiLj8EEEENS0_6detail16wrapped_functionINS9_23allocator_traits_detail24construct1_via_allocatorINS0_16device_allocatorIS7_EEEEvEEEEmLj1EEEvT0_T1_SJ_, .Lfunc_end2113-_ZN6thrust23THRUST_200600_302600_NS11hip_rocprim14__parallel_for6kernelILj256ENS1_10for_each_fINS0_10device_ptrI11FixedVectorIiLj8EEEENS0_6detail16wrapped_functionINS9_23allocator_traits_detail24construct1_via_allocatorINS0_16device_allocatorIS7_EEEEvEEEEmLj1EEEvT0_T1_SJ_
                                        ; -- End function
	.section	.AMDGPU.csdata,"",@progbits
; Kernel info:
; codeLenInByte = 228
; NumSgprs: 18
; NumVgprs: 8
; NumAgprs: 0
; TotalNumVgprs: 8
; ScratchSize: 0
; MemoryBound: 0
; FloatMode: 240
; IeeeMode: 1
; LDSByteSize: 0 bytes/workgroup (compile time only)
; SGPRBlocks: 2
; VGPRBlocks: 0
; NumSGPRsForWavesPerEU: 18
; NumVGPRsForWavesPerEU: 8
; AccumOffset: 8
; Occupancy: 8
; WaveLimiterHint : 0
; COMPUTE_PGM_RSRC2:SCRATCH_EN: 0
; COMPUTE_PGM_RSRC2:USER_SGPR: 2
; COMPUTE_PGM_RSRC2:TRAP_HANDLER: 0
; COMPUTE_PGM_RSRC2:TGID_X_EN: 1
; COMPUTE_PGM_RSRC2:TGID_Y_EN: 0
; COMPUTE_PGM_RSRC2:TGID_Z_EN: 0
; COMPUTE_PGM_RSRC2:TIDIG_COMP_CNT: 0
; COMPUTE_PGM_RSRC3_GFX90A:ACCUM_OFFSET: 1
; COMPUTE_PGM_RSRC3_GFX90A:TG_SPLIT: 0
	.section	.text._ZN7rocprim17ROCPRIM_400000_NS6detail30init_device_scan_by_key_kernelINS1_19lookback_scan_stateINS0_5tupleIJ11FixedVectorIiLj8EEbEEELb0ELb0EEEN6thrust23THRUST_200600_302600_NS6detail15normal_iteratorINSA_10device_ptrIjEEEEjNS1_16block_id_wrapperIjLb0EEEEEvT_jjPNSI_10value_typeET0_PNSt15iterator_traitsISL_E10value_typeEmT1_T2_,"axG",@progbits,_ZN7rocprim17ROCPRIM_400000_NS6detail30init_device_scan_by_key_kernelINS1_19lookback_scan_stateINS0_5tupleIJ11FixedVectorIiLj8EEbEEELb0ELb0EEEN6thrust23THRUST_200600_302600_NS6detail15normal_iteratorINSA_10device_ptrIjEEEEjNS1_16block_id_wrapperIjLb0EEEEEvT_jjPNSI_10value_typeET0_PNSt15iterator_traitsISL_E10value_typeEmT1_T2_,comdat
	.protected	_ZN7rocprim17ROCPRIM_400000_NS6detail30init_device_scan_by_key_kernelINS1_19lookback_scan_stateINS0_5tupleIJ11FixedVectorIiLj8EEbEEELb0ELb0EEEN6thrust23THRUST_200600_302600_NS6detail15normal_iteratorINSA_10device_ptrIjEEEEjNS1_16block_id_wrapperIjLb0EEEEEvT_jjPNSI_10value_typeET0_PNSt15iterator_traitsISL_E10value_typeEmT1_T2_ ; -- Begin function _ZN7rocprim17ROCPRIM_400000_NS6detail30init_device_scan_by_key_kernelINS1_19lookback_scan_stateINS0_5tupleIJ11FixedVectorIiLj8EEbEEELb0ELb0EEEN6thrust23THRUST_200600_302600_NS6detail15normal_iteratorINSA_10device_ptrIjEEEEjNS1_16block_id_wrapperIjLb0EEEEEvT_jjPNSI_10value_typeET0_PNSt15iterator_traitsISL_E10value_typeEmT1_T2_
	.globl	_ZN7rocprim17ROCPRIM_400000_NS6detail30init_device_scan_by_key_kernelINS1_19lookback_scan_stateINS0_5tupleIJ11FixedVectorIiLj8EEbEEELb0ELb0EEEN6thrust23THRUST_200600_302600_NS6detail15normal_iteratorINSA_10device_ptrIjEEEEjNS1_16block_id_wrapperIjLb0EEEEEvT_jjPNSI_10value_typeET0_PNSt15iterator_traitsISL_E10value_typeEmT1_T2_
	.p2align	8
	.type	_ZN7rocprim17ROCPRIM_400000_NS6detail30init_device_scan_by_key_kernelINS1_19lookback_scan_stateINS0_5tupleIJ11FixedVectorIiLj8EEbEEELb0ELb0EEEN6thrust23THRUST_200600_302600_NS6detail15normal_iteratorINSA_10device_ptrIjEEEEjNS1_16block_id_wrapperIjLb0EEEEEvT_jjPNSI_10value_typeET0_PNSt15iterator_traitsISL_E10value_typeEmT1_T2_,@function
_ZN7rocprim17ROCPRIM_400000_NS6detail30init_device_scan_by_key_kernelINS1_19lookback_scan_stateINS0_5tupleIJ11FixedVectorIiLj8EEbEEELb0ELb0EEEN6thrust23THRUST_200600_302600_NS6detail15normal_iteratorINSA_10device_ptrIjEEEEjNS1_16block_id_wrapperIjLb0EEEEEvT_jjPNSI_10value_typeET0_PNSt15iterator_traitsISL_E10value_typeEmT1_T2_: ; @_ZN7rocprim17ROCPRIM_400000_NS6detail30init_device_scan_by_key_kernelINS1_19lookback_scan_stateINS0_5tupleIJ11FixedVectorIiLj8EEbEEELb0ELb0EEEN6thrust23THRUST_200600_302600_NS6detail15normal_iteratorINSA_10device_ptrIjEEEEjNS1_16block_id_wrapperIjLb0EEEEEvT_jjPNSI_10value_typeET0_PNSt15iterator_traitsISL_E10value_typeEmT1_T2_
; %bb.0:
	s_load_dword s3, s[0:1], 0x54
	s_load_dwordx8 s[4:11], s[0:1], 0x10
	s_load_dword s18, s[0:1], 0x48
	s_waitcnt lgkmcnt(0)
	s_and_b32 s19, s3, 0xffff
	s_mul_i32 s2, s2, s19
	s_cmp_eq_u64 s[8:9], 0
	v_add_u32_e32 v0, s2, v0
	s_cbranch_scc1 .LBB2114_7
; %bb.1:
	s_cmp_lt_u32 s7, s6
	s_cselect_b32 s2, s7, 0
	v_cmp_eq_u32_e32 vcc, s2, v0
	s_and_saveexec_b64 s[2:3], vcc
	s_cbranch_execz .LBB2114_6
; %bb.2:
	s_add_i32 s7, s7, 64
	v_mov_b32_e32 v1, s7
	global_load_ubyte v1, v1, s[4:5] sc1
	s_load_dwordx4 s[12:15], s[0:1], 0x0
	s_add_u32 s16, s4, s7
	s_addc_u32 s17, s5, 0
	s_waitcnt vmcnt(0)
	v_cmp_ne_u16_e32 vcc, 0, v1
	v_readfirstlane_b32 s20, v1
	s_cbranch_vccnz .LBB2114_5
; %bb.3:
	v_mov_b32_e32 v1, 0
.LBB2114_4:                             ; =>This Inner Loop Header: Depth=1
	global_load_ubyte v2, v1, s[16:17] sc1
	s_waitcnt vmcnt(0)
	v_cmp_eq_u16_e32 vcc, 0, v2
	v_readfirstlane_b32 s20, v2
	s_cbranch_vccnz .LBB2114_4
.LBB2114_5:
	s_and_b32 s16, 0xffff, s20
	s_cmp_eq_u32 s16, 1
	s_waitcnt lgkmcnt(0)
	s_cselect_b32 s12, s12, s14
	s_mul_hi_u32 s14, s7, 36
	s_mul_i32 s7, s7, 36
	s_cselect_b32 s13, s13, s15
	s_add_u32 s12, s12, s7
	s_addc_u32 s13, s13, s14
	v_mov_b32_e32 v1, 0
	s_waitcnt vmcnt(0)
	global_load_dword v2, v1, s[12:13] sc1
	global_load_dword v3, v1, s[12:13] offset:4 sc1
	global_load_dword v4, v1, s[12:13] offset:8 sc1
	;; [unrolled: 1-line block ×8, first 2 shown]
	s_waitcnt vmcnt(5)
	global_store_dwordx4 v1, v[2:5], s[8:9]
	s_waitcnt vmcnt(2)
	global_store_dwordx4 v1, v[6:9], s[8:9] offset:16
	s_waitcnt vmcnt(2)
	global_store_byte v1, v10, s[8:9] offset:32
.LBB2114_6:
	s_or_b64 exec, exec, s[2:3]
.LBB2114_7:
	v_cmp_gt_u32_e32 vcc, s6, v0
	s_and_saveexec_b64 s[2:3], vcc
	s_cbranch_execz .LBB2114_9
; %bb.8:
	v_add_u32_e32 v1, 64, v0
	v_mov_b32_e32 v2, 0
	global_store_byte v1, v2, s[4:5]
.LBB2114_9:
	s_or_b64 exec, exec, s[2:3]
	v_cmp_gt_u32_e32 vcc, 64, v0
	v_mov_b32_e32 v1, 0
	s_and_saveexec_b64 s[2:3], vcc
	s_cbranch_execz .LBB2114_11
; %bb.10:
	v_lshl_add_u64 v[2:3], s[4:5], 0, v[0:1]
	v_mov_b32_e32 v4, 0xff
	global_store_byte v[2:3], v4, off
.LBB2114_11:
	s_or_b64 exec, exec, s[2:3]
	s_load_dwordx2 s[2:3], s[0:1], 0x38
	s_waitcnt lgkmcnt(0)
	v_cmp_gt_u64_e32 vcc, s[2:3], v[0:1]
	s_and_saveexec_b64 s[4:5], vcc
	s_cbranch_execz .LBB2114_14
; %bb.12:
	s_load_dword s12, s[0:1], 0x40
	s_load_dwordx2 s[6:7], s[0:1], 0x30
	s_mov_b32 s5, 0
	s_mov_b32 s1, s5
	s_mul_i32 s0, s18, s19
	s_waitcnt lgkmcnt(0)
	s_add_i32 s4, s12, -1
	s_lshl_b64 s[4:5], s[4:5], 2
	s_add_u32 s4, s10, s4
	v_mad_u64_u32 v[2:3], s[8:9], s12, v0, 0
	s_addc_u32 s5, s11, s5
	v_lshl_add_u64 v[2:3], v[2:3], 2, s[4:5]
	s_mul_hi_u32 s5, s12, s0
	s_mul_i32 s4, s12, s0
	s_lshl_b64 s[4:5], s[4:5], 2
	v_lshl_add_u64 v[4:5], v[0:1], 2, s[6:7]
	s_lshl_b64 s[6:7], s[0:1], 2
	s_mov_b64 s[8:9], 0
.LBB2114_13:                            ; =>This Inner Loop Header: Depth=1
	global_load_dword v6, v[2:3], off
	v_lshl_add_u64 v[0:1], v[0:1], 0, s[0:1]
	v_cmp_le_u64_e32 vcc, s[2:3], v[0:1]
	v_lshl_add_u64 v[2:3], v[2:3], 0, s[4:5]
	s_or_b64 s[8:9], vcc, s[8:9]
	s_waitcnt vmcnt(0)
	global_store_dword v[4:5], v6, off
	v_lshl_add_u64 v[4:5], v[4:5], 0, s[6:7]
	s_andn2_b64 exec, exec, s[8:9]
	s_cbranch_execnz .LBB2114_13
.LBB2114_14:
	s_endpgm
	.section	.rodata,"a",@progbits
	.p2align	6, 0x0
	.amdhsa_kernel _ZN7rocprim17ROCPRIM_400000_NS6detail30init_device_scan_by_key_kernelINS1_19lookback_scan_stateINS0_5tupleIJ11FixedVectorIiLj8EEbEEELb0ELb0EEEN6thrust23THRUST_200600_302600_NS6detail15normal_iteratorINSA_10device_ptrIjEEEEjNS1_16block_id_wrapperIjLb0EEEEEvT_jjPNSI_10value_typeET0_PNSt15iterator_traitsISL_E10value_typeEmT1_T2_
		.amdhsa_group_segment_fixed_size 0
		.amdhsa_private_segment_fixed_size 0
		.amdhsa_kernarg_size 328
		.amdhsa_user_sgpr_count 2
		.amdhsa_user_sgpr_dispatch_ptr 0
		.amdhsa_user_sgpr_queue_ptr 0
		.amdhsa_user_sgpr_kernarg_segment_ptr 1
		.amdhsa_user_sgpr_dispatch_id 0
		.amdhsa_user_sgpr_kernarg_preload_length 0
		.amdhsa_user_sgpr_kernarg_preload_offset 0
		.amdhsa_user_sgpr_private_segment_size 0
		.amdhsa_uses_dynamic_stack 0
		.amdhsa_enable_private_segment 0
		.amdhsa_system_sgpr_workgroup_id_x 1
		.amdhsa_system_sgpr_workgroup_id_y 0
		.amdhsa_system_sgpr_workgroup_id_z 0
		.amdhsa_system_sgpr_workgroup_info 0
		.amdhsa_system_vgpr_workitem_id 0
		.amdhsa_next_free_vgpr 11
		.amdhsa_next_free_sgpr 21
		.amdhsa_accum_offset 12
		.amdhsa_reserve_vcc 1
		.amdhsa_float_round_mode_32 0
		.amdhsa_float_round_mode_16_64 0
		.amdhsa_float_denorm_mode_32 3
		.amdhsa_float_denorm_mode_16_64 3
		.amdhsa_dx10_clamp 1
		.amdhsa_ieee_mode 1
		.amdhsa_fp16_overflow 0
		.amdhsa_tg_split 0
		.amdhsa_exception_fp_ieee_invalid_op 0
		.amdhsa_exception_fp_denorm_src 0
		.amdhsa_exception_fp_ieee_div_zero 0
		.amdhsa_exception_fp_ieee_overflow 0
		.amdhsa_exception_fp_ieee_underflow 0
		.amdhsa_exception_fp_ieee_inexact 0
		.amdhsa_exception_int_div_zero 0
	.end_amdhsa_kernel
	.section	.text._ZN7rocprim17ROCPRIM_400000_NS6detail30init_device_scan_by_key_kernelINS1_19lookback_scan_stateINS0_5tupleIJ11FixedVectorIiLj8EEbEEELb0ELb0EEEN6thrust23THRUST_200600_302600_NS6detail15normal_iteratorINSA_10device_ptrIjEEEEjNS1_16block_id_wrapperIjLb0EEEEEvT_jjPNSI_10value_typeET0_PNSt15iterator_traitsISL_E10value_typeEmT1_T2_,"axG",@progbits,_ZN7rocprim17ROCPRIM_400000_NS6detail30init_device_scan_by_key_kernelINS1_19lookback_scan_stateINS0_5tupleIJ11FixedVectorIiLj8EEbEEELb0ELb0EEEN6thrust23THRUST_200600_302600_NS6detail15normal_iteratorINSA_10device_ptrIjEEEEjNS1_16block_id_wrapperIjLb0EEEEEvT_jjPNSI_10value_typeET0_PNSt15iterator_traitsISL_E10value_typeEmT1_T2_,comdat
.Lfunc_end2114:
	.size	_ZN7rocprim17ROCPRIM_400000_NS6detail30init_device_scan_by_key_kernelINS1_19lookback_scan_stateINS0_5tupleIJ11FixedVectorIiLj8EEbEEELb0ELb0EEEN6thrust23THRUST_200600_302600_NS6detail15normal_iteratorINSA_10device_ptrIjEEEEjNS1_16block_id_wrapperIjLb0EEEEEvT_jjPNSI_10value_typeET0_PNSt15iterator_traitsISL_E10value_typeEmT1_T2_, .Lfunc_end2114-_ZN7rocprim17ROCPRIM_400000_NS6detail30init_device_scan_by_key_kernelINS1_19lookback_scan_stateINS0_5tupleIJ11FixedVectorIiLj8EEbEEELb0ELb0EEEN6thrust23THRUST_200600_302600_NS6detail15normal_iteratorINSA_10device_ptrIjEEEEjNS1_16block_id_wrapperIjLb0EEEEEvT_jjPNSI_10value_typeET0_PNSt15iterator_traitsISL_E10value_typeEmT1_T2_
                                        ; -- End function
	.section	.AMDGPU.csdata,"",@progbits
; Kernel info:
; codeLenInByte = 564
; NumSgprs: 27
; NumVgprs: 11
; NumAgprs: 0
; TotalNumVgprs: 11
; ScratchSize: 0
; MemoryBound: 0
; FloatMode: 240
; IeeeMode: 1
; LDSByteSize: 0 bytes/workgroup (compile time only)
; SGPRBlocks: 3
; VGPRBlocks: 1
; NumSGPRsForWavesPerEU: 27
; NumVGPRsForWavesPerEU: 11
; AccumOffset: 12
; Occupancy: 8
; WaveLimiterHint : 0
; COMPUTE_PGM_RSRC2:SCRATCH_EN: 0
; COMPUTE_PGM_RSRC2:USER_SGPR: 2
; COMPUTE_PGM_RSRC2:TRAP_HANDLER: 0
; COMPUTE_PGM_RSRC2:TGID_X_EN: 1
; COMPUTE_PGM_RSRC2:TGID_Y_EN: 0
; COMPUTE_PGM_RSRC2:TGID_Z_EN: 0
; COMPUTE_PGM_RSRC2:TIDIG_COMP_CNT: 0
; COMPUTE_PGM_RSRC3_GFX90A:ACCUM_OFFSET: 2
; COMPUTE_PGM_RSRC3_GFX90A:TG_SPLIT: 0
	.section	.text._ZN7rocprim17ROCPRIM_400000_NS6detail30init_device_scan_by_key_kernelINS1_19lookback_scan_stateINS0_5tupleIJ11FixedVectorIiLj8EEbEEELb0ELb0EEENS1_16block_id_wrapperIjLb0EEEEEvT_jjPNSB_10value_typeET0_,"axG",@progbits,_ZN7rocprim17ROCPRIM_400000_NS6detail30init_device_scan_by_key_kernelINS1_19lookback_scan_stateINS0_5tupleIJ11FixedVectorIiLj8EEbEEELb0ELb0EEENS1_16block_id_wrapperIjLb0EEEEEvT_jjPNSB_10value_typeET0_,comdat
	.protected	_ZN7rocprim17ROCPRIM_400000_NS6detail30init_device_scan_by_key_kernelINS1_19lookback_scan_stateINS0_5tupleIJ11FixedVectorIiLj8EEbEEELb0ELb0EEENS1_16block_id_wrapperIjLb0EEEEEvT_jjPNSB_10value_typeET0_ ; -- Begin function _ZN7rocprim17ROCPRIM_400000_NS6detail30init_device_scan_by_key_kernelINS1_19lookback_scan_stateINS0_5tupleIJ11FixedVectorIiLj8EEbEEELb0ELb0EEENS1_16block_id_wrapperIjLb0EEEEEvT_jjPNSB_10value_typeET0_
	.globl	_ZN7rocprim17ROCPRIM_400000_NS6detail30init_device_scan_by_key_kernelINS1_19lookback_scan_stateINS0_5tupleIJ11FixedVectorIiLj8EEbEEELb0ELb0EEENS1_16block_id_wrapperIjLb0EEEEEvT_jjPNSB_10value_typeET0_
	.p2align	8
	.type	_ZN7rocprim17ROCPRIM_400000_NS6detail30init_device_scan_by_key_kernelINS1_19lookback_scan_stateINS0_5tupleIJ11FixedVectorIiLj8EEbEEELb0ELb0EEENS1_16block_id_wrapperIjLb0EEEEEvT_jjPNSB_10value_typeET0_,@function
_ZN7rocprim17ROCPRIM_400000_NS6detail30init_device_scan_by_key_kernelINS1_19lookback_scan_stateINS0_5tupleIJ11FixedVectorIiLj8EEbEEELb0ELb0EEENS1_16block_id_wrapperIjLb0EEEEEvT_jjPNSB_10value_typeET0_: ; @_ZN7rocprim17ROCPRIM_400000_NS6detail30init_device_scan_by_key_kernelINS1_19lookback_scan_stateINS0_5tupleIJ11FixedVectorIiLj8EEbEEELb0ELb0EEENS1_16block_id_wrapperIjLb0EEEEEvT_jjPNSB_10value_typeET0_
; %bb.0:
	s_load_dword s3, s[0:1], 0x3c
	s_load_dwordx2 s[8:9], s[0:1], 0x20
	s_load_dwordx4 s[4:7], s[0:1], 0x10
	s_waitcnt lgkmcnt(0)
	s_and_b32 s3, s3, 0xffff
	s_mul_i32 s2, s2, s3
	s_cmp_eq_u64 s[8:9], 0
	v_add_u32_e32 v0, s2, v0
	s_cbranch_scc1 .LBB2115_7
; %bb.1:
	s_cmp_lt_u32 s7, s6
	s_cselect_b32 s2, s7, 0
	v_cmp_eq_u32_e32 vcc, s2, v0
	s_and_saveexec_b64 s[10:11], vcc
	s_cbranch_execz .LBB2115_6
; %bb.2:
	s_add_i32 s7, s7, 64
	v_mov_b32_e32 v1, s7
	global_load_ubyte v1, v1, s[4:5] sc1
	s_load_dwordx4 s[0:3], s[0:1], 0x0
	s_add_u32 s12, s4, s7
	s_addc_u32 s13, s5, 0
	s_waitcnt vmcnt(0)
	v_cmp_ne_u16_e32 vcc, 0, v1
	v_readfirstlane_b32 s14, v1
	s_cbranch_vccnz .LBB2115_5
; %bb.3:
	v_mov_b32_e32 v1, 0
.LBB2115_4:                             ; =>This Inner Loop Header: Depth=1
	global_load_ubyte v2, v1, s[12:13] sc1
	s_waitcnt vmcnt(0)
	v_cmp_eq_u16_e32 vcc, 0, v2
	v_readfirstlane_b32 s14, v2
	s_cbranch_vccnz .LBB2115_4
.LBB2115_5:
	s_and_b32 s12, 0xffff, s14
	s_cmp_eq_u32 s12, 1
	s_waitcnt lgkmcnt(0)
	s_cselect_b32 s1, s1, s3
	s_cselect_b32 s0, s0, s2
	s_mul_i32 s3, s7, 36
	s_mul_hi_u32 s2, s7, 36
	s_add_u32 s0, s0, s3
	s_addc_u32 s1, s1, s2
	v_mov_b32_e32 v1, 0
	s_waitcnt vmcnt(0)
	global_load_dword v2, v1, s[0:1] sc1
	global_load_dword v3, v1, s[0:1] offset:4 sc1
	global_load_dword v4, v1, s[0:1] offset:8 sc1
	;; [unrolled: 1-line block ×8, first 2 shown]
	s_waitcnt vmcnt(5)
	global_store_dwordx4 v1, v[2:5], s[8:9]
	s_waitcnt vmcnt(2)
	global_store_dwordx4 v1, v[6:9], s[8:9] offset:16
	s_waitcnt vmcnt(2)
	global_store_byte v1, v10, s[8:9] offset:32
.LBB2115_6:
	s_or_b64 exec, exec, s[10:11]
.LBB2115_7:
	v_cmp_gt_u32_e32 vcc, s6, v0
	s_and_saveexec_b64 s[0:1], vcc
	s_cbranch_execnz .LBB2115_10
; %bb.8:
	s_or_b64 exec, exec, s[0:1]
	v_cmp_gt_u32_e32 vcc, 64, v0
	s_and_saveexec_b64 s[0:1], vcc
	s_cbranch_execnz .LBB2115_11
.LBB2115_9:
	s_endpgm
.LBB2115_10:
	v_add_u32_e32 v1, 64, v0
	v_mov_b32_e32 v2, 0
	global_store_byte v1, v2, s[4:5]
	s_or_b64 exec, exec, s[0:1]
	v_cmp_gt_u32_e32 vcc, 64, v0
	s_and_saveexec_b64 s[0:1], vcc
	s_cbranch_execz .LBB2115_9
.LBB2115_11:
	v_mov_b32_e32 v1, 0xff
	global_store_byte v0, v1, s[4:5]
	s_endpgm
	.section	.rodata,"a",@progbits
	.p2align	6, 0x0
	.amdhsa_kernel _ZN7rocprim17ROCPRIM_400000_NS6detail30init_device_scan_by_key_kernelINS1_19lookback_scan_stateINS0_5tupleIJ11FixedVectorIiLj8EEbEEELb0ELb0EEENS1_16block_id_wrapperIjLb0EEEEEvT_jjPNSB_10value_typeET0_
		.amdhsa_group_segment_fixed_size 0
		.amdhsa_private_segment_fixed_size 0
		.amdhsa_kernarg_size 304
		.amdhsa_user_sgpr_count 2
		.amdhsa_user_sgpr_dispatch_ptr 0
		.amdhsa_user_sgpr_queue_ptr 0
		.amdhsa_user_sgpr_kernarg_segment_ptr 1
		.amdhsa_user_sgpr_dispatch_id 0
		.amdhsa_user_sgpr_kernarg_preload_length 0
		.amdhsa_user_sgpr_kernarg_preload_offset 0
		.amdhsa_user_sgpr_private_segment_size 0
		.amdhsa_uses_dynamic_stack 0
		.amdhsa_enable_private_segment 0
		.amdhsa_system_sgpr_workgroup_id_x 1
		.amdhsa_system_sgpr_workgroup_id_y 0
		.amdhsa_system_sgpr_workgroup_id_z 0
		.amdhsa_system_sgpr_workgroup_info 0
		.amdhsa_system_vgpr_workitem_id 0
		.amdhsa_next_free_vgpr 11
		.amdhsa_next_free_sgpr 15
		.amdhsa_accum_offset 12
		.amdhsa_reserve_vcc 1
		.amdhsa_float_round_mode_32 0
		.amdhsa_float_round_mode_16_64 0
		.amdhsa_float_denorm_mode_32 3
		.amdhsa_float_denorm_mode_16_64 3
		.amdhsa_dx10_clamp 1
		.amdhsa_ieee_mode 1
		.amdhsa_fp16_overflow 0
		.amdhsa_tg_split 0
		.amdhsa_exception_fp_ieee_invalid_op 0
		.amdhsa_exception_fp_denorm_src 0
		.amdhsa_exception_fp_ieee_div_zero 0
		.amdhsa_exception_fp_ieee_overflow 0
		.amdhsa_exception_fp_ieee_underflow 0
		.amdhsa_exception_fp_ieee_inexact 0
		.amdhsa_exception_int_div_zero 0
	.end_amdhsa_kernel
	.section	.text._ZN7rocprim17ROCPRIM_400000_NS6detail30init_device_scan_by_key_kernelINS1_19lookback_scan_stateINS0_5tupleIJ11FixedVectorIiLj8EEbEEELb0ELb0EEENS1_16block_id_wrapperIjLb0EEEEEvT_jjPNSB_10value_typeET0_,"axG",@progbits,_ZN7rocprim17ROCPRIM_400000_NS6detail30init_device_scan_by_key_kernelINS1_19lookback_scan_stateINS0_5tupleIJ11FixedVectorIiLj8EEbEEELb0ELb0EEENS1_16block_id_wrapperIjLb0EEEEEvT_jjPNSB_10value_typeET0_,comdat
.Lfunc_end2115:
	.size	_ZN7rocprim17ROCPRIM_400000_NS6detail30init_device_scan_by_key_kernelINS1_19lookback_scan_stateINS0_5tupleIJ11FixedVectorIiLj8EEbEEELb0ELb0EEENS1_16block_id_wrapperIjLb0EEEEEvT_jjPNSB_10value_typeET0_, .Lfunc_end2115-_ZN7rocprim17ROCPRIM_400000_NS6detail30init_device_scan_by_key_kernelINS1_19lookback_scan_stateINS0_5tupleIJ11FixedVectorIiLj8EEbEEELb0ELb0EEENS1_16block_id_wrapperIjLb0EEEEEvT_jjPNSB_10value_typeET0_
                                        ; -- End function
	.section	.AMDGPU.csdata,"",@progbits
; Kernel info:
; codeLenInByte = 392
; NumSgprs: 21
; NumVgprs: 11
; NumAgprs: 0
; TotalNumVgprs: 11
; ScratchSize: 0
; MemoryBound: 0
; FloatMode: 240
; IeeeMode: 1
; LDSByteSize: 0 bytes/workgroup (compile time only)
; SGPRBlocks: 2
; VGPRBlocks: 1
; NumSGPRsForWavesPerEU: 21
; NumVGPRsForWavesPerEU: 11
; AccumOffset: 12
; Occupancy: 8
; WaveLimiterHint : 0
; COMPUTE_PGM_RSRC2:SCRATCH_EN: 0
; COMPUTE_PGM_RSRC2:USER_SGPR: 2
; COMPUTE_PGM_RSRC2:TRAP_HANDLER: 0
; COMPUTE_PGM_RSRC2:TGID_X_EN: 1
; COMPUTE_PGM_RSRC2:TGID_Y_EN: 0
; COMPUTE_PGM_RSRC2:TGID_Z_EN: 0
; COMPUTE_PGM_RSRC2:TIDIG_COMP_CNT: 0
; COMPUTE_PGM_RSRC3_GFX90A:ACCUM_OFFSET: 2
; COMPUTE_PGM_RSRC3_GFX90A:TG_SPLIT: 0
	.section	.text._ZN7rocprim17ROCPRIM_400000_NS6detail17trampoline_kernelINS0_14default_configENS1_27scan_by_key_config_selectorIj11FixedVectorIiLj8EEEEZZNS1_16scan_by_key_implILNS1_25lookback_scan_determinismE0ELb0ES3_N6thrust23THRUST_200600_302600_NS6detail15normal_iteratorINSB_10device_ptrIjEEEENSD_INSE_IS6_EEEESI_S6_NSB_4plusIvEENSB_8equal_toIvEES6_EE10hipError_tPvRmT2_T3_T4_T5_mT6_T7_P12ihipStream_tbENKUlT_T0_E_clISt17integral_constantIbLb0EES13_EEDaSY_SZ_EUlSY_E_NS1_11comp_targetILNS1_3genE0ELNS1_11target_archE4294967295ELNS1_3gpuE0ELNS1_3repE0EEENS1_30default_config_static_selectorELNS0_4arch9wavefront6targetE1EEEvT1_,"axG",@progbits,_ZN7rocprim17ROCPRIM_400000_NS6detail17trampoline_kernelINS0_14default_configENS1_27scan_by_key_config_selectorIj11FixedVectorIiLj8EEEEZZNS1_16scan_by_key_implILNS1_25lookback_scan_determinismE0ELb0ES3_N6thrust23THRUST_200600_302600_NS6detail15normal_iteratorINSB_10device_ptrIjEEEENSD_INSE_IS6_EEEESI_S6_NSB_4plusIvEENSB_8equal_toIvEES6_EE10hipError_tPvRmT2_T3_T4_T5_mT6_T7_P12ihipStream_tbENKUlT_T0_E_clISt17integral_constantIbLb0EES13_EEDaSY_SZ_EUlSY_E_NS1_11comp_targetILNS1_3genE0ELNS1_11target_archE4294967295ELNS1_3gpuE0ELNS1_3repE0EEENS1_30default_config_static_selectorELNS0_4arch9wavefront6targetE1EEEvT1_,comdat
	.protected	_ZN7rocprim17ROCPRIM_400000_NS6detail17trampoline_kernelINS0_14default_configENS1_27scan_by_key_config_selectorIj11FixedVectorIiLj8EEEEZZNS1_16scan_by_key_implILNS1_25lookback_scan_determinismE0ELb0ES3_N6thrust23THRUST_200600_302600_NS6detail15normal_iteratorINSB_10device_ptrIjEEEENSD_INSE_IS6_EEEESI_S6_NSB_4plusIvEENSB_8equal_toIvEES6_EE10hipError_tPvRmT2_T3_T4_T5_mT6_T7_P12ihipStream_tbENKUlT_T0_E_clISt17integral_constantIbLb0EES13_EEDaSY_SZ_EUlSY_E_NS1_11comp_targetILNS1_3genE0ELNS1_11target_archE4294967295ELNS1_3gpuE0ELNS1_3repE0EEENS1_30default_config_static_selectorELNS0_4arch9wavefront6targetE1EEEvT1_ ; -- Begin function _ZN7rocprim17ROCPRIM_400000_NS6detail17trampoline_kernelINS0_14default_configENS1_27scan_by_key_config_selectorIj11FixedVectorIiLj8EEEEZZNS1_16scan_by_key_implILNS1_25lookback_scan_determinismE0ELb0ES3_N6thrust23THRUST_200600_302600_NS6detail15normal_iteratorINSB_10device_ptrIjEEEENSD_INSE_IS6_EEEESI_S6_NSB_4plusIvEENSB_8equal_toIvEES6_EE10hipError_tPvRmT2_T3_T4_T5_mT6_T7_P12ihipStream_tbENKUlT_T0_E_clISt17integral_constantIbLb0EES13_EEDaSY_SZ_EUlSY_E_NS1_11comp_targetILNS1_3genE0ELNS1_11target_archE4294967295ELNS1_3gpuE0ELNS1_3repE0EEENS1_30default_config_static_selectorELNS0_4arch9wavefront6targetE1EEEvT1_
	.globl	_ZN7rocprim17ROCPRIM_400000_NS6detail17trampoline_kernelINS0_14default_configENS1_27scan_by_key_config_selectorIj11FixedVectorIiLj8EEEEZZNS1_16scan_by_key_implILNS1_25lookback_scan_determinismE0ELb0ES3_N6thrust23THRUST_200600_302600_NS6detail15normal_iteratorINSB_10device_ptrIjEEEENSD_INSE_IS6_EEEESI_S6_NSB_4plusIvEENSB_8equal_toIvEES6_EE10hipError_tPvRmT2_T3_T4_T5_mT6_T7_P12ihipStream_tbENKUlT_T0_E_clISt17integral_constantIbLb0EES13_EEDaSY_SZ_EUlSY_E_NS1_11comp_targetILNS1_3genE0ELNS1_11target_archE4294967295ELNS1_3gpuE0ELNS1_3repE0EEENS1_30default_config_static_selectorELNS0_4arch9wavefront6targetE1EEEvT1_
	.p2align	8
	.type	_ZN7rocprim17ROCPRIM_400000_NS6detail17trampoline_kernelINS0_14default_configENS1_27scan_by_key_config_selectorIj11FixedVectorIiLj8EEEEZZNS1_16scan_by_key_implILNS1_25lookback_scan_determinismE0ELb0ES3_N6thrust23THRUST_200600_302600_NS6detail15normal_iteratorINSB_10device_ptrIjEEEENSD_INSE_IS6_EEEESI_S6_NSB_4plusIvEENSB_8equal_toIvEES6_EE10hipError_tPvRmT2_T3_T4_T5_mT6_T7_P12ihipStream_tbENKUlT_T0_E_clISt17integral_constantIbLb0EES13_EEDaSY_SZ_EUlSY_E_NS1_11comp_targetILNS1_3genE0ELNS1_11target_archE4294967295ELNS1_3gpuE0ELNS1_3repE0EEENS1_30default_config_static_selectorELNS0_4arch9wavefront6targetE1EEEvT1_,@function
_ZN7rocprim17ROCPRIM_400000_NS6detail17trampoline_kernelINS0_14default_configENS1_27scan_by_key_config_selectorIj11FixedVectorIiLj8EEEEZZNS1_16scan_by_key_implILNS1_25lookback_scan_determinismE0ELb0ES3_N6thrust23THRUST_200600_302600_NS6detail15normal_iteratorINSB_10device_ptrIjEEEENSD_INSE_IS6_EEEESI_S6_NSB_4plusIvEENSB_8equal_toIvEES6_EE10hipError_tPvRmT2_T3_T4_T5_mT6_T7_P12ihipStream_tbENKUlT_T0_E_clISt17integral_constantIbLb0EES13_EEDaSY_SZ_EUlSY_E_NS1_11comp_targetILNS1_3genE0ELNS1_11target_archE4294967295ELNS1_3gpuE0ELNS1_3repE0EEENS1_30default_config_static_selectorELNS0_4arch9wavefront6targetE1EEEvT1_: ; @_ZN7rocprim17ROCPRIM_400000_NS6detail17trampoline_kernelINS0_14default_configENS1_27scan_by_key_config_selectorIj11FixedVectorIiLj8EEEEZZNS1_16scan_by_key_implILNS1_25lookback_scan_determinismE0ELb0ES3_N6thrust23THRUST_200600_302600_NS6detail15normal_iteratorINSB_10device_ptrIjEEEENSD_INSE_IS6_EEEESI_S6_NSB_4plusIvEENSB_8equal_toIvEES6_EE10hipError_tPvRmT2_T3_T4_T5_mT6_T7_P12ihipStream_tbENKUlT_T0_E_clISt17integral_constantIbLb0EES13_EEDaSY_SZ_EUlSY_E_NS1_11comp_targetILNS1_3genE0ELNS1_11target_archE4294967295ELNS1_3gpuE0ELNS1_3repE0EEENS1_30default_config_static_selectorELNS0_4arch9wavefront6targetE1EEEvT1_
; %bb.0:
	.section	.rodata,"a",@progbits
	.p2align	6, 0x0
	.amdhsa_kernel _ZN7rocprim17ROCPRIM_400000_NS6detail17trampoline_kernelINS0_14default_configENS1_27scan_by_key_config_selectorIj11FixedVectorIiLj8EEEEZZNS1_16scan_by_key_implILNS1_25lookback_scan_determinismE0ELb0ES3_N6thrust23THRUST_200600_302600_NS6detail15normal_iteratorINSB_10device_ptrIjEEEENSD_INSE_IS6_EEEESI_S6_NSB_4plusIvEENSB_8equal_toIvEES6_EE10hipError_tPvRmT2_T3_T4_T5_mT6_T7_P12ihipStream_tbENKUlT_T0_E_clISt17integral_constantIbLb0EES13_EEDaSY_SZ_EUlSY_E_NS1_11comp_targetILNS1_3genE0ELNS1_11target_archE4294967295ELNS1_3gpuE0ELNS1_3repE0EEENS1_30default_config_static_selectorELNS0_4arch9wavefront6targetE1EEEvT1_
		.amdhsa_group_segment_fixed_size 0
		.amdhsa_private_segment_fixed_size 0
		.amdhsa_kernarg_size 160
		.amdhsa_user_sgpr_count 2
		.amdhsa_user_sgpr_dispatch_ptr 0
		.amdhsa_user_sgpr_queue_ptr 0
		.amdhsa_user_sgpr_kernarg_segment_ptr 1
		.amdhsa_user_sgpr_dispatch_id 0
		.amdhsa_user_sgpr_kernarg_preload_length 0
		.amdhsa_user_sgpr_kernarg_preload_offset 0
		.amdhsa_user_sgpr_private_segment_size 0
		.amdhsa_uses_dynamic_stack 0
		.amdhsa_enable_private_segment 0
		.amdhsa_system_sgpr_workgroup_id_x 1
		.amdhsa_system_sgpr_workgroup_id_y 0
		.amdhsa_system_sgpr_workgroup_id_z 0
		.amdhsa_system_sgpr_workgroup_info 0
		.amdhsa_system_vgpr_workitem_id 0
		.amdhsa_next_free_vgpr 1
		.amdhsa_next_free_sgpr 0
		.amdhsa_accum_offset 4
		.amdhsa_reserve_vcc 0
		.amdhsa_float_round_mode_32 0
		.amdhsa_float_round_mode_16_64 0
		.amdhsa_float_denorm_mode_32 3
		.amdhsa_float_denorm_mode_16_64 3
		.amdhsa_dx10_clamp 1
		.amdhsa_ieee_mode 1
		.amdhsa_fp16_overflow 0
		.amdhsa_tg_split 0
		.amdhsa_exception_fp_ieee_invalid_op 0
		.amdhsa_exception_fp_denorm_src 0
		.amdhsa_exception_fp_ieee_div_zero 0
		.amdhsa_exception_fp_ieee_overflow 0
		.amdhsa_exception_fp_ieee_underflow 0
		.amdhsa_exception_fp_ieee_inexact 0
		.amdhsa_exception_int_div_zero 0
	.end_amdhsa_kernel
	.section	.text._ZN7rocprim17ROCPRIM_400000_NS6detail17trampoline_kernelINS0_14default_configENS1_27scan_by_key_config_selectorIj11FixedVectorIiLj8EEEEZZNS1_16scan_by_key_implILNS1_25lookback_scan_determinismE0ELb0ES3_N6thrust23THRUST_200600_302600_NS6detail15normal_iteratorINSB_10device_ptrIjEEEENSD_INSE_IS6_EEEESI_S6_NSB_4plusIvEENSB_8equal_toIvEES6_EE10hipError_tPvRmT2_T3_T4_T5_mT6_T7_P12ihipStream_tbENKUlT_T0_E_clISt17integral_constantIbLb0EES13_EEDaSY_SZ_EUlSY_E_NS1_11comp_targetILNS1_3genE0ELNS1_11target_archE4294967295ELNS1_3gpuE0ELNS1_3repE0EEENS1_30default_config_static_selectorELNS0_4arch9wavefront6targetE1EEEvT1_,"axG",@progbits,_ZN7rocprim17ROCPRIM_400000_NS6detail17trampoline_kernelINS0_14default_configENS1_27scan_by_key_config_selectorIj11FixedVectorIiLj8EEEEZZNS1_16scan_by_key_implILNS1_25lookback_scan_determinismE0ELb0ES3_N6thrust23THRUST_200600_302600_NS6detail15normal_iteratorINSB_10device_ptrIjEEEENSD_INSE_IS6_EEEESI_S6_NSB_4plusIvEENSB_8equal_toIvEES6_EE10hipError_tPvRmT2_T3_T4_T5_mT6_T7_P12ihipStream_tbENKUlT_T0_E_clISt17integral_constantIbLb0EES13_EEDaSY_SZ_EUlSY_E_NS1_11comp_targetILNS1_3genE0ELNS1_11target_archE4294967295ELNS1_3gpuE0ELNS1_3repE0EEENS1_30default_config_static_selectorELNS0_4arch9wavefront6targetE1EEEvT1_,comdat
.Lfunc_end2116:
	.size	_ZN7rocprim17ROCPRIM_400000_NS6detail17trampoline_kernelINS0_14default_configENS1_27scan_by_key_config_selectorIj11FixedVectorIiLj8EEEEZZNS1_16scan_by_key_implILNS1_25lookback_scan_determinismE0ELb0ES3_N6thrust23THRUST_200600_302600_NS6detail15normal_iteratorINSB_10device_ptrIjEEEENSD_INSE_IS6_EEEESI_S6_NSB_4plusIvEENSB_8equal_toIvEES6_EE10hipError_tPvRmT2_T3_T4_T5_mT6_T7_P12ihipStream_tbENKUlT_T0_E_clISt17integral_constantIbLb0EES13_EEDaSY_SZ_EUlSY_E_NS1_11comp_targetILNS1_3genE0ELNS1_11target_archE4294967295ELNS1_3gpuE0ELNS1_3repE0EEENS1_30default_config_static_selectorELNS0_4arch9wavefront6targetE1EEEvT1_, .Lfunc_end2116-_ZN7rocprim17ROCPRIM_400000_NS6detail17trampoline_kernelINS0_14default_configENS1_27scan_by_key_config_selectorIj11FixedVectorIiLj8EEEEZZNS1_16scan_by_key_implILNS1_25lookback_scan_determinismE0ELb0ES3_N6thrust23THRUST_200600_302600_NS6detail15normal_iteratorINSB_10device_ptrIjEEEENSD_INSE_IS6_EEEESI_S6_NSB_4plusIvEENSB_8equal_toIvEES6_EE10hipError_tPvRmT2_T3_T4_T5_mT6_T7_P12ihipStream_tbENKUlT_T0_E_clISt17integral_constantIbLb0EES13_EEDaSY_SZ_EUlSY_E_NS1_11comp_targetILNS1_3genE0ELNS1_11target_archE4294967295ELNS1_3gpuE0ELNS1_3repE0EEENS1_30default_config_static_selectorELNS0_4arch9wavefront6targetE1EEEvT1_
                                        ; -- End function
	.section	.AMDGPU.csdata,"",@progbits
; Kernel info:
; codeLenInByte = 0
; NumSgprs: 6
; NumVgprs: 0
; NumAgprs: 0
; TotalNumVgprs: 0
; ScratchSize: 0
; MemoryBound: 0
; FloatMode: 240
; IeeeMode: 1
; LDSByteSize: 0 bytes/workgroup (compile time only)
; SGPRBlocks: 0
; VGPRBlocks: 0
; NumSGPRsForWavesPerEU: 6
; NumVGPRsForWavesPerEU: 1
; AccumOffset: 4
; Occupancy: 8
; WaveLimiterHint : 0
; COMPUTE_PGM_RSRC2:SCRATCH_EN: 0
; COMPUTE_PGM_RSRC2:USER_SGPR: 2
; COMPUTE_PGM_RSRC2:TRAP_HANDLER: 0
; COMPUTE_PGM_RSRC2:TGID_X_EN: 1
; COMPUTE_PGM_RSRC2:TGID_Y_EN: 0
; COMPUTE_PGM_RSRC2:TGID_Z_EN: 0
; COMPUTE_PGM_RSRC2:TIDIG_COMP_CNT: 0
; COMPUTE_PGM_RSRC3_GFX90A:ACCUM_OFFSET: 0
; COMPUTE_PGM_RSRC3_GFX90A:TG_SPLIT: 0
	.section	.text._ZN7rocprim17ROCPRIM_400000_NS6detail17trampoline_kernelINS0_14default_configENS1_27scan_by_key_config_selectorIj11FixedVectorIiLj8EEEEZZNS1_16scan_by_key_implILNS1_25lookback_scan_determinismE0ELb0ES3_N6thrust23THRUST_200600_302600_NS6detail15normal_iteratorINSB_10device_ptrIjEEEENSD_INSE_IS6_EEEESI_S6_NSB_4plusIvEENSB_8equal_toIvEES6_EE10hipError_tPvRmT2_T3_T4_T5_mT6_T7_P12ihipStream_tbENKUlT_T0_E_clISt17integral_constantIbLb0EES13_EEDaSY_SZ_EUlSY_E_NS1_11comp_targetILNS1_3genE10ELNS1_11target_archE1201ELNS1_3gpuE5ELNS1_3repE0EEENS1_30default_config_static_selectorELNS0_4arch9wavefront6targetE1EEEvT1_,"axG",@progbits,_ZN7rocprim17ROCPRIM_400000_NS6detail17trampoline_kernelINS0_14default_configENS1_27scan_by_key_config_selectorIj11FixedVectorIiLj8EEEEZZNS1_16scan_by_key_implILNS1_25lookback_scan_determinismE0ELb0ES3_N6thrust23THRUST_200600_302600_NS6detail15normal_iteratorINSB_10device_ptrIjEEEENSD_INSE_IS6_EEEESI_S6_NSB_4plusIvEENSB_8equal_toIvEES6_EE10hipError_tPvRmT2_T3_T4_T5_mT6_T7_P12ihipStream_tbENKUlT_T0_E_clISt17integral_constantIbLb0EES13_EEDaSY_SZ_EUlSY_E_NS1_11comp_targetILNS1_3genE10ELNS1_11target_archE1201ELNS1_3gpuE5ELNS1_3repE0EEENS1_30default_config_static_selectorELNS0_4arch9wavefront6targetE1EEEvT1_,comdat
	.protected	_ZN7rocprim17ROCPRIM_400000_NS6detail17trampoline_kernelINS0_14default_configENS1_27scan_by_key_config_selectorIj11FixedVectorIiLj8EEEEZZNS1_16scan_by_key_implILNS1_25lookback_scan_determinismE0ELb0ES3_N6thrust23THRUST_200600_302600_NS6detail15normal_iteratorINSB_10device_ptrIjEEEENSD_INSE_IS6_EEEESI_S6_NSB_4plusIvEENSB_8equal_toIvEES6_EE10hipError_tPvRmT2_T3_T4_T5_mT6_T7_P12ihipStream_tbENKUlT_T0_E_clISt17integral_constantIbLb0EES13_EEDaSY_SZ_EUlSY_E_NS1_11comp_targetILNS1_3genE10ELNS1_11target_archE1201ELNS1_3gpuE5ELNS1_3repE0EEENS1_30default_config_static_selectorELNS0_4arch9wavefront6targetE1EEEvT1_ ; -- Begin function _ZN7rocprim17ROCPRIM_400000_NS6detail17trampoline_kernelINS0_14default_configENS1_27scan_by_key_config_selectorIj11FixedVectorIiLj8EEEEZZNS1_16scan_by_key_implILNS1_25lookback_scan_determinismE0ELb0ES3_N6thrust23THRUST_200600_302600_NS6detail15normal_iteratorINSB_10device_ptrIjEEEENSD_INSE_IS6_EEEESI_S6_NSB_4plusIvEENSB_8equal_toIvEES6_EE10hipError_tPvRmT2_T3_T4_T5_mT6_T7_P12ihipStream_tbENKUlT_T0_E_clISt17integral_constantIbLb0EES13_EEDaSY_SZ_EUlSY_E_NS1_11comp_targetILNS1_3genE10ELNS1_11target_archE1201ELNS1_3gpuE5ELNS1_3repE0EEENS1_30default_config_static_selectorELNS0_4arch9wavefront6targetE1EEEvT1_
	.globl	_ZN7rocprim17ROCPRIM_400000_NS6detail17trampoline_kernelINS0_14default_configENS1_27scan_by_key_config_selectorIj11FixedVectorIiLj8EEEEZZNS1_16scan_by_key_implILNS1_25lookback_scan_determinismE0ELb0ES3_N6thrust23THRUST_200600_302600_NS6detail15normal_iteratorINSB_10device_ptrIjEEEENSD_INSE_IS6_EEEESI_S6_NSB_4plusIvEENSB_8equal_toIvEES6_EE10hipError_tPvRmT2_T3_T4_T5_mT6_T7_P12ihipStream_tbENKUlT_T0_E_clISt17integral_constantIbLb0EES13_EEDaSY_SZ_EUlSY_E_NS1_11comp_targetILNS1_3genE10ELNS1_11target_archE1201ELNS1_3gpuE5ELNS1_3repE0EEENS1_30default_config_static_selectorELNS0_4arch9wavefront6targetE1EEEvT1_
	.p2align	8
	.type	_ZN7rocprim17ROCPRIM_400000_NS6detail17trampoline_kernelINS0_14default_configENS1_27scan_by_key_config_selectorIj11FixedVectorIiLj8EEEEZZNS1_16scan_by_key_implILNS1_25lookback_scan_determinismE0ELb0ES3_N6thrust23THRUST_200600_302600_NS6detail15normal_iteratorINSB_10device_ptrIjEEEENSD_INSE_IS6_EEEESI_S6_NSB_4plusIvEENSB_8equal_toIvEES6_EE10hipError_tPvRmT2_T3_T4_T5_mT6_T7_P12ihipStream_tbENKUlT_T0_E_clISt17integral_constantIbLb0EES13_EEDaSY_SZ_EUlSY_E_NS1_11comp_targetILNS1_3genE10ELNS1_11target_archE1201ELNS1_3gpuE5ELNS1_3repE0EEENS1_30default_config_static_selectorELNS0_4arch9wavefront6targetE1EEEvT1_,@function
_ZN7rocprim17ROCPRIM_400000_NS6detail17trampoline_kernelINS0_14default_configENS1_27scan_by_key_config_selectorIj11FixedVectorIiLj8EEEEZZNS1_16scan_by_key_implILNS1_25lookback_scan_determinismE0ELb0ES3_N6thrust23THRUST_200600_302600_NS6detail15normal_iteratorINSB_10device_ptrIjEEEENSD_INSE_IS6_EEEESI_S6_NSB_4plusIvEENSB_8equal_toIvEES6_EE10hipError_tPvRmT2_T3_T4_T5_mT6_T7_P12ihipStream_tbENKUlT_T0_E_clISt17integral_constantIbLb0EES13_EEDaSY_SZ_EUlSY_E_NS1_11comp_targetILNS1_3genE10ELNS1_11target_archE1201ELNS1_3gpuE5ELNS1_3repE0EEENS1_30default_config_static_selectorELNS0_4arch9wavefront6targetE1EEEvT1_: ; @_ZN7rocprim17ROCPRIM_400000_NS6detail17trampoline_kernelINS0_14default_configENS1_27scan_by_key_config_selectorIj11FixedVectorIiLj8EEEEZZNS1_16scan_by_key_implILNS1_25lookback_scan_determinismE0ELb0ES3_N6thrust23THRUST_200600_302600_NS6detail15normal_iteratorINSB_10device_ptrIjEEEENSD_INSE_IS6_EEEESI_S6_NSB_4plusIvEENSB_8equal_toIvEES6_EE10hipError_tPvRmT2_T3_T4_T5_mT6_T7_P12ihipStream_tbENKUlT_T0_E_clISt17integral_constantIbLb0EES13_EEDaSY_SZ_EUlSY_E_NS1_11comp_targetILNS1_3genE10ELNS1_11target_archE1201ELNS1_3gpuE5ELNS1_3repE0EEENS1_30default_config_static_selectorELNS0_4arch9wavefront6targetE1EEEvT1_
; %bb.0:
	.section	.rodata,"a",@progbits
	.p2align	6, 0x0
	.amdhsa_kernel _ZN7rocprim17ROCPRIM_400000_NS6detail17trampoline_kernelINS0_14default_configENS1_27scan_by_key_config_selectorIj11FixedVectorIiLj8EEEEZZNS1_16scan_by_key_implILNS1_25lookback_scan_determinismE0ELb0ES3_N6thrust23THRUST_200600_302600_NS6detail15normal_iteratorINSB_10device_ptrIjEEEENSD_INSE_IS6_EEEESI_S6_NSB_4plusIvEENSB_8equal_toIvEES6_EE10hipError_tPvRmT2_T3_T4_T5_mT6_T7_P12ihipStream_tbENKUlT_T0_E_clISt17integral_constantIbLb0EES13_EEDaSY_SZ_EUlSY_E_NS1_11comp_targetILNS1_3genE10ELNS1_11target_archE1201ELNS1_3gpuE5ELNS1_3repE0EEENS1_30default_config_static_selectorELNS0_4arch9wavefront6targetE1EEEvT1_
		.amdhsa_group_segment_fixed_size 0
		.amdhsa_private_segment_fixed_size 0
		.amdhsa_kernarg_size 160
		.amdhsa_user_sgpr_count 2
		.amdhsa_user_sgpr_dispatch_ptr 0
		.amdhsa_user_sgpr_queue_ptr 0
		.amdhsa_user_sgpr_kernarg_segment_ptr 1
		.amdhsa_user_sgpr_dispatch_id 0
		.amdhsa_user_sgpr_kernarg_preload_length 0
		.amdhsa_user_sgpr_kernarg_preload_offset 0
		.amdhsa_user_sgpr_private_segment_size 0
		.amdhsa_uses_dynamic_stack 0
		.amdhsa_enable_private_segment 0
		.amdhsa_system_sgpr_workgroup_id_x 1
		.amdhsa_system_sgpr_workgroup_id_y 0
		.amdhsa_system_sgpr_workgroup_id_z 0
		.amdhsa_system_sgpr_workgroup_info 0
		.amdhsa_system_vgpr_workitem_id 0
		.amdhsa_next_free_vgpr 1
		.amdhsa_next_free_sgpr 0
		.amdhsa_accum_offset 4
		.amdhsa_reserve_vcc 0
		.amdhsa_float_round_mode_32 0
		.amdhsa_float_round_mode_16_64 0
		.amdhsa_float_denorm_mode_32 3
		.amdhsa_float_denorm_mode_16_64 3
		.amdhsa_dx10_clamp 1
		.amdhsa_ieee_mode 1
		.amdhsa_fp16_overflow 0
		.amdhsa_tg_split 0
		.amdhsa_exception_fp_ieee_invalid_op 0
		.amdhsa_exception_fp_denorm_src 0
		.amdhsa_exception_fp_ieee_div_zero 0
		.amdhsa_exception_fp_ieee_overflow 0
		.amdhsa_exception_fp_ieee_underflow 0
		.amdhsa_exception_fp_ieee_inexact 0
		.amdhsa_exception_int_div_zero 0
	.end_amdhsa_kernel
	.section	.text._ZN7rocprim17ROCPRIM_400000_NS6detail17trampoline_kernelINS0_14default_configENS1_27scan_by_key_config_selectorIj11FixedVectorIiLj8EEEEZZNS1_16scan_by_key_implILNS1_25lookback_scan_determinismE0ELb0ES3_N6thrust23THRUST_200600_302600_NS6detail15normal_iteratorINSB_10device_ptrIjEEEENSD_INSE_IS6_EEEESI_S6_NSB_4plusIvEENSB_8equal_toIvEES6_EE10hipError_tPvRmT2_T3_T4_T5_mT6_T7_P12ihipStream_tbENKUlT_T0_E_clISt17integral_constantIbLb0EES13_EEDaSY_SZ_EUlSY_E_NS1_11comp_targetILNS1_3genE10ELNS1_11target_archE1201ELNS1_3gpuE5ELNS1_3repE0EEENS1_30default_config_static_selectorELNS0_4arch9wavefront6targetE1EEEvT1_,"axG",@progbits,_ZN7rocprim17ROCPRIM_400000_NS6detail17trampoline_kernelINS0_14default_configENS1_27scan_by_key_config_selectorIj11FixedVectorIiLj8EEEEZZNS1_16scan_by_key_implILNS1_25lookback_scan_determinismE0ELb0ES3_N6thrust23THRUST_200600_302600_NS6detail15normal_iteratorINSB_10device_ptrIjEEEENSD_INSE_IS6_EEEESI_S6_NSB_4plusIvEENSB_8equal_toIvEES6_EE10hipError_tPvRmT2_T3_T4_T5_mT6_T7_P12ihipStream_tbENKUlT_T0_E_clISt17integral_constantIbLb0EES13_EEDaSY_SZ_EUlSY_E_NS1_11comp_targetILNS1_3genE10ELNS1_11target_archE1201ELNS1_3gpuE5ELNS1_3repE0EEENS1_30default_config_static_selectorELNS0_4arch9wavefront6targetE1EEEvT1_,comdat
.Lfunc_end2117:
	.size	_ZN7rocprim17ROCPRIM_400000_NS6detail17trampoline_kernelINS0_14default_configENS1_27scan_by_key_config_selectorIj11FixedVectorIiLj8EEEEZZNS1_16scan_by_key_implILNS1_25lookback_scan_determinismE0ELb0ES3_N6thrust23THRUST_200600_302600_NS6detail15normal_iteratorINSB_10device_ptrIjEEEENSD_INSE_IS6_EEEESI_S6_NSB_4plusIvEENSB_8equal_toIvEES6_EE10hipError_tPvRmT2_T3_T4_T5_mT6_T7_P12ihipStream_tbENKUlT_T0_E_clISt17integral_constantIbLb0EES13_EEDaSY_SZ_EUlSY_E_NS1_11comp_targetILNS1_3genE10ELNS1_11target_archE1201ELNS1_3gpuE5ELNS1_3repE0EEENS1_30default_config_static_selectorELNS0_4arch9wavefront6targetE1EEEvT1_, .Lfunc_end2117-_ZN7rocprim17ROCPRIM_400000_NS6detail17trampoline_kernelINS0_14default_configENS1_27scan_by_key_config_selectorIj11FixedVectorIiLj8EEEEZZNS1_16scan_by_key_implILNS1_25lookback_scan_determinismE0ELb0ES3_N6thrust23THRUST_200600_302600_NS6detail15normal_iteratorINSB_10device_ptrIjEEEENSD_INSE_IS6_EEEESI_S6_NSB_4plusIvEENSB_8equal_toIvEES6_EE10hipError_tPvRmT2_T3_T4_T5_mT6_T7_P12ihipStream_tbENKUlT_T0_E_clISt17integral_constantIbLb0EES13_EEDaSY_SZ_EUlSY_E_NS1_11comp_targetILNS1_3genE10ELNS1_11target_archE1201ELNS1_3gpuE5ELNS1_3repE0EEENS1_30default_config_static_selectorELNS0_4arch9wavefront6targetE1EEEvT1_
                                        ; -- End function
	.section	.AMDGPU.csdata,"",@progbits
; Kernel info:
; codeLenInByte = 0
; NumSgprs: 6
; NumVgprs: 0
; NumAgprs: 0
; TotalNumVgprs: 0
; ScratchSize: 0
; MemoryBound: 0
; FloatMode: 240
; IeeeMode: 1
; LDSByteSize: 0 bytes/workgroup (compile time only)
; SGPRBlocks: 0
; VGPRBlocks: 0
; NumSGPRsForWavesPerEU: 6
; NumVGPRsForWavesPerEU: 1
; AccumOffset: 4
; Occupancy: 8
; WaveLimiterHint : 0
; COMPUTE_PGM_RSRC2:SCRATCH_EN: 0
; COMPUTE_PGM_RSRC2:USER_SGPR: 2
; COMPUTE_PGM_RSRC2:TRAP_HANDLER: 0
; COMPUTE_PGM_RSRC2:TGID_X_EN: 1
; COMPUTE_PGM_RSRC2:TGID_Y_EN: 0
; COMPUTE_PGM_RSRC2:TGID_Z_EN: 0
; COMPUTE_PGM_RSRC2:TIDIG_COMP_CNT: 0
; COMPUTE_PGM_RSRC3_GFX90A:ACCUM_OFFSET: 0
; COMPUTE_PGM_RSRC3_GFX90A:TG_SPLIT: 0
	.section	.text._ZN7rocprim17ROCPRIM_400000_NS6detail17trampoline_kernelINS0_14default_configENS1_27scan_by_key_config_selectorIj11FixedVectorIiLj8EEEEZZNS1_16scan_by_key_implILNS1_25lookback_scan_determinismE0ELb0ES3_N6thrust23THRUST_200600_302600_NS6detail15normal_iteratorINSB_10device_ptrIjEEEENSD_INSE_IS6_EEEESI_S6_NSB_4plusIvEENSB_8equal_toIvEES6_EE10hipError_tPvRmT2_T3_T4_T5_mT6_T7_P12ihipStream_tbENKUlT_T0_E_clISt17integral_constantIbLb0EES13_EEDaSY_SZ_EUlSY_E_NS1_11comp_targetILNS1_3genE5ELNS1_11target_archE942ELNS1_3gpuE9ELNS1_3repE0EEENS1_30default_config_static_selectorELNS0_4arch9wavefront6targetE1EEEvT1_,"axG",@progbits,_ZN7rocprim17ROCPRIM_400000_NS6detail17trampoline_kernelINS0_14default_configENS1_27scan_by_key_config_selectorIj11FixedVectorIiLj8EEEEZZNS1_16scan_by_key_implILNS1_25lookback_scan_determinismE0ELb0ES3_N6thrust23THRUST_200600_302600_NS6detail15normal_iteratorINSB_10device_ptrIjEEEENSD_INSE_IS6_EEEESI_S6_NSB_4plusIvEENSB_8equal_toIvEES6_EE10hipError_tPvRmT2_T3_T4_T5_mT6_T7_P12ihipStream_tbENKUlT_T0_E_clISt17integral_constantIbLb0EES13_EEDaSY_SZ_EUlSY_E_NS1_11comp_targetILNS1_3genE5ELNS1_11target_archE942ELNS1_3gpuE9ELNS1_3repE0EEENS1_30default_config_static_selectorELNS0_4arch9wavefront6targetE1EEEvT1_,comdat
	.protected	_ZN7rocprim17ROCPRIM_400000_NS6detail17trampoline_kernelINS0_14default_configENS1_27scan_by_key_config_selectorIj11FixedVectorIiLj8EEEEZZNS1_16scan_by_key_implILNS1_25lookback_scan_determinismE0ELb0ES3_N6thrust23THRUST_200600_302600_NS6detail15normal_iteratorINSB_10device_ptrIjEEEENSD_INSE_IS6_EEEESI_S6_NSB_4plusIvEENSB_8equal_toIvEES6_EE10hipError_tPvRmT2_T3_T4_T5_mT6_T7_P12ihipStream_tbENKUlT_T0_E_clISt17integral_constantIbLb0EES13_EEDaSY_SZ_EUlSY_E_NS1_11comp_targetILNS1_3genE5ELNS1_11target_archE942ELNS1_3gpuE9ELNS1_3repE0EEENS1_30default_config_static_selectorELNS0_4arch9wavefront6targetE1EEEvT1_ ; -- Begin function _ZN7rocprim17ROCPRIM_400000_NS6detail17trampoline_kernelINS0_14default_configENS1_27scan_by_key_config_selectorIj11FixedVectorIiLj8EEEEZZNS1_16scan_by_key_implILNS1_25lookback_scan_determinismE0ELb0ES3_N6thrust23THRUST_200600_302600_NS6detail15normal_iteratorINSB_10device_ptrIjEEEENSD_INSE_IS6_EEEESI_S6_NSB_4plusIvEENSB_8equal_toIvEES6_EE10hipError_tPvRmT2_T3_T4_T5_mT6_T7_P12ihipStream_tbENKUlT_T0_E_clISt17integral_constantIbLb0EES13_EEDaSY_SZ_EUlSY_E_NS1_11comp_targetILNS1_3genE5ELNS1_11target_archE942ELNS1_3gpuE9ELNS1_3repE0EEENS1_30default_config_static_selectorELNS0_4arch9wavefront6targetE1EEEvT1_
	.globl	_ZN7rocprim17ROCPRIM_400000_NS6detail17trampoline_kernelINS0_14default_configENS1_27scan_by_key_config_selectorIj11FixedVectorIiLj8EEEEZZNS1_16scan_by_key_implILNS1_25lookback_scan_determinismE0ELb0ES3_N6thrust23THRUST_200600_302600_NS6detail15normal_iteratorINSB_10device_ptrIjEEEENSD_INSE_IS6_EEEESI_S6_NSB_4plusIvEENSB_8equal_toIvEES6_EE10hipError_tPvRmT2_T3_T4_T5_mT6_T7_P12ihipStream_tbENKUlT_T0_E_clISt17integral_constantIbLb0EES13_EEDaSY_SZ_EUlSY_E_NS1_11comp_targetILNS1_3genE5ELNS1_11target_archE942ELNS1_3gpuE9ELNS1_3repE0EEENS1_30default_config_static_selectorELNS0_4arch9wavefront6targetE1EEEvT1_
	.p2align	8
	.type	_ZN7rocprim17ROCPRIM_400000_NS6detail17trampoline_kernelINS0_14default_configENS1_27scan_by_key_config_selectorIj11FixedVectorIiLj8EEEEZZNS1_16scan_by_key_implILNS1_25lookback_scan_determinismE0ELb0ES3_N6thrust23THRUST_200600_302600_NS6detail15normal_iteratorINSB_10device_ptrIjEEEENSD_INSE_IS6_EEEESI_S6_NSB_4plusIvEENSB_8equal_toIvEES6_EE10hipError_tPvRmT2_T3_T4_T5_mT6_T7_P12ihipStream_tbENKUlT_T0_E_clISt17integral_constantIbLb0EES13_EEDaSY_SZ_EUlSY_E_NS1_11comp_targetILNS1_3genE5ELNS1_11target_archE942ELNS1_3gpuE9ELNS1_3repE0EEENS1_30default_config_static_selectorELNS0_4arch9wavefront6targetE1EEEvT1_,@function
_ZN7rocprim17ROCPRIM_400000_NS6detail17trampoline_kernelINS0_14default_configENS1_27scan_by_key_config_selectorIj11FixedVectorIiLj8EEEEZZNS1_16scan_by_key_implILNS1_25lookback_scan_determinismE0ELb0ES3_N6thrust23THRUST_200600_302600_NS6detail15normal_iteratorINSB_10device_ptrIjEEEENSD_INSE_IS6_EEEESI_S6_NSB_4plusIvEENSB_8equal_toIvEES6_EE10hipError_tPvRmT2_T3_T4_T5_mT6_T7_P12ihipStream_tbENKUlT_T0_E_clISt17integral_constantIbLb0EES13_EEDaSY_SZ_EUlSY_E_NS1_11comp_targetILNS1_3genE5ELNS1_11target_archE942ELNS1_3gpuE9ELNS1_3repE0EEENS1_30default_config_static_selectorELNS0_4arch9wavefront6targetE1EEEvT1_: ; @_ZN7rocprim17ROCPRIM_400000_NS6detail17trampoline_kernelINS0_14default_configENS1_27scan_by_key_config_selectorIj11FixedVectorIiLj8EEEEZZNS1_16scan_by_key_implILNS1_25lookback_scan_determinismE0ELb0ES3_N6thrust23THRUST_200600_302600_NS6detail15normal_iteratorINSB_10device_ptrIjEEEENSD_INSE_IS6_EEEESI_S6_NSB_4plusIvEENSB_8equal_toIvEES6_EE10hipError_tPvRmT2_T3_T4_T5_mT6_T7_P12ihipStream_tbENKUlT_T0_E_clISt17integral_constantIbLb0EES13_EEDaSY_SZ_EUlSY_E_NS1_11comp_targetILNS1_3genE5ELNS1_11target_archE942ELNS1_3gpuE9ELNS1_3repE0EEENS1_30default_config_static_selectorELNS0_4arch9wavefront6targetE1EEEvT1_
; %bb.0:
	s_load_dwordx8 s[20:27], s[2:3], 0x0
	s_load_dwordx8 s[12:19], s[2:3], 0x48
	s_load_dwordx2 s[30:31], s[2:3], 0x68
	s_load_dword s5, s[2:3], 0x70
	s_load_dwordx8 s[36:43], s[2:3], 0x78
	s_load_dwordx2 s[34:35], s[0:1], 0x4
	s_mov_b32 s0, 0
	v_and_b32_e32 v16, 0x3ff, v0
	v_bfe_u32 v14, v0, 20, 10
	v_bfe_u32 v0, v0, 10, 10
	s_mov_b32 s2, s0
	s_mov_b32 s3, s0
	s_waitcnt lgkmcnt(0)
	v_mul_u32_u24_e32 v15, s35, v0
	v_mov_b32_e32 v0, 0
	s_mov_b32 s1, s0
	v_mov_b64_e32 v[4:5], s[2:3]
	v_mov_b64_e32 v[2:3], s[0:1]
	v_mov_b32_e32 v1, v0
	s_barrier
	scratch_store_dword off, v0, off offset:320
	scratch_store_dwordx4 off, v[2:5], off offset:304
	scratch_store_dwordx4 off, v[2:5], off offset:288
.LBB2118_1:                             ; =>This Inner Loop Header: Depth=1
	s_add_i32 s1, s0, 0x120
	s_add_i32 s0, s0, 8
	s_cmp_lg_u32 s0, 32
	scratch_store_dwordx2 off, v[0:1], s1
	s_cbranch_scc1 .LBB2118_1
; %bb.2:
	s_mov_b32 s8, 0
	s_mov_b32 s9, s8
	v_mov_b32_e32 v0, 0
	s_mov_b32 s10, s8
	s_mov_b32 s11, s8
	v_mov_b64_e32 v[2:3], s[8:9]
	s_mov_b32 s0, 36
	s_add_i32 s19, 0x120, 36
	v_mov_b64_e32 v[4:5], s[10:11]
	v_mov_b32_e32 v1, v0
	scratch_store_byte off, v0, off offset:320
	scratch_store_dword off, v0, off offset:356
	scratch_store_dwordx4 off, v[2:5], off offset:324
	scratch_store_dwordx4 off, v[2:5], off offset:340
.LBB2118_3:                             ; =>This Inner Loop Header: Depth=1
	s_add_i32 s1, s0, 0x120
	s_add_i32 s0, s0, 8
	s_cmpk_lg_i32 s0, 0x44
	scratch_store_dwordx2 off, v[0:1], s1
	s_cbranch_scc1 .LBB2118_3
; %bb.4:
	s_mov_b32 s8, 0
	s_mov_b32 s9, s8
	v_mov_b32_e32 v0, 0
	s_movk_i32 s33, 0x120
	s_mov_b32 s10, s8
	s_mov_b32 s11, s8
	v_mov_b64_e32 v[2:3], s[8:9]
	s_movk_i32 s0, 0x48
	s_addk_i32 s33, 0x48
	v_mov_b64_e32 v[4:5], s[10:11]
	v_mov_b32_e32 v1, v0
	scratch_store_byte off, v0, off offset:356
	scratch_store_dword off, v0, off offset:392
	scratch_store_dwordx4 off, v[2:5], off offset:360
	scratch_store_dwordx4 off, v[2:5], off offset:376
.LBB2118_5:                             ; =>This Inner Loop Header: Depth=1
	s_add_i32 s1, s0, 0x120
	s_add_i32 s0, s0, 8
	s_cmpk_lg_i32 s0, 0x68
	scratch_store_dwordx2 off, v[0:1], s1
	s_cbranch_scc1 .LBB2118_5
; %bb.6:
	v_mov_b32_e32 v0, 0
	s_mov_b32 s0, 0
	v_mov_b32_e32 v1, v0
	scratch_store_byte off, v0, off offset:392
.LBB2118_7:                             ; =>This Inner Loop Header: Depth=1
	s_add_i32 s1, s0, 0x70
	s_add_i32 s0, s0, 8
	s_cmp_lg_u32 s0, 32
	scratch_store_dwordx2 off, v[0:1], s1
	s_cbranch_scc1 .LBB2118_7
; %bb.8:
	v_mov_b32_e32 v0, 0
	s_mov_b32 s0, 32
	v_mov_b32_e32 v1, v0
.LBB2118_9:                             ; =>This Inner Loop Header: Depth=1
	s_add_i32 s1, s0, 0x70
	s_add_i32 s0, s0, 8
	s_cmp_lg_u32 s0, 64
	scratch_store_dwordx2 off, v[0:1], s1
	s_cbranch_scc1 .LBB2118_9
; %bb.10:
	v_mov_b32_e32 v0, 0
	s_mov_b32 s0, 64
	v_mov_b32_e32 v1, v0
.LBB2118_11:                            ; =>This Inner Loop Header: Depth=1
	s_add_i32 s1, s0, 0x70
	s_add_i32 s0, s0, 8
	s_cmpk_lg_i32 s0, 0x60
	scratch_store_dwordx2 off, v[0:1], s1
	s_cbranch_scc1 .LBB2118_11
; %bb.12:
	s_cmp_lg_u64 s[40:41], 0
	s_mul_i32 s1, s31, s5
	s_mul_hi_u32 s2, s30, s5
	s_cselect_b64 s[40:41], -1, 0
	s_add_i32 s6, s2, s1
	s_lshl_b64 s[28:29], s[22:23], 5
	s_add_u32 s7, s24, s28
	s_addc_u32 s11, s25, s29
	s_lshl_b64 s[2:3], s[22:23], 2
	s_mul_i32 s0, s4, 0x300
	s_add_u32 s10, s20, s2
	s_mov_b32 s1, 0
	s_addc_u32 s20, s21, s3
	s_lshl_b64 s[2:3], s[0:1], 2
	s_add_u32 s22, s10, s2
	s_addc_u32 s23, s20, s3
	s_lshl_b64 s[20:21], s[0:1], 5
	s_add_u32 s10, s7, s20
	s_mul_i32 s5, s30, s5
	s_addc_u32 s11, s11, s21
	s_add_u32 s24, s5, s4
	s_addc_u32 s25, s6, 0
	s_add_u32 s2, s36, -1
	v_mov_b32_e32 v0, 0x70
	s_addc_u32 s3, s37, -1
	v_add_u32_e32 v2, 64, v0
	v_add_u32_e32 v3, 32, v0
	v_mov_b64_e32 v[0:1], s[2:3]
	v_cmp_ge_u64_e64 s[0:1], s[24:25], v[0:1]
	s_mov_b64 s[8:9], 0
	s_mov_b64 s[6:7], -1
	s_and_b64 vcc, exec, s[0:1]
	s_mul_i32 s48, s2, 0xfffffd00
                                        ; implicit-def: $sgpr2_sgpr3
	s_cbranch_vccnz .LBB2118_291
; %bb.13:
	s_and_b64 vcc, exec, s[6:7]
	s_cbranch_vccnz .LBB2118_314
.LBB2118_14:
	s_and_saveexec_b64 s[6:7], s[8:9]
	s_cbranch_execz .LBB2118_16
.LBB2118_15:
	scratch_load_dwordx4 v[4:7], v2, off
	scratch_load_dwordx4 v[8:11], v2, off offset:16
	v_cndmask_b32_e64 v0, 0, 1, s[2:3]
	s_waitcnt vmcnt(1)
	scratch_store_dwordx4 off, v[4:7], s33
	s_waitcnt vmcnt(1)
	scratch_store_dwordx4 off, v[8:11], s33 offset:16
	scratch_store_byte off, v0, off offset:392
.LBB2118_16:
	s_or_b64 exec, exec, s[6:7]
	s_cmp_lg_u32 s4, 0
	s_mov_b32 s2, 0
	s_barrier
	s_cbranch_scc0 .LBB2118_322
; %bb.17:
	v_mov_b32_e32 v0, 0
	v_mov_b32_e32 v1, v0
	scratch_store_dword off, v0, off offset:144
.LBB2118_18:                            ; =>This Inner Loop Header: Depth=1
	s_add_i32 s3, s2, 0x70
	s_add_i32 s2, s2, 8
	s_cmp_lg_u32 s2, 32
	scratch_store_dwordx2 off, v[0:1], s3
	s_cbranch_scc1 .LBB2118_18
; %bb.19:
	scratch_load_dwordx4 v[0:3], off, off offset:288
	scratch_load_dwordx4 v[4:7], off, off offset:304
	scratch_load_ubyte v9, off, off offset:356
	scratch_load_ubyte v8, off, off offset:320
	s_waitcnt vmcnt(3)
	scratch_store_dwordx4 off, v[0:3], off offset:112
	s_waitcnt vmcnt(3)
	scratch_store_dwordx4 off, v[4:7], off offset:128
	s_waitcnt vmcnt(3)
	v_cmp_ne_u16_e32 vcc, 0, v9
                                        ; implicit-def: $vgpr6_vgpr7
                                        ; implicit-def: $vgpr2_vgpr3
	s_and_saveexec_b64 s[2:3], vcc
	s_xor_b64 s[2:3], exec, s[2:3]
	s_cbranch_execz .LBB2118_21
; %bb.20:
	scratch_load_dwordx4 v[0:3], off, off offset:324
	scratch_load_dwordx4 v[4:7], off, off offset:340
.LBB2118_21:
	s_andn2_saveexec_b64 s[2:3], s[2:3]
	s_cbranch_execz .LBB2118_27
; %bb.22:
	s_waitcnt vmcnt(1)
	v_mov_b32_e32 v0, 0
	s_mov_b32 s5, 0
	v_mov_b32_e32 v1, v0
.LBB2118_23:                            ; =>This Inner Loop Header: Depth=1
	s_add_i32 s6, s5, 0
	s_add_i32 s5, s5, 8
	s_cmp_lg_u32 s5, 32
	scratch_store_dwordx2 off, v[0:1], s6
	s_cbranch_scc1 .LBB2118_23
; %bb.24:
	s_mov_b32 s5, 0
.LBB2118_25:                            ; =>This Inner Loop Header: Depth=1
	s_add_i32 s6, s5, 0x70
	s_add_i32 s7, s19, s5
	scratch_load_dwordx2 v[0:1], off, s6
	scratch_load_dwordx2 v[2:3], off, s7
	s_add_i32 s6, s5, 0
	s_add_i32 s5, s5, 8
	s_cmp_lg_u32 s5, 32
	s_waitcnt vmcnt(0)
	v_add_u32_e32 v1, v3, v1
	v_add_u32_e32 v0, v2, v0
	scratch_store_dwordx2 off, v[0:1], s6
	s_cbranch_scc1 .LBB2118_25
; %bb.26:
	scratch_load_dwordx4 v[0:3], off, off
	scratch_load_dwordx4 v[4:7], off, off offset:16
.LBB2118_27:
	s_or_b64 exec, exec, s[2:3]
	scratch_load_ubyte v10, off, off offset:392
	s_waitcnt vmcnt(2)
	scratch_store_dwordx4 off, v[0:3], off offset:112
	s_waitcnt vmcnt(2)
	scratch_store_dwordx4 off, v[4:7], off offset:128
                                        ; implicit-def: $vgpr6_vgpr7
                                        ; implicit-def: $vgpr2_vgpr3
	s_waitcnt vmcnt(2)
	v_cmp_ne_u16_e32 vcc, 0, v10
	s_and_saveexec_b64 s[2:3], vcc
	s_xor_b64 s[2:3], exec, s[2:3]
	s_cbranch_execz .LBB2118_29
; %bb.28:
	scratch_load_dwordx4 v[0:3], off, off offset:360
	scratch_load_dwordx4 v[4:7], off, off offset:376
.LBB2118_29:
	s_andn2_saveexec_b64 s[2:3], s[2:3]
	s_cbranch_execz .LBB2118_35
; %bb.30:
	s_waitcnt vmcnt(1)
	v_mov_b32_e32 v0, 0
	s_mov_b32 s5, 0
	v_mov_b32_e32 v1, v0
.LBB2118_31:                            ; =>This Inner Loop Header: Depth=1
	s_add_i32 s6, s5, 0
	s_add_i32 s5, s5, 8
	s_cmp_lg_u32 s5, 32
	scratch_store_dwordx2 off, v[0:1], s6
	s_cbranch_scc1 .LBB2118_31
; %bb.32:
	s_mov_b32 s5, 0
.LBB2118_33:                            ; =>This Inner Loop Header: Depth=1
	s_add_i32 s6, s5, 0x70
	s_add_i32 s7, s33, s5
	scratch_load_dwordx2 v[0:1], off, s6
	scratch_load_dwordx2 v[2:3], off, s7
	s_add_i32 s6, s5, 0
	s_add_i32 s5, s5, 8
	s_cmp_lg_u32 s5, 32
	s_waitcnt vmcnt(0)
	v_add_u32_e32 v1, v3, v1
	v_add_u32_e32 v0, v2, v0
	scratch_store_dwordx2 off, v[0:1], s6
	s_cbranch_scc1 .LBB2118_33
; %bb.34:
	scratch_load_dwordx4 v[0:3], off, off
	scratch_load_dwordx4 v[4:7], off, off offset:16
.LBB2118_35:
	s_or_b64 exec, exec, s[2:3]
	scratch_load_ushort v22, off, off offset:145
	scratch_load_sbyte v23, off, off offset:147
	v_or_b32_e32 v9, v10, v9
	s_waitcnt vmcnt(3)
	v_mov_b32_dpp v10, v0 row_shr:1 row_mask:0xf bank_mask:0xf
	v_mov_b32_dpp v11, v1 row_shr:1 row_mask:0xf bank_mask:0xf
	;; [unrolled: 1-line block ×4, first 2 shown]
	v_or_b32_e32 v8, v9, v8
	v_mbcnt_lo_u32_b32 v17, -1, 0
	scratch_store_dwordx4 off, v[0:3], off offset:208
	s_waitcnt vmcnt(3)
	scratch_store_dwordx4 off, v[4:7], off offset:224
	v_mov_b32_dpp v18, v4 row_shr:1 row_mask:0xf bank_mask:0xf
	v_mov_b32_dpp v19, v5 row_shr:1 row_mask:0xf bank_mask:0xf
	;; [unrolled: 1-line block ×4, first 2 shown]
	scratch_store_dwordx4 off, v[10:13], off offset:112
	scratch_store_dwordx4 off, v[18:21], off offset:128
	v_and_b32_e32 v8, 1, v8
	v_mbcnt_hi_u32_b32 v17, -1, v17
	v_and_b32_e32 v11, 15, v17
	v_cmp_ne_u32_e32 vcc, 0, v11
	s_waitcnt vmcnt(5)
	v_lshrrev_b32_e32 v9, 8, v22
	v_lshlrev_b16_e32 v10, 8, v22
	s_waitcnt vmcnt(4)
	v_lshlrev_b16_e32 v12, 8, v23
	v_or_b32_e32 v10, v8, v10
	v_or_b32_sdwa v8, v9, v12 dst_sel:WORD_1 dst_unused:UNUSED_PAD src0_sel:BYTE_0 src1_sel:DWORD
	s_nop 0
	v_or_b32_sdwa v12, v10, v8 dst_sel:DWORD dst_unused:UNUSED_PAD src0_sel:WORD_0 src1_sel:DWORD
	scratch_store_dword off, v12, off offset:240
	s_nop 0
	v_mov_b32_dpp v13, v12 row_shr:1 row_mask:0xf bank_mask:0xf
	scratch_store_dword off, v13, off offset:144
	s_and_saveexec_b64 s[2:3], vcc
	s_cbranch_execz .LBB2118_43
; %bb.36:
	v_mov_b32_e32 v8, 0
	v_cmp_eq_u16_sdwa s[8:9], v10, v8 src0_sel:BYTE_0 src1_sel:DWORD
	s_and_saveexec_b64 s[6:7], s[8:9]
	s_cbranch_execz .LBB2118_42
; %bb.37:
	s_mov_b32 s5, 0
	v_mov_b32_e32 v9, v8
.LBB2118_38:                            ; =>This Inner Loop Header: Depth=1
	s_add_i32 s8, s5, 0
	s_add_i32 s5, s5, 8
	s_cmp_lg_u32 s5, 32
	scratch_store_dwordx2 off, v[8:9], s8
	s_cbranch_scc1 .LBB2118_38
; %bb.39:
	s_mov_b32 s5, 0
.LBB2118_40:                            ; =>This Inner Loop Header: Depth=1
	s_add_i32 s8, s5, 0x70
	s_add_i32 s9, s5, 0xd0
	scratch_load_dwordx2 v[0:1], off, s8
	scratch_load_dwordx2 v[2:3], off, s9
	s_add_i32 s8, s5, 0
	s_add_i32 s5, s5, 8
	s_cmp_lg_u32 s5, 32
	s_waitcnt vmcnt(0)
	v_add_u32_e32 v1, v3, v1
	v_add_u32_e32 v0, v2, v0
	scratch_store_dwordx2 off, v[0:1], s8
	s_cbranch_scc1 .LBB2118_40
; %bb.41:
	scratch_load_dwordx4 v[0:3], off, off
	scratch_load_dwordx4 v[4:7], off, off offset:16
.LBB2118_42:
	s_or_b64 exec, exec, s[6:7]
	v_or_b32_e32 v8, v13, v12
	v_and_b32_e32 v8, 1, v8
	scratch_store_byte off, v8, off offset:240
	scratch_load_dword v12, off, off offset:240
	s_waitcnt vmcnt(3)
	scratch_store_dwordx4 off, v[0:3], off offset:208
	s_waitcnt vmcnt(3)
	scratch_store_dwordx4 off, v[4:7], off offset:224
	s_waitcnt vmcnt(2)
	v_mov_b32_e32 v10, v12
.LBB2118_43:
	s_or_b64 exec, exec, s[2:3]
	v_mov_b32_dpp v18, v0 row_shr:2 row_mask:0xf bank_mask:0xf
	v_mov_b32_dpp v19, v1 row_shr:2 row_mask:0xf bank_mask:0xf
	;; [unrolled: 1-line block ×5, first 2 shown]
	v_cmp_lt_u32_e32 vcc, 1, v11
	v_mov_b32_dpp v22, v4 row_shr:2 row_mask:0xf bank_mask:0xf
	v_mov_b32_dpp v23, v5 row_shr:2 row_mask:0xf bank_mask:0xf
	;; [unrolled: 1-line block ×4, first 2 shown]
	scratch_store_dwordx4 off, v[18:21], off offset:112
	scratch_store_dwordx4 off, v[22:25], off offset:128
	scratch_store_dword off, v13, off offset:144
	s_and_saveexec_b64 s[6:7], vcc
	s_cbranch_execz .LBB2118_51
; %bb.44:
	v_mov_b32_e32 v8, 0
	s_mov_b32 s5, 0
	v_cmp_eq_u16_sdwa s[8:9], v10, v8 src0_sel:BYTE_0 src1_sel:DWORD
	s_and_saveexec_b64 s[2:3], s[8:9]
	s_cbranch_execz .LBB2118_50
; %bb.45:
	v_mov_b32_e32 v9, v8
.LBB2118_46:                            ; =>This Inner Loop Header: Depth=1
	s_add_i32 s8, s5, 0
	s_add_i32 s5, s5, 8
	s_cmp_lg_u32 s5, 32
	scratch_store_dwordx2 off, v[8:9], s8
	s_cbranch_scc1 .LBB2118_46
; %bb.47:
	s_mov_b32 s5, 0
.LBB2118_48:                            ; =>This Inner Loop Header: Depth=1
	s_add_i32 s8, s5, 0x70
	s_add_i32 s9, s5, 0xd0
	scratch_load_dwordx2 v[0:1], off, s8
	scratch_load_dwordx2 v[2:3], off, s9
	s_add_i32 s8, s5, 0
	s_add_i32 s5, s5, 8
	s_cmp_lg_u32 s5, 32
	s_waitcnt vmcnt(0)
	v_add_u32_e32 v1, v3, v1
	v_add_u32_e32 v0, v2, v0
	scratch_store_dwordx2 off, v[0:1], s8
	s_cbranch_scc1 .LBB2118_48
; %bb.49:
	scratch_load_dwordx4 v[0:3], off, off
	scratch_load_dwordx4 v[4:7], off, off offset:16
.LBB2118_50:
	s_or_b64 exec, exec, s[2:3]
	v_and_b32_e32 v8, 1, v10
	v_cmp_eq_u32_e32 vcc, 1, v8
	v_and_b32_e32 v8, 1, v13
	v_cmp_eq_u32_e64 s[2:3], 1, v8
	s_or_b64 s[2:3], vcc, s[2:3]
	s_nop 0
	v_cndmask_b32_e64 v8, 0, 1, s[2:3]
	scratch_store_byte off, v8, off offset:240
	scratch_load_dword v12, off, off offset:240
	s_waitcnt vmcnt(3)
	scratch_store_dwordx4 off, v[0:3], off offset:208
	s_waitcnt vmcnt(3)
	scratch_store_dwordx4 off, v[4:7], off offset:224
	s_waitcnt vmcnt(2)
	v_mov_b32_e32 v10, v12
.LBB2118_51:
	s_or_b64 exec, exec, s[6:7]
	v_mov_b32_dpp v18, v0 row_shr:4 row_mask:0xf bank_mask:0xf
	v_mov_b32_dpp v19, v1 row_shr:4 row_mask:0xf bank_mask:0xf
	v_mov_b32_dpp v20, v2 row_shr:4 row_mask:0xf bank_mask:0xf
	v_mov_b32_dpp v21, v3 row_shr:4 row_mask:0xf bank_mask:0xf
	v_mov_b32_dpp v13, v12 row_shr:4 row_mask:0xf bank_mask:0xf
	v_cmp_lt_u32_e32 vcc, 3, v11
	v_mov_b32_dpp v22, v4 row_shr:4 row_mask:0xf bank_mask:0xf
	v_mov_b32_dpp v23, v5 row_shr:4 row_mask:0xf bank_mask:0xf
	;; [unrolled: 1-line block ×4, first 2 shown]
	scratch_store_dwordx4 off, v[18:21], off offset:112
	scratch_store_dwordx4 off, v[22:25], off offset:128
	scratch_store_dword off, v13, off offset:144
	s_and_saveexec_b64 s[6:7], vcc
	s_cbranch_execz .LBB2118_59
; %bb.52:
	v_mov_b32_e32 v8, 0
	s_mov_b32 s5, 0
	v_cmp_eq_u16_sdwa s[8:9], v10, v8 src0_sel:BYTE_0 src1_sel:DWORD
	s_and_saveexec_b64 s[2:3], s[8:9]
	s_cbranch_execz .LBB2118_58
; %bb.53:
	v_mov_b32_e32 v9, v8
.LBB2118_54:                            ; =>This Inner Loop Header: Depth=1
	s_add_i32 s8, s5, 0
	s_add_i32 s5, s5, 8
	s_cmp_lg_u32 s5, 32
	scratch_store_dwordx2 off, v[8:9], s8
	s_cbranch_scc1 .LBB2118_54
; %bb.55:
	s_mov_b32 s5, 0
.LBB2118_56:                            ; =>This Inner Loop Header: Depth=1
	s_add_i32 s8, s5, 0x70
	s_add_i32 s9, s5, 0xd0
	scratch_load_dwordx2 v[0:1], off, s8
	scratch_load_dwordx2 v[2:3], off, s9
	s_add_i32 s8, s5, 0
	s_add_i32 s5, s5, 8
	s_cmp_lg_u32 s5, 32
	s_waitcnt vmcnt(0)
	v_add_u32_e32 v1, v3, v1
	v_add_u32_e32 v0, v2, v0
	scratch_store_dwordx2 off, v[0:1], s8
	s_cbranch_scc1 .LBB2118_56
; %bb.57:
	scratch_load_dwordx4 v[0:3], off, off
	scratch_load_dwordx4 v[4:7], off, off offset:16
.LBB2118_58:
	s_or_b64 exec, exec, s[2:3]
	v_and_b32_e32 v8, 1, v10
	v_cmp_eq_u32_e32 vcc, 1, v8
	v_and_b32_e32 v8, 1, v13
	v_cmp_eq_u32_e64 s[2:3], 1, v8
	s_or_b64 s[2:3], vcc, s[2:3]
	s_nop 0
	v_cndmask_b32_e64 v8, 0, 1, s[2:3]
	scratch_store_byte off, v8, off offset:240
	scratch_load_dword v12, off, off offset:240
	s_waitcnt vmcnt(3)
	scratch_store_dwordx4 off, v[0:3], off offset:208
	s_waitcnt vmcnt(3)
	scratch_store_dwordx4 off, v[4:7], off offset:224
	s_waitcnt vmcnt(2)
	v_mov_b32_e32 v10, v12
.LBB2118_59:
	s_or_b64 exec, exec, s[6:7]
	v_mov_b32_dpp v18, v0 row_shr:8 row_mask:0xf bank_mask:0xf
	v_mov_b32_dpp v19, v1 row_shr:8 row_mask:0xf bank_mask:0xf
	;; [unrolled: 1-line block ×5, first 2 shown]
	v_cmp_lt_u32_e32 vcc, 7, v11
	v_mov_b32_dpp v22, v4 row_shr:8 row_mask:0xf bank_mask:0xf
	v_mov_b32_dpp v23, v5 row_shr:8 row_mask:0xf bank_mask:0xf
	;; [unrolled: 1-line block ×4, first 2 shown]
	scratch_store_dwordx4 off, v[18:21], off offset:112
	scratch_store_dwordx4 off, v[22:25], off offset:128
	scratch_store_dword off, v13, off offset:144
	s_and_saveexec_b64 s[6:7], vcc
	s_cbranch_execz .LBB2118_67
; %bb.60:
	v_mov_b32_e32 v8, 0
	s_mov_b32 s5, 0
	v_cmp_eq_u16_sdwa s[8:9], v10, v8 src0_sel:BYTE_0 src1_sel:DWORD
	s_and_saveexec_b64 s[2:3], s[8:9]
	s_cbranch_execz .LBB2118_66
; %bb.61:
	v_mov_b32_e32 v9, v8
.LBB2118_62:                            ; =>This Inner Loop Header: Depth=1
	s_add_i32 s8, s5, 0
	s_add_i32 s5, s5, 8
	s_cmp_lg_u32 s5, 32
	scratch_store_dwordx2 off, v[8:9], s8
	s_cbranch_scc1 .LBB2118_62
; %bb.63:
	s_mov_b32 s5, 0
.LBB2118_64:                            ; =>This Inner Loop Header: Depth=1
	s_add_i32 s8, s5, 0x70
	s_add_i32 s9, s5, 0xd0
	scratch_load_dwordx2 v[0:1], off, s8
	scratch_load_dwordx2 v[2:3], off, s9
	s_add_i32 s8, s5, 0
	s_add_i32 s5, s5, 8
	s_cmp_lg_u32 s5, 32
	s_waitcnt vmcnt(0)
	v_add_u32_e32 v1, v3, v1
	v_add_u32_e32 v0, v2, v0
	scratch_store_dwordx2 off, v[0:1], s8
	s_cbranch_scc1 .LBB2118_64
; %bb.65:
	scratch_load_dwordx4 v[0:3], off, off
	scratch_load_dwordx4 v[4:7], off, off offset:16
.LBB2118_66:
	s_or_b64 exec, exec, s[2:3]
	v_and_b32_e32 v8, 1, v10
	v_cmp_eq_u32_e32 vcc, 1, v8
	v_and_b32_e32 v8, 1, v13
	v_cmp_eq_u32_e64 s[2:3], 1, v8
	s_or_b64 s[2:3], vcc, s[2:3]
	s_nop 0
	v_cndmask_b32_e64 v8, 0, 1, s[2:3]
	scratch_store_byte off, v8, off offset:240
	scratch_load_dword v12, off, off offset:240
	s_waitcnt vmcnt(3)
	scratch_store_dwordx4 off, v[0:3], off offset:208
	s_waitcnt vmcnt(3)
	scratch_store_dwordx4 off, v[4:7], off offset:224
	s_waitcnt vmcnt(2)
	v_mov_b32_e32 v10, v12
.LBB2118_67:
	s_or_b64 exec, exec, s[6:7]
	v_and_b32_e32 v8, 16, v17
	v_mov_b32_dpp v18, v0 row_bcast:15 row_mask:0xf bank_mask:0xf
	v_mov_b32_dpp v19, v1 row_bcast:15 row_mask:0xf bank_mask:0xf
	;; [unrolled: 1-line block ×5, first 2 shown]
	v_cmp_ne_u32_e32 vcc, 0, v8
	v_mov_b32_dpp v22, v4 row_bcast:15 row_mask:0xf bank_mask:0xf
	v_mov_b32_dpp v23, v5 row_bcast:15 row_mask:0xf bank_mask:0xf
	;; [unrolled: 1-line block ×4, first 2 shown]
	scratch_store_dwordx4 off, v[18:21], off offset:112
	scratch_store_dwordx4 off, v[22:25], off offset:128
	scratch_store_dword off, v11, off offset:144
	s_and_saveexec_b64 s[6:7], vcc
	s_cbranch_execz .LBB2118_75
; %bb.68:
	v_mov_b32_e32 v8, 0
	s_mov_b32 s5, 0
	v_cmp_eq_u16_sdwa s[8:9], v10, v8 src0_sel:BYTE_0 src1_sel:DWORD
	s_and_saveexec_b64 s[2:3], s[8:9]
	s_cbranch_execz .LBB2118_74
; %bb.69:
	v_mov_b32_e32 v9, v8
.LBB2118_70:                            ; =>This Inner Loop Header: Depth=1
	s_add_i32 s8, s5, 0
	s_add_i32 s5, s5, 8
	s_cmp_lg_u32 s5, 32
	scratch_store_dwordx2 off, v[8:9], s8
	s_cbranch_scc1 .LBB2118_70
; %bb.71:
	s_mov_b32 s5, 0
.LBB2118_72:                            ; =>This Inner Loop Header: Depth=1
	s_add_i32 s8, s5, 0x70
	s_add_i32 s9, s5, 0xd0
	scratch_load_dwordx2 v[0:1], off, s8
	scratch_load_dwordx2 v[2:3], off, s9
	s_add_i32 s8, s5, 0
	s_add_i32 s5, s5, 8
	s_cmp_lg_u32 s5, 32
	s_waitcnt vmcnt(0)
	v_add_u32_e32 v1, v3, v1
	v_add_u32_e32 v0, v2, v0
	scratch_store_dwordx2 off, v[0:1], s8
	s_cbranch_scc1 .LBB2118_72
; %bb.73:
	scratch_load_dwordx4 v[0:3], off, off
	scratch_load_dwordx4 v[4:7], off, off offset:16
.LBB2118_74:
	s_or_b64 exec, exec, s[2:3]
	v_and_b32_e32 v8, 1, v10
	v_cmp_eq_u32_e32 vcc, 1, v8
	v_and_b32_e32 v8, 1, v11
	v_cmp_eq_u32_e64 s[2:3], 1, v8
	s_or_b64 s[2:3], vcc, s[2:3]
	s_nop 0
	v_cndmask_b32_e64 v8, 0, 1, s[2:3]
	scratch_store_byte off, v8, off offset:240
	scratch_load_dword v12, off, off offset:240
	s_waitcnt vmcnt(3)
	scratch_store_dwordx4 off, v[0:3], off offset:208
	s_waitcnt vmcnt(3)
	scratch_store_dwordx4 off, v[4:7], off offset:224
	s_waitcnt vmcnt(2)
	v_mov_b32_e32 v10, v12
.LBB2118_75:
	s_or_b64 exec, exec, s[6:7]
	v_mov_b32_dpp v18, v0 row_bcast:31 row_mask:0xf bank_mask:0xf
	v_mov_b32_dpp v19, v1 row_bcast:31 row_mask:0xf bank_mask:0xf
	;; [unrolled: 1-line block ×5, first 2 shown]
	v_cmp_lt_u32_e32 vcc, 31, v17
	v_mov_b32_dpp v22, v4 row_bcast:31 row_mask:0xf bank_mask:0xf
	v_mov_b32_dpp v23, v5 row_bcast:31 row_mask:0xf bank_mask:0xf
	;; [unrolled: 1-line block ×4, first 2 shown]
	scratch_store_dwordx4 off, v[18:21], off offset:112
	scratch_store_dwordx4 off, v[22:25], off offset:128
	scratch_store_dword off, v11, off offset:144
	s_and_saveexec_b64 s[6:7], vcc
	s_cbranch_execz .LBB2118_83
; %bb.76:
	v_mov_b32_e32 v8, 0
	s_mov_b32 s5, 0
	v_cmp_eq_u16_sdwa s[8:9], v10, v8 src0_sel:BYTE_0 src1_sel:DWORD
	s_and_saveexec_b64 s[2:3], s[8:9]
	s_cbranch_execz .LBB2118_82
; %bb.77:
	v_mov_b32_e32 v9, v8
.LBB2118_78:                            ; =>This Inner Loop Header: Depth=1
	s_add_i32 s8, s5, 0
	s_add_i32 s5, s5, 8
	s_cmp_lg_u32 s5, 32
	scratch_store_dwordx2 off, v[8:9], s8
	s_cbranch_scc1 .LBB2118_78
; %bb.79:
	s_mov_b32 s5, 0
.LBB2118_80:                            ; =>This Inner Loop Header: Depth=1
	s_add_i32 s8, s5, 0x70
	s_add_i32 s9, s5, 0xd0
	scratch_load_dwordx2 v[0:1], off, s8
	scratch_load_dwordx2 v[2:3], off, s9
	s_add_i32 s8, s5, 0
	s_add_i32 s5, s5, 8
	s_cmp_lg_u32 s5, 32
	s_waitcnt vmcnt(0)
	v_add_u32_e32 v1, v3, v1
	v_add_u32_e32 v0, v2, v0
	scratch_store_dwordx2 off, v[0:1], s8
	s_cbranch_scc1 .LBB2118_80
; %bb.81:
	scratch_load_dwordx4 v[0:3], off, off
	scratch_load_dwordx4 v[4:7], off, off offset:16
.LBB2118_82:
	s_or_b64 exec, exec, s[2:3]
	v_and_b32_e32 v8, 1, v10
	v_cmp_eq_u32_e32 vcc, 1, v8
	v_and_b32_e32 v8, 1, v11
	v_cmp_eq_u32_e64 s[2:3], 1, v8
	s_or_b64 s[2:3], vcc, s[2:3]
	s_nop 0
	v_cndmask_b32_e64 v10, 0, 1, s[2:3]
	s_waitcnt vmcnt(1)
	scratch_store_dwordx4 off, v[0:3], off offset:208
	s_waitcnt vmcnt(1)
	scratch_store_dwordx4 off, v[4:7], off offset:224
	scratch_store_byte off, v10, off offset:240
.LBB2118_83:
	s_or_b64 exec, exec, s[6:7]
	v_or_b32_e32 v8, 63, v16
	v_lshrrev_b32_e32 v11, 6, v16
	v_cmp_eq_u32_e32 vcc, v8, v16
	s_and_saveexec_b64 s[2:3], vcc
	s_cbranch_execz .LBB2118_85
; %bb.84:
	v_mul_u32_u24_e32 v8, 36, v11
	ds_write2_b32 v8, v0, v1 offset1:1
	ds_write2_b32 v8, v2, v3 offset0:2 offset1:3
	ds_write2_b32 v8, v4, v5 offset0:4 offset1:5
	;; [unrolled: 1-line block ×3, first 2 shown]
	ds_write_b8 v8, v10 offset:32
.LBB2118_85:
	s_or_b64 exec, exec, s[2:3]
	v_cmp_gt_u32_e32 vcc, 4, v16
	s_waitcnt lgkmcnt(0)
	s_barrier
	s_and_saveexec_b64 s[6:7], vcc
	s_cbranch_execz .LBB2118_103
; %bb.86:
	v_mul_u32_u24_e32 v10, 36, v16
	ds_read_b32 v12, v10 offset:32
	ds_read2_b32 v[4:5], v10 offset0:4 offset1:5
	ds_read2_b32 v[2:3], v10 offset0:2 offset1:3
	ds_read2_b32 v[0:1], v10 offset1:1
	ds_read2_b32 v[6:7], v10 offset0:6 offset1:7
	v_and_b32_e32 v13, 3, v17
	s_waitcnt lgkmcnt(4)
	v_mov_b32_dpp v18, v12 row_shr:1 row_mask:0xf bank_mask:0xf
	s_waitcnt lgkmcnt(2)
	v_mov_b32_dpp v22, v2 row_shr:1 row_mask:0xf bank_mask:0xf
	;; [unrolled: 2-line block ×3, first 2 shown]
	v_mov_b32_dpp v21, v1 row_shr:1 row_mask:0xf bank_mask:0xf
	v_mov_b32_dpp v23, v3 row_shr:1 row_mask:0xf bank_mask:0xf
	v_cmp_ne_u32_e32 vcc, 0, v13
	scratch_store_dword off, v12, off offset:32
	scratch_store_dwordx4 off, v[0:3], off
	s_waitcnt lgkmcnt(0)
	scratch_store_dwordx4 off, v[4:7], off offset:16
	v_mov_b32_dpp v24, v4 row_shr:1 row_mask:0xf bank_mask:0xf
	v_mov_b32_dpp v25, v5 row_shr:1 row_mask:0xf bank_mask:0xf
	;; [unrolled: 1-line block ×4, first 2 shown]
	scratch_store_dwordx4 off, v[20:23], off offset:112
	scratch_store_dwordx4 off, v[24:27], off offset:128
	scratch_store_dword off, v18, off offset:144
	s_and_saveexec_b64 s[2:3], vcc
	s_cbranch_execz .LBB2118_94
; %bb.87:
	v_mov_b32_e32 v8, 0
	v_cmp_eq_u16_sdwa s[10:11], v12, v8 src0_sel:BYTE_0 src1_sel:DWORD
	s_and_saveexec_b64 s[8:9], s[10:11]
	s_cbranch_execz .LBB2118_93
; %bb.88:
	s_mov_b32 s5, 0
	v_mov_b32_e32 v9, v8
.LBB2118_89:                            ; =>This Inner Loop Header: Depth=1
	s_add_i32 s10, s5, 36
	s_add_i32 s5, s5, 8
	s_cmp_lg_u32 s5, 32
	scratch_store_dwordx2 off, v[8:9], s10
	s_cbranch_scc1 .LBB2118_89
; %bb.90:
	s_mov_b32 s5, 0
.LBB2118_91:                            ; =>This Inner Loop Header: Depth=1
	s_add_i32 s10, s5, 0x70
	s_add_i32 s11, s5, 0
	scratch_load_dwordx2 v[0:1], off, s10
	scratch_load_dwordx2 v[2:3], off, s11
	s_add_i32 s10, s5, 36
	s_add_i32 s5, s5, 8
	s_cmp_lg_u32 s5, 32
	s_waitcnt vmcnt(0)
	v_add_u32_e32 v1, v3, v1
	v_add_u32_e32 v0, v2, v0
	scratch_store_dwordx2 off, v[0:1], s10
	s_cbranch_scc1 .LBB2118_91
; %bb.92:
	scratch_load_dwordx4 v[0:3], off, off offset:36
	scratch_load_dwordx4 v[4:7], off, off offset:52
.LBB2118_93:
	s_or_b64 exec, exec, s[8:9]
	v_or_b32_e32 v8, v18, v12
	v_and_b32_e32 v8, 1, v8
	scratch_store_byte off, v8, off offset:32
	scratch_load_dword v12, off, off offset:32
	s_waitcnt vmcnt(3)
	scratch_store_dwordx4 off, v[0:3], off
	s_waitcnt vmcnt(3)
	scratch_store_dwordx4 off, v[4:7], off offset:16
.LBB2118_94:
	s_or_b64 exec, exec, s[2:3]
	v_mov_b32_dpp v20, v0 row_shr:2 row_mask:0xf bank_mask:0xf
	v_mov_b32_dpp v21, v1 row_shr:2 row_mask:0xf bank_mask:0xf
	;; [unrolled: 1-line block ×4, first 2 shown]
	s_waitcnt vmcnt(2)
	v_mov_b32_dpp v18, v12 row_shr:2 row_mask:0xf bank_mask:0xf
	v_cmp_lt_u32_e32 vcc, 1, v13
	v_mov_b32_dpp v24, v4 row_shr:2 row_mask:0xf bank_mask:0xf
	v_mov_b32_dpp v25, v5 row_shr:2 row_mask:0xf bank_mask:0xf
	;; [unrolled: 1-line block ×4, first 2 shown]
	scratch_store_dwordx4 off, v[20:23], off offset:112
	scratch_store_dwordx4 off, v[24:27], off offset:128
	scratch_store_dword off, v18, off offset:144
	s_and_saveexec_b64 s[8:9], vcc
	s_cbranch_execz .LBB2118_102
; %bb.95:
	v_mov_b32_e32 v8, 0
	s_mov_b32 s5, 0
	v_cmp_eq_u16_sdwa s[10:11], v12, v8 src0_sel:BYTE_0 src1_sel:DWORD
	s_and_saveexec_b64 s[2:3], s[10:11]
	s_cbranch_execz .LBB2118_101
; %bb.96:
	v_mov_b32_e32 v9, v8
.LBB2118_97:                            ; =>This Inner Loop Header: Depth=1
	s_add_i32 s10, s5, 36
	s_add_i32 s5, s5, 8
	s_cmp_lg_u32 s5, 32
	scratch_store_dwordx2 off, v[8:9], s10
	s_cbranch_scc1 .LBB2118_97
; %bb.98:
	s_mov_b32 s5, 0
.LBB2118_99:                            ; =>This Inner Loop Header: Depth=1
	s_add_i32 s10, s5, 0x70
	s_add_i32 s11, s5, 0
	scratch_load_dwordx2 v[0:1], off, s10
	scratch_load_dwordx2 v[2:3], off, s11
	s_add_i32 s10, s5, 36
	s_add_i32 s5, s5, 8
	s_cmp_lg_u32 s5, 32
	s_waitcnt vmcnt(0)
	v_add_u32_e32 v1, v3, v1
	v_add_u32_e32 v0, v2, v0
	scratch_store_dwordx2 off, v[0:1], s10
	s_cbranch_scc1 .LBB2118_99
; %bb.100:
	scratch_load_dwordx4 v[0:3], off, off offset:36
	scratch_load_dwordx4 v[4:7], off, off offset:52
.LBB2118_101:
	s_or_b64 exec, exec, s[2:3]
	v_and_b32_e32 v8, 1, v12
	v_cmp_eq_u32_e32 vcc, 1, v8
	v_and_b32_e32 v8, 1, v18
	v_cmp_eq_u32_e64 s[2:3], 1, v8
	s_or_b64 s[2:3], vcc, s[2:3]
	s_waitcnt vmcnt(1)
	scratch_store_dwordx4 off, v[0:3], off
	s_waitcnt vmcnt(1)
	scratch_store_dwordx4 off, v[4:7], off offset:16
	v_cndmask_b32_e64 v12, 0, 1, s[2:3]
.LBB2118_102:
	s_or_b64 exec, exec, s[8:9]
	scratch_load_dwordx4 v[0:3], off, off
	scratch_load_dwordx4 v[4:7], off, off offset:16
	s_waitcnt vmcnt(1)
	ds_write2_b32 v10, v2, v3 offset0:2 offset1:3
	ds_write2_b32 v10, v0, v1 offset1:1
	s_waitcnt vmcnt(0)
	ds_write2_b32 v10, v6, v7 offset0:6 offset1:7
	ds_write2_b32 v10, v4, v5 offset0:4 offset1:5
	ds_write_b8 v10, v12 offset:32
.LBB2118_103:
	s_or_b64 exec, exec, s[6:7]
	s_mov_b32 s8, 0
	s_mov_b32 s9, s8
	v_mov_b32_e32 v0, 0
	s_mov_b32 s10, s8
	s_mov_b32 s11, s8
	v_mov_b64_e32 v[2:3], s[8:9]
	v_mov_b64_e32 v[4:5], s[10:11]
	v_mov_b32_e32 v1, v0
	s_waitcnt lgkmcnt(0)
	s_barrier
	scratch_store_dword off, v0, off offset:144
	scratch_store_dwordx4 off, v[2:5], off offset:128
	scratch_store_dwordx4 off, v[2:5], off offset:112
.LBB2118_104:                           ; =>This Inner Loop Header: Depth=1
	s_add_i32 s2, s8, 0x70
	s_add_i32 s8, s8, 8
	s_cmp_lg_u32 s8, 32
	scratch_store_dwordx2 off, v[0:1], s2
	s_cbranch_scc1 .LBB2118_104
; %bb.105:
	v_cmp_gt_u32_e32 vcc, 64, v16
	v_cmp_lt_u32_e64 s[2:3], 63, v16
                                        ; implicit-def: $vgpr0_vgpr1
                                        ; implicit-def: $vgpr4_vgpr5
                                        ; implicit-def: $vgpr8
	s_and_saveexec_b64 s[6:7], s[2:3]
	s_xor_b64 s[6:7], exec, s[6:7]
	s_cbranch_execz .LBB2118_115
; %bb.106:
	scratch_load_ubyte v9, off, off offset:240
	v_not_b32_e32 v0, 35
	v_mad_u32_u24 v8, v11, 36, v0
	ds_read2_b32 v[0:1], v8 offset0:4 offset1:5
	ds_read2_b32 v[6:7], v8 offset0:2 offset1:3
	ds_read2_b32 v[4:5], v8 offset1:1
	ds_read2_b32 v[2:3], v8 offset0:6 offset1:7
	ds_read_u8 v8, v8 offset:32
	s_waitcnt lgkmcnt(2)
	scratch_store_dwordx4 off, v[4:7], off offset:112
	s_waitcnt lgkmcnt(1)
	scratch_store_dwordx4 off, v[0:3], off offset:128
                                        ; implicit-def: $vgpr0_vgpr1
                                        ; implicit-def: $vgpr4_vgpr5
	s_waitcnt vmcnt(2)
	v_cmp_ne_u16_e64 s[2:3], 0, v9
	s_and_saveexec_b64 s[8:9], s[2:3]
	s_xor_b64 s[2:3], exec, s[8:9]
	s_cbranch_execz .LBB2118_108
; %bb.107:
	scratch_load_dwordx4 v[0:3], off, off offset:208
	scratch_load_dwordx4 v[4:7], off, off offset:224
.LBB2118_108:
	s_andn2_saveexec_b64 s[2:3], s[2:3]
	s_cbranch_execz .LBB2118_114
; %bb.109:
	s_waitcnt vmcnt(1)
	v_mov_b32_e32 v0, 0
	s_mov_b32 s5, 0
	v_mov_b32_e32 v1, v0
.LBB2118_110:                           ; =>This Inner Loop Header: Depth=1
	s_add_i32 s8, s5, 0
	s_add_i32 s5, s5, 8
	s_cmp_lg_u32 s5, 32
	scratch_store_dwordx2 off, v[0:1], s8
	s_cbranch_scc1 .LBB2118_110
; %bb.111:
	s_mov_b32 s5, 0
.LBB2118_112:                           ; =>This Inner Loop Header: Depth=1
	s_add_i32 s8, s5, 0x70
	s_add_i32 s9, s5, 0xd0
	scratch_load_dwordx2 v[0:1], off, s8
	scratch_load_dwordx2 v[2:3], off, s9
	s_add_i32 s8, s5, 0
	s_add_i32 s5, s5, 8
	s_cmp_lg_u32 s5, 32
	s_waitcnt vmcnt(0)
	v_add_u32_e32 v1, v3, v1
	v_add_u32_e32 v0, v2, v0
	scratch_store_dwordx2 off, v[0:1], s8
	s_cbranch_scc1 .LBB2118_112
; %bb.113:
	scratch_load_dwordx4 v[0:3], off, off
	scratch_load_dwordx4 v[4:7], off, off offset:16
.LBB2118_114:
	s_or_b64 exec, exec, s[2:3]
	s_waitcnt lgkmcnt(0)
	v_or_b32_e32 v9, v9, v8
	v_and_b32_e32 v9, 1, v9
	scratch_store_byte off, v9, off offset:240
.LBB2118_115:
	s_andn2_saveexec_b64 s[2:3], s[6:7]
	s_cbranch_execz .LBB2118_117
; %bb.116:
	scratch_load_dwordx4 v[0:3], off, off offset:208
	scratch_load_dwordx4 v[4:7], off, off offset:224
	v_mov_b32_e32 v8, 0
.LBB2118_117:
	s_or_b64 exec, exec, s[2:3]
	scratch_load_dword v9, off, off offset:240
	v_add_u32_e32 v10, -1, v17
	v_and_b32_e32 v11, 64, v17
	v_cmp_lt_i32_e64 s[2:3], v10, v11
	s_nop 1
	v_cndmask_b32_e64 v10, v10, v17, s[2:3]
	v_lshlrev_b32_e32 v10, 2, v10
	s_waitcnt vmcnt(2)
	ds_bpermute_b32 v0, v10, v0
	ds_bpermute_b32 v1, v10, v1
	;; [unrolled: 1-line block ×4, first 2 shown]
	s_waitcnt vmcnt(1)
	ds_bpermute_b32 v4, v10, v4
	ds_bpermute_b32 v5, v10, v5
	;; [unrolled: 1-line block ×4, first 2 shown]
	v_cmp_eq_u32_e64 s[2:3], 0, v17
	s_waitcnt vmcnt(0)
	ds_bpermute_b32 v9, v10, v9
	s_waitcnt lgkmcnt(5)
	scratch_store_dwordx4 off, v[0:3], off offset:208
	s_waitcnt lgkmcnt(1)
	scratch_store_dwordx4 off, v[4:7], off offset:224
	s_waitcnt lgkmcnt(0)
	scratch_store_byte off, v9, off offset:240
	v_and_b32_e32 v0, 1, v9
	v_cmp_eq_u32_e64 s[22:23], 1, v0
	s_and_saveexec_b64 s[8:9], s[2:3]
	s_cbranch_execz .LBB2118_119
; %bb.118:
	scratch_load_dwordx4 v[0:3], off, off offset:112
	scratch_load_dwordx4 v[4:7], off, off offset:128
	v_and_b32_e32 v9, 1, v8
	v_cmp_eq_u32_e64 s[6:7], 1, v9
	s_andn2_b64 s[10:11], s[22:23], exec
	s_and_b64 s[6:7], s[6:7], exec
	s_or_b64 s[22:23], s[10:11], s[6:7]
	scratch_store_byte off, v8, off offset:240
	s_waitcnt vmcnt(2)
	scratch_store_dwordx4 off, v[0:3], off offset:208
	s_waitcnt vmcnt(2)
	scratch_store_dwordx4 off, v[4:7], off offset:224
.LBB2118_119:
	s_or_b64 exec, exec, s[8:9]
	s_and_saveexec_b64 s[24:25], vcc
	s_cbranch_execz .LBB2118_256
; %bb.120:
	v_mov_b32_e32 v8, 0
	ds_read2_b32 v[0:1], v8 offset0:27 offset1:28
	ds_read2_b32 v[2:3], v8 offset0:29 offset1:30
	;; [unrolled: 1-line block ×4, first 2 shown]
	ds_read_b32 v9, v8 offset:140
	s_waitcnt lgkmcnt(3)
	scratch_store_dwordx4 off, v[0:3], off offset:72
	s_waitcnt lgkmcnt(1)
	scratch_store_dwordx4 off, v[4:7], off offset:88
	s_waitcnt lgkmcnt(0)
	scratch_store_dword off, v9, off offset:104
	s_and_saveexec_b64 s[6:7], s[2:3]
	s_cbranch_execz .LBB2118_122
; %bb.121:
	s_movk_i32 s5, 0xff
	v_lshrrev_b32_e32 v10, 8, v9
	v_and_b32_sdwa v12, v9, s5 dst_sel:DWORD dst_unused:UNUSED_PAD src0_sel:WORD_1 src1_sel:DWORD
	v_mov_b32_e32 v13, 8
	s_add_i32 s5, s4, 64
	v_lshlrev_b32_sdwa v10, v13, v10 dst_sel:DWORD dst_unused:UNUSED_PAD src0_sel:DWORD src1_sel:BYTE_0
	s_mul_i32 s8, s5, 36
	v_lshrrev_b32_e32 v11, 24, v9
	v_or_b32_sdwa v9, v10, v9 dst_sel:DWORD dst_unused:UNUSED_PAD src0_sel:DWORD src1_sel:BYTE_0
	v_lshlrev_b32_e32 v10, 16, v12
	s_mul_hi_u32 s9, s5, 36
	s_add_u32 s8, s12, s8
	v_or_b32_e32 v9, v9, v10
	v_lshlrev_b32_e32 v10, 24, v11
	s_addc_u32 s9, s13, s9
	v_or_b32_e32 v9, v9, v10
	global_store_dword v8, v0, s[8:9] sc1
	global_store_dword v8, v1, s[8:9] offset:4 sc1
	global_store_dword v8, v2, s[8:9] offset:8 sc1
	;; [unrolled: 1-line block ×8, first 2 shown]
	v_mov_b32_e32 v0, s5
	v_mov_b32_e32 v1, 1
	s_waitcnt vmcnt(0)
	global_store_byte v0, v1, s[16:17] sc1
.LBB2118_122:
	s_or_b64 exec, exec, s[6:7]
	s_mov_b32 s8, 0
	s_mov_b32 s9, s8
	;; [unrolled: 1-line block ×4, first 2 shown]
	v_mov_b64_e32 v[0:1], s[8:9]
	v_mov_b64_e32 v[2:3], s[10:11]
	v_mov_b32_e32 v9, v8
	scratch_store_dword off, v8, off offset:68
	scratch_store_dwordx4 off, v[0:3], off offset:52
	scratch_store_dwordx4 off, v[0:3], off offset:36
.LBB2118_123:                           ; =>This Inner Loop Header: Depth=1
	s_add_i32 s5, s8, 36
	s_add_i32 s8, s8, 8
	s_cmp_lg_u32 s8, 32
	scratch_store_dwordx2 off, v[8:9], s5
	s_cbranch_scc1 .LBB2118_123
; %bb.124:
	v_mov_b32_e32 v1, 0
	v_xad_u32 v8, v17, -1, s4
	scratch_store_byte off, v1, off offset:68
	v_add_u32_e32 v0, 64, v8
	global_load_ubyte v18, v0, s[16:17] sc1
	s_waitcnt vmcnt(0)
	v_cmp_eq_u16_e32 vcc, 0, v18
	s_and_saveexec_b64 s[6:7], vcc
	s_cbranch_execz .LBB2118_128
; %bb.125:
	v_lshl_add_u64 v[2:3], s[16:17], 0, v[0:1]
	s_mov_b64 s[8:9], 0
.LBB2118_126:                           ; =>This Inner Loop Header: Depth=1
	global_load_ubyte v18, v[2:3], off sc1
	s_waitcnt vmcnt(0)
	v_cmp_ne_u16_e32 vcc, 0, v18
	s_or_b64 s[8:9], vcc, s[8:9]
	s_andn2_b64 exec, exec, s[8:9]
	s_cbranch_execnz .LBB2118_126
; %bb.127:
	s_or_b64 exec, exec, s[8:9]
.LBB2118_128:
	s_or_b64 exec, exec, s[6:7]
	v_mov_b32_e32 v1, s15
	v_mov_b32_e32 v2, s13
	v_cmp_eq_u16_e32 vcc, 1, v18
	s_waitcnt vmcnt(0)
	s_nop 0
	v_cndmask_b32_e32 v3, v1, v2, vcc
	v_mov_b32_e32 v1, s14
	v_mov_b32_e32 v2, s12
	v_cndmask_b32_e32 v2, v1, v2, vcc
	v_mad_u64_u32 v[10:11], s[6:7], v0, 36, v[2:3]
	global_load_dword v0, v[10:11], off sc1
	global_load_dword v1, v[10:11], off offset:4 sc1
	global_load_dword v2, v[10:11], off offset:8 sc1
	;; [unrolled: 1-line block ×8, first 2 shown]
	v_mov_b32_e32 v10, 0
	s_mov_b32 s5, 0
	v_mov_b32_e32 v11, v10
	scratch_store_dword off, v10, off offset:144
	s_waitcnt vmcnt(6)
	scratch_store_dwordx4 off, v[0:3], off offset:36
	s_waitcnt vmcnt(3)
	scratch_store_dwordx4 off, v[4:7], off offset:52
	s_waitcnt vmcnt(3)
	scratch_store_byte off, v9, off offset:68
.LBB2118_129:                           ; =>This Inner Loop Header: Depth=1
	s_add_i32 s6, s5, 0x70
	s_add_i32 s5, s5, 8
	s_cmp_lg_u32 s5, 32
	scratch_store_dwordx2 off, v[10:11], s6
	s_cbranch_scc1 .LBB2118_129
; %bb.130:
	scratch_load_dword v30, off, off offset:68
	v_lshlrev_b64 v[10:11], v17, -1
	v_cmp_eq_u16_e32 vcc, 2, v18
	v_and_b32_e32 v19, 63, v17
	s_nop 0
	v_and_b32_e32 v9, vcc_hi, v11
	v_and_b32_e32 v12, vcc_lo, v10
	v_cmp_ne_u32_e32 vcc, 63, v19
	v_or_b32_e32 v9, 0x80000000, v9
	v_ffbl_b32_e32 v9, v9
	v_addc_co_u32_e32 v13, vcc, 0, v17, vcc
	v_lshlrev_b32_e32 v20, 2, v13
	ds_bpermute_b32 v22, v20, v0
	ds_bpermute_b32 v23, v20, v1
	;; [unrolled: 1-line block ×8, first 2 shown]
	v_add_u32_e32 v9, 32, v9
	v_ffbl_b32_e32 v12, v12
	v_min_u32_e32 v9, v12, v9
	v_cmp_lt_u32_e32 vcc, v19, v9
	s_waitcnt lgkmcnt(4)
	scratch_store_dwordx4 off, v[22:25], off offset:112
	s_waitcnt lgkmcnt(0)
	scratch_store_dwordx4 off, v[26:29], off offset:128
	s_waitcnt vmcnt(2)
	ds_bpermute_b32 v21, v20, v30
	s_and_saveexec_b64 s[6:7], vcc
	s_cbranch_execz .LBB2118_138
; %bb.131:
	v_mov_b32_e32 v12, 0
	v_cmp_eq_u16_sdwa s[10:11], v30, v12 src0_sel:BYTE_0 src1_sel:DWORD
	s_and_saveexec_b64 s[8:9], s[10:11]
	s_cbranch_execz .LBB2118_137
; %bb.132:
	s_mov_b32 s5, 0
	v_mov_b32_e32 v13, v12
.LBB2118_133:                           ; =>This Inner Loop Header: Depth=1
	s_add_i32 s10, s5, 0
	s_add_i32 s5, s5, 8
	s_cmp_lg_u32 s5, 32
	scratch_store_dwordx2 off, v[12:13], s10
	s_cbranch_scc1 .LBB2118_133
; %bb.134:
	s_mov_b32 s5, 0
.LBB2118_135:                           ; =>This Inner Loop Header: Depth=1
	s_add_i32 s10, s5, 0x70
	s_add_i32 s11, s5, 36
	scratch_load_dwordx2 v[0:1], off, s10
	scratch_load_dwordx2 v[2:3], off, s11
	s_add_i32 s10, s5, 0
	s_add_i32 s5, s5, 8
	s_cmp_lg_u32 s5, 32
	s_waitcnt vmcnt(0)
	v_add_u32_e32 v1, v3, v1
	v_add_u32_e32 v0, v2, v0
	scratch_store_dwordx2 off, v[0:1], s10
	s_cbranch_scc1 .LBB2118_135
; %bb.136:
	scratch_load_dwordx4 v[0:3], off, off
	scratch_load_dwordx4 v[4:7], off, off offset:16
.LBB2118_137:
	s_or_b64 exec, exec, s[8:9]
	s_waitcnt lgkmcnt(0)
	v_or_b32_e32 v12, v21, v30
	v_and_b32_e32 v12, 1, v12
	scratch_store_byte off, v12, off offset:68
	scratch_load_dword v30, off, off offset:68
	s_waitcnt vmcnt(3)
	scratch_store_dwordx4 off, v[0:3], off offset:36
	s_waitcnt vmcnt(3)
	scratch_store_dwordx4 off, v[4:7], off offset:52
.LBB2118_138:
	s_or_b64 exec, exec, s[6:7]
	v_cmp_gt_u32_e32 vcc, 62, v19
	v_add_u32_e32 v22, 2, v19
	s_nop 0
	v_cndmask_b32_e64 v12, 0, 1, vcc
	v_lshlrev_b32_e32 v12, 1, v12
	s_waitcnt lgkmcnt(0)
	v_add_lshl_u32 v21, v12, v17, 2
	ds_bpermute_b32 v24, v21, v0
	ds_bpermute_b32 v25, v21, v1
	;; [unrolled: 1-line block ×4, first 2 shown]
	s_waitcnt vmcnt(2)
	ds_bpermute_b32 v23, v21, v30
	ds_bpermute_b32 v32, v21, v4
	;; [unrolled: 1-line block ×5, first 2 shown]
	v_cmp_le_u32_e32 vcc, v22, v9
	s_waitcnt lgkmcnt(5)
	scratch_store_dwordx4 off, v[24:27], off offset:112
	s_waitcnt lgkmcnt(0)
	scratch_store_dwordx4 off, v[32:35], off offset:128
	s_and_saveexec_b64 s[8:9], vcc
	s_cbranch_execz .LBB2118_146
; %bb.139:
	v_mov_b32_e32 v12, 0
	s_mov_b32 s5, 0
	v_cmp_eq_u16_sdwa s[10:11], v30, v12 src0_sel:BYTE_0 src1_sel:DWORD
	s_and_saveexec_b64 s[6:7], s[10:11]
	s_cbranch_execz .LBB2118_145
; %bb.140:
	v_mov_b32_e32 v13, v12
.LBB2118_141:                           ; =>This Inner Loop Header: Depth=1
	s_add_i32 s10, s5, 0
	s_add_i32 s5, s5, 8
	s_cmp_lg_u32 s5, 32
	scratch_store_dwordx2 off, v[12:13], s10
	s_cbranch_scc1 .LBB2118_141
; %bb.142:
	s_mov_b32 s5, 0
.LBB2118_143:                           ; =>This Inner Loop Header: Depth=1
	s_add_i32 s10, s5, 0x70
	s_add_i32 s11, s5, 36
	scratch_load_dwordx2 v[0:1], off, s10
	scratch_load_dwordx2 v[2:3], off, s11
	s_add_i32 s10, s5, 0
	s_add_i32 s5, s5, 8
	s_cmp_lg_u32 s5, 32
	s_waitcnt vmcnt(0)
	v_add_u32_e32 v1, v3, v1
	v_add_u32_e32 v0, v2, v0
	scratch_store_dwordx2 off, v[0:1], s10
	s_cbranch_scc1 .LBB2118_143
; %bb.144:
	scratch_load_dwordx4 v[0:3], off, off
	scratch_load_dwordx4 v[4:7], off, off offset:16
.LBB2118_145:
	s_or_b64 exec, exec, s[6:7]
	v_and_b32_e32 v12, 1, v30
	v_cmp_eq_u32_e32 vcc, 1, v12
	v_and_b32_e32 v12, 1, v23
	v_cmp_eq_u32_e64 s[6:7], 1, v12
	s_or_b64 s[6:7], vcc, s[6:7]
	s_nop 0
	v_cndmask_b32_e64 v12, 0, 1, s[6:7]
	scratch_store_byte off, v12, off offset:68
	scratch_load_dword v30, off, off offset:68
	s_waitcnt vmcnt(3)
	scratch_store_dwordx4 off, v[0:3], off offset:36
	s_waitcnt vmcnt(3)
	scratch_store_dwordx4 off, v[4:7], off offset:52
.LBB2118_146:
	s_or_b64 exec, exec, s[8:9]
	v_cmp_gt_u32_e32 vcc, 60, v19
	v_add_u32_e32 v24, 4, v19
	s_nop 0
	v_cndmask_b32_e64 v12, 0, 1, vcc
	v_lshlrev_b32_e32 v12, 2, v12
	v_add_lshl_u32 v23, v12, v17, 2
	ds_bpermute_b32 v26, v23, v0
	ds_bpermute_b32 v27, v23, v1
	;; [unrolled: 1-line block ×4, first 2 shown]
	s_waitcnt vmcnt(2)
	ds_bpermute_b32 v25, v23, v30
	ds_bpermute_b32 v32, v23, v4
	;; [unrolled: 1-line block ×5, first 2 shown]
	v_cmp_le_u32_e32 vcc, v24, v9
	s_waitcnt lgkmcnt(5)
	scratch_store_dwordx4 off, v[26:29], off offset:112
	s_waitcnt lgkmcnt(0)
	scratch_store_dwordx4 off, v[32:35], off offset:128
	s_and_saveexec_b64 s[8:9], vcc
	s_cbranch_execz .LBB2118_154
; %bb.147:
	v_mov_b32_e32 v12, 0
	s_mov_b32 s5, 0
	v_cmp_eq_u16_sdwa s[10:11], v30, v12 src0_sel:BYTE_0 src1_sel:DWORD
	s_and_saveexec_b64 s[6:7], s[10:11]
	s_cbranch_execz .LBB2118_153
; %bb.148:
	v_mov_b32_e32 v13, v12
.LBB2118_149:                           ; =>This Inner Loop Header: Depth=1
	s_add_i32 s10, s5, 0
	s_add_i32 s5, s5, 8
	s_cmp_lg_u32 s5, 32
	scratch_store_dwordx2 off, v[12:13], s10
	s_cbranch_scc1 .LBB2118_149
; %bb.150:
	s_mov_b32 s5, 0
.LBB2118_151:                           ; =>This Inner Loop Header: Depth=1
	s_add_i32 s10, s5, 0x70
	s_add_i32 s11, s5, 36
	scratch_load_dwordx2 v[0:1], off, s10
	scratch_load_dwordx2 v[2:3], off, s11
	s_add_i32 s10, s5, 0
	s_add_i32 s5, s5, 8
	s_cmp_lg_u32 s5, 32
	s_waitcnt vmcnt(0)
	v_add_u32_e32 v1, v3, v1
	v_add_u32_e32 v0, v2, v0
	scratch_store_dwordx2 off, v[0:1], s10
	s_cbranch_scc1 .LBB2118_151
; %bb.152:
	scratch_load_dwordx4 v[0:3], off, off
	scratch_load_dwordx4 v[4:7], off, off offset:16
.LBB2118_153:
	s_or_b64 exec, exec, s[6:7]
	v_and_b32_e32 v12, 1, v30
	v_cmp_eq_u32_e32 vcc, 1, v12
	v_and_b32_e32 v12, 1, v25
	v_cmp_eq_u32_e64 s[6:7], 1, v12
	s_or_b64 s[6:7], vcc, s[6:7]
	s_nop 0
	v_cndmask_b32_e64 v12, 0, 1, s[6:7]
	scratch_store_byte off, v12, off offset:68
	scratch_load_dword v30, off, off offset:68
	s_waitcnt vmcnt(3)
	scratch_store_dwordx4 off, v[0:3], off offset:36
	s_waitcnt vmcnt(3)
	scratch_store_dwordx4 off, v[4:7], off offset:52
.LBB2118_154:
	s_or_b64 exec, exec, s[8:9]
	v_cmp_gt_u32_e32 vcc, 56, v19
	v_add_u32_e32 v26, 8, v19
	s_nop 0
	v_cndmask_b32_e64 v12, 0, 1, vcc
	v_lshlrev_b32_e32 v12, 3, v12
	v_add_lshl_u32 v25, v12, v17, 2
	ds_bpermute_b32 v32, v25, v0
	ds_bpermute_b32 v33, v25, v1
	ds_bpermute_b32 v34, v25, v2
	ds_bpermute_b32 v35, v25, v3
	s_waitcnt vmcnt(2)
	ds_bpermute_b32 v27, v25, v30
	ds_bpermute_b32 v36, v25, v4
	;; [unrolled: 1-line block ×5, first 2 shown]
	v_cmp_le_u32_e32 vcc, v26, v9
	s_waitcnt lgkmcnt(5)
	scratch_store_dwordx4 off, v[32:35], off offset:112
	s_waitcnt lgkmcnt(0)
	scratch_store_dwordx4 off, v[36:39], off offset:128
	s_and_saveexec_b64 s[8:9], vcc
	s_cbranch_execz .LBB2118_162
; %bb.155:
	v_mov_b32_e32 v12, 0
	s_mov_b32 s5, 0
	v_cmp_eq_u16_sdwa s[10:11], v30, v12 src0_sel:BYTE_0 src1_sel:DWORD
	s_and_saveexec_b64 s[6:7], s[10:11]
	s_cbranch_execz .LBB2118_161
; %bb.156:
	v_mov_b32_e32 v13, v12
.LBB2118_157:                           ; =>This Inner Loop Header: Depth=1
	s_add_i32 s10, s5, 0
	s_add_i32 s5, s5, 8
	s_cmp_lg_u32 s5, 32
	scratch_store_dwordx2 off, v[12:13], s10
	s_cbranch_scc1 .LBB2118_157
; %bb.158:
	s_mov_b32 s5, 0
.LBB2118_159:                           ; =>This Inner Loop Header: Depth=1
	s_add_i32 s10, s5, 0x70
	s_add_i32 s11, s5, 36
	scratch_load_dwordx2 v[0:1], off, s10
	scratch_load_dwordx2 v[2:3], off, s11
	s_add_i32 s10, s5, 0
	s_add_i32 s5, s5, 8
	s_cmp_lg_u32 s5, 32
	s_waitcnt vmcnt(0)
	v_add_u32_e32 v1, v3, v1
	v_add_u32_e32 v0, v2, v0
	scratch_store_dwordx2 off, v[0:1], s10
	s_cbranch_scc1 .LBB2118_159
; %bb.160:
	scratch_load_dwordx4 v[0:3], off, off
	scratch_load_dwordx4 v[4:7], off, off offset:16
.LBB2118_161:
	s_or_b64 exec, exec, s[6:7]
	v_and_b32_e32 v12, 1, v30
	v_cmp_eq_u32_e32 vcc, 1, v12
	v_and_b32_e32 v12, 1, v27
	v_cmp_eq_u32_e64 s[6:7], 1, v12
	s_or_b64 s[6:7], vcc, s[6:7]
	s_nop 0
	v_cndmask_b32_e64 v12, 0, 1, s[6:7]
	scratch_store_byte off, v12, off offset:68
	scratch_load_dword v30, off, off offset:68
	s_waitcnt vmcnt(3)
	scratch_store_dwordx4 off, v[0:3], off offset:36
	s_waitcnt vmcnt(3)
	scratch_store_dwordx4 off, v[4:7], off offset:52
.LBB2118_162:
	s_or_b64 exec, exec, s[8:9]
	v_cmp_gt_u32_e32 vcc, 48, v19
	v_add_u32_e32 v28, 16, v19
	s_nop 0
	v_cndmask_b32_e64 v12, 0, 1, vcc
	v_lshlrev_b32_e32 v12, 4, v12
	v_add_lshl_u32 v27, v12, v17, 2
	ds_bpermute_b32 v32, v27, v0
	ds_bpermute_b32 v33, v27, v1
	ds_bpermute_b32 v34, v27, v2
	ds_bpermute_b32 v35, v27, v3
	s_waitcnt vmcnt(2)
	ds_bpermute_b32 v29, v27, v30
	ds_bpermute_b32 v36, v27, v4
	;; [unrolled: 1-line block ×5, first 2 shown]
	v_cmp_le_u32_e32 vcc, v28, v9
	s_waitcnt lgkmcnt(5)
	scratch_store_dwordx4 off, v[32:35], off offset:112
	s_waitcnt lgkmcnt(0)
	scratch_store_dwordx4 off, v[36:39], off offset:128
	s_and_saveexec_b64 s[8:9], vcc
	s_cbranch_execz .LBB2118_170
; %bb.163:
	v_mov_b32_e32 v12, 0
	s_mov_b32 s5, 0
	v_cmp_eq_u16_sdwa s[10:11], v30, v12 src0_sel:BYTE_0 src1_sel:DWORD
	s_and_saveexec_b64 s[6:7], s[10:11]
	s_cbranch_execz .LBB2118_169
; %bb.164:
	v_mov_b32_e32 v13, v12
.LBB2118_165:                           ; =>This Inner Loop Header: Depth=1
	s_add_i32 s10, s5, 0
	s_add_i32 s5, s5, 8
	s_cmp_lg_u32 s5, 32
	scratch_store_dwordx2 off, v[12:13], s10
	s_cbranch_scc1 .LBB2118_165
; %bb.166:
	s_mov_b32 s5, 0
.LBB2118_167:                           ; =>This Inner Loop Header: Depth=1
	s_add_i32 s10, s5, 0x70
	s_add_i32 s11, s5, 36
	scratch_load_dwordx2 v[0:1], off, s10
	scratch_load_dwordx2 v[2:3], off, s11
	s_add_i32 s10, s5, 0
	s_add_i32 s5, s5, 8
	s_cmp_lg_u32 s5, 32
	s_waitcnt vmcnt(0)
	v_add_u32_e32 v1, v3, v1
	v_add_u32_e32 v0, v2, v0
	scratch_store_dwordx2 off, v[0:1], s10
	s_cbranch_scc1 .LBB2118_167
; %bb.168:
	scratch_load_dwordx4 v[0:3], off, off
	scratch_load_dwordx4 v[4:7], off, off offset:16
.LBB2118_169:
	s_or_b64 exec, exec, s[6:7]
	v_and_b32_e32 v12, 1, v30
	v_cmp_eq_u32_e32 vcc, 1, v12
	v_and_b32_e32 v12, 1, v29
	v_cmp_eq_u32_e64 s[6:7], 1, v12
	s_or_b64 s[6:7], vcc, s[6:7]
	s_nop 0
	v_cndmask_b32_e64 v12, 0, 1, s[6:7]
	scratch_store_byte off, v12, off offset:68
	scratch_load_dword v30, off, off offset:68
	s_waitcnt vmcnt(3)
	scratch_store_dwordx4 off, v[0:3], off offset:36
	s_waitcnt vmcnt(3)
	scratch_store_dwordx4 off, v[4:7], off offset:52
.LBB2118_170:
	s_or_b64 exec, exec, s[8:9]
	v_cmp_gt_u32_e32 vcc, 32, v19
	v_add_u32_e32 v29, 32, v19
	s_nop 0
	v_cndmask_b32_e64 v12, 0, 1, vcc
	v_lshlrev_b32_e32 v12, 5, v12
	v_add_lshl_u32 v17, v12, v17, 2
	ds_bpermute_b32 v32, v17, v0
	ds_bpermute_b32 v33, v17, v1
	;; [unrolled: 1-line block ×4, first 2 shown]
	s_waitcnt vmcnt(2)
	ds_bpermute_b32 v31, v17, v30
	ds_bpermute_b32 v36, v17, v4
	;; [unrolled: 1-line block ×5, first 2 shown]
	v_cmp_le_u32_e32 vcc, v29, v9
	s_waitcnt lgkmcnt(5)
	scratch_store_dwordx4 off, v[32:35], off offset:112
	s_waitcnt lgkmcnt(0)
	scratch_store_dwordx4 off, v[36:39], off offset:128
	s_and_saveexec_b64 s[8:9], vcc
	s_cbranch_execz .LBB2118_178
; %bb.171:
	v_mov_b32_e32 v12, 0
	s_mov_b32 s5, 0
	v_cmp_eq_u16_sdwa s[10:11], v30, v12 src0_sel:BYTE_0 src1_sel:DWORD
	s_and_saveexec_b64 s[6:7], s[10:11]
	s_cbranch_execz .LBB2118_177
; %bb.172:
	v_mov_b32_e32 v13, v12
.LBB2118_173:                           ; =>This Inner Loop Header: Depth=1
	s_add_i32 s10, s5, 0
	s_add_i32 s5, s5, 8
	s_cmp_lg_u32 s5, 32
	scratch_store_dwordx2 off, v[12:13], s10
	s_cbranch_scc1 .LBB2118_173
; %bb.174:
	s_mov_b32 s5, 0
.LBB2118_175:                           ; =>This Inner Loop Header: Depth=1
	s_add_i32 s10, s5, 0x70
	s_add_i32 s11, s5, 36
	scratch_load_dwordx2 v[0:1], off, s10
	scratch_load_dwordx2 v[2:3], off, s11
	s_add_i32 s10, s5, 0
	s_add_i32 s5, s5, 8
	s_cmp_lg_u32 s5, 32
	s_waitcnt vmcnt(0)
	v_add_u32_e32 v1, v3, v1
	v_add_u32_e32 v0, v2, v0
	scratch_store_dwordx2 off, v[0:1], s10
	s_cbranch_scc1 .LBB2118_175
; %bb.176:
	scratch_load_dwordx4 v[0:3], off, off
	scratch_load_dwordx4 v[4:7], off, off offset:16
.LBB2118_177:
	s_or_b64 exec, exec, s[6:7]
	v_and_b32_e32 v9, 1, v30
	v_cmp_eq_u32_e32 vcc, 1, v9
	v_and_b32_e32 v9, 1, v31
	v_cmp_eq_u32_e64 s[6:7], 1, v9
	s_or_b64 s[6:7], vcc, s[6:7]
	s_nop 0
	v_cndmask_b32_e64 v9, 0, 1, s[6:7]
	s_waitcnt vmcnt(1)
	scratch_store_dwordx4 off, v[0:3], off offset:36
	s_waitcnt vmcnt(1)
	scratch_store_dwordx4 off, v[4:7], off offset:52
	scratch_store_byte off, v9, off offset:68
.LBB2118_178:
	s_or_b64 exec, exec, s[8:9]
	scratch_load_dwordx4 v[0:3], off, off offset:36
	scratch_load_dwordx4 v[4:7], off, off offset:52
	scratch_load_dword v9, off, off offset:68
	s_lshr_b32 s5, s34, 16
	s_mul_i32 s5, s5, s35
	v_mul_lo_u32 v30, s5, v16
	v_mov_b32_e32 v13, 0x6000
	v_add3_u32 v14, v30, v15, v14
	v_mov_b32_e32 v12, 0
	v_lshl_add_u32 v14, v14, 5, v13
	v_mov_b32_e32 v15, 2
	s_waitcnt vmcnt(2)
	scratch_store_dwordx4 off, v[0:3], off
	s_waitcnt vmcnt(2)
	scratch_store_dwordx4 off, v[4:7], off offset:16
	s_waitcnt vmcnt(2)
	scratch_store_dword off, v9, off offset:32
	s_branch .LBB2118_180
.LBB2118_179:                           ;   in Loop: Header=BB2118_180 Depth=1
	s_or_b64 exec, exec, s[8:9]
	v_and_b32_e32 v9, 1, v9
	v_cmp_eq_u32_e32 vcc, 1, v9
	s_or_b64 s[6:7], vcc, s[6:7]
	v_subrev_u32_e32 v8, 64, v8
	v_cndmask_b32_e64 v9, 0, 1, s[6:7]
	s_waitcnt vmcnt(1)
	scratch_store_dwordx4 off, v[0:3], off
	s_waitcnt vmcnt(1)
	scratch_store_dwordx4 off, v[4:7], off offset:16
	scratch_store_byte off, v9, off offset:32
.LBB2118_180:                           ; =>This Loop Header: Depth=1
                                        ;     Child Loop BB2118_183 Depth 2
                                        ;     Child Loop BB2118_186 Depth 2
                                        ;     Child Loop BB2118_190 Depth 2
                                        ;     Child Loop BB2118_192 Depth 2
                                        ;     Child Loop BB2118_198 Depth 2
                                        ;     Child Loop BB2118_200 Depth 2
                                        ;     Child Loop BB2118_206 Depth 2
                                        ;     Child Loop BB2118_208 Depth 2
                                        ;     Child Loop BB2118_214 Depth 2
                                        ;     Child Loop BB2118_216 Depth 2
                                        ;     Child Loop BB2118_222 Depth 2
                                        ;     Child Loop BB2118_224 Depth 2
                                        ;     Child Loop BB2118_230 Depth 2
                                        ;     Child Loop BB2118_232 Depth 2
                                        ;     Child Loop BB2118_239 Depth 2
                                        ;     Child Loop BB2118_241 Depth 2
	v_cmp_ne_u16_sdwa s[6:7], v18, v15 src0_sel:BYTE_0 src1_sel:DWORD
	s_nop 1
	v_cndmask_b32_e64 v0, 0, 1, s[6:7]
	;;#ASMSTART
	;;#ASMEND
	s_nop 0
	v_cmp_ne_u32_e32 vcc, 0, v0
	s_cmp_lg_u64 vcc, exec
	s_cbranch_scc1 .LBB2118_243
; %bb.181:                              ;   in Loop: Header=BB2118_180 Depth=1
	global_load_ubyte v18, v8, s[16:17] sc1
	v_mov_b32_e32 v9, v12
	s_waitcnt vmcnt(0)
	v_cmp_eq_u16_e32 vcc, 0, v18
	s_and_saveexec_b64 s[6:7], vcc
	s_cbranch_execz .LBB2118_185
; %bb.182:                              ;   in Loop: Header=BB2118_180 Depth=1
	v_lshl_add_u64 v[0:1], s[16:17], 0, v[8:9]
	s_mov_b64 s[8:9], 0
.LBB2118_183:                           ;   Parent Loop BB2118_180 Depth=1
                                        ; =>  This Inner Loop Header: Depth=2
	global_load_ubyte v18, v[0:1], off sc1
	s_waitcnt vmcnt(0)
	v_cmp_ne_u16_e32 vcc, 0, v18
	s_or_b64 s[8:9], vcc, s[8:9]
	s_andn2_b64 exec, exec, s[8:9]
	s_cbranch_execnz .LBB2118_183
; %bb.184:                              ;   in Loop: Header=BB2118_180 Depth=1
	s_or_b64 exec, exec, s[8:9]
.LBB2118_185:                           ;   in Loop: Header=BB2118_180 Depth=1
	s_or_b64 exec, exec, s[6:7]
	v_mov_b32_e32 v0, s15
	v_mov_b32_e32 v1, s13
	v_cmp_eq_u16_e32 vcc, 1, v18
	v_mov_b32_e32 v2, s12
	s_waitcnt vmcnt(0)
	v_cndmask_b32_e32 v1, v0, v1, vcc
	v_mov_b32_e32 v0, s14
	v_cndmask_b32_e32 v0, v0, v2, vcc
	v_mad_u64_u32 v[30:31], s[6:7], v8, 36, v[0:1]
	global_load_dword v0, v[30:31], off sc1
	global_load_dword v1, v[30:31], off offset:4 sc1
	global_load_dword v2, v[30:31], off offset:8 sc1
	;; [unrolled: 1-line block ×8, first 2 shown]
	s_mov_b32 s5, 0
	scratch_store_dword off, v12, off offset:144
	s_waitcnt vmcnt(6)
	scratch_store_dwordx4 off, v[0:3], off offset:36
	s_waitcnt vmcnt(3)
	scratch_store_dwordx4 off, v[4:7], off offset:52
	s_waitcnt vmcnt(3)
	scratch_store_byte off, v9, off offset:68
.LBB2118_186:                           ;   Parent Loop BB2118_180 Depth=1
                                        ; =>  This Inner Loop Header: Depth=2
	s_add_i32 s6, s5, 0x70
	s_add_i32 s5, s5, 8
	v_mov_b32_e32 v13, v12
	s_cmp_lg_u32 s5, 32
	scratch_store_dwordx2 off, v[12:13], s6
	s_cbranch_scc1 .LBB2118_186
; %bb.187:                              ;   in Loop: Header=BB2118_180 Depth=1
	scratch_load_dword v13, off, off offset:68
	v_cmp_eq_u16_e32 vcc, 2, v18
	ds_bpermute_b32 v32, v20, v0
	ds_bpermute_b32 v33, v20, v1
	v_and_b32_e32 v9, vcc_hi, v11
	v_and_b32_e32 v30, vcc_lo, v10
	v_or_b32_e32 v9, 0x80000000, v9
	ds_bpermute_b32 v34, v20, v2
	ds_bpermute_b32 v35, v20, v3
	v_ffbl_b32_e32 v31, v30
	v_ffbl_b32_e32 v9, v9
	ds_bpermute_b32 v36, v20, v4
	ds_bpermute_b32 v37, v20, v5
	;; [unrolled: 1-line block ×4, first 2 shown]
	v_add_u32_e32 v9, 32, v9
	v_min_u32_e32 v9, v31, v9
	v_cmp_lt_u32_e32 vcc, v19, v9
	s_waitcnt lgkmcnt(4)
	scratch_store_dwordx4 off, v[32:35], off offset:112
	s_waitcnt lgkmcnt(0)
	scratch_store_dwordx4 off, v[36:39], off offset:128
	s_waitcnt vmcnt(2)
	ds_bpermute_b32 v30, v20, v13
	s_and_saveexec_b64 s[6:7], vcc
	s_cbranch_execz .LBB2118_195
; %bb.188:                              ;   in Loop: Header=BB2118_180 Depth=1
	v_cmp_eq_u16_sdwa s[10:11], v13, v12 src0_sel:BYTE_0 src1_sel:DWORD
	s_and_saveexec_b64 s[8:9], s[10:11]
	s_cbranch_execz .LBB2118_194
; %bb.189:                              ;   in Loop: Header=BB2118_180 Depth=1
	s_mov_b32 s5, 0
.LBB2118_190:                           ;   Parent Loop BB2118_180 Depth=1
                                        ; =>  This Inner Loop Header: Depth=2
	v_add_u32_e32 v0, s5, v14
	s_add_i32 s5, s5, 8
	s_cmp_lg_u32 s5, 32
	ds_write2_b32 v0, v12, v12 offset1:1
	s_cbranch_scc1 .LBB2118_190
; %bb.191:                              ;   in Loop: Header=BB2118_180 Depth=1
	s_mov_b32 s5, 0
.LBB2118_192:                           ;   Parent Loop BB2118_180 Depth=1
                                        ; =>  This Inner Loop Header: Depth=2
	s_add_i32 s10, s5, 0x70
	s_add_i32 s11, s5, 36
	scratch_load_dwordx2 v[0:1], off, s10
	scratch_load_dwordx2 v[2:3], off, s11
	v_add_u32_e32 v4, s5, v14
	s_add_i32 s5, s5, 8
	s_cmp_lg_u32 s5, 32
	s_waitcnt vmcnt(0)
	v_add_u32_e32 v1, v3, v1
	v_add_u32_e32 v0, v2, v0
	ds_write2_b32 v4, v0, v1 offset1:1
	s_cbranch_scc1 .LBB2118_192
; %bb.193:                              ;   in Loop: Header=BB2118_180 Depth=1
	ds_read2_b32 v[0:1], v14 offset1:1
	ds_read2_b32 v[2:3], v14 offset0:2 offset1:3
	ds_read2_b32 v[4:5], v14 offset0:4 offset1:5
	;; [unrolled: 1-line block ×3, first 2 shown]
.LBB2118_194:                           ;   in Loop: Header=BB2118_180 Depth=1
	s_or_b64 exec, exec, s[8:9]
	s_waitcnt lgkmcnt(0)
	v_or_b32_e32 v13, v30, v13
	v_and_b32_e32 v13, 1, v13
	scratch_store_byte off, v13, off offset:68
	scratch_load_dword v13, off, off offset:68
	s_nop 0
	scratch_store_dwordx4 off, v[0:3], off offset:36
	scratch_store_dwordx4 off, v[4:7], off offset:52
.LBB2118_195:                           ;   in Loop: Header=BB2118_180 Depth=1
	s_or_b64 exec, exec, s[6:7]
	ds_bpermute_b32 v32, v21, v0
	ds_bpermute_b32 v33, v21, v1
	;; [unrolled: 1-line block ×4, first 2 shown]
	s_waitcnt vmcnt(2) lgkmcnt(4)
	ds_bpermute_b32 v30, v21, v13
	ds_bpermute_b32 v36, v21, v4
	;; [unrolled: 1-line block ×5, first 2 shown]
	v_cmp_le_u32_e32 vcc, v22, v9
	s_waitcnt lgkmcnt(5)
	scratch_store_dwordx4 off, v[32:35], off offset:112
	s_waitcnt lgkmcnt(0)
	scratch_store_dwordx4 off, v[36:39], off offset:128
	s_and_saveexec_b64 s[8:9], vcc
	s_cbranch_execz .LBB2118_203
; %bb.196:                              ;   in Loop: Header=BB2118_180 Depth=1
	v_cmp_eq_u16_sdwa s[10:11], v13, v12 src0_sel:BYTE_0 src1_sel:DWORD
	s_and_saveexec_b64 s[6:7], s[10:11]
	s_cbranch_execz .LBB2118_202
; %bb.197:                              ;   in Loop: Header=BB2118_180 Depth=1
	s_mov_b32 s5, 0
.LBB2118_198:                           ;   Parent Loop BB2118_180 Depth=1
                                        ; =>  This Inner Loop Header: Depth=2
	v_add_u32_e32 v0, s5, v14
	s_add_i32 s5, s5, 8
	s_cmp_lg_u32 s5, 32
	ds_write2_b32 v0, v12, v12 offset1:1
	s_cbranch_scc1 .LBB2118_198
; %bb.199:                              ;   in Loop: Header=BB2118_180 Depth=1
	s_mov_b32 s5, 0
.LBB2118_200:                           ;   Parent Loop BB2118_180 Depth=1
                                        ; =>  This Inner Loop Header: Depth=2
	s_add_i32 s10, s5, 0x70
	s_add_i32 s11, s5, 36
	scratch_load_dwordx2 v[0:1], off, s10
	scratch_load_dwordx2 v[2:3], off, s11
	v_add_u32_e32 v4, s5, v14
	s_add_i32 s5, s5, 8
	s_cmp_lg_u32 s5, 32
	s_waitcnt vmcnt(0)
	v_add_u32_e32 v1, v3, v1
	v_add_u32_e32 v0, v2, v0
	ds_write2_b32 v4, v0, v1 offset1:1
	s_cbranch_scc1 .LBB2118_200
; %bb.201:                              ;   in Loop: Header=BB2118_180 Depth=1
	ds_read2_b32 v[0:1], v14 offset1:1
	ds_read2_b32 v[2:3], v14 offset0:2 offset1:3
	ds_read2_b32 v[4:5], v14 offset0:4 offset1:5
	;; [unrolled: 1-line block ×3, first 2 shown]
.LBB2118_202:                           ;   in Loop: Header=BB2118_180 Depth=1
	s_or_b64 exec, exec, s[6:7]
	v_and_b32_e32 v13, 1, v13
	v_cmp_eq_u32_e32 vcc, 1, v13
	v_and_b32_e32 v13, 1, v30
	v_cmp_eq_u32_e64 s[6:7], 1, v13
	s_or_b64 s[6:7], vcc, s[6:7]
	s_nop 0
	v_cndmask_b32_e64 v13, 0, 1, s[6:7]
	scratch_store_byte off, v13, off offset:68
	scratch_load_dword v13, off, off offset:68
	s_waitcnt lgkmcnt(2)
	scratch_store_dwordx4 off, v[0:3], off offset:36
	s_waitcnt lgkmcnt(0)
	scratch_store_dwordx4 off, v[4:7], off offset:52
.LBB2118_203:                           ;   in Loop: Header=BB2118_180 Depth=1
	s_or_b64 exec, exec, s[8:9]
	ds_bpermute_b32 v32, v23, v0
	ds_bpermute_b32 v33, v23, v1
	;; [unrolled: 1-line block ×4, first 2 shown]
	s_waitcnt vmcnt(2)
	ds_bpermute_b32 v30, v23, v13
	ds_bpermute_b32 v36, v23, v4
	;; [unrolled: 1-line block ×5, first 2 shown]
	v_cmp_le_u32_e32 vcc, v24, v9
	s_waitcnt lgkmcnt(5)
	scratch_store_dwordx4 off, v[32:35], off offset:112
	s_waitcnt lgkmcnt(0)
	scratch_store_dwordx4 off, v[36:39], off offset:128
	s_and_saveexec_b64 s[8:9], vcc
	s_cbranch_execz .LBB2118_211
; %bb.204:                              ;   in Loop: Header=BB2118_180 Depth=1
	v_cmp_eq_u16_sdwa s[10:11], v13, v12 src0_sel:BYTE_0 src1_sel:DWORD
	s_and_saveexec_b64 s[6:7], s[10:11]
	s_cbranch_execz .LBB2118_210
; %bb.205:                              ;   in Loop: Header=BB2118_180 Depth=1
	s_mov_b32 s5, 0
.LBB2118_206:                           ;   Parent Loop BB2118_180 Depth=1
                                        ; =>  This Inner Loop Header: Depth=2
	v_add_u32_e32 v0, s5, v14
	s_add_i32 s5, s5, 8
	s_cmp_lg_u32 s5, 32
	ds_write2_b32 v0, v12, v12 offset1:1
	s_cbranch_scc1 .LBB2118_206
; %bb.207:                              ;   in Loop: Header=BB2118_180 Depth=1
	s_mov_b32 s5, 0
.LBB2118_208:                           ;   Parent Loop BB2118_180 Depth=1
                                        ; =>  This Inner Loop Header: Depth=2
	s_add_i32 s10, s5, 0x70
	s_add_i32 s11, s5, 36
	scratch_load_dwordx2 v[0:1], off, s10
	scratch_load_dwordx2 v[2:3], off, s11
	v_add_u32_e32 v4, s5, v14
	s_add_i32 s5, s5, 8
	s_cmp_lg_u32 s5, 32
	s_waitcnt vmcnt(0)
	v_add_u32_e32 v1, v3, v1
	v_add_u32_e32 v0, v2, v0
	ds_write2_b32 v4, v0, v1 offset1:1
	s_cbranch_scc1 .LBB2118_208
; %bb.209:                              ;   in Loop: Header=BB2118_180 Depth=1
	ds_read2_b32 v[0:1], v14 offset1:1
	ds_read2_b32 v[2:3], v14 offset0:2 offset1:3
	ds_read2_b32 v[4:5], v14 offset0:4 offset1:5
	;; [unrolled: 1-line block ×3, first 2 shown]
.LBB2118_210:                           ;   in Loop: Header=BB2118_180 Depth=1
	s_or_b64 exec, exec, s[6:7]
	v_and_b32_e32 v13, 1, v13
	v_cmp_eq_u32_e32 vcc, 1, v13
	v_and_b32_e32 v13, 1, v30
	v_cmp_eq_u32_e64 s[6:7], 1, v13
	s_or_b64 s[6:7], vcc, s[6:7]
	s_nop 0
	v_cndmask_b32_e64 v13, 0, 1, s[6:7]
	scratch_store_byte off, v13, off offset:68
	scratch_load_dword v13, off, off offset:68
	s_waitcnt lgkmcnt(2)
	scratch_store_dwordx4 off, v[0:3], off offset:36
	s_waitcnt lgkmcnt(0)
	scratch_store_dwordx4 off, v[4:7], off offset:52
.LBB2118_211:                           ;   in Loop: Header=BB2118_180 Depth=1
	s_or_b64 exec, exec, s[8:9]
	ds_bpermute_b32 v32, v25, v0
	ds_bpermute_b32 v33, v25, v1
	;; [unrolled: 1-line block ×4, first 2 shown]
	s_waitcnt vmcnt(2)
	ds_bpermute_b32 v30, v25, v13
	ds_bpermute_b32 v36, v25, v4
	;; [unrolled: 1-line block ×5, first 2 shown]
	v_cmp_le_u32_e32 vcc, v26, v9
	s_waitcnt lgkmcnt(5)
	scratch_store_dwordx4 off, v[32:35], off offset:112
	s_waitcnt lgkmcnt(0)
	scratch_store_dwordx4 off, v[36:39], off offset:128
	s_and_saveexec_b64 s[8:9], vcc
	s_cbranch_execz .LBB2118_219
; %bb.212:                              ;   in Loop: Header=BB2118_180 Depth=1
	v_cmp_eq_u16_sdwa s[10:11], v13, v12 src0_sel:BYTE_0 src1_sel:DWORD
	s_and_saveexec_b64 s[6:7], s[10:11]
	s_cbranch_execz .LBB2118_218
; %bb.213:                              ;   in Loop: Header=BB2118_180 Depth=1
	s_mov_b32 s5, 0
.LBB2118_214:                           ;   Parent Loop BB2118_180 Depth=1
                                        ; =>  This Inner Loop Header: Depth=2
	v_add_u32_e32 v0, s5, v14
	s_add_i32 s5, s5, 8
	s_cmp_lg_u32 s5, 32
	ds_write2_b32 v0, v12, v12 offset1:1
	s_cbranch_scc1 .LBB2118_214
; %bb.215:                              ;   in Loop: Header=BB2118_180 Depth=1
	s_mov_b32 s5, 0
.LBB2118_216:                           ;   Parent Loop BB2118_180 Depth=1
                                        ; =>  This Inner Loop Header: Depth=2
	s_add_i32 s10, s5, 0x70
	s_add_i32 s11, s5, 36
	scratch_load_dwordx2 v[0:1], off, s10
	scratch_load_dwordx2 v[2:3], off, s11
	v_add_u32_e32 v4, s5, v14
	s_add_i32 s5, s5, 8
	s_cmp_lg_u32 s5, 32
	s_waitcnt vmcnt(0)
	v_add_u32_e32 v1, v3, v1
	v_add_u32_e32 v0, v2, v0
	ds_write2_b32 v4, v0, v1 offset1:1
	s_cbranch_scc1 .LBB2118_216
; %bb.217:                              ;   in Loop: Header=BB2118_180 Depth=1
	ds_read2_b32 v[0:1], v14 offset1:1
	ds_read2_b32 v[2:3], v14 offset0:2 offset1:3
	ds_read2_b32 v[4:5], v14 offset0:4 offset1:5
	;; [unrolled: 1-line block ×3, first 2 shown]
.LBB2118_218:                           ;   in Loop: Header=BB2118_180 Depth=1
	s_or_b64 exec, exec, s[6:7]
	v_and_b32_e32 v13, 1, v13
	v_cmp_eq_u32_e32 vcc, 1, v13
	v_and_b32_e32 v13, 1, v30
	v_cmp_eq_u32_e64 s[6:7], 1, v13
	s_or_b64 s[6:7], vcc, s[6:7]
	s_nop 0
	v_cndmask_b32_e64 v13, 0, 1, s[6:7]
	scratch_store_byte off, v13, off offset:68
	scratch_load_dword v13, off, off offset:68
	s_waitcnt lgkmcnt(2)
	scratch_store_dwordx4 off, v[0:3], off offset:36
	s_waitcnt lgkmcnt(0)
	scratch_store_dwordx4 off, v[4:7], off offset:52
.LBB2118_219:                           ;   in Loop: Header=BB2118_180 Depth=1
	s_or_b64 exec, exec, s[8:9]
	ds_bpermute_b32 v32, v27, v0
	ds_bpermute_b32 v33, v27, v1
	;; [unrolled: 1-line block ×4, first 2 shown]
	s_waitcnt vmcnt(2)
	ds_bpermute_b32 v30, v27, v13
	ds_bpermute_b32 v36, v27, v4
	;; [unrolled: 1-line block ×5, first 2 shown]
	v_cmp_le_u32_e32 vcc, v28, v9
	s_waitcnt lgkmcnt(5)
	scratch_store_dwordx4 off, v[32:35], off offset:112
	s_waitcnt lgkmcnt(0)
	scratch_store_dwordx4 off, v[36:39], off offset:128
	s_and_saveexec_b64 s[8:9], vcc
	s_cbranch_execz .LBB2118_227
; %bb.220:                              ;   in Loop: Header=BB2118_180 Depth=1
	v_cmp_eq_u16_sdwa s[10:11], v13, v12 src0_sel:BYTE_0 src1_sel:DWORD
	s_and_saveexec_b64 s[6:7], s[10:11]
	s_cbranch_execz .LBB2118_226
; %bb.221:                              ;   in Loop: Header=BB2118_180 Depth=1
	s_mov_b32 s5, 0
.LBB2118_222:                           ;   Parent Loop BB2118_180 Depth=1
                                        ; =>  This Inner Loop Header: Depth=2
	v_add_u32_e32 v0, s5, v14
	s_add_i32 s5, s5, 8
	s_cmp_lg_u32 s5, 32
	ds_write2_b32 v0, v12, v12 offset1:1
	s_cbranch_scc1 .LBB2118_222
; %bb.223:                              ;   in Loop: Header=BB2118_180 Depth=1
	s_mov_b32 s5, 0
.LBB2118_224:                           ;   Parent Loop BB2118_180 Depth=1
                                        ; =>  This Inner Loop Header: Depth=2
	s_add_i32 s10, s5, 0x70
	s_add_i32 s11, s5, 36
	scratch_load_dwordx2 v[0:1], off, s10
	scratch_load_dwordx2 v[2:3], off, s11
	v_add_u32_e32 v4, s5, v14
	s_add_i32 s5, s5, 8
	s_cmp_lg_u32 s5, 32
	s_waitcnt vmcnt(0)
	v_add_u32_e32 v1, v3, v1
	v_add_u32_e32 v0, v2, v0
	ds_write2_b32 v4, v0, v1 offset1:1
	s_cbranch_scc1 .LBB2118_224
; %bb.225:                              ;   in Loop: Header=BB2118_180 Depth=1
	ds_read2_b32 v[0:1], v14 offset1:1
	ds_read2_b32 v[2:3], v14 offset0:2 offset1:3
	ds_read2_b32 v[4:5], v14 offset0:4 offset1:5
	;; [unrolled: 1-line block ×3, first 2 shown]
.LBB2118_226:                           ;   in Loop: Header=BB2118_180 Depth=1
	s_or_b64 exec, exec, s[6:7]
	v_and_b32_e32 v13, 1, v13
	v_cmp_eq_u32_e32 vcc, 1, v13
	v_and_b32_e32 v13, 1, v30
	v_cmp_eq_u32_e64 s[6:7], 1, v13
	s_or_b64 s[6:7], vcc, s[6:7]
	s_nop 0
	v_cndmask_b32_e64 v13, 0, 1, s[6:7]
	scratch_store_byte off, v13, off offset:68
	scratch_load_dword v13, off, off offset:68
	s_waitcnt lgkmcnt(2)
	scratch_store_dwordx4 off, v[0:3], off offset:36
	s_waitcnt lgkmcnt(0)
	scratch_store_dwordx4 off, v[4:7], off offset:52
.LBB2118_227:                           ;   in Loop: Header=BB2118_180 Depth=1
	s_or_b64 exec, exec, s[8:9]
	ds_bpermute_b32 v32, v17, v0
	ds_bpermute_b32 v33, v17, v1
	;; [unrolled: 1-line block ×4, first 2 shown]
	s_waitcnt vmcnt(2)
	ds_bpermute_b32 v30, v17, v13
	ds_bpermute_b32 v36, v17, v4
	;; [unrolled: 1-line block ×5, first 2 shown]
	v_cmp_le_u32_e32 vcc, v29, v9
	v_and_b32_e32 v9, 1, v13
	v_cmp_eq_u32_e64 s[6:7], 1, v9
	s_waitcnt lgkmcnt(5)
	scratch_store_dwordx4 off, v[32:35], off offset:112
	s_waitcnt lgkmcnt(0)
	scratch_store_dwordx4 off, v[36:39], off offset:128
	s_and_saveexec_b64 s[8:9], vcc
	s_cbranch_execz .LBB2118_235
; %bb.228:                              ;   in Loop: Header=BB2118_180 Depth=1
	v_cmp_eq_u16_sdwa s[34:35], v13, v12 src0_sel:BYTE_0 src1_sel:DWORD
	s_and_saveexec_b64 s[10:11], s[34:35]
	s_cbranch_execz .LBB2118_234
; %bb.229:                              ;   in Loop: Header=BB2118_180 Depth=1
	s_mov_b32 s5, 0
.LBB2118_230:                           ;   Parent Loop BB2118_180 Depth=1
                                        ; =>  This Inner Loop Header: Depth=2
	v_add_u32_e32 v0, s5, v14
	s_add_i32 s5, s5, 8
	s_cmp_lg_u32 s5, 32
	ds_write2_b32 v0, v12, v12 offset1:1
	s_cbranch_scc1 .LBB2118_230
; %bb.231:                              ;   in Loop: Header=BB2118_180 Depth=1
	s_mov_b32 s5, 0
.LBB2118_232:                           ;   Parent Loop BB2118_180 Depth=1
                                        ; =>  This Inner Loop Header: Depth=2
	s_add_i32 s34, s5, 0x70
	s_add_i32 s35, s5, 36
	scratch_load_dwordx2 v[0:1], off, s34
	scratch_load_dwordx2 v[2:3], off, s35
	v_add_u32_e32 v4, s5, v14
	s_add_i32 s5, s5, 8
	s_cmp_lg_u32 s5, 32
	s_waitcnt vmcnt(0)
	v_add_u32_e32 v1, v3, v1
	v_add_u32_e32 v0, v2, v0
	ds_write2_b32 v4, v0, v1 offset1:1
	s_cbranch_scc1 .LBB2118_232
; %bb.233:                              ;   in Loop: Header=BB2118_180 Depth=1
	ds_read2_b32 v[0:1], v14 offset1:1
	ds_read2_b32 v[2:3], v14 offset0:2 offset1:3
	ds_read2_b32 v[4:5], v14 offset0:4 offset1:5
	;; [unrolled: 1-line block ×3, first 2 shown]
.LBB2118_234:                           ;   in Loop: Header=BB2118_180 Depth=1
	s_or_b64 exec, exec, s[10:11]
	v_and_b32_e32 v9, 1, v30
	v_cmp_eq_u32_e32 vcc, 1, v9
	s_or_b64 s[10:11], s[6:7], vcc
	v_cndmask_b32_e64 v9, 0, 1, s[10:11]
	s_andn2_b64 s[6:7], s[6:7], exec
	s_and_b64 s[10:11], s[10:11], exec
	s_or_b64 s[6:7], s[6:7], s[10:11]
	s_waitcnt lgkmcnt(2)
	scratch_store_dwordx4 off, v[0:3], off offset:36
	s_waitcnt lgkmcnt(0)
	scratch_store_dwordx4 off, v[4:7], off offset:52
	scratch_store_byte off, v9, off offset:68
.LBB2118_235:                           ;   in Loop: Header=BB2118_180 Depth=1
	s_or_b64 exec, exec, s[8:9]
	scratch_load_ubyte v9, off, off offset:32
                                        ; implicit-def: $vgpr6_vgpr7
                                        ; implicit-def: $vgpr2_vgpr3
	s_waitcnt vmcnt(0)
	v_cmp_ne_u16_e32 vcc, 0, v9
	s_and_saveexec_b64 s[8:9], vcc
	s_xor_b64 s[8:9], exec, s[8:9]
	s_cbranch_execz .LBB2118_237
; %bb.236:                              ;   in Loop: Header=BB2118_180 Depth=1
	scratch_load_dwordx4 v[0:3], off, off
	scratch_load_dwordx4 v[4:7], off, off offset:16
.LBB2118_237:                           ;   in Loop: Header=BB2118_180 Depth=1
	s_andn2_saveexec_b64 s[8:9], s[8:9]
	s_cbranch_execz .LBB2118_179
; %bb.238:                              ;   in Loop: Header=BB2118_180 Depth=1
	s_mov_b32 s5, 0
.LBB2118_239:                           ;   Parent Loop BB2118_180 Depth=1
                                        ; =>  This Inner Loop Header: Depth=2
	s_add_i32 s10, s5, 0x70
	s_add_i32 s5, s5, 8
	v_mov_b32_e32 v13, v12
	s_cmp_lg_u32 s5, 32
	scratch_store_dwordx2 off, v[12:13], s10
	s_cbranch_scc1 .LBB2118_239
; %bb.240:                              ;   in Loop: Header=BB2118_180 Depth=1
	s_mov_b32 s5, 0
.LBB2118_241:                           ;   Parent Loop BB2118_180 Depth=1
                                        ; =>  This Inner Loop Header: Depth=2
	s_add_i32 s10, s5, 36
	s_add_i32 s11, s5, 0
	scratch_load_dwordx2 v[0:1], off, s10
	scratch_load_dwordx2 v[2:3], off, s11
	s_add_i32 s10, s5, 0x70
	s_add_i32 s5, s5, 8
	s_cmp_lg_u32 s5, 32
	s_waitcnt vmcnt(0)
	v_add_u32_e32 v1, v3, v1
	v_add_u32_e32 v0, v2, v0
	scratch_store_dwordx2 off, v[0:1], s10
	s_cbranch_scc1 .LBB2118_241
; %bb.242:                              ;   in Loop: Header=BB2118_180 Depth=1
	scratch_load_dwordx4 v[0:3], off, off offset:112
	scratch_load_dwordx4 v[4:7], off, off offset:128
	s_branch .LBB2118_179
.LBB2118_243:                           ;   in Loop: Header=BB2118_180 Depth=1
                                        ; implicit-def: $vgpr8
                                        ; implicit-def: $vgpr18
	s_cbranch_execz .LBB2118_180
; %bb.244:
	scratch_load_dwordx4 v[4:7], off, off
	scratch_load_dwordx4 v[0:3], off, off offset:16
	scratch_load_dword v15, off, off offset:32
	s_waitcnt vmcnt(2)
	scratch_store_dwordx4 off, v[4:7], off offset:112
	s_waitcnt vmcnt(2)
	scratch_store_dwordx4 off, v[0:3], off offset:128
	s_waitcnt vmcnt(2)
	scratch_store_dword off, v15, off offset:144
	s_and_saveexec_b64 s[6:7], s[2:3]
	s_cbranch_execz .LBB2118_254
; %bb.245:
	scratch_load_ubyte v17, off, off offset:104
                                        ; implicit-def: $vgpr18_vgpr19
                                        ; implicit-def: $vgpr8_vgpr9
                                        ; implicit-def: $vgpr20
                                        ; implicit-def: $vgpr12
	s_waitcnt vmcnt(0)
	v_cmp_ne_u16_e32 vcc, 0, v17
	s_and_saveexec_b64 s[2:3], vcc
	s_xor_b64 s[2:3], exec, s[2:3]
	s_cbranch_execz .LBB2118_247
; %bb.246:
	scratch_load_dwordx3 v[12:14], off, off offset:72
	scratch_load_dwordx4 v[8:11], off, off offset:84
	scratch_load_dword v20, off, off offset:100
	s_waitcnt vmcnt(2)
	v_mov_b32_e32 v18, v13
	v_mov_b32_e32 v19, v14
.LBB2118_247:
	s_andn2_saveexec_b64 s[2:3], s[2:3]
	s_cbranch_execz .LBB2118_253
; %bb.248:
	s_waitcnt vmcnt(1)
	v_mov_b32_e32 v8, 0
	s_mov_b32 s5, 0
	v_mov_b32_e32 v9, v8
.LBB2118_249:                           ; =>This Inner Loop Header: Depth=1
	s_add_i32 s8, s5, 0
	s_add_i32 s5, s5, 8
	s_cmp_lg_u32 s5, 32
	scratch_store_dwordx2 off, v[8:9], s8
	s_cbranch_scc1 .LBB2118_249
; %bb.250:
	s_mov_b32 s5, 0
.LBB2118_251:                           ; =>This Inner Loop Header: Depth=1
	s_add_i32 s8, s5, 0x70
	s_add_i32 s9, s5, 0x48
	scratch_load_dwordx2 v[8:9], off, s8
	scratch_load_dwordx2 v[10:11], off, s9
	s_add_i32 s8, s5, 0
	s_add_i32 s5, s5, 8
	s_cmp_lg_u32 s5, 32
	s_waitcnt vmcnt(0)
	v_add_u32_e32 v9, v11, v9
	v_add_u32_e32 v8, v10, v8
	scratch_store_dwordx2 off, v[8:9], s8
	s_cbranch_scc1 .LBB2118_251
; %bb.252:
	scratch_load_dwordx3 v[12:14], off, off
	scratch_load_dwordx4 v[8:11], off, off offset:12
	scratch_load_dword v20, off, off offset:28
	s_waitcnt vmcnt(2)
	v_mov_b32_e32 v18, v13
	v_mov_b32_e32 v19, v14
.LBB2118_253:
	s_or_b64 exec, exec, s[2:3]
	s_add_i32 s4, s4, 64
	v_and_b32_e32 v13, 1, v17
	s_mul_i32 s2, s4, 36
	v_and_b32_e32 v14, 1, v15
	v_cmp_eq_u32_e32 vcc, 1, v13
	s_mul_hi_u32 s3, s4, 36
	s_add_u32 s2, s14, s2
	v_cndmask_b32_e64 v13, v14, 1, vcc
	s_addc_u32 s3, s15, s3
	v_mov_b32_e32 v14, 0
	global_store_dword v14, v12, s[2:3] sc1
	global_store_dword v14, v18, s[2:3] offset:4 sc1
	global_store_dword v14, v19, s[2:3] offset:8 sc1
	s_waitcnt vmcnt(4)
	global_store_dword v14, v8, s[2:3] offset:12 sc1
	global_store_dword v14, v9, s[2:3] offset:16 sc1
	global_store_dword v14, v10, s[2:3] offset:20 sc1
	global_store_dword v14, v11, s[2:3] offset:24 sc1
	s_waitcnt vmcnt(7)
	global_store_dword v14, v20, s[2:3] offset:28 sc1
	global_store_dword v14, v13, s[2:3] offset:32 sc1
	v_mov_b32_e32 v8, s4
	v_mov_b32_e32 v9, 2
	s_waitcnt vmcnt(0)
	global_store_byte v8, v9, s[16:17] sc1
.LBB2118_254:
	s_or_b64 exec, exec, s[6:7]
	v_cmp_eq_u32_e32 vcc, 0, v16
	s_and_b64 exec, exec, vcc
	s_cbranch_execz .LBB2118_256
; %bb.255:
	v_mov_b32_e32 v8, 0
	ds_write2_b32 v8, v4, v5 offset0:27 offset1:28
	ds_write2_b32 v8, v6, v7 offset0:29 offset1:30
	;; [unrolled: 1-line block ×4, first 2 shown]
	ds_write_b8 v8, v15 offset:140
.LBB2118_256:
	s_or_b64 exec, exec, s[24:25]
	s_waitcnt lgkmcnt(0)
	s_barrier
	scratch_load_ubyte v8, off, off offset:320
	v_mov_b32_e32 v0, 0
	ds_read2_b32 v[2:3], v0 offset0:27 offset1:28
	ds_read2_b32 v[4:5], v0 offset0:29 offset1:30
	;; [unrolled: 1-line block ×4, first 2 shown]
	ds_read_b32 v9, v0 offset:140
	v_cmp_ne_u32_e32 vcc, 0, v16
	s_waitcnt lgkmcnt(3)
	scratch_store_dwordx4 off, v[2:5], off offset:112
	s_waitcnt lgkmcnt(1)
	scratch_store_dwordx4 off, v[10:13], off offset:128
	s_waitcnt lgkmcnt(0)
	scratch_store_dword off, v9, off offset:144
	s_and_saveexec_b64 s[2:3], vcc
	s_cbranch_execz .LBB2118_266
; %bb.257:
	s_waitcnt vmcnt(3)
	v_cmp_ne_u16_sdwa s[4:5], v8, v0 src0_sel:BYTE_0 src1_sel:DWORD
                                        ; implicit-def: $vgpr6_vgpr7
                                        ; implicit-def: $vgpr2_vgpr3
	s_and_saveexec_b64 s[6:7], s[4:5]
	s_xor_b64 s[4:5], exec, s[6:7]
	s_cbranch_execz .LBB2118_259
; %bb.258:
	scratch_load_dwordx4 v[0:3], off, off offset:288
	scratch_load_dwordx4 v[4:7], off, off offset:304
.LBB2118_259:
	s_andn2_saveexec_b64 s[4:5], s[4:5]
	s_cbranch_execz .LBB2118_265
; %bb.260:
	s_waitcnt vmcnt(1)
	v_mov_b32_e32 v0, 0
	s_mov_b32 s6, 0
	v_mov_b32_e32 v1, v0
.LBB2118_261:                           ; =>This Inner Loop Header: Depth=1
	s_add_i32 s7, s6, 0
	s_add_i32 s6, s6, 8
	s_cmp_lg_u32 s6, 32
	scratch_store_dwordx2 off, v[0:1], s7
	s_cbranch_scc1 .LBB2118_261
; %bb.262:
	s_mov_b32 s6, 0
.LBB2118_263:                           ; =>This Inner Loop Header: Depth=1
	s_add_i32 s7, s6, 0xd0
	s_add_i32 s8, s6, 0x120
	scratch_load_dwordx2 v[0:1], off, s7
	scratch_load_dwordx2 v[2:3], off, s8
	s_add_i32 s7, s6, 0
	s_add_i32 s6, s6, 8
	s_cmp_lg_u32 s6, 32
	s_waitcnt vmcnt(0)
	v_add_u32_e32 v1, v3, v1
	v_add_u32_e32 v0, v2, v0
	scratch_store_dwordx2 off, v[0:1], s7
	s_cbranch_scc1 .LBB2118_263
; %bb.264:
	scratch_load_dwordx4 v[0:3], off, off
	scratch_load_dwordx4 v[4:7], off, off offset:16
.LBB2118_265:
	s_or_b64 exec, exec, s[4:5]
	v_and_b32_e32 v8, 1, v8
	v_cmp_eq_u32_e32 vcc, 1, v8
	s_or_b64 s[4:5], vcc, s[22:23]
	v_cndmask_b32_e64 v8, 0, 1, s[4:5]
	s_waitcnt vmcnt(1)
	scratch_store_dwordx4 off, v[0:3], off offset:288
	s_waitcnt vmcnt(1)
	scratch_store_dwordx4 off, v[4:7], off offset:304
.LBB2118_266:
	s_or_b64 exec, exec, s[2:3]
	v_mov_b32_e32 v0, 0
	s_waitcnt vmcnt(3)
	v_cmp_ne_u16_sdwa s[2:3], v8, v0 src0_sel:BYTE_0 src1_sel:DWORD
                                        ; implicit-def: $vgpr6_vgpr7
                                        ; implicit-def: $vgpr2_vgpr3
	s_and_saveexec_b64 s[4:5], s[2:3]
	s_xor_b64 s[2:3], exec, s[4:5]
	s_cbranch_execz .LBB2118_268
; %bb.267:
	scratch_load_dwordx4 v[0:3], off, off offset:288
	scratch_load_dwordx4 v[4:7], off, off offset:304
.LBB2118_268:
	s_andn2_saveexec_b64 s[2:3], s[2:3]
	s_cbranch_execz .LBB2118_274
; %bb.269:
	s_waitcnt vmcnt(1)
	v_mov_b32_e32 v0, 0
	s_mov_b32 s4, 0
	v_mov_b32_e32 v1, v0
.LBB2118_270:                           ; =>This Inner Loop Header: Depth=1
	s_add_i32 s5, s4, 0
	s_add_i32 s4, s4, 8
	s_cmp_lg_u32 s4, 32
	scratch_store_dwordx2 off, v[0:1], s5
	s_cbranch_scc1 .LBB2118_270
; %bb.271:
	s_mov_b32 s4, 0
.LBB2118_272:                           ; =>This Inner Loop Header: Depth=1
	s_add_i32 s5, s4, 0x70
	s_add_i32 s6, s4, 0x120
	scratch_load_dwordx2 v[0:1], off, s5
	scratch_load_dwordx2 v[2:3], off, s6
	s_add_i32 s5, s4, 0
	s_add_i32 s4, s4, 8
	s_cmp_lg_u32 s4, 32
	s_waitcnt vmcnt(0)
	v_add_u32_e32 v1, v3, v1
	v_add_u32_e32 v0, v2, v0
	scratch_store_dwordx2 off, v[0:1], s5
	s_cbranch_scc1 .LBB2118_272
; %bb.273:
	scratch_load_dwordx4 v[0:3], off, off
	scratch_load_dwordx4 v[4:7], off, off offset:16
.LBB2118_274:
	s_or_b64 exec, exec, s[2:3]
	scratch_load_ubyte v10, off, off offset:356
	v_or_b32_e32 v8, v8, v9
	v_and_b32_e32 v8, 1, v8
	v_cmp_eq_u32_e32 vcc, 1, v8
	s_waitcnt vmcnt(2)
	scratch_store_dwordx4 off, v[0:3], off offset:288
	s_waitcnt vmcnt(2)
	scratch_store_dwordx4 off, v[4:7], off offset:304
	scratch_store_byte off, v8, off offset:320
                                        ; implicit-def: $vgpr6_vgpr7
                                        ; implicit-def: $vgpr2_vgpr3
	s_waitcnt vmcnt(3)
	v_cmp_ne_u16_e64 s[2:3], 0, v10
	s_and_saveexec_b64 s[4:5], s[2:3]
	s_xor_b64 s[2:3], exec, s[4:5]
	s_cbranch_execz .LBB2118_276
; %bb.275:
	scratch_load_dwordx4 v[0:3], off, off offset:324
	scratch_load_dwordx4 v[4:7], off, off offset:340
.LBB2118_276:
	s_andn2_saveexec_b64 s[2:3], s[2:3]
	s_cbranch_execz .LBB2118_282
; %bb.277:
	s_waitcnt vmcnt(1)
	v_mov_b32_e32 v0, 0
	s_mov_b32 s4, 0
	v_mov_b32_e32 v1, v0
.LBB2118_278:                           ; =>This Inner Loop Header: Depth=1
	s_add_i32 s5, s4, 0
	s_add_i32 s4, s4, 8
	s_cmp_lg_u32 s4, 32
	scratch_store_dwordx2 off, v[0:1], s5
	s_cbranch_scc1 .LBB2118_278
; %bb.279:
	s_mov_b32 s4, 0
	v_mov_b32_e32 v0, 0x120
.LBB2118_280:                           ; =>This Inner Loop Header: Depth=1
	v_add_u32_e32 v1, s4, v0
	s_add_i32 s5, s4, 0x120
	v_add_u32_e32 v1, 36, v1
	scratch_load_dwordx2 v[2:3], off, s5
	scratch_load_dwordx2 v[4:5], v1, off
	s_add_i32 s5, s4, 0
	s_add_i32 s4, s4, 8
	s_cmp_lg_u32 s4, 32
	s_waitcnt vmcnt(0)
	v_add_u32_e32 v3, v5, v3
	v_add_u32_e32 v2, v4, v2
	scratch_store_dwordx2 off, v[2:3], s5
	s_cbranch_scc1 .LBB2118_280
; %bb.281:
	scratch_load_dwordx4 v[0:3], off, off
	scratch_load_dwordx4 v[4:7], off, off offset:16
.LBB2118_282:
	s_or_b64 exec, exec, s[2:3]
	scratch_load_ubyte v8, off, off offset:392
	v_and_b32_e32 v9, 1, v10
	v_cmp_eq_u32_e64 s[2:3], 1, v9
	s_or_b64 s[2:3], s[2:3], vcc
	s_waitcnt vmcnt(0)
	v_cmp_ne_u16_e32 vcc, 0, v8
	v_cndmask_b32_e64 v9, 0, 1, s[2:3]
	scratch_store_dwordx4 off, v[0:3], off offset:324
	scratch_store_dwordx4 off, v[4:7], off offset:340
	scratch_store_byte off, v9, off offset:356
                                        ; implicit-def: $vgpr6_vgpr7
                                        ; implicit-def: $vgpr2_vgpr3
	s_and_saveexec_b64 s[4:5], vcc
	s_xor_b64 s[4:5], exec, s[4:5]
	s_cbranch_execz .LBB2118_284
; %bb.283:
	scratch_load_dwordx4 v[0:3], off, off offset:360
	scratch_load_dwordx4 v[4:7], off, off offset:376
.LBB2118_284:
	s_andn2_saveexec_b64 s[4:5], s[4:5]
	s_cbranch_execz .LBB2118_290
; %bb.285:
	s_waitcnt vmcnt(1)
	v_mov_b32_e32 v0, 0
	s_mov_b32 s6, 0
	v_mov_b32_e32 v1, v0
.LBB2118_286:                           ; =>This Inner Loop Header: Depth=1
	s_add_i32 s7, s6, 0
	s_add_i32 s6, s6, 8
	s_cmp_lg_u32 s6, 32
	scratch_store_dwordx2 off, v[0:1], s7
	s_cbranch_scc1 .LBB2118_286
; %bb.287:
	s_mov_b32 s6, 0
	v_mov_b32_e32 v0, 0x120
.LBB2118_288:                           ; =>This Inner Loop Header: Depth=1
	v_add_u32_e32 v1, s6, v0
	s_waitcnt vmcnt(1)
	v_add_u32_e32 v6, 36, v1
	v_add_u32_e32 v1, 0x48, v1
	scratch_load_dwordx2 v[2:3], v6, off
	scratch_load_dwordx2 v[4:5], v1, off
	s_add_i32 s7, s6, 0
	s_add_i32 s6, s6, 8
	s_cmp_lg_u32 s6, 32
	s_waitcnt vmcnt(0)
	v_add_u32_e32 v3, v5, v3
	v_add_u32_e32 v2, v4, v2
	scratch_store_dwordx2 off, v[2:3], s7
	s_cbranch_scc1 .LBB2118_288
; %bb.289:
	scratch_load_dwordx4 v[0:3], off, off
	scratch_load_dwordx4 v[4:7], off, off offset:16
.LBB2118_290:
	s_or_b64 exec, exec, s[4:5]
	v_and_b32_e32 v8, 1, v8
	v_cmp_eq_u32_e32 vcc, 1, v8
	s_or_b64 s[2:3], vcc, s[2:3]
	v_cndmask_b32_e64 v8, 0, 1, s[2:3]
	s_waitcnt vmcnt(1)
	scratch_store_dwordx4 off, v[0:3], off offset:360
	s_waitcnt vmcnt(1)
	scratch_store_dwordx4 off, v[4:7], off offset:376
	scratch_store_byte off, v8, off offset:392
	s_branch .LBB2118_468
.LBB2118_291:
	v_mov_b64_e32 v[0:1], s[22:23]
	flat_load_dword v0, v[0:1]
	s_add_i32 s5, s48, s18
	v_cmp_gt_u32_e64 s[2:3], s5, v16
	s_waitcnt vmcnt(0) lgkmcnt(0)
	v_mov_b32_e32 v1, v0
	s_and_saveexec_b64 s[6:7], s[2:3]
	s_cbranch_execz .LBB2118_293
; %bb.292:
	v_lshlrev_b32_e32 v4, 2, v16
	v_mov_b32_e32 v5, 0
	v_lshl_add_u64 v[4:5], s[22:23], 0, v[4:5]
	flat_load_dword v1, v[4:5]
.LBB2118_293:
	s_or_b64 exec, exec, s[6:7]
	v_or_b32_e32 v5, 0x100, v16
	v_cmp_gt_u32_e64 s[8:9], s5, v5
	v_mov_b32_e32 v4, v0
	s_and_saveexec_b64 s[6:7], s[8:9]
	s_cbranch_execz .LBB2118_295
; %bb.294:
	v_lshlrev_b32_e32 v6, 2, v16
	v_mov_b32_e32 v7, 0
	v_lshl_add_u64 v[6:7], s[22:23], 0, v[6:7]
	flat_load_dword v4, v[6:7] offset:1024
.LBB2118_295:
	s_or_b64 exec, exec, s[6:7]
	v_or_b32_e32 v6, 0x200, v16
	v_cmp_gt_u32_e64 s[6:7], s5, v6
	v_cmp_le_u32_e32 vcc, s5, v6
	s_and_saveexec_b64 s[36:37], vcc
	s_xor_b64 s[36:37], exec, s[36:37]
; %bb.296:
	v_mov_b32_e32 v17, 0
; %bb.297:
	s_andn2_saveexec_b64 s[36:37], s[36:37]
	s_cbranch_execz .LBB2118_299
; %bb.298:
	v_mov_b32_e32 v17, 0
	v_lshlrev_b32_e32 v8, 2, v16
	v_mov_b32_e32 v9, v17
	v_lshl_add_u64 v[8:9], s[22:23], 0, v[8:9]
	flat_load_dword v0, v[8:9] offset:2048
.LBB2118_299:
	s_or_b64 exec, exec, s[36:37]
	v_lshlrev_b32_e32 v7, 2, v16
	v_lshlrev_b32_e32 v8, 3, v16
	v_add_u32_e32 v9, v7, v8
	s_waitcnt vmcnt(0) lgkmcnt(0)
	ds_write2st64_b32 v7, v1, v4 offset1:4
	ds_write_b32 v7, v0 offset:2048
	s_waitcnt lgkmcnt(0)
	s_barrier
	ds_read2_b32 v[0:1], v9 offset1:1
	ds_read_b32 v4, v9 offset:8
	s_cmp_eq_u64 s[24:25], 0
	s_mov_b64 s[36:37], s[22:23]
	s_cbranch_scc1 .LBB2118_303
; %bb.300:
	s_andn2_b64 vcc, exec, s[40:41]
	s_cbranch_vccnz .LBB2118_491
; %bb.301:
	s_lshl_b64 s[36:37], s[24:25], 2
	s_add_u32 s36, s42, s36
	s_addc_u32 s37, s43, s37
	s_add_u32 s36, s36, -4
	s_addc_u32 s37, s37, -1
	s_cbranch_execnz .LBB2118_303
.LBB2118_302:
	s_add_u32 s36, s22, -4
	s_addc_u32 s37, s23, -1
.LBB2118_303:
	v_mov_b64_e32 v[10:11], s[36:37]
	flat_load_dword v7, v[10:11]
	v_sub_u32_e32 v8, v9, v8
	v_cmp_ne_u32_e32 vcc, 0, v16
	s_waitcnt lgkmcnt(0)
	ds_write_b32 v8, v4 offset:3072
	s_waitcnt lgkmcnt(0)
	s_barrier
	s_and_saveexec_b64 s[36:37], vcc
	s_cbranch_execz .LBB2118_305
; %bb.304:
	s_waitcnt vmcnt(0)
	ds_read_b32 v7, v8 offset:3068
.LBB2118_305:
	s_or_b64 exec, exec, s[36:37]
	s_waitcnt lgkmcnt(0)
	s_barrier
	s_and_saveexec_b64 s[36:37], s[2:3]
	s_cbranch_execnz .LBB2118_489
; %bb.306:
	s_or_b64 exec, exec, s[36:37]
	s_and_saveexec_b64 s[2:3], s[8:9]
	s_cbranch_execnz .LBB2118_490
.LBB2118_307:
	s_or_b64 exec, exec, s[2:3]
	s_and_saveexec_b64 s[2:3], s[6:7]
	s_cbranch_execz .LBB2118_309
.LBB2118_308:
	v_lshlrev_b32_e32 v10, 5, v6
	v_mov_b32_e32 v11, 0
	v_lshl_add_u64 v[22:23], s[10:11], 0, v[10:11]
	flat_load_dwordx4 v[10:13], v[22:23]
	flat_load_dwordx4 v[18:21], v[22:23] offset:16
	s_waitcnt vmcnt(0) lgkmcnt(0)
	scratch_store_dwordx4 off, v[10:13], off offset:176
	scratch_store_dwordx4 off, v[18:21], off offset:192
.LBB2118_309:
	s_or_b64 exec, exec, s[2:3]
	scratch_load_dwordx4 v[10:13], off, off offset:112
	scratch_load_dwordx4 v[18:21], off, off offset:128
	scratch_load_dwordx4 v[22:25], v3, off
	scratch_load_dwordx4 v[26:29], v3, off offset:16
	scratch_load_dwordx4 v[30:33], v2, off
	scratch_load_dwordx4 v[34:37], v2, off offset:16
	v_mad_u32_u24 v8, v16, 28, v8
	v_lshl_add_u32 v6, v16, 6, v8
	v_mul_u32_u24_e32 v5, 3, v16
	s_mov_b64 s[6:7], 0
	v_cmp_gt_u32_e32 vcc, s5, v5
	s_mov_b64 s[8:9], 0
                                        ; implicit-def: $sgpr2_sgpr3
	s_waitcnt vmcnt(0)
	ds_write_b128 v8, v[10:13]
	ds_write_b128 v8, v[18:21] offset:16
	ds_write_b128 v8, v[22:25] offset:8192
	;; [unrolled: 1-line block ×5, first 2 shown]
	s_waitcnt lgkmcnt(0)
	s_barrier
	ds_read_b128 v[8:11], v6 offset:32
	ds_read_b128 v[18:21], v6 offset:48
	;; [unrolled: 1-line block ×4, first 2 shown]
	s_waitcnt lgkmcnt(3)
	scratch_store_dwordx4 v3, v[8:11], off
	s_waitcnt lgkmcnt(2)
	scratch_store_dwordx4 v3, v[18:21], off offset:16
	s_waitcnt lgkmcnt(1)
	scratch_store_dwordx4 v2, v[22:25], off
	s_waitcnt lgkmcnt(0)
	scratch_store_dwordx4 v2, v[26:29], off offset:16
	s_and_saveexec_b64 s[36:37], vcc
	s_cbranch_execz .LBB2118_313
; %bb.310:
	ds_read_b128 v[8:11], v6
	ds_read_b128 v[18:21], v6 offset:16
	v_cmp_ne_u32_e32 vcc, v7, v0
	v_add_u32_e32 v12, 1, v5
	s_mov_b64 s[44:45], 0
	v_cndmask_b32_e64 v7, 0, 1, vcc
	v_cmp_gt_u32_e32 vcc, s5, v12
	s_waitcnt lgkmcnt(1)
	scratch_store_dwordx4 off, v[8:11], off offset:288
	s_waitcnt lgkmcnt(0)
	scratch_store_dwordx4 off, v[18:21], off offset:304
	scratch_store_byte off, v7, off offset:320
                                        ; implicit-def: $sgpr46_sgpr47
	s_and_saveexec_b64 s[2:3], vcc
	s_xor_b64 s[8:9], exec, s[2:3]
	s_cbranch_execz .LBB2118_312
; %bb.311:
	v_add_u32_e32 v10, 32, v6
	ds_read2_b32 v[8:9], v10 offset0:6 offset1:7
	ds_read2_b32 v[6:7], v10 offset0:4 offset1:5
	;; [unrolled: 1-line block ×3, first 2 shown]
	ds_read2_b32 v[10:11], v10 offset1:1
	v_cmp_ne_u32_e32 vcc, v1, v4
	v_cmp_ne_u32_e64 s[2:3], v0, v1
	v_add_u32_e32 v1, 2, v5
	s_and_b64 s[46:47], vcc, exec
	v_cndmask_b32_e64 v0, 0, 1, s[2:3]
	v_cmp_gt_u32_e64 s[2:3], s5, v1
	s_waitcnt lgkmcnt(0)
	scratch_store_dwordx4 off, v[10:13], s19
	scratch_store_dwordx4 off, v[6:9], s19 offset:16
	scratch_store_byte off, v0, off offset:356
	s_and_b64 s[44:45], s[2:3], exec
.LBB2118_312:
	s_or_b64 exec, exec, s[8:9]
	s_and_b64 s[2:3], s[46:47], exec
	s_and_b64 s[8:9], s[44:45], exec
.LBB2118_313:
	s_or_b64 exec, exec, s[36:37]
	s_and_b64 vcc, exec, s[6:7]
	s_cbranch_vccz .LBB2118_14
.LBB2118_314:
	v_mov_b32_e32 v1, 0
	v_lshlrev_b32_e32 v0, 2, v16
	v_lshl_add_u64 v[4:5], s[22:23], 0, v[0:1]
	flat_load_dword v1, v[4:5]
	flat_load_dword v6, v[4:5] offset:1024
	flat_load_dword v8, v[4:5] offset:2048
	v_lshlrev_b32_e32 v5, 3, v16
	v_add_u32_e32 v7, v0, v5
	s_cmp_eq_u64 s[24:25], 0
	s_waitcnt vmcnt(0) lgkmcnt(0)
	ds_write2st64_b32 v0, v1, v6 offset1:4
	ds_write_b32 v0, v8 offset:2048
	s_waitcnt lgkmcnt(0)
	s_barrier
	ds_read2_b32 v[0:1], v7 offset1:1
	ds_read_b32 v4, v7 offset:8
	s_cbranch_scc1 .LBB2118_319
; %bb.315:
	s_andn2_b64 vcc, exec, s[40:41]
	s_cbranch_vccnz .LBB2118_492
; %bb.316:
	s_lshl_b64 s[2:3], s[24:25], 2
	s_add_u32 s2, s42, s2
	s_addc_u32 s3, s43, s3
	s_add_u32 s2, s2, -4
	s_addc_u32 s3, s3, -1
	s_cbranch_execnz .LBB2118_318
.LBB2118_317:
	s_add_u32 s2, s22, -4
	s_addc_u32 s3, s23, -1
.LBB2118_318:
	s_mov_b64 s[22:23], s[2:3]
.LBB2118_319:
	v_mov_b64_e32 v[8:9], s[22:23]
	flat_load_dword v6, v[8:9]
	v_sub_u32_e32 v5, v7, v5
	v_cmp_ne_u32_e32 vcc, 0, v16
	s_waitcnt lgkmcnt(0)
	ds_write_b32 v5, v4 offset:3072
	s_waitcnt lgkmcnt(0)
	s_barrier
	s_and_saveexec_b64 s[2:3], vcc
	s_cbranch_execz .LBB2118_321
; %bb.320:
	s_waitcnt vmcnt(0)
	ds_read_b32 v6, v5 offset:3068
.LBB2118_321:
	s_or_b64 exec, exec, s[2:3]
	v_lshlrev_b32_e32 v8, 5, v16
	v_mov_b32_e32 v9, 0
	v_lshl_add_u64 v[12:13], s[10:11], 0, v[8:9]
	s_waitcnt lgkmcnt(0)
	s_barrier
	flat_load_dwordx4 v[8:11], v[12:13]
	flat_load_dwordx4 v[18:21], v[12:13] offset:16
	s_movk_i32 s2, 0x2000
	v_add_co_u32_e32 v30, vcc, s2, v12
	s_movk_i32 s2, 0x4000
	s_nop 0
	v_addc_co_u32_e32 v31, vcc, 0, v13, vcc
	v_add_co_u32_e32 v12, vcc, s2, v12
	v_cmp_ne_u32_e64 s[2:3], v1, v4
	s_nop 0
	v_addc_co_u32_e32 v13, vcc, 0, v13, vcc
	v_mad_u32_u24 v4, v16, 28, v5
	v_cmp_ne_u32_e32 vcc, v0, v1
	s_mov_b64 s[8:9], -1
	s_waitcnt vmcnt(0) lgkmcnt(0)
	scratch_store_dwordx4 off, v[8:11], off offset:112
	scratch_store_dwordx4 off, v[18:21], off offset:128
	flat_load_dwordx4 v[22:25], v[30:31]
	flat_load_dwordx4 v[26:29], v[30:31] offset:16
	v_cndmask_b32_e64 v1, 0, 1, vcc
	v_cmp_ne_u32_e32 vcc, v6, v0
	s_waitcnt vmcnt(0) lgkmcnt(0)
	scratch_store_dwordx4 off, v[22:25], off offset:144
	scratch_store_dwordx4 off, v[26:29], off offset:160
	flat_load_dwordx4 v[22:25], v[12:13]
	s_nop 0
	flat_load_dwordx4 v[26:29], v[12:13] offset:16
	scratch_load_dwordx4 v[30:33], v3, off
	scratch_load_dwordx4 v[34:37], v3, off offset:16
	v_lshl_add_u32 v12, v16, 6, v4
	v_cndmask_b32_e64 v0, 0, 1, vcc
	s_waitcnt vmcnt(0) lgkmcnt(0)
	scratch_store_dwordx4 off, v[22:25], off offset:176
	scratch_store_dwordx4 off, v[26:29], off offset:192
	scratch_load_dwordx4 v[22:25], v2, off
	s_nop 0
	scratch_load_dwordx4 v[26:29], v2, off offset:16
	ds_write_b128 v4, v[8:11]
	ds_write_b128 v4, v[18:21] offset:16
	ds_write_b128 v4, v[30:33] offset:8192
	;; [unrolled: 1-line block ×3, first 2 shown]
	s_waitcnt vmcnt(1)
	ds_write_b128 v4, v[22:25] offset:16384
	s_waitcnt vmcnt(0)
	ds_write_b128 v4, v[26:29] offset:16400
	s_waitcnt lgkmcnt(0)
	s_barrier
	ds_read_b128 v[4:7], v12
	ds_read_b128 v[8:11], v12 offset:16
	ds_read_b128 v[18:21], v12 offset:32
	ds_read_b128 v[22:25], v12 offset:48
	ds_read_b128 v[26:29], v12 offset:64
	ds_read_b128 v[30:33], v12 offset:80
	scratch_store_byte off, v0, off offset:320
	scratch_store_byte off, v1, off offset:356
	s_waitcnt lgkmcnt(3)
	scratch_store_dwordx4 v3, v[18:21], off
	s_waitcnt lgkmcnt(2)
	scratch_store_dwordx4 v3, v[22:25], off offset:16
	s_waitcnt lgkmcnt(1)
	scratch_store_dwordx4 v2, v[26:29], off
	s_waitcnt lgkmcnt(0)
	scratch_store_dwordx4 v2, v[30:33], off offset:16
	scratch_store_dwordx4 off, v[4:7], off offset:288
	scratch_store_dwordx4 off, v[8:11], off offset:304
	scratch_store_dwordx4 off, v[22:25], s19 offset:16
	scratch_store_dwordx4 off, v[18:21], s19
	s_and_saveexec_b64 s[6:7], s[8:9]
	s_cbranch_execnz .LBB2118_15
	s_branch .LBB2118_16
.LBB2118_322:
	s_cbranch_execz .LBB2118_468
; %bb.323:
	s_cmp_lg_u64 s[30:31], 0
	s_cselect_b32 s9, s39, 0
	s_cselect_b32 s8, s38, 0
	s_cmp_lg_u64 s[8:9], 0
	s_cselect_b64 s[4:5], -1, 0
	v_cmp_eq_u32_e32 vcc, 0, v16
	v_cmp_ne_u32_e64 s[2:3], 0, v16
	s_and_b64 s[4:5], vcc, s[4:5]
	s_and_saveexec_b64 s[6:7], s[4:5]
	s_cbranch_execz .LBB2118_333
; %bb.324:
	scratch_load_ubyte v8, off, off offset:320
                                        ; implicit-def: $vgpr6_vgpr7
                                        ; implicit-def: $vgpr2_vgpr3
	s_waitcnt vmcnt(0)
	v_cmp_ne_u16_e64 s[4:5], 0, v8
	s_and_saveexec_b64 s[10:11], s[4:5]
	s_xor_b64 s[4:5], exec, s[10:11]
	s_cbranch_execz .LBB2118_326
; %bb.325:
	scratch_load_dwordx4 v[0:3], off, off offset:288
	scratch_load_dwordx4 v[4:7], off, off offset:304
.LBB2118_326:
	s_andn2_saveexec_b64 s[4:5], s[4:5]
	s_cbranch_execz .LBB2118_332
; %bb.327:
	s_waitcnt vmcnt(1)
	v_mov_b32_e32 v0, 0
	s_mov_b32 s10, 0
	v_mov_b32_e32 v1, v0
.LBB2118_328:                           ; =>This Inner Loop Header: Depth=1
	s_add_i32 s11, s10, 0x70
	s_add_i32 s10, s10, 8
	s_cmp_lg_u32 s10, 32
	scratch_store_dwordx2 off, v[0:1], s11
	s_cbranch_scc1 .LBB2118_328
; %bb.329:
	s_mov_b32 s12, 0
	v_mov_b32_e32 v0, 0
	s_mov_b64 s[10:11], s[8:9]
.LBB2118_330:                           ; =>This Inner Loop Header: Depth=1
	s_add_i32 s13, s12, 0x120
	global_load_dwordx2 v[2:3], v0, s[10:11]
	scratch_load_dwordx2 v[4:5], off, s13
	s_add_i32 s13, s12, 0x70
	s_add_u32 s10, s10, 8
	s_addc_u32 s11, s11, 0
	s_add_i32 s12, s12, 8
	s_cmp_lg_u32 s12, 32
	s_waitcnt vmcnt(0)
	v_add_u32_e32 v3, v5, v3
	v_add_u32_e32 v2, v4, v2
	scratch_store_dwordx2 off, v[2:3], s13
	s_cbranch_scc1 .LBB2118_330
; %bb.331:
	scratch_load_dwordx4 v[0:3], off, off offset:112
	scratch_load_dwordx4 v[4:7], off, off offset:128
.LBB2118_332:
	s_or_b64 exec, exec, s[4:5]
	v_mov_b32_e32 v9, 0
	global_load_ubyte v9, v9, s[8:9] offset:32
	s_waitcnt vmcnt(2)
	scratch_store_dwordx4 off, v[0:3], off offset:288
	s_waitcnt vmcnt(1)
	s_nop 0
	v_or_b32_e32 v0, v8, v9
	v_and_b32_e32 v0, 1, v0
	scratch_store_dwordx4 off, v[4:7], off offset:304
	scratch_store_byte off, v0, off offset:320
.LBB2118_333:
	s_or_b64 exec, exec, s[6:7]
	s_mov_b32 s4, 0
	s_mov_b32 s5, s4
	v_mov_b32_e32 v0, 0
	s_mov_b32 s6, s4
	s_mov_b32 s7, s4
	v_mov_b64_e32 v[2:3], s[4:5]
	v_mov_b64_e32 v[4:5], s[6:7]
	v_mov_b32_e32 v1, v0
	scratch_store_dword off, v0, off offset:240
	scratch_store_dwordx4 off, v[2:5], off offset:224
	scratch_store_dwordx4 off, v[2:5], off offset:208
.LBB2118_334:                           ; =>This Inner Loop Header: Depth=1
	s_add_i32 s5, s4, 0xd0
	s_add_i32 s4, s4, 8
	s_cmp_lg_u32 s4, 32
	scratch_store_dwordx2 off, v[0:1], s5
	s_cbranch_scc1 .LBB2118_334
; %bb.335:
	v_mov_b32_e32 v0, 0
	s_mov_b32 s4, 0
	v_mov_b32_e32 v1, v0
	scratch_store_byte off, v0, off offset:240
	scratch_store_dword off, v0, off offset:144
.LBB2118_336:                           ; =>This Inner Loop Header: Depth=1
	s_add_i32 s5, s4, 0x70
	s_add_i32 s4, s4, 8
	s_cmp_lg_u32 s4, 32
	scratch_store_dwordx2 off, v[0:1], s5
	s_cbranch_scc1 .LBB2118_336
; %bb.337:
	scratch_load_dwordx4 v[0:3], off, off offset:288
	scratch_load_dwordx4 v[4:7], off, off offset:304
	scratch_load_ubyte v9, off, off offset:356
	scratch_load_ubyte v8, off, off offset:320
	s_waitcnt vmcnt(3)
	scratch_store_dwordx4 off, v[0:3], off offset:112
	s_waitcnt vmcnt(3)
	scratch_store_dwordx4 off, v[4:7], off offset:128
	s_waitcnt vmcnt(3)
	v_cmp_ne_u16_e64 s[4:5], 0, v9
                                        ; implicit-def: $vgpr6_vgpr7
                                        ; implicit-def: $vgpr2_vgpr3
	s_and_saveexec_b64 s[6:7], s[4:5]
	s_xor_b64 s[4:5], exec, s[6:7]
	s_cbranch_execz .LBB2118_339
; %bb.338:
	scratch_load_dwordx4 v[0:3], off, off offset:324
	scratch_load_dwordx4 v[4:7], off, off offset:340
.LBB2118_339:
	s_andn2_saveexec_b64 s[4:5], s[4:5]
	s_cbranch_execz .LBB2118_345
; %bb.340:
	s_waitcnt vmcnt(1)
	v_mov_b32_e32 v0, 0
	s_mov_b32 s6, 0
	v_mov_b32_e32 v1, v0
.LBB2118_341:                           ; =>This Inner Loop Header: Depth=1
	s_add_i32 s7, s6, 0
	s_add_i32 s6, s6, 8
	s_cmp_lg_u32 s6, 32
	scratch_store_dwordx2 off, v[0:1], s7
	s_cbranch_scc1 .LBB2118_341
; %bb.342:
	s_mov_b32 s6, 0
.LBB2118_343:                           ; =>This Inner Loop Header: Depth=1
	s_add_i32 s7, s6, 0x70
	s_add_i32 s8, s19, s6
	scratch_load_dwordx2 v[0:1], off, s7
	scratch_load_dwordx2 v[2:3], off, s8
	s_add_i32 s7, s6, 0
	s_add_i32 s6, s6, 8
	s_cmp_lg_u32 s6, 32
	s_waitcnt vmcnt(0)
	v_add_u32_e32 v1, v3, v1
	v_add_u32_e32 v0, v2, v0
	scratch_store_dwordx2 off, v[0:1], s7
	s_cbranch_scc1 .LBB2118_343
; %bb.344:
	scratch_load_dwordx4 v[0:3], off, off
	scratch_load_dwordx4 v[4:7], off, off offset:16
.LBB2118_345:
	s_or_b64 exec, exec, s[4:5]
	scratch_load_ubyte v10, off, off offset:392
	s_waitcnt vmcnt(2)
	scratch_store_dwordx4 off, v[0:3], off offset:112
	s_waitcnt vmcnt(2)
	scratch_store_dwordx4 off, v[4:7], off offset:128
                                        ; implicit-def: $vgpr6_vgpr7
                                        ; implicit-def: $vgpr2_vgpr3
	s_waitcnt vmcnt(2)
	v_cmp_ne_u16_e64 s[4:5], 0, v10
	s_and_saveexec_b64 s[6:7], s[4:5]
	s_xor_b64 s[4:5], exec, s[6:7]
	s_cbranch_execz .LBB2118_347
; %bb.346:
	scratch_load_dwordx4 v[0:3], off, off offset:360
	scratch_load_dwordx4 v[4:7], off, off offset:376
.LBB2118_347:
	s_andn2_saveexec_b64 s[4:5], s[4:5]
	s_cbranch_execz .LBB2118_353
; %bb.348:
	s_waitcnt vmcnt(1)
	v_mov_b32_e32 v0, 0
	s_mov_b32 s6, 0
	v_mov_b32_e32 v1, v0
.LBB2118_349:                           ; =>This Inner Loop Header: Depth=1
	s_add_i32 s7, s6, 0
	s_add_i32 s6, s6, 8
	s_cmp_lg_u32 s6, 32
	scratch_store_dwordx2 off, v[0:1], s7
	s_cbranch_scc1 .LBB2118_349
; %bb.350:
	s_mov_b32 s6, 0
.LBB2118_351:                           ; =>This Inner Loop Header: Depth=1
	s_add_i32 s7, s6, 0x70
	s_add_i32 s8, s33, s6
	scratch_load_dwordx2 v[0:1], off, s7
	scratch_load_dwordx2 v[2:3], off, s8
	s_add_i32 s7, s6, 0
	s_add_i32 s6, s6, 8
	s_cmp_lg_u32 s6, 32
	s_waitcnt vmcnt(0)
	v_add_u32_e32 v1, v3, v1
	v_add_u32_e32 v0, v2, v0
	scratch_store_dwordx2 off, v[0:1], s7
	s_cbranch_scc1 .LBB2118_351
; %bb.352:
	scratch_load_dwordx4 v[0:3], off, off
	scratch_load_dwordx4 v[4:7], off, off offset:16
.LBB2118_353:
	s_or_b64 exec, exec, s[4:5]
	scratch_load_ushort v11, off, off offset:145
	scratch_load_sbyte v17, off, off offset:147
	v_or_b32_e32 v9, v10, v9
	s_waitcnt vmcnt(3)
	v_mov_b32_dpp v12, v0 row_shr:1 row_mask:0xf bank_mask:0xf
	v_mov_b32_dpp v13, v1 row_shr:1 row_mask:0xf bank_mask:0xf
	;; [unrolled: 1-line block ×4, first 2 shown]
	v_or_b32_e32 v8, v9, v8
	v_mbcnt_lo_u32_b32 v10, -1, 0
	scratch_store_dwordx4 off, v[0:3], off offset:72
	s_waitcnt vmcnt(3)
	scratch_store_dwordx4 off, v[4:7], off offset:88
	v_mov_b32_dpp v18, v4 row_shr:1 row_mask:0xf bank_mask:0xf
	v_mov_b32_dpp v19, v5 row_shr:1 row_mask:0xf bank_mask:0xf
	;; [unrolled: 1-line block ×4, first 2 shown]
	scratch_store_dwordx4 off, v[12:15], off offset:112
	scratch_store_dwordx4 off, v[18:21], off offset:128
	v_and_b32_e32 v8, 1, v8
	v_mbcnt_hi_u32_b32 v10, -1, v10
	v_and_b32_e32 v12, 15, v10
	v_cmp_ne_u32_e64 s[4:5], 0, v12
	s_waitcnt vmcnt(5)
	v_lshrrev_b32_e32 v9, 8, v11
	v_lshlrev_b16_e32 v11, 8, v11
	s_waitcnt vmcnt(4)
	v_lshlrev_b16_e32 v13, 8, v17
	v_or_b32_e32 v11, v8, v11
	v_or_b32_sdwa v8, v9, v13 dst_sel:WORD_1 dst_unused:UNUSED_PAD src0_sel:BYTE_0 src1_sel:DWORD
	s_nop 0
	v_or_b32_sdwa v13, v11, v8 dst_sel:DWORD dst_unused:UNUSED_PAD src0_sel:WORD_0 src1_sel:DWORD
	scratch_store_dword off, v13, off offset:104
	s_nop 0
	v_mov_b32_dpp v14, v13 row_shr:1 row_mask:0xf bank_mask:0xf
	scratch_store_dword off, v14, off offset:144
	s_and_saveexec_b64 s[6:7], s[4:5]
	s_cbranch_execz .LBB2118_361
; %bb.354:
	v_mov_b32_e32 v8, 0
	v_cmp_eq_u16_sdwa s[8:9], v11, v8 src0_sel:BYTE_0 src1_sel:DWORD
	s_and_saveexec_b64 s[4:5], s[8:9]
	s_cbranch_execz .LBB2118_360
; %bb.355:
	s_mov_b32 s8, 0
	v_mov_b32_e32 v9, v8
.LBB2118_356:                           ; =>This Inner Loop Header: Depth=1
	s_add_i32 s9, s8, 0
	s_add_i32 s8, s8, 8
	s_cmp_lg_u32 s8, 32
	scratch_store_dwordx2 off, v[8:9], s9
	s_cbranch_scc1 .LBB2118_356
; %bb.357:
	s_mov_b32 s8, 0
.LBB2118_358:                           ; =>This Inner Loop Header: Depth=1
	s_add_i32 s9, s8, 0x70
	s_add_i32 s10, s8, 0x48
	scratch_load_dwordx2 v[0:1], off, s9
	scratch_load_dwordx2 v[2:3], off, s10
	s_add_i32 s9, s8, 0
	s_add_i32 s8, s8, 8
	s_cmp_lg_u32 s8, 32
	s_waitcnt vmcnt(0)
	v_add_u32_e32 v1, v3, v1
	v_add_u32_e32 v0, v2, v0
	scratch_store_dwordx2 off, v[0:1], s9
	s_cbranch_scc1 .LBB2118_358
; %bb.359:
	scratch_load_dwordx4 v[0:3], off, off
	scratch_load_dwordx4 v[4:7], off, off offset:16
.LBB2118_360:
	s_or_b64 exec, exec, s[4:5]
	v_or_b32_e32 v8, v14, v13
	v_and_b32_e32 v8, 1, v8
	scratch_store_byte off, v8, off offset:104
	scratch_load_dword v13, off, off offset:104
	s_waitcnt vmcnt(3)
	scratch_store_dwordx4 off, v[0:3], off offset:72
	s_waitcnt vmcnt(3)
	scratch_store_dwordx4 off, v[4:7], off offset:88
	s_waitcnt vmcnt(2)
	v_mov_b32_e32 v11, v13
.LBB2118_361:
	s_or_b64 exec, exec, s[6:7]
	v_mov_b32_dpp v18, v0 row_shr:2 row_mask:0xf bank_mask:0xf
	v_mov_b32_dpp v19, v1 row_shr:2 row_mask:0xf bank_mask:0xf
	;; [unrolled: 1-line block ×5, first 2 shown]
	v_cmp_lt_u32_e64 s[4:5], 1, v12
	v_mov_b32_dpp v22, v4 row_shr:2 row_mask:0xf bank_mask:0xf
	v_mov_b32_dpp v23, v5 row_shr:2 row_mask:0xf bank_mask:0xf
	;; [unrolled: 1-line block ×4, first 2 shown]
	scratch_store_dwordx4 off, v[18:21], off offset:112
	scratch_store_dwordx4 off, v[22:25], off offset:128
	scratch_store_dword off, v14, off offset:144
	s_and_saveexec_b64 s[8:9], s[4:5]
	s_cbranch_execz .LBB2118_369
; %bb.362:
	v_mov_b32_e32 v8, 0
	s_mov_b32 s6, 0
	v_cmp_eq_u16_sdwa s[10:11], v11, v8 src0_sel:BYTE_0 src1_sel:DWORD
	s_and_saveexec_b64 s[4:5], s[10:11]
	s_cbranch_execz .LBB2118_368
; %bb.363:
	v_mov_b32_e32 v9, v8
.LBB2118_364:                           ; =>This Inner Loop Header: Depth=1
	s_add_i32 s7, s6, 0
	s_add_i32 s6, s6, 8
	s_cmp_lg_u32 s6, 32
	scratch_store_dwordx2 off, v[8:9], s7
	s_cbranch_scc1 .LBB2118_364
; %bb.365:
	s_mov_b32 s6, 0
.LBB2118_366:                           ; =>This Inner Loop Header: Depth=1
	s_add_i32 s7, s6, 0x70
	s_add_i32 s10, s6, 0x48
	scratch_load_dwordx2 v[0:1], off, s7
	scratch_load_dwordx2 v[2:3], off, s10
	s_add_i32 s7, s6, 0
	s_add_i32 s6, s6, 8
	s_cmp_lg_u32 s6, 32
	s_waitcnt vmcnt(0)
	v_add_u32_e32 v1, v3, v1
	v_add_u32_e32 v0, v2, v0
	scratch_store_dwordx2 off, v[0:1], s7
	s_cbranch_scc1 .LBB2118_366
; %bb.367:
	scratch_load_dwordx4 v[0:3], off, off
	scratch_load_dwordx4 v[4:7], off, off offset:16
.LBB2118_368:
	s_or_b64 exec, exec, s[4:5]
	v_and_b32_e32 v8, 1, v11
	v_cmp_eq_u32_e64 s[4:5], 1, v8
	v_and_b32_e32 v8, 1, v14
	v_cmp_eq_u32_e64 s[6:7], 1, v8
	s_or_b64 s[4:5], s[4:5], s[6:7]
	v_cndmask_b32_e64 v8, 0, 1, s[4:5]
	scratch_store_byte off, v8, off offset:104
	scratch_load_dword v13, off, off offset:104
	s_waitcnt vmcnt(3)
	scratch_store_dwordx4 off, v[0:3], off offset:72
	s_waitcnt vmcnt(3)
	scratch_store_dwordx4 off, v[4:7], off offset:88
	s_waitcnt vmcnt(2)
	v_mov_b32_e32 v11, v13
.LBB2118_369:
	s_or_b64 exec, exec, s[8:9]
	v_mov_b32_dpp v18, v0 row_shr:4 row_mask:0xf bank_mask:0xf
	v_mov_b32_dpp v19, v1 row_shr:4 row_mask:0xf bank_mask:0xf
	;; [unrolled: 1-line block ×5, first 2 shown]
	v_cmp_lt_u32_e64 s[4:5], 3, v12
	v_mov_b32_dpp v22, v4 row_shr:4 row_mask:0xf bank_mask:0xf
	v_mov_b32_dpp v23, v5 row_shr:4 row_mask:0xf bank_mask:0xf
	;; [unrolled: 1-line block ×4, first 2 shown]
	scratch_store_dwordx4 off, v[18:21], off offset:112
	scratch_store_dwordx4 off, v[22:25], off offset:128
	scratch_store_dword off, v14, off offset:144
	s_and_saveexec_b64 s[8:9], s[4:5]
	s_cbranch_execz .LBB2118_377
; %bb.370:
	v_mov_b32_e32 v8, 0
	s_mov_b32 s6, 0
	v_cmp_eq_u16_sdwa s[10:11], v11, v8 src0_sel:BYTE_0 src1_sel:DWORD
	s_and_saveexec_b64 s[4:5], s[10:11]
	s_cbranch_execz .LBB2118_376
; %bb.371:
	v_mov_b32_e32 v9, v8
.LBB2118_372:                           ; =>This Inner Loop Header: Depth=1
	s_add_i32 s7, s6, 0
	s_add_i32 s6, s6, 8
	s_cmp_lg_u32 s6, 32
	scratch_store_dwordx2 off, v[8:9], s7
	s_cbranch_scc1 .LBB2118_372
; %bb.373:
	s_mov_b32 s6, 0
.LBB2118_374:                           ; =>This Inner Loop Header: Depth=1
	s_add_i32 s7, s6, 0x70
	s_add_i32 s10, s6, 0x48
	scratch_load_dwordx2 v[0:1], off, s7
	scratch_load_dwordx2 v[2:3], off, s10
	s_add_i32 s7, s6, 0
	s_add_i32 s6, s6, 8
	s_cmp_lg_u32 s6, 32
	s_waitcnt vmcnt(0)
	v_add_u32_e32 v1, v3, v1
	v_add_u32_e32 v0, v2, v0
	scratch_store_dwordx2 off, v[0:1], s7
	s_cbranch_scc1 .LBB2118_374
; %bb.375:
	scratch_load_dwordx4 v[0:3], off, off
	scratch_load_dwordx4 v[4:7], off, off offset:16
.LBB2118_376:
	s_or_b64 exec, exec, s[4:5]
	v_and_b32_e32 v8, 1, v11
	v_cmp_eq_u32_e64 s[4:5], 1, v8
	v_and_b32_e32 v8, 1, v14
	v_cmp_eq_u32_e64 s[6:7], 1, v8
	s_or_b64 s[4:5], s[4:5], s[6:7]
	v_cndmask_b32_e64 v8, 0, 1, s[4:5]
	scratch_store_byte off, v8, off offset:104
	scratch_load_dword v13, off, off offset:104
	s_waitcnt vmcnt(3)
	scratch_store_dwordx4 off, v[0:3], off offset:72
	s_waitcnt vmcnt(3)
	scratch_store_dwordx4 off, v[4:7], off offset:88
	s_waitcnt vmcnt(2)
	v_mov_b32_e32 v11, v13
.LBB2118_377:
	s_or_b64 exec, exec, s[8:9]
	v_mov_b32_dpp v18, v0 row_shr:8 row_mask:0xf bank_mask:0xf
	v_mov_b32_dpp v19, v1 row_shr:8 row_mask:0xf bank_mask:0xf
	;; [unrolled: 1-line block ×5, first 2 shown]
	v_cmp_lt_u32_e64 s[4:5], 7, v12
	v_mov_b32_dpp v22, v4 row_shr:8 row_mask:0xf bank_mask:0xf
	v_mov_b32_dpp v23, v5 row_shr:8 row_mask:0xf bank_mask:0xf
	;; [unrolled: 1-line block ×4, first 2 shown]
	scratch_store_dwordx4 off, v[18:21], off offset:112
	scratch_store_dwordx4 off, v[22:25], off offset:128
	scratch_store_dword off, v14, off offset:144
	s_and_saveexec_b64 s[8:9], s[4:5]
	s_cbranch_execz .LBB2118_385
; %bb.378:
	v_mov_b32_e32 v8, 0
	s_mov_b32 s6, 0
	v_cmp_eq_u16_sdwa s[10:11], v11, v8 src0_sel:BYTE_0 src1_sel:DWORD
	s_and_saveexec_b64 s[4:5], s[10:11]
	s_cbranch_execz .LBB2118_384
; %bb.379:
	v_mov_b32_e32 v9, v8
.LBB2118_380:                           ; =>This Inner Loop Header: Depth=1
	s_add_i32 s7, s6, 0
	s_add_i32 s6, s6, 8
	s_cmp_lg_u32 s6, 32
	scratch_store_dwordx2 off, v[8:9], s7
	s_cbranch_scc1 .LBB2118_380
; %bb.381:
	s_mov_b32 s6, 0
.LBB2118_382:                           ; =>This Inner Loop Header: Depth=1
	s_add_i32 s7, s6, 0x70
	s_add_i32 s10, s6, 0x48
	scratch_load_dwordx2 v[0:1], off, s7
	scratch_load_dwordx2 v[2:3], off, s10
	s_add_i32 s7, s6, 0
	s_add_i32 s6, s6, 8
	s_cmp_lg_u32 s6, 32
	s_waitcnt vmcnt(0)
	v_add_u32_e32 v1, v3, v1
	v_add_u32_e32 v0, v2, v0
	scratch_store_dwordx2 off, v[0:1], s7
	s_cbranch_scc1 .LBB2118_382
; %bb.383:
	scratch_load_dwordx4 v[0:3], off, off
	scratch_load_dwordx4 v[4:7], off, off offset:16
.LBB2118_384:
	s_or_b64 exec, exec, s[4:5]
	v_and_b32_e32 v8, 1, v11
	v_cmp_eq_u32_e64 s[4:5], 1, v8
	v_and_b32_e32 v8, 1, v14
	v_cmp_eq_u32_e64 s[6:7], 1, v8
	s_or_b64 s[4:5], s[4:5], s[6:7]
	v_cndmask_b32_e64 v8, 0, 1, s[4:5]
	scratch_store_byte off, v8, off offset:104
	scratch_load_dword v13, off, off offset:104
	s_waitcnt vmcnt(3)
	scratch_store_dwordx4 off, v[0:3], off offset:72
	s_waitcnt vmcnt(3)
	scratch_store_dwordx4 off, v[4:7], off offset:88
	s_waitcnt vmcnt(2)
	v_mov_b32_e32 v11, v13
.LBB2118_385:
	s_or_b64 exec, exec, s[8:9]
	v_and_b32_e32 v8, 16, v10
	v_mov_b32_dpp v18, v0 row_bcast:15 row_mask:0xf bank_mask:0xf
	v_mov_b32_dpp v19, v1 row_bcast:15 row_mask:0xf bank_mask:0xf
	;; [unrolled: 1-line block ×5, first 2 shown]
	v_cmp_ne_u32_e64 s[4:5], 0, v8
	v_mov_b32_dpp v22, v4 row_bcast:15 row_mask:0xf bank_mask:0xf
	v_mov_b32_dpp v23, v5 row_bcast:15 row_mask:0xf bank_mask:0xf
	;; [unrolled: 1-line block ×4, first 2 shown]
	scratch_store_dwordx4 off, v[18:21], off offset:112
	scratch_store_dwordx4 off, v[22:25], off offset:128
	scratch_store_dword off, v12, off offset:144
	s_and_saveexec_b64 s[8:9], s[4:5]
	s_cbranch_execz .LBB2118_393
; %bb.386:
	v_mov_b32_e32 v8, 0
	s_mov_b32 s6, 0
	v_cmp_eq_u16_sdwa s[10:11], v11, v8 src0_sel:BYTE_0 src1_sel:DWORD
	s_and_saveexec_b64 s[4:5], s[10:11]
	s_cbranch_execz .LBB2118_392
; %bb.387:
	v_mov_b32_e32 v9, v8
.LBB2118_388:                           ; =>This Inner Loop Header: Depth=1
	s_add_i32 s7, s6, 0
	s_add_i32 s6, s6, 8
	s_cmp_lg_u32 s6, 32
	scratch_store_dwordx2 off, v[8:9], s7
	s_cbranch_scc1 .LBB2118_388
; %bb.389:
	s_mov_b32 s6, 0
.LBB2118_390:                           ; =>This Inner Loop Header: Depth=1
	s_add_i32 s7, s6, 0x70
	s_add_i32 s10, s6, 0x48
	scratch_load_dwordx2 v[0:1], off, s7
	scratch_load_dwordx2 v[2:3], off, s10
	s_add_i32 s7, s6, 0
	s_add_i32 s6, s6, 8
	s_cmp_lg_u32 s6, 32
	s_waitcnt vmcnt(0)
	v_add_u32_e32 v1, v3, v1
	v_add_u32_e32 v0, v2, v0
	scratch_store_dwordx2 off, v[0:1], s7
	s_cbranch_scc1 .LBB2118_390
; %bb.391:
	scratch_load_dwordx4 v[0:3], off, off
	scratch_load_dwordx4 v[4:7], off, off offset:16
.LBB2118_392:
	s_or_b64 exec, exec, s[4:5]
	v_and_b32_e32 v8, 1, v11
	v_cmp_eq_u32_e64 s[4:5], 1, v8
	v_and_b32_e32 v8, 1, v12
	v_cmp_eq_u32_e64 s[6:7], 1, v8
	s_or_b64 s[4:5], s[4:5], s[6:7]
	v_cndmask_b32_e64 v8, 0, 1, s[4:5]
	scratch_store_byte off, v8, off offset:104
	scratch_load_dword v13, off, off offset:104
	s_waitcnt vmcnt(3)
	scratch_store_dwordx4 off, v[0:3], off offset:72
	s_waitcnt vmcnt(3)
	scratch_store_dwordx4 off, v[4:7], off offset:88
	s_waitcnt vmcnt(2)
	v_mov_b32_e32 v11, v13
.LBB2118_393:
	s_or_b64 exec, exec, s[8:9]
	v_mov_b32_dpp v18, v0 row_bcast:31 row_mask:0xf bank_mask:0xf
	v_mov_b32_dpp v19, v1 row_bcast:31 row_mask:0xf bank_mask:0xf
	;; [unrolled: 1-line block ×5, first 2 shown]
	v_cmp_lt_u32_e64 s[4:5], 31, v10
	v_mov_b32_dpp v22, v4 row_bcast:31 row_mask:0xf bank_mask:0xf
	v_mov_b32_dpp v23, v5 row_bcast:31 row_mask:0xf bank_mask:0xf
	v_mov_b32_dpp v24, v6 row_bcast:31 row_mask:0xf bank_mask:0xf
	v_mov_b32_dpp v25, v7 row_bcast:31 row_mask:0xf bank_mask:0xf
	scratch_store_dwordx4 off, v[18:21], off offset:112
	scratch_store_dwordx4 off, v[22:25], off offset:128
	scratch_store_dword off, v12, off offset:144
	s_and_saveexec_b64 s[8:9], s[4:5]
	s_cbranch_execz .LBB2118_401
; %bb.394:
	v_mov_b32_e32 v8, 0
	s_mov_b32 s6, 0
	v_cmp_eq_u16_sdwa s[10:11], v11, v8 src0_sel:BYTE_0 src1_sel:DWORD
	s_and_saveexec_b64 s[4:5], s[10:11]
	s_cbranch_execz .LBB2118_400
; %bb.395:
	v_mov_b32_e32 v9, v8
.LBB2118_396:                           ; =>This Inner Loop Header: Depth=1
	s_add_i32 s7, s6, 0
	s_add_i32 s6, s6, 8
	s_cmp_lg_u32 s6, 32
	scratch_store_dwordx2 off, v[8:9], s7
	s_cbranch_scc1 .LBB2118_396
; %bb.397:
	s_mov_b32 s6, 0
.LBB2118_398:                           ; =>This Inner Loop Header: Depth=1
	s_add_i32 s7, s6, 0x70
	s_add_i32 s10, s6, 0x48
	scratch_load_dwordx2 v[0:1], off, s7
	scratch_load_dwordx2 v[2:3], off, s10
	s_add_i32 s7, s6, 0
	s_add_i32 s6, s6, 8
	s_cmp_lg_u32 s6, 32
	s_waitcnt vmcnt(0)
	v_add_u32_e32 v1, v3, v1
	v_add_u32_e32 v0, v2, v0
	scratch_store_dwordx2 off, v[0:1], s7
	s_cbranch_scc1 .LBB2118_398
; %bb.399:
	scratch_load_dwordx4 v[0:3], off, off
	scratch_load_dwordx4 v[4:7], off, off offset:16
.LBB2118_400:
	s_or_b64 exec, exec, s[4:5]
	v_and_b32_e32 v8, 1, v11
	v_cmp_eq_u32_e64 s[4:5], 1, v8
	v_and_b32_e32 v8, 1, v12
	v_cmp_eq_u32_e64 s[6:7], 1, v8
	s_or_b64 s[4:5], s[4:5], s[6:7]
	v_cndmask_b32_e64 v11, 0, 1, s[4:5]
	s_waitcnt vmcnt(1)
	scratch_store_dwordx4 off, v[0:3], off offset:72
	s_waitcnt vmcnt(1)
	scratch_store_dwordx4 off, v[4:7], off offset:88
	scratch_store_byte off, v11, off offset:104
.LBB2118_401:
	s_or_b64 exec, exec, s[8:9]
	v_or_b32_e32 v8, 63, v16
	v_lshrrev_b32_e32 v12, 6, v16
	v_cmp_eq_u32_e64 s[4:5], v8, v16
	s_and_saveexec_b64 s[6:7], s[4:5]
	s_cbranch_execz .LBB2118_403
; %bb.402:
	v_mul_u32_u24_e32 v8, 36, v12
	ds_write2_b32 v8, v0, v1 offset1:1
	ds_write2_b32 v8, v2, v3 offset0:2 offset1:3
	ds_write2_b32 v8, v4, v5 offset0:4 offset1:5
	;; [unrolled: 1-line block ×3, first 2 shown]
	ds_write_b8 v8, v11 offset:32
.LBB2118_403:
	s_or_b64 exec, exec, s[6:7]
	v_cmp_gt_u32_e64 s[4:5], 4, v16
	s_waitcnt lgkmcnt(0)
	s_barrier
	s_and_saveexec_b64 s[8:9], s[4:5]
	s_cbranch_execz .LBB2118_421
; %bb.404:
	v_mul_u32_u24_e32 v11, 36, v16
	ds_read_b32 v13, v11 offset:32
	ds_read2_b32 v[4:5], v11 offset0:4 offset1:5
	ds_read2_b32 v[2:3], v11 offset0:2 offset1:3
	ds_read2_b32 v[0:1], v11 offset1:1
	ds_read2_b32 v[6:7], v11 offset0:6 offset1:7
	v_and_b32_e32 v14, 3, v10
	s_waitcnt lgkmcnt(4)
	v_mov_b32_dpp v15, v13 row_shr:1 row_mask:0xf bank_mask:0xf
	s_waitcnt lgkmcnt(2)
	v_mov_b32_dpp v20, v2 row_shr:1 row_mask:0xf bank_mask:0xf
	;; [unrolled: 2-line block ×3, first 2 shown]
	v_mov_b32_dpp v19, v1 row_shr:1 row_mask:0xf bank_mask:0xf
	v_mov_b32_dpp v21, v3 row_shr:1 row_mask:0xf bank_mask:0xf
	v_cmp_ne_u32_e64 s[4:5], 0, v14
	scratch_store_dword off, v13, off offset:32
	scratch_store_dwordx4 off, v[0:3], off
	s_waitcnt lgkmcnt(0)
	scratch_store_dwordx4 off, v[4:7], off offset:16
	v_mov_b32_dpp v22, v4 row_shr:1 row_mask:0xf bank_mask:0xf
	v_mov_b32_dpp v23, v5 row_shr:1 row_mask:0xf bank_mask:0xf
	;; [unrolled: 1-line block ×4, first 2 shown]
	scratch_store_dwordx4 off, v[18:21], off offset:112
	scratch_store_dwordx4 off, v[22:25], off offset:128
	scratch_store_dword off, v15, off offset:144
	s_and_saveexec_b64 s[6:7], s[4:5]
	s_cbranch_execz .LBB2118_412
; %bb.405:
	v_mov_b32_e32 v8, 0
	v_cmp_eq_u16_sdwa s[10:11], v13, v8 src0_sel:BYTE_0 src1_sel:DWORD
	s_and_saveexec_b64 s[4:5], s[10:11]
	s_cbranch_execz .LBB2118_411
; %bb.406:
	s_mov_b32 s10, 0
	v_mov_b32_e32 v9, v8
.LBB2118_407:                           ; =>This Inner Loop Header: Depth=1
	s_add_i32 s11, s10, 36
	s_add_i32 s10, s10, 8
	s_cmp_lg_u32 s10, 32
	scratch_store_dwordx2 off, v[8:9], s11
	s_cbranch_scc1 .LBB2118_407
; %bb.408:
	s_mov_b32 s10, 0
.LBB2118_409:                           ; =>This Inner Loop Header: Depth=1
	s_add_i32 s11, s10, 0x70
	s_add_i32 s12, s10, 0
	scratch_load_dwordx2 v[0:1], off, s11
	scratch_load_dwordx2 v[2:3], off, s12
	s_add_i32 s11, s10, 36
	s_add_i32 s10, s10, 8
	s_cmp_lg_u32 s10, 32
	s_waitcnt vmcnt(0)
	v_add_u32_e32 v1, v3, v1
	v_add_u32_e32 v0, v2, v0
	scratch_store_dwordx2 off, v[0:1], s11
	s_cbranch_scc1 .LBB2118_409
; %bb.410:
	scratch_load_dwordx4 v[0:3], off, off offset:36
	scratch_load_dwordx4 v[4:7], off, off offset:52
.LBB2118_411:
	s_or_b64 exec, exec, s[4:5]
	v_or_b32_e32 v8, v15, v13
	v_and_b32_e32 v8, 1, v8
	scratch_store_byte off, v8, off offset:32
	scratch_load_dword v13, off, off offset:32
	s_waitcnt vmcnt(3)
	scratch_store_dwordx4 off, v[0:3], off
	s_waitcnt vmcnt(3)
	scratch_store_dwordx4 off, v[4:7], off offset:16
.LBB2118_412:
	s_or_b64 exec, exec, s[6:7]
	v_mov_b32_dpp v18, v0 row_shr:2 row_mask:0xf bank_mask:0xf
	v_mov_b32_dpp v19, v1 row_shr:2 row_mask:0xf bank_mask:0xf
	;; [unrolled: 1-line block ×4, first 2 shown]
	s_waitcnt vmcnt(2)
	v_mov_b32_dpp v15, v13 row_shr:2 row_mask:0xf bank_mask:0xf
	v_cmp_lt_u32_e64 s[4:5], 1, v14
	v_mov_b32_dpp v22, v4 row_shr:2 row_mask:0xf bank_mask:0xf
	v_mov_b32_dpp v23, v5 row_shr:2 row_mask:0xf bank_mask:0xf
	;; [unrolled: 1-line block ×4, first 2 shown]
	scratch_store_dwordx4 off, v[18:21], off offset:112
	scratch_store_dwordx4 off, v[22:25], off offset:128
	scratch_store_dword off, v15, off offset:144
	s_and_saveexec_b64 s[10:11], s[4:5]
	s_cbranch_execz .LBB2118_420
; %bb.413:
	v_mov_b32_e32 v8, 0
	s_mov_b32 s6, 0
	v_cmp_eq_u16_sdwa s[12:13], v13, v8 src0_sel:BYTE_0 src1_sel:DWORD
	s_and_saveexec_b64 s[4:5], s[12:13]
	s_cbranch_execz .LBB2118_419
; %bb.414:
	v_mov_b32_e32 v9, v8
.LBB2118_415:                           ; =>This Inner Loop Header: Depth=1
	s_add_i32 s7, s6, 36
	s_add_i32 s6, s6, 8
	s_cmp_lg_u32 s6, 32
	scratch_store_dwordx2 off, v[8:9], s7
	s_cbranch_scc1 .LBB2118_415
; %bb.416:
	s_mov_b32 s6, 0
.LBB2118_417:                           ; =>This Inner Loop Header: Depth=1
	s_add_i32 s7, s6, 0x70
	s_add_i32 s12, s6, 0
	scratch_load_dwordx2 v[0:1], off, s7
	scratch_load_dwordx2 v[2:3], off, s12
	s_add_i32 s7, s6, 36
	s_add_i32 s6, s6, 8
	s_cmp_lg_u32 s6, 32
	s_waitcnt vmcnt(0)
	v_add_u32_e32 v1, v3, v1
	v_add_u32_e32 v0, v2, v0
	scratch_store_dwordx2 off, v[0:1], s7
	s_cbranch_scc1 .LBB2118_417
; %bb.418:
	scratch_load_dwordx4 v[0:3], off, off offset:36
	scratch_load_dwordx4 v[4:7], off, off offset:52
.LBB2118_419:
	s_or_b64 exec, exec, s[4:5]
	v_and_b32_e32 v8, 1, v13
	v_cmp_eq_u32_e64 s[4:5], 1, v8
	v_and_b32_e32 v8, 1, v15
	v_cmp_eq_u32_e64 s[6:7], 1, v8
	s_or_b64 s[4:5], s[4:5], s[6:7]
	v_cndmask_b32_e64 v13, 0, 1, s[4:5]
	s_waitcnt vmcnt(1)
	scratch_store_dwordx4 off, v[0:3], off
	s_waitcnt vmcnt(1)
	scratch_store_dwordx4 off, v[4:7], off offset:16
.LBB2118_420:
	s_or_b64 exec, exec, s[10:11]
	scratch_load_dwordx4 v[0:3], off, off
	scratch_load_dwordx4 v[4:7], off, off offset:16
	s_waitcnt vmcnt(1)
	ds_write2_b32 v11, v2, v3 offset0:2 offset1:3
	ds_write2_b32 v11, v0, v1 offset1:1
	s_waitcnt vmcnt(0)
	ds_write2_b32 v11, v6, v7 offset0:6 offset1:7
	ds_write2_b32 v11, v4, v5 offset0:4 offset1:5
	ds_write_b8 v11, v13 offset:32
.LBB2118_421:
	s_or_b64 exec, exec, s[8:9]
	s_mov_b32 s4, 0
	s_mov_b32 s5, s4
	v_mov_b32_e32 v0, 0
	s_mov_b32 s6, s4
	s_mov_b32 s7, s4
	v_mov_b64_e32 v[2:3], s[4:5]
	v_mov_b64_e32 v[4:5], s[6:7]
	v_mov_b32_e32 v1, v0
	s_waitcnt lgkmcnt(0)
	s_barrier
	scratch_store_dword off, v0, off offset:144
	scratch_store_dwordx4 off, v[2:5], off offset:128
	scratch_store_dwordx4 off, v[2:5], off offset:112
.LBB2118_422:                           ; =>This Inner Loop Header: Depth=1
	s_add_i32 s5, s4, 0x70
	s_add_i32 s4, s4, 8
	s_cmp_lg_u32 s4, 32
	scratch_store_dwordx2 off, v[0:1], s5
	s_cbranch_scc1 .LBB2118_422
; %bb.423:
	v_cmp_lt_u32_e64 s[4:5], 63, v16
                                        ; implicit-def: $vgpr0_vgpr1
                                        ; implicit-def: $vgpr4_vgpr5
                                        ; implicit-def: $vgpr8
	s_and_saveexec_b64 s[6:7], s[4:5]
	s_xor_b64 s[6:7], exec, s[6:7]
	s_cbranch_execz .LBB2118_433
; %bb.424:
	scratch_load_ubyte v9, off, off offset:104
	v_not_b32_e32 v0, 35
	v_mad_u32_u24 v8, v12, 36, v0
	ds_read2_b32 v[0:1], v8 offset0:4 offset1:5
	ds_read2_b32 v[6:7], v8 offset0:2 offset1:3
	ds_read2_b32 v[4:5], v8 offset1:1
	ds_read2_b32 v[2:3], v8 offset0:6 offset1:7
	ds_read_u8 v8, v8 offset:32
	s_waitcnt lgkmcnt(2)
	scratch_store_dwordx4 off, v[4:7], off offset:112
	s_waitcnt lgkmcnt(1)
	scratch_store_dwordx4 off, v[0:3], off offset:128
                                        ; implicit-def: $vgpr0_vgpr1
                                        ; implicit-def: $vgpr4_vgpr5
	s_waitcnt vmcnt(2)
	v_cmp_ne_u16_e64 s[4:5], 0, v9
	s_and_saveexec_b64 s[8:9], s[4:5]
	s_xor_b64 s[4:5], exec, s[8:9]
	s_cbranch_execz .LBB2118_426
; %bb.425:
	scratch_load_dwordx4 v[0:3], off, off offset:72
	scratch_load_dwordx4 v[4:7], off, off offset:88
.LBB2118_426:
	s_andn2_saveexec_b64 s[4:5], s[4:5]
	s_cbranch_execz .LBB2118_432
; %bb.427:
	s_waitcnt vmcnt(1)
	v_mov_b32_e32 v0, 0
	s_mov_b32 s8, 0
	v_mov_b32_e32 v1, v0
.LBB2118_428:                           ; =>This Inner Loop Header: Depth=1
	s_add_i32 s9, s8, 0
	s_add_i32 s8, s8, 8
	s_cmp_lg_u32 s8, 32
	scratch_store_dwordx2 off, v[0:1], s9
	s_cbranch_scc1 .LBB2118_428
; %bb.429:
	s_mov_b32 s8, 0
.LBB2118_430:                           ; =>This Inner Loop Header: Depth=1
	s_add_i32 s9, s8, 0x70
	s_add_i32 s10, s8, 0x48
	scratch_load_dwordx2 v[0:1], off, s9
	scratch_load_dwordx2 v[2:3], off, s10
	s_add_i32 s9, s8, 0
	s_add_i32 s8, s8, 8
	s_cmp_lg_u32 s8, 32
	s_waitcnt vmcnt(0)
	v_add_u32_e32 v1, v3, v1
	v_add_u32_e32 v0, v2, v0
	scratch_store_dwordx2 off, v[0:1], s9
	s_cbranch_scc1 .LBB2118_430
; %bb.431:
	scratch_load_dwordx4 v[0:3], off, off
	scratch_load_dwordx4 v[4:7], off, off offset:16
.LBB2118_432:
	s_or_b64 exec, exec, s[4:5]
	s_waitcnt lgkmcnt(0)
	v_or_b32_e32 v9, v9, v8
	v_and_b32_e32 v9, 1, v9
	scratch_store_byte off, v9, off offset:104
.LBB2118_433:
	s_andn2_saveexec_b64 s[4:5], s[6:7]
	s_cbranch_execz .LBB2118_435
; %bb.434:
	scratch_load_dwordx4 v[0:3], off, off offset:72
	scratch_load_dwordx4 v[4:7], off, off offset:88
	v_mov_b32_e32 v8, 0
.LBB2118_435:
	s_or_b64 exec, exec, s[4:5]
	scratch_load_dword v11, off, off offset:104
	v_add_u32_e32 v9, -1, v10
	v_and_b32_e32 v12, 64, v10
	v_cmp_lt_i32_e64 s[4:5], v9, v12
	s_nop 1
	v_cndmask_b32_e64 v9, v9, v10, s[4:5]
	v_lshlrev_b32_e32 v9, 2, v9
	s_waitcnt vmcnt(2)
	ds_bpermute_b32 v0, v9, v0
	ds_bpermute_b32 v1, v9, v1
	;; [unrolled: 1-line block ×4, first 2 shown]
	s_waitcnt vmcnt(1)
	ds_bpermute_b32 v4, v9, v4
	ds_bpermute_b32 v5, v9, v5
	;; [unrolled: 1-line block ×4, first 2 shown]
	v_cmp_eq_u32_e64 s[4:5], 0, v10
	s_waitcnt vmcnt(0)
	ds_bpermute_b32 v9, v9, v11
	s_waitcnt lgkmcnt(5)
	scratch_store_dwordx4 off, v[0:3], off offset:72
	s_waitcnt lgkmcnt(1)
	scratch_store_dwordx4 off, v[4:7], off offset:88
	s_waitcnt lgkmcnt(0)
	scratch_store_byte off, v9, off offset:104
	s_and_saveexec_b64 s[6:7], s[4:5]
	s_cbranch_execz .LBB2118_437
; %bb.436:
	scratch_load_dwordx4 v[0:3], off, off offset:112
	scratch_load_dwordx4 v[4:7], off, off offset:128
	v_mov_b32_e32 v9, v8
	scratch_store_byte off, v8, off offset:104
	s_waitcnt vmcnt(2)
	scratch_store_dwordx4 off, v[0:3], off offset:72
	s_waitcnt vmcnt(2)
	scratch_store_dwordx4 off, v[4:7], off offset:88
.LBB2118_437:
	s_or_b64 exec, exec, s[6:7]
	scratch_load_dwordx4 v[12:15], off, off offset:288
	scratch_load_dwordx4 v[18:21], off, off offset:304
	scratch_load_dword v8, off, off offset:320
	s_mov_b32 s4, 0x3020104
	scratch_store_dwordx4 off, v[0:3], off
	scratch_store_dwordx4 off, v[4:7], off offset:16
                                        ; implicit-def: $vgpr6_vgpr7
                                        ; implicit-def: $vgpr2_vgpr3
	s_nop 0
	v_perm_b32 v0, v9, v11, s4
	scratch_store_dword off, v0, off offset:32
	s_waitcnt vmcnt(5)
	scratch_store_dwordx4 off, v[12:15], off offset:36
	s_waitcnt vmcnt(5)
	scratch_store_dwordx4 off, v[18:21], off offset:52
	s_waitcnt vmcnt(5)
	scratch_store_dword off, v8, off offset:68
	s_and_saveexec_b64 s[4:5], s[2:3]
	s_xor_b64 s[2:3], exec, s[4:5]
	s_cbranch_execz .LBB2118_447
; %bb.438:
	v_mov_b32_e32 v0, 0
	v_cmp_ne_u16_sdwa s[4:5], v8, v0 src0_sel:BYTE_0 src1_sel:DWORD
                                        ; implicit-def: $vgpr6_vgpr7
                                        ; implicit-def: $vgpr2_vgpr3
	s_and_saveexec_b64 s[6:7], s[4:5]
	s_xor_b64 s[4:5], exec, s[6:7]
	s_cbranch_execz .LBB2118_440
; %bb.439:
	scratch_load_dwordx4 v[0:3], off, off offset:36
	scratch_load_dwordx4 v[4:7], off, off offset:52
.LBB2118_440:
	s_andn2_saveexec_b64 s[4:5], s[4:5]
	s_cbranch_execz .LBB2118_446
; %bb.441:
	s_waitcnt vmcnt(1)
	v_mov_b32_e32 v0, 0
	s_mov_b32 s6, 0
	v_mov_b32_e32 v1, v0
.LBB2118_442:                           ; =>This Inner Loop Header: Depth=1
	s_add_i32 s7, s6, 0x70
	s_add_i32 s6, s6, 8
	s_cmp_lg_u32 s6, 32
	scratch_store_dwordx2 off, v[0:1], s7
	s_cbranch_scc1 .LBB2118_442
; %bb.443:
	s_mov_b32 s6, 0
.LBB2118_444:                           ; =>This Inner Loop Header: Depth=1
	s_add_i32 s7, s6, 0
	s_add_i32 s8, s6, 36
	scratch_load_dwordx2 v[0:1], off, s7
	scratch_load_dwordx2 v[2:3], off, s8
	s_add_i32 s7, s6, 0x70
	s_add_i32 s6, s6, 8
	s_cmp_lg_u32 s6, 32
	s_waitcnt vmcnt(0)
	v_add_u32_e32 v1, v3, v1
	v_add_u32_e32 v0, v2, v0
	scratch_store_dwordx2 off, v[0:1], s7
	s_cbranch_scc1 .LBB2118_444
; %bb.445:
	scratch_load_dwordx4 v[0:3], off, off offset:112
	scratch_load_dwordx4 v[4:7], off, off offset:128
.LBB2118_446:
	s_or_b64 exec, exec, s[4:5]
	v_or_b32_e32 v8, v8, v9
	v_and_b32_e32 v8, 1, v8
	s_waitcnt vmcnt(1)
	scratch_store_dwordx4 off, v[0:3], off offset:36
	s_waitcnt vmcnt(1)
	scratch_store_dwordx4 off, v[4:7], off offset:52
	;;#ASMSTART
	;;#ASMEND
.LBB2118_447:
	s_andn2_saveexec_b64 s[2:3], s[2:3]
	s_cbranch_execz .LBB2118_449
; %bb.448:
	scratch_load_dwordx4 v[0:3], off, off offset:36
	scratch_load_dwordx4 v[4:7], off, off offset:52
.LBB2118_449:
	s_or_b64 exec, exec, s[2:3]
	scratch_load_dwordx4 v[10:13], off, off offset:36
	scratch_load_dwordx4 v[18:21], off, off offset:52
	scratch_load_ushort v14, off, off offset:69
	scratch_load_ubyte v15, off, off offset:71
	scratch_load_ubyte v9, off, off offset:356
	s_nop 0
	scratch_store_byte off, v8, off offset:320
	s_waitcnt vmcnt(7)
	scratch_store_dwordx4 off, v[0:3], off offset:112
	s_waitcnt vmcnt(7)
	scratch_store_dwordx4 off, v[4:7], off offset:128
	;; [unrolled: 2-line block ×4, first 2 shown]
	s_waitcnt vmcnt(7)
	v_lshrrev_b32_e32 v0, 8, v14
	v_lshlrev_b16_e32 v1, 8, v14
	s_waitcnt vmcnt(6)
	v_lshlrev_b16_e32 v2, 8, v15
	v_or_b32_sdwa v1, v8, v1 dst_sel:DWORD dst_unused:UNUSED_PAD src0_sel:BYTE_0 src1_sel:DWORD
	v_or_b32_sdwa v0, v0, v2 dst_sel:WORD_1 dst_unused:UNUSED_PAD src0_sel:BYTE_0 src1_sel:DWORD
	s_waitcnt vmcnt(5)
	v_cmp_ne_u16_e64 s[2:3], 0, v9
	v_or_b32_sdwa v0, v1, v0 dst_sel:DWORD dst_unused:UNUSED_PAD src0_sel:WORD_0 src1_sel:DWORD
	scratch_store_dword off, v0, off offset:144
                                        ; implicit-def: $vgpr6_vgpr7
                                        ; implicit-def: $vgpr2_vgpr3
	s_and_saveexec_b64 s[4:5], s[2:3]
	s_xor_b64 s[2:3], exec, s[4:5]
	s_cbranch_execz .LBB2118_451
; %bb.450:
	scratch_load_dwordx4 v[0:3], off, off offset:324
	scratch_load_dwordx4 v[4:7], off, off offset:340
.LBB2118_451:
	s_andn2_saveexec_b64 s[2:3], s[2:3]
	s_cbranch_execz .LBB2118_457
; %bb.452:
	s_waitcnt vmcnt(1)
	v_mov_b32_e32 v0, 0
	s_mov_b32 s4, 0
	v_mov_b32_e32 v1, v0
.LBB2118_453:                           ; =>This Inner Loop Header: Depth=1
	s_add_i32 s5, s4, 0xf4
	s_add_i32 s4, s4, 8
	s_cmp_lg_u32 s4, 32
	scratch_store_dwordx2 off, v[0:1], s5
	s_cbranch_scc1 .LBB2118_453
; %bb.454:
	s_mov_b32 s4, 0
.LBB2118_455:                           ; =>This Inner Loop Header: Depth=1
	s_add_i32 s5, s4, 0x70
	s_add_i32 s6, s19, s4
	scratch_load_dwordx2 v[0:1], off, s5
	scratch_load_dwordx2 v[2:3], off, s6
	s_add_i32 s5, s4, 0xf4
	s_add_i32 s4, s4, 8
	s_cmp_lg_u32 s4, 32
	s_waitcnt vmcnt(0)
	v_add_u32_e32 v1, v3, v1
	v_add_u32_e32 v0, v2, v0
	scratch_store_dwordx2 off, v[0:1], s5
	s_cbranch_scc1 .LBB2118_455
; %bb.456:
	scratch_load_dwordx4 v[0:3], off, off offset:244
	scratch_load_dwordx4 v[4:7], off, off offset:260
.LBB2118_457:
	s_or_b64 exec, exec, s[2:3]
	scratch_load_ubyte v10, off, off offset:392
	v_or_b32_e32 v8, v9, v8
	v_and_b32_e32 v8, 1, v8
	v_cmp_eq_u32_e64 s[2:3], 1, v8
	s_waitcnt vmcnt(2)
	scratch_store_dwordx4 off, v[0:3], off offset:112
	s_waitcnt vmcnt(2)
	scratch_store_dwordx4 off, v[4:7], off offset:128
	scratch_store_dwordx4 off, v[0:3], s19
	scratch_store_dwordx4 off, v[4:7], s19 offset:16
	scratch_store_byte off, v8, off offset:356
                                        ; implicit-def: $vgpr6_vgpr7
                                        ; implicit-def: $vgpr2_vgpr3
	s_waitcnt vmcnt(5)
	v_cmp_ne_u16_e64 s[4:5], 0, v10
	s_and_saveexec_b64 s[6:7], s[4:5]
	s_xor_b64 s[4:5], exec, s[6:7]
	s_cbranch_execz .LBB2118_459
; %bb.458:
	scratch_load_dwordx4 v[0:3], off, off offset:360
	scratch_load_dwordx4 v[4:7], off, off offset:376
.LBB2118_459:
	s_andn2_saveexec_b64 s[4:5], s[4:5]
	s_cbranch_execz .LBB2118_465
; %bb.460:
	s_waitcnt vmcnt(1)
	v_mov_b32_e32 v0, 0
	s_mov_b32 s6, 0
	v_mov_b32_e32 v1, v0
.LBB2118_461:                           ; =>This Inner Loop Header: Depth=1
	s_add_i32 s7, s6, 0xf4
	s_add_i32 s6, s6, 8
	s_cmp_lg_u32 s6, 32
	scratch_store_dwordx2 off, v[0:1], s7
	s_cbranch_scc1 .LBB2118_461
; %bb.462:
	s_mov_b32 s6, 0
.LBB2118_463:                           ; =>This Inner Loop Header: Depth=1
	s_add_i32 s7, s6, 0x70
	s_add_i32 s8, s33, s6
	scratch_load_dwordx2 v[0:1], off, s7
	scratch_load_dwordx2 v[2:3], off, s8
	s_add_i32 s7, s6, 0xf4
	s_add_i32 s6, s6, 8
	s_cmp_lg_u32 s6, 32
	s_waitcnt vmcnt(0)
	v_add_u32_e32 v1, v3, v1
	v_add_u32_e32 v0, v2, v0
	scratch_store_dwordx2 off, v[0:1], s7
	s_cbranch_scc1 .LBB2118_463
; %bb.464:
	scratch_load_dwordx4 v[0:3], off, off offset:244
	scratch_load_dwordx4 v[4:7], off, off offset:260
.LBB2118_465:
	s_or_b64 exec, exec, s[4:5]
	v_and_b32_e32 v8, 1, v10
	v_cmp_eq_u32_e64 s[4:5], 1, v8
	v_mov_b32_e32 v8, 0
	ds_read2_b32 v[12:13], v8 offset0:33 offset1:34
	ds_read2_b32 v[10:11], v8 offset0:31 offset1:32
	;; [unrolled: 1-line block ×4, first 2 shown]
	s_waitcnt vmcnt(1)
	scratch_store_dwordx4 off, v[0:3], s33
	ds_read_u8 v0, v8 offset:140
	s_or_b64 s[2:3], s[4:5], s[2:3]
	v_cndmask_b32_e64 v9, 0, 1, s[2:3]
	s_waitcnt vmcnt(1)
	scratch_store_dwordx4 off, v[4:7], s33 offset:16
	scratch_store_byte off, v9, off offset:392
	s_waitcnt lgkmcnt(1)
	scratch_store_dwordx4 off, v[18:21], off offset:208
	scratch_store_dwordx4 off, v[10:13], off offset:224
	s_waitcnt lgkmcnt(0)
	scratch_store_byte off, v0, off offset:240
	s_and_saveexec_b64 s[2:3], vcc
	s_cbranch_execz .LBB2118_467
; %bb.466:
	scratch_load_ushort v1, off, off offset:241
	scratch_load_ubyte v6, off, off offset:243
	scratch_load_dwordx4 v[2:5], off, off offset:208
	scratch_load_dwordx4 v[10:13], off, off offset:224
	s_mov_b32 s4, 0x2010004
	v_mov_b32_e32 v7, 2
	s_waitcnt vmcnt(1)
	global_store_dword v8, v2, s[14:15] offset:2304 sc1
	global_store_dword v8, v3, s[14:15] offset:2308 sc1
	;; [unrolled: 1-line block ×4, first 2 shown]
	s_waitcnt vmcnt(4)
	global_store_dword v8, v10, s[14:15] offset:2320 sc1
	global_store_dword v8, v11, s[14:15] offset:2324 sc1
	;; [unrolled: 1-line block ×4, first 2 shown]
	v_lshl_or_b32 v1, v6, 16, v1
	v_perm_b32 v0, v0, v1, s4
	global_store_dword v8, v0, s[14:15] offset:2336 sc1
	s_waitcnt vmcnt(0)
	global_store_byte v8, v7, s[16:17] offset:64 sc1
.LBB2118_467:
	s_or_b64 exec, exec, s[2:3]
.LBB2118_468:
	v_mov_b32_e32 v0, 0
	s_mov_b32 s2, 0
	v_mov_b32_e32 v1, v0
.LBB2118_469:                           ; =>This Inner Loop Header: Depth=1
	s_add_i32 s3, s2, 0x70
	s_add_i32 s2, s2, 8
	s_cmp_lg_u32 s2, 32
	scratch_store_dwordx2 off, v[0:1], s3
	s_cbranch_scc1 .LBB2118_469
; %bb.470:
	v_mov_b32_e32 v0, 0
	s_mov_b32 s2, 32
	v_mov_b32_e32 v1, v0
.LBB2118_471:                           ; =>This Inner Loop Header: Depth=1
	s_add_i32 s3, s2, 0x70
	s_add_i32 s2, s2, 8
	s_cmp_lg_u32 s2, 64
	scratch_store_dwordx2 off, v[0:1], s3
	s_cbranch_scc1 .LBB2118_471
; %bb.472:
	v_mov_b32_e32 v0, 0
	s_mov_b32 s2, 64
	v_mov_b32_e32 v1, v0
.LBB2118_473:                           ; =>This Inner Loop Header: Depth=1
	s_add_i32 s3, s2, 0x70
	s_add_i32 s2, s2, 8
	s_cmpk_lg_i32 s2, 0x60
	scratch_store_dwordx2 off, v[0:1], s3
	s_cbranch_scc1 .LBB2118_473
; %bb.474:
	s_add_u32 s2, s26, s28
	s_addc_u32 s3, s27, s29
	v_mov_b32_e32 v0, 0x70
	s_add_u32 s2, s2, s20
	v_add_u32_e32 v4, 64, v0
	v_add_u32_e32 v5, 32, v0
	s_addc_u32 s3, s3, s21
	s_and_b64 vcc, exec, s[0:1]
	s_cbranch_vccz .LBB2118_484
; %bb.475:
	s_add_i32 s48, s48, s18
	v_mul_u32_u24_e32 v0, 3, v16
	v_cmp_gt_u32_e32 vcc, s48, v0
	s_and_saveexec_b64 s[0:1], vcc
	s_cbranch_execz .LBB2118_479
; %bb.476:
	scratch_load_dwordx4 v[6:9], off, off offset:288
	scratch_load_dwordx4 v[10:13], off, off offset:304
	v_add_u32_e32 v1, 1, v0
	v_cmp_gt_u32_e32 vcc, s48, v1
	s_waitcnt vmcnt(1)
	scratch_store_dwordx4 off, v[6:9], off offset:112
	s_waitcnt vmcnt(1)
	scratch_store_dwordx4 off, v[10:13], off offset:128
	s_and_b64 exec, exec, vcc
	s_cbranch_execz .LBB2118_479
; %bb.477:
	scratch_load_dwordx4 v[6:9], off, s19
	scratch_load_dwordx4 v[10:13], off, s19 offset:16
	v_add_u32_e32 v1, 2, v0
	v_cmp_gt_u32_e32 vcc, s48, v1
	s_waitcnt vmcnt(1)
	scratch_store_dwordx4 v5, v[6:9], off
	s_waitcnt vmcnt(1)
	scratch_store_dwordx4 v5, v[10:13], off offset:16
	s_and_b64 exec, exec, vcc
	s_cbranch_execz .LBB2118_479
; %bb.478:
	scratch_load_dwordx4 v[6:9], off, s33
	scratch_load_dwordx4 v[10:13], off, s33 offset:16
	s_waitcnt vmcnt(1)
	scratch_store_dwordx4 v4, v[6:9], off
	s_waitcnt vmcnt(1)
	scratch_store_dwordx4 v4, v[10:13], off offset:16
.LBB2118_479:
	s_or_b64 exec, exec, s[0:1]
	s_barrier
	scratch_load_dwordx4 v[8:11], off, off offset:112
	scratch_load_dwordx4 v[12:15], off, off offset:128
	scratch_load_dwordx4 v[18:21], v5, off
	scratch_load_dwordx4 v[22:25], v5, off offset:16
	scratch_load_dwordx4 v[26:29], v4, off
	scratch_load_dwordx4 v[30:33], v4, off offset:16
	v_lshlrev_b32_e32 v2, 5, v0
	v_lshlrev_b32_e32 v3, 6, v16
	v_sub_u32_e32 v6, v2, v3
	v_mov_b32_e32 v1, 0
	v_lshlrev_b32_e32 v0, 5, v16
	v_cmp_gt_u32_e32 vcc, s48, v16
	s_waitcnt vmcnt(5)
	ds_write_b128 v2, v[8:11]
	s_waitcnt vmcnt(4)
	ds_write_b128 v2, v[12:15] offset:16
	s_waitcnt vmcnt(3)
	ds_write_b128 v2, v[18:21] offset:32
	;; [unrolled: 2-line block ×5, first 2 shown]
	s_waitcnt lgkmcnt(0)
	s_barrier
	ds_read_b128 v[8:11], v6 offset:8192
	ds_read_b128 v[12:15], v6 offset:8208
	;; [unrolled: 1-line block ×4, first 2 shown]
	v_lshl_add_u64 v[2:3], s[2:3], 0, v[0:1]
	s_waitcnt lgkmcnt(3)
	scratch_store_dwordx4 v5, v[8:11], off
	s_waitcnt lgkmcnt(2)
	scratch_store_dwordx4 v5, v[12:15], off offset:16
	s_waitcnt lgkmcnt(1)
	scratch_store_dwordx4 v4, v[18:21], off
	s_waitcnt lgkmcnt(0)
	scratch_store_dwordx4 v4, v[22:25], off offset:16
	s_and_saveexec_b64 s[0:1], vcc
	s_cbranch_execz .LBB2118_481
; %bb.480:
	ds_read2_b32 v[8:9], v6 offset0:4 offset1:5
	ds_read2_b32 v[10:11], v6 offset0:6 offset1:7
	;; [unrolled: 1-line block ×3, first 2 shown]
	ds_read2_b32 v[12:13], v6 offset1:1
	s_waitcnt lgkmcnt(0)
	flat_store_dwordx4 v[2:3], v[12:15]
	flat_store_dwordx4 v[2:3], v[8:11] offset:16
.LBB2118_481:
	s_or_b64 exec, exec, s[0:1]
	v_or_b32_e32 v0, 0x100, v16
	v_cmp_gt_u32_e32 vcc, s48, v0
	s_and_saveexec_b64 s[0:1], vcc
	s_cbranch_execz .LBB2118_483
; %bb.482:
	scratch_load_dwordx4 v[6:9], v5, off offset:16
	s_mov_b64 s[4:5], 0x2000
	v_lshl_add_u64 v[10:11], v[2:3], 0, s[4:5]
	v_add_co_u32_e32 v2, vcc, 0x2000, v2
	s_waitcnt vmcnt(0)
	flat_store_dwordx4 v[10:11], v[6:9] offset:16
	scratch_load_dwordx4 v[6:9], v5, off
	v_addc_co_u32_e32 v3, vcc, 0, v3, vcc
	s_waitcnt vmcnt(0)
	flat_store_dwordx4 v[2:3], v[6:9]
.LBB2118_483:
	s_or_b64 exec, exec, s[0:1]
	v_or_b32_e32 v0, 0x200, v16
	v_mov_b32_e32 v17, v1
	v_cmp_gt_u32_e64 s[0:1], s48, v0
	s_branch .LBB2118_486
.LBB2118_484:
	s_mov_b64 s[0:1], 0
	s_cbranch_execz .LBB2118_486
; %bb.485:
	scratch_load_dwordx4 v[0:3], off, off offset:288
	scratch_load_dwordx4 v[6:9], off, off offset:304
	scratch_load_dwordx4 v[10:13], off, s19
	scratch_load_dwordx4 v[18:21], off, s19 offset:16
	scratch_load_dwordx4 v[22:25], off, s33
	scratch_load_dwordx4 v[26:29], off, s33 offset:16
	v_mul_u32_u24_e32 v34, 0x60, v16
	v_lshlrev_b32_e32 v15, 6, v16
	v_sub_u32_e32 v35, v34, v15
	v_mov_b32_e32 v17, 0
	v_lshlrev_b32_e32 v14, 5, v16
	v_mov_b32_e32 v15, v17
	v_lshl_add_u64 v[14:15], s[2:3], 0, v[14:15]
	s_mov_b64 s[4:5], 0x2000
	v_add_co_u32_e32 v32, vcc, 0x2000, v14
	s_or_b64 s[0:1], s[0:1], exec
	v_lshl_add_u64 v[30:31], v[14:15], 0, s[4:5]
	v_addc_co_u32_e32 v33, vcc, 0, v15, vcc
	s_waitcnt vmcnt(0)
	scratch_store_dwordx4 off, v[0:3], off offset:112
	scratch_store_dwordx4 off, v[6:9], off offset:128
	scratch_store_dwordx4 v5, v[10:13], off
	scratch_store_dwordx4 v5, v[18:21], off offset:16
	scratch_store_dwordx4 v4, v[22:25], off
	scratch_store_dwordx4 v4, v[26:29], off offset:16
	s_waitcnt lgkmcnt(0)
	s_barrier
	scratch_load_dwordx4 v[0:3], off, off offset:112
	scratch_load_dwordx4 v[6:9], off, off offset:128
	scratch_load_dwordx4 v[10:13], v5, off
	scratch_load_dwordx4 v[18:21], v5, off offset:16
	scratch_load_dwordx4 v[22:25], v4, off
	scratch_load_dwordx4 v[26:29], v4, off offset:16
	s_waitcnt vmcnt(5)
	ds_write_b128 v34, v[0:3]
	s_waitcnt vmcnt(4)
	ds_write_b128 v34, v[6:9] offset:16
	s_waitcnt vmcnt(3)
	ds_write_b128 v34, v[10:13] offset:32
	;; [unrolled: 2-line block ×5, first 2 shown]
	s_waitcnt lgkmcnt(0)
	s_barrier
	ds_read_b128 v[0:3], v35 offset:8192
	ds_read_b128 v[6:9], v35 offset:8208
	ds_read_b128 v[10:13], v35 offset:16384
	ds_read_b128 v[18:21], v35 offset:16400
	ds_read2_b32 v[22:23], v35 offset1:1
	ds_read2_b32 v[28:29], v35 offset0:6 offset1:7
	ds_read2_b32 v[26:27], v35 offset0:4 offset1:5
	;; [unrolled: 1-line block ×3, first 2 shown]
	s_waitcnt lgkmcnt(7)
	scratch_store_dwordx4 v5, v[0:3], off
	s_waitcnt lgkmcnt(6)
	scratch_store_dwordx4 v5, v[6:9], off offset:16
	s_waitcnt lgkmcnt(5)
	scratch_store_dwordx4 v4, v[10:13], off
	s_waitcnt lgkmcnt(4)
	scratch_store_dwordx4 v4, v[18:21], off offset:16
	s_waitcnt lgkmcnt(1)
	flat_store_dwordx4 v[14:15], v[26:29] offset:16
	s_waitcnt lgkmcnt(0)
	flat_store_dwordx4 v[14:15], v[22:25]
	flat_store_dwordx4 v[32:33], v[0:3]
	flat_store_dwordx4 v[30:31], v[6:9] offset:16
.LBB2118_486:
	s_and_saveexec_b64 s[4:5], s[0:1]
	s_cbranch_execnz .LBB2118_488
; %bb.487:
	s_endpgm
.LBB2118_488:
	scratch_load_dwordx4 v[0:3], v4, off offset:16
	v_lshlrev_b64 v[6:7], 5, v[16:17]
	v_lshl_add_u64 v[6:7], s[2:3], 0, v[6:7]
	s_mov_b64 s[0:1], 0x4000
	v_lshl_add_u64 v[8:9], v[6:7], 0, s[0:1]
	s_waitcnt vmcnt(0)
	flat_store_dwordx4 v[8:9], v[0:3] offset:16
	scratch_load_dwordx4 v[0:3], v4, off
	v_add_co_u32_e32 v4, vcc, 0x4000, v6
	s_nop 1
	v_addc_co_u32_e32 v5, vcc, 0, v7, vcc
	s_waitcnt vmcnt(0)
	flat_store_dwordx4 v[4:5], v[0:3]
	s_endpgm
.LBB2118_489:
	v_lshlrev_b64 v[10:11], 5, v[16:17]
	v_lshl_add_u64 v[22:23], s[10:11], 0, v[10:11]
	flat_load_dwordx4 v[10:13], v[22:23]
	flat_load_dwordx4 v[18:21], v[22:23] offset:16
	s_waitcnt vmcnt(0) lgkmcnt(0)
	scratch_store_dwordx4 off, v[10:13], off offset:112
	scratch_store_dwordx4 off, v[18:21], off offset:128
	s_or_b64 exec, exec, s[36:37]
	s_and_saveexec_b64 s[2:3], s[8:9]
	s_cbranch_execz .LBB2118_307
.LBB2118_490:
	v_lshlrev_b32_e32 v10, 5, v5
	v_mov_b32_e32 v11, 0
	v_lshl_add_u64 v[22:23], s[10:11], 0, v[10:11]
	flat_load_dwordx4 v[10:13], v[22:23]
	flat_load_dwordx4 v[18:21], v[22:23] offset:16
	s_waitcnt vmcnt(0) lgkmcnt(0)
	scratch_store_dwordx4 off, v[10:13], off offset:144
	scratch_store_dwordx4 off, v[18:21], off offset:160
	s_or_b64 exec, exec, s[2:3]
	s_and_saveexec_b64 s[2:3], s[6:7]
	s_cbranch_execnz .LBB2118_308
	s_branch .LBB2118_309
.LBB2118_491:
                                        ; implicit-def: $sgpr36_sgpr37
	s_branch .LBB2118_302
.LBB2118_492:
                                        ; implicit-def: $sgpr2_sgpr3
	s_branch .LBB2118_317
	.section	.rodata,"a",@progbits
	.p2align	6, 0x0
	.amdhsa_kernel _ZN7rocprim17ROCPRIM_400000_NS6detail17trampoline_kernelINS0_14default_configENS1_27scan_by_key_config_selectorIj11FixedVectorIiLj8EEEEZZNS1_16scan_by_key_implILNS1_25lookback_scan_determinismE0ELb0ES3_N6thrust23THRUST_200600_302600_NS6detail15normal_iteratorINSB_10device_ptrIjEEEENSD_INSE_IS6_EEEESI_S6_NSB_4plusIvEENSB_8equal_toIvEES6_EE10hipError_tPvRmT2_T3_T4_T5_mT6_T7_P12ihipStream_tbENKUlT_T0_E_clISt17integral_constantIbLb0EES13_EEDaSY_SZ_EUlSY_E_NS1_11comp_targetILNS1_3genE5ELNS1_11target_archE942ELNS1_3gpuE9ELNS1_3repE0EEENS1_30default_config_static_selectorELNS0_4arch9wavefront6targetE1EEEvT1_
		.amdhsa_group_segment_fixed_size 32768
		.amdhsa_private_segment_fixed_size 400
		.amdhsa_kernarg_size 160
		.amdhsa_user_sgpr_count 4
		.amdhsa_user_sgpr_dispatch_ptr 1
		.amdhsa_user_sgpr_queue_ptr 0
		.amdhsa_user_sgpr_kernarg_segment_ptr 1
		.amdhsa_user_sgpr_dispatch_id 0
		.amdhsa_user_sgpr_kernarg_preload_length 0
		.amdhsa_user_sgpr_kernarg_preload_offset 0
		.amdhsa_user_sgpr_private_segment_size 0
		.amdhsa_uses_dynamic_stack 0
		.amdhsa_enable_private_segment 1
		.amdhsa_system_sgpr_workgroup_id_x 1
		.amdhsa_system_sgpr_workgroup_id_y 0
		.amdhsa_system_sgpr_workgroup_id_z 0
		.amdhsa_system_sgpr_workgroup_info 0
		.amdhsa_system_vgpr_workitem_id 2
		.amdhsa_next_free_vgpr 40
		.amdhsa_next_free_sgpr 49
		.amdhsa_accum_offset 40
		.amdhsa_reserve_vcc 1
		.amdhsa_float_round_mode_32 0
		.amdhsa_float_round_mode_16_64 0
		.amdhsa_float_denorm_mode_32 3
		.amdhsa_float_denorm_mode_16_64 3
		.amdhsa_dx10_clamp 1
		.amdhsa_ieee_mode 1
		.amdhsa_fp16_overflow 0
		.amdhsa_tg_split 0
		.amdhsa_exception_fp_ieee_invalid_op 0
		.amdhsa_exception_fp_denorm_src 0
		.amdhsa_exception_fp_ieee_div_zero 0
		.amdhsa_exception_fp_ieee_overflow 0
		.amdhsa_exception_fp_ieee_underflow 0
		.amdhsa_exception_fp_ieee_inexact 0
		.amdhsa_exception_int_div_zero 0
	.end_amdhsa_kernel
	.section	.text._ZN7rocprim17ROCPRIM_400000_NS6detail17trampoline_kernelINS0_14default_configENS1_27scan_by_key_config_selectorIj11FixedVectorIiLj8EEEEZZNS1_16scan_by_key_implILNS1_25lookback_scan_determinismE0ELb0ES3_N6thrust23THRUST_200600_302600_NS6detail15normal_iteratorINSB_10device_ptrIjEEEENSD_INSE_IS6_EEEESI_S6_NSB_4plusIvEENSB_8equal_toIvEES6_EE10hipError_tPvRmT2_T3_T4_T5_mT6_T7_P12ihipStream_tbENKUlT_T0_E_clISt17integral_constantIbLb0EES13_EEDaSY_SZ_EUlSY_E_NS1_11comp_targetILNS1_3genE5ELNS1_11target_archE942ELNS1_3gpuE9ELNS1_3repE0EEENS1_30default_config_static_selectorELNS0_4arch9wavefront6targetE1EEEvT1_,"axG",@progbits,_ZN7rocprim17ROCPRIM_400000_NS6detail17trampoline_kernelINS0_14default_configENS1_27scan_by_key_config_selectorIj11FixedVectorIiLj8EEEEZZNS1_16scan_by_key_implILNS1_25lookback_scan_determinismE0ELb0ES3_N6thrust23THRUST_200600_302600_NS6detail15normal_iteratorINSB_10device_ptrIjEEEENSD_INSE_IS6_EEEESI_S6_NSB_4plusIvEENSB_8equal_toIvEES6_EE10hipError_tPvRmT2_T3_T4_T5_mT6_T7_P12ihipStream_tbENKUlT_T0_E_clISt17integral_constantIbLb0EES13_EEDaSY_SZ_EUlSY_E_NS1_11comp_targetILNS1_3genE5ELNS1_11target_archE942ELNS1_3gpuE9ELNS1_3repE0EEENS1_30default_config_static_selectorELNS0_4arch9wavefront6targetE1EEEvT1_,comdat
.Lfunc_end2118:
	.size	_ZN7rocprim17ROCPRIM_400000_NS6detail17trampoline_kernelINS0_14default_configENS1_27scan_by_key_config_selectorIj11FixedVectorIiLj8EEEEZZNS1_16scan_by_key_implILNS1_25lookback_scan_determinismE0ELb0ES3_N6thrust23THRUST_200600_302600_NS6detail15normal_iteratorINSB_10device_ptrIjEEEENSD_INSE_IS6_EEEESI_S6_NSB_4plusIvEENSB_8equal_toIvEES6_EE10hipError_tPvRmT2_T3_T4_T5_mT6_T7_P12ihipStream_tbENKUlT_T0_E_clISt17integral_constantIbLb0EES13_EEDaSY_SZ_EUlSY_E_NS1_11comp_targetILNS1_3genE5ELNS1_11target_archE942ELNS1_3gpuE9ELNS1_3repE0EEENS1_30default_config_static_selectorELNS0_4arch9wavefront6targetE1EEEvT1_, .Lfunc_end2118-_ZN7rocprim17ROCPRIM_400000_NS6detail17trampoline_kernelINS0_14default_configENS1_27scan_by_key_config_selectorIj11FixedVectorIiLj8EEEEZZNS1_16scan_by_key_implILNS1_25lookback_scan_determinismE0ELb0ES3_N6thrust23THRUST_200600_302600_NS6detail15normal_iteratorINSB_10device_ptrIjEEEENSD_INSE_IS6_EEEESI_S6_NSB_4plusIvEENSB_8equal_toIvEES6_EE10hipError_tPvRmT2_T3_T4_T5_mT6_T7_P12ihipStream_tbENKUlT_T0_E_clISt17integral_constantIbLb0EES13_EEDaSY_SZ_EUlSY_E_NS1_11comp_targetILNS1_3genE5ELNS1_11target_archE942ELNS1_3gpuE9ELNS1_3repE0EEENS1_30default_config_static_selectorELNS0_4arch9wavefront6targetE1EEEvT1_
                                        ; -- End function
	.section	.AMDGPU.csdata,"",@progbits
; Kernel info:
; codeLenInByte = 20892
; NumSgprs: 55
; NumVgprs: 40
; NumAgprs: 0
; TotalNumVgprs: 40
; ScratchSize: 400
; MemoryBound: 0
; FloatMode: 240
; IeeeMode: 1
; LDSByteSize: 32768 bytes/workgroup (compile time only)
; SGPRBlocks: 6
; VGPRBlocks: 4
; NumSGPRsForWavesPerEU: 55
; NumVGPRsForWavesPerEU: 40
; AccumOffset: 40
; Occupancy: 2
; WaveLimiterHint : 1
; COMPUTE_PGM_RSRC2:SCRATCH_EN: 1
; COMPUTE_PGM_RSRC2:USER_SGPR: 4
; COMPUTE_PGM_RSRC2:TRAP_HANDLER: 0
; COMPUTE_PGM_RSRC2:TGID_X_EN: 1
; COMPUTE_PGM_RSRC2:TGID_Y_EN: 0
; COMPUTE_PGM_RSRC2:TGID_Z_EN: 0
; COMPUTE_PGM_RSRC2:TIDIG_COMP_CNT: 2
; COMPUTE_PGM_RSRC3_GFX90A:ACCUM_OFFSET: 9
; COMPUTE_PGM_RSRC3_GFX90A:TG_SPLIT: 0
	.section	.text._ZN7rocprim17ROCPRIM_400000_NS6detail17trampoline_kernelINS0_14default_configENS1_27scan_by_key_config_selectorIj11FixedVectorIiLj8EEEEZZNS1_16scan_by_key_implILNS1_25lookback_scan_determinismE0ELb0ES3_N6thrust23THRUST_200600_302600_NS6detail15normal_iteratorINSB_10device_ptrIjEEEENSD_INSE_IS6_EEEESI_S6_NSB_4plusIvEENSB_8equal_toIvEES6_EE10hipError_tPvRmT2_T3_T4_T5_mT6_T7_P12ihipStream_tbENKUlT_T0_E_clISt17integral_constantIbLb0EES13_EEDaSY_SZ_EUlSY_E_NS1_11comp_targetILNS1_3genE4ELNS1_11target_archE910ELNS1_3gpuE8ELNS1_3repE0EEENS1_30default_config_static_selectorELNS0_4arch9wavefront6targetE1EEEvT1_,"axG",@progbits,_ZN7rocprim17ROCPRIM_400000_NS6detail17trampoline_kernelINS0_14default_configENS1_27scan_by_key_config_selectorIj11FixedVectorIiLj8EEEEZZNS1_16scan_by_key_implILNS1_25lookback_scan_determinismE0ELb0ES3_N6thrust23THRUST_200600_302600_NS6detail15normal_iteratorINSB_10device_ptrIjEEEENSD_INSE_IS6_EEEESI_S6_NSB_4plusIvEENSB_8equal_toIvEES6_EE10hipError_tPvRmT2_T3_T4_T5_mT6_T7_P12ihipStream_tbENKUlT_T0_E_clISt17integral_constantIbLb0EES13_EEDaSY_SZ_EUlSY_E_NS1_11comp_targetILNS1_3genE4ELNS1_11target_archE910ELNS1_3gpuE8ELNS1_3repE0EEENS1_30default_config_static_selectorELNS0_4arch9wavefront6targetE1EEEvT1_,comdat
	.protected	_ZN7rocprim17ROCPRIM_400000_NS6detail17trampoline_kernelINS0_14default_configENS1_27scan_by_key_config_selectorIj11FixedVectorIiLj8EEEEZZNS1_16scan_by_key_implILNS1_25lookback_scan_determinismE0ELb0ES3_N6thrust23THRUST_200600_302600_NS6detail15normal_iteratorINSB_10device_ptrIjEEEENSD_INSE_IS6_EEEESI_S6_NSB_4plusIvEENSB_8equal_toIvEES6_EE10hipError_tPvRmT2_T3_T4_T5_mT6_T7_P12ihipStream_tbENKUlT_T0_E_clISt17integral_constantIbLb0EES13_EEDaSY_SZ_EUlSY_E_NS1_11comp_targetILNS1_3genE4ELNS1_11target_archE910ELNS1_3gpuE8ELNS1_3repE0EEENS1_30default_config_static_selectorELNS0_4arch9wavefront6targetE1EEEvT1_ ; -- Begin function _ZN7rocprim17ROCPRIM_400000_NS6detail17trampoline_kernelINS0_14default_configENS1_27scan_by_key_config_selectorIj11FixedVectorIiLj8EEEEZZNS1_16scan_by_key_implILNS1_25lookback_scan_determinismE0ELb0ES3_N6thrust23THRUST_200600_302600_NS6detail15normal_iteratorINSB_10device_ptrIjEEEENSD_INSE_IS6_EEEESI_S6_NSB_4plusIvEENSB_8equal_toIvEES6_EE10hipError_tPvRmT2_T3_T4_T5_mT6_T7_P12ihipStream_tbENKUlT_T0_E_clISt17integral_constantIbLb0EES13_EEDaSY_SZ_EUlSY_E_NS1_11comp_targetILNS1_3genE4ELNS1_11target_archE910ELNS1_3gpuE8ELNS1_3repE0EEENS1_30default_config_static_selectorELNS0_4arch9wavefront6targetE1EEEvT1_
	.globl	_ZN7rocprim17ROCPRIM_400000_NS6detail17trampoline_kernelINS0_14default_configENS1_27scan_by_key_config_selectorIj11FixedVectorIiLj8EEEEZZNS1_16scan_by_key_implILNS1_25lookback_scan_determinismE0ELb0ES3_N6thrust23THRUST_200600_302600_NS6detail15normal_iteratorINSB_10device_ptrIjEEEENSD_INSE_IS6_EEEESI_S6_NSB_4plusIvEENSB_8equal_toIvEES6_EE10hipError_tPvRmT2_T3_T4_T5_mT6_T7_P12ihipStream_tbENKUlT_T0_E_clISt17integral_constantIbLb0EES13_EEDaSY_SZ_EUlSY_E_NS1_11comp_targetILNS1_3genE4ELNS1_11target_archE910ELNS1_3gpuE8ELNS1_3repE0EEENS1_30default_config_static_selectorELNS0_4arch9wavefront6targetE1EEEvT1_
	.p2align	8
	.type	_ZN7rocprim17ROCPRIM_400000_NS6detail17trampoline_kernelINS0_14default_configENS1_27scan_by_key_config_selectorIj11FixedVectorIiLj8EEEEZZNS1_16scan_by_key_implILNS1_25lookback_scan_determinismE0ELb0ES3_N6thrust23THRUST_200600_302600_NS6detail15normal_iteratorINSB_10device_ptrIjEEEENSD_INSE_IS6_EEEESI_S6_NSB_4plusIvEENSB_8equal_toIvEES6_EE10hipError_tPvRmT2_T3_T4_T5_mT6_T7_P12ihipStream_tbENKUlT_T0_E_clISt17integral_constantIbLb0EES13_EEDaSY_SZ_EUlSY_E_NS1_11comp_targetILNS1_3genE4ELNS1_11target_archE910ELNS1_3gpuE8ELNS1_3repE0EEENS1_30default_config_static_selectorELNS0_4arch9wavefront6targetE1EEEvT1_,@function
_ZN7rocprim17ROCPRIM_400000_NS6detail17trampoline_kernelINS0_14default_configENS1_27scan_by_key_config_selectorIj11FixedVectorIiLj8EEEEZZNS1_16scan_by_key_implILNS1_25lookback_scan_determinismE0ELb0ES3_N6thrust23THRUST_200600_302600_NS6detail15normal_iteratorINSB_10device_ptrIjEEEENSD_INSE_IS6_EEEESI_S6_NSB_4plusIvEENSB_8equal_toIvEES6_EE10hipError_tPvRmT2_T3_T4_T5_mT6_T7_P12ihipStream_tbENKUlT_T0_E_clISt17integral_constantIbLb0EES13_EEDaSY_SZ_EUlSY_E_NS1_11comp_targetILNS1_3genE4ELNS1_11target_archE910ELNS1_3gpuE8ELNS1_3repE0EEENS1_30default_config_static_selectorELNS0_4arch9wavefront6targetE1EEEvT1_: ; @_ZN7rocprim17ROCPRIM_400000_NS6detail17trampoline_kernelINS0_14default_configENS1_27scan_by_key_config_selectorIj11FixedVectorIiLj8EEEEZZNS1_16scan_by_key_implILNS1_25lookback_scan_determinismE0ELb0ES3_N6thrust23THRUST_200600_302600_NS6detail15normal_iteratorINSB_10device_ptrIjEEEENSD_INSE_IS6_EEEESI_S6_NSB_4plusIvEENSB_8equal_toIvEES6_EE10hipError_tPvRmT2_T3_T4_T5_mT6_T7_P12ihipStream_tbENKUlT_T0_E_clISt17integral_constantIbLb0EES13_EEDaSY_SZ_EUlSY_E_NS1_11comp_targetILNS1_3genE4ELNS1_11target_archE910ELNS1_3gpuE8ELNS1_3repE0EEENS1_30default_config_static_selectorELNS0_4arch9wavefront6targetE1EEEvT1_
; %bb.0:
	.section	.rodata,"a",@progbits
	.p2align	6, 0x0
	.amdhsa_kernel _ZN7rocprim17ROCPRIM_400000_NS6detail17trampoline_kernelINS0_14default_configENS1_27scan_by_key_config_selectorIj11FixedVectorIiLj8EEEEZZNS1_16scan_by_key_implILNS1_25lookback_scan_determinismE0ELb0ES3_N6thrust23THRUST_200600_302600_NS6detail15normal_iteratorINSB_10device_ptrIjEEEENSD_INSE_IS6_EEEESI_S6_NSB_4plusIvEENSB_8equal_toIvEES6_EE10hipError_tPvRmT2_T3_T4_T5_mT6_T7_P12ihipStream_tbENKUlT_T0_E_clISt17integral_constantIbLb0EES13_EEDaSY_SZ_EUlSY_E_NS1_11comp_targetILNS1_3genE4ELNS1_11target_archE910ELNS1_3gpuE8ELNS1_3repE0EEENS1_30default_config_static_selectorELNS0_4arch9wavefront6targetE1EEEvT1_
		.amdhsa_group_segment_fixed_size 0
		.amdhsa_private_segment_fixed_size 0
		.amdhsa_kernarg_size 160
		.amdhsa_user_sgpr_count 2
		.amdhsa_user_sgpr_dispatch_ptr 0
		.amdhsa_user_sgpr_queue_ptr 0
		.amdhsa_user_sgpr_kernarg_segment_ptr 1
		.amdhsa_user_sgpr_dispatch_id 0
		.amdhsa_user_sgpr_kernarg_preload_length 0
		.amdhsa_user_sgpr_kernarg_preload_offset 0
		.amdhsa_user_sgpr_private_segment_size 0
		.amdhsa_uses_dynamic_stack 0
		.amdhsa_enable_private_segment 0
		.amdhsa_system_sgpr_workgroup_id_x 1
		.amdhsa_system_sgpr_workgroup_id_y 0
		.amdhsa_system_sgpr_workgroup_id_z 0
		.amdhsa_system_sgpr_workgroup_info 0
		.amdhsa_system_vgpr_workitem_id 0
		.amdhsa_next_free_vgpr 1
		.amdhsa_next_free_sgpr 0
		.amdhsa_accum_offset 4
		.amdhsa_reserve_vcc 0
		.amdhsa_float_round_mode_32 0
		.amdhsa_float_round_mode_16_64 0
		.amdhsa_float_denorm_mode_32 3
		.amdhsa_float_denorm_mode_16_64 3
		.amdhsa_dx10_clamp 1
		.amdhsa_ieee_mode 1
		.amdhsa_fp16_overflow 0
		.amdhsa_tg_split 0
		.amdhsa_exception_fp_ieee_invalid_op 0
		.amdhsa_exception_fp_denorm_src 0
		.amdhsa_exception_fp_ieee_div_zero 0
		.amdhsa_exception_fp_ieee_overflow 0
		.amdhsa_exception_fp_ieee_underflow 0
		.amdhsa_exception_fp_ieee_inexact 0
		.amdhsa_exception_int_div_zero 0
	.end_amdhsa_kernel
	.section	.text._ZN7rocprim17ROCPRIM_400000_NS6detail17trampoline_kernelINS0_14default_configENS1_27scan_by_key_config_selectorIj11FixedVectorIiLj8EEEEZZNS1_16scan_by_key_implILNS1_25lookback_scan_determinismE0ELb0ES3_N6thrust23THRUST_200600_302600_NS6detail15normal_iteratorINSB_10device_ptrIjEEEENSD_INSE_IS6_EEEESI_S6_NSB_4plusIvEENSB_8equal_toIvEES6_EE10hipError_tPvRmT2_T3_T4_T5_mT6_T7_P12ihipStream_tbENKUlT_T0_E_clISt17integral_constantIbLb0EES13_EEDaSY_SZ_EUlSY_E_NS1_11comp_targetILNS1_3genE4ELNS1_11target_archE910ELNS1_3gpuE8ELNS1_3repE0EEENS1_30default_config_static_selectorELNS0_4arch9wavefront6targetE1EEEvT1_,"axG",@progbits,_ZN7rocprim17ROCPRIM_400000_NS6detail17trampoline_kernelINS0_14default_configENS1_27scan_by_key_config_selectorIj11FixedVectorIiLj8EEEEZZNS1_16scan_by_key_implILNS1_25lookback_scan_determinismE0ELb0ES3_N6thrust23THRUST_200600_302600_NS6detail15normal_iteratorINSB_10device_ptrIjEEEENSD_INSE_IS6_EEEESI_S6_NSB_4plusIvEENSB_8equal_toIvEES6_EE10hipError_tPvRmT2_T3_T4_T5_mT6_T7_P12ihipStream_tbENKUlT_T0_E_clISt17integral_constantIbLb0EES13_EEDaSY_SZ_EUlSY_E_NS1_11comp_targetILNS1_3genE4ELNS1_11target_archE910ELNS1_3gpuE8ELNS1_3repE0EEENS1_30default_config_static_selectorELNS0_4arch9wavefront6targetE1EEEvT1_,comdat
.Lfunc_end2119:
	.size	_ZN7rocprim17ROCPRIM_400000_NS6detail17trampoline_kernelINS0_14default_configENS1_27scan_by_key_config_selectorIj11FixedVectorIiLj8EEEEZZNS1_16scan_by_key_implILNS1_25lookback_scan_determinismE0ELb0ES3_N6thrust23THRUST_200600_302600_NS6detail15normal_iteratorINSB_10device_ptrIjEEEENSD_INSE_IS6_EEEESI_S6_NSB_4plusIvEENSB_8equal_toIvEES6_EE10hipError_tPvRmT2_T3_T4_T5_mT6_T7_P12ihipStream_tbENKUlT_T0_E_clISt17integral_constantIbLb0EES13_EEDaSY_SZ_EUlSY_E_NS1_11comp_targetILNS1_3genE4ELNS1_11target_archE910ELNS1_3gpuE8ELNS1_3repE0EEENS1_30default_config_static_selectorELNS0_4arch9wavefront6targetE1EEEvT1_, .Lfunc_end2119-_ZN7rocprim17ROCPRIM_400000_NS6detail17trampoline_kernelINS0_14default_configENS1_27scan_by_key_config_selectorIj11FixedVectorIiLj8EEEEZZNS1_16scan_by_key_implILNS1_25lookback_scan_determinismE0ELb0ES3_N6thrust23THRUST_200600_302600_NS6detail15normal_iteratorINSB_10device_ptrIjEEEENSD_INSE_IS6_EEEESI_S6_NSB_4plusIvEENSB_8equal_toIvEES6_EE10hipError_tPvRmT2_T3_T4_T5_mT6_T7_P12ihipStream_tbENKUlT_T0_E_clISt17integral_constantIbLb0EES13_EEDaSY_SZ_EUlSY_E_NS1_11comp_targetILNS1_3genE4ELNS1_11target_archE910ELNS1_3gpuE8ELNS1_3repE0EEENS1_30default_config_static_selectorELNS0_4arch9wavefront6targetE1EEEvT1_
                                        ; -- End function
	.section	.AMDGPU.csdata,"",@progbits
; Kernel info:
; codeLenInByte = 0
; NumSgprs: 6
; NumVgprs: 0
; NumAgprs: 0
; TotalNumVgprs: 0
; ScratchSize: 0
; MemoryBound: 0
; FloatMode: 240
; IeeeMode: 1
; LDSByteSize: 0 bytes/workgroup (compile time only)
; SGPRBlocks: 0
; VGPRBlocks: 0
; NumSGPRsForWavesPerEU: 6
; NumVGPRsForWavesPerEU: 1
; AccumOffset: 4
; Occupancy: 8
; WaveLimiterHint : 0
; COMPUTE_PGM_RSRC2:SCRATCH_EN: 0
; COMPUTE_PGM_RSRC2:USER_SGPR: 2
; COMPUTE_PGM_RSRC2:TRAP_HANDLER: 0
; COMPUTE_PGM_RSRC2:TGID_X_EN: 1
; COMPUTE_PGM_RSRC2:TGID_Y_EN: 0
; COMPUTE_PGM_RSRC2:TGID_Z_EN: 0
; COMPUTE_PGM_RSRC2:TIDIG_COMP_CNT: 0
; COMPUTE_PGM_RSRC3_GFX90A:ACCUM_OFFSET: 0
; COMPUTE_PGM_RSRC3_GFX90A:TG_SPLIT: 0
	.section	.text._ZN7rocprim17ROCPRIM_400000_NS6detail17trampoline_kernelINS0_14default_configENS1_27scan_by_key_config_selectorIj11FixedVectorIiLj8EEEEZZNS1_16scan_by_key_implILNS1_25lookback_scan_determinismE0ELb0ES3_N6thrust23THRUST_200600_302600_NS6detail15normal_iteratorINSB_10device_ptrIjEEEENSD_INSE_IS6_EEEESI_S6_NSB_4plusIvEENSB_8equal_toIvEES6_EE10hipError_tPvRmT2_T3_T4_T5_mT6_T7_P12ihipStream_tbENKUlT_T0_E_clISt17integral_constantIbLb0EES13_EEDaSY_SZ_EUlSY_E_NS1_11comp_targetILNS1_3genE3ELNS1_11target_archE908ELNS1_3gpuE7ELNS1_3repE0EEENS1_30default_config_static_selectorELNS0_4arch9wavefront6targetE1EEEvT1_,"axG",@progbits,_ZN7rocprim17ROCPRIM_400000_NS6detail17trampoline_kernelINS0_14default_configENS1_27scan_by_key_config_selectorIj11FixedVectorIiLj8EEEEZZNS1_16scan_by_key_implILNS1_25lookback_scan_determinismE0ELb0ES3_N6thrust23THRUST_200600_302600_NS6detail15normal_iteratorINSB_10device_ptrIjEEEENSD_INSE_IS6_EEEESI_S6_NSB_4plusIvEENSB_8equal_toIvEES6_EE10hipError_tPvRmT2_T3_T4_T5_mT6_T7_P12ihipStream_tbENKUlT_T0_E_clISt17integral_constantIbLb0EES13_EEDaSY_SZ_EUlSY_E_NS1_11comp_targetILNS1_3genE3ELNS1_11target_archE908ELNS1_3gpuE7ELNS1_3repE0EEENS1_30default_config_static_selectorELNS0_4arch9wavefront6targetE1EEEvT1_,comdat
	.protected	_ZN7rocprim17ROCPRIM_400000_NS6detail17trampoline_kernelINS0_14default_configENS1_27scan_by_key_config_selectorIj11FixedVectorIiLj8EEEEZZNS1_16scan_by_key_implILNS1_25lookback_scan_determinismE0ELb0ES3_N6thrust23THRUST_200600_302600_NS6detail15normal_iteratorINSB_10device_ptrIjEEEENSD_INSE_IS6_EEEESI_S6_NSB_4plusIvEENSB_8equal_toIvEES6_EE10hipError_tPvRmT2_T3_T4_T5_mT6_T7_P12ihipStream_tbENKUlT_T0_E_clISt17integral_constantIbLb0EES13_EEDaSY_SZ_EUlSY_E_NS1_11comp_targetILNS1_3genE3ELNS1_11target_archE908ELNS1_3gpuE7ELNS1_3repE0EEENS1_30default_config_static_selectorELNS0_4arch9wavefront6targetE1EEEvT1_ ; -- Begin function _ZN7rocprim17ROCPRIM_400000_NS6detail17trampoline_kernelINS0_14default_configENS1_27scan_by_key_config_selectorIj11FixedVectorIiLj8EEEEZZNS1_16scan_by_key_implILNS1_25lookback_scan_determinismE0ELb0ES3_N6thrust23THRUST_200600_302600_NS6detail15normal_iteratorINSB_10device_ptrIjEEEENSD_INSE_IS6_EEEESI_S6_NSB_4plusIvEENSB_8equal_toIvEES6_EE10hipError_tPvRmT2_T3_T4_T5_mT6_T7_P12ihipStream_tbENKUlT_T0_E_clISt17integral_constantIbLb0EES13_EEDaSY_SZ_EUlSY_E_NS1_11comp_targetILNS1_3genE3ELNS1_11target_archE908ELNS1_3gpuE7ELNS1_3repE0EEENS1_30default_config_static_selectorELNS0_4arch9wavefront6targetE1EEEvT1_
	.globl	_ZN7rocprim17ROCPRIM_400000_NS6detail17trampoline_kernelINS0_14default_configENS1_27scan_by_key_config_selectorIj11FixedVectorIiLj8EEEEZZNS1_16scan_by_key_implILNS1_25lookback_scan_determinismE0ELb0ES3_N6thrust23THRUST_200600_302600_NS6detail15normal_iteratorINSB_10device_ptrIjEEEENSD_INSE_IS6_EEEESI_S6_NSB_4plusIvEENSB_8equal_toIvEES6_EE10hipError_tPvRmT2_T3_T4_T5_mT6_T7_P12ihipStream_tbENKUlT_T0_E_clISt17integral_constantIbLb0EES13_EEDaSY_SZ_EUlSY_E_NS1_11comp_targetILNS1_3genE3ELNS1_11target_archE908ELNS1_3gpuE7ELNS1_3repE0EEENS1_30default_config_static_selectorELNS0_4arch9wavefront6targetE1EEEvT1_
	.p2align	8
	.type	_ZN7rocprim17ROCPRIM_400000_NS6detail17trampoline_kernelINS0_14default_configENS1_27scan_by_key_config_selectorIj11FixedVectorIiLj8EEEEZZNS1_16scan_by_key_implILNS1_25lookback_scan_determinismE0ELb0ES3_N6thrust23THRUST_200600_302600_NS6detail15normal_iteratorINSB_10device_ptrIjEEEENSD_INSE_IS6_EEEESI_S6_NSB_4plusIvEENSB_8equal_toIvEES6_EE10hipError_tPvRmT2_T3_T4_T5_mT6_T7_P12ihipStream_tbENKUlT_T0_E_clISt17integral_constantIbLb0EES13_EEDaSY_SZ_EUlSY_E_NS1_11comp_targetILNS1_3genE3ELNS1_11target_archE908ELNS1_3gpuE7ELNS1_3repE0EEENS1_30default_config_static_selectorELNS0_4arch9wavefront6targetE1EEEvT1_,@function
_ZN7rocprim17ROCPRIM_400000_NS6detail17trampoline_kernelINS0_14default_configENS1_27scan_by_key_config_selectorIj11FixedVectorIiLj8EEEEZZNS1_16scan_by_key_implILNS1_25lookback_scan_determinismE0ELb0ES3_N6thrust23THRUST_200600_302600_NS6detail15normal_iteratorINSB_10device_ptrIjEEEENSD_INSE_IS6_EEEESI_S6_NSB_4plusIvEENSB_8equal_toIvEES6_EE10hipError_tPvRmT2_T3_T4_T5_mT6_T7_P12ihipStream_tbENKUlT_T0_E_clISt17integral_constantIbLb0EES13_EEDaSY_SZ_EUlSY_E_NS1_11comp_targetILNS1_3genE3ELNS1_11target_archE908ELNS1_3gpuE7ELNS1_3repE0EEENS1_30default_config_static_selectorELNS0_4arch9wavefront6targetE1EEEvT1_: ; @_ZN7rocprim17ROCPRIM_400000_NS6detail17trampoline_kernelINS0_14default_configENS1_27scan_by_key_config_selectorIj11FixedVectorIiLj8EEEEZZNS1_16scan_by_key_implILNS1_25lookback_scan_determinismE0ELb0ES3_N6thrust23THRUST_200600_302600_NS6detail15normal_iteratorINSB_10device_ptrIjEEEENSD_INSE_IS6_EEEESI_S6_NSB_4plusIvEENSB_8equal_toIvEES6_EE10hipError_tPvRmT2_T3_T4_T5_mT6_T7_P12ihipStream_tbENKUlT_T0_E_clISt17integral_constantIbLb0EES13_EEDaSY_SZ_EUlSY_E_NS1_11comp_targetILNS1_3genE3ELNS1_11target_archE908ELNS1_3gpuE7ELNS1_3repE0EEENS1_30default_config_static_selectorELNS0_4arch9wavefront6targetE1EEEvT1_
; %bb.0:
	.section	.rodata,"a",@progbits
	.p2align	6, 0x0
	.amdhsa_kernel _ZN7rocprim17ROCPRIM_400000_NS6detail17trampoline_kernelINS0_14default_configENS1_27scan_by_key_config_selectorIj11FixedVectorIiLj8EEEEZZNS1_16scan_by_key_implILNS1_25lookback_scan_determinismE0ELb0ES3_N6thrust23THRUST_200600_302600_NS6detail15normal_iteratorINSB_10device_ptrIjEEEENSD_INSE_IS6_EEEESI_S6_NSB_4plusIvEENSB_8equal_toIvEES6_EE10hipError_tPvRmT2_T3_T4_T5_mT6_T7_P12ihipStream_tbENKUlT_T0_E_clISt17integral_constantIbLb0EES13_EEDaSY_SZ_EUlSY_E_NS1_11comp_targetILNS1_3genE3ELNS1_11target_archE908ELNS1_3gpuE7ELNS1_3repE0EEENS1_30default_config_static_selectorELNS0_4arch9wavefront6targetE1EEEvT1_
		.amdhsa_group_segment_fixed_size 0
		.amdhsa_private_segment_fixed_size 0
		.amdhsa_kernarg_size 160
		.amdhsa_user_sgpr_count 2
		.amdhsa_user_sgpr_dispatch_ptr 0
		.amdhsa_user_sgpr_queue_ptr 0
		.amdhsa_user_sgpr_kernarg_segment_ptr 1
		.amdhsa_user_sgpr_dispatch_id 0
		.amdhsa_user_sgpr_kernarg_preload_length 0
		.amdhsa_user_sgpr_kernarg_preload_offset 0
		.amdhsa_user_sgpr_private_segment_size 0
		.amdhsa_uses_dynamic_stack 0
		.amdhsa_enable_private_segment 0
		.amdhsa_system_sgpr_workgroup_id_x 1
		.amdhsa_system_sgpr_workgroup_id_y 0
		.amdhsa_system_sgpr_workgroup_id_z 0
		.amdhsa_system_sgpr_workgroup_info 0
		.amdhsa_system_vgpr_workitem_id 0
		.amdhsa_next_free_vgpr 1
		.amdhsa_next_free_sgpr 0
		.amdhsa_accum_offset 4
		.amdhsa_reserve_vcc 0
		.amdhsa_float_round_mode_32 0
		.amdhsa_float_round_mode_16_64 0
		.amdhsa_float_denorm_mode_32 3
		.amdhsa_float_denorm_mode_16_64 3
		.amdhsa_dx10_clamp 1
		.amdhsa_ieee_mode 1
		.amdhsa_fp16_overflow 0
		.amdhsa_tg_split 0
		.amdhsa_exception_fp_ieee_invalid_op 0
		.amdhsa_exception_fp_denorm_src 0
		.amdhsa_exception_fp_ieee_div_zero 0
		.amdhsa_exception_fp_ieee_overflow 0
		.amdhsa_exception_fp_ieee_underflow 0
		.amdhsa_exception_fp_ieee_inexact 0
		.amdhsa_exception_int_div_zero 0
	.end_amdhsa_kernel
	.section	.text._ZN7rocprim17ROCPRIM_400000_NS6detail17trampoline_kernelINS0_14default_configENS1_27scan_by_key_config_selectorIj11FixedVectorIiLj8EEEEZZNS1_16scan_by_key_implILNS1_25lookback_scan_determinismE0ELb0ES3_N6thrust23THRUST_200600_302600_NS6detail15normal_iteratorINSB_10device_ptrIjEEEENSD_INSE_IS6_EEEESI_S6_NSB_4plusIvEENSB_8equal_toIvEES6_EE10hipError_tPvRmT2_T3_T4_T5_mT6_T7_P12ihipStream_tbENKUlT_T0_E_clISt17integral_constantIbLb0EES13_EEDaSY_SZ_EUlSY_E_NS1_11comp_targetILNS1_3genE3ELNS1_11target_archE908ELNS1_3gpuE7ELNS1_3repE0EEENS1_30default_config_static_selectorELNS0_4arch9wavefront6targetE1EEEvT1_,"axG",@progbits,_ZN7rocprim17ROCPRIM_400000_NS6detail17trampoline_kernelINS0_14default_configENS1_27scan_by_key_config_selectorIj11FixedVectorIiLj8EEEEZZNS1_16scan_by_key_implILNS1_25lookback_scan_determinismE0ELb0ES3_N6thrust23THRUST_200600_302600_NS6detail15normal_iteratorINSB_10device_ptrIjEEEENSD_INSE_IS6_EEEESI_S6_NSB_4plusIvEENSB_8equal_toIvEES6_EE10hipError_tPvRmT2_T3_T4_T5_mT6_T7_P12ihipStream_tbENKUlT_T0_E_clISt17integral_constantIbLb0EES13_EEDaSY_SZ_EUlSY_E_NS1_11comp_targetILNS1_3genE3ELNS1_11target_archE908ELNS1_3gpuE7ELNS1_3repE0EEENS1_30default_config_static_selectorELNS0_4arch9wavefront6targetE1EEEvT1_,comdat
.Lfunc_end2120:
	.size	_ZN7rocprim17ROCPRIM_400000_NS6detail17trampoline_kernelINS0_14default_configENS1_27scan_by_key_config_selectorIj11FixedVectorIiLj8EEEEZZNS1_16scan_by_key_implILNS1_25lookback_scan_determinismE0ELb0ES3_N6thrust23THRUST_200600_302600_NS6detail15normal_iteratorINSB_10device_ptrIjEEEENSD_INSE_IS6_EEEESI_S6_NSB_4plusIvEENSB_8equal_toIvEES6_EE10hipError_tPvRmT2_T3_T4_T5_mT6_T7_P12ihipStream_tbENKUlT_T0_E_clISt17integral_constantIbLb0EES13_EEDaSY_SZ_EUlSY_E_NS1_11comp_targetILNS1_3genE3ELNS1_11target_archE908ELNS1_3gpuE7ELNS1_3repE0EEENS1_30default_config_static_selectorELNS0_4arch9wavefront6targetE1EEEvT1_, .Lfunc_end2120-_ZN7rocprim17ROCPRIM_400000_NS6detail17trampoline_kernelINS0_14default_configENS1_27scan_by_key_config_selectorIj11FixedVectorIiLj8EEEEZZNS1_16scan_by_key_implILNS1_25lookback_scan_determinismE0ELb0ES3_N6thrust23THRUST_200600_302600_NS6detail15normal_iteratorINSB_10device_ptrIjEEEENSD_INSE_IS6_EEEESI_S6_NSB_4plusIvEENSB_8equal_toIvEES6_EE10hipError_tPvRmT2_T3_T4_T5_mT6_T7_P12ihipStream_tbENKUlT_T0_E_clISt17integral_constantIbLb0EES13_EEDaSY_SZ_EUlSY_E_NS1_11comp_targetILNS1_3genE3ELNS1_11target_archE908ELNS1_3gpuE7ELNS1_3repE0EEENS1_30default_config_static_selectorELNS0_4arch9wavefront6targetE1EEEvT1_
                                        ; -- End function
	.section	.AMDGPU.csdata,"",@progbits
; Kernel info:
; codeLenInByte = 0
; NumSgprs: 6
; NumVgprs: 0
; NumAgprs: 0
; TotalNumVgprs: 0
; ScratchSize: 0
; MemoryBound: 0
; FloatMode: 240
; IeeeMode: 1
; LDSByteSize: 0 bytes/workgroup (compile time only)
; SGPRBlocks: 0
; VGPRBlocks: 0
; NumSGPRsForWavesPerEU: 6
; NumVGPRsForWavesPerEU: 1
; AccumOffset: 4
; Occupancy: 8
; WaveLimiterHint : 0
; COMPUTE_PGM_RSRC2:SCRATCH_EN: 0
; COMPUTE_PGM_RSRC2:USER_SGPR: 2
; COMPUTE_PGM_RSRC2:TRAP_HANDLER: 0
; COMPUTE_PGM_RSRC2:TGID_X_EN: 1
; COMPUTE_PGM_RSRC2:TGID_Y_EN: 0
; COMPUTE_PGM_RSRC2:TGID_Z_EN: 0
; COMPUTE_PGM_RSRC2:TIDIG_COMP_CNT: 0
; COMPUTE_PGM_RSRC3_GFX90A:ACCUM_OFFSET: 0
; COMPUTE_PGM_RSRC3_GFX90A:TG_SPLIT: 0
	.section	.text._ZN7rocprim17ROCPRIM_400000_NS6detail17trampoline_kernelINS0_14default_configENS1_27scan_by_key_config_selectorIj11FixedVectorIiLj8EEEEZZNS1_16scan_by_key_implILNS1_25lookback_scan_determinismE0ELb0ES3_N6thrust23THRUST_200600_302600_NS6detail15normal_iteratorINSB_10device_ptrIjEEEENSD_INSE_IS6_EEEESI_S6_NSB_4plusIvEENSB_8equal_toIvEES6_EE10hipError_tPvRmT2_T3_T4_T5_mT6_T7_P12ihipStream_tbENKUlT_T0_E_clISt17integral_constantIbLb0EES13_EEDaSY_SZ_EUlSY_E_NS1_11comp_targetILNS1_3genE2ELNS1_11target_archE906ELNS1_3gpuE6ELNS1_3repE0EEENS1_30default_config_static_selectorELNS0_4arch9wavefront6targetE1EEEvT1_,"axG",@progbits,_ZN7rocprim17ROCPRIM_400000_NS6detail17trampoline_kernelINS0_14default_configENS1_27scan_by_key_config_selectorIj11FixedVectorIiLj8EEEEZZNS1_16scan_by_key_implILNS1_25lookback_scan_determinismE0ELb0ES3_N6thrust23THRUST_200600_302600_NS6detail15normal_iteratorINSB_10device_ptrIjEEEENSD_INSE_IS6_EEEESI_S6_NSB_4plusIvEENSB_8equal_toIvEES6_EE10hipError_tPvRmT2_T3_T4_T5_mT6_T7_P12ihipStream_tbENKUlT_T0_E_clISt17integral_constantIbLb0EES13_EEDaSY_SZ_EUlSY_E_NS1_11comp_targetILNS1_3genE2ELNS1_11target_archE906ELNS1_3gpuE6ELNS1_3repE0EEENS1_30default_config_static_selectorELNS0_4arch9wavefront6targetE1EEEvT1_,comdat
	.protected	_ZN7rocprim17ROCPRIM_400000_NS6detail17trampoline_kernelINS0_14default_configENS1_27scan_by_key_config_selectorIj11FixedVectorIiLj8EEEEZZNS1_16scan_by_key_implILNS1_25lookback_scan_determinismE0ELb0ES3_N6thrust23THRUST_200600_302600_NS6detail15normal_iteratorINSB_10device_ptrIjEEEENSD_INSE_IS6_EEEESI_S6_NSB_4plusIvEENSB_8equal_toIvEES6_EE10hipError_tPvRmT2_T3_T4_T5_mT6_T7_P12ihipStream_tbENKUlT_T0_E_clISt17integral_constantIbLb0EES13_EEDaSY_SZ_EUlSY_E_NS1_11comp_targetILNS1_3genE2ELNS1_11target_archE906ELNS1_3gpuE6ELNS1_3repE0EEENS1_30default_config_static_selectorELNS0_4arch9wavefront6targetE1EEEvT1_ ; -- Begin function _ZN7rocprim17ROCPRIM_400000_NS6detail17trampoline_kernelINS0_14default_configENS1_27scan_by_key_config_selectorIj11FixedVectorIiLj8EEEEZZNS1_16scan_by_key_implILNS1_25lookback_scan_determinismE0ELb0ES3_N6thrust23THRUST_200600_302600_NS6detail15normal_iteratorINSB_10device_ptrIjEEEENSD_INSE_IS6_EEEESI_S6_NSB_4plusIvEENSB_8equal_toIvEES6_EE10hipError_tPvRmT2_T3_T4_T5_mT6_T7_P12ihipStream_tbENKUlT_T0_E_clISt17integral_constantIbLb0EES13_EEDaSY_SZ_EUlSY_E_NS1_11comp_targetILNS1_3genE2ELNS1_11target_archE906ELNS1_3gpuE6ELNS1_3repE0EEENS1_30default_config_static_selectorELNS0_4arch9wavefront6targetE1EEEvT1_
	.globl	_ZN7rocprim17ROCPRIM_400000_NS6detail17trampoline_kernelINS0_14default_configENS1_27scan_by_key_config_selectorIj11FixedVectorIiLj8EEEEZZNS1_16scan_by_key_implILNS1_25lookback_scan_determinismE0ELb0ES3_N6thrust23THRUST_200600_302600_NS6detail15normal_iteratorINSB_10device_ptrIjEEEENSD_INSE_IS6_EEEESI_S6_NSB_4plusIvEENSB_8equal_toIvEES6_EE10hipError_tPvRmT2_T3_T4_T5_mT6_T7_P12ihipStream_tbENKUlT_T0_E_clISt17integral_constantIbLb0EES13_EEDaSY_SZ_EUlSY_E_NS1_11comp_targetILNS1_3genE2ELNS1_11target_archE906ELNS1_3gpuE6ELNS1_3repE0EEENS1_30default_config_static_selectorELNS0_4arch9wavefront6targetE1EEEvT1_
	.p2align	8
	.type	_ZN7rocprim17ROCPRIM_400000_NS6detail17trampoline_kernelINS0_14default_configENS1_27scan_by_key_config_selectorIj11FixedVectorIiLj8EEEEZZNS1_16scan_by_key_implILNS1_25lookback_scan_determinismE0ELb0ES3_N6thrust23THRUST_200600_302600_NS6detail15normal_iteratorINSB_10device_ptrIjEEEENSD_INSE_IS6_EEEESI_S6_NSB_4plusIvEENSB_8equal_toIvEES6_EE10hipError_tPvRmT2_T3_T4_T5_mT6_T7_P12ihipStream_tbENKUlT_T0_E_clISt17integral_constantIbLb0EES13_EEDaSY_SZ_EUlSY_E_NS1_11comp_targetILNS1_3genE2ELNS1_11target_archE906ELNS1_3gpuE6ELNS1_3repE0EEENS1_30default_config_static_selectorELNS0_4arch9wavefront6targetE1EEEvT1_,@function
_ZN7rocprim17ROCPRIM_400000_NS6detail17trampoline_kernelINS0_14default_configENS1_27scan_by_key_config_selectorIj11FixedVectorIiLj8EEEEZZNS1_16scan_by_key_implILNS1_25lookback_scan_determinismE0ELb0ES3_N6thrust23THRUST_200600_302600_NS6detail15normal_iteratorINSB_10device_ptrIjEEEENSD_INSE_IS6_EEEESI_S6_NSB_4plusIvEENSB_8equal_toIvEES6_EE10hipError_tPvRmT2_T3_T4_T5_mT6_T7_P12ihipStream_tbENKUlT_T0_E_clISt17integral_constantIbLb0EES13_EEDaSY_SZ_EUlSY_E_NS1_11comp_targetILNS1_3genE2ELNS1_11target_archE906ELNS1_3gpuE6ELNS1_3repE0EEENS1_30default_config_static_selectorELNS0_4arch9wavefront6targetE1EEEvT1_: ; @_ZN7rocprim17ROCPRIM_400000_NS6detail17trampoline_kernelINS0_14default_configENS1_27scan_by_key_config_selectorIj11FixedVectorIiLj8EEEEZZNS1_16scan_by_key_implILNS1_25lookback_scan_determinismE0ELb0ES3_N6thrust23THRUST_200600_302600_NS6detail15normal_iteratorINSB_10device_ptrIjEEEENSD_INSE_IS6_EEEESI_S6_NSB_4plusIvEENSB_8equal_toIvEES6_EE10hipError_tPvRmT2_T3_T4_T5_mT6_T7_P12ihipStream_tbENKUlT_T0_E_clISt17integral_constantIbLb0EES13_EEDaSY_SZ_EUlSY_E_NS1_11comp_targetILNS1_3genE2ELNS1_11target_archE906ELNS1_3gpuE6ELNS1_3repE0EEENS1_30default_config_static_selectorELNS0_4arch9wavefront6targetE1EEEvT1_
; %bb.0:
	.section	.rodata,"a",@progbits
	.p2align	6, 0x0
	.amdhsa_kernel _ZN7rocprim17ROCPRIM_400000_NS6detail17trampoline_kernelINS0_14default_configENS1_27scan_by_key_config_selectorIj11FixedVectorIiLj8EEEEZZNS1_16scan_by_key_implILNS1_25lookback_scan_determinismE0ELb0ES3_N6thrust23THRUST_200600_302600_NS6detail15normal_iteratorINSB_10device_ptrIjEEEENSD_INSE_IS6_EEEESI_S6_NSB_4plusIvEENSB_8equal_toIvEES6_EE10hipError_tPvRmT2_T3_T4_T5_mT6_T7_P12ihipStream_tbENKUlT_T0_E_clISt17integral_constantIbLb0EES13_EEDaSY_SZ_EUlSY_E_NS1_11comp_targetILNS1_3genE2ELNS1_11target_archE906ELNS1_3gpuE6ELNS1_3repE0EEENS1_30default_config_static_selectorELNS0_4arch9wavefront6targetE1EEEvT1_
		.amdhsa_group_segment_fixed_size 0
		.amdhsa_private_segment_fixed_size 0
		.amdhsa_kernarg_size 160
		.amdhsa_user_sgpr_count 2
		.amdhsa_user_sgpr_dispatch_ptr 0
		.amdhsa_user_sgpr_queue_ptr 0
		.amdhsa_user_sgpr_kernarg_segment_ptr 1
		.amdhsa_user_sgpr_dispatch_id 0
		.amdhsa_user_sgpr_kernarg_preload_length 0
		.amdhsa_user_sgpr_kernarg_preload_offset 0
		.amdhsa_user_sgpr_private_segment_size 0
		.amdhsa_uses_dynamic_stack 0
		.amdhsa_enable_private_segment 0
		.amdhsa_system_sgpr_workgroup_id_x 1
		.amdhsa_system_sgpr_workgroup_id_y 0
		.amdhsa_system_sgpr_workgroup_id_z 0
		.amdhsa_system_sgpr_workgroup_info 0
		.amdhsa_system_vgpr_workitem_id 0
		.amdhsa_next_free_vgpr 1
		.amdhsa_next_free_sgpr 0
		.amdhsa_accum_offset 4
		.amdhsa_reserve_vcc 0
		.amdhsa_float_round_mode_32 0
		.amdhsa_float_round_mode_16_64 0
		.amdhsa_float_denorm_mode_32 3
		.amdhsa_float_denorm_mode_16_64 3
		.amdhsa_dx10_clamp 1
		.amdhsa_ieee_mode 1
		.amdhsa_fp16_overflow 0
		.amdhsa_tg_split 0
		.amdhsa_exception_fp_ieee_invalid_op 0
		.amdhsa_exception_fp_denorm_src 0
		.amdhsa_exception_fp_ieee_div_zero 0
		.amdhsa_exception_fp_ieee_overflow 0
		.amdhsa_exception_fp_ieee_underflow 0
		.amdhsa_exception_fp_ieee_inexact 0
		.amdhsa_exception_int_div_zero 0
	.end_amdhsa_kernel
	.section	.text._ZN7rocprim17ROCPRIM_400000_NS6detail17trampoline_kernelINS0_14default_configENS1_27scan_by_key_config_selectorIj11FixedVectorIiLj8EEEEZZNS1_16scan_by_key_implILNS1_25lookback_scan_determinismE0ELb0ES3_N6thrust23THRUST_200600_302600_NS6detail15normal_iteratorINSB_10device_ptrIjEEEENSD_INSE_IS6_EEEESI_S6_NSB_4plusIvEENSB_8equal_toIvEES6_EE10hipError_tPvRmT2_T3_T4_T5_mT6_T7_P12ihipStream_tbENKUlT_T0_E_clISt17integral_constantIbLb0EES13_EEDaSY_SZ_EUlSY_E_NS1_11comp_targetILNS1_3genE2ELNS1_11target_archE906ELNS1_3gpuE6ELNS1_3repE0EEENS1_30default_config_static_selectorELNS0_4arch9wavefront6targetE1EEEvT1_,"axG",@progbits,_ZN7rocprim17ROCPRIM_400000_NS6detail17trampoline_kernelINS0_14default_configENS1_27scan_by_key_config_selectorIj11FixedVectorIiLj8EEEEZZNS1_16scan_by_key_implILNS1_25lookback_scan_determinismE0ELb0ES3_N6thrust23THRUST_200600_302600_NS6detail15normal_iteratorINSB_10device_ptrIjEEEENSD_INSE_IS6_EEEESI_S6_NSB_4plusIvEENSB_8equal_toIvEES6_EE10hipError_tPvRmT2_T3_T4_T5_mT6_T7_P12ihipStream_tbENKUlT_T0_E_clISt17integral_constantIbLb0EES13_EEDaSY_SZ_EUlSY_E_NS1_11comp_targetILNS1_3genE2ELNS1_11target_archE906ELNS1_3gpuE6ELNS1_3repE0EEENS1_30default_config_static_selectorELNS0_4arch9wavefront6targetE1EEEvT1_,comdat
.Lfunc_end2121:
	.size	_ZN7rocprim17ROCPRIM_400000_NS6detail17trampoline_kernelINS0_14default_configENS1_27scan_by_key_config_selectorIj11FixedVectorIiLj8EEEEZZNS1_16scan_by_key_implILNS1_25lookback_scan_determinismE0ELb0ES3_N6thrust23THRUST_200600_302600_NS6detail15normal_iteratorINSB_10device_ptrIjEEEENSD_INSE_IS6_EEEESI_S6_NSB_4plusIvEENSB_8equal_toIvEES6_EE10hipError_tPvRmT2_T3_T4_T5_mT6_T7_P12ihipStream_tbENKUlT_T0_E_clISt17integral_constantIbLb0EES13_EEDaSY_SZ_EUlSY_E_NS1_11comp_targetILNS1_3genE2ELNS1_11target_archE906ELNS1_3gpuE6ELNS1_3repE0EEENS1_30default_config_static_selectorELNS0_4arch9wavefront6targetE1EEEvT1_, .Lfunc_end2121-_ZN7rocprim17ROCPRIM_400000_NS6detail17trampoline_kernelINS0_14default_configENS1_27scan_by_key_config_selectorIj11FixedVectorIiLj8EEEEZZNS1_16scan_by_key_implILNS1_25lookback_scan_determinismE0ELb0ES3_N6thrust23THRUST_200600_302600_NS6detail15normal_iteratorINSB_10device_ptrIjEEEENSD_INSE_IS6_EEEESI_S6_NSB_4plusIvEENSB_8equal_toIvEES6_EE10hipError_tPvRmT2_T3_T4_T5_mT6_T7_P12ihipStream_tbENKUlT_T0_E_clISt17integral_constantIbLb0EES13_EEDaSY_SZ_EUlSY_E_NS1_11comp_targetILNS1_3genE2ELNS1_11target_archE906ELNS1_3gpuE6ELNS1_3repE0EEENS1_30default_config_static_selectorELNS0_4arch9wavefront6targetE1EEEvT1_
                                        ; -- End function
	.section	.AMDGPU.csdata,"",@progbits
; Kernel info:
; codeLenInByte = 0
; NumSgprs: 6
; NumVgprs: 0
; NumAgprs: 0
; TotalNumVgprs: 0
; ScratchSize: 0
; MemoryBound: 0
; FloatMode: 240
; IeeeMode: 1
; LDSByteSize: 0 bytes/workgroup (compile time only)
; SGPRBlocks: 0
; VGPRBlocks: 0
; NumSGPRsForWavesPerEU: 6
; NumVGPRsForWavesPerEU: 1
; AccumOffset: 4
; Occupancy: 8
; WaveLimiterHint : 0
; COMPUTE_PGM_RSRC2:SCRATCH_EN: 0
; COMPUTE_PGM_RSRC2:USER_SGPR: 2
; COMPUTE_PGM_RSRC2:TRAP_HANDLER: 0
; COMPUTE_PGM_RSRC2:TGID_X_EN: 1
; COMPUTE_PGM_RSRC2:TGID_Y_EN: 0
; COMPUTE_PGM_RSRC2:TGID_Z_EN: 0
; COMPUTE_PGM_RSRC2:TIDIG_COMP_CNT: 0
; COMPUTE_PGM_RSRC3_GFX90A:ACCUM_OFFSET: 0
; COMPUTE_PGM_RSRC3_GFX90A:TG_SPLIT: 0
	.section	.text._ZN7rocprim17ROCPRIM_400000_NS6detail17trampoline_kernelINS0_14default_configENS1_27scan_by_key_config_selectorIj11FixedVectorIiLj8EEEEZZNS1_16scan_by_key_implILNS1_25lookback_scan_determinismE0ELb0ES3_N6thrust23THRUST_200600_302600_NS6detail15normal_iteratorINSB_10device_ptrIjEEEENSD_INSE_IS6_EEEESI_S6_NSB_4plusIvEENSB_8equal_toIvEES6_EE10hipError_tPvRmT2_T3_T4_T5_mT6_T7_P12ihipStream_tbENKUlT_T0_E_clISt17integral_constantIbLb0EES13_EEDaSY_SZ_EUlSY_E_NS1_11comp_targetILNS1_3genE10ELNS1_11target_archE1200ELNS1_3gpuE4ELNS1_3repE0EEENS1_30default_config_static_selectorELNS0_4arch9wavefront6targetE1EEEvT1_,"axG",@progbits,_ZN7rocprim17ROCPRIM_400000_NS6detail17trampoline_kernelINS0_14default_configENS1_27scan_by_key_config_selectorIj11FixedVectorIiLj8EEEEZZNS1_16scan_by_key_implILNS1_25lookback_scan_determinismE0ELb0ES3_N6thrust23THRUST_200600_302600_NS6detail15normal_iteratorINSB_10device_ptrIjEEEENSD_INSE_IS6_EEEESI_S6_NSB_4plusIvEENSB_8equal_toIvEES6_EE10hipError_tPvRmT2_T3_T4_T5_mT6_T7_P12ihipStream_tbENKUlT_T0_E_clISt17integral_constantIbLb0EES13_EEDaSY_SZ_EUlSY_E_NS1_11comp_targetILNS1_3genE10ELNS1_11target_archE1200ELNS1_3gpuE4ELNS1_3repE0EEENS1_30default_config_static_selectorELNS0_4arch9wavefront6targetE1EEEvT1_,comdat
	.protected	_ZN7rocprim17ROCPRIM_400000_NS6detail17trampoline_kernelINS0_14default_configENS1_27scan_by_key_config_selectorIj11FixedVectorIiLj8EEEEZZNS1_16scan_by_key_implILNS1_25lookback_scan_determinismE0ELb0ES3_N6thrust23THRUST_200600_302600_NS6detail15normal_iteratorINSB_10device_ptrIjEEEENSD_INSE_IS6_EEEESI_S6_NSB_4plusIvEENSB_8equal_toIvEES6_EE10hipError_tPvRmT2_T3_T4_T5_mT6_T7_P12ihipStream_tbENKUlT_T0_E_clISt17integral_constantIbLb0EES13_EEDaSY_SZ_EUlSY_E_NS1_11comp_targetILNS1_3genE10ELNS1_11target_archE1200ELNS1_3gpuE4ELNS1_3repE0EEENS1_30default_config_static_selectorELNS0_4arch9wavefront6targetE1EEEvT1_ ; -- Begin function _ZN7rocprim17ROCPRIM_400000_NS6detail17trampoline_kernelINS0_14default_configENS1_27scan_by_key_config_selectorIj11FixedVectorIiLj8EEEEZZNS1_16scan_by_key_implILNS1_25lookback_scan_determinismE0ELb0ES3_N6thrust23THRUST_200600_302600_NS6detail15normal_iteratorINSB_10device_ptrIjEEEENSD_INSE_IS6_EEEESI_S6_NSB_4plusIvEENSB_8equal_toIvEES6_EE10hipError_tPvRmT2_T3_T4_T5_mT6_T7_P12ihipStream_tbENKUlT_T0_E_clISt17integral_constantIbLb0EES13_EEDaSY_SZ_EUlSY_E_NS1_11comp_targetILNS1_3genE10ELNS1_11target_archE1200ELNS1_3gpuE4ELNS1_3repE0EEENS1_30default_config_static_selectorELNS0_4arch9wavefront6targetE1EEEvT1_
	.globl	_ZN7rocprim17ROCPRIM_400000_NS6detail17trampoline_kernelINS0_14default_configENS1_27scan_by_key_config_selectorIj11FixedVectorIiLj8EEEEZZNS1_16scan_by_key_implILNS1_25lookback_scan_determinismE0ELb0ES3_N6thrust23THRUST_200600_302600_NS6detail15normal_iteratorINSB_10device_ptrIjEEEENSD_INSE_IS6_EEEESI_S6_NSB_4plusIvEENSB_8equal_toIvEES6_EE10hipError_tPvRmT2_T3_T4_T5_mT6_T7_P12ihipStream_tbENKUlT_T0_E_clISt17integral_constantIbLb0EES13_EEDaSY_SZ_EUlSY_E_NS1_11comp_targetILNS1_3genE10ELNS1_11target_archE1200ELNS1_3gpuE4ELNS1_3repE0EEENS1_30default_config_static_selectorELNS0_4arch9wavefront6targetE1EEEvT1_
	.p2align	8
	.type	_ZN7rocprim17ROCPRIM_400000_NS6detail17trampoline_kernelINS0_14default_configENS1_27scan_by_key_config_selectorIj11FixedVectorIiLj8EEEEZZNS1_16scan_by_key_implILNS1_25lookback_scan_determinismE0ELb0ES3_N6thrust23THRUST_200600_302600_NS6detail15normal_iteratorINSB_10device_ptrIjEEEENSD_INSE_IS6_EEEESI_S6_NSB_4plusIvEENSB_8equal_toIvEES6_EE10hipError_tPvRmT2_T3_T4_T5_mT6_T7_P12ihipStream_tbENKUlT_T0_E_clISt17integral_constantIbLb0EES13_EEDaSY_SZ_EUlSY_E_NS1_11comp_targetILNS1_3genE10ELNS1_11target_archE1200ELNS1_3gpuE4ELNS1_3repE0EEENS1_30default_config_static_selectorELNS0_4arch9wavefront6targetE1EEEvT1_,@function
_ZN7rocprim17ROCPRIM_400000_NS6detail17trampoline_kernelINS0_14default_configENS1_27scan_by_key_config_selectorIj11FixedVectorIiLj8EEEEZZNS1_16scan_by_key_implILNS1_25lookback_scan_determinismE0ELb0ES3_N6thrust23THRUST_200600_302600_NS6detail15normal_iteratorINSB_10device_ptrIjEEEENSD_INSE_IS6_EEEESI_S6_NSB_4plusIvEENSB_8equal_toIvEES6_EE10hipError_tPvRmT2_T3_T4_T5_mT6_T7_P12ihipStream_tbENKUlT_T0_E_clISt17integral_constantIbLb0EES13_EEDaSY_SZ_EUlSY_E_NS1_11comp_targetILNS1_3genE10ELNS1_11target_archE1200ELNS1_3gpuE4ELNS1_3repE0EEENS1_30default_config_static_selectorELNS0_4arch9wavefront6targetE1EEEvT1_: ; @_ZN7rocprim17ROCPRIM_400000_NS6detail17trampoline_kernelINS0_14default_configENS1_27scan_by_key_config_selectorIj11FixedVectorIiLj8EEEEZZNS1_16scan_by_key_implILNS1_25lookback_scan_determinismE0ELb0ES3_N6thrust23THRUST_200600_302600_NS6detail15normal_iteratorINSB_10device_ptrIjEEEENSD_INSE_IS6_EEEESI_S6_NSB_4plusIvEENSB_8equal_toIvEES6_EE10hipError_tPvRmT2_T3_T4_T5_mT6_T7_P12ihipStream_tbENKUlT_T0_E_clISt17integral_constantIbLb0EES13_EEDaSY_SZ_EUlSY_E_NS1_11comp_targetILNS1_3genE10ELNS1_11target_archE1200ELNS1_3gpuE4ELNS1_3repE0EEENS1_30default_config_static_selectorELNS0_4arch9wavefront6targetE1EEEvT1_
; %bb.0:
	.section	.rodata,"a",@progbits
	.p2align	6, 0x0
	.amdhsa_kernel _ZN7rocprim17ROCPRIM_400000_NS6detail17trampoline_kernelINS0_14default_configENS1_27scan_by_key_config_selectorIj11FixedVectorIiLj8EEEEZZNS1_16scan_by_key_implILNS1_25lookback_scan_determinismE0ELb0ES3_N6thrust23THRUST_200600_302600_NS6detail15normal_iteratorINSB_10device_ptrIjEEEENSD_INSE_IS6_EEEESI_S6_NSB_4plusIvEENSB_8equal_toIvEES6_EE10hipError_tPvRmT2_T3_T4_T5_mT6_T7_P12ihipStream_tbENKUlT_T0_E_clISt17integral_constantIbLb0EES13_EEDaSY_SZ_EUlSY_E_NS1_11comp_targetILNS1_3genE10ELNS1_11target_archE1200ELNS1_3gpuE4ELNS1_3repE0EEENS1_30default_config_static_selectorELNS0_4arch9wavefront6targetE1EEEvT1_
		.amdhsa_group_segment_fixed_size 0
		.amdhsa_private_segment_fixed_size 0
		.amdhsa_kernarg_size 160
		.amdhsa_user_sgpr_count 2
		.amdhsa_user_sgpr_dispatch_ptr 0
		.amdhsa_user_sgpr_queue_ptr 0
		.amdhsa_user_sgpr_kernarg_segment_ptr 1
		.amdhsa_user_sgpr_dispatch_id 0
		.amdhsa_user_sgpr_kernarg_preload_length 0
		.amdhsa_user_sgpr_kernarg_preload_offset 0
		.amdhsa_user_sgpr_private_segment_size 0
		.amdhsa_uses_dynamic_stack 0
		.amdhsa_enable_private_segment 0
		.amdhsa_system_sgpr_workgroup_id_x 1
		.amdhsa_system_sgpr_workgroup_id_y 0
		.amdhsa_system_sgpr_workgroup_id_z 0
		.amdhsa_system_sgpr_workgroup_info 0
		.amdhsa_system_vgpr_workitem_id 0
		.amdhsa_next_free_vgpr 1
		.amdhsa_next_free_sgpr 0
		.amdhsa_accum_offset 4
		.amdhsa_reserve_vcc 0
		.amdhsa_float_round_mode_32 0
		.amdhsa_float_round_mode_16_64 0
		.amdhsa_float_denorm_mode_32 3
		.amdhsa_float_denorm_mode_16_64 3
		.amdhsa_dx10_clamp 1
		.amdhsa_ieee_mode 1
		.amdhsa_fp16_overflow 0
		.amdhsa_tg_split 0
		.amdhsa_exception_fp_ieee_invalid_op 0
		.amdhsa_exception_fp_denorm_src 0
		.amdhsa_exception_fp_ieee_div_zero 0
		.amdhsa_exception_fp_ieee_overflow 0
		.amdhsa_exception_fp_ieee_underflow 0
		.amdhsa_exception_fp_ieee_inexact 0
		.amdhsa_exception_int_div_zero 0
	.end_amdhsa_kernel
	.section	.text._ZN7rocprim17ROCPRIM_400000_NS6detail17trampoline_kernelINS0_14default_configENS1_27scan_by_key_config_selectorIj11FixedVectorIiLj8EEEEZZNS1_16scan_by_key_implILNS1_25lookback_scan_determinismE0ELb0ES3_N6thrust23THRUST_200600_302600_NS6detail15normal_iteratorINSB_10device_ptrIjEEEENSD_INSE_IS6_EEEESI_S6_NSB_4plusIvEENSB_8equal_toIvEES6_EE10hipError_tPvRmT2_T3_T4_T5_mT6_T7_P12ihipStream_tbENKUlT_T0_E_clISt17integral_constantIbLb0EES13_EEDaSY_SZ_EUlSY_E_NS1_11comp_targetILNS1_3genE10ELNS1_11target_archE1200ELNS1_3gpuE4ELNS1_3repE0EEENS1_30default_config_static_selectorELNS0_4arch9wavefront6targetE1EEEvT1_,"axG",@progbits,_ZN7rocprim17ROCPRIM_400000_NS6detail17trampoline_kernelINS0_14default_configENS1_27scan_by_key_config_selectorIj11FixedVectorIiLj8EEEEZZNS1_16scan_by_key_implILNS1_25lookback_scan_determinismE0ELb0ES3_N6thrust23THRUST_200600_302600_NS6detail15normal_iteratorINSB_10device_ptrIjEEEENSD_INSE_IS6_EEEESI_S6_NSB_4plusIvEENSB_8equal_toIvEES6_EE10hipError_tPvRmT2_T3_T4_T5_mT6_T7_P12ihipStream_tbENKUlT_T0_E_clISt17integral_constantIbLb0EES13_EEDaSY_SZ_EUlSY_E_NS1_11comp_targetILNS1_3genE10ELNS1_11target_archE1200ELNS1_3gpuE4ELNS1_3repE0EEENS1_30default_config_static_selectorELNS0_4arch9wavefront6targetE1EEEvT1_,comdat
.Lfunc_end2122:
	.size	_ZN7rocprim17ROCPRIM_400000_NS6detail17trampoline_kernelINS0_14default_configENS1_27scan_by_key_config_selectorIj11FixedVectorIiLj8EEEEZZNS1_16scan_by_key_implILNS1_25lookback_scan_determinismE0ELb0ES3_N6thrust23THRUST_200600_302600_NS6detail15normal_iteratorINSB_10device_ptrIjEEEENSD_INSE_IS6_EEEESI_S6_NSB_4plusIvEENSB_8equal_toIvEES6_EE10hipError_tPvRmT2_T3_T4_T5_mT6_T7_P12ihipStream_tbENKUlT_T0_E_clISt17integral_constantIbLb0EES13_EEDaSY_SZ_EUlSY_E_NS1_11comp_targetILNS1_3genE10ELNS1_11target_archE1200ELNS1_3gpuE4ELNS1_3repE0EEENS1_30default_config_static_selectorELNS0_4arch9wavefront6targetE1EEEvT1_, .Lfunc_end2122-_ZN7rocprim17ROCPRIM_400000_NS6detail17trampoline_kernelINS0_14default_configENS1_27scan_by_key_config_selectorIj11FixedVectorIiLj8EEEEZZNS1_16scan_by_key_implILNS1_25lookback_scan_determinismE0ELb0ES3_N6thrust23THRUST_200600_302600_NS6detail15normal_iteratorINSB_10device_ptrIjEEEENSD_INSE_IS6_EEEESI_S6_NSB_4plusIvEENSB_8equal_toIvEES6_EE10hipError_tPvRmT2_T3_T4_T5_mT6_T7_P12ihipStream_tbENKUlT_T0_E_clISt17integral_constantIbLb0EES13_EEDaSY_SZ_EUlSY_E_NS1_11comp_targetILNS1_3genE10ELNS1_11target_archE1200ELNS1_3gpuE4ELNS1_3repE0EEENS1_30default_config_static_selectorELNS0_4arch9wavefront6targetE1EEEvT1_
                                        ; -- End function
	.section	.AMDGPU.csdata,"",@progbits
; Kernel info:
; codeLenInByte = 0
; NumSgprs: 6
; NumVgprs: 0
; NumAgprs: 0
; TotalNumVgprs: 0
; ScratchSize: 0
; MemoryBound: 0
; FloatMode: 240
; IeeeMode: 1
; LDSByteSize: 0 bytes/workgroup (compile time only)
; SGPRBlocks: 0
; VGPRBlocks: 0
; NumSGPRsForWavesPerEU: 6
; NumVGPRsForWavesPerEU: 1
; AccumOffset: 4
; Occupancy: 8
; WaveLimiterHint : 0
; COMPUTE_PGM_RSRC2:SCRATCH_EN: 0
; COMPUTE_PGM_RSRC2:USER_SGPR: 2
; COMPUTE_PGM_RSRC2:TRAP_HANDLER: 0
; COMPUTE_PGM_RSRC2:TGID_X_EN: 1
; COMPUTE_PGM_RSRC2:TGID_Y_EN: 0
; COMPUTE_PGM_RSRC2:TGID_Z_EN: 0
; COMPUTE_PGM_RSRC2:TIDIG_COMP_CNT: 0
; COMPUTE_PGM_RSRC3_GFX90A:ACCUM_OFFSET: 0
; COMPUTE_PGM_RSRC3_GFX90A:TG_SPLIT: 0
	.section	.text._ZN7rocprim17ROCPRIM_400000_NS6detail17trampoline_kernelINS0_14default_configENS1_27scan_by_key_config_selectorIj11FixedVectorIiLj8EEEEZZNS1_16scan_by_key_implILNS1_25lookback_scan_determinismE0ELb0ES3_N6thrust23THRUST_200600_302600_NS6detail15normal_iteratorINSB_10device_ptrIjEEEENSD_INSE_IS6_EEEESI_S6_NSB_4plusIvEENSB_8equal_toIvEES6_EE10hipError_tPvRmT2_T3_T4_T5_mT6_T7_P12ihipStream_tbENKUlT_T0_E_clISt17integral_constantIbLb0EES13_EEDaSY_SZ_EUlSY_E_NS1_11comp_targetILNS1_3genE9ELNS1_11target_archE1100ELNS1_3gpuE3ELNS1_3repE0EEENS1_30default_config_static_selectorELNS0_4arch9wavefront6targetE1EEEvT1_,"axG",@progbits,_ZN7rocprim17ROCPRIM_400000_NS6detail17trampoline_kernelINS0_14default_configENS1_27scan_by_key_config_selectorIj11FixedVectorIiLj8EEEEZZNS1_16scan_by_key_implILNS1_25lookback_scan_determinismE0ELb0ES3_N6thrust23THRUST_200600_302600_NS6detail15normal_iteratorINSB_10device_ptrIjEEEENSD_INSE_IS6_EEEESI_S6_NSB_4plusIvEENSB_8equal_toIvEES6_EE10hipError_tPvRmT2_T3_T4_T5_mT6_T7_P12ihipStream_tbENKUlT_T0_E_clISt17integral_constantIbLb0EES13_EEDaSY_SZ_EUlSY_E_NS1_11comp_targetILNS1_3genE9ELNS1_11target_archE1100ELNS1_3gpuE3ELNS1_3repE0EEENS1_30default_config_static_selectorELNS0_4arch9wavefront6targetE1EEEvT1_,comdat
	.protected	_ZN7rocprim17ROCPRIM_400000_NS6detail17trampoline_kernelINS0_14default_configENS1_27scan_by_key_config_selectorIj11FixedVectorIiLj8EEEEZZNS1_16scan_by_key_implILNS1_25lookback_scan_determinismE0ELb0ES3_N6thrust23THRUST_200600_302600_NS6detail15normal_iteratorINSB_10device_ptrIjEEEENSD_INSE_IS6_EEEESI_S6_NSB_4plusIvEENSB_8equal_toIvEES6_EE10hipError_tPvRmT2_T3_T4_T5_mT6_T7_P12ihipStream_tbENKUlT_T0_E_clISt17integral_constantIbLb0EES13_EEDaSY_SZ_EUlSY_E_NS1_11comp_targetILNS1_3genE9ELNS1_11target_archE1100ELNS1_3gpuE3ELNS1_3repE0EEENS1_30default_config_static_selectorELNS0_4arch9wavefront6targetE1EEEvT1_ ; -- Begin function _ZN7rocprim17ROCPRIM_400000_NS6detail17trampoline_kernelINS0_14default_configENS1_27scan_by_key_config_selectorIj11FixedVectorIiLj8EEEEZZNS1_16scan_by_key_implILNS1_25lookback_scan_determinismE0ELb0ES3_N6thrust23THRUST_200600_302600_NS6detail15normal_iteratorINSB_10device_ptrIjEEEENSD_INSE_IS6_EEEESI_S6_NSB_4plusIvEENSB_8equal_toIvEES6_EE10hipError_tPvRmT2_T3_T4_T5_mT6_T7_P12ihipStream_tbENKUlT_T0_E_clISt17integral_constantIbLb0EES13_EEDaSY_SZ_EUlSY_E_NS1_11comp_targetILNS1_3genE9ELNS1_11target_archE1100ELNS1_3gpuE3ELNS1_3repE0EEENS1_30default_config_static_selectorELNS0_4arch9wavefront6targetE1EEEvT1_
	.globl	_ZN7rocprim17ROCPRIM_400000_NS6detail17trampoline_kernelINS0_14default_configENS1_27scan_by_key_config_selectorIj11FixedVectorIiLj8EEEEZZNS1_16scan_by_key_implILNS1_25lookback_scan_determinismE0ELb0ES3_N6thrust23THRUST_200600_302600_NS6detail15normal_iteratorINSB_10device_ptrIjEEEENSD_INSE_IS6_EEEESI_S6_NSB_4plusIvEENSB_8equal_toIvEES6_EE10hipError_tPvRmT2_T3_T4_T5_mT6_T7_P12ihipStream_tbENKUlT_T0_E_clISt17integral_constantIbLb0EES13_EEDaSY_SZ_EUlSY_E_NS1_11comp_targetILNS1_3genE9ELNS1_11target_archE1100ELNS1_3gpuE3ELNS1_3repE0EEENS1_30default_config_static_selectorELNS0_4arch9wavefront6targetE1EEEvT1_
	.p2align	8
	.type	_ZN7rocprim17ROCPRIM_400000_NS6detail17trampoline_kernelINS0_14default_configENS1_27scan_by_key_config_selectorIj11FixedVectorIiLj8EEEEZZNS1_16scan_by_key_implILNS1_25lookback_scan_determinismE0ELb0ES3_N6thrust23THRUST_200600_302600_NS6detail15normal_iteratorINSB_10device_ptrIjEEEENSD_INSE_IS6_EEEESI_S6_NSB_4plusIvEENSB_8equal_toIvEES6_EE10hipError_tPvRmT2_T3_T4_T5_mT6_T7_P12ihipStream_tbENKUlT_T0_E_clISt17integral_constantIbLb0EES13_EEDaSY_SZ_EUlSY_E_NS1_11comp_targetILNS1_3genE9ELNS1_11target_archE1100ELNS1_3gpuE3ELNS1_3repE0EEENS1_30default_config_static_selectorELNS0_4arch9wavefront6targetE1EEEvT1_,@function
_ZN7rocprim17ROCPRIM_400000_NS6detail17trampoline_kernelINS0_14default_configENS1_27scan_by_key_config_selectorIj11FixedVectorIiLj8EEEEZZNS1_16scan_by_key_implILNS1_25lookback_scan_determinismE0ELb0ES3_N6thrust23THRUST_200600_302600_NS6detail15normal_iteratorINSB_10device_ptrIjEEEENSD_INSE_IS6_EEEESI_S6_NSB_4plusIvEENSB_8equal_toIvEES6_EE10hipError_tPvRmT2_T3_T4_T5_mT6_T7_P12ihipStream_tbENKUlT_T0_E_clISt17integral_constantIbLb0EES13_EEDaSY_SZ_EUlSY_E_NS1_11comp_targetILNS1_3genE9ELNS1_11target_archE1100ELNS1_3gpuE3ELNS1_3repE0EEENS1_30default_config_static_selectorELNS0_4arch9wavefront6targetE1EEEvT1_: ; @_ZN7rocprim17ROCPRIM_400000_NS6detail17trampoline_kernelINS0_14default_configENS1_27scan_by_key_config_selectorIj11FixedVectorIiLj8EEEEZZNS1_16scan_by_key_implILNS1_25lookback_scan_determinismE0ELb0ES3_N6thrust23THRUST_200600_302600_NS6detail15normal_iteratorINSB_10device_ptrIjEEEENSD_INSE_IS6_EEEESI_S6_NSB_4plusIvEENSB_8equal_toIvEES6_EE10hipError_tPvRmT2_T3_T4_T5_mT6_T7_P12ihipStream_tbENKUlT_T0_E_clISt17integral_constantIbLb0EES13_EEDaSY_SZ_EUlSY_E_NS1_11comp_targetILNS1_3genE9ELNS1_11target_archE1100ELNS1_3gpuE3ELNS1_3repE0EEENS1_30default_config_static_selectorELNS0_4arch9wavefront6targetE1EEEvT1_
; %bb.0:
	.section	.rodata,"a",@progbits
	.p2align	6, 0x0
	.amdhsa_kernel _ZN7rocprim17ROCPRIM_400000_NS6detail17trampoline_kernelINS0_14default_configENS1_27scan_by_key_config_selectorIj11FixedVectorIiLj8EEEEZZNS1_16scan_by_key_implILNS1_25lookback_scan_determinismE0ELb0ES3_N6thrust23THRUST_200600_302600_NS6detail15normal_iteratorINSB_10device_ptrIjEEEENSD_INSE_IS6_EEEESI_S6_NSB_4plusIvEENSB_8equal_toIvEES6_EE10hipError_tPvRmT2_T3_T4_T5_mT6_T7_P12ihipStream_tbENKUlT_T0_E_clISt17integral_constantIbLb0EES13_EEDaSY_SZ_EUlSY_E_NS1_11comp_targetILNS1_3genE9ELNS1_11target_archE1100ELNS1_3gpuE3ELNS1_3repE0EEENS1_30default_config_static_selectorELNS0_4arch9wavefront6targetE1EEEvT1_
		.amdhsa_group_segment_fixed_size 0
		.amdhsa_private_segment_fixed_size 0
		.amdhsa_kernarg_size 160
		.amdhsa_user_sgpr_count 2
		.amdhsa_user_sgpr_dispatch_ptr 0
		.amdhsa_user_sgpr_queue_ptr 0
		.amdhsa_user_sgpr_kernarg_segment_ptr 1
		.amdhsa_user_sgpr_dispatch_id 0
		.amdhsa_user_sgpr_kernarg_preload_length 0
		.amdhsa_user_sgpr_kernarg_preload_offset 0
		.amdhsa_user_sgpr_private_segment_size 0
		.amdhsa_uses_dynamic_stack 0
		.amdhsa_enable_private_segment 0
		.amdhsa_system_sgpr_workgroup_id_x 1
		.amdhsa_system_sgpr_workgroup_id_y 0
		.amdhsa_system_sgpr_workgroup_id_z 0
		.amdhsa_system_sgpr_workgroup_info 0
		.amdhsa_system_vgpr_workitem_id 0
		.amdhsa_next_free_vgpr 1
		.amdhsa_next_free_sgpr 0
		.amdhsa_accum_offset 4
		.amdhsa_reserve_vcc 0
		.amdhsa_float_round_mode_32 0
		.amdhsa_float_round_mode_16_64 0
		.amdhsa_float_denorm_mode_32 3
		.amdhsa_float_denorm_mode_16_64 3
		.amdhsa_dx10_clamp 1
		.amdhsa_ieee_mode 1
		.amdhsa_fp16_overflow 0
		.amdhsa_tg_split 0
		.amdhsa_exception_fp_ieee_invalid_op 0
		.amdhsa_exception_fp_denorm_src 0
		.amdhsa_exception_fp_ieee_div_zero 0
		.amdhsa_exception_fp_ieee_overflow 0
		.amdhsa_exception_fp_ieee_underflow 0
		.amdhsa_exception_fp_ieee_inexact 0
		.amdhsa_exception_int_div_zero 0
	.end_amdhsa_kernel
	.section	.text._ZN7rocprim17ROCPRIM_400000_NS6detail17trampoline_kernelINS0_14default_configENS1_27scan_by_key_config_selectorIj11FixedVectorIiLj8EEEEZZNS1_16scan_by_key_implILNS1_25lookback_scan_determinismE0ELb0ES3_N6thrust23THRUST_200600_302600_NS6detail15normal_iteratorINSB_10device_ptrIjEEEENSD_INSE_IS6_EEEESI_S6_NSB_4plusIvEENSB_8equal_toIvEES6_EE10hipError_tPvRmT2_T3_T4_T5_mT6_T7_P12ihipStream_tbENKUlT_T0_E_clISt17integral_constantIbLb0EES13_EEDaSY_SZ_EUlSY_E_NS1_11comp_targetILNS1_3genE9ELNS1_11target_archE1100ELNS1_3gpuE3ELNS1_3repE0EEENS1_30default_config_static_selectorELNS0_4arch9wavefront6targetE1EEEvT1_,"axG",@progbits,_ZN7rocprim17ROCPRIM_400000_NS6detail17trampoline_kernelINS0_14default_configENS1_27scan_by_key_config_selectorIj11FixedVectorIiLj8EEEEZZNS1_16scan_by_key_implILNS1_25lookback_scan_determinismE0ELb0ES3_N6thrust23THRUST_200600_302600_NS6detail15normal_iteratorINSB_10device_ptrIjEEEENSD_INSE_IS6_EEEESI_S6_NSB_4plusIvEENSB_8equal_toIvEES6_EE10hipError_tPvRmT2_T3_T4_T5_mT6_T7_P12ihipStream_tbENKUlT_T0_E_clISt17integral_constantIbLb0EES13_EEDaSY_SZ_EUlSY_E_NS1_11comp_targetILNS1_3genE9ELNS1_11target_archE1100ELNS1_3gpuE3ELNS1_3repE0EEENS1_30default_config_static_selectorELNS0_4arch9wavefront6targetE1EEEvT1_,comdat
.Lfunc_end2123:
	.size	_ZN7rocprim17ROCPRIM_400000_NS6detail17trampoline_kernelINS0_14default_configENS1_27scan_by_key_config_selectorIj11FixedVectorIiLj8EEEEZZNS1_16scan_by_key_implILNS1_25lookback_scan_determinismE0ELb0ES3_N6thrust23THRUST_200600_302600_NS6detail15normal_iteratorINSB_10device_ptrIjEEEENSD_INSE_IS6_EEEESI_S6_NSB_4plusIvEENSB_8equal_toIvEES6_EE10hipError_tPvRmT2_T3_T4_T5_mT6_T7_P12ihipStream_tbENKUlT_T0_E_clISt17integral_constantIbLb0EES13_EEDaSY_SZ_EUlSY_E_NS1_11comp_targetILNS1_3genE9ELNS1_11target_archE1100ELNS1_3gpuE3ELNS1_3repE0EEENS1_30default_config_static_selectorELNS0_4arch9wavefront6targetE1EEEvT1_, .Lfunc_end2123-_ZN7rocprim17ROCPRIM_400000_NS6detail17trampoline_kernelINS0_14default_configENS1_27scan_by_key_config_selectorIj11FixedVectorIiLj8EEEEZZNS1_16scan_by_key_implILNS1_25lookback_scan_determinismE0ELb0ES3_N6thrust23THRUST_200600_302600_NS6detail15normal_iteratorINSB_10device_ptrIjEEEENSD_INSE_IS6_EEEESI_S6_NSB_4plusIvEENSB_8equal_toIvEES6_EE10hipError_tPvRmT2_T3_T4_T5_mT6_T7_P12ihipStream_tbENKUlT_T0_E_clISt17integral_constantIbLb0EES13_EEDaSY_SZ_EUlSY_E_NS1_11comp_targetILNS1_3genE9ELNS1_11target_archE1100ELNS1_3gpuE3ELNS1_3repE0EEENS1_30default_config_static_selectorELNS0_4arch9wavefront6targetE1EEEvT1_
                                        ; -- End function
	.section	.AMDGPU.csdata,"",@progbits
; Kernel info:
; codeLenInByte = 0
; NumSgprs: 6
; NumVgprs: 0
; NumAgprs: 0
; TotalNumVgprs: 0
; ScratchSize: 0
; MemoryBound: 0
; FloatMode: 240
; IeeeMode: 1
; LDSByteSize: 0 bytes/workgroup (compile time only)
; SGPRBlocks: 0
; VGPRBlocks: 0
; NumSGPRsForWavesPerEU: 6
; NumVGPRsForWavesPerEU: 1
; AccumOffset: 4
; Occupancy: 8
; WaveLimiterHint : 0
; COMPUTE_PGM_RSRC2:SCRATCH_EN: 0
; COMPUTE_PGM_RSRC2:USER_SGPR: 2
; COMPUTE_PGM_RSRC2:TRAP_HANDLER: 0
; COMPUTE_PGM_RSRC2:TGID_X_EN: 1
; COMPUTE_PGM_RSRC2:TGID_Y_EN: 0
; COMPUTE_PGM_RSRC2:TGID_Z_EN: 0
; COMPUTE_PGM_RSRC2:TIDIG_COMP_CNT: 0
; COMPUTE_PGM_RSRC3_GFX90A:ACCUM_OFFSET: 0
; COMPUTE_PGM_RSRC3_GFX90A:TG_SPLIT: 0
	.section	.text._ZN7rocprim17ROCPRIM_400000_NS6detail17trampoline_kernelINS0_14default_configENS1_27scan_by_key_config_selectorIj11FixedVectorIiLj8EEEEZZNS1_16scan_by_key_implILNS1_25lookback_scan_determinismE0ELb0ES3_N6thrust23THRUST_200600_302600_NS6detail15normal_iteratorINSB_10device_ptrIjEEEENSD_INSE_IS6_EEEESI_S6_NSB_4plusIvEENSB_8equal_toIvEES6_EE10hipError_tPvRmT2_T3_T4_T5_mT6_T7_P12ihipStream_tbENKUlT_T0_E_clISt17integral_constantIbLb0EES13_EEDaSY_SZ_EUlSY_E_NS1_11comp_targetILNS1_3genE8ELNS1_11target_archE1030ELNS1_3gpuE2ELNS1_3repE0EEENS1_30default_config_static_selectorELNS0_4arch9wavefront6targetE1EEEvT1_,"axG",@progbits,_ZN7rocprim17ROCPRIM_400000_NS6detail17trampoline_kernelINS0_14default_configENS1_27scan_by_key_config_selectorIj11FixedVectorIiLj8EEEEZZNS1_16scan_by_key_implILNS1_25lookback_scan_determinismE0ELb0ES3_N6thrust23THRUST_200600_302600_NS6detail15normal_iteratorINSB_10device_ptrIjEEEENSD_INSE_IS6_EEEESI_S6_NSB_4plusIvEENSB_8equal_toIvEES6_EE10hipError_tPvRmT2_T3_T4_T5_mT6_T7_P12ihipStream_tbENKUlT_T0_E_clISt17integral_constantIbLb0EES13_EEDaSY_SZ_EUlSY_E_NS1_11comp_targetILNS1_3genE8ELNS1_11target_archE1030ELNS1_3gpuE2ELNS1_3repE0EEENS1_30default_config_static_selectorELNS0_4arch9wavefront6targetE1EEEvT1_,comdat
	.protected	_ZN7rocprim17ROCPRIM_400000_NS6detail17trampoline_kernelINS0_14default_configENS1_27scan_by_key_config_selectorIj11FixedVectorIiLj8EEEEZZNS1_16scan_by_key_implILNS1_25lookback_scan_determinismE0ELb0ES3_N6thrust23THRUST_200600_302600_NS6detail15normal_iteratorINSB_10device_ptrIjEEEENSD_INSE_IS6_EEEESI_S6_NSB_4plusIvEENSB_8equal_toIvEES6_EE10hipError_tPvRmT2_T3_T4_T5_mT6_T7_P12ihipStream_tbENKUlT_T0_E_clISt17integral_constantIbLb0EES13_EEDaSY_SZ_EUlSY_E_NS1_11comp_targetILNS1_3genE8ELNS1_11target_archE1030ELNS1_3gpuE2ELNS1_3repE0EEENS1_30default_config_static_selectorELNS0_4arch9wavefront6targetE1EEEvT1_ ; -- Begin function _ZN7rocprim17ROCPRIM_400000_NS6detail17trampoline_kernelINS0_14default_configENS1_27scan_by_key_config_selectorIj11FixedVectorIiLj8EEEEZZNS1_16scan_by_key_implILNS1_25lookback_scan_determinismE0ELb0ES3_N6thrust23THRUST_200600_302600_NS6detail15normal_iteratorINSB_10device_ptrIjEEEENSD_INSE_IS6_EEEESI_S6_NSB_4plusIvEENSB_8equal_toIvEES6_EE10hipError_tPvRmT2_T3_T4_T5_mT6_T7_P12ihipStream_tbENKUlT_T0_E_clISt17integral_constantIbLb0EES13_EEDaSY_SZ_EUlSY_E_NS1_11comp_targetILNS1_3genE8ELNS1_11target_archE1030ELNS1_3gpuE2ELNS1_3repE0EEENS1_30default_config_static_selectorELNS0_4arch9wavefront6targetE1EEEvT1_
	.globl	_ZN7rocprim17ROCPRIM_400000_NS6detail17trampoline_kernelINS0_14default_configENS1_27scan_by_key_config_selectorIj11FixedVectorIiLj8EEEEZZNS1_16scan_by_key_implILNS1_25lookback_scan_determinismE0ELb0ES3_N6thrust23THRUST_200600_302600_NS6detail15normal_iteratorINSB_10device_ptrIjEEEENSD_INSE_IS6_EEEESI_S6_NSB_4plusIvEENSB_8equal_toIvEES6_EE10hipError_tPvRmT2_T3_T4_T5_mT6_T7_P12ihipStream_tbENKUlT_T0_E_clISt17integral_constantIbLb0EES13_EEDaSY_SZ_EUlSY_E_NS1_11comp_targetILNS1_3genE8ELNS1_11target_archE1030ELNS1_3gpuE2ELNS1_3repE0EEENS1_30default_config_static_selectorELNS0_4arch9wavefront6targetE1EEEvT1_
	.p2align	8
	.type	_ZN7rocprim17ROCPRIM_400000_NS6detail17trampoline_kernelINS0_14default_configENS1_27scan_by_key_config_selectorIj11FixedVectorIiLj8EEEEZZNS1_16scan_by_key_implILNS1_25lookback_scan_determinismE0ELb0ES3_N6thrust23THRUST_200600_302600_NS6detail15normal_iteratorINSB_10device_ptrIjEEEENSD_INSE_IS6_EEEESI_S6_NSB_4plusIvEENSB_8equal_toIvEES6_EE10hipError_tPvRmT2_T3_T4_T5_mT6_T7_P12ihipStream_tbENKUlT_T0_E_clISt17integral_constantIbLb0EES13_EEDaSY_SZ_EUlSY_E_NS1_11comp_targetILNS1_3genE8ELNS1_11target_archE1030ELNS1_3gpuE2ELNS1_3repE0EEENS1_30default_config_static_selectorELNS0_4arch9wavefront6targetE1EEEvT1_,@function
_ZN7rocprim17ROCPRIM_400000_NS6detail17trampoline_kernelINS0_14default_configENS1_27scan_by_key_config_selectorIj11FixedVectorIiLj8EEEEZZNS1_16scan_by_key_implILNS1_25lookback_scan_determinismE0ELb0ES3_N6thrust23THRUST_200600_302600_NS6detail15normal_iteratorINSB_10device_ptrIjEEEENSD_INSE_IS6_EEEESI_S6_NSB_4plusIvEENSB_8equal_toIvEES6_EE10hipError_tPvRmT2_T3_T4_T5_mT6_T7_P12ihipStream_tbENKUlT_T0_E_clISt17integral_constantIbLb0EES13_EEDaSY_SZ_EUlSY_E_NS1_11comp_targetILNS1_3genE8ELNS1_11target_archE1030ELNS1_3gpuE2ELNS1_3repE0EEENS1_30default_config_static_selectorELNS0_4arch9wavefront6targetE1EEEvT1_: ; @_ZN7rocprim17ROCPRIM_400000_NS6detail17trampoline_kernelINS0_14default_configENS1_27scan_by_key_config_selectorIj11FixedVectorIiLj8EEEEZZNS1_16scan_by_key_implILNS1_25lookback_scan_determinismE0ELb0ES3_N6thrust23THRUST_200600_302600_NS6detail15normal_iteratorINSB_10device_ptrIjEEEENSD_INSE_IS6_EEEESI_S6_NSB_4plusIvEENSB_8equal_toIvEES6_EE10hipError_tPvRmT2_T3_T4_T5_mT6_T7_P12ihipStream_tbENKUlT_T0_E_clISt17integral_constantIbLb0EES13_EEDaSY_SZ_EUlSY_E_NS1_11comp_targetILNS1_3genE8ELNS1_11target_archE1030ELNS1_3gpuE2ELNS1_3repE0EEENS1_30default_config_static_selectorELNS0_4arch9wavefront6targetE1EEEvT1_
; %bb.0:
	.section	.rodata,"a",@progbits
	.p2align	6, 0x0
	.amdhsa_kernel _ZN7rocprim17ROCPRIM_400000_NS6detail17trampoline_kernelINS0_14default_configENS1_27scan_by_key_config_selectorIj11FixedVectorIiLj8EEEEZZNS1_16scan_by_key_implILNS1_25lookback_scan_determinismE0ELb0ES3_N6thrust23THRUST_200600_302600_NS6detail15normal_iteratorINSB_10device_ptrIjEEEENSD_INSE_IS6_EEEESI_S6_NSB_4plusIvEENSB_8equal_toIvEES6_EE10hipError_tPvRmT2_T3_T4_T5_mT6_T7_P12ihipStream_tbENKUlT_T0_E_clISt17integral_constantIbLb0EES13_EEDaSY_SZ_EUlSY_E_NS1_11comp_targetILNS1_3genE8ELNS1_11target_archE1030ELNS1_3gpuE2ELNS1_3repE0EEENS1_30default_config_static_selectorELNS0_4arch9wavefront6targetE1EEEvT1_
		.amdhsa_group_segment_fixed_size 0
		.amdhsa_private_segment_fixed_size 0
		.amdhsa_kernarg_size 160
		.amdhsa_user_sgpr_count 2
		.amdhsa_user_sgpr_dispatch_ptr 0
		.amdhsa_user_sgpr_queue_ptr 0
		.amdhsa_user_sgpr_kernarg_segment_ptr 1
		.amdhsa_user_sgpr_dispatch_id 0
		.amdhsa_user_sgpr_kernarg_preload_length 0
		.amdhsa_user_sgpr_kernarg_preload_offset 0
		.amdhsa_user_sgpr_private_segment_size 0
		.amdhsa_uses_dynamic_stack 0
		.amdhsa_enable_private_segment 0
		.amdhsa_system_sgpr_workgroup_id_x 1
		.amdhsa_system_sgpr_workgroup_id_y 0
		.amdhsa_system_sgpr_workgroup_id_z 0
		.amdhsa_system_sgpr_workgroup_info 0
		.amdhsa_system_vgpr_workitem_id 0
		.amdhsa_next_free_vgpr 1
		.amdhsa_next_free_sgpr 0
		.amdhsa_accum_offset 4
		.amdhsa_reserve_vcc 0
		.amdhsa_float_round_mode_32 0
		.amdhsa_float_round_mode_16_64 0
		.amdhsa_float_denorm_mode_32 3
		.amdhsa_float_denorm_mode_16_64 3
		.amdhsa_dx10_clamp 1
		.amdhsa_ieee_mode 1
		.amdhsa_fp16_overflow 0
		.amdhsa_tg_split 0
		.amdhsa_exception_fp_ieee_invalid_op 0
		.amdhsa_exception_fp_denorm_src 0
		.amdhsa_exception_fp_ieee_div_zero 0
		.amdhsa_exception_fp_ieee_overflow 0
		.amdhsa_exception_fp_ieee_underflow 0
		.amdhsa_exception_fp_ieee_inexact 0
		.amdhsa_exception_int_div_zero 0
	.end_amdhsa_kernel
	.section	.text._ZN7rocprim17ROCPRIM_400000_NS6detail17trampoline_kernelINS0_14default_configENS1_27scan_by_key_config_selectorIj11FixedVectorIiLj8EEEEZZNS1_16scan_by_key_implILNS1_25lookback_scan_determinismE0ELb0ES3_N6thrust23THRUST_200600_302600_NS6detail15normal_iteratorINSB_10device_ptrIjEEEENSD_INSE_IS6_EEEESI_S6_NSB_4plusIvEENSB_8equal_toIvEES6_EE10hipError_tPvRmT2_T3_T4_T5_mT6_T7_P12ihipStream_tbENKUlT_T0_E_clISt17integral_constantIbLb0EES13_EEDaSY_SZ_EUlSY_E_NS1_11comp_targetILNS1_3genE8ELNS1_11target_archE1030ELNS1_3gpuE2ELNS1_3repE0EEENS1_30default_config_static_selectorELNS0_4arch9wavefront6targetE1EEEvT1_,"axG",@progbits,_ZN7rocprim17ROCPRIM_400000_NS6detail17trampoline_kernelINS0_14default_configENS1_27scan_by_key_config_selectorIj11FixedVectorIiLj8EEEEZZNS1_16scan_by_key_implILNS1_25lookback_scan_determinismE0ELb0ES3_N6thrust23THRUST_200600_302600_NS6detail15normal_iteratorINSB_10device_ptrIjEEEENSD_INSE_IS6_EEEESI_S6_NSB_4plusIvEENSB_8equal_toIvEES6_EE10hipError_tPvRmT2_T3_T4_T5_mT6_T7_P12ihipStream_tbENKUlT_T0_E_clISt17integral_constantIbLb0EES13_EEDaSY_SZ_EUlSY_E_NS1_11comp_targetILNS1_3genE8ELNS1_11target_archE1030ELNS1_3gpuE2ELNS1_3repE0EEENS1_30default_config_static_selectorELNS0_4arch9wavefront6targetE1EEEvT1_,comdat
.Lfunc_end2124:
	.size	_ZN7rocprim17ROCPRIM_400000_NS6detail17trampoline_kernelINS0_14default_configENS1_27scan_by_key_config_selectorIj11FixedVectorIiLj8EEEEZZNS1_16scan_by_key_implILNS1_25lookback_scan_determinismE0ELb0ES3_N6thrust23THRUST_200600_302600_NS6detail15normal_iteratorINSB_10device_ptrIjEEEENSD_INSE_IS6_EEEESI_S6_NSB_4plusIvEENSB_8equal_toIvEES6_EE10hipError_tPvRmT2_T3_T4_T5_mT6_T7_P12ihipStream_tbENKUlT_T0_E_clISt17integral_constantIbLb0EES13_EEDaSY_SZ_EUlSY_E_NS1_11comp_targetILNS1_3genE8ELNS1_11target_archE1030ELNS1_3gpuE2ELNS1_3repE0EEENS1_30default_config_static_selectorELNS0_4arch9wavefront6targetE1EEEvT1_, .Lfunc_end2124-_ZN7rocprim17ROCPRIM_400000_NS6detail17trampoline_kernelINS0_14default_configENS1_27scan_by_key_config_selectorIj11FixedVectorIiLj8EEEEZZNS1_16scan_by_key_implILNS1_25lookback_scan_determinismE0ELb0ES3_N6thrust23THRUST_200600_302600_NS6detail15normal_iteratorINSB_10device_ptrIjEEEENSD_INSE_IS6_EEEESI_S6_NSB_4plusIvEENSB_8equal_toIvEES6_EE10hipError_tPvRmT2_T3_T4_T5_mT6_T7_P12ihipStream_tbENKUlT_T0_E_clISt17integral_constantIbLb0EES13_EEDaSY_SZ_EUlSY_E_NS1_11comp_targetILNS1_3genE8ELNS1_11target_archE1030ELNS1_3gpuE2ELNS1_3repE0EEENS1_30default_config_static_selectorELNS0_4arch9wavefront6targetE1EEEvT1_
                                        ; -- End function
	.section	.AMDGPU.csdata,"",@progbits
; Kernel info:
; codeLenInByte = 0
; NumSgprs: 6
; NumVgprs: 0
; NumAgprs: 0
; TotalNumVgprs: 0
; ScratchSize: 0
; MemoryBound: 0
; FloatMode: 240
; IeeeMode: 1
; LDSByteSize: 0 bytes/workgroup (compile time only)
; SGPRBlocks: 0
; VGPRBlocks: 0
; NumSGPRsForWavesPerEU: 6
; NumVGPRsForWavesPerEU: 1
; AccumOffset: 4
; Occupancy: 8
; WaveLimiterHint : 0
; COMPUTE_PGM_RSRC2:SCRATCH_EN: 0
; COMPUTE_PGM_RSRC2:USER_SGPR: 2
; COMPUTE_PGM_RSRC2:TRAP_HANDLER: 0
; COMPUTE_PGM_RSRC2:TGID_X_EN: 1
; COMPUTE_PGM_RSRC2:TGID_Y_EN: 0
; COMPUTE_PGM_RSRC2:TGID_Z_EN: 0
; COMPUTE_PGM_RSRC2:TIDIG_COMP_CNT: 0
; COMPUTE_PGM_RSRC3_GFX90A:ACCUM_OFFSET: 0
; COMPUTE_PGM_RSRC3_GFX90A:TG_SPLIT: 0
	.section	.text._ZN7rocprim17ROCPRIM_400000_NS6detail30init_device_scan_by_key_kernelINS1_19lookback_scan_stateINS0_5tupleIJ11FixedVectorIiLj8EEbEEELb1ELb0EEEN6thrust23THRUST_200600_302600_NS6detail15normal_iteratorINSA_10device_ptrIjEEEEjNS1_16block_id_wrapperIjLb1EEEEEvT_jjPNSI_10value_typeET0_PNSt15iterator_traitsISL_E10value_typeEmT1_T2_,"axG",@progbits,_ZN7rocprim17ROCPRIM_400000_NS6detail30init_device_scan_by_key_kernelINS1_19lookback_scan_stateINS0_5tupleIJ11FixedVectorIiLj8EEbEEELb1ELb0EEEN6thrust23THRUST_200600_302600_NS6detail15normal_iteratorINSA_10device_ptrIjEEEEjNS1_16block_id_wrapperIjLb1EEEEEvT_jjPNSI_10value_typeET0_PNSt15iterator_traitsISL_E10value_typeEmT1_T2_,comdat
	.protected	_ZN7rocprim17ROCPRIM_400000_NS6detail30init_device_scan_by_key_kernelINS1_19lookback_scan_stateINS0_5tupleIJ11FixedVectorIiLj8EEbEEELb1ELb0EEEN6thrust23THRUST_200600_302600_NS6detail15normal_iteratorINSA_10device_ptrIjEEEEjNS1_16block_id_wrapperIjLb1EEEEEvT_jjPNSI_10value_typeET0_PNSt15iterator_traitsISL_E10value_typeEmT1_T2_ ; -- Begin function _ZN7rocprim17ROCPRIM_400000_NS6detail30init_device_scan_by_key_kernelINS1_19lookback_scan_stateINS0_5tupleIJ11FixedVectorIiLj8EEbEEELb1ELb0EEEN6thrust23THRUST_200600_302600_NS6detail15normal_iteratorINSA_10device_ptrIjEEEEjNS1_16block_id_wrapperIjLb1EEEEEvT_jjPNSI_10value_typeET0_PNSt15iterator_traitsISL_E10value_typeEmT1_T2_
	.globl	_ZN7rocprim17ROCPRIM_400000_NS6detail30init_device_scan_by_key_kernelINS1_19lookback_scan_stateINS0_5tupleIJ11FixedVectorIiLj8EEbEEELb1ELb0EEEN6thrust23THRUST_200600_302600_NS6detail15normal_iteratorINSA_10device_ptrIjEEEEjNS1_16block_id_wrapperIjLb1EEEEEvT_jjPNSI_10value_typeET0_PNSt15iterator_traitsISL_E10value_typeEmT1_T2_
	.p2align	8
	.type	_ZN7rocprim17ROCPRIM_400000_NS6detail30init_device_scan_by_key_kernelINS1_19lookback_scan_stateINS0_5tupleIJ11FixedVectorIiLj8EEbEEELb1ELb0EEEN6thrust23THRUST_200600_302600_NS6detail15normal_iteratorINSA_10device_ptrIjEEEEjNS1_16block_id_wrapperIjLb1EEEEEvT_jjPNSI_10value_typeET0_PNSt15iterator_traitsISL_E10value_typeEmT1_T2_,@function
_ZN7rocprim17ROCPRIM_400000_NS6detail30init_device_scan_by_key_kernelINS1_19lookback_scan_stateINS0_5tupleIJ11FixedVectorIiLj8EEbEEELb1ELb0EEEN6thrust23THRUST_200600_302600_NS6detail15normal_iteratorINSA_10device_ptrIjEEEEjNS1_16block_id_wrapperIjLb1EEEEEvT_jjPNSI_10value_typeET0_PNSt15iterator_traitsISL_E10value_typeEmT1_T2_: ; @_ZN7rocprim17ROCPRIM_400000_NS6detail30init_device_scan_by_key_kernelINS1_19lookback_scan_stateINS0_5tupleIJ11FixedVectorIiLj8EEbEEELb1ELb0EEEN6thrust23THRUST_200600_302600_NS6detail15normal_iteratorINSA_10device_ptrIjEEEEjNS1_16block_id_wrapperIjLb1EEEEEvT_jjPNSI_10value_typeET0_PNSt15iterator_traitsISL_E10value_typeEmT1_T2_
; %bb.0:
	s_load_dword s3, s[0:1], 0x5c
	s_load_dwordx8 s[4:11], s[0:1], 0x10
	s_load_dword s18, s[0:1], 0x50
	s_waitcnt lgkmcnt(0)
	s_and_b32 s19, s3, 0xffff
	s_mul_i32 s2, s2, s19
	s_cmp_eq_u64 s[8:9], 0
	v_add_u32_e32 v0, s2, v0
	s_cbranch_scc1 .LBB2125_11
; %bb.1:
	s_cmp_lt_u32 s7, s6
	s_cselect_b32 s2, s7, 0
	v_cmp_eq_u32_e32 vcc, s2, v0
	s_and_saveexec_b64 s[2:3], vcc
	s_cbranch_execz .LBB2125_10
; %bb.2:
	s_add_i32 s7, s7, 64
	v_mov_b32_e32 v1, s7
	global_load_ubyte v1, v1, s[4:5] sc1
	s_load_dwordx4 s[12:15], s[0:1], 0x0
	s_add_u32 s16, s4, s7
	s_addc_u32 s17, s5, 0
	s_waitcnt vmcnt(0)
	v_cmp_ne_u16_e32 vcc, 0, v1
	v_readfirstlane_b32 s20, v1
	s_cbranch_vccz .LBB2125_4
; %bb.3:
	s_and_b32 s16, 0xffff, s20
	s_branch .LBB2125_9
.LBB2125_4:
	s_mov_b32 s20, 1
	v_mov_b32_e32 v1, 0
.LBB2125_5:                             ; =>This Loop Header: Depth=1
                                        ;     Child Loop BB2125_6 Depth 2
	s_max_u32 s21, s20, 1
.LBB2125_6:                             ;   Parent Loop BB2125_5 Depth=1
                                        ; =>  This Inner Loop Header: Depth=2
	s_add_i32 s21, s21, -1
	s_cmp_eq_u32 s21, 0
	s_sleep 1
	s_cbranch_scc0 .LBB2125_6
; %bb.7:                                ;   in Loop: Header=BB2125_5 Depth=1
	global_load_ubyte v2, v1, s[16:17] sc1
	s_cmp_lt_u32 s20, 32
	s_cselect_b64 s[22:23], -1, 0
	s_cmp_lg_u64 s[22:23], 0
	s_addc_u32 s20, s20, 0
	s_waitcnt vmcnt(0)
	v_cmp_ne_u16_e32 vcc, 0, v2
	v_readfirstlane_b32 s21, v2
	s_cbranch_vccz .LBB2125_5
; %bb.8:
	s_and_b32 s16, 0xffff, s21
.LBB2125_9:
	s_cmp_eq_u32 s16, 1
	s_waitcnt lgkmcnt(0)
	s_cselect_b32 s12, s12, s14
	s_mul_hi_u32 s14, s7, 36
	s_mul_i32 s7, s7, 36
	s_cselect_b32 s13, s13, s15
	s_add_u32 s12, s12, s7
	s_addc_u32 s13, s13, s14
	v_mov_b32_e32 v1, 0
	s_waitcnt vmcnt(0)
	global_load_dword v2, v1, s[12:13] sc1
	global_load_dword v3, v1, s[12:13] offset:4 sc1
	global_load_dword v4, v1, s[12:13] offset:8 sc1
	;; [unrolled: 1-line block ×8, first 2 shown]
	s_waitcnt vmcnt(5)
	global_store_dwordx4 v1, v[2:5], s[8:9]
	s_waitcnt vmcnt(2)
	global_store_dwordx4 v1, v[6:9], s[8:9] offset:16
	s_waitcnt vmcnt(2)
	global_store_byte v1, v10, s[8:9] offset:32
.LBB2125_10:
	s_or_b64 exec, exec, s[2:3]
.LBB2125_11:
	v_cmp_eq_u32_e32 vcc, 0, v0
	s_and_saveexec_b64 s[2:3], vcc
	s_cbranch_execz .LBB2125_13
; %bb.12:
	s_load_dwordx2 s[8:9], s[0:1], 0x48
	v_mov_b32_e32 v1, 0
	s_waitcnt lgkmcnt(0)
	global_store_dword v1, v1, s[8:9]
.LBB2125_13:
	s_or_b64 exec, exec, s[2:3]
	v_cmp_gt_u32_e32 vcc, s6, v0
	s_and_saveexec_b64 s[2:3], vcc
	s_cbranch_execz .LBB2125_15
; %bb.14:
	v_add_u32_e32 v1, 64, v0
	v_mov_b32_e32 v2, 0
	global_store_byte v1, v2, s[4:5]
.LBB2125_15:
	s_or_b64 exec, exec, s[2:3]
	v_cmp_gt_u32_e32 vcc, 64, v0
	v_mov_b32_e32 v1, 0
	s_and_saveexec_b64 s[2:3], vcc
	s_cbranch_execz .LBB2125_17
; %bb.16:
	v_lshl_add_u64 v[2:3], s[4:5], 0, v[0:1]
	v_mov_b32_e32 v4, 0xff
	global_store_byte v[2:3], v4, off
.LBB2125_17:
	s_or_b64 exec, exec, s[2:3]
	s_load_dwordx2 s[2:3], s[0:1], 0x38
	s_waitcnt lgkmcnt(0)
	v_cmp_gt_u64_e32 vcc, s[2:3], v[0:1]
	s_and_saveexec_b64 s[4:5], vcc
	s_cbranch_execz .LBB2125_20
; %bb.18:
	s_load_dword s12, s[0:1], 0x40
	s_load_dwordx2 s[6:7], s[0:1], 0x30
	s_mov_b32 s5, 0
	s_mov_b32 s1, s5
	s_mul_i32 s0, s18, s19
	s_waitcnt lgkmcnt(0)
	s_add_i32 s4, s12, -1
	s_lshl_b64 s[4:5], s[4:5], 2
	s_add_u32 s4, s10, s4
	v_mad_u64_u32 v[2:3], s[8:9], s12, v0, 0
	s_addc_u32 s5, s11, s5
	v_lshl_add_u64 v[2:3], v[2:3], 2, s[4:5]
	s_mul_hi_u32 s5, s12, s0
	s_mul_i32 s4, s12, s0
	s_lshl_b64 s[4:5], s[4:5], 2
	v_lshl_add_u64 v[4:5], v[0:1], 2, s[6:7]
	s_lshl_b64 s[6:7], s[0:1], 2
	s_mov_b64 s[8:9], 0
.LBB2125_19:                            ; =>This Inner Loop Header: Depth=1
	global_load_dword v6, v[2:3], off
	v_lshl_add_u64 v[0:1], v[0:1], 0, s[0:1]
	v_cmp_le_u64_e32 vcc, s[2:3], v[0:1]
	v_lshl_add_u64 v[2:3], v[2:3], 0, s[4:5]
	s_or_b64 s[8:9], vcc, s[8:9]
	s_waitcnt vmcnt(0)
	global_store_dword v[4:5], v6, off
	v_lshl_add_u64 v[4:5], v[4:5], 0, s[6:7]
	s_andn2_b64 exec, exec, s[8:9]
	s_cbranch_execnz .LBB2125_19
.LBB2125_20:
	s_endpgm
	.section	.rodata,"a",@progbits
	.p2align	6, 0x0
	.amdhsa_kernel _ZN7rocprim17ROCPRIM_400000_NS6detail30init_device_scan_by_key_kernelINS1_19lookback_scan_stateINS0_5tupleIJ11FixedVectorIiLj8EEbEEELb1ELb0EEEN6thrust23THRUST_200600_302600_NS6detail15normal_iteratorINSA_10device_ptrIjEEEEjNS1_16block_id_wrapperIjLb1EEEEEvT_jjPNSI_10value_typeET0_PNSt15iterator_traitsISL_E10value_typeEmT1_T2_
		.amdhsa_group_segment_fixed_size 0
		.amdhsa_private_segment_fixed_size 0
		.amdhsa_kernarg_size 336
		.amdhsa_user_sgpr_count 2
		.amdhsa_user_sgpr_dispatch_ptr 0
		.amdhsa_user_sgpr_queue_ptr 0
		.amdhsa_user_sgpr_kernarg_segment_ptr 1
		.amdhsa_user_sgpr_dispatch_id 0
		.amdhsa_user_sgpr_kernarg_preload_length 0
		.amdhsa_user_sgpr_kernarg_preload_offset 0
		.amdhsa_user_sgpr_private_segment_size 0
		.amdhsa_uses_dynamic_stack 0
		.amdhsa_enable_private_segment 0
		.amdhsa_system_sgpr_workgroup_id_x 1
		.amdhsa_system_sgpr_workgroup_id_y 0
		.amdhsa_system_sgpr_workgroup_id_z 0
		.amdhsa_system_sgpr_workgroup_info 0
		.amdhsa_system_vgpr_workitem_id 0
		.amdhsa_next_free_vgpr 11
		.amdhsa_next_free_sgpr 24
		.amdhsa_accum_offset 12
		.amdhsa_reserve_vcc 1
		.amdhsa_float_round_mode_32 0
		.amdhsa_float_round_mode_16_64 0
		.amdhsa_float_denorm_mode_32 3
		.amdhsa_float_denorm_mode_16_64 3
		.amdhsa_dx10_clamp 1
		.amdhsa_ieee_mode 1
		.amdhsa_fp16_overflow 0
		.amdhsa_tg_split 0
		.amdhsa_exception_fp_ieee_invalid_op 0
		.amdhsa_exception_fp_denorm_src 0
		.amdhsa_exception_fp_ieee_div_zero 0
		.amdhsa_exception_fp_ieee_overflow 0
		.amdhsa_exception_fp_ieee_underflow 0
		.amdhsa_exception_fp_ieee_inexact 0
		.amdhsa_exception_int_div_zero 0
	.end_amdhsa_kernel
	.section	.text._ZN7rocprim17ROCPRIM_400000_NS6detail30init_device_scan_by_key_kernelINS1_19lookback_scan_stateINS0_5tupleIJ11FixedVectorIiLj8EEbEEELb1ELb0EEEN6thrust23THRUST_200600_302600_NS6detail15normal_iteratorINSA_10device_ptrIjEEEEjNS1_16block_id_wrapperIjLb1EEEEEvT_jjPNSI_10value_typeET0_PNSt15iterator_traitsISL_E10value_typeEmT1_T2_,"axG",@progbits,_ZN7rocprim17ROCPRIM_400000_NS6detail30init_device_scan_by_key_kernelINS1_19lookback_scan_stateINS0_5tupleIJ11FixedVectorIiLj8EEbEEELb1ELb0EEEN6thrust23THRUST_200600_302600_NS6detail15normal_iteratorINSA_10device_ptrIjEEEEjNS1_16block_id_wrapperIjLb1EEEEEvT_jjPNSI_10value_typeET0_PNSt15iterator_traitsISL_E10value_typeEmT1_T2_,comdat
.Lfunc_end2125:
	.size	_ZN7rocprim17ROCPRIM_400000_NS6detail30init_device_scan_by_key_kernelINS1_19lookback_scan_stateINS0_5tupleIJ11FixedVectorIiLj8EEbEEELb1ELb0EEEN6thrust23THRUST_200600_302600_NS6detail15normal_iteratorINSA_10device_ptrIjEEEEjNS1_16block_id_wrapperIjLb1EEEEEvT_jjPNSI_10value_typeET0_PNSt15iterator_traitsISL_E10value_typeEmT1_T2_, .Lfunc_end2125-_ZN7rocprim17ROCPRIM_400000_NS6detail30init_device_scan_by_key_kernelINS1_19lookback_scan_stateINS0_5tupleIJ11FixedVectorIiLj8EEbEEELb1ELb0EEEN6thrust23THRUST_200600_302600_NS6detail15normal_iteratorINSA_10device_ptrIjEEEEjNS1_16block_id_wrapperIjLb1EEEEEvT_jjPNSI_10value_typeET0_PNSt15iterator_traitsISL_E10value_typeEmT1_T2_
                                        ; -- End function
	.section	.AMDGPU.csdata,"",@progbits
; Kernel info:
; codeLenInByte = 656
; NumSgprs: 30
; NumVgprs: 11
; NumAgprs: 0
; TotalNumVgprs: 11
; ScratchSize: 0
; MemoryBound: 0
; FloatMode: 240
; IeeeMode: 1
; LDSByteSize: 0 bytes/workgroup (compile time only)
; SGPRBlocks: 3
; VGPRBlocks: 1
; NumSGPRsForWavesPerEU: 30
; NumVGPRsForWavesPerEU: 11
; AccumOffset: 12
; Occupancy: 8
; WaveLimiterHint : 0
; COMPUTE_PGM_RSRC2:SCRATCH_EN: 0
; COMPUTE_PGM_RSRC2:USER_SGPR: 2
; COMPUTE_PGM_RSRC2:TRAP_HANDLER: 0
; COMPUTE_PGM_RSRC2:TGID_X_EN: 1
; COMPUTE_PGM_RSRC2:TGID_Y_EN: 0
; COMPUTE_PGM_RSRC2:TGID_Z_EN: 0
; COMPUTE_PGM_RSRC2:TIDIG_COMP_CNT: 0
; COMPUTE_PGM_RSRC3_GFX90A:ACCUM_OFFSET: 2
; COMPUTE_PGM_RSRC3_GFX90A:TG_SPLIT: 0
	.section	.text._ZN7rocprim17ROCPRIM_400000_NS6detail30init_device_scan_by_key_kernelINS1_19lookback_scan_stateINS0_5tupleIJ11FixedVectorIiLj8EEbEEELb1ELb0EEENS1_16block_id_wrapperIjLb1EEEEEvT_jjPNSB_10value_typeET0_,"axG",@progbits,_ZN7rocprim17ROCPRIM_400000_NS6detail30init_device_scan_by_key_kernelINS1_19lookback_scan_stateINS0_5tupleIJ11FixedVectorIiLj8EEbEEELb1ELb0EEENS1_16block_id_wrapperIjLb1EEEEEvT_jjPNSB_10value_typeET0_,comdat
	.protected	_ZN7rocprim17ROCPRIM_400000_NS6detail30init_device_scan_by_key_kernelINS1_19lookback_scan_stateINS0_5tupleIJ11FixedVectorIiLj8EEbEEELb1ELb0EEENS1_16block_id_wrapperIjLb1EEEEEvT_jjPNSB_10value_typeET0_ ; -- Begin function _ZN7rocprim17ROCPRIM_400000_NS6detail30init_device_scan_by_key_kernelINS1_19lookback_scan_stateINS0_5tupleIJ11FixedVectorIiLj8EEbEEELb1ELb0EEENS1_16block_id_wrapperIjLb1EEEEEvT_jjPNSB_10value_typeET0_
	.globl	_ZN7rocprim17ROCPRIM_400000_NS6detail30init_device_scan_by_key_kernelINS1_19lookback_scan_stateINS0_5tupleIJ11FixedVectorIiLj8EEbEEELb1ELb0EEENS1_16block_id_wrapperIjLb1EEEEEvT_jjPNSB_10value_typeET0_
	.p2align	8
	.type	_ZN7rocprim17ROCPRIM_400000_NS6detail30init_device_scan_by_key_kernelINS1_19lookback_scan_stateINS0_5tupleIJ11FixedVectorIiLj8EEbEEELb1ELb0EEENS1_16block_id_wrapperIjLb1EEEEEvT_jjPNSB_10value_typeET0_,@function
_ZN7rocprim17ROCPRIM_400000_NS6detail30init_device_scan_by_key_kernelINS1_19lookback_scan_stateINS0_5tupleIJ11FixedVectorIiLj8EEbEEELb1ELb0EEENS1_16block_id_wrapperIjLb1EEEEEvT_jjPNSB_10value_typeET0_: ; @_ZN7rocprim17ROCPRIM_400000_NS6detail30init_device_scan_by_key_kernelINS1_19lookback_scan_stateINS0_5tupleIJ11FixedVectorIiLj8EEbEEELb1ELb0EEENS1_16block_id_wrapperIjLb1EEEEEvT_jjPNSB_10value_typeET0_
; %bb.0:
	s_load_dword s3, s[0:1], 0x3c
	s_load_dwordx8 s[4:11], s[0:1], 0x10
	s_waitcnt lgkmcnt(0)
	s_and_b32 s3, s3, 0xffff
	s_mul_i32 s2, s2, s3
	s_cmp_eq_u64 s[8:9], 0
	v_add_u32_e32 v0, s2, v0
	s_cbranch_scc1 .LBB2126_11
; %bb.1:
	s_cmp_lt_u32 s7, s6
	s_cselect_b32 s2, s7, 0
	v_cmp_eq_u32_e32 vcc, s2, v0
	s_and_saveexec_b64 s[12:13], vcc
	s_cbranch_execz .LBB2126_10
; %bb.2:
	s_add_i32 s7, s7, 64
	v_mov_b32_e32 v1, s7
	global_load_ubyte v1, v1, s[4:5] sc1
	s_load_dwordx4 s[0:3], s[0:1], 0x0
	s_add_u32 s14, s4, s7
	s_addc_u32 s15, s5, 0
	s_waitcnt vmcnt(0)
	v_cmp_ne_u16_e32 vcc, 0, v1
	v_readfirstlane_b32 s16, v1
	s_cbranch_vccz .LBB2126_4
; %bb.3:
	s_and_b32 s14, 0xffff, s16
	s_branch .LBB2126_9
.LBB2126_4:
	s_mov_b32 s16, 1
	v_mov_b32_e32 v1, 0
.LBB2126_5:                             ; =>This Loop Header: Depth=1
                                        ;     Child Loop BB2126_6 Depth 2
	s_max_u32 s17, s16, 1
.LBB2126_6:                             ;   Parent Loop BB2126_5 Depth=1
                                        ; =>  This Inner Loop Header: Depth=2
	s_add_i32 s17, s17, -1
	s_cmp_eq_u32 s17, 0
	s_sleep 1
	s_cbranch_scc0 .LBB2126_6
; %bb.7:                                ;   in Loop: Header=BB2126_5 Depth=1
	global_load_ubyte v2, v1, s[14:15] sc1
	s_cmp_lt_u32 s16, 32
	s_cselect_b64 s[18:19], -1, 0
	s_cmp_lg_u64 s[18:19], 0
	s_addc_u32 s16, s16, 0
	s_waitcnt vmcnt(0)
	v_cmp_ne_u16_e32 vcc, 0, v2
	v_readfirstlane_b32 s17, v2
	s_cbranch_vccz .LBB2126_5
; %bb.8:
	s_and_b32 s14, 0xffff, s17
.LBB2126_9:
	s_cmp_eq_u32 s14, 1
	s_waitcnt lgkmcnt(0)
	s_cselect_b32 s1, s1, s3
	s_cselect_b32 s0, s0, s2
	s_mul_i32 s3, s7, 36
	s_mul_hi_u32 s2, s7, 36
	s_add_u32 s0, s0, s3
	s_addc_u32 s1, s1, s2
	v_mov_b32_e32 v1, 0
	s_waitcnt vmcnt(0)
	global_load_dword v2, v1, s[0:1] sc1
	global_load_dword v3, v1, s[0:1] offset:4 sc1
	global_load_dword v4, v1, s[0:1] offset:8 sc1
	;; [unrolled: 1-line block ×8, first 2 shown]
	s_waitcnt vmcnt(5)
	global_store_dwordx4 v1, v[2:5], s[8:9]
	s_waitcnt vmcnt(2)
	global_store_dwordx4 v1, v[6:9], s[8:9] offset:16
	s_waitcnt vmcnt(2)
	global_store_byte v1, v10, s[8:9] offset:32
.LBB2126_10:
	s_or_b64 exec, exec, s[12:13]
.LBB2126_11:
	v_cmp_eq_u32_e32 vcc, 0, v0
	s_and_saveexec_b64 s[0:1], vcc
	s_cbranch_execnz .LBB2126_15
; %bb.12:
	s_or_b64 exec, exec, s[0:1]
	v_cmp_gt_u32_e32 vcc, s6, v0
	s_and_saveexec_b64 s[0:1], vcc
	s_cbranch_execnz .LBB2126_16
.LBB2126_13:
	s_or_b64 exec, exec, s[0:1]
	v_cmp_gt_u32_e32 vcc, 64, v0
	s_and_saveexec_b64 s[0:1], vcc
	s_cbranch_execnz .LBB2126_17
.LBB2126_14:
	s_endpgm
.LBB2126_15:
	v_mov_b32_e32 v1, 0
	global_store_dword v1, v1, s[10:11]
	s_or_b64 exec, exec, s[0:1]
	v_cmp_gt_u32_e32 vcc, s6, v0
	s_and_saveexec_b64 s[0:1], vcc
	s_cbranch_execz .LBB2126_13
.LBB2126_16:
	v_add_u32_e32 v1, 64, v0
	v_mov_b32_e32 v2, 0
	global_store_byte v1, v2, s[4:5]
	s_or_b64 exec, exec, s[0:1]
	v_cmp_gt_u32_e32 vcc, 64, v0
	s_and_saveexec_b64 s[0:1], vcc
	s_cbranch_execz .LBB2126_14
.LBB2126_17:
	v_mov_b32_e32 v1, 0xff
	global_store_byte v0, v1, s[4:5]
	s_endpgm
	.section	.rodata,"a",@progbits
	.p2align	6, 0x0
	.amdhsa_kernel _ZN7rocprim17ROCPRIM_400000_NS6detail30init_device_scan_by_key_kernelINS1_19lookback_scan_stateINS0_5tupleIJ11FixedVectorIiLj8EEbEEELb1ELb0EEENS1_16block_id_wrapperIjLb1EEEEEvT_jjPNSB_10value_typeET0_
		.amdhsa_group_segment_fixed_size 0
		.amdhsa_private_segment_fixed_size 0
		.amdhsa_kernarg_size 304
		.amdhsa_user_sgpr_count 2
		.amdhsa_user_sgpr_dispatch_ptr 0
		.amdhsa_user_sgpr_queue_ptr 0
		.amdhsa_user_sgpr_kernarg_segment_ptr 1
		.amdhsa_user_sgpr_dispatch_id 0
		.amdhsa_user_sgpr_kernarg_preload_length 0
		.amdhsa_user_sgpr_kernarg_preload_offset 0
		.amdhsa_user_sgpr_private_segment_size 0
		.amdhsa_uses_dynamic_stack 0
		.amdhsa_enable_private_segment 0
		.amdhsa_system_sgpr_workgroup_id_x 1
		.amdhsa_system_sgpr_workgroup_id_y 0
		.amdhsa_system_sgpr_workgroup_id_z 0
		.amdhsa_system_sgpr_workgroup_info 0
		.amdhsa_system_vgpr_workitem_id 0
		.amdhsa_next_free_vgpr 11
		.amdhsa_next_free_sgpr 20
		.amdhsa_accum_offset 12
		.amdhsa_reserve_vcc 1
		.amdhsa_float_round_mode_32 0
		.amdhsa_float_round_mode_16_64 0
		.amdhsa_float_denorm_mode_32 3
		.amdhsa_float_denorm_mode_16_64 3
		.amdhsa_dx10_clamp 1
		.amdhsa_ieee_mode 1
		.amdhsa_fp16_overflow 0
		.amdhsa_tg_split 0
		.amdhsa_exception_fp_ieee_invalid_op 0
		.amdhsa_exception_fp_denorm_src 0
		.amdhsa_exception_fp_ieee_div_zero 0
		.amdhsa_exception_fp_ieee_overflow 0
		.amdhsa_exception_fp_ieee_underflow 0
		.amdhsa_exception_fp_ieee_inexact 0
		.amdhsa_exception_int_div_zero 0
	.end_amdhsa_kernel
	.section	.text._ZN7rocprim17ROCPRIM_400000_NS6detail30init_device_scan_by_key_kernelINS1_19lookback_scan_stateINS0_5tupleIJ11FixedVectorIiLj8EEbEEELb1ELb0EEENS1_16block_id_wrapperIjLb1EEEEEvT_jjPNSB_10value_typeET0_,"axG",@progbits,_ZN7rocprim17ROCPRIM_400000_NS6detail30init_device_scan_by_key_kernelINS1_19lookback_scan_stateINS0_5tupleIJ11FixedVectorIiLj8EEbEEELb1ELb0EEENS1_16block_id_wrapperIjLb1EEEEEvT_jjPNSB_10value_typeET0_,comdat
.Lfunc_end2126:
	.size	_ZN7rocprim17ROCPRIM_400000_NS6detail30init_device_scan_by_key_kernelINS1_19lookback_scan_stateINS0_5tupleIJ11FixedVectorIiLj8EEbEEELb1ELb0EEENS1_16block_id_wrapperIjLb1EEEEEvT_jjPNSB_10value_typeET0_, .Lfunc_end2126-_ZN7rocprim17ROCPRIM_400000_NS6detail30init_device_scan_by_key_kernelINS1_19lookback_scan_stateINS0_5tupleIJ11FixedVectorIiLj8EEbEEELb1ELb0EEENS1_16block_id_wrapperIjLb1EEEEEvT_jjPNSB_10value_typeET0_
                                        ; -- End function
	.section	.AMDGPU.csdata,"",@progbits
; Kernel info:
; codeLenInByte = 480
; NumSgprs: 26
; NumVgprs: 11
; NumAgprs: 0
; TotalNumVgprs: 11
; ScratchSize: 0
; MemoryBound: 0
; FloatMode: 240
; IeeeMode: 1
; LDSByteSize: 0 bytes/workgroup (compile time only)
; SGPRBlocks: 3
; VGPRBlocks: 1
; NumSGPRsForWavesPerEU: 26
; NumVGPRsForWavesPerEU: 11
; AccumOffset: 12
; Occupancy: 8
; WaveLimiterHint : 0
; COMPUTE_PGM_RSRC2:SCRATCH_EN: 0
; COMPUTE_PGM_RSRC2:USER_SGPR: 2
; COMPUTE_PGM_RSRC2:TRAP_HANDLER: 0
; COMPUTE_PGM_RSRC2:TGID_X_EN: 1
; COMPUTE_PGM_RSRC2:TGID_Y_EN: 0
; COMPUTE_PGM_RSRC2:TGID_Z_EN: 0
; COMPUTE_PGM_RSRC2:TIDIG_COMP_CNT: 0
; COMPUTE_PGM_RSRC3_GFX90A:ACCUM_OFFSET: 2
; COMPUTE_PGM_RSRC3_GFX90A:TG_SPLIT: 0
	.section	.text._ZN7rocprim17ROCPRIM_400000_NS6detail17trampoline_kernelINS0_14default_configENS1_27scan_by_key_config_selectorIj11FixedVectorIiLj8EEEEZZNS1_16scan_by_key_implILNS1_25lookback_scan_determinismE0ELb0ES3_N6thrust23THRUST_200600_302600_NS6detail15normal_iteratorINSB_10device_ptrIjEEEENSD_INSE_IS6_EEEESI_S6_NSB_4plusIvEENSB_8equal_toIvEES6_EE10hipError_tPvRmT2_T3_T4_T5_mT6_T7_P12ihipStream_tbENKUlT_T0_E_clISt17integral_constantIbLb1EES13_EEDaSY_SZ_EUlSY_E_NS1_11comp_targetILNS1_3genE0ELNS1_11target_archE4294967295ELNS1_3gpuE0ELNS1_3repE0EEENS1_30default_config_static_selectorELNS0_4arch9wavefront6targetE1EEEvT1_,"axG",@progbits,_ZN7rocprim17ROCPRIM_400000_NS6detail17trampoline_kernelINS0_14default_configENS1_27scan_by_key_config_selectorIj11FixedVectorIiLj8EEEEZZNS1_16scan_by_key_implILNS1_25lookback_scan_determinismE0ELb0ES3_N6thrust23THRUST_200600_302600_NS6detail15normal_iteratorINSB_10device_ptrIjEEEENSD_INSE_IS6_EEEESI_S6_NSB_4plusIvEENSB_8equal_toIvEES6_EE10hipError_tPvRmT2_T3_T4_T5_mT6_T7_P12ihipStream_tbENKUlT_T0_E_clISt17integral_constantIbLb1EES13_EEDaSY_SZ_EUlSY_E_NS1_11comp_targetILNS1_3genE0ELNS1_11target_archE4294967295ELNS1_3gpuE0ELNS1_3repE0EEENS1_30default_config_static_selectorELNS0_4arch9wavefront6targetE1EEEvT1_,comdat
	.protected	_ZN7rocprim17ROCPRIM_400000_NS6detail17trampoline_kernelINS0_14default_configENS1_27scan_by_key_config_selectorIj11FixedVectorIiLj8EEEEZZNS1_16scan_by_key_implILNS1_25lookback_scan_determinismE0ELb0ES3_N6thrust23THRUST_200600_302600_NS6detail15normal_iteratorINSB_10device_ptrIjEEEENSD_INSE_IS6_EEEESI_S6_NSB_4plusIvEENSB_8equal_toIvEES6_EE10hipError_tPvRmT2_T3_T4_T5_mT6_T7_P12ihipStream_tbENKUlT_T0_E_clISt17integral_constantIbLb1EES13_EEDaSY_SZ_EUlSY_E_NS1_11comp_targetILNS1_3genE0ELNS1_11target_archE4294967295ELNS1_3gpuE0ELNS1_3repE0EEENS1_30default_config_static_selectorELNS0_4arch9wavefront6targetE1EEEvT1_ ; -- Begin function _ZN7rocprim17ROCPRIM_400000_NS6detail17trampoline_kernelINS0_14default_configENS1_27scan_by_key_config_selectorIj11FixedVectorIiLj8EEEEZZNS1_16scan_by_key_implILNS1_25lookback_scan_determinismE0ELb0ES3_N6thrust23THRUST_200600_302600_NS6detail15normal_iteratorINSB_10device_ptrIjEEEENSD_INSE_IS6_EEEESI_S6_NSB_4plusIvEENSB_8equal_toIvEES6_EE10hipError_tPvRmT2_T3_T4_T5_mT6_T7_P12ihipStream_tbENKUlT_T0_E_clISt17integral_constantIbLb1EES13_EEDaSY_SZ_EUlSY_E_NS1_11comp_targetILNS1_3genE0ELNS1_11target_archE4294967295ELNS1_3gpuE0ELNS1_3repE0EEENS1_30default_config_static_selectorELNS0_4arch9wavefront6targetE1EEEvT1_
	.globl	_ZN7rocprim17ROCPRIM_400000_NS6detail17trampoline_kernelINS0_14default_configENS1_27scan_by_key_config_selectorIj11FixedVectorIiLj8EEEEZZNS1_16scan_by_key_implILNS1_25lookback_scan_determinismE0ELb0ES3_N6thrust23THRUST_200600_302600_NS6detail15normal_iteratorINSB_10device_ptrIjEEEENSD_INSE_IS6_EEEESI_S6_NSB_4plusIvEENSB_8equal_toIvEES6_EE10hipError_tPvRmT2_T3_T4_T5_mT6_T7_P12ihipStream_tbENKUlT_T0_E_clISt17integral_constantIbLb1EES13_EEDaSY_SZ_EUlSY_E_NS1_11comp_targetILNS1_3genE0ELNS1_11target_archE4294967295ELNS1_3gpuE0ELNS1_3repE0EEENS1_30default_config_static_selectorELNS0_4arch9wavefront6targetE1EEEvT1_
	.p2align	8
	.type	_ZN7rocprim17ROCPRIM_400000_NS6detail17trampoline_kernelINS0_14default_configENS1_27scan_by_key_config_selectorIj11FixedVectorIiLj8EEEEZZNS1_16scan_by_key_implILNS1_25lookback_scan_determinismE0ELb0ES3_N6thrust23THRUST_200600_302600_NS6detail15normal_iteratorINSB_10device_ptrIjEEEENSD_INSE_IS6_EEEESI_S6_NSB_4plusIvEENSB_8equal_toIvEES6_EE10hipError_tPvRmT2_T3_T4_T5_mT6_T7_P12ihipStream_tbENKUlT_T0_E_clISt17integral_constantIbLb1EES13_EEDaSY_SZ_EUlSY_E_NS1_11comp_targetILNS1_3genE0ELNS1_11target_archE4294967295ELNS1_3gpuE0ELNS1_3repE0EEENS1_30default_config_static_selectorELNS0_4arch9wavefront6targetE1EEEvT1_,@function
_ZN7rocprim17ROCPRIM_400000_NS6detail17trampoline_kernelINS0_14default_configENS1_27scan_by_key_config_selectorIj11FixedVectorIiLj8EEEEZZNS1_16scan_by_key_implILNS1_25lookback_scan_determinismE0ELb0ES3_N6thrust23THRUST_200600_302600_NS6detail15normal_iteratorINSB_10device_ptrIjEEEENSD_INSE_IS6_EEEESI_S6_NSB_4plusIvEENSB_8equal_toIvEES6_EE10hipError_tPvRmT2_T3_T4_T5_mT6_T7_P12ihipStream_tbENKUlT_T0_E_clISt17integral_constantIbLb1EES13_EEDaSY_SZ_EUlSY_E_NS1_11comp_targetILNS1_3genE0ELNS1_11target_archE4294967295ELNS1_3gpuE0ELNS1_3repE0EEENS1_30default_config_static_selectorELNS0_4arch9wavefront6targetE1EEEvT1_: ; @_ZN7rocprim17ROCPRIM_400000_NS6detail17trampoline_kernelINS0_14default_configENS1_27scan_by_key_config_selectorIj11FixedVectorIiLj8EEEEZZNS1_16scan_by_key_implILNS1_25lookback_scan_determinismE0ELb0ES3_N6thrust23THRUST_200600_302600_NS6detail15normal_iteratorINSB_10device_ptrIjEEEENSD_INSE_IS6_EEEESI_S6_NSB_4plusIvEENSB_8equal_toIvEES6_EE10hipError_tPvRmT2_T3_T4_T5_mT6_T7_P12ihipStream_tbENKUlT_T0_E_clISt17integral_constantIbLb1EES13_EEDaSY_SZ_EUlSY_E_NS1_11comp_targetILNS1_3genE0ELNS1_11target_archE4294967295ELNS1_3gpuE0ELNS1_3repE0EEENS1_30default_config_static_selectorELNS0_4arch9wavefront6targetE1EEEvT1_
; %bb.0:
	.section	.rodata,"a",@progbits
	.p2align	6, 0x0
	.amdhsa_kernel _ZN7rocprim17ROCPRIM_400000_NS6detail17trampoline_kernelINS0_14default_configENS1_27scan_by_key_config_selectorIj11FixedVectorIiLj8EEEEZZNS1_16scan_by_key_implILNS1_25lookback_scan_determinismE0ELb0ES3_N6thrust23THRUST_200600_302600_NS6detail15normal_iteratorINSB_10device_ptrIjEEEENSD_INSE_IS6_EEEESI_S6_NSB_4plusIvEENSB_8equal_toIvEES6_EE10hipError_tPvRmT2_T3_T4_T5_mT6_T7_P12ihipStream_tbENKUlT_T0_E_clISt17integral_constantIbLb1EES13_EEDaSY_SZ_EUlSY_E_NS1_11comp_targetILNS1_3genE0ELNS1_11target_archE4294967295ELNS1_3gpuE0ELNS1_3repE0EEENS1_30default_config_static_selectorELNS0_4arch9wavefront6targetE1EEEvT1_
		.amdhsa_group_segment_fixed_size 0
		.amdhsa_private_segment_fixed_size 0
		.amdhsa_kernarg_size 160
		.amdhsa_user_sgpr_count 2
		.amdhsa_user_sgpr_dispatch_ptr 0
		.amdhsa_user_sgpr_queue_ptr 0
		.amdhsa_user_sgpr_kernarg_segment_ptr 1
		.amdhsa_user_sgpr_dispatch_id 0
		.amdhsa_user_sgpr_kernarg_preload_length 0
		.amdhsa_user_sgpr_kernarg_preload_offset 0
		.amdhsa_user_sgpr_private_segment_size 0
		.amdhsa_uses_dynamic_stack 0
		.amdhsa_enable_private_segment 0
		.amdhsa_system_sgpr_workgroup_id_x 1
		.amdhsa_system_sgpr_workgroup_id_y 0
		.amdhsa_system_sgpr_workgroup_id_z 0
		.amdhsa_system_sgpr_workgroup_info 0
		.amdhsa_system_vgpr_workitem_id 0
		.amdhsa_next_free_vgpr 1
		.amdhsa_next_free_sgpr 0
		.amdhsa_accum_offset 4
		.amdhsa_reserve_vcc 0
		.amdhsa_float_round_mode_32 0
		.amdhsa_float_round_mode_16_64 0
		.amdhsa_float_denorm_mode_32 3
		.amdhsa_float_denorm_mode_16_64 3
		.amdhsa_dx10_clamp 1
		.amdhsa_ieee_mode 1
		.amdhsa_fp16_overflow 0
		.amdhsa_tg_split 0
		.amdhsa_exception_fp_ieee_invalid_op 0
		.amdhsa_exception_fp_denorm_src 0
		.amdhsa_exception_fp_ieee_div_zero 0
		.amdhsa_exception_fp_ieee_overflow 0
		.amdhsa_exception_fp_ieee_underflow 0
		.amdhsa_exception_fp_ieee_inexact 0
		.amdhsa_exception_int_div_zero 0
	.end_amdhsa_kernel
	.section	.text._ZN7rocprim17ROCPRIM_400000_NS6detail17trampoline_kernelINS0_14default_configENS1_27scan_by_key_config_selectorIj11FixedVectorIiLj8EEEEZZNS1_16scan_by_key_implILNS1_25lookback_scan_determinismE0ELb0ES3_N6thrust23THRUST_200600_302600_NS6detail15normal_iteratorINSB_10device_ptrIjEEEENSD_INSE_IS6_EEEESI_S6_NSB_4plusIvEENSB_8equal_toIvEES6_EE10hipError_tPvRmT2_T3_T4_T5_mT6_T7_P12ihipStream_tbENKUlT_T0_E_clISt17integral_constantIbLb1EES13_EEDaSY_SZ_EUlSY_E_NS1_11comp_targetILNS1_3genE0ELNS1_11target_archE4294967295ELNS1_3gpuE0ELNS1_3repE0EEENS1_30default_config_static_selectorELNS0_4arch9wavefront6targetE1EEEvT1_,"axG",@progbits,_ZN7rocprim17ROCPRIM_400000_NS6detail17trampoline_kernelINS0_14default_configENS1_27scan_by_key_config_selectorIj11FixedVectorIiLj8EEEEZZNS1_16scan_by_key_implILNS1_25lookback_scan_determinismE0ELb0ES3_N6thrust23THRUST_200600_302600_NS6detail15normal_iteratorINSB_10device_ptrIjEEEENSD_INSE_IS6_EEEESI_S6_NSB_4plusIvEENSB_8equal_toIvEES6_EE10hipError_tPvRmT2_T3_T4_T5_mT6_T7_P12ihipStream_tbENKUlT_T0_E_clISt17integral_constantIbLb1EES13_EEDaSY_SZ_EUlSY_E_NS1_11comp_targetILNS1_3genE0ELNS1_11target_archE4294967295ELNS1_3gpuE0ELNS1_3repE0EEENS1_30default_config_static_selectorELNS0_4arch9wavefront6targetE1EEEvT1_,comdat
.Lfunc_end2127:
	.size	_ZN7rocprim17ROCPRIM_400000_NS6detail17trampoline_kernelINS0_14default_configENS1_27scan_by_key_config_selectorIj11FixedVectorIiLj8EEEEZZNS1_16scan_by_key_implILNS1_25lookback_scan_determinismE0ELb0ES3_N6thrust23THRUST_200600_302600_NS6detail15normal_iteratorINSB_10device_ptrIjEEEENSD_INSE_IS6_EEEESI_S6_NSB_4plusIvEENSB_8equal_toIvEES6_EE10hipError_tPvRmT2_T3_T4_T5_mT6_T7_P12ihipStream_tbENKUlT_T0_E_clISt17integral_constantIbLb1EES13_EEDaSY_SZ_EUlSY_E_NS1_11comp_targetILNS1_3genE0ELNS1_11target_archE4294967295ELNS1_3gpuE0ELNS1_3repE0EEENS1_30default_config_static_selectorELNS0_4arch9wavefront6targetE1EEEvT1_, .Lfunc_end2127-_ZN7rocprim17ROCPRIM_400000_NS6detail17trampoline_kernelINS0_14default_configENS1_27scan_by_key_config_selectorIj11FixedVectorIiLj8EEEEZZNS1_16scan_by_key_implILNS1_25lookback_scan_determinismE0ELb0ES3_N6thrust23THRUST_200600_302600_NS6detail15normal_iteratorINSB_10device_ptrIjEEEENSD_INSE_IS6_EEEESI_S6_NSB_4plusIvEENSB_8equal_toIvEES6_EE10hipError_tPvRmT2_T3_T4_T5_mT6_T7_P12ihipStream_tbENKUlT_T0_E_clISt17integral_constantIbLb1EES13_EEDaSY_SZ_EUlSY_E_NS1_11comp_targetILNS1_3genE0ELNS1_11target_archE4294967295ELNS1_3gpuE0ELNS1_3repE0EEENS1_30default_config_static_selectorELNS0_4arch9wavefront6targetE1EEEvT1_
                                        ; -- End function
	.section	.AMDGPU.csdata,"",@progbits
; Kernel info:
; codeLenInByte = 0
; NumSgprs: 6
; NumVgprs: 0
; NumAgprs: 0
; TotalNumVgprs: 0
; ScratchSize: 0
; MemoryBound: 0
; FloatMode: 240
; IeeeMode: 1
; LDSByteSize: 0 bytes/workgroup (compile time only)
; SGPRBlocks: 0
; VGPRBlocks: 0
; NumSGPRsForWavesPerEU: 6
; NumVGPRsForWavesPerEU: 1
; AccumOffset: 4
; Occupancy: 8
; WaveLimiterHint : 0
; COMPUTE_PGM_RSRC2:SCRATCH_EN: 0
; COMPUTE_PGM_RSRC2:USER_SGPR: 2
; COMPUTE_PGM_RSRC2:TRAP_HANDLER: 0
; COMPUTE_PGM_RSRC2:TGID_X_EN: 1
; COMPUTE_PGM_RSRC2:TGID_Y_EN: 0
; COMPUTE_PGM_RSRC2:TGID_Z_EN: 0
; COMPUTE_PGM_RSRC2:TIDIG_COMP_CNT: 0
; COMPUTE_PGM_RSRC3_GFX90A:ACCUM_OFFSET: 0
; COMPUTE_PGM_RSRC3_GFX90A:TG_SPLIT: 0
	.section	.text._ZN7rocprim17ROCPRIM_400000_NS6detail17trampoline_kernelINS0_14default_configENS1_27scan_by_key_config_selectorIj11FixedVectorIiLj8EEEEZZNS1_16scan_by_key_implILNS1_25lookback_scan_determinismE0ELb0ES3_N6thrust23THRUST_200600_302600_NS6detail15normal_iteratorINSB_10device_ptrIjEEEENSD_INSE_IS6_EEEESI_S6_NSB_4plusIvEENSB_8equal_toIvEES6_EE10hipError_tPvRmT2_T3_T4_T5_mT6_T7_P12ihipStream_tbENKUlT_T0_E_clISt17integral_constantIbLb1EES13_EEDaSY_SZ_EUlSY_E_NS1_11comp_targetILNS1_3genE10ELNS1_11target_archE1201ELNS1_3gpuE5ELNS1_3repE0EEENS1_30default_config_static_selectorELNS0_4arch9wavefront6targetE1EEEvT1_,"axG",@progbits,_ZN7rocprim17ROCPRIM_400000_NS6detail17trampoline_kernelINS0_14default_configENS1_27scan_by_key_config_selectorIj11FixedVectorIiLj8EEEEZZNS1_16scan_by_key_implILNS1_25lookback_scan_determinismE0ELb0ES3_N6thrust23THRUST_200600_302600_NS6detail15normal_iteratorINSB_10device_ptrIjEEEENSD_INSE_IS6_EEEESI_S6_NSB_4plusIvEENSB_8equal_toIvEES6_EE10hipError_tPvRmT2_T3_T4_T5_mT6_T7_P12ihipStream_tbENKUlT_T0_E_clISt17integral_constantIbLb1EES13_EEDaSY_SZ_EUlSY_E_NS1_11comp_targetILNS1_3genE10ELNS1_11target_archE1201ELNS1_3gpuE5ELNS1_3repE0EEENS1_30default_config_static_selectorELNS0_4arch9wavefront6targetE1EEEvT1_,comdat
	.protected	_ZN7rocprim17ROCPRIM_400000_NS6detail17trampoline_kernelINS0_14default_configENS1_27scan_by_key_config_selectorIj11FixedVectorIiLj8EEEEZZNS1_16scan_by_key_implILNS1_25lookback_scan_determinismE0ELb0ES3_N6thrust23THRUST_200600_302600_NS6detail15normal_iteratorINSB_10device_ptrIjEEEENSD_INSE_IS6_EEEESI_S6_NSB_4plusIvEENSB_8equal_toIvEES6_EE10hipError_tPvRmT2_T3_T4_T5_mT6_T7_P12ihipStream_tbENKUlT_T0_E_clISt17integral_constantIbLb1EES13_EEDaSY_SZ_EUlSY_E_NS1_11comp_targetILNS1_3genE10ELNS1_11target_archE1201ELNS1_3gpuE5ELNS1_3repE0EEENS1_30default_config_static_selectorELNS0_4arch9wavefront6targetE1EEEvT1_ ; -- Begin function _ZN7rocprim17ROCPRIM_400000_NS6detail17trampoline_kernelINS0_14default_configENS1_27scan_by_key_config_selectorIj11FixedVectorIiLj8EEEEZZNS1_16scan_by_key_implILNS1_25lookback_scan_determinismE0ELb0ES3_N6thrust23THRUST_200600_302600_NS6detail15normal_iteratorINSB_10device_ptrIjEEEENSD_INSE_IS6_EEEESI_S6_NSB_4plusIvEENSB_8equal_toIvEES6_EE10hipError_tPvRmT2_T3_T4_T5_mT6_T7_P12ihipStream_tbENKUlT_T0_E_clISt17integral_constantIbLb1EES13_EEDaSY_SZ_EUlSY_E_NS1_11comp_targetILNS1_3genE10ELNS1_11target_archE1201ELNS1_3gpuE5ELNS1_3repE0EEENS1_30default_config_static_selectorELNS0_4arch9wavefront6targetE1EEEvT1_
	.globl	_ZN7rocprim17ROCPRIM_400000_NS6detail17trampoline_kernelINS0_14default_configENS1_27scan_by_key_config_selectorIj11FixedVectorIiLj8EEEEZZNS1_16scan_by_key_implILNS1_25lookback_scan_determinismE0ELb0ES3_N6thrust23THRUST_200600_302600_NS6detail15normal_iteratorINSB_10device_ptrIjEEEENSD_INSE_IS6_EEEESI_S6_NSB_4plusIvEENSB_8equal_toIvEES6_EE10hipError_tPvRmT2_T3_T4_T5_mT6_T7_P12ihipStream_tbENKUlT_T0_E_clISt17integral_constantIbLb1EES13_EEDaSY_SZ_EUlSY_E_NS1_11comp_targetILNS1_3genE10ELNS1_11target_archE1201ELNS1_3gpuE5ELNS1_3repE0EEENS1_30default_config_static_selectorELNS0_4arch9wavefront6targetE1EEEvT1_
	.p2align	8
	.type	_ZN7rocprim17ROCPRIM_400000_NS6detail17trampoline_kernelINS0_14default_configENS1_27scan_by_key_config_selectorIj11FixedVectorIiLj8EEEEZZNS1_16scan_by_key_implILNS1_25lookback_scan_determinismE0ELb0ES3_N6thrust23THRUST_200600_302600_NS6detail15normal_iteratorINSB_10device_ptrIjEEEENSD_INSE_IS6_EEEESI_S6_NSB_4plusIvEENSB_8equal_toIvEES6_EE10hipError_tPvRmT2_T3_T4_T5_mT6_T7_P12ihipStream_tbENKUlT_T0_E_clISt17integral_constantIbLb1EES13_EEDaSY_SZ_EUlSY_E_NS1_11comp_targetILNS1_3genE10ELNS1_11target_archE1201ELNS1_3gpuE5ELNS1_3repE0EEENS1_30default_config_static_selectorELNS0_4arch9wavefront6targetE1EEEvT1_,@function
_ZN7rocprim17ROCPRIM_400000_NS6detail17trampoline_kernelINS0_14default_configENS1_27scan_by_key_config_selectorIj11FixedVectorIiLj8EEEEZZNS1_16scan_by_key_implILNS1_25lookback_scan_determinismE0ELb0ES3_N6thrust23THRUST_200600_302600_NS6detail15normal_iteratorINSB_10device_ptrIjEEEENSD_INSE_IS6_EEEESI_S6_NSB_4plusIvEENSB_8equal_toIvEES6_EE10hipError_tPvRmT2_T3_T4_T5_mT6_T7_P12ihipStream_tbENKUlT_T0_E_clISt17integral_constantIbLb1EES13_EEDaSY_SZ_EUlSY_E_NS1_11comp_targetILNS1_3genE10ELNS1_11target_archE1201ELNS1_3gpuE5ELNS1_3repE0EEENS1_30default_config_static_selectorELNS0_4arch9wavefront6targetE1EEEvT1_: ; @_ZN7rocprim17ROCPRIM_400000_NS6detail17trampoline_kernelINS0_14default_configENS1_27scan_by_key_config_selectorIj11FixedVectorIiLj8EEEEZZNS1_16scan_by_key_implILNS1_25lookback_scan_determinismE0ELb0ES3_N6thrust23THRUST_200600_302600_NS6detail15normal_iteratorINSB_10device_ptrIjEEEENSD_INSE_IS6_EEEESI_S6_NSB_4plusIvEENSB_8equal_toIvEES6_EE10hipError_tPvRmT2_T3_T4_T5_mT6_T7_P12ihipStream_tbENKUlT_T0_E_clISt17integral_constantIbLb1EES13_EEDaSY_SZ_EUlSY_E_NS1_11comp_targetILNS1_3genE10ELNS1_11target_archE1201ELNS1_3gpuE5ELNS1_3repE0EEENS1_30default_config_static_selectorELNS0_4arch9wavefront6targetE1EEEvT1_
; %bb.0:
	.section	.rodata,"a",@progbits
	.p2align	6, 0x0
	.amdhsa_kernel _ZN7rocprim17ROCPRIM_400000_NS6detail17trampoline_kernelINS0_14default_configENS1_27scan_by_key_config_selectorIj11FixedVectorIiLj8EEEEZZNS1_16scan_by_key_implILNS1_25lookback_scan_determinismE0ELb0ES3_N6thrust23THRUST_200600_302600_NS6detail15normal_iteratorINSB_10device_ptrIjEEEENSD_INSE_IS6_EEEESI_S6_NSB_4plusIvEENSB_8equal_toIvEES6_EE10hipError_tPvRmT2_T3_T4_T5_mT6_T7_P12ihipStream_tbENKUlT_T0_E_clISt17integral_constantIbLb1EES13_EEDaSY_SZ_EUlSY_E_NS1_11comp_targetILNS1_3genE10ELNS1_11target_archE1201ELNS1_3gpuE5ELNS1_3repE0EEENS1_30default_config_static_selectorELNS0_4arch9wavefront6targetE1EEEvT1_
		.amdhsa_group_segment_fixed_size 0
		.amdhsa_private_segment_fixed_size 0
		.amdhsa_kernarg_size 160
		.amdhsa_user_sgpr_count 2
		.amdhsa_user_sgpr_dispatch_ptr 0
		.amdhsa_user_sgpr_queue_ptr 0
		.amdhsa_user_sgpr_kernarg_segment_ptr 1
		.amdhsa_user_sgpr_dispatch_id 0
		.amdhsa_user_sgpr_kernarg_preload_length 0
		.amdhsa_user_sgpr_kernarg_preload_offset 0
		.amdhsa_user_sgpr_private_segment_size 0
		.amdhsa_uses_dynamic_stack 0
		.amdhsa_enable_private_segment 0
		.amdhsa_system_sgpr_workgroup_id_x 1
		.amdhsa_system_sgpr_workgroup_id_y 0
		.amdhsa_system_sgpr_workgroup_id_z 0
		.amdhsa_system_sgpr_workgroup_info 0
		.amdhsa_system_vgpr_workitem_id 0
		.amdhsa_next_free_vgpr 1
		.amdhsa_next_free_sgpr 0
		.amdhsa_accum_offset 4
		.amdhsa_reserve_vcc 0
		.amdhsa_float_round_mode_32 0
		.amdhsa_float_round_mode_16_64 0
		.amdhsa_float_denorm_mode_32 3
		.amdhsa_float_denorm_mode_16_64 3
		.amdhsa_dx10_clamp 1
		.amdhsa_ieee_mode 1
		.amdhsa_fp16_overflow 0
		.amdhsa_tg_split 0
		.amdhsa_exception_fp_ieee_invalid_op 0
		.amdhsa_exception_fp_denorm_src 0
		.amdhsa_exception_fp_ieee_div_zero 0
		.amdhsa_exception_fp_ieee_overflow 0
		.amdhsa_exception_fp_ieee_underflow 0
		.amdhsa_exception_fp_ieee_inexact 0
		.amdhsa_exception_int_div_zero 0
	.end_amdhsa_kernel
	.section	.text._ZN7rocprim17ROCPRIM_400000_NS6detail17trampoline_kernelINS0_14default_configENS1_27scan_by_key_config_selectorIj11FixedVectorIiLj8EEEEZZNS1_16scan_by_key_implILNS1_25lookback_scan_determinismE0ELb0ES3_N6thrust23THRUST_200600_302600_NS6detail15normal_iteratorINSB_10device_ptrIjEEEENSD_INSE_IS6_EEEESI_S6_NSB_4plusIvEENSB_8equal_toIvEES6_EE10hipError_tPvRmT2_T3_T4_T5_mT6_T7_P12ihipStream_tbENKUlT_T0_E_clISt17integral_constantIbLb1EES13_EEDaSY_SZ_EUlSY_E_NS1_11comp_targetILNS1_3genE10ELNS1_11target_archE1201ELNS1_3gpuE5ELNS1_3repE0EEENS1_30default_config_static_selectorELNS0_4arch9wavefront6targetE1EEEvT1_,"axG",@progbits,_ZN7rocprim17ROCPRIM_400000_NS6detail17trampoline_kernelINS0_14default_configENS1_27scan_by_key_config_selectorIj11FixedVectorIiLj8EEEEZZNS1_16scan_by_key_implILNS1_25lookback_scan_determinismE0ELb0ES3_N6thrust23THRUST_200600_302600_NS6detail15normal_iteratorINSB_10device_ptrIjEEEENSD_INSE_IS6_EEEESI_S6_NSB_4plusIvEENSB_8equal_toIvEES6_EE10hipError_tPvRmT2_T3_T4_T5_mT6_T7_P12ihipStream_tbENKUlT_T0_E_clISt17integral_constantIbLb1EES13_EEDaSY_SZ_EUlSY_E_NS1_11comp_targetILNS1_3genE10ELNS1_11target_archE1201ELNS1_3gpuE5ELNS1_3repE0EEENS1_30default_config_static_selectorELNS0_4arch9wavefront6targetE1EEEvT1_,comdat
.Lfunc_end2128:
	.size	_ZN7rocprim17ROCPRIM_400000_NS6detail17trampoline_kernelINS0_14default_configENS1_27scan_by_key_config_selectorIj11FixedVectorIiLj8EEEEZZNS1_16scan_by_key_implILNS1_25lookback_scan_determinismE0ELb0ES3_N6thrust23THRUST_200600_302600_NS6detail15normal_iteratorINSB_10device_ptrIjEEEENSD_INSE_IS6_EEEESI_S6_NSB_4plusIvEENSB_8equal_toIvEES6_EE10hipError_tPvRmT2_T3_T4_T5_mT6_T7_P12ihipStream_tbENKUlT_T0_E_clISt17integral_constantIbLb1EES13_EEDaSY_SZ_EUlSY_E_NS1_11comp_targetILNS1_3genE10ELNS1_11target_archE1201ELNS1_3gpuE5ELNS1_3repE0EEENS1_30default_config_static_selectorELNS0_4arch9wavefront6targetE1EEEvT1_, .Lfunc_end2128-_ZN7rocprim17ROCPRIM_400000_NS6detail17trampoline_kernelINS0_14default_configENS1_27scan_by_key_config_selectorIj11FixedVectorIiLj8EEEEZZNS1_16scan_by_key_implILNS1_25lookback_scan_determinismE0ELb0ES3_N6thrust23THRUST_200600_302600_NS6detail15normal_iteratorINSB_10device_ptrIjEEEENSD_INSE_IS6_EEEESI_S6_NSB_4plusIvEENSB_8equal_toIvEES6_EE10hipError_tPvRmT2_T3_T4_T5_mT6_T7_P12ihipStream_tbENKUlT_T0_E_clISt17integral_constantIbLb1EES13_EEDaSY_SZ_EUlSY_E_NS1_11comp_targetILNS1_3genE10ELNS1_11target_archE1201ELNS1_3gpuE5ELNS1_3repE0EEENS1_30default_config_static_selectorELNS0_4arch9wavefront6targetE1EEEvT1_
                                        ; -- End function
	.section	.AMDGPU.csdata,"",@progbits
; Kernel info:
; codeLenInByte = 0
; NumSgprs: 6
; NumVgprs: 0
; NumAgprs: 0
; TotalNumVgprs: 0
; ScratchSize: 0
; MemoryBound: 0
; FloatMode: 240
; IeeeMode: 1
; LDSByteSize: 0 bytes/workgroup (compile time only)
; SGPRBlocks: 0
; VGPRBlocks: 0
; NumSGPRsForWavesPerEU: 6
; NumVGPRsForWavesPerEU: 1
; AccumOffset: 4
; Occupancy: 8
; WaveLimiterHint : 0
; COMPUTE_PGM_RSRC2:SCRATCH_EN: 0
; COMPUTE_PGM_RSRC2:USER_SGPR: 2
; COMPUTE_PGM_RSRC2:TRAP_HANDLER: 0
; COMPUTE_PGM_RSRC2:TGID_X_EN: 1
; COMPUTE_PGM_RSRC2:TGID_Y_EN: 0
; COMPUTE_PGM_RSRC2:TGID_Z_EN: 0
; COMPUTE_PGM_RSRC2:TIDIG_COMP_CNT: 0
; COMPUTE_PGM_RSRC3_GFX90A:ACCUM_OFFSET: 0
; COMPUTE_PGM_RSRC3_GFX90A:TG_SPLIT: 0
	.section	.text._ZN7rocprim17ROCPRIM_400000_NS6detail17trampoline_kernelINS0_14default_configENS1_27scan_by_key_config_selectorIj11FixedVectorIiLj8EEEEZZNS1_16scan_by_key_implILNS1_25lookback_scan_determinismE0ELb0ES3_N6thrust23THRUST_200600_302600_NS6detail15normal_iteratorINSB_10device_ptrIjEEEENSD_INSE_IS6_EEEESI_S6_NSB_4plusIvEENSB_8equal_toIvEES6_EE10hipError_tPvRmT2_T3_T4_T5_mT6_T7_P12ihipStream_tbENKUlT_T0_E_clISt17integral_constantIbLb1EES13_EEDaSY_SZ_EUlSY_E_NS1_11comp_targetILNS1_3genE5ELNS1_11target_archE942ELNS1_3gpuE9ELNS1_3repE0EEENS1_30default_config_static_selectorELNS0_4arch9wavefront6targetE1EEEvT1_,"axG",@progbits,_ZN7rocprim17ROCPRIM_400000_NS6detail17trampoline_kernelINS0_14default_configENS1_27scan_by_key_config_selectorIj11FixedVectorIiLj8EEEEZZNS1_16scan_by_key_implILNS1_25lookback_scan_determinismE0ELb0ES3_N6thrust23THRUST_200600_302600_NS6detail15normal_iteratorINSB_10device_ptrIjEEEENSD_INSE_IS6_EEEESI_S6_NSB_4plusIvEENSB_8equal_toIvEES6_EE10hipError_tPvRmT2_T3_T4_T5_mT6_T7_P12ihipStream_tbENKUlT_T0_E_clISt17integral_constantIbLb1EES13_EEDaSY_SZ_EUlSY_E_NS1_11comp_targetILNS1_3genE5ELNS1_11target_archE942ELNS1_3gpuE9ELNS1_3repE0EEENS1_30default_config_static_selectorELNS0_4arch9wavefront6targetE1EEEvT1_,comdat
	.protected	_ZN7rocprim17ROCPRIM_400000_NS6detail17trampoline_kernelINS0_14default_configENS1_27scan_by_key_config_selectorIj11FixedVectorIiLj8EEEEZZNS1_16scan_by_key_implILNS1_25lookback_scan_determinismE0ELb0ES3_N6thrust23THRUST_200600_302600_NS6detail15normal_iteratorINSB_10device_ptrIjEEEENSD_INSE_IS6_EEEESI_S6_NSB_4plusIvEENSB_8equal_toIvEES6_EE10hipError_tPvRmT2_T3_T4_T5_mT6_T7_P12ihipStream_tbENKUlT_T0_E_clISt17integral_constantIbLb1EES13_EEDaSY_SZ_EUlSY_E_NS1_11comp_targetILNS1_3genE5ELNS1_11target_archE942ELNS1_3gpuE9ELNS1_3repE0EEENS1_30default_config_static_selectorELNS0_4arch9wavefront6targetE1EEEvT1_ ; -- Begin function _ZN7rocprim17ROCPRIM_400000_NS6detail17trampoline_kernelINS0_14default_configENS1_27scan_by_key_config_selectorIj11FixedVectorIiLj8EEEEZZNS1_16scan_by_key_implILNS1_25lookback_scan_determinismE0ELb0ES3_N6thrust23THRUST_200600_302600_NS6detail15normal_iteratorINSB_10device_ptrIjEEEENSD_INSE_IS6_EEEESI_S6_NSB_4plusIvEENSB_8equal_toIvEES6_EE10hipError_tPvRmT2_T3_T4_T5_mT6_T7_P12ihipStream_tbENKUlT_T0_E_clISt17integral_constantIbLb1EES13_EEDaSY_SZ_EUlSY_E_NS1_11comp_targetILNS1_3genE5ELNS1_11target_archE942ELNS1_3gpuE9ELNS1_3repE0EEENS1_30default_config_static_selectorELNS0_4arch9wavefront6targetE1EEEvT1_
	.globl	_ZN7rocprim17ROCPRIM_400000_NS6detail17trampoline_kernelINS0_14default_configENS1_27scan_by_key_config_selectorIj11FixedVectorIiLj8EEEEZZNS1_16scan_by_key_implILNS1_25lookback_scan_determinismE0ELb0ES3_N6thrust23THRUST_200600_302600_NS6detail15normal_iteratorINSB_10device_ptrIjEEEENSD_INSE_IS6_EEEESI_S6_NSB_4plusIvEENSB_8equal_toIvEES6_EE10hipError_tPvRmT2_T3_T4_T5_mT6_T7_P12ihipStream_tbENKUlT_T0_E_clISt17integral_constantIbLb1EES13_EEDaSY_SZ_EUlSY_E_NS1_11comp_targetILNS1_3genE5ELNS1_11target_archE942ELNS1_3gpuE9ELNS1_3repE0EEENS1_30default_config_static_selectorELNS0_4arch9wavefront6targetE1EEEvT1_
	.p2align	8
	.type	_ZN7rocprim17ROCPRIM_400000_NS6detail17trampoline_kernelINS0_14default_configENS1_27scan_by_key_config_selectorIj11FixedVectorIiLj8EEEEZZNS1_16scan_by_key_implILNS1_25lookback_scan_determinismE0ELb0ES3_N6thrust23THRUST_200600_302600_NS6detail15normal_iteratorINSB_10device_ptrIjEEEENSD_INSE_IS6_EEEESI_S6_NSB_4plusIvEENSB_8equal_toIvEES6_EE10hipError_tPvRmT2_T3_T4_T5_mT6_T7_P12ihipStream_tbENKUlT_T0_E_clISt17integral_constantIbLb1EES13_EEDaSY_SZ_EUlSY_E_NS1_11comp_targetILNS1_3genE5ELNS1_11target_archE942ELNS1_3gpuE9ELNS1_3repE0EEENS1_30default_config_static_selectorELNS0_4arch9wavefront6targetE1EEEvT1_,@function
_ZN7rocprim17ROCPRIM_400000_NS6detail17trampoline_kernelINS0_14default_configENS1_27scan_by_key_config_selectorIj11FixedVectorIiLj8EEEEZZNS1_16scan_by_key_implILNS1_25lookback_scan_determinismE0ELb0ES3_N6thrust23THRUST_200600_302600_NS6detail15normal_iteratorINSB_10device_ptrIjEEEENSD_INSE_IS6_EEEESI_S6_NSB_4plusIvEENSB_8equal_toIvEES6_EE10hipError_tPvRmT2_T3_T4_T5_mT6_T7_P12ihipStream_tbENKUlT_T0_E_clISt17integral_constantIbLb1EES13_EEDaSY_SZ_EUlSY_E_NS1_11comp_targetILNS1_3genE5ELNS1_11target_archE942ELNS1_3gpuE9ELNS1_3repE0EEENS1_30default_config_static_selectorELNS0_4arch9wavefront6targetE1EEEvT1_: ; @_ZN7rocprim17ROCPRIM_400000_NS6detail17trampoline_kernelINS0_14default_configENS1_27scan_by_key_config_selectorIj11FixedVectorIiLj8EEEEZZNS1_16scan_by_key_implILNS1_25lookback_scan_determinismE0ELb0ES3_N6thrust23THRUST_200600_302600_NS6detail15normal_iteratorINSB_10device_ptrIjEEEENSD_INSE_IS6_EEEESI_S6_NSB_4plusIvEENSB_8equal_toIvEES6_EE10hipError_tPvRmT2_T3_T4_T5_mT6_T7_P12ihipStream_tbENKUlT_T0_E_clISt17integral_constantIbLb1EES13_EEDaSY_SZ_EUlSY_E_NS1_11comp_targetILNS1_3genE5ELNS1_11target_archE942ELNS1_3gpuE9ELNS1_3repE0EEENS1_30default_config_static_selectorELNS0_4arch9wavefront6targetE1EEEvT1_
; %bb.0:
	s_load_dwordx2 s[40:41], s[2:3], 0x68
	s_load_dwordx8 s[16:23], s[2:3], 0x48
	v_and_b32_e32 v16, 0x3ff, v0
	v_cmp_ne_u32_e64 s[4:5], 0, v16
	v_cmp_eq_u32_e64 s[6:7], 0, v16
	s_and_saveexec_b64 s[8:9], s[6:7]
	s_cbranch_execz .LBB2129_4
; %bb.1:
	s_mov_b64 s[12:13], exec
	v_mbcnt_lo_u32_b32 v1, s12, 0
	v_mbcnt_hi_u32_b32 v1, s13, v1
	v_cmp_eq_u32_e32 vcc, 0, v1
                                        ; implicit-def: $vgpr2
	s_and_saveexec_b64 s[10:11], vcc
	s_cbranch_execz .LBB2129_3
; %bb.2:
	s_load_dwordx2 s[14:15], s[2:3], 0x98
	s_bcnt1_i32_b64 s12, s[12:13]
	v_mov_b32_e32 v2, 0
	v_mov_b32_e32 v3, s12
	s_waitcnt lgkmcnt(0)
	global_atomic_add v2, v2, v3, s[14:15] sc0
.LBB2129_3:
	s_or_b64 exec, exec, s[10:11]
	s_waitcnt vmcnt(0)
	v_readfirstlane_b32 s10, v2
	v_mov_b32_e32 v2, 0
	s_nop 0
	v_add_u32_e32 v1, s10, v1
	ds_write_b32 v2, v1
.LBB2129_4:
	s_or_b64 exec, exec, s[8:9]
	v_mov_b32_e32 v2, 0
	s_load_dwordx8 s[8:15], s[2:3], 0x0
	s_load_dword s42, s[2:3], 0x70
	s_load_dwordx8 s[24:31], s[2:3], 0x78
	s_waitcnt lgkmcnt(0)
	s_barrier
	ds_read_b32 v1, v2
	s_mov_b32 s36, 0
	s_mov_b32 s37, s36
	;; [unrolled: 1-line block ×4, first 2 shown]
	v_mov_b64_e32 v[4:5], s[36:37]
	s_waitcnt lgkmcnt(0)
	v_readfirstlane_b32 s51, v1
	v_mov_b64_e32 v[6:7], s[38:39]
	v_mov_b32_e32 v3, v2
	s_barrier
	s_barrier
	scratch_store_dword off, v2, off offset:320
	scratch_store_dwordx4 off, v[4:7], off offset:304
	scratch_store_dwordx4 off, v[4:7], off offset:288
.LBB2129_5:                             ; =>This Inner Loop Header: Depth=1
	s_add_i32 s2, s36, 0x120
	s_add_i32 s36, s36, 8
	s_cmp_lg_u32 s36, 32
	scratch_store_dwordx2 off, v[2:3], s2
	s_cbranch_scc1 .LBB2129_5
; %bb.6:
	s_mov_b32 s36, 0
	s_mov_b32 s37, s36
	v_mov_b32_e32 v2, 0
	s_mov_b32 s38, s36
	s_mov_b32 s39, s36
	v_mov_b64_e32 v[4:5], s[36:37]
	s_mov_b32 s2, 36
	s_add_i32 s23, 0x120, 36
	v_mov_b64_e32 v[6:7], s[38:39]
	v_mov_b32_e32 v3, v2
	scratch_store_byte off, v2, off offset:320
	scratch_store_dword off, v2, off offset:356
	scratch_store_dwordx4 off, v[4:7], off offset:324
	scratch_store_dwordx4 off, v[4:7], off offset:340
.LBB2129_7:                             ; =>This Inner Loop Header: Depth=1
	s_add_i32 s3, s2, 0x120
	s_add_i32 s2, s2, 8
	s_cmpk_lg_i32 s2, 0x44
	scratch_store_dwordx2 off, v[2:3], s3
	s_cbranch_scc1 .LBB2129_7
; %bb.8:
	s_mov_b32 s36, 0
	s_mov_b32 s37, s36
	v_mov_b32_e32 v2, 0
	s_movk_i32 s33, 0x120
	s_mov_b32 s38, s36
	s_mov_b32 s39, s36
	v_mov_b64_e32 v[4:5], s[36:37]
	s_movk_i32 s2, 0x48
	s_addk_i32 s33, 0x48
	v_mov_b64_e32 v[6:7], s[38:39]
	v_mov_b32_e32 v3, v2
	scratch_store_byte off, v2, off offset:356
	scratch_store_dword off, v2, off offset:392
	scratch_store_dwordx4 off, v[4:7], off offset:360
	scratch_store_dwordx4 off, v[4:7], off offset:376
.LBB2129_9:                             ; =>This Inner Loop Header: Depth=1
	s_add_i32 s3, s2, 0x120
	s_add_i32 s2, s2, 8
	s_cmpk_lg_i32 s2, 0x68
	scratch_store_dwordx2 off, v[2:3], s3
	s_cbranch_scc1 .LBB2129_9
; %bb.10:
	v_mov_b32_e32 v2, 0
	s_mov_b32 s2, 0
	v_mov_b32_e32 v3, v2
	scratch_store_byte off, v2, off offset:392
.LBB2129_11:                            ; =>This Inner Loop Header: Depth=1
	s_add_i32 s3, s2, 0x70
	s_add_i32 s2, s2, 8
	s_cmp_lg_u32 s2, 32
	scratch_store_dwordx2 off, v[2:3], s3
	s_cbranch_scc1 .LBB2129_11
; %bb.12:
	v_mov_b32_e32 v2, 0
	s_mov_b32 s2, 32
	v_mov_b32_e32 v3, v2
.LBB2129_13:                            ; =>This Inner Loop Header: Depth=1
	s_add_i32 s3, s2, 0x70
	s_add_i32 s2, s2, 8
	s_cmp_lg_u32 s2, 64
	scratch_store_dwordx2 off, v[2:3], s3
	s_cbranch_scc1 .LBB2129_13
; %bb.14:
	v_mov_b32_e32 v2, 0
	s_mov_b32 s2, 64
	v_mov_b32_e32 v3, v2
.LBB2129_15:                            ; =>This Inner Loop Header: Depth=1
	s_add_i32 s3, s2, 0x70
	s_add_i32 s2, s2, 8
	s_cmpk_lg_i32 s2, 0x60
	scratch_store_dwordx2 off, v[2:3], s3
	s_cbranch_scc1 .LBB2129_15
; %bb.16:
	s_lshl_b64 s[2:3], s[10:11], 2
	s_add_u32 s36, s8, s2
	s_addc_u32 s37, s9, s3
	s_lshl_b64 s[34:35], s[10:11], 5
	s_add_u32 s10, s12, s34
	s_mul_i32 s2, s41, s42
	s_mul_hi_u32 s3, s40, s42
	s_addc_u32 s11, s13, s35
	s_add_i32 s12, s3, s2
	s_cmp_lg_u64 s[28:29], 0
	s_mul_i32 s2, s51, 0x300
	s_mov_b32 s3, 0
	s_mul_i32 s13, s40, s42
	s_cselect_b64 s[42:43], -1, 0
	s_lshl_b64 s[8:9], s[2:3], 2
	s_add_u32 s38, s36, s8
	s_addc_u32 s39, s37, s9
	s_lshl_b64 s[36:37], s[2:3], 5
	s_add_u32 s28, s10, s36
	s_addc_u32 s29, s11, s37
	s_add_u32 s44, s13, s51
	s_addc_u32 s45, s12, 0
	s_add_u32 s8, s24, -1
	v_mov_b32_e32 v2, 0x70
	s_addc_u32 s9, s25, -1
	v_add_u32_e32 v1, 64, v2
	v_add_u32_e32 v4, 32, v2
	v_mov_b64_e32 v[2:3], s[8:9]
	v_cmp_ge_u64_e64 s[2:3], s[44:45], v[2:3]
	s_mov_b64 s[46:47], 0
	s_mov_b64 s[10:11], -1
	s_and_b64 vcc, exec, s[2:3]
	s_mul_i32 s50, s8, 0xfffffd00
                                        ; implicit-def: $sgpr8_sgpr9
	s_cbranch_vccnz .LBB2129_299
; %bb.17:
	s_and_b64 vcc, exec, s[10:11]
	s_cbranch_vccnz .LBB2129_322
.LBB2129_18:
	s_and_saveexec_b64 s[10:11], s[46:47]
	s_cbranch_execz .LBB2129_20
.LBB2129_19:
	scratch_load_dwordx4 v[2:5], v1, off
	scratch_load_dwordx4 v[6:9], v1, off offset:16
	v_cndmask_b32_e64 v1, 0, 1, s[8:9]
	s_waitcnt vmcnt(1)
	scratch_store_dwordx4 off, v[2:5], s33
	s_waitcnt vmcnt(1)
	scratch_store_dwordx4 off, v[6:9], s33 offset:16
	scratch_store_byte off, v1, off offset:392
.LBB2129_20:
	s_or_b64 exec, exec, s[10:11]
	s_cmp_lg_u32 s51, 0
	s_mov_b32 s8, 0
	s_barrier
	s_cbranch_scc0 .LBB2129_330
; %bb.21:
	v_mov_b32_e32 v2, 0
	v_mov_b32_e32 v3, v2
	scratch_store_dword off, v2, off offset:144
.LBB2129_22:                            ; =>This Inner Loop Header: Depth=1
	s_add_i32 s9, s8, 0x70
	s_add_i32 s8, s8, 8
	s_cmp_lg_u32 s8, 32
	scratch_store_dwordx2 off, v[2:3], s9
	s_cbranch_scc1 .LBB2129_22
; %bb.23:
	scratch_load_dwordx4 v[2:5], off, off offset:288
	scratch_load_dwordx4 v[6:9], off, off offset:304
	scratch_load_ubyte v10, off, off offset:356
	scratch_load_ubyte v1, off, off offset:320
	s_waitcnt vmcnt(3)
	scratch_store_dwordx4 off, v[2:5], off offset:112
	s_waitcnt vmcnt(3)
	scratch_store_dwordx4 off, v[6:9], off offset:128
	s_waitcnt vmcnt(3)
	v_cmp_ne_u16_e32 vcc, 0, v10
                                        ; implicit-def: $vgpr8_vgpr9
                                        ; implicit-def: $vgpr4_vgpr5
	s_and_saveexec_b64 s[8:9], vcc
	s_xor_b64 s[8:9], exec, s[8:9]
	s_cbranch_execz .LBB2129_25
; %bb.24:
	scratch_load_dwordx4 v[2:5], off, off offset:324
	scratch_load_dwordx4 v[6:9], off, off offset:340
.LBB2129_25:
	s_andn2_saveexec_b64 s[8:9], s[8:9]
	s_cbranch_execz .LBB2129_31
; %bb.26:
	s_waitcnt vmcnt(1)
	v_mov_b32_e32 v2, 0
	s_mov_b32 s10, 0
	v_mov_b32_e32 v3, v2
.LBB2129_27:                            ; =>This Inner Loop Header: Depth=1
	s_add_i32 s11, s10, 0
	s_add_i32 s10, s10, 8
	s_cmp_lg_u32 s10, 32
	scratch_store_dwordx2 off, v[2:3], s11
	s_cbranch_scc1 .LBB2129_27
; %bb.28:
	s_mov_b32 s10, 0
.LBB2129_29:                            ; =>This Inner Loop Header: Depth=1
	s_add_i32 s11, s10, 0x70
	s_add_i32 s12, s23, s10
	scratch_load_dwordx2 v[2:3], off, s11
	scratch_load_dwordx2 v[4:5], off, s12
	s_add_i32 s11, s10, 0
	s_add_i32 s10, s10, 8
	s_cmp_lg_u32 s10, 32
	s_waitcnt vmcnt(0)
	v_add_u32_e32 v3, v5, v3
	v_add_u32_e32 v2, v4, v2
	scratch_store_dwordx2 off, v[2:3], s11
	s_cbranch_scc1 .LBB2129_29
; %bb.30:
	scratch_load_dwordx4 v[2:5], off, off
	scratch_load_dwordx4 v[6:9], off, off offset:16
.LBB2129_31:
	s_or_b64 exec, exec, s[8:9]
	scratch_load_ubyte v11, off, off offset:392
	s_waitcnt vmcnt(2)
	scratch_store_dwordx4 off, v[2:5], off offset:112
	s_waitcnt vmcnt(2)
	scratch_store_dwordx4 off, v[6:9], off offset:128
                                        ; implicit-def: $vgpr8_vgpr9
                                        ; implicit-def: $vgpr4_vgpr5
	s_waitcnt vmcnt(2)
	v_cmp_ne_u16_e32 vcc, 0, v11
	s_and_saveexec_b64 s[8:9], vcc
	s_xor_b64 s[8:9], exec, s[8:9]
	s_cbranch_execz .LBB2129_33
; %bb.32:
	scratch_load_dwordx4 v[2:5], off, off offset:360
	scratch_load_dwordx4 v[6:9], off, off offset:376
.LBB2129_33:
	s_andn2_saveexec_b64 s[8:9], s[8:9]
	s_cbranch_execz .LBB2129_39
; %bb.34:
	s_waitcnt vmcnt(1)
	v_mov_b32_e32 v2, 0
	s_mov_b32 s10, 0
	v_mov_b32_e32 v3, v2
.LBB2129_35:                            ; =>This Inner Loop Header: Depth=1
	s_add_i32 s11, s10, 0
	s_add_i32 s10, s10, 8
	s_cmp_lg_u32 s10, 32
	scratch_store_dwordx2 off, v[2:3], s11
	s_cbranch_scc1 .LBB2129_35
; %bb.36:
	s_mov_b32 s10, 0
.LBB2129_37:                            ; =>This Inner Loop Header: Depth=1
	s_add_i32 s11, s10, 0x70
	s_add_i32 s12, s33, s10
	scratch_load_dwordx2 v[2:3], off, s11
	scratch_load_dwordx2 v[4:5], off, s12
	s_add_i32 s11, s10, 0
	s_add_i32 s10, s10, 8
	s_cmp_lg_u32 s10, 32
	s_waitcnt vmcnt(0)
	v_add_u32_e32 v3, v5, v3
	v_add_u32_e32 v2, v4, v2
	scratch_store_dwordx2 off, v[2:3], s11
	s_cbranch_scc1 .LBB2129_37
; %bb.38:
	scratch_load_dwordx4 v[2:5], off, off
	scratch_load_dwordx4 v[6:9], off, off offset:16
.LBB2129_39:
	s_or_b64 exec, exec, s[8:9]
	scratch_load_ushort v14, off, off offset:145
	scratch_load_sbyte v15, off, off offset:147
	v_or_b32_e32 v17, v11, v10
	s_waitcnt vmcnt(3)
	v_mov_b32_dpp v10, v2 row_shr:1 row_mask:0xf bank_mask:0xf
	v_mov_b32_dpp v11, v3 row_shr:1 row_mask:0xf bank_mask:0xf
	;; [unrolled: 1-line block ×4, first 2 shown]
	v_or_b32_e32 v17, v17, v1
	v_mbcnt_lo_u32_b32 v22, -1, 0
	scratch_store_dwordx4 off, v[2:5], off offset:208
	s_waitcnt vmcnt(3)
	scratch_store_dwordx4 off, v[6:9], off offset:224
	v_mov_b32_dpp v18, v6 row_shr:1 row_mask:0xf bank_mask:0xf
	v_mov_b32_dpp v19, v7 row_shr:1 row_mask:0xf bank_mask:0xf
	;; [unrolled: 1-line block ×4, first 2 shown]
	scratch_store_dwordx4 off, v[10:13], off offset:112
	scratch_store_dwordx4 off, v[18:21], off offset:128
	v_mbcnt_hi_u32_b32 v1, -1, v22
	v_and_b32_e32 v10, 1, v17
	v_and_b32_e32 v13, 15, v1
	v_cmp_ne_u32_e32 vcc, 0, v13
	s_waitcnt vmcnt(5)
	v_lshrrev_b32_e32 v11, 8, v14
	v_lshlrev_b16_e32 v12, 8, v14
	s_waitcnt vmcnt(4)
	v_lshlrev_b16_e32 v14, 8, v15
	v_or_b32_e32 v12, v10, v12
	v_or_b32_sdwa v10, v11, v14 dst_sel:WORD_1 dst_unused:UNUSED_PAD src0_sel:BYTE_0 src1_sel:DWORD
	s_nop 0
	v_or_b32_sdwa v14, v12, v10 dst_sel:DWORD dst_unused:UNUSED_PAD src0_sel:WORD_0 src1_sel:DWORD
	scratch_store_dword off, v14, off offset:240
	s_nop 0
	v_mov_b32_dpp v15, v14 row_shr:1 row_mask:0xf bank_mask:0xf
	scratch_store_dword off, v15, off offset:144
	s_and_saveexec_b64 s[8:9], vcc
	s_cbranch_execz .LBB2129_47
; %bb.40:
	v_mov_b32_e32 v10, 0
	v_cmp_eq_u16_sdwa s[12:13], v12, v10 src0_sel:BYTE_0 src1_sel:DWORD
	s_and_saveexec_b64 s[10:11], s[12:13]
	s_cbranch_execz .LBB2129_46
; %bb.41:
	s_mov_b32 s12, 0
	v_mov_b32_e32 v11, v10
.LBB2129_42:                            ; =>This Inner Loop Header: Depth=1
	s_add_i32 s13, s12, 0
	s_add_i32 s12, s12, 8
	s_cmp_lg_u32 s12, 32
	scratch_store_dwordx2 off, v[10:11], s13
	s_cbranch_scc1 .LBB2129_42
; %bb.43:
	s_mov_b32 s12, 0
.LBB2129_44:                            ; =>This Inner Loop Header: Depth=1
	s_add_i32 s13, s12, 0x70
	s_add_i32 s24, s12, 0xd0
	scratch_load_dwordx2 v[2:3], off, s13
	scratch_load_dwordx2 v[4:5], off, s24
	s_add_i32 s13, s12, 0
	s_add_i32 s12, s12, 8
	s_cmp_lg_u32 s12, 32
	s_waitcnt vmcnt(0)
	v_add_u32_e32 v3, v5, v3
	v_add_u32_e32 v2, v4, v2
	scratch_store_dwordx2 off, v[2:3], s13
	s_cbranch_scc1 .LBB2129_44
; %bb.45:
	scratch_load_dwordx4 v[2:5], off, off
	scratch_load_dwordx4 v[6:9], off, off offset:16
.LBB2129_46:
	s_or_b64 exec, exec, s[10:11]
	v_or_b32_e32 v10, v15, v14
	v_and_b32_e32 v10, 1, v10
	scratch_store_byte off, v10, off offset:240
	scratch_load_dword v14, off, off offset:240
	s_waitcnt vmcnt(3)
	scratch_store_dwordx4 off, v[2:5], off offset:208
	s_waitcnt vmcnt(3)
	scratch_store_dwordx4 off, v[6:9], off offset:224
	s_waitcnt vmcnt(2)
	v_mov_b32_e32 v12, v14
.LBB2129_47:
	s_or_b64 exec, exec, s[8:9]
	v_mov_b32_dpp v18, v2 row_shr:2 row_mask:0xf bank_mask:0xf
	v_mov_b32_dpp v19, v3 row_shr:2 row_mask:0xf bank_mask:0xf
	;; [unrolled: 1-line block ×5, first 2 shown]
	v_cmp_lt_u32_e32 vcc, 1, v13
	v_mov_b32_dpp v22, v6 row_shr:2 row_mask:0xf bank_mask:0xf
	v_mov_b32_dpp v23, v7 row_shr:2 row_mask:0xf bank_mask:0xf
	;; [unrolled: 1-line block ×4, first 2 shown]
	scratch_store_dwordx4 off, v[18:21], off offset:112
	scratch_store_dwordx4 off, v[22:25], off offset:128
	scratch_store_dword off, v15, off offset:144
	s_and_saveexec_b64 s[10:11], vcc
	s_cbranch_execz .LBB2129_55
; %bb.48:
	v_mov_b32_e32 v10, 0
	s_mov_b32 s12, 0
	v_cmp_eq_u16_sdwa s[24:25], v12, v10 src0_sel:BYTE_0 src1_sel:DWORD
	s_and_saveexec_b64 s[8:9], s[24:25]
	s_cbranch_execz .LBB2129_54
; %bb.49:
	v_mov_b32_e32 v11, v10
.LBB2129_50:                            ; =>This Inner Loop Header: Depth=1
	s_add_i32 s13, s12, 0
	s_add_i32 s12, s12, 8
	s_cmp_lg_u32 s12, 32
	scratch_store_dwordx2 off, v[10:11], s13
	s_cbranch_scc1 .LBB2129_50
; %bb.51:
	s_mov_b32 s12, 0
.LBB2129_52:                            ; =>This Inner Loop Header: Depth=1
	s_add_i32 s13, s12, 0x70
	s_add_i32 s24, s12, 0xd0
	scratch_load_dwordx2 v[2:3], off, s13
	scratch_load_dwordx2 v[4:5], off, s24
	s_add_i32 s13, s12, 0
	s_add_i32 s12, s12, 8
	s_cmp_lg_u32 s12, 32
	s_waitcnt vmcnt(0)
	v_add_u32_e32 v3, v5, v3
	v_add_u32_e32 v2, v4, v2
	scratch_store_dwordx2 off, v[2:3], s13
	s_cbranch_scc1 .LBB2129_52
; %bb.53:
	scratch_load_dwordx4 v[2:5], off, off
	scratch_load_dwordx4 v[6:9], off, off offset:16
.LBB2129_54:
	s_or_b64 exec, exec, s[8:9]
	v_and_b32_e32 v10, 1, v12
	v_cmp_eq_u32_e32 vcc, 1, v10
	v_and_b32_e32 v10, 1, v15
	v_cmp_eq_u32_e64 s[8:9], 1, v10
	s_or_b64 s[8:9], vcc, s[8:9]
	s_nop 0
	v_cndmask_b32_e64 v10, 0, 1, s[8:9]
	scratch_store_byte off, v10, off offset:240
	scratch_load_dword v14, off, off offset:240
	s_waitcnt vmcnt(3)
	scratch_store_dwordx4 off, v[2:5], off offset:208
	s_waitcnt vmcnt(3)
	scratch_store_dwordx4 off, v[6:9], off offset:224
	s_waitcnt vmcnt(2)
	v_mov_b32_e32 v12, v14
.LBB2129_55:
	s_or_b64 exec, exec, s[10:11]
	v_mov_b32_dpp v18, v2 row_shr:4 row_mask:0xf bank_mask:0xf
	v_mov_b32_dpp v19, v3 row_shr:4 row_mask:0xf bank_mask:0xf
	;; [unrolled: 1-line block ×5, first 2 shown]
	v_cmp_lt_u32_e32 vcc, 3, v13
	v_mov_b32_dpp v22, v6 row_shr:4 row_mask:0xf bank_mask:0xf
	v_mov_b32_dpp v23, v7 row_shr:4 row_mask:0xf bank_mask:0xf
	;; [unrolled: 1-line block ×4, first 2 shown]
	scratch_store_dwordx4 off, v[18:21], off offset:112
	scratch_store_dwordx4 off, v[22:25], off offset:128
	scratch_store_dword off, v15, off offset:144
	s_and_saveexec_b64 s[10:11], vcc
	s_cbranch_execz .LBB2129_63
; %bb.56:
	v_mov_b32_e32 v10, 0
	s_mov_b32 s12, 0
	v_cmp_eq_u16_sdwa s[24:25], v12, v10 src0_sel:BYTE_0 src1_sel:DWORD
	s_and_saveexec_b64 s[8:9], s[24:25]
	s_cbranch_execz .LBB2129_62
; %bb.57:
	v_mov_b32_e32 v11, v10
.LBB2129_58:                            ; =>This Inner Loop Header: Depth=1
	s_add_i32 s13, s12, 0
	s_add_i32 s12, s12, 8
	s_cmp_lg_u32 s12, 32
	scratch_store_dwordx2 off, v[10:11], s13
	s_cbranch_scc1 .LBB2129_58
; %bb.59:
	s_mov_b32 s12, 0
.LBB2129_60:                            ; =>This Inner Loop Header: Depth=1
	s_add_i32 s13, s12, 0x70
	s_add_i32 s24, s12, 0xd0
	scratch_load_dwordx2 v[2:3], off, s13
	scratch_load_dwordx2 v[4:5], off, s24
	s_add_i32 s13, s12, 0
	s_add_i32 s12, s12, 8
	s_cmp_lg_u32 s12, 32
	s_waitcnt vmcnt(0)
	v_add_u32_e32 v3, v5, v3
	v_add_u32_e32 v2, v4, v2
	scratch_store_dwordx2 off, v[2:3], s13
	s_cbranch_scc1 .LBB2129_60
; %bb.61:
	scratch_load_dwordx4 v[2:5], off, off
	scratch_load_dwordx4 v[6:9], off, off offset:16
.LBB2129_62:
	s_or_b64 exec, exec, s[8:9]
	v_and_b32_e32 v10, 1, v12
	v_cmp_eq_u32_e32 vcc, 1, v10
	v_and_b32_e32 v10, 1, v15
	v_cmp_eq_u32_e64 s[8:9], 1, v10
	s_or_b64 s[8:9], vcc, s[8:9]
	s_nop 0
	v_cndmask_b32_e64 v10, 0, 1, s[8:9]
	scratch_store_byte off, v10, off offset:240
	scratch_load_dword v14, off, off offset:240
	s_waitcnt vmcnt(3)
	scratch_store_dwordx4 off, v[2:5], off offset:208
	s_waitcnt vmcnt(3)
	scratch_store_dwordx4 off, v[6:9], off offset:224
	s_waitcnt vmcnt(2)
	v_mov_b32_e32 v12, v14
.LBB2129_63:
	s_or_b64 exec, exec, s[10:11]
	v_mov_b32_dpp v18, v2 row_shr:8 row_mask:0xf bank_mask:0xf
	v_mov_b32_dpp v19, v3 row_shr:8 row_mask:0xf bank_mask:0xf
	;; [unrolled: 1-line block ×5, first 2 shown]
	v_cmp_lt_u32_e32 vcc, 7, v13
	v_mov_b32_dpp v22, v6 row_shr:8 row_mask:0xf bank_mask:0xf
	v_mov_b32_dpp v23, v7 row_shr:8 row_mask:0xf bank_mask:0xf
	;; [unrolled: 1-line block ×4, first 2 shown]
	scratch_store_dwordx4 off, v[18:21], off offset:112
	scratch_store_dwordx4 off, v[22:25], off offset:128
	scratch_store_dword off, v15, off offset:144
	s_and_saveexec_b64 s[10:11], vcc
	s_cbranch_execz .LBB2129_71
; %bb.64:
	v_mov_b32_e32 v10, 0
	s_mov_b32 s12, 0
	v_cmp_eq_u16_sdwa s[24:25], v12, v10 src0_sel:BYTE_0 src1_sel:DWORD
	s_and_saveexec_b64 s[8:9], s[24:25]
	s_cbranch_execz .LBB2129_70
; %bb.65:
	v_mov_b32_e32 v11, v10
.LBB2129_66:                            ; =>This Inner Loop Header: Depth=1
	s_add_i32 s13, s12, 0
	s_add_i32 s12, s12, 8
	s_cmp_lg_u32 s12, 32
	scratch_store_dwordx2 off, v[10:11], s13
	s_cbranch_scc1 .LBB2129_66
; %bb.67:
	s_mov_b32 s12, 0
.LBB2129_68:                            ; =>This Inner Loop Header: Depth=1
	s_add_i32 s13, s12, 0x70
	s_add_i32 s24, s12, 0xd0
	scratch_load_dwordx2 v[2:3], off, s13
	scratch_load_dwordx2 v[4:5], off, s24
	s_add_i32 s13, s12, 0
	s_add_i32 s12, s12, 8
	s_cmp_lg_u32 s12, 32
	s_waitcnt vmcnt(0)
	v_add_u32_e32 v3, v5, v3
	v_add_u32_e32 v2, v4, v2
	scratch_store_dwordx2 off, v[2:3], s13
	s_cbranch_scc1 .LBB2129_68
; %bb.69:
	scratch_load_dwordx4 v[2:5], off, off
	scratch_load_dwordx4 v[6:9], off, off offset:16
.LBB2129_70:
	s_or_b64 exec, exec, s[8:9]
	v_and_b32_e32 v10, 1, v12
	v_cmp_eq_u32_e32 vcc, 1, v10
	v_and_b32_e32 v10, 1, v15
	v_cmp_eq_u32_e64 s[8:9], 1, v10
	s_or_b64 s[8:9], vcc, s[8:9]
	s_nop 0
	v_cndmask_b32_e64 v10, 0, 1, s[8:9]
	scratch_store_byte off, v10, off offset:240
	scratch_load_dword v14, off, off offset:240
	s_waitcnt vmcnt(3)
	scratch_store_dwordx4 off, v[2:5], off offset:208
	s_waitcnt vmcnt(3)
	scratch_store_dwordx4 off, v[6:9], off offset:224
	s_waitcnt vmcnt(2)
	v_mov_b32_e32 v12, v14
.LBB2129_71:
	s_or_b64 exec, exec, s[10:11]
	v_and_b32_e32 v10, 16, v1
	v_mov_b32_dpp v18, v2 row_bcast:15 row_mask:0xf bank_mask:0xf
	v_mov_b32_dpp v19, v3 row_bcast:15 row_mask:0xf bank_mask:0xf
	;; [unrolled: 1-line block ×5, first 2 shown]
	v_cmp_ne_u32_e32 vcc, 0, v10
	v_mov_b32_dpp v22, v6 row_bcast:15 row_mask:0xf bank_mask:0xf
	v_mov_b32_dpp v23, v7 row_bcast:15 row_mask:0xf bank_mask:0xf
	;; [unrolled: 1-line block ×4, first 2 shown]
	scratch_store_dwordx4 off, v[18:21], off offset:112
	scratch_store_dwordx4 off, v[22:25], off offset:128
	scratch_store_dword off, v13, off offset:144
	s_and_saveexec_b64 s[10:11], vcc
	s_cbranch_execz .LBB2129_79
; %bb.72:
	v_mov_b32_e32 v10, 0
	s_mov_b32 s12, 0
	v_cmp_eq_u16_sdwa s[24:25], v12, v10 src0_sel:BYTE_0 src1_sel:DWORD
	s_and_saveexec_b64 s[8:9], s[24:25]
	s_cbranch_execz .LBB2129_78
; %bb.73:
	v_mov_b32_e32 v11, v10
.LBB2129_74:                            ; =>This Inner Loop Header: Depth=1
	s_add_i32 s13, s12, 0
	s_add_i32 s12, s12, 8
	s_cmp_lg_u32 s12, 32
	scratch_store_dwordx2 off, v[10:11], s13
	s_cbranch_scc1 .LBB2129_74
; %bb.75:
	s_mov_b32 s12, 0
.LBB2129_76:                            ; =>This Inner Loop Header: Depth=1
	s_add_i32 s13, s12, 0x70
	s_add_i32 s24, s12, 0xd0
	scratch_load_dwordx2 v[2:3], off, s13
	scratch_load_dwordx2 v[4:5], off, s24
	s_add_i32 s13, s12, 0
	s_add_i32 s12, s12, 8
	s_cmp_lg_u32 s12, 32
	s_waitcnt vmcnt(0)
	v_add_u32_e32 v3, v5, v3
	v_add_u32_e32 v2, v4, v2
	scratch_store_dwordx2 off, v[2:3], s13
	s_cbranch_scc1 .LBB2129_76
; %bb.77:
	scratch_load_dwordx4 v[2:5], off, off
	scratch_load_dwordx4 v[6:9], off, off offset:16
.LBB2129_78:
	s_or_b64 exec, exec, s[8:9]
	v_and_b32_e32 v10, 1, v12
	v_cmp_eq_u32_e32 vcc, 1, v10
	v_and_b32_e32 v10, 1, v13
	v_cmp_eq_u32_e64 s[8:9], 1, v10
	s_or_b64 s[8:9], vcc, s[8:9]
	s_nop 0
	v_cndmask_b32_e64 v10, 0, 1, s[8:9]
	scratch_store_byte off, v10, off offset:240
	scratch_load_dword v14, off, off offset:240
	s_waitcnt vmcnt(3)
	scratch_store_dwordx4 off, v[2:5], off offset:208
	s_waitcnt vmcnt(3)
	scratch_store_dwordx4 off, v[6:9], off offset:224
	s_waitcnt vmcnt(2)
	v_mov_b32_e32 v12, v14
.LBB2129_79:
	s_or_b64 exec, exec, s[10:11]
	v_mov_b32_dpp v18, v2 row_bcast:31 row_mask:0xf bank_mask:0xf
	v_mov_b32_dpp v19, v3 row_bcast:31 row_mask:0xf bank_mask:0xf
	v_mov_b32_dpp v20, v4 row_bcast:31 row_mask:0xf bank_mask:0xf
	v_mov_b32_dpp v21, v5 row_bcast:31 row_mask:0xf bank_mask:0xf
	v_mov_b32_dpp v13, v14 row_bcast:31 row_mask:0xf bank_mask:0xf
	v_cmp_lt_u32_e32 vcc, 31, v1
	v_mov_b32_dpp v22, v6 row_bcast:31 row_mask:0xf bank_mask:0xf
	v_mov_b32_dpp v23, v7 row_bcast:31 row_mask:0xf bank_mask:0xf
	;; [unrolled: 1-line block ×4, first 2 shown]
	scratch_store_dwordx4 off, v[18:21], off offset:112
	scratch_store_dwordx4 off, v[22:25], off offset:128
	scratch_store_dword off, v13, off offset:144
	s_and_saveexec_b64 s[10:11], vcc
	s_cbranch_execz .LBB2129_87
; %bb.80:
	v_mov_b32_e32 v10, 0
	s_mov_b32 s12, 0
	v_cmp_eq_u16_sdwa s[24:25], v12, v10 src0_sel:BYTE_0 src1_sel:DWORD
	s_and_saveexec_b64 s[8:9], s[24:25]
	s_cbranch_execz .LBB2129_86
; %bb.81:
	v_mov_b32_e32 v11, v10
.LBB2129_82:                            ; =>This Inner Loop Header: Depth=1
	s_add_i32 s13, s12, 0
	s_add_i32 s12, s12, 8
	s_cmp_lg_u32 s12, 32
	scratch_store_dwordx2 off, v[10:11], s13
	s_cbranch_scc1 .LBB2129_82
; %bb.83:
	s_mov_b32 s12, 0
.LBB2129_84:                            ; =>This Inner Loop Header: Depth=1
	s_add_i32 s13, s12, 0x70
	s_add_i32 s24, s12, 0xd0
	scratch_load_dwordx2 v[2:3], off, s13
	scratch_load_dwordx2 v[4:5], off, s24
	s_add_i32 s13, s12, 0
	s_add_i32 s12, s12, 8
	s_cmp_lg_u32 s12, 32
	s_waitcnt vmcnt(0)
	v_add_u32_e32 v3, v5, v3
	v_add_u32_e32 v2, v4, v2
	scratch_store_dwordx2 off, v[2:3], s13
	s_cbranch_scc1 .LBB2129_84
; %bb.85:
	scratch_load_dwordx4 v[2:5], off, off
	scratch_load_dwordx4 v[6:9], off, off offset:16
.LBB2129_86:
	s_or_b64 exec, exec, s[8:9]
	v_and_b32_e32 v10, 1, v12
	v_cmp_eq_u32_e32 vcc, 1, v10
	v_and_b32_e32 v10, 1, v13
	v_cmp_eq_u32_e64 s[8:9], 1, v10
	s_or_b64 s[8:9], vcc, s[8:9]
	s_nop 0
	v_cndmask_b32_e64 v12, 0, 1, s[8:9]
	s_waitcnt vmcnt(1)
	scratch_store_dwordx4 off, v[2:5], off offset:208
	s_waitcnt vmcnt(1)
	scratch_store_dwordx4 off, v[6:9], off offset:224
	scratch_store_byte off, v12, off offset:240
.LBB2129_87:
	s_or_b64 exec, exec, s[10:11]
	v_or_b32_e32 v10, 63, v16
	v_lshrrev_b32_e32 v13, 6, v16
	v_cmp_eq_u32_e32 vcc, v10, v16
	s_and_saveexec_b64 s[8:9], vcc
	s_cbranch_execz .LBB2129_89
; %bb.88:
	v_mul_u32_u24_e32 v10, 36, v13
	ds_write2_b32 v10, v2, v3 offset1:1
	ds_write2_b32 v10, v4, v5 offset0:2 offset1:3
	ds_write2_b32 v10, v6, v7 offset0:4 offset1:5
	;; [unrolled: 1-line block ×3, first 2 shown]
	ds_write_b8 v10, v12 offset:32
.LBB2129_89:
	s_or_b64 exec, exec, s[8:9]
	v_cmp_gt_u32_e32 vcc, 4, v16
	s_waitcnt lgkmcnt(0)
	s_barrier
	s_and_saveexec_b64 s[10:11], vcc
	s_cbranch_execz .LBB2129_107
; %bb.90:
	v_mul_u32_u24_e32 v12, 36, v16
	ds_read_b32 v14, v12 offset:32
	ds_read2_b32 v[6:7], v12 offset0:4 offset1:5
	ds_read2_b32 v[4:5], v12 offset0:2 offset1:3
	ds_read2_b32 v[2:3], v12 offset1:1
	ds_read2_b32 v[8:9], v12 offset0:6 offset1:7
	v_and_b32_e32 v15, 3, v1
	s_waitcnt lgkmcnt(4)
	v_mov_b32_dpp v17, v14 row_shr:1 row_mask:0xf bank_mask:0xf
	s_waitcnt lgkmcnt(2)
	v_mov_b32_dpp v20, v4 row_shr:1 row_mask:0xf bank_mask:0xf
	s_waitcnt lgkmcnt(1)
	v_mov_b32_dpp v18, v2 row_shr:1 row_mask:0xf bank_mask:0xf
	v_mov_b32_dpp v19, v3 row_shr:1 row_mask:0xf bank_mask:0xf
	v_mov_b32_dpp v21, v5 row_shr:1 row_mask:0xf bank_mask:0xf
	v_cmp_ne_u32_e32 vcc, 0, v15
	scratch_store_dword off, v14, off offset:32
	scratch_store_dwordx4 off, v[2:5], off
	s_waitcnt lgkmcnt(0)
	scratch_store_dwordx4 off, v[6:9], off offset:16
	v_mov_b32_dpp v22, v6 row_shr:1 row_mask:0xf bank_mask:0xf
	v_mov_b32_dpp v23, v7 row_shr:1 row_mask:0xf bank_mask:0xf
	;; [unrolled: 1-line block ×4, first 2 shown]
	scratch_store_dwordx4 off, v[18:21], off offset:112
	scratch_store_dwordx4 off, v[22:25], off offset:128
	scratch_store_dword off, v17, off offset:144
	s_and_saveexec_b64 s[8:9], vcc
	s_cbranch_execz .LBB2129_98
; %bb.91:
	v_mov_b32_e32 v10, 0
	v_cmp_eq_u16_sdwa s[24:25], v14, v10 src0_sel:BYTE_0 src1_sel:DWORD
	s_and_saveexec_b64 s[12:13], s[24:25]
	s_cbranch_execz .LBB2129_97
; %bb.92:
	s_mov_b32 s24, 0
	v_mov_b32_e32 v11, v10
.LBB2129_93:                            ; =>This Inner Loop Header: Depth=1
	s_add_i32 s25, s24, 36
	s_add_i32 s24, s24, 8
	s_cmp_lg_u32 s24, 32
	scratch_store_dwordx2 off, v[10:11], s25
	s_cbranch_scc1 .LBB2129_93
; %bb.94:
	s_mov_b32 s24, 0
.LBB2129_95:                            ; =>This Inner Loop Header: Depth=1
	s_add_i32 s25, s24, 0x70
	s_add_i32 s28, s24, 0
	scratch_load_dwordx2 v[2:3], off, s25
	scratch_load_dwordx2 v[4:5], off, s28
	s_add_i32 s25, s24, 36
	s_add_i32 s24, s24, 8
	s_cmp_lg_u32 s24, 32
	s_waitcnt vmcnt(0)
	v_add_u32_e32 v3, v5, v3
	v_add_u32_e32 v2, v4, v2
	scratch_store_dwordx2 off, v[2:3], s25
	s_cbranch_scc1 .LBB2129_95
; %bb.96:
	scratch_load_dwordx4 v[2:5], off, off offset:36
	scratch_load_dwordx4 v[6:9], off, off offset:52
.LBB2129_97:
	s_or_b64 exec, exec, s[12:13]
	v_or_b32_e32 v10, v17, v14
	v_and_b32_e32 v10, 1, v10
	scratch_store_byte off, v10, off offset:32
	scratch_load_dword v14, off, off offset:32
	s_waitcnt vmcnt(3)
	scratch_store_dwordx4 off, v[2:5], off
	s_waitcnt vmcnt(3)
	scratch_store_dwordx4 off, v[6:9], off offset:16
.LBB2129_98:
	s_or_b64 exec, exec, s[8:9]
	v_mov_b32_dpp v18, v2 row_shr:2 row_mask:0xf bank_mask:0xf
	v_mov_b32_dpp v19, v3 row_shr:2 row_mask:0xf bank_mask:0xf
	v_mov_b32_dpp v20, v4 row_shr:2 row_mask:0xf bank_mask:0xf
	v_mov_b32_dpp v21, v5 row_shr:2 row_mask:0xf bank_mask:0xf
	s_waitcnt vmcnt(2)
	v_mov_b32_dpp v17, v14 row_shr:2 row_mask:0xf bank_mask:0xf
	v_cmp_lt_u32_e32 vcc, 1, v15
	v_mov_b32_dpp v22, v6 row_shr:2 row_mask:0xf bank_mask:0xf
	v_mov_b32_dpp v23, v7 row_shr:2 row_mask:0xf bank_mask:0xf
	;; [unrolled: 1-line block ×4, first 2 shown]
	scratch_store_dwordx4 off, v[18:21], off offset:112
	scratch_store_dwordx4 off, v[22:25], off offset:128
	scratch_store_dword off, v17, off offset:144
	s_and_saveexec_b64 s[12:13], vcc
	s_cbranch_execz .LBB2129_106
; %bb.99:
	v_mov_b32_e32 v10, 0
	s_mov_b32 s24, 0
	v_cmp_eq_u16_sdwa s[28:29], v14, v10 src0_sel:BYTE_0 src1_sel:DWORD
	s_and_saveexec_b64 s[8:9], s[28:29]
	s_cbranch_execz .LBB2129_105
; %bb.100:
	v_mov_b32_e32 v11, v10
.LBB2129_101:                           ; =>This Inner Loop Header: Depth=1
	s_add_i32 s25, s24, 36
	s_add_i32 s24, s24, 8
	s_cmp_lg_u32 s24, 32
	scratch_store_dwordx2 off, v[10:11], s25
	s_cbranch_scc1 .LBB2129_101
; %bb.102:
	s_mov_b32 s24, 0
.LBB2129_103:                           ; =>This Inner Loop Header: Depth=1
	s_add_i32 s25, s24, 0x70
	s_add_i32 s28, s24, 0
	scratch_load_dwordx2 v[2:3], off, s25
	scratch_load_dwordx2 v[4:5], off, s28
	s_add_i32 s25, s24, 36
	s_add_i32 s24, s24, 8
	s_cmp_lg_u32 s24, 32
	s_waitcnt vmcnt(0)
	v_add_u32_e32 v3, v5, v3
	v_add_u32_e32 v2, v4, v2
	scratch_store_dwordx2 off, v[2:3], s25
	s_cbranch_scc1 .LBB2129_103
; %bb.104:
	scratch_load_dwordx4 v[2:5], off, off offset:36
	scratch_load_dwordx4 v[6:9], off, off offset:52
.LBB2129_105:
	s_or_b64 exec, exec, s[8:9]
	v_and_b32_e32 v10, 1, v14
	v_cmp_eq_u32_e32 vcc, 1, v10
	v_and_b32_e32 v10, 1, v17
	v_cmp_eq_u32_e64 s[8:9], 1, v10
	s_or_b64 s[8:9], vcc, s[8:9]
	s_waitcnt vmcnt(1)
	scratch_store_dwordx4 off, v[2:5], off
	s_waitcnt vmcnt(1)
	scratch_store_dwordx4 off, v[6:9], off offset:16
	v_cndmask_b32_e64 v14, 0, 1, s[8:9]
.LBB2129_106:
	s_or_b64 exec, exec, s[12:13]
	scratch_load_dwordx4 v[2:5], off, off
	scratch_load_dwordx4 v[6:9], off, off offset:16
	s_waitcnt vmcnt(1)
	ds_write2_b32 v12, v4, v5 offset0:2 offset1:3
	ds_write2_b32 v12, v2, v3 offset1:1
	s_waitcnt vmcnt(0)
	ds_write2_b32 v12, v8, v9 offset0:6 offset1:7
	ds_write2_b32 v12, v6, v7 offset0:4 offset1:5
	ds_write_b8 v12, v14 offset:32
.LBB2129_107:
	s_or_b64 exec, exec, s[10:11]
	s_mov_b32 s8, 0
	s_mov_b32 s9, s8
	v_mov_b32_e32 v2, 0
	s_mov_b32 s10, s8
	s_mov_b32 s11, s8
	v_mov_b64_e32 v[4:5], s[8:9]
	v_mov_b64_e32 v[6:7], s[10:11]
	v_mov_b32_e32 v3, v2
	s_waitcnt lgkmcnt(0)
	s_barrier
	scratch_store_dword off, v2, off offset:144
	scratch_store_dwordx4 off, v[4:7], off offset:128
	scratch_store_dwordx4 off, v[4:7], off offset:112
.LBB2129_108:                           ; =>This Inner Loop Header: Depth=1
	s_add_i32 s9, s8, 0x70
	s_add_i32 s8, s8, 8
	s_cmp_lg_u32 s8, 32
	scratch_store_dwordx2 off, v[2:3], s9
	s_cbranch_scc1 .LBB2129_108
; %bb.109:
	v_cmp_gt_u32_e32 vcc, 64, v16
	v_cmp_lt_u32_e64 s[8:9], 63, v16
                                        ; implicit-def: $vgpr2_vgpr3
                                        ; implicit-def: $vgpr6_vgpr7
                                        ; implicit-def: $vgpr10
	s_and_saveexec_b64 s[10:11], s[8:9]
	s_xor_b64 s[10:11], exec, s[10:11]
	s_cbranch_execz .LBB2129_119
; %bb.110:
	scratch_load_ubyte v11, off, off offset:240
	v_not_b32_e32 v2, 35
	v_mad_u32_u24 v10, v13, 36, v2
	ds_read2_b32 v[2:3], v10 offset0:4 offset1:5
	ds_read2_b32 v[8:9], v10 offset0:2 offset1:3
	ds_read2_b32 v[6:7], v10 offset1:1
	ds_read2_b32 v[4:5], v10 offset0:6 offset1:7
	ds_read_u8 v10, v10 offset:32
	s_waitcnt lgkmcnt(2)
	scratch_store_dwordx4 off, v[6:9], off offset:112
	s_waitcnt lgkmcnt(1)
	scratch_store_dwordx4 off, v[2:5], off offset:128
                                        ; implicit-def: $vgpr2_vgpr3
                                        ; implicit-def: $vgpr6_vgpr7
	s_waitcnt vmcnt(2)
	v_cmp_ne_u16_e64 s[8:9], 0, v11
	s_and_saveexec_b64 s[12:13], s[8:9]
	s_xor_b64 s[8:9], exec, s[12:13]
	s_cbranch_execz .LBB2129_112
; %bb.111:
	scratch_load_dwordx4 v[2:5], off, off offset:208
	scratch_load_dwordx4 v[6:9], off, off offset:224
.LBB2129_112:
	s_andn2_saveexec_b64 s[8:9], s[8:9]
	s_cbranch_execz .LBB2129_118
; %bb.113:
	s_waitcnt vmcnt(1)
	v_mov_b32_e32 v2, 0
	s_mov_b32 s12, 0
	v_mov_b32_e32 v3, v2
.LBB2129_114:                           ; =>This Inner Loop Header: Depth=1
	s_add_i32 s13, s12, 0
	s_add_i32 s12, s12, 8
	s_cmp_lg_u32 s12, 32
	scratch_store_dwordx2 off, v[2:3], s13
	s_cbranch_scc1 .LBB2129_114
; %bb.115:
	s_mov_b32 s12, 0
.LBB2129_116:                           ; =>This Inner Loop Header: Depth=1
	s_add_i32 s13, s12, 0x70
	s_add_i32 s24, s12, 0xd0
	scratch_load_dwordx2 v[2:3], off, s13
	scratch_load_dwordx2 v[4:5], off, s24
	s_add_i32 s13, s12, 0
	s_add_i32 s12, s12, 8
	s_cmp_lg_u32 s12, 32
	s_waitcnt vmcnt(0)
	v_add_u32_e32 v3, v5, v3
	v_add_u32_e32 v2, v4, v2
	scratch_store_dwordx2 off, v[2:3], s13
	s_cbranch_scc1 .LBB2129_116
; %bb.117:
	scratch_load_dwordx4 v[2:5], off, off
	scratch_load_dwordx4 v[6:9], off, off offset:16
.LBB2129_118:
	s_or_b64 exec, exec, s[8:9]
	s_waitcnt lgkmcnt(0)
	v_or_b32_e32 v11, v11, v10
	v_and_b32_e32 v11, 1, v11
	scratch_store_byte off, v11, off offset:240
.LBB2129_119:
	s_andn2_saveexec_b64 s[8:9], s[10:11]
	s_cbranch_execz .LBB2129_121
; %bb.120:
	scratch_load_dwordx4 v[2:5], off, off offset:208
	scratch_load_dwordx4 v[6:9], off, off offset:224
	v_mov_b32_e32 v10, 0
.LBB2129_121:
	s_or_b64 exec, exec, s[8:9]
	scratch_load_dword v11, off, off offset:240
	v_add_u32_e32 v12, -1, v1
	v_and_b32_e32 v13, 64, v1
	v_cmp_lt_i32_e64 s[8:9], v12, v13
	s_nop 1
	v_cndmask_b32_e64 v12, v12, v1, s[8:9]
	v_lshlrev_b32_e32 v12, 2, v12
	s_waitcnt vmcnt(2)
	ds_bpermute_b32 v2, v12, v2
	ds_bpermute_b32 v3, v12, v3
	;; [unrolled: 1-line block ×4, first 2 shown]
	s_waitcnt vmcnt(1)
	ds_bpermute_b32 v6, v12, v6
	ds_bpermute_b32 v7, v12, v7
	ds_bpermute_b32 v8, v12, v8
	ds_bpermute_b32 v9, v12, v9
	v_cmp_eq_u32_e64 s[8:9], 0, v1
	s_waitcnt vmcnt(0)
	ds_bpermute_b32 v11, v12, v11
	s_waitcnt lgkmcnt(5)
	scratch_store_dwordx4 off, v[2:5], off offset:208
	s_waitcnt lgkmcnt(1)
	scratch_store_dwordx4 off, v[6:9], off offset:224
	s_waitcnt lgkmcnt(0)
	scratch_store_byte off, v11, off offset:240
	v_and_b32_e32 v2, 1, v11
	v_cmp_eq_u32_e64 s[12:13], 1, v2
	s_and_saveexec_b64 s[24:25], s[8:9]
	s_cbranch_execz .LBB2129_123
; %bb.122:
	scratch_load_dwordx4 v[2:5], off, off offset:112
	scratch_load_dwordx4 v[6:9], off, off offset:128
	v_and_b32_e32 v11, 1, v10
	v_cmp_eq_u32_e64 s[10:11], 1, v11
	s_andn2_b64 s[12:13], s[12:13], exec
	s_and_b64 s[10:11], s[10:11], exec
	s_or_b64 s[12:13], s[12:13], s[10:11]
	scratch_store_byte off, v10, off offset:240
	s_waitcnt vmcnt(2)
	scratch_store_dwordx4 off, v[2:5], off offset:208
	s_waitcnt vmcnt(2)
	scratch_store_dwordx4 off, v[6:9], off offset:224
.LBB2129_123:
	s_or_b64 exec, exec, s[24:25]
	s_and_saveexec_b64 s[24:25], vcc
	s_cbranch_execz .LBB2129_264
; %bb.124:
	v_mov_b32_e32 v10, 0
	ds_read2_b32 v[2:3], v10 offset0:27 offset1:28
	ds_read2_b32 v[4:5], v10 offset0:29 offset1:30
	;; [unrolled: 1-line block ×4, first 2 shown]
	ds_read_b32 v11, v10 offset:140
	s_waitcnt lgkmcnt(3)
	scratch_store_dwordx4 off, v[2:5], off offset:72
	s_waitcnt lgkmcnt(1)
	scratch_store_dwordx4 off, v[6:9], off offset:88
	s_waitcnt lgkmcnt(0)
	scratch_store_dword off, v11, off offset:104
	s_and_saveexec_b64 s[10:11], s[8:9]
	s_cbranch_execz .LBB2129_126
; %bb.125:
	v_lshrrev_b32_e32 v12, 8, v11
	s_movk_i32 s28, 0xff
	v_mov_b32_e32 v15, 8
	s_add_i32 s30, s51, 64
	v_and_b32_sdwa v14, v11, s28 dst_sel:DWORD dst_unused:UNUSED_PAD src0_sel:WORD_1 src1_sel:DWORD
	v_lshlrev_b32_sdwa v12, v15, v12 dst_sel:DWORD dst_unused:UNUSED_PAD src0_sel:DWORD src1_sel:BYTE_0
	s_mul_i32 s28, s30, 36
	v_lshrrev_b32_e32 v13, 24, v11
	v_or_b32_sdwa v11, v12, v11 dst_sel:DWORD dst_unused:UNUSED_PAD src0_sel:DWORD src1_sel:BYTE_0
	v_lshlrev_b32_e32 v12, 16, v14
	s_mul_hi_u32 s29, s30, 36
	s_add_u32 s28, s16, s28
	v_or_b32_e32 v11, v11, v12
	v_lshlrev_b32_e32 v12, 24, v13
	s_addc_u32 s29, s17, s29
	v_or_b32_e32 v11, v11, v12
	global_store_dword v10, v2, s[28:29] sc1
	global_store_dword v10, v3, s[28:29] offset:4 sc1
	global_store_dword v10, v4, s[28:29] offset:8 sc1
	;; [unrolled: 1-line block ×8, first 2 shown]
	v_mov_b32_e32 v2, s30
	v_mov_b32_e32 v3, 1
	s_waitcnt vmcnt(0)
	global_store_byte v2, v3, s[20:21] sc1
.LBB2129_126:
	s_or_b64 exec, exec, s[10:11]
	s_mov_b32 s28, 0
	s_mov_b32 s29, s28
	s_mov_b32 s30, s28
	s_mov_b32 s31, s28
	v_mov_b64_e32 v[2:3], s[28:29]
	v_mov_b64_e32 v[4:5], s[30:31]
	v_mov_b32_e32 v11, v10
	scratch_store_dword off, v10, off offset:68
	scratch_store_dwordx4 off, v[2:5], off offset:52
	scratch_store_dwordx4 off, v[2:5], off offset:36
.LBB2129_127:                           ; =>This Inner Loop Header: Depth=1
	s_add_i32 s10, s28, 36
	s_add_i32 s28, s28, 8
	s_cmp_lg_u32 s28, 32
	scratch_store_dwordx2 off, v[10:11], s10
	s_cbranch_scc1 .LBB2129_127
; %bb.128:
	v_mov_b32_e32 v3, 0
	v_xad_u32 v10, v1, -1, s51
	scratch_store_byte off, v3, off offset:68
	v_add_u32_e32 v2, 64, v10
	global_load_ubyte v17, v2, s[20:21] sc1
	s_waitcnt vmcnt(0)
	v_cmp_eq_u16_e32 vcc, 0, v17
	s_and_saveexec_b64 s[10:11], vcc
	s_cbranch_execz .LBB2129_134
; %bb.129:
	v_lshl_add_u64 v[4:5], s[20:21], 0, v[2:3]
	s_mov_b32 s30, 1
	s_mov_b64 s[28:29], 0
.LBB2129_130:                           ; =>This Loop Header: Depth=1
                                        ;     Child Loop BB2129_131 Depth 2
	s_max_u32 s31, s30, 1
.LBB2129_131:                           ;   Parent Loop BB2129_130 Depth=1
                                        ; =>  This Inner Loop Header: Depth=2
	s_add_i32 s31, s31, -1
	s_cmp_eq_u32 s31, 0
	s_sleep 1
	s_cbranch_scc0 .LBB2129_131
; %bb.132:                              ;   in Loop: Header=BB2129_130 Depth=1
	global_load_ubyte v17, v[4:5], off sc1
	s_cmp_lt_u32 s30, 32
	s_cselect_b64 s[38:39], -1, 0
	s_cmp_lg_u64 s[38:39], 0
	s_addc_u32 s30, s30, 0
	s_waitcnt vmcnt(0)
	v_cmp_ne_u16_e32 vcc, 0, v17
	s_or_b64 s[28:29], vcc, s[28:29]
	s_andn2_b64 exec, exec, s[28:29]
	s_cbranch_execnz .LBB2129_130
; %bb.133:
	s_or_b64 exec, exec, s[28:29]
.LBB2129_134:
	s_or_b64 exec, exec, s[10:11]
	v_mov_b32_e32 v3, s19
	v_mov_b32_e32 v4, s17
	v_cmp_eq_u16_e32 vcc, 1, v17
	s_waitcnt vmcnt(0)
	s_nop 0
	v_cndmask_b32_e32 v5, v3, v4, vcc
	v_mov_b32_e32 v3, s18
	v_mov_b32_e32 v4, s16
	v_cndmask_b32_e32 v4, v3, v4, vcc
	v_mad_u64_u32 v[12:13], s[10:11], v2, 36, v[4:5]
	global_load_dword v2, v[12:13], off sc1
	global_load_dword v3, v[12:13], off offset:4 sc1
	global_load_dword v4, v[12:13], off offset:8 sc1
	;; [unrolled: 1-line block ×8, first 2 shown]
	v_mov_b32_e32 v12, 0
	s_mov_b32 s10, 0
	v_mov_b32_e32 v13, v12
	scratch_store_dword off, v12, off offset:144
	s_waitcnt vmcnt(6)
	scratch_store_dwordx4 off, v[2:5], off offset:36
	s_waitcnt vmcnt(3)
	scratch_store_dwordx4 off, v[6:9], off offset:52
	s_waitcnt vmcnt(3)
	scratch_store_byte off, v11, off offset:68
.LBB2129_135:                           ; =>This Inner Loop Header: Depth=1
	s_add_i32 s11, s10, 0x70
	s_add_i32 s10, s10, 8
	s_cmp_lg_u32 s10, 32
	scratch_store_dwordx2 off, v[12:13], s11
	s_cbranch_scc1 .LBB2129_135
; %bb.136:
	scratch_load_dword v30, off, off offset:68
	v_lshlrev_b64 v[12:13], v1, -1
	v_cmp_eq_u16_e32 vcc, 2, v17
	v_and_b32_e32 v18, 63, v1
	s_nop 0
	v_and_b32_e32 v11, vcc_hi, v13
	v_and_b32_e32 v14, vcc_lo, v12
	v_cmp_ne_u32_e32 vcc, 63, v18
	v_or_b32_e32 v11, 0x80000000, v11
	v_ffbl_b32_e32 v11, v11
	v_addc_co_u32_e32 v15, vcc, 0, v1, vcc
	v_lshlrev_b32_e32 v19, 2, v15
	ds_bpermute_b32 v22, v19, v2
	ds_bpermute_b32 v23, v19, v3
	;; [unrolled: 1-line block ×8, first 2 shown]
	v_add_u32_e32 v11, 32, v11
	v_ffbl_b32_e32 v14, v14
	v_min_u32_e32 v11, v14, v11
	v_cmp_lt_u32_e32 vcc, v18, v11
	s_waitcnt lgkmcnt(4)
	scratch_store_dwordx4 off, v[22:25], off offset:112
	s_waitcnt lgkmcnt(0)
	scratch_store_dwordx4 off, v[26:29], off offset:128
	s_waitcnt vmcnt(2)
	ds_bpermute_b32 v20, v19, v30
	s_and_saveexec_b64 s[10:11], vcc
	s_cbranch_execz .LBB2129_144
; %bb.137:
	v_mov_b32_e32 v14, 0
	v_cmp_eq_u16_sdwa s[30:31], v30, v14 src0_sel:BYTE_0 src1_sel:DWORD
	s_and_saveexec_b64 s[28:29], s[30:31]
	s_cbranch_execz .LBB2129_143
; %bb.138:
	s_mov_b32 s30, 0
	v_mov_b32_e32 v15, v14
.LBB2129_139:                           ; =>This Inner Loop Header: Depth=1
	s_add_i32 s31, s30, 0
	s_add_i32 s30, s30, 8
	s_cmp_lg_u32 s30, 32
	scratch_store_dwordx2 off, v[14:15], s31
	s_cbranch_scc1 .LBB2129_139
; %bb.140:
	s_mov_b32 s30, 0
.LBB2129_141:                           ; =>This Inner Loop Header: Depth=1
	s_add_i32 s31, s30, 0x70
	s_add_i32 s38, s30, 36
	scratch_load_dwordx2 v[2:3], off, s31
	scratch_load_dwordx2 v[4:5], off, s38
	s_add_i32 s31, s30, 0
	s_add_i32 s30, s30, 8
	s_cmp_lg_u32 s30, 32
	s_waitcnt vmcnt(0)
	v_add_u32_e32 v3, v5, v3
	v_add_u32_e32 v2, v4, v2
	scratch_store_dwordx2 off, v[2:3], s31
	s_cbranch_scc1 .LBB2129_141
; %bb.142:
	scratch_load_dwordx4 v[2:5], off, off
	scratch_load_dwordx4 v[6:9], off, off offset:16
.LBB2129_143:
	s_or_b64 exec, exec, s[28:29]
	s_waitcnt lgkmcnt(0)
	v_or_b32_e32 v14, v20, v30
	v_and_b32_e32 v14, 1, v14
	scratch_store_byte off, v14, off offset:68
	scratch_load_dword v30, off, off offset:68
	s_waitcnt vmcnt(3)
	scratch_store_dwordx4 off, v[2:5], off offset:36
	s_waitcnt vmcnt(3)
	scratch_store_dwordx4 off, v[6:9], off offset:52
.LBB2129_144:
	s_or_b64 exec, exec, s[10:11]
	v_cmp_gt_u32_e32 vcc, 62, v18
	v_add_u32_e32 v21, 2, v18
	s_nop 0
	v_cndmask_b32_e64 v14, 0, 1, vcc
	v_lshlrev_b32_e32 v14, 1, v14
	s_waitcnt lgkmcnt(0)
	v_add_lshl_u32 v20, v14, v1, 2
	ds_bpermute_b32 v24, v20, v2
	ds_bpermute_b32 v25, v20, v3
	;; [unrolled: 1-line block ×4, first 2 shown]
	s_waitcnt vmcnt(2)
	ds_bpermute_b32 v22, v20, v30
	ds_bpermute_b32 v32, v20, v6
	ds_bpermute_b32 v33, v20, v7
	ds_bpermute_b32 v34, v20, v8
	ds_bpermute_b32 v35, v20, v9
	v_cmp_le_u32_e32 vcc, v21, v11
	s_waitcnt lgkmcnt(5)
	scratch_store_dwordx4 off, v[24:27], off offset:112
	s_waitcnt lgkmcnt(0)
	scratch_store_dwordx4 off, v[32:35], off offset:128
	s_and_saveexec_b64 s[28:29], vcc
	s_cbranch_execz .LBB2129_152
; %bb.145:
	v_mov_b32_e32 v14, 0
	s_mov_b32 s30, 0
	v_cmp_eq_u16_sdwa s[38:39], v30, v14 src0_sel:BYTE_0 src1_sel:DWORD
	s_and_saveexec_b64 s[10:11], s[38:39]
	s_cbranch_execz .LBB2129_151
; %bb.146:
	v_mov_b32_e32 v15, v14
.LBB2129_147:                           ; =>This Inner Loop Header: Depth=1
	s_add_i32 s31, s30, 0
	s_add_i32 s30, s30, 8
	s_cmp_lg_u32 s30, 32
	scratch_store_dwordx2 off, v[14:15], s31
	s_cbranch_scc1 .LBB2129_147
; %bb.148:
	s_mov_b32 s30, 0
.LBB2129_149:                           ; =>This Inner Loop Header: Depth=1
	s_add_i32 s31, s30, 0x70
	s_add_i32 s38, s30, 36
	scratch_load_dwordx2 v[2:3], off, s31
	scratch_load_dwordx2 v[4:5], off, s38
	s_add_i32 s31, s30, 0
	s_add_i32 s30, s30, 8
	s_cmp_lg_u32 s30, 32
	s_waitcnt vmcnt(0)
	v_add_u32_e32 v3, v5, v3
	v_add_u32_e32 v2, v4, v2
	scratch_store_dwordx2 off, v[2:3], s31
	s_cbranch_scc1 .LBB2129_149
; %bb.150:
	scratch_load_dwordx4 v[2:5], off, off
	scratch_load_dwordx4 v[6:9], off, off offset:16
.LBB2129_151:
	s_or_b64 exec, exec, s[10:11]
	v_and_b32_e32 v14, 1, v30
	v_cmp_eq_u32_e32 vcc, 1, v14
	v_and_b32_e32 v14, 1, v22
	v_cmp_eq_u32_e64 s[10:11], 1, v14
	s_or_b64 s[10:11], vcc, s[10:11]
	s_nop 0
	v_cndmask_b32_e64 v14, 0, 1, s[10:11]
	scratch_store_byte off, v14, off offset:68
	scratch_load_dword v30, off, off offset:68
	s_waitcnt vmcnt(3)
	scratch_store_dwordx4 off, v[2:5], off offset:36
	s_waitcnt vmcnt(3)
	scratch_store_dwordx4 off, v[6:9], off offset:52
.LBB2129_152:
	s_or_b64 exec, exec, s[28:29]
	v_cmp_gt_u32_e32 vcc, 60, v18
	v_add_u32_e32 v23, 4, v18
	s_nop 0
	v_cndmask_b32_e64 v14, 0, 1, vcc
	v_lshlrev_b32_e32 v14, 2, v14
	v_add_lshl_u32 v22, v14, v1, 2
	ds_bpermute_b32 v26, v22, v2
	ds_bpermute_b32 v27, v22, v3
	;; [unrolled: 1-line block ×4, first 2 shown]
	s_waitcnt vmcnt(2)
	ds_bpermute_b32 v24, v22, v30
	ds_bpermute_b32 v32, v22, v6
	;; [unrolled: 1-line block ×5, first 2 shown]
	v_cmp_le_u32_e32 vcc, v23, v11
	s_waitcnt lgkmcnt(5)
	scratch_store_dwordx4 off, v[26:29], off offset:112
	s_waitcnt lgkmcnt(0)
	scratch_store_dwordx4 off, v[32:35], off offset:128
	s_and_saveexec_b64 s[28:29], vcc
	s_cbranch_execz .LBB2129_160
; %bb.153:
	v_mov_b32_e32 v14, 0
	s_mov_b32 s30, 0
	v_cmp_eq_u16_sdwa s[38:39], v30, v14 src0_sel:BYTE_0 src1_sel:DWORD
	s_and_saveexec_b64 s[10:11], s[38:39]
	s_cbranch_execz .LBB2129_159
; %bb.154:
	v_mov_b32_e32 v15, v14
.LBB2129_155:                           ; =>This Inner Loop Header: Depth=1
	s_add_i32 s31, s30, 0
	s_add_i32 s30, s30, 8
	s_cmp_lg_u32 s30, 32
	scratch_store_dwordx2 off, v[14:15], s31
	s_cbranch_scc1 .LBB2129_155
; %bb.156:
	s_mov_b32 s30, 0
.LBB2129_157:                           ; =>This Inner Loop Header: Depth=1
	s_add_i32 s31, s30, 0x70
	s_add_i32 s38, s30, 36
	scratch_load_dwordx2 v[2:3], off, s31
	scratch_load_dwordx2 v[4:5], off, s38
	s_add_i32 s31, s30, 0
	s_add_i32 s30, s30, 8
	s_cmp_lg_u32 s30, 32
	s_waitcnt vmcnt(0)
	v_add_u32_e32 v3, v5, v3
	v_add_u32_e32 v2, v4, v2
	scratch_store_dwordx2 off, v[2:3], s31
	s_cbranch_scc1 .LBB2129_157
; %bb.158:
	scratch_load_dwordx4 v[2:5], off, off
	scratch_load_dwordx4 v[6:9], off, off offset:16
.LBB2129_159:
	s_or_b64 exec, exec, s[10:11]
	v_and_b32_e32 v14, 1, v30
	v_cmp_eq_u32_e32 vcc, 1, v14
	v_and_b32_e32 v14, 1, v24
	v_cmp_eq_u32_e64 s[10:11], 1, v14
	s_or_b64 s[10:11], vcc, s[10:11]
	s_nop 0
	v_cndmask_b32_e64 v14, 0, 1, s[10:11]
	scratch_store_byte off, v14, off offset:68
	scratch_load_dword v30, off, off offset:68
	s_waitcnt vmcnt(3)
	scratch_store_dwordx4 off, v[2:5], off offset:36
	s_waitcnt vmcnt(3)
	scratch_store_dwordx4 off, v[6:9], off offset:52
.LBB2129_160:
	s_or_b64 exec, exec, s[28:29]
	v_cmp_gt_u32_e32 vcc, 56, v18
	v_add_u32_e32 v25, 8, v18
	s_nop 0
	v_cndmask_b32_e64 v14, 0, 1, vcc
	v_lshlrev_b32_e32 v14, 3, v14
	v_add_lshl_u32 v24, v14, v1, 2
	ds_bpermute_b32 v32, v24, v2
	ds_bpermute_b32 v33, v24, v3
	;; [unrolled: 1-line block ×4, first 2 shown]
	s_waitcnt vmcnt(2)
	ds_bpermute_b32 v26, v24, v30
	ds_bpermute_b32 v36, v24, v6
	;; [unrolled: 1-line block ×5, first 2 shown]
	v_cmp_le_u32_e32 vcc, v25, v11
	s_waitcnt lgkmcnt(5)
	scratch_store_dwordx4 off, v[32:35], off offset:112
	s_waitcnt lgkmcnt(0)
	scratch_store_dwordx4 off, v[36:39], off offset:128
	s_and_saveexec_b64 s[28:29], vcc
	s_cbranch_execz .LBB2129_168
; %bb.161:
	v_mov_b32_e32 v14, 0
	s_mov_b32 s30, 0
	v_cmp_eq_u16_sdwa s[38:39], v30, v14 src0_sel:BYTE_0 src1_sel:DWORD
	s_and_saveexec_b64 s[10:11], s[38:39]
	s_cbranch_execz .LBB2129_167
; %bb.162:
	v_mov_b32_e32 v15, v14
.LBB2129_163:                           ; =>This Inner Loop Header: Depth=1
	s_add_i32 s31, s30, 0
	s_add_i32 s30, s30, 8
	s_cmp_lg_u32 s30, 32
	scratch_store_dwordx2 off, v[14:15], s31
	s_cbranch_scc1 .LBB2129_163
; %bb.164:
	s_mov_b32 s30, 0
.LBB2129_165:                           ; =>This Inner Loop Header: Depth=1
	s_add_i32 s31, s30, 0x70
	s_add_i32 s38, s30, 36
	scratch_load_dwordx2 v[2:3], off, s31
	scratch_load_dwordx2 v[4:5], off, s38
	s_add_i32 s31, s30, 0
	s_add_i32 s30, s30, 8
	s_cmp_lg_u32 s30, 32
	s_waitcnt vmcnt(0)
	v_add_u32_e32 v3, v5, v3
	v_add_u32_e32 v2, v4, v2
	scratch_store_dwordx2 off, v[2:3], s31
	s_cbranch_scc1 .LBB2129_165
; %bb.166:
	scratch_load_dwordx4 v[2:5], off, off
	scratch_load_dwordx4 v[6:9], off, off offset:16
.LBB2129_167:
	s_or_b64 exec, exec, s[10:11]
	v_and_b32_e32 v14, 1, v30
	v_cmp_eq_u32_e32 vcc, 1, v14
	v_and_b32_e32 v14, 1, v26
	v_cmp_eq_u32_e64 s[10:11], 1, v14
	s_or_b64 s[10:11], vcc, s[10:11]
	s_nop 0
	v_cndmask_b32_e64 v14, 0, 1, s[10:11]
	scratch_store_byte off, v14, off offset:68
	scratch_load_dword v30, off, off offset:68
	s_waitcnt vmcnt(3)
	scratch_store_dwordx4 off, v[2:5], off offset:36
	s_waitcnt vmcnt(3)
	scratch_store_dwordx4 off, v[6:9], off offset:52
.LBB2129_168:
	s_or_b64 exec, exec, s[28:29]
	v_cmp_gt_u32_e32 vcc, 48, v18
	v_add_u32_e32 v27, 16, v18
	s_nop 0
	v_cndmask_b32_e64 v14, 0, 1, vcc
	v_lshlrev_b32_e32 v14, 4, v14
	v_add_lshl_u32 v26, v14, v1, 2
	ds_bpermute_b32 v32, v26, v2
	ds_bpermute_b32 v33, v26, v3
	;; [unrolled: 1-line block ×4, first 2 shown]
	s_waitcnt vmcnt(2)
	ds_bpermute_b32 v28, v26, v30
	ds_bpermute_b32 v36, v26, v6
	ds_bpermute_b32 v37, v26, v7
	ds_bpermute_b32 v38, v26, v8
	ds_bpermute_b32 v39, v26, v9
	v_cmp_le_u32_e32 vcc, v27, v11
	s_waitcnt lgkmcnt(5)
	scratch_store_dwordx4 off, v[32:35], off offset:112
	s_waitcnt lgkmcnt(0)
	scratch_store_dwordx4 off, v[36:39], off offset:128
	s_and_saveexec_b64 s[28:29], vcc
	s_cbranch_execz .LBB2129_176
; %bb.169:
	v_mov_b32_e32 v14, 0
	s_mov_b32 s30, 0
	v_cmp_eq_u16_sdwa s[38:39], v30, v14 src0_sel:BYTE_0 src1_sel:DWORD
	s_and_saveexec_b64 s[10:11], s[38:39]
	s_cbranch_execz .LBB2129_175
; %bb.170:
	v_mov_b32_e32 v15, v14
.LBB2129_171:                           ; =>This Inner Loop Header: Depth=1
	s_add_i32 s31, s30, 0
	s_add_i32 s30, s30, 8
	s_cmp_lg_u32 s30, 32
	scratch_store_dwordx2 off, v[14:15], s31
	s_cbranch_scc1 .LBB2129_171
; %bb.172:
	s_mov_b32 s30, 0
.LBB2129_173:                           ; =>This Inner Loop Header: Depth=1
	s_add_i32 s31, s30, 0x70
	s_add_i32 s38, s30, 36
	scratch_load_dwordx2 v[2:3], off, s31
	scratch_load_dwordx2 v[4:5], off, s38
	s_add_i32 s31, s30, 0
	s_add_i32 s30, s30, 8
	s_cmp_lg_u32 s30, 32
	s_waitcnt vmcnt(0)
	v_add_u32_e32 v3, v5, v3
	v_add_u32_e32 v2, v4, v2
	scratch_store_dwordx2 off, v[2:3], s31
	s_cbranch_scc1 .LBB2129_173
; %bb.174:
	scratch_load_dwordx4 v[2:5], off, off
	scratch_load_dwordx4 v[6:9], off, off offset:16
.LBB2129_175:
	s_or_b64 exec, exec, s[10:11]
	v_and_b32_e32 v14, 1, v30
	v_cmp_eq_u32_e32 vcc, 1, v14
	v_and_b32_e32 v14, 1, v28
	v_cmp_eq_u32_e64 s[10:11], 1, v14
	s_or_b64 s[10:11], vcc, s[10:11]
	s_nop 0
	v_cndmask_b32_e64 v14, 0, 1, s[10:11]
	scratch_store_byte off, v14, off offset:68
	scratch_load_dword v30, off, off offset:68
	s_waitcnt vmcnt(3)
	scratch_store_dwordx4 off, v[2:5], off offset:36
	s_waitcnt vmcnt(3)
	scratch_store_dwordx4 off, v[6:9], off offset:52
.LBB2129_176:
	s_or_b64 exec, exec, s[28:29]
	v_cmp_gt_u32_e32 vcc, 32, v18
	v_add_u32_e32 v29, 32, v18
	s_nop 0
	v_cndmask_b32_e64 v14, 0, 1, vcc
	v_lshlrev_b32_e32 v14, 5, v14
	v_add_lshl_u32 v28, v14, v1, 2
	ds_bpermute_b32 v32, v28, v2
	ds_bpermute_b32 v33, v28, v3
	;; [unrolled: 1-line block ×4, first 2 shown]
	s_waitcnt vmcnt(2)
	ds_bpermute_b32 v1, v28, v30
	ds_bpermute_b32 v36, v28, v6
	;; [unrolled: 1-line block ×5, first 2 shown]
	v_cmp_le_u32_e32 vcc, v29, v11
	s_waitcnt lgkmcnt(5)
	scratch_store_dwordx4 off, v[32:35], off offset:112
	s_waitcnt lgkmcnt(0)
	scratch_store_dwordx4 off, v[36:39], off offset:128
	s_and_saveexec_b64 s[28:29], vcc
	s_cbranch_execz .LBB2129_184
; %bb.177:
	v_mov_b32_e32 v14, 0
	s_mov_b32 s30, 0
	v_cmp_eq_u16_sdwa s[38:39], v30, v14 src0_sel:BYTE_0 src1_sel:DWORD
	s_and_saveexec_b64 s[10:11], s[38:39]
	s_cbranch_execz .LBB2129_183
; %bb.178:
	v_mov_b32_e32 v15, v14
.LBB2129_179:                           ; =>This Inner Loop Header: Depth=1
	s_add_i32 s31, s30, 0
	s_add_i32 s30, s30, 8
	s_cmp_lg_u32 s30, 32
	scratch_store_dwordx2 off, v[14:15], s31
	s_cbranch_scc1 .LBB2129_179
; %bb.180:
	s_mov_b32 s30, 0
.LBB2129_181:                           ; =>This Inner Loop Header: Depth=1
	s_add_i32 s31, s30, 0x70
	s_add_i32 s38, s30, 36
	scratch_load_dwordx2 v[2:3], off, s31
	scratch_load_dwordx2 v[4:5], off, s38
	s_add_i32 s31, s30, 0
	s_add_i32 s30, s30, 8
	s_cmp_lg_u32 s30, 32
	s_waitcnt vmcnt(0)
	v_add_u32_e32 v3, v5, v3
	v_add_u32_e32 v2, v4, v2
	scratch_store_dwordx2 off, v[2:3], s31
	s_cbranch_scc1 .LBB2129_181
; %bb.182:
	scratch_load_dwordx4 v[2:5], off, off
	scratch_load_dwordx4 v[6:9], off, off offset:16
.LBB2129_183:
	s_or_b64 exec, exec, s[10:11]
	v_and_b32_e32 v11, 1, v30
	v_and_b32_e32 v1, 1, v1
	v_cmp_eq_u32_e32 vcc, 1, v11
	v_cmp_eq_u32_e64 s[10:11], 1, v1
	s_or_b64 s[10:11], vcc, s[10:11]
	s_nop 0
	v_cndmask_b32_e64 v1, 0, 1, s[10:11]
	s_waitcnt vmcnt(1)
	scratch_store_dwordx4 off, v[2:5], off offset:36
	s_waitcnt vmcnt(1)
	scratch_store_dwordx4 off, v[6:9], off offset:52
	scratch_store_byte off, v1, off offset:68
.LBB2129_184:
	s_or_b64 exec, exec, s[28:29]
	scratch_load_dwordx4 v[2:5], off, off offset:36
	scratch_load_dwordx4 v[30:33], off, off offset:52
	scratch_load_dword v1, off, off offset:68
	s_load_dwordx2 s[0:1], s[0:1], 0x4
	v_bfe_u32 v6, v0, 10, 10
	v_bfe_u32 v0, v0, 20, 10
	v_mov_b32_e32 v7, 0x6000
	v_mov_b32_e32 v8, 0
	s_waitcnt lgkmcnt(0)
	s_lshr_b32 s0, s0, 16
	s_mul_i32 s0, s0, s1
	v_mul_u32_u24_e32 v6, s1, v6
	v_mul_lo_u32 v9, s0, v16
	v_add3_u32 v0, v9, v6, v0
	v_lshl_add_u32 v14, v0, 5, v7
	v_mov_b32_e32 v15, 2
	s_waitcnt vmcnt(2)
	scratch_store_dwordx4 off, v[2:5], off
	s_waitcnt vmcnt(2)
	scratch_store_dwordx4 off, v[30:33], off offset:16
	s_waitcnt vmcnt(2)
	scratch_store_dword off, v1, off offset:32
	s_branch .LBB2129_186
.LBB2129_185:                           ;   in Loop: Header=BB2129_186 Depth=1
	s_or_b64 exec, exec, s[10:11]
	v_and_b32_e32 v9, 1, v11
	v_cmp_eq_u32_e32 vcc, 1, v9
	s_or_b64 s[0:1], vcc, s[0:1]
	v_subrev_u32_e32 v10, 64, v10
	v_cndmask_b32_e64 v9, 0, 1, s[0:1]
	s_waitcnt vmcnt(1)
	scratch_store_dwordx4 off, v[0:3], off
	s_waitcnt vmcnt(1)
	scratch_store_dwordx4 off, v[4:7], off offset:16
	scratch_store_byte off, v9, off offset:32
.LBB2129_186:                           ; =>This Loop Header: Depth=1
                                        ;     Child Loop BB2129_189 Depth 2
                                        ;       Child Loop BB2129_190 Depth 3
                                        ;     Child Loop BB2129_194 Depth 2
                                        ;     Child Loop BB2129_198 Depth 2
                                        ;     Child Loop BB2129_200 Depth 2
                                        ;     Child Loop BB2129_206 Depth 2
                                        ;     Child Loop BB2129_208 Depth 2
                                        ;     Child Loop BB2129_214 Depth 2
                                        ;     Child Loop BB2129_216 Depth 2
                                        ;     Child Loop BB2129_222 Depth 2
                                        ;     Child Loop BB2129_224 Depth 2
                                        ;     Child Loop BB2129_230 Depth 2
                                        ;     Child Loop BB2129_232 Depth 2
                                        ;     Child Loop BB2129_238 Depth 2
                                        ;     Child Loop BB2129_240 Depth 2
                                        ;     Child Loop BB2129_247 Depth 2
                                        ;     Child Loop BB2129_249 Depth 2
	v_cmp_ne_u16_sdwa s[0:1], v17, v15 src0_sel:BYTE_0 src1_sel:DWORD
	s_nop 1
	v_cndmask_b32_e64 v0, 0, 1, s[0:1]
	;;#ASMSTART
	;;#ASMEND
	s_nop 0
	v_cmp_ne_u32_e32 vcc, 0, v0
	s_cmp_lg_u64 vcc, exec
	s_cbranch_scc1 .LBB2129_251
; %bb.187:                              ;   in Loop: Header=BB2129_186 Depth=1
	global_load_ubyte v17, v10, s[20:21] sc1
	v_mov_b32_e32 v11, v8
	s_waitcnt vmcnt(0)
	v_cmp_eq_u16_e32 vcc, 0, v17
	s_and_saveexec_b64 s[0:1], vcc
	s_cbranch_execz .LBB2129_193
; %bb.188:                              ;   in Loop: Header=BB2129_186 Depth=1
	v_lshl_add_u64 v[0:1], s[20:21], 0, v[10:11]
	s_mov_b32 s28, 1
	s_mov_b64 s[10:11], 0
.LBB2129_189:                           ;   Parent Loop BB2129_186 Depth=1
                                        ; =>  This Loop Header: Depth=2
                                        ;       Child Loop BB2129_190 Depth 3
	s_max_u32 s29, s28, 1
.LBB2129_190:                           ;   Parent Loop BB2129_186 Depth=1
                                        ;     Parent Loop BB2129_189 Depth=2
                                        ; =>    This Inner Loop Header: Depth=3
	s_add_i32 s29, s29, -1
	s_cmp_eq_u32 s29, 0
	s_sleep 1
	s_cbranch_scc0 .LBB2129_190
; %bb.191:                              ;   in Loop: Header=BB2129_189 Depth=2
	global_load_ubyte v17, v[0:1], off sc1
	s_cmp_lt_u32 s28, 32
	s_cselect_b64 s[30:31], -1, 0
	s_cmp_lg_u64 s[30:31], 0
	s_addc_u32 s28, s28, 0
	s_waitcnt vmcnt(0)
	v_cmp_ne_u16_e32 vcc, 0, v17
	s_or_b64 s[10:11], vcc, s[10:11]
	s_andn2_b64 exec, exec, s[10:11]
	s_cbranch_execnz .LBB2129_189
; %bb.192:                              ;   in Loop: Header=BB2129_186 Depth=1
	s_or_b64 exec, exec, s[10:11]
.LBB2129_193:                           ;   in Loop: Header=BB2129_186 Depth=1
	s_or_b64 exec, exec, s[0:1]
	v_mov_b32_e32 v0, s19
	v_mov_b32_e32 v1, s17
	v_cmp_eq_u16_e32 vcc, 1, v17
	v_mov_b32_e32 v2, s16
	s_waitcnt vmcnt(0)
	v_cndmask_b32_e32 v1, v0, v1, vcc
	v_mov_b32_e32 v0, s18
	v_cndmask_b32_e32 v0, v0, v2, vcc
	v_mad_u64_u32 v[30:31], s[0:1], v10, 36, v[0:1]
	global_load_dword v0, v[30:31], off sc1
	global_load_dword v1, v[30:31], off offset:4 sc1
	global_load_dword v2, v[30:31], off offset:8 sc1
	global_load_dword v3, v[30:31], off offset:12 sc1
	global_load_dword v4, v[30:31], off offset:16 sc1
	global_load_dword v5, v[30:31], off offset:20 sc1
	global_load_dword v6, v[30:31], off offset:24 sc1
	global_load_dword v7, v[30:31], off offset:28 sc1
	global_load_dword v9, v[30:31], off offset:32 sc1
	s_mov_b32 s0, 0
	scratch_store_dword off, v8, off offset:144
	s_waitcnt vmcnt(6)
	scratch_store_dwordx4 off, v[0:3], off offset:36
	s_waitcnt vmcnt(3)
	scratch_store_dwordx4 off, v[4:7], off offset:52
	s_waitcnt vmcnt(3)
	scratch_store_byte off, v9, off offset:68
.LBB2129_194:                           ;   Parent Loop BB2129_186 Depth=1
                                        ; =>  This Inner Loop Header: Depth=2
	s_add_i32 s1, s0, 0x70
	s_add_i32 s0, s0, 8
	v_mov_b32_e32 v9, v8
	s_cmp_lg_u32 s0, 32
	scratch_store_dwordx2 off, v[8:9], s1
	s_cbranch_scc1 .LBB2129_194
; %bb.195:                              ;   in Loop: Header=BB2129_186 Depth=1
	scratch_load_dword v11, off, off offset:68
	v_cmp_eq_u16_e32 vcc, 2, v17
	ds_bpermute_b32 v32, v19, v0
	ds_bpermute_b32 v33, v19, v1
	v_and_b32_e32 v9, vcc_hi, v13
	v_and_b32_e32 v30, vcc_lo, v12
	v_or_b32_e32 v9, 0x80000000, v9
	ds_bpermute_b32 v34, v19, v2
	ds_bpermute_b32 v35, v19, v3
	v_ffbl_b32_e32 v31, v30
	v_ffbl_b32_e32 v9, v9
	ds_bpermute_b32 v36, v19, v4
	ds_bpermute_b32 v37, v19, v5
	;; [unrolled: 1-line block ×4, first 2 shown]
	v_add_u32_e32 v9, 32, v9
	v_min_u32_e32 v9, v31, v9
	v_cmp_lt_u32_e32 vcc, v18, v9
	s_waitcnt lgkmcnt(4)
	scratch_store_dwordx4 off, v[32:35], off offset:112
	s_waitcnt lgkmcnt(0)
	scratch_store_dwordx4 off, v[36:39], off offset:128
	s_waitcnt vmcnt(2)
	ds_bpermute_b32 v30, v19, v11
	s_and_saveexec_b64 s[0:1], vcc
	s_cbranch_execz .LBB2129_203
; %bb.196:                              ;   in Loop: Header=BB2129_186 Depth=1
	v_cmp_eq_u16_sdwa s[28:29], v11, v8 src0_sel:BYTE_0 src1_sel:DWORD
	s_and_saveexec_b64 s[10:11], s[28:29]
	s_cbranch_execz .LBB2129_202
; %bb.197:                              ;   in Loop: Header=BB2129_186 Depth=1
	s_mov_b32 s28, 0
.LBB2129_198:                           ;   Parent Loop BB2129_186 Depth=1
                                        ; =>  This Inner Loop Header: Depth=2
	v_add_u32_e32 v0, s28, v14
	s_add_i32 s28, s28, 8
	s_cmp_lg_u32 s28, 32
	ds_write2_b32 v0, v8, v8 offset1:1
	s_cbranch_scc1 .LBB2129_198
; %bb.199:                              ;   in Loop: Header=BB2129_186 Depth=1
	s_mov_b32 s28, 0
.LBB2129_200:                           ;   Parent Loop BB2129_186 Depth=1
                                        ; =>  This Inner Loop Header: Depth=2
	s_add_i32 s29, s28, 0x70
	s_add_i32 s30, s28, 36
	scratch_load_dwordx2 v[0:1], off, s29
	scratch_load_dwordx2 v[2:3], off, s30
	v_add_u32_e32 v4, s28, v14
	s_add_i32 s28, s28, 8
	s_cmp_lg_u32 s28, 32
	s_waitcnt vmcnt(0)
	v_add_u32_e32 v1, v3, v1
	v_add_u32_e32 v0, v2, v0
	ds_write2_b32 v4, v0, v1 offset1:1
	s_cbranch_scc1 .LBB2129_200
; %bb.201:                              ;   in Loop: Header=BB2129_186 Depth=1
	ds_read2_b32 v[0:1], v14 offset1:1
	ds_read2_b32 v[2:3], v14 offset0:2 offset1:3
	ds_read2_b32 v[4:5], v14 offset0:4 offset1:5
	;; [unrolled: 1-line block ×3, first 2 shown]
.LBB2129_202:                           ;   in Loop: Header=BB2129_186 Depth=1
	s_or_b64 exec, exec, s[10:11]
	s_waitcnt lgkmcnt(0)
	v_or_b32_e32 v11, v30, v11
	v_and_b32_e32 v11, 1, v11
	scratch_store_byte off, v11, off offset:68
	scratch_load_dword v11, off, off offset:68
	s_nop 0
	scratch_store_dwordx4 off, v[0:3], off offset:36
	scratch_store_dwordx4 off, v[4:7], off offset:52
.LBB2129_203:                           ;   in Loop: Header=BB2129_186 Depth=1
	s_or_b64 exec, exec, s[0:1]
	ds_bpermute_b32 v32, v20, v0
	ds_bpermute_b32 v33, v20, v1
	;; [unrolled: 1-line block ×4, first 2 shown]
	s_waitcnt vmcnt(2) lgkmcnt(4)
	ds_bpermute_b32 v30, v20, v11
	ds_bpermute_b32 v36, v20, v4
	;; [unrolled: 1-line block ×5, first 2 shown]
	v_cmp_le_u32_e32 vcc, v21, v9
	s_waitcnt lgkmcnt(5)
	scratch_store_dwordx4 off, v[32:35], off offset:112
	s_waitcnt lgkmcnt(0)
	scratch_store_dwordx4 off, v[36:39], off offset:128
	s_and_saveexec_b64 s[10:11], vcc
	s_cbranch_execz .LBB2129_211
; %bb.204:                              ;   in Loop: Header=BB2129_186 Depth=1
	v_cmp_eq_u16_sdwa s[28:29], v11, v8 src0_sel:BYTE_0 src1_sel:DWORD
	s_and_saveexec_b64 s[0:1], s[28:29]
	s_cbranch_execz .LBB2129_210
; %bb.205:                              ;   in Loop: Header=BB2129_186 Depth=1
	s_mov_b32 s28, 0
.LBB2129_206:                           ;   Parent Loop BB2129_186 Depth=1
                                        ; =>  This Inner Loop Header: Depth=2
	v_add_u32_e32 v0, s28, v14
	s_add_i32 s28, s28, 8
	s_cmp_lg_u32 s28, 32
	ds_write2_b32 v0, v8, v8 offset1:1
	s_cbranch_scc1 .LBB2129_206
; %bb.207:                              ;   in Loop: Header=BB2129_186 Depth=1
	s_mov_b32 s28, 0
.LBB2129_208:                           ;   Parent Loop BB2129_186 Depth=1
                                        ; =>  This Inner Loop Header: Depth=2
	s_add_i32 s29, s28, 0x70
	s_add_i32 s30, s28, 36
	scratch_load_dwordx2 v[0:1], off, s29
	scratch_load_dwordx2 v[2:3], off, s30
	v_add_u32_e32 v4, s28, v14
	s_add_i32 s28, s28, 8
	s_cmp_lg_u32 s28, 32
	s_waitcnt vmcnt(0)
	v_add_u32_e32 v1, v3, v1
	v_add_u32_e32 v0, v2, v0
	ds_write2_b32 v4, v0, v1 offset1:1
	s_cbranch_scc1 .LBB2129_208
; %bb.209:                              ;   in Loop: Header=BB2129_186 Depth=1
	ds_read2_b32 v[0:1], v14 offset1:1
	ds_read2_b32 v[2:3], v14 offset0:2 offset1:3
	ds_read2_b32 v[4:5], v14 offset0:4 offset1:5
	;; [unrolled: 1-line block ×3, first 2 shown]
.LBB2129_210:                           ;   in Loop: Header=BB2129_186 Depth=1
	s_or_b64 exec, exec, s[0:1]
	v_and_b32_e32 v11, 1, v11
	v_cmp_eq_u32_e32 vcc, 1, v11
	v_and_b32_e32 v11, 1, v30
	v_cmp_eq_u32_e64 s[0:1], 1, v11
	s_or_b64 s[0:1], vcc, s[0:1]
	s_nop 0
	v_cndmask_b32_e64 v11, 0, 1, s[0:1]
	scratch_store_byte off, v11, off offset:68
	scratch_load_dword v11, off, off offset:68
	s_waitcnt lgkmcnt(2)
	scratch_store_dwordx4 off, v[0:3], off offset:36
	s_waitcnt lgkmcnt(0)
	scratch_store_dwordx4 off, v[4:7], off offset:52
.LBB2129_211:                           ;   in Loop: Header=BB2129_186 Depth=1
	s_or_b64 exec, exec, s[10:11]
	ds_bpermute_b32 v32, v22, v0
	ds_bpermute_b32 v33, v22, v1
	;; [unrolled: 1-line block ×4, first 2 shown]
	s_waitcnt vmcnt(2)
	ds_bpermute_b32 v30, v22, v11
	ds_bpermute_b32 v36, v22, v4
	;; [unrolled: 1-line block ×5, first 2 shown]
	v_cmp_le_u32_e32 vcc, v23, v9
	s_waitcnt lgkmcnt(5)
	scratch_store_dwordx4 off, v[32:35], off offset:112
	s_waitcnt lgkmcnt(0)
	scratch_store_dwordx4 off, v[36:39], off offset:128
	s_and_saveexec_b64 s[10:11], vcc
	s_cbranch_execz .LBB2129_219
; %bb.212:                              ;   in Loop: Header=BB2129_186 Depth=1
	v_cmp_eq_u16_sdwa s[28:29], v11, v8 src0_sel:BYTE_0 src1_sel:DWORD
	s_and_saveexec_b64 s[0:1], s[28:29]
	s_cbranch_execz .LBB2129_218
; %bb.213:                              ;   in Loop: Header=BB2129_186 Depth=1
	s_mov_b32 s28, 0
.LBB2129_214:                           ;   Parent Loop BB2129_186 Depth=1
                                        ; =>  This Inner Loop Header: Depth=2
	v_add_u32_e32 v0, s28, v14
	s_add_i32 s28, s28, 8
	s_cmp_lg_u32 s28, 32
	ds_write2_b32 v0, v8, v8 offset1:1
	s_cbranch_scc1 .LBB2129_214
; %bb.215:                              ;   in Loop: Header=BB2129_186 Depth=1
	s_mov_b32 s28, 0
.LBB2129_216:                           ;   Parent Loop BB2129_186 Depth=1
                                        ; =>  This Inner Loop Header: Depth=2
	s_add_i32 s29, s28, 0x70
	s_add_i32 s30, s28, 36
	scratch_load_dwordx2 v[0:1], off, s29
	scratch_load_dwordx2 v[2:3], off, s30
	v_add_u32_e32 v4, s28, v14
	s_add_i32 s28, s28, 8
	s_cmp_lg_u32 s28, 32
	s_waitcnt vmcnt(0)
	v_add_u32_e32 v1, v3, v1
	v_add_u32_e32 v0, v2, v0
	ds_write2_b32 v4, v0, v1 offset1:1
	s_cbranch_scc1 .LBB2129_216
; %bb.217:                              ;   in Loop: Header=BB2129_186 Depth=1
	ds_read2_b32 v[0:1], v14 offset1:1
	ds_read2_b32 v[2:3], v14 offset0:2 offset1:3
	ds_read2_b32 v[4:5], v14 offset0:4 offset1:5
	;; [unrolled: 1-line block ×3, first 2 shown]
.LBB2129_218:                           ;   in Loop: Header=BB2129_186 Depth=1
	s_or_b64 exec, exec, s[0:1]
	v_and_b32_e32 v11, 1, v11
	v_cmp_eq_u32_e32 vcc, 1, v11
	v_and_b32_e32 v11, 1, v30
	v_cmp_eq_u32_e64 s[0:1], 1, v11
	s_or_b64 s[0:1], vcc, s[0:1]
	s_nop 0
	v_cndmask_b32_e64 v11, 0, 1, s[0:1]
	scratch_store_byte off, v11, off offset:68
	scratch_load_dword v11, off, off offset:68
	s_waitcnt lgkmcnt(2)
	scratch_store_dwordx4 off, v[0:3], off offset:36
	s_waitcnt lgkmcnt(0)
	scratch_store_dwordx4 off, v[4:7], off offset:52
.LBB2129_219:                           ;   in Loop: Header=BB2129_186 Depth=1
	s_or_b64 exec, exec, s[10:11]
	ds_bpermute_b32 v32, v24, v0
	ds_bpermute_b32 v33, v24, v1
	;; [unrolled: 1-line block ×4, first 2 shown]
	s_waitcnt vmcnt(2)
	ds_bpermute_b32 v30, v24, v11
	ds_bpermute_b32 v36, v24, v4
	;; [unrolled: 1-line block ×5, first 2 shown]
	v_cmp_le_u32_e32 vcc, v25, v9
	s_waitcnt lgkmcnt(5)
	scratch_store_dwordx4 off, v[32:35], off offset:112
	s_waitcnt lgkmcnt(0)
	scratch_store_dwordx4 off, v[36:39], off offset:128
	s_and_saveexec_b64 s[10:11], vcc
	s_cbranch_execz .LBB2129_227
; %bb.220:                              ;   in Loop: Header=BB2129_186 Depth=1
	v_cmp_eq_u16_sdwa s[28:29], v11, v8 src0_sel:BYTE_0 src1_sel:DWORD
	s_and_saveexec_b64 s[0:1], s[28:29]
	s_cbranch_execz .LBB2129_226
; %bb.221:                              ;   in Loop: Header=BB2129_186 Depth=1
	s_mov_b32 s28, 0
.LBB2129_222:                           ;   Parent Loop BB2129_186 Depth=1
                                        ; =>  This Inner Loop Header: Depth=2
	v_add_u32_e32 v0, s28, v14
	s_add_i32 s28, s28, 8
	s_cmp_lg_u32 s28, 32
	ds_write2_b32 v0, v8, v8 offset1:1
	s_cbranch_scc1 .LBB2129_222
; %bb.223:                              ;   in Loop: Header=BB2129_186 Depth=1
	s_mov_b32 s28, 0
.LBB2129_224:                           ;   Parent Loop BB2129_186 Depth=1
                                        ; =>  This Inner Loop Header: Depth=2
	s_add_i32 s29, s28, 0x70
	s_add_i32 s30, s28, 36
	scratch_load_dwordx2 v[0:1], off, s29
	scratch_load_dwordx2 v[2:3], off, s30
	v_add_u32_e32 v4, s28, v14
	s_add_i32 s28, s28, 8
	s_cmp_lg_u32 s28, 32
	s_waitcnt vmcnt(0)
	v_add_u32_e32 v1, v3, v1
	v_add_u32_e32 v0, v2, v0
	ds_write2_b32 v4, v0, v1 offset1:1
	s_cbranch_scc1 .LBB2129_224
; %bb.225:                              ;   in Loop: Header=BB2129_186 Depth=1
	ds_read2_b32 v[0:1], v14 offset1:1
	ds_read2_b32 v[2:3], v14 offset0:2 offset1:3
	ds_read2_b32 v[4:5], v14 offset0:4 offset1:5
	;; [unrolled: 1-line block ×3, first 2 shown]
.LBB2129_226:                           ;   in Loop: Header=BB2129_186 Depth=1
	s_or_b64 exec, exec, s[0:1]
	v_and_b32_e32 v11, 1, v11
	v_cmp_eq_u32_e32 vcc, 1, v11
	v_and_b32_e32 v11, 1, v30
	v_cmp_eq_u32_e64 s[0:1], 1, v11
	s_or_b64 s[0:1], vcc, s[0:1]
	s_nop 0
	v_cndmask_b32_e64 v11, 0, 1, s[0:1]
	scratch_store_byte off, v11, off offset:68
	scratch_load_dword v11, off, off offset:68
	s_waitcnt lgkmcnt(2)
	scratch_store_dwordx4 off, v[0:3], off offset:36
	s_waitcnt lgkmcnt(0)
	scratch_store_dwordx4 off, v[4:7], off offset:52
.LBB2129_227:                           ;   in Loop: Header=BB2129_186 Depth=1
	s_or_b64 exec, exec, s[10:11]
	ds_bpermute_b32 v32, v26, v0
	ds_bpermute_b32 v33, v26, v1
	;; [unrolled: 1-line block ×4, first 2 shown]
	s_waitcnt vmcnt(2)
	ds_bpermute_b32 v30, v26, v11
	ds_bpermute_b32 v36, v26, v4
	;; [unrolled: 1-line block ×5, first 2 shown]
	v_cmp_le_u32_e32 vcc, v27, v9
	s_waitcnt lgkmcnt(5)
	scratch_store_dwordx4 off, v[32:35], off offset:112
	s_waitcnt lgkmcnt(0)
	scratch_store_dwordx4 off, v[36:39], off offset:128
	s_and_saveexec_b64 s[10:11], vcc
	s_cbranch_execz .LBB2129_235
; %bb.228:                              ;   in Loop: Header=BB2129_186 Depth=1
	v_cmp_eq_u16_sdwa s[28:29], v11, v8 src0_sel:BYTE_0 src1_sel:DWORD
	s_and_saveexec_b64 s[0:1], s[28:29]
	s_cbranch_execz .LBB2129_234
; %bb.229:                              ;   in Loop: Header=BB2129_186 Depth=1
	s_mov_b32 s28, 0
.LBB2129_230:                           ;   Parent Loop BB2129_186 Depth=1
                                        ; =>  This Inner Loop Header: Depth=2
	v_add_u32_e32 v0, s28, v14
	s_add_i32 s28, s28, 8
	s_cmp_lg_u32 s28, 32
	ds_write2_b32 v0, v8, v8 offset1:1
	s_cbranch_scc1 .LBB2129_230
; %bb.231:                              ;   in Loop: Header=BB2129_186 Depth=1
	s_mov_b32 s28, 0
.LBB2129_232:                           ;   Parent Loop BB2129_186 Depth=1
                                        ; =>  This Inner Loop Header: Depth=2
	s_add_i32 s29, s28, 0x70
	s_add_i32 s30, s28, 36
	scratch_load_dwordx2 v[0:1], off, s29
	scratch_load_dwordx2 v[2:3], off, s30
	v_add_u32_e32 v4, s28, v14
	s_add_i32 s28, s28, 8
	s_cmp_lg_u32 s28, 32
	s_waitcnt vmcnt(0)
	v_add_u32_e32 v1, v3, v1
	v_add_u32_e32 v0, v2, v0
	ds_write2_b32 v4, v0, v1 offset1:1
	s_cbranch_scc1 .LBB2129_232
; %bb.233:                              ;   in Loop: Header=BB2129_186 Depth=1
	ds_read2_b32 v[0:1], v14 offset1:1
	ds_read2_b32 v[2:3], v14 offset0:2 offset1:3
	ds_read2_b32 v[4:5], v14 offset0:4 offset1:5
	;; [unrolled: 1-line block ×3, first 2 shown]
.LBB2129_234:                           ;   in Loop: Header=BB2129_186 Depth=1
	s_or_b64 exec, exec, s[0:1]
	v_and_b32_e32 v11, 1, v11
	v_cmp_eq_u32_e32 vcc, 1, v11
	v_and_b32_e32 v11, 1, v30
	v_cmp_eq_u32_e64 s[0:1], 1, v11
	s_or_b64 s[0:1], vcc, s[0:1]
	s_nop 0
	v_cndmask_b32_e64 v11, 0, 1, s[0:1]
	scratch_store_byte off, v11, off offset:68
	scratch_load_dword v11, off, off offset:68
	s_waitcnt lgkmcnt(2)
	scratch_store_dwordx4 off, v[0:3], off offset:36
	s_waitcnt lgkmcnt(0)
	scratch_store_dwordx4 off, v[4:7], off offset:52
.LBB2129_235:                           ;   in Loop: Header=BB2129_186 Depth=1
	s_or_b64 exec, exec, s[10:11]
	ds_bpermute_b32 v32, v28, v0
	ds_bpermute_b32 v33, v28, v1
	;; [unrolled: 1-line block ×4, first 2 shown]
	s_waitcnt vmcnt(2)
	ds_bpermute_b32 v30, v28, v11
	ds_bpermute_b32 v36, v28, v4
	;; [unrolled: 1-line block ×5, first 2 shown]
	v_cmp_le_u32_e32 vcc, v29, v9
	v_and_b32_e32 v9, 1, v11
	v_cmp_eq_u32_e64 s[0:1], 1, v9
	s_waitcnt lgkmcnt(5)
	scratch_store_dwordx4 off, v[32:35], off offset:112
	s_waitcnt lgkmcnt(0)
	scratch_store_dwordx4 off, v[36:39], off offset:128
	s_and_saveexec_b64 s[10:11], vcc
	s_cbranch_execz .LBB2129_243
; %bb.236:                              ;   in Loop: Header=BB2129_186 Depth=1
	v_cmp_eq_u16_sdwa s[30:31], v11, v8 src0_sel:BYTE_0 src1_sel:DWORD
	s_and_saveexec_b64 s[28:29], s[30:31]
	s_cbranch_execz .LBB2129_242
; %bb.237:                              ;   in Loop: Header=BB2129_186 Depth=1
	s_mov_b32 s30, 0
.LBB2129_238:                           ;   Parent Loop BB2129_186 Depth=1
                                        ; =>  This Inner Loop Header: Depth=2
	v_add_u32_e32 v0, s30, v14
	s_add_i32 s30, s30, 8
	s_cmp_lg_u32 s30, 32
	ds_write2_b32 v0, v8, v8 offset1:1
	s_cbranch_scc1 .LBB2129_238
; %bb.239:                              ;   in Loop: Header=BB2129_186 Depth=1
	s_mov_b32 s30, 0
.LBB2129_240:                           ;   Parent Loop BB2129_186 Depth=1
                                        ; =>  This Inner Loop Header: Depth=2
	s_add_i32 s31, s30, 0x70
	s_add_i32 s38, s30, 36
	scratch_load_dwordx2 v[0:1], off, s31
	scratch_load_dwordx2 v[2:3], off, s38
	v_add_u32_e32 v4, s30, v14
	s_add_i32 s30, s30, 8
	s_cmp_lg_u32 s30, 32
	s_waitcnt vmcnt(0)
	v_add_u32_e32 v1, v3, v1
	v_add_u32_e32 v0, v2, v0
	ds_write2_b32 v4, v0, v1 offset1:1
	s_cbranch_scc1 .LBB2129_240
; %bb.241:                              ;   in Loop: Header=BB2129_186 Depth=1
	ds_read2_b32 v[0:1], v14 offset1:1
	ds_read2_b32 v[2:3], v14 offset0:2 offset1:3
	ds_read2_b32 v[4:5], v14 offset0:4 offset1:5
	;; [unrolled: 1-line block ×3, first 2 shown]
.LBB2129_242:                           ;   in Loop: Header=BB2129_186 Depth=1
	s_or_b64 exec, exec, s[28:29]
	v_and_b32_e32 v9, 1, v30
	v_cmp_eq_u32_e32 vcc, 1, v9
	s_or_b64 s[28:29], s[0:1], vcc
	v_cndmask_b32_e64 v9, 0, 1, s[28:29]
	s_andn2_b64 s[0:1], s[0:1], exec
	s_and_b64 s[28:29], s[28:29], exec
	s_or_b64 s[0:1], s[0:1], s[28:29]
	s_waitcnt lgkmcnt(2)
	scratch_store_dwordx4 off, v[0:3], off offset:36
	s_waitcnt lgkmcnt(0)
	scratch_store_dwordx4 off, v[4:7], off offset:52
	scratch_store_byte off, v9, off offset:68
.LBB2129_243:                           ;   in Loop: Header=BB2129_186 Depth=1
	s_or_b64 exec, exec, s[10:11]
	scratch_load_ubyte v11, off, off offset:32
                                        ; implicit-def: $vgpr6_vgpr7
                                        ; implicit-def: $vgpr2_vgpr3
	s_waitcnt vmcnt(0)
	v_cmp_ne_u16_e32 vcc, 0, v11
	s_and_saveexec_b64 s[10:11], vcc
	s_xor_b64 s[10:11], exec, s[10:11]
	s_cbranch_execz .LBB2129_245
; %bb.244:                              ;   in Loop: Header=BB2129_186 Depth=1
	scratch_load_dwordx4 v[0:3], off, off
	scratch_load_dwordx4 v[4:7], off, off offset:16
.LBB2129_245:                           ;   in Loop: Header=BB2129_186 Depth=1
	s_andn2_saveexec_b64 s[10:11], s[10:11]
	s_cbranch_execz .LBB2129_185
; %bb.246:                              ;   in Loop: Header=BB2129_186 Depth=1
	s_mov_b32 s28, 0
.LBB2129_247:                           ;   Parent Loop BB2129_186 Depth=1
                                        ; =>  This Inner Loop Header: Depth=2
	s_add_i32 s29, s28, 0x70
	s_add_i32 s28, s28, 8
	v_mov_b32_e32 v9, v8
	s_cmp_lg_u32 s28, 32
	scratch_store_dwordx2 off, v[8:9], s29
	s_cbranch_scc1 .LBB2129_247
; %bb.248:                              ;   in Loop: Header=BB2129_186 Depth=1
	s_mov_b32 s28, 0
.LBB2129_249:                           ;   Parent Loop BB2129_186 Depth=1
                                        ; =>  This Inner Loop Header: Depth=2
	s_add_i32 s29, s28, 36
	s_add_i32 s30, s28, 0
	scratch_load_dwordx2 v[0:1], off, s29
	scratch_load_dwordx2 v[2:3], off, s30
	s_add_i32 s29, s28, 0x70
	s_add_i32 s28, s28, 8
	s_cmp_lg_u32 s28, 32
	s_waitcnt vmcnt(0)
	v_add_u32_e32 v1, v3, v1
	v_add_u32_e32 v0, v2, v0
	scratch_store_dwordx2 off, v[0:1], s29
	s_cbranch_scc1 .LBB2129_249
; %bb.250:                              ;   in Loop: Header=BB2129_186 Depth=1
	scratch_load_dwordx4 v[0:3], off, off offset:112
	scratch_load_dwordx4 v[4:7], off, off offset:128
	s_branch .LBB2129_185
.LBB2129_251:                           ;   in Loop: Header=BB2129_186 Depth=1
                                        ; implicit-def: $vgpr10
                                        ; implicit-def: $vgpr17
	s_cbranch_execz .LBB2129_186
; %bb.252:
	scratch_load_dwordx4 v[4:7], off, off
	scratch_load_dwordx4 v[0:3], off, off offset:16
	scratch_load_dword v15, off, off offset:32
	s_waitcnt vmcnt(2)
	scratch_store_dwordx4 off, v[4:7], off offset:112
	s_waitcnt vmcnt(2)
	scratch_store_dwordx4 off, v[0:3], off offset:128
	s_waitcnt vmcnt(2)
	scratch_store_dword off, v15, off offset:144
	s_and_saveexec_b64 s[0:1], s[8:9]
	s_cbranch_execz .LBB2129_262
; %bb.253:
	scratch_load_ubyte v17, off, off offset:104
                                        ; implicit-def: $vgpr18_vgpr19
                                        ; implicit-def: $vgpr8_vgpr9
                                        ; implicit-def: $vgpr20
                                        ; implicit-def: $vgpr12
	s_waitcnt vmcnt(0)
	v_cmp_ne_u16_e32 vcc, 0, v17
	s_and_saveexec_b64 s[8:9], vcc
	s_xor_b64 s[8:9], exec, s[8:9]
	s_cbranch_execz .LBB2129_255
; %bb.254:
	scratch_load_dwordx3 v[12:14], off, off offset:72
	scratch_load_dwordx4 v[8:11], off, off offset:84
	scratch_load_dword v20, off, off offset:100
	s_waitcnt vmcnt(2)
	v_mov_b32_e32 v18, v13
	v_mov_b32_e32 v19, v14
.LBB2129_255:
	s_andn2_saveexec_b64 s[8:9], s[8:9]
	s_cbranch_execz .LBB2129_261
; %bb.256:
	s_waitcnt vmcnt(1)
	v_mov_b32_e32 v8, 0
	s_mov_b32 s10, 0
	v_mov_b32_e32 v9, v8
.LBB2129_257:                           ; =>This Inner Loop Header: Depth=1
	s_add_i32 s11, s10, 0
	s_add_i32 s10, s10, 8
	s_cmp_lg_u32 s10, 32
	scratch_store_dwordx2 off, v[8:9], s11
	s_cbranch_scc1 .LBB2129_257
; %bb.258:
	s_mov_b32 s10, 0
.LBB2129_259:                           ; =>This Inner Loop Header: Depth=1
	s_add_i32 s11, s10, 0x70
	s_add_i32 s16, s10, 0x48
	scratch_load_dwordx2 v[8:9], off, s11
	scratch_load_dwordx2 v[10:11], off, s16
	s_add_i32 s11, s10, 0
	s_add_i32 s10, s10, 8
	s_cmp_lg_u32 s10, 32
	s_waitcnt vmcnt(0)
	v_add_u32_e32 v9, v11, v9
	v_add_u32_e32 v8, v10, v8
	scratch_store_dwordx2 off, v[8:9], s11
	s_cbranch_scc1 .LBB2129_259
; %bb.260:
	scratch_load_dwordx3 v[12:14], off, off
	scratch_load_dwordx4 v[8:11], off, off offset:12
	scratch_load_dword v20, off, off offset:28
	s_waitcnt vmcnt(2)
	v_mov_b32_e32 v18, v13
	v_mov_b32_e32 v19, v14
.LBB2129_261:
	s_or_b64 exec, exec, s[8:9]
	s_add_i32 s10, s51, 64
	v_and_b32_e32 v13, 1, v17
	s_mul_i32 s8, s10, 36
	v_and_b32_e32 v14, 1, v15
	v_cmp_eq_u32_e32 vcc, 1, v13
	s_mul_hi_u32 s9, s10, 36
	s_add_u32 s8, s18, s8
	v_cndmask_b32_e64 v13, v14, 1, vcc
	s_addc_u32 s9, s19, s9
	v_mov_b32_e32 v14, 0
	global_store_dword v14, v12, s[8:9] sc1
	global_store_dword v14, v18, s[8:9] offset:4 sc1
	global_store_dword v14, v19, s[8:9] offset:8 sc1
	s_waitcnt vmcnt(4)
	global_store_dword v14, v8, s[8:9] offset:12 sc1
	global_store_dword v14, v9, s[8:9] offset:16 sc1
	;; [unrolled: 1-line block ×4, first 2 shown]
	s_waitcnt vmcnt(7)
	global_store_dword v14, v20, s[8:9] offset:28 sc1
	global_store_dword v14, v13, s[8:9] offset:32 sc1
	v_mov_b32_e32 v8, s10
	v_mov_b32_e32 v9, 2
	s_waitcnt vmcnt(0)
	global_store_byte v8, v9, s[20:21] sc1
.LBB2129_262:
	s_or_b64 exec, exec, s[0:1]
	s_and_b64 exec, exec, s[6:7]
	s_cbranch_execz .LBB2129_264
; %bb.263:
	v_mov_b32_e32 v8, 0
	ds_write2_b32 v8, v4, v5 offset0:27 offset1:28
	ds_write2_b32 v8, v6, v7 offset0:29 offset1:30
	ds_write2_b32 v8, v0, v1 offset0:31 offset1:32
	ds_write2_b32 v8, v2, v3 offset0:33 offset1:34
	ds_write_b8 v8, v15 offset:140
.LBB2129_264:
	s_or_b64 exec, exec, s[24:25]
	s_waitcnt lgkmcnt(0)
	s_barrier
	scratch_load_ubyte v8, off, off offset:320
	v_mov_b32_e32 v0, 0
	ds_read2_b32 v[2:3], v0 offset0:27 offset1:28
	ds_read2_b32 v[4:5], v0 offset0:29 offset1:30
	;; [unrolled: 1-line block ×4, first 2 shown]
	ds_read_b32 v9, v0 offset:140
	s_waitcnt lgkmcnt(3)
	scratch_store_dwordx4 off, v[2:5], off offset:112
	s_waitcnt lgkmcnt(1)
	scratch_store_dwordx4 off, v[10:13], off offset:128
	s_waitcnt lgkmcnt(0)
	scratch_store_dword off, v9, off offset:144
	s_and_saveexec_b64 s[0:1], s[4:5]
	s_cbranch_execz .LBB2129_274
; %bb.265:
	s_waitcnt vmcnt(3)
	v_cmp_ne_u16_sdwa s[8:9], v8, v0 src0_sel:BYTE_0 src1_sel:DWORD
                                        ; implicit-def: $vgpr6_vgpr7
                                        ; implicit-def: $vgpr2_vgpr3
	s_and_saveexec_b64 s[10:11], s[8:9]
	s_xor_b64 s[8:9], exec, s[10:11]
	s_cbranch_execz .LBB2129_267
; %bb.266:
	scratch_load_dwordx4 v[0:3], off, off offset:288
	scratch_load_dwordx4 v[4:7], off, off offset:304
.LBB2129_267:
	s_andn2_saveexec_b64 s[8:9], s[8:9]
	s_cbranch_execz .LBB2129_273
; %bb.268:
	s_waitcnt vmcnt(1)
	v_mov_b32_e32 v0, 0
	s_mov_b32 s10, 0
	v_mov_b32_e32 v1, v0
.LBB2129_269:                           ; =>This Inner Loop Header: Depth=1
	s_add_i32 s11, s10, 0
	s_add_i32 s10, s10, 8
	s_cmp_lg_u32 s10, 32
	scratch_store_dwordx2 off, v[0:1], s11
	s_cbranch_scc1 .LBB2129_269
; %bb.270:
	s_mov_b32 s10, 0
.LBB2129_271:                           ; =>This Inner Loop Header: Depth=1
	s_add_i32 s11, s10, 0xd0
	s_add_i32 s16, s10, 0x120
	scratch_load_dwordx2 v[0:1], off, s11
	scratch_load_dwordx2 v[2:3], off, s16
	s_add_i32 s11, s10, 0
	s_add_i32 s10, s10, 8
	s_cmp_lg_u32 s10, 32
	s_waitcnt vmcnt(0)
	v_add_u32_e32 v1, v3, v1
	v_add_u32_e32 v0, v2, v0
	scratch_store_dwordx2 off, v[0:1], s11
	s_cbranch_scc1 .LBB2129_271
; %bb.272:
	scratch_load_dwordx4 v[0:3], off, off
	scratch_load_dwordx4 v[4:7], off, off offset:16
.LBB2129_273:
	s_or_b64 exec, exec, s[8:9]
	v_and_b32_e32 v8, 1, v8
	v_cmp_eq_u32_e32 vcc, 1, v8
	s_or_b64 s[8:9], vcc, s[12:13]
	v_cndmask_b32_e64 v8, 0, 1, s[8:9]
	s_waitcnt vmcnt(1)
	scratch_store_dwordx4 off, v[0:3], off offset:288
	s_waitcnt vmcnt(1)
	scratch_store_dwordx4 off, v[4:7], off offset:304
.LBB2129_274:
	s_or_b64 exec, exec, s[0:1]
	v_mov_b32_e32 v0, 0
	s_waitcnt vmcnt(3)
	v_cmp_ne_u16_sdwa s[0:1], v8, v0 src0_sel:BYTE_0 src1_sel:DWORD
                                        ; implicit-def: $vgpr6_vgpr7
                                        ; implicit-def: $vgpr2_vgpr3
	s_and_saveexec_b64 s[8:9], s[0:1]
	s_xor_b64 s[0:1], exec, s[8:9]
	s_cbranch_execz .LBB2129_276
; %bb.275:
	scratch_load_dwordx4 v[0:3], off, off offset:288
	scratch_load_dwordx4 v[4:7], off, off offset:304
.LBB2129_276:
	s_andn2_saveexec_b64 s[0:1], s[0:1]
	s_cbranch_execz .LBB2129_282
; %bb.277:
	s_waitcnt vmcnt(1)
	v_mov_b32_e32 v0, 0
	s_mov_b32 s8, 0
	v_mov_b32_e32 v1, v0
.LBB2129_278:                           ; =>This Inner Loop Header: Depth=1
	s_add_i32 s9, s8, 0
	s_add_i32 s8, s8, 8
	s_cmp_lg_u32 s8, 32
	scratch_store_dwordx2 off, v[0:1], s9
	s_cbranch_scc1 .LBB2129_278
; %bb.279:
	s_mov_b32 s8, 0
.LBB2129_280:                           ; =>This Inner Loop Header: Depth=1
	s_add_i32 s9, s8, 0x70
	s_add_i32 s10, s8, 0x120
	scratch_load_dwordx2 v[0:1], off, s9
	scratch_load_dwordx2 v[2:3], off, s10
	s_add_i32 s9, s8, 0
	s_add_i32 s8, s8, 8
	s_cmp_lg_u32 s8, 32
	s_waitcnt vmcnt(0)
	v_add_u32_e32 v1, v3, v1
	v_add_u32_e32 v0, v2, v0
	scratch_store_dwordx2 off, v[0:1], s9
	s_cbranch_scc1 .LBB2129_280
; %bb.281:
	scratch_load_dwordx4 v[0:3], off, off
	scratch_load_dwordx4 v[4:7], off, off offset:16
.LBB2129_282:
	s_or_b64 exec, exec, s[0:1]
	scratch_load_ubyte v10, off, off offset:356
	v_or_b32_e32 v8, v8, v9
	v_and_b32_e32 v8, 1, v8
	v_cmp_eq_u32_e32 vcc, 1, v8
	s_waitcnt vmcnt(2)
	scratch_store_dwordx4 off, v[0:3], off offset:288
	s_waitcnt vmcnt(2)
	scratch_store_dwordx4 off, v[4:7], off offset:304
	scratch_store_byte off, v8, off offset:320
                                        ; implicit-def: $vgpr6_vgpr7
                                        ; implicit-def: $vgpr2_vgpr3
	s_waitcnt vmcnt(3)
	v_cmp_ne_u16_e64 s[0:1], 0, v10
	s_and_saveexec_b64 s[8:9], s[0:1]
	s_xor_b64 s[0:1], exec, s[8:9]
	s_cbranch_execz .LBB2129_284
; %bb.283:
	scratch_load_dwordx4 v[0:3], off, off offset:324
	scratch_load_dwordx4 v[4:7], off, off offset:340
.LBB2129_284:
	s_andn2_saveexec_b64 s[0:1], s[0:1]
	s_cbranch_execz .LBB2129_290
; %bb.285:
	s_waitcnt vmcnt(1)
	v_mov_b32_e32 v0, 0
	s_mov_b32 s8, 0
	v_mov_b32_e32 v1, v0
.LBB2129_286:                           ; =>This Inner Loop Header: Depth=1
	s_add_i32 s9, s8, 0
	s_add_i32 s8, s8, 8
	s_cmp_lg_u32 s8, 32
	scratch_store_dwordx2 off, v[0:1], s9
	s_cbranch_scc1 .LBB2129_286
; %bb.287:
	s_mov_b32 s8, 0
	v_mov_b32_e32 v0, 0x120
.LBB2129_288:                           ; =>This Inner Loop Header: Depth=1
	v_add_u32_e32 v1, s8, v0
	s_add_i32 s9, s8, 0x120
	v_add_u32_e32 v1, 36, v1
	scratch_load_dwordx2 v[2:3], off, s9
	scratch_load_dwordx2 v[4:5], v1, off
	s_add_i32 s9, s8, 0
	s_add_i32 s8, s8, 8
	s_cmp_lg_u32 s8, 32
	s_waitcnt vmcnt(0)
	v_add_u32_e32 v3, v5, v3
	v_add_u32_e32 v2, v4, v2
	scratch_store_dwordx2 off, v[2:3], s9
	s_cbranch_scc1 .LBB2129_288
; %bb.289:
	scratch_load_dwordx4 v[0:3], off, off
	scratch_load_dwordx4 v[4:7], off, off offset:16
.LBB2129_290:
	s_or_b64 exec, exec, s[0:1]
	scratch_load_ubyte v8, off, off offset:392
	v_and_b32_e32 v9, 1, v10
	v_cmp_eq_u32_e64 s[0:1], 1, v9
	s_or_b64 s[0:1], s[0:1], vcc
	s_waitcnt vmcnt(0)
	v_cmp_ne_u16_e32 vcc, 0, v8
	v_cndmask_b32_e64 v9, 0, 1, s[0:1]
	scratch_store_dwordx4 off, v[0:3], off offset:324
	scratch_store_dwordx4 off, v[4:7], off offset:340
	scratch_store_byte off, v9, off offset:356
                                        ; implicit-def: $vgpr6_vgpr7
                                        ; implicit-def: $vgpr2_vgpr3
	s_and_saveexec_b64 s[8:9], vcc
	s_xor_b64 s[8:9], exec, s[8:9]
	s_cbranch_execz .LBB2129_292
; %bb.291:
	scratch_load_dwordx4 v[0:3], off, off offset:360
	scratch_load_dwordx4 v[4:7], off, off offset:376
.LBB2129_292:
	s_andn2_saveexec_b64 s[8:9], s[8:9]
	s_cbranch_execz .LBB2129_298
; %bb.293:
	s_waitcnt vmcnt(1)
	v_mov_b32_e32 v0, 0
	s_mov_b32 s10, 0
	v_mov_b32_e32 v1, v0
.LBB2129_294:                           ; =>This Inner Loop Header: Depth=1
	s_add_i32 s11, s10, 0
	s_add_i32 s10, s10, 8
	s_cmp_lg_u32 s10, 32
	scratch_store_dwordx2 off, v[0:1], s11
	s_cbranch_scc1 .LBB2129_294
; %bb.295:
	s_mov_b32 s10, 0
	v_mov_b32_e32 v0, 0x120
.LBB2129_296:                           ; =>This Inner Loop Header: Depth=1
	v_add_u32_e32 v1, s10, v0
	s_waitcnt vmcnt(1)
	v_add_u32_e32 v6, 36, v1
	v_add_u32_e32 v1, 0x48, v1
	scratch_load_dwordx2 v[2:3], v6, off
	scratch_load_dwordx2 v[4:5], v1, off
	s_add_i32 s11, s10, 0
	s_add_i32 s10, s10, 8
	s_cmp_lg_u32 s10, 32
	s_waitcnt vmcnt(0)
	v_add_u32_e32 v3, v5, v3
	v_add_u32_e32 v2, v4, v2
	scratch_store_dwordx2 off, v[2:3], s11
	s_cbranch_scc1 .LBB2129_296
; %bb.297:
	scratch_load_dwordx4 v[0:3], off, off
	scratch_load_dwordx4 v[4:7], off, off offset:16
.LBB2129_298:
	s_or_b64 exec, exec, s[8:9]
	v_and_b32_e32 v8, 1, v8
	v_cmp_eq_u32_e32 vcc, 1, v8
	s_or_b64 s[0:1], vcc, s[0:1]
	v_cndmask_b32_e64 v8, 0, 1, s[0:1]
	s_waitcnt vmcnt(1)
	scratch_store_dwordx4 off, v[0:3], off offset:360
	s_waitcnt vmcnt(1)
	scratch_store_dwordx4 off, v[4:7], off offset:376
	scratch_store_byte off, v8, off offset:392
	s_branch .LBB2129_476
.LBB2129_299:
	v_mov_b64_e32 v[2:3], s[38:39]
	flat_load_dword v2, v[2:3]
	s_add_i32 s52, s50, s22
	v_cmp_gt_u32_e64 s[8:9], s52, v16
	s_waitcnt vmcnt(0) lgkmcnt(0)
	v_mov_b32_e32 v3, v2
	s_and_saveexec_b64 s[10:11], s[8:9]
	s_cbranch_execz .LBB2129_301
; %bb.300:
	v_lshlrev_b32_e32 v6, 2, v16
	v_mov_b32_e32 v7, 0
	v_lshl_add_u64 v[6:7], s[38:39], 0, v[6:7]
	flat_load_dword v3, v[6:7]
.LBB2129_301:
	s_or_b64 exec, exec, s[10:11]
	v_or_b32_e32 v6, 0x100, v16
	v_cmp_gt_u32_e64 s[10:11], s52, v6
	v_mov_b32_e32 v5, v2
	s_and_saveexec_b64 s[12:13], s[10:11]
	s_cbranch_execz .LBB2129_303
; %bb.302:
	v_lshlrev_b32_e32 v8, 2, v16
	v_mov_b32_e32 v9, 0
	v_lshl_add_u64 v[8:9], s[38:39], 0, v[8:9]
	flat_load_dword v5, v[8:9] offset:1024
.LBB2129_303:
	s_or_b64 exec, exec, s[12:13]
	v_or_b32_e32 v7, 0x200, v16
	v_cmp_gt_u32_e64 s[12:13], s52, v7
	v_cmp_le_u32_e32 vcc, s52, v7
	s_and_saveexec_b64 s[24:25], vcc
	s_xor_b64 s[24:25], exec, s[24:25]
; %bb.304:
	v_mov_b32_e32 v17, 0
; %bb.305:
	s_andn2_saveexec_b64 s[24:25], s[24:25]
	s_cbranch_execz .LBB2129_307
; %bb.306:
	v_mov_b32_e32 v17, 0
	v_lshlrev_b32_e32 v8, 2, v16
	v_mov_b32_e32 v9, v17
	v_lshl_add_u64 v[8:9], s[38:39], 0, v[8:9]
	flat_load_dword v2, v[8:9] offset:2048
.LBB2129_307:
	s_or_b64 exec, exec, s[24:25]
	v_lshlrev_b32_e32 v8, 2, v16
	v_lshlrev_b32_e32 v9, 3, v16
	v_add_u32_e32 v10, v8, v9
	s_waitcnt vmcnt(0) lgkmcnt(0)
	ds_write2st64_b32 v8, v3, v5 offset1:4
	ds_write_b32 v8, v2 offset:2048
	s_waitcnt lgkmcnt(0)
	s_barrier
	ds_read2_b32 v[2:3], v10 offset1:1
	ds_read_b32 v5, v10 offset:8
	s_cmp_eq_u64 s[44:45], 0
	s_mov_b64 s[24:25], s[38:39]
	s_cbranch_scc1 .LBB2129_311
; %bb.308:
	s_andn2_b64 vcc, exec, s[42:43]
	s_cbranch_vccnz .LBB2129_499
; %bb.309:
	s_lshl_b64 s[24:25], s[44:45], 2
	s_add_u32 s24, s30, s24
	s_addc_u32 s25, s31, s25
	s_add_u32 s24, s24, -4
	s_addc_u32 s25, s25, -1
	s_andn2_b64 vcc, exec, s[46:47]
	s_cbranch_vccnz .LBB2129_311
.LBB2129_310:
	s_add_u32 s24, s38, -4
	s_addc_u32 s25, s39, -1
.LBB2129_311:
	v_mov_b64_e32 v[12:13], s[24:25]
	flat_load_dword v8, v[12:13]
	v_sub_u32_e32 v9, v10, v9
	s_waitcnt lgkmcnt(0)
	ds_write_b32 v9, v5 offset:3072
	s_waitcnt lgkmcnt(0)
	s_barrier
	s_and_saveexec_b64 s[24:25], s[4:5]
	s_cbranch_execz .LBB2129_313
; %bb.312:
	s_waitcnt vmcnt(0)
	ds_read_b32 v8, v9 offset:3068
.LBB2129_313:
	s_or_b64 exec, exec, s[24:25]
	s_waitcnt lgkmcnt(0)
	s_barrier
	s_and_saveexec_b64 s[24:25], s[8:9]
	s_cbranch_execnz .LBB2129_497
; %bb.314:
	s_or_b64 exec, exec, s[24:25]
	s_and_saveexec_b64 s[8:9], s[10:11]
	s_cbranch_execnz .LBB2129_498
.LBB2129_315:
	s_or_b64 exec, exec, s[8:9]
	s_and_saveexec_b64 s[8:9], s[12:13]
	s_cbranch_execz .LBB2129_317
.LBB2129_316:
	v_lshlrev_b32_e32 v6, 5, v7
	v_mov_b32_e32 v7, 0
	v_lshl_add_u64 v[6:7], s[28:29], 0, v[6:7]
	flat_load_dwordx4 v[10:13], v[6:7]
	flat_load_dwordx4 v[18:21], v[6:7] offset:16
	s_waitcnt vmcnt(0) lgkmcnt(0)
	scratch_store_dwordx4 off, v[10:13], off offset:176
	scratch_store_dwordx4 off, v[18:21], off offset:192
.LBB2129_317:
	s_or_b64 exec, exec, s[8:9]
	scratch_load_dwordx4 v[10:13], off, off offset:112
	scratch_load_dwordx4 v[18:21], off, off offset:128
	scratch_load_dwordx4 v[22:25], v4, off
	scratch_load_dwordx4 v[26:29], v4, off offset:16
	scratch_load_dwordx4 v[30:33], v1, off
	scratch_load_dwordx4 v[34:37], v1, off offset:16
	v_mad_u32_u24 v9, v16, 28, v9
	v_lshl_add_u32 v7, v16, 6, v9
	v_mul_u32_u24_e32 v6, 3, v16
	s_mov_b64 s[10:11], 0
	v_cmp_gt_u32_e32 vcc, s52, v6
	s_mov_b64 s[46:47], 0
                                        ; implicit-def: $sgpr8_sgpr9
	s_waitcnt vmcnt(0)
	ds_write_b128 v9, v[10:13]
	ds_write_b128 v9, v[18:21] offset:16
	ds_write_b128 v9, v[22:25] offset:8192
	;; [unrolled: 1-line block ×5, first 2 shown]
	s_waitcnt lgkmcnt(0)
	s_barrier
	ds_read_b128 v[10:13], v7 offset:32
	ds_read_b128 v[18:21], v7 offset:48
	;; [unrolled: 1-line block ×4, first 2 shown]
	s_waitcnt lgkmcnt(3)
	scratch_store_dwordx4 v4, v[10:13], off
	s_waitcnt lgkmcnt(2)
	scratch_store_dwordx4 v4, v[18:21], off offset:16
	s_waitcnt lgkmcnt(1)
	scratch_store_dwordx4 v1, v[22:25], off
	s_waitcnt lgkmcnt(0)
	scratch_store_dwordx4 v1, v[26:29], off offset:16
	s_and_saveexec_b64 s[12:13], vcc
	s_cbranch_execz .LBB2129_321
; %bb.318:
	ds_read_b128 v[10:13], v7
	ds_read_b128 v[18:21], v7 offset:16
	v_cmp_ne_u32_e32 vcc, v8, v2
	v_add_u32_e32 v9, 1, v6
                                        ; implicit-def: $sgpr48_sgpr49
	s_nop 0
	v_cndmask_b32_e64 v8, 0, 1, vcc
	v_cmp_gt_u32_e32 vcc, s52, v9
	s_waitcnt lgkmcnt(1)
	scratch_store_dwordx4 off, v[10:13], off offset:288
	s_waitcnt lgkmcnt(0)
	scratch_store_dwordx4 off, v[18:21], off offset:304
	scratch_store_byte off, v8, off offset:320
	s_and_saveexec_b64 s[8:9], vcc
	s_xor_b64 s[24:25], exec, s[8:9]
	s_cbranch_execz .LBB2129_320
; %bb.319:
	v_add_u32_e32 v7, 32, v7
	ds_read2_b32 v[10:11], v7 offset0:6 offset1:7
	ds_read2_b32 v[8:9], v7 offset0:4 offset1:5
	;; [unrolled: 1-line block ×3, first 2 shown]
	ds_read2_b32 v[12:13], v7 offset1:1
	v_cmp_ne_u32_e32 vcc, v3, v5
	v_cmp_ne_u32_e64 s[8:9], v2, v3
	v_add_u32_e32 v3, 2, v6
	s_and_b64 s[48:49], vcc, exec
	v_cndmask_b32_e64 v2, 0, 1, s[8:9]
	v_cmp_gt_u32_e64 s[8:9], s52, v3
	s_waitcnt lgkmcnt(0)
	scratch_store_dwordx4 off, v[12:15], s23
	scratch_store_dwordx4 off, v[8:11], s23 offset:16
	scratch_store_byte off, v2, off offset:356
	s_and_b64 s[46:47], s[8:9], exec
.LBB2129_320:
	s_or_b64 exec, exec, s[24:25]
	s_and_b64 s[8:9], s[48:49], exec
	s_and_b64 s[46:47], s[46:47], exec
.LBB2129_321:
	s_or_b64 exec, exec, s[12:13]
	s_and_b64 vcc, exec, s[10:11]
	s_cbranch_vccz .LBB2129_18
.LBB2129_322:
	v_mov_b32_e32 v3, 0
	v_lshlrev_b32_e32 v2, 2, v16
	v_lshl_add_u64 v[6:7], s[38:39], 0, v[2:3]
	flat_load_dword v3, v[6:7]
	flat_load_dword v5, v[6:7] offset:1024
	flat_load_dword v9, v[6:7] offset:2048
	v_lshlrev_b32_e32 v6, 3, v16
	v_add_u32_e32 v8, v2, v6
	s_cmp_eq_u64 s[44:45], 0
	s_waitcnt vmcnt(0) lgkmcnt(0)
	ds_write2st64_b32 v2, v3, v5 offset1:4
	ds_write_b32 v2, v9 offset:2048
	s_waitcnt lgkmcnt(0)
	s_barrier
	ds_read2_b32 v[2:3], v8 offset1:1
	ds_read_b32 v5, v8 offset:8
	s_cbranch_scc1 .LBB2129_327
; %bb.323:
	s_andn2_b64 vcc, exec, s[42:43]
	s_cbranch_vccnz .LBB2129_500
; %bb.324:
	s_lshl_b64 s[8:9], s[44:45], 2
	s_add_u32 s8, s30, s8
	s_addc_u32 s9, s31, s9
	s_add_u32 s8, s8, -4
	s_addc_u32 s9, s9, -1
	s_cbranch_execnz .LBB2129_326
.LBB2129_325:
	s_add_u32 s8, s38, -4
	s_addc_u32 s9, s39, -1
.LBB2129_326:
	s_mov_b64 s[38:39], s[8:9]
.LBB2129_327:
	v_mov_b64_e32 v[10:11], s[38:39]
	flat_load_dword v7, v[10:11]
	v_sub_u32_e32 v6, v8, v6
	s_waitcnt lgkmcnt(0)
	ds_write_b32 v6, v5 offset:3072
	s_waitcnt lgkmcnt(0)
	s_barrier
	s_and_saveexec_b64 s[8:9], s[4:5]
	s_cbranch_execz .LBB2129_329
; %bb.328:
	s_waitcnt vmcnt(0)
	ds_read_b32 v7, v6 offset:3068
.LBB2129_329:
	s_or_b64 exec, exec, s[8:9]
	v_lshlrev_b32_e32 v8, 5, v16
	v_mov_b32_e32 v9, 0
	v_lshl_add_u64 v[26:27], s[28:29], 0, v[8:9]
	s_waitcnt lgkmcnt(0)
	s_barrier
	flat_load_dwordx4 v[8:11], v[26:27]
	flat_load_dwordx4 v[12:15], v[26:27] offset:16
	s_movk_i32 s8, 0x2000
	v_add_co_u32_e32 v28, vcc, s8, v26
	s_movk_i32 s8, 0x4000
	s_nop 0
	v_addc_co_u32_e32 v29, vcc, 0, v27, vcc
	v_add_co_u32_e32 v34, vcc, s8, v26
	v_cmp_ne_u32_e64 s[8:9], v3, v5
	s_nop 0
	v_addc_co_u32_e32 v35, vcc, 0, v27, vcc
	v_mad_u32_u24 v5, v16, 28, v6
	v_cmp_ne_u32_e32 vcc, v2, v3
	v_lshl_add_u32 v17, v16, 6, v5
	s_mov_b64 s[46:47], -1
	v_cndmask_b32_e64 v3, 0, 1, vcc
	s_waitcnt vmcnt(0)
	v_cmp_ne_u32_e32 vcc, v7, v2
	s_waitcnt lgkmcnt(0)
	scratch_store_dwordx4 off, v[8:11], off offset:112
	scratch_store_dwordx4 off, v[12:15], off offset:128
	flat_load_dwordx4 v[18:21], v[28:29]
	flat_load_dwordx4 v[22:25], v[28:29] offset:16
	v_cndmask_b32_e64 v2, 0, 1, vcc
	s_waitcnt vmcnt(0) lgkmcnt(0)
	scratch_store_dwordx4 off, v[18:21], off offset:144
	scratch_store_dwordx4 off, v[22:25], off offset:160
	flat_load_dwordx4 v[18:21], v[34:35]
	s_nop 0
	flat_load_dwordx4 v[22:25], v[34:35] offset:16
	scratch_load_dwordx4 v[26:29], v4, off
	scratch_load_dwordx4 v[30:33], v4, off offset:16
	s_waitcnt vmcnt(0) lgkmcnt(0)
	scratch_store_dwordx4 off, v[18:21], off offset:176
	scratch_store_dwordx4 off, v[22:25], off offset:192
	scratch_load_dwordx4 v[18:21], v1, off
	s_nop 0
	scratch_load_dwordx4 v[22:25], v1, off offset:16
	ds_write_b128 v5, v[8:11]
	ds_write_b128 v5, v[12:15] offset:16
	ds_write_b128 v5, v[26:29] offset:8192
	;; [unrolled: 1-line block ×3, first 2 shown]
	s_waitcnt vmcnt(1)
	ds_write_b128 v5, v[18:21] offset:16384
	s_waitcnt vmcnt(0)
	ds_write_b128 v5, v[22:25] offset:16400
	s_waitcnt lgkmcnt(0)
	s_barrier
	ds_read_b128 v[6:9], v17
	ds_read_b128 v[10:13], v17 offset:16
	ds_read_b128 v[18:21], v17 offset:32
	;; [unrolled: 1-line block ×5, first 2 shown]
	scratch_store_byte off, v2, off offset:320
	scratch_store_byte off, v3, off offset:356
	s_waitcnt lgkmcnt(3)
	scratch_store_dwordx4 v4, v[18:21], off
	s_waitcnt lgkmcnt(2)
	scratch_store_dwordx4 v4, v[22:25], off offset:16
	s_waitcnt lgkmcnt(1)
	scratch_store_dwordx4 v1, v[26:29], off
	s_waitcnt lgkmcnt(0)
	scratch_store_dwordx4 v1, v[30:33], off offset:16
	scratch_store_dwordx4 off, v[6:9], off offset:288
	scratch_store_dwordx4 off, v[10:13], off offset:304
	scratch_store_dwordx4 off, v[22:25], s23 offset:16
	scratch_store_dwordx4 off, v[18:21], s23
	s_and_saveexec_b64 s[10:11], s[46:47]
	s_cbranch_execnz .LBB2129_19
	s_branch .LBB2129_20
.LBB2129_330:
	s_cbranch_execz .LBB2129_476
; %bb.331:
	s_cmp_lg_u64 s[40:41], 0
	s_cselect_b32 s9, s27, 0
	s_cselect_b32 s8, s26, 0
	s_cmp_lg_u64 s[8:9], 0
	s_cselect_b64 s[0:1], -1, 0
	s_and_b64 s[10:11], s[6:7], s[0:1]
	s_and_saveexec_b64 s[0:1], s[10:11]
	s_cbranch_execz .LBB2129_341
; %bb.332:
	scratch_load_ubyte v8, off, off offset:320
                                        ; implicit-def: $vgpr6_vgpr7
                                        ; implicit-def: $vgpr2_vgpr3
	s_waitcnt vmcnt(0)
	v_cmp_ne_u16_e32 vcc, 0, v8
	s_and_saveexec_b64 s[10:11], vcc
	s_xor_b64 s[10:11], exec, s[10:11]
	s_cbranch_execz .LBB2129_334
; %bb.333:
	scratch_load_dwordx4 v[0:3], off, off offset:288
	scratch_load_dwordx4 v[4:7], off, off offset:304
.LBB2129_334:
	s_andn2_saveexec_b64 s[10:11], s[10:11]
	s_cbranch_execz .LBB2129_340
; %bb.335:
	s_waitcnt vmcnt(1)
	v_mov_b32_e32 v0, 0
	s_mov_b32 s12, 0
	v_mov_b32_e32 v1, v0
.LBB2129_336:                           ; =>This Inner Loop Header: Depth=1
	s_add_i32 s13, s12, 0x70
	s_add_i32 s12, s12, 8
	s_cmp_lg_u32 s12, 32
	scratch_store_dwordx2 off, v[0:1], s13
	s_cbranch_scc1 .LBB2129_336
; %bb.337:
	s_mov_b32 s16, 0
	v_mov_b32_e32 v0, 0
	s_mov_b64 s[12:13], s[8:9]
.LBB2129_338:                           ; =>This Inner Loop Header: Depth=1
	s_add_i32 s17, s16, 0x120
	global_load_dwordx2 v[2:3], v0, s[12:13]
	scratch_load_dwordx2 v[4:5], off, s17
	s_add_i32 s17, s16, 0x70
	s_add_u32 s12, s12, 8
	s_addc_u32 s13, s13, 0
	s_add_i32 s16, s16, 8
	s_cmp_lg_u32 s16, 32
	s_waitcnt vmcnt(0)
	v_add_u32_e32 v3, v5, v3
	v_add_u32_e32 v2, v4, v2
	scratch_store_dwordx2 off, v[2:3], s17
	s_cbranch_scc1 .LBB2129_338
; %bb.339:
	scratch_load_dwordx4 v[0:3], off, off offset:112
	scratch_load_dwordx4 v[4:7], off, off offset:128
.LBB2129_340:
	s_or_b64 exec, exec, s[10:11]
	v_mov_b32_e32 v9, 0
	global_load_ubyte v9, v9, s[8:9] offset:32
	s_waitcnt vmcnt(2)
	scratch_store_dwordx4 off, v[0:3], off offset:288
	s_waitcnt vmcnt(1)
	s_nop 0
	v_or_b32_e32 v0, v8, v9
	v_and_b32_e32 v0, 1, v0
	scratch_store_dwordx4 off, v[4:7], off offset:304
	scratch_store_byte off, v0, off offset:320
.LBB2129_341:
	s_or_b64 exec, exec, s[0:1]
	s_mov_b32 s8, 0
	s_mov_b32 s9, s8
	v_mov_b32_e32 v0, 0
	s_mov_b32 s10, s8
	s_mov_b32 s11, s8
	v_mov_b64_e32 v[2:3], s[8:9]
	v_mov_b64_e32 v[4:5], s[10:11]
	v_mov_b32_e32 v1, v0
	scratch_store_dword off, v0, off offset:240
	scratch_store_dwordx4 off, v[2:5], off offset:224
	scratch_store_dwordx4 off, v[2:5], off offset:208
.LBB2129_342:                           ; =>This Inner Loop Header: Depth=1
	s_add_i32 s0, s8, 0xd0
	s_add_i32 s8, s8, 8
	s_cmp_lg_u32 s8, 32
	scratch_store_dwordx2 off, v[0:1], s0
	s_cbranch_scc1 .LBB2129_342
; %bb.343:
	v_mov_b32_e32 v0, 0
	s_mov_b32 s0, 0
	v_mov_b32_e32 v1, v0
	scratch_store_byte off, v0, off offset:240
	scratch_store_dword off, v0, off offset:144
.LBB2129_344:                           ; =>This Inner Loop Header: Depth=1
	s_add_i32 s1, s0, 0x70
	s_add_i32 s0, s0, 8
	s_cmp_lg_u32 s0, 32
	scratch_store_dwordx2 off, v[0:1], s1
	s_cbranch_scc1 .LBB2129_344
; %bb.345:
	scratch_load_dwordx4 v[0:3], off, off offset:288
	scratch_load_dwordx4 v[4:7], off, off offset:304
	scratch_load_ubyte v9, off, off offset:356
	scratch_load_ubyte v8, off, off offset:320
	s_waitcnt vmcnt(3)
	scratch_store_dwordx4 off, v[0:3], off offset:112
	s_waitcnt vmcnt(3)
	scratch_store_dwordx4 off, v[4:7], off offset:128
	s_waitcnt vmcnt(3)
	v_cmp_ne_u16_e32 vcc, 0, v9
                                        ; implicit-def: $vgpr6_vgpr7
                                        ; implicit-def: $vgpr2_vgpr3
	s_and_saveexec_b64 s[0:1], vcc
	s_xor_b64 s[0:1], exec, s[0:1]
	s_cbranch_execz .LBB2129_347
; %bb.346:
	scratch_load_dwordx4 v[0:3], off, off offset:324
	scratch_load_dwordx4 v[4:7], off, off offset:340
.LBB2129_347:
	s_andn2_saveexec_b64 s[0:1], s[0:1]
	s_cbranch_execz .LBB2129_353
; %bb.348:
	s_waitcnt vmcnt(1)
	v_mov_b32_e32 v0, 0
	s_mov_b32 s8, 0
	v_mov_b32_e32 v1, v0
.LBB2129_349:                           ; =>This Inner Loop Header: Depth=1
	s_add_i32 s9, s8, 0
	s_add_i32 s8, s8, 8
	s_cmp_lg_u32 s8, 32
	scratch_store_dwordx2 off, v[0:1], s9
	s_cbranch_scc1 .LBB2129_349
; %bb.350:
	s_mov_b32 s8, 0
.LBB2129_351:                           ; =>This Inner Loop Header: Depth=1
	s_add_i32 s9, s8, 0x70
	s_add_i32 s10, s23, s8
	scratch_load_dwordx2 v[0:1], off, s9
	scratch_load_dwordx2 v[2:3], off, s10
	s_add_i32 s9, s8, 0
	s_add_i32 s8, s8, 8
	s_cmp_lg_u32 s8, 32
	s_waitcnt vmcnt(0)
	v_add_u32_e32 v1, v3, v1
	v_add_u32_e32 v0, v2, v0
	scratch_store_dwordx2 off, v[0:1], s9
	s_cbranch_scc1 .LBB2129_351
; %bb.352:
	scratch_load_dwordx4 v[0:3], off, off
	scratch_load_dwordx4 v[4:7], off, off offset:16
.LBB2129_353:
	s_or_b64 exec, exec, s[0:1]
	scratch_load_ubyte v10, off, off offset:392
	s_waitcnt vmcnt(2)
	scratch_store_dwordx4 off, v[0:3], off offset:112
	s_waitcnt vmcnt(2)
	scratch_store_dwordx4 off, v[4:7], off offset:128
                                        ; implicit-def: $vgpr6_vgpr7
                                        ; implicit-def: $vgpr2_vgpr3
	s_waitcnt vmcnt(2)
	v_cmp_ne_u16_e32 vcc, 0, v10
	s_and_saveexec_b64 s[0:1], vcc
	s_xor_b64 s[0:1], exec, s[0:1]
	s_cbranch_execz .LBB2129_355
; %bb.354:
	scratch_load_dwordx4 v[0:3], off, off offset:360
	scratch_load_dwordx4 v[4:7], off, off offset:376
.LBB2129_355:
	s_andn2_saveexec_b64 s[0:1], s[0:1]
	s_cbranch_execz .LBB2129_361
; %bb.356:
	s_waitcnt vmcnt(1)
	v_mov_b32_e32 v0, 0
	s_mov_b32 s8, 0
	v_mov_b32_e32 v1, v0
.LBB2129_357:                           ; =>This Inner Loop Header: Depth=1
	s_add_i32 s9, s8, 0
	s_add_i32 s8, s8, 8
	s_cmp_lg_u32 s8, 32
	scratch_store_dwordx2 off, v[0:1], s9
	s_cbranch_scc1 .LBB2129_357
; %bb.358:
	s_mov_b32 s8, 0
.LBB2129_359:                           ; =>This Inner Loop Header: Depth=1
	s_add_i32 s9, s8, 0x70
	s_add_i32 s10, s33, s8
	scratch_load_dwordx2 v[0:1], off, s9
	scratch_load_dwordx2 v[2:3], off, s10
	s_add_i32 s9, s8, 0
	s_add_i32 s8, s8, 8
	s_cmp_lg_u32 s8, 32
	s_waitcnt vmcnt(0)
	v_add_u32_e32 v1, v3, v1
	v_add_u32_e32 v0, v2, v0
	scratch_store_dwordx2 off, v[0:1], s9
	s_cbranch_scc1 .LBB2129_359
; %bb.360:
	scratch_load_dwordx4 v[0:3], off, off
	scratch_load_dwordx4 v[4:7], off, off offset:16
.LBB2129_361:
	s_or_b64 exec, exec, s[0:1]
	scratch_load_ushort v11, off, off offset:145
	scratch_load_sbyte v17, off, off offset:147
	v_or_b32_e32 v9, v10, v9
	s_waitcnt vmcnt(3)
	v_mov_b32_dpp v12, v0 row_shr:1 row_mask:0xf bank_mask:0xf
	v_mov_b32_dpp v13, v1 row_shr:1 row_mask:0xf bank_mask:0xf
	;; [unrolled: 1-line block ×4, first 2 shown]
	v_or_b32_e32 v8, v9, v8
	v_mbcnt_lo_u32_b32 v10, -1, 0
	scratch_store_dwordx4 off, v[0:3], off offset:72
	s_waitcnt vmcnt(3)
	scratch_store_dwordx4 off, v[4:7], off offset:88
	v_mov_b32_dpp v18, v4 row_shr:1 row_mask:0xf bank_mask:0xf
	v_mov_b32_dpp v19, v5 row_shr:1 row_mask:0xf bank_mask:0xf
	;; [unrolled: 1-line block ×4, first 2 shown]
	scratch_store_dwordx4 off, v[12:15], off offset:112
	scratch_store_dwordx4 off, v[18:21], off offset:128
	v_and_b32_e32 v8, 1, v8
	v_mbcnt_hi_u32_b32 v10, -1, v10
	v_and_b32_e32 v12, 15, v10
	v_cmp_ne_u32_e32 vcc, 0, v12
	s_waitcnt vmcnt(5)
	v_lshrrev_b32_e32 v9, 8, v11
	v_lshlrev_b16_e32 v11, 8, v11
	s_waitcnt vmcnt(4)
	v_lshlrev_b16_e32 v13, 8, v17
	v_or_b32_e32 v11, v8, v11
	v_or_b32_sdwa v8, v9, v13 dst_sel:WORD_1 dst_unused:UNUSED_PAD src0_sel:BYTE_0 src1_sel:DWORD
	s_nop 0
	v_or_b32_sdwa v13, v11, v8 dst_sel:DWORD dst_unused:UNUSED_PAD src0_sel:WORD_0 src1_sel:DWORD
	scratch_store_dword off, v13, off offset:104
	s_nop 0
	v_mov_b32_dpp v14, v13 row_shr:1 row_mask:0xf bank_mask:0xf
	scratch_store_dword off, v14, off offset:144
	s_and_saveexec_b64 s[0:1], vcc
	s_cbranch_execz .LBB2129_369
; %bb.362:
	v_mov_b32_e32 v8, 0
	v_cmp_eq_u16_sdwa s[10:11], v11, v8 src0_sel:BYTE_0 src1_sel:DWORD
	s_and_saveexec_b64 s[8:9], s[10:11]
	s_cbranch_execz .LBB2129_368
; %bb.363:
	s_mov_b32 s10, 0
	v_mov_b32_e32 v9, v8
.LBB2129_364:                           ; =>This Inner Loop Header: Depth=1
	s_add_i32 s11, s10, 0
	s_add_i32 s10, s10, 8
	s_cmp_lg_u32 s10, 32
	scratch_store_dwordx2 off, v[8:9], s11
	s_cbranch_scc1 .LBB2129_364
; %bb.365:
	s_mov_b32 s10, 0
.LBB2129_366:                           ; =>This Inner Loop Header: Depth=1
	s_add_i32 s11, s10, 0x70
	s_add_i32 s12, s10, 0x48
	scratch_load_dwordx2 v[0:1], off, s11
	scratch_load_dwordx2 v[2:3], off, s12
	s_add_i32 s11, s10, 0
	s_add_i32 s10, s10, 8
	s_cmp_lg_u32 s10, 32
	s_waitcnt vmcnt(0)
	v_add_u32_e32 v1, v3, v1
	v_add_u32_e32 v0, v2, v0
	scratch_store_dwordx2 off, v[0:1], s11
	s_cbranch_scc1 .LBB2129_366
; %bb.367:
	scratch_load_dwordx4 v[0:3], off, off
	scratch_load_dwordx4 v[4:7], off, off offset:16
.LBB2129_368:
	s_or_b64 exec, exec, s[8:9]
	v_or_b32_e32 v8, v14, v13
	v_and_b32_e32 v8, 1, v8
	scratch_store_byte off, v8, off offset:104
	scratch_load_dword v13, off, off offset:104
	s_waitcnt vmcnt(3)
	scratch_store_dwordx4 off, v[0:3], off offset:72
	s_waitcnt vmcnt(3)
	scratch_store_dwordx4 off, v[4:7], off offset:88
	s_waitcnt vmcnt(2)
	v_mov_b32_e32 v11, v13
.LBB2129_369:
	s_or_b64 exec, exec, s[0:1]
	v_mov_b32_dpp v18, v0 row_shr:2 row_mask:0xf bank_mask:0xf
	v_mov_b32_dpp v19, v1 row_shr:2 row_mask:0xf bank_mask:0xf
	;; [unrolled: 1-line block ×5, first 2 shown]
	v_cmp_lt_u32_e32 vcc, 1, v12
	v_mov_b32_dpp v22, v4 row_shr:2 row_mask:0xf bank_mask:0xf
	v_mov_b32_dpp v23, v5 row_shr:2 row_mask:0xf bank_mask:0xf
	;; [unrolled: 1-line block ×4, first 2 shown]
	scratch_store_dwordx4 off, v[18:21], off offset:112
	scratch_store_dwordx4 off, v[22:25], off offset:128
	scratch_store_dword off, v14, off offset:144
	s_and_saveexec_b64 s[8:9], vcc
	s_cbranch_execz .LBB2129_377
; %bb.370:
	v_mov_b32_e32 v8, 0
	s_mov_b32 s10, 0
	v_cmp_eq_u16_sdwa s[12:13], v11, v8 src0_sel:BYTE_0 src1_sel:DWORD
	s_and_saveexec_b64 s[0:1], s[12:13]
	s_cbranch_execz .LBB2129_376
; %bb.371:
	v_mov_b32_e32 v9, v8
.LBB2129_372:                           ; =>This Inner Loop Header: Depth=1
	s_add_i32 s11, s10, 0
	s_add_i32 s10, s10, 8
	s_cmp_lg_u32 s10, 32
	scratch_store_dwordx2 off, v[8:9], s11
	s_cbranch_scc1 .LBB2129_372
; %bb.373:
	s_mov_b32 s10, 0
.LBB2129_374:                           ; =>This Inner Loop Header: Depth=1
	s_add_i32 s11, s10, 0x70
	s_add_i32 s12, s10, 0x48
	scratch_load_dwordx2 v[0:1], off, s11
	scratch_load_dwordx2 v[2:3], off, s12
	s_add_i32 s11, s10, 0
	s_add_i32 s10, s10, 8
	s_cmp_lg_u32 s10, 32
	s_waitcnt vmcnt(0)
	v_add_u32_e32 v1, v3, v1
	v_add_u32_e32 v0, v2, v0
	scratch_store_dwordx2 off, v[0:1], s11
	s_cbranch_scc1 .LBB2129_374
; %bb.375:
	scratch_load_dwordx4 v[0:3], off, off
	scratch_load_dwordx4 v[4:7], off, off offset:16
.LBB2129_376:
	s_or_b64 exec, exec, s[0:1]
	v_and_b32_e32 v8, 1, v11
	v_cmp_eq_u32_e32 vcc, 1, v8
	v_and_b32_e32 v8, 1, v14
	v_cmp_eq_u32_e64 s[0:1], 1, v8
	s_or_b64 s[0:1], vcc, s[0:1]
	s_nop 0
	v_cndmask_b32_e64 v8, 0, 1, s[0:1]
	scratch_store_byte off, v8, off offset:104
	scratch_load_dword v13, off, off offset:104
	s_waitcnt vmcnt(3)
	scratch_store_dwordx4 off, v[0:3], off offset:72
	s_waitcnt vmcnt(3)
	scratch_store_dwordx4 off, v[4:7], off offset:88
	s_waitcnt vmcnt(2)
	v_mov_b32_e32 v11, v13
.LBB2129_377:
	s_or_b64 exec, exec, s[8:9]
	v_mov_b32_dpp v18, v0 row_shr:4 row_mask:0xf bank_mask:0xf
	v_mov_b32_dpp v19, v1 row_shr:4 row_mask:0xf bank_mask:0xf
	;; [unrolled: 1-line block ×5, first 2 shown]
	v_cmp_lt_u32_e32 vcc, 3, v12
	v_mov_b32_dpp v22, v4 row_shr:4 row_mask:0xf bank_mask:0xf
	v_mov_b32_dpp v23, v5 row_shr:4 row_mask:0xf bank_mask:0xf
	;; [unrolled: 1-line block ×4, first 2 shown]
	scratch_store_dwordx4 off, v[18:21], off offset:112
	scratch_store_dwordx4 off, v[22:25], off offset:128
	scratch_store_dword off, v14, off offset:144
	s_and_saveexec_b64 s[8:9], vcc
	s_cbranch_execz .LBB2129_385
; %bb.378:
	v_mov_b32_e32 v8, 0
	s_mov_b32 s10, 0
	v_cmp_eq_u16_sdwa s[12:13], v11, v8 src0_sel:BYTE_0 src1_sel:DWORD
	s_and_saveexec_b64 s[0:1], s[12:13]
	s_cbranch_execz .LBB2129_384
; %bb.379:
	v_mov_b32_e32 v9, v8
.LBB2129_380:                           ; =>This Inner Loop Header: Depth=1
	s_add_i32 s11, s10, 0
	s_add_i32 s10, s10, 8
	s_cmp_lg_u32 s10, 32
	scratch_store_dwordx2 off, v[8:9], s11
	s_cbranch_scc1 .LBB2129_380
; %bb.381:
	s_mov_b32 s10, 0
.LBB2129_382:                           ; =>This Inner Loop Header: Depth=1
	s_add_i32 s11, s10, 0x70
	s_add_i32 s12, s10, 0x48
	scratch_load_dwordx2 v[0:1], off, s11
	scratch_load_dwordx2 v[2:3], off, s12
	s_add_i32 s11, s10, 0
	s_add_i32 s10, s10, 8
	s_cmp_lg_u32 s10, 32
	s_waitcnt vmcnt(0)
	v_add_u32_e32 v1, v3, v1
	v_add_u32_e32 v0, v2, v0
	scratch_store_dwordx2 off, v[0:1], s11
	s_cbranch_scc1 .LBB2129_382
; %bb.383:
	scratch_load_dwordx4 v[0:3], off, off
	scratch_load_dwordx4 v[4:7], off, off offset:16
.LBB2129_384:
	s_or_b64 exec, exec, s[0:1]
	v_and_b32_e32 v8, 1, v11
	v_cmp_eq_u32_e32 vcc, 1, v8
	v_and_b32_e32 v8, 1, v14
	v_cmp_eq_u32_e64 s[0:1], 1, v8
	s_or_b64 s[0:1], vcc, s[0:1]
	s_nop 0
	v_cndmask_b32_e64 v8, 0, 1, s[0:1]
	scratch_store_byte off, v8, off offset:104
	scratch_load_dword v13, off, off offset:104
	s_waitcnt vmcnt(3)
	scratch_store_dwordx4 off, v[0:3], off offset:72
	s_waitcnt vmcnt(3)
	scratch_store_dwordx4 off, v[4:7], off offset:88
	s_waitcnt vmcnt(2)
	v_mov_b32_e32 v11, v13
.LBB2129_385:
	s_or_b64 exec, exec, s[8:9]
	v_mov_b32_dpp v18, v0 row_shr:8 row_mask:0xf bank_mask:0xf
	v_mov_b32_dpp v19, v1 row_shr:8 row_mask:0xf bank_mask:0xf
	v_mov_b32_dpp v20, v2 row_shr:8 row_mask:0xf bank_mask:0xf
	v_mov_b32_dpp v21, v3 row_shr:8 row_mask:0xf bank_mask:0xf
	v_mov_b32_dpp v14, v13 row_shr:8 row_mask:0xf bank_mask:0xf
	v_cmp_lt_u32_e32 vcc, 7, v12
	v_mov_b32_dpp v22, v4 row_shr:8 row_mask:0xf bank_mask:0xf
	v_mov_b32_dpp v23, v5 row_shr:8 row_mask:0xf bank_mask:0xf
	;; [unrolled: 1-line block ×4, first 2 shown]
	scratch_store_dwordx4 off, v[18:21], off offset:112
	scratch_store_dwordx4 off, v[22:25], off offset:128
	scratch_store_dword off, v14, off offset:144
	s_and_saveexec_b64 s[8:9], vcc
	s_cbranch_execz .LBB2129_393
; %bb.386:
	v_mov_b32_e32 v8, 0
	s_mov_b32 s10, 0
	v_cmp_eq_u16_sdwa s[12:13], v11, v8 src0_sel:BYTE_0 src1_sel:DWORD
	s_and_saveexec_b64 s[0:1], s[12:13]
	s_cbranch_execz .LBB2129_392
; %bb.387:
	v_mov_b32_e32 v9, v8
.LBB2129_388:                           ; =>This Inner Loop Header: Depth=1
	s_add_i32 s11, s10, 0
	s_add_i32 s10, s10, 8
	s_cmp_lg_u32 s10, 32
	scratch_store_dwordx2 off, v[8:9], s11
	s_cbranch_scc1 .LBB2129_388
; %bb.389:
	s_mov_b32 s10, 0
.LBB2129_390:                           ; =>This Inner Loop Header: Depth=1
	s_add_i32 s11, s10, 0x70
	s_add_i32 s12, s10, 0x48
	scratch_load_dwordx2 v[0:1], off, s11
	scratch_load_dwordx2 v[2:3], off, s12
	s_add_i32 s11, s10, 0
	s_add_i32 s10, s10, 8
	s_cmp_lg_u32 s10, 32
	s_waitcnt vmcnt(0)
	v_add_u32_e32 v1, v3, v1
	v_add_u32_e32 v0, v2, v0
	scratch_store_dwordx2 off, v[0:1], s11
	s_cbranch_scc1 .LBB2129_390
; %bb.391:
	scratch_load_dwordx4 v[0:3], off, off
	scratch_load_dwordx4 v[4:7], off, off offset:16
.LBB2129_392:
	s_or_b64 exec, exec, s[0:1]
	v_and_b32_e32 v8, 1, v11
	v_cmp_eq_u32_e32 vcc, 1, v8
	v_and_b32_e32 v8, 1, v14
	v_cmp_eq_u32_e64 s[0:1], 1, v8
	s_or_b64 s[0:1], vcc, s[0:1]
	s_nop 0
	v_cndmask_b32_e64 v8, 0, 1, s[0:1]
	scratch_store_byte off, v8, off offset:104
	scratch_load_dword v13, off, off offset:104
	s_waitcnt vmcnt(3)
	scratch_store_dwordx4 off, v[0:3], off offset:72
	s_waitcnt vmcnt(3)
	scratch_store_dwordx4 off, v[4:7], off offset:88
	s_waitcnt vmcnt(2)
	v_mov_b32_e32 v11, v13
.LBB2129_393:
	s_or_b64 exec, exec, s[8:9]
	v_and_b32_e32 v8, 16, v10
	v_mov_b32_dpp v18, v0 row_bcast:15 row_mask:0xf bank_mask:0xf
	v_mov_b32_dpp v19, v1 row_bcast:15 row_mask:0xf bank_mask:0xf
	;; [unrolled: 1-line block ×5, first 2 shown]
	v_cmp_ne_u32_e32 vcc, 0, v8
	v_mov_b32_dpp v22, v4 row_bcast:15 row_mask:0xf bank_mask:0xf
	v_mov_b32_dpp v23, v5 row_bcast:15 row_mask:0xf bank_mask:0xf
	;; [unrolled: 1-line block ×4, first 2 shown]
	scratch_store_dwordx4 off, v[18:21], off offset:112
	scratch_store_dwordx4 off, v[22:25], off offset:128
	scratch_store_dword off, v12, off offset:144
	s_and_saveexec_b64 s[8:9], vcc
	s_cbranch_execz .LBB2129_401
; %bb.394:
	v_mov_b32_e32 v8, 0
	s_mov_b32 s10, 0
	v_cmp_eq_u16_sdwa s[12:13], v11, v8 src0_sel:BYTE_0 src1_sel:DWORD
	s_and_saveexec_b64 s[0:1], s[12:13]
	s_cbranch_execz .LBB2129_400
; %bb.395:
	v_mov_b32_e32 v9, v8
.LBB2129_396:                           ; =>This Inner Loop Header: Depth=1
	s_add_i32 s11, s10, 0
	s_add_i32 s10, s10, 8
	s_cmp_lg_u32 s10, 32
	scratch_store_dwordx2 off, v[8:9], s11
	s_cbranch_scc1 .LBB2129_396
; %bb.397:
	s_mov_b32 s10, 0
.LBB2129_398:                           ; =>This Inner Loop Header: Depth=1
	s_add_i32 s11, s10, 0x70
	s_add_i32 s12, s10, 0x48
	scratch_load_dwordx2 v[0:1], off, s11
	scratch_load_dwordx2 v[2:3], off, s12
	s_add_i32 s11, s10, 0
	s_add_i32 s10, s10, 8
	s_cmp_lg_u32 s10, 32
	s_waitcnt vmcnt(0)
	v_add_u32_e32 v1, v3, v1
	v_add_u32_e32 v0, v2, v0
	scratch_store_dwordx2 off, v[0:1], s11
	s_cbranch_scc1 .LBB2129_398
; %bb.399:
	scratch_load_dwordx4 v[0:3], off, off
	scratch_load_dwordx4 v[4:7], off, off offset:16
.LBB2129_400:
	s_or_b64 exec, exec, s[0:1]
	v_and_b32_e32 v8, 1, v11
	v_cmp_eq_u32_e32 vcc, 1, v8
	v_and_b32_e32 v8, 1, v12
	v_cmp_eq_u32_e64 s[0:1], 1, v8
	s_or_b64 s[0:1], vcc, s[0:1]
	s_nop 0
	v_cndmask_b32_e64 v8, 0, 1, s[0:1]
	scratch_store_byte off, v8, off offset:104
	scratch_load_dword v13, off, off offset:104
	s_waitcnt vmcnt(3)
	scratch_store_dwordx4 off, v[0:3], off offset:72
	s_waitcnt vmcnt(3)
	scratch_store_dwordx4 off, v[4:7], off offset:88
	s_waitcnt vmcnt(2)
	v_mov_b32_e32 v11, v13
.LBB2129_401:
	s_or_b64 exec, exec, s[8:9]
	v_mov_b32_dpp v18, v0 row_bcast:31 row_mask:0xf bank_mask:0xf
	v_mov_b32_dpp v19, v1 row_bcast:31 row_mask:0xf bank_mask:0xf
	;; [unrolled: 1-line block ×5, first 2 shown]
	v_cmp_lt_u32_e32 vcc, 31, v10
	v_mov_b32_dpp v22, v4 row_bcast:31 row_mask:0xf bank_mask:0xf
	v_mov_b32_dpp v23, v5 row_bcast:31 row_mask:0xf bank_mask:0xf
	;; [unrolled: 1-line block ×4, first 2 shown]
	scratch_store_dwordx4 off, v[18:21], off offset:112
	scratch_store_dwordx4 off, v[22:25], off offset:128
	scratch_store_dword off, v12, off offset:144
	s_and_saveexec_b64 s[8:9], vcc
	s_cbranch_execz .LBB2129_409
; %bb.402:
	v_mov_b32_e32 v8, 0
	s_mov_b32 s10, 0
	v_cmp_eq_u16_sdwa s[12:13], v11, v8 src0_sel:BYTE_0 src1_sel:DWORD
	s_and_saveexec_b64 s[0:1], s[12:13]
	s_cbranch_execz .LBB2129_408
; %bb.403:
	v_mov_b32_e32 v9, v8
.LBB2129_404:                           ; =>This Inner Loop Header: Depth=1
	s_add_i32 s11, s10, 0
	s_add_i32 s10, s10, 8
	s_cmp_lg_u32 s10, 32
	scratch_store_dwordx2 off, v[8:9], s11
	s_cbranch_scc1 .LBB2129_404
; %bb.405:
	s_mov_b32 s10, 0
.LBB2129_406:                           ; =>This Inner Loop Header: Depth=1
	s_add_i32 s11, s10, 0x70
	s_add_i32 s12, s10, 0x48
	scratch_load_dwordx2 v[0:1], off, s11
	scratch_load_dwordx2 v[2:3], off, s12
	s_add_i32 s11, s10, 0
	s_add_i32 s10, s10, 8
	s_cmp_lg_u32 s10, 32
	s_waitcnt vmcnt(0)
	v_add_u32_e32 v1, v3, v1
	v_add_u32_e32 v0, v2, v0
	scratch_store_dwordx2 off, v[0:1], s11
	s_cbranch_scc1 .LBB2129_406
; %bb.407:
	scratch_load_dwordx4 v[0:3], off, off
	scratch_load_dwordx4 v[4:7], off, off offset:16
.LBB2129_408:
	s_or_b64 exec, exec, s[0:1]
	v_and_b32_e32 v8, 1, v11
	v_cmp_eq_u32_e32 vcc, 1, v8
	v_and_b32_e32 v8, 1, v12
	v_cmp_eq_u32_e64 s[0:1], 1, v8
	s_or_b64 s[0:1], vcc, s[0:1]
	s_nop 0
	v_cndmask_b32_e64 v11, 0, 1, s[0:1]
	s_waitcnt vmcnt(1)
	scratch_store_dwordx4 off, v[0:3], off offset:72
	s_waitcnt vmcnt(1)
	scratch_store_dwordx4 off, v[4:7], off offset:88
	scratch_store_byte off, v11, off offset:104
.LBB2129_409:
	s_or_b64 exec, exec, s[8:9]
	v_or_b32_e32 v8, 63, v16
	v_lshrrev_b32_e32 v12, 6, v16
	v_cmp_eq_u32_e32 vcc, v8, v16
	s_and_saveexec_b64 s[0:1], vcc
	s_cbranch_execz .LBB2129_411
; %bb.410:
	v_mul_u32_u24_e32 v8, 36, v12
	ds_write2_b32 v8, v0, v1 offset1:1
	ds_write2_b32 v8, v2, v3 offset0:2 offset1:3
	ds_write2_b32 v8, v4, v5 offset0:4 offset1:5
	;; [unrolled: 1-line block ×3, first 2 shown]
	ds_write_b8 v8, v11 offset:32
.LBB2129_411:
	s_or_b64 exec, exec, s[0:1]
	v_cmp_gt_u32_e32 vcc, 4, v16
	s_waitcnt lgkmcnt(0)
	s_barrier
	s_and_saveexec_b64 s[8:9], vcc
	s_cbranch_execz .LBB2129_429
; %bb.412:
	v_mul_u32_u24_e32 v11, 36, v16
	ds_read_b32 v13, v11 offset:32
	ds_read2_b32 v[4:5], v11 offset0:4 offset1:5
	ds_read2_b32 v[2:3], v11 offset0:2 offset1:3
	ds_read2_b32 v[0:1], v11 offset1:1
	ds_read2_b32 v[6:7], v11 offset0:6 offset1:7
	v_and_b32_e32 v14, 3, v10
	s_waitcnt lgkmcnt(4)
	v_mov_b32_dpp v15, v13 row_shr:1 row_mask:0xf bank_mask:0xf
	s_waitcnt lgkmcnt(2)
	v_mov_b32_dpp v20, v2 row_shr:1 row_mask:0xf bank_mask:0xf
	;; [unrolled: 2-line block ×3, first 2 shown]
	v_mov_b32_dpp v19, v1 row_shr:1 row_mask:0xf bank_mask:0xf
	v_mov_b32_dpp v21, v3 row_shr:1 row_mask:0xf bank_mask:0xf
	v_cmp_ne_u32_e32 vcc, 0, v14
	scratch_store_dword off, v13, off offset:32
	scratch_store_dwordx4 off, v[0:3], off
	s_waitcnt lgkmcnt(0)
	scratch_store_dwordx4 off, v[4:7], off offset:16
	v_mov_b32_dpp v22, v4 row_shr:1 row_mask:0xf bank_mask:0xf
	v_mov_b32_dpp v23, v5 row_shr:1 row_mask:0xf bank_mask:0xf
	;; [unrolled: 1-line block ×4, first 2 shown]
	scratch_store_dwordx4 off, v[18:21], off offset:112
	scratch_store_dwordx4 off, v[22:25], off offset:128
	scratch_store_dword off, v15, off offset:144
	s_and_saveexec_b64 s[0:1], vcc
	s_cbranch_execz .LBB2129_420
; %bb.413:
	v_mov_b32_e32 v8, 0
	v_cmp_eq_u16_sdwa s[12:13], v13, v8 src0_sel:BYTE_0 src1_sel:DWORD
	s_and_saveexec_b64 s[10:11], s[12:13]
	s_cbranch_execz .LBB2129_419
; %bb.414:
	s_mov_b32 s12, 0
	v_mov_b32_e32 v9, v8
.LBB2129_415:                           ; =>This Inner Loop Header: Depth=1
	s_add_i32 s13, s12, 36
	s_add_i32 s12, s12, 8
	s_cmp_lg_u32 s12, 32
	scratch_store_dwordx2 off, v[8:9], s13
	s_cbranch_scc1 .LBB2129_415
; %bb.416:
	s_mov_b32 s12, 0
.LBB2129_417:                           ; =>This Inner Loop Header: Depth=1
	s_add_i32 s13, s12, 0x70
	s_add_i32 s16, s12, 0
	scratch_load_dwordx2 v[0:1], off, s13
	scratch_load_dwordx2 v[2:3], off, s16
	s_add_i32 s13, s12, 36
	s_add_i32 s12, s12, 8
	s_cmp_lg_u32 s12, 32
	s_waitcnt vmcnt(0)
	v_add_u32_e32 v1, v3, v1
	v_add_u32_e32 v0, v2, v0
	scratch_store_dwordx2 off, v[0:1], s13
	s_cbranch_scc1 .LBB2129_417
; %bb.418:
	scratch_load_dwordx4 v[0:3], off, off offset:36
	scratch_load_dwordx4 v[4:7], off, off offset:52
.LBB2129_419:
	s_or_b64 exec, exec, s[10:11]
	v_or_b32_e32 v8, v15, v13
	v_and_b32_e32 v8, 1, v8
	scratch_store_byte off, v8, off offset:32
	scratch_load_dword v13, off, off offset:32
	s_waitcnt vmcnt(3)
	scratch_store_dwordx4 off, v[0:3], off
	s_waitcnt vmcnt(3)
	scratch_store_dwordx4 off, v[4:7], off offset:16
.LBB2129_420:
	s_or_b64 exec, exec, s[0:1]
	v_mov_b32_dpp v18, v0 row_shr:2 row_mask:0xf bank_mask:0xf
	v_mov_b32_dpp v19, v1 row_shr:2 row_mask:0xf bank_mask:0xf
	;; [unrolled: 1-line block ×4, first 2 shown]
	s_waitcnt vmcnt(2)
	v_mov_b32_dpp v15, v13 row_shr:2 row_mask:0xf bank_mask:0xf
	v_cmp_lt_u32_e32 vcc, 1, v14
	v_mov_b32_dpp v22, v4 row_shr:2 row_mask:0xf bank_mask:0xf
	v_mov_b32_dpp v23, v5 row_shr:2 row_mask:0xf bank_mask:0xf
	;; [unrolled: 1-line block ×4, first 2 shown]
	scratch_store_dwordx4 off, v[18:21], off offset:112
	scratch_store_dwordx4 off, v[22:25], off offset:128
	scratch_store_dword off, v15, off offset:144
	s_and_saveexec_b64 s[10:11], vcc
	s_cbranch_execz .LBB2129_428
; %bb.421:
	v_mov_b32_e32 v8, 0
	s_mov_b32 s12, 0
	v_cmp_eq_u16_sdwa s[16:17], v13, v8 src0_sel:BYTE_0 src1_sel:DWORD
	s_and_saveexec_b64 s[0:1], s[16:17]
	s_cbranch_execz .LBB2129_427
; %bb.422:
	v_mov_b32_e32 v9, v8
.LBB2129_423:                           ; =>This Inner Loop Header: Depth=1
	s_add_i32 s13, s12, 36
	s_add_i32 s12, s12, 8
	s_cmp_lg_u32 s12, 32
	scratch_store_dwordx2 off, v[8:9], s13
	s_cbranch_scc1 .LBB2129_423
; %bb.424:
	s_mov_b32 s12, 0
.LBB2129_425:                           ; =>This Inner Loop Header: Depth=1
	s_add_i32 s13, s12, 0x70
	s_add_i32 s16, s12, 0
	scratch_load_dwordx2 v[0:1], off, s13
	scratch_load_dwordx2 v[2:3], off, s16
	s_add_i32 s13, s12, 36
	s_add_i32 s12, s12, 8
	s_cmp_lg_u32 s12, 32
	s_waitcnt vmcnt(0)
	v_add_u32_e32 v1, v3, v1
	v_add_u32_e32 v0, v2, v0
	scratch_store_dwordx2 off, v[0:1], s13
	s_cbranch_scc1 .LBB2129_425
; %bb.426:
	scratch_load_dwordx4 v[0:3], off, off offset:36
	scratch_load_dwordx4 v[4:7], off, off offset:52
.LBB2129_427:
	s_or_b64 exec, exec, s[0:1]
	v_and_b32_e32 v8, 1, v13
	v_cmp_eq_u32_e32 vcc, 1, v8
	v_and_b32_e32 v8, 1, v15
	v_cmp_eq_u32_e64 s[0:1], 1, v8
	s_or_b64 s[0:1], vcc, s[0:1]
	s_waitcnt vmcnt(1)
	scratch_store_dwordx4 off, v[0:3], off
	s_waitcnt vmcnt(1)
	scratch_store_dwordx4 off, v[4:7], off offset:16
	v_cndmask_b32_e64 v13, 0, 1, s[0:1]
.LBB2129_428:
	s_or_b64 exec, exec, s[10:11]
	scratch_load_dwordx4 v[0:3], off, off
	scratch_load_dwordx4 v[4:7], off, off offset:16
	s_waitcnt vmcnt(1)
	ds_write2_b32 v11, v2, v3 offset0:2 offset1:3
	ds_write2_b32 v11, v0, v1 offset1:1
	s_waitcnt vmcnt(0)
	ds_write2_b32 v11, v6, v7 offset0:6 offset1:7
	ds_write2_b32 v11, v4, v5 offset0:4 offset1:5
	ds_write_b8 v11, v13 offset:32
.LBB2129_429:
	s_or_b64 exec, exec, s[8:9]
	s_mov_b32 s8, 0
	s_mov_b32 s9, s8
	v_mov_b32_e32 v0, 0
	s_mov_b32 s10, s8
	s_mov_b32 s11, s8
	v_mov_b64_e32 v[2:3], s[8:9]
	v_mov_b64_e32 v[4:5], s[10:11]
	v_mov_b32_e32 v1, v0
	s_waitcnt lgkmcnt(0)
	s_barrier
	scratch_store_dword off, v0, off offset:144
	scratch_store_dwordx4 off, v[2:5], off offset:128
	scratch_store_dwordx4 off, v[2:5], off offset:112
.LBB2129_430:                           ; =>This Inner Loop Header: Depth=1
	s_add_i32 s0, s8, 0x70
	s_add_i32 s8, s8, 8
	s_cmp_lg_u32 s8, 32
	scratch_store_dwordx2 off, v[0:1], s0
	s_cbranch_scc1 .LBB2129_430
; %bb.431:
	v_cmp_lt_u32_e32 vcc, 63, v16
                                        ; implicit-def: $vgpr0_vgpr1
                                        ; implicit-def: $vgpr4_vgpr5
                                        ; implicit-def: $vgpr8
	s_and_saveexec_b64 s[0:1], vcc
	s_xor_b64 s[0:1], exec, s[0:1]
	s_cbranch_execz .LBB2129_441
; %bb.432:
	scratch_load_ubyte v9, off, off offset:104
	v_not_b32_e32 v0, 35
	v_mad_u32_u24 v8, v12, 36, v0
	ds_read2_b32 v[0:1], v8 offset0:4 offset1:5
	ds_read2_b32 v[6:7], v8 offset0:2 offset1:3
	ds_read2_b32 v[4:5], v8 offset1:1
	ds_read2_b32 v[2:3], v8 offset0:6 offset1:7
	ds_read_u8 v8, v8 offset:32
	s_waitcnt lgkmcnt(2)
	scratch_store_dwordx4 off, v[4:7], off offset:112
	s_waitcnt lgkmcnt(1)
	scratch_store_dwordx4 off, v[0:3], off offset:128
                                        ; implicit-def: $vgpr0_vgpr1
                                        ; implicit-def: $vgpr4_vgpr5
	s_waitcnt vmcnt(2)
	v_cmp_ne_u16_e32 vcc, 0, v9
	s_and_saveexec_b64 s[8:9], vcc
	s_xor_b64 s[8:9], exec, s[8:9]
	s_cbranch_execz .LBB2129_434
; %bb.433:
	scratch_load_dwordx4 v[0:3], off, off offset:72
	scratch_load_dwordx4 v[4:7], off, off offset:88
.LBB2129_434:
	s_andn2_saveexec_b64 s[8:9], s[8:9]
	s_cbranch_execz .LBB2129_440
; %bb.435:
	s_waitcnt vmcnt(1)
	v_mov_b32_e32 v0, 0
	s_mov_b32 s10, 0
	v_mov_b32_e32 v1, v0
.LBB2129_436:                           ; =>This Inner Loop Header: Depth=1
	s_add_i32 s11, s10, 0
	s_add_i32 s10, s10, 8
	s_cmp_lg_u32 s10, 32
	scratch_store_dwordx2 off, v[0:1], s11
	s_cbranch_scc1 .LBB2129_436
; %bb.437:
	s_mov_b32 s10, 0
.LBB2129_438:                           ; =>This Inner Loop Header: Depth=1
	s_add_i32 s11, s10, 0x70
	s_add_i32 s12, s10, 0x48
	scratch_load_dwordx2 v[0:1], off, s11
	scratch_load_dwordx2 v[2:3], off, s12
	s_add_i32 s11, s10, 0
	s_add_i32 s10, s10, 8
	s_cmp_lg_u32 s10, 32
	s_waitcnt vmcnt(0)
	v_add_u32_e32 v1, v3, v1
	v_add_u32_e32 v0, v2, v0
	scratch_store_dwordx2 off, v[0:1], s11
	s_cbranch_scc1 .LBB2129_438
; %bb.439:
	scratch_load_dwordx4 v[0:3], off, off
	scratch_load_dwordx4 v[4:7], off, off offset:16
.LBB2129_440:
	s_or_b64 exec, exec, s[8:9]
	s_waitcnt lgkmcnt(0)
	v_or_b32_e32 v9, v9, v8
	v_and_b32_e32 v9, 1, v9
	scratch_store_byte off, v9, off offset:104
.LBB2129_441:
	s_andn2_saveexec_b64 s[0:1], s[0:1]
	s_cbranch_execz .LBB2129_443
; %bb.442:
	scratch_load_dwordx4 v[0:3], off, off offset:72
	scratch_load_dwordx4 v[4:7], off, off offset:88
	v_mov_b32_e32 v8, 0
.LBB2129_443:
	s_or_b64 exec, exec, s[0:1]
	scratch_load_dword v11, off, off offset:104
	v_add_u32_e32 v9, -1, v10
	v_and_b32_e32 v12, 64, v10
	v_cmp_lt_i32_e32 vcc, v9, v12
	s_nop 1
	v_cndmask_b32_e32 v9, v9, v10, vcc
	v_lshlrev_b32_e32 v9, 2, v9
	s_waitcnt vmcnt(2)
	ds_bpermute_b32 v0, v9, v0
	ds_bpermute_b32 v1, v9, v1
	;; [unrolled: 1-line block ×4, first 2 shown]
	s_waitcnt vmcnt(1)
	ds_bpermute_b32 v4, v9, v4
	ds_bpermute_b32 v5, v9, v5
	;; [unrolled: 1-line block ×4, first 2 shown]
	v_cmp_eq_u32_e32 vcc, 0, v10
	s_waitcnt vmcnt(0)
	ds_bpermute_b32 v9, v9, v11
	s_waitcnt lgkmcnt(5)
	scratch_store_dwordx4 off, v[0:3], off offset:72
	s_waitcnt lgkmcnt(1)
	scratch_store_dwordx4 off, v[4:7], off offset:88
	s_waitcnt lgkmcnt(0)
	scratch_store_byte off, v9, off offset:104
	s_and_saveexec_b64 s[0:1], vcc
	s_cbranch_execz .LBB2129_445
; %bb.444:
	scratch_load_dwordx4 v[0:3], off, off offset:112
	scratch_load_dwordx4 v[4:7], off, off offset:128
	v_mov_b32_e32 v9, v8
	scratch_store_byte off, v8, off offset:104
	s_waitcnt vmcnt(2)
	scratch_store_dwordx4 off, v[0:3], off offset:72
	s_waitcnt vmcnt(2)
	scratch_store_dwordx4 off, v[4:7], off offset:88
.LBB2129_445:
	s_or_b64 exec, exec, s[0:1]
	scratch_load_dwordx4 v[12:15], off, off offset:288
	scratch_load_dwordx4 v[18:21], off, off offset:304
	scratch_load_dword v8, off, off offset:320
	s_mov_b32 s0, 0x3020104
	scratch_store_dwordx4 off, v[0:3], off
	scratch_store_dwordx4 off, v[4:7], off offset:16
                                        ; implicit-def: $vgpr6_vgpr7
                                        ; implicit-def: $vgpr2_vgpr3
	s_nop 0
	v_perm_b32 v0, v9, v11, s0
	scratch_store_dword off, v0, off offset:32
	s_waitcnt vmcnt(5)
	scratch_store_dwordx4 off, v[12:15], off offset:36
	s_waitcnt vmcnt(5)
	scratch_store_dwordx4 off, v[18:21], off offset:52
	s_waitcnt vmcnt(5)
	scratch_store_dword off, v8, off offset:68
	s_and_saveexec_b64 s[0:1], s[4:5]
	s_xor_b64 s[0:1], exec, s[0:1]
	s_cbranch_execz .LBB2129_455
; %bb.446:
	v_mov_b32_e32 v0, 0
	v_cmp_ne_u16_sdwa s[4:5], v8, v0 src0_sel:BYTE_0 src1_sel:DWORD
                                        ; implicit-def: $vgpr6_vgpr7
                                        ; implicit-def: $vgpr2_vgpr3
	s_and_saveexec_b64 s[8:9], s[4:5]
	s_xor_b64 s[4:5], exec, s[8:9]
	s_cbranch_execz .LBB2129_448
; %bb.447:
	scratch_load_dwordx4 v[0:3], off, off offset:36
	scratch_load_dwordx4 v[4:7], off, off offset:52
.LBB2129_448:
	s_andn2_saveexec_b64 s[4:5], s[4:5]
	s_cbranch_execz .LBB2129_454
; %bb.449:
	s_waitcnt vmcnt(1)
	v_mov_b32_e32 v0, 0
	s_mov_b32 s8, 0
	v_mov_b32_e32 v1, v0
.LBB2129_450:                           ; =>This Inner Loop Header: Depth=1
	s_add_i32 s9, s8, 0x70
	s_add_i32 s8, s8, 8
	s_cmp_lg_u32 s8, 32
	scratch_store_dwordx2 off, v[0:1], s9
	s_cbranch_scc1 .LBB2129_450
; %bb.451:
	s_mov_b32 s8, 0
.LBB2129_452:                           ; =>This Inner Loop Header: Depth=1
	s_add_i32 s9, s8, 0
	s_add_i32 s10, s8, 36
	scratch_load_dwordx2 v[0:1], off, s9
	scratch_load_dwordx2 v[2:3], off, s10
	s_add_i32 s9, s8, 0x70
	s_add_i32 s8, s8, 8
	s_cmp_lg_u32 s8, 32
	s_waitcnt vmcnt(0)
	v_add_u32_e32 v1, v3, v1
	v_add_u32_e32 v0, v2, v0
	scratch_store_dwordx2 off, v[0:1], s9
	s_cbranch_scc1 .LBB2129_452
; %bb.453:
	scratch_load_dwordx4 v[0:3], off, off offset:112
	scratch_load_dwordx4 v[4:7], off, off offset:128
.LBB2129_454:
	s_or_b64 exec, exec, s[4:5]
	v_or_b32_e32 v8, v8, v9
	v_and_b32_e32 v8, 1, v8
	s_waitcnt vmcnt(1)
	scratch_store_dwordx4 off, v[0:3], off offset:36
	s_waitcnt vmcnt(1)
	scratch_store_dwordx4 off, v[4:7], off offset:52
	;;#ASMSTART
	;;#ASMEND
.LBB2129_455:
	s_andn2_saveexec_b64 s[0:1], s[0:1]
	s_cbranch_execz .LBB2129_457
; %bb.456:
	scratch_load_dwordx4 v[0:3], off, off offset:36
	scratch_load_dwordx4 v[4:7], off, off offset:52
.LBB2129_457:
	s_or_b64 exec, exec, s[0:1]
	scratch_load_dwordx4 v[10:13], off, off offset:36
	scratch_load_dwordx4 v[18:21], off, off offset:52
	scratch_load_ushort v14, off, off offset:69
	scratch_load_ubyte v15, off, off offset:71
	scratch_load_ubyte v9, off, off offset:356
	s_nop 0
	scratch_store_byte off, v8, off offset:320
	s_waitcnt vmcnt(7)
	scratch_store_dwordx4 off, v[0:3], off offset:112
	s_waitcnt vmcnt(7)
	scratch_store_dwordx4 off, v[4:7], off offset:128
	s_waitcnt vmcnt(7)
	scratch_store_dwordx4 off, v[10:13], off offset:288
	s_waitcnt vmcnt(7)
	scratch_store_dwordx4 off, v[18:21], off offset:304
	s_waitcnt vmcnt(7)
	v_lshrrev_b32_e32 v0, 8, v14
	v_lshlrev_b16_e32 v1, 8, v14
	s_waitcnt vmcnt(6)
	v_lshlrev_b16_e32 v2, 8, v15
	v_or_b32_sdwa v1, v8, v1 dst_sel:DWORD dst_unused:UNUSED_PAD src0_sel:BYTE_0 src1_sel:DWORD
	v_or_b32_sdwa v0, v0, v2 dst_sel:WORD_1 dst_unused:UNUSED_PAD src0_sel:BYTE_0 src1_sel:DWORD
	s_waitcnt vmcnt(5)
	v_cmp_ne_u16_e32 vcc, 0, v9
	v_or_b32_sdwa v0, v1, v0 dst_sel:DWORD dst_unused:UNUSED_PAD src0_sel:WORD_0 src1_sel:DWORD
	scratch_store_dword off, v0, off offset:144
                                        ; implicit-def: $vgpr6_vgpr7
                                        ; implicit-def: $vgpr2_vgpr3
	s_and_saveexec_b64 s[0:1], vcc
	s_xor_b64 s[0:1], exec, s[0:1]
	s_cbranch_execz .LBB2129_459
; %bb.458:
	scratch_load_dwordx4 v[0:3], off, off offset:324
	scratch_load_dwordx4 v[4:7], off, off offset:340
.LBB2129_459:
	s_andn2_saveexec_b64 s[0:1], s[0:1]
	s_cbranch_execz .LBB2129_465
; %bb.460:
	s_waitcnt vmcnt(1)
	v_mov_b32_e32 v0, 0
	s_mov_b32 s4, 0
	v_mov_b32_e32 v1, v0
.LBB2129_461:                           ; =>This Inner Loop Header: Depth=1
	s_add_i32 s5, s4, 0xf4
	s_add_i32 s4, s4, 8
	s_cmp_lg_u32 s4, 32
	scratch_store_dwordx2 off, v[0:1], s5
	s_cbranch_scc1 .LBB2129_461
; %bb.462:
	s_mov_b32 s4, 0
.LBB2129_463:                           ; =>This Inner Loop Header: Depth=1
	s_add_i32 s5, s4, 0x70
	s_add_i32 s8, s23, s4
	scratch_load_dwordx2 v[0:1], off, s5
	scratch_load_dwordx2 v[2:3], off, s8
	s_add_i32 s5, s4, 0xf4
	s_add_i32 s4, s4, 8
	s_cmp_lg_u32 s4, 32
	s_waitcnt vmcnt(0)
	v_add_u32_e32 v1, v3, v1
	v_add_u32_e32 v0, v2, v0
	scratch_store_dwordx2 off, v[0:1], s5
	s_cbranch_scc1 .LBB2129_463
; %bb.464:
	scratch_load_dwordx4 v[0:3], off, off offset:244
	scratch_load_dwordx4 v[4:7], off, off offset:260
.LBB2129_465:
	s_or_b64 exec, exec, s[0:1]
	scratch_load_ubyte v10, off, off offset:392
	v_or_b32_e32 v8, v9, v8
	v_and_b32_e32 v8, 1, v8
	v_cmp_eq_u32_e32 vcc, 1, v8
	s_waitcnt vmcnt(2)
	scratch_store_dwordx4 off, v[0:3], off offset:112
	s_waitcnt vmcnt(2)
	scratch_store_dwordx4 off, v[4:7], off offset:128
	scratch_store_dwordx4 off, v[0:3], s23
	scratch_store_dwordx4 off, v[4:7], s23 offset:16
	scratch_store_byte off, v8, off offset:356
                                        ; implicit-def: $vgpr6_vgpr7
                                        ; implicit-def: $vgpr2_vgpr3
	s_waitcnt vmcnt(5)
	v_cmp_ne_u16_e64 s[0:1], 0, v10
	s_and_saveexec_b64 s[4:5], s[0:1]
	s_xor_b64 s[0:1], exec, s[4:5]
	s_cbranch_execz .LBB2129_467
; %bb.466:
	scratch_load_dwordx4 v[0:3], off, off offset:360
	scratch_load_dwordx4 v[4:7], off, off offset:376
.LBB2129_467:
	s_andn2_saveexec_b64 s[0:1], s[0:1]
	s_cbranch_execz .LBB2129_473
; %bb.468:
	s_waitcnt vmcnt(1)
	v_mov_b32_e32 v0, 0
	s_mov_b32 s4, 0
	v_mov_b32_e32 v1, v0
.LBB2129_469:                           ; =>This Inner Loop Header: Depth=1
	s_add_i32 s5, s4, 0xf4
	s_add_i32 s4, s4, 8
	s_cmp_lg_u32 s4, 32
	scratch_store_dwordx2 off, v[0:1], s5
	s_cbranch_scc1 .LBB2129_469
; %bb.470:
	s_mov_b32 s4, 0
.LBB2129_471:                           ; =>This Inner Loop Header: Depth=1
	s_add_i32 s5, s4, 0x70
	s_add_i32 s8, s33, s4
	scratch_load_dwordx2 v[0:1], off, s5
	scratch_load_dwordx2 v[2:3], off, s8
	s_add_i32 s5, s4, 0xf4
	s_add_i32 s4, s4, 8
	s_cmp_lg_u32 s4, 32
	s_waitcnt vmcnt(0)
	v_add_u32_e32 v1, v3, v1
	v_add_u32_e32 v0, v2, v0
	scratch_store_dwordx2 off, v[0:1], s5
	s_cbranch_scc1 .LBB2129_471
; %bb.472:
	scratch_load_dwordx4 v[0:3], off, off offset:244
	scratch_load_dwordx4 v[4:7], off, off offset:260
.LBB2129_473:
	s_or_b64 exec, exec, s[0:1]
	v_and_b32_e32 v8, 1, v10
	v_cmp_eq_u32_e64 s[0:1], 1, v8
	v_mov_b32_e32 v8, 0
	ds_read2_b32 v[12:13], v8 offset0:33 offset1:34
	ds_read2_b32 v[10:11], v8 offset0:31 offset1:32
	;; [unrolled: 1-line block ×4, first 2 shown]
	s_waitcnt vmcnt(1)
	scratch_store_dwordx4 off, v[0:3], s33
	ds_read_u8 v0, v8 offset:140
	s_or_b64 s[0:1], s[0:1], vcc
	v_cndmask_b32_e64 v9, 0, 1, s[0:1]
	s_waitcnt vmcnt(1)
	scratch_store_dwordx4 off, v[4:7], s33 offset:16
	scratch_store_byte off, v9, off offset:392
	s_waitcnt lgkmcnt(1)
	scratch_store_dwordx4 off, v[18:21], off offset:208
	scratch_store_dwordx4 off, v[10:13], off offset:224
	s_waitcnt lgkmcnt(0)
	scratch_store_byte off, v0, off offset:240
	s_and_saveexec_b64 s[0:1], s[6:7]
	s_cbranch_execz .LBB2129_475
; %bb.474:
	scratch_load_ushort v1, off, off offset:241
	scratch_load_ubyte v6, off, off offset:243
	scratch_load_dwordx4 v[2:5], off, off offset:208
	scratch_load_dwordx4 v[10:13], off, off offset:224
	s_mov_b32 s4, 0x2010004
	v_mov_b32_e32 v7, 2
	s_waitcnt vmcnt(1)
	global_store_dword v8, v2, s[18:19] offset:2304 sc1
	global_store_dword v8, v3, s[18:19] offset:2308 sc1
	;; [unrolled: 1-line block ×4, first 2 shown]
	s_waitcnt vmcnt(4)
	global_store_dword v8, v10, s[18:19] offset:2320 sc1
	global_store_dword v8, v11, s[18:19] offset:2324 sc1
	;; [unrolled: 1-line block ×4, first 2 shown]
	v_lshl_or_b32 v1, v6, 16, v1
	v_perm_b32 v0, v0, v1, s4
	global_store_dword v8, v0, s[18:19] offset:2336 sc1
	s_waitcnt vmcnt(0)
	global_store_byte v8, v7, s[20:21] offset:64 sc1
.LBB2129_475:
	s_or_b64 exec, exec, s[0:1]
.LBB2129_476:
	v_mov_b32_e32 v0, 0
	s_mov_b32 s0, 0
	v_mov_b32_e32 v1, v0
.LBB2129_477:                           ; =>This Inner Loop Header: Depth=1
	s_add_i32 s1, s0, 0x70
	s_add_i32 s0, s0, 8
	s_cmp_lg_u32 s0, 32
	scratch_store_dwordx2 off, v[0:1], s1
	s_cbranch_scc1 .LBB2129_477
; %bb.478:
	v_mov_b32_e32 v0, 0
	s_mov_b32 s0, 32
	v_mov_b32_e32 v1, v0
.LBB2129_479:                           ; =>This Inner Loop Header: Depth=1
	s_add_i32 s1, s0, 0x70
	s_add_i32 s0, s0, 8
	s_cmp_lg_u32 s0, 64
	scratch_store_dwordx2 off, v[0:1], s1
	s_cbranch_scc1 .LBB2129_479
; %bb.480:
	v_mov_b32_e32 v0, 0
	s_mov_b32 s0, 64
	v_mov_b32_e32 v1, v0
.LBB2129_481:                           ; =>This Inner Loop Header: Depth=1
	s_add_i32 s1, s0, 0x70
	s_add_i32 s0, s0, 8
	s_cmpk_lg_i32 s0, 0x60
	scratch_store_dwordx2 off, v[0:1], s1
	s_cbranch_scc1 .LBB2129_481
; %bb.482:
	s_add_u32 s0, s14, s34
	s_addc_u32 s1, s15, s35
	v_mov_b32_e32 v0, 0x70
	s_add_u32 s0, s0, s36
	v_add_u32_e32 v4, 64, v0
	v_add_u32_e32 v5, 32, v0
	s_addc_u32 s1, s1, s37
	s_and_b64 vcc, exec, s[2:3]
	s_cbranch_vccz .LBB2129_492
; %bb.483:
	s_add_i32 s50, s50, s22
	v_mul_u32_u24_e32 v0, 3, v16
	v_cmp_gt_u32_e32 vcc, s50, v0
	s_and_saveexec_b64 s[2:3], vcc
	s_cbranch_execz .LBB2129_487
; %bb.484:
	scratch_load_dwordx4 v[6:9], off, off offset:288
	scratch_load_dwordx4 v[10:13], off, off offset:304
	v_add_u32_e32 v1, 1, v0
	v_cmp_gt_u32_e32 vcc, s50, v1
	s_waitcnt vmcnt(1)
	scratch_store_dwordx4 off, v[6:9], off offset:112
	s_waitcnt vmcnt(1)
	scratch_store_dwordx4 off, v[10:13], off offset:128
	s_and_b64 exec, exec, vcc
	s_cbranch_execz .LBB2129_487
; %bb.485:
	scratch_load_dwordx4 v[6:9], off, s23
	scratch_load_dwordx4 v[10:13], off, s23 offset:16
	v_add_u32_e32 v1, 2, v0
	v_cmp_gt_u32_e32 vcc, s50, v1
	s_waitcnt vmcnt(1)
	scratch_store_dwordx4 v5, v[6:9], off
	s_waitcnt vmcnt(1)
	scratch_store_dwordx4 v5, v[10:13], off offset:16
	s_and_b64 exec, exec, vcc
	s_cbranch_execz .LBB2129_487
; %bb.486:
	scratch_load_dwordx4 v[6:9], off, s33
	scratch_load_dwordx4 v[10:13], off, s33 offset:16
	s_waitcnt vmcnt(1)
	scratch_store_dwordx4 v4, v[6:9], off
	s_waitcnt vmcnt(1)
	scratch_store_dwordx4 v4, v[10:13], off offset:16
.LBB2129_487:
	s_or_b64 exec, exec, s[2:3]
	s_barrier
	scratch_load_dwordx4 v[8:11], off, off offset:112
	scratch_load_dwordx4 v[12:15], off, off offset:128
	scratch_load_dwordx4 v[18:21], v5, off
	scratch_load_dwordx4 v[22:25], v5, off offset:16
	scratch_load_dwordx4 v[26:29], v4, off
	scratch_load_dwordx4 v[30:33], v4, off offset:16
	v_lshlrev_b32_e32 v2, 5, v0
	v_lshlrev_b32_e32 v3, 6, v16
	v_sub_u32_e32 v6, v2, v3
	v_mov_b32_e32 v1, 0
	v_lshlrev_b32_e32 v0, 5, v16
	v_cmp_gt_u32_e32 vcc, s50, v16
	s_waitcnt vmcnt(5)
	ds_write_b128 v2, v[8:11]
	s_waitcnt vmcnt(4)
	ds_write_b128 v2, v[12:15] offset:16
	s_waitcnt vmcnt(3)
	ds_write_b128 v2, v[18:21] offset:32
	;; [unrolled: 2-line block ×5, first 2 shown]
	s_waitcnt lgkmcnt(0)
	s_barrier
	ds_read_b128 v[8:11], v6 offset:8192
	ds_read_b128 v[12:15], v6 offset:8208
	;; [unrolled: 1-line block ×4, first 2 shown]
	v_lshl_add_u64 v[2:3], s[0:1], 0, v[0:1]
	s_waitcnt lgkmcnt(3)
	scratch_store_dwordx4 v5, v[8:11], off
	s_waitcnt lgkmcnt(2)
	scratch_store_dwordx4 v5, v[12:15], off offset:16
	s_waitcnt lgkmcnt(1)
	scratch_store_dwordx4 v4, v[18:21], off
	s_waitcnt lgkmcnt(0)
	scratch_store_dwordx4 v4, v[22:25], off offset:16
	s_and_saveexec_b64 s[2:3], vcc
	s_cbranch_execz .LBB2129_489
; %bb.488:
	ds_read2_b32 v[8:9], v6 offset0:4 offset1:5
	ds_read2_b32 v[10:11], v6 offset0:6 offset1:7
	;; [unrolled: 1-line block ×3, first 2 shown]
	ds_read2_b32 v[12:13], v6 offset1:1
	s_waitcnt lgkmcnt(0)
	flat_store_dwordx4 v[2:3], v[12:15]
	flat_store_dwordx4 v[2:3], v[8:11] offset:16
.LBB2129_489:
	s_or_b64 exec, exec, s[2:3]
	v_or_b32_e32 v0, 0x100, v16
	v_cmp_gt_u32_e32 vcc, s50, v0
	s_and_saveexec_b64 s[2:3], vcc
	s_cbranch_execz .LBB2129_491
; %bb.490:
	scratch_load_dwordx4 v[6:9], v5, off offset:16
	s_mov_b64 s[4:5], 0x2000
	v_lshl_add_u64 v[10:11], v[2:3], 0, s[4:5]
	v_add_co_u32_e32 v2, vcc, 0x2000, v2
	s_waitcnt vmcnt(0)
	flat_store_dwordx4 v[10:11], v[6:9] offset:16
	scratch_load_dwordx4 v[6:9], v5, off
	v_addc_co_u32_e32 v3, vcc, 0, v3, vcc
	s_waitcnt vmcnt(0)
	flat_store_dwordx4 v[2:3], v[6:9]
.LBB2129_491:
	s_or_b64 exec, exec, s[2:3]
	v_or_b32_e32 v0, 0x200, v16
	v_mov_b32_e32 v17, v1
	v_cmp_gt_u32_e64 s[2:3], s50, v0
	s_branch .LBB2129_494
.LBB2129_492:
	s_mov_b64 s[2:3], 0
	s_cbranch_execz .LBB2129_494
; %bb.493:
	scratch_load_dwordx4 v[0:3], off, off offset:288
	scratch_load_dwordx4 v[6:9], off, off offset:304
	scratch_load_dwordx4 v[10:13], off, s23
	scratch_load_dwordx4 v[18:21], off, s23 offset:16
	scratch_load_dwordx4 v[22:25], off, s33
	scratch_load_dwordx4 v[26:29], off, s33 offset:16
	v_mul_u32_u24_e32 v34, 0x60, v16
	v_lshlrev_b32_e32 v15, 6, v16
	v_sub_u32_e32 v35, v34, v15
	v_mov_b32_e32 v17, 0
	v_lshlrev_b32_e32 v14, 5, v16
	v_mov_b32_e32 v15, v17
	v_lshl_add_u64 v[14:15], s[0:1], 0, v[14:15]
	s_mov_b64 s[4:5], 0x2000
	v_add_co_u32_e32 v32, vcc, 0x2000, v14
	s_or_b64 s[2:3], s[2:3], exec
	v_lshl_add_u64 v[30:31], v[14:15], 0, s[4:5]
	v_addc_co_u32_e32 v33, vcc, 0, v15, vcc
	s_waitcnt vmcnt(0)
	scratch_store_dwordx4 off, v[0:3], off offset:112
	scratch_store_dwordx4 off, v[6:9], off offset:128
	scratch_store_dwordx4 v5, v[10:13], off
	scratch_store_dwordx4 v5, v[18:21], off offset:16
	scratch_store_dwordx4 v4, v[22:25], off
	scratch_store_dwordx4 v4, v[26:29], off offset:16
	s_waitcnt lgkmcnt(0)
	s_barrier
	scratch_load_dwordx4 v[0:3], off, off offset:112
	scratch_load_dwordx4 v[6:9], off, off offset:128
	scratch_load_dwordx4 v[10:13], v5, off
	scratch_load_dwordx4 v[18:21], v5, off offset:16
	scratch_load_dwordx4 v[22:25], v4, off
	scratch_load_dwordx4 v[26:29], v4, off offset:16
	s_waitcnt vmcnt(5)
	ds_write_b128 v34, v[0:3]
	s_waitcnt vmcnt(4)
	ds_write_b128 v34, v[6:9] offset:16
	s_waitcnt vmcnt(3)
	ds_write_b128 v34, v[10:13] offset:32
	;; [unrolled: 2-line block ×5, first 2 shown]
	s_waitcnt lgkmcnt(0)
	s_barrier
	ds_read_b128 v[0:3], v35 offset:8192
	ds_read_b128 v[6:9], v35 offset:8208
	;; [unrolled: 1-line block ×4, first 2 shown]
	ds_read2_b32 v[22:23], v35 offset1:1
	ds_read2_b32 v[28:29], v35 offset0:6 offset1:7
	ds_read2_b32 v[26:27], v35 offset0:4 offset1:5
	;; [unrolled: 1-line block ×3, first 2 shown]
	s_waitcnt lgkmcnt(7)
	scratch_store_dwordx4 v5, v[0:3], off
	s_waitcnt lgkmcnt(6)
	scratch_store_dwordx4 v5, v[6:9], off offset:16
	s_waitcnt lgkmcnt(5)
	scratch_store_dwordx4 v4, v[10:13], off
	s_waitcnt lgkmcnt(4)
	scratch_store_dwordx4 v4, v[18:21], off offset:16
	s_waitcnt lgkmcnt(1)
	flat_store_dwordx4 v[14:15], v[26:29] offset:16
	s_waitcnt lgkmcnt(0)
	flat_store_dwordx4 v[14:15], v[22:25]
	flat_store_dwordx4 v[32:33], v[0:3]
	flat_store_dwordx4 v[30:31], v[6:9] offset:16
.LBB2129_494:
	s_and_saveexec_b64 s[4:5], s[2:3]
	s_cbranch_execnz .LBB2129_496
; %bb.495:
	s_endpgm
.LBB2129_496:
	scratch_load_dwordx4 v[0:3], v4, off offset:16
	v_lshlrev_b64 v[6:7], 5, v[16:17]
	v_lshl_add_u64 v[6:7], s[0:1], 0, v[6:7]
	s_mov_b64 s[0:1], 0x4000
	v_lshl_add_u64 v[8:9], v[6:7], 0, s[0:1]
	s_waitcnt vmcnt(0)
	flat_store_dwordx4 v[8:9], v[0:3] offset:16
	scratch_load_dwordx4 v[0:3], v4, off
	v_add_co_u32_e32 v4, vcc, 0x4000, v6
	s_nop 1
	v_addc_co_u32_e32 v5, vcc, 0, v7, vcc
	s_waitcnt vmcnt(0)
	flat_store_dwordx4 v[4:5], v[0:3]
	s_endpgm
.LBB2129_497:
	v_lshlrev_b64 v[10:11], 5, v[16:17]
	v_lshl_add_u64 v[14:15], s[28:29], 0, v[10:11]
	flat_load_dwordx4 v[10:13], v[14:15]
	flat_load_dwordx4 v[18:21], v[14:15] offset:16
	s_waitcnt vmcnt(0) lgkmcnt(0)
	scratch_store_dwordx4 off, v[10:13], off offset:112
	scratch_store_dwordx4 off, v[18:21], off offset:128
	s_or_b64 exec, exec, s[24:25]
	s_and_saveexec_b64 s[8:9], s[10:11]
	s_cbranch_execz .LBB2129_315
.LBB2129_498:
	v_lshlrev_b32_e32 v10, 5, v6
	v_mov_b32_e32 v11, 0
	v_lshl_add_u64 v[14:15], s[28:29], 0, v[10:11]
	flat_load_dwordx4 v[10:13], v[14:15]
	flat_load_dwordx4 v[18:21], v[14:15] offset:16
	s_waitcnt vmcnt(0) lgkmcnt(0)
	scratch_store_dwordx4 off, v[10:13], off offset:144
	scratch_store_dwordx4 off, v[18:21], off offset:160
	s_or_b64 exec, exec, s[8:9]
	s_and_saveexec_b64 s[8:9], s[12:13]
	s_cbranch_execnz .LBB2129_316
	s_branch .LBB2129_317
.LBB2129_499:
                                        ; implicit-def: $sgpr24_sgpr25
	s_branch .LBB2129_310
.LBB2129_500:
                                        ; implicit-def: $sgpr8_sgpr9
	s_branch .LBB2129_325
	.section	.rodata,"a",@progbits
	.p2align	6, 0x0
	.amdhsa_kernel _ZN7rocprim17ROCPRIM_400000_NS6detail17trampoline_kernelINS0_14default_configENS1_27scan_by_key_config_selectorIj11FixedVectorIiLj8EEEEZZNS1_16scan_by_key_implILNS1_25lookback_scan_determinismE0ELb0ES3_N6thrust23THRUST_200600_302600_NS6detail15normal_iteratorINSB_10device_ptrIjEEEENSD_INSE_IS6_EEEESI_S6_NSB_4plusIvEENSB_8equal_toIvEES6_EE10hipError_tPvRmT2_T3_T4_T5_mT6_T7_P12ihipStream_tbENKUlT_T0_E_clISt17integral_constantIbLb1EES13_EEDaSY_SZ_EUlSY_E_NS1_11comp_targetILNS1_3genE5ELNS1_11target_archE942ELNS1_3gpuE9ELNS1_3repE0EEENS1_30default_config_static_selectorELNS0_4arch9wavefront6targetE1EEEvT1_
		.amdhsa_group_segment_fixed_size 32768
		.amdhsa_private_segment_fixed_size 400
		.amdhsa_kernarg_size 160
		.amdhsa_user_sgpr_count 4
		.amdhsa_user_sgpr_dispatch_ptr 1
		.amdhsa_user_sgpr_queue_ptr 0
		.amdhsa_user_sgpr_kernarg_segment_ptr 1
		.amdhsa_user_sgpr_dispatch_id 0
		.amdhsa_user_sgpr_kernarg_preload_length 0
		.amdhsa_user_sgpr_kernarg_preload_offset 0
		.amdhsa_user_sgpr_private_segment_size 0
		.amdhsa_uses_dynamic_stack 0
		.amdhsa_enable_private_segment 1
		.amdhsa_system_sgpr_workgroup_id_x 1
		.amdhsa_system_sgpr_workgroup_id_y 0
		.amdhsa_system_sgpr_workgroup_id_z 0
		.amdhsa_system_sgpr_workgroup_info 0
		.amdhsa_system_vgpr_workitem_id 2
		.amdhsa_next_free_vgpr 40
		.amdhsa_next_free_sgpr 53
		.amdhsa_accum_offset 40
		.amdhsa_reserve_vcc 1
		.amdhsa_float_round_mode_32 0
		.amdhsa_float_round_mode_16_64 0
		.amdhsa_float_denorm_mode_32 3
		.amdhsa_float_denorm_mode_16_64 3
		.amdhsa_dx10_clamp 1
		.amdhsa_ieee_mode 1
		.amdhsa_fp16_overflow 0
		.amdhsa_tg_split 0
		.amdhsa_exception_fp_ieee_invalid_op 0
		.amdhsa_exception_fp_denorm_src 0
		.amdhsa_exception_fp_ieee_div_zero 0
		.amdhsa_exception_fp_ieee_overflow 0
		.amdhsa_exception_fp_ieee_underflow 0
		.amdhsa_exception_fp_ieee_inexact 0
		.amdhsa_exception_int_div_zero 0
	.end_amdhsa_kernel
	.section	.text._ZN7rocprim17ROCPRIM_400000_NS6detail17trampoline_kernelINS0_14default_configENS1_27scan_by_key_config_selectorIj11FixedVectorIiLj8EEEEZZNS1_16scan_by_key_implILNS1_25lookback_scan_determinismE0ELb0ES3_N6thrust23THRUST_200600_302600_NS6detail15normal_iteratorINSB_10device_ptrIjEEEENSD_INSE_IS6_EEEESI_S6_NSB_4plusIvEENSB_8equal_toIvEES6_EE10hipError_tPvRmT2_T3_T4_T5_mT6_T7_P12ihipStream_tbENKUlT_T0_E_clISt17integral_constantIbLb1EES13_EEDaSY_SZ_EUlSY_E_NS1_11comp_targetILNS1_3genE5ELNS1_11target_archE942ELNS1_3gpuE9ELNS1_3repE0EEENS1_30default_config_static_selectorELNS0_4arch9wavefront6targetE1EEEvT1_,"axG",@progbits,_ZN7rocprim17ROCPRIM_400000_NS6detail17trampoline_kernelINS0_14default_configENS1_27scan_by_key_config_selectorIj11FixedVectorIiLj8EEEEZZNS1_16scan_by_key_implILNS1_25lookback_scan_determinismE0ELb0ES3_N6thrust23THRUST_200600_302600_NS6detail15normal_iteratorINSB_10device_ptrIjEEEENSD_INSE_IS6_EEEESI_S6_NSB_4plusIvEENSB_8equal_toIvEES6_EE10hipError_tPvRmT2_T3_T4_T5_mT6_T7_P12ihipStream_tbENKUlT_T0_E_clISt17integral_constantIbLb1EES13_EEDaSY_SZ_EUlSY_E_NS1_11comp_targetILNS1_3genE5ELNS1_11target_archE942ELNS1_3gpuE9ELNS1_3repE0EEENS1_30default_config_static_selectorELNS0_4arch9wavefront6targetE1EEEvT1_,comdat
.Lfunc_end2129:
	.size	_ZN7rocprim17ROCPRIM_400000_NS6detail17trampoline_kernelINS0_14default_configENS1_27scan_by_key_config_selectorIj11FixedVectorIiLj8EEEEZZNS1_16scan_by_key_implILNS1_25lookback_scan_determinismE0ELb0ES3_N6thrust23THRUST_200600_302600_NS6detail15normal_iteratorINSB_10device_ptrIjEEEENSD_INSE_IS6_EEEESI_S6_NSB_4plusIvEENSB_8equal_toIvEES6_EE10hipError_tPvRmT2_T3_T4_T5_mT6_T7_P12ihipStream_tbENKUlT_T0_E_clISt17integral_constantIbLb1EES13_EEDaSY_SZ_EUlSY_E_NS1_11comp_targetILNS1_3genE5ELNS1_11target_archE942ELNS1_3gpuE9ELNS1_3repE0EEENS1_30default_config_static_selectorELNS0_4arch9wavefront6targetE1EEEvT1_, .Lfunc_end2129-_ZN7rocprim17ROCPRIM_400000_NS6detail17trampoline_kernelINS0_14default_configENS1_27scan_by_key_config_selectorIj11FixedVectorIiLj8EEEEZZNS1_16scan_by_key_implILNS1_25lookback_scan_determinismE0ELb0ES3_N6thrust23THRUST_200600_302600_NS6detail15normal_iteratorINSB_10device_ptrIjEEEENSD_INSE_IS6_EEEESI_S6_NSB_4plusIvEENSB_8equal_toIvEES6_EE10hipError_tPvRmT2_T3_T4_T5_mT6_T7_P12ihipStream_tbENKUlT_T0_E_clISt17integral_constantIbLb1EES13_EEDaSY_SZ_EUlSY_E_NS1_11comp_targetILNS1_3genE5ELNS1_11target_archE942ELNS1_3gpuE9ELNS1_3repE0EEENS1_30default_config_static_selectorELNS0_4arch9wavefront6targetE1EEEvT1_
                                        ; -- End function
	.section	.AMDGPU.csdata,"",@progbits
; Kernel info:
; codeLenInByte = 21020
; NumSgprs: 59
; NumVgprs: 40
; NumAgprs: 0
; TotalNumVgprs: 40
; ScratchSize: 400
; MemoryBound: 0
; FloatMode: 240
; IeeeMode: 1
; LDSByteSize: 32768 bytes/workgroup (compile time only)
; SGPRBlocks: 7
; VGPRBlocks: 4
; NumSGPRsForWavesPerEU: 59
; NumVGPRsForWavesPerEU: 40
; AccumOffset: 40
; Occupancy: 2
; WaveLimiterHint : 1
; COMPUTE_PGM_RSRC2:SCRATCH_EN: 1
; COMPUTE_PGM_RSRC2:USER_SGPR: 4
; COMPUTE_PGM_RSRC2:TRAP_HANDLER: 0
; COMPUTE_PGM_RSRC2:TGID_X_EN: 1
; COMPUTE_PGM_RSRC2:TGID_Y_EN: 0
; COMPUTE_PGM_RSRC2:TGID_Z_EN: 0
; COMPUTE_PGM_RSRC2:TIDIG_COMP_CNT: 2
; COMPUTE_PGM_RSRC3_GFX90A:ACCUM_OFFSET: 9
; COMPUTE_PGM_RSRC3_GFX90A:TG_SPLIT: 0
	.section	.text._ZN7rocprim17ROCPRIM_400000_NS6detail17trampoline_kernelINS0_14default_configENS1_27scan_by_key_config_selectorIj11FixedVectorIiLj8EEEEZZNS1_16scan_by_key_implILNS1_25lookback_scan_determinismE0ELb0ES3_N6thrust23THRUST_200600_302600_NS6detail15normal_iteratorINSB_10device_ptrIjEEEENSD_INSE_IS6_EEEESI_S6_NSB_4plusIvEENSB_8equal_toIvEES6_EE10hipError_tPvRmT2_T3_T4_T5_mT6_T7_P12ihipStream_tbENKUlT_T0_E_clISt17integral_constantIbLb1EES13_EEDaSY_SZ_EUlSY_E_NS1_11comp_targetILNS1_3genE4ELNS1_11target_archE910ELNS1_3gpuE8ELNS1_3repE0EEENS1_30default_config_static_selectorELNS0_4arch9wavefront6targetE1EEEvT1_,"axG",@progbits,_ZN7rocprim17ROCPRIM_400000_NS6detail17trampoline_kernelINS0_14default_configENS1_27scan_by_key_config_selectorIj11FixedVectorIiLj8EEEEZZNS1_16scan_by_key_implILNS1_25lookback_scan_determinismE0ELb0ES3_N6thrust23THRUST_200600_302600_NS6detail15normal_iteratorINSB_10device_ptrIjEEEENSD_INSE_IS6_EEEESI_S6_NSB_4plusIvEENSB_8equal_toIvEES6_EE10hipError_tPvRmT2_T3_T4_T5_mT6_T7_P12ihipStream_tbENKUlT_T0_E_clISt17integral_constantIbLb1EES13_EEDaSY_SZ_EUlSY_E_NS1_11comp_targetILNS1_3genE4ELNS1_11target_archE910ELNS1_3gpuE8ELNS1_3repE0EEENS1_30default_config_static_selectorELNS0_4arch9wavefront6targetE1EEEvT1_,comdat
	.protected	_ZN7rocprim17ROCPRIM_400000_NS6detail17trampoline_kernelINS0_14default_configENS1_27scan_by_key_config_selectorIj11FixedVectorIiLj8EEEEZZNS1_16scan_by_key_implILNS1_25lookback_scan_determinismE0ELb0ES3_N6thrust23THRUST_200600_302600_NS6detail15normal_iteratorINSB_10device_ptrIjEEEENSD_INSE_IS6_EEEESI_S6_NSB_4plusIvEENSB_8equal_toIvEES6_EE10hipError_tPvRmT2_T3_T4_T5_mT6_T7_P12ihipStream_tbENKUlT_T0_E_clISt17integral_constantIbLb1EES13_EEDaSY_SZ_EUlSY_E_NS1_11comp_targetILNS1_3genE4ELNS1_11target_archE910ELNS1_3gpuE8ELNS1_3repE0EEENS1_30default_config_static_selectorELNS0_4arch9wavefront6targetE1EEEvT1_ ; -- Begin function _ZN7rocprim17ROCPRIM_400000_NS6detail17trampoline_kernelINS0_14default_configENS1_27scan_by_key_config_selectorIj11FixedVectorIiLj8EEEEZZNS1_16scan_by_key_implILNS1_25lookback_scan_determinismE0ELb0ES3_N6thrust23THRUST_200600_302600_NS6detail15normal_iteratorINSB_10device_ptrIjEEEENSD_INSE_IS6_EEEESI_S6_NSB_4plusIvEENSB_8equal_toIvEES6_EE10hipError_tPvRmT2_T3_T4_T5_mT6_T7_P12ihipStream_tbENKUlT_T0_E_clISt17integral_constantIbLb1EES13_EEDaSY_SZ_EUlSY_E_NS1_11comp_targetILNS1_3genE4ELNS1_11target_archE910ELNS1_3gpuE8ELNS1_3repE0EEENS1_30default_config_static_selectorELNS0_4arch9wavefront6targetE1EEEvT1_
	.globl	_ZN7rocprim17ROCPRIM_400000_NS6detail17trampoline_kernelINS0_14default_configENS1_27scan_by_key_config_selectorIj11FixedVectorIiLj8EEEEZZNS1_16scan_by_key_implILNS1_25lookback_scan_determinismE0ELb0ES3_N6thrust23THRUST_200600_302600_NS6detail15normal_iteratorINSB_10device_ptrIjEEEENSD_INSE_IS6_EEEESI_S6_NSB_4plusIvEENSB_8equal_toIvEES6_EE10hipError_tPvRmT2_T3_T4_T5_mT6_T7_P12ihipStream_tbENKUlT_T0_E_clISt17integral_constantIbLb1EES13_EEDaSY_SZ_EUlSY_E_NS1_11comp_targetILNS1_3genE4ELNS1_11target_archE910ELNS1_3gpuE8ELNS1_3repE0EEENS1_30default_config_static_selectorELNS0_4arch9wavefront6targetE1EEEvT1_
	.p2align	8
	.type	_ZN7rocprim17ROCPRIM_400000_NS6detail17trampoline_kernelINS0_14default_configENS1_27scan_by_key_config_selectorIj11FixedVectorIiLj8EEEEZZNS1_16scan_by_key_implILNS1_25lookback_scan_determinismE0ELb0ES3_N6thrust23THRUST_200600_302600_NS6detail15normal_iteratorINSB_10device_ptrIjEEEENSD_INSE_IS6_EEEESI_S6_NSB_4plusIvEENSB_8equal_toIvEES6_EE10hipError_tPvRmT2_T3_T4_T5_mT6_T7_P12ihipStream_tbENKUlT_T0_E_clISt17integral_constantIbLb1EES13_EEDaSY_SZ_EUlSY_E_NS1_11comp_targetILNS1_3genE4ELNS1_11target_archE910ELNS1_3gpuE8ELNS1_3repE0EEENS1_30default_config_static_selectorELNS0_4arch9wavefront6targetE1EEEvT1_,@function
_ZN7rocprim17ROCPRIM_400000_NS6detail17trampoline_kernelINS0_14default_configENS1_27scan_by_key_config_selectorIj11FixedVectorIiLj8EEEEZZNS1_16scan_by_key_implILNS1_25lookback_scan_determinismE0ELb0ES3_N6thrust23THRUST_200600_302600_NS6detail15normal_iteratorINSB_10device_ptrIjEEEENSD_INSE_IS6_EEEESI_S6_NSB_4plusIvEENSB_8equal_toIvEES6_EE10hipError_tPvRmT2_T3_T4_T5_mT6_T7_P12ihipStream_tbENKUlT_T0_E_clISt17integral_constantIbLb1EES13_EEDaSY_SZ_EUlSY_E_NS1_11comp_targetILNS1_3genE4ELNS1_11target_archE910ELNS1_3gpuE8ELNS1_3repE0EEENS1_30default_config_static_selectorELNS0_4arch9wavefront6targetE1EEEvT1_: ; @_ZN7rocprim17ROCPRIM_400000_NS6detail17trampoline_kernelINS0_14default_configENS1_27scan_by_key_config_selectorIj11FixedVectorIiLj8EEEEZZNS1_16scan_by_key_implILNS1_25lookback_scan_determinismE0ELb0ES3_N6thrust23THRUST_200600_302600_NS6detail15normal_iteratorINSB_10device_ptrIjEEEENSD_INSE_IS6_EEEESI_S6_NSB_4plusIvEENSB_8equal_toIvEES6_EE10hipError_tPvRmT2_T3_T4_T5_mT6_T7_P12ihipStream_tbENKUlT_T0_E_clISt17integral_constantIbLb1EES13_EEDaSY_SZ_EUlSY_E_NS1_11comp_targetILNS1_3genE4ELNS1_11target_archE910ELNS1_3gpuE8ELNS1_3repE0EEENS1_30default_config_static_selectorELNS0_4arch9wavefront6targetE1EEEvT1_
; %bb.0:
	.section	.rodata,"a",@progbits
	.p2align	6, 0x0
	.amdhsa_kernel _ZN7rocprim17ROCPRIM_400000_NS6detail17trampoline_kernelINS0_14default_configENS1_27scan_by_key_config_selectorIj11FixedVectorIiLj8EEEEZZNS1_16scan_by_key_implILNS1_25lookback_scan_determinismE0ELb0ES3_N6thrust23THRUST_200600_302600_NS6detail15normal_iteratorINSB_10device_ptrIjEEEENSD_INSE_IS6_EEEESI_S6_NSB_4plusIvEENSB_8equal_toIvEES6_EE10hipError_tPvRmT2_T3_T4_T5_mT6_T7_P12ihipStream_tbENKUlT_T0_E_clISt17integral_constantIbLb1EES13_EEDaSY_SZ_EUlSY_E_NS1_11comp_targetILNS1_3genE4ELNS1_11target_archE910ELNS1_3gpuE8ELNS1_3repE0EEENS1_30default_config_static_selectorELNS0_4arch9wavefront6targetE1EEEvT1_
		.amdhsa_group_segment_fixed_size 0
		.amdhsa_private_segment_fixed_size 0
		.amdhsa_kernarg_size 160
		.amdhsa_user_sgpr_count 2
		.amdhsa_user_sgpr_dispatch_ptr 0
		.amdhsa_user_sgpr_queue_ptr 0
		.amdhsa_user_sgpr_kernarg_segment_ptr 1
		.amdhsa_user_sgpr_dispatch_id 0
		.amdhsa_user_sgpr_kernarg_preload_length 0
		.amdhsa_user_sgpr_kernarg_preload_offset 0
		.amdhsa_user_sgpr_private_segment_size 0
		.amdhsa_uses_dynamic_stack 0
		.amdhsa_enable_private_segment 0
		.amdhsa_system_sgpr_workgroup_id_x 1
		.amdhsa_system_sgpr_workgroup_id_y 0
		.amdhsa_system_sgpr_workgroup_id_z 0
		.amdhsa_system_sgpr_workgroup_info 0
		.amdhsa_system_vgpr_workitem_id 0
		.amdhsa_next_free_vgpr 1
		.amdhsa_next_free_sgpr 0
		.amdhsa_accum_offset 4
		.amdhsa_reserve_vcc 0
		.amdhsa_float_round_mode_32 0
		.amdhsa_float_round_mode_16_64 0
		.amdhsa_float_denorm_mode_32 3
		.amdhsa_float_denorm_mode_16_64 3
		.amdhsa_dx10_clamp 1
		.amdhsa_ieee_mode 1
		.amdhsa_fp16_overflow 0
		.amdhsa_tg_split 0
		.amdhsa_exception_fp_ieee_invalid_op 0
		.amdhsa_exception_fp_denorm_src 0
		.amdhsa_exception_fp_ieee_div_zero 0
		.amdhsa_exception_fp_ieee_overflow 0
		.amdhsa_exception_fp_ieee_underflow 0
		.amdhsa_exception_fp_ieee_inexact 0
		.amdhsa_exception_int_div_zero 0
	.end_amdhsa_kernel
	.section	.text._ZN7rocprim17ROCPRIM_400000_NS6detail17trampoline_kernelINS0_14default_configENS1_27scan_by_key_config_selectorIj11FixedVectorIiLj8EEEEZZNS1_16scan_by_key_implILNS1_25lookback_scan_determinismE0ELb0ES3_N6thrust23THRUST_200600_302600_NS6detail15normal_iteratorINSB_10device_ptrIjEEEENSD_INSE_IS6_EEEESI_S6_NSB_4plusIvEENSB_8equal_toIvEES6_EE10hipError_tPvRmT2_T3_T4_T5_mT6_T7_P12ihipStream_tbENKUlT_T0_E_clISt17integral_constantIbLb1EES13_EEDaSY_SZ_EUlSY_E_NS1_11comp_targetILNS1_3genE4ELNS1_11target_archE910ELNS1_3gpuE8ELNS1_3repE0EEENS1_30default_config_static_selectorELNS0_4arch9wavefront6targetE1EEEvT1_,"axG",@progbits,_ZN7rocprim17ROCPRIM_400000_NS6detail17trampoline_kernelINS0_14default_configENS1_27scan_by_key_config_selectorIj11FixedVectorIiLj8EEEEZZNS1_16scan_by_key_implILNS1_25lookback_scan_determinismE0ELb0ES3_N6thrust23THRUST_200600_302600_NS6detail15normal_iteratorINSB_10device_ptrIjEEEENSD_INSE_IS6_EEEESI_S6_NSB_4plusIvEENSB_8equal_toIvEES6_EE10hipError_tPvRmT2_T3_T4_T5_mT6_T7_P12ihipStream_tbENKUlT_T0_E_clISt17integral_constantIbLb1EES13_EEDaSY_SZ_EUlSY_E_NS1_11comp_targetILNS1_3genE4ELNS1_11target_archE910ELNS1_3gpuE8ELNS1_3repE0EEENS1_30default_config_static_selectorELNS0_4arch9wavefront6targetE1EEEvT1_,comdat
.Lfunc_end2130:
	.size	_ZN7rocprim17ROCPRIM_400000_NS6detail17trampoline_kernelINS0_14default_configENS1_27scan_by_key_config_selectorIj11FixedVectorIiLj8EEEEZZNS1_16scan_by_key_implILNS1_25lookback_scan_determinismE0ELb0ES3_N6thrust23THRUST_200600_302600_NS6detail15normal_iteratorINSB_10device_ptrIjEEEENSD_INSE_IS6_EEEESI_S6_NSB_4plusIvEENSB_8equal_toIvEES6_EE10hipError_tPvRmT2_T3_T4_T5_mT6_T7_P12ihipStream_tbENKUlT_T0_E_clISt17integral_constantIbLb1EES13_EEDaSY_SZ_EUlSY_E_NS1_11comp_targetILNS1_3genE4ELNS1_11target_archE910ELNS1_3gpuE8ELNS1_3repE0EEENS1_30default_config_static_selectorELNS0_4arch9wavefront6targetE1EEEvT1_, .Lfunc_end2130-_ZN7rocprim17ROCPRIM_400000_NS6detail17trampoline_kernelINS0_14default_configENS1_27scan_by_key_config_selectorIj11FixedVectorIiLj8EEEEZZNS1_16scan_by_key_implILNS1_25lookback_scan_determinismE0ELb0ES3_N6thrust23THRUST_200600_302600_NS6detail15normal_iteratorINSB_10device_ptrIjEEEENSD_INSE_IS6_EEEESI_S6_NSB_4plusIvEENSB_8equal_toIvEES6_EE10hipError_tPvRmT2_T3_T4_T5_mT6_T7_P12ihipStream_tbENKUlT_T0_E_clISt17integral_constantIbLb1EES13_EEDaSY_SZ_EUlSY_E_NS1_11comp_targetILNS1_3genE4ELNS1_11target_archE910ELNS1_3gpuE8ELNS1_3repE0EEENS1_30default_config_static_selectorELNS0_4arch9wavefront6targetE1EEEvT1_
                                        ; -- End function
	.section	.AMDGPU.csdata,"",@progbits
; Kernel info:
; codeLenInByte = 0
; NumSgprs: 6
; NumVgprs: 0
; NumAgprs: 0
; TotalNumVgprs: 0
; ScratchSize: 0
; MemoryBound: 0
; FloatMode: 240
; IeeeMode: 1
; LDSByteSize: 0 bytes/workgroup (compile time only)
; SGPRBlocks: 0
; VGPRBlocks: 0
; NumSGPRsForWavesPerEU: 6
; NumVGPRsForWavesPerEU: 1
; AccumOffset: 4
; Occupancy: 8
; WaveLimiterHint : 0
; COMPUTE_PGM_RSRC2:SCRATCH_EN: 0
; COMPUTE_PGM_RSRC2:USER_SGPR: 2
; COMPUTE_PGM_RSRC2:TRAP_HANDLER: 0
; COMPUTE_PGM_RSRC2:TGID_X_EN: 1
; COMPUTE_PGM_RSRC2:TGID_Y_EN: 0
; COMPUTE_PGM_RSRC2:TGID_Z_EN: 0
; COMPUTE_PGM_RSRC2:TIDIG_COMP_CNT: 0
; COMPUTE_PGM_RSRC3_GFX90A:ACCUM_OFFSET: 0
; COMPUTE_PGM_RSRC3_GFX90A:TG_SPLIT: 0
	.section	.text._ZN7rocprim17ROCPRIM_400000_NS6detail17trampoline_kernelINS0_14default_configENS1_27scan_by_key_config_selectorIj11FixedVectorIiLj8EEEEZZNS1_16scan_by_key_implILNS1_25lookback_scan_determinismE0ELb0ES3_N6thrust23THRUST_200600_302600_NS6detail15normal_iteratorINSB_10device_ptrIjEEEENSD_INSE_IS6_EEEESI_S6_NSB_4plusIvEENSB_8equal_toIvEES6_EE10hipError_tPvRmT2_T3_T4_T5_mT6_T7_P12ihipStream_tbENKUlT_T0_E_clISt17integral_constantIbLb1EES13_EEDaSY_SZ_EUlSY_E_NS1_11comp_targetILNS1_3genE3ELNS1_11target_archE908ELNS1_3gpuE7ELNS1_3repE0EEENS1_30default_config_static_selectorELNS0_4arch9wavefront6targetE1EEEvT1_,"axG",@progbits,_ZN7rocprim17ROCPRIM_400000_NS6detail17trampoline_kernelINS0_14default_configENS1_27scan_by_key_config_selectorIj11FixedVectorIiLj8EEEEZZNS1_16scan_by_key_implILNS1_25lookback_scan_determinismE0ELb0ES3_N6thrust23THRUST_200600_302600_NS6detail15normal_iteratorINSB_10device_ptrIjEEEENSD_INSE_IS6_EEEESI_S6_NSB_4plusIvEENSB_8equal_toIvEES6_EE10hipError_tPvRmT2_T3_T4_T5_mT6_T7_P12ihipStream_tbENKUlT_T0_E_clISt17integral_constantIbLb1EES13_EEDaSY_SZ_EUlSY_E_NS1_11comp_targetILNS1_3genE3ELNS1_11target_archE908ELNS1_3gpuE7ELNS1_3repE0EEENS1_30default_config_static_selectorELNS0_4arch9wavefront6targetE1EEEvT1_,comdat
	.protected	_ZN7rocprim17ROCPRIM_400000_NS6detail17trampoline_kernelINS0_14default_configENS1_27scan_by_key_config_selectorIj11FixedVectorIiLj8EEEEZZNS1_16scan_by_key_implILNS1_25lookback_scan_determinismE0ELb0ES3_N6thrust23THRUST_200600_302600_NS6detail15normal_iteratorINSB_10device_ptrIjEEEENSD_INSE_IS6_EEEESI_S6_NSB_4plusIvEENSB_8equal_toIvEES6_EE10hipError_tPvRmT2_T3_T4_T5_mT6_T7_P12ihipStream_tbENKUlT_T0_E_clISt17integral_constantIbLb1EES13_EEDaSY_SZ_EUlSY_E_NS1_11comp_targetILNS1_3genE3ELNS1_11target_archE908ELNS1_3gpuE7ELNS1_3repE0EEENS1_30default_config_static_selectorELNS0_4arch9wavefront6targetE1EEEvT1_ ; -- Begin function _ZN7rocprim17ROCPRIM_400000_NS6detail17trampoline_kernelINS0_14default_configENS1_27scan_by_key_config_selectorIj11FixedVectorIiLj8EEEEZZNS1_16scan_by_key_implILNS1_25lookback_scan_determinismE0ELb0ES3_N6thrust23THRUST_200600_302600_NS6detail15normal_iteratorINSB_10device_ptrIjEEEENSD_INSE_IS6_EEEESI_S6_NSB_4plusIvEENSB_8equal_toIvEES6_EE10hipError_tPvRmT2_T3_T4_T5_mT6_T7_P12ihipStream_tbENKUlT_T0_E_clISt17integral_constantIbLb1EES13_EEDaSY_SZ_EUlSY_E_NS1_11comp_targetILNS1_3genE3ELNS1_11target_archE908ELNS1_3gpuE7ELNS1_3repE0EEENS1_30default_config_static_selectorELNS0_4arch9wavefront6targetE1EEEvT1_
	.globl	_ZN7rocprim17ROCPRIM_400000_NS6detail17trampoline_kernelINS0_14default_configENS1_27scan_by_key_config_selectorIj11FixedVectorIiLj8EEEEZZNS1_16scan_by_key_implILNS1_25lookback_scan_determinismE0ELb0ES3_N6thrust23THRUST_200600_302600_NS6detail15normal_iteratorINSB_10device_ptrIjEEEENSD_INSE_IS6_EEEESI_S6_NSB_4plusIvEENSB_8equal_toIvEES6_EE10hipError_tPvRmT2_T3_T4_T5_mT6_T7_P12ihipStream_tbENKUlT_T0_E_clISt17integral_constantIbLb1EES13_EEDaSY_SZ_EUlSY_E_NS1_11comp_targetILNS1_3genE3ELNS1_11target_archE908ELNS1_3gpuE7ELNS1_3repE0EEENS1_30default_config_static_selectorELNS0_4arch9wavefront6targetE1EEEvT1_
	.p2align	8
	.type	_ZN7rocprim17ROCPRIM_400000_NS6detail17trampoline_kernelINS0_14default_configENS1_27scan_by_key_config_selectorIj11FixedVectorIiLj8EEEEZZNS1_16scan_by_key_implILNS1_25lookback_scan_determinismE0ELb0ES3_N6thrust23THRUST_200600_302600_NS6detail15normal_iteratorINSB_10device_ptrIjEEEENSD_INSE_IS6_EEEESI_S6_NSB_4plusIvEENSB_8equal_toIvEES6_EE10hipError_tPvRmT2_T3_T4_T5_mT6_T7_P12ihipStream_tbENKUlT_T0_E_clISt17integral_constantIbLb1EES13_EEDaSY_SZ_EUlSY_E_NS1_11comp_targetILNS1_3genE3ELNS1_11target_archE908ELNS1_3gpuE7ELNS1_3repE0EEENS1_30default_config_static_selectorELNS0_4arch9wavefront6targetE1EEEvT1_,@function
_ZN7rocprim17ROCPRIM_400000_NS6detail17trampoline_kernelINS0_14default_configENS1_27scan_by_key_config_selectorIj11FixedVectorIiLj8EEEEZZNS1_16scan_by_key_implILNS1_25lookback_scan_determinismE0ELb0ES3_N6thrust23THRUST_200600_302600_NS6detail15normal_iteratorINSB_10device_ptrIjEEEENSD_INSE_IS6_EEEESI_S6_NSB_4plusIvEENSB_8equal_toIvEES6_EE10hipError_tPvRmT2_T3_T4_T5_mT6_T7_P12ihipStream_tbENKUlT_T0_E_clISt17integral_constantIbLb1EES13_EEDaSY_SZ_EUlSY_E_NS1_11comp_targetILNS1_3genE3ELNS1_11target_archE908ELNS1_3gpuE7ELNS1_3repE0EEENS1_30default_config_static_selectorELNS0_4arch9wavefront6targetE1EEEvT1_: ; @_ZN7rocprim17ROCPRIM_400000_NS6detail17trampoline_kernelINS0_14default_configENS1_27scan_by_key_config_selectorIj11FixedVectorIiLj8EEEEZZNS1_16scan_by_key_implILNS1_25lookback_scan_determinismE0ELb0ES3_N6thrust23THRUST_200600_302600_NS6detail15normal_iteratorINSB_10device_ptrIjEEEENSD_INSE_IS6_EEEESI_S6_NSB_4plusIvEENSB_8equal_toIvEES6_EE10hipError_tPvRmT2_T3_T4_T5_mT6_T7_P12ihipStream_tbENKUlT_T0_E_clISt17integral_constantIbLb1EES13_EEDaSY_SZ_EUlSY_E_NS1_11comp_targetILNS1_3genE3ELNS1_11target_archE908ELNS1_3gpuE7ELNS1_3repE0EEENS1_30default_config_static_selectorELNS0_4arch9wavefront6targetE1EEEvT1_
; %bb.0:
	.section	.rodata,"a",@progbits
	.p2align	6, 0x0
	.amdhsa_kernel _ZN7rocprim17ROCPRIM_400000_NS6detail17trampoline_kernelINS0_14default_configENS1_27scan_by_key_config_selectorIj11FixedVectorIiLj8EEEEZZNS1_16scan_by_key_implILNS1_25lookback_scan_determinismE0ELb0ES3_N6thrust23THRUST_200600_302600_NS6detail15normal_iteratorINSB_10device_ptrIjEEEENSD_INSE_IS6_EEEESI_S6_NSB_4plusIvEENSB_8equal_toIvEES6_EE10hipError_tPvRmT2_T3_T4_T5_mT6_T7_P12ihipStream_tbENKUlT_T0_E_clISt17integral_constantIbLb1EES13_EEDaSY_SZ_EUlSY_E_NS1_11comp_targetILNS1_3genE3ELNS1_11target_archE908ELNS1_3gpuE7ELNS1_3repE0EEENS1_30default_config_static_selectorELNS0_4arch9wavefront6targetE1EEEvT1_
		.amdhsa_group_segment_fixed_size 0
		.amdhsa_private_segment_fixed_size 0
		.amdhsa_kernarg_size 160
		.amdhsa_user_sgpr_count 2
		.amdhsa_user_sgpr_dispatch_ptr 0
		.amdhsa_user_sgpr_queue_ptr 0
		.amdhsa_user_sgpr_kernarg_segment_ptr 1
		.amdhsa_user_sgpr_dispatch_id 0
		.amdhsa_user_sgpr_kernarg_preload_length 0
		.amdhsa_user_sgpr_kernarg_preload_offset 0
		.amdhsa_user_sgpr_private_segment_size 0
		.amdhsa_uses_dynamic_stack 0
		.amdhsa_enable_private_segment 0
		.amdhsa_system_sgpr_workgroup_id_x 1
		.amdhsa_system_sgpr_workgroup_id_y 0
		.amdhsa_system_sgpr_workgroup_id_z 0
		.amdhsa_system_sgpr_workgroup_info 0
		.amdhsa_system_vgpr_workitem_id 0
		.amdhsa_next_free_vgpr 1
		.amdhsa_next_free_sgpr 0
		.amdhsa_accum_offset 4
		.amdhsa_reserve_vcc 0
		.amdhsa_float_round_mode_32 0
		.amdhsa_float_round_mode_16_64 0
		.amdhsa_float_denorm_mode_32 3
		.amdhsa_float_denorm_mode_16_64 3
		.amdhsa_dx10_clamp 1
		.amdhsa_ieee_mode 1
		.amdhsa_fp16_overflow 0
		.amdhsa_tg_split 0
		.amdhsa_exception_fp_ieee_invalid_op 0
		.amdhsa_exception_fp_denorm_src 0
		.amdhsa_exception_fp_ieee_div_zero 0
		.amdhsa_exception_fp_ieee_overflow 0
		.amdhsa_exception_fp_ieee_underflow 0
		.amdhsa_exception_fp_ieee_inexact 0
		.amdhsa_exception_int_div_zero 0
	.end_amdhsa_kernel
	.section	.text._ZN7rocprim17ROCPRIM_400000_NS6detail17trampoline_kernelINS0_14default_configENS1_27scan_by_key_config_selectorIj11FixedVectorIiLj8EEEEZZNS1_16scan_by_key_implILNS1_25lookback_scan_determinismE0ELb0ES3_N6thrust23THRUST_200600_302600_NS6detail15normal_iteratorINSB_10device_ptrIjEEEENSD_INSE_IS6_EEEESI_S6_NSB_4plusIvEENSB_8equal_toIvEES6_EE10hipError_tPvRmT2_T3_T4_T5_mT6_T7_P12ihipStream_tbENKUlT_T0_E_clISt17integral_constantIbLb1EES13_EEDaSY_SZ_EUlSY_E_NS1_11comp_targetILNS1_3genE3ELNS1_11target_archE908ELNS1_3gpuE7ELNS1_3repE0EEENS1_30default_config_static_selectorELNS0_4arch9wavefront6targetE1EEEvT1_,"axG",@progbits,_ZN7rocprim17ROCPRIM_400000_NS6detail17trampoline_kernelINS0_14default_configENS1_27scan_by_key_config_selectorIj11FixedVectorIiLj8EEEEZZNS1_16scan_by_key_implILNS1_25lookback_scan_determinismE0ELb0ES3_N6thrust23THRUST_200600_302600_NS6detail15normal_iteratorINSB_10device_ptrIjEEEENSD_INSE_IS6_EEEESI_S6_NSB_4plusIvEENSB_8equal_toIvEES6_EE10hipError_tPvRmT2_T3_T4_T5_mT6_T7_P12ihipStream_tbENKUlT_T0_E_clISt17integral_constantIbLb1EES13_EEDaSY_SZ_EUlSY_E_NS1_11comp_targetILNS1_3genE3ELNS1_11target_archE908ELNS1_3gpuE7ELNS1_3repE0EEENS1_30default_config_static_selectorELNS0_4arch9wavefront6targetE1EEEvT1_,comdat
.Lfunc_end2131:
	.size	_ZN7rocprim17ROCPRIM_400000_NS6detail17trampoline_kernelINS0_14default_configENS1_27scan_by_key_config_selectorIj11FixedVectorIiLj8EEEEZZNS1_16scan_by_key_implILNS1_25lookback_scan_determinismE0ELb0ES3_N6thrust23THRUST_200600_302600_NS6detail15normal_iteratorINSB_10device_ptrIjEEEENSD_INSE_IS6_EEEESI_S6_NSB_4plusIvEENSB_8equal_toIvEES6_EE10hipError_tPvRmT2_T3_T4_T5_mT6_T7_P12ihipStream_tbENKUlT_T0_E_clISt17integral_constantIbLb1EES13_EEDaSY_SZ_EUlSY_E_NS1_11comp_targetILNS1_3genE3ELNS1_11target_archE908ELNS1_3gpuE7ELNS1_3repE0EEENS1_30default_config_static_selectorELNS0_4arch9wavefront6targetE1EEEvT1_, .Lfunc_end2131-_ZN7rocprim17ROCPRIM_400000_NS6detail17trampoline_kernelINS0_14default_configENS1_27scan_by_key_config_selectorIj11FixedVectorIiLj8EEEEZZNS1_16scan_by_key_implILNS1_25lookback_scan_determinismE0ELb0ES3_N6thrust23THRUST_200600_302600_NS6detail15normal_iteratorINSB_10device_ptrIjEEEENSD_INSE_IS6_EEEESI_S6_NSB_4plusIvEENSB_8equal_toIvEES6_EE10hipError_tPvRmT2_T3_T4_T5_mT6_T7_P12ihipStream_tbENKUlT_T0_E_clISt17integral_constantIbLb1EES13_EEDaSY_SZ_EUlSY_E_NS1_11comp_targetILNS1_3genE3ELNS1_11target_archE908ELNS1_3gpuE7ELNS1_3repE0EEENS1_30default_config_static_selectorELNS0_4arch9wavefront6targetE1EEEvT1_
                                        ; -- End function
	.section	.AMDGPU.csdata,"",@progbits
; Kernel info:
; codeLenInByte = 0
; NumSgprs: 6
; NumVgprs: 0
; NumAgprs: 0
; TotalNumVgprs: 0
; ScratchSize: 0
; MemoryBound: 0
; FloatMode: 240
; IeeeMode: 1
; LDSByteSize: 0 bytes/workgroup (compile time only)
; SGPRBlocks: 0
; VGPRBlocks: 0
; NumSGPRsForWavesPerEU: 6
; NumVGPRsForWavesPerEU: 1
; AccumOffset: 4
; Occupancy: 8
; WaveLimiterHint : 0
; COMPUTE_PGM_RSRC2:SCRATCH_EN: 0
; COMPUTE_PGM_RSRC2:USER_SGPR: 2
; COMPUTE_PGM_RSRC2:TRAP_HANDLER: 0
; COMPUTE_PGM_RSRC2:TGID_X_EN: 1
; COMPUTE_PGM_RSRC2:TGID_Y_EN: 0
; COMPUTE_PGM_RSRC2:TGID_Z_EN: 0
; COMPUTE_PGM_RSRC2:TIDIG_COMP_CNT: 0
; COMPUTE_PGM_RSRC3_GFX90A:ACCUM_OFFSET: 0
; COMPUTE_PGM_RSRC3_GFX90A:TG_SPLIT: 0
	.section	.text._ZN7rocprim17ROCPRIM_400000_NS6detail17trampoline_kernelINS0_14default_configENS1_27scan_by_key_config_selectorIj11FixedVectorIiLj8EEEEZZNS1_16scan_by_key_implILNS1_25lookback_scan_determinismE0ELb0ES3_N6thrust23THRUST_200600_302600_NS6detail15normal_iteratorINSB_10device_ptrIjEEEENSD_INSE_IS6_EEEESI_S6_NSB_4plusIvEENSB_8equal_toIvEES6_EE10hipError_tPvRmT2_T3_T4_T5_mT6_T7_P12ihipStream_tbENKUlT_T0_E_clISt17integral_constantIbLb1EES13_EEDaSY_SZ_EUlSY_E_NS1_11comp_targetILNS1_3genE2ELNS1_11target_archE906ELNS1_3gpuE6ELNS1_3repE0EEENS1_30default_config_static_selectorELNS0_4arch9wavefront6targetE1EEEvT1_,"axG",@progbits,_ZN7rocprim17ROCPRIM_400000_NS6detail17trampoline_kernelINS0_14default_configENS1_27scan_by_key_config_selectorIj11FixedVectorIiLj8EEEEZZNS1_16scan_by_key_implILNS1_25lookback_scan_determinismE0ELb0ES3_N6thrust23THRUST_200600_302600_NS6detail15normal_iteratorINSB_10device_ptrIjEEEENSD_INSE_IS6_EEEESI_S6_NSB_4plusIvEENSB_8equal_toIvEES6_EE10hipError_tPvRmT2_T3_T4_T5_mT6_T7_P12ihipStream_tbENKUlT_T0_E_clISt17integral_constantIbLb1EES13_EEDaSY_SZ_EUlSY_E_NS1_11comp_targetILNS1_3genE2ELNS1_11target_archE906ELNS1_3gpuE6ELNS1_3repE0EEENS1_30default_config_static_selectorELNS0_4arch9wavefront6targetE1EEEvT1_,comdat
	.protected	_ZN7rocprim17ROCPRIM_400000_NS6detail17trampoline_kernelINS0_14default_configENS1_27scan_by_key_config_selectorIj11FixedVectorIiLj8EEEEZZNS1_16scan_by_key_implILNS1_25lookback_scan_determinismE0ELb0ES3_N6thrust23THRUST_200600_302600_NS6detail15normal_iteratorINSB_10device_ptrIjEEEENSD_INSE_IS6_EEEESI_S6_NSB_4plusIvEENSB_8equal_toIvEES6_EE10hipError_tPvRmT2_T3_T4_T5_mT6_T7_P12ihipStream_tbENKUlT_T0_E_clISt17integral_constantIbLb1EES13_EEDaSY_SZ_EUlSY_E_NS1_11comp_targetILNS1_3genE2ELNS1_11target_archE906ELNS1_3gpuE6ELNS1_3repE0EEENS1_30default_config_static_selectorELNS0_4arch9wavefront6targetE1EEEvT1_ ; -- Begin function _ZN7rocprim17ROCPRIM_400000_NS6detail17trampoline_kernelINS0_14default_configENS1_27scan_by_key_config_selectorIj11FixedVectorIiLj8EEEEZZNS1_16scan_by_key_implILNS1_25lookback_scan_determinismE0ELb0ES3_N6thrust23THRUST_200600_302600_NS6detail15normal_iteratorINSB_10device_ptrIjEEEENSD_INSE_IS6_EEEESI_S6_NSB_4plusIvEENSB_8equal_toIvEES6_EE10hipError_tPvRmT2_T3_T4_T5_mT6_T7_P12ihipStream_tbENKUlT_T0_E_clISt17integral_constantIbLb1EES13_EEDaSY_SZ_EUlSY_E_NS1_11comp_targetILNS1_3genE2ELNS1_11target_archE906ELNS1_3gpuE6ELNS1_3repE0EEENS1_30default_config_static_selectorELNS0_4arch9wavefront6targetE1EEEvT1_
	.globl	_ZN7rocprim17ROCPRIM_400000_NS6detail17trampoline_kernelINS0_14default_configENS1_27scan_by_key_config_selectorIj11FixedVectorIiLj8EEEEZZNS1_16scan_by_key_implILNS1_25lookback_scan_determinismE0ELb0ES3_N6thrust23THRUST_200600_302600_NS6detail15normal_iteratorINSB_10device_ptrIjEEEENSD_INSE_IS6_EEEESI_S6_NSB_4plusIvEENSB_8equal_toIvEES6_EE10hipError_tPvRmT2_T3_T4_T5_mT6_T7_P12ihipStream_tbENKUlT_T0_E_clISt17integral_constantIbLb1EES13_EEDaSY_SZ_EUlSY_E_NS1_11comp_targetILNS1_3genE2ELNS1_11target_archE906ELNS1_3gpuE6ELNS1_3repE0EEENS1_30default_config_static_selectorELNS0_4arch9wavefront6targetE1EEEvT1_
	.p2align	8
	.type	_ZN7rocprim17ROCPRIM_400000_NS6detail17trampoline_kernelINS0_14default_configENS1_27scan_by_key_config_selectorIj11FixedVectorIiLj8EEEEZZNS1_16scan_by_key_implILNS1_25lookback_scan_determinismE0ELb0ES3_N6thrust23THRUST_200600_302600_NS6detail15normal_iteratorINSB_10device_ptrIjEEEENSD_INSE_IS6_EEEESI_S6_NSB_4plusIvEENSB_8equal_toIvEES6_EE10hipError_tPvRmT2_T3_T4_T5_mT6_T7_P12ihipStream_tbENKUlT_T0_E_clISt17integral_constantIbLb1EES13_EEDaSY_SZ_EUlSY_E_NS1_11comp_targetILNS1_3genE2ELNS1_11target_archE906ELNS1_3gpuE6ELNS1_3repE0EEENS1_30default_config_static_selectorELNS0_4arch9wavefront6targetE1EEEvT1_,@function
_ZN7rocprim17ROCPRIM_400000_NS6detail17trampoline_kernelINS0_14default_configENS1_27scan_by_key_config_selectorIj11FixedVectorIiLj8EEEEZZNS1_16scan_by_key_implILNS1_25lookback_scan_determinismE0ELb0ES3_N6thrust23THRUST_200600_302600_NS6detail15normal_iteratorINSB_10device_ptrIjEEEENSD_INSE_IS6_EEEESI_S6_NSB_4plusIvEENSB_8equal_toIvEES6_EE10hipError_tPvRmT2_T3_T4_T5_mT6_T7_P12ihipStream_tbENKUlT_T0_E_clISt17integral_constantIbLb1EES13_EEDaSY_SZ_EUlSY_E_NS1_11comp_targetILNS1_3genE2ELNS1_11target_archE906ELNS1_3gpuE6ELNS1_3repE0EEENS1_30default_config_static_selectorELNS0_4arch9wavefront6targetE1EEEvT1_: ; @_ZN7rocprim17ROCPRIM_400000_NS6detail17trampoline_kernelINS0_14default_configENS1_27scan_by_key_config_selectorIj11FixedVectorIiLj8EEEEZZNS1_16scan_by_key_implILNS1_25lookback_scan_determinismE0ELb0ES3_N6thrust23THRUST_200600_302600_NS6detail15normal_iteratorINSB_10device_ptrIjEEEENSD_INSE_IS6_EEEESI_S6_NSB_4plusIvEENSB_8equal_toIvEES6_EE10hipError_tPvRmT2_T3_T4_T5_mT6_T7_P12ihipStream_tbENKUlT_T0_E_clISt17integral_constantIbLb1EES13_EEDaSY_SZ_EUlSY_E_NS1_11comp_targetILNS1_3genE2ELNS1_11target_archE906ELNS1_3gpuE6ELNS1_3repE0EEENS1_30default_config_static_selectorELNS0_4arch9wavefront6targetE1EEEvT1_
; %bb.0:
	.section	.rodata,"a",@progbits
	.p2align	6, 0x0
	.amdhsa_kernel _ZN7rocprim17ROCPRIM_400000_NS6detail17trampoline_kernelINS0_14default_configENS1_27scan_by_key_config_selectorIj11FixedVectorIiLj8EEEEZZNS1_16scan_by_key_implILNS1_25lookback_scan_determinismE0ELb0ES3_N6thrust23THRUST_200600_302600_NS6detail15normal_iteratorINSB_10device_ptrIjEEEENSD_INSE_IS6_EEEESI_S6_NSB_4plusIvEENSB_8equal_toIvEES6_EE10hipError_tPvRmT2_T3_T4_T5_mT6_T7_P12ihipStream_tbENKUlT_T0_E_clISt17integral_constantIbLb1EES13_EEDaSY_SZ_EUlSY_E_NS1_11comp_targetILNS1_3genE2ELNS1_11target_archE906ELNS1_3gpuE6ELNS1_3repE0EEENS1_30default_config_static_selectorELNS0_4arch9wavefront6targetE1EEEvT1_
		.amdhsa_group_segment_fixed_size 0
		.amdhsa_private_segment_fixed_size 0
		.amdhsa_kernarg_size 160
		.amdhsa_user_sgpr_count 2
		.amdhsa_user_sgpr_dispatch_ptr 0
		.amdhsa_user_sgpr_queue_ptr 0
		.amdhsa_user_sgpr_kernarg_segment_ptr 1
		.amdhsa_user_sgpr_dispatch_id 0
		.amdhsa_user_sgpr_kernarg_preload_length 0
		.amdhsa_user_sgpr_kernarg_preload_offset 0
		.amdhsa_user_sgpr_private_segment_size 0
		.amdhsa_uses_dynamic_stack 0
		.amdhsa_enable_private_segment 0
		.amdhsa_system_sgpr_workgroup_id_x 1
		.amdhsa_system_sgpr_workgroup_id_y 0
		.amdhsa_system_sgpr_workgroup_id_z 0
		.amdhsa_system_sgpr_workgroup_info 0
		.amdhsa_system_vgpr_workitem_id 0
		.amdhsa_next_free_vgpr 1
		.amdhsa_next_free_sgpr 0
		.amdhsa_accum_offset 4
		.amdhsa_reserve_vcc 0
		.amdhsa_float_round_mode_32 0
		.amdhsa_float_round_mode_16_64 0
		.amdhsa_float_denorm_mode_32 3
		.amdhsa_float_denorm_mode_16_64 3
		.amdhsa_dx10_clamp 1
		.amdhsa_ieee_mode 1
		.amdhsa_fp16_overflow 0
		.amdhsa_tg_split 0
		.amdhsa_exception_fp_ieee_invalid_op 0
		.amdhsa_exception_fp_denorm_src 0
		.amdhsa_exception_fp_ieee_div_zero 0
		.amdhsa_exception_fp_ieee_overflow 0
		.amdhsa_exception_fp_ieee_underflow 0
		.amdhsa_exception_fp_ieee_inexact 0
		.amdhsa_exception_int_div_zero 0
	.end_amdhsa_kernel
	.section	.text._ZN7rocprim17ROCPRIM_400000_NS6detail17trampoline_kernelINS0_14default_configENS1_27scan_by_key_config_selectorIj11FixedVectorIiLj8EEEEZZNS1_16scan_by_key_implILNS1_25lookback_scan_determinismE0ELb0ES3_N6thrust23THRUST_200600_302600_NS6detail15normal_iteratorINSB_10device_ptrIjEEEENSD_INSE_IS6_EEEESI_S6_NSB_4plusIvEENSB_8equal_toIvEES6_EE10hipError_tPvRmT2_T3_T4_T5_mT6_T7_P12ihipStream_tbENKUlT_T0_E_clISt17integral_constantIbLb1EES13_EEDaSY_SZ_EUlSY_E_NS1_11comp_targetILNS1_3genE2ELNS1_11target_archE906ELNS1_3gpuE6ELNS1_3repE0EEENS1_30default_config_static_selectorELNS0_4arch9wavefront6targetE1EEEvT1_,"axG",@progbits,_ZN7rocprim17ROCPRIM_400000_NS6detail17trampoline_kernelINS0_14default_configENS1_27scan_by_key_config_selectorIj11FixedVectorIiLj8EEEEZZNS1_16scan_by_key_implILNS1_25lookback_scan_determinismE0ELb0ES3_N6thrust23THRUST_200600_302600_NS6detail15normal_iteratorINSB_10device_ptrIjEEEENSD_INSE_IS6_EEEESI_S6_NSB_4plusIvEENSB_8equal_toIvEES6_EE10hipError_tPvRmT2_T3_T4_T5_mT6_T7_P12ihipStream_tbENKUlT_T0_E_clISt17integral_constantIbLb1EES13_EEDaSY_SZ_EUlSY_E_NS1_11comp_targetILNS1_3genE2ELNS1_11target_archE906ELNS1_3gpuE6ELNS1_3repE0EEENS1_30default_config_static_selectorELNS0_4arch9wavefront6targetE1EEEvT1_,comdat
.Lfunc_end2132:
	.size	_ZN7rocprim17ROCPRIM_400000_NS6detail17trampoline_kernelINS0_14default_configENS1_27scan_by_key_config_selectorIj11FixedVectorIiLj8EEEEZZNS1_16scan_by_key_implILNS1_25lookback_scan_determinismE0ELb0ES3_N6thrust23THRUST_200600_302600_NS6detail15normal_iteratorINSB_10device_ptrIjEEEENSD_INSE_IS6_EEEESI_S6_NSB_4plusIvEENSB_8equal_toIvEES6_EE10hipError_tPvRmT2_T3_T4_T5_mT6_T7_P12ihipStream_tbENKUlT_T0_E_clISt17integral_constantIbLb1EES13_EEDaSY_SZ_EUlSY_E_NS1_11comp_targetILNS1_3genE2ELNS1_11target_archE906ELNS1_3gpuE6ELNS1_3repE0EEENS1_30default_config_static_selectorELNS0_4arch9wavefront6targetE1EEEvT1_, .Lfunc_end2132-_ZN7rocprim17ROCPRIM_400000_NS6detail17trampoline_kernelINS0_14default_configENS1_27scan_by_key_config_selectorIj11FixedVectorIiLj8EEEEZZNS1_16scan_by_key_implILNS1_25lookback_scan_determinismE0ELb0ES3_N6thrust23THRUST_200600_302600_NS6detail15normal_iteratorINSB_10device_ptrIjEEEENSD_INSE_IS6_EEEESI_S6_NSB_4plusIvEENSB_8equal_toIvEES6_EE10hipError_tPvRmT2_T3_T4_T5_mT6_T7_P12ihipStream_tbENKUlT_T0_E_clISt17integral_constantIbLb1EES13_EEDaSY_SZ_EUlSY_E_NS1_11comp_targetILNS1_3genE2ELNS1_11target_archE906ELNS1_3gpuE6ELNS1_3repE0EEENS1_30default_config_static_selectorELNS0_4arch9wavefront6targetE1EEEvT1_
                                        ; -- End function
	.section	.AMDGPU.csdata,"",@progbits
; Kernel info:
; codeLenInByte = 0
; NumSgprs: 6
; NumVgprs: 0
; NumAgprs: 0
; TotalNumVgprs: 0
; ScratchSize: 0
; MemoryBound: 0
; FloatMode: 240
; IeeeMode: 1
; LDSByteSize: 0 bytes/workgroup (compile time only)
; SGPRBlocks: 0
; VGPRBlocks: 0
; NumSGPRsForWavesPerEU: 6
; NumVGPRsForWavesPerEU: 1
; AccumOffset: 4
; Occupancy: 8
; WaveLimiterHint : 0
; COMPUTE_PGM_RSRC2:SCRATCH_EN: 0
; COMPUTE_PGM_RSRC2:USER_SGPR: 2
; COMPUTE_PGM_RSRC2:TRAP_HANDLER: 0
; COMPUTE_PGM_RSRC2:TGID_X_EN: 1
; COMPUTE_PGM_RSRC2:TGID_Y_EN: 0
; COMPUTE_PGM_RSRC2:TGID_Z_EN: 0
; COMPUTE_PGM_RSRC2:TIDIG_COMP_CNT: 0
; COMPUTE_PGM_RSRC3_GFX90A:ACCUM_OFFSET: 0
; COMPUTE_PGM_RSRC3_GFX90A:TG_SPLIT: 0
	.section	.text._ZN7rocprim17ROCPRIM_400000_NS6detail17trampoline_kernelINS0_14default_configENS1_27scan_by_key_config_selectorIj11FixedVectorIiLj8EEEEZZNS1_16scan_by_key_implILNS1_25lookback_scan_determinismE0ELb0ES3_N6thrust23THRUST_200600_302600_NS6detail15normal_iteratorINSB_10device_ptrIjEEEENSD_INSE_IS6_EEEESI_S6_NSB_4plusIvEENSB_8equal_toIvEES6_EE10hipError_tPvRmT2_T3_T4_T5_mT6_T7_P12ihipStream_tbENKUlT_T0_E_clISt17integral_constantIbLb1EES13_EEDaSY_SZ_EUlSY_E_NS1_11comp_targetILNS1_3genE10ELNS1_11target_archE1200ELNS1_3gpuE4ELNS1_3repE0EEENS1_30default_config_static_selectorELNS0_4arch9wavefront6targetE1EEEvT1_,"axG",@progbits,_ZN7rocprim17ROCPRIM_400000_NS6detail17trampoline_kernelINS0_14default_configENS1_27scan_by_key_config_selectorIj11FixedVectorIiLj8EEEEZZNS1_16scan_by_key_implILNS1_25lookback_scan_determinismE0ELb0ES3_N6thrust23THRUST_200600_302600_NS6detail15normal_iteratorINSB_10device_ptrIjEEEENSD_INSE_IS6_EEEESI_S6_NSB_4plusIvEENSB_8equal_toIvEES6_EE10hipError_tPvRmT2_T3_T4_T5_mT6_T7_P12ihipStream_tbENKUlT_T0_E_clISt17integral_constantIbLb1EES13_EEDaSY_SZ_EUlSY_E_NS1_11comp_targetILNS1_3genE10ELNS1_11target_archE1200ELNS1_3gpuE4ELNS1_3repE0EEENS1_30default_config_static_selectorELNS0_4arch9wavefront6targetE1EEEvT1_,comdat
	.protected	_ZN7rocprim17ROCPRIM_400000_NS6detail17trampoline_kernelINS0_14default_configENS1_27scan_by_key_config_selectorIj11FixedVectorIiLj8EEEEZZNS1_16scan_by_key_implILNS1_25lookback_scan_determinismE0ELb0ES3_N6thrust23THRUST_200600_302600_NS6detail15normal_iteratorINSB_10device_ptrIjEEEENSD_INSE_IS6_EEEESI_S6_NSB_4plusIvEENSB_8equal_toIvEES6_EE10hipError_tPvRmT2_T3_T4_T5_mT6_T7_P12ihipStream_tbENKUlT_T0_E_clISt17integral_constantIbLb1EES13_EEDaSY_SZ_EUlSY_E_NS1_11comp_targetILNS1_3genE10ELNS1_11target_archE1200ELNS1_3gpuE4ELNS1_3repE0EEENS1_30default_config_static_selectorELNS0_4arch9wavefront6targetE1EEEvT1_ ; -- Begin function _ZN7rocprim17ROCPRIM_400000_NS6detail17trampoline_kernelINS0_14default_configENS1_27scan_by_key_config_selectorIj11FixedVectorIiLj8EEEEZZNS1_16scan_by_key_implILNS1_25lookback_scan_determinismE0ELb0ES3_N6thrust23THRUST_200600_302600_NS6detail15normal_iteratorINSB_10device_ptrIjEEEENSD_INSE_IS6_EEEESI_S6_NSB_4plusIvEENSB_8equal_toIvEES6_EE10hipError_tPvRmT2_T3_T4_T5_mT6_T7_P12ihipStream_tbENKUlT_T0_E_clISt17integral_constantIbLb1EES13_EEDaSY_SZ_EUlSY_E_NS1_11comp_targetILNS1_3genE10ELNS1_11target_archE1200ELNS1_3gpuE4ELNS1_3repE0EEENS1_30default_config_static_selectorELNS0_4arch9wavefront6targetE1EEEvT1_
	.globl	_ZN7rocprim17ROCPRIM_400000_NS6detail17trampoline_kernelINS0_14default_configENS1_27scan_by_key_config_selectorIj11FixedVectorIiLj8EEEEZZNS1_16scan_by_key_implILNS1_25lookback_scan_determinismE0ELb0ES3_N6thrust23THRUST_200600_302600_NS6detail15normal_iteratorINSB_10device_ptrIjEEEENSD_INSE_IS6_EEEESI_S6_NSB_4plusIvEENSB_8equal_toIvEES6_EE10hipError_tPvRmT2_T3_T4_T5_mT6_T7_P12ihipStream_tbENKUlT_T0_E_clISt17integral_constantIbLb1EES13_EEDaSY_SZ_EUlSY_E_NS1_11comp_targetILNS1_3genE10ELNS1_11target_archE1200ELNS1_3gpuE4ELNS1_3repE0EEENS1_30default_config_static_selectorELNS0_4arch9wavefront6targetE1EEEvT1_
	.p2align	8
	.type	_ZN7rocprim17ROCPRIM_400000_NS6detail17trampoline_kernelINS0_14default_configENS1_27scan_by_key_config_selectorIj11FixedVectorIiLj8EEEEZZNS1_16scan_by_key_implILNS1_25lookback_scan_determinismE0ELb0ES3_N6thrust23THRUST_200600_302600_NS6detail15normal_iteratorINSB_10device_ptrIjEEEENSD_INSE_IS6_EEEESI_S6_NSB_4plusIvEENSB_8equal_toIvEES6_EE10hipError_tPvRmT2_T3_T4_T5_mT6_T7_P12ihipStream_tbENKUlT_T0_E_clISt17integral_constantIbLb1EES13_EEDaSY_SZ_EUlSY_E_NS1_11comp_targetILNS1_3genE10ELNS1_11target_archE1200ELNS1_3gpuE4ELNS1_3repE0EEENS1_30default_config_static_selectorELNS0_4arch9wavefront6targetE1EEEvT1_,@function
_ZN7rocprim17ROCPRIM_400000_NS6detail17trampoline_kernelINS0_14default_configENS1_27scan_by_key_config_selectorIj11FixedVectorIiLj8EEEEZZNS1_16scan_by_key_implILNS1_25lookback_scan_determinismE0ELb0ES3_N6thrust23THRUST_200600_302600_NS6detail15normal_iteratorINSB_10device_ptrIjEEEENSD_INSE_IS6_EEEESI_S6_NSB_4plusIvEENSB_8equal_toIvEES6_EE10hipError_tPvRmT2_T3_T4_T5_mT6_T7_P12ihipStream_tbENKUlT_T0_E_clISt17integral_constantIbLb1EES13_EEDaSY_SZ_EUlSY_E_NS1_11comp_targetILNS1_3genE10ELNS1_11target_archE1200ELNS1_3gpuE4ELNS1_3repE0EEENS1_30default_config_static_selectorELNS0_4arch9wavefront6targetE1EEEvT1_: ; @_ZN7rocprim17ROCPRIM_400000_NS6detail17trampoline_kernelINS0_14default_configENS1_27scan_by_key_config_selectorIj11FixedVectorIiLj8EEEEZZNS1_16scan_by_key_implILNS1_25lookback_scan_determinismE0ELb0ES3_N6thrust23THRUST_200600_302600_NS6detail15normal_iteratorINSB_10device_ptrIjEEEENSD_INSE_IS6_EEEESI_S6_NSB_4plusIvEENSB_8equal_toIvEES6_EE10hipError_tPvRmT2_T3_T4_T5_mT6_T7_P12ihipStream_tbENKUlT_T0_E_clISt17integral_constantIbLb1EES13_EEDaSY_SZ_EUlSY_E_NS1_11comp_targetILNS1_3genE10ELNS1_11target_archE1200ELNS1_3gpuE4ELNS1_3repE0EEENS1_30default_config_static_selectorELNS0_4arch9wavefront6targetE1EEEvT1_
; %bb.0:
	.section	.rodata,"a",@progbits
	.p2align	6, 0x0
	.amdhsa_kernel _ZN7rocprim17ROCPRIM_400000_NS6detail17trampoline_kernelINS0_14default_configENS1_27scan_by_key_config_selectorIj11FixedVectorIiLj8EEEEZZNS1_16scan_by_key_implILNS1_25lookback_scan_determinismE0ELb0ES3_N6thrust23THRUST_200600_302600_NS6detail15normal_iteratorINSB_10device_ptrIjEEEENSD_INSE_IS6_EEEESI_S6_NSB_4plusIvEENSB_8equal_toIvEES6_EE10hipError_tPvRmT2_T3_T4_T5_mT6_T7_P12ihipStream_tbENKUlT_T0_E_clISt17integral_constantIbLb1EES13_EEDaSY_SZ_EUlSY_E_NS1_11comp_targetILNS1_3genE10ELNS1_11target_archE1200ELNS1_3gpuE4ELNS1_3repE0EEENS1_30default_config_static_selectorELNS0_4arch9wavefront6targetE1EEEvT1_
		.amdhsa_group_segment_fixed_size 0
		.amdhsa_private_segment_fixed_size 0
		.amdhsa_kernarg_size 160
		.amdhsa_user_sgpr_count 2
		.amdhsa_user_sgpr_dispatch_ptr 0
		.amdhsa_user_sgpr_queue_ptr 0
		.amdhsa_user_sgpr_kernarg_segment_ptr 1
		.amdhsa_user_sgpr_dispatch_id 0
		.amdhsa_user_sgpr_kernarg_preload_length 0
		.amdhsa_user_sgpr_kernarg_preload_offset 0
		.amdhsa_user_sgpr_private_segment_size 0
		.amdhsa_uses_dynamic_stack 0
		.amdhsa_enable_private_segment 0
		.amdhsa_system_sgpr_workgroup_id_x 1
		.amdhsa_system_sgpr_workgroup_id_y 0
		.amdhsa_system_sgpr_workgroup_id_z 0
		.amdhsa_system_sgpr_workgroup_info 0
		.amdhsa_system_vgpr_workitem_id 0
		.amdhsa_next_free_vgpr 1
		.amdhsa_next_free_sgpr 0
		.amdhsa_accum_offset 4
		.amdhsa_reserve_vcc 0
		.amdhsa_float_round_mode_32 0
		.amdhsa_float_round_mode_16_64 0
		.amdhsa_float_denorm_mode_32 3
		.amdhsa_float_denorm_mode_16_64 3
		.amdhsa_dx10_clamp 1
		.amdhsa_ieee_mode 1
		.amdhsa_fp16_overflow 0
		.amdhsa_tg_split 0
		.amdhsa_exception_fp_ieee_invalid_op 0
		.amdhsa_exception_fp_denorm_src 0
		.amdhsa_exception_fp_ieee_div_zero 0
		.amdhsa_exception_fp_ieee_overflow 0
		.amdhsa_exception_fp_ieee_underflow 0
		.amdhsa_exception_fp_ieee_inexact 0
		.amdhsa_exception_int_div_zero 0
	.end_amdhsa_kernel
	.section	.text._ZN7rocprim17ROCPRIM_400000_NS6detail17trampoline_kernelINS0_14default_configENS1_27scan_by_key_config_selectorIj11FixedVectorIiLj8EEEEZZNS1_16scan_by_key_implILNS1_25lookback_scan_determinismE0ELb0ES3_N6thrust23THRUST_200600_302600_NS6detail15normal_iteratorINSB_10device_ptrIjEEEENSD_INSE_IS6_EEEESI_S6_NSB_4plusIvEENSB_8equal_toIvEES6_EE10hipError_tPvRmT2_T3_T4_T5_mT6_T7_P12ihipStream_tbENKUlT_T0_E_clISt17integral_constantIbLb1EES13_EEDaSY_SZ_EUlSY_E_NS1_11comp_targetILNS1_3genE10ELNS1_11target_archE1200ELNS1_3gpuE4ELNS1_3repE0EEENS1_30default_config_static_selectorELNS0_4arch9wavefront6targetE1EEEvT1_,"axG",@progbits,_ZN7rocprim17ROCPRIM_400000_NS6detail17trampoline_kernelINS0_14default_configENS1_27scan_by_key_config_selectorIj11FixedVectorIiLj8EEEEZZNS1_16scan_by_key_implILNS1_25lookback_scan_determinismE0ELb0ES3_N6thrust23THRUST_200600_302600_NS6detail15normal_iteratorINSB_10device_ptrIjEEEENSD_INSE_IS6_EEEESI_S6_NSB_4plusIvEENSB_8equal_toIvEES6_EE10hipError_tPvRmT2_T3_T4_T5_mT6_T7_P12ihipStream_tbENKUlT_T0_E_clISt17integral_constantIbLb1EES13_EEDaSY_SZ_EUlSY_E_NS1_11comp_targetILNS1_3genE10ELNS1_11target_archE1200ELNS1_3gpuE4ELNS1_3repE0EEENS1_30default_config_static_selectorELNS0_4arch9wavefront6targetE1EEEvT1_,comdat
.Lfunc_end2133:
	.size	_ZN7rocprim17ROCPRIM_400000_NS6detail17trampoline_kernelINS0_14default_configENS1_27scan_by_key_config_selectorIj11FixedVectorIiLj8EEEEZZNS1_16scan_by_key_implILNS1_25lookback_scan_determinismE0ELb0ES3_N6thrust23THRUST_200600_302600_NS6detail15normal_iteratorINSB_10device_ptrIjEEEENSD_INSE_IS6_EEEESI_S6_NSB_4plusIvEENSB_8equal_toIvEES6_EE10hipError_tPvRmT2_T3_T4_T5_mT6_T7_P12ihipStream_tbENKUlT_T0_E_clISt17integral_constantIbLb1EES13_EEDaSY_SZ_EUlSY_E_NS1_11comp_targetILNS1_3genE10ELNS1_11target_archE1200ELNS1_3gpuE4ELNS1_3repE0EEENS1_30default_config_static_selectorELNS0_4arch9wavefront6targetE1EEEvT1_, .Lfunc_end2133-_ZN7rocprim17ROCPRIM_400000_NS6detail17trampoline_kernelINS0_14default_configENS1_27scan_by_key_config_selectorIj11FixedVectorIiLj8EEEEZZNS1_16scan_by_key_implILNS1_25lookback_scan_determinismE0ELb0ES3_N6thrust23THRUST_200600_302600_NS6detail15normal_iteratorINSB_10device_ptrIjEEEENSD_INSE_IS6_EEEESI_S6_NSB_4plusIvEENSB_8equal_toIvEES6_EE10hipError_tPvRmT2_T3_T4_T5_mT6_T7_P12ihipStream_tbENKUlT_T0_E_clISt17integral_constantIbLb1EES13_EEDaSY_SZ_EUlSY_E_NS1_11comp_targetILNS1_3genE10ELNS1_11target_archE1200ELNS1_3gpuE4ELNS1_3repE0EEENS1_30default_config_static_selectorELNS0_4arch9wavefront6targetE1EEEvT1_
                                        ; -- End function
	.section	.AMDGPU.csdata,"",@progbits
; Kernel info:
; codeLenInByte = 0
; NumSgprs: 6
; NumVgprs: 0
; NumAgprs: 0
; TotalNumVgprs: 0
; ScratchSize: 0
; MemoryBound: 0
; FloatMode: 240
; IeeeMode: 1
; LDSByteSize: 0 bytes/workgroup (compile time only)
; SGPRBlocks: 0
; VGPRBlocks: 0
; NumSGPRsForWavesPerEU: 6
; NumVGPRsForWavesPerEU: 1
; AccumOffset: 4
; Occupancy: 8
; WaveLimiterHint : 0
; COMPUTE_PGM_RSRC2:SCRATCH_EN: 0
; COMPUTE_PGM_RSRC2:USER_SGPR: 2
; COMPUTE_PGM_RSRC2:TRAP_HANDLER: 0
; COMPUTE_PGM_RSRC2:TGID_X_EN: 1
; COMPUTE_PGM_RSRC2:TGID_Y_EN: 0
; COMPUTE_PGM_RSRC2:TGID_Z_EN: 0
; COMPUTE_PGM_RSRC2:TIDIG_COMP_CNT: 0
; COMPUTE_PGM_RSRC3_GFX90A:ACCUM_OFFSET: 0
; COMPUTE_PGM_RSRC3_GFX90A:TG_SPLIT: 0
	.section	.text._ZN7rocprim17ROCPRIM_400000_NS6detail17trampoline_kernelINS0_14default_configENS1_27scan_by_key_config_selectorIj11FixedVectorIiLj8EEEEZZNS1_16scan_by_key_implILNS1_25lookback_scan_determinismE0ELb0ES3_N6thrust23THRUST_200600_302600_NS6detail15normal_iteratorINSB_10device_ptrIjEEEENSD_INSE_IS6_EEEESI_S6_NSB_4plusIvEENSB_8equal_toIvEES6_EE10hipError_tPvRmT2_T3_T4_T5_mT6_T7_P12ihipStream_tbENKUlT_T0_E_clISt17integral_constantIbLb1EES13_EEDaSY_SZ_EUlSY_E_NS1_11comp_targetILNS1_3genE9ELNS1_11target_archE1100ELNS1_3gpuE3ELNS1_3repE0EEENS1_30default_config_static_selectorELNS0_4arch9wavefront6targetE1EEEvT1_,"axG",@progbits,_ZN7rocprim17ROCPRIM_400000_NS6detail17trampoline_kernelINS0_14default_configENS1_27scan_by_key_config_selectorIj11FixedVectorIiLj8EEEEZZNS1_16scan_by_key_implILNS1_25lookback_scan_determinismE0ELb0ES3_N6thrust23THRUST_200600_302600_NS6detail15normal_iteratorINSB_10device_ptrIjEEEENSD_INSE_IS6_EEEESI_S6_NSB_4plusIvEENSB_8equal_toIvEES6_EE10hipError_tPvRmT2_T3_T4_T5_mT6_T7_P12ihipStream_tbENKUlT_T0_E_clISt17integral_constantIbLb1EES13_EEDaSY_SZ_EUlSY_E_NS1_11comp_targetILNS1_3genE9ELNS1_11target_archE1100ELNS1_3gpuE3ELNS1_3repE0EEENS1_30default_config_static_selectorELNS0_4arch9wavefront6targetE1EEEvT1_,comdat
	.protected	_ZN7rocprim17ROCPRIM_400000_NS6detail17trampoline_kernelINS0_14default_configENS1_27scan_by_key_config_selectorIj11FixedVectorIiLj8EEEEZZNS1_16scan_by_key_implILNS1_25lookback_scan_determinismE0ELb0ES3_N6thrust23THRUST_200600_302600_NS6detail15normal_iteratorINSB_10device_ptrIjEEEENSD_INSE_IS6_EEEESI_S6_NSB_4plusIvEENSB_8equal_toIvEES6_EE10hipError_tPvRmT2_T3_T4_T5_mT6_T7_P12ihipStream_tbENKUlT_T0_E_clISt17integral_constantIbLb1EES13_EEDaSY_SZ_EUlSY_E_NS1_11comp_targetILNS1_3genE9ELNS1_11target_archE1100ELNS1_3gpuE3ELNS1_3repE0EEENS1_30default_config_static_selectorELNS0_4arch9wavefront6targetE1EEEvT1_ ; -- Begin function _ZN7rocprim17ROCPRIM_400000_NS6detail17trampoline_kernelINS0_14default_configENS1_27scan_by_key_config_selectorIj11FixedVectorIiLj8EEEEZZNS1_16scan_by_key_implILNS1_25lookback_scan_determinismE0ELb0ES3_N6thrust23THRUST_200600_302600_NS6detail15normal_iteratorINSB_10device_ptrIjEEEENSD_INSE_IS6_EEEESI_S6_NSB_4plusIvEENSB_8equal_toIvEES6_EE10hipError_tPvRmT2_T3_T4_T5_mT6_T7_P12ihipStream_tbENKUlT_T0_E_clISt17integral_constantIbLb1EES13_EEDaSY_SZ_EUlSY_E_NS1_11comp_targetILNS1_3genE9ELNS1_11target_archE1100ELNS1_3gpuE3ELNS1_3repE0EEENS1_30default_config_static_selectorELNS0_4arch9wavefront6targetE1EEEvT1_
	.globl	_ZN7rocprim17ROCPRIM_400000_NS6detail17trampoline_kernelINS0_14default_configENS1_27scan_by_key_config_selectorIj11FixedVectorIiLj8EEEEZZNS1_16scan_by_key_implILNS1_25lookback_scan_determinismE0ELb0ES3_N6thrust23THRUST_200600_302600_NS6detail15normal_iteratorINSB_10device_ptrIjEEEENSD_INSE_IS6_EEEESI_S6_NSB_4plusIvEENSB_8equal_toIvEES6_EE10hipError_tPvRmT2_T3_T4_T5_mT6_T7_P12ihipStream_tbENKUlT_T0_E_clISt17integral_constantIbLb1EES13_EEDaSY_SZ_EUlSY_E_NS1_11comp_targetILNS1_3genE9ELNS1_11target_archE1100ELNS1_3gpuE3ELNS1_3repE0EEENS1_30default_config_static_selectorELNS0_4arch9wavefront6targetE1EEEvT1_
	.p2align	8
	.type	_ZN7rocprim17ROCPRIM_400000_NS6detail17trampoline_kernelINS0_14default_configENS1_27scan_by_key_config_selectorIj11FixedVectorIiLj8EEEEZZNS1_16scan_by_key_implILNS1_25lookback_scan_determinismE0ELb0ES3_N6thrust23THRUST_200600_302600_NS6detail15normal_iteratorINSB_10device_ptrIjEEEENSD_INSE_IS6_EEEESI_S6_NSB_4plusIvEENSB_8equal_toIvEES6_EE10hipError_tPvRmT2_T3_T4_T5_mT6_T7_P12ihipStream_tbENKUlT_T0_E_clISt17integral_constantIbLb1EES13_EEDaSY_SZ_EUlSY_E_NS1_11comp_targetILNS1_3genE9ELNS1_11target_archE1100ELNS1_3gpuE3ELNS1_3repE0EEENS1_30default_config_static_selectorELNS0_4arch9wavefront6targetE1EEEvT1_,@function
_ZN7rocprim17ROCPRIM_400000_NS6detail17trampoline_kernelINS0_14default_configENS1_27scan_by_key_config_selectorIj11FixedVectorIiLj8EEEEZZNS1_16scan_by_key_implILNS1_25lookback_scan_determinismE0ELb0ES3_N6thrust23THRUST_200600_302600_NS6detail15normal_iteratorINSB_10device_ptrIjEEEENSD_INSE_IS6_EEEESI_S6_NSB_4plusIvEENSB_8equal_toIvEES6_EE10hipError_tPvRmT2_T3_T4_T5_mT6_T7_P12ihipStream_tbENKUlT_T0_E_clISt17integral_constantIbLb1EES13_EEDaSY_SZ_EUlSY_E_NS1_11comp_targetILNS1_3genE9ELNS1_11target_archE1100ELNS1_3gpuE3ELNS1_3repE0EEENS1_30default_config_static_selectorELNS0_4arch9wavefront6targetE1EEEvT1_: ; @_ZN7rocprim17ROCPRIM_400000_NS6detail17trampoline_kernelINS0_14default_configENS1_27scan_by_key_config_selectorIj11FixedVectorIiLj8EEEEZZNS1_16scan_by_key_implILNS1_25lookback_scan_determinismE0ELb0ES3_N6thrust23THRUST_200600_302600_NS6detail15normal_iteratorINSB_10device_ptrIjEEEENSD_INSE_IS6_EEEESI_S6_NSB_4plusIvEENSB_8equal_toIvEES6_EE10hipError_tPvRmT2_T3_T4_T5_mT6_T7_P12ihipStream_tbENKUlT_T0_E_clISt17integral_constantIbLb1EES13_EEDaSY_SZ_EUlSY_E_NS1_11comp_targetILNS1_3genE9ELNS1_11target_archE1100ELNS1_3gpuE3ELNS1_3repE0EEENS1_30default_config_static_selectorELNS0_4arch9wavefront6targetE1EEEvT1_
; %bb.0:
	.section	.rodata,"a",@progbits
	.p2align	6, 0x0
	.amdhsa_kernel _ZN7rocprim17ROCPRIM_400000_NS6detail17trampoline_kernelINS0_14default_configENS1_27scan_by_key_config_selectorIj11FixedVectorIiLj8EEEEZZNS1_16scan_by_key_implILNS1_25lookback_scan_determinismE0ELb0ES3_N6thrust23THRUST_200600_302600_NS6detail15normal_iteratorINSB_10device_ptrIjEEEENSD_INSE_IS6_EEEESI_S6_NSB_4plusIvEENSB_8equal_toIvEES6_EE10hipError_tPvRmT2_T3_T4_T5_mT6_T7_P12ihipStream_tbENKUlT_T0_E_clISt17integral_constantIbLb1EES13_EEDaSY_SZ_EUlSY_E_NS1_11comp_targetILNS1_3genE9ELNS1_11target_archE1100ELNS1_3gpuE3ELNS1_3repE0EEENS1_30default_config_static_selectorELNS0_4arch9wavefront6targetE1EEEvT1_
		.amdhsa_group_segment_fixed_size 0
		.amdhsa_private_segment_fixed_size 0
		.amdhsa_kernarg_size 160
		.amdhsa_user_sgpr_count 2
		.amdhsa_user_sgpr_dispatch_ptr 0
		.amdhsa_user_sgpr_queue_ptr 0
		.amdhsa_user_sgpr_kernarg_segment_ptr 1
		.amdhsa_user_sgpr_dispatch_id 0
		.amdhsa_user_sgpr_kernarg_preload_length 0
		.amdhsa_user_sgpr_kernarg_preload_offset 0
		.amdhsa_user_sgpr_private_segment_size 0
		.amdhsa_uses_dynamic_stack 0
		.amdhsa_enable_private_segment 0
		.amdhsa_system_sgpr_workgroup_id_x 1
		.amdhsa_system_sgpr_workgroup_id_y 0
		.amdhsa_system_sgpr_workgroup_id_z 0
		.amdhsa_system_sgpr_workgroup_info 0
		.amdhsa_system_vgpr_workitem_id 0
		.amdhsa_next_free_vgpr 1
		.amdhsa_next_free_sgpr 0
		.amdhsa_accum_offset 4
		.amdhsa_reserve_vcc 0
		.amdhsa_float_round_mode_32 0
		.amdhsa_float_round_mode_16_64 0
		.amdhsa_float_denorm_mode_32 3
		.amdhsa_float_denorm_mode_16_64 3
		.amdhsa_dx10_clamp 1
		.amdhsa_ieee_mode 1
		.amdhsa_fp16_overflow 0
		.amdhsa_tg_split 0
		.amdhsa_exception_fp_ieee_invalid_op 0
		.amdhsa_exception_fp_denorm_src 0
		.amdhsa_exception_fp_ieee_div_zero 0
		.amdhsa_exception_fp_ieee_overflow 0
		.amdhsa_exception_fp_ieee_underflow 0
		.amdhsa_exception_fp_ieee_inexact 0
		.amdhsa_exception_int_div_zero 0
	.end_amdhsa_kernel
	.section	.text._ZN7rocprim17ROCPRIM_400000_NS6detail17trampoline_kernelINS0_14default_configENS1_27scan_by_key_config_selectorIj11FixedVectorIiLj8EEEEZZNS1_16scan_by_key_implILNS1_25lookback_scan_determinismE0ELb0ES3_N6thrust23THRUST_200600_302600_NS6detail15normal_iteratorINSB_10device_ptrIjEEEENSD_INSE_IS6_EEEESI_S6_NSB_4plusIvEENSB_8equal_toIvEES6_EE10hipError_tPvRmT2_T3_T4_T5_mT6_T7_P12ihipStream_tbENKUlT_T0_E_clISt17integral_constantIbLb1EES13_EEDaSY_SZ_EUlSY_E_NS1_11comp_targetILNS1_3genE9ELNS1_11target_archE1100ELNS1_3gpuE3ELNS1_3repE0EEENS1_30default_config_static_selectorELNS0_4arch9wavefront6targetE1EEEvT1_,"axG",@progbits,_ZN7rocprim17ROCPRIM_400000_NS6detail17trampoline_kernelINS0_14default_configENS1_27scan_by_key_config_selectorIj11FixedVectorIiLj8EEEEZZNS1_16scan_by_key_implILNS1_25lookback_scan_determinismE0ELb0ES3_N6thrust23THRUST_200600_302600_NS6detail15normal_iteratorINSB_10device_ptrIjEEEENSD_INSE_IS6_EEEESI_S6_NSB_4plusIvEENSB_8equal_toIvEES6_EE10hipError_tPvRmT2_T3_T4_T5_mT6_T7_P12ihipStream_tbENKUlT_T0_E_clISt17integral_constantIbLb1EES13_EEDaSY_SZ_EUlSY_E_NS1_11comp_targetILNS1_3genE9ELNS1_11target_archE1100ELNS1_3gpuE3ELNS1_3repE0EEENS1_30default_config_static_selectorELNS0_4arch9wavefront6targetE1EEEvT1_,comdat
.Lfunc_end2134:
	.size	_ZN7rocprim17ROCPRIM_400000_NS6detail17trampoline_kernelINS0_14default_configENS1_27scan_by_key_config_selectorIj11FixedVectorIiLj8EEEEZZNS1_16scan_by_key_implILNS1_25lookback_scan_determinismE0ELb0ES3_N6thrust23THRUST_200600_302600_NS6detail15normal_iteratorINSB_10device_ptrIjEEEENSD_INSE_IS6_EEEESI_S6_NSB_4plusIvEENSB_8equal_toIvEES6_EE10hipError_tPvRmT2_T3_T4_T5_mT6_T7_P12ihipStream_tbENKUlT_T0_E_clISt17integral_constantIbLb1EES13_EEDaSY_SZ_EUlSY_E_NS1_11comp_targetILNS1_3genE9ELNS1_11target_archE1100ELNS1_3gpuE3ELNS1_3repE0EEENS1_30default_config_static_selectorELNS0_4arch9wavefront6targetE1EEEvT1_, .Lfunc_end2134-_ZN7rocprim17ROCPRIM_400000_NS6detail17trampoline_kernelINS0_14default_configENS1_27scan_by_key_config_selectorIj11FixedVectorIiLj8EEEEZZNS1_16scan_by_key_implILNS1_25lookback_scan_determinismE0ELb0ES3_N6thrust23THRUST_200600_302600_NS6detail15normal_iteratorINSB_10device_ptrIjEEEENSD_INSE_IS6_EEEESI_S6_NSB_4plusIvEENSB_8equal_toIvEES6_EE10hipError_tPvRmT2_T3_T4_T5_mT6_T7_P12ihipStream_tbENKUlT_T0_E_clISt17integral_constantIbLb1EES13_EEDaSY_SZ_EUlSY_E_NS1_11comp_targetILNS1_3genE9ELNS1_11target_archE1100ELNS1_3gpuE3ELNS1_3repE0EEENS1_30default_config_static_selectorELNS0_4arch9wavefront6targetE1EEEvT1_
                                        ; -- End function
	.section	.AMDGPU.csdata,"",@progbits
; Kernel info:
; codeLenInByte = 0
; NumSgprs: 6
; NumVgprs: 0
; NumAgprs: 0
; TotalNumVgprs: 0
; ScratchSize: 0
; MemoryBound: 0
; FloatMode: 240
; IeeeMode: 1
; LDSByteSize: 0 bytes/workgroup (compile time only)
; SGPRBlocks: 0
; VGPRBlocks: 0
; NumSGPRsForWavesPerEU: 6
; NumVGPRsForWavesPerEU: 1
; AccumOffset: 4
; Occupancy: 8
; WaveLimiterHint : 0
; COMPUTE_PGM_RSRC2:SCRATCH_EN: 0
; COMPUTE_PGM_RSRC2:USER_SGPR: 2
; COMPUTE_PGM_RSRC2:TRAP_HANDLER: 0
; COMPUTE_PGM_RSRC2:TGID_X_EN: 1
; COMPUTE_PGM_RSRC2:TGID_Y_EN: 0
; COMPUTE_PGM_RSRC2:TGID_Z_EN: 0
; COMPUTE_PGM_RSRC2:TIDIG_COMP_CNT: 0
; COMPUTE_PGM_RSRC3_GFX90A:ACCUM_OFFSET: 0
; COMPUTE_PGM_RSRC3_GFX90A:TG_SPLIT: 0
	.section	.text._ZN7rocprim17ROCPRIM_400000_NS6detail17trampoline_kernelINS0_14default_configENS1_27scan_by_key_config_selectorIj11FixedVectorIiLj8EEEEZZNS1_16scan_by_key_implILNS1_25lookback_scan_determinismE0ELb0ES3_N6thrust23THRUST_200600_302600_NS6detail15normal_iteratorINSB_10device_ptrIjEEEENSD_INSE_IS6_EEEESI_S6_NSB_4plusIvEENSB_8equal_toIvEES6_EE10hipError_tPvRmT2_T3_T4_T5_mT6_T7_P12ihipStream_tbENKUlT_T0_E_clISt17integral_constantIbLb1EES13_EEDaSY_SZ_EUlSY_E_NS1_11comp_targetILNS1_3genE8ELNS1_11target_archE1030ELNS1_3gpuE2ELNS1_3repE0EEENS1_30default_config_static_selectorELNS0_4arch9wavefront6targetE1EEEvT1_,"axG",@progbits,_ZN7rocprim17ROCPRIM_400000_NS6detail17trampoline_kernelINS0_14default_configENS1_27scan_by_key_config_selectorIj11FixedVectorIiLj8EEEEZZNS1_16scan_by_key_implILNS1_25lookback_scan_determinismE0ELb0ES3_N6thrust23THRUST_200600_302600_NS6detail15normal_iteratorINSB_10device_ptrIjEEEENSD_INSE_IS6_EEEESI_S6_NSB_4plusIvEENSB_8equal_toIvEES6_EE10hipError_tPvRmT2_T3_T4_T5_mT6_T7_P12ihipStream_tbENKUlT_T0_E_clISt17integral_constantIbLb1EES13_EEDaSY_SZ_EUlSY_E_NS1_11comp_targetILNS1_3genE8ELNS1_11target_archE1030ELNS1_3gpuE2ELNS1_3repE0EEENS1_30default_config_static_selectorELNS0_4arch9wavefront6targetE1EEEvT1_,comdat
	.protected	_ZN7rocprim17ROCPRIM_400000_NS6detail17trampoline_kernelINS0_14default_configENS1_27scan_by_key_config_selectorIj11FixedVectorIiLj8EEEEZZNS1_16scan_by_key_implILNS1_25lookback_scan_determinismE0ELb0ES3_N6thrust23THRUST_200600_302600_NS6detail15normal_iteratorINSB_10device_ptrIjEEEENSD_INSE_IS6_EEEESI_S6_NSB_4plusIvEENSB_8equal_toIvEES6_EE10hipError_tPvRmT2_T3_T4_T5_mT6_T7_P12ihipStream_tbENKUlT_T0_E_clISt17integral_constantIbLb1EES13_EEDaSY_SZ_EUlSY_E_NS1_11comp_targetILNS1_3genE8ELNS1_11target_archE1030ELNS1_3gpuE2ELNS1_3repE0EEENS1_30default_config_static_selectorELNS0_4arch9wavefront6targetE1EEEvT1_ ; -- Begin function _ZN7rocprim17ROCPRIM_400000_NS6detail17trampoline_kernelINS0_14default_configENS1_27scan_by_key_config_selectorIj11FixedVectorIiLj8EEEEZZNS1_16scan_by_key_implILNS1_25lookback_scan_determinismE0ELb0ES3_N6thrust23THRUST_200600_302600_NS6detail15normal_iteratorINSB_10device_ptrIjEEEENSD_INSE_IS6_EEEESI_S6_NSB_4plusIvEENSB_8equal_toIvEES6_EE10hipError_tPvRmT2_T3_T4_T5_mT6_T7_P12ihipStream_tbENKUlT_T0_E_clISt17integral_constantIbLb1EES13_EEDaSY_SZ_EUlSY_E_NS1_11comp_targetILNS1_3genE8ELNS1_11target_archE1030ELNS1_3gpuE2ELNS1_3repE0EEENS1_30default_config_static_selectorELNS0_4arch9wavefront6targetE1EEEvT1_
	.globl	_ZN7rocprim17ROCPRIM_400000_NS6detail17trampoline_kernelINS0_14default_configENS1_27scan_by_key_config_selectorIj11FixedVectorIiLj8EEEEZZNS1_16scan_by_key_implILNS1_25lookback_scan_determinismE0ELb0ES3_N6thrust23THRUST_200600_302600_NS6detail15normal_iteratorINSB_10device_ptrIjEEEENSD_INSE_IS6_EEEESI_S6_NSB_4plusIvEENSB_8equal_toIvEES6_EE10hipError_tPvRmT2_T3_T4_T5_mT6_T7_P12ihipStream_tbENKUlT_T0_E_clISt17integral_constantIbLb1EES13_EEDaSY_SZ_EUlSY_E_NS1_11comp_targetILNS1_3genE8ELNS1_11target_archE1030ELNS1_3gpuE2ELNS1_3repE0EEENS1_30default_config_static_selectorELNS0_4arch9wavefront6targetE1EEEvT1_
	.p2align	8
	.type	_ZN7rocprim17ROCPRIM_400000_NS6detail17trampoline_kernelINS0_14default_configENS1_27scan_by_key_config_selectorIj11FixedVectorIiLj8EEEEZZNS1_16scan_by_key_implILNS1_25lookback_scan_determinismE0ELb0ES3_N6thrust23THRUST_200600_302600_NS6detail15normal_iteratorINSB_10device_ptrIjEEEENSD_INSE_IS6_EEEESI_S6_NSB_4plusIvEENSB_8equal_toIvEES6_EE10hipError_tPvRmT2_T3_T4_T5_mT6_T7_P12ihipStream_tbENKUlT_T0_E_clISt17integral_constantIbLb1EES13_EEDaSY_SZ_EUlSY_E_NS1_11comp_targetILNS1_3genE8ELNS1_11target_archE1030ELNS1_3gpuE2ELNS1_3repE0EEENS1_30default_config_static_selectorELNS0_4arch9wavefront6targetE1EEEvT1_,@function
_ZN7rocprim17ROCPRIM_400000_NS6detail17trampoline_kernelINS0_14default_configENS1_27scan_by_key_config_selectorIj11FixedVectorIiLj8EEEEZZNS1_16scan_by_key_implILNS1_25lookback_scan_determinismE0ELb0ES3_N6thrust23THRUST_200600_302600_NS6detail15normal_iteratorINSB_10device_ptrIjEEEENSD_INSE_IS6_EEEESI_S6_NSB_4plusIvEENSB_8equal_toIvEES6_EE10hipError_tPvRmT2_T3_T4_T5_mT6_T7_P12ihipStream_tbENKUlT_T0_E_clISt17integral_constantIbLb1EES13_EEDaSY_SZ_EUlSY_E_NS1_11comp_targetILNS1_3genE8ELNS1_11target_archE1030ELNS1_3gpuE2ELNS1_3repE0EEENS1_30default_config_static_selectorELNS0_4arch9wavefront6targetE1EEEvT1_: ; @_ZN7rocprim17ROCPRIM_400000_NS6detail17trampoline_kernelINS0_14default_configENS1_27scan_by_key_config_selectorIj11FixedVectorIiLj8EEEEZZNS1_16scan_by_key_implILNS1_25lookback_scan_determinismE0ELb0ES3_N6thrust23THRUST_200600_302600_NS6detail15normal_iteratorINSB_10device_ptrIjEEEENSD_INSE_IS6_EEEESI_S6_NSB_4plusIvEENSB_8equal_toIvEES6_EE10hipError_tPvRmT2_T3_T4_T5_mT6_T7_P12ihipStream_tbENKUlT_T0_E_clISt17integral_constantIbLb1EES13_EEDaSY_SZ_EUlSY_E_NS1_11comp_targetILNS1_3genE8ELNS1_11target_archE1030ELNS1_3gpuE2ELNS1_3repE0EEENS1_30default_config_static_selectorELNS0_4arch9wavefront6targetE1EEEvT1_
; %bb.0:
	.section	.rodata,"a",@progbits
	.p2align	6, 0x0
	.amdhsa_kernel _ZN7rocprim17ROCPRIM_400000_NS6detail17trampoline_kernelINS0_14default_configENS1_27scan_by_key_config_selectorIj11FixedVectorIiLj8EEEEZZNS1_16scan_by_key_implILNS1_25lookback_scan_determinismE0ELb0ES3_N6thrust23THRUST_200600_302600_NS6detail15normal_iteratorINSB_10device_ptrIjEEEENSD_INSE_IS6_EEEESI_S6_NSB_4plusIvEENSB_8equal_toIvEES6_EE10hipError_tPvRmT2_T3_T4_T5_mT6_T7_P12ihipStream_tbENKUlT_T0_E_clISt17integral_constantIbLb1EES13_EEDaSY_SZ_EUlSY_E_NS1_11comp_targetILNS1_3genE8ELNS1_11target_archE1030ELNS1_3gpuE2ELNS1_3repE0EEENS1_30default_config_static_selectorELNS0_4arch9wavefront6targetE1EEEvT1_
		.amdhsa_group_segment_fixed_size 0
		.amdhsa_private_segment_fixed_size 0
		.amdhsa_kernarg_size 160
		.amdhsa_user_sgpr_count 2
		.amdhsa_user_sgpr_dispatch_ptr 0
		.amdhsa_user_sgpr_queue_ptr 0
		.amdhsa_user_sgpr_kernarg_segment_ptr 1
		.amdhsa_user_sgpr_dispatch_id 0
		.amdhsa_user_sgpr_kernarg_preload_length 0
		.amdhsa_user_sgpr_kernarg_preload_offset 0
		.amdhsa_user_sgpr_private_segment_size 0
		.amdhsa_uses_dynamic_stack 0
		.amdhsa_enable_private_segment 0
		.amdhsa_system_sgpr_workgroup_id_x 1
		.amdhsa_system_sgpr_workgroup_id_y 0
		.amdhsa_system_sgpr_workgroup_id_z 0
		.amdhsa_system_sgpr_workgroup_info 0
		.amdhsa_system_vgpr_workitem_id 0
		.amdhsa_next_free_vgpr 1
		.amdhsa_next_free_sgpr 0
		.amdhsa_accum_offset 4
		.amdhsa_reserve_vcc 0
		.amdhsa_float_round_mode_32 0
		.amdhsa_float_round_mode_16_64 0
		.amdhsa_float_denorm_mode_32 3
		.amdhsa_float_denorm_mode_16_64 3
		.amdhsa_dx10_clamp 1
		.amdhsa_ieee_mode 1
		.amdhsa_fp16_overflow 0
		.amdhsa_tg_split 0
		.amdhsa_exception_fp_ieee_invalid_op 0
		.amdhsa_exception_fp_denorm_src 0
		.amdhsa_exception_fp_ieee_div_zero 0
		.amdhsa_exception_fp_ieee_overflow 0
		.amdhsa_exception_fp_ieee_underflow 0
		.amdhsa_exception_fp_ieee_inexact 0
		.amdhsa_exception_int_div_zero 0
	.end_amdhsa_kernel
	.section	.text._ZN7rocprim17ROCPRIM_400000_NS6detail17trampoline_kernelINS0_14default_configENS1_27scan_by_key_config_selectorIj11FixedVectorIiLj8EEEEZZNS1_16scan_by_key_implILNS1_25lookback_scan_determinismE0ELb0ES3_N6thrust23THRUST_200600_302600_NS6detail15normal_iteratorINSB_10device_ptrIjEEEENSD_INSE_IS6_EEEESI_S6_NSB_4plusIvEENSB_8equal_toIvEES6_EE10hipError_tPvRmT2_T3_T4_T5_mT6_T7_P12ihipStream_tbENKUlT_T0_E_clISt17integral_constantIbLb1EES13_EEDaSY_SZ_EUlSY_E_NS1_11comp_targetILNS1_3genE8ELNS1_11target_archE1030ELNS1_3gpuE2ELNS1_3repE0EEENS1_30default_config_static_selectorELNS0_4arch9wavefront6targetE1EEEvT1_,"axG",@progbits,_ZN7rocprim17ROCPRIM_400000_NS6detail17trampoline_kernelINS0_14default_configENS1_27scan_by_key_config_selectorIj11FixedVectorIiLj8EEEEZZNS1_16scan_by_key_implILNS1_25lookback_scan_determinismE0ELb0ES3_N6thrust23THRUST_200600_302600_NS6detail15normal_iteratorINSB_10device_ptrIjEEEENSD_INSE_IS6_EEEESI_S6_NSB_4plusIvEENSB_8equal_toIvEES6_EE10hipError_tPvRmT2_T3_T4_T5_mT6_T7_P12ihipStream_tbENKUlT_T0_E_clISt17integral_constantIbLb1EES13_EEDaSY_SZ_EUlSY_E_NS1_11comp_targetILNS1_3genE8ELNS1_11target_archE1030ELNS1_3gpuE2ELNS1_3repE0EEENS1_30default_config_static_selectorELNS0_4arch9wavefront6targetE1EEEvT1_,comdat
.Lfunc_end2135:
	.size	_ZN7rocprim17ROCPRIM_400000_NS6detail17trampoline_kernelINS0_14default_configENS1_27scan_by_key_config_selectorIj11FixedVectorIiLj8EEEEZZNS1_16scan_by_key_implILNS1_25lookback_scan_determinismE0ELb0ES3_N6thrust23THRUST_200600_302600_NS6detail15normal_iteratorINSB_10device_ptrIjEEEENSD_INSE_IS6_EEEESI_S6_NSB_4plusIvEENSB_8equal_toIvEES6_EE10hipError_tPvRmT2_T3_T4_T5_mT6_T7_P12ihipStream_tbENKUlT_T0_E_clISt17integral_constantIbLb1EES13_EEDaSY_SZ_EUlSY_E_NS1_11comp_targetILNS1_3genE8ELNS1_11target_archE1030ELNS1_3gpuE2ELNS1_3repE0EEENS1_30default_config_static_selectorELNS0_4arch9wavefront6targetE1EEEvT1_, .Lfunc_end2135-_ZN7rocprim17ROCPRIM_400000_NS6detail17trampoline_kernelINS0_14default_configENS1_27scan_by_key_config_selectorIj11FixedVectorIiLj8EEEEZZNS1_16scan_by_key_implILNS1_25lookback_scan_determinismE0ELb0ES3_N6thrust23THRUST_200600_302600_NS6detail15normal_iteratorINSB_10device_ptrIjEEEENSD_INSE_IS6_EEEESI_S6_NSB_4plusIvEENSB_8equal_toIvEES6_EE10hipError_tPvRmT2_T3_T4_T5_mT6_T7_P12ihipStream_tbENKUlT_T0_E_clISt17integral_constantIbLb1EES13_EEDaSY_SZ_EUlSY_E_NS1_11comp_targetILNS1_3genE8ELNS1_11target_archE1030ELNS1_3gpuE2ELNS1_3repE0EEENS1_30default_config_static_selectorELNS0_4arch9wavefront6targetE1EEEvT1_
                                        ; -- End function
	.section	.AMDGPU.csdata,"",@progbits
; Kernel info:
; codeLenInByte = 0
; NumSgprs: 6
; NumVgprs: 0
; NumAgprs: 0
; TotalNumVgprs: 0
; ScratchSize: 0
; MemoryBound: 0
; FloatMode: 240
; IeeeMode: 1
; LDSByteSize: 0 bytes/workgroup (compile time only)
; SGPRBlocks: 0
; VGPRBlocks: 0
; NumSGPRsForWavesPerEU: 6
; NumVGPRsForWavesPerEU: 1
; AccumOffset: 4
; Occupancy: 8
; WaveLimiterHint : 0
; COMPUTE_PGM_RSRC2:SCRATCH_EN: 0
; COMPUTE_PGM_RSRC2:USER_SGPR: 2
; COMPUTE_PGM_RSRC2:TRAP_HANDLER: 0
; COMPUTE_PGM_RSRC2:TGID_X_EN: 1
; COMPUTE_PGM_RSRC2:TGID_Y_EN: 0
; COMPUTE_PGM_RSRC2:TGID_Z_EN: 0
; COMPUTE_PGM_RSRC2:TIDIG_COMP_CNT: 0
; COMPUTE_PGM_RSRC3_GFX90A:ACCUM_OFFSET: 0
; COMPUTE_PGM_RSRC3_GFX90A:TG_SPLIT: 0
	.section	.text._ZN7rocprim17ROCPRIM_400000_NS6detail30init_device_scan_by_key_kernelINS1_19lookback_scan_stateINS0_5tupleIJ11FixedVectorIiLj8EEbEEELb1ELb0EEEN6thrust23THRUST_200600_302600_NS6detail15normal_iteratorINSA_10device_ptrIjEEEEjNS1_16block_id_wrapperIjLb0EEEEEvT_jjPNSI_10value_typeET0_PNSt15iterator_traitsISL_E10value_typeEmT1_T2_,"axG",@progbits,_ZN7rocprim17ROCPRIM_400000_NS6detail30init_device_scan_by_key_kernelINS1_19lookback_scan_stateINS0_5tupleIJ11FixedVectorIiLj8EEbEEELb1ELb0EEEN6thrust23THRUST_200600_302600_NS6detail15normal_iteratorINSA_10device_ptrIjEEEEjNS1_16block_id_wrapperIjLb0EEEEEvT_jjPNSI_10value_typeET0_PNSt15iterator_traitsISL_E10value_typeEmT1_T2_,comdat
	.protected	_ZN7rocprim17ROCPRIM_400000_NS6detail30init_device_scan_by_key_kernelINS1_19lookback_scan_stateINS0_5tupleIJ11FixedVectorIiLj8EEbEEELb1ELb0EEEN6thrust23THRUST_200600_302600_NS6detail15normal_iteratorINSA_10device_ptrIjEEEEjNS1_16block_id_wrapperIjLb0EEEEEvT_jjPNSI_10value_typeET0_PNSt15iterator_traitsISL_E10value_typeEmT1_T2_ ; -- Begin function _ZN7rocprim17ROCPRIM_400000_NS6detail30init_device_scan_by_key_kernelINS1_19lookback_scan_stateINS0_5tupleIJ11FixedVectorIiLj8EEbEEELb1ELb0EEEN6thrust23THRUST_200600_302600_NS6detail15normal_iteratorINSA_10device_ptrIjEEEEjNS1_16block_id_wrapperIjLb0EEEEEvT_jjPNSI_10value_typeET0_PNSt15iterator_traitsISL_E10value_typeEmT1_T2_
	.globl	_ZN7rocprim17ROCPRIM_400000_NS6detail30init_device_scan_by_key_kernelINS1_19lookback_scan_stateINS0_5tupleIJ11FixedVectorIiLj8EEbEEELb1ELb0EEEN6thrust23THRUST_200600_302600_NS6detail15normal_iteratorINSA_10device_ptrIjEEEEjNS1_16block_id_wrapperIjLb0EEEEEvT_jjPNSI_10value_typeET0_PNSt15iterator_traitsISL_E10value_typeEmT1_T2_
	.p2align	8
	.type	_ZN7rocprim17ROCPRIM_400000_NS6detail30init_device_scan_by_key_kernelINS1_19lookback_scan_stateINS0_5tupleIJ11FixedVectorIiLj8EEbEEELb1ELb0EEEN6thrust23THRUST_200600_302600_NS6detail15normal_iteratorINSA_10device_ptrIjEEEEjNS1_16block_id_wrapperIjLb0EEEEEvT_jjPNSI_10value_typeET0_PNSt15iterator_traitsISL_E10value_typeEmT1_T2_,@function
_ZN7rocprim17ROCPRIM_400000_NS6detail30init_device_scan_by_key_kernelINS1_19lookback_scan_stateINS0_5tupleIJ11FixedVectorIiLj8EEbEEELb1ELb0EEEN6thrust23THRUST_200600_302600_NS6detail15normal_iteratorINSA_10device_ptrIjEEEEjNS1_16block_id_wrapperIjLb0EEEEEvT_jjPNSI_10value_typeET0_PNSt15iterator_traitsISL_E10value_typeEmT1_T2_: ; @_ZN7rocprim17ROCPRIM_400000_NS6detail30init_device_scan_by_key_kernelINS1_19lookback_scan_stateINS0_5tupleIJ11FixedVectorIiLj8EEbEEELb1ELb0EEEN6thrust23THRUST_200600_302600_NS6detail15normal_iteratorINSA_10device_ptrIjEEEEjNS1_16block_id_wrapperIjLb0EEEEEvT_jjPNSI_10value_typeET0_PNSt15iterator_traitsISL_E10value_typeEmT1_T2_
; %bb.0:
	s_load_dword s3, s[0:1], 0x54
	s_load_dwordx8 s[4:11], s[0:1], 0x10
	s_load_dword s18, s[0:1], 0x48
	s_waitcnt lgkmcnt(0)
	s_and_b32 s19, s3, 0xffff
	s_mul_i32 s2, s2, s19
	s_cmp_eq_u64 s[8:9], 0
	v_add_u32_e32 v0, s2, v0
	s_cbranch_scc1 .LBB2136_11
; %bb.1:
	s_cmp_lt_u32 s7, s6
	s_cselect_b32 s2, s7, 0
	v_cmp_eq_u32_e32 vcc, s2, v0
	s_and_saveexec_b64 s[2:3], vcc
	s_cbranch_execz .LBB2136_10
; %bb.2:
	s_add_i32 s7, s7, 64
	v_mov_b32_e32 v1, s7
	global_load_ubyte v1, v1, s[4:5] sc1
	s_load_dwordx4 s[12:15], s[0:1], 0x0
	s_add_u32 s16, s4, s7
	s_addc_u32 s17, s5, 0
	s_waitcnt vmcnt(0)
	v_cmp_ne_u16_e32 vcc, 0, v1
	v_readfirstlane_b32 s20, v1
	s_cbranch_vccz .LBB2136_4
; %bb.3:
	s_and_b32 s16, 0xffff, s20
	s_branch .LBB2136_9
.LBB2136_4:
	s_mov_b32 s20, 1
	v_mov_b32_e32 v1, 0
.LBB2136_5:                             ; =>This Loop Header: Depth=1
                                        ;     Child Loop BB2136_6 Depth 2
	s_max_u32 s21, s20, 1
.LBB2136_6:                             ;   Parent Loop BB2136_5 Depth=1
                                        ; =>  This Inner Loop Header: Depth=2
	s_add_i32 s21, s21, -1
	s_cmp_eq_u32 s21, 0
	s_sleep 1
	s_cbranch_scc0 .LBB2136_6
; %bb.7:                                ;   in Loop: Header=BB2136_5 Depth=1
	global_load_ubyte v2, v1, s[16:17] sc1
	s_cmp_lt_u32 s20, 32
	s_cselect_b64 s[22:23], -1, 0
	s_cmp_lg_u64 s[22:23], 0
	s_addc_u32 s20, s20, 0
	s_waitcnt vmcnt(0)
	v_cmp_ne_u16_e32 vcc, 0, v2
	v_readfirstlane_b32 s21, v2
	s_cbranch_vccz .LBB2136_5
; %bb.8:
	s_and_b32 s16, 0xffff, s21
.LBB2136_9:
	s_cmp_eq_u32 s16, 1
	s_waitcnt lgkmcnt(0)
	s_cselect_b32 s12, s12, s14
	s_mul_hi_u32 s14, s7, 36
	s_mul_i32 s7, s7, 36
	s_cselect_b32 s13, s13, s15
	s_add_u32 s12, s12, s7
	s_addc_u32 s13, s13, s14
	v_mov_b32_e32 v1, 0
	s_waitcnt vmcnt(0)
	global_load_dword v2, v1, s[12:13] sc1
	global_load_dword v3, v1, s[12:13] offset:4 sc1
	global_load_dword v4, v1, s[12:13] offset:8 sc1
	;; [unrolled: 1-line block ×8, first 2 shown]
	s_waitcnt vmcnt(5)
	global_store_dwordx4 v1, v[2:5], s[8:9]
	s_waitcnt vmcnt(2)
	global_store_dwordx4 v1, v[6:9], s[8:9] offset:16
	s_waitcnt vmcnt(2)
	global_store_byte v1, v10, s[8:9] offset:32
.LBB2136_10:
	s_or_b64 exec, exec, s[2:3]
.LBB2136_11:
	v_cmp_gt_u32_e32 vcc, s6, v0
	s_and_saveexec_b64 s[2:3], vcc
	s_cbranch_execz .LBB2136_13
; %bb.12:
	v_add_u32_e32 v1, 64, v0
	v_mov_b32_e32 v2, 0
	global_store_byte v1, v2, s[4:5]
.LBB2136_13:
	s_or_b64 exec, exec, s[2:3]
	v_cmp_gt_u32_e32 vcc, 64, v0
	v_mov_b32_e32 v1, 0
	s_and_saveexec_b64 s[2:3], vcc
	s_cbranch_execz .LBB2136_15
; %bb.14:
	v_lshl_add_u64 v[2:3], s[4:5], 0, v[0:1]
	v_mov_b32_e32 v4, 0xff
	global_store_byte v[2:3], v4, off
.LBB2136_15:
	s_or_b64 exec, exec, s[2:3]
	s_load_dwordx2 s[2:3], s[0:1], 0x38
	s_waitcnt lgkmcnt(0)
	v_cmp_gt_u64_e32 vcc, s[2:3], v[0:1]
	s_and_saveexec_b64 s[4:5], vcc
	s_cbranch_execz .LBB2136_18
; %bb.16:
	s_load_dword s12, s[0:1], 0x40
	s_load_dwordx2 s[6:7], s[0:1], 0x30
	s_mov_b32 s5, 0
	s_mov_b32 s1, s5
	s_mul_i32 s0, s18, s19
	s_waitcnt lgkmcnt(0)
	s_add_i32 s4, s12, -1
	s_lshl_b64 s[4:5], s[4:5], 2
	s_add_u32 s4, s10, s4
	v_mad_u64_u32 v[2:3], s[8:9], s12, v0, 0
	s_addc_u32 s5, s11, s5
	v_lshl_add_u64 v[2:3], v[2:3], 2, s[4:5]
	s_mul_hi_u32 s5, s12, s0
	s_mul_i32 s4, s12, s0
	s_lshl_b64 s[4:5], s[4:5], 2
	v_lshl_add_u64 v[4:5], v[0:1], 2, s[6:7]
	s_lshl_b64 s[6:7], s[0:1], 2
	s_mov_b64 s[8:9], 0
.LBB2136_17:                            ; =>This Inner Loop Header: Depth=1
	global_load_dword v6, v[2:3], off
	v_lshl_add_u64 v[0:1], v[0:1], 0, s[0:1]
	v_cmp_le_u64_e32 vcc, s[2:3], v[0:1]
	v_lshl_add_u64 v[2:3], v[2:3], 0, s[4:5]
	s_or_b64 s[8:9], vcc, s[8:9]
	s_waitcnt vmcnt(0)
	global_store_dword v[4:5], v6, off
	v_lshl_add_u64 v[4:5], v[4:5], 0, s[6:7]
	s_andn2_b64 exec, exec, s[8:9]
	s_cbranch_execnz .LBB2136_17
.LBB2136_18:
	s_endpgm
	.section	.rodata,"a",@progbits
	.p2align	6, 0x0
	.amdhsa_kernel _ZN7rocprim17ROCPRIM_400000_NS6detail30init_device_scan_by_key_kernelINS1_19lookback_scan_stateINS0_5tupleIJ11FixedVectorIiLj8EEbEEELb1ELb0EEEN6thrust23THRUST_200600_302600_NS6detail15normal_iteratorINSA_10device_ptrIjEEEEjNS1_16block_id_wrapperIjLb0EEEEEvT_jjPNSI_10value_typeET0_PNSt15iterator_traitsISL_E10value_typeEmT1_T2_
		.amdhsa_group_segment_fixed_size 0
		.amdhsa_private_segment_fixed_size 0
		.amdhsa_kernarg_size 328
		.amdhsa_user_sgpr_count 2
		.amdhsa_user_sgpr_dispatch_ptr 0
		.amdhsa_user_sgpr_queue_ptr 0
		.amdhsa_user_sgpr_kernarg_segment_ptr 1
		.amdhsa_user_sgpr_dispatch_id 0
		.amdhsa_user_sgpr_kernarg_preload_length 0
		.amdhsa_user_sgpr_kernarg_preload_offset 0
		.amdhsa_user_sgpr_private_segment_size 0
		.amdhsa_uses_dynamic_stack 0
		.amdhsa_enable_private_segment 0
		.amdhsa_system_sgpr_workgroup_id_x 1
		.amdhsa_system_sgpr_workgroup_id_y 0
		.amdhsa_system_sgpr_workgroup_id_z 0
		.amdhsa_system_sgpr_workgroup_info 0
		.amdhsa_system_vgpr_workitem_id 0
		.amdhsa_next_free_vgpr 11
		.amdhsa_next_free_sgpr 24
		.amdhsa_accum_offset 12
		.amdhsa_reserve_vcc 1
		.amdhsa_float_round_mode_32 0
		.amdhsa_float_round_mode_16_64 0
		.amdhsa_float_denorm_mode_32 3
		.amdhsa_float_denorm_mode_16_64 3
		.amdhsa_dx10_clamp 1
		.amdhsa_ieee_mode 1
		.amdhsa_fp16_overflow 0
		.amdhsa_tg_split 0
		.amdhsa_exception_fp_ieee_invalid_op 0
		.amdhsa_exception_fp_denorm_src 0
		.amdhsa_exception_fp_ieee_div_zero 0
		.amdhsa_exception_fp_ieee_overflow 0
		.amdhsa_exception_fp_ieee_underflow 0
		.amdhsa_exception_fp_ieee_inexact 0
		.amdhsa_exception_int_div_zero 0
	.end_amdhsa_kernel
	.section	.text._ZN7rocprim17ROCPRIM_400000_NS6detail30init_device_scan_by_key_kernelINS1_19lookback_scan_stateINS0_5tupleIJ11FixedVectorIiLj8EEbEEELb1ELb0EEEN6thrust23THRUST_200600_302600_NS6detail15normal_iteratorINSA_10device_ptrIjEEEEjNS1_16block_id_wrapperIjLb0EEEEEvT_jjPNSI_10value_typeET0_PNSt15iterator_traitsISL_E10value_typeEmT1_T2_,"axG",@progbits,_ZN7rocprim17ROCPRIM_400000_NS6detail30init_device_scan_by_key_kernelINS1_19lookback_scan_stateINS0_5tupleIJ11FixedVectorIiLj8EEbEEELb1ELb0EEEN6thrust23THRUST_200600_302600_NS6detail15normal_iteratorINSA_10device_ptrIjEEEEjNS1_16block_id_wrapperIjLb0EEEEEvT_jjPNSI_10value_typeET0_PNSt15iterator_traitsISL_E10value_typeEmT1_T2_,comdat
.Lfunc_end2136:
	.size	_ZN7rocprim17ROCPRIM_400000_NS6detail30init_device_scan_by_key_kernelINS1_19lookback_scan_stateINS0_5tupleIJ11FixedVectorIiLj8EEbEEELb1ELb0EEEN6thrust23THRUST_200600_302600_NS6detail15normal_iteratorINSA_10device_ptrIjEEEEjNS1_16block_id_wrapperIjLb0EEEEEvT_jjPNSI_10value_typeET0_PNSt15iterator_traitsISL_E10value_typeEmT1_T2_, .Lfunc_end2136-_ZN7rocprim17ROCPRIM_400000_NS6detail30init_device_scan_by_key_kernelINS1_19lookback_scan_stateINS0_5tupleIJ11FixedVectorIiLj8EEbEEELb1ELb0EEEN6thrust23THRUST_200600_302600_NS6detail15normal_iteratorINSA_10device_ptrIjEEEEjNS1_16block_id_wrapperIjLb0EEEEEvT_jjPNSI_10value_typeET0_PNSt15iterator_traitsISL_E10value_typeEmT1_T2_
                                        ; -- End function
	.section	.AMDGPU.csdata,"",@progbits
; Kernel info:
; codeLenInByte = 616
; NumSgprs: 30
; NumVgprs: 11
; NumAgprs: 0
; TotalNumVgprs: 11
; ScratchSize: 0
; MemoryBound: 0
; FloatMode: 240
; IeeeMode: 1
; LDSByteSize: 0 bytes/workgroup (compile time only)
; SGPRBlocks: 3
; VGPRBlocks: 1
; NumSGPRsForWavesPerEU: 30
; NumVGPRsForWavesPerEU: 11
; AccumOffset: 12
; Occupancy: 8
; WaveLimiterHint : 0
; COMPUTE_PGM_RSRC2:SCRATCH_EN: 0
; COMPUTE_PGM_RSRC2:USER_SGPR: 2
; COMPUTE_PGM_RSRC2:TRAP_HANDLER: 0
; COMPUTE_PGM_RSRC2:TGID_X_EN: 1
; COMPUTE_PGM_RSRC2:TGID_Y_EN: 0
; COMPUTE_PGM_RSRC2:TGID_Z_EN: 0
; COMPUTE_PGM_RSRC2:TIDIG_COMP_CNT: 0
; COMPUTE_PGM_RSRC3_GFX90A:ACCUM_OFFSET: 2
; COMPUTE_PGM_RSRC3_GFX90A:TG_SPLIT: 0
	.section	.text._ZN7rocprim17ROCPRIM_400000_NS6detail30init_device_scan_by_key_kernelINS1_19lookback_scan_stateINS0_5tupleIJ11FixedVectorIiLj8EEbEEELb1ELb0EEENS1_16block_id_wrapperIjLb0EEEEEvT_jjPNSB_10value_typeET0_,"axG",@progbits,_ZN7rocprim17ROCPRIM_400000_NS6detail30init_device_scan_by_key_kernelINS1_19lookback_scan_stateINS0_5tupleIJ11FixedVectorIiLj8EEbEEELb1ELb0EEENS1_16block_id_wrapperIjLb0EEEEEvT_jjPNSB_10value_typeET0_,comdat
	.protected	_ZN7rocprim17ROCPRIM_400000_NS6detail30init_device_scan_by_key_kernelINS1_19lookback_scan_stateINS0_5tupleIJ11FixedVectorIiLj8EEbEEELb1ELb0EEENS1_16block_id_wrapperIjLb0EEEEEvT_jjPNSB_10value_typeET0_ ; -- Begin function _ZN7rocprim17ROCPRIM_400000_NS6detail30init_device_scan_by_key_kernelINS1_19lookback_scan_stateINS0_5tupleIJ11FixedVectorIiLj8EEbEEELb1ELb0EEENS1_16block_id_wrapperIjLb0EEEEEvT_jjPNSB_10value_typeET0_
	.globl	_ZN7rocprim17ROCPRIM_400000_NS6detail30init_device_scan_by_key_kernelINS1_19lookback_scan_stateINS0_5tupleIJ11FixedVectorIiLj8EEbEEELb1ELb0EEENS1_16block_id_wrapperIjLb0EEEEEvT_jjPNSB_10value_typeET0_
	.p2align	8
	.type	_ZN7rocprim17ROCPRIM_400000_NS6detail30init_device_scan_by_key_kernelINS1_19lookback_scan_stateINS0_5tupleIJ11FixedVectorIiLj8EEbEEELb1ELb0EEENS1_16block_id_wrapperIjLb0EEEEEvT_jjPNSB_10value_typeET0_,@function
_ZN7rocprim17ROCPRIM_400000_NS6detail30init_device_scan_by_key_kernelINS1_19lookback_scan_stateINS0_5tupleIJ11FixedVectorIiLj8EEbEEELb1ELb0EEENS1_16block_id_wrapperIjLb0EEEEEvT_jjPNSB_10value_typeET0_: ; @_ZN7rocprim17ROCPRIM_400000_NS6detail30init_device_scan_by_key_kernelINS1_19lookback_scan_stateINS0_5tupleIJ11FixedVectorIiLj8EEbEEELb1ELb0EEENS1_16block_id_wrapperIjLb0EEEEEvT_jjPNSB_10value_typeET0_
; %bb.0:
	s_load_dword s3, s[0:1], 0x3c
	s_load_dwordx2 s[8:9], s[0:1], 0x20
	s_load_dwordx4 s[4:7], s[0:1], 0x10
	s_waitcnt lgkmcnt(0)
	s_and_b32 s3, s3, 0xffff
	s_mul_i32 s2, s2, s3
	s_cmp_eq_u64 s[8:9], 0
	v_add_u32_e32 v0, s2, v0
	s_cbranch_scc1 .LBB2137_11
; %bb.1:
	s_cmp_lt_u32 s7, s6
	s_cselect_b32 s2, s7, 0
	v_cmp_eq_u32_e32 vcc, s2, v0
	s_and_saveexec_b64 s[10:11], vcc
	s_cbranch_execz .LBB2137_10
; %bb.2:
	s_add_i32 s7, s7, 64
	v_mov_b32_e32 v1, s7
	global_load_ubyte v1, v1, s[4:5] sc1
	s_load_dwordx4 s[0:3], s[0:1], 0x0
	s_add_u32 s12, s4, s7
	s_addc_u32 s13, s5, 0
	s_waitcnt vmcnt(0)
	v_cmp_ne_u16_e32 vcc, 0, v1
	v_readfirstlane_b32 s14, v1
	s_cbranch_vccz .LBB2137_4
; %bb.3:
	s_and_b32 s12, 0xffff, s14
	s_branch .LBB2137_9
.LBB2137_4:
	s_mov_b32 s14, 1
	v_mov_b32_e32 v1, 0
.LBB2137_5:                             ; =>This Loop Header: Depth=1
                                        ;     Child Loop BB2137_6 Depth 2
	s_max_u32 s15, s14, 1
.LBB2137_6:                             ;   Parent Loop BB2137_5 Depth=1
                                        ; =>  This Inner Loop Header: Depth=2
	s_add_i32 s15, s15, -1
	s_cmp_eq_u32 s15, 0
	s_sleep 1
	s_cbranch_scc0 .LBB2137_6
; %bb.7:                                ;   in Loop: Header=BB2137_5 Depth=1
	global_load_ubyte v2, v1, s[12:13] sc1
	s_cmp_lt_u32 s14, 32
	s_cselect_b64 s[16:17], -1, 0
	s_cmp_lg_u64 s[16:17], 0
	s_addc_u32 s14, s14, 0
	s_waitcnt vmcnt(0)
	v_cmp_ne_u16_e32 vcc, 0, v2
	v_readfirstlane_b32 s15, v2
	s_cbranch_vccz .LBB2137_5
; %bb.8:
	s_and_b32 s12, 0xffff, s15
.LBB2137_9:
	s_cmp_eq_u32 s12, 1
	s_waitcnt lgkmcnt(0)
	s_cselect_b32 s1, s1, s3
	s_cselect_b32 s0, s0, s2
	s_mul_i32 s3, s7, 36
	s_mul_hi_u32 s2, s7, 36
	s_add_u32 s0, s0, s3
	s_addc_u32 s1, s1, s2
	v_mov_b32_e32 v1, 0
	s_waitcnt vmcnt(0)
	global_load_dword v2, v1, s[0:1] sc1
	global_load_dword v3, v1, s[0:1] offset:4 sc1
	global_load_dword v4, v1, s[0:1] offset:8 sc1
	;; [unrolled: 1-line block ×8, first 2 shown]
	s_waitcnt vmcnt(5)
	global_store_dwordx4 v1, v[2:5], s[8:9]
	s_waitcnt vmcnt(2)
	global_store_dwordx4 v1, v[6:9], s[8:9] offset:16
	s_waitcnt vmcnt(2)
	global_store_byte v1, v10, s[8:9] offset:32
.LBB2137_10:
	s_or_b64 exec, exec, s[10:11]
.LBB2137_11:
	v_cmp_gt_u32_e32 vcc, s6, v0
	s_and_saveexec_b64 s[0:1], vcc
	s_cbranch_execnz .LBB2137_14
; %bb.12:
	s_or_b64 exec, exec, s[0:1]
	v_cmp_gt_u32_e32 vcc, 64, v0
	s_and_saveexec_b64 s[0:1], vcc
	s_cbranch_execnz .LBB2137_15
.LBB2137_13:
	s_endpgm
.LBB2137_14:
	v_add_u32_e32 v1, 64, v0
	v_mov_b32_e32 v2, 0
	global_store_byte v1, v2, s[4:5]
	s_or_b64 exec, exec, s[0:1]
	v_cmp_gt_u32_e32 vcc, 64, v0
	s_and_saveexec_b64 s[0:1], vcc
	s_cbranch_execz .LBB2137_13
.LBB2137_15:
	v_mov_b32_e32 v1, 0xff
	global_store_byte v0, v1, s[4:5]
	s_endpgm
	.section	.rodata,"a",@progbits
	.p2align	6, 0x0
	.amdhsa_kernel _ZN7rocprim17ROCPRIM_400000_NS6detail30init_device_scan_by_key_kernelINS1_19lookback_scan_stateINS0_5tupleIJ11FixedVectorIiLj8EEbEEELb1ELb0EEENS1_16block_id_wrapperIjLb0EEEEEvT_jjPNSB_10value_typeET0_
		.amdhsa_group_segment_fixed_size 0
		.amdhsa_private_segment_fixed_size 0
		.amdhsa_kernarg_size 304
		.amdhsa_user_sgpr_count 2
		.amdhsa_user_sgpr_dispatch_ptr 0
		.amdhsa_user_sgpr_queue_ptr 0
		.amdhsa_user_sgpr_kernarg_segment_ptr 1
		.amdhsa_user_sgpr_dispatch_id 0
		.amdhsa_user_sgpr_kernarg_preload_length 0
		.amdhsa_user_sgpr_kernarg_preload_offset 0
		.amdhsa_user_sgpr_private_segment_size 0
		.amdhsa_uses_dynamic_stack 0
		.amdhsa_enable_private_segment 0
		.amdhsa_system_sgpr_workgroup_id_x 1
		.amdhsa_system_sgpr_workgroup_id_y 0
		.amdhsa_system_sgpr_workgroup_id_z 0
		.amdhsa_system_sgpr_workgroup_info 0
		.amdhsa_system_vgpr_workitem_id 0
		.amdhsa_next_free_vgpr 11
		.amdhsa_next_free_sgpr 18
		.amdhsa_accum_offset 12
		.amdhsa_reserve_vcc 1
		.amdhsa_float_round_mode_32 0
		.amdhsa_float_round_mode_16_64 0
		.amdhsa_float_denorm_mode_32 3
		.amdhsa_float_denorm_mode_16_64 3
		.amdhsa_dx10_clamp 1
		.amdhsa_ieee_mode 1
		.amdhsa_fp16_overflow 0
		.amdhsa_tg_split 0
		.amdhsa_exception_fp_ieee_invalid_op 0
		.amdhsa_exception_fp_denorm_src 0
		.amdhsa_exception_fp_ieee_div_zero 0
		.amdhsa_exception_fp_ieee_overflow 0
		.amdhsa_exception_fp_ieee_underflow 0
		.amdhsa_exception_fp_ieee_inexact 0
		.amdhsa_exception_int_div_zero 0
	.end_amdhsa_kernel
	.section	.text._ZN7rocprim17ROCPRIM_400000_NS6detail30init_device_scan_by_key_kernelINS1_19lookback_scan_stateINS0_5tupleIJ11FixedVectorIiLj8EEbEEELb1ELb0EEENS1_16block_id_wrapperIjLb0EEEEEvT_jjPNSB_10value_typeET0_,"axG",@progbits,_ZN7rocprim17ROCPRIM_400000_NS6detail30init_device_scan_by_key_kernelINS1_19lookback_scan_stateINS0_5tupleIJ11FixedVectorIiLj8EEbEEELb1ELb0EEENS1_16block_id_wrapperIjLb0EEEEEvT_jjPNSB_10value_typeET0_,comdat
.Lfunc_end2137:
	.size	_ZN7rocprim17ROCPRIM_400000_NS6detail30init_device_scan_by_key_kernelINS1_19lookback_scan_stateINS0_5tupleIJ11FixedVectorIiLj8EEbEEELb1ELb0EEENS1_16block_id_wrapperIjLb0EEEEEvT_jjPNSB_10value_typeET0_, .Lfunc_end2137-_ZN7rocprim17ROCPRIM_400000_NS6detail30init_device_scan_by_key_kernelINS1_19lookback_scan_stateINS0_5tupleIJ11FixedVectorIiLj8EEbEEELb1ELb0EEENS1_16block_id_wrapperIjLb0EEEEEvT_jjPNSB_10value_typeET0_
                                        ; -- End function
	.section	.AMDGPU.csdata,"",@progbits
; Kernel info:
; codeLenInByte = 444
; NumSgprs: 24
; NumVgprs: 11
; NumAgprs: 0
; TotalNumVgprs: 11
; ScratchSize: 0
; MemoryBound: 0
; FloatMode: 240
; IeeeMode: 1
; LDSByteSize: 0 bytes/workgroup (compile time only)
; SGPRBlocks: 2
; VGPRBlocks: 1
; NumSGPRsForWavesPerEU: 24
; NumVGPRsForWavesPerEU: 11
; AccumOffset: 12
; Occupancy: 8
; WaveLimiterHint : 0
; COMPUTE_PGM_RSRC2:SCRATCH_EN: 0
; COMPUTE_PGM_RSRC2:USER_SGPR: 2
; COMPUTE_PGM_RSRC2:TRAP_HANDLER: 0
; COMPUTE_PGM_RSRC2:TGID_X_EN: 1
; COMPUTE_PGM_RSRC2:TGID_Y_EN: 0
; COMPUTE_PGM_RSRC2:TGID_Z_EN: 0
; COMPUTE_PGM_RSRC2:TIDIG_COMP_CNT: 0
; COMPUTE_PGM_RSRC3_GFX90A:ACCUM_OFFSET: 2
; COMPUTE_PGM_RSRC3_GFX90A:TG_SPLIT: 0
	.section	.text._ZN7rocprim17ROCPRIM_400000_NS6detail17trampoline_kernelINS0_14default_configENS1_27scan_by_key_config_selectorIj11FixedVectorIiLj8EEEEZZNS1_16scan_by_key_implILNS1_25lookback_scan_determinismE0ELb0ES3_N6thrust23THRUST_200600_302600_NS6detail15normal_iteratorINSB_10device_ptrIjEEEENSD_INSE_IS6_EEEESI_S6_NSB_4plusIvEENSB_8equal_toIvEES6_EE10hipError_tPvRmT2_T3_T4_T5_mT6_T7_P12ihipStream_tbENKUlT_T0_E_clISt17integral_constantIbLb1EES12_IbLb0EEEEDaSY_SZ_EUlSY_E_NS1_11comp_targetILNS1_3genE0ELNS1_11target_archE4294967295ELNS1_3gpuE0ELNS1_3repE0EEENS1_30default_config_static_selectorELNS0_4arch9wavefront6targetE1EEEvT1_,"axG",@progbits,_ZN7rocprim17ROCPRIM_400000_NS6detail17trampoline_kernelINS0_14default_configENS1_27scan_by_key_config_selectorIj11FixedVectorIiLj8EEEEZZNS1_16scan_by_key_implILNS1_25lookback_scan_determinismE0ELb0ES3_N6thrust23THRUST_200600_302600_NS6detail15normal_iteratorINSB_10device_ptrIjEEEENSD_INSE_IS6_EEEESI_S6_NSB_4plusIvEENSB_8equal_toIvEES6_EE10hipError_tPvRmT2_T3_T4_T5_mT6_T7_P12ihipStream_tbENKUlT_T0_E_clISt17integral_constantIbLb1EES12_IbLb0EEEEDaSY_SZ_EUlSY_E_NS1_11comp_targetILNS1_3genE0ELNS1_11target_archE4294967295ELNS1_3gpuE0ELNS1_3repE0EEENS1_30default_config_static_selectorELNS0_4arch9wavefront6targetE1EEEvT1_,comdat
	.protected	_ZN7rocprim17ROCPRIM_400000_NS6detail17trampoline_kernelINS0_14default_configENS1_27scan_by_key_config_selectorIj11FixedVectorIiLj8EEEEZZNS1_16scan_by_key_implILNS1_25lookback_scan_determinismE0ELb0ES3_N6thrust23THRUST_200600_302600_NS6detail15normal_iteratorINSB_10device_ptrIjEEEENSD_INSE_IS6_EEEESI_S6_NSB_4plusIvEENSB_8equal_toIvEES6_EE10hipError_tPvRmT2_T3_T4_T5_mT6_T7_P12ihipStream_tbENKUlT_T0_E_clISt17integral_constantIbLb1EES12_IbLb0EEEEDaSY_SZ_EUlSY_E_NS1_11comp_targetILNS1_3genE0ELNS1_11target_archE4294967295ELNS1_3gpuE0ELNS1_3repE0EEENS1_30default_config_static_selectorELNS0_4arch9wavefront6targetE1EEEvT1_ ; -- Begin function _ZN7rocprim17ROCPRIM_400000_NS6detail17trampoline_kernelINS0_14default_configENS1_27scan_by_key_config_selectorIj11FixedVectorIiLj8EEEEZZNS1_16scan_by_key_implILNS1_25lookback_scan_determinismE0ELb0ES3_N6thrust23THRUST_200600_302600_NS6detail15normal_iteratorINSB_10device_ptrIjEEEENSD_INSE_IS6_EEEESI_S6_NSB_4plusIvEENSB_8equal_toIvEES6_EE10hipError_tPvRmT2_T3_T4_T5_mT6_T7_P12ihipStream_tbENKUlT_T0_E_clISt17integral_constantIbLb1EES12_IbLb0EEEEDaSY_SZ_EUlSY_E_NS1_11comp_targetILNS1_3genE0ELNS1_11target_archE4294967295ELNS1_3gpuE0ELNS1_3repE0EEENS1_30default_config_static_selectorELNS0_4arch9wavefront6targetE1EEEvT1_
	.globl	_ZN7rocprim17ROCPRIM_400000_NS6detail17trampoline_kernelINS0_14default_configENS1_27scan_by_key_config_selectorIj11FixedVectorIiLj8EEEEZZNS1_16scan_by_key_implILNS1_25lookback_scan_determinismE0ELb0ES3_N6thrust23THRUST_200600_302600_NS6detail15normal_iteratorINSB_10device_ptrIjEEEENSD_INSE_IS6_EEEESI_S6_NSB_4plusIvEENSB_8equal_toIvEES6_EE10hipError_tPvRmT2_T3_T4_T5_mT6_T7_P12ihipStream_tbENKUlT_T0_E_clISt17integral_constantIbLb1EES12_IbLb0EEEEDaSY_SZ_EUlSY_E_NS1_11comp_targetILNS1_3genE0ELNS1_11target_archE4294967295ELNS1_3gpuE0ELNS1_3repE0EEENS1_30default_config_static_selectorELNS0_4arch9wavefront6targetE1EEEvT1_
	.p2align	8
	.type	_ZN7rocprim17ROCPRIM_400000_NS6detail17trampoline_kernelINS0_14default_configENS1_27scan_by_key_config_selectorIj11FixedVectorIiLj8EEEEZZNS1_16scan_by_key_implILNS1_25lookback_scan_determinismE0ELb0ES3_N6thrust23THRUST_200600_302600_NS6detail15normal_iteratorINSB_10device_ptrIjEEEENSD_INSE_IS6_EEEESI_S6_NSB_4plusIvEENSB_8equal_toIvEES6_EE10hipError_tPvRmT2_T3_T4_T5_mT6_T7_P12ihipStream_tbENKUlT_T0_E_clISt17integral_constantIbLb1EES12_IbLb0EEEEDaSY_SZ_EUlSY_E_NS1_11comp_targetILNS1_3genE0ELNS1_11target_archE4294967295ELNS1_3gpuE0ELNS1_3repE0EEENS1_30default_config_static_selectorELNS0_4arch9wavefront6targetE1EEEvT1_,@function
_ZN7rocprim17ROCPRIM_400000_NS6detail17trampoline_kernelINS0_14default_configENS1_27scan_by_key_config_selectorIj11FixedVectorIiLj8EEEEZZNS1_16scan_by_key_implILNS1_25lookback_scan_determinismE0ELb0ES3_N6thrust23THRUST_200600_302600_NS6detail15normal_iteratorINSB_10device_ptrIjEEEENSD_INSE_IS6_EEEESI_S6_NSB_4plusIvEENSB_8equal_toIvEES6_EE10hipError_tPvRmT2_T3_T4_T5_mT6_T7_P12ihipStream_tbENKUlT_T0_E_clISt17integral_constantIbLb1EES12_IbLb0EEEEDaSY_SZ_EUlSY_E_NS1_11comp_targetILNS1_3genE0ELNS1_11target_archE4294967295ELNS1_3gpuE0ELNS1_3repE0EEENS1_30default_config_static_selectorELNS0_4arch9wavefront6targetE1EEEvT1_: ; @_ZN7rocprim17ROCPRIM_400000_NS6detail17trampoline_kernelINS0_14default_configENS1_27scan_by_key_config_selectorIj11FixedVectorIiLj8EEEEZZNS1_16scan_by_key_implILNS1_25lookback_scan_determinismE0ELb0ES3_N6thrust23THRUST_200600_302600_NS6detail15normal_iteratorINSB_10device_ptrIjEEEENSD_INSE_IS6_EEEESI_S6_NSB_4plusIvEENSB_8equal_toIvEES6_EE10hipError_tPvRmT2_T3_T4_T5_mT6_T7_P12ihipStream_tbENKUlT_T0_E_clISt17integral_constantIbLb1EES12_IbLb0EEEEDaSY_SZ_EUlSY_E_NS1_11comp_targetILNS1_3genE0ELNS1_11target_archE4294967295ELNS1_3gpuE0ELNS1_3repE0EEENS1_30default_config_static_selectorELNS0_4arch9wavefront6targetE1EEEvT1_
; %bb.0:
	.section	.rodata,"a",@progbits
	.p2align	6, 0x0
	.amdhsa_kernel _ZN7rocprim17ROCPRIM_400000_NS6detail17trampoline_kernelINS0_14default_configENS1_27scan_by_key_config_selectorIj11FixedVectorIiLj8EEEEZZNS1_16scan_by_key_implILNS1_25lookback_scan_determinismE0ELb0ES3_N6thrust23THRUST_200600_302600_NS6detail15normal_iteratorINSB_10device_ptrIjEEEENSD_INSE_IS6_EEEESI_S6_NSB_4plusIvEENSB_8equal_toIvEES6_EE10hipError_tPvRmT2_T3_T4_T5_mT6_T7_P12ihipStream_tbENKUlT_T0_E_clISt17integral_constantIbLb1EES12_IbLb0EEEEDaSY_SZ_EUlSY_E_NS1_11comp_targetILNS1_3genE0ELNS1_11target_archE4294967295ELNS1_3gpuE0ELNS1_3repE0EEENS1_30default_config_static_selectorELNS0_4arch9wavefront6targetE1EEEvT1_
		.amdhsa_group_segment_fixed_size 0
		.amdhsa_private_segment_fixed_size 0
		.amdhsa_kernarg_size 160
		.amdhsa_user_sgpr_count 2
		.amdhsa_user_sgpr_dispatch_ptr 0
		.amdhsa_user_sgpr_queue_ptr 0
		.amdhsa_user_sgpr_kernarg_segment_ptr 1
		.amdhsa_user_sgpr_dispatch_id 0
		.amdhsa_user_sgpr_kernarg_preload_length 0
		.amdhsa_user_sgpr_kernarg_preload_offset 0
		.amdhsa_user_sgpr_private_segment_size 0
		.amdhsa_uses_dynamic_stack 0
		.amdhsa_enable_private_segment 0
		.amdhsa_system_sgpr_workgroup_id_x 1
		.amdhsa_system_sgpr_workgroup_id_y 0
		.amdhsa_system_sgpr_workgroup_id_z 0
		.amdhsa_system_sgpr_workgroup_info 0
		.amdhsa_system_vgpr_workitem_id 0
		.amdhsa_next_free_vgpr 1
		.amdhsa_next_free_sgpr 0
		.amdhsa_accum_offset 4
		.amdhsa_reserve_vcc 0
		.amdhsa_float_round_mode_32 0
		.amdhsa_float_round_mode_16_64 0
		.amdhsa_float_denorm_mode_32 3
		.amdhsa_float_denorm_mode_16_64 3
		.amdhsa_dx10_clamp 1
		.amdhsa_ieee_mode 1
		.amdhsa_fp16_overflow 0
		.amdhsa_tg_split 0
		.amdhsa_exception_fp_ieee_invalid_op 0
		.amdhsa_exception_fp_denorm_src 0
		.amdhsa_exception_fp_ieee_div_zero 0
		.amdhsa_exception_fp_ieee_overflow 0
		.amdhsa_exception_fp_ieee_underflow 0
		.amdhsa_exception_fp_ieee_inexact 0
		.amdhsa_exception_int_div_zero 0
	.end_amdhsa_kernel
	.section	.text._ZN7rocprim17ROCPRIM_400000_NS6detail17trampoline_kernelINS0_14default_configENS1_27scan_by_key_config_selectorIj11FixedVectorIiLj8EEEEZZNS1_16scan_by_key_implILNS1_25lookback_scan_determinismE0ELb0ES3_N6thrust23THRUST_200600_302600_NS6detail15normal_iteratorINSB_10device_ptrIjEEEENSD_INSE_IS6_EEEESI_S6_NSB_4plusIvEENSB_8equal_toIvEES6_EE10hipError_tPvRmT2_T3_T4_T5_mT6_T7_P12ihipStream_tbENKUlT_T0_E_clISt17integral_constantIbLb1EES12_IbLb0EEEEDaSY_SZ_EUlSY_E_NS1_11comp_targetILNS1_3genE0ELNS1_11target_archE4294967295ELNS1_3gpuE0ELNS1_3repE0EEENS1_30default_config_static_selectorELNS0_4arch9wavefront6targetE1EEEvT1_,"axG",@progbits,_ZN7rocprim17ROCPRIM_400000_NS6detail17trampoline_kernelINS0_14default_configENS1_27scan_by_key_config_selectorIj11FixedVectorIiLj8EEEEZZNS1_16scan_by_key_implILNS1_25lookback_scan_determinismE0ELb0ES3_N6thrust23THRUST_200600_302600_NS6detail15normal_iteratorINSB_10device_ptrIjEEEENSD_INSE_IS6_EEEESI_S6_NSB_4plusIvEENSB_8equal_toIvEES6_EE10hipError_tPvRmT2_T3_T4_T5_mT6_T7_P12ihipStream_tbENKUlT_T0_E_clISt17integral_constantIbLb1EES12_IbLb0EEEEDaSY_SZ_EUlSY_E_NS1_11comp_targetILNS1_3genE0ELNS1_11target_archE4294967295ELNS1_3gpuE0ELNS1_3repE0EEENS1_30default_config_static_selectorELNS0_4arch9wavefront6targetE1EEEvT1_,comdat
.Lfunc_end2138:
	.size	_ZN7rocprim17ROCPRIM_400000_NS6detail17trampoline_kernelINS0_14default_configENS1_27scan_by_key_config_selectorIj11FixedVectorIiLj8EEEEZZNS1_16scan_by_key_implILNS1_25lookback_scan_determinismE0ELb0ES3_N6thrust23THRUST_200600_302600_NS6detail15normal_iteratorINSB_10device_ptrIjEEEENSD_INSE_IS6_EEEESI_S6_NSB_4plusIvEENSB_8equal_toIvEES6_EE10hipError_tPvRmT2_T3_T4_T5_mT6_T7_P12ihipStream_tbENKUlT_T0_E_clISt17integral_constantIbLb1EES12_IbLb0EEEEDaSY_SZ_EUlSY_E_NS1_11comp_targetILNS1_3genE0ELNS1_11target_archE4294967295ELNS1_3gpuE0ELNS1_3repE0EEENS1_30default_config_static_selectorELNS0_4arch9wavefront6targetE1EEEvT1_, .Lfunc_end2138-_ZN7rocprim17ROCPRIM_400000_NS6detail17trampoline_kernelINS0_14default_configENS1_27scan_by_key_config_selectorIj11FixedVectorIiLj8EEEEZZNS1_16scan_by_key_implILNS1_25lookback_scan_determinismE0ELb0ES3_N6thrust23THRUST_200600_302600_NS6detail15normal_iteratorINSB_10device_ptrIjEEEENSD_INSE_IS6_EEEESI_S6_NSB_4plusIvEENSB_8equal_toIvEES6_EE10hipError_tPvRmT2_T3_T4_T5_mT6_T7_P12ihipStream_tbENKUlT_T0_E_clISt17integral_constantIbLb1EES12_IbLb0EEEEDaSY_SZ_EUlSY_E_NS1_11comp_targetILNS1_3genE0ELNS1_11target_archE4294967295ELNS1_3gpuE0ELNS1_3repE0EEENS1_30default_config_static_selectorELNS0_4arch9wavefront6targetE1EEEvT1_
                                        ; -- End function
	.section	.AMDGPU.csdata,"",@progbits
; Kernel info:
; codeLenInByte = 0
; NumSgprs: 6
; NumVgprs: 0
; NumAgprs: 0
; TotalNumVgprs: 0
; ScratchSize: 0
; MemoryBound: 0
; FloatMode: 240
; IeeeMode: 1
; LDSByteSize: 0 bytes/workgroup (compile time only)
; SGPRBlocks: 0
; VGPRBlocks: 0
; NumSGPRsForWavesPerEU: 6
; NumVGPRsForWavesPerEU: 1
; AccumOffset: 4
; Occupancy: 8
; WaveLimiterHint : 0
; COMPUTE_PGM_RSRC2:SCRATCH_EN: 0
; COMPUTE_PGM_RSRC2:USER_SGPR: 2
; COMPUTE_PGM_RSRC2:TRAP_HANDLER: 0
; COMPUTE_PGM_RSRC2:TGID_X_EN: 1
; COMPUTE_PGM_RSRC2:TGID_Y_EN: 0
; COMPUTE_PGM_RSRC2:TGID_Z_EN: 0
; COMPUTE_PGM_RSRC2:TIDIG_COMP_CNT: 0
; COMPUTE_PGM_RSRC3_GFX90A:ACCUM_OFFSET: 0
; COMPUTE_PGM_RSRC3_GFX90A:TG_SPLIT: 0
	.section	.text._ZN7rocprim17ROCPRIM_400000_NS6detail17trampoline_kernelINS0_14default_configENS1_27scan_by_key_config_selectorIj11FixedVectorIiLj8EEEEZZNS1_16scan_by_key_implILNS1_25lookback_scan_determinismE0ELb0ES3_N6thrust23THRUST_200600_302600_NS6detail15normal_iteratorINSB_10device_ptrIjEEEENSD_INSE_IS6_EEEESI_S6_NSB_4plusIvEENSB_8equal_toIvEES6_EE10hipError_tPvRmT2_T3_T4_T5_mT6_T7_P12ihipStream_tbENKUlT_T0_E_clISt17integral_constantIbLb1EES12_IbLb0EEEEDaSY_SZ_EUlSY_E_NS1_11comp_targetILNS1_3genE10ELNS1_11target_archE1201ELNS1_3gpuE5ELNS1_3repE0EEENS1_30default_config_static_selectorELNS0_4arch9wavefront6targetE1EEEvT1_,"axG",@progbits,_ZN7rocprim17ROCPRIM_400000_NS6detail17trampoline_kernelINS0_14default_configENS1_27scan_by_key_config_selectorIj11FixedVectorIiLj8EEEEZZNS1_16scan_by_key_implILNS1_25lookback_scan_determinismE0ELb0ES3_N6thrust23THRUST_200600_302600_NS6detail15normal_iteratorINSB_10device_ptrIjEEEENSD_INSE_IS6_EEEESI_S6_NSB_4plusIvEENSB_8equal_toIvEES6_EE10hipError_tPvRmT2_T3_T4_T5_mT6_T7_P12ihipStream_tbENKUlT_T0_E_clISt17integral_constantIbLb1EES12_IbLb0EEEEDaSY_SZ_EUlSY_E_NS1_11comp_targetILNS1_3genE10ELNS1_11target_archE1201ELNS1_3gpuE5ELNS1_3repE0EEENS1_30default_config_static_selectorELNS0_4arch9wavefront6targetE1EEEvT1_,comdat
	.protected	_ZN7rocprim17ROCPRIM_400000_NS6detail17trampoline_kernelINS0_14default_configENS1_27scan_by_key_config_selectorIj11FixedVectorIiLj8EEEEZZNS1_16scan_by_key_implILNS1_25lookback_scan_determinismE0ELb0ES3_N6thrust23THRUST_200600_302600_NS6detail15normal_iteratorINSB_10device_ptrIjEEEENSD_INSE_IS6_EEEESI_S6_NSB_4plusIvEENSB_8equal_toIvEES6_EE10hipError_tPvRmT2_T3_T4_T5_mT6_T7_P12ihipStream_tbENKUlT_T0_E_clISt17integral_constantIbLb1EES12_IbLb0EEEEDaSY_SZ_EUlSY_E_NS1_11comp_targetILNS1_3genE10ELNS1_11target_archE1201ELNS1_3gpuE5ELNS1_3repE0EEENS1_30default_config_static_selectorELNS0_4arch9wavefront6targetE1EEEvT1_ ; -- Begin function _ZN7rocprim17ROCPRIM_400000_NS6detail17trampoline_kernelINS0_14default_configENS1_27scan_by_key_config_selectorIj11FixedVectorIiLj8EEEEZZNS1_16scan_by_key_implILNS1_25lookback_scan_determinismE0ELb0ES3_N6thrust23THRUST_200600_302600_NS6detail15normal_iteratorINSB_10device_ptrIjEEEENSD_INSE_IS6_EEEESI_S6_NSB_4plusIvEENSB_8equal_toIvEES6_EE10hipError_tPvRmT2_T3_T4_T5_mT6_T7_P12ihipStream_tbENKUlT_T0_E_clISt17integral_constantIbLb1EES12_IbLb0EEEEDaSY_SZ_EUlSY_E_NS1_11comp_targetILNS1_3genE10ELNS1_11target_archE1201ELNS1_3gpuE5ELNS1_3repE0EEENS1_30default_config_static_selectorELNS0_4arch9wavefront6targetE1EEEvT1_
	.globl	_ZN7rocprim17ROCPRIM_400000_NS6detail17trampoline_kernelINS0_14default_configENS1_27scan_by_key_config_selectorIj11FixedVectorIiLj8EEEEZZNS1_16scan_by_key_implILNS1_25lookback_scan_determinismE0ELb0ES3_N6thrust23THRUST_200600_302600_NS6detail15normal_iteratorINSB_10device_ptrIjEEEENSD_INSE_IS6_EEEESI_S6_NSB_4plusIvEENSB_8equal_toIvEES6_EE10hipError_tPvRmT2_T3_T4_T5_mT6_T7_P12ihipStream_tbENKUlT_T0_E_clISt17integral_constantIbLb1EES12_IbLb0EEEEDaSY_SZ_EUlSY_E_NS1_11comp_targetILNS1_3genE10ELNS1_11target_archE1201ELNS1_3gpuE5ELNS1_3repE0EEENS1_30default_config_static_selectorELNS0_4arch9wavefront6targetE1EEEvT1_
	.p2align	8
	.type	_ZN7rocprim17ROCPRIM_400000_NS6detail17trampoline_kernelINS0_14default_configENS1_27scan_by_key_config_selectorIj11FixedVectorIiLj8EEEEZZNS1_16scan_by_key_implILNS1_25lookback_scan_determinismE0ELb0ES3_N6thrust23THRUST_200600_302600_NS6detail15normal_iteratorINSB_10device_ptrIjEEEENSD_INSE_IS6_EEEESI_S6_NSB_4plusIvEENSB_8equal_toIvEES6_EE10hipError_tPvRmT2_T3_T4_T5_mT6_T7_P12ihipStream_tbENKUlT_T0_E_clISt17integral_constantIbLb1EES12_IbLb0EEEEDaSY_SZ_EUlSY_E_NS1_11comp_targetILNS1_3genE10ELNS1_11target_archE1201ELNS1_3gpuE5ELNS1_3repE0EEENS1_30default_config_static_selectorELNS0_4arch9wavefront6targetE1EEEvT1_,@function
_ZN7rocprim17ROCPRIM_400000_NS6detail17trampoline_kernelINS0_14default_configENS1_27scan_by_key_config_selectorIj11FixedVectorIiLj8EEEEZZNS1_16scan_by_key_implILNS1_25lookback_scan_determinismE0ELb0ES3_N6thrust23THRUST_200600_302600_NS6detail15normal_iteratorINSB_10device_ptrIjEEEENSD_INSE_IS6_EEEESI_S6_NSB_4plusIvEENSB_8equal_toIvEES6_EE10hipError_tPvRmT2_T3_T4_T5_mT6_T7_P12ihipStream_tbENKUlT_T0_E_clISt17integral_constantIbLb1EES12_IbLb0EEEEDaSY_SZ_EUlSY_E_NS1_11comp_targetILNS1_3genE10ELNS1_11target_archE1201ELNS1_3gpuE5ELNS1_3repE0EEENS1_30default_config_static_selectorELNS0_4arch9wavefront6targetE1EEEvT1_: ; @_ZN7rocprim17ROCPRIM_400000_NS6detail17trampoline_kernelINS0_14default_configENS1_27scan_by_key_config_selectorIj11FixedVectorIiLj8EEEEZZNS1_16scan_by_key_implILNS1_25lookback_scan_determinismE0ELb0ES3_N6thrust23THRUST_200600_302600_NS6detail15normal_iteratorINSB_10device_ptrIjEEEENSD_INSE_IS6_EEEESI_S6_NSB_4plusIvEENSB_8equal_toIvEES6_EE10hipError_tPvRmT2_T3_T4_T5_mT6_T7_P12ihipStream_tbENKUlT_T0_E_clISt17integral_constantIbLb1EES12_IbLb0EEEEDaSY_SZ_EUlSY_E_NS1_11comp_targetILNS1_3genE10ELNS1_11target_archE1201ELNS1_3gpuE5ELNS1_3repE0EEENS1_30default_config_static_selectorELNS0_4arch9wavefront6targetE1EEEvT1_
; %bb.0:
	.section	.rodata,"a",@progbits
	.p2align	6, 0x0
	.amdhsa_kernel _ZN7rocprim17ROCPRIM_400000_NS6detail17trampoline_kernelINS0_14default_configENS1_27scan_by_key_config_selectorIj11FixedVectorIiLj8EEEEZZNS1_16scan_by_key_implILNS1_25lookback_scan_determinismE0ELb0ES3_N6thrust23THRUST_200600_302600_NS6detail15normal_iteratorINSB_10device_ptrIjEEEENSD_INSE_IS6_EEEESI_S6_NSB_4plusIvEENSB_8equal_toIvEES6_EE10hipError_tPvRmT2_T3_T4_T5_mT6_T7_P12ihipStream_tbENKUlT_T0_E_clISt17integral_constantIbLb1EES12_IbLb0EEEEDaSY_SZ_EUlSY_E_NS1_11comp_targetILNS1_3genE10ELNS1_11target_archE1201ELNS1_3gpuE5ELNS1_3repE0EEENS1_30default_config_static_selectorELNS0_4arch9wavefront6targetE1EEEvT1_
		.amdhsa_group_segment_fixed_size 0
		.amdhsa_private_segment_fixed_size 0
		.amdhsa_kernarg_size 160
		.amdhsa_user_sgpr_count 2
		.amdhsa_user_sgpr_dispatch_ptr 0
		.amdhsa_user_sgpr_queue_ptr 0
		.amdhsa_user_sgpr_kernarg_segment_ptr 1
		.amdhsa_user_sgpr_dispatch_id 0
		.amdhsa_user_sgpr_kernarg_preload_length 0
		.amdhsa_user_sgpr_kernarg_preload_offset 0
		.amdhsa_user_sgpr_private_segment_size 0
		.amdhsa_uses_dynamic_stack 0
		.amdhsa_enable_private_segment 0
		.amdhsa_system_sgpr_workgroup_id_x 1
		.amdhsa_system_sgpr_workgroup_id_y 0
		.amdhsa_system_sgpr_workgroup_id_z 0
		.amdhsa_system_sgpr_workgroup_info 0
		.amdhsa_system_vgpr_workitem_id 0
		.amdhsa_next_free_vgpr 1
		.amdhsa_next_free_sgpr 0
		.amdhsa_accum_offset 4
		.amdhsa_reserve_vcc 0
		.amdhsa_float_round_mode_32 0
		.amdhsa_float_round_mode_16_64 0
		.amdhsa_float_denorm_mode_32 3
		.amdhsa_float_denorm_mode_16_64 3
		.amdhsa_dx10_clamp 1
		.amdhsa_ieee_mode 1
		.amdhsa_fp16_overflow 0
		.amdhsa_tg_split 0
		.amdhsa_exception_fp_ieee_invalid_op 0
		.amdhsa_exception_fp_denorm_src 0
		.amdhsa_exception_fp_ieee_div_zero 0
		.amdhsa_exception_fp_ieee_overflow 0
		.amdhsa_exception_fp_ieee_underflow 0
		.amdhsa_exception_fp_ieee_inexact 0
		.amdhsa_exception_int_div_zero 0
	.end_amdhsa_kernel
	.section	.text._ZN7rocprim17ROCPRIM_400000_NS6detail17trampoline_kernelINS0_14default_configENS1_27scan_by_key_config_selectorIj11FixedVectorIiLj8EEEEZZNS1_16scan_by_key_implILNS1_25lookback_scan_determinismE0ELb0ES3_N6thrust23THRUST_200600_302600_NS6detail15normal_iteratorINSB_10device_ptrIjEEEENSD_INSE_IS6_EEEESI_S6_NSB_4plusIvEENSB_8equal_toIvEES6_EE10hipError_tPvRmT2_T3_T4_T5_mT6_T7_P12ihipStream_tbENKUlT_T0_E_clISt17integral_constantIbLb1EES12_IbLb0EEEEDaSY_SZ_EUlSY_E_NS1_11comp_targetILNS1_3genE10ELNS1_11target_archE1201ELNS1_3gpuE5ELNS1_3repE0EEENS1_30default_config_static_selectorELNS0_4arch9wavefront6targetE1EEEvT1_,"axG",@progbits,_ZN7rocprim17ROCPRIM_400000_NS6detail17trampoline_kernelINS0_14default_configENS1_27scan_by_key_config_selectorIj11FixedVectorIiLj8EEEEZZNS1_16scan_by_key_implILNS1_25lookback_scan_determinismE0ELb0ES3_N6thrust23THRUST_200600_302600_NS6detail15normal_iteratorINSB_10device_ptrIjEEEENSD_INSE_IS6_EEEESI_S6_NSB_4plusIvEENSB_8equal_toIvEES6_EE10hipError_tPvRmT2_T3_T4_T5_mT6_T7_P12ihipStream_tbENKUlT_T0_E_clISt17integral_constantIbLb1EES12_IbLb0EEEEDaSY_SZ_EUlSY_E_NS1_11comp_targetILNS1_3genE10ELNS1_11target_archE1201ELNS1_3gpuE5ELNS1_3repE0EEENS1_30default_config_static_selectorELNS0_4arch9wavefront6targetE1EEEvT1_,comdat
.Lfunc_end2139:
	.size	_ZN7rocprim17ROCPRIM_400000_NS6detail17trampoline_kernelINS0_14default_configENS1_27scan_by_key_config_selectorIj11FixedVectorIiLj8EEEEZZNS1_16scan_by_key_implILNS1_25lookback_scan_determinismE0ELb0ES3_N6thrust23THRUST_200600_302600_NS6detail15normal_iteratorINSB_10device_ptrIjEEEENSD_INSE_IS6_EEEESI_S6_NSB_4plusIvEENSB_8equal_toIvEES6_EE10hipError_tPvRmT2_T3_T4_T5_mT6_T7_P12ihipStream_tbENKUlT_T0_E_clISt17integral_constantIbLb1EES12_IbLb0EEEEDaSY_SZ_EUlSY_E_NS1_11comp_targetILNS1_3genE10ELNS1_11target_archE1201ELNS1_3gpuE5ELNS1_3repE0EEENS1_30default_config_static_selectorELNS0_4arch9wavefront6targetE1EEEvT1_, .Lfunc_end2139-_ZN7rocprim17ROCPRIM_400000_NS6detail17trampoline_kernelINS0_14default_configENS1_27scan_by_key_config_selectorIj11FixedVectorIiLj8EEEEZZNS1_16scan_by_key_implILNS1_25lookback_scan_determinismE0ELb0ES3_N6thrust23THRUST_200600_302600_NS6detail15normal_iteratorINSB_10device_ptrIjEEEENSD_INSE_IS6_EEEESI_S6_NSB_4plusIvEENSB_8equal_toIvEES6_EE10hipError_tPvRmT2_T3_T4_T5_mT6_T7_P12ihipStream_tbENKUlT_T0_E_clISt17integral_constantIbLb1EES12_IbLb0EEEEDaSY_SZ_EUlSY_E_NS1_11comp_targetILNS1_3genE10ELNS1_11target_archE1201ELNS1_3gpuE5ELNS1_3repE0EEENS1_30default_config_static_selectorELNS0_4arch9wavefront6targetE1EEEvT1_
                                        ; -- End function
	.section	.AMDGPU.csdata,"",@progbits
; Kernel info:
; codeLenInByte = 0
; NumSgprs: 6
; NumVgprs: 0
; NumAgprs: 0
; TotalNumVgprs: 0
; ScratchSize: 0
; MemoryBound: 0
; FloatMode: 240
; IeeeMode: 1
; LDSByteSize: 0 bytes/workgroup (compile time only)
; SGPRBlocks: 0
; VGPRBlocks: 0
; NumSGPRsForWavesPerEU: 6
; NumVGPRsForWavesPerEU: 1
; AccumOffset: 4
; Occupancy: 8
; WaveLimiterHint : 0
; COMPUTE_PGM_RSRC2:SCRATCH_EN: 0
; COMPUTE_PGM_RSRC2:USER_SGPR: 2
; COMPUTE_PGM_RSRC2:TRAP_HANDLER: 0
; COMPUTE_PGM_RSRC2:TGID_X_EN: 1
; COMPUTE_PGM_RSRC2:TGID_Y_EN: 0
; COMPUTE_PGM_RSRC2:TGID_Z_EN: 0
; COMPUTE_PGM_RSRC2:TIDIG_COMP_CNT: 0
; COMPUTE_PGM_RSRC3_GFX90A:ACCUM_OFFSET: 0
; COMPUTE_PGM_RSRC3_GFX90A:TG_SPLIT: 0
	.section	.text._ZN7rocprim17ROCPRIM_400000_NS6detail17trampoline_kernelINS0_14default_configENS1_27scan_by_key_config_selectorIj11FixedVectorIiLj8EEEEZZNS1_16scan_by_key_implILNS1_25lookback_scan_determinismE0ELb0ES3_N6thrust23THRUST_200600_302600_NS6detail15normal_iteratorINSB_10device_ptrIjEEEENSD_INSE_IS6_EEEESI_S6_NSB_4plusIvEENSB_8equal_toIvEES6_EE10hipError_tPvRmT2_T3_T4_T5_mT6_T7_P12ihipStream_tbENKUlT_T0_E_clISt17integral_constantIbLb1EES12_IbLb0EEEEDaSY_SZ_EUlSY_E_NS1_11comp_targetILNS1_3genE5ELNS1_11target_archE942ELNS1_3gpuE9ELNS1_3repE0EEENS1_30default_config_static_selectorELNS0_4arch9wavefront6targetE1EEEvT1_,"axG",@progbits,_ZN7rocprim17ROCPRIM_400000_NS6detail17trampoline_kernelINS0_14default_configENS1_27scan_by_key_config_selectorIj11FixedVectorIiLj8EEEEZZNS1_16scan_by_key_implILNS1_25lookback_scan_determinismE0ELb0ES3_N6thrust23THRUST_200600_302600_NS6detail15normal_iteratorINSB_10device_ptrIjEEEENSD_INSE_IS6_EEEESI_S6_NSB_4plusIvEENSB_8equal_toIvEES6_EE10hipError_tPvRmT2_T3_T4_T5_mT6_T7_P12ihipStream_tbENKUlT_T0_E_clISt17integral_constantIbLb1EES12_IbLb0EEEEDaSY_SZ_EUlSY_E_NS1_11comp_targetILNS1_3genE5ELNS1_11target_archE942ELNS1_3gpuE9ELNS1_3repE0EEENS1_30default_config_static_selectorELNS0_4arch9wavefront6targetE1EEEvT1_,comdat
	.protected	_ZN7rocprim17ROCPRIM_400000_NS6detail17trampoline_kernelINS0_14default_configENS1_27scan_by_key_config_selectorIj11FixedVectorIiLj8EEEEZZNS1_16scan_by_key_implILNS1_25lookback_scan_determinismE0ELb0ES3_N6thrust23THRUST_200600_302600_NS6detail15normal_iteratorINSB_10device_ptrIjEEEENSD_INSE_IS6_EEEESI_S6_NSB_4plusIvEENSB_8equal_toIvEES6_EE10hipError_tPvRmT2_T3_T4_T5_mT6_T7_P12ihipStream_tbENKUlT_T0_E_clISt17integral_constantIbLb1EES12_IbLb0EEEEDaSY_SZ_EUlSY_E_NS1_11comp_targetILNS1_3genE5ELNS1_11target_archE942ELNS1_3gpuE9ELNS1_3repE0EEENS1_30default_config_static_selectorELNS0_4arch9wavefront6targetE1EEEvT1_ ; -- Begin function _ZN7rocprim17ROCPRIM_400000_NS6detail17trampoline_kernelINS0_14default_configENS1_27scan_by_key_config_selectorIj11FixedVectorIiLj8EEEEZZNS1_16scan_by_key_implILNS1_25lookback_scan_determinismE0ELb0ES3_N6thrust23THRUST_200600_302600_NS6detail15normal_iteratorINSB_10device_ptrIjEEEENSD_INSE_IS6_EEEESI_S6_NSB_4plusIvEENSB_8equal_toIvEES6_EE10hipError_tPvRmT2_T3_T4_T5_mT6_T7_P12ihipStream_tbENKUlT_T0_E_clISt17integral_constantIbLb1EES12_IbLb0EEEEDaSY_SZ_EUlSY_E_NS1_11comp_targetILNS1_3genE5ELNS1_11target_archE942ELNS1_3gpuE9ELNS1_3repE0EEENS1_30default_config_static_selectorELNS0_4arch9wavefront6targetE1EEEvT1_
	.globl	_ZN7rocprim17ROCPRIM_400000_NS6detail17trampoline_kernelINS0_14default_configENS1_27scan_by_key_config_selectorIj11FixedVectorIiLj8EEEEZZNS1_16scan_by_key_implILNS1_25lookback_scan_determinismE0ELb0ES3_N6thrust23THRUST_200600_302600_NS6detail15normal_iteratorINSB_10device_ptrIjEEEENSD_INSE_IS6_EEEESI_S6_NSB_4plusIvEENSB_8equal_toIvEES6_EE10hipError_tPvRmT2_T3_T4_T5_mT6_T7_P12ihipStream_tbENKUlT_T0_E_clISt17integral_constantIbLb1EES12_IbLb0EEEEDaSY_SZ_EUlSY_E_NS1_11comp_targetILNS1_3genE5ELNS1_11target_archE942ELNS1_3gpuE9ELNS1_3repE0EEENS1_30default_config_static_selectorELNS0_4arch9wavefront6targetE1EEEvT1_
	.p2align	8
	.type	_ZN7rocprim17ROCPRIM_400000_NS6detail17trampoline_kernelINS0_14default_configENS1_27scan_by_key_config_selectorIj11FixedVectorIiLj8EEEEZZNS1_16scan_by_key_implILNS1_25lookback_scan_determinismE0ELb0ES3_N6thrust23THRUST_200600_302600_NS6detail15normal_iteratorINSB_10device_ptrIjEEEENSD_INSE_IS6_EEEESI_S6_NSB_4plusIvEENSB_8equal_toIvEES6_EE10hipError_tPvRmT2_T3_T4_T5_mT6_T7_P12ihipStream_tbENKUlT_T0_E_clISt17integral_constantIbLb1EES12_IbLb0EEEEDaSY_SZ_EUlSY_E_NS1_11comp_targetILNS1_3genE5ELNS1_11target_archE942ELNS1_3gpuE9ELNS1_3repE0EEENS1_30default_config_static_selectorELNS0_4arch9wavefront6targetE1EEEvT1_,@function
_ZN7rocprim17ROCPRIM_400000_NS6detail17trampoline_kernelINS0_14default_configENS1_27scan_by_key_config_selectorIj11FixedVectorIiLj8EEEEZZNS1_16scan_by_key_implILNS1_25lookback_scan_determinismE0ELb0ES3_N6thrust23THRUST_200600_302600_NS6detail15normal_iteratorINSB_10device_ptrIjEEEENSD_INSE_IS6_EEEESI_S6_NSB_4plusIvEENSB_8equal_toIvEES6_EE10hipError_tPvRmT2_T3_T4_T5_mT6_T7_P12ihipStream_tbENKUlT_T0_E_clISt17integral_constantIbLb1EES12_IbLb0EEEEDaSY_SZ_EUlSY_E_NS1_11comp_targetILNS1_3genE5ELNS1_11target_archE942ELNS1_3gpuE9ELNS1_3repE0EEENS1_30default_config_static_selectorELNS0_4arch9wavefront6targetE1EEEvT1_: ; @_ZN7rocprim17ROCPRIM_400000_NS6detail17trampoline_kernelINS0_14default_configENS1_27scan_by_key_config_selectorIj11FixedVectorIiLj8EEEEZZNS1_16scan_by_key_implILNS1_25lookback_scan_determinismE0ELb0ES3_N6thrust23THRUST_200600_302600_NS6detail15normal_iteratorINSB_10device_ptrIjEEEENSD_INSE_IS6_EEEESI_S6_NSB_4plusIvEENSB_8equal_toIvEES6_EE10hipError_tPvRmT2_T3_T4_T5_mT6_T7_P12ihipStream_tbENKUlT_T0_E_clISt17integral_constantIbLb1EES12_IbLb0EEEEDaSY_SZ_EUlSY_E_NS1_11comp_targetILNS1_3genE5ELNS1_11target_archE942ELNS1_3gpuE9ELNS1_3repE0EEENS1_30default_config_static_selectorELNS0_4arch9wavefront6targetE1EEEvT1_
; %bb.0:
	s_load_dwordx8 s[20:27], s[2:3], 0x0
	s_load_dwordx8 s[12:19], s[2:3], 0x48
	s_load_dwordx2 s[30:31], s[2:3], 0x68
	s_load_dword s5, s[2:3], 0x70
	s_load_dwordx8 s[36:43], s[2:3], 0x78
	s_load_dwordx2 s[34:35], s[0:1], 0x4
	s_mov_b32 s0, 0
	v_and_b32_e32 v16, 0x3ff, v0
	v_bfe_u32 v14, v0, 20, 10
	v_bfe_u32 v0, v0, 10, 10
	s_mov_b32 s2, s0
	s_mov_b32 s3, s0
	s_waitcnt lgkmcnt(0)
	v_mul_u32_u24_e32 v15, s35, v0
	v_mov_b32_e32 v0, 0
	s_mov_b32 s1, s0
	v_mov_b64_e32 v[4:5], s[2:3]
	v_mov_b64_e32 v[2:3], s[0:1]
	v_mov_b32_e32 v1, v0
	s_barrier
	scratch_store_dword off, v0, off offset:320
	scratch_store_dwordx4 off, v[2:5], off offset:304
	scratch_store_dwordx4 off, v[2:5], off offset:288
.LBB2140_1:                             ; =>This Inner Loop Header: Depth=1
	s_add_i32 s1, s0, 0x120
	s_add_i32 s0, s0, 8
	s_cmp_lg_u32 s0, 32
	scratch_store_dwordx2 off, v[0:1], s1
	s_cbranch_scc1 .LBB2140_1
; %bb.2:
	s_mov_b32 s8, 0
	s_mov_b32 s9, s8
	v_mov_b32_e32 v0, 0
	s_mov_b32 s10, s8
	s_mov_b32 s11, s8
	v_mov_b64_e32 v[2:3], s[8:9]
	s_mov_b32 s0, 36
	s_add_i32 s19, 0x120, 36
	v_mov_b64_e32 v[4:5], s[10:11]
	v_mov_b32_e32 v1, v0
	scratch_store_byte off, v0, off offset:320
	scratch_store_dword off, v0, off offset:356
	scratch_store_dwordx4 off, v[2:5], off offset:324
	scratch_store_dwordx4 off, v[2:5], off offset:340
.LBB2140_3:                             ; =>This Inner Loop Header: Depth=1
	s_add_i32 s1, s0, 0x120
	s_add_i32 s0, s0, 8
	s_cmpk_lg_i32 s0, 0x44
	scratch_store_dwordx2 off, v[0:1], s1
	s_cbranch_scc1 .LBB2140_3
; %bb.4:
	s_mov_b32 s8, 0
	s_mov_b32 s9, s8
	v_mov_b32_e32 v0, 0
	s_movk_i32 s33, 0x120
	s_mov_b32 s10, s8
	s_mov_b32 s11, s8
	v_mov_b64_e32 v[2:3], s[8:9]
	s_movk_i32 s0, 0x48
	s_addk_i32 s33, 0x48
	v_mov_b64_e32 v[4:5], s[10:11]
	v_mov_b32_e32 v1, v0
	scratch_store_byte off, v0, off offset:356
	scratch_store_dword off, v0, off offset:392
	scratch_store_dwordx4 off, v[2:5], off offset:360
	scratch_store_dwordx4 off, v[2:5], off offset:376
.LBB2140_5:                             ; =>This Inner Loop Header: Depth=1
	s_add_i32 s1, s0, 0x120
	s_add_i32 s0, s0, 8
	s_cmpk_lg_i32 s0, 0x68
	scratch_store_dwordx2 off, v[0:1], s1
	s_cbranch_scc1 .LBB2140_5
; %bb.6:
	v_mov_b32_e32 v0, 0
	s_mov_b32 s0, 0
	v_mov_b32_e32 v1, v0
	scratch_store_byte off, v0, off offset:392
.LBB2140_7:                             ; =>This Inner Loop Header: Depth=1
	s_add_i32 s1, s0, 0x70
	s_add_i32 s0, s0, 8
	s_cmp_lg_u32 s0, 32
	scratch_store_dwordx2 off, v[0:1], s1
	s_cbranch_scc1 .LBB2140_7
; %bb.8:
	v_mov_b32_e32 v0, 0
	s_mov_b32 s0, 32
	v_mov_b32_e32 v1, v0
.LBB2140_9:                             ; =>This Inner Loop Header: Depth=1
	s_add_i32 s1, s0, 0x70
	s_add_i32 s0, s0, 8
	s_cmp_lg_u32 s0, 64
	scratch_store_dwordx2 off, v[0:1], s1
	s_cbranch_scc1 .LBB2140_9
; %bb.10:
	v_mov_b32_e32 v0, 0
	s_mov_b32 s0, 64
	v_mov_b32_e32 v1, v0
.LBB2140_11:                            ; =>This Inner Loop Header: Depth=1
	s_add_i32 s1, s0, 0x70
	s_add_i32 s0, s0, 8
	s_cmpk_lg_i32 s0, 0x60
	scratch_store_dwordx2 off, v[0:1], s1
	s_cbranch_scc1 .LBB2140_11
; %bb.12:
	s_cmp_lg_u64 s[40:41], 0
	s_mul_i32 s1, s31, s5
	s_mul_hi_u32 s2, s30, s5
	s_cselect_b64 s[40:41], -1, 0
	s_add_i32 s6, s2, s1
	s_lshl_b64 s[28:29], s[22:23], 5
	s_add_u32 s7, s24, s28
	s_addc_u32 s11, s25, s29
	s_lshl_b64 s[2:3], s[22:23], 2
	s_mul_i32 s0, s4, 0x300
	s_add_u32 s10, s20, s2
	s_mov_b32 s1, 0
	s_addc_u32 s20, s21, s3
	s_lshl_b64 s[2:3], s[0:1], 2
	s_add_u32 s22, s10, s2
	s_addc_u32 s23, s20, s3
	s_lshl_b64 s[20:21], s[0:1], 5
	s_add_u32 s10, s7, s20
	s_mul_i32 s5, s30, s5
	s_addc_u32 s11, s11, s21
	s_add_u32 s24, s5, s4
	s_addc_u32 s25, s6, 0
	s_add_u32 s2, s36, -1
	v_mov_b32_e32 v0, 0x70
	s_addc_u32 s3, s37, -1
	v_add_u32_e32 v2, 64, v0
	v_add_u32_e32 v3, 32, v0
	v_mov_b64_e32 v[0:1], s[2:3]
	v_cmp_ge_u64_e64 s[0:1], s[24:25], v[0:1]
	s_mov_b64 s[8:9], 0
	s_mov_b64 s[6:7], -1
	s_and_b64 vcc, exec, s[0:1]
	s_mul_i32 s48, s2, 0xfffffd00
                                        ; implicit-def: $sgpr2_sgpr3
	s_cbranch_vccnz .LBB2140_295
; %bb.13:
	s_and_b64 vcc, exec, s[6:7]
	s_cbranch_vccnz .LBB2140_318
.LBB2140_14:
	s_and_saveexec_b64 s[6:7], s[8:9]
	s_cbranch_execz .LBB2140_16
.LBB2140_15:
	scratch_load_dwordx4 v[4:7], v2, off
	scratch_load_dwordx4 v[8:11], v2, off offset:16
	v_cndmask_b32_e64 v0, 0, 1, s[2:3]
	s_waitcnt vmcnt(1)
	scratch_store_dwordx4 off, v[4:7], s33
	s_waitcnt vmcnt(1)
	scratch_store_dwordx4 off, v[8:11], s33 offset:16
	scratch_store_byte off, v0, off offset:392
.LBB2140_16:
	s_or_b64 exec, exec, s[6:7]
	s_cmp_lg_u32 s4, 0
	s_mov_b32 s2, 0
	s_barrier
	s_cbranch_scc0 .LBB2140_326
; %bb.17:
	v_mov_b32_e32 v0, 0
	v_mov_b32_e32 v1, v0
	scratch_store_dword off, v0, off offset:144
.LBB2140_18:                            ; =>This Inner Loop Header: Depth=1
	s_add_i32 s3, s2, 0x70
	s_add_i32 s2, s2, 8
	s_cmp_lg_u32 s2, 32
	scratch_store_dwordx2 off, v[0:1], s3
	s_cbranch_scc1 .LBB2140_18
; %bb.19:
	scratch_load_dwordx4 v[0:3], off, off offset:288
	scratch_load_dwordx4 v[4:7], off, off offset:304
	scratch_load_ubyte v9, off, off offset:356
	scratch_load_ubyte v8, off, off offset:320
	s_waitcnt vmcnt(3)
	scratch_store_dwordx4 off, v[0:3], off offset:112
	s_waitcnt vmcnt(3)
	scratch_store_dwordx4 off, v[4:7], off offset:128
	s_waitcnt vmcnt(3)
	v_cmp_ne_u16_e32 vcc, 0, v9
                                        ; implicit-def: $vgpr6_vgpr7
                                        ; implicit-def: $vgpr2_vgpr3
	s_and_saveexec_b64 s[2:3], vcc
	s_xor_b64 s[2:3], exec, s[2:3]
	s_cbranch_execz .LBB2140_21
; %bb.20:
	scratch_load_dwordx4 v[0:3], off, off offset:324
	scratch_load_dwordx4 v[4:7], off, off offset:340
.LBB2140_21:
	s_andn2_saveexec_b64 s[2:3], s[2:3]
	s_cbranch_execz .LBB2140_27
; %bb.22:
	s_waitcnt vmcnt(1)
	v_mov_b32_e32 v0, 0
	s_mov_b32 s5, 0
	v_mov_b32_e32 v1, v0
.LBB2140_23:                            ; =>This Inner Loop Header: Depth=1
	s_add_i32 s6, s5, 0
	s_add_i32 s5, s5, 8
	s_cmp_lg_u32 s5, 32
	scratch_store_dwordx2 off, v[0:1], s6
	s_cbranch_scc1 .LBB2140_23
; %bb.24:
	s_mov_b32 s5, 0
.LBB2140_25:                            ; =>This Inner Loop Header: Depth=1
	s_add_i32 s6, s5, 0x70
	s_add_i32 s7, s19, s5
	scratch_load_dwordx2 v[0:1], off, s6
	scratch_load_dwordx2 v[2:3], off, s7
	s_add_i32 s6, s5, 0
	s_add_i32 s5, s5, 8
	s_cmp_lg_u32 s5, 32
	s_waitcnt vmcnt(0)
	v_add_u32_e32 v1, v3, v1
	v_add_u32_e32 v0, v2, v0
	scratch_store_dwordx2 off, v[0:1], s6
	s_cbranch_scc1 .LBB2140_25
; %bb.26:
	scratch_load_dwordx4 v[0:3], off, off
	scratch_load_dwordx4 v[4:7], off, off offset:16
.LBB2140_27:
	s_or_b64 exec, exec, s[2:3]
	scratch_load_ubyte v10, off, off offset:392
	s_waitcnt vmcnt(2)
	scratch_store_dwordx4 off, v[0:3], off offset:112
	s_waitcnt vmcnt(2)
	scratch_store_dwordx4 off, v[4:7], off offset:128
                                        ; implicit-def: $vgpr6_vgpr7
                                        ; implicit-def: $vgpr2_vgpr3
	s_waitcnt vmcnt(2)
	v_cmp_ne_u16_e32 vcc, 0, v10
	s_and_saveexec_b64 s[2:3], vcc
	s_xor_b64 s[2:3], exec, s[2:3]
	s_cbranch_execz .LBB2140_29
; %bb.28:
	scratch_load_dwordx4 v[0:3], off, off offset:360
	scratch_load_dwordx4 v[4:7], off, off offset:376
.LBB2140_29:
	s_andn2_saveexec_b64 s[2:3], s[2:3]
	s_cbranch_execz .LBB2140_35
; %bb.30:
	s_waitcnt vmcnt(1)
	v_mov_b32_e32 v0, 0
	s_mov_b32 s5, 0
	v_mov_b32_e32 v1, v0
.LBB2140_31:                            ; =>This Inner Loop Header: Depth=1
	s_add_i32 s6, s5, 0
	s_add_i32 s5, s5, 8
	s_cmp_lg_u32 s5, 32
	scratch_store_dwordx2 off, v[0:1], s6
	s_cbranch_scc1 .LBB2140_31
; %bb.32:
	s_mov_b32 s5, 0
.LBB2140_33:                            ; =>This Inner Loop Header: Depth=1
	s_add_i32 s6, s5, 0x70
	s_add_i32 s7, s33, s5
	scratch_load_dwordx2 v[0:1], off, s6
	scratch_load_dwordx2 v[2:3], off, s7
	s_add_i32 s6, s5, 0
	s_add_i32 s5, s5, 8
	s_cmp_lg_u32 s5, 32
	s_waitcnt vmcnt(0)
	v_add_u32_e32 v1, v3, v1
	v_add_u32_e32 v0, v2, v0
	scratch_store_dwordx2 off, v[0:1], s6
	s_cbranch_scc1 .LBB2140_33
; %bb.34:
	scratch_load_dwordx4 v[0:3], off, off
	scratch_load_dwordx4 v[4:7], off, off offset:16
.LBB2140_35:
	s_or_b64 exec, exec, s[2:3]
	scratch_load_ushort v22, off, off offset:145
	scratch_load_sbyte v23, off, off offset:147
	v_or_b32_e32 v9, v10, v9
	s_waitcnt vmcnt(3)
	v_mov_b32_dpp v10, v0 row_shr:1 row_mask:0xf bank_mask:0xf
	v_mov_b32_dpp v11, v1 row_shr:1 row_mask:0xf bank_mask:0xf
	;; [unrolled: 1-line block ×4, first 2 shown]
	v_or_b32_e32 v8, v9, v8
	v_mbcnt_lo_u32_b32 v17, -1, 0
	scratch_store_dwordx4 off, v[0:3], off offset:208
	s_waitcnt vmcnt(3)
	scratch_store_dwordx4 off, v[4:7], off offset:224
	v_mov_b32_dpp v18, v4 row_shr:1 row_mask:0xf bank_mask:0xf
	v_mov_b32_dpp v19, v5 row_shr:1 row_mask:0xf bank_mask:0xf
	;; [unrolled: 1-line block ×4, first 2 shown]
	scratch_store_dwordx4 off, v[10:13], off offset:112
	scratch_store_dwordx4 off, v[18:21], off offset:128
	v_and_b32_e32 v8, 1, v8
	v_mbcnt_hi_u32_b32 v17, -1, v17
	v_and_b32_e32 v11, 15, v17
	v_cmp_ne_u32_e32 vcc, 0, v11
	s_waitcnt vmcnt(5)
	v_lshrrev_b32_e32 v9, 8, v22
	v_lshlrev_b16_e32 v10, 8, v22
	s_waitcnt vmcnt(4)
	v_lshlrev_b16_e32 v12, 8, v23
	v_or_b32_e32 v10, v8, v10
	v_or_b32_sdwa v8, v9, v12 dst_sel:WORD_1 dst_unused:UNUSED_PAD src0_sel:BYTE_0 src1_sel:DWORD
	s_nop 0
	v_or_b32_sdwa v12, v10, v8 dst_sel:DWORD dst_unused:UNUSED_PAD src0_sel:WORD_0 src1_sel:DWORD
	scratch_store_dword off, v12, off offset:240
	s_nop 0
	v_mov_b32_dpp v13, v12 row_shr:1 row_mask:0xf bank_mask:0xf
	scratch_store_dword off, v13, off offset:144
	s_and_saveexec_b64 s[2:3], vcc
	s_cbranch_execz .LBB2140_43
; %bb.36:
	v_mov_b32_e32 v8, 0
	v_cmp_eq_u16_sdwa s[8:9], v10, v8 src0_sel:BYTE_0 src1_sel:DWORD
	s_and_saveexec_b64 s[6:7], s[8:9]
	s_cbranch_execz .LBB2140_42
; %bb.37:
	s_mov_b32 s5, 0
	v_mov_b32_e32 v9, v8
.LBB2140_38:                            ; =>This Inner Loop Header: Depth=1
	s_add_i32 s8, s5, 0
	s_add_i32 s5, s5, 8
	s_cmp_lg_u32 s5, 32
	scratch_store_dwordx2 off, v[8:9], s8
	s_cbranch_scc1 .LBB2140_38
; %bb.39:
	s_mov_b32 s5, 0
.LBB2140_40:                            ; =>This Inner Loop Header: Depth=1
	s_add_i32 s8, s5, 0x70
	s_add_i32 s9, s5, 0xd0
	scratch_load_dwordx2 v[0:1], off, s8
	scratch_load_dwordx2 v[2:3], off, s9
	s_add_i32 s8, s5, 0
	s_add_i32 s5, s5, 8
	s_cmp_lg_u32 s5, 32
	s_waitcnt vmcnt(0)
	v_add_u32_e32 v1, v3, v1
	v_add_u32_e32 v0, v2, v0
	scratch_store_dwordx2 off, v[0:1], s8
	s_cbranch_scc1 .LBB2140_40
; %bb.41:
	scratch_load_dwordx4 v[0:3], off, off
	scratch_load_dwordx4 v[4:7], off, off offset:16
.LBB2140_42:
	s_or_b64 exec, exec, s[6:7]
	v_or_b32_e32 v8, v13, v12
	v_and_b32_e32 v8, 1, v8
	scratch_store_byte off, v8, off offset:240
	scratch_load_dword v12, off, off offset:240
	s_waitcnt vmcnt(3)
	scratch_store_dwordx4 off, v[0:3], off offset:208
	s_waitcnt vmcnt(3)
	scratch_store_dwordx4 off, v[4:7], off offset:224
	s_waitcnt vmcnt(2)
	v_mov_b32_e32 v10, v12
.LBB2140_43:
	s_or_b64 exec, exec, s[2:3]
	v_mov_b32_dpp v18, v0 row_shr:2 row_mask:0xf bank_mask:0xf
	v_mov_b32_dpp v19, v1 row_shr:2 row_mask:0xf bank_mask:0xf
	;; [unrolled: 1-line block ×5, first 2 shown]
	v_cmp_lt_u32_e32 vcc, 1, v11
	v_mov_b32_dpp v22, v4 row_shr:2 row_mask:0xf bank_mask:0xf
	v_mov_b32_dpp v23, v5 row_shr:2 row_mask:0xf bank_mask:0xf
	;; [unrolled: 1-line block ×4, first 2 shown]
	scratch_store_dwordx4 off, v[18:21], off offset:112
	scratch_store_dwordx4 off, v[22:25], off offset:128
	scratch_store_dword off, v13, off offset:144
	s_and_saveexec_b64 s[6:7], vcc
	s_cbranch_execz .LBB2140_51
; %bb.44:
	v_mov_b32_e32 v8, 0
	s_mov_b32 s5, 0
	v_cmp_eq_u16_sdwa s[8:9], v10, v8 src0_sel:BYTE_0 src1_sel:DWORD
	s_and_saveexec_b64 s[2:3], s[8:9]
	s_cbranch_execz .LBB2140_50
; %bb.45:
	v_mov_b32_e32 v9, v8
.LBB2140_46:                            ; =>This Inner Loop Header: Depth=1
	s_add_i32 s8, s5, 0
	s_add_i32 s5, s5, 8
	s_cmp_lg_u32 s5, 32
	scratch_store_dwordx2 off, v[8:9], s8
	s_cbranch_scc1 .LBB2140_46
; %bb.47:
	s_mov_b32 s5, 0
.LBB2140_48:                            ; =>This Inner Loop Header: Depth=1
	s_add_i32 s8, s5, 0x70
	s_add_i32 s9, s5, 0xd0
	scratch_load_dwordx2 v[0:1], off, s8
	scratch_load_dwordx2 v[2:3], off, s9
	s_add_i32 s8, s5, 0
	s_add_i32 s5, s5, 8
	s_cmp_lg_u32 s5, 32
	s_waitcnt vmcnt(0)
	v_add_u32_e32 v1, v3, v1
	v_add_u32_e32 v0, v2, v0
	scratch_store_dwordx2 off, v[0:1], s8
	s_cbranch_scc1 .LBB2140_48
; %bb.49:
	scratch_load_dwordx4 v[0:3], off, off
	scratch_load_dwordx4 v[4:7], off, off offset:16
.LBB2140_50:
	s_or_b64 exec, exec, s[2:3]
	v_and_b32_e32 v8, 1, v10
	v_cmp_eq_u32_e32 vcc, 1, v8
	v_and_b32_e32 v8, 1, v13
	v_cmp_eq_u32_e64 s[2:3], 1, v8
	s_or_b64 s[2:3], vcc, s[2:3]
	s_nop 0
	v_cndmask_b32_e64 v8, 0, 1, s[2:3]
	scratch_store_byte off, v8, off offset:240
	scratch_load_dword v12, off, off offset:240
	s_waitcnt vmcnt(3)
	scratch_store_dwordx4 off, v[0:3], off offset:208
	s_waitcnt vmcnt(3)
	scratch_store_dwordx4 off, v[4:7], off offset:224
	s_waitcnt vmcnt(2)
	v_mov_b32_e32 v10, v12
.LBB2140_51:
	s_or_b64 exec, exec, s[6:7]
	v_mov_b32_dpp v18, v0 row_shr:4 row_mask:0xf bank_mask:0xf
	v_mov_b32_dpp v19, v1 row_shr:4 row_mask:0xf bank_mask:0xf
	;; [unrolled: 1-line block ×5, first 2 shown]
	v_cmp_lt_u32_e32 vcc, 3, v11
	v_mov_b32_dpp v22, v4 row_shr:4 row_mask:0xf bank_mask:0xf
	v_mov_b32_dpp v23, v5 row_shr:4 row_mask:0xf bank_mask:0xf
	;; [unrolled: 1-line block ×4, first 2 shown]
	scratch_store_dwordx4 off, v[18:21], off offset:112
	scratch_store_dwordx4 off, v[22:25], off offset:128
	scratch_store_dword off, v13, off offset:144
	s_and_saveexec_b64 s[6:7], vcc
	s_cbranch_execz .LBB2140_59
; %bb.52:
	v_mov_b32_e32 v8, 0
	s_mov_b32 s5, 0
	v_cmp_eq_u16_sdwa s[8:9], v10, v8 src0_sel:BYTE_0 src1_sel:DWORD
	s_and_saveexec_b64 s[2:3], s[8:9]
	s_cbranch_execz .LBB2140_58
; %bb.53:
	v_mov_b32_e32 v9, v8
.LBB2140_54:                            ; =>This Inner Loop Header: Depth=1
	s_add_i32 s8, s5, 0
	s_add_i32 s5, s5, 8
	s_cmp_lg_u32 s5, 32
	scratch_store_dwordx2 off, v[8:9], s8
	s_cbranch_scc1 .LBB2140_54
; %bb.55:
	s_mov_b32 s5, 0
.LBB2140_56:                            ; =>This Inner Loop Header: Depth=1
	s_add_i32 s8, s5, 0x70
	s_add_i32 s9, s5, 0xd0
	scratch_load_dwordx2 v[0:1], off, s8
	scratch_load_dwordx2 v[2:3], off, s9
	s_add_i32 s8, s5, 0
	s_add_i32 s5, s5, 8
	s_cmp_lg_u32 s5, 32
	s_waitcnt vmcnt(0)
	v_add_u32_e32 v1, v3, v1
	v_add_u32_e32 v0, v2, v0
	scratch_store_dwordx2 off, v[0:1], s8
	s_cbranch_scc1 .LBB2140_56
; %bb.57:
	scratch_load_dwordx4 v[0:3], off, off
	scratch_load_dwordx4 v[4:7], off, off offset:16
.LBB2140_58:
	s_or_b64 exec, exec, s[2:3]
	v_and_b32_e32 v8, 1, v10
	v_cmp_eq_u32_e32 vcc, 1, v8
	v_and_b32_e32 v8, 1, v13
	v_cmp_eq_u32_e64 s[2:3], 1, v8
	s_or_b64 s[2:3], vcc, s[2:3]
	s_nop 0
	v_cndmask_b32_e64 v8, 0, 1, s[2:3]
	scratch_store_byte off, v8, off offset:240
	scratch_load_dword v12, off, off offset:240
	s_waitcnt vmcnt(3)
	scratch_store_dwordx4 off, v[0:3], off offset:208
	s_waitcnt vmcnt(3)
	scratch_store_dwordx4 off, v[4:7], off offset:224
	s_waitcnt vmcnt(2)
	v_mov_b32_e32 v10, v12
.LBB2140_59:
	s_or_b64 exec, exec, s[6:7]
	v_mov_b32_dpp v18, v0 row_shr:8 row_mask:0xf bank_mask:0xf
	v_mov_b32_dpp v19, v1 row_shr:8 row_mask:0xf bank_mask:0xf
	;; [unrolled: 1-line block ×5, first 2 shown]
	v_cmp_lt_u32_e32 vcc, 7, v11
	v_mov_b32_dpp v22, v4 row_shr:8 row_mask:0xf bank_mask:0xf
	v_mov_b32_dpp v23, v5 row_shr:8 row_mask:0xf bank_mask:0xf
	;; [unrolled: 1-line block ×4, first 2 shown]
	scratch_store_dwordx4 off, v[18:21], off offset:112
	scratch_store_dwordx4 off, v[22:25], off offset:128
	scratch_store_dword off, v13, off offset:144
	s_and_saveexec_b64 s[6:7], vcc
	s_cbranch_execz .LBB2140_67
; %bb.60:
	v_mov_b32_e32 v8, 0
	s_mov_b32 s5, 0
	v_cmp_eq_u16_sdwa s[8:9], v10, v8 src0_sel:BYTE_0 src1_sel:DWORD
	s_and_saveexec_b64 s[2:3], s[8:9]
	s_cbranch_execz .LBB2140_66
; %bb.61:
	v_mov_b32_e32 v9, v8
.LBB2140_62:                            ; =>This Inner Loop Header: Depth=1
	s_add_i32 s8, s5, 0
	s_add_i32 s5, s5, 8
	s_cmp_lg_u32 s5, 32
	scratch_store_dwordx2 off, v[8:9], s8
	s_cbranch_scc1 .LBB2140_62
; %bb.63:
	s_mov_b32 s5, 0
.LBB2140_64:                            ; =>This Inner Loop Header: Depth=1
	s_add_i32 s8, s5, 0x70
	s_add_i32 s9, s5, 0xd0
	scratch_load_dwordx2 v[0:1], off, s8
	scratch_load_dwordx2 v[2:3], off, s9
	s_add_i32 s8, s5, 0
	s_add_i32 s5, s5, 8
	s_cmp_lg_u32 s5, 32
	s_waitcnt vmcnt(0)
	v_add_u32_e32 v1, v3, v1
	v_add_u32_e32 v0, v2, v0
	scratch_store_dwordx2 off, v[0:1], s8
	s_cbranch_scc1 .LBB2140_64
; %bb.65:
	scratch_load_dwordx4 v[0:3], off, off
	scratch_load_dwordx4 v[4:7], off, off offset:16
.LBB2140_66:
	s_or_b64 exec, exec, s[2:3]
	v_and_b32_e32 v8, 1, v10
	v_cmp_eq_u32_e32 vcc, 1, v8
	v_and_b32_e32 v8, 1, v13
	v_cmp_eq_u32_e64 s[2:3], 1, v8
	s_or_b64 s[2:3], vcc, s[2:3]
	s_nop 0
	v_cndmask_b32_e64 v8, 0, 1, s[2:3]
	scratch_store_byte off, v8, off offset:240
	scratch_load_dword v12, off, off offset:240
	s_waitcnt vmcnt(3)
	scratch_store_dwordx4 off, v[0:3], off offset:208
	s_waitcnt vmcnt(3)
	scratch_store_dwordx4 off, v[4:7], off offset:224
	s_waitcnt vmcnt(2)
	v_mov_b32_e32 v10, v12
.LBB2140_67:
	s_or_b64 exec, exec, s[6:7]
	v_and_b32_e32 v8, 16, v17
	v_mov_b32_dpp v18, v0 row_bcast:15 row_mask:0xf bank_mask:0xf
	v_mov_b32_dpp v19, v1 row_bcast:15 row_mask:0xf bank_mask:0xf
	;; [unrolled: 1-line block ×5, first 2 shown]
	v_cmp_ne_u32_e32 vcc, 0, v8
	v_mov_b32_dpp v22, v4 row_bcast:15 row_mask:0xf bank_mask:0xf
	v_mov_b32_dpp v23, v5 row_bcast:15 row_mask:0xf bank_mask:0xf
	;; [unrolled: 1-line block ×4, first 2 shown]
	scratch_store_dwordx4 off, v[18:21], off offset:112
	scratch_store_dwordx4 off, v[22:25], off offset:128
	scratch_store_dword off, v11, off offset:144
	s_and_saveexec_b64 s[6:7], vcc
	s_cbranch_execz .LBB2140_75
; %bb.68:
	v_mov_b32_e32 v8, 0
	s_mov_b32 s5, 0
	v_cmp_eq_u16_sdwa s[8:9], v10, v8 src0_sel:BYTE_0 src1_sel:DWORD
	s_and_saveexec_b64 s[2:3], s[8:9]
	s_cbranch_execz .LBB2140_74
; %bb.69:
	v_mov_b32_e32 v9, v8
.LBB2140_70:                            ; =>This Inner Loop Header: Depth=1
	s_add_i32 s8, s5, 0
	s_add_i32 s5, s5, 8
	s_cmp_lg_u32 s5, 32
	scratch_store_dwordx2 off, v[8:9], s8
	s_cbranch_scc1 .LBB2140_70
; %bb.71:
	s_mov_b32 s5, 0
.LBB2140_72:                            ; =>This Inner Loop Header: Depth=1
	s_add_i32 s8, s5, 0x70
	s_add_i32 s9, s5, 0xd0
	scratch_load_dwordx2 v[0:1], off, s8
	scratch_load_dwordx2 v[2:3], off, s9
	s_add_i32 s8, s5, 0
	s_add_i32 s5, s5, 8
	s_cmp_lg_u32 s5, 32
	s_waitcnt vmcnt(0)
	v_add_u32_e32 v1, v3, v1
	v_add_u32_e32 v0, v2, v0
	scratch_store_dwordx2 off, v[0:1], s8
	s_cbranch_scc1 .LBB2140_72
; %bb.73:
	scratch_load_dwordx4 v[0:3], off, off
	scratch_load_dwordx4 v[4:7], off, off offset:16
.LBB2140_74:
	s_or_b64 exec, exec, s[2:3]
	v_and_b32_e32 v8, 1, v10
	v_cmp_eq_u32_e32 vcc, 1, v8
	v_and_b32_e32 v8, 1, v11
	v_cmp_eq_u32_e64 s[2:3], 1, v8
	s_or_b64 s[2:3], vcc, s[2:3]
	s_nop 0
	v_cndmask_b32_e64 v8, 0, 1, s[2:3]
	scratch_store_byte off, v8, off offset:240
	scratch_load_dword v12, off, off offset:240
	s_waitcnt vmcnt(3)
	scratch_store_dwordx4 off, v[0:3], off offset:208
	s_waitcnt vmcnt(3)
	scratch_store_dwordx4 off, v[4:7], off offset:224
	s_waitcnt vmcnt(2)
	v_mov_b32_e32 v10, v12
.LBB2140_75:
	s_or_b64 exec, exec, s[6:7]
	v_mov_b32_dpp v18, v0 row_bcast:31 row_mask:0xf bank_mask:0xf
	v_mov_b32_dpp v19, v1 row_bcast:31 row_mask:0xf bank_mask:0xf
	;; [unrolled: 1-line block ×5, first 2 shown]
	v_cmp_lt_u32_e32 vcc, 31, v17
	v_mov_b32_dpp v22, v4 row_bcast:31 row_mask:0xf bank_mask:0xf
	v_mov_b32_dpp v23, v5 row_bcast:31 row_mask:0xf bank_mask:0xf
	;; [unrolled: 1-line block ×4, first 2 shown]
	scratch_store_dwordx4 off, v[18:21], off offset:112
	scratch_store_dwordx4 off, v[22:25], off offset:128
	scratch_store_dword off, v11, off offset:144
	s_and_saveexec_b64 s[6:7], vcc
	s_cbranch_execz .LBB2140_83
; %bb.76:
	v_mov_b32_e32 v8, 0
	s_mov_b32 s5, 0
	v_cmp_eq_u16_sdwa s[8:9], v10, v8 src0_sel:BYTE_0 src1_sel:DWORD
	s_and_saveexec_b64 s[2:3], s[8:9]
	s_cbranch_execz .LBB2140_82
; %bb.77:
	v_mov_b32_e32 v9, v8
.LBB2140_78:                            ; =>This Inner Loop Header: Depth=1
	s_add_i32 s8, s5, 0
	s_add_i32 s5, s5, 8
	s_cmp_lg_u32 s5, 32
	scratch_store_dwordx2 off, v[8:9], s8
	s_cbranch_scc1 .LBB2140_78
; %bb.79:
	s_mov_b32 s5, 0
.LBB2140_80:                            ; =>This Inner Loop Header: Depth=1
	s_add_i32 s8, s5, 0x70
	s_add_i32 s9, s5, 0xd0
	scratch_load_dwordx2 v[0:1], off, s8
	scratch_load_dwordx2 v[2:3], off, s9
	s_add_i32 s8, s5, 0
	s_add_i32 s5, s5, 8
	s_cmp_lg_u32 s5, 32
	s_waitcnt vmcnt(0)
	v_add_u32_e32 v1, v3, v1
	v_add_u32_e32 v0, v2, v0
	scratch_store_dwordx2 off, v[0:1], s8
	s_cbranch_scc1 .LBB2140_80
; %bb.81:
	scratch_load_dwordx4 v[0:3], off, off
	scratch_load_dwordx4 v[4:7], off, off offset:16
.LBB2140_82:
	s_or_b64 exec, exec, s[2:3]
	v_and_b32_e32 v8, 1, v10
	v_cmp_eq_u32_e32 vcc, 1, v8
	v_and_b32_e32 v8, 1, v11
	v_cmp_eq_u32_e64 s[2:3], 1, v8
	s_or_b64 s[2:3], vcc, s[2:3]
	s_nop 0
	v_cndmask_b32_e64 v10, 0, 1, s[2:3]
	s_waitcnt vmcnt(1)
	scratch_store_dwordx4 off, v[0:3], off offset:208
	s_waitcnt vmcnt(1)
	scratch_store_dwordx4 off, v[4:7], off offset:224
	scratch_store_byte off, v10, off offset:240
.LBB2140_83:
	s_or_b64 exec, exec, s[6:7]
	v_or_b32_e32 v8, 63, v16
	v_lshrrev_b32_e32 v11, 6, v16
	v_cmp_eq_u32_e32 vcc, v8, v16
	s_and_saveexec_b64 s[2:3], vcc
	s_cbranch_execz .LBB2140_85
; %bb.84:
	v_mul_u32_u24_e32 v8, 36, v11
	ds_write2_b32 v8, v0, v1 offset1:1
	ds_write2_b32 v8, v2, v3 offset0:2 offset1:3
	ds_write2_b32 v8, v4, v5 offset0:4 offset1:5
	;; [unrolled: 1-line block ×3, first 2 shown]
	ds_write_b8 v8, v10 offset:32
.LBB2140_85:
	s_or_b64 exec, exec, s[2:3]
	v_cmp_gt_u32_e32 vcc, 4, v16
	s_waitcnt lgkmcnt(0)
	s_barrier
	s_and_saveexec_b64 s[6:7], vcc
	s_cbranch_execz .LBB2140_103
; %bb.86:
	v_mul_u32_u24_e32 v10, 36, v16
	ds_read_b32 v12, v10 offset:32
	ds_read2_b32 v[4:5], v10 offset0:4 offset1:5
	ds_read2_b32 v[2:3], v10 offset0:2 offset1:3
	ds_read2_b32 v[0:1], v10 offset1:1
	ds_read2_b32 v[6:7], v10 offset0:6 offset1:7
	v_and_b32_e32 v13, 3, v17
	s_waitcnt lgkmcnt(4)
	v_mov_b32_dpp v18, v12 row_shr:1 row_mask:0xf bank_mask:0xf
	s_waitcnt lgkmcnt(2)
	v_mov_b32_dpp v22, v2 row_shr:1 row_mask:0xf bank_mask:0xf
	;; [unrolled: 2-line block ×3, first 2 shown]
	v_mov_b32_dpp v21, v1 row_shr:1 row_mask:0xf bank_mask:0xf
	v_mov_b32_dpp v23, v3 row_shr:1 row_mask:0xf bank_mask:0xf
	v_cmp_ne_u32_e32 vcc, 0, v13
	scratch_store_dword off, v12, off offset:32
	scratch_store_dwordx4 off, v[0:3], off
	s_waitcnt lgkmcnt(0)
	scratch_store_dwordx4 off, v[4:7], off offset:16
	v_mov_b32_dpp v24, v4 row_shr:1 row_mask:0xf bank_mask:0xf
	v_mov_b32_dpp v25, v5 row_shr:1 row_mask:0xf bank_mask:0xf
	;; [unrolled: 1-line block ×4, first 2 shown]
	scratch_store_dwordx4 off, v[20:23], off offset:112
	scratch_store_dwordx4 off, v[24:27], off offset:128
	scratch_store_dword off, v18, off offset:144
	s_and_saveexec_b64 s[2:3], vcc
	s_cbranch_execz .LBB2140_94
; %bb.87:
	v_mov_b32_e32 v8, 0
	v_cmp_eq_u16_sdwa s[10:11], v12, v8 src0_sel:BYTE_0 src1_sel:DWORD
	s_and_saveexec_b64 s[8:9], s[10:11]
	s_cbranch_execz .LBB2140_93
; %bb.88:
	s_mov_b32 s5, 0
	v_mov_b32_e32 v9, v8
.LBB2140_89:                            ; =>This Inner Loop Header: Depth=1
	s_add_i32 s10, s5, 36
	s_add_i32 s5, s5, 8
	s_cmp_lg_u32 s5, 32
	scratch_store_dwordx2 off, v[8:9], s10
	s_cbranch_scc1 .LBB2140_89
; %bb.90:
	s_mov_b32 s5, 0
.LBB2140_91:                            ; =>This Inner Loop Header: Depth=1
	s_add_i32 s10, s5, 0x70
	s_add_i32 s11, s5, 0
	scratch_load_dwordx2 v[0:1], off, s10
	scratch_load_dwordx2 v[2:3], off, s11
	s_add_i32 s10, s5, 36
	s_add_i32 s5, s5, 8
	s_cmp_lg_u32 s5, 32
	s_waitcnt vmcnt(0)
	v_add_u32_e32 v1, v3, v1
	v_add_u32_e32 v0, v2, v0
	scratch_store_dwordx2 off, v[0:1], s10
	s_cbranch_scc1 .LBB2140_91
; %bb.92:
	scratch_load_dwordx4 v[0:3], off, off offset:36
	scratch_load_dwordx4 v[4:7], off, off offset:52
.LBB2140_93:
	s_or_b64 exec, exec, s[8:9]
	v_or_b32_e32 v8, v18, v12
	v_and_b32_e32 v8, 1, v8
	scratch_store_byte off, v8, off offset:32
	scratch_load_dword v12, off, off offset:32
	s_waitcnt vmcnt(3)
	scratch_store_dwordx4 off, v[0:3], off
	s_waitcnt vmcnt(3)
	scratch_store_dwordx4 off, v[4:7], off offset:16
.LBB2140_94:
	s_or_b64 exec, exec, s[2:3]
	v_mov_b32_dpp v20, v0 row_shr:2 row_mask:0xf bank_mask:0xf
	v_mov_b32_dpp v21, v1 row_shr:2 row_mask:0xf bank_mask:0xf
	;; [unrolled: 1-line block ×4, first 2 shown]
	s_waitcnt vmcnt(2)
	v_mov_b32_dpp v18, v12 row_shr:2 row_mask:0xf bank_mask:0xf
	v_cmp_lt_u32_e32 vcc, 1, v13
	v_mov_b32_dpp v24, v4 row_shr:2 row_mask:0xf bank_mask:0xf
	v_mov_b32_dpp v25, v5 row_shr:2 row_mask:0xf bank_mask:0xf
	;; [unrolled: 1-line block ×4, first 2 shown]
	scratch_store_dwordx4 off, v[20:23], off offset:112
	scratch_store_dwordx4 off, v[24:27], off offset:128
	scratch_store_dword off, v18, off offset:144
	s_and_saveexec_b64 s[8:9], vcc
	s_cbranch_execz .LBB2140_102
; %bb.95:
	v_mov_b32_e32 v8, 0
	s_mov_b32 s5, 0
	v_cmp_eq_u16_sdwa s[10:11], v12, v8 src0_sel:BYTE_0 src1_sel:DWORD
	s_and_saveexec_b64 s[2:3], s[10:11]
	s_cbranch_execz .LBB2140_101
; %bb.96:
	v_mov_b32_e32 v9, v8
.LBB2140_97:                            ; =>This Inner Loop Header: Depth=1
	s_add_i32 s10, s5, 36
	s_add_i32 s5, s5, 8
	s_cmp_lg_u32 s5, 32
	scratch_store_dwordx2 off, v[8:9], s10
	s_cbranch_scc1 .LBB2140_97
; %bb.98:
	s_mov_b32 s5, 0
.LBB2140_99:                            ; =>This Inner Loop Header: Depth=1
	s_add_i32 s10, s5, 0x70
	s_add_i32 s11, s5, 0
	scratch_load_dwordx2 v[0:1], off, s10
	scratch_load_dwordx2 v[2:3], off, s11
	s_add_i32 s10, s5, 36
	s_add_i32 s5, s5, 8
	s_cmp_lg_u32 s5, 32
	s_waitcnt vmcnt(0)
	v_add_u32_e32 v1, v3, v1
	v_add_u32_e32 v0, v2, v0
	scratch_store_dwordx2 off, v[0:1], s10
	s_cbranch_scc1 .LBB2140_99
; %bb.100:
	scratch_load_dwordx4 v[0:3], off, off offset:36
	scratch_load_dwordx4 v[4:7], off, off offset:52
.LBB2140_101:
	s_or_b64 exec, exec, s[2:3]
	v_and_b32_e32 v8, 1, v12
	v_cmp_eq_u32_e32 vcc, 1, v8
	v_and_b32_e32 v8, 1, v18
	v_cmp_eq_u32_e64 s[2:3], 1, v8
	s_or_b64 s[2:3], vcc, s[2:3]
	s_waitcnt vmcnt(1)
	scratch_store_dwordx4 off, v[0:3], off
	s_waitcnt vmcnt(1)
	scratch_store_dwordx4 off, v[4:7], off offset:16
	v_cndmask_b32_e64 v12, 0, 1, s[2:3]
.LBB2140_102:
	s_or_b64 exec, exec, s[8:9]
	scratch_load_dwordx4 v[0:3], off, off
	scratch_load_dwordx4 v[4:7], off, off offset:16
	s_waitcnt vmcnt(1)
	ds_write2_b32 v10, v2, v3 offset0:2 offset1:3
	ds_write2_b32 v10, v0, v1 offset1:1
	s_waitcnt vmcnt(0)
	ds_write2_b32 v10, v6, v7 offset0:6 offset1:7
	ds_write2_b32 v10, v4, v5 offset0:4 offset1:5
	ds_write_b8 v10, v12 offset:32
.LBB2140_103:
	s_or_b64 exec, exec, s[6:7]
	s_mov_b32 s8, 0
	s_mov_b32 s9, s8
	v_mov_b32_e32 v0, 0
	s_mov_b32 s10, s8
	s_mov_b32 s11, s8
	v_mov_b64_e32 v[2:3], s[8:9]
	v_mov_b64_e32 v[4:5], s[10:11]
	v_mov_b32_e32 v1, v0
	s_waitcnt lgkmcnt(0)
	s_barrier
	scratch_store_dword off, v0, off offset:144
	scratch_store_dwordx4 off, v[2:5], off offset:128
	scratch_store_dwordx4 off, v[2:5], off offset:112
.LBB2140_104:                           ; =>This Inner Loop Header: Depth=1
	s_add_i32 s2, s8, 0x70
	s_add_i32 s8, s8, 8
	s_cmp_lg_u32 s8, 32
	scratch_store_dwordx2 off, v[0:1], s2
	s_cbranch_scc1 .LBB2140_104
; %bb.105:
	v_cmp_gt_u32_e32 vcc, 64, v16
	v_cmp_lt_u32_e64 s[2:3], 63, v16
                                        ; implicit-def: $vgpr0_vgpr1
                                        ; implicit-def: $vgpr4_vgpr5
                                        ; implicit-def: $vgpr8
	s_and_saveexec_b64 s[6:7], s[2:3]
	s_xor_b64 s[6:7], exec, s[6:7]
	s_cbranch_execz .LBB2140_115
; %bb.106:
	scratch_load_ubyte v9, off, off offset:240
	v_not_b32_e32 v0, 35
	v_mad_u32_u24 v8, v11, 36, v0
	ds_read2_b32 v[0:1], v8 offset0:4 offset1:5
	ds_read2_b32 v[6:7], v8 offset0:2 offset1:3
	ds_read2_b32 v[4:5], v8 offset1:1
	ds_read2_b32 v[2:3], v8 offset0:6 offset1:7
	ds_read_u8 v8, v8 offset:32
	s_waitcnt lgkmcnt(2)
	scratch_store_dwordx4 off, v[4:7], off offset:112
	s_waitcnt lgkmcnt(1)
	scratch_store_dwordx4 off, v[0:3], off offset:128
                                        ; implicit-def: $vgpr0_vgpr1
                                        ; implicit-def: $vgpr4_vgpr5
	s_waitcnt vmcnt(2)
	v_cmp_ne_u16_e64 s[2:3], 0, v9
	s_and_saveexec_b64 s[8:9], s[2:3]
	s_xor_b64 s[2:3], exec, s[8:9]
	s_cbranch_execz .LBB2140_108
; %bb.107:
	scratch_load_dwordx4 v[0:3], off, off offset:208
	scratch_load_dwordx4 v[4:7], off, off offset:224
.LBB2140_108:
	s_andn2_saveexec_b64 s[2:3], s[2:3]
	s_cbranch_execz .LBB2140_114
; %bb.109:
	s_waitcnt vmcnt(1)
	v_mov_b32_e32 v0, 0
	s_mov_b32 s5, 0
	v_mov_b32_e32 v1, v0
.LBB2140_110:                           ; =>This Inner Loop Header: Depth=1
	s_add_i32 s8, s5, 0
	s_add_i32 s5, s5, 8
	s_cmp_lg_u32 s5, 32
	scratch_store_dwordx2 off, v[0:1], s8
	s_cbranch_scc1 .LBB2140_110
; %bb.111:
	s_mov_b32 s5, 0
.LBB2140_112:                           ; =>This Inner Loop Header: Depth=1
	s_add_i32 s8, s5, 0x70
	s_add_i32 s9, s5, 0xd0
	scratch_load_dwordx2 v[0:1], off, s8
	scratch_load_dwordx2 v[2:3], off, s9
	s_add_i32 s8, s5, 0
	s_add_i32 s5, s5, 8
	s_cmp_lg_u32 s5, 32
	s_waitcnt vmcnt(0)
	v_add_u32_e32 v1, v3, v1
	v_add_u32_e32 v0, v2, v0
	scratch_store_dwordx2 off, v[0:1], s8
	s_cbranch_scc1 .LBB2140_112
; %bb.113:
	scratch_load_dwordx4 v[0:3], off, off
	scratch_load_dwordx4 v[4:7], off, off offset:16
.LBB2140_114:
	s_or_b64 exec, exec, s[2:3]
	s_waitcnt lgkmcnt(0)
	v_or_b32_e32 v9, v9, v8
	v_and_b32_e32 v9, 1, v9
	scratch_store_byte off, v9, off offset:240
.LBB2140_115:
	s_andn2_saveexec_b64 s[2:3], s[6:7]
	s_cbranch_execz .LBB2140_117
; %bb.116:
	scratch_load_dwordx4 v[0:3], off, off offset:208
	scratch_load_dwordx4 v[4:7], off, off offset:224
	v_mov_b32_e32 v8, 0
.LBB2140_117:
	s_or_b64 exec, exec, s[2:3]
	scratch_load_dword v9, off, off offset:240
	v_add_u32_e32 v10, -1, v17
	v_and_b32_e32 v11, 64, v17
	v_cmp_lt_i32_e64 s[2:3], v10, v11
	s_nop 1
	v_cndmask_b32_e64 v10, v10, v17, s[2:3]
	v_lshlrev_b32_e32 v10, 2, v10
	s_waitcnt vmcnt(2)
	ds_bpermute_b32 v0, v10, v0
	ds_bpermute_b32 v1, v10, v1
	;; [unrolled: 1-line block ×4, first 2 shown]
	s_waitcnt vmcnt(1)
	ds_bpermute_b32 v4, v10, v4
	ds_bpermute_b32 v5, v10, v5
	;; [unrolled: 1-line block ×4, first 2 shown]
	v_cmp_eq_u32_e64 s[2:3], 0, v17
	s_waitcnt vmcnt(0)
	ds_bpermute_b32 v9, v10, v9
	s_waitcnt lgkmcnt(5)
	scratch_store_dwordx4 off, v[0:3], off offset:208
	s_waitcnt lgkmcnt(1)
	scratch_store_dwordx4 off, v[4:7], off offset:224
	s_waitcnt lgkmcnt(0)
	scratch_store_byte off, v9, off offset:240
	v_and_b32_e32 v0, 1, v9
	v_cmp_eq_u32_e64 s[22:23], 1, v0
	s_and_saveexec_b64 s[8:9], s[2:3]
	s_cbranch_execz .LBB2140_119
; %bb.118:
	scratch_load_dwordx4 v[0:3], off, off offset:112
	scratch_load_dwordx4 v[4:7], off, off offset:128
	v_and_b32_e32 v9, 1, v8
	v_cmp_eq_u32_e64 s[6:7], 1, v9
	s_andn2_b64 s[10:11], s[22:23], exec
	s_and_b64 s[6:7], s[6:7], exec
	s_or_b64 s[22:23], s[10:11], s[6:7]
	scratch_store_byte off, v8, off offset:240
	s_waitcnt vmcnt(2)
	scratch_store_dwordx4 off, v[0:3], off offset:208
	s_waitcnt vmcnt(2)
	scratch_store_dwordx4 off, v[4:7], off offset:224
.LBB2140_119:
	s_or_b64 exec, exec, s[8:9]
	s_and_saveexec_b64 s[24:25], vcc
	s_cbranch_execz .LBB2140_260
; %bb.120:
	v_mov_b32_e32 v8, 0
	ds_read2_b32 v[0:1], v8 offset0:27 offset1:28
	ds_read2_b32 v[2:3], v8 offset0:29 offset1:30
	;; [unrolled: 1-line block ×4, first 2 shown]
	ds_read_b32 v9, v8 offset:140
	s_waitcnt lgkmcnt(3)
	scratch_store_dwordx4 off, v[0:3], off offset:72
	s_waitcnt lgkmcnt(1)
	scratch_store_dwordx4 off, v[4:7], off offset:88
	s_waitcnt lgkmcnt(0)
	scratch_store_dword off, v9, off offset:104
	s_and_saveexec_b64 s[6:7], s[2:3]
	s_cbranch_execz .LBB2140_122
; %bb.121:
	s_movk_i32 s5, 0xff
	v_lshrrev_b32_e32 v10, 8, v9
	v_and_b32_sdwa v12, v9, s5 dst_sel:DWORD dst_unused:UNUSED_PAD src0_sel:WORD_1 src1_sel:DWORD
	v_mov_b32_e32 v13, 8
	s_add_i32 s5, s4, 64
	v_lshlrev_b32_sdwa v10, v13, v10 dst_sel:DWORD dst_unused:UNUSED_PAD src0_sel:DWORD src1_sel:BYTE_0
	s_mul_i32 s8, s5, 36
	v_lshrrev_b32_e32 v11, 24, v9
	v_or_b32_sdwa v9, v10, v9 dst_sel:DWORD dst_unused:UNUSED_PAD src0_sel:DWORD src1_sel:BYTE_0
	v_lshlrev_b32_e32 v10, 16, v12
	s_mul_hi_u32 s9, s5, 36
	s_add_u32 s8, s12, s8
	v_or_b32_e32 v9, v9, v10
	v_lshlrev_b32_e32 v10, 24, v11
	s_addc_u32 s9, s13, s9
	v_or_b32_e32 v9, v9, v10
	global_store_dword v8, v0, s[8:9] sc1
	global_store_dword v8, v1, s[8:9] offset:4 sc1
	global_store_dword v8, v2, s[8:9] offset:8 sc1
	;; [unrolled: 1-line block ×8, first 2 shown]
	v_mov_b32_e32 v0, s5
	v_mov_b32_e32 v1, 1
	s_waitcnt vmcnt(0)
	global_store_byte v0, v1, s[16:17] sc1
.LBB2140_122:
	s_or_b64 exec, exec, s[6:7]
	s_mov_b32 s8, 0
	s_mov_b32 s9, s8
	;; [unrolled: 1-line block ×4, first 2 shown]
	v_mov_b64_e32 v[0:1], s[8:9]
	v_mov_b64_e32 v[2:3], s[10:11]
	v_mov_b32_e32 v9, v8
	scratch_store_dword off, v8, off offset:68
	scratch_store_dwordx4 off, v[0:3], off offset:52
	scratch_store_dwordx4 off, v[0:3], off offset:36
.LBB2140_123:                           ; =>This Inner Loop Header: Depth=1
	s_add_i32 s5, s8, 36
	s_add_i32 s8, s8, 8
	s_cmp_lg_u32 s8, 32
	scratch_store_dwordx2 off, v[8:9], s5
	s_cbranch_scc1 .LBB2140_123
; %bb.124:
	v_mov_b32_e32 v1, 0
	v_xad_u32 v8, v17, -1, s4
	scratch_store_byte off, v1, off offset:68
	v_add_u32_e32 v0, 64, v8
	global_load_ubyte v18, v0, s[16:17] sc1
	s_waitcnt vmcnt(0)
	v_cmp_eq_u16_e32 vcc, 0, v18
	s_and_saveexec_b64 s[6:7], vcc
	s_cbranch_execz .LBB2140_130
; %bb.125:
	v_lshl_add_u64 v[2:3], s[16:17], 0, v[0:1]
	s_mov_b32 s5, 1
	s_mov_b64 s[8:9], 0
.LBB2140_126:                           ; =>This Loop Header: Depth=1
                                        ;     Child Loop BB2140_127 Depth 2
	s_max_u32 s10, s5, 1
.LBB2140_127:                           ;   Parent Loop BB2140_126 Depth=1
                                        ; =>  This Inner Loop Header: Depth=2
	s_add_i32 s10, s10, -1
	s_cmp_eq_u32 s10, 0
	s_sleep 1
	s_cbranch_scc0 .LBB2140_127
; %bb.128:                              ;   in Loop: Header=BB2140_126 Depth=1
	global_load_ubyte v18, v[2:3], off sc1
	s_cmp_lt_u32 s5, 32
	s_cselect_b64 s[10:11], -1, 0
	s_cmp_lg_u64 s[10:11], 0
	s_addc_u32 s5, s5, 0
	s_waitcnt vmcnt(0)
	v_cmp_ne_u16_e32 vcc, 0, v18
	s_or_b64 s[8:9], vcc, s[8:9]
	s_andn2_b64 exec, exec, s[8:9]
	s_cbranch_execnz .LBB2140_126
; %bb.129:
	s_or_b64 exec, exec, s[8:9]
.LBB2140_130:
	s_or_b64 exec, exec, s[6:7]
	v_mov_b32_e32 v1, s15
	v_mov_b32_e32 v2, s13
	v_cmp_eq_u16_e32 vcc, 1, v18
	s_waitcnt vmcnt(0)
	s_nop 0
	v_cndmask_b32_e32 v3, v1, v2, vcc
	v_mov_b32_e32 v1, s14
	v_mov_b32_e32 v2, s12
	v_cndmask_b32_e32 v2, v1, v2, vcc
	v_mad_u64_u32 v[10:11], s[6:7], v0, 36, v[2:3]
	global_load_dword v0, v[10:11], off sc1
	global_load_dword v1, v[10:11], off offset:4 sc1
	global_load_dword v2, v[10:11], off offset:8 sc1
	;; [unrolled: 1-line block ×8, first 2 shown]
	v_mov_b32_e32 v10, 0
	s_mov_b32 s5, 0
	v_mov_b32_e32 v11, v10
	scratch_store_dword off, v10, off offset:144
	s_waitcnt vmcnt(6)
	scratch_store_dwordx4 off, v[0:3], off offset:36
	s_waitcnt vmcnt(3)
	scratch_store_dwordx4 off, v[4:7], off offset:52
	s_waitcnt vmcnt(3)
	scratch_store_byte off, v9, off offset:68
.LBB2140_131:                           ; =>This Inner Loop Header: Depth=1
	s_add_i32 s6, s5, 0x70
	s_add_i32 s5, s5, 8
	s_cmp_lg_u32 s5, 32
	scratch_store_dwordx2 off, v[10:11], s6
	s_cbranch_scc1 .LBB2140_131
; %bb.132:
	scratch_load_dword v30, off, off offset:68
	v_lshlrev_b64 v[10:11], v17, -1
	v_cmp_eq_u16_e32 vcc, 2, v18
	v_and_b32_e32 v19, 63, v17
	s_nop 0
	v_and_b32_e32 v9, vcc_hi, v11
	v_and_b32_e32 v12, vcc_lo, v10
	v_cmp_ne_u32_e32 vcc, 63, v19
	v_or_b32_e32 v9, 0x80000000, v9
	v_ffbl_b32_e32 v9, v9
	v_addc_co_u32_e32 v13, vcc, 0, v17, vcc
	v_lshlrev_b32_e32 v20, 2, v13
	ds_bpermute_b32 v22, v20, v0
	ds_bpermute_b32 v23, v20, v1
	;; [unrolled: 1-line block ×8, first 2 shown]
	v_add_u32_e32 v9, 32, v9
	v_ffbl_b32_e32 v12, v12
	v_min_u32_e32 v9, v12, v9
	v_cmp_lt_u32_e32 vcc, v19, v9
	s_waitcnt lgkmcnt(4)
	scratch_store_dwordx4 off, v[22:25], off offset:112
	s_waitcnt lgkmcnt(0)
	scratch_store_dwordx4 off, v[26:29], off offset:128
	s_waitcnt vmcnt(2)
	ds_bpermute_b32 v21, v20, v30
	s_and_saveexec_b64 s[6:7], vcc
	s_cbranch_execz .LBB2140_140
; %bb.133:
	v_mov_b32_e32 v12, 0
	v_cmp_eq_u16_sdwa s[10:11], v30, v12 src0_sel:BYTE_0 src1_sel:DWORD
	s_and_saveexec_b64 s[8:9], s[10:11]
	s_cbranch_execz .LBB2140_139
; %bb.134:
	s_mov_b32 s5, 0
	v_mov_b32_e32 v13, v12
.LBB2140_135:                           ; =>This Inner Loop Header: Depth=1
	s_add_i32 s10, s5, 0
	s_add_i32 s5, s5, 8
	s_cmp_lg_u32 s5, 32
	scratch_store_dwordx2 off, v[12:13], s10
	s_cbranch_scc1 .LBB2140_135
; %bb.136:
	s_mov_b32 s5, 0
.LBB2140_137:                           ; =>This Inner Loop Header: Depth=1
	s_add_i32 s10, s5, 0x70
	s_add_i32 s11, s5, 36
	scratch_load_dwordx2 v[0:1], off, s10
	scratch_load_dwordx2 v[2:3], off, s11
	s_add_i32 s10, s5, 0
	s_add_i32 s5, s5, 8
	s_cmp_lg_u32 s5, 32
	s_waitcnt vmcnt(0)
	v_add_u32_e32 v1, v3, v1
	v_add_u32_e32 v0, v2, v0
	scratch_store_dwordx2 off, v[0:1], s10
	s_cbranch_scc1 .LBB2140_137
; %bb.138:
	scratch_load_dwordx4 v[0:3], off, off
	scratch_load_dwordx4 v[4:7], off, off offset:16
.LBB2140_139:
	s_or_b64 exec, exec, s[8:9]
	s_waitcnt lgkmcnt(0)
	v_or_b32_e32 v12, v21, v30
	v_and_b32_e32 v12, 1, v12
	scratch_store_byte off, v12, off offset:68
	scratch_load_dword v30, off, off offset:68
	s_waitcnt vmcnt(3)
	scratch_store_dwordx4 off, v[0:3], off offset:36
	s_waitcnt vmcnt(3)
	scratch_store_dwordx4 off, v[4:7], off offset:52
.LBB2140_140:
	s_or_b64 exec, exec, s[6:7]
	v_cmp_gt_u32_e32 vcc, 62, v19
	v_add_u32_e32 v22, 2, v19
	s_nop 0
	v_cndmask_b32_e64 v12, 0, 1, vcc
	v_lshlrev_b32_e32 v12, 1, v12
	s_waitcnt lgkmcnt(0)
	v_add_lshl_u32 v21, v12, v17, 2
	ds_bpermute_b32 v24, v21, v0
	ds_bpermute_b32 v25, v21, v1
	;; [unrolled: 1-line block ×4, first 2 shown]
	s_waitcnt vmcnt(2)
	ds_bpermute_b32 v23, v21, v30
	ds_bpermute_b32 v32, v21, v4
	;; [unrolled: 1-line block ×5, first 2 shown]
	v_cmp_le_u32_e32 vcc, v22, v9
	s_waitcnt lgkmcnt(5)
	scratch_store_dwordx4 off, v[24:27], off offset:112
	s_waitcnt lgkmcnt(0)
	scratch_store_dwordx4 off, v[32:35], off offset:128
	s_and_saveexec_b64 s[8:9], vcc
	s_cbranch_execz .LBB2140_148
; %bb.141:
	v_mov_b32_e32 v12, 0
	s_mov_b32 s5, 0
	v_cmp_eq_u16_sdwa s[10:11], v30, v12 src0_sel:BYTE_0 src1_sel:DWORD
	s_and_saveexec_b64 s[6:7], s[10:11]
	s_cbranch_execz .LBB2140_147
; %bb.142:
	v_mov_b32_e32 v13, v12
.LBB2140_143:                           ; =>This Inner Loop Header: Depth=1
	s_add_i32 s10, s5, 0
	s_add_i32 s5, s5, 8
	s_cmp_lg_u32 s5, 32
	scratch_store_dwordx2 off, v[12:13], s10
	s_cbranch_scc1 .LBB2140_143
; %bb.144:
	s_mov_b32 s5, 0
.LBB2140_145:                           ; =>This Inner Loop Header: Depth=1
	s_add_i32 s10, s5, 0x70
	s_add_i32 s11, s5, 36
	scratch_load_dwordx2 v[0:1], off, s10
	scratch_load_dwordx2 v[2:3], off, s11
	s_add_i32 s10, s5, 0
	s_add_i32 s5, s5, 8
	s_cmp_lg_u32 s5, 32
	s_waitcnt vmcnt(0)
	v_add_u32_e32 v1, v3, v1
	v_add_u32_e32 v0, v2, v0
	scratch_store_dwordx2 off, v[0:1], s10
	s_cbranch_scc1 .LBB2140_145
; %bb.146:
	scratch_load_dwordx4 v[0:3], off, off
	scratch_load_dwordx4 v[4:7], off, off offset:16
.LBB2140_147:
	s_or_b64 exec, exec, s[6:7]
	v_and_b32_e32 v12, 1, v30
	v_cmp_eq_u32_e32 vcc, 1, v12
	v_and_b32_e32 v12, 1, v23
	v_cmp_eq_u32_e64 s[6:7], 1, v12
	s_or_b64 s[6:7], vcc, s[6:7]
	s_nop 0
	v_cndmask_b32_e64 v12, 0, 1, s[6:7]
	scratch_store_byte off, v12, off offset:68
	scratch_load_dword v30, off, off offset:68
	s_waitcnt vmcnt(3)
	scratch_store_dwordx4 off, v[0:3], off offset:36
	s_waitcnt vmcnt(3)
	scratch_store_dwordx4 off, v[4:7], off offset:52
.LBB2140_148:
	s_or_b64 exec, exec, s[8:9]
	v_cmp_gt_u32_e32 vcc, 60, v19
	v_add_u32_e32 v24, 4, v19
	s_nop 0
	v_cndmask_b32_e64 v12, 0, 1, vcc
	v_lshlrev_b32_e32 v12, 2, v12
	v_add_lshl_u32 v23, v12, v17, 2
	ds_bpermute_b32 v26, v23, v0
	ds_bpermute_b32 v27, v23, v1
	;; [unrolled: 1-line block ×4, first 2 shown]
	s_waitcnt vmcnt(2)
	ds_bpermute_b32 v25, v23, v30
	ds_bpermute_b32 v32, v23, v4
	;; [unrolled: 1-line block ×5, first 2 shown]
	v_cmp_le_u32_e32 vcc, v24, v9
	s_waitcnt lgkmcnt(5)
	scratch_store_dwordx4 off, v[26:29], off offset:112
	s_waitcnt lgkmcnt(0)
	scratch_store_dwordx4 off, v[32:35], off offset:128
	s_and_saveexec_b64 s[8:9], vcc
	s_cbranch_execz .LBB2140_156
; %bb.149:
	v_mov_b32_e32 v12, 0
	s_mov_b32 s5, 0
	v_cmp_eq_u16_sdwa s[10:11], v30, v12 src0_sel:BYTE_0 src1_sel:DWORD
	s_and_saveexec_b64 s[6:7], s[10:11]
	s_cbranch_execz .LBB2140_155
; %bb.150:
	v_mov_b32_e32 v13, v12
.LBB2140_151:                           ; =>This Inner Loop Header: Depth=1
	s_add_i32 s10, s5, 0
	s_add_i32 s5, s5, 8
	s_cmp_lg_u32 s5, 32
	scratch_store_dwordx2 off, v[12:13], s10
	s_cbranch_scc1 .LBB2140_151
; %bb.152:
	s_mov_b32 s5, 0
.LBB2140_153:                           ; =>This Inner Loop Header: Depth=1
	s_add_i32 s10, s5, 0x70
	s_add_i32 s11, s5, 36
	scratch_load_dwordx2 v[0:1], off, s10
	scratch_load_dwordx2 v[2:3], off, s11
	s_add_i32 s10, s5, 0
	s_add_i32 s5, s5, 8
	s_cmp_lg_u32 s5, 32
	s_waitcnt vmcnt(0)
	v_add_u32_e32 v1, v3, v1
	v_add_u32_e32 v0, v2, v0
	scratch_store_dwordx2 off, v[0:1], s10
	s_cbranch_scc1 .LBB2140_153
; %bb.154:
	scratch_load_dwordx4 v[0:3], off, off
	scratch_load_dwordx4 v[4:7], off, off offset:16
.LBB2140_155:
	s_or_b64 exec, exec, s[6:7]
	v_and_b32_e32 v12, 1, v30
	v_cmp_eq_u32_e32 vcc, 1, v12
	v_and_b32_e32 v12, 1, v25
	v_cmp_eq_u32_e64 s[6:7], 1, v12
	s_or_b64 s[6:7], vcc, s[6:7]
	s_nop 0
	v_cndmask_b32_e64 v12, 0, 1, s[6:7]
	scratch_store_byte off, v12, off offset:68
	scratch_load_dword v30, off, off offset:68
	s_waitcnt vmcnt(3)
	scratch_store_dwordx4 off, v[0:3], off offset:36
	s_waitcnt vmcnt(3)
	scratch_store_dwordx4 off, v[4:7], off offset:52
.LBB2140_156:
	s_or_b64 exec, exec, s[8:9]
	v_cmp_gt_u32_e32 vcc, 56, v19
	v_add_u32_e32 v26, 8, v19
	s_nop 0
	v_cndmask_b32_e64 v12, 0, 1, vcc
	v_lshlrev_b32_e32 v12, 3, v12
	v_add_lshl_u32 v25, v12, v17, 2
	ds_bpermute_b32 v32, v25, v0
	ds_bpermute_b32 v33, v25, v1
	;; [unrolled: 1-line block ×4, first 2 shown]
	s_waitcnt vmcnt(2)
	ds_bpermute_b32 v27, v25, v30
	ds_bpermute_b32 v36, v25, v4
	;; [unrolled: 1-line block ×5, first 2 shown]
	v_cmp_le_u32_e32 vcc, v26, v9
	s_waitcnt lgkmcnt(5)
	scratch_store_dwordx4 off, v[32:35], off offset:112
	s_waitcnt lgkmcnt(0)
	scratch_store_dwordx4 off, v[36:39], off offset:128
	s_and_saveexec_b64 s[8:9], vcc
	s_cbranch_execz .LBB2140_164
; %bb.157:
	v_mov_b32_e32 v12, 0
	s_mov_b32 s5, 0
	v_cmp_eq_u16_sdwa s[10:11], v30, v12 src0_sel:BYTE_0 src1_sel:DWORD
	s_and_saveexec_b64 s[6:7], s[10:11]
	s_cbranch_execz .LBB2140_163
; %bb.158:
	v_mov_b32_e32 v13, v12
.LBB2140_159:                           ; =>This Inner Loop Header: Depth=1
	s_add_i32 s10, s5, 0
	s_add_i32 s5, s5, 8
	s_cmp_lg_u32 s5, 32
	scratch_store_dwordx2 off, v[12:13], s10
	s_cbranch_scc1 .LBB2140_159
; %bb.160:
	s_mov_b32 s5, 0
.LBB2140_161:                           ; =>This Inner Loop Header: Depth=1
	s_add_i32 s10, s5, 0x70
	s_add_i32 s11, s5, 36
	scratch_load_dwordx2 v[0:1], off, s10
	scratch_load_dwordx2 v[2:3], off, s11
	s_add_i32 s10, s5, 0
	s_add_i32 s5, s5, 8
	s_cmp_lg_u32 s5, 32
	s_waitcnt vmcnt(0)
	v_add_u32_e32 v1, v3, v1
	v_add_u32_e32 v0, v2, v0
	scratch_store_dwordx2 off, v[0:1], s10
	s_cbranch_scc1 .LBB2140_161
; %bb.162:
	scratch_load_dwordx4 v[0:3], off, off
	scratch_load_dwordx4 v[4:7], off, off offset:16
.LBB2140_163:
	s_or_b64 exec, exec, s[6:7]
	v_and_b32_e32 v12, 1, v30
	v_cmp_eq_u32_e32 vcc, 1, v12
	v_and_b32_e32 v12, 1, v27
	v_cmp_eq_u32_e64 s[6:7], 1, v12
	s_or_b64 s[6:7], vcc, s[6:7]
	s_nop 0
	v_cndmask_b32_e64 v12, 0, 1, s[6:7]
	scratch_store_byte off, v12, off offset:68
	scratch_load_dword v30, off, off offset:68
	s_waitcnt vmcnt(3)
	scratch_store_dwordx4 off, v[0:3], off offset:36
	s_waitcnt vmcnt(3)
	scratch_store_dwordx4 off, v[4:7], off offset:52
.LBB2140_164:
	s_or_b64 exec, exec, s[8:9]
	v_cmp_gt_u32_e32 vcc, 48, v19
	v_add_u32_e32 v28, 16, v19
	s_nop 0
	v_cndmask_b32_e64 v12, 0, 1, vcc
	v_lshlrev_b32_e32 v12, 4, v12
	v_add_lshl_u32 v27, v12, v17, 2
	ds_bpermute_b32 v32, v27, v0
	ds_bpermute_b32 v33, v27, v1
	;; [unrolled: 1-line block ×4, first 2 shown]
	s_waitcnt vmcnt(2)
	ds_bpermute_b32 v29, v27, v30
	ds_bpermute_b32 v36, v27, v4
	;; [unrolled: 1-line block ×5, first 2 shown]
	v_cmp_le_u32_e32 vcc, v28, v9
	s_waitcnt lgkmcnt(5)
	scratch_store_dwordx4 off, v[32:35], off offset:112
	s_waitcnt lgkmcnt(0)
	scratch_store_dwordx4 off, v[36:39], off offset:128
	s_and_saveexec_b64 s[8:9], vcc
	s_cbranch_execz .LBB2140_172
; %bb.165:
	v_mov_b32_e32 v12, 0
	s_mov_b32 s5, 0
	v_cmp_eq_u16_sdwa s[10:11], v30, v12 src0_sel:BYTE_0 src1_sel:DWORD
	s_and_saveexec_b64 s[6:7], s[10:11]
	s_cbranch_execz .LBB2140_171
; %bb.166:
	v_mov_b32_e32 v13, v12
.LBB2140_167:                           ; =>This Inner Loop Header: Depth=1
	s_add_i32 s10, s5, 0
	s_add_i32 s5, s5, 8
	s_cmp_lg_u32 s5, 32
	scratch_store_dwordx2 off, v[12:13], s10
	s_cbranch_scc1 .LBB2140_167
; %bb.168:
	s_mov_b32 s5, 0
.LBB2140_169:                           ; =>This Inner Loop Header: Depth=1
	s_add_i32 s10, s5, 0x70
	s_add_i32 s11, s5, 36
	scratch_load_dwordx2 v[0:1], off, s10
	scratch_load_dwordx2 v[2:3], off, s11
	s_add_i32 s10, s5, 0
	s_add_i32 s5, s5, 8
	s_cmp_lg_u32 s5, 32
	s_waitcnt vmcnt(0)
	v_add_u32_e32 v1, v3, v1
	v_add_u32_e32 v0, v2, v0
	scratch_store_dwordx2 off, v[0:1], s10
	s_cbranch_scc1 .LBB2140_169
; %bb.170:
	scratch_load_dwordx4 v[0:3], off, off
	scratch_load_dwordx4 v[4:7], off, off offset:16
.LBB2140_171:
	s_or_b64 exec, exec, s[6:7]
	v_and_b32_e32 v12, 1, v30
	v_cmp_eq_u32_e32 vcc, 1, v12
	v_and_b32_e32 v12, 1, v29
	v_cmp_eq_u32_e64 s[6:7], 1, v12
	s_or_b64 s[6:7], vcc, s[6:7]
	s_nop 0
	v_cndmask_b32_e64 v12, 0, 1, s[6:7]
	scratch_store_byte off, v12, off offset:68
	scratch_load_dword v30, off, off offset:68
	s_waitcnt vmcnt(3)
	scratch_store_dwordx4 off, v[0:3], off offset:36
	s_waitcnt vmcnt(3)
	scratch_store_dwordx4 off, v[4:7], off offset:52
.LBB2140_172:
	s_or_b64 exec, exec, s[8:9]
	v_cmp_gt_u32_e32 vcc, 32, v19
	v_add_u32_e32 v29, 32, v19
	s_nop 0
	v_cndmask_b32_e64 v12, 0, 1, vcc
	v_lshlrev_b32_e32 v12, 5, v12
	v_add_lshl_u32 v17, v12, v17, 2
	ds_bpermute_b32 v32, v17, v0
	ds_bpermute_b32 v33, v17, v1
	;; [unrolled: 1-line block ×4, first 2 shown]
	s_waitcnt vmcnt(2)
	ds_bpermute_b32 v31, v17, v30
	ds_bpermute_b32 v36, v17, v4
	;; [unrolled: 1-line block ×5, first 2 shown]
	v_cmp_le_u32_e32 vcc, v29, v9
	s_waitcnt lgkmcnt(5)
	scratch_store_dwordx4 off, v[32:35], off offset:112
	s_waitcnt lgkmcnt(0)
	scratch_store_dwordx4 off, v[36:39], off offset:128
	s_and_saveexec_b64 s[8:9], vcc
	s_cbranch_execz .LBB2140_180
; %bb.173:
	v_mov_b32_e32 v12, 0
	s_mov_b32 s5, 0
	v_cmp_eq_u16_sdwa s[10:11], v30, v12 src0_sel:BYTE_0 src1_sel:DWORD
	s_and_saveexec_b64 s[6:7], s[10:11]
	s_cbranch_execz .LBB2140_179
; %bb.174:
	v_mov_b32_e32 v13, v12
.LBB2140_175:                           ; =>This Inner Loop Header: Depth=1
	s_add_i32 s10, s5, 0
	s_add_i32 s5, s5, 8
	s_cmp_lg_u32 s5, 32
	scratch_store_dwordx2 off, v[12:13], s10
	s_cbranch_scc1 .LBB2140_175
; %bb.176:
	s_mov_b32 s5, 0
.LBB2140_177:                           ; =>This Inner Loop Header: Depth=1
	s_add_i32 s10, s5, 0x70
	s_add_i32 s11, s5, 36
	scratch_load_dwordx2 v[0:1], off, s10
	scratch_load_dwordx2 v[2:3], off, s11
	s_add_i32 s10, s5, 0
	s_add_i32 s5, s5, 8
	s_cmp_lg_u32 s5, 32
	s_waitcnt vmcnt(0)
	v_add_u32_e32 v1, v3, v1
	v_add_u32_e32 v0, v2, v0
	scratch_store_dwordx2 off, v[0:1], s10
	s_cbranch_scc1 .LBB2140_177
; %bb.178:
	scratch_load_dwordx4 v[0:3], off, off
	scratch_load_dwordx4 v[4:7], off, off offset:16
.LBB2140_179:
	s_or_b64 exec, exec, s[6:7]
	v_and_b32_e32 v9, 1, v30
	v_cmp_eq_u32_e32 vcc, 1, v9
	v_and_b32_e32 v9, 1, v31
	v_cmp_eq_u32_e64 s[6:7], 1, v9
	s_or_b64 s[6:7], vcc, s[6:7]
	s_nop 0
	v_cndmask_b32_e64 v9, 0, 1, s[6:7]
	s_waitcnt vmcnt(1)
	scratch_store_dwordx4 off, v[0:3], off offset:36
	s_waitcnt vmcnt(1)
	scratch_store_dwordx4 off, v[4:7], off offset:52
	scratch_store_byte off, v9, off offset:68
.LBB2140_180:
	s_or_b64 exec, exec, s[8:9]
	scratch_load_dwordx4 v[0:3], off, off offset:36
	scratch_load_dwordx4 v[4:7], off, off offset:52
	scratch_load_dword v9, off, off offset:68
	s_lshr_b32 s5, s34, 16
	s_mul_i32 s5, s5, s35
	v_mul_lo_u32 v30, s5, v16
	v_mov_b32_e32 v13, 0x6000
	v_add3_u32 v14, v30, v15, v14
	v_mov_b32_e32 v12, 0
	v_lshl_add_u32 v14, v14, 5, v13
	v_mov_b32_e32 v15, 2
	s_waitcnt vmcnt(2)
	scratch_store_dwordx4 off, v[0:3], off
	s_waitcnt vmcnt(2)
	scratch_store_dwordx4 off, v[4:7], off offset:16
	s_waitcnt vmcnt(2)
	scratch_store_dword off, v9, off offset:32
	s_branch .LBB2140_182
.LBB2140_181:                           ;   in Loop: Header=BB2140_182 Depth=1
	s_or_b64 exec, exec, s[8:9]
	v_and_b32_e32 v9, 1, v9
	v_cmp_eq_u32_e32 vcc, 1, v9
	s_or_b64 s[6:7], vcc, s[6:7]
	v_subrev_u32_e32 v8, 64, v8
	v_cndmask_b32_e64 v9, 0, 1, s[6:7]
	s_waitcnt vmcnt(1)
	scratch_store_dwordx4 off, v[0:3], off
	s_waitcnt vmcnt(1)
	scratch_store_dwordx4 off, v[4:7], off offset:16
	scratch_store_byte off, v9, off offset:32
.LBB2140_182:                           ; =>This Loop Header: Depth=1
                                        ;     Child Loop BB2140_185 Depth 2
                                        ;       Child Loop BB2140_186 Depth 3
                                        ;     Child Loop BB2140_190 Depth 2
                                        ;     Child Loop BB2140_194 Depth 2
	;; [unrolled: 1-line block ×15, first 2 shown]
	v_cmp_ne_u16_sdwa s[6:7], v18, v15 src0_sel:BYTE_0 src1_sel:DWORD
	s_nop 1
	v_cndmask_b32_e64 v0, 0, 1, s[6:7]
	;;#ASMSTART
	;;#ASMEND
	s_nop 0
	v_cmp_ne_u32_e32 vcc, 0, v0
	s_cmp_lg_u64 vcc, exec
	s_cbranch_scc1 .LBB2140_247
; %bb.183:                              ;   in Loop: Header=BB2140_182 Depth=1
	global_load_ubyte v18, v8, s[16:17] sc1
	v_mov_b32_e32 v9, v12
	s_waitcnt vmcnt(0)
	v_cmp_eq_u16_e32 vcc, 0, v18
	s_and_saveexec_b64 s[6:7], vcc
	s_cbranch_execz .LBB2140_189
; %bb.184:                              ;   in Loop: Header=BB2140_182 Depth=1
	v_lshl_add_u64 v[0:1], s[16:17], 0, v[8:9]
	s_mov_b32 s5, 1
	s_mov_b64 s[8:9], 0
.LBB2140_185:                           ;   Parent Loop BB2140_182 Depth=1
                                        ; =>  This Loop Header: Depth=2
                                        ;       Child Loop BB2140_186 Depth 3
	s_max_u32 s10, s5, 1
.LBB2140_186:                           ;   Parent Loop BB2140_182 Depth=1
                                        ;     Parent Loop BB2140_185 Depth=2
                                        ; =>    This Inner Loop Header: Depth=3
	s_add_i32 s10, s10, -1
	s_cmp_eq_u32 s10, 0
	s_sleep 1
	s_cbranch_scc0 .LBB2140_186
; %bb.187:                              ;   in Loop: Header=BB2140_185 Depth=2
	global_load_ubyte v18, v[0:1], off sc1
	s_cmp_lt_u32 s5, 32
	s_cselect_b64 s[10:11], -1, 0
	s_cmp_lg_u64 s[10:11], 0
	s_addc_u32 s5, s5, 0
	s_waitcnt vmcnt(0)
	v_cmp_ne_u16_e32 vcc, 0, v18
	s_or_b64 s[8:9], vcc, s[8:9]
	s_andn2_b64 exec, exec, s[8:9]
	s_cbranch_execnz .LBB2140_185
; %bb.188:                              ;   in Loop: Header=BB2140_182 Depth=1
	s_or_b64 exec, exec, s[8:9]
.LBB2140_189:                           ;   in Loop: Header=BB2140_182 Depth=1
	s_or_b64 exec, exec, s[6:7]
	v_mov_b32_e32 v0, s15
	v_mov_b32_e32 v1, s13
	v_cmp_eq_u16_e32 vcc, 1, v18
	v_mov_b32_e32 v2, s12
	s_waitcnt vmcnt(0)
	v_cndmask_b32_e32 v1, v0, v1, vcc
	v_mov_b32_e32 v0, s14
	v_cndmask_b32_e32 v0, v0, v2, vcc
	v_mad_u64_u32 v[30:31], s[6:7], v8, 36, v[0:1]
	global_load_dword v0, v[30:31], off sc1
	global_load_dword v1, v[30:31], off offset:4 sc1
	global_load_dword v2, v[30:31], off offset:8 sc1
	;; [unrolled: 1-line block ×8, first 2 shown]
	s_mov_b32 s5, 0
	scratch_store_dword off, v12, off offset:144
	s_waitcnt vmcnt(6)
	scratch_store_dwordx4 off, v[0:3], off offset:36
	s_waitcnt vmcnt(3)
	scratch_store_dwordx4 off, v[4:7], off offset:52
	s_waitcnt vmcnt(3)
	scratch_store_byte off, v9, off offset:68
.LBB2140_190:                           ;   Parent Loop BB2140_182 Depth=1
                                        ; =>  This Inner Loop Header: Depth=2
	s_add_i32 s6, s5, 0x70
	s_add_i32 s5, s5, 8
	v_mov_b32_e32 v13, v12
	s_cmp_lg_u32 s5, 32
	scratch_store_dwordx2 off, v[12:13], s6
	s_cbranch_scc1 .LBB2140_190
; %bb.191:                              ;   in Loop: Header=BB2140_182 Depth=1
	scratch_load_dword v13, off, off offset:68
	v_cmp_eq_u16_e32 vcc, 2, v18
	ds_bpermute_b32 v32, v20, v0
	ds_bpermute_b32 v33, v20, v1
	v_and_b32_e32 v9, vcc_hi, v11
	v_and_b32_e32 v30, vcc_lo, v10
	v_or_b32_e32 v9, 0x80000000, v9
	ds_bpermute_b32 v34, v20, v2
	ds_bpermute_b32 v35, v20, v3
	v_ffbl_b32_e32 v31, v30
	v_ffbl_b32_e32 v9, v9
	ds_bpermute_b32 v36, v20, v4
	ds_bpermute_b32 v37, v20, v5
	ds_bpermute_b32 v38, v20, v6
	ds_bpermute_b32 v39, v20, v7
	v_add_u32_e32 v9, 32, v9
	v_min_u32_e32 v9, v31, v9
	v_cmp_lt_u32_e32 vcc, v19, v9
	s_waitcnt lgkmcnt(4)
	scratch_store_dwordx4 off, v[32:35], off offset:112
	s_waitcnt lgkmcnt(0)
	scratch_store_dwordx4 off, v[36:39], off offset:128
	s_waitcnt vmcnt(2)
	ds_bpermute_b32 v30, v20, v13
	s_and_saveexec_b64 s[6:7], vcc
	s_cbranch_execz .LBB2140_199
; %bb.192:                              ;   in Loop: Header=BB2140_182 Depth=1
	v_cmp_eq_u16_sdwa s[10:11], v13, v12 src0_sel:BYTE_0 src1_sel:DWORD
	s_and_saveexec_b64 s[8:9], s[10:11]
	s_cbranch_execz .LBB2140_198
; %bb.193:                              ;   in Loop: Header=BB2140_182 Depth=1
	s_mov_b32 s5, 0
.LBB2140_194:                           ;   Parent Loop BB2140_182 Depth=1
                                        ; =>  This Inner Loop Header: Depth=2
	v_add_u32_e32 v0, s5, v14
	s_add_i32 s5, s5, 8
	s_cmp_lg_u32 s5, 32
	ds_write2_b32 v0, v12, v12 offset1:1
	s_cbranch_scc1 .LBB2140_194
; %bb.195:                              ;   in Loop: Header=BB2140_182 Depth=1
	s_mov_b32 s5, 0
.LBB2140_196:                           ;   Parent Loop BB2140_182 Depth=1
                                        ; =>  This Inner Loop Header: Depth=2
	s_add_i32 s10, s5, 0x70
	s_add_i32 s11, s5, 36
	scratch_load_dwordx2 v[0:1], off, s10
	scratch_load_dwordx2 v[2:3], off, s11
	v_add_u32_e32 v4, s5, v14
	s_add_i32 s5, s5, 8
	s_cmp_lg_u32 s5, 32
	s_waitcnt vmcnt(0)
	v_add_u32_e32 v1, v3, v1
	v_add_u32_e32 v0, v2, v0
	ds_write2_b32 v4, v0, v1 offset1:1
	s_cbranch_scc1 .LBB2140_196
; %bb.197:                              ;   in Loop: Header=BB2140_182 Depth=1
	ds_read2_b32 v[0:1], v14 offset1:1
	ds_read2_b32 v[2:3], v14 offset0:2 offset1:3
	ds_read2_b32 v[4:5], v14 offset0:4 offset1:5
	;; [unrolled: 1-line block ×3, first 2 shown]
.LBB2140_198:                           ;   in Loop: Header=BB2140_182 Depth=1
	s_or_b64 exec, exec, s[8:9]
	s_waitcnt lgkmcnt(0)
	v_or_b32_e32 v13, v30, v13
	v_and_b32_e32 v13, 1, v13
	scratch_store_byte off, v13, off offset:68
	scratch_load_dword v13, off, off offset:68
	s_nop 0
	scratch_store_dwordx4 off, v[0:3], off offset:36
	scratch_store_dwordx4 off, v[4:7], off offset:52
.LBB2140_199:                           ;   in Loop: Header=BB2140_182 Depth=1
	s_or_b64 exec, exec, s[6:7]
	ds_bpermute_b32 v32, v21, v0
	ds_bpermute_b32 v33, v21, v1
	;; [unrolled: 1-line block ×4, first 2 shown]
	s_waitcnt vmcnt(2) lgkmcnt(4)
	ds_bpermute_b32 v30, v21, v13
	ds_bpermute_b32 v36, v21, v4
	ds_bpermute_b32 v37, v21, v5
	ds_bpermute_b32 v38, v21, v6
	ds_bpermute_b32 v39, v21, v7
	v_cmp_le_u32_e32 vcc, v22, v9
	s_waitcnt lgkmcnt(5)
	scratch_store_dwordx4 off, v[32:35], off offset:112
	s_waitcnt lgkmcnt(0)
	scratch_store_dwordx4 off, v[36:39], off offset:128
	s_and_saveexec_b64 s[8:9], vcc
	s_cbranch_execz .LBB2140_207
; %bb.200:                              ;   in Loop: Header=BB2140_182 Depth=1
	v_cmp_eq_u16_sdwa s[10:11], v13, v12 src0_sel:BYTE_0 src1_sel:DWORD
	s_and_saveexec_b64 s[6:7], s[10:11]
	s_cbranch_execz .LBB2140_206
; %bb.201:                              ;   in Loop: Header=BB2140_182 Depth=1
	s_mov_b32 s5, 0
.LBB2140_202:                           ;   Parent Loop BB2140_182 Depth=1
                                        ; =>  This Inner Loop Header: Depth=2
	v_add_u32_e32 v0, s5, v14
	s_add_i32 s5, s5, 8
	s_cmp_lg_u32 s5, 32
	ds_write2_b32 v0, v12, v12 offset1:1
	s_cbranch_scc1 .LBB2140_202
; %bb.203:                              ;   in Loop: Header=BB2140_182 Depth=1
	s_mov_b32 s5, 0
.LBB2140_204:                           ;   Parent Loop BB2140_182 Depth=1
                                        ; =>  This Inner Loop Header: Depth=2
	s_add_i32 s10, s5, 0x70
	s_add_i32 s11, s5, 36
	scratch_load_dwordx2 v[0:1], off, s10
	scratch_load_dwordx2 v[2:3], off, s11
	v_add_u32_e32 v4, s5, v14
	s_add_i32 s5, s5, 8
	s_cmp_lg_u32 s5, 32
	s_waitcnt vmcnt(0)
	v_add_u32_e32 v1, v3, v1
	v_add_u32_e32 v0, v2, v0
	ds_write2_b32 v4, v0, v1 offset1:1
	s_cbranch_scc1 .LBB2140_204
; %bb.205:                              ;   in Loop: Header=BB2140_182 Depth=1
	ds_read2_b32 v[0:1], v14 offset1:1
	ds_read2_b32 v[2:3], v14 offset0:2 offset1:3
	ds_read2_b32 v[4:5], v14 offset0:4 offset1:5
	;; [unrolled: 1-line block ×3, first 2 shown]
.LBB2140_206:                           ;   in Loop: Header=BB2140_182 Depth=1
	s_or_b64 exec, exec, s[6:7]
	v_and_b32_e32 v13, 1, v13
	v_cmp_eq_u32_e32 vcc, 1, v13
	v_and_b32_e32 v13, 1, v30
	v_cmp_eq_u32_e64 s[6:7], 1, v13
	s_or_b64 s[6:7], vcc, s[6:7]
	s_nop 0
	v_cndmask_b32_e64 v13, 0, 1, s[6:7]
	scratch_store_byte off, v13, off offset:68
	scratch_load_dword v13, off, off offset:68
	s_waitcnt lgkmcnt(2)
	scratch_store_dwordx4 off, v[0:3], off offset:36
	s_waitcnt lgkmcnt(0)
	scratch_store_dwordx4 off, v[4:7], off offset:52
.LBB2140_207:                           ;   in Loop: Header=BB2140_182 Depth=1
	s_or_b64 exec, exec, s[8:9]
	ds_bpermute_b32 v32, v23, v0
	ds_bpermute_b32 v33, v23, v1
	;; [unrolled: 1-line block ×4, first 2 shown]
	s_waitcnt vmcnt(2)
	ds_bpermute_b32 v30, v23, v13
	ds_bpermute_b32 v36, v23, v4
	;; [unrolled: 1-line block ×5, first 2 shown]
	v_cmp_le_u32_e32 vcc, v24, v9
	s_waitcnt lgkmcnt(5)
	scratch_store_dwordx4 off, v[32:35], off offset:112
	s_waitcnt lgkmcnt(0)
	scratch_store_dwordx4 off, v[36:39], off offset:128
	s_and_saveexec_b64 s[8:9], vcc
	s_cbranch_execz .LBB2140_215
; %bb.208:                              ;   in Loop: Header=BB2140_182 Depth=1
	v_cmp_eq_u16_sdwa s[10:11], v13, v12 src0_sel:BYTE_0 src1_sel:DWORD
	s_and_saveexec_b64 s[6:7], s[10:11]
	s_cbranch_execz .LBB2140_214
; %bb.209:                              ;   in Loop: Header=BB2140_182 Depth=1
	s_mov_b32 s5, 0
.LBB2140_210:                           ;   Parent Loop BB2140_182 Depth=1
                                        ; =>  This Inner Loop Header: Depth=2
	v_add_u32_e32 v0, s5, v14
	s_add_i32 s5, s5, 8
	s_cmp_lg_u32 s5, 32
	ds_write2_b32 v0, v12, v12 offset1:1
	s_cbranch_scc1 .LBB2140_210
; %bb.211:                              ;   in Loop: Header=BB2140_182 Depth=1
	s_mov_b32 s5, 0
.LBB2140_212:                           ;   Parent Loop BB2140_182 Depth=1
                                        ; =>  This Inner Loop Header: Depth=2
	s_add_i32 s10, s5, 0x70
	s_add_i32 s11, s5, 36
	scratch_load_dwordx2 v[0:1], off, s10
	scratch_load_dwordx2 v[2:3], off, s11
	v_add_u32_e32 v4, s5, v14
	s_add_i32 s5, s5, 8
	s_cmp_lg_u32 s5, 32
	s_waitcnt vmcnt(0)
	v_add_u32_e32 v1, v3, v1
	v_add_u32_e32 v0, v2, v0
	ds_write2_b32 v4, v0, v1 offset1:1
	s_cbranch_scc1 .LBB2140_212
; %bb.213:                              ;   in Loop: Header=BB2140_182 Depth=1
	ds_read2_b32 v[0:1], v14 offset1:1
	ds_read2_b32 v[2:3], v14 offset0:2 offset1:3
	ds_read2_b32 v[4:5], v14 offset0:4 offset1:5
	;; [unrolled: 1-line block ×3, first 2 shown]
.LBB2140_214:                           ;   in Loop: Header=BB2140_182 Depth=1
	s_or_b64 exec, exec, s[6:7]
	v_and_b32_e32 v13, 1, v13
	v_cmp_eq_u32_e32 vcc, 1, v13
	v_and_b32_e32 v13, 1, v30
	v_cmp_eq_u32_e64 s[6:7], 1, v13
	s_or_b64 s[6:7], vcc, s[6:7]
	s_nop 0
	v_cndmask_b32_e64 v13, 0, 1, s[6:7]
	scratch_store_byte off, v13, off offset:68
	scratch_load_dword v13, off, off offset:68
	s_waitcnt lgkmcnt(2)
	scratch_store_dwordx4 off, v[0:3], off offset:36
	s_waitcnt lgkmcnt(0)
	scratch_store_dwordx4 off, v[4:7], off offset:52
.LBB2140_215:                           ;   in Loop: Header=BB2140_182 Depth=1
	s_or_b64 exec, exec, s[8:9]
	ds_bpermute_b32 v32, v25, v0
	ds_bpermute_b32 v33, v25, v1
	;; [unrolled: 1-line block ×4, first 2 shown]
	s_waitcnt vmcnt(2)
	ds_bpermute_b32 v30, v25, v13
	ds_bpermute_b32 v36, v25, v4
	;; [unrolled: 1-line block ×5, first 2 shown]
	v_cmp_le_u32_e32 vcc, v26, v9
	s_waitcnt lgkmcnt(5)
	scratch_store_dwordx4 off, v[32:35], off offset:112
	s_waitcnt lgkmcnt(0)
	scratch_store_dwordx4 off, v[36:39], off offset:128
	s_and_saveexec_b64 s[8:9], vcc
	s_cbranch_execz .LBB2140_223
; %bb.216:                              ;   in Loop: Header=BB2140_182 Depth=1
	v_cmp_eq_u16_sdwa s[10:11], v13, v12 src0_sel:BYTE_0 src1_sel:DWORD
	s_and_saveexec_b64 s[6:7], s[10:11]
	s_cbranch_execz .LBB2140_222
; %bb.217:                              ;   in Loop: Header=BB2140_182 Depth=1
	s_mov_b32 s5, 0
.LBB2140_218:                           ;   Parent Loop BB2140_182 Depth=1
                                        ; =>  This Inner Loop Header: Depth=2
	v_add_u32_e32 v0, s5, v14
	s_add_i32 s5, s5, 8
	s_cmp_lg_u32 s5, 32
	ds_write2_b32 v0, v12, v12 offset1:1
	s_cbranch_scc1 .LBB2140_218
; %bb.219:                              ;   in Loop: Header=BB2140_182 Depth=1
	s_mov_b32 s5, 0
.LBB2140_220:                           ;   Parent Loop BB2140_182 Depth=1
                                        ; =>  This Inner Loop Header: Depth=2
	s_add_i32 s10, s5, 0x70
	s_add_i32 s11, s5, 36
	scratch_load_dwordx2 v[0:1], off, s10
	scratch_load_dwordx2 v[2:3], off, s11
	v_add_u32_e32 v4, s5, v14
	s_add_i32 s5, s5, 8
	s_cmp_lg_u32 s5, 32
	s_waitcnt vmcnt(0)
	v_add_u32_e32 v1, v3, v1
	v_add_u32_e32 v0, v2, v0
	ds_write2_b32 v4, v0, v1 offset1:1
	s_cbranch_scc1 .LBB2140_220
; %bb.221:                              ;   in Loop: Header=BB2140_182 Depth=1
	ds_read2_b32 v[0:1], v14 offset1:1
	ds_read2_b32 v[2:3], v14 offset0:2 offset1:3
	ds_read2_b32 v[4:5], v14 offset0:4 offset1:5
	;; [unrolled: 1-line block ×3, first 2 shown]
.LBB2140_222:                           ;   in Loop: Header=BB2140_182 Depth=1
	s_or_b64 exec, exec, s[6:7]
	v_and_b32_e32 v13, 1, v13
	v_cmp_eq_u32_e32 vcc, 1, v13
	v_and_b32_e32 v13, 1, v30
	v_cmp_eq_u32_e64 s[6:7], 1, v13
	s_or_b64 s[6:7], vcc, s[6:7]
	s_nop 0
	v_cndmask_b32_e64 v13, 0, 1, s[6:7]
	scratch_store_byte off, v13, off offset:68
	scratch_load_dword v13, off, off offset:68
	s_waitcnt lgkmcnt(2)
	scratch_store_dwordx4 off, v[0:3], off offset:36
	s_waitcnt lgkmcnt(0)
	scratch_store_dwordx4 off, v[4:7], off offset:52
.LBB2140_223:                           ;   in Loop: Header=BB2140_182 Depth=1
	s_or_b64 exec, exec, s[8:9]
	ds_bpermute_b32 v32, v27, v0
	ds_bpermute_b32 v33, v27, v1
	ds_bpermute_b32 v34, v27, v2
	ds_bpermute_b32 v35, v27, v3
	s_waitcnt vmcnt(2)
	ds_bpermute_b32 v30, v27, v13
	ds_bpermute_b32 v36, v27, v4
	;; [unrolled: 1-line block ×5, first 2 shown]
	v_cmp_le_u32_e32 vcc, v28, v9
	s_waitcnt lgkmcnt(5)
	scratch_store_dwordx4 off, v[32:35], off offset:112
	s_waitcnt lgkmcnt(0)
	scratch_store_dwordx4 off, v[36:39], off offset:128
	s_and_saveexec_b64 s[8:9], vcc
	s_cbranch_execz .LBB2140_231
; %bb.224:                              ;   in Loop: Header=BB2140_182 Depth=1
	v_cmp_eq_u16_sdwa s[10:11], v13, v12 src0_sel:BYTE_0 src1_sel:DWORD
	s_and_saveexec_b64 s[6:7], s[10:11]
	s_cbranch_execz .LBB2140_230
; %bb.225:                              ;   in Loop: Header=BB2140_182 Depth=1
	s_mov_b32 s5, 0
.LBB2140_226:                           ;   Parent Loop BB2140_182 Depth=1
                                        ; =>  This Inner Loop Header: Depth=2
	v_add_u32_e32 v0, s5, v14
	s_add_i32 s5, s5, 8
	s_cmp_lg_u32 s5, 32
	ds_write2_b32 v0, v12, v12 offset1:1
	s_cbranch_scc1 .LBB2140_226
; %bb.227:                              ;   in Loop: Header=BB2140_182 Depth=1
	s_mov_b32 s5, 0
.LBB2140_228:                           ;   Parent Loop BB2140_182 Depth=1
                                        ; =>  This Inner Loop Header: Depth=2
	s_add_i32 s10, s5, 0x70
	s_add_i32 s11, s5, 36
	scratch_load_dwordx2 v[0:1], off, s10
	scratch_load_dwordx2 v[2:3], off, s11
	v_add_u32_e32 v4, s5, v14
	s_add_i32 s5, s5, 8
	s_cmp_lg_u32 s5, 32
	s_waitcnt vmcnt(0)
	v_add_u32_e32 v1, v3, v1
	v_add_u32_e32 v0, v2, v0
	ds_write2_b32 v4, v0, v1 offset1:1
	s_cbranch_scc1 .LBB2140_228
; %bb.229:                              ;   in Loop: Header=BB2140_182 Depth=1
	ds_read2_b32 v[0:1], v14 offset1:1
	ds_read2_b32 v[2:3], v14 offset0:2 offset1:3
	ds_read2_b32 v[4:5], v14 offset0:4 offset1:5
	ds_read2_b32 v[6:7], v14 offset0:6 offset1:7
.LBB2140_230:                           ;   in Loop: Header=BB2140_182 Depth=1
	s_or_b64 exec, exec, s[6:7]
	v_and_b32_e32 v13, 1, v13
	v_cmp_eq_u32_e32 vcc, 1, v13
	v_and_b32_e32 v13, 1, v30
	v_cmp_eq_u32_e64 s[6:7], 1, v13
	s_or_b64 s[6:7], vcc, s[6:7]
	s_nop 0
	v_cndmask_b32_e64 v13, 0, 1, s[6:7]
	scratch_store_byte off, v13, off offset:68
	scratch_load_dword v13, off, off offset:68
	s_waitcnt lgkmcnt(2)
	scratch_store_dwordx4 off, v[0:3], off offset:36
	s_waitcnt lgkmcnt(0)
	scratch_store_dwordx4 off, v[4:7], off offset:52
.LBB2140_231:                           ;   in Loop: Header=BB2140_182 Depth=1
	s_or_b64 exec, exec, s[8:9]
	ds_bpermute_b32 v32, v17, v0
	ds_bpermute_b32 v33, v17, v1
	ds_bpermute_b32 v34, v17, v2
	ds_bpermute_b32 v35, v17, v3
	s_waitcnt vmcnt(2)
	ds_bpermute_b32 v30, v17, v13
	ds_bpermute_b32 v36, v17, v4
	;; [unrolled: 1-line block ×5, first 2 shown]
	v_cmp_le_u32_e32 vcc, v29, v9
	v_and_b32_e32 v9, 1, v13
	v_cmp_eq_u32_e64 s[6:7], 1, v9
	s_waitcnt lgkmcnt(5)
	scratch_store_dwordx4 off, v[32:35], off offset:112
	s_waitcnt lgkmcnt(0)
	scratch_store_dwordx4 off, v[36:39], off offset:128
	s_and_saveexec_b64 s[8:9], vcc
	s_cbranch_execz .LBB2140_239
; %bb.232:                              ;   in Loop: Header=BB2140_182 Depth=1
	v_cmp_eq_u16_sdwa s[34:35], v13, v12 src0_sel:BYTE_0 src1_sel:DWORD
	s_and_saveexec_b64 s[10:11], s[34:35]
	s_cbranch_execz .LBB2140_238
; %bb.233:                              ;   in Loop: Header=BB2140_182 Depth=1
	s_mov_b32 s5, 0
.LBB2140_234:                           ;   Parent Loop BB2140_182 Depth=1
                                        ; =>  This Inner Loop Header: Depth=2
	v_add_u32_e32 v0, s5, v14
	s_add_i32 s5, s5, 8
	s_cmp_lg_u32 s5, 32
	ds_write2_b32 v0, v12, v12 offset1:1
	s_cbranch_scc1 .LBB2140_234
; %bb.235:                              ;   in Loop: Header=BB2140_182 Depth=1
	s_mov_b32 s5, 0
.LBB2140_236:                           ;   Parent Loop BB2140_182 Depth=1
                                        ; =>  This Inner Loop Header: Depth=2
	s_add_i32 s34, s5, 0x70
	s_add_i32 s35, s5, 36
	scratch_load_dwordx2 v[0:1], off, s34
	scratch_load_dwordx2 v[2:3], off, s35
	v_add_u32_e32 v4, s5, v14
	s_add_i32 s5, s5, 8
	s_cmp_lg_u32 s5, 32
	s_waitcnt vmcnt(0)
	v_add_u32_e32 v1, v3, v1
	v_add_u32_e32 v0, v2, v0
	ds_write2_b32 v4, v0, v1 offset1:1
	s_cbranch_scc1 .LBB2140_236
; %bb.237:                              ;   in Loop: Header=BB2140_182 Depth=1
	ds_read2_b32 v[0:1], v14 offset1:1
	ds_read2_b32 v[2:3], v14 offset0:2 offset1:3
	ds_read2_b32 v[4:5], v14 offset0:4 offset1:5
	;; [unrolled: 1-line block ×3, first 2 shown]
.LBB2140_238:                           ;   in Loop: Header=BB2140_182 Depth=1
	s_or_b64 exec, exec, s[10:11]
	v_and_b32_e32 v9, 1, v30
	v_cmp_eq_u32_e32 vcc, 1, v9
	s_or_b64 s[10:11], s[6:7], vcc
	v_cndmask_b32_e64 v9, 0, 1, s[10:11]
	s_andn2_b64 s[6:7], s[6:7], exec
	s_and_b64 s[10:11], s[10:11], exec
	s_or_b64 s[6:7], s[6:7], s[10:11]
	s_waitcnt lgkmcnt(2)
	scratch_store_dwordx4 off, v[0:3], off offset:36
	s_waitcnt lgkmcnt(0)
	scratch_store_dwordx4 off, v[4:7], off offset:52
	scratch_store_byte off, v9, off offset:68
.LBB2140_239:                           ;   in Loop: Header=BB2140_182 Depth=1
	s_or_b64 exec, exec, s[8:9]
	scratch_load_ubyte v9, off, off offset:32
                                        ; implicit-def: $vgpr6_vgpr7
                                        ; implicit-def: $vgpr2_vgpr3
	s_waitcnt vmcnt(0)
	v_cmp_ne_u16_e32 vcc, 0, v9
	s_and_saveexec_b64 s[8:9], vcc
	s_xor_b64 s[8:9], exec, s[8:9]
	s_cbranch_execz .LBB2140_241
; %bb.240:                              ;   in Loop: Header=BB2140_182 Depth=1
	scratch_load_dwordx4 v[0:3], off, off
	scratch_load_dwordx4 v[4:7], off, off offset:16
.LBB2140_241:                           ;   in Loop: Header=BB2140_182 Depth=1
	s_andn2_saveexec_b64 s[8:9], s[8:9]
	s_cbranch_execz .LBB2140_181
; %bb.242:                              ;   in Loop: Header=BB2140_182 Depth=1
	s_mov_b32 s5, 0
.LBB2140_243:                           ;   Parent Loop BB2140_182 Depth=1
                                        ; =>  This Inner Loop Header: Depth=2
	s_add_i32 s10, s5, 0x70
	s_add_i32 s5, s5, 8
	v_mov_b32_e32 v13, v12
	s_cmp_lg_u32 s5, 32
	scratch_store_dwordx2 off, v[12:13], s10
	s_cbranch_scc1 .LBB2140_243
; %bb.244:                              ;   in Loop: Header=BB2140_182 Depth=1
	s_mov_b32 s5, 0
.LBB2140_245:                           ;   Parent Loop BB2140_182 Depth=1
                                        ; =>  This Inner Loop Header: Depth=2
	s_add_i32 s10, s5, 36
	s_add_i32 s11, s5, 0
	scratch_load_dwordx2 v[0:1], off, s10
	scratch_load_dwordx2 v[2:3], off, s11
	s_add_i32 s10, s5, 0x70
	s_add_i32 s5, s5, 8
	s_cmp_lg_u32 s5, 32
	s_waitcnt vmcnt(0)
	v_add_u32_e32 v1, v3, v1
	v_add_u32_e32 v0, v2, v0
	scratch_store_dwordx2 off, v[0:1], s10
	s_cbranch_scc1 .LBB2140_245
; %bb.246:                              ;   in Loop: Header=BB2140_182 Depth=1
	scratch_load_dwordx4 v[0:3], off, off offset:112
	scratch_load_dwordx4 v[4:7], off, off offset:128
	s_branch .LBB2140_181
.LBB2140_247:                           ;   in Loop: Header=BB2140_182 Depth=1
                                        ; implicit-def: $vgpr8
                                        ; implicit-def: $vgpr18
	s_cbranch_execz .LBB2140_182
; %bb.248:
	scratch_load_dwordx4 v[4:7], off, off
	scratch_load_dwordx4 v[0:3], off, off offset:16
	scratch_load_dword v15, off, off offset:32
	s_waitcnt vmcnt(2)
	scratch_store_dwordx4 off, v[4:7], off offset:112
	s_waitcnt vmcnt(2)
	scratch_store_dwordx4 off, v[0:3], off offset:128
	s_waitcnt vmcnt(2)
	scratch_store_dword off, v15, off offset:144
	s_and_saveexec_b64 s[6:7], s[2:3]
	s_cbranch_execz .LBB2140_258
; %bb.249:
	scratch_load_ubyte v17, off, off offset:104
                                        ; implicit-def: $vgpr18_vgpr19
                                        ; implicit-def: $vgpr8_vgpr9
                                        ; implicit-def: $vgpr20
                                        ; implicit-def: $vgpr12
	s_waitcnt vmcnt(0)
	v_cmp_ne_u16_e32 vcc, 0, v17
	s_and_saveexec_b64 s[2:3], vcc
	s_xor_b64 s[2:3], exec, s[2:3]
	s_cbranch_execz .LBB2140_251
; %bb.250:
	scratch_load_dwordx3 v[12:14], off, off offset:72
	scratch_load_dwordx4 v[8:11], off, off offset:84
	scratch_load_dword v20, off, off offset:100
	s_waitcnt vmcnt(2)
	v_mov_b32_e32 v18, v13
	v_mov_b32_e32 v19, v14
.LBB2140_251:
	s_andn2_saveexec_b64 s[2:3], s[2:3]
	s_cbranch_execz .LBB2140_257
; %bb.252:
	s_waitcnt vmcnt(1)
	v_mov_b32_e32 v8, 0
	s_mov_b32 s5, 0
	v_mov_b32_e32 v9, v8
.LBB2140_253:                           ; =>This Inner Loop Header: Depth=1
	s_add_i32 s8, s5, 0
	s_add_i32 s5, s5, 8
	s_cmp_lg_u32 s5, 32
	scratch_store_dwordx2 off, v[8:9], s8
	s_cbranch_scc1 .LBB2140_253
; %bb.254:
	s_mov_b32 s5, 0
.LBB2140_255:                           ; =>This Inner Loop Header: Depth=1
	s_add_i32 s8, s5, 0x70
	s_add_i32 s9, s5, 0x48
	scratch_load_dwordx2 v[8:9], off, s8
	scratch_load_dwordx2 v[10:11], off, s9
	s_add_i32 s8, s5, 0
	s_add_i32 s5, s5, 8
	s_cmp_lg_u32 s5, 32
	s_waitcnt vmcnt(0)
	v_add_u32_e32 v9, v11, v9
	v_add_u32_e32 v8, v10, v8
	scratch_store_dwordx2 off, v[8:9], s8
	s_cbranch_scc1 .LBB2140_255
; %bb.256:
	scratch_load_dwordx3 v[12:14], off, off
	scratch_load_dwordx4 v[8:11], off, off offset:12
	scratch_load_dword v20, off, off offset:28
	s_waitcnt vmcnt(2)
	v_mov_b32_e32 v18, v13
	v_mov_b32_e32 v19, v14
.LBB2140_257:
	s_or_b64 exec, exec, s[2:3]
	s_add_i32 s4, s4, 64
	v_and_b32_e32 v13, 1, v17
	s_mul_i32 s2, s4, 36
	v_and_b32_e32 v14, 1, v15
	v_cmp_eq_u32_e32 vcc, 1, v13
	s_mul_hi_u32 s3, s4, 36
	s_add_u32 s2, s14, s2
	v_cndmask_b32_e64 v13, v14, 1, vcc
	s_addc_u32 s3, s15, s3
	v_mov_b32_e32 v14, 0
	global_store_dword v14, v12, s[2:3] sc1
	global_store_dword v14, v18, s[2:3] offset:4 sc1
	global_store_dword v14, v19, s[2:3] offset:8 sc1
	s_waitcnt vmcnt(4)
	global_store_dword v14, v8, s[2:3] offset:12 sc1
	global_store_dword v14, v9, s[2:3] offset:16 sc1
	;; [unrolled: 1-line block ×4, first 2 shown]
	s_waitcnt vmcnt(7)
	global_store_dword v14, v20, s[2:3] offset:28 sc1
	global_store_dword v14, v13, s[2:3] offset:32 sc1
	v_mov_b32_e32 v8, s4
	v_mov_b32_e32 v9, 2
	s_waitcnt vmcnt(0)
	global_store_byte v8, v9, s[16:17] sc1
.LBB2140_258:
	s_or_b64 exec, exec, s[6:7]
	v_cmp_eq_u32_e32 vcc, 0, v16
	s_and_b64 exec, exec, vcc
	s_cbranch_execz .LBB2140_260
; %bb.259:
	v_mov_b32_e32 v8, 0
	ds_write2_b32 v8, v4, v5 offset0:27 offset1:28
	ds_write2_b32 v8, v6, v7 offset0:29 offset1:30
	;; [unrolled: 1-line block ×4, first 2 shown]
	ds_write_b8 v8, v15 offset:140
.LBB2140_260:
	s_or_b64 exec, exec, s[24:25]
	s_waitcnt lgkmcnt(0)
	s_barrier
	scratch_load_ubyte v8, off, off offset:320
	v_mov_b32_e32 v0, 0
	ds_read2_b32 v[2:3], v0 offset0:27 offset1:28
	ds_read2_b32 v[4:5], v0 offset0:29 offset1:30
	;; [unrolled: 1-line block ×4, first 2 shown]
	ds_read_b32 v9, v0 offset:140
	v_cmp_ne_u32_e32 vcc, 0, v16
	s_waitcnt lgkmcnt(3)
	scratch_store_dwordx4 off, v[2:5], off offset:112
	s_waitcnt lgkmcnt(1)
	scratch_store_dwordx4 off, v[10:13], off offset:128
	s_waitcnt lgkmcnt(0)
	scratch_store_dword off, v9, off offset:144
	s_and_saveexec_b64 s[2:3], vcc
	s_cbranch_execz .LBB2140_270
; %bb.261:
	s_waitcnt vmcnt(3)
	v_cmp_ne_u16_sdwa s[4:5], v8, v0 src0_sel:BYTE_0 src1_sel:DWORD
                                        ; implicit-def: $vgpr6_vgpr7
                                        ; implicit-def: $vgpr2_vgpr3
	s_and_saveexec_b64 s[6:7], s[4:5]
	s_xor_b64 s[4:5], exec, s[6:7]
	s_cbranch_execz .LBB2140_263
; %bb.262:
	scratch_load_dwordx4 v[0:3], off, off offset:288
	scratch_load_dwordx4 v[4:7], off, off offset:304
.LBB2140_263:
	s_andn2_saveexec_b64 s[4:5], s[4:5]
	s_cbranch_execz .LBB2140_269
; %bb.264:
	s_waitcnt vmcnt(1)
	v_mov_b32_e32 v0, 0
	s_mov_b32 s6, 0
	v_mov_b32_e32 v1, v0
.LBB2140_265:                           ; =>This Inner Loop Header: Depth=1
	s_add_i32 s7, s6, 0
	s_add_i32 s6, s6, 8
	s_cmp_lg_u32 s6, 32
	scratch_store_dwordx2 off, v[0:1], s7
	s_cbranch_scc1 .LBB2140_265
; %bb.266:
	s_mov_b32 s6, 0
.LBB2140_267:                           ; =>This Inner Loop Header: Depth=1
	s_add_i32 s7, s6, 0xd0
	s_add_i32 s8, s6, 0x120
	scratch_load_dwordx2 v[0:1], off, s7
	scratch_load_dwordx2 v[2:3], off, s8
	s_add_i32 s7, s6, 0
	s_add_i32 s6, s6, 8
	s_cmp_lg_u32 s6, 32
	s_waitcnt vmcnt(0)
	v_add_u32_e32 v1, v3, v1
	v_add_u32_e32 v0, v2, v0
	scratch_store_dwordx2 off, v[0:1], s7
	s_cbranch_scc1 .LBB2140_267
; %bb.268:
	scratch_load_dwordx4 v[0:3], off, off
	scratch_load_dwordx4 v[4:7], off, off offset:16
.LBB2140_269:
	s_or_b64 exec, exec, s[4:5]
	v_and_b32_e32 v8, 1, v8
	v_cmp_eq_u32_e32 vcc, 1, v8
	s_or_b64 s[4:5], vcc, s[22:23]
	v_cndmask_b32_e64 v8, 0, 1, s[4:5]
	s_waitcnt vmcnt(1)
	scratch_store_dwordx4 off, v[0:3], off offset:288
	s_waitcnt vmcnt(1)
	scratch_store_dwordx4 off, v[4:7], off offset:304
.LBB2140_270:
	s_or_b64 exec, exec, s[2:3]
	v_mov_b32_e32 v0, 0
	s_waitcnt vmcnt(3)
	v_cmp_ne_u16_sdwa s[2:3], v8, v0 src0_sel:BYTE_0 src1_sel:DWORD
                                        ; implicit-def: $vgpr6_vgpr7
                                        ; implicit-def: $vgpr2_vgpr3
	s_and_saveexec_b64 s[4:5], s[2:3]
	s_xor_b64 s[2:3], exec, s[4:5]
	s_cbranch_execz .LBB2140_272
; %bb.271:
	scratch_load_dwordx4 v[0:3], off, off offset:288
	scratch_load_dwordx4 v[4:7], off, off offset:304
.LBB2140_272:
	s_andn2_saveexec_b64 s[2:3], s[2:3]
	s_cbranch_execz .LBB2140_278
; %bb.273:
	s_waitcnt vmcnt(1)
	v_mov_b32_e32 v0, 0
	s_mov_b32 s4, 0
	v_mov_b32_e32 v1, v0
.LBB2140_274:                           ; =>This Inner Loop Header: Depth=1
	s_add_i32 s5, s4, 0
	s_add_i32 s4, s4, 8
	s_cmp_lg_u32 s4, 32
	scratch_store_dwordx2 off, v[0:1], s5
	s_cbranch_scc1 .LBB2140_274
; %bb.275:
	s_mov_b32 s4, 0
.LBB2140_276:                           ; =>This Inner Loop Header: Depth=1
	s_add_i32 s5, s4, 0x70
	s_add_i32 s6, s4, 0x120
	scratch_load_dwordx2 v[0:1], off, s5
	scratch_load_dwordx2 v[2:3], off, s6
	s_add_i32 s5, s4, 0
	s_add_i32 s4, s4, 8
	s_cmp_lg_u32 s4, 32
	s_waitcnt vmcnt(0)
	v_add_u32_e32 v1, v3, v1
	v_add_u32_e32 v0, v2, v0
	scratch_store_dwordx2 off, v[0:1], s5
	s_cbranch_scc1 .LBB2140_276
; %bb.277:
	scratch_load_dwordx4 v[0:3], off, off
	scratch_load_dwordx4 v[4:7], off, off offset:16
.LBB2140_278:
	s_or_b64 exec, exec, s[2:3]
	scratch_load_ubyte v10, off, off offset:356
	v_or_b32_e32 v8, v8, v9
	v_and_b32_e32 v8, 1, v8
	v_cmp_eq_u32_e32 vcc, 1, v8
	s_waitcnt vmcnt(2)
	scratch_store_dwordx4 off, v[0:3], off offset:288
	s_waitcnt vmcnt(2)
	scratch_store_dwordx4 off, v[4:7], off offset:304
	scratch_store_byte off, v8, off offset:320
                                        ; implicit-def: $vgpr6_vgpr7
                                        ; implicit-def: $vgpr2_vgpr3
	s_waitcnt vmcnt(3)
	v_cmp_ne_u16_e64 s[2:3], 0, v10
	s_and_saveexec_b64 s[4:5], s[2:3]
	s_xor_b64 s[2:3], exec, s[4:5]
	s_cbranch_execz .LBB2140_280
; %bb.279:
	scratch_load_dwordx4 v[0:3], off, off offset:324
	scratch_load_dwordx4 v[4:7], off, off offset:340
.LBB2140_280:
	s_andn2_saveexec_b64 s[2:3], s[2:3]
	s_cbranch_execz .LBB2140_286
; %bb.281:
	s_waitcnt vmcnt(1)
	v_mov_b32_e32 v0, 0
	s_mov_b32 s4, 0
	v_mov_b32_e32 v1, v0
.LBB2140_282:                           ; =>This Inner Loop Header: Depth=1
	s_add_i32 s5, s4, 0
	s_add_i32 s4, s4, 8
	s_cmp_lg_u32 s4, 32
	scratch_store_dwordx2 off, v[0:1], s5
	s_cbranch_scc1 .LBB2140_282
; %bb.283:
	s_mov_b32 s4, 0
	v_mov_b32_e32 v0, 0x120
.LBB2140_284:                           ; =>This Inner Loop Header: Depth=1
	v_add_u32_e32 v1, s4, v0
	s_add_i32 s5, s4, 0x120
	v_add_u32_e32 v1, 36, v1
	scratch_load_dwordx2 v[2:3], off, s5
	scratch_load_dwordx2 v[4:5], v1, off
	s_add_i32 s5, s4, 0
	s_add_i32 s4, s4, 8
	s_cmp_lg_u32 s4, 32
	s_waitcnt vmcnt(0)
	v_add_u32_e32 v3, v5, v3
	v_add_u32_e32 v2, v4, v2
	scratch_store_dwordx2 off, v[2:3], s5
	s_cbranch_scc1 .LBB2140_284
; %bb.285:
	scratch_load_dwordx4 v[0:3], off, off
	scratch_load_dwordx4 v[4:7], off, off offset:16
.LBB2140_286:
	s_or_b64 exec, exec, s[2:3]
	scratch_load_ubyte v8, off, off offset:392
	v_and_b32_e32 v9, 1, v10
	v_cmp_eq_u32_e64 s[2:3], 1, v9
	s_or_b64 s[2:3], s[2:3], vcc
	s_waitcnt vmcnt(0)
	v_cmp_ne_u16_e32 vcc, 0, v8
	v_cndmask_b32_e64 v9, 0, 1, s[2:3]
	scratch_store_dwordx4 off, v[0:3], off offset:324
	scratch_store_dwordx4 off, v[4:7], off offset:340
	scratch_store_byte off, v9, off offset:356
                                        ; implicit-def: $vgpr6_vgpr7
                                        ; implicit-def: $vgpr2_vgpr3
	s_and_saveexec_b64 s[4:5], vcc
	s_xor_b64 s[4:5], exec, s[4:5]
	s_cbranch_execz .LBB2140_288
; %bb.287:
	scratch_load_dwordx4 v[0:3], off, off offset:360
	scratch_load_dwordx4 v[4:7], off, off offset:376
.LBB2140_288:
	s_andn2_saveexec_b64 s[4:5], s[4:5]
	s_cbranch_execz .LBB2140_294
; %bb.289:
	s_waitcnt vmcnt(1)
	v_mov_b32_e32 v0, 0
	s_mov_b32 s6, 0
	v_mov_b32_e32 v1, v0
.LBB2140_290:                           ; =>This Inner Loop Header: Depth=1
	s_add_i32 s7, s6, 0
	s_add_i32 s6, s6, 8
	s_cmp_lg_u32 s6, 32
	scratch_store_dwordx2 off, v[0:1], s7
	s_cbranch_scc1 .LBB2140_290
; %bb.291:
	s_mov_b32 s6, 0
	v_mov_b32_e32 v0, 0x120
.LBB2140_292:                           ; =>This Inner Loop Header: Depth=1
	v_add_u32_e32 v1, s6, v0
	s_waitcnt vmcnt(1)
	v_add_u32_e32 v6, 36, v1
	v_add_u32_e32 v1, 0x48, v1
	scratch_load_dwordx2 v[2:3], v6, off
	scratch_load_dwordx2 v[4:5], v1, off
	s_add_i32 s7, s6, 0
	s_add_i32 s6, s6, 8
	s_cmp_lg_u32 s6, 32
	s_waitcnt vmcnt(0)
	v_add_u32_e32 v3, v5, v3
	v_add_u32_e32 v2, v4, v2
	scratch_store_dwordx2 off, v[2:3], s7
	s_cbranch_scc1 .LBB2140_292
; %bb.293:
	scratch_load_dwordx4 v[0:3], off, off
	scratch_load_dwordx4 v[4:7], off, off offset:16
.LBB2140_294:
	s_or_b64 exec, exec, s[4:5]
	v_and_b32_e32 v8, 1, v8
	v_cmp_eq_u32_e32 vcc, 1, v8
	s_or_b64 s[2:3], vcc, s[2:3]
	v_cndmask_b32_e64 v8, 0, 1, s[2:3]
	s_waitcnt vmcnt(1)
	scratch_store_dwordx4 off, v[0:3], off offset:360
	s_waitcnt vmcnt(1)
	scratch_store_dwordx4 off, v[4:7], off offset:376
	scratch_store_byte off, v8, off offset:392
	s_branch .LBB2140_472
.LBB2140_295:
	v_mov_b64_e32 v[0:1], s[22:23]
	flat_load_dword v0, v[0:1]
	s_add_i32 s5, s48, s18
	v_cmp_gt_u32_e64 s[2:3], s5, v16
	s_waitcnt vmcnt(0) lgkmcnt(0)
	v_mov_b32_e32 v1, v0
	s_and_saveexec_b64 s[6:7], s[2:3]
	s_cbranch_execz .LBB2140_297
; %bb.296:
	v_lshlrev_b32_e32 v4, 2, v16
	v_mov_b32_e32 v5, 0
	v_lshl_add_u64 v[4:5], s[22:23], 0, v[4:5]
	flat_load_dword v1, v[4:5]
.LBB2140_297:
	s_or_b64 exec, exec, s[6:7]
	v_or_b32_e32 v5, 0x100, v16
	v_cmp_gt_u32_e64 s[8:9], s5, v5
	v_mov_b32_e32 v4, v0
	s_and_saveexec_b64 s[6:7], s[8:9]
	s_cbranch_execz .LBB2140_299
; %bb.298:
	v_lshlrev_b32_e32 v6, 2, v16
	v_mov_b32_e32 v7, 0
	v_lshl_add_u64 v[6:7], s[22:23], 0, v[6:7]
	flat_load_dword v4, v[6:7] offset:1024
.LBB2140_299:
	s_or_b64 exec, exec, s[6:7]
	v_or_b32_e32 v6, 0x200, v16
	v_cmp_gt_u32_e64 s[6:7], s5, v6
	v_cmp_le_u32_e32 vcc, s5, v6
	s_and_saveexec_b64 s[36:37], vcc
	s_xor_b64 s[36:37], exec, s[36:37]
; %bb.300:
	v_mov_b32_e32 v17, 0
; %bb.301:
	s_andn2_saveexec_b64 s[36:37], s[36:37]
	s_cbranch_execz .LBB2140_303
; %bb.302:
	v_mov_b32_e32 v17, 0
	v_lshlrev_b32_e32 v8, 2, v16
	v_mov_b32_e32 v9, v17
	v_lshl_add_u64 v[8:9], s[22:23], 0, v[8:9]
	flat_load_dword v0, v[8:9] offset:2048
.LBB2140_303:
	s_or_b64 exec, exec, s[36:37]
	v_lshlrev_b32_e32 v7, 2, v16
	v_lshlrev_b32_e32 v8, 3, v16
	v_add_u32_e32 v9, v7, v8
	s_waitcnt vmcnt(0) lgkmcnt(0)
	ds_write2st64_b32 v7, v1, v4 offset1:4
	ds_write_b32 v7, v0 offset:2048
	s_waitcnt lgkmcnt(0)
	s_barrier
	ds_read2_b32 v[0:1], v9 offset1:1
	ds_read_b32 v4, v9 offset:8
	s_cmp_eq_u64 s[24:25], 0
	s_mov_b64 s[36:37], s[22:23]
	s_cbranch_scc1 .LBB2140_307
; %bb.304:
	s_andn2_b64 vcc, exec, s[40:41]
	s_cbranch_vccnz .LBB2140_495
; %bb.305:
	s_lshl_b64 s[36:37], s[24:25], 2
	s_add_u32 s36, s42, s36
	s_addc_u32 s37, s43, s37
	s_add_u32 s36, s36, -4
	s_addc_u32 s37, s37, -1
	s_cbranch_execnz .LBB2140_307
.LBB2140_306:
	s_add_u32 s36, s22, -4
	s_addc_u32 s37, s23, -1
.LBB2140_307:
	v_mov_b64_e32 v[10:11], s[36:37]
	flat_load_dword v7, v[10:11]
	v_sub_u32_e32 v8, v9, v8
	v_cmp_ne_u32_e32 vcc, 0, v16
	s_waitcnt lgkmcnt(0)
	ds_write_b32 v8, v4 offset:3072
	s_waitcnt lgkmcnt(0)
	s_barrier
	s_and_saveexec_b64 s[36:37], vcc
	s_cbranch_execz .LBB2140_309
; %bb.308:
	s_waitcnt vmcnt(0)
	ds_read_b32 v7, v8 offset:3068
.LBB2140_309:
	s_or_b64 exec, exec, s[36:37]
	s_waitcnt lgkmcnt(0)
	s_barrier
	s_and_saveexec_b64 s[36:37], s[2:3]
	s_cbranch_execnz .LBB2140_493
; %bb.310:
	s_or_b64 exec, exec, s[36:37]
	s_and_saveexec_b64 s[2:3], s[8:9]
	s_cbranch_execnz .LBB2140_494
.LBB2140_311:
	s_or_b64 exec, exec, s[2:3]
	s_and_saveexec_b64 s[2:3], s[6:7]
	s_cbranch_execz .LBB2140_313
.LBB2140_312:
	v_lshlrev_b32_e32 v10, 5, v6
	v_mov_b32_e32 v11, 0
	v_lshl_add_u64 v[22:23], s[10:11], 0, v[10:11]
	flat_load_dwordx4 v[10:13], v[22:23]
	flat_load_dwordx4 v[18:21], v[22:23] offset:16
	s_waitcnt vmcnt(0) lgkmcnt(0)
	scratch_store_dwordx4 off, v[10:13], off offset:176
	scratch_store_dwordx4 off, v[18:21], off offset:192
.LBB2140_313:
	s_or_b64 exec, exec, s[2:3]
	scratch_load_dwordx4 v[10:13], off, off offset:112
	scratch_load_dwordx4 v[18:21], off, off offset:128
	scratch_load_dwordx4 v[22:25], v3, off
	scratch_load_dwordx4 v[26:29], v3, off offset:16
	scratch_load_dwordx4 v[30:33], v2, off
	scratch_load_dwordx4 v[34:37], v2, off offset:16
	v_mad_u32_u24 v8, v16, 28, v8
	v_lshl_add_u32 v6, v16, 6, v8
	v_mul_u32_u24_e32 v5, 3, v16
	s_mov_b64 s[6:7], 0
	v_cmp_gt_u32_e32 vcc, s5, v5
	s_mov_b64 s[8:9], 0
                                        ; implicit-def: $sgpr2_sgpr3
	s_waitcnt vmcnt(0)
	ds_write_b128 v8, v[10:13]
	ds_write_b128 v8, v[18:21] offset:16
	ds_write_b128 v8, v[22:25] offset:8192
	;; [unrolled: 1-line block ×5, first 2 shown]
	s_waitcnt lgkmcnt(0)
	s_barrier
	ds_read_b128 v[8:11], v6 offset:32
	ds_read_b128 v[18:21], v6 offset:48
	;; [unrolled: 1-line block ×4, first 2 shown]
	s_waitcnt lgkmcnt(3)
	scratch_store_dwordx4 v3, v[8:11], off
	s_waitcnt lgkmcnt(2)
	scratch_store_dwordx4 v3, v[18:21], off offset:16
	s_waitcnt lgkmcnt(1)
	scratch_store_dwordx4 v2, v[22:25], off
	s_waitcnt lgkmcnt(0)
	scratch_store_dwordx4 v2, v[26:29], off offset:16
	s_and_saveexec_b64 s[36:37], vcc
	s_cbranch_execz .LBB2140_317
; %bb.314:
	ds_read_b128 v[8:11], v6
	ds_read_b128 v[18:21], v6 offset:16
	v_cmp_ne_u32_e32 vcc, v7, v0
	v_add_u32_e32 v12, 1, v5
	s_mov_b64 s[44:45], 0
	v_cndmask_b32_e64 v7, 0, 1, vcc
	v_cmp_gt_u32_e32 vcc, s5, v12
	s_waitcnt lgkmcnt(1)
	scratch_store_dwordx4 off, v[8:11], off offset:288
	s_waitcnt lgkmcnt(0)
	scratch_store_dwordx4 off, v[18:21], off offset:304
	scratch_store_byte off, v7, off offset:320
                                        ; implicit-def: $sgpr46_sgpr47
	s_and_saveexec_b64 s[2:3], vcc
	s_xor_b64 s[8:9], exec, s[2:3]
	s_cbranch_execz .LBB2140_316
; %bb.315:
	v_add_u32_e32 v10, 32, v6
	ds_read2_b32 v[8:9], v10 offset0:6 offset1:7
	ds_read2_b32 v[6:7], v10 offset0:4 offset1:5
	;; [unrolled: 1-line block ×3, first 2 shown]
	ds_read2_b32 v[10:11], v10 offset1:1
	v_cmp_ne_u32_e32 vcc, v1, v4
	v_cmp_ne_u32_e64 s[2:3], v0, v1
	v_add_u32_e32 v1, 2, v5
	s_and_b64 s[46:47], vcc, exec
	v_cndmask_b32_e64 v0, 0, 1, s[2:3]
	v_cmp_gt_u32_e64 s[2:3], s5, v1
	s_waitcnt lgkmcnt(0)
	scratch_store_dwordx4 off, v[10:13], s19
	scratch_store_dwordx4 off, v[6:9], s19 offset:16
	scratch_store_byte off, v0, off offset:356
	s_and_b64 s[44:45], s[2:3], exec
.LBB2140_316:
	s_or_b64 exec, exec, s[8:9]
	s_and_b64 s[2:3], s[46:47], exec
	s_and_b64 s[8:9], s[44:45], exec
.LBB2140_317:
	s_or_b64 exec, exec, s[36:37]
	s_and_b64 vcc, exec, s[6:7]
	s_cbranch_vccz .LBB2140_14
.LBB2140_318:
	v_mov_b32_e32 v1, 0
	v_lshlrev_b32_e32 v0, 2, v16
	v_lshl_add_u64 v[4:5], s[22:23], 0, v[0:1]
	flat_load_dword v1, v[4:5]
	flat_load_dword v6, v[4:5] offset:1024
	flat_load_dword v8, v[4:5] offset:2048
	v_lshlrev_b32_e32 v5, 3, v16
	v_add_u32_e32 v7, v0, v5
	s_cmp_eq_u64 s[24:25], 0
	s_waitcnt vmcnt(0) lgkmcnt(0)
	ds_write2st64_b32 v0, v1, v6 offset1:4
	ds_write_b32 v0, v8 offset:2048
	s_waitcnt lgkmcnt(0)
	s_barrier
	ds_read2_b32 v[0:1], v7 offset1:1
	ds_read_b32 v4, v7 offset:8
	s_cbranch_scc1 .LBB2140_323
; %bb.319:
	s_andn2_b64 vcc, exec, s[40:41]
	s_cbranch_vccnz .LBB2140_496
; %bb.320:
	s_lshl_b64 s[2:3], s[24:25], 2
	s_add_u32 s2, s42, s2
	s_addc_u32 s3, s43, s3
	s_add_u32 s2, s2, -4
	s_addc_u32 s3, s3, -1
	s_cbranch_execnz .LBB2140_322
.LBB2140_321:
	s_add_u32 s2, s22, -4
	s_addc_u32 s3, s23, -1
.LBB2140_322:
	s_mov_b64 s[22:23], s[2:3]
.LBB2140_323:
	v_mov_b64_e32 v[8:9], s[22:23]
	flat_load_dword v6, v[8:9]
	v_sub_u32_e32 v5, v7, v5
	v_cmp_ne_u32_e32 vcc, 0, v16
	s_waitcnt lgkmcnt(0)
	ds_write_b32 v5, v4 offset:3072
	s_waitcnt lgkmcnt(0)
	s_barrier
	s_and_saveexec_b64 s[2:3], vcc
	s_cbranch_execz .LBB2140_325
; %bb.324:
	s_waitcnt vmcnt(0)
	ds_read_b32 v6, v5 offset:3068
.LBB2140_325:
	s_or_b64 exec, exec, s[2:3]
	v_lshlrev_b32_e32 v8, 5, v16
	v_mov_b32_e32 v9, 0
	v_lshl_add_u64 v[12:13], s[10:11], 0, v[8:9]
	s_waitcnt lgkmcnt(0)
	s_barrier
	flat_load_dwordx4 v[8:11], v[12:13]
	flat_load_dwordx4 v[18:21], v[12:13] offset:16
	s_movk_i32 s2, 0x2000
	v_add_co_u32_e32 v30, vcc, s2, v12
	s_movk_i32 s2, 0x4000
	s_nop 0
	v_addc_co_u32_e32 v31, vcc, 0, v13, vcc
	v_add_co_u32_e32 v12, vcc, s2, v12
	v_cmp_ne_u32_e64 s[2:3], v1, v4
	s_nop 0
	v_addc_co_u32_e32 v13, vcc, 0, v13, vcc
	v_mad_u32_u24 v4, v16, 28, v5
	v_cmp_ne_u32_e32 vcc, v0, v1
	s_mov_b64 s[8:9], -1
	s_waitcnt vmcnt(0) lgkmcnt(0)
	scratch_store_dwordx4 off, v[8:11], off offset:112
	scratch_store_dwordx4 off, v[18:21], off offset:128
	flat_load_dwordx4 v[22:25], v[30:31]
	flat_load_dwordx4 v[26:29], v[30:31] offset:16
	v_cndmask_b32_e64 v1, 0, 1, vcc
	v_cmp_ne_u32_e32 vcc, v6, v0
	s_waitcnt vmcnt(0) lgkmcnt(0)
	scratch_store_dwordx4 off, v[22:25], off offset:144
	scratch_store_dwordx4 off, v[26:29], off offset:160
	flat_load_dwordx4 v[22:25], v[12:13]
	s_nop 0
	flat_load_dwordx4 v[26:29], v[12:13] offset:16
	scratch_load_dwordx4 v[30:33], v3, off
	scratch_load_dwordx4 v[34:37], v3, off offset:16
	v_lshl_add_u32 v12, v16, 6, v4
	v_cndmask_b32_e64 v0, 0, 1, vcc
	s_waitcnt vmcnt(0) lgkmcnt(0)
	scratch_store_dwordx4 off, v[22:25], off offset:176
	scratch_store_dwordx4 off, v[26:29], off offset:192
	scratch_load_dwordx4 v[22:25], v2, off
	s_nop 0
	scratch_load_dwordx4 v[26:29], v2, off offset:16
	ds_write_b128 v4, v[8:11]
	ds_write_b128 v4, v[18:21] offset:16
	ds_write_b128 v4, v[30:33] offset:8192
	;; [unrolled: 1-line block ×3, first 2 shown]
	s_waitcnt vmcnt(1)
	ds_write_b128 v4, v[22:25] offset:16384
	s_waitcnt vmcnt(0)
	ds_write_b128 v4, v[26:29] offset:16400
	s_waitcnt lgkmcnt(0)
	s_barrier
	ds_read_b128 v[4:7], v12
	ds_read_b128 v[8:11], v12 offset:16
	ds_read_b128 v[18:21], v12 offset:32
	;; [unrolled: 1-line block ×5, first 2 shown]
	scratch_store_byte off, v0, off offset:320
	scratch_store_byte off, v1, off offset:356
	s_waitcnt lgkmcnt(3)
	scratch_store_dwordx4 v3, v[18:21], off
	s_waitcnt lgkmcnt(2)
	scratch_store_dwordx4 v3, v[22:25], off offset:16
	s_waitcnt lgkmcnt(1)
	scratch_store_dwordx4 v2, v[26:29], off
	s_waitcnt lgkmcnt(0)
	scratch_store_dwordx4 v2, v[30:33], off offset:16
	scratch_store_dwordx4 off, v[4:7], off offset:288
	scratch_store_dwordx4 off, v[8:11], off offset:304
	scratch_store_dwordx4 off, v[22:25], s19 offset:16
	scratch_store_dwordx4 off, v[18:21], s19
	s_and_saveexec_b64 s[6:7], s[8:9]
	s_cbranch_execnz .LBB2140_15
	s_branch .LBB2140_16
.LBB2140_326:
	s_cbranch_execz .LBB2140_472
; %bb.327:
	s_cmp_lg_u64 s[30:31], 0
	s_cselect_b32 s9, s39, 0
	s_cselect_b32 s8, s38, 0
	s_cmp_lg_u64 s[8:9], 0
	s_cselect_b64 s[4:5], -1, 0
	v_cmp_eq_u32_e32 vcc, 0, v16
	v_cmp_ne_u32_e64 s[2:3], 0, v16
	s_and_b64 s[4:5], vcc, s[4:5]
	s_and_saveexec_b64 s[6:7], s[4:5]
	s_cbranch_execz .LBB2140_337
; %bb.328:
	scratch_load_ubyte v8, off, off offset:320
                                        ; implicit-def: $vgpr6_vgpr7
                                        ; implicit-def: $vgpr2_vgpr3
	s_waitcnt vmcnt(0)
	v_cmp_ne_u16_e64 s[4:5], 0, v8
	s_and_saveexec_b64 s[10:11], s[4:5]
	s_xor_b64 s[4:5], exec, s[10:11]
	s_cbranch_execz .LBB2140_330
; %bb.329:
	scratch_load_dwordx4 v[0:3], off, off offset:288
	scratch_load_dwordx4 v[4:7], off, off offset:304
.LBB2140_330:
	s_andn2_saveexec_b64 s[4:5], s[4:5]
	s_cbranch_execz .LBB2140_336
; %bb.331:
	s_waitcnt vmcnt(1)
	v_mov_b32_e32 v0, 0
	s_mov_b32 s10, 0
	v_mov_b32_e32 v1, v0
.LBB2140_332:                           ; =>This Inner Loop Header: Depth=1
	s_add_i32 s11, s10, 0x70
	s_add_i32 s10, s10, 8
	s_cmp_lg_u32 s10, 32
	scratch_store_dwordx2 off, v[0:1], s11
	s_cbranch_scc1 .LBB2140_332
; %bb.333:
	s_mov_b32 s12, 0
	v_mov_b32_e32 v0, 0
	s_mov_b64 s[10:11], s[8:9]
.LBB2140_334:                           ; =>This Inner Loop Header: Depth=1
	s_add_i32 s13, s12, 0x120
	global_load_dwordx2 v[2:3], v0, s[10:11]
	scratch_load_dwordx2 v[4:5], off, s13
	s_add_i32 s13, s12, 0x70
	s_add_u32 s10, s10, 8
	s_addc_u32 s11, s11, 0
	s_add_i32 s12, s12, 8
	s_cmp_lg_u32 s12, 32
	s_waitcnt vmcnt(0)
	v_add_u32_e32 v3, v5, v3
	v_add_u32_e32 v2, v4, v2
	scratch_store_dwordx2 off, v[2:3], s13
	s_cbranch_scc1 .LBB2140_334
; %bb.335:
	scratch_load_dwordx4 v[0:3], off, off offset:112
	scratch_load_dwordx4 v[4:7], off, off offset:128
.LBB2140_336:
	s_or_b64 exec, exec, s[4:5]
	v_mov_b32_e32 v9, 0
	global_load_ubyte v9, v9, s[8:9] offset:32
	s_waitcnt vmcnt(2)
	scratch_store_dwordx4 off, v[0:3], off offset:288
	s_waitcnt vmcnt(1)
	s_nop 0
	v_or_b32_e32 v0, v8, v9
	v_and_b32_e32 v0, 1, v0
	scratch_store_dwordx4 off, v[4:7], off offset:304
	scratch_store_byte off, v0, off offset:320
.LBB2140_337:
	s_or_b64 exec, exec, s[6:7]
	s_mov_b32 s4, 0
	s_mov_b32 s5, s4
	v_mov_b32_e32 v0, 0
	s_mov_b32 s6, s4
	s_mov_b32 s7, s4
	v_mov_b64_e32 v[2:3], s[4:5]
	v_mov_b64_e32 v[4:5], s[6:7]
	v_mov_b32_e32 v1, v0
	scratch_store_dword off, v0, off offset:240
	scratch_store_dwordx4 off, v[2:5], off offset:224
	scratch_store_dwordx4 off, v[2:5], off offset:208
.LBB2140_338:                           ; =>This Inner Loop Header: Depth=1
	s_add_i32 s5, s4, 0xd0
	s_add_i32 s4, s4, 8
	s_cmp_lg_u32 s4, 32
	scratch_store_dwordx2 off, v[0:1], s5
	s_cbranch_scc1 .LBB2140_338
; %bb.339:
	v_mov_b32_e32 v0, 0
	s_mov_b32 s4, 0
	v_mov_b32_e32 v1, v0
	scratch_store_byte off, v0, off offset:240
	scratch_store_dword off, v0, off offset:144
.LBB2140_340:                           ; =>This Inner Loop Header: Depth=1
	s_add_i32 s5, s4, 0x70
	s_add_i32 s4, s4, 8
	s_cmp_lg_u32 s4, 32
	scratch_store_dwordx2 off, v[0:1], s5
	s_cbranch_scc1 .LBB2140_340
; %bb.341:
	scratch_load_dwordx4 v[0:3], off, off offset:288
	scratch_load_dwordx4 v[4:7], off, off offset:304
	scratch_load_ubyte v9, off, off offset:356
	scratch_load_ubyte v8, off, off offset:320
	s_waitcnt vmcnt(3)
	scratch_store_dwordx4 off, v[0:3], off offset:112
	s_waitcnt vmcnt(3)
	scratch_store_dwordx4 off, v[4:7], off offset:128
	s_waitcnt vmcnt(3)
	v_cmp_ne_u16_e64 s[4:5], 0, v9
                                        ; implicit-def: $vgpr6_vgpr7
                                        ; implicit-def: $vgpr2_vgpr3
	s_and_saveexec_b64 s[6:7], s[4:5]
	s_xor_b64 s[4:5], exec, s[6:7]
	s_cbranch_execz .LBB2140_343
; %bb.342:
	scratch_load_dwordx4 v[0:3], off, off offset:324
	scratch_load_dwordx4 v[4:7], off, off offset:340
.LBB2140_343:
	s_andn2_saveexec_b64 s[4:5], s[4:5]
	s_cbranch_execz .LBB2140_349
; %bb.344:
	s_waitcnt vmcnt(1)
	v_mov_b32_e32 v0, 0
	s_mov_b32 s6, 0
	v_mov_b32_e32 v1, v0
.LBB2140_345:                           ; =>This Inner Loop Header: Depth=1
	s_add_i32 s7, s6, 0
	s_add_i32 s6, s6, 8
	s_cmp_lg_u32 s6, 32
	scratch_store_dwordx2 off, v[0:1], s7
	s_cbranch_scc1 .LBB2140_345
; %bb.346:
	s_mov_b32 s6, 0
.LBB2140_347:                           ; =>This Inner Loop Header: Depth=1
	s_add_i32 s7, s6, 0x70
	s_add_i32 s8, s19, s6
	scratch_load_dwordx2 v[0:1], off, s7
	scratch_load_dwordx2 v[2:3], off, s8
	s_add_i32 s7, s6, 0
	s_add_i32 s6, s6, 8
	s_cmp_lg_u32 s6, 32
	s_waitcnt vmcnt(0)
	v_add_u32_e32 v1, v3, v1
	v_add_u32_e32 v0, v2, v0
	scratch_store_dwordx2 off, v[0:1], s7
	s_cbranch_scc1 .LBB2140_347
; %bb.348:
	scratch_load_dwordx4 v[0:3], off, off
	scratch_load_dwordx4 v[4:7], off, off offset:16
.LBB2140_349:
	s_or_b64 exec, exec, s[4:5]
	scratch_load_ubyte v10, off, off offset:392
	s_waitcnt vmcnt(2)
	scratch_store_dwordx4 off, v[0:3], off offset:112
	s_waitcnt vmcnt(2)
	scratch_store_dwordx4 off, v[4:7], off offset:128
                                        ; implicit-def: $vgpr6_vgpr7
                                        ; implicit-def: $vgpr2_vgpr3
	s_waitcnt vmcnt(2)
	v_cmp_ne_u16_e64 s[4:5], 0, v10
	s_and_saveexec_b64 s[6:7], s[4:5]
	s_xor_b64 s[4:5], exec, s[6:7]
	s_cbranch_execz .LBB2140_351
; %bb.350:
	scratch_load_dwordx4 v[0:3], off, off offset:360
	scratch_load_dwordx4 v[4:7], off, off offset:376
.LBB2140_351:
	s_andn2_saveexec_b64 s[4:5], s[4:5]
	s_cbranch_execz .LBB2140_357
; %bb.352:
	s_waitcnt vmcnt(1)
	v_mov_b32_e32 v0, 0
	s_mov_b32 s6, 0
	v_mov_b32_e32 v1, v0
.LBB2140_353:                           ; =>This Inner Loop Header: Depth=1
	s_add_i32 s7, s6, 0
	s_add_i32 s6, s6, 8
	s_cmp_lg_u32 s6, 32
	scratch_store_dwordx2 off, v[0:1], s7
	s_cbranch_scc1 .LBB2140_353
; %bb.354:
	s_mov_b32 s6, 0
.LBB2140_355:                           ; =>This Inner Loop Header: Depth=1
	s_add_i32 s7, s6, 0x70
	s_add_i32 s8, s33, s6
	scratch_load_dwordx2 v[0:1], off, s7
	scratch_load_dwordx2 v[2:3], off, s8
	s_add_i32 s7, s6, 0
	s_add_i32 s6, s6, 8
	s_cmp_lg_u32 s6, 32
	s_waitcnt vmcnt(0)
	v_add_u32_e32 v1, v3, v1
	v_add_u32_e32 v0, v2, v0
	scratch_store_dwordx2 off, v[0:1], s7
	s_cbranch_scc1 .LBB2140_355
; %bb.356:
	scratch_load_dwordx4 v[0:3], off, off
	scratch_load_dwordx4 v[4:7], off, off offset:16
.LBB2140_357:
	s_or_b64 exec, exec, s[4:5]
	scratch_load_ushort v11, off, off offset:145
	scratch_load_sbyte v17, off, off offset:147
	v_or_b32_e32 v9, v10, v9
	s_waitcnt vmcnt(3)
	v_mov_b32_dpp v12, v0 row_shr:1 row_mask:0xf bank_mask:0xf
	v_mov_b32_dpp v13, v1 row_shr:1 row_mask:0xf bank_mask:0xf
	;; [unrolled: 1-line block ×4, first 2 shown]
	v_or_b32_e32 v8, v9, v8
	v_mbcnt_lo_u32_b32 v10, -1, 0
	scratch_store_dwordx4 off, v[0:3], off offset:72
	s_waitcnt vmcnt(3)
	scratch_store_dwordx4 off, v[4:7], off offset:88
	v_mov_b32_dpp v18, v4 row_shr:1 row_mask:0xf bank_mask:0xf
	v_mov_b32_dpp v19, v5 row_shr:1 row_mask:0xf bank_mask:0xf
	;; [unrolled: 1-line block ×4, first 2 shown]
	scratch_store_dwordx4 off, v[12:15], off offset:112
	scratch_store_dwordx4 off, v[18:21], off offset:128
	v_and_b32_e32 v8, 1, v8
	v_mbcnt_hi_u32_b32 v10, -1, v10
	v_and_b32_e32 v12, 15, v10
	v_cmp_ne_u32_e64 s[4:5], 0, v12
	s_waitcnt vmcnt(5)
	v_lshrrev_b32_e32 v9, 8, v11
	v_lshlrev_b16_e32 v11, 8, v11
	s_waitcnt vmcnt(4)
	v_lshlrev_b16_e32 v13, 8, v17
	v_or_b32_e32 v11, v8, v11
	v_or_b32_sdwa v8, v9, v13 dst_sel:WORD_1 dst_unused:UNUSED_PAD src0_sel:BYTE_0 src1_sel:DWORD
	s_nop 0
	v_or_b32_sdwa v13, v11, v8 dst_sel:DWORD dst_unused:UNUSED_PAD src0_sel:WORD_0 src1_sel:DWORD
	scratch_store_dword off, v13, off offset:104
	s_nop 0
	v_mov_b32_dpp v14, v13 row_shr:1 row_mask:0xf bank_mask:0xf
	scratch_store_dword off, v14, off offset:144
	s_and_saveexec_b64 s[6:7], s[4:5]
	s_cbranch_execz .LBB2140_365
; %bb.358:
	v_mov_b32_e32 v8, 0
	v_cmp_eq_u16_sdwa s[8:9], v11, v8 src0_sel:BYTE_0 src1_sel:DWORD
	s_and_saveexec_b64 s[4:5], s[8:9]
	s_cbranch_execz .LBB2140_364
; %bb.359:
	s_mov_b32 s8, 0
	v_mov_b32_e32 v9, v8
.LBB2140_360:                           ; =>This Inner Loop Header: Depth=1
	s_add_i32 s9, s8, 0
	s_add_i32 s8, s8, 8
	s_cmp_lg_u32 s8, 32
	scratch_store_dwordx2 off, v[8:9], s9
	s_cbranch_scc1 .LBB2140_360
; %bb.361:
	s_mov_b32 s8, 0
.LBB2140_362:                           ; =>This Inner Loop Header: Depth=1
	s_add_i32 s9, s8, 0x70
	s_add_i32 s10, s8, 0x48
	scratch_load_dwordx2 v[0:1], off, s9
	scratch_load_dwordx2 v[2:3], off, s10
	s_add_i32 s9, s8, 0
	s_add_i32 s8, s8, 8
	s_cmp_lg_u32 s8, 32
	s_waitcnt vmcnt(0)
	v_add_u32_e32 v1, v3, v1
	v_add_u32_e32 v0, v2, v0
	scratch_store_dwordx2 off, v[0:1], s9
	s_cbranch_scc1 .LBB2140_362
; %bb.363:
	scratch_load_dwordx4 v[0:3], off, off
	scratch_load_dwordx4 v[4:7], off, off offset:16
.LBB2140_364:
	s_or_b64 exec, exec, s[4:5]
	v_or_b32_e32 v8, v14, v13
	v_and_b32_e32 v8, 1, v8
	scratch_store_byte off, v8, off offset:104
	scratch_load_dword v13, off, off offset:104
	s_waitcnt vmcnt(3)
	scratch_store_dwordx4 off, v[0:3], off offset:72
	s_waitcnt vmcnt(3)
	scratch_store_dwordx4 off, v[4:7], off offset:88
	s_waitcnt vmcnt(2)
	v_mov_b32_e32 v11, v13
.LBB2140_365:
	s_or_b64 exec, exec, s[6:7]
	v_mov_b32_dpp v18, v0 row_shr:2 row_mask:0xf bank_mask:0xf
	v_mov_b32_dpp v19, v1 row_shr:2 row_mask:0xf bank_mask:0xf
	;; [unrolled: 1-line block ×5, first 2 shown]
	v_cmp_lt_u32_e64 s[4:5], 1, v12
	v_mov_b32_dpp v22, v4 row_shr:2 row_mask:0xf bank_mask:0xf
	v_mov_b32_dpp v23, v5 row_shr:2 row_mask:0xf bank_mask:0xf
	;; [unrolled: 1-line block ×4, first 2 shown]
	scratch_store_dwordx4 off, v[18:21], off offset:112
	scratch_store_dwordx4 off, v[22:25], off offset:128
	scratch_store_dword off, v14, off offset:144
	s_and_saveexec_b64 s[8:9], s[4:5]
	s_cbranch_execz .LBB2140_373
; %bb.366:
	v_mov_b32_e32 v8, 0
	s_mov_b32 s6, 0
	v_cmp_eq_u16_sdwa s[10:11], v11, v8 src0_sel:BYTE_0 src1_sel:DWORD
	s_and_saveexec_b64 s[4:5], s[10:11]
	s_cbranch_execz .LBB2140_372
; %bb.367:
	v_mov_b32_e32 v9, v8
.LBB2140_368:                           ; =>This Inner Loop Header: Depth=1
	s_add_i32 s7, s6, 0
	s_add_i32 s6, s6, 8
	s_cmp_lg_u32 s6, 32
	scratch_store_dwordx2 off, v[8:9], s7
	s_cbranch_scc1 .LBB2140_368
; %bb.369:
	s_mov_b32 s6, 0
.LBB2140_370:                           ; =>This Inner Loop Header: Depth=1
	s_add_i32 s7, s6, 0x70
	s_add_i32 s10, s6, 0x48
	scratch_load_dwordx2 v[0:1], off, s7
	scratch_load_dwordx2 v[2:3], off, s10
	s_add_i32 s7, s6, 0
	s_add_i32 s6, s6, 8
	s_cmp_lg_u32 s6, 32
	s_waitcnt vmcnt(0)
	v_add_u32_e32 v1, v3, v1
	v_add_u32_e32 v0, v2, v0
	scratch_store_dwordx2 off, v[0:1], s7
	s_cbranch_scc1 .LBB2140_370
; %bb.371:
	scratch_load_dwordx4 v[0:3], off, off
	scratch_load_dwordx4 v[4:7], off, off offset:16
.LBB2140_372:
	s_or_b64 exec, exec, s[4:5]
	v_and_b32_e32 v8, 1, v11
	v_cmp_eq_u32_e64 s[4:5], 1, v8
	v_and_b32_e32 v8, 1, v14
	v_cmp_eq_u32_e64 s[6:7], 1, v8
	s_or_b64 s[4:5], s[4:5], s[6:7]
	v_cndmask_b32_e64 v8, 0, 1, s[4:5]
	scratch_store_byte off, v8, off offset:104
	scratch_load_dword v13, off, off offset:104
	s_waitcnt vmcnt(3)
	scratch_store_dwordx4 off, v[0:3], off offset:72
	s_waitcnt vmcnt(3)
	scratch_store_dwordx4 off, v[4:7], off offset:88
	s_waitcnt vmcnt(2)
	v_mov_b32_e32 v11, v13
.LBB2140_373:
	s_or_b64 exec, exec, s[8:9]
	v_mov_b32_dpp v18, v0 row_shr:4 row_mask:0xf bank_mask:0xf
	v_mov_b32_dpp v19, v1 row_shr:4 row_mask:0xf bank_mask:0xf
	;; [unrolled: 1-line block ×5, first 2 shown]
	v_cmp_lt_u32_e64 s[4:5], 3, v12
	v_mov_b32_dpp v22, v4 row_shr:4 row_mask:0xf bank_mask:0xf
	v_mov_b32_dpp v23, v5 row_shr:4 row_mask:0xf bank_mask:0xf
	;; [unrolled: 1-line block ×4, first 2 shown]
	scratch_store_dwordx4 off, v[18:21], off offset:112
	scratch_store_dwordx4 off, v[22:25], off offset:128
	scratch_store_dword off, v14, off offset:144
	s_and_saveexec_b64 s[8:9], s[4:5]
	s_cbranch_execz .LBB2140_381
; %bb.374:
	v_mov_b32_e32 v8, 0
	s_mov_b32 s6, 0
	v_cmp_eq_u16_sdwa s[10:11], v11, v8 src0_sel:BYTE_0 src1_sel:DWORD
	s_and_saveexec_b64 s[4:5], s[10:11]
	s_cbranch_execz .LBB2140_380
; %bb.375:
	v_mov_b32_e32 v9, v8
.LBB2140_376:                           ; =>This Inner Loop Header: Depth=1
	s_add_i32 s7, s6, 0
	s_add_i32 s6, s6, 8
	s_cmp_lg_u32 s6, 32
	scratch_store_dwordx2 off, v[8:9], s7
	s_cbranch_scc1 .LBB2140_376
; %bb.377:
	s_mov_b32 s6, 0
.LBB2140_378:                           ; =>This Inner Loop Header: Depth=1
	s_add_i32 s7, s6, 0x70
	s_add_i32 s10, s6, 0x48
	scratch_load_dwordx2 v[0:1], off, s7
	scratch_load_dwordx2 v[2:3], off, s10
	s_add_i32 s7, s6, 0
	s_add_i32 s6, s6, 8
	s_cmp_lg_u32 s6, 32
	s_waitcnt vmcnt(0)
	v_add_u32_e32 v1, v3, v1
	v_add_u32_e32 v0, v2, v0
	scratch_store_dwordx2 off, v[0:1], s7
	s_cbranch_scc1 .LBB2140_378
; %bb.379:
	scratch_load_dwordx4 v[0:3], off, off
	scratch_load_dwordx4 v[4:7], off, off offset:16
.LBB2140_380:
	s_or_b64 exec, exec, s[4:5]
	v_and_b32_e32 v8, 1, v11
	v_cmp_eq_u32_e64 s[4:5], 1, v8
	v_and_b32_e32 v8, 1, v14
	v_cmp_eq_u32_e64 s[6:7], 1, v8
	s_or_b64 s[4:5], s[4:5], s[6:7]
	v_cndmask_b32_e64 v8, 0, 1, s[4:5]
	scratch_store_byte off, v8, off offset:104
	scratch_load_dword v13, off, off offset:104
	s_waitcnt vmcnt(3)
	scratch_store_dwordx4 off, v[0:3], off offset:72
	s_waitcnt vmcnt(3)
	scratch_store_dwordx4 off, v[4:7], off offset:88
	s_waitcnt vmcnt(2)
	v_mov_b32_e32 v11, v13
.LBB2140_381:
	s_or_b64 exec, exec, s[8:9]
	v_mov_b32_dpp v18, v0 row_shr:8 row_mask:0xf bank_mask:0xf
	v_mov_b32_dpp v19, v1 row_shr:8 row_mask:0xf bank_mask:0xf
	;; [unrolled: 1-line block ×5, first 2 shown]
	v_cmp_lt_u32_e64 s[4:5], 7, v12
	v_mov_b32_dpp v22, v4 row_shr:8 row_mask:0xf bank_mask:0xf
	v_mov_b32_dpp v23, v5 row_shr:8 row_mask:0xf bank_mask:0xf
	;; [unrolled: 1-line block ×4, first 2 shown]
	scratch_store_dwordx4 off, v[18:21], off offset:112
	scratch_store_dwordx4 off, v[22:25], off offset:128
	scratch_store_dword off, v14, off offset:144
	s_and_saveexec_b64 s[8:9], s[4:5]
	s_cbranch_execz .LBB2140_389
; %bb.382:
	v_mov_b32_e32 v8, 0
	s_mov_b32 s6, 0
	v_cmp_eq_u16_sdwa s[10:11], v11, v8 src0_sel:BYTE_0 src1_sel:DWORD
	s_and_saveexec_b64 s[4:5], s[10:11]
	s_cbranch_execz .LBB2140_388
; %bb.383:
	v_mov_b32_e32 v9, v8
.LBB2140_384:                           ; =>This Inner Loop Header: Depth=1
	s_add_i32 s7, s6, 0
	s_add_i32 s6, s6, 8
	s_cmp_lg_u32 s6, 32
	scratch_store_dwordx2 off, v[8:9], s7
	s_cbranch_scc1 .LBB2140_384
; %bb.385:
	s_mov_b32 s6, 0
.LBB2140_386:                           ; =>This Inner Loop Header: Depth=1
	s_add_i32 s7, s6, 0x70
	s_add_i32 s10, s6, 0x48
	scratch_load_dwordx2 v[0:1], off, s7
	scratch_load_dwordx2 v[2:3], off, s10
	s_add_i32 s7, s6, 0
	s_add_i32 s6, s6, 8
	s_cmp_lg_u32 s6, 32
	s_waitcnt vmcnt(0)
	v_add_u32_e32 v1, v3, v1
	v_add_u32_e32 v0, v2, v0
	scratch_store_dwordx2 off, v[0:1], s7
	s_cbranch_scc1 .LBB2140_386
; %bb.387:
	scratch_load_dwordx4 v[0:3], off, off
	scratch_load_dwordx4 v[4:7], off, off offset:16
.LBB2140_388:
	s_or_b64 exec, exec, s[4:5]
	v_and_b32_e32 v8, 1, v11
	v_cmp_eq_u32_e64 s[4:5], 1, v8
	v_and_b32_e32 v8, 1, v14
	v_cmp_eq_u32_e64 s[6:7], 1, v8
	s_or_b64 s[4:5], s[4:5], s[6:7]
	v_cndmask_b32_e64 v8, 0, 1, s[4:5]
	scratch_store_byte off, v8, off offset:104
	scratch_load_dword v13, off, off offset:104
	s_waitcnt vmcnt(3)
	scratch_store_dwordx4 off, v[0:3], off offset:72
	s_waitcnt vmcnt(3)
	scratch_store_dwordx4 off, v[4:7], off offset:88
	s_waitcnt vmcnt(2)
	v_mov_b32_e32 v11, v13
.LBB2140_389:
	s_or_b64 exec, exec, s[8:9]
	v_and_b32_e32 v8, 16, v10
	v_mov_b32_dpp v18, v0 row_bcast:15 row_mask:0xf bank_mask:0xf
	v_mov_b32_dpp v19, v1 row_bcast:15 row_mask:0xf bank_mask:0xf
	;; [unrolled: 1-line block ×5, first 2 shown]
	v_cmp_ne_u32_e64 s[4:5], 0, v8
	v_mov_b32_dpp v22, v4 row_bcast:15 row_mask:0xf bank_mask:0xf
	v_mov_b32_dpp v23, v5 row_bcast:15 row_mask:0xf bank_mask:0xf
	;; [unrolled: 1-line block ×4, first 2 shown]
	scratch_store_dwordx4 off, v[18:21], off offset:112
	scratch_store_dwordx4 off, v[22:25], off offset:128
	scratch_store_dword off, v12, off offset:144
	s_and_saveexec_b64 s[8:9], s[4:5]
	s_cbranch_execz .LBB2140_397
; %bb.390:
	v_mov_b32_e32 v8, 0
	s_mov_b32 s6, 0
	v_cmp_eq_u16_sdwa s[10:11], v11, v8 src0_sel:BYTE_0 src1_sel:DWORD
	s_and_saveexec_b64 s[4:5], s[10:11]
	s_cbranch_execz .LBB2140_396
; %bb.391:
	v_mov_b32_e32 v9, v8
.LBB2140_392:                           ; =>This Inner Loop Header: Depth=1
	s_add_i32 s7, s6, 0
	s_add_i32 s6, s6, 8
	s_cmp_lg_u32 s6, 32
	scratch_store_dwordx2 off, v[8:9], s7
	s_cbranch_scc1 .LBB2140_392
; %bb.393:
	s_mov_b32 s6, 0
.LBB2140_394:                           ; =>This Inner Loop Header: Depth=1
	s_add_i32 s7, s6, 0x70
	s_add_i32 s10, s6, 0x48
	scratch_load_dwordx2 v[0:1], off, s7
	scratch_load_dwordx2 v[2:3], off, s10
	s_add_i32 s7, s6, 0
	s_add_i32 s6, s6, 8
	s_cmp_lg_u32 s6, 32
	s_waitcnt vmcnt(0)
	v_add_u32_e32 v1, v3, v1
	v_add_u32_e32 v0, v2, v0
	scratch_store_dwordx2 off, v[0:1], s7
	s_cbranch_scc1 .LBB2140_394
; %bb.395:
	scratch_load_dwordx4 v[0:3], off, off
	scratch_load_dwordx4 v[4:7], off, off offset:16
.LBB2140_396:
	s_or_b64 exec, exec, s[4:5]
	v_and_b32_e32 v8, 1, v11
	v_cmp_eq_u32_e64 s[4:5], 1, v8
	v_and_b32_e32 v8, 1, v12
	v_cmp_eq_u32_e64 s[6:7], 1, v8
	s_or_b64 s[4:5], s[4:5], s[6:7]
	v_cndmask_b32_e64 v8, 0, 1, s[4:5]
	scratch_store_byte off, v8, off offset:104
	scratch_load_dword v13, off, off offset:104
	s_waitcnt vmcnt(3)
	scratch_store_dwordx4 off, v[0:3], off offset:72
	s_waitcnt vmcnt(3)
	scratch_store_dwordx4 off, v[4:7], off offset:88
	s_waitcnt vmcnt(2)
	v_mov_b32_e32 v11, v13
.LBB2140_397:
	s_or_b64 exec, exec, s[8:9]
	v_mov_b32_dpp v18, v0 row_bcast:31 row_mask:0xf bank_mask:0xf
	v_mov_b32_dpp v19, v1 row_bcast:31 row_mask:0xf bank_mask:0xf
	;; [unrolled: 1-line block ×5, first 2 shown]
	v_cmp_lt_u32_e64 s[4:5], 31, v10
	v_mov_b32_dpp v22, v4 row_bcast:31 row_mask:0xf bank_mask:0xf
	v_mov_b32_dpp v23, v5 row_bcast:31 row_mask:0xf bank_mask:0xf
	;; [unrolled: 1-line block ×4, first 2 shown]
	scratch_store_dwordx4 off, v[18:21], off offset:112
	scratch_store_dwordx4 off, v[22:25], off offset:128
	scratch_store_dword off, v12, off offset:144
	s_and_saveexec_b64 s[8:9], s[4:5]
	s_cbranch_execz .LBB2140_405
; %bb.398:
	v_mov_b32_e32 v8, 0
	s_mov_b32 s6, 0
	v_cmp_eq_u16_sdwa s[10:11], v11, v8 src0_sel:BYTE_0 src1_sel:DWORD
	s_and_saveexec_b64 s[4:5], s[10:11]
	s_cbranch_execz .LBB2140_404
; %bb.399:
	v_mov_b32_e32 v9, v8
.LBB2140_400:                           ; =>This Inner Loop Header: Depth=1
	s_add_i32 s7, s6, 0
	s_add_i32 s6, s6, 8
	s_cmp_lg_u32 s6, 32
	scratch_store_dwordx2 off, v[8:9], s7
	s_cbranch_scc1 .LBB2140_400
; %bb.401:
	s_mov_b32 s6, 0
.LBB2140_402:                           ; =>This Inner Loop Header: Depth=1
	s_add_i32 s7, s6, 0x70
	s_add_i32 s10, s6, 0x48
	scratch_load_dwordx2 v[0:1], off, s7
	scratch_load_dwordx2 v[2:3], off, s10
	s_add_i32 s7, s6, 0
	s_add_i32 s6, s6, 8
	s_cmp_lg_u32 s6, 32
	s_waitcnt vmcnt(0)
	v_add_u32_e32 v1, v3, v1
	v_add_u32_e32 v0, v2, v0
	scratch_store_dwordx2 off, v[0:1], s7
	s_cbranch_scc1 .LBB2140_402
; %bb.403:
	scratch_load_dwordx4 v[0:3], off, off
	scratch_load_dwordx4 v[4:7], off, off offset:16
.LBB2140_404:
	s_or_b64 exec, exec, s[4:5]
	v_and_b32_e32 v8, 1, v11
	v_cmp_eq_u32_e64 s[4:5], 1, v8
	v_and_b32_e32 v8, 1, v12
	v_cmp_eq_u32_e64 s[6:7], 1, v8
	s_or_b64 s[4:5], s[4:5], s[6:7]
	v_cndmask_b32_e64 v11, 0, 1, s[4:5]
	s_waitcnt vmcnt(1)
	scratch_store_dwordx4 off, v[0:3], off offset:72
	s_waitcnt vmcnt(1)
	scratch_store_dwordx4 off, v[4:7], off offset:88
	scratch_store_byte off, v11, off offset:104
.LBB2140_405:
	s_or_b64 exec, exec, s[8:9]
	v_or_b32_e32 v8, 63, v16
	v_lshrrev_b32_e32 v12, 6, v16
	v_cmp_eq_u32_e64 s[4:5], v8, v16
	s_and_saveexec_b64 s[6:7], s[4:5]
	s_cbranch_execz .LBB2140_407
; %bb.406:
	v_mul_u32_u24_e32 v8, 36, v12
	ds_write2_b32 v8, v0, v1 offset1:1
	ds_write2_b32 v8, v2, v3 offset0:2 offset1:3
	ds_write2_b32 v8, v4, v5 offset0:4 offset1:5
	;; [unrolled: 1-line block ×3, first 2 shown]
	ds_write_b8 v8, v11 offset:32
.LBB2140_407:
	s_or_b64 exec, exec, s[6:7]
	v_cmp_gt_u32_e64 s[4:5], 4, v16
	s_waitcnt lgkmcnt(0)
	s_barrier
	s_and_saveexec_b64 s[8:9], s[4:5]
	s_cbranch_execz .LBB2140_425
; %bb.408:
	v_mul_u32_u24_e32 v11, 36, v16
	ds_read_b32 v13, v11 offset:32
	ds_read2_b32 v[4:5], v11 offset0:4 offset1:5
	ds_read2_b32 v[2:3], v11 offset0:2 offset1:3
	ds_read2_b32 v[0:1], v11 offset1:1
	ds_read2_b32 v[6:7], v11 offset0:6 offset1:7
	v_and_b32_e32 v14, 3, v10
	s_waitcnt lgkmcnt(4)
	v_mov_b32_dpp v15, v13 row_shr:1 row_mask:0xf bank_mask:0xf
	s_waitcnt lgkmcnt(2)
	v_mov_b32_dpp v20, v2 row_shr:1 row_mask:0xf bank_mask:0xf
	;; [unrolled: 2-line block ×3, first 2 shown]
	v_mov_b32_dpp v19, v1 row_shr:1 row_mask:0xf bank_mask:0xf
	v_mov_b32_dpp v21, v3 row_shr:1 row_mask:0xf bank_mask:0xf
	v_cmp_ne_u32_e64 s[4:5], 0, v14
	scratch_store_dword off, v13, off offset:32
	scratch_store_dwordx4 off, v[0:3], off
	s_waitcnt lgkmcnt(0)
	scratch_store_dwordx4 off, v[4:7], off offset:16
	v_mov_b32_dpp v22, v4 row_shr:1 row_mask:0xf bank_mask:0xf
	v_mov_b32_dpp v23, v5 row_shr:1 row_mask:0xf bank_mask:0xf
	;; [unrolled: 1-line block ×4, first 2 shown]
	scratch_store_dwordx4 off, v[18:21], off offset:112
	scratch_store_dwordx4 off, v[22:25], off offset:128
	scratch_store_dword off, v15, off offset:144
	s_and_saveexec_b64 s[6:7], s[4:5]
	s_cbranch_execz .LBB2140_416
; %bb.409:
	v_mov_b32_e32 v8, 0
	v_cmp_eq_u16_sdwa s[10:11], v13, v8 src0_sel:BYTE_0 src1_sel:DWORD
	s_and_saveexec_b64 s[4:5], s[10:11]
	s_cbranch_execz .LBB2140_415
; %bb.410:
	s_mov_b32 s10, 0
	v_mov_b32_e32 v9, v8
.LBB2140_411:                           ; =>This Inner Loop Header: Depth=1
	s_add_i32 s11, s10, 36
	s_add_i32 s10, s10, 8
	s_cmp_lg_u32 s10, 32
	scratch_store_dwordx2 off, v[8:9], s11
	s_cbranch_scc1 .LBB2140_411
; %bb.412:
	s_mov_b32 s10, 0
.LBB2140_413:                           ; =>This Inner Loop Header: Depth=1
	s_add_i32 s11, s10, 0x70
	s_add_i32 s12, s10, 0
	scratch_load_dwordx2 v[0:1], off, s11
	scratch_load_dwordx2 v[2:3], off, s12
	s_add_i32 s11, s10, 36
	s_add_i32 s10, s10, 8
	s_cmp_lg_u32 s10, 32
	s_waitcnt vmcnt(0)
	v_add_u32_e32 v1, v3, v1
	v_add_u32_e32 v0, v2, v0
	scratch_store_dwordx2 off, v[0:1], s11
	s_cbranch_scc1 .LBB2140_413
; %bb.414:
	scratch_load_dwordx4 v[0:3], off, off offset:36
	scratch_load_dwordx4 v[4:7], off, off offset:52
.LBB2140_415:
	s_or_b64 exec, exec, s[4:5]
	v_or_b32_e32 v8, v15, v13
	v_and_b32_e32 v8, 1, v8
	scratch_store_byte off, v8, off offset:32
	scratch_load_dword v13, off, off offset:32
	s_waitcnt vmcnt(3)
	scratch_store_dwordx4 off, v[0:3], off
	s_waitcnt vmcnt(3)
	scratch_store_dwordx4 off, v[4:7], off offset:16
.LBB2140_416:
	s_or_b64 exec, exec, s[6:7]
	v_mov_b32_dpp v18, v0 row_shr:2 row_mask:0xf bank_mask:0xf
	v_mov_b32_dpp v19, v1 row_shr:2 row_mask:0xf bank_mask:0xf
	;; [unrolled: 1-line block ×4, first 2 shown]
	s_waitcnt vmcnt(2)
	v_mov_b32_dpp v15, v13 row_shr:2 row_mask:0xf bank_mask:0xf
	v_cmp_lt_u32_e64 s[4:5], 1, v14
	v_mov_b32_dpp v22, v4 row_shr:2 row_mask:0xf bank_mask:0xf
	v_mov_b32_dpp v23, v5 row_shr:2 row_mask:0xf bank_mask:0xf
	;; [unrolled: 1-line block ×4, first 2 shown]
	scratch_store_dwordx4 off, v[18:21], off offset:112
	scratch_store_dwordx4 off, v[22:25], off offset:128
	scratch_store_dword off, v15, off offset:144
	s_and_saveexec_b64 s[10:11], s[4:5]
	s_cbranch_execz .LBB2140_424
; %bb.417:
	v_mov_b32_e32 v8, 0
	s_mov_b32 s6, 0
	v_cmp_eq_u16_sdwa s[12:13], v13, v8 src0_sel:BYTE_0 src1_sel:DWORD
	s_and_saveexec_b64 s[4:5], s[12:13]
	s_cbranch_execz .LBB2140_423
; %bb.418:
	v_mov_b32_e32 v9, v8
.LBB2140_419:                           ; =>This Inner Loop Header: Depth=1
	s_add_i32 s7, s6, 36
	s_add_i32 s6, s6, 8
	s_cmp_lg_u32 s6, 32
	scratch_store_dwordx2 off, v[8:9], s7
	s_cbranch_scc1 .LBB2140_419
; %bb.420:
	s_mov_b32 s6, 0
.LBB2140_421:                           ; =>This Inner Loop Header: Depth=1
	s_add_i32 s7, s6, 0x70
	s_add_i32 s12, s6, 0
	scratch_load_dwordx2 v[0:1], off, s7
	scratch_load_dwordx2 v[2:3], off, s12
	s_add_i32 s7, s6, 36
	s_add_i32 s6, s6, 8
	s_cmp_lg_u32 s6, 32
	s_waitcnt vmcnt(0)
	v_add_u32_e32 v1, v3, v1
	v_add_u32_e32 v0, v2, v0
	scratch_store_dwordx2 off, v[0:1], s7
	s_cbranch_scc1 .LBB2140_421
; %bb.422:
	scratch_load_dwordx4 v[0:3], off, off offset:36
	scratch_load_dwordx4 v[4:7], off, off offset:52
.LBB2140_423:
	s_or_b64 exec, exec, s[4:5]
	v_and_b32_e32 v8, 1, v13
	v_cmp_eq_u32_e64 s[4:5], 1, v8
	v_and_b32_e32 v8, 1, v15
	v_cmp_eq_u32_e64 s[6:7], 1, v8
	s_or_b64 s[4:5], s[4:5], s[6:7]
	v_cndmask_b32_e64 v13, 0, 1, s[4:5]
	s_waitcnt vmcnt(1)
	scratch_store_dwordx4 off, v[0:3], off
	s_waitcnt vmcnt(1)
	scratch_store_dwordx4 off, v[4:7], off offset:16
.LBB2140_424:
	s_or_b64 exec, exec, s[10:11]
	scratch_load_dwordx4 v[0:3], off, off
	scratch_load_dwordx4 v[4:7], off, off offset:16
	s_waitcnt vmcnt(1)
	ds_write2_b32 v11, v2, v3 offset0:2 offset1:3
	ds_write2_b32 v11, v0, v1 offset1:1
	s_waitcnt vmcnt(0)
	ds_write2_b32 v11, v6, v7 offset0:6 offset1:7
	ds_write2_b32 v11, v4, v5 offset0:4 offset1:5
	ds_write_b8 v11, v13 offset:32
.LBB2140_425:
	s_or_b64 exec, exec, s[8:9]
	s_mov_b32 s4, 0
	s_mov_b32 s5, s4
	v_mov_b32_e32 v0, 0
	s_mov_b32 s6, s4
	s_mov_b32 s7, s4
	v_mov_b64_e32 v[2:3], s[4:5]
	v_mov_b64_e32 v[4:5], s[6:7]
	v_mov_b32_e32 v1, v0
	s_waitcnt lgkmcnt(0)
	s_barrier
	scratch_store_dword off, v0, off offset:144
	scratch_store_dwordx4 off, v[2:5], off offset:128
	scratch_store_dwordx4 off, v[2:5], off offset:112
.LBB2140_426:                           ; =>This Inner Loop Header: Depth=1
	s_add_i32 s5, s4, 0x70
	s_add_i32 s4, s4, 8
	s_cmp_lg_u32 s4, 32
	scratch_store_dwordx2 off, v[0:1], s5
	s_cbranch_scc1 .LBB2140_426
; %bb.427:
	v_cmp_lt_u32_e64 s[4:5], 63, v16
                                        ; implicit-def: $vgpr0_vgpr1
                                        ; implicit-def: $vgpr4_vgpr5
                                        ; implicit-def: $vgpr8
	s_and_saveexec_b64 s[6:7], s[4:5]
	s_xor_b64 s[6:7], exec, s[6:7]
	s_cbranch_execz .LBB2140_437
; %bb.428:
	scratch_load_ubyte v9, off, off offset:104
	v_not_b32_e32 v0, 35
	v_mad_u32_u24 v8, v12, 36, v0
	ds_read2_b32 v[0:1], v8 offset0:4 offset1:5
	ds_read2_b32 v[6:7], v8 offset0:2 offset1:3
	ds_read2_b32 v[4:5], v8 offset1:1
	ds_read2_b32 v[2:3], v8 offset0:6 offset1:7
	ds_read_u8 v8, v8 offset:32
	s_waitcnt lgkmcnt(2)
	scratch_store_dwordx4 off, v[4:7], off offset:112
	s_waitcnt lgkmcnt(1)
	scratch_store_dwordx4 off, v[0:3], off offset:128
                                        ; implicit-def: $vgpr0_vgpr1
                                        ; implicit-def: $vgpr4_vgpr5
	s_waitcnt vmcnt(2)
	v_cmp_ne_u16_e64 s[4:5], 0, v9
	s_and_saveexec_b64 s[8:9], s[4:5]
	s_xor_b64 s[4:5], exec, s[8:9]
	s_cbranch_execz .LBB2140_430
; %bb.429:
	scratch_load_dwordx4 v[0:3], off, off offset:72
	scratch_load_dwordx4 v[4:7], off, off offset:88
.LBB2140_430:
	s_andn2_saveexec_b64 s[4:5], s[4:5]
	s_cbranch_execz .LBB2140_436
; %bb.431:
	s_waitcnt vmcnt(1)
	v_mov_b32_e32 v0, 0
	s_mov_b32 s8, 0
	v_mov_b32_e32 v1, v0
.LBB2140_432:                           ; =>This Inner Loop Header: Depth=1
	s_add_i32 s9, s8, 0
	s_add_i32 s8, s8, 8
	s_cmp_lg_u32 s8, 32
	scratch_store_dwordx2 off, v[0:1], s9
	s_cbranch_scc1 .LBB2140_432
; %bb.433:
	s_mov_b32 s8, 0
.LBB2140_434:                           ; =>This Inner Loop Header: Depth=1
	s_add_i32 s9, s8, 0x70
	s_add_i32 s10, s8, 0x48
	scratch_load_dwordx2 v[0:1], off, s9
	scratch_load_dwordx2 v[2:3], off, s10
	s_add_i32 s9, s8, 0
	s_add_i32 s8, s8, 8
	s_cmp_lg_u32 s8, 32
	s_waitcnt vmcnt(0)
	v_add_u32_e32 v1, v3, v1
	v_add_u32_e32 v0, v2, v0
	scratch_store_dwordx2 off, v[0:1], s9
	s_cbranch_scc1 .LBB2140_434
; %bb.435:
	scratch_load_dwordx4 v[0:3], off, off
	scratch_load_dwordx4 v[4:7], off, off offset:16
.LBB2140_436:
	s_or_b64 exec, exec, s[4:5]
	s_waitcnt lgkmcnt(0)
	v_or_b32_e32 v9, v9, v8
	v_and_b32_e32 v9, 1, v9
	scratch_store_byte off, v9, off offset:104
.LBB2140_437:
	s_andn2_saveexec_b64 s[4:5], s[6:7]
	s_cbranch_execz .LBB2140_439
; %bb.438:
	scratch_load_dwordx4 v[0:3], off, off offset:72
	scratch_load_dwordx4 v[4:7], off, off offset:88
	v_mov_b32_e32 v8, 0
.LBB2140_439:
	s_or_b64 exec, exec, s[4:5]
	scratch_load_dword v11, off, off offset:104
	v_add_u32_e32 v9, -1, v10
	v_and_b32_e32 v12, 64, v10
	v_cmp_lt_i32_e64 s[4:5], v9, v12
	s_nop 1
	v_cndmask_b32_e64 v9, v9, v10, s[4:5]
	v_lshlrev_b32_e32 v9, 2, v9
	s_waitcnt vmcnt(2)
	ds_bpermute_b32 v0, v9, v0
	ds_bpermute_b32 v1, v9, v1
	;; [unrolled: 1-line block ×4, first 2 shown]
	s_waitcnt vmcnt(1)
	ds_bpermute_b32 v4, v9, v4
	ds_bpermute_b32 v5, v9, v5
	;; [unrolled: 1-line block ×4, first 2 shown]
	v_cmp_eq_u32_e64 s[4:5], 0, v10
	s_waitcnt vmcnt(0)
	ds_bpermute_b32 v9, v9, v11
	s_waitcnt lgkmcnt(5)
	scratch_store_dwordx4 off, v[0:3], off offset:72
	s_waitcnt lgkmcnt(1)
	scratch_store_dwordx4 off, v[4:7], off offset:88
	s_waitcnt lgkmcnt(0)
	scratch_store_byte off, v9, off offset:104
	s_and_saveexec_b64 s[6:7], s[4:5]
	s_cbranch_execz .LBB2140_441
; %bb.440:
	scratch_load_dwordx4 v[0:3], off, off offset:112
	scratch_load_dwordx4 v[4:7], off, off offset:128
	v_mov_b32_e32 v9, v8
	scratch_store_byte off, v8, off offset:104
	s_waitcnt vmcnt(2)
	scratch_store_dwordx4 off, v[0:3], off offset:72
	s_waitcnt vmcnt(2)
	scratch_store_dwordx4 off, v[4:7], off offset:88
.LBB2140_441:
	s_or_b64 exec, exec, s[6:7]
	scratch_load_dwordx4 v[12:15], off, off offset:288
	scratch_load_dwordx4 v[18:21], off, off offset:304
	scratch_load_dword v8, off, off offset:320
	s_mov_b32 s4, 0x3020104
	scratch_store_dwordx4 off, v[0:3], off
	scratch_store_dwordx4 off, v[4:7], off offset:16
                                        ; implicit-def: $vgpr6_vgpr7
                                        ; implicit-def: $vgpr2_vgpr3
	s_nop 0
	v_perm_b32 v0, v9, v11, s4
	scratch_store_dword off, v0, off offset:32
	s_waitcnt vmcnt(5)
	scratch_store_dwordx4 off, v[12:15], off offset:36
	s_waitcnt vmcnt(5)
	scratch_store_dwordx4 off, v[18:21], off offset:52
	s_waitcnt vmcnt(5)
	scratch_store_dword off, v8, off offset:68
	s_and_saveexec_b64 s[4:5], s[2:3]
	s_xor_b64 s[2:3], exec, s[4:5]
	s_cbranch_execz .LBB2140_451
; %bb.442:
	v_mov_b32_e32 v0, 0
	v_cmp_ne_u16_sdwa s[4:5], v8, v0 src0_sel:BYTE_0 src1_sel:DWORD
                                        ; implicit-def: $vgpr6_vgpr7
                                        ; implicit-def: $vgpr2_vgpr3
	s_and_saveexec_b64 s[6:7], s[4:5]
	s_xor_b64 s[4:5], exec, s[6:7]
	s_cbranch_execz .LBB2140_444
; %bb.443:
	scratch_load_dwordx4 v[0:3], off, off offset:36
	scratch_load_dwordx4 v[4:7], off, off offset:52
.LBB2140_444:
	s_andn2_saveexec_b64 s[4:5], s[4:5]
	s_cbranch_execz .LBB2140_450
; %bb.445:
	s_waitcnt vmcnt(1)
	v_mov_b32_e32 v0, 0
	s_mov_b32 s6, 0
	v_mov_b32_e32 v1, v0
.LBB2140_446:                           ; =>This Inner Loop Header: Depth=1
	s_add_i32 s7, s6, 0x70
	s_add_i32 s6, s6, 8
	s_cmp_lg_u32 s6, 32
	scratch_store_dwordx2 off, v[0:1], s7
	s_cbranch_scc1 .LBB2140_446
; %bb.447:
	s_mov_b32 s6, 0
.LBB2140_448:                           ; =>This Inner Loop Header: Depth=1
	s_add_i32 s7, s6, 0
	s_add_i32 s8, s6, 36
	scratch_load_dwordx2 v[0:1], off, s7
	scratch_load_dwordx2 v[2:3], off, s8
	s_add_i32 s7, s6, 0x70
	s_add_i32 s6, s6, 8
	s_cmp_lg_u32 s6, 32
	s_waitcnt vmcnt(0)
	v_add_u32_e32 v1, v3, v1
	v_add_u32_e32 v0, v2, v0
	scratch_store_dwordx2 off, v[0:1], s7
	s_cbranch_scc1 .LBB2140_448
; %bb.449:
	scratch_load_dwordx4 v[0:3], off, off offset:112
	scratch_load_dwordx4 v[4:7], off, off offset:128
.LBB2140_450:
	s_or_b64 exec, exec, s[4:5]
	v_or_b32_e32 v8, v8, v9
	v_and_b32_e32 v8, 1, v8
	s_waitcnt vmcnt(1)
	scratch_store_dwordx4 off, v[0:3], off offset:36
	s_waitcnt vmcnt(1)
	scratch_store_dwordx4 off, v[4:7], off offset:52
	;;#ASMSTART
	;;#ASMEND
.LBB2140_451:
	s_andn2_saveexec_b64 s[2:3], s[2:3]
	s_cbranch_execz .LBB2140_453
; %bb.452:
	scratch_load_dwordx4 v[0:3], off, off offset:36
	scratch_load_dwordx4 v[4:7], off, off offset:52
.LBB2140_453:
	s_or_b64 exec, exec, s[2:3]
	scratch_load_dwordx4 v[10:13], off, off offset:36
	scratch_load_dwordx4 v[18:21], off, off offset:52
	scratch_load_ushort v14, off, off offset:69
	scratch_load_ubyte v15, off, off offset:71
	scratch_load_ubyte v9, off, off offset:356
	s_nop 0
	scratch_store_byte off, v8, off offset:320
	s_waitcnt vmcnt(7)
	scratch_store_dwordx4 off, v[0:3], off offset:112
	s_waitcnt vmcnt(7)
	scratch_store_dwordx4 off, v[4:7], off offset:128
	;; [unrolled: 2-line block ×4, first 2 shown]
	s_waitcnt vmcnt(7)
	v_lshrrev_b32_e32 v0, 8, v14
	v_lshlrev_b16_e32 v1, 8, v14
	s_waitcnt vmcnt(6)
	v_lshlrev_b16_e32 v2, 8, v15
	v_or_b32_sdwa v1, v8, v1 dst_sel:DWORD dst_unused:UNUSED_PAD src0_sel:BYTE_0 src1_sel:DWORD
	v_or_b32_sdwa v0, v0, v2 dst_sel:WORD_1 dst_unused:UNUSED_PAD src0_sel:BYTE_0 src1_sel:DWORD
	s_waitcnt vmcnt(5)
	v_cmp_ne_u16_e64 s[2:3], 0, v9
	v_or_b32_sdwa v0, v1, v0 dst_sel:DWORD dst_unused:UNUSED_PAD src0_sel:WORD_0 src1_sel:DWORD
	scratch_store_dword off, v0, off offset:144
                                        ; implicit-def: $vgpr6_vgpr7
                                        ; implicit-def: $vgpr2_vgpr3
	s_and_saveexec_b64 s[4:5], s[2:3]
	s_xor_b64 s[2:3], exec, s[4:5]
	s_cbranch_execz .LBB2140_455
; %bb.454:
	scratch_load_dwordx4 v[0:3], off, off offset:324
	scratch_load_dwordx4 v[4:7], off, off offset:340
.LBB2140_455:
	s_andn2_saveexec_b64 s[2:3], s[2:3]
	s_cbranch_execz .LBB2140_461
; %bb.456:
	s_waitcnt vmcnt(1)
	v_mov_b32_e32 v0, 0
	s_mov_b32 s4, 0
	v_mov_b32_e32 v1, v0
.LBB2140_457:                           ; =>This Inner Loop Header: Depth=1
	s_add_i32 s5, s4, 0xf4
	s_add_i32 s4, s4, 8
	s_cmp_lg_u32 s4, 32
	scratch_store_dwordx2 off, v[0:1], s5
	s_cbranch_scc1 .LBB2140_457
; %bb.458:
	s_mov_b32 s4, 0
.LBB2140_459:                           ; =>This Inner Loop Header: Depth=1
	s_add_i32 s5, s4, 0x70
	s_add_i32 s6, s19, s4
	scratch_load_dwordx2 v[0:1], off, s5
	scratch_load_dwordx2 v[2:3], off, s6
	s_add_i32 s5, s4, 0xf4
	s_add_i32 s4, s4, 8
	s_cmp_lg_u32 s4, 32
	s_waitcnt vmcnt(0)
	v_add_u32_e32 v1, v3, v1
	v_add_u32_e32 v0, v2, v0
	scratch_store_dwordx2 off, v[0:1], s5
	s_cbranch_scc1 .LBB2140_459
; %bb.460:
	scratch_load_dwordx4 v[0:3], off, off offset:244
	scratch_load_dwordx4 v[4:7], off, off offset:260
.LBB2140_461:
	s_or_b64 exec, exec, s[2:3]
	scratch_load_ubyte v10, off, off offset:392
	v_or_b32_e32 v8, v9, v8
	v_and_b32_e32 v8, 1, v8
	v_cmp_eq_u32_e64 s[2:3], 1, v8
	s_waitcnt vmcnt(2)
	scratch_store_dwordx4 off, v[0:3], off offset:112
	s_waitcnt vmcnt(2)
	scratch_store_dwordx4 off, v[4:7], off offset:128
	scratch_store_dwordx4 off, v[0:3], s19
	scratch_store_dwordx4 off, v[4:7], s19 offset:16
	scratch_store_byte off, v8, off offset:356
                                        ; implicit-def: $vgpr6_vgpr7
                                        ; implicit-def: $vgpr2_vgpr3
	s_waitcnt vmcnt(5)
	v_cmp_ne_u16_e64 s[4:5], 0, v10
	s_and_saveexec_b64 s[6:7], s[4:5]
	s_xor_b64 s[4:5], exec, s[6:7]
	s_cbranch_execz .LBB2140_463
; %bb.462:
	scratch_load_dwordx4 v[0:3], off, off offset:360
	scratch_load_dwordx4 v[4:7], off, off offset:376
.LBB2140_463:
	s_andn2_saveexec_b64 s[4:5], s[4:5]
	s_cbranch_execz .LBB2140_469
; %bb.464:
	s_waitcnt vmcnt(1)
	v_mov_b32_e32 v0, 0
	s_mov_b32 s6, 0
	v_mov_b32_e32 v1, v0
.LBB2140_465:                           ; =>This Inner Loop Header: Depth=1
	s_add_i32 s7, s6, 0xf4
	s_add_i32 s6, s6, 8
	s_cmp_lg_u32 s6, 32
	scratch_store_dwordx2 off, v[0:1], s7
	s_cbranch_scc1 .LBB2140_465
; %bb.466:
	s_mov_b32 s6, 0
.LBB2140_467:                           ; =>This Inner Loop Header: Depth=1
	s_add_i32 s7, s6, 0x70
	s_add_i32 s8, s33, s6
	scratch_load_dwordx2 v[0:1], off, s7
	scratch_load_dwordx2 v[2:3], off, s8
	s_add_i32 s7, s6, 0xf4
	s_add_i32 s6, s6, 8
	s_cmp_lg_u32 s6, 32
	s_waitcnt vmcnt(0)
	v_add_u32_e32 v1, v3, v1
	v_add_u32_e32 v0, v2, v0
	scratch_store_dwordx2 off, v[0:1], s7
	s_cbranch_scc1 .LBB2140_467
; %bb.468:
	scratch_load_dwordx4 v[0:3], off, off offset:244
	scratch_load_dwordx4 v[4:7], off, off offset:260
.LBB2140_469:
	s_or_b64 exec, exec, s[4:5]
	v_and_b32_e32 v8, 1, v10
	v_cmp_eq_u32_e64 s[4:5], 1, v8
	v_mov_b32_e32 v8, 0
	ds_read2_b32 v[12:13], v8 offset0:33 offset1:34
	ds_read2_b32 v[10:11], v8 offset0:31 offset1:32
	;; [unrolled: 1-line block ×4, first 2 shown]
	s_waitcnt vmcnt(1)
	scratch_store_dwordx4 off, v[0:3], s33
	ds_read_u8 v0, v8 offset:140
	s_or_b64 s[2:3], s[4:5], s[2:3]
	v_cndmask_b32_e64 v9, 0, 1, s[2:3]
	s_waitcnt vmcnt(1)
	scratch_store_dwordx4 off, v[4:7], s33 offset:16
	scratch_store_byte off, v9, off offset:392
	s_waitcnt lgkmcnt(1)
	scratch_store_dwordx4 off, v[18:21], off offset:208
	scratch_store_dwordx4 off, v[10:13], off offset:224
	s_waitcnt lgkmcnt(0)
	scratch_store_byte off, v0, off offset:240
	s_and_saveexec_b64 s[2:3], vcc
	s_cbranch_execz .LBB2140_471
; %bb.470:
	scratch_load_ushort v1, off, off offset:241
	scratch_load_ubyte v6, off, off offset:243
	scratch_load_dwordx4 v[2:5], off, off offset:208
	scratch_load_dwordx4 v[10:13], off, off offset:224
	s_mov_b32 s4, 0x2010004
	v_mov_b32_e32 v7, 2
	s_waitcnt vmcnt(1)
	global_store_dword v8, v2, s[14:15] offset:2304 sc1
	global_store_dword v8, v3, s[14:15] offset:2308 sc1
	;; [unrolled: 1-line block ×4, first 2 shown]
	s_waitcnt vmcnt(4)
	global_store_dword v8, v10, s[14:15] offset:2320 sc1
	global_store_dword v8, v11, s[14:15] offset:2324 sc1
	;; [unrolled: 1-line block ×4, first 2 shown]
	v_lshl_or_b32 v1, v6, 16, v1
	v_perm_b32 v0, v0, v1, s4
	global_store_dword v8, v0, s[14:15] offset:2336 sc1
	s_waitcnt vmcnt(0)
	global_store_byte v8, v7, s[16:17] offset:64 sc1
.LBB2140_471:
	s_or_b64 exec, exec, s[2:3]
.LBB2140_472:
	v_mov_b32_e32 v0, 0
	s_mov_b32 s2, 0
	v_mov_b32_e32 v1, v0
.LBB2140_473:                           ; =>This Inner Loop Header: Depth=1
	s_add_i32 s3, s2, 0x70
	s_add_i32 s2, s2, 8
	s_cmp_lg_u32 s2, 32
	scratch_store_dwordx2 off, v[0:1], s3
	s_cbranch_scc1 .LBB2140_473
; %bb.474:
	v_mov_b32_e32 v0, 0
	s_mov_b32 s2, 32
	v_mov_b32_e32 v1, v0
.LBB2140_475:                           ; =>This Inner Loop Header: Depth=1
	s_add_i32 s3, s2, 0x70
	s_add_i32 s2, s2, 8
	s_cmp_lg_u32 s2, 64
	scratch_store_dwordx2 off, v[0:1], s3
	s_cbranch_scc1 .LBB2140_475
; %bb.476:
	v_mov_b32_e32 v0, 0
	s_mov_b32 s2, 64
	v_mov_b32_e32 v1, v0
.LBB2140_477:                           ; =>This Inner Loop Header: Depth=1
	s_add_i32 s3, s2, 0x70
	s_add_i32 s2, s2, 8
	s_cmpk_lg_i32 s2, 0x60
	scratch_store_dwordx2 off, v[0:1], s3
	s_cbranch_scc1 .LBB2140_477
; %bb.478:
	s_add_u32 s2, s26, s28
	s_addc_u32 s3, s27, s29
	v_mov_b32_e32 v0, 0x70
	s_add_u32 s2, s2, s20
	v_add_u32_e32 v4, 64, v0
	v_add_u32_e32 v5, 32, v0
	s_addc_u32 s3, s3, s21
	s_and_b64 vcc, exec, s[0:1]
	s_cbranch_vccz .LBB2140_488
; %bb.479:
	s_add_i32 s48, s48, s18
	v_mul_u32_u24_e32 v0, 3, v16
	v_cmp_gt_u32_e32 vcc, s48, v0
	s_and_saveexec_b64 s[0:1], vcc
	s_cbranch_execz .LBB2140_483
; %bb.480:
	scratch_load_dwordx4 v[6:9], off, off offset:288
	scratch_load_dwordx4 v[10:13], off, off offset:304
	v_add_u32_e32 v1, 1, v0
	v_cmp_gt_u32_e32 vcc, s48, v1
	s_waitcnt vmcnt(1)
	scratch_store_dwordx4 off, v[6:9], off offset:112
	s_waitcnt vmcnt(1)
	scratch_store_dwordx4 off, v[10:13], off offset:128
	s_and_b64 exec, exec, vcc
	s_cbranch_execz .LBB2140_483
; %bb.481:
	scratch_load_dwordx4 v[6:9], off, s19
	scratch_load_dwordx4 v[10:13], off, s19 offset:16
	v_add_u32_e32 v1, 2, v0
	v_cmp_gt_u32_e32 vcc, s48, v1
	s_waitcnt vmcnt(1)
	scratch_store_dwordx4 v5, v[6:9], off
	s_waitcnt vmcnt(1)
	scratch_store_dwordx4 v5, v[10:13], off offset:16
	s_and_b64 exec, exec, vcc
	s_cbranch_execz .LBB2140_483
; %bb.482:
	scratch_load_dwordx4 v[6:9], off, s33
	scratch_load_dwordx4 v[10:13], off, s33 offset:16
	s_waitcnt vmcnt(1)
	scratch_store_dwordx4 v4, v[6:9], off
	s_waitcnt vmcnt(1)
	scratch_store_dwordx4 v4, v[10:13], off offset:16
.LBB2140_483:
	s_or_b64 exec, exec, s[0:1]
	s_barrier
	scratch_load_dwordx4 v[8:11], off, off offset:112
	scratch_load_dwordx4 v[12:15], off, off offset:128
	scratch_load_dwordx4 v[18:21], v5, off
	scratch_load_dwordx4 v[22:25], v5, off offset:16
	scratch_load_dwordx4 v[26:29], v4, off
	scratch_load_dwordx4 v[30:33], v4, off offset:16
	v_lshlrev_b32_e32 v2, 5, v0
	v_lshlrev_b32_e32 v3, 6, v16
	v_sub_u32_e32 v6, v2, v3
	v_mov_b32_e32 v1, 0
	v_lshlrev_b32_e32 v0, 5, v16
	v_cmp_gt_u32_e32 vcc, s48, v16
	s_waitcnt vmcnt(5)
	ds_write_b128 v2, v[8:11]
	s_waitcnt vmcnt(4)
	ds_write_b128 v2, v[12:15] offset:16
	s_waitcnt vmcnt(3)
	ds_write_b128 v2, v[18:21] offset:32
	;; [unrolled: 2-line block ×5, first 2 shown]
	s_waitcnt lgkmcnt(0)
	s_barrier
	ds_read_b128 v[8:11], v6 offset:8192
	ds_read_b128 v[12:15], v6 offset:8208
	;; [unrolled: 1-line block ×4, first 2 shown]
	v_lshl_add_u64 v[2:3], s[2:3], 0, v[0:1]
	s_waitcnt lgkmcnt(3)
	scratch_store_dwordx4 v5, v[8:11], off
	s_waitcnt lgkmcnt(2)
	scratch_store_dwordx4 v5, v[12:15], off offset:16
	s_waitcnt lgkmcnt(1)
	scratch_store_dwordx4 v4, v[18:21], off
	s_waitcnt lgkmcnt(0)
	scratch_store_dwordx4 v4, v[22:25], off offset:16
	s_and_saveexec_b64 s[0:1], vcc
	s_cbranch_execz .LBB2140_485
; %bb.484:
	ds_read2_b32 v[8:9], v6 offset0:4 offset1:5
	ds_read2_b32 v[10:11], v6 offset0:6 offset1:7
	;; [unrolled: 1-line block ×3, first 2 shown]
	ds_read2_b32 v[12:13], v6 offset1:1
	s_waitcnt lgkmcnt(0)
	flat_store_dwordx4 v[2:3], v[12:15]
	flat_store_dwordx4 v[2:3], v[8:11] offset:16
.LBB2140_485:
	s_or_b64 exec, exec, s[0:1]
	v_or_b32_e32 v0, 0x100, v16
	v_cmp_gt_u32_e32 vcc, s48, v0
	s_and_saveexec_b64 s[0:1], vcc
	s_cbranch_execz .LBB2140_487
; %bb.486:
	scratch_load_dwordx4 v[6:9], v5, off offset:16
	s_mov_b64 s[4:5], 0x2000
	v_lshl_add_u64 v[10:11], v[2:3], 0, s[4:5]
	v_add_co_u32_e32 v2, vcc, 0x2000, v2
	s_waitcnt vmcnt(0)
	flat_store_dwordx4 v[10:11], v[6:9] offset:16
	scratch_load_dwordx4 v[6:9], v5, off
	v_addc_co_u32_e32 v3, vcc, 0, v3, vcc
	s_waitcnt vmcnt(0)
	flat_store_dwordx4 v[2:3], v[6:9]
.LBB2140_487:
	s_or_b64 exec, exec, s[0:1]
	v_or_b32_e32 v0, 0x200, v16
	v_mov_b32_e32 v17, v1
	v_cmp_gt_u32_e64 s[0:1], s48, v0
	s_branch .LBB2140_490
.LBB2140_488:
	s_mov_b64 s[0:1], 0
	s_cbranch_execz .LBB2140_490
; %bb.489:
	scratch_load_dwordx4 v[0:3], off, off offset:288
	scratch_load_dwordx4 v[6:9], off, off offset:304
	scratch_load_dwordx4 v[10:13], off, s19
	scratch_load_dwordx4 v[18:21], off, s19 offset:16
	scratch_load_dwordx4 v[22:25], off, s33
	scratch_load_dwordx4 v[26:29], off, s33 offset:16
	v_mul_u32_u24_e32 v34, 0x60, v16
	v_lshlrev_b32_e32 v15, 6, v16
	v_sub_u32_e32 v35, v34, v15
	v_mov_b32_e32 v17, 0
	v_lshlrev_b32_e32 v14, 5, v16
	v_mov_b32_e32 v15, v17
	v_lshl_add_u64 v[14:15], s[2:3], 0, v[14:15]
	s_mov_b64 s[4:5], 0x2000
	v_add_co_u32_e32 v32, vcc, 0x2000, v14
	s_or_b64 s[0:1], s[0:1], exec
	v_lshl_add_u64 v[30:31], v[14:15], 0, s[4:5]
	v_addc_co_u32_e32 v33, vcc, 0, v15, vcc
	s_waitcnt vmcnt(0)
	scratch_store_dwordx4 off, v[0:3], off offset:112
	scratch_store_dwordx4 off, v[6:9], off offset:128
	scratch_store_dwordx4 v5, v[10:13], off
	scratch_store_dwordx4 v5, v[18:21], off offset:16
	scratch_store_dwordx4 v4, v[22:25], off
	scratch_store_dwordx4 v4, v[26:29], off offset:16
	s_waitcnt lgkmcnt(0)
	s_barrier
	scratch_load_dwordx4 v[0:3], off, off offset:112
	scratch_load_dwordx4 v[6:9], off, off offset:128
	scratch_load_dwordx4 v[10:13], v5, off
	scratch_load_dwordx4 v[18:21], v5, off offset:16
	scratch_load_dwordx4 v[22:25], v4, off
	scratch_load_dwordx4 v[26:29], v4, off offset:16
	s_waitcnt vmcnt(5)
	ds_write_b128 v34, v[0:3]
	s_waitcnt vmcnt(4)
	ds_write_b128 v34, v[6:9] offset:16
	s_waitcnt vmcnt(3)
	ds_write_b128 v34, v[10:13] offset:32
	;; [unrolled: 2-line block ×5, first 2 shown]
	s_waitcnt lgkmcnt(0)
	s_barrier
	ds_read_b128 v[0:3], v35 offset:8192
	ds_read_b128 v[6:9], v35 offset:8208
	;; [unrolled: 1-line block ×4, first 2 shown]
	ds_read2_b32 v[22:23], v35 offset1:1
	ds_read2_b32 v[28:29], v35 offset0:6 offset1:7
	ds_read2_b32 v[26:27], v35 offset0:4 offset1:5
	;; [unrolled: 1-line block ×3, first 2 shown]
	s_waitcnt lgkmcnt(7)
	scratch_store_dwordx4 v5, v[0:3], off
	s_waitcnt lgkmcnt(6)
	scratch_store_dwordx4 v5, v[6:9], off offset:16
	s_waitcnt lgkmcnt(5)
	scratch_store_dwordx4 v4, v[10:13], off
	s_waitcnt lgkmcnt(4)
	scratch_store_dwordx4 v4, v[18:21], off offset:16
	s_waitcnt lgkmcnt(1)
	flat_store_dwordx4 v[14:15], v[26:29] offset:16
	s_waitcnt lgkmcnt(0)
	flat_store_dwordx4 v[14:15], v[22:25]
	flat_store_dwordx4 v[32:33], v[0:3]
	flat_store_dwordx4 v[30:31], v[6:9] offset:16
.LBB2140_490:
	s_and_saveexec_b64 s[4:5], s[0:1]
	s_cbranch_execnz .LBB2140_492
; %bb.491:
	s_endpgm
.LBB2140_492:
	scratch_load_dwordx4 v[0:3], v4, off offset:16
	v_lshlrev_b64 v[6:7], 5, v[16:17]
	v_lshl_add_u64 v[6:7], s[2:3], 0, v[6:7]
	s_mov_b64 s[0:1], 0x4000
	v_lshl_add_u64 v[8:9], v[6:7], 0, s[0:1]
	s_waitcnt vmcnt(0)
	flat_store_dwordx4 v[8:9], v[0:3] offset:16
	scratch_load_dwordx4 v[0:3], v4, off
	v_add_co_u32_e32 v4, vcc, 0x4000, v6
	s_nop 1
	v_addc_co_u32_e32 v5, vcc, 0, v7, vcc
	s_waitcnt vmcnt(0)
	flat_store_dwordx4 v[4:5], v[0:3]
	s_endpgm
.LBB2140_493:
	v_lshlrev_b64 v[10:11], 5, v[16:17]
	v_lshl_add_u64 v[22:23], s[10:11], 0, v[10:11]
	flat_load_dwordx4 v[10:13], v[22:23]
	flat_load_dwordx4 v[18:21], v[22:23] offset:16
	s_waitcnt vmcnt(0) lgkmcnt(0)
	scratch_store_dwordx4 off, v[10:13], off offset:112
	scratch_store_dwordx4 off, v[18:21], off offset:128
	s_or_b64 exec, exec, s[36:37]
	s_and_saveexec_b64 s[2:3], s[8:9]
	s_cbranch_execz .LBB2140_311
.LBB2140_494:
	v_lshlrev_b32_e32 v10, 5, v5
	v_mov_b32_e32 v11, 0
	v_lshl_add_u64 v[22:23], s[10:11], 0, v[10:11]
	flat_load_dwordx4 v[10:13], v[22:23]
	flat_load_dwordx4 v[18:21], v[22:23] offset:16
	s_waitcnt vmcnt(0) lgkmcnt(0)
	scratch_store_dwordx4 off, v[10:13], off offset:144
	scratch_store_dwordx4 off, v[18:21], off offset:160
	s_or_b64 exec, exec, s[2:3]
	s_and_saveexec_b64 s[2:3], s[6:7]
	s_cbranch_execnz .LBB2140_312
	s_branch .LBB2140_313
.LBB2140_495:
                                        ; implicit-def: $sgpr36_sgpr37
	s_branch .LBB2140_306
.LBB2140_496:
                                        ; implicit-def: $sgpr2_sgpr3
	s_branch .LBB2140_321
	.section	.rodata,"a",@progbits
	.p2align	6, 0x0
	.amdhsa_kernel _ZN7rocprim17ROCPRIM_400000_NS6detail17trampoline_kernelINS0_14default_configENS1_27scan_by_key_config_selectorIj11FixedVectorIiLj8EEEEZZNS1_16scan_by_key_implILNS1_25lookback_scan_determinismE0ELb0ES3_N6thrust23THRUST_200600_302600_NS6detail15normal_iteratorINSB_10device_ptrIjEEEENSD_INSE_IS6_EEEESI_S6_NSB_4plusIvEENSB_8equal_toIvEES6_EE10hipError_tPvRmT2_T3_T4_T5_mT6_T7_P12ihipStream_tbENKUlT_T0_E_clISt17integral_constantIbLb1EES12_IbLb0EEEEDaSY_SZ_EUlSY_E_NS1_11comp_targetILNS1_3genE5ELNS1_11target_archE942ELNS1_3gpuE9ELNS1_3repE0EEENS1_30default_config_static_selectorELNS0_4arch9wavefront6targetE1EEEvT1_
		.amdhsa_group_segment_fixed_size 32768
		.amdhsa_private_segment_fixed_size 400
		.amdhsa_kernarg_size 160
		.amdhsa_user_sgpr_count 4
		.amdhsa_user_sgpr_dispatch_ptr 1
		.amdhsa_user_sgpr_queue_ptr 0
		.amdhsa_user_sgpr_kernarg_segment_ptr 1
		.amdhsa_user_sgpr_dispatch_id 0
		.amdhsa_user_sgpr_kernarg_preload_length 0
		.amdhsa_user_sgpr_kernarg_preload_offset 0
		.amdhsa_user_sgpr_private_segment_size 0
		.amdhsa_uses_dynamic_stack 0
		.amdhsa_enable_private_segment 1
		.amdhsa_system_sgpr_workgroup_id_x 1
		.amdhsa_system_sgpr_workgroup_id_y 0
		.amdhsa_system_sgpr_workgroup_id_z 0
		.amdhsa_system_sgpr_workgroup_info 0
		.amdhsa_system_vgpr_workitem_id 2
		.amdhsa_next_free_vgpr 40
		.amdhsa_next_free_sgpr 49
		.amdhsa_accum_offset 40
		.amdhsa_reserve_vcc 1
		.amdhsa_float_round_mode_32 0
		.amdhsa_float_round_mode_16_64 0
		.amdhsa_float_denorm_mode_32 3
		.amdhsa_float_denorm_mode_16_64 3
		.amdhsa_dx10_clamp 1
		.amdhsa_ieee_mode 1
		.amdhsa_fp16_overflow 0
		.amdhsa_tg_split 0
		.amdhsa_exception_fp_ieee_invalid_op 0
		.amdhsa_exception_fp_denorm_src 0
		.amdhsa_exception_fp_ieee_div_zero 0
		.amdhsa_exception_fp_ieee_overflow 0
		.amdhsa_exception_fp_ieee_underflow 0
		.amdhsa_exception_fp_ieee_inexact 0
		.amdhsa_exception_int_div_zero 0
	.end_amdhsa_kernel
	.section	.text._ZN7rocprim17ROCPRIM_400000_NS6detail17trampoline_kernelINS0_14default_configENS1_27scan_by_key_config_selectorIj11FixedVectorIiLj8EEEEZZNS1_16scan_by_key_implILNS1_25lookback_scan_determinismE0ELb0ES3_N6thrust23THRUST_200600_302600_NS6detail15normal_iteratorINSB_10device_ptrIjEEEENSD_INSE_IS6_EEEESI_S6_NSB_4plusIvEENSB_8equal_toIvEES6_EE10hipError_tPvRmT2_T3_T4_T5_mT6_T7_P12ihipStream_tbENKUlT_T0_E_clISt17integral_constantIbLb1EES12_IbLb0EEEEDaSY_SZ_EUlSY_E_NS1_11comp_targetILNS1_3genE5ELNS1_11target_archE942ELNS1_3gpuE9ELNS1_3repE0EEENS1_30default_config_static_selectorELNS0_4arch9wavefront6targetE1EEEvT1_,"axG",@progbits,_ZN7rocprim17ROCPRIM_400000_NS6detail17trampoline_kernelINS0_14default_configENS1_27scan_by_key_config_selectorIj11FixedVectorIiLj8EEEEZZNS1_16scan_by_key_implILNS1_25lookback_scan_determinismE0ELb0ES3_N6thrust23THRUST_200600_302600_NS6detail15normal_iteratorINSB_10device_ptrIjEEEENSD_INSE_IS6_EEEESI_S6_NSB_4plusIvEENSB_8equal_toIvEES6_EE10hipError_tPvRmT2_T3_T4_T5_mT6_T7_P12ihipStream_tbENKUlT_T0_E_clISt17integral_constantIbLb1EES12_IbLb0EEEEDaSY_SZ_EUlSY_E_NS1_11comp_targetILNS1_3genE5ELNS1_11target_archE942ELNS1_3gpuE9ELNS1_3repE0EEENS1_30default_config_static_selectorELNS0_4arch9wavefront6targetE1EEEvT1_,comdat
.Lfunc_end2140:
	.size	_ZN7rocprim17ROCPRIM_400000_NS6detail17trampoline_kernelINS0_14default_configENS1_27scan_by_key_config_selectorIj11FixedVectorIiLj8EEEEZZNS1_16scan_by_key_implILNS1_25lookback_scan_determinismE0ELb0ES3_N6thrust23THRUST_200600_302600_NS6detail15normal_iteratorINSB_10device_ptrIjEEEENSD_INSE_IS6_EEEESI_S6_NSB_4plusIvEENSB_8equal_toIvEES6_EE10hipError_tPvRmT2_T3_T4_T5_mT6_T7_P12ihipStream_tbENKUlT_T0_E_clISt17integral_constantIbLb1EES12_IbLb0EEEEDaSY_SZ_EUlSY_E_NS1_11comp_targetILNS1_3genE5ELNS1_11target_archE942ELNS1_3gpuE9ELNS1_3repE0EEENS1_30default_config_static_selectorELNS0_4arch9wavefront6targetE1EEEvT1_, .Lfunc_end2140-_ZN7rocprim17ROCPRIM_400000_NS6detail17trampoline_kernelINS0_14default_configENS1_27scan_by_key_config_selectorIj11FixedVectorIiLj8EEEEZZNS1_16scan_by_key_implILNS1_25lookback_scan_determinismE0ELb0ES3_N6thrust23THRUST_200600_302600_NS6detail15normal_iteratorINSB_10device_ptrIjEEEENSD_INSE_IS6_EEEESI_S6_NSB_4plusIvEENSB_8equal_toIvEES6_EE10hipError_tPvRmT2_T3_T4_T5_mT6_T7_P12ihipStream_tbENKUlT_T0_E_clISt17integral_constantIbLb1EES12_IbLb0EEEEDaSY_SZ_EUlSY_E_NS1_11comp_targetILNS1_3genE5ELNS1_11target_archE942ELNS1_3gpuE9ELNS1_3repE0EEENS1_30default_config_static_selectorELNS0_4arch9wavefront6targetE1EEEvT1_
                                        ; -- End function
	.section	.AMDGPU.csdata,"",@progbits
; Kernel info:
; codeLenInByte = 20972
; NumSgprs: 55
; NumVgprs: 40
; NumAgprs: 0
; TotalNumVgprs: 40
; ScratchSize: 400
; MemoryBound: 0
; FloatMode: 240
; IeeeMode: 1
; LDSByteSize: 32768 bytes/workgroup (compile time only)
; SGPRBlocks: 6
; VGPRBlocks: 4
; NumSGPRsForWavesPerEU: 55
; NumVGPRsForWavesPerEU: 40
; AccumOffset: 40
; Occupancy: 2
; WaveLimiterHint : 1
; COMPUTE_PGM_RSRC2:SCRATCH_EN: 1
; COMPUTE_PGM_RSRC2:USER_SGPR: 4
; COMPUTE_PGM_RSRC2:TRAP_HANDLER: 0
; COMPUTE_PGM_RSRC2:TGID_X_EN: 1
; COMPUTE_PGM_RSRC2:TGID_Y_EN: 0
; COMPUTE_PGM_RSRC2:TGID_Z_EN: 0
; COMPUTE_PGM_RSRC2:TIDIG_COMP_CNT: 2
; COMPUTE_PGM_RSRC3_GFX90A:ACCUM_OFFSET: 9
; COMPUTE_PGM_RSRC3_GFX90A:TG_SPLIT: 0
	.section	.text._ZN7rocprim17ROCPRIM_400000_NS6detail17trampoline_kernelINS0_14default_configENS1_27scan_by_key_config_selectorIj11FixedVectorIiLj8EEEEZZNS1_16scan_by_key_implILNS1_25lookback_scan_determinismE0ELb0ES3_N6thrust23THRUST_200600_302600_NS6detail15normal_iteratorINSB_10device_ptrIjEEEENSD_INSE_IS6_EEEESI_S6_NSB_4plusIvEENSB_8equal_toIvEES6_EE10hipError_tPvRmT2_T3_T4_T5_mT6_T7_P12ihipStream_tbENKUlT_T0_E_clISt17integral_constantIbLb1EES12_IbLb0EEEEDaSY_SZ_EUlSY_E_NS1_11comp_targetILNS1_3genE4ELNS1_11target_archE910ELNS1_3gpuE8ELNS1_3repE0EEENS1_30default_config_static_selectorELNS0_4arch9wavefront6targetE1EEEvT1_,"axG",@progbits,_ZN7rocprim17ROCPRIM_400000_NS6detail17trampoline_kernelINS0_14default_configENS1_27scan_by_key_config_selectorIj11FixedVectorIiLj8EEEEZZNS1_16scan_by_key_implILNS1_25lookback_scan_determinismE0ELb0ES3_N6thrust23THRUST_200600_302600_NS6detail15normal_iteratorINSB_10device_ptrIjEEEENSD_INSE_IS6_EEEESI_S6_NSB_4plusIvEENSB_8equal_toIvEES6_EE10hipError_tPvRmT2_T3_T4_T5_mT6_T7_P12ihipStream_tbENKUlT_T0_E_clISt17integral_constantIbLb1EES12_IbLb0EEEEDaSY_SZ_EUlSY_E_NS1_11comp_targetILNS1_3genE4ELNS1_11target_archE910ELNS1_3gpuE8ELNS1_3repE0EEENS1_30default_config_static_selectorELNS0_4arch9wavefront6targetE1EEEvT1_,comdat
	.protected	_ZN7rocprim17ROCPRIM_400000_NS6detail17trampoline_kernelINS0_14default_configENS1_27scan_by_key_config_selectorIj11FixedVectorIiLj8EEEEZZNS1_16scan_by_key_implILNS1_25lookback_scan_determinismE0ELb0ES3_N6thrust23THRUST_200600_302600_NS6detail15normal_iteratorINSB_10device_ptrIjEEEENSD_INSE_IS6_EEEESI_S6_NSB_4plusIvEENSB_8equal_toIvEES6_EE10hipError_tPvRmT2_T3_T4_T5_mT6_T7_P12ihipStream_tbENKUlT_T0_E_clISt17integral_constantIbLb1EES12_IbLb0EEEEDaSY_SZ_EUlSY_E_NS1_11comp_targetILNS1_3genE4ELNS1_11target_archE910ELNS1_3gpuE8ELNS1_3repE0EEENS1_30default_config_static_selectorELNS0_4arch9wavefront6targetE1EEEvT1_ ; -- Begin function _ZN7rocprim17ROCPRIM_400000_NS6detail17trampoline_kernelINS0_14default_configENS1_27scan_by_key_config_selectorIj11FixedVectorIiLj8EEEEZZNS1_16scan_by_key_implILNS1_25lookback_scan_determinismE0ELb0ES3_N6thrust23THRUST_200600_302600_NS6detail15normal_iteratorINSB_10device_ptrIjEEEENSD_INSE_IS6_EEEESI_S6_NSB_4plusIvEENSB_8equal_toIvEES6_EE10hipError_tPvRmT2_T3_T4_T5_mT6_T7_P12ihipStream_tbENKUlT_T0_E_clISt17integral_constantIbLb1EES12_IbLb0EEEEDaSY_SZ_EUlSY_E_NS1_11comp_targetILNS1_3genE4ELNS1_11target_archE910ELNS1_3gpuE8ELNS1_3repE0EEENS1_30default_config_static_selectorELNS0_4arch9wavefront6targetE1EEEvT1_
	.globl	_ZN7rocprim17ROCPRIM_400000_NS6detail17trampoline_kernelINS0_14default_configENS1_27scan_by_key_config_selectorIj11FixedVectorIiLj8EEEEZZNS1_16scan_by_key_implILNS1_25lookback_scan_determinismE0ELb0ES3_N6thrust23THRUST_200600_302600_NS6detail15normal_iteratorINSB_10device_ptrIjEEEENSD_INSE_IS6_EEEESI_S6_NSB_4plusIvEENSB_8equal_toIvEES6_EE10hipError_tPvRmT2_T3_T4_T5_mT6_T7_P12ihipStream_tbENKUlT_T0_E_clISt17integral_constantIbLb1EES12_IbLb0EEEEDaSY_SZ_EUlSY_E_NS1_11comp_targetILNS1_3genE4ELNS1_11target_archE910ELNS1_3gpuE8ELNS1_3repE0EEENS1_30default_config_static_selectorELNS0_4arch9wavefront6targetE1EEEvT1_
	.p2align	8
	.type	_ZN7rocprim17ROCPRIM_400000_NS6detail17trampoline_kernelINS0_14default_configENS1_27scan_by_key_config_selectorIj11FixedVectorIiLj8EEEEZZNS1_16scan_by_key_implILNS1_25lookback_scan_determinismE0ELb0ES3_N6thrust23THRUST_200600_302600_NS6detail15normal_iteratorINSB_10device_ptrIjEEEENSD_INSE_IS6_EEEESI_S6_NSB_4plusIvEENSB_8equal_toIvEES6_EE10hipError_tPvRmT2_T3_T4_T5_mT6_T7_P12ihipStream_tbENKUlT_T0_E_clISt17integral_constantIbLb1EES12_IbLb0EEEEDaSY_SZ_EUlSY_E_NS1_11comp_targetILNS1_3genE4ELNS1_11target_archE910ELNS1_3gpuE8ELNS1_3repE0EEENS1_30default_config_static_selectorELNS0_4arch9wavefront6targetE1EEEvT1_,@function
_ZN7rocprim17ROCPRIM_400000_NS6detail17trampoline_kernelINS0_14default_configENS1_27scan_by_key_config_selectorIj11FixedVectorIiLj8EEEEZZNS1_16scan_by_key_implILNS1_25lookback_scan_determinismE0ELb0ES3_N6thrust23THRUST_200600_302600_NS6detail15normal_iteratorINSB_10device_ptrIjEEEENSD_INSE_IS6_EEEESI_S6_NSB_4plusIvEENSB_8equal_toIvEES6_EE10hipError_tPvRmT2_T3_T4_T5_mT6_T7_P12ihipStream_tbENKUlT_T0_E_clISt17integral_constantIbLb1EES12_IbLb0EEEEDaSY_SZ_EUlSY_E_NS1_11comp_targetILNS1_3genE4ELNS1_11target_archE910ELNS1_3gpuE8ELNS1_3repE0EEENS1_30default_config_static_selectorELNS0_4arch9wavefront6targetE1EEEvT1_: ; @_ZN7rocprim17ROCPRIM_400000_NS6detail17trampoline_kernelINS0_14default_configENS1_27scan_by_key_config_selectorIj11FixedVectorIiLj8EEEEZZNS1_16scan_by_key_implILNS1_25lookback_scan_determinismE0ELb0ES3_N6thrust23THRUST_200600_302600_NS6detail15normal_iteratorINSB_10device_ptrIjEEEENSD_INSE_IS6_EEEESI_S6_NSB_4plusIvEENSB_8equal_toIvEES6_EE10hipError_tPvRmT2_T3_T4_T5_mT6_T7_P12ihipStream_tbENKUlT_T0_E_clISt17integral_constantIbLb1EES12_IbLb0EEEEDaSY_SZ_EUlSY_E_NS1_11comp_targetILNS1_3genE4ELNS1_11target_archE910ELNS1_3gpuE8ELNS1_3repE0EEENS1_30default_config_static_selectorELNS0_4arch9wavefront6targetE1EEEvT1_
; %bb.0:
	.section	.rodata,"a",@progbits
	.p2align	6, 0x0
	.amdhsa_kernel _ZN7rocprim17ROCPRIM_400000_NS6detail17trampoline_kernelINS0_14default_configENS1_27scan_by_key_config_selectorIj11FixedVectorIiLj8EEEEZZNS1_16scan_by_key_implILNS1_25lookback_scan_determinismE0ELb0ES3_N6thrust23THRUST_200600_302600_NS6detail15normal_iteratorINSB_10device_ptrIjEEEENSD_INSE_IS6_EEEESI_S6_NSB_4plusIvEENSB_8equal_toIvEES6_EE10hipError_tPvRmT2_T3_T4_T5_mT6_T7_P12ihipStream_tbENKUlT_T0_E_clISt17integral_constantIbLb1EES12_IbLb0EEEEDaSY_SZ_EUlSY_E_NS1_11comp_targetILNS1_3genE4ELNS1_11target_archE910ELNS1_3gpuE8ELNS1_3repE0EEENS1_30default_config_static_selectorELNS0_4arch9wavefront6targetE1EEEvT1_
		.amdhsa_group_segment_fixed_size 0
		.amdhsa_private_segment_fixed_size 0
		.amdhsa_kernarg_size 160
		.amdhsa_user_sgpr_count 2
		.amdhsa_user_sgpr_dispatch_ptr 0
		.amdhsa_user_sgpr_queue_ptr 0
		.amdhsa_user_sgpr_kernarg_segment_ptr 1
		.amdhsa_user_sgpr_dispatch_id 0
		.amdhsa_user_sgpr_kernarg_preload_length 0
		.amdhsa_user_sgpr_kernarg_preload_offset 0
		.amdhsa_user_sgpr_private_segment_size 0
		.amdhsa_uses_dynamic_stack 0
		.amdhsa_enable_private_segment 0
		.amdhsa_system_sgpr_workgroup_id_x 1
		.amdhsa_system_sgpr_workgroup_id_y 0
		.amdhsa_system_sgpr_workgroup_id_z 0
		.amdhsa_system_sgpr_workgroup_info 0
		.amdhsa_system_vgpr_workitem_id 0
		.amdhsa_next_free_vgpr 1
		.amdhsa_next_free_sgpr 0
		.amdhsa_accum_offset 4
		.amdhsa_reserve_vcc 0
		.amdhsa_float_round_mode_32 0
		.amdhsa_float_round_mode_16_64 0
		.amdhsa_float_denorm_mode_32 3
		.amdhsa_float_denorm_mode_16_64 3
		.amdhsa_dx10_clamp 1
		.amdhsa_ieee_mode 1
		.amdhsa_fp16_overflow 0
		.amdhsa_tg_split 0
		.amdhsa_exception_fp_ieee_invalid_op 0
		.amdhsa_exception_fp_denorm_src 0
		.amdhsa_exception_fp_ieee_div_zero 0
		.amdhsa_exception_fp_ieee_overflow 0
		.amdhsa_exception_fp_ieee_underflow 0
		.amdhsa_exception_fp_ieee_inexact 0
		.amdhsa_exception_int_div_zero 0
	.end_amdhsa_kernel
	.section	.text._ZN7rocprim17ROCPRIM_400000_NS6detail17trampoline_kernelINS0_14default_configENS1_27scan_by_key_config_selectorIj11FixedVectorIiLj8EEEEZZNS1_16scan_by_key_implILNS1_25lookback_scan_determinismE0ELb0ES3_N6thrust23THRUST_200600_302600_NS6detail15normal_iteratorINSB_10device_ptrIjEEEENSD_INSE_IS6_EEEESI_S6_NSB_4plusIvEENSB_8equal_toIvEES6_EE10hipError_tPvRmT2_T3_T4_T5_mT6_T7_P12ihipStream_tbENKUlT_T0_E_clISt17integral_constantIbLb1EES12_IbLb0EEEEDaSY_SZ_EUlSY_E_NS1_11comp_targetILNS1_3genE4ELNS1_11target_archE910ELNS1_3gpuE8ELNS1_3repE0EEENS1_30default_config_static_selectorELNS0_4arch9wavefront6targetE1EEEvT1_,"axG",@progbits,_ZN7rocprim17ROCPRIM_400000_NS6detail17trampoline_kernelINS0_14default_configENS1_27scan_by_key_config_selectorIj11FixedVectorIiLj8EEEEZZNS1_16scan_by_key_implILNS1_25lookback_scan_determinismE0ELb0ES3_N6thrust23THRUST_200600_302600_NS6detail15normal_iteratorINSB_10device_ptrIjEEEENSD_INSE_IS6_EEEESI_S6_NSB_4plusIvEENSB_8equal_toIvEES6_EE10hipError_tPvRmT2_T3_T4_T5_mT6_T7_P12ihipStream_tbENKUlT_T0_E_clISt17integral_constantIbLb1EES12_IbLb0EEEEDaSY_SZ_EUlSY_E_NS1_11comp_targetILNS1_3genE4ELNS1_11target_archE910ELNS1_3gpuE8ELNS1_3repE0EEENS1_30default_config_static_selectorELNS0_4arch9wavefront6targetE1EEEvT1_,comdat
.Lfunc_end2141:
	.size	_ZN7rocprim17ROCPRIM_400000_NS6detail17trampoline_kernelINS0_14default_configENS1_27scan_by_key_config_selectorIj11FixedVectorIiLj8EEEEZZNS1_16scan_by_key_implILNS1_25lookback_scan_determinismE0ELb0ES3_N6thrust23THRUST_200600_302600_NS6detail15normal_iteratorINSB_10device_ptrIjEEEENSD_INSE_IS6_EEEESI_S6_NSB_4plusIvEENSB_8equal_toIvEES6_EE10hipError_tPvRmT2_T3_T4_T5_mT6_T7_P12ihipStream_tbENKUlT_T0_E_clISt17integral_constantIbLb1EES12_IbLb0EEEEDaSY_SZ_EUlSY_E_NS1_11comp_targetILNS1_3genE4ELNS1_11target_archE910ELNS1_3gpuE8ELNS1_3repE0EEENS1_30default_config_static_selectorELNS0_4arch9wavefront6targetE1EEEvT1_, .Lfunc_end2141-_ZN7rocprim17ROCPRIM_400000_NS6detail17trampoline_kernelINS0_14default_configENS1_27scan_by_key_config_selectorIj11FixedVectorIiLj8EEEEZZNS1_16scan_by_key_implILNS1_25lookback_scan_determinismE0ELb0ES3_N6thrust23THRUST_200600_302600_NS6detail15normal_iteratorINSB_10device_ptrIjEEEENSD_INSE_IS6_EEEESI_S6_NSB_4plusIvEENSB_8equal_toIvEES6_EE10hipError_tPvRmT2_T3_T4_T5_mT6_T7_P12ihipStream_tbENKUlT_T0_E_clISt17integral_constantIbLb1EES12_IbLb0EEEEDaSY_SZ_EUlSY_E_NS1_11comp_targetILNS1_3genE4ELNS1_11target_archE910ELNS1_3gpuE8ELNS1_3repE0EEENS1_30default_config_static_selectorELNS0_4arch9wavefront6targetE1EEEvT1_
                                        ; -- End function
	.section	.AMDGPU.csdata,"",@progbits
; Kernel info:
; codeLenInByte = 0
; NumSgprs: 6
; NumVgprs: 0
; NumAgprs: 0
; TotalNumVgprs: 0
; ScratchSize: 0
; MemoryBound: 0
; FloatMode: 240
; IeeeMode: 1
; LDSByteSize: 0 bytes/workgroup (compile time only)
; SGPRBlocks: 0
; VGPRBlocks: 0
; NumSGPRsForWavesPerEU: 6
; NumVGPRsForWavesPerEU: 1
; AccumOffset: 4
; Occupancy: 8
; WaveLimiterHint : 0
; COMPUTE_PGM_RSRC2:SCRATCH_EN: 0
; COMPUTE_PGM_RSRC2:USER_SGPR: 2
; COMPUTE_PGM_RSRC2:TRAP_HANDLER: 0
; COMPUTE_PGM_RSRC2:TGID_X_EN: 1
; COMPUTE_PGM_RSRC2:TGID_Y_EN: 0
; COMPUTE_PGM_RSRC2:TGID_Z_EN: 0
; COMPUTE_PGM_RSRC2:TIDIG_COMP_CNT: 0
; COMPUTE_PGM_RSRC3_GFX90A:ACCUM_OFFSET: 0
; COMPUTE_PGM_RSRC3_GFX90A:TG_SPLIT: 0
	.section	.text._ZN7rocprim17ROCPRIM_400000_NS6detail17trampoline_kernelINS0_14default_configENS1_27scan_by_key_config_selectorIj11FixedVectorIiLj8EEEEZZNS1_16scan_by_key_implILNS1_25lookback_scan_determinismE0ELb0ES3_N6thrust23THRUST_200600_302600_NS6detail15normal_iteratorINSB_10device_ptrIjEEEENSD_INSE_IS6_EEEESI_S6_NSB_4plusIvEENSB_8equal_toIvEES6_EE10hipError_tPvRmT2_T3_T4_T5_mT6_T7_P12ihipStream_tbENKUlT_T0_E_clISt17integral_constantIbLb1EES12_IbLb0EEEEDaSY_SZ_EUlSY_E_NS1_11comp_targetILNS1_3genE3ELNS1_11target_archE908ELNS1_3gpuE7ELNS1_3repE0EEENS1_30default_config_static_selectorELNS0_4arch9wavefront6targetE1EEEvT1_,"axG",@progbits,_ZN7rocprim17ROCPRIM_400000_NS6detail17trampoline_kernelINS0_14default_configENS1_27scan_by_key_config_selectorIj11FixedVectorIiLj8EEEEZZNS1_16scan_by_key_implILNS1_25lookback_scan_determinismE0ELb0ES3_N6thrust23THRUST_200600_302600_NS6detail15normal_iteratorINSB_10device_ptrIjEEEENSD_INSE_IS6_EEEESI_S6_NSB_4plusIvEENSB_8equal_toIvEES6_EE10hipError_tPvRmT2_T3_T4_T5_mT6_T7_P12ihipStream_tbENKUlT_T0_E_clISt17integral_constantIbLb1EES12_IbLb0EEEEDaSY_SZ_EUlSY_E_NS1_11comp_targetILNS1_3genE3ELNS1_11target_archE908ELNS1_3gpuE7ELNS1_3repE0EEENS1_30default_config_static_selectorELNS0_4arch9wavefront6targetE1EEEvT1_,comdat
	.protected	_ZN7rocprim17ROCPRIM_400000_NS6detail17trampoline_kernelINS0_14default_configENS1_27scan_by_key_config_selectorIj11FixedVectorIiLj8EEEEZZNS1_16scan_by_key_implILNS1_25lookback_scan_determinismE0ELb0ES3_N6thrust23THRUST_200600_302600_NS6detail15normal_iteratorINSB_10device_ptrIjEEEENSD_INSE_IS6_EEEESI_S6_NSB_4plusIvEENSB_8equal_toIvEES6_EE10hipError_tPvRmT2_T3_T4_T5_mT6_T7_P12ihipStream_tbENKUlT_T0_E_clISt17integral_constantIbLb1EES12_IbLb0EEEEDaSY_SZ_EUlSY_E_NS1_11comp_targetILNS1_3genE3ELNS1_11target_archE908ELNS1_3gpuE7ELNS1_3repE0EEENS1_30default_config_static_selectorELNS0_4arch9wavefront6targetE1EEEvT1_ ; -- Begin function _ZN7rocprim17ROCPRIM_400000_NS6detail17trampoline_kernelINS0_14default_configENS1_27scan_by_key_config_selectorIj11FixedVectorIiLj8EEEEZZNS1_16scan_by_key_implILNS1_25lookback_scan_determinismE0ELb0ES3_N6thrust23THRUST_200600_302600_NS6detail15normal_iteratorINSB_10device_ptrIjEEEENSD_INSE_IS6_EEEESI_S6_NSB_4plusIvEENSB_8equal_toIvEES6_EE10hipError_tPvRmT2_T3_T4_T5_mT6_T7_P12ihipStream_tbENKUlT_T0_E_clISt17integral_constantIbLb1EES12_IbLb0EEEEDaSY_SZ_EUlSY_E_NS1_11comp_targetILNS1_3genE3ELNS1_11target_archE908ELNS1_3gpuE7ELNS1_3repE0EEENS1_30default_config_static_selectorELNS0_4arch9wavefront6targetE1EEEvT1_
	.globl	_ZN7rocprim17ROCPRIM_400000_NS6detail17trampoline_kernelINS0_14default_configENS1_27scan_by_key_config_selectorIj11FixedVectorIiLj8EEEEZZNS1_16scan_by_key_implILNS1_25lookback_scan_determinismE0ELb0ES3_N6thrust23THRUST_200600_302600_NS6detail15normal_iteratorINSB_10device_ptrIjEEEENSD_INSE_IS6_EEEESI_S6_NSB_4plusIvEENSB_8equal_toIvEES6_EE10hipError_tPvRmT2_T3_T4_T5_mT6_T7_P12ihipStream_tbENKUlT_T0_E_clISt17integral_constantIbLb1EES12_IbLb0EEEEDaSY_SZ_EUlSY_E_NS1_11comp_targetILNS1_3genE3ELNS1_11target_archE908ELNS1_3gpuE7ELNS1_3repE0EEENS1_30default_config_static_selectorELNS0_4arch9wavefront6targetE1EEEvT1_
	.p2align	8
	.type	_ZN7rocprim17ROCPRIM_400000_NS6detail17trampoline_kernelINS0_14default_configENS1_27scan_by_key_config_selectorIj11FixedVectorIiLj8EEEEZZNS1_16scan_by_key_implILNS1_25lookback_scan_determinismE0ELb0ES3_N6thrust23THRUST_200600_302600_NS6detail15normal_iteratorINSB_10device_ptrIjEEEENSD_INSE_IS6_EEEESI_S6_NSB_4plusIvEENSB_8equal_toIvEES6_EE10hipError_tPvRmT2_T3_T4_T5_mT6_T7_P12ihipStream_tbENKUlT_T0_E_clISt17integral_constantIbLb1EES12_IbLb0EEEEDaSY_SZ_EUlSY_E_NS1_11comp_targetILNS1_3genE3ELNS1_11target_archE908ELNS1_3gpuE7ELNS1_3repE0EEENS1_30default_config_static_selectorELNS0_4arch9wavefront6targetE1EEEvT1_,@function
_ZN7rocprim17ROCPRIM_400000_NS6detail17trampoline_kernelINS0_14default_configENS1_27scan_by_key_config_selectorIj11FixedVectorIiLj8EEEEZZNS1_16scan_by_key_implILNS1_25lookback_scan_determinismE0ELb0ES3_N6thrust23THRUST_200600_302600_NS6detail15normal_iteratorINSB_10device_ptrIjEEEENSD_INSE_IS6_EEEESI_S6_NSB_4plusIvEENSB_8equal_toIvEES6_EE10hipError_tPvRmT2_T3_T4_T5_mT6_T7_P12ihipStream_tbENKUlT_T0_E_clISt17integral_constantIbLb1EES12_IbLb0EEEEDaSY_SZ_EUlSY_E_NS1_11comp_targetILNS1_3genE3ELNS1_11target_archE908ELNS1_3gpuE7ELNS1_3repE0EEENS1_30default_config_static_selectorELNS0_4arch9wavefront6targetE1EEEvT1_: ; @_ZN7rocprim17ROCPRIM_400000_NS6detail17trampoline_kernelINS0_14default_configENS1_27scan_by_key_config_selectorIj11FixedVectorIiLj8EEEEZZNS1_16scan_by_key_implILNS1_25lookback_scan_determinismE0ELb0ES3_N6thrust23THRUST_200600_302600_NS6detail15normal_iteratorINSB_10device_ptrIjEEEENSD_INSE_IS6_EEEESI_S6_NSB_4plusIvEENSB_8equal_toIvEES6_EE10hipError_tPvRmT2_T3_T4_T5_mT6_T7_P12ihipStream_tbENKUlT_T0_E_clISt17integral_constantIbLb1EES12_IbLb0EEEEDaSY_SZ_EUlSY_E_NS1_11comp_targetILNS1_3genE3ELNS1_11target_archE908ELNS1_3gpuE7ELNS1_3repE0EEENS1_30default_config_static_selectorELNS0_4arch9wavefront6targetE1EEEvT1_
; %bb.0:
	.section	.rodata,"a",@progbits
	.p2align	6, 0x0
	.amdhsa_kernel _ZN7rocprim17ROCPRIM_400000_NS6detail17trampoline_kernelINS0_14default_configENS1_27scan_by_key_config_selectorIj11FixedVectorIiLj8EEEEZZNS1_16scan_by_key_implILNS1_25lookback_scan_determinismE0ELb0ES3_N6thrust23THRUST_200600_302600_NS6detail15normal_iteratorINSB_10device_ptrIjEEEENSD_INSE_IS6_EEEESI_S6_NSB_4plusIvEENSB_8equal_toIvEES6_EE10hipError_tPvRmT2_T3_T4_T5_mT6_T7_P12ihipStream_tbENKUlT_T0_E_clISt17integral_constantIbLb1EES12_IbLb0EEEEDaSY_SZ_EUlSY_E_NS1_11comp_targetILNS1_3genE3ELNS1_11target_archE908ELNS1_3gpuE7ELNS1_3repE0EEENS1_30default_config_static_selectorELNS0_4arch9wavefront6targetE1EEEvT1_
		.amdhsa_group_segment_fixed_size 0
		.amdhsa_private_segment_fixed_size 0
		.amdhsa_kernarg_size 160
		.amdhsa_user_sgpr_count 2
		.amdhsa_user_sgpr_dispatch_ptr 0
		.amdhsa_user_sgpr_queue_ptr 0
		.amdhsa_user_sgpr_kernarg_segment_ptr 1
		.amdhsa_user_sgpr_dispatch_id 0
		.amdhsa_user_sgpr_kernarg_preload_length 0
		.amdhsa_user_sgpr_kernarg_preload_offset 0
		.amdhsa_user_sgpr_private_segment_size 0
		.amdhsa_uses_dynamic_stack 0
		.amdhsa_enable_private_segment 0
		.amdhsa_system_sgpr_workgroup_id_x 1
		.amdhsa_system_sgpr_workgroup_id_y 0
		.amdhsa_system_sgpr_workgroup_id_z 0
		.amdhsa_system_sgpr_workgroup_info 0
		.amdhsa_system_vgpr_workitem_id 0
		.amdhsa_next_free_vgpr 1
		.amdhsa_next_free_sgpr 0
		.amdhsa_accum_offset 4
		.amdhsa_reserve_vcc 0
		.amdhsa_float_round_mode_32 0
		.amdhsa_float_round_mode_16_64 0
		.amdhsa_float_denorm_mode_32 3
		.amdhsa_float_denorm_mode_16_64 3
		.amdhsa_dx10_clamp 1
		.amdhsa_ieee_mode 1
		.amdhsa_fp16_overflow 0
		.amdhsa_tg_split 0
		.amdhsa_exception_fp_ieee_invalid_op 0
		.amdhsa_exception_fp_denorm_src 0
		.amdhsa_exception_fp_ieee_div_zero 0
		.amdhsa_exception_fp_ieee_overflow 0
		.amdhsa_exception_fp_ieee_underflow 0
		.amdhsa_exception_fp_ieee_inexact 0
		.amdhsa_exception_int_div_zero 0
	.end_amdhsa_kernel
	.section	.text._ZN7rocprim17ROCPRIM_400000_NS6detail17trampoline_kernelINS0_14default_configENS1_27scan_by_key_config_selectorIj11FixedVectorIiLj8EEEEZZNS1_16scan_by_key_implILNS1_25lookback_scan_determinismE0ELb0ES3_N6thrust23THRUST_200600_302600_NS6detail15normal_iteratorINSB_10device_ptrIjEEEENSD_INSE_IS6_EEEESI_S6_NSB_4plusIvEENSB_8equal_toIvEES6_EE10hipError_tPvRmT2_T3_T4_T5_mT6_T7_P12ihipStream_tbENKUlT_T0_E_clISt17integral_constantIbLb1EES12_IbLb0EEEEDaSY_SZ_EUlSY_E_NS1_11comp_targetILNS1_3genE3ELNS1_11target_archE908ELNS1_3gpuE7ELNS1_3repE0EEENS1_30default_config_static_selectorELNS0_4arch9wavefront6targetE1EEEvT1_,"axG",@progbits,_ZN7rocprim17ROCPRIM_400000_NS6detail17trampoline_kernelINS0_14default_configENS1_27scan_by_key_config_selectorIj11FixedVectorIiLj8EEEEZZNS1_16scan_by_key_implILNS1_25lookback_scan_determinismE0ELb0ES3_N6thrust23THRUST_200600_302600_NS6detail15normal_iteratorINSB_10device_ptrIjEEEENSD_INSE_IS6_EEEESI_S6_NSB_4plusIvEENSB_8equal_toIvEES6_EE10hipError_tPvRmT2_T3_T4_T5_mT6_T7_P12ihipStream_tbENKUlT_T0_E_clISt17integral_constantIbLb1EES12_IbLb0EEEEDaSY_SZ_EUlSY_E_NS1_11comp_targetILNS1_3genE3ELNS1_11target_archE908ELNS1_3gpuE7ELNS1_3repE0EEENS1_30default_config_static_selectorELNS0_4arch9wavefront6targetE1EEEvT1_,comdat
.Lfunc_end2142:
	.size	_ZN7rocprim17ROCPRIM_400000_NS6detail17trampoline_kernelINS0_14default_configENS1_27scan_by_key_config_selectorIj11FixedVectorIiLj8EEEEZZNS1_16scan_by_key_implILNS1_25lookback_scan_determinismE0ELb0ES3_N6thrust23THRUST_200600_302600_NS6detail15normal_iteratorINSB_10device_ptrIjEEEENSD_INSE_IS6_EEEESI_S6_NSB_4plusIvEENSB_8equal_toIvEES6_EE10hipError_tPvRmT2_T3_T4_T5_mT6_T7_P12ihipStream_tbENKUlT_T0_E_clISt17integral_constantIbLb1EES12_IbLb0EEEEDaSY_SZ_EUlSY_E_NS1_11comp_targetILNS1_3genE3ELNS1_11target_archE908ELNS1_3gpuE7ELNS1_3repE0EEENS1_30default_config_static_selectorELNS0_4arch9wavefront6targetE1EEEvT1_, .Lfunc_end2142-_ZN7rocprim17ROCPRIM_400000_NS6detail17trampoline_kernelINS0_14default_configENS1_27scan_by_key_config_selectorIj11FixedVectorIiLj8EEEEZZNS1_16scan_by_key_implILNS1_25lookback_scan_determinismE0ELb0ES3_N6thrust23THRUST_200600_302600_NS6detail15normal_iteratorINSB_10device_ptrIjEEEENSD_INSE_IS6_EEEESI_S6_NSB_4plusIvEENSB_8equal_toIvEES6_EE10hipError_tPvRmT2_T3_T4_T5_mT6_T7_P12ihipStream_tbENKUlT_T0_E_clISt17integral_constantIbLb1EES12_IbLb0EEEEDaSY_SZ_EUlSY_E_NS1_11comp_targetILNS1_3genE3ELNS1_11target_archE908ELNS1_3gpuE7ELNS1_3repE0EEENS1_30default_config_static_selectorELNS0_4arch9wavefront6targetE1EEEvT1_
                                        ; -- End function
	.section	.AMDGPU.csdata,"",@progbits
; Kernel info:
; codeLenInByte = 0
; NumSgprs: 6
; NumVgprs: 0
; NumAgprs: 0
; TotalNumVgprs: 0
; ScratchSize: 0
; MemoryBound: 0
; FloatMode: 240
; IeeeMode: 1
; LDSByteSize: 0 bytes/workgroup (compile time only)
; SGPRBlocks: 0
; VGPRBlocks: 0
; NumSGPRsForWavesPerEU: 6
; NumVGPRsForWavesPerEU: 1
; AccumOffset: 4
; Occupancy: 8
; WaveLimiterHint : 0
; COMPUTE_PGM_RSRC2:SCRATCH_EN: 0
; COMPUTE_PGM_RSRC2:USER_SGPR: 2
; COMPUTE_PGM_RSRC2:TRAP_HANDLER: 0
; COMPUTE_PGM_RSRC2:TGID_X_EN: 1
; COMPUTE_PGM_RSRC2:TGID_Y_EN: 0
; COMPUTE_PGM_RSRC2:TGID_Z_EN: 0
; COMPUTE_PGM_RSRC2:TIDIG_COMP_CNT: 0
; COMPUTE_PGM_RSRC3_GFX90A:ACCUM_OFFSET: 0
; COMPUTE_PGM_RSRC3_GFX90A:TG_SPLIT: 0
	.section	.text._ZN7rocprim17ROCPRIM_400000_NS6detail17trampoline_kernelINS0_14default_configENS1_27scan_by_key_config_selectorIj11FixedVectorIiLj8EEEEZZNS1_16scan_by_key_implILNS1_25lookback_scan_determinismE0ELb0ES3_N6thrust23THRUST_200600_302600_NS6detail15normal_iteratorINSB_10device_ptrIjEEEENSD_INSE_IS6_EEEESI_S6_NSB_4plusIvEENSB_8equal_toIvEES6_EE10hipError_tPvRmT2_T3_T4_T5_mT6_T7_P12ihipStream_tbENKUlT_T0_E_clISt17integral_constantIbLb1EES12_IbLb0EEEEDaSY_SZ_EUlSY_E_NS1_11comp_targetILNS1_3genE2ELNS1_11target_archE906ELNS1_3gpuE6ELNS1_3repE0EEENS1_30default_config_static_selectorELNS0_4arch9wavefront6targetE1EEEvT1_,"axG",@progbits,_ZN7rocprim17ROCPRIM_400000_NS6detail17trampoline_kernelINS0_14default_configENS1_27scan_by_key_config_selectorIj11FixedVectorIiLj8EEEEZZNS1_16scan_by_key_implILNS1_25lookback_scan_determinismE0ELb0ES3_N6thrust23THRUST_200600_302600_NS6detail15normal_iteratorINSB_10device_ptrIjEEEENSD_INSE_IS6_EEEESI_S6_NSB_4plusIvEENSB_8equal_toIvEES6_EE10hipError_tPvRmT2_T3_T4_T5_mT6_T7_P12ihipStream_tbENKUlT_T0_E_clISt17integral_constantIbLb1EES12_IbLb0EEEEDaSY_SZ_EUlSY_E_NS1_11comp_targetILNS1_3genE2ELNS1_11target_archE906ELNS1_3gpuE6ELNS1_3repE0EEENS1_30default_config_static_selectorELNS0_4arch9wavefront6targetE1EEEvT1_,comdat
	.protected	_ZN7rocprim17ROCPRIM_400000_NS6detail17trampoline_kernelINS0_14default_configENS1_27scan_by_key_config_selectorIj11FixedVectorIiLj8EEEEZZNS1_16scan_by_key_implILNS1_25lookback_scan_determinismE0ELb0ES3_N6thrust23THRUST_200600_302600_NS6detail15normal_iteratorINSB_10device_ptrIjEEEENSD_INSE_IS6_EEEESI_S6_NSB_4plusIvEENSB_8equal_toIvEES6_EE10hipError_tPvRmT2_T3_T4_T5_mT6_T7_P12ihipStream_tbENKUlT_T0_E_clISt17integral_constantIbLb1EES12_IbLb0EEEEDaSY_SZ_EUlSY_E_NS1_11comp_targetILNS1_3genE2ELNS1_11target_archE906ELNS1_3gpuE6ELNS1_3repE0EEENS1_30default_config_static_selectorELNS0_4arch9wavefront6targetE1EEEvT1_ ; -- Begin function _ZN7rocprim17ROCPRIM_400000_NS6detail17trampoline_kernelINS0_14default_configENS1_27scan_by_key_config_selectorIj11FixedVectorIiLj8EEEEZZNS1_16scan_by_key_implILNS1_25lookback_scan_determinismE0ELb0ES3_N6thrust23THRUST_200600_302600_NS6detail15normal_iteratorINSB_10device_ptrIjEEEENSD_INSE_IS6_EEEESI_S6_NSB_4plusIvEENSB_8equal_toIvEES6_EE10hipError_tPvRmT2_T3_T4_T5_mT6_T7_P12ihipStream_tbENKUlT_T0_E_clISt17integral_constantIbLb1EES12_IbLb0EEEEDaSY_SZ_EUlSY_E_NS1_11comp_targetILNS1_3genE2ELNS1_11target_archE906ELNS1_3gpuE6ELNS1_3repE0EEENS1_30default_config_static_selectorELNS0_4arch9wavefront6targetE1EEEvT1_
	.globl	_ZN7rocprim17ROCPRIM_400000_NS6detail17trampoline_kernelINS0_14default_configENS1_27scan_by_key_config_selectorIj11FixedVectorIiLj8EEEEZZNS1_16scan_by_key_implILNS1_25lookback_scan_determinismE0ELb0ES3_N6thrust23THRUST_200600_302600_NS6detail15normal_iteratorINSB_10device_ptrIjEEEENSD_INSE_IS6_EEEESI_S6_NSB_4plusIvEENSB_8equal_toIvEES6_EE10hipError_tPvRmT2_T3_T4_T5_mT6_T7_P12ihipStream_tbENKUlT_T0_E_clISt17integral_constantIbLb1EES12_IbLb0EEEEDaSY_SZ_EUlSY_E_NS1_11comp_targetILNS1_3genE2ELNS1_11target_archE906ELNS1_3gpuE6ELNS1_3repE0EEENS1_30default_config_static_selectorELNS0_4arch9wavefront6targetE1EEEvT1_
	.p2align	8
	.type	_ZN7rocprim17ROCPRIM_400000_NS6detail17trampoline_kernelINS0_14default_configENS1_27scan_by_key_config_selectorIj11FixedVectorIiLj8EEEEZZNS1_16scan_by_key_implILNS1_25lookback_scan_determinismE0ELb0ES3_N6thrust23THRUST_200600_302600_NS6detail15normal_iteratorINSB_10device_ptrIjEEEENSD_INSE_IS6_EEEESI_S6_NSB_4plusIvEENSB_8equal_toIvEES6_EE10hipError_tPvRmT2_T3_T4_T5_mT6_T7_P12ihipStream_tbENKUlT_T0_E_clISt17integral_constantIbLb1EES12_IbLb0EEEEDaSY_SZ_EUlSY_E_NS1_11comp_targetILNS1_3genE2ELNS1_11target_archE906ELNS1_3gpuE6ELNS1_3repE0EEENS1_30default_config_static_selectorELNS0_4arch9wavefront6targetE1EEEvT1_,@function
_ZN7rocprim17ROCPRIM_400000_NS6detail17trampoline_kernelINS0_14default_configENS1_27scan_by_key_config_selectorIj11FixedVectorIiLj8EEEEZZNS1_16scan_by_key_implILNS1_25lookback_scan_determinismE0ELb0ES3_N6thrust23THRUST_200600_302600_NS6detail15normal_iteratorINSB_10device_ptrIjEEEENSD_INSE_IS6_EEEESI_S6_NSB_4plusIvEENSB_8equal_toIvEES6_EE10hipError_tPvRmT2_T3_T4_T5_mT6_T7_P12ihipStream_tbENKUlT_T0_E_clISt17integral_constantIbLb1EES12_IbLb0EEEEDaSY_SZ_EUlSY_E_NS1_11comp_targetILNS1_3genE2ELNS1_11target_archE906ELNS1_3gpuE6ELNS1_3repE0EEENS1_30default_config_static_selectorELNS0_4arch9wavefront6targetE1EEEvT1_: ; @_ZN7rocprim17ROCPRIM_400000_NS6detail17trampoline_kernelINS0_14default_configENS1_27scan_by_key_config_selectorIj11FixedVectorIiLj8EEEEZZNS1_16scan_by_key_implILNS1_25lookback_scan_determinismE0ELb0ES3_N6thrust23THRUST_200600_302600_NS6detail15normal_iteratorINSB_10device_ptrIjEEEENSD_INSE_IS6_EEEESI_S6_NSB_4plusIvEENSB_8equal_toIvEES6_EE10hipError_tPvRmT2_T3_T4_T5_mT6_T7_P12ihipStream_tbENKUlT_T0_E_clISt17integral_constantIbLb1EES12_IbLb0EEEEDaSY_SZ_EUlSY_E_NS1_11comp_targetILNS1_3genE2ELNS1_11target_archE906ELNS1_3gpuE6ELNS1_3repE0EEENS1_30default_config_static_selectorELNS0_4arch9wavefront6targetE1EEEvT1_
; %bb.0:
	.section	.rodata,"a",@progbits
	.p2align	6, 0x0
	.amdhsa_kernel _ZN7rocprim17ROCPRIM_400000_NS6detail17trampoline_kernelINS0_14default_configENS1_27scan_by_key_config_selectorIj11FixedVectorIiLj8EEEEZZNS1_16scan_by_key_implILNS1_25lookback_scan_determinismE0ELb0ES3_N6thrust23THRUST_200600_302600_NS6detail15normal_iteratorINSB_10device_ptrIjEEEENSD_INSE_IS6_EEEESI_S6_NSB_4plusIvEENSB_8equal_toIvEES6_EE10hipError_tPvRmT2_T3_T4_T5_mT6_T7_P12ihipStream_tbENKUlT_T0_E_clISt17integral_constantIbLb1EES12_IbLb0EEEEDaSY_SZ_EUlSY_E_NS1_11comp_targetILNS1_3genE2ELNS1_11target_archE906ELNS1_3gpuE6ELNS1_3repE0EEENS1_30default_config_static_selectorELNS0_4arch9wavefront6targetE1EEEvT1_
		.amdhsa_group_segment_fixed_size 0
		.amdhsa_private_segment_fixed_size 0
		.amdhsa_kernarg_size 160
		.amdhsa_user_sgpr_count 2
		.amdhsa_user_sgpr_dispatch_ptr 0
		.amdhsa_user_sgpr_queue_ptr 0
		.amdhsa_user_sgpr_kernarg_segment_ptr 1
		.amdhsa_user_sgpr_dispatch_id 0
		.amdhsa_user_sgpr_kernarg_preload_length 0
		.amdhsa_user_sgpr_kernarg_preload_offset 0
		.amdhsa_user_sgpr_private_segment_size 0
		.amdhsa_uses_dynamic_stack 0
		.amdhsa_enable_private_segment 0
		.amdhsa_system_sgpr_workgroup_id_x 1
		.amdhsa_system_sgpr_workgroup_id_y 0
		.amdhsa_system_sgpr_workgroup_id_z 0
		.amdhsa_system_sgpr_workgroup_info 0
		.amdhsa_system_vgpr_workitem_id 0
		.amdhsa_next_free_vgpr 1
		.amdhsa_next_free_sgpr 0
		.amdhsa_accum_offset 4
		.amdhsa_reserve_vcc 0
		.amdhsa_float_round_mode_32 0
		.amdhsa_float_round_mode_16_64 0
		.amdhsa_float_denorm_mode_32 3
		.amdhsa_float_denorm_mode_16_64 3
		.amdhsa_dx10_clamp 1
		.amdhsa_ieee_mode 1
		.amdhsa_fp16_overflow 0
		.amdhsa_tg_split 0
		.amdhsa_exception_fp_ieee_invalid_op 0
		.amdhsa_exception_fp_denorm_src 0
		.amdhsa_exception_fp_ieee_div_zero 0
		.amdhsa_exception_fp_ieee_overflow 0
		.amdhsa_exception_fp_ieee_underflow 0
		.amdhsa_exception_fp_ieee_inexact 0
		.amdhsa_exception_int_div_zero 0
	.end_amdhsa_kernel
	.section	.text._ZN7rocprim17ROCPRIM_400000_NS6detail17trampoline_kernelINS0_14default_configENS1_27scan_by_key_config_selectorIj11FixedVectorIiLj8EEEEZZNS1_16scan_by_key_implILNS1_25lookback_scan_determinismE0ELb0ES3_N6thrust23THRUST_200600_302600_NS6detail15normal_iteratorINSB_10device_ptrIjEEEENSD_INSE_IS6_EEEESI_S6_NSB_4plusIvEENSB_8equal_toIvEES6_EE10hipError_tPvRmT2_T3_T4_T5_mT6_T7_P12ihipStream_tbENKUlT_T0_E_clISt17integral_constantIbLb1EES12_IbLb0EEEEDaSY_SZ_EUlSY_E_NS1_11comp_targetILNS1_3genE2ELNS1_11target_archE906ELNS1_3gpuE6ELNS1_3repE0EEENS1_30default_config_static_selectorELNS0_4arch9wavefront6targetE1EEEvT1_,"axG",@progbits,_ZN7rocprim17ROCPRIM_400000_NS6detail17trampoline_kernelINS0_14default_configENS1_27scan_by_key_config_selectorIj11FixedVectorIiLj8EEEEZZNS1_16scan_by_key_implILNS1_25lookback_scan_determinismE0ELb0ES3_N6thrust23THRUST_200600_302600_NS6detail15normal_iteratorINSB_10device_ptrIjEEEENSD_INSE_IS6_EEEESI_S6_NSB_4plusIvEENSB_8equal_toIvEES6_EE10hipError_tPvRmT2_T3_T4_T5_mT6_T7_P12ihipStream_tbENKUlT_T0_E_clISt17integral_constantIbLb1EES12_IbLb0EEEEDaSY_SZ_EUlSY_E_NS1_11comp_targetILNS1_3genE2ELNS1_11target_archE906ELNS1_3gpuE6ELNS1_3repE0EEENS1_30default_config_static_selectorELNS0_4arch9wavefront6targetE1EEEvT1_,comdat
.Lfunc_end2143:
	.size	_ZN7rocprim17ROCPRIM_400000_NS6detail17trampoline_kernelINS0_14default_configENS1_27scan_by_key_config_selectorIj11FixedVectorIiLj8EEEEZZNS1_16scan_by_key_implILNS1_25lookback_scan_determinismE0ELb0ES3_N6thrust23THRUST_200600_302600_NS6detail15normal_iteratorINSB_10device_ptrIjEEEENSD_INSE_IS6_EEEESI_S6_NSB_4plusIvEENSB_8equal_toIvEES6_EE10hipError_tPvRmT2_T3_T4_T5_mT6_T7_P12ihipStream_tbENKUlT_T0_E_clISt17integral_constantIbLb1EES12_IbLb0EEEEDaSY_SZ_EUlSY_E_NS1_11comp_targetILNS1_3genE2ELNS1_11target_archE906ELNS1_3gpuE6ELNS1_3repE0EEENS1_30default_config_static_selectorELNS0_4arch9wavefront6targetE1EEEvT1_, .Lfunc_end2143-_ZN7rocprim17ROCPRIM_400000_NS6detail17trampoline_kernelINS0_14default_configENS1_27scan_by_key_config_selectorIj11FixedVectorIiLj8EEEEZZNS1_16scan_by_key_implILNS1_25lookback_scan_determinismE0ELb0ES3_N6thrust23THRUST_200600_302600_NS6detail15normal_iteratorINSB_10device_ptrIjEEEENSD_INSE_IS6_EEEESI_S6_NSB_4plusIvEENSB_8equal_toIvEES6_EE10hipError_tPvRmT2_T3_T4_T5_mT6_T7_P12ihipStream_tbENKUlT_T0_E_clISt17integral_constantIbLb1EES12_IbLb0EEEEDaSY_SZ_EUlSY_E_NS1_11comp_targetILNS1_3genE2ELNS1_11target_archE906ELNS1_3gpuE6ELNS1_3repE0EEENS1_30default_config_static_selectorELNS0_4arch9wavefront6targetE1EEEvT1_
                                        ; -- End function
	.section	.AMDGPU.csdata,"",@progbits
; Kernel info:
; codeLenInByte = 0
; NumSgprs: 6
; NumVgprs: 0
; NumAgprs: 0
; TotalNumVgprs: 0
; ScratchSize: 0
; MemoryBound: 0
; FloatMode: 240
; IeeeMode: 1
; LDSByteSize: 0 bytes/workgroup (compile time only)
; SGPRBlocks: 0
; VGPRBlocks: 0
; NumSGPRsForWavesPerEU: 6
; NumVGPRsForWavesPerEU: 1
; AccumOffset: 4
; Occupancy: 8
; WaveLimiterHint : 0
; COMPUTE_PGM_RSRC2:SCRATCH_EN: 0
; COMPUTE_PGM_RSRC2:USER_SGPR: 2
; COMPUTE_PGM_RSRC2:TRAP_HANDLER: 0
; COMPUTE_PGM_RSRC2:TGID_X_EN: 1
; COMPUTE_PGM_RSRC2:TGID_Y_EN: 0
; COMPUTE_PGM_RSRC2:TGID_Z_EN: 0
; COMPUTE_PGM_RSRC2:TIDIG_COMP_CNT: 0
; COMPUTE_PGM_RSRC3_GFX90A:ACCUM_OFFSET: 0
; COMPUTE_PGM_RSRC3_GFX90A:TG_SPLIT: 0
	.section	.text._ZN7rocprim17ROCPRIM_400000_NS6detail17trampoline_kernelINS0_14default_configENS1_27scan_by_key_config_selectorIj11FixedVectorIiLj8EEEEZZNS1_16scan_by_key_implILNS1_25lookback_scan_determinismE0ELb0ES3_N6thrust23THRUST_200600_302600_NS6detail15normal_iteratorINSB_10device_ptrIjEEEENSD_INSE_IS6_EEEESI_S6_NSB_4plusIvEENSB_8equal_toIvEES6_EE10hipError_tPvRmT2_T3_T4_T5_mT6_T7_P12ihipStream_tbENKUlT_T0_E_clISt17integral_constantIbLb1EES12_IbLb0EEEEDaSY_SZ_EUlSY_E_NS1_11comp_targetILNS1_3genE10ELNS1_11target_archE1200ELNS1_3gpuE4ELNS1_3repE0EEENS1_30default_config_static_selectorELNS0_4arch9wavefront6targetE1EEEvT1_,"axG",@progbits,_ZN7rocprim17ROCPRIM_400000_NS6detail17trampoline_kernelINS0_14default_configENS1_27scan_by_key_config_selectorIj11FixedVectorIiLj8EEEEZZNS1_16scan_by_key_implILNS1_25lookback_scan_determinismE0ELb0ES3_N6thrust23THRUST_200600_302600_NS6detail15normal_iteratorINSB_10device_ptrIjEEEENSD_INSE_IS6_EEEESI_S6_NSB_4plusIvEENSB_8equal_toIvEES6_EE10hipError_tPvRmT2_T3_T4_T5_mT6_T7_P12ihipStream_tbENKUlT_T0_E_clISt17integral_constantIbLb1EES12_IbLb0EEEEDaSY_SZ_EUlSY_E_NS1_11comp_targetILNS1_3genE10ELNS1_11target_archE1200ELNS1_3gpuE4ELNS1_3repE0EEENS1_30default_config_static_selectorELNS0_4arch9wavefront6targetE1EEEvT1_,comdat
	.protected	_ZN7rocprim17ROCPRIM_400000_NS6detail17trampoline_kernelINS0_14default_configENS1_27scan_by_key_config_selectorIj11FixedVectorIiLj8EEEEZZNS1_16scan_by_key_implILNS1_25lookback_scan_determinismE0ELb0ES3_N6thrust23THRUST_200600_302600_NS6detail15normal_iteratorINSB_10device_ptrIjEEEENSD_INSE_IS6_EEEESI_S6_NSB_4plusIvEENSB_8equal_toIvEES6_EE10hipError_tPvRmT2_T3_T4_T5_mT6_T7_P12ihipStream_tbENKUlT_T0_E_clISt17integral_constantIbLb1EES12_IbLb0EEEEDaSY_SZ_EUlSY_E_NS1_11comp_targetILNS1_3genE10ELNS1_11target_archE1200ELNS1_3gpuE4ELNS1_3repE0EEENS1_30default_config_static_selectorELNS0_4arch9wavefront6targetE1EEEvT1_ ; -- Begin function _ZN7rocprim17ROCPRIM_400000_NS6detail17trampoline_kernelINS0_14default_configENS1_27scan_by_key_config_selectorIj11FixedVectorIiLj8EEEEZZNS1_16scan_by_key_implILNS1_25lookback_scan_determinismE0ELb0ES3_N6thrust23THRUST_200600_302600_NS6detail15normal_iteratorINSB_10device_ptrIjEEEENSD_INSE_IS6_EEEESI_S6_NSB_4plusIvEENSB_8equal_toIvEES6_EE10hipError_tPvRmT2_T3_T4_T5_mT6_T7_P12ihipStream_tbENKUlT_T0_E_clISt17integral_constantIbLb1EES12_IbLb0EEEEDaSY_SZ_EUlSY_E_NS1_11comp_targetILNS1_3genE10ELNS1_11target_archE1200ELNS1_3gpuE4ELNS1_3repE0EEENS1_30default_config_static_selectorELNS0_4arch9wavefront6targetE1EEEvT1_
	.globl	_ZN7rocprim17ROCPRIM_400000_NS6detail17trampoline_kernelINS0_14default_configENS1_27scan_by_key_config_selectorIj11FixedVectorIiLj8EEEEZZNS1_16scan_by_key_implILNS1_25lookback_scan_determinismE0ELb0ES3_N6thrust23THRUST_200600_302600_NS6detail15normal_iteratorINSB_10device_ptrIjEEEENSD_INSE_IS6_EEEESI_S6_NSB_4plusIvEENSB_8equal_toIvEES6_EE10hipError_tPvRmT2_T3_T4_T5_mT6_T7_P12ihipStream_tbENKUlT_T0_E_clISt17integral_constantIbLb1EES12_IbLb0EEEEDaSY_SZ_EUlSY_E_NS1_11comp_targetILNS1_3genE10ELNS1_11target_archE1200ELNS1_3gpuE4ELNS1_3repE0EEENS1_30default_config_static_selectorELNS0_4arch9wavefront6targetE1EEEvT1_
	.p2align	8
	.type	_ZN7rocprim17ROCPRIM_400000_NS6detail17trampoline_kernelINS0_14default_configENS1_27scan_by_key_config_selectorIj11FixedVectorIiLj8EEEEZZNS1_16scan_by_key_implILNS1_25lookback_scan_determinismE0ELb0ES3_N6thrust23THRUST_200600_302600_NS6detail15normal_iteratorINSB_10device_ptrIjEEEENSD_INSE_IS6_EEEESI_S6_NSB_4plusIvEENSB_8equal_toIvEES6_EE10hipError_tPvRmT2_T3_T4_T5_mT6_T7_P12ihipStream_tbENKUlT_T0_E_clISt17integral_constantIbLb1EES12_IbLb0EEEEDaSY_SZ_EUlSY_E_NS1_11comp_targetILNS1_3genE10ELNS1_11target_archE1200ELNS1_3gpuE4ELNS1_3repE0EEENS1_30default_config_static_selectorELNS0_4arch9wavefront6targetE1EEEvT1_,@function
_ZN7rocprim17ROCPRIM_400000_NS6detail17trampoline_kernelINS0_14default_configENS1_27scan_by_key_config_selectorIj11FixedVectorIiLj8EEEEZZNS1_16scan_by_key_implILNS1_25lookback_scan_determinismE0ELb0ES3_N6thrust23THRUST_200600_302600_NS6detail15normal_iteratorINSB_10device_ptrIjEEEENSD_INSE_IS6_EEEESI_S6_NSB_4plusIvEENSB_8equal_toIvEES6_EE10hipError_tPvRmT2_T3_T4_T5_mT6_T7_P12ihipStream_tbENKUlT_T0_E_clISt17integral_constantIbLb1EES12_IbLb0EEEEDaSY_SZ_EUlSY_E_NS1_11comp_targetILNS1_3genE10ELNS1_11target_archE1200ELNS1_3gpuE4ELNS1_3repE0EEENS1_30default_config_static_selectorELNS0_4arch9wavefront6targetE1EEEvT1_: ; @_ZN7rocprim17ROCPRIM_400000_NS6detail17trampoline_kernelINS0_14default_configENS1_27scan_by_key_config_selectorIj11FixedVectorIiLj8EEEEZZNS1_16scan_by_key_implILNS1_25lookback_scan_determinismE0ELb0ES3_N6thrust23THRUST_200600_302600_NS6detail15normal_iteratorINSB_10device_ptrIjEEEENSD_INSE_IS6_EEEESI_S6_NSB_4plusIvEENSB_8equal_toIvEES6_EE10hipError_tPvRmT2_T3_T4_T5_mT6_T7_P12ihipStream_tbENKUlT_T0_E_clISt17integral_constantIbLb1EES12_IbLb0EEEEDaSY_SZ_EUlSY_E_NS1_11comp_targetILNS1_3genE10ELNS1_11target_archE1200ELNS1_3gpuE4ELNS1_3repE0EEENS1_30default_config_static_selectorELNS0_4arch9wavefront6targetE1EEEvT1_
; %bb.0:
	.section	.rodata,"a",@progbits
	.p2align	6, 0x0
	.amdhsa_kernel _ZN7rocprim17ROCPRIM_400000_NS6detail17trampoline_kernelINS0_14default_configENS1_27scan_by_key_config_selectorIj11FixedVectorIiLj8EEEEZZNS1_16scan_by_key_implILNS1_25lookback_scan_determinismE0ELb0ES3_N6thrust23THRUST_200600_302600_NS6detail15normal_iteratorINSB_10device_ptrIjEEEENSD_INSE_IS6_EEEESI_S6_NSB_4plusIvEENSB_8equal_toIvEES6_EE10hipError_tPvRmT2_T3_T4_T5_mT6_T7_P12ihipStream_tbENKUlT_T0_E_clISt17integral_constantIbLb1EES12_IbLb0EEEEDaSY_SZ_EUlSY_E_NS1_11comp_targetILNS1_3genE10ELNS1_11target_archE1200ELNS1_3gpuE4ELNS1_3repE0EEENS1_30default_config_static_selectorELNS0_4arch9wavefront6targetE1EEEvT1_
		.amdhsa_group_segment_fixed_size 0
		.amdhsa_private_segment_fixed_size 0
		.amdhsa_kernarg_size 160
		.amdhsa_user_sgpr_count 2
		.amdhsa_user_sgpr_dispatch_ptr 0
		.amdhsa_user_sgpr_queue_ptr 0
		.amdhsa_user_sgpr_kernarg_segment_ptr 1
		.amdhsa_user_sgpr_dispatch_id 0
		.amdhsa_user_sgpr_kernarg_preload_length 0
		.amdhsa_user_sgpr_kernarg_preload_offset 0
		.amdhsa_user_sgpr_private_segment_size 0
		.amdhsa_uses_dynamic_stack 0
		.amdhsa_enable_private_segment 0
		.amdhsa_system_sgpr_workgroup_id_x 1
		.amdhsa_system_sgpr_workgroup_id_y 0
		.amdhsa_system_sgpr_workgroup_id_z 0
		.amdhsa_system_sgpr_workgroup_info 0
		.amdhsa_system_vgpr_workitem_id 0
		.amdhsa_next_free_vgpr 1
		.amdhsa_next_free_sgpr 0
		.amdhsa_accum_offset 4
		.amdhsa_reserve_vcc 0
		.amdhsa_float_round_mode_32 0
		.amdhsa_float_round_mode_16_64 0
		.amdhsa_float_denorm_mode_32 3
		.amdhsa_float_denorm_mode_16_64 3
		.amdhsa_dx10_clamp 1
		.amdhsa_ieee_mode 1
		.amdhsa_fp16_overflow 0
		.amdhsa_tg_split 0
		.amdhsa_exception_fp_ieee_invalid_op 0
		.amdhsa_exception_fp_denorm_src 0
		.amdhsa_exception_fp_ieee_div_zero 0
		.amdhsa_exception_fp_ieee_overflow 0
		.amdhsa_exception_fp_ieee_underflow 0
		.amdhsa_exception_fp_ieee_inexact 0
		.amdhsa_exception_int_div_zero 0
	.end_amdhsa_kernel
	.section	.text._ZN7rocprim17ROCPRIM_400000_NS6detail17trampoline_kernelINS0_14default_configENS1_27scan_by_key_config_selectorIj11FixedVectorIiLj8EEEEZZNS1_16scan_by_key_implILNS1_25lookback_scan_determinismE0ELb0ES3_N6thrust23THRUST_200600_302600_NS6detail15normal_iteratorINSB_10device_ptrIjEEEENSD_INSE_IS6_EEEESI_S6_NSB_4plusIvEENSB_8equal_toIvEES6_EE10hipError_tPvRmT2_T3_T4_T5_mT6_T7_P12ihipStream_tbENKUlT_T0_E_clISt17integral_constantIbLb1EES12_IbLb0EEEEDaSY_SZ_EUlSY_E_NS1_11comp_targetILNS1_3genE10ELNS1_11target_archE1200ELNS1_3gpuE4ELNS1_3repE0EEENS1_30default_config_static_selectorELNS0_4arch9wavefront6targetE1EEEvT1_,"axG",@progbits,_ZN7rocprim17ROCPRIM_400000_NS6detail17trampoline_kernelINS0_14default_configENS1_27scan_by_key_config_selectorIj11FixedVectorIiLj8EEEEZZNS1_16scan_by_key_implILNS1_25lookback_scan_determinismE0ELb0ES3_N6thrust23THRUST_200600_302600_NS6detail15normal_iteratorINSB_10device_ptrIjEEEENSD_INSE_IS6_EEEESI_S6_NSB_4plusIvEENSB_8equal_toIvEES6_EE10hipError_tPvRmT2_T3_T4_T5_mT6_T7_P12ihipStream_tbENKUlT_T0_E_clISt17integral_constantIbLb1EES12_IbLb0EEEEDaSY_SZ_EUlSY_E_NS1_11comp_targetILNS1_3genE10ELNS1_11target_archE1200ELNS1_3gpuE4ELNS1_3repE0EEENS1_30default_config_static_selectorELNS0_4arch9wavefront6targetE1EEEvT1_,comdat
.Lfunc_end2144:
	.size	_ZN7rocprim17ROCPRIM_400000_NS6detail17trampoline_kernelINS0_14default_configENS1_27scan_by_key_config_selectorIj11FixedVectorIiLj8EEEEZZNS1_16scan_by_key_implILNS1_25lookback_scan_determinismE0ELb0ES3_N6thrust23THRUST_200600_302600_NS6detail15normal_iteratorINSB_10device_ptrIjEEEENSD_INSE_IS6_EEEESI_S6_NSB_4plusIvEENSB_8equal_toIvEES6_EE10hipError_tPvRmT2_T3_T4_T5_mT6_T7_P12ihipStream_tbENKUlT_T0_E_clISt17integral_constantIbLb1EES12_IbLb0EEEEDaSY_SZ_EUlSY_E_NS1_11comp_targetILNS1_3genE10ELNS1_11target_archE1200ELNS1_3gpuE4ELNS1_3repE0EEENS1_30default_config_static_selectorELNS0_4arch9wavefront6targetE1EEEvT1_, .Lfunc_end2144-_ZN7rocprim17ROCPRIM_400000_NS6detail17trampoline_kernelINS0_14default_configENS1_27scan_by_key_config_selectorIj11FixedVectorIiLj8EEEEZZNS1_16scan_by_key_implILNS1_25lookback_scan_determinismE0ELb0ES3_N6thrust23THRUST_200600_302600_NS6detail15normal_iteratorINSB_10device_ptrIjEEEENSD_INSE_IS6_EEEESI_S6_NSB_4plusIvEENSB_8equal_toIvEES6_EE10hipError_tPvRmT2_T3_T4_T5_mT6_T7_P12ihipStream_tbENKUlT_T0_E_clISt17integral_constantIbLb1EES12_IbLb0EEEEDaSY_SZ_EUlSY_E_NS1_11comp_targetILNS1_3genE10ELNS1_11target_archE1200ELNS1_3gpuE4ELNS1_3repE0EEENS1_30default_config_static_selectorELNS0_4arch9wavefront6targetE1EEEvT1_
                                        ; -- End function
	.section	.AMDGPU.csdata,"",@progbits
; Kernel info:
; codeLenInByte = 0
; NumSgprs: 6
; NumVgprs: 0
; NumAgprs: 0
; TotalNumVgprs: 0
; ScratchSize: 0
; MemoryBound: 0
; FloatMode: 240
; IeeeMode: 1
; LDSByteSize: 0 bytes/workgroup (compile time only)
; SGPRBlocks: 0
; VGPRBlocks: 0
; NumSGPRsForWavesPerEU: 6
; NumVGPRsForWavesPerEU: 1
; AccumOffset: 4
; Occupancy: 8
; WaveLimiterHint : 0
; COMPUTE_PGM_RSRC2:SCRATCH_EN: 0
; COMPUTE_PGM_RSRC2:USER_SGPR: 2
; COMPUTE_PGM_RSRC2:TRAP_HANDLER: 0
; COMPUTE_PGM_RSRC2:TGID_X_EN: 1
; COMPUTE_PGM_RSRC2:TGID_Y_EN: 0
; COMPUTE_PGM_RSRC2:TGID_Z_EN: 0
; COMPUTE_PGM_RSRC2:TIDIG_COMP_CNT: 0
; COMPUTE_PGM_RSRC3_GFX90A:ACCUM_OFFSET: 0
; COMPUTE_PGM_RSRC3_GFX90A:TG_SPLIT: 0
	.section	.text._ZN7rocprim17ROCPRIM_400000_NS6detail17trampoline_kernelINS0_14default_configENS1_27scan_by_key_config_selectorIj11FixedVectorIiLj8EEEEZZNS1_16scan_by_key_implILNS1_25lookback_scan_determinismE0ELb0ES3_N6thrust23THRUST_200600_302600_NS6detail15normal_iteratorINSB_10device_ptrIjEEEENSD_INSE_IS6_EEEESI_S6_NSB_4plusIvEENSB_8equal_toIvEES6_EE10hipError_tPvRmT2_T3_T4_T5_mT6_T7_P12ihipStream_tbENKUlT_T0_E_clISt17integral_constantIbLb1EES12_IbLb0EEEEDaSY_SZ_EUlSY_E_NS1_11comp_targetILNS1_3genE9ELNS1_11target_archE1100ELNS1_3gpuE3ELNS1_3repE0EEENS1_30default_config_static_selectorELNS0_4arch9wavefront6targetE1EEEvT1_,"axG",@progbits,_ZN7rocprim17ROCPRIM_400000_NS6detail17trampoline_kernelINS0_14default_configENS1_27scan_by_key_config_selectorIj11FixedVectorIiLj8EEEEZZNS1_16scan_by_key_implILNS1_25lookback_scan_determinismE0ELb0ES3_N6thrust23THRUST_200600_302600_NS6detail15normal_iteratorINSB_10device_ptrIjEEEENSD_INSE_IS6_EEEESI_S6_NSB_4plusIvEENSB_8equal_toIvEES6_EE10hipError_tPvRmT2_T3_T4_T5_mT6_T7_P12ihipStream_tbENKUlT_T0_E_clISt17integral_constantIbLb1EES12_IbLb0EEEEDaSY_SZ_EUlSY_E_NS1_11comp_targetILNS1_3genE9ELNS1_11target_archE1100ELNS1_3gpuE3ELNS1_3repE0EEENS1_30default_config_static_selectorELNS0_4arch9wavefront6targetE1EEEvT1_,comdat
	.protected	_ZN7rocprim17ROCPRIM_400000_NS6detail17trampoline_kernelINS0_14default_configENS1_27scan_by_key_config_selectorIj11FixedVectorIiLj8EEEEZZNS1_16scan_by_key_implILNS1_25lookback_scan_determinismE0ELb0ES3_N6thrust23THRUST_200600_302600_NS6detail15normal_iteratorINSB_10device_ptrIjEEEENSD_INSE_IS6_EEEESI_S6_NSB_4plusIvEENSB_8equal_toIvEES6_EE10hipError_tPvRmT2_T3_T4_T5_mT6_T7_P12ihipStream_tbENKUlT_T0_E_clISt17integral_constantIbLb1EES12_IbLb0EEEEDaSY_SZ_EUlSY_E_NS1_11comp_targetILNS1_3genE9ELNS1_11target_archE1100ELNS1_3gpuE3ELNS1_3repE0EEENS1_30default_config_static_selectorELNS0_4arch9wavefront6targetE1EEEvT1_ ; -- Begin function _ZN7rocprim17ROCPRIM_400000_NS6detail17trampoline_kernelINS0_14default_configENS1_27scan_by_key_config_selectorIj11FixedVectorIiLj8EEEEZZNS1_16scan_by_key_implILNS1_25lookback_scan_determinismE0ELb0ES3_N6thrust23THRUST_200600_302600_NS6detail15normal_iteratorINSB_10device_ptrIjEEEENSD_INSE_IS6_EEEESI_S6_NSB_4plusIvEENSB_8equal_toIvEES6_EE10hipError_tPvRmT2_T3_T4_T5_mT6_T7_P12ihipStream_tbENKUlT_T0_E_clISt17integral_constantIbLb1EES12_IbLb0EEEEDaSY_SZ_EUlSY_E_NS1_11comp_targetILNS1_3genE9ELNS1_11target_archE1100ELNS1_3gpuE3ELNS1_3repE0EEENS1_30default_config_static_selectorELNS0_4arch9wavefront6targetE1EEEvT1_
	.globl	_ZN7rocprim17ROCPRIM_400000_NS6detail17trampoline_kernelINS0_14default_configENS1_27scan_by_key_config_selectorIj11FixedVectorIiLj8EEEEZZNS1_16scan_by_key_implILNS1_25lookback_scan_determinismE0ELb0ES3_N6thrust23THRUST_200600_302600_NS6detail15normal_iteratorINSB_10device_ptrIjEEEENSD_INSE_IS6_EEEESI_S6_NSB_4plusIvEENSB_8equal_toIvEES6_EE10hipError_tPvRmT2_T3_T4_T5_mT6_T7_P12ihipStream_tbENKUlT_T0_E_clISt17integral_constantIbLb1EES12_IbLb0EEEEDaSY_SZ_EUlSY_E_NS1_11comp_targetILNS1_3genE9ELNS1_11target_archE1100ELNS1_3gpuE3ELNS1_3repE0EEENS1_30default_config_static_selectorELNS0_4arch9wavefront6targetE1EEEvT1_
	.p2align	8
	.type	_ZN7rocprim17ROCPRIM_400000_NS6detail17trampoline_kernelINS0_14default_configENS1_27scan_by_key_config_selectorIj11FixedVectorIiLj8EEEEZZNS1_16scan_by_key_implILNS1_25lookback_scan_determinismE0ELb0ES3_N6thrust23THRUST_200600_302600_NS6detail15normal_iteratorINSB_10device_ptrIjEEEENSD_INSE_IS6_EEEESI_S6_NSB_4plusIvEENSB_8equal_toIvEES6_EE10hipError_tPvRmT2_T3_T4_T5_mT6_T7_P12ihipStream_tbENKUlT_T0_E_clISt17integral_constantIbLb1EES12_IbLb0EEEEDaSY_SZ_EUlSY_E_NS1_11comp_targetILNS1_3genE9ELNS1_11target_archE1100ELNS1_3gpuE3ELNS1_3repE0EEENS1_30default_config_static_selectorELNS0_4arch9wavefront6targetE1EEEvT1_,@function
_ZN7rocprim17ROCPRIM_400000_NS6detail17trampoline_kernelINS0_14default_configENS1_27scan_by_key_config_selectorIj11FixedVectorIiLj8EEEEZZNS1_16scan_by_key_implILNS1_25lookback_scan_determinismE0ELb0ES3_N6thrust23THRUST_200600_302600_NS6detail15normal_iteratorINSB_10device_ptrIjEEEENSD_INSE_IS6_EEEESI_S6_NSB_4plusIvEENSB_8equal_toIvEES6_EE10hipError_tPvRmT2_T3_T4_T5_mT6_T7_P12ihipStream_tbENKUlT_T0_E_clISt17integral_constantIbLb1EES12_IbLb0EEEEDaSY_SZ_EUlSY_E_NS1_11comp_targetILNS1_3genE9ELNS1_11target_archE1100ELNS1_3gpuE3ELNS1_3repE0EEENS1_30default_config_static_selectorELNS0_4arch9wavefront6targetE1EEEvT1_: ; @_ZN7rocprim17ROCPRIM_400000_NS6detail17trampoline_kernelINS0_14default_configENS1_27scan_by_key_config_selectorIj11FixedVectorIiLj8EEEEZZNS1_16scan_by_key_implILNS1_25lookback_scan_determinismE0ELb0ES3_N6thrust23THRUST_200600_302600_NS6detail15normal_iteratorINSB_10device_ptrIjEEEENSD_INSE_IS6_EEEESI_S6_NSB_4plusIvEENSB_8equal_toIvEES6_EE10hipError_tPvRmT2_T3_T4_T5_mT6_T7_P12ihipStream_tbENKUlT_T0_E_clISt17integral_constantIbLb1EES12_IbLb0EEEEDaSY_SZ_EUlSY_E_NS1_11comp_targetILNS1_3genE9ELNS1_11target_archE1100ELNS1_3gpuE3ELNS1_3repE0EEENS1_30default_config_static_selectorELNS0_4arch9wavefront6targetE1EEEvT1_
; %bb.0:
	.section	.rodata,"a",@progbits
	.p2align	6, 0x0
	.amdhsa_kernel _ZN7rocprim17ROCPRIM_400000_NS6detail17trampoline_kernelINS0_14default_configENS1_27scan_by_key_config_selectorIj11FixedVectorIiLj8EEEEZZNS1_16scan_by_key_implILNS1_25lookback_scan_determinismE0ELb0ES3_N6thrust23THRUST_200600_302600_NS6detail15normal_iteratorINSB_10device_ptrIjEEEENSD_INSE_IS6_EEEESI_S6_NSB_4plusIvEENSB_8equal_toIvEES6_EE10hipError_tPvRmT2_T3_T4_T5_mT6_T7_P12ihipStream_tbENKUlT_T0_E_clISt17integral_constantIbLb1EES12_IbLb0EEEEDaSY_SZ_EUlSY_E_NS1_11comp_targetILNS1_3genE9ELNS1_11target_archE1100ELNS1_3gpuE3ELNS1_3repE0EEENS1_30default_config_static_selectorELNS0_4arch9wavefront6targetE1EEEvT1_
		.amdhsa_group_segment_fixed_size 0
		.amdhsa_private_segment_fixed_size 0
		.amdhsa_kernarg_size 160
		.amdhsa_user_sgpr_count 2
		.amdhsa_user_sgpr_dispatch_ptr 0
		.amdhsa_user_sgpr_queue_ptr 0
		.amdhsa_user_sgpr_kernarg_segment_ptr 1
		.amdhsa_user_sgpr_dispatch_id 0
		.amdhsa_user_sgpr_kernarg_preload_length 0
		.amdhsa_user_sgpr_kernarg_preload_offset 0
		.amdhsa_user_sgpr_private_segment_size 0
		.amdhsa_uses_dynamic_stack 0
		.amdhsa_enable_private_segment 0
		.amdhsa_system_sgpr_workgroup_id_x 1
		.amdhsa_system_sgpr_workgroup_id_y 0
		.amdhsa_system_sgpr_workgroup_id_z 0
		.amdhsa_system_sgpr_workgroup_info 0
		.amdhsa_system_vgpr_workitem_id 0
		.amdhsa_next_free_vgpr 1
		.amdhsa_next_free_sgpr 0
		.amdhsa_accum_offset 4
		.amdhsa_reserve_vcc 0
		.amdhsa_float_round_mode_32 0
		.amdhsa_float_round_mode_16_64 0
		.amdhsa_float_denorm_mode_32 3
		.amdhsa_float_denorm_mode_16_64 3
		.amdhsa_dx10_clamp 1
		.amdhsa_ieee_mode 1
		.amdhsa_fp16_overflow 0
		.amdhsa_tg_split 0
		.amdhsa_exception_fp_ieee_invalid_op 0
		.amdhsa_exception_fp_denorm_src 0
		.amdhsa_exception_fp_ieee_div_zero 0
		.amdhsa_exception_fp_ieee_overflow 0
		.amdhsa_exception_fp_ieee_underflow 0
		.amdhsa_exception_fp_ieee_inexact 0
		.amdhsa_exception_int_div_zero 0
	.end_amdhsa_kernel
	.section	.text._ZN7rocprim17ROCPRIM_400000_NS6detail17trampoline_kernelINS0_14default_configENS1_27scan_by_key_config_selectorIj11FixedVectorIiLj8EEEEZZNS1_16scan_by_key_implILNS1_25lookback_scan_determinismE0ELb0ES3_N6thrust23THRUST_200600_302600_NS6detail15normal_iteratorINSB_10device_ptrIjEEEENSD_INSE_IS6_EEEESI_S6_NSB_4plusIvEENSB_8equal_toIvEES6_EE10hipError_tPvRmT2_T3_T4_T5_mT6_T7_P12ihipStream_tbENKUlT_T0_E_clISt17integral_constantIbLb1EES12_IbLb0EEEEDaSY_SZ_EUlSY_E_NS1_11comp_targetILNS1_3genE9ELNS1_11target_archE1100ELNS1_3gpuE3ELNS1_3repE0EEENS1_30default_config_static_selectorELNS0_4arch9wavefront6targetE1EEEvT1_,"axG",@progbits,_ZN7rocprim17ROCPRIM_400000_NS6detail17trampoline_kernelINS0_14default_configENS1_27scan_by_key_config_selectorIj11FixedVectorIiLj8EEEEZZNS1_16scan_by_key_implILNS1_25lookback_scan_determinismE0ELb0ES3_N6thrust23THRUST_200600_302600_NS6detail15normal_iteratorINSB_10device_ptrIjEEEENSD_INSE_IS6_EEEESI_S6_NSB_4plusIvEENSB_8equal_toIvEES6_EE10hipError_tPvRmT2_T3_T4_T5_mT6_T7_P12ihipStream_tbENKUlT_T0_E_clISt17integral_constantIbLb1EES12_IbLb0EEEEDaSY_SZ_EUlSY_E_NS1_11comp_targetILNS1_3genE9ELNS1_11target_archE1100ELNS1_3gpuE3ELNS1_3repE0EEENS1_30default_config_static_selectorELNS0_4arch9wavefront6targetE1EEEvT1_,comdat
.Lfunc_end2145:
	.size	_ZN7rocprim17ROCPRIM_400000_NS6detail17trampoline_kernelINS0_14default_configENS1_27scan_by_key_config_selectorIj11FixedVectorIiLj8EEEEZZNS1_16scan_by_key_implILNS1_25lookback_scan_determinismE0ELb0ES3_N6thrust23THRUST_200600_302600_NS6detail15normal_iteratorINSB_10device_ptrIjEEEENSD_INSE_IS6_EEEESI_S6_NSB_4plusIvEENSB_8equal_toIvEES6_EE10hipError_tPvRmT2_T3_T4_T5_mT6_T7_P12ihipStream_tbENKUlT_T0_E_clISt17integral_constantIbLb1EES12_IbLb0EEEEDaSY_SZ_EUlSY_E_NS1_11comp_targetILNS1_3genE9ELNS1_11target_archE1100ELNS1_3gpuE3ELNS1_3repE0EEENS1_30default_config_static_selectorELNS0_4arch9wavefront6targetE1EEEvT1_, .Lfunc_end2145-_ZN7rocprim17ROCPRIM_400000_NS6detail17trampoline_kernelINS0_14default_configENS1_27scan_by_key_config_selectorIj11FixedVectorIiLj8EEEEZZNS1_16scan_by_key_implILNS1_25lookback_scan_determinismE0ELb0ES3_N6thrust23THRUST_200600_302600_NS6detail15normal_iteratorINSB_10device_ptrIjEEEENSD_INSE_IS6_EEEESI_S6_NSB_4plusIvEENSB_8equal_toIvEES6_EE10hipError_tPvRmT2_T3_T4_T5_mT6_T7_P12ihipStream_tbENKUlT_T0_E_clISt17integral_constantIbLb1EES12_IbLb0EEEEDaSY_SZ_EUlSY_E_NS1_11comp_targetILNS1_3genE9ELNS1_11target_archE1100ELNS1_3gpuE3ELNS1_3repE0EEENS1_30default_config_static_selectorELNS0_4arch9wavefront6targetE1EEEvT1_
                                        ; -- End function
	.section	.AMDGPU.csdata,"",@progbits
; Kernel info:
; codeLenInByte = 0
; NumSgprs: 6
; NumVgprs: 0
; NumAgprs: 0
; TotalNumVgprs: 0
; ScratchSize: 0
; MemoryBound: 0
; FloatMode: 240
; IeeeMode: 1
; LDSByteSize: 0 bytes/workgroup (compile time only)
; SGPRBlocks: 0
; VGPRBlocks: 0
; NumSGPRsForWavesPerEU: 6
; NumVGPRsForWavesPerEU: 1
; AccumOffset: 4
; Occupancy: 8
; WaveLimiterHint : 0
; COMPUTE_PGM_RSRC2:SCRATCH_EN: 0
; COMPUTE_PGM_RSRC2:USER_SGPR: 2
; COMPUTE_PGM_RSRC2:TRAP_HANDLER: 0
; COMPUTE_PGM_RSRC2:TGID_X_EN: 1
; COMPUTE_PGM_RSRC2:TGID_Y_EN: 0
; COMPUTE_PGM_RSRC2:TGID_Z_EN: 0
; COMPUTE_PGM_RSRC2:TIDIG_COMP_CNT: 0
; COMPUTE_PGM_RSRC3_GFX90A:ACCUM_OFFSET: 0
; COMPUTE_PGM_RSRC3_GFX90A:TG_SPLIT: 0
	.section	.text._ZN7rocprim17ROCPRIM_400000_NS6detail17trampoline_kernelINS0_14default_configENS1_27scan_by_key_config_selectorIj11FixedVectorIiLj8EEEEZZNS1_16scan_by_key_implILNS1_25lookback_scan_determinismE0ELb0ES3_N6thrust23THRUST_200600_302600_NS6detail15normal_iteratorINSB_10device_ptrIjEEEENSD_INSE_IS6_EEEESI_S6_NSB_4plusIvEENSB_8equal_toIvEES6_EE10hipError_tPvRmT2_T3_T4_T5_mT6_T7_P12ihipStream_tbENKUlT_T0_E_clISt17integral_constantIbLb1EES12_IbLb0EEEEDaSY_SZ_EUlSY_E_NS1_11comp_targetILNS1_3genE8ELNS1_11target_archE1030ELNS1_3gpuE2ELNS1_3repE0EEENS1_30default_config_static_selectorELNS0_4arch9wavefront6targetE1EEEvT1_,"axG",@progbits,_ZN7rocprim17ROCPRIM_400000_NS6detail17trampoline_kernelINS0_14default_configENS1_27scan_by_key_config_selectorIj11FixedVectorIiLj8EEEEZZNS1_16scan_by_key_implILNS1_25lookback_scan_determinismE0ELb0ES3_N6thrust23THRUST_200600_302600_NS6detail15normal_iteratorINSB_10device_ptrIjEEEENSD_INSE_IS6_EEEESI_S6_NSB_4plusIvEENSB_8equal_toIvEES6_EE10hipError_tPvRmT2_T3_T4_T5_mT6_T7_P12ihipStream_tbENKUlT_T0_E_clISt17integral_constantIbLb1EES12_IbLb0EEEEDaSY_SZ_EUlSY_E_NS1_11comp_targetILNS1_3genE8ELNS1_11target_archE1030ELNS1_3gpuE2ELNS1_3repE0EEENS1_30default_config_static_selectorELNS0_4arch9wavefront6targetE1EEEvT1_,comdat
	.protected	_ZN7rocprim17ROCPRIM_400000_NS6detail17trampoline_kernelINS0_14default_configENS1_27scan_by_key_config_selectorIj11FixedVectorIiLj8EEEEZZNS1_16scan_by_key_implILNS1_25lookback_scan_determinismE0ELb0ES3_N6thrust23THRUST_200600_302600_NS6detail15normal_iteratorINSB_10device_ptrIjEEEENSD_INSE_IS6_EEEESI_S6_NSB_4plusIvEENSB_8equal_toIvEES6_EE10hipError_tPvRmT2_T3_T4_T5_mT6_T7_P12ihipStream_tbENKUlT_T0_E_clISt17integral_constantIbLb1EES12_IbLb0EEEEDaSY_SZ_EUlSY_E_NS1_11comp_targetILNS1_3genE8ELNS1_11target_archE1030ELNS1_3gpuE2ELNS1_3repE0EEENS1_30default_config_static_selectorELNS0_4arch9wavefront6targetE1EEEvT1_ ; -- Begin function _ZN7rocprim17ROCPRIM_400000_NS6detail17trampoline_kernelINS0_14default_configENS1_27scan_by_key_config_selectorIj11FixedVectorIiLj8EEEEZZNS1_16scan_by_key_implILNS1_25lookback_scan_determinismE0ELb0ES3_N6thrust23THRUST_200600_302600_NS6detail15normal_iteratorINSB_10device_ptrIjEEEENSD_INSE_IS6_EEEESI_S6_NSB_4plusIvEENSB_8equal_toIvEES6_EE10hipError_tPvRmT2_T3_T4_T5_mT6_T7_P12ihipStream_tbENKUlT_T0_E_clISt17integral_constantIbLb1EES12_IbLb0EEEEDaSY_SZ_EUlSY_E_NS1_11comp_targetILNS1_3genE8ELNS1_11target_archE1030ELNS1_3gpuE2ELNS1_3repE0EEENS1_30default_config_static_selectorELNS0_4arch9wavefront6targetE1EEEvT1_
	.globl	_ZN7rocprim17ROCPRIM_400000_NS6detail17trampoline_kernelINS0_14default_configENS1_27scan_by_key_config_selectorIj11FixedVectorIiLj8EEEEZZNS1_16scan_by_key_implILNS1_25lookback_scan_determinismE0ELb0ES3_N6thrust23THRUST_200600_302600_NS6detail15normal_iteratorINSB_10device_ptrIjEEEENSD_INSE_IS6_EEEESI_S6_NSB_4plusIvEENSB_8equal_toIvEES6_EE10hipError_tPvRmT2_T3_T4_T5_mT6_T7_P12ihipStream_tbENKUlT_T0_E_clISt17integral_constantIbLb1EES12_IbLb0EEEEDaSY_SZ_EUlSY_E_NS1_11comp_targetILNS1_3genE8ELNS1_11target_archE1030ELNS1_3gpuE2ELNS1_3repE0EEENS1_30default_config_static_selectorELNS0_4arch9wavefront6targetE1EEEvT1_
	.p2align	8
	.type	_ZN7rocprim17ROCPRIM_400000_NS6detail17trampoline_kernelINS0_14default_configENS1_27scan_by_key_config_selectorIj11FixedVectorIiLj8EEEEZZNS1_16scan_by_key_implILNS1_25lookback_scan_determinismE0ELb0ES3_N6thrust23THRUST_200600_302600_NS6detail15normal_iteratorINSB_10device_ptrIjEEEENSD_INSE_IS6_EEEESI_S6_NSB_4plusIvEENSB_8equal_toIvEES6_EE10hipError_tPvRmT2_T3_T4_T5_mT6_T7_P12ihipStream_tbENKUlT_T0_E_clISt17integral_constantIbLb1EES12_IbLb0EEEEDaSY_SZ_EUlSY_E_NS1_11comp_targetILNS1_3genE8ELNS1_11target_archE1030ELNS1_3gpuE2ELNS1_3repE0EEENS1_30default_config_static_selectorELNS0_4arch9wavefront6targetE1EEEvT1_,@function
_ZN7rocprim17ROCPRIM_400000_NS6detail17trampoline_kernelINS0_14default_configENS1_27scan_by_key_config_selectorIj11FixedVectorIiLj8EEEEZZNS1_16scan_by_key_implILNS1_25lookback_scan_determinismE0ELb0ES3_N6thrust23THRUST_200600_302600_NS6detail15normal_iteratorINSB_10device_ptrIjEEEENSD_INSE_IS6_EEEESI_S6_NSB_4plusIvEENSB_8equal_toIvEES6_EE10hipError_tPvRmT2_T3_T4_T5_mT6_T7_P12ihipStream_tbENKUlT_T0_E_clISt17integral_constantIbLb1EES12_IbLb0EEEEDaSY_SZ_EUlSY_E_NS1_11comp_targetILNS1_3genE8ELNS1_11target_archE1030ELNS1_3gpuE2ELNS1_3repE0EEENS1_30default_config_static_selectorELNS0_4arch9wavefront6targetE1EEEvT1_: ; @_ZN7rocprim17ROCPRIM_400000_NS6detail17trampoline_kernelINS0_14default_configENS1_27scan_by_key_config_selectorIj11FixedVectorIiLj8EEEEZZNS1_16scan_by_key_implILNS1_25lookback_scan_determinismE0ELb0ES3_N6thrust23THRUST_200600_302600_NS6detail15normal_iteratorINSB_10device_ptrIjEEEENSD_INSE_IS6_EEEESI_S6_NSB_4plusIvEENSB_8equal_toIvEES6_EE10hipError_tPvRmT2_T3_T4_T5_mT6_T7_P12ihipStream_tbENKUlT_T0_E_clISt17integral_constantIbLb1EES12_IbLb0EEEEDaSY_SZ_EUlSY_E_NS1_11comp_targetILNS1_3genE8ELNS1_11target_archE1030ELNS1_3gpuE2ELNS1_3repE0EEENS1_30default_config_static_selectorELNS0_4arch9wavefront6targetE1EEEvT1_
; %bb.0:
	.section	.rodata,"a",@progbits
	.p2align	6, 0x0
	.amdhsa_kernel _ZN7rocprim17ROCPRIM_400000_NS6detail17trampoline_kernelINS0_14default_configENS1_27scan_by_key_config_selectorIj11FixedVectorIiLj8EEEEZZNS1_16scan_by_key_implILNS1_25lookback_scan_determinismE0ELb0ES3_N6thrust23THRUST_200600_302600_NS6detail15normal_iteratorINSB_10device_ptrIjEEEENSD_INSE_IS6_EEEESI_S6_NSB_4plusIvEENSB_8equal_toIvEES6_EE10hipError_tPvRmT2_T3_T4_T5_mT6_T7_P12ihipStream_tbENKUlT_T0_E_clISt17integral_constantIbLb1EES12_IbLb0EEEEDaSY_SZ_EUlSY_E_NS1_11comp_targetILNS1_3genE8ELNS1_11target_archE1030ELNS1_3gpuE2ELNS1_3repE0EEENS1_30default_config_static_selectorELNS0_4arch9wavefront6targetE1EEEvT1_
		.amdhsa_group_segment_fixed_size 0
		.amdhsa_private_segment_fixed_size 0
		.amdhsa_kernarg_size 160
		.amdhsa_user_sgpr_count 2
		.amdhsa_user_sgpr_dispatch_ptr 0
		.amdhsa_user_sgpr_queue_ptr 0
		.amdhsa_user_sgpr_kernarg_segment_ptr 1
		.amdhsa_user_sgpr_dispatch_id 0
		.amdhsa_user_sgpr_kernarg_preload_length 0
		.amdhsa_user_sgpr_kernarg_preload_offset 0
		.amdhsa_user_sgpr_private_segment_size 0
		.amdhsa_uses_dynamic_stack 0
		.amdhsa_enable_private_segment 0
		.amdhsa_system_sgpr_workgroup_id_x 1
		.amdhsa_system_sgpr_workgroup_id_y 0
		.amdhsa_system_sgpr_workgroup_id_z 0
		.amdhsa_system_sgpr_workgroup_info 0
		.amdhsa_system_vgpr_workitem_id 0
		.amdhsa_next_free_vgpr 1
		.amdhsa_next_free_sgpr 0
		.amdhsa_accum_offset 4
		.amdhsa_reserve_vcc 0
		.amdhsa_float_round_mode_32 0
		.amdhsa_float_round_mode_16_64 0
		.amdhsa_float_denorm_mode_32 3
		.amdhsa_float_denorm_mode_16_64 3
		.amdhsa_dx10_clamp 1
		.amdhsa_ieee_mode 1
		.amdhsa_fp16_overflow 0
		.amdhsa_tg_split 0
		.amdhsa_exception_fp_ieee_invalid_op 0
		.amdhsa_exception_fp_denorm_src 0
		.amdhsa_exception_fp_ieee_div_zero 0
		.amdhsa_exception_fp_ieee_overflow 0
		.amdhsa_exception_fp_ieee_underflow 0
		.amdhsa_exception_fp_ieee_inexact 0
		.amdhsa_exception_int_div_zero 0
	.end_amdhsa_kernel
	.section	.text._ZN7rocprim17ROCPRIM_400000_NS6detail17trampoline_kernelINS0_14default_configENS1_27scan_by_key_config_selectorIj11FixedVectorIiLj8EEEEZZNS1_16scan_by_key_implILNS1_25lookback_scan_determinismE0ELb0ES3_N6thrust23THRUST_200600_302600_NS6detail15normal_iteratorINSB_10device_ptrIjEEEENSD_INSE_IS6_EEEESI_S6_NSB_4plusIvEENSB_8equal_toIvEES6_EE10hipError_tPvRmT2_T3_T4_T5_mT6_T7_P12ihipStream_tbENKUlT_T0_E_clISt17integral_constantIbLb1EES12_IbLb0EEEEDaSY_SZ_EUlSY_E_NS1_11comp_targetILNS1_3genE8ELNS1_11target_archE1030ELNS1_3gpuE2ELNS1_3repE0EEENS1_30default_config_static_selectorELNS0_4arch9wavefront6targetE1EEEvT1_,"axG",@progbits,_ZN7rocprim17ROCPRIM_400000_NS6detail17trampoline_kernelINS0_14default_configENS1_27scan_by_key_config_selectorIj11FixedVectorIiLj8EEEEZZNS1_16scan_by_key_implILNS1_25lookback_scan_determinismE0ELb0ES3_N6thrust23THRUST_200600_302600_NS6detail15normal_iteratorINSB_10device_ptrIjEEEENSD_INSE_IS6_EEEESI_S6_NSB_4plusIvEENSB_8equal_toIvEES6_EE10hipError_tPvRmT2_T3_T4_T5_mT6_T7_P12ihipStream_tbENKUlT_T0_E_clISt17integral_constantIbLb1EES12_IbLb0EEEEDaSY_SZ_EUlSY_E_NS1_11comp_targetILNS1_3genE8ELNS1_11target_archE1030ELNS1_3gpuE2ELNS1_3repE0EEENS1_30default_config_static_selectorELNS0_4arch9wavefront6targetE1EEEvT1_,comdat
.Lfunc_end2146:
	.size	_ZN7rocprim17ROCPRIM_400000_NS6detail17trampoline_kernelINS0_14default_configENS1_27scan_by_key_config_selectorIj11FixedVectorIiLj8EEEEZZNS1_16scan_by_key_implILNS1_25lookback_scan_determinismE0ELb0ES3_N6thrust23THRUST_200600_302600_NS6detail15normal_iteratorINSB_10device_ptrIjEEEENSD_INSE_IS6_EEEESI_S6_NSB_4plusIvEENSB_8equal_toIvEES6_EE10hipError_tPvRmT2_T3_T4_T5_mT6_T7_P12ihipStream_tbENKUlT_T0_E_clISt17integral_constantIbLb1EES12_IbLb0EEEEDaSY_SZ_EUlSY_E_NS1_11comp_targetILNS1_3genE8ELNS1_11target_archE1030ELNS1_3gpuE2ELNS1_3repE0EEENS1_30default_config_static_selectorELNS0_4arch9wavefront6targetE1EEEvT1_, .Lfunc_end2146-_ZN7rocprim17ROCPRIM_400000_NS6detail17trampoline_kernelINS0_14default_configENS1_27scan_by_key_config_selectorIj11FixedVectorIiLj8EEEEZZNS1_16scan_by_key_implILNS1_25lookback_scan_determinismE0ELb0ES3_N6thrust23THRUST_200600_302600_NS6detail15normal_iteratorINSB_10device_ptrIjEEEENSD_INSE_IS6_EEEESI_S6_NSB_4plusIvEENSB_8equal_toIvEES6_EE10hipError_tPvRmT2_T3_T4_T5_mT6_T7_P12ihipStream_tbENKUlT_T0_E_clISt17integral_constantIbLb1EES12_IbLb0EEEEDaSY_SZ_EUlSY_E_NS1_11comp_targetILNS1_3genE8ELNS1_11target_archE1030ELNS1_3gpuE2ELNS1_3repE0EEENS1_30default_config_static_selectorELNS0_4arch9wavefront6targetE1EEEvT1_
                                        ; -- End function
	.section	.AMDGPU.csdata,"",@progbits
; Kernel info:
; codeLenInByte = 0
; NumSgprs: 6
; NumVgprs: 0
; NumAgprs: 0
; TotalNumVgprs: 0
; ScratchSize: 0
; MemoryBound: 0
; FloatMode: 240
; IeeeMode: 1
; LDSByteSize: 0 bytes/workgroup (compile time only)
; SGPRBlocks: 0
; VGPRBlocks: 0
; NumSGPRsForWavesPerEU: 6
; NumVGPRsForWavesPerEU: 1
; AccumOffset: 4
; Occupancy: 8
; WaveLimiterHint : 0
; COMPUTE_PGM_RSRC2:SCRATCH_EN: 0
; COMPUTE_PGM_RSRC2:USER_SGPR: 2
; COMPUTE_PGM_RSRC2:TRAP_HANDLER: 0
; COMPUTE_PGM_RSRC2:TGID_X_EN: 1
; COMPUTE_PGM_RSRC2:TGID_Y_EN: 0
; COMPUTE_PGM_RSRC2:TGID_Z_EN: 0
; COMPUTE_PGM_RSRC2:TIDIG_COMP_CNT: 0
; COMPUTE_PGM_RSRC3_GFX90A:ACCUM_OFFSET: 0
; COMPUTE_PGM_RSRC3_GFX90A:TG_SPLIT: 0
	.section	.text._ZN7rocprim17ROCPRIM_400000_NS6detail30init_device_scan_by_key_kernelINS1_19lookback_scan_stateINS0_5tupleIJ11FixedVectorIiLj8EEbEEELb0ELb0EEEN6thrust23THRUST_200600_302600_NS6detail15normal_iteratorINSA_10device_ptrIjEEEEjNS1_16block_id_wrapperIjLb1EEEEEvT_jjPNSI_10value_typeET0_PNSt15iterator_traitsISL_E10value_typeEmT1_T2_,"axG",@progbits,_ZN7rocprim17ROCPRIM_400000_NS6detail30init_device_scan_by_key_kernelINS1_19lookback_scan_stateINS0_5tupleIJ11FixedVectorIiLj8EEbEEELb0ELb0EEEN6thrust23THRUST_200600_302600_NS6detail15normal_iteratorINSA_10device_ptrIjEEEEjNS1_16block_id_wrapperIjLb1EEEEEvT_jjPNSI_10value_typeET0_PNSt15iterator_traitsISL_E10value_typeEmT1_T2_,comdat
	.protected	_ZN7rocprim17ROCPRIM_400000_NS6detail30init_device_scan_by_key_kernelINS1_19lookback_scan_stateINS0_5tupleIJ11FixedVectorIiLj8EEbEEELb0ELb0EEEN6thrust23THRUST_200600_302600_NS6detail15normal_iteratorINSA_10device_ptrIjEEEEjNS1_16block_id_wrapperIjLb1EEEEEvT_jjPNSI_10value_typeET0_PNSt15iterator_traitsISL_E10value_typeEmT1_T2_ ; -- Begin function _ZN7rocprim17ROCPRIM_400000_NS6detail30init_device_scan_by_key_kernelINS1_19lookback_scan_stateINS0_5tupleIJ11FixedVectorIiLj8EEbEEELb0ELb0EEEN6thrust23THRUST_200600_302600_NS6detail15normal_iteratorINSA_10device_ptrIjEEEEjNS1_16block_id_wrapperIjLb1EEEEEvT_jjPNSI_10value_typeET0_PNSt15iterator_traitsISL_E10value_typeEmT1_T2_
	.globl	_ZN7rocprim17ROCPRIM_400000_NS6detail30init_device_scan_by_key_kernelINS1_19lookback_scan_stateINS0_5tupleIJ11FixedVectorIiLj8EEbEEELb0ELb0EEEN6thrust23THRUST_200600_302600_NS6detail15normal_iteratorINSA_10device_ptrIjEEEEjNS1_16block_id_wrapperIjLb1EEEEEvT_jjPNSI_10value_typeET0_PNSt15iterator_traitsISL_E10value_typeEmT1_T2_
	.p2align	8
	.type	_ZN7rocprim17ROCPRIM_400000_NS6detail30init_device_scan_by_key_kernelINS1_19lookback_scan_stateINS0_5tupleIJ11FixedVectorIiLj8EEbEEELb0ELb0EEEN6thrust23THRUST_200600_302600_NS6detail15normal_iteratorINSA_10device_ptrIjEEEEjNS1_16block_id_wrapperIjLb1EEEEEvT_jjPNSI_10value_typeET0_PNSt15iterator_traitsISL_E10value_typeEmT1_T2_,@function
_ZN7rocprim17ROCPRIM_400000_NS6detail30init_device_scan_by_key_kernelINS1_19lookback_scan_stateINS0_5tupleIJ11FixedVectorIiLj8EEbEEELb0ELb0EEEN6thrust23THRUST_200600_302600_NS6detail15normal_iteratorINSA_10device_ptrIjEEEEjNS1_16block_id_wrapperIjLb1EEEEEvT_jjPNSI_10value_typeET0_PNSt15iterator_traitsISL_E10value_typeEmT1_T2_: ; @_ZN7rocprim17ROCPRIM_400000_NS6detail30init_device_scan_by_key_kernelINS1_19lookback_scan_stateINS0_5tupleIJ11FixedVectorIiLj8EEbEEELb0ELb0EEEN6thrust23THRUST_200600_302600_NS6detail15normal_iteratorINSA_10device_ptrIjEEEEjNS1_16block_id_wrapperIjLb1EEEEEvT_jjPNSI_10value_typeET0_PNSt15iterator_traitsISL_E10value_typeEmT1_T2_
; %bb.0:
	s_load_dword s3, s[0:1], 0x5c
	s_load_dwordx8 s[4:11], s[0:1], 0x10
	s_load_dword s18, s[0:1], 0x50
	s_waitcnt lgkmcnt(0)
	s_and_b32 s19, s3, 0xffff
	s_mul_i32 s2, s2, s19
	s_cmp_eq_u64 s[8:9], 0
	v_add_u32_e32 v0, s2, v0
	s_cbranch_scc1 .LBB2147_7
; %bb.1:
	s_cmp_lt_u32 s7, s6
	s_cselect_b32 s2, s7, 0
	v_cmp_eq_u32_e32 vcc, s2, v0
	s_and_saveexec_b64 s[2:3], vcc
	s_cbranch_execz .LBB2147_6
; %bb.2:
	s_add_i32 s7, s7, 64
	v_mov_b32_e32 v1, s7
	global_load_ubyte v1, v1, s[4:5] sc1
	s_load_dwordx4 s[12:15], s[0:1], 0x0
	s_add_u32 s16, s4, s7
	s_addc_u32 s17, s5, 0
	s_waitcnt vmcnt(0)
	v_cmp_ne_u16_e32 vcc, 0, v1
	v_readfirstlane_b32 s20, v1
	s_cbranch_vccnz .LBB2147_5
; %bb.3:
	v_mov_b32_e32 v1, 0
.LBB2147_4:                             ; =>This Inner Loop Header: Depth=1
	global_load_ubyte v2, v1, s[16:17] sc1
	s_waitcnt vmcnt(0)
	v_cmp_eq_u16_e32 vcc, 0, v2
	v_readfirstlane_b32 s20, v2
	s_cbranch_vccnz .LBB2147_4
.LBB2147_5:
	s_and_b32 s16, 0xffff, s20
	s_cmp_eq_u32 s16, 1
	s_waitcnt lgkmcnt(0)
	s_cselect_b32 s12, s12, s14
	s_mul_hi_u32 s14, s7, 36
	s_mul_i32 s7, s7, 36
	s_cselect_b32 s13, s13, s15
	s_add_u32 s12, s12, s7
	s_addc_u32 s13, s13, s14
	v_mov_b32_e32 v1, 0
	s_waitcnt vmcnt(0)
	global_load_dword v2, v1, s[12:13] sc1
	global_load_dword v3, v1, s[12:13] offset:4 sc1
	global_load_dword v4, v1, s[12:13] offset:8 sc1
	global_load_dword v5, v1, s[12:13] offset:12 sc1
	global_load_dword v6, v1, s[12:13] offset:16 sc1
	global_load_dword v7, v1, s[12:13] offset:20 sc1
	global_load_dword v8, v1, s[12:13] offset:24 sc1
	global_load_dword v9, v1, s[12:13] offset:28 sc1
	global_load_dword v10, v1, s[12:13] offset:32 sc1
	s_waitcnt vmcnt(5)
	global_store_dwordx4 v1, v[2:5], s[8:9]
	s_waitcnt vmcnt(2)
	global_store_dwordx4 v1, v[6:9], s[8:9] offset:16
	s_waitcnt vmcnt(2)
	global_store_byte v1, v10, s[8:9] offset:32
.LBB2147_6:
	s_or_b64 exec, exec, s[2:3]
.LBB2147_7:
	v_cmp_eq_u32_e32 vcc, 0, v0
	s_and_saveexec_b64 s[2:3], vcc
	s_cbranch_execz .LBB2147_9
; %bb.8:
	s_load_dwordx2 s[8:9], s[0:1], 0x48
	v_mov_b32_e32 v1, 0
	s_waitcnt lgkmcnt(0)
	global_store_dword v1, v1, s[8:9]
.LBB2147_9:
	s_or_b64 exec, exec, s[2:3]
	v_cmp_gt_u32_e32 vcc, s6, v0
	s_and_saveexec_b64 s[2:3], vcc
	s_cbranch_execz .LBB2147_11
; %bb.10:
	v_add_u32_e32 v1, 64, v0
	v_mov_b32_e32 v2, 0
	global_store_byte v1, v2, s[4:5]
.LBB2147_11:
	s_or_b64 exec, exec, s[2:3]
	v_cmp_gt_u32_e32 vcc, 64, v0
	v_mov_b32_e32 v1, 0
	s_and_saveexec_b64 s[2:3], vcc
	s_cbranch_execz .LBB2147_13
; %bb.12:
	v_lshl_add_u64 v[2:3], s[4:5], 0, v[0:1]
	v_mov_b32_e32 v4, 0xff
	global_store_byte v[2:3], v4, off
.LBB2147_13:
	s_or_b64 exec, exec, s[2:3]
	s_load_dwordx2 s[2:3], s[0:1], 0x38
	s_waitcnt lgkmcnt(0)
	v_cmp_gt_u64_e32 vcc, s[2:3], v[0:1]
	s_and_saveexec_b64 s[4:5], vcc
	s_cbranch_execz .LBB2147_16
; %bb.14:
	s_load_dword s12, s[0:1], 0x40
	s_load_dwordx2 s[6:7], s[0:1], 0x30
	s_mov_b32 s5, 0
	s_mov_b32 s1, s5
	s_mul_i32 s0, s18, s19
	s_waitcnt lgkmcnt(0)
	s_add_i32 s4, s12, -1
	s_lshl_b64 s[4:5], s[4:5], 2
	s_add_u32 s4, s10, s4
	v_mad_u64_u32 v[2:3], s[8:9], s12, v0, 0
	s_addc_u32 s5, s11, s5
	v_lshl_add_u64 v[2:3], v[2:3], 2, s[4:5]
	s_mul_hi_u32 s5, s12, s0
	s_mul_i32 s4, s12, s0
	s_lshl_b64 s[4:5], s[4:5], 2
	v_lshl_add_u64 v[4:5], v[0:1], 2, s[6:7]
	s_lshl_b64 s[6:7], s[0:1], 2
	s_mov_b64 s[8:9], 0
.LBB2147_15:                            ; =>This Inner Loop Header: Depth=1
	global_load_dword v6, v[2:3], off
	v_lshl_add_u64 v[0:1], v[0:1], 0, s[0:1]
	v_cmp_le_u64_e32 vcc, s[2:3], v[0:1]
	v_lshl_add_u64 v[2:3], v[2:3], 0, s[4:5]
	s_or_b64 s[8:9], vcc, s[8:9]
	s_waitcnt vmcnt(0)
	global_store_dword v[4:5], v6, off
	v_lshl_add_u64 v[4:5], v[4:5], 0, s[6:7]
	s_andn2_b64 exec, exec, s[8:9]
	s_cbranch_execnz .LBB2147_15
.LBB2147_16:
	s_endpgm
	.section	.rodata,"a",@progbits
	.p2align	6, 0x0
	.amdhsa_kernel _ZN7rocprim17ROCPRIM_400000_NS6detail30init_device_scan_by_key_kernelINS1_19lookback_scan_stateINS0_5tupleIJ11FixedVectorIiLj8EEbEEELb0ELb0EEEN6thrust23THRUST_200600_302600_NS6detail15normal_iteratorINSA_10device_ptrIjEEEEjNS1_16block_id_wrapperIjLb1EEEEEvT_jjPNSI_10value_typeET0_PNSt15iterator_traitsISL_E10value_typeEmT1_T2_
		.amdhsa_group_segment_fixed_size 0
		.amdhsa_private_segment_fixed_size 0
		.amdhsa_kernarg_size 336
		.amdhsa_user_sgpr_count 2
		.amdhsa_user_sgpr_dispatch_ptr 0
		.amdhsa_user_sgpr_queue_ptr 0
		.amdhsa_user_sgpr_kernarg_segment_ptr 1
		.amdhsa_user_sgpr_dispatch_id 0
		.amdhsa_user_sgpr_kernarg_preload_length 0
		.amdhsa_user_sgpr_kernarg_preload_offset 0
		.amdhsa_user_sgpr_private_segment_size 0
		.amdhsa_uses_dynamic_stack 0
		.amdhsa_enable_private_segment 0
		.amdhsa_system_sgpr_workgroup_id_x 1
		.amdhsa_system_sgpr_workgroup_id_y 0
		.amdhsa_system_sgpr_workgroup_id_z 0
		.amdhsa_system_sgpr_workgroup_info 0
		.amdhsa_system_vgpr_workitem_id 0
		.amdhsa_next_free_vgpr 11
		.amdhsa_next_free_sgpr 21
		.amdhsa_accum_offset 12
		.amdhsa_reserve_vcc 1
		.amdhsa_float_round_mode_32 0
		.amdhsa_float_round_mode_16_64 0
		.amdhsa_float_denorm_mode_32 3
		.amdhsa_float_denorm_mode_16_64 3
		.amdhsa_dx10_clamp 1
		.amdhsa_ieee_mode 1
		.amdhsa_fp16_overflow 0
		.amdhsa_tg_split 0
		.amdhsa_exception_fp_ieee_invalid_op 0
		.amdhsa_exception_fp_denorm_src 0
		.amdhsa_exception_fp_ieee_div_zero 0
		.amdhsa_exception_fp_ieee_overflow 0
		.amdhsa_exception_fp_ieee_underflow 0
		.amdhsa_exception_fp_ieee_inexact 0
		.amdhsa_exception_int_div_zero 0
	.end_amdhsa_kernel
	.section	.text._ZN7rocprim17ROCPRIM_400000_NS6detail30init_device_scan_by_key_kernelINS1_19lookback_scan_stateINS0_5tupleIJ11FixedVectorIiLj8EEbEEELb0ELb0EEEN6thrust23THRUST_200600_302600_NS6detail15normal_iteratorINSA_10device_ptrIjEEEEjNS1_16block_id_wrapperIjLb1EEEEEvT_jjPNSI_10value_typeET0_PNSt15iterator_traitsISL_E10value_typeEmT1_T2_,"axG",@progbits,_ZN7rocprim17ROCPRIM_400000_NS6detail30init_device_scan_by_key_kernelINS1_19lookback_scan_stateINS0_5tupleIJ11FixedVectorIiLj8EEbEEELb0ELb0EEEN6thrust23THRUST_200600_302600_NS6detail15normal_iteratorINSA_10device_ptrIjEEEEjNS1_16block_id_wrapperIjLb1EEEEEvT_jjPNSI_10value_typeET0_PNSt15iterator_traitsISL_E10value_typeEmT1_T2_,comdat
.Lfunc_end2147:
	.size	_ZN7rocprim17ROCPRIM_400000_NS6detail30init_device_scan_by_key_kernelINS1_19lookback_scan_stateINS0_5tupleIJ11FixedVectorIiLj8EEbEEELb0ELb0EEEN6thrust23THRUST_200600_302600_NS6detail15normal_iteratorINSA_10device_ptrIjEEEEjNS1_16block_id_wrapperIjLb1EEEEEvT_jjPNSI_10value_typeET0_PNSt15iterator_traitsISL_E10value_typeEmT1_T2_, .Lfunc_end2147-_ZN7rocprim17ROCPRIM_400000_NS6detail30init_device_scan_by_key_kernelINS1_19lookback_scan_stateINS0_5tupleIJ11FixedVectorIiLj8EEbEEELb0ELb0EEEN6thrust23THRUST_200600_302600_NS6detail15normal_iteratorINSA_10device_ptrIjEEEEjNS1_16block_id_wrapperIjLb1EEEEEvT_jjPNSI_10value_typeET0_PNSt15iterator_traitsISL_E10value_typeEmT1_T2_
                                        ; -- End function
	.section	.AMDGPU.csdata,"",@progbits
; Kernel info:
; codeLenInByte = 604
; NumSgprs: 27
; NumVgprs: 11
; NumAgprs: 0
; TotalNumVgprs: 11
; ScratchSize: 0
; MemoryBound: 0
; FloatMode: 240
; IeeeMode: 1
; LDSByteSize: 0 bytes/workgroup (compile time only)
; SGPRBlocks: 3
; VGPRBlocks: 1
; NumSGPRsForWavesPerEU: 27
; NumVGPRsForWavesPerEU: 11
; AccumOffset: 12
; Occupancy: 8
; WaveLimiterHint : 0
; COMPUTE_PGM_RSRC2:SCRATCH_EN: 0
; COMPUTE_PGM_RSRC2:USER_SGPR: 2
; COMPUTE_PGM_RSRC2:TRAP_HANDLER: 0
; COMPUTE_PGM_RSRC2:TGID_X_EN: 1
; COMPUTE_PGM_RSRC2:TGID_Y_EN: 0
; COMPUTE_PGM_RSRC2:TGID_Z_EN: 0
; COMPUTE_PGM_RSRC2:TIDIG_COMP_CNT: 0
; COMPUTE_PGM_RSRC3_GFX90A:ACCUM_OFFSET: 2
; COMPUTE_PGM_RSRC3_GFX90A:TG_SPLIT: 0
	.section	.text._ZN7rocprim17ROCPRIM_400000_NS6detail30init_device_scan_by_key_kernelINS1_19lookback_scan_stateINS0_5tupleIJ11FixedVectorIiLj8EEbEEELb0ELb0EEENS1_16block_id_wrapperIjLb1EEEEEvT_jjPNSB_10value_typeET0_,"axG",@progbits,_ZN7rocprim17ROCPRIM_400000_NS6detail30init_device_scan_by_key_kernelINS1_19lookback_scan_stateINS0_5tupleIJ11FixedVectorIiLj8EEbEEELb0ELb0EEENS1_16block_id_wrapperIjLb1EEEEEvT_jjPNSB_10value_typeET0_,comdat
	.protected	_ZN7rocprim17ROCPRIM_400000_NS6detail30init_device_scan_by_key_kernelINS1_19lookback_scan_stateINS0_5tupleIJ11FixedVectorIiLj8EEbEEELb0ELb0EEENS1_16block_id_wrapperIjLb1EEEEEvT_jjPNSB_10value_typeET0_ ; -- Begin function _ZN7rocprim17ROCPRIM_400000_NS6detail30init_device_scan_by_key_kernelINS1_19lookback_scan_stateINS0_5tupleIJ11FixedVectorIiLj8EEbEEELb0ELb0EEENS1_16block_id_wrapperIjLb1EEEEEvT_jjPNSB_10value_typeET0_
	.globl	_ZN7rocprim17ROCPRIM_400000_NS6detail30init_device_scan_by_key_kernelINS1_19lookback_scan_stateINS0_5tupleIJ11FixedVectorIiLj8EEbEEELb0ELb0EEENS1_16block_id_wrapperIjLb1EEEEEvT_jjPNSB_10value_typeET0_
	.p2align	8
	.type	_ZN7rocprim17ROCPRIM_400000_NS6detail30init_device_scan_by_key_kernelINS1_19lookback_scan_stateINS0_5tupleIJ11FixedVectorIiLj8EEbEEELb0ELb0EEENS1_16block_id_wrapperIjLb1EEEEEvT_jjPNSB_10value_typeET0_,@function
_ZN7rocprim17ROCPRIM_400000_NS6detail30init_device_scan_by_key_kernelINS1_19lookback_scan_stateINS0_5tupleIJ11FixedVectorIiLj8EEbEEELb0ELb0EEENS1_16block_id_wrapperIjLb1EEEEEvT_jjPNSB_10value_typeET0_: ; @_ZN7rocprim17ROCPRIM_400000_NS6detail30init_device_scan_by_key_kernelINS1_19lookback_scan_stateINS0_5tupleIJ11FixedVectorIiLj8EEbEEELb0ELb0EEENS1_16block_id_wrapperIjLb1EEEEEvT_jjPNSB_10value_typeET0_
; %bb.0:
	s_load_dword s3, s[0:1], 0x3c
	s_load_dwordx8 s[4:11], s[0:1], 0x10
	s_waitcnt lgkmcnt(0)
	s_and_b32 s3, s3, 0xffff
	s_mul_i32 s2, s2, s3
	s_cmp_eq_u64 s[8:9], 0
	v_add_u32_e32 v0, s2, v0
	s_cbranch_scc1 .LBB2148_7
; %bb.1:
	s_cmp_lt_u32 s7, s6
	s_cselect_b32 s2, s7, 0
	v_cmp_eq_u32_e32 vcc, s2, v0
	s_and_saveexec_b64 s[12:13], vcc
	s_cbranch_execz .LBB2148_6
; %bb.2:
	s_add_i32 s7, s7, 64
	v_mov_b32_e32 v1, s7
	global_load_ubyte v1, v1, s[4:5] sc1
	s_load_dwordx4 s[0:3], s[0:1], 0x0
	s_add_u32 s14, s4, s7
	s_addc_u32 s15, s5, 0
	s_waitcnt vmcnt(0)
	v_cmp_ne_u16_e32 vcc, 0, v1
	v_readfirstlane_b32 s16, v1
	s_cbranch_vccnz .LBB2148_5
; %bb.3:
	v_mov_b32_e32 v1, 0
.LBB2148_4:                             ; =>This Inner Loop Header: Depth=1
	global_load_ubyte v2, v1, s[14:15] sc1
	s_waitcnt vmcnt(0)
	v_cmp_eq_u16_e32 vcc, 0, v2
	v_readfirstlane_b32 s16, v2
	s_cbranch_vccnz .LBB2148_4
.LBB2148_5:
	s_and_b32 s14, 0xffff, s16
	s_cmp_eq_u32 s14, 1
	s_waitcnt lgkmcnt(0)
	s_cselect_b32 s1, s1, s3
	s_cselect_b32 s0, s0, s2
	s_mul_i32 s3, s7, 36
	s_mul_hi_u32 s2, s7, 36
	s_add_u32 s0, s0, s3
	s_addc_u32 s1, s1, s2
	v_mov_b32_e32 v1, 0
	s_waitcnt vmcnt(0)
	global_load_dword v2, v1, s[0:1] sc1
	global_load_dword v3, v1, s[0:1] offset:4 sc1
	global_load_dword v4, v1, s[0:1] offset:8 sc1
	;; [unrolled: 1-line block ×8, first 2 shown]
	s_waitcnt vmcnt(5)
	global_store_dwordx4 v1, v[2:5], s[8:9]
	s_waitcnt vmcnt(2)
	global_store_dwordx4 v1, v[6:9], s[8:9] offset:16
	s_waitcnt vmcnt(2)
	global_store_byte v1, v10, s[8:9] offset:32
.LBB2148_6:
	s_or_b64 exec, exec, s[12:13]
.LBB2148_7:
	v_cmp_eq_u32_e32 vcc, 0, v0
	s_and_saveexec_b64 s[0:1], vcc
	s_cbranch_execnz .LBB2148_11
; %bb.8:
	s_or_b64 exec, exec, s[0:1]
	v_cmp_gt_u32_e32 vcc, s6, v0
	s_and_saveexec_b64 s[0:1], vcc
	s_cbranch_execnz .LBB2148_12
.LBB2148_9:
	s_or_b64 exec, exec, s[0:1]
	v_cmp_gt_u32_e32 vcc, 64, v0
	s_and_saveexec_b64 s[0:1], vcc
	s_cbranch_execnz .LBB2148_13
.LBB2148_10:
	s_endpgm
.LBB2148_11:
	v_mov_b32_e32 v1, 0
	global_store_dword v1, v1, s[10:11]
	s_or_b64 exec, exec, s[0:1]
	v_cmp_gt_u32_e32 vcc, s6, v0
	s_and_saveexec_b64 s[0:1], vcc
	s_cbranch_execz .LBB2148_9
.LBB2148_12:
	v_add_u32_e32 v1, 64, v0
	v_mov_b32_e32 v2, 0
	global_store_byte v1, v2, s[4:5]
	s_or_b64 exec, exec, s[0:1]
	v_cmp_gt_u32_e32 vcc, 64, v0
	s_and_saveexec_b64 s[0:1], vcc
	s_cbranch_execz .LBB2148_10
.LBB2148_13:
	v_mov_b32_e32 v1, 0xff
	global_store_byte v0, v1, s[4:5]
	s_endpgm
	.section	.rodata,"a",@progbits
	.p2align	6, 0x0
	.amdhsa_kernel _ZN7rocprim17ROCPRIM_400000_NS6detail30init_device_scan_by_key_kernelINS1_19lookback_scan_stateINS0_5tupleIJ11FixedVectorIiLj8EEbEEELb0ELb0EEENS1_16block_id_wrapperIjLb1EEEEEvT_jjPNSB_10value_typeET0_
		.amdhsa_group_segment_fixed_size 0
		.amdhsa_private_segment_fixed_size 0
		.amdhsa_kernarg_size 304
		.amdhsa_user_sgpr_count 2
		.amdhsa_user_sgpr_dispatch_ptr 0
		.amdhsa_user_sgpr_queue_ptr 0
		.amdhsa_user_sgpr_kernarg_segment_ptr 1
		.amdhsa_user_sgpr_dispatch_id 0
		.amdhsa_user_sgpr_kernarg_preload_length 0
		.amdhsa_user_sgpr_kernarg_preload_offset 0
		.amdhsa_user_sgpr_private_segment_size 0
		.amdhsa_uses_dynamic_stack 0
		.amdhsa_enable_private_segment 0
		.amdhsa_system_sgpr_workgroup_id_x 1
		.amdhsa_system_sgpr_workgroup_id_y 0
		.amdhsa_system_sgpr_workgroup_id_z 0
		.amdhsa_system_sgpr_workgroup_info 0
		.amdhsa_system_vgpr_workitem_id 0
		.amdhsa_next_free_vgpr 11
		.amdhsa_next_free_sgpr 17
		.amdhsa_accum_offset 12
		.amdhsa_reserve_vcc 1
		.amdhsa_float_round_mode_32 0
		.amdhsa_float_round_mode_16_64 0
		.amdhsa_float_denorm_mode_32 3
		.amdhsa_float_denorm_mode_16_64 3
		.amdhsa_dx10_clamp 1
		.amdhsa_ieee_mode 1
		.amdhsa_fp16_overflow 0
		.amdhsa_tg_split 0
		.amdhsa_exception_fp_ieee_invalid_op 0
		.amdhsa_exception_fp_denorm_src 0
		.amdhsa_exception_fp_ieee_div_zero 0
		.amdhsa_exception_fp_ieee_overflow 0
		.amdhsa_exception_fp_ieee_underflow 0
		.amdhsa_exception_fp_ieee_inexact 0
		.amdhsa_exception_int_div_zero 0
	.end_amdhsa_kernel
	.section	.text._ZN7rocprim17ROCPRIM_400000_NS6detail30init_device_scan_by_key_kernelINS1_19lookback_scan_stateINS0_5tupleIJ11FixedVectorIiLj8EEbEEELb0ELb0EEENS1_16block_id_wrapperIjLb1EEEEEvT_jjPNSB_10value_typeET0_,"axG",@progbits,_ZN7rocprim17ROCPRIM_400000_NS6detail30init_device_scan_by_key_kernelINS1_19lookback_scan_stateINS0_5tupleIJ11FixedVectorIiLj8EEbEEELb0ELb0EEENS1_16block_id_wrapperIjLb1EEEEEvT_jjPNSB_10value_typeET0_,comdat
.Lfunc_end2148:
	.size	_ZN7rocprim17ROCPRIM_400000_NS6detail30init_device_scan_by_key_kernelINS1_19lookback_scan_stateINS0_5tupleIJ11FixedVectorIiLj8EEbEEELb0ELb0EEENS1_16block_id_wrapperIjLb1EEEEEvT_jjPNSB_10value_typeET0_, .Lfunc_end2148-_ZN7rocprim17ROCPRIM_400000_NS6detail30init_device_scan_by_key_kernelINS1_19lookback_scan_stateINS0_5tupleIJ11FixedVectorIiLj8EEbEEELb0ELb0EEENS1_16block_id_wrapperIjLb1EEEEEvT_jjPNSB_10value_typeET0_
                                        ; -- End function
	.section	.AMDGPU.csdata,"",@progbits
; Kernel info:
; codeLenInByte = 428
; NumSgprs: 23
; NumVgprs: 11
; NumAgprs: 0
; TotalNumVgprs: 11
; ScratchSize: 0
; MemoryBound: 0
; FloatMode: 240
; IeeeMode: 1
; LDSByteSize: 0 bytes/workgroup (compile time only)
; SGPRBlocks: 2
; VGPRBlocks: 1
; NumSGPRsForWavesPerEU: 23
; NumVGPRsForWavesPerEU: 11
; AccumOffset: 12
; Occupancy: 8
; WaveLimiterHint : 0
; COMPUTE_PGM_RSRC2:SCRATCH_EN: 0
; COMPUTE_PGM_RSRC2:USER_SGPR: 2
; COMPUTE_PGM_RSRC2:TRAP_HANDLER: 0
; COMPUTE_PGM_RSRC2:TGID_X_EN: 1
; COMPUTE_PGM_RSRC2:TGID_Y_EN: 0
; COMPUTE_PGM_RSRC2:TGID_Z_EN: 0
; COMPUTE_PGM_RSRC2:TIDIG_COMP_CNT: 0
; COMPUTE_PGM_RSRC3_GFX90A:ACCUM_OFFSET: 2
; COMPUTE_PGM_RSRC3_GFX90A:TG_SPLIT: 0
	.section	.text._ZN7rocprim17ROCPRIM_400000_NS6detail17trampoline_kernelINS0_14default_configENS1_27scan_by_key_config_selectorIj11FixedVectorIiLj8EEEEZZNS1_16scan_by_key_implILNS1_25lookback_scan_determinismE0ELb0ES3_N6thrust23THRUST_200600_302600_NS6detail15normal_iteratorINSB_10device_ptrIjEEEENSD_INSE_IS6_EEEESI_S6_NSB_4plusIvEENSB_8equal_toIvEES6_EE10hipError_tPvRmT2_T3_T4_T5_mT6_T7_P12ihipStream_tbENKUlT_T0_E_clISt17integral_constantIbLb0EES12_IbLb1EEEEDaSY_SZ_EUlSY_E_NS1_11comp_targetILNS1_3genE0ELNS1_11target_archE4294967295ELNS1_3gpuE0ELNS1_3repE0EEENS1_30default_config_static_selectorELNS0_4arch9wavefront6targetE1EEEvT1_,"axG",@progbits,_ZN7rocprim17ROCPRIM_400000_NS6detail17trampoline_kernelINS0_14default_configENS1_27scan_by_key_config_selectorIj11FixedVectorIiLj8EEEEZZNS1_16scan_by_key_implILNS1_25lookback_scan_determinismE0ELb0ES3_N6thrust23THRUST_200600_302600_NS6detail15normal_iteratorINSB_10device_ptrIjEEEENSD_INSE_IS6_EEEESI_S6_NSB_4plusIvEENSB_8equal_toIvEES6_EE10hipError_tPvRmT2_T3_T4_T5_mT6_T7_P12ihipStream_tbENKUlT_T0_E_clISt17integral_constantIbLb0EES12_IbLb1EEEEDaSY_SZ_EUlSY_E_NS1_11comp_targetILNS1_3genE0ELNS1_11target_archE4294967295ELNS1_3gpuE0ELNS1_3repE0EEENS1_30default_config_static_selectorELNS0_4arch9wavefront6targetE1EEEvT1_,comdat
	.protected	_ZN7rocprim17ROCPRIM_400000_NS6detail17trampoline_kernelINS0_14default_configENS1_27scan_by_key_config_selectorIj11FixedVectorIiLj8EEEEZZNS1_16scan_by_key_implILNS1_25lookback_scan_determinismE0ELb0ES3_N6thrust23THRUST_200600_302600_NS6detail15normal_iteratorINSB_10device_ptrIjEEEENSD_INSE_IS6_EEEESI_S6_NSB_4plusIvEENSB_8equal_toIvEES6_EE10hipError_tPvRmT2_T3_T4_T5_mT6_T7_P12ihipStream_tbENKUlT_T0_E_clISt17integral_constantIbLb0EES12_IbLb1EEEEDaSY_SZ_EUlSY_E_NS1_11comp_targetILNS1_3genE0ELNS1_11target_archE4294967295ELNS1_3gpuE0ELNS1_3repE0EEENS1_30default_config_static_selectorELNS0_4arch9wavefront6targetE1EEEvT1_ ; -- Begin function _ZN7rocprim17ROCPRIM_400000_NS6detail17trampoline_kernelINS0_14default_configENS1_27scan_by_key_config_selectorIj11FixedVectorIiLj8EEEEZZNS1_16scan_by_key_implILNS1_25lookback_scan_determinismE0ELb0ES3_N6thrust23THRUST_200600_302600_NS6detail15normal_iteratorINSB_10device_ptrIjEEEENSD_INSE_IS6_EEEESI_S6_NSB_4plusIvEENSB_8equal_toIvEES6_EE10hipError_tPvRmT2_T3_T4_T5_mT6_T7_P12ihipStream_tbENKUlT_T0_E_clISt17integral_constantIbLb0EES12_IbLb1EEEEDaSY_SZ_EUlSY_E_NS1_11comp_targetILNS1_3genE0ELNS1_11target_archE4294967295ELNS1_3gpuE0ELNS1_3repE0EEENS1_30default_config_static_selectorELNS0_4arch9wavefront6targetE1EEEvT1_
	.globl	_ZN7rocprim17ROCPRIM_400000_NS6detail17trampoline_kernelINS0_14default_configENS1_27scan_by_key_config_selectorIj11FixedVectorIiLj8EEEEZZNS1_16scan_by_key_implILNS1_25lookback_scan_determinismE0ELb0ES3_N6thrust23THRUST_200600_302600_NS6detail15normal_iteratorINSB_10device_ptrIjEEEENSD_INSE_IS6_EEEESI_S6_NSB_4plusIvEENSB_8equal_toIvEES6_EE10hipError_tPvRmT2_T3_T4_T5_mT6_T7_P12ihipStream_tbENKUlT_T0_E_clISt17integral_constantIbLb0EES12_IbLb1EEEEDaSY_SZ_EUlSY_E_NS1_11comp_targetILNS1_3genE0ELNS1_11target_archE4294967295ELNS1_3gpuE0ELNS1_3repE0EEENS1_30default_config_static_selectorELNS0_4arch9wavefront6targetE1EEEvT1_
	.p2align	8
	.type	_ZN7rocprim17ROCPRIM_400000_NS6detail17trampoline_kernelINS0_14default_configENS1_27scan_by_key_config_selectorIj11FixedVectorIiLj8EEEEZZNS1_16scan_by_key_implILNS1_25lookback_scan_determinismE0ELb0ES3_N6thrust23THRUST_200600_302600_NS6detail15normal_iteratorINSB_10device_ptrIjEEEENSD_INSE_IS6_EEEESI_S6_NSB_4plusIvEENSB_8equal_toIvEES6_EE10hipError_tPvRmT2_T3_T4_T5_mT6_T7_P12ihipStream_tbENKUlT_T0_E_clISt17integral_constantIbLb0EES12_IbLb1EEEEDaSY_SZ_EUlSY_E_NS1_11comp_targetILNS1_3genE0ELNS1_11target_archE4294967295ELNS1_3gpuE0ELNS1_3repE0EEENS1_30default_config_static_selectorELNS0_4arch9wavefront6targetE1EEEvT1_,@function
_ZN7rocprim17ROCPRIM_400000_NS6detail17trampoline_kernelINS0_14default_configENS1_27scan_by_key_config_selectorIj11FixedVectorIiLj8EEEEZZNS1_16scan_by_key_implILNS1_25lookback_scan_determinismE0ELb0ES3_N6thrust23THRUST_200600_302600_NS6detail15normal_iteratorINSB_10device_ptrIjEEEENSD_INSE_IS6_EEEESI_S6_NSB_4plusIvEENSB_8equal_toIvEES6_EE10hipError_tPvRmT2_T3_T4_T5_mT6_T7_P12ihipStream_tbENKUlT_T0_E_clISt17integral_constantIbLb0EES12_IbLb1EEEEDaSY_SZ_EUlSY_E_NS1_11comp_targetILNS1_3genE0ELNS1_11target_archE4294967295ELNS1_3gpuE0ELNS1_3repE0EEENS1_30default_config_static_selectorELNS0_4arch9wavefront6targetE1EEEvT1_: ; @_ZN7rocprim17ROCPRIM_400000_NS6detail17trampoline_kernelINS0_14default_configENS1_27scan_by_key_config_selectorIj11FixedVectorIiLj8EEEEZZNS1_16scan_by_key_implILNS1_25lookback_scan_determinismE0ELb0ES3_N6thrust23THRUST_200600_302600_NS6detail15normal_iteratorINSB_10device_ptrIjEEEENSD_INSE_IS6_EEEESI_S6_NSB_4plusIvEENSB_8equal_toIvEES6_EE10hipError_tPvRmT2_T3_T4_T5_mT6_T7_P12ihipStream_tbENKUlT_T0_E_clISt17integral_constantIbLb0EES12_IbLb1EEEEDaSY_SZ_EUlSY_E_NS1_11comp_targetILNS1_3genE0ELNS1_11target_archE4294967295ELNS1_3gpuE0ELNS1_3repE0EEENS1_30default_config_static_selectorELNS0_4arch9wavefront6targetE1EEEvT1_
; %bb.0:
	.section	.rodata,"a",@progbits
	.p2align	6, 0x0
	.amdhsa_kernel _ZN7rocprim17ROCPRIM_400000_NS6detail17trampoline_kernelINS0_14default_configENS1_27scan_by_key_config_selectorIj11FixedVectorIiLj8EEEEZZNS1_16scan_by_key_implILNS1_25lookback_scan_determinismE0ELb0ES3_N6thrust23THRUST_200600_302600_NS6detail15normal_iteratorINSB_10device_ptrIjEEEENSD_INSE_IS6_EEEESI_S6_NSB_4plusIvEENSB_8equal_toIvEES6_EE10hipError_tPvRmT2_T3_T4_T5_mT6_T7_P12ihipStream_tbENKUlT_T0_E_clISt17integral_constantIbLb0EES12_IbLb1EEEEDaSY_SZ_EUlSY_E_NS1_11comp_targetILNS1_3genE0ELNS1_11target_archE4294967295ELNS1_3gpuE0ELNS1_3repE0EEENS1_30default_config_static_selectorELNS0_4arch9wavefront6targetE1EEEvT1_
		.amdhsa_group_segment_fixed_size 0
		.amdhsa_private_segment_fixed_size 0
		.amdhsa_kernarg_size 160
		.amdhsa_user_sgpr_count 2
		.amdhsa_user_sgpr_dispatch_ptr 0
		.amdhsa_user_sgpr_queue_ptr 0
		.amdhsa_user_sgpr_kernarg_segment_ptr 1
		.amdhsa_user_sgpr_dispatch_id 0
		.amdhsa_user_sgpr_kernarg_preload_length 0
		.amdhsa_user_sgpr_kernarg_preload_offset 0
		.amdhsa_user_sgpr_private_segment_size 0
		.amdhsa_uses_dynamic_stack 0
		.amdhsa_enable_private_segment 0
		.amdhsa_system_sgpr_workgroup_id_x 1
		.amdhsa_system_sgpr_workgroup_id_y 0
		.amdhsa_system_sgpr_workgroup_id_z 0
		.amdhsa_system_sgpr_workgroup_info 0
		.amdhsa_system_vgpr_workitem_id 0
		.amdhsa_next_free_vgpr 1
		.amdhsa_next_free_sgpr 0
		.amdhsa_accum_offset 4
		.amdhsa_reserve_vcc 0
		.amdhsa_float_round_mode_32 0
		.amdhsa_float_round_mode_16_64 0
		.amdhsa_float_denorm_mode_32 3
		.amdhsa_float_denorm_mode_16_64 3
		.amdhsa_dx10_clamp 1
		.amdhsa_ieee_mode 1
		.amdhsa_fp16_overflow 0
		.amdhsa_tg_split 0
		.amdhsa_exception_fp_ieee_invalid_op 0
		.amdhsa_exception_fp_denorm_src 0
		.amdhsa_exception_fp_ieee_div_zero 0
		.amdhsa_exception_fp_ieee_overflow 0
		.amdhsa_exception_fp_ieee_underflow 0
		.amdhsa_exception_fp_ieee_inexact 0
		.amdhsa_exception_int_div_zero 0
	.end_amdhsa_kernel
	.section	.text._ZN7rocprim17ROCPRIM_400000_NS6detail17trampoline_kernelINS0_14default_configENS1_27scan_by_key_config_selectorIj11FixedVectorIiLj8EEEEZZNS1_16scan_by_key_implILNS1_25lookback_scan_determinismE0ELb0ES3_N6thrust23THRUST_200600_302600_NS6detail15normal_iteratorINSB_10device_ptrIjEEEENSD_INSE_IS6_EEEESI_S6_NSB_4plusIvEENSB_8equal_toIvEES6_EE10hipError_tPvRmT2_T3_T4_T5_mT6_T7_P12ihipStream_tbENKUlT_T0_E_clISt17integral_constantIbLb0EES12_IbLb1EEEEDaSY_SZ_EUlSY_E_NS1_11comp_targetILNS1_3genE0ELNS1_11target_archE4294967295ELNS1_3gpuE0ELNS1_3repE0EEENS1_30default_config_static_selectorELNS0_4arch9wavefront6targetE1EEEvT1_,"axG",@progbits,_ZN7rocprim17ROCPRIM_400000_NS6detail17trampoline_kernelINS0_14default_configENS1_27scan_by_key_config_selectorIj11FixedVectorIiLj8EEEEZZNS1_16scan_by_key_implILNS1_25lookback_scan_determinismE0ELb0ES3_N6thrust23THRUST_200600_302600_NS6detail15normal_iteratorINSB_10device_ptrIjEEEENSD_INSE_IS6_EEEESI_S6_NSB_4plusIvEENSB_8equal_toIvEES6_EE10hipError_tPvRmT2_T3_T4_T5_mT6_T7_P12ihipStream_tbENKUlT_T0_E_clISt17integral_constantIbLb0EES12_IbLb1EEEEDaSY_SZ_EUlSY_E_NS1_11comp_targetILNS1_3genE0ELNS1_11target_archE4294967295ELNS1_3gpuE0ELNS1_3repE0EEENS1_30default_config_static_selectorELNS0_4arch9wavefront6targetE1EEEvT1_,comdat
.Lfunc_end2149:
	.size	_ZN7rocprim17ROCPRIM_400000_NS6detail17trampoline_kernelINS0_14default_configENS1_27scan_by_key_config_selectorIj11FixedVectorIiLj8EEEEZZNS1_16scan_by_key_implILNS1_25lookback_scan_determinismE0ELb0ES3_N6thrust23THRUST_200600_302600_NS6detail15normal_iteratorINSB_10device_ptrIjEEEENSD_INSE_IS6_EEEESI_S6_NSB_4plusIvEENSB_8equal_toIvEES6_EE10hipError_tPvRmT2_T3_T4_T5_mT6_T7_P12ihipStream_tbENKUlT_T0_E_clISt17integral_constantIbLb0EES12_IbLb1EEEEDaSY_SZ_EUlSY_E_NS1_11comp_targetILNS1_3genE0ELNS1_11target_archE4294967295ELNS1_3gpuE0ELNS1_3repE0EEENS1_30default_config_static_selectorELNS0_4arch9wavefront6targetE1EEEvT1_, .Lfunc_end2149-_ZN7rocprim17ROCPRIM_400000_NS6detail17trampoline_kernelINS0_14default_configENS1_27scan_by_key_config_selectorIj11FixedVectorIiLj8EEEEZZNS1_16scan_by_key_implILNS1_25lookback_scan_determinismE0ELb0ES3_N6thrust23THRUST_200600_302600_NS6detail15normal_iteratorINSB_10device_ptrIjEEEENSD_INSE_IS6_EEEESI_S6_NSB_4plusIvEENSB_8equal_toIvEES6_EE10hipError_tPvRmT2_T3_T4_T5_mT6_T7_P12ihipStream_tbENKUlT_T0_E_clISt17integral_constantIbLb0EES12_IbLb1EEEEDaSY_SZ_EUlSY_E_NS1_11comp_targetILNS1_3genE0ELNS1_11target_archE4294967295ELNS1_3gpuE0ELNS1_3repE0EEENS1_30default_config_static_selectorELNS0_4arch9wavefront6targetE1EEEvT1_
                                        ; -- End function
	.section	.AMDGPU.csdata,"",@progbits
; Kernel info:
; codeLenInByte = 0
; NumSgprs: 6
; NumVgprs: 0
; NumAgprs: 0
; TotalNumVgprs: 0
; ScratchSize: 0
; MemoryBound: 0
; FloatMode: 240
; IeeeMode: 1
; LDSByteSize: 0 bytes/workgroup (compile time only)
; SGPRBlocks: 0
; VGPRBlocks: 0
; NumSGPRsForWavesPerEU: 6
; NumVGPRsForWavesPerEU: 1
; AccumOffset: 4
; Occupancy: 8
; WaveLimiterHint : 0
; COMPUTE_PGM_RSRC2:SCRATCH_EN: 0
; COMPUTE_PGM_RSRC2:USER_SGPR: 2
; COMPUTE_PGM_RSRC2:TRAP_HANDLER: 0
; COMPUTE_PGM_RSRC2:TGID_X_EN: 1
; COMPUTE_PGM_RSRC2:TGID_Y_EN: 0
; COMPUTE_PGM_RSRC2:TGID_Z_EN: 0
; COMPUTE_PGM_RSRC2:TIDIG_COMP_CNT: 0
; COMPUTE_PGM_RSRC3_GFX90A:ACCUM_OFFSET: 0
; COMPUTE_PGM_RSRC3_GFX90A:TG_SPLIT: 0
	.section	.text._ZN7rocprim17ROCPRIM_400000_NS6detail17trampoline_kernelINS0_14default_configENS1_27scan_by_key_config_selectorIj11FixedVectorIiLj8EEEEZZNS1_16scan_by_key_implILNS1_25lookback_scan_determinismE0ELb0ES3_N6thrust23THRUST_200600_302600_NS6detail15normal_iteratorINSB_10device_ptrIjEEEENSD_INSE_IS6_EEEESI_S6_NSB_4plusIvEENSB_8equal_toIvEES6_EE10hipError_tPvRmT2_T3_T4_T5_mT6_T7_P12ihipStream_tbENKUlT_T0_E_clISt17integral_constantIbLb0EES12_IbLb1EEEEDaSY_SZ_EUlSY_E_NS1_11comp_targetILNS1_3genE10ELNS1_11target_archE1201ELNS1_3gpuE5ELNS1_3repE0EEENS1_30default_config_static_selectorELNS0_4arch9wavefront6targetE1EEEvT1_,"axG",@progbits,_ZN7rocprim17ROCPRIM_400000_NS6detail17trampoline_kernelINS0_14default_configENS1_27scan_by_key_config_selectorIj11FixedVectorIiLj8EEEEZZNS1_16scan_by_key_implILNS1_25lookback_scan_determinismE0ELb0ES3_N6thrust23THRUST_200600_302600_NS6detail15normal_iteratorINSB_10device_ptrIjEEEENSD_INSE_IS6_EEEESI_S6_NSB_4plusIvEENSB_8equal_toIvEES6_EE10hipError_tPvRmT2_T3_T4_T5_mT6_T7_P12ihipStream_tbENKUlT_T0_E_clISt17integral_constantIbLb0EES12_IbLb1EEEEDaSY_SZ_EUlSY_E_NS1_11comp_targetILNS1_3genE10ELNS1_11target_archE1201ELNS1_3gpuE5ELNS1_3repE0EEENS1_30default_config_static_selectorELNS0_4arch9wavefront6targetE1EEEvT1_,comdat
	.protected	_ZN7rocprim17ROCPRIM_400000_NS6detail17trampoline_kernelINS0_14default_configENS1_27scan_by_key_config_selectorIj11FixedVectorIiLj8EEEEZZNS1_16scan_by_key_implILNS1_25lookback_scan_determinismE0ELb0ES3_N6thrust23THRUST_200600_302600_NS6detail15normal_iteratorINSB_10device_ptrIjEEEENSD_INSE_IS6_EEEESI_S6_NSB_4plusIvEENSB_8equal_toIvEES6_EE10hipError_tPvRmT2_T3_T4_T5_mT6_T7_P12ihipStream_tbENKUlT_T0_E_clISt17integral_constantIbLb0EES12_IbLb1EEEEDaSY_SZ_EUlSY_E_NS1_11comp_targetILNS1_3genE10ELNS1_11target_archE1201ELNS1_3gpuE5ELNS1_3repE0EEENS1_30default_config_static_selectorELNS0_4arch9wavefront6targetE1EEEvT1_ ; -- Begin function _ZN7rocprim17ROCPRIM_400000_NS6detail17trampoline_kernelINS0_14default_configENS1_27scan_by_key_config_selectorIj11FixedVectorIiLj8EEEEZZNS1_16scan_by_key_implILNS1_25lookback_scan_determinismE0ELb0ES3_N6thrust23THRUST_200600_302600_NS6detail15normal_iteratorINSB_10device_ptrIjEEEENSD_INSE_IS6_EEEESI_S6_NSB_4plusIvEENSB_8equal_toIvEES6_EE10hipError_tPvRmT2_T3_T4_T5_mT6_T7_P12ihipStream_tbENKUlT_T0_E_clISt17integral_constantIbLb0EES12_IbLb1EEEEDaSY_SZ_EUlSY_E_NS1_11comp_targetILNS1_3genE10ELNS1_11target_archE1201ELNS1_3gpuE5ELNS1_3repE0EEENS1_30default_config_static_selectorELNS0_4arch9wavefront6targetE1EEEvT1_
	.globl	_ZN7rocprim17ROCPRIM_400000_NS6detail17trampoline_kernelINS0_14default_configENS1_27scan_by_key_config_selectorIj11FixedVectorIiLj8EEEEZZNS1_16scan_by_key_implILNS1_25lookback_scan_determinismE0ELb0ES3_N6thrust23THRUST_200600_302600_NS6detail15normal_iteratorINSB_10device_ptrIjEEEENSD_INSE_IS6_EEEESI_S6_NSB_4plusIvEENSB_8equal_toIvEES6_EE10hipError_tPvRmT2_T3_T4_T5_mT6_T7_P12ihipStream_tbENKUlT_T0_E_clISt17integral_constantIbLb0EES12_IbLb1EEEEDaSY_SZ_EUlSY_E_NS1_11comp_targetILNS1_3genE10ELNS1_11target_archE1201ELNS1_3gpuE5ELNS1_3repE0EEENS1_30default_config_static_selectorELNS0_4arch9wavefront6targetE1EEEvT1_
	.p2align	8
	.type	_ZN7rocprim17ROCPRIM_400000_NS6detail17trampoline_kernelINS0_14default_configENS1_27scan_by_key_config_selectorIj11FixedVectorIiLj8EEEEZZNS1_16scan_by_key_implILNS1_25lookback_scan_determinismE0ELb0ES3_N6thrust23THRUST_200600_302600_NS6detail15normal_iteratorINSB_10device_ptrIjEEEENSD_INSE_IS6_EEEESI_S6_NSB_4plusIvEENSB_8equal_toIvEES6_EE10hipError_tPvRmT2_T3_T4_T5_mT6_T7_P12ihipStream_tbENKUlT_T0_E_clISt17integral_constantIbLb0EES12_IbLb1EEEEDaSY_SZ_EUlSY_E_NS1_11comp_targetILNS1_3genE10ELNS1_11target_archE1201ELNS1_3gpuE5ELNS1_3repE0EEENS1_30default_config_static_selectorELNS0_4arch9wavefront6targetE1EEEvT1_,@function
_ZN7rocprim17ROCPRIM_400000_NS6detail17trampoline_kernelINS0_14default_configENS1_27scan_by_key_config_selectorIj11FixedVectorIiLj8EEEEZZNS1_16scan_by_key_implILNS1_25lookback_scan_determinismE0ELb0ES3_N6thrust23THRUST_200600_302600_NS6detail15normal_iteratorINSB_10device_ptrIjEEEENSD_INSE_IS6_EEEESI_S6_NSB_4plusIvEENSB_8equal_toIvEES6_EE10hipError_tPvRmT2_T3_T4_T5_mT6_T7_P12ihipStream_tbENKUlT_T0_E_clISt17integral_constantIbLb0EES12_IbLb1EEEEDaSY_SZ_EUlSY_E_NS1_11comp_targetILNS1_3genE10ELNS1_11target_archE1201ELNS1_3gpuE5ELNS1_3repE0EEENS1_30default_config_static_selectorELNS0_4arch9wavefront6targetE1EEEvT1_: ; @_ZN7rocprim17ROCPRIM_400000_NS6detail17trampoline_kernelINS0_14default_configENS1_27scan_by_key_config_selectorIj11FixedVectorIiLj8EEEEZZNS1_16scan_by_key_implILNS1_25lookback_scan_determinismE0ELb0ES3_N6thrust23THRUST_200600_302600_NS6detail15normal_iteratorINSB_10device_ptrIjEEEENSD_INSE_IS6_EEEESI_S6_NSB_4plusIvEENSB_8equal_toIvEES6_EE10hipError_tPvRmT2_T3_T4_T5_mT6_T7_P12ihipStream_tbENKUlT_T0_E_clISt17integral_constantIbLb0EES12_IbLb1EEEEDaSY_SZ_EUlSY_E_NS1_11comp_targetILNS1_3genE10ELNS1_11target_archE1201ELNS1_3gpuE5ELNS1_3repE0EEENS1_30default_config_static_selectorELNS0_4arch9wavefront6targetE1EEEvT1_
; %bb.0:
	.section	.rodata,"a",@progbits
	.p2align	6, 0x0
	.amdhsa_kernel _ZN7rocprim17ROCPRIM_400000_NS6detail17trampoline_kernelINS0_14default_configENS1_27scan_by_key_config_selectorIj11FixedVectorIiLj8EEEEZZNS1_16scan_by_key_implILNS1_25lookback_scan_determinismE0ELb0ES3_N6thrust23THRUST_200600_302600_NS6detail15normal_iteratorINSB_10device_ptrIjEEEENSD_INSE_IS6_EEEESI_S6_NSB_4plusIvEENSB_8equal_toIvEES6_EE10hipError_tPvRmT2_T3_T4_T5_mT6_T7_P12ihipStream_tbENKUlT_T0_E_clISt17integral_constantIbLb0EES12_IbLb1EEEEDaSY_SZ_EUlSY_E_NS1_11comp_targetILNS1_3genE10ELNS1_11target_archE1201ELNS1_3gpuE5ELNS1_3repE0EEENS1_30default_config_static_selectorELNS0_4arch9wavefront6targetE1EEEvT1_
		.amdhsa_group_segment_fixed_size 0
		.amdhsa_private_segment_fixed_size 0
		.amdhsa_kernarg_size 160
		.amdhsa_user_sgpr_count 2
		.amdhsa_user_sgpr_dispatch_ptr 0
		.amdhsa_user_sgpr_queue_ptr 0
		.amdhsa_user_sgpr_kernarg_segment_ptr 1
		.amdhsa_user_sgpr_dispatch_id 0
		.amdhsa_user_sgpr_kernarg_preload_length 0
		.amdhsa_user_sgpr_kernarg_preload_offset 0
		.amdhsa_user_sgpr_private_segment_size 0
		.amdhsa_uses_dynamic_stack 0
		.amdhsa_enable_private_segment 0
		.amdhsa_system_sgpr_workgroup_id_x 1
		.amdhsa_system_sgpr_workgroup_id_y 0
		.amdhsa_system_sgpr_workgroup_id_z 0
		.amdhsa_system_sgpr_workgroup_info 0
		.amdhsa_system_vgpr_workitem_id 0
		.amdhsa_next_free_vgpr 1
		.amdhsa_next_free_sgpr 0
		.amdhsa_accum_offset 4
		.amdhsa_reserve_vcc 0
		.amdhsa_float_round_mode_32 0
		.amdhsa_float_round_mode_16_64 0
		.amdhsa_float_denorm_mode_32 3
		.amdhsa_float_denorm_mode_16_64 3
		.amdhsa_dx10_clamp 1
		.amdhsa_ieee_mode 1
		.amdhsa_fp16_overflow 0
		.amdhsa_tg_split 0
		.amdhsa_exception_fp_ieee_invalid_op 0
		.amdhsa_exception_fp_denorm_src 0
		.amdhsa_exception_fp_ieee_div_zero 0
		.amdhsa_exception_fp_ieee_overflow 0
		.amdhsa_exception_fp_ieee_underflow 0
		.amdhsa_exception_fp_ieee_inexact 0
		.amdhsa_exception_int_div_zero 0
	.end_amdhsa_kernel
	.section	.text._ZN7rocprim17ROCPRIM_400000_NS6detail17trampoline_kernelINS0_14default_configENS1_27scan_by_key_config_selectorIj11FixedVectorIiLj8EEEEZZNS1_16scan_by_key_implILNS1_25lookback_scan_determinismE0ELb0ES3_N6thrust23THRUST_200600_302600_NS6detail15normal_iteratorINSB_10device_ptrIjEEEENSD_INSE_IS6_EEEESI_S6_NSB_4plusIvEENSB_8equal_toIvEES6_EE10hipError_tPvRmT2_T3_T4_T5_mT6_T7_P12ihipStream_tbENKUlT_T0_E_clISt17integral_constantIbLb0EES12_IbLb1EEEEDaSY_SZ_EUlSY_E_NS1_11comp_targetILNS1_3genE10ELNS1_11target_archE1201ELNS1_3gpuE5ELNS1_3repE0EEENS1_30default_config_static_selectorELNS0_4arch9wavefront6targetE1EEEvT1_,"axG",@progbits,_ZN7rocprim17ROCPRIM_400000_NS6detail17trampoline_kernelINS0_14default_configENS1_27scan_by_key_config_selectorIj11FixedVectorIiLj8EEEEZZNS1_16scan_by_key_implILNS1_25lookback_scan_determinismE0ELb0ES3_N6thrust23THRUST_200600_302600_NS6detail15normal_iteratorINSB_10device_ptrIjEEEENSD_INSE_IS6_EEEESI_S6_NSB_4plusIvEENSB_8equal_toIvEES6_EE10hipError_tPvRmT2_T3_T4_T5_mT6_T7_P12ihipStream_tbENKUlT_T0_E_clISt17integral_constantIbLb0EES12_IbLb1EEEEDaSY_SZ_EUlSY_E_NS1_11comp_targetILNS1_3genE10ELNS1_11target_archE1201ELNS1_3gpuE5ELNS1_3repE0EEENS1_30default_config_static_selectorELNS0_4arch9wavefront6targetE1EEEvT1_,comdat
.Lfunc_end2150:
	.size	_ZN7rocprim17ROCPRIM_400000_NS6detail17trampoline_kernelINS0_14default_configENS1_27scan_by_key_config_selectorIj11FixedVectorIiLj8EEEEZZNS1_16scan_by_key_implILNS1_25lookback_scan_determinismE0ELb0ES3_N6thrust23THRUST_200600_302600_NS6detail15normal_iteratorINSB_10device_ptrIjEEEENSD_INSE_IS6_EEEESI_S6_NSB_4plusIvEENSB_8equal_toIvEES6_EE10hipError_tPvRmT2_T3_T4_T5_mT6_T7_P12ihipStream_tbENKUlT_T0_E_clISt17integral_constantIbLb0EES12_IbLb1EEEEDaSY_SZ_EUlSY_E_NS1_11comp_targetILNS1_3genE10ELNS1_11target_archE1201ELNS1_3gpuE5ELNS1_3repE0EEENS1_30default_config_static_selectorELNS0_4arch9wavefront6targetE1EEEvT1_, .Lfunc_end2150-_ZN7rocprim17ROCPRIM_400000_NS6detail17trampoline_kernelINS0_14default_configENS1_27scan_by_key_config_selectorIj11FixedVectorIiLj8EEEEZZNS1_16scan_by_key_implILNS1_25lookback_scan_determinismE0ELb0ES3_N6thrust23THRUST_200600_302600_NS6detail15normal_iteratorINSB_10device_ptrIjEEEENSD_INSE_IS6_EEEESI_S6_NSB_4plusIvEENSB_8equal_toIvEES6_EE10hipError_tPvRmT2_T3_T4_T5_mT6_T7_P12ihipStream_tbENKUlT_T0_E_clISt17integral_constantIbLb0EES12_IbLb1EEEEDaSY_SZ_EUlSY_E_NS1_11comp_targetILNS1_3genE10ELNS1_11target_archE1201ELNS1_3gpuE5ELNS1_3repE0EEENS1_30default_config_static_selectorELNS0_4arch9wavefront6targetE1EEEvT1_
                                        ; -- End function
	.section	.AMDGPU.csdata,"",@progbits
; Kernel info:
; codeLenInByte = 0
; NumSgprs: 6
; NumVgprs: 0
; NumAgprs: 0
; TotalNumVgprs: 0
; ScratchSize: 0
; MemoryBound: 0
; FloatMode: 240
; IeeeMode: 1
; LDSByteSize: 0 bytes/workgroup (compile time only)
; SGPRBlocks: 0
; VGPRBlocks: 0
; NumSGPRsForWavesPerEU: 6
; NumVGPRsForWavesPerEU: 1
; AccumOffset: 4
; Occupancy: 8
; WaveLimiterHint : 0
; COMPUTE_PGM_RSRC2:SCRATCH_EN: 0
; COMPUTE_PGM_RSRC2:USER_SGPR: 2
; COMPUTE_PGM_RSRC2:TRAP_HANDLER: 0
; COMPUTE_PGM_RSRC2:TGID_X_EN: 1
; COMPUTE_PGM_RSRC2:TGID_Y_EN: 0
; COMPUTE_PGM_RSRC2:TGID_Z_EN: 0
; COMPUTE_PGM_RSRC2:TIDIG_COMP_CNT: 0
; COMPUTE_PGM_RSRC3_GFX90A:ACCUM_OFFSET: 0
; COMPUTE_PGM_RSRC3_GFX90A:TG_SPLIT: 0
	.section	.text._ZN7rocprim17ROCPRIM_400000_NS6detail17trampoline_kernelINS0_14default_configENS1_27scan_by_key_config_selectorIj11FixedVectorIiLj8EEEEZZNS1_16scan_by_key_implILNS1_25lookback_scan_determinismE0ELb0ES3_N6thrust23THRUST_200600_302600_NS6detail15normal_iteratorINSB_10device_ptrIjEEEENSD_INSE_IS6_EEEESI_S6_NSB_4plusIvEENSB_8equal_toIvEES6_EE10hipError_tPvRmT2_T3_T4_T5_mT6_T7_P12ihipStream_tbENKUlT_T0_E_clISt17integral_constantIbLb0EES12_IbLb1EEEEDaSY_SZ_EUlSY_E_NS1_11comp_targetILNS1_3genE5ELNS1_11target_archE942ELNS1_3gpuE9ELNS1_3repE0EEENS1_30default_config_static_selectorELNS0_4arch9wavefront6targetE1EEEvT1_,"axG",@progbits,_ZN7rocprim17ROCPRIM_400000_NS6detail17trampoline_kernelINS0_14default_configENS1_27scan_by_key_config_selectorIj11FixedVectorIiLj8EEEEZZNS1_16scan_by_key_implILNS1_25lookback_scan_determinismE0ELb0ES3_N6thrust23THRUST_200600_302600_NS6detail15normal_iteratorINSB_10device_ptrIjEEEENSD_INSE_IS6_EEEESI_S6_NSB_4plusIvEENSB_8equal_toIvEES6_EE10hipError_tPvRmT2_T3_T4_T5_mT6_T7_P12ihipStream_tbENKUlT_T0_E_clISt17integral_constantIbLb0EES12_IbLb1EEEEDaSY_SZ_EUlSY_E_NS1_11comp_targetILNS1_3genE5ELNS1_11target_archE942ELNS1_3gpuE9ELNS1_3repE0EEENS1_30default_config_static_selectorELNS0_4arch9wavefront6targetE1EEEvT1_,comdat
	.protected	_ZN7rocprim17ROCPRIM_400000_NS6detail17trampoline_kernelINS0_14default_configENS1_27scan_by_key_config_selectorIj11FixedVectorIiLj8EEEEZZNS1_16scan_by_key_implILNS1_25lookback_scan_determinismE0ELb0ES3_N6thrust23THRUST_200600_302600_NS6detail15normal_iteratorINSB_10device_ptrIjEEEENSD_INSE_IS6_EEEESI_S6_NSB_4plusIvEENSB_8equal_toIvEES6_EE10hipError_tPvRmT2_T3_T4_T5_mT6_T7_P12ihipStream_tbENKUlT_T0_E_clISt17integral_constantIbLb0EES12_IbLb1EEEEDaSY_SZ_EUlSY_E_NS1_11comp_targetILNS1_3genE5ELNS1_11target_archE942ELNS1_3gpuE9ELNS1_3repE0EEENS1_30default_config_static_selectorELNS0_4arch9wavefront6targetE1EEEvT1_ ; -- Begin function _ZN7rocprim17ROCPRIM_400000_NS6detail17trampoline_kernelINS0_14default_configENS1_27scan_by_key_config_selectorIj11FixedVectorIiLj8EEEEZZNS1_16scan_by_key_implILNS1_25lookback_scan_determinismE0ELb0ES3_N6thrust23THRUST_200600_302600_NS6detail15normal_iteratorINSB_10device_ptrIjEEEENSD_INSE_IS6_EEEESI_S6_NSB_4plusIvEENSB_8equal_toIvEES6_EE10hipError_tPvRmT2_T3_T4_T5_mT6_T7_P12ihipStream_tbENKUlT_T0_E_clISt17integral_constantIbLb0EES12_IbLb1EEEEDaSY_SZ_EUlSY_E_NS1_11comp_targetILNS1_3genE5ELNS1_11target_archE942ELNS1_3gpuE9ELNS1_3repE0EEENS1_30default_config_static_selectorELNS0_4arch9wavefront6targetE1EEEvT1_
	.globl	_ZN7rocprim17ROCPRIM_400000_NS6detail17trampoline_kernelINS0_14default_configENS1_27scan_by_key_config_selectorIj11FixedVectorIiLj8EEEEZZNS1_16scan_by_key_implILNS1_25lookback_scan_determinismE0ELb0ES3_N6thrust23THRUST_200600_302600_NS6detail15normal_iteratorINSB_10device_ptrIjEEEENSD_INSE_IS6_EEEESI_S6_NSB_4plusIvEENSB_8equal_toIvEES6_EE10hipError_tPvRmT2_T3_T4_T5_mT6_T7_P12ihipStream_tbENKUlT_T0_E_clISt17integral_constantIbLb0EES12_IbLb1EEEEDaSY_SZ_EUlSY_E_NS1_11comp_targetILNS1_3genE5ELNS1_11target_archE942ELNS1_3gpuE9ELNS1_3repE0EEENS1_30default_config_static_selectorELNS0_4arch9wavefront6targetE1EEEvT1_
	.p2align	8
	.type	_ZN7rocprim17ROCPRIM_400000_NS6detail17trampoline_kernelINS0_14default_configENS1_27scan_by_key_config_selectorIj11FixedVectorIiLj8EEEEZZNS1_16scan_by_key_implILNS1_25lookback_scan_determinismE0ELb0ES3_N6thrust23THRUST_200600_302600_NS6detail15normal_iteratorINSB_10device_ptrIjEEEENSD_INSE_IS6_EEEESI_S6_NSB_4plusIvEENSB_8equal_toIvEES6_EE10hipError_tPvRmT2_T3_T4_T5_mT6_T7_P12ihipStream_tbENKUlT_T0_E_clISt17integral_constantIbLb0EES12_IbLb1EEEEDaSY_SZ_EUlSY_E_NS1_11comp_targetILNS1_3genE5ELNS1_11target_archE942ELNS1_3gpuE9ELNS1_3repE0EEENS1_30default_config_static_selectorELNS0_4arch9wavefront6targetE1EEEvT1_,@function
_ZN7rocprim17ROCPRIM_400000_NS6detail17trampoline_kernelINS0_14default_configENS1_27scan_by_key_config_selectorIj11FixedVectorIiLj8EEEEZZNS1_16scan_by_key_implILNS1_25lookback_scan_determinismE0ELb0ES3_N6thrust23THRUST_200600_302600_NS6detail15normal_iteratorINSB_10device_ptrIjEEEENSD_INSE_IS6_EEEESI_S6_NSB_4plusIvEENSB_8equal_toIvEES6_EE10hipError_tPvRmT2_T3_T4_T5_mT6_T7_P12ihipStream_tbENKUlT_T0_E_clISt17integral_constantIbLb0EES12_IbLb1EEEEDaSY_SZ_EUlSY_E_NS1_11comp_targetILNS1_3genE5ELNS1_11target_archE942ELNS1_3gpuE9ELNS1_3repE0EEENS1_30default_config_static_selectorELNS0_4arch9wavefront6targetE1EEEvT1_: ; @_ZN7rocprim17ROCPRIM_400000_NS6detail17trampoline_kernelINS0_14default_configENS1_27scan_by_key_config_selectorIj11FixedVectorIiLj8EEEEZZNS1_16scan_by_key_implILNS1_25lookback_scan_determinismE0ELb0ES3_N6thrust23THRUST_200600_302600_NS6detail15normal_iteratorINSB_10device_ptrIjEEEENSD_INSE_IS6_EEEESI_S6_NSB_4plusIvEENSB_8equal_toIvEES6_EE10hipError_tPvRmT2_T3_T4_T5_mT6_T7_P12ihipStream_tbENKUlT_T0_E_clISt17integral_constantIbLb0EES12_IbLb1EEEEDaSY_SZ_EUlSY_E_NS1_11comp_targetILNS1_3genE5ELNS1_11target_archE942ELNS1_3gpuE9ELNS1_3repE0EEENS1_30default_config_static_selectorELNS0_4arch9wavefront6targetE1EEEvT1_
; %bb.0:
	s_load_dwordx2 s[40:41], s[2:3], 0x68
	s_load_dwordx8 s[16:23], s[2:3], 0x48
	v_and_b32_e32 v16, 0x3ff, v0
	v_cmp_ne_u32_e64 s[4:5], 0, v16
	v_cmp_eq_u32_e64 s[6:7], 0, v16
	s_and_saveexec_b64 s[8:9], s[6:7]
	s_cbranch_execz .LBB2151_4
; %bb.1:
	s_mov_b64 s[12:13], exec
	v_mbcnt_lo_u32_b32 v1, s12, 0
	v_mbcnt_hi_u32_b32 v1, s13, v1
	v_cmp_eq_u32_e32 vcc, 0, v1
                                        ; implicit-def: $vgpr2
	s_and_saveexec_b64 s[10:11], vcc
	s_cbranch_execz .LBB2151_3
; %bb.2:
	s_load_dwordx2 s[14:15], s[2:3], 0x98
	s_bcnt1_i32_b64 s12, s[12:13]
	v_mov_b32_e32 v2, 0
	v_mov_b32_e32 v3, s12
	s_waitcnt lgkmcnt(0)
	global_atomic_add v2, v2, v3, s[14:15] sc0
.LBB2151_3:
	s_or_b64 exec, exec, s[10:11]
	s_waitcnt vmcnt(0)
	v_readfirstlane_b32 s10, v2
	v_mov_b32_e32 v2, 0
	s_nop 0
	v_add_u32_e32 v1, s10, v1
	ds_write_b32 v2, v1
.LBB2151_4:
	s_or_b64 exec, exec, s[8:9]
	v_mov_b32_e32 v2, 0
	s_load_dwordx8 s[8:15], s[2:3], 0x0
	s_load_dword s42, s[2:3], 0x70
	s_load_dwordx8 s[24:31], s[2:3], 0x78
	s_waitcnt lgkmcnt(0)
	s_barrier
	ds_read_b32 v1, v2
	s_mov_b32 s36, 0
	s_mov_b32 s37, s36
	;; [unrolled: 1-line block ×4, first 2 shown]
	v_mov_b64_e32 v[4:5], s[36:37]
	s_waitcnt lgkmcnt(0)
	v_readfirstlane_b32 s51, v1
	v_mov_b64_e32 v[6:7], s[38:39]
	v_mov_b32_e32 v3, v2
	s_barrier
	s_barrier
	scratch_store_dword off, v2, off offset:320
	scratch_store_dwordx4 off, v[4:7], off offset:304
	scratch_store_dwordx4 off, v[4:7], off offset:288
.LBB2151_5:                             ; =>This Inner Loop Header: Depth=1
	s_add_i32 s2, s36, 0x120
	s_add_i32 s36, s36, 8
	s_cmp_lg_u32 s36, 32
	scratch_store_dwordx2 off, v[2:3], s2
	s_cbranch_scc1 .LBB2151_5
; %bb.6:
	s_mov_b32 s36, 0
	s_mov_b32 s37, s36
	v_mov_b32_e32 v2, 0
	s_mov_b32 s38, s36
	s_mov_b32 s39, s36
	v_mov_b64_e32 v[4:5], s[36:37]
	s_mov_b32 s2, 36
	s_add_i32 s23, 0x120, 36
	v_mov_b64_e32 v[6:7], s[38:39]
	v_mov_b32_e32 v3, v2
	scratch_store_byte off, v2, off offset:320
	scratch_store_dword off, v2, off offset:356
	scratch_store_dwordx4 off, v[4:7], off offset:324
	scratch_store_dwordx4 off, v[4:7], off offset:340
.LBB2151_7:                             ; =>This Inner Loop Header: Depth=1
	s_add_i32 s3, s2, 0x120
	s_add_i32 s2, s2, 8
	s_cmpk_lg_i32 s2, 0x44
	scratch_store_dwordx2 off, v[2:3], s3
	s_cbranch_scc1 .LBB2151_7
; %bb.8:
	s_mov_b32 s36, 0
	s_mov_b32 s37, s36
	v_mov_b32_e32 v2, 0
	s_movk_i32 s33, 0x120
	s_mov_b32 s38, s36
	s_mov_b32 s39, s36
	v_mov_b64_e32 v[4:5], s[36:37]
	s_movk_i32 s2, 0x48
	s_addk_i32 s33, 0x48
	v_mov_b64_e32 v[6:7], s[38:39]
	v_mov_b32_e32 v3, v2
	scratch_store_byte off, v2, off offset:356
	scratch_store_dword off, v2, off offset:392
	scratch_store_dwordx4 off, v[4:7], off offset:360
	scratch_store_dwordx4 off, v[4:7], off offset:376
.LBB2151_9:                             ; =>This Inner Loop Header: Depth=1
	s_add_i32 s3, s2, 0x120
	s_add_i32 s2, s2, 8
	s_cmpk_lg_i32 s2, 0x68
	scratch_store_dwordx2 off, v[2:3], s3
	s_cbranch_scc1 .LBB2151_9
; %bb.10:
	v_mov_b32_e32 v2, 0
	s_mov_b32 s2, 0
	v_mov_b32_e32 v3, v2
	scratch_store_byte off, v2, off offset:392
.LBB2151_11:                            ; =>This Inner Loop Header: Depth=1
	s_add_i32 s3, s2, 0x70
	s_add_i32 s2, s2, 8
	s_cmp_lg_u32 s2, 32
	scratch_store_dwordx2 off, v[2:3], s3
	s_cbranch_scc1 .LBB2151_11
; %bb.12:
	v_mov_b32_e32 v2, 0
	s_mov_b32 s2, 32
	v_mov_b32_e32 v3, v2
.LBB2151_13:                            ; =>This Inner Loop Header: Depth=1
	s_add_i32 s3, s2, 0x70
	s_add_i32 s2, s2, 8
	s_cmp_lg_u32 s2, 64
	scratch_store_dwordx2 off, v[2:3], s3
	s_cbranch_scc1 .LBB2151_13
; %bb.14:
	v_mov_b32_e32 v2, 0
	s_mov_b32 s2, 64
	v_mov_b32_e32 v3, v2
.LBB2151_15:                            ; =>This Inner Loop Header: Depth=1
	s_add_i32 s3, s2, 0x70
	s_add_i32 s2, s2, 8
	s_cmpk_lg_i32 s2, 0x60
	scratch_store_dwordx2 off, v[2:3], s3
	s_cbranch_scc1 .LBB2151_15
; %bb.16:
	s_lshl_b64 s[2:3], s[10:11], 2
	s_add_u32 s36, s8, s2
	s_addc_u32 s37, s9, s3
	s_lshl_b64 s[34:35], s[10:11], 5
	s_add_u32 s10, s12, s34
	s_mul_i32 s2, s41, s42
	s_mul_hi_u32 s3, s40, s42
	s_addc_u32 s11, s13, s35
	s_add_i32 s12, s3, s2
	s_cmp_lg_u64 s[28:29], 0
	s_mul_i32 s2, s51, 0x300
	s_mov_b32 s3, 0
	s_mul_i32 s13, s40, s42
	s_cselect_b64 s[42:43], -1, 0
	s_lshl_b64 s[8:9], s[2:3], 2
	s_add_u32 s38, s36, s8
	s_addc_u32 s39, s37, s9
	s_lshl_b64 s[36:37], s[2:3], 5
	s_add_u32 s28, s10, s36
	s_addc_u32 s29, s11, s37
	s_add_u32 s44, s13, s51
	s_addc_u32 s45, s12, 0
	s_add_u32 s8, s24, -1
	v_mov_b32_e32 v2, 0x70
	s_addc_u32 s9, s25, -1
	v_add_u32_e32 v1, 64, v2
	v_add_u32_e32 v4, 32, v2
	v_mov_b64_e32 v[2:3], s[8:9]
	v_cmp_ge_u64_e64 s[2:3], s[44:45], v[2:3]
	s_mov_b64 s[46:47], 0
	s_mov_b64 s[10:11], -1
	s_and_b64 vcc, exec, s[2:3]
	s_mul_i32 s50, s8, 0xfffffd00
                                        ; implicit-def: $sgpr8_sgpr9
	s_cbranch_vccnz .LBB2151_295
; %bb.17:
	s_and_b64 vcc, exec, s[10:11]
	s_cbranch_vccnz .LBB2151_318
.LBB2151_18:
	s_and_saveexec_b64 s[10:11], s[46:47]
	s_cbranch_execz .LBB2151_20
.LBB2151_19:
	scratch_load_dwordx4 v[2:5], v1, off
	scratch_load_dwordx4 v[6:9], v1, off offset:16
	v_cndmask_b32_e64 v1, 0, 1, s[8:9]
	s_waitcnt vmcnt(1)
	scratch_store_dwordx4 off, v[2:5], s33
	s_waitcnt vmcnt(1)
	scratch_store_dwordx4 off, v[6:9], s33 offset:16
	scratch_store_byte off, v1, off offset:392
.LBB2151_20:
	s_or_b64 exec, exec, s[10:11]
	s_cmp_lg_u32 s51, 0
	s_mov_b32 s8, 0
	s_barrier
	s_cbranch_scc0 .LBB2151_326
; %bb.21:
	v_mov_b32_e32 v2, 0
	v_mov_b32_e32 v3, v2
	scratch_store_dword off, v2, off offset:144
.LBB2151_22:                            ; =>This Inner Loop Header: Depth=1
	s_add_i32 s9, s8, 0x70
	s_add_i32 s8, s8, 8
	s_cmp_lg_u32 s8, 32
	scratch_store_dwordx2 off, v[2:3], s9
	s_cbranch_scc1 .LBB2151_22
; %bb.23:
	scratch_load_dwordx4 v[2:5], off, off offset:288
	scratch_load_dwordx4 v[6:9], off, off offset:304
	scratch_load_ubyte v10, off, off offset:356
	scratch_load_ubyte v1, off, off offset:320
	s_waitcnt vmcnt(3)
	scratch_store_dwordx4 off, v[2:5], off offset:112
	s_waitcnt vmcnt(3)
	scratch_store_dwordx4 off, v[6:9], off offset:128
	s_waitcnt vmcnt(3)
	v_cmp_ne_u16_e32 vcc, 0, v10
                                        ; implicit-def: $vgpr8_vgpr9
                                        ; implicit-def: $vgpr4_vgpr5
	s_and_saveexec_b64 s[8:9], vcc
	s_xor_b64 s[8:9], exec, s[8:9]
	s_cbranch_execz .LBB2151_25
; %bb.24:
	scratch_load_dwordx4 v[2:5], off, off offset:324
	scratch_load_dwordx4 v[6:9], off, off offset:340
.LBB2151_25:
	s_andn2_saveexec_b64 s[8:9], s[8:9]
	s_cbranch_execz .LBB2151_31
; %bb.26:
	s_waitcnt vmcnt(1)
	v_mov_b32_e32 v2, 0
	s_mov_b32 s10, 0
	v_mov_b32_e32 v3, v2
.LBB2151_27:                            ; =>This Inner Loop Header: Depth=1
	s_add_i32 s11, s10, 0
	s_add_i32 s10, s10, 8
	s_cmp_lg_u32 s10, 32
	scratch_store_dwordx2 off, v[2:3], s11
	s_cbranch_scc1 .LBB2151_27
; %bb.28:
	s_mov_b32 s10, 0
.LBB2151_29:                            ; =>This Inner Loop Header: Depth=1
	s_add_i32 s11, s10, 0x70
	s_add_i32 s12, s23, s10
	scratch_load_dwordx2 v[2:3], off, s11
	scratch_load_dwordx2 v[4:5], off, s12
	s_add_i32 s11, s10, 0
	s_add_i32 s10, s10, 8
	s_cmp_lg_u32 s10, 32
	s_waitcnt vmcnt(0)
	v_add_u32_e32 v3, v5, v3
	v_add_u32_e32 v2, v4, v2
	scratch_store_dwordx2 off, v[2:3], s11
	s_cbranch_scc1 .LBB2151_29
; %bb.30:
	scratch_load_dwordx4 v[2:5], off, off
	scratch_load_dwordx4 v[6:9], off, off offset:16
.LBB2151_31:
	s_or_b64 exec, exec, s[8:9]
	scratch_load_ubyte v11, off, off offset:392
	s_waitcnt vmcnt(2)
	scratch_store_dwordx4 off, v[2:5], off offset:112
	s_waitcnt vmcnt(2)
	scratch_store_dwordx4 off, v[6:9], off offset:128
                                        ; implicit-def: $vgpr8_vgpr9
                                        ; implicit-def: $vgpr4_vgpr5
	s_waitcnt vmcnt(2)
	v_cmp_ne_u16_e32 vcc, 0, v11
	s_and_saveexec_b64 s[8:9], vcc
	s_xor_b64 s[8:9], exec, s[8:9]
	s_cbranch_execz .LBB2151_33
; %bb.32:
	scratch_load_dwordx4 v[2:5], off, off offset:360
	scratch_load_dwordx4 v[6:9], off, off offset:376
.LBB2151_33:
	s_andn2_saveexec_b64 s[8:9], s[8:9]
	s_cbranch_execz .LBB2151_39
; %bb.34:
	s_waitcnt vmcnt(1)
	v_mov_b32_e32 v2, 0
	s_mov_b32 s10, 0
	v_mov_b32_e32 v3, v2
.LBB2151_35:                            ; =>This Inner Loop Header: Depth=1
	s_add_i32 s11, s10, 0
	s_add_i32 s10, s10, 8
	s_cmp_lg_u32 s10, 32
	scratch_store_dwordx2 off, v[2:3], s11
	s_cbranch_scc1 .LBB2151_35
; %bb.36:
	s_mov_b32 s10, 0
.LBB2151_37:                            ; =>This Inner Loop Header: Depth=1
	s_add_i32 s11, s10, 0x70
	s_add_i32 s12, s33, s10
	scratch_load_dwordx2 v[2:3], off, s11
	scratch_load_dwordx2 v[4:5], off, s12
	s_add_i32 s11, s10, 0
	s_add_i32 s10, s10, 8
	s_cmp_lg_u32 s10, 32
	s_waitcnt vmcnt(0)
	v_add_u32_e32 v3, v5, v3
	v_add_u32_e32 v2, v4, v2
	scratch_store_dwordx2 off, v[2:3], s11
	s_cbranch_scc1 .LBB2151_37
; %bb.38:
	scratch_load_dwordx4 v[2:5], off, off
	scratch_load_dwordx4 v[6:9], off, off offset:16
.LBB2151_39:
	s_or_b64 exec, exec, s[8:9]
	scratch_load_ushort v14, off, off offset:145
	scratch_load_sbyte v15, off, off offset:147
	v_or_b32_e32 v17, v11, v10
	s_waitcnt vmcnt(3)
	v_mov_b32_dpp v10, v2 row_shr:1 row_mask:0xf bank_mask:0xf
	v_mov_b32_dpp v11, v3 row_shr:1 row_mask:0xf bank_mask:0xf
	;; [unrolled: 1-line block ×4, first 2 shown]
	v_or_b32_e32 v17, v17, v1
	v_mbcnt_lo_u32_b32 v22, -1, 0
	scratch_store_dwordx4 off, v[2:5], off offset:208
	s_waitcnt vmcnt(3)
	scratch_store_dwordx4 off, v[6:9], off offset:224
	v_mov_b32_dpp v18, v6 row_shr:1 row_mask:0xf bank_mask:0xf
	v_mov_b32_dpp v19, v7 row_shr:1 row_mask:0xf bank_mask:0xf
	;; [unrolled: 1-line block ×4, first 2 shown]
	scratch_store_dwordx4 off, v[10:13], off offset:112
	scratch_store_dwordx4 off, v[18:21], off offset:128
	v_mbcnt_hi_u32_b32 v1, -1, v22
	v_and_b32_e32 v10, 1, v17
	v_and_b32_e32 v13, 15, v1
	v_cmp_ne_u32_e32 vcc, 0, v13
	s_waitcnt vmcnt(5)
	v_lshrrev_b32_e32 v11, 8, v14
	v_lshlrev_b16_e32 v12, 8, v14
	s_waitcnt vmcnt(4)
	v_lshlrev_b16_e32 v14, 8, v15
	v_or_b32_e32 v12, v10, v12
	v_or_b32_sdwa v10, v11, v14 dst_sel:WORD_1 dst_unused:UNUSED_PAD src0_sel:BYTE_0 src1_sel:DWORD
	s_nop 0
	v_or_b32_sdwa v14, v12, v10 dst_sel:DWORD dst_unused:UNUSED_PAD src0_sel:WORD_0 src1_sel:DWORD
	scratch_store_dword off, v14, off offset:240
	s_nop 0
	v_mov_b32_dpp v15, v14 row_shr:1 row_mask:0xf bank_mask:0xf
	scratch_store_dword off, v15, off offset:144
	s_and_saveexec_b64 s[8:9], vcc
	s_cbranch_execz .LBB2151_47
; %bb.40:
	v_mov_b32_e32 v10, 0
	v_cmp_eq_u16_sdwa s[12:13], v12, v10 src0_sel:BYTE_0 src1_sel:DWORD
	s_and_saveexec_b64 s[10:11], s[12:13]
	s_cbranch_execz .LBB2151_46
; %bb.41:
	s_mov_b32 s12, 0
	v_mov_b32_e32 v11, v10
.LBB2151_42:                            ; =>This Inner Loop Header: Depth=1
	s_add_i32 s13, s12, 0
	s_add_i32 s12, s12, 8
	s_cmp_lg_u32 s12, 32
	scratch_store_dwordx2 off, v[10:11], s13
	s_cbranch_scc1 .LBB2151_42
; %bb.43:
	s_mov_b32 s12, 0
.LBB2151_44:                            ; =>This Inner Loop Header: Depth=1
	s_add_i32 s13, s12, 0x70
	s_add_i32 s24, s12, 0xd0
	scratch_load_dwordx2 v[2:3], off, s13
	scratch_load_dwordx2 v[4:5], off, s24
	s_add_i32 s13, s12, 0
	s_add_i32 s12, s12, 8
	s_cmp_lg_u32 s12, 32
	s_waitcnt vmcnt(0)
	v_add_u32_e32 v3, v5, v3
	v_add_u32_e32 v2, v4, v2
	scratch_store_dwordx2 off, v[2:3], s13
	s_cbranch_scc1 .LBB2151_44
; %bb.45:
	scratch_load_dwordx4 v[2:5], off, off
	scratch_load_dwordx4 v[6:9], off, off offset:16
.LBB2151_46:
	s_or_b64 exec, exec, s[10:11]
	v_or_b32_e32 v10, v15, v14
	v_and_b32_e32 v10, 1, v10
	scratch_store_byte off, v10, off offset:240
	scratch_load_dword v14, off, off offset:240
	s_waitcnt vmcnt(3)
	scratch_store_dwordx4 off, v[2:5], off offset:208
	s_waitcnt vmcnt(3)
	scratch_store_dwordx4 off, v[6:9], off offset:224
	s_waitcnt vmcnt(2)
	v_mov_b32_e32 v12, v14
.LBB2151_47:
	s_or_b64 exec, exec, s[8:9]
	v_mov_b32_dpp v18, v2 row_shr:2 row_mask:0xf bank_mask:0xf
	v_mov_b32_dpp v19, v3 row_shr:2 row_mask:0xf bank_mask:0xf
	;; [unrolled: 1-line block ×5, first 2 shown]
	v_cmp_lt_u32_e32 vcc, 1, v13
	v_mov_b32_dpp v22, v6 row_shr:2 row_mask:0xf bank_mask:0xf
	v_mov_b32_dpp v23, v7 row_shr:2 row_mask:0xf bank_mask:0xf
	;; [unrolled: 1-line block ×4, first 2 shown]
	scratch_store_dwordx4 off, v[18:21], off offset:112
	scratch_store_dwordx4 off, v[22:25], off offset:128
	scratch_store_dword off, v15, off offset:144
	s_and_saveexec_b64 s[10:11], vcc
	s_cbranch_execz .LBB2151_55
; %bb.48:
	v_mov_b32_e32 v10, 0
	s_mov_b32 s12, 0
	v_cmp_eq_u16_sdwa s[24:25], v12, v10 src0_sel:BYTE_0 src1_sel:DWORD
	s_and_saveexec_b64 s[8:9], s[24:25]
	s_cbranch_execz .LBB2151_54
; %bb.49:
	v_mov_b32_e32 v11, v10
.LBB2151_50:                            ; =>This Inner Loop Header: Depth=1
	s_add_i32 s13, s12, 0
	s_add_i32 s12, s12, 8
	s_cmp_lg_u32 s12, 32
	scratch_store_dwordx2 off, v[10:11], s13
	s_cbranch_scc1 .LBB2151_50
; %bb.51:
	s_mov_b32 s12, 0
.LBB2151_52:                            ; =>This Inner Loop Header: Depth=1
	s_add_i32 s13, s12, 0x70
	s_add_i32 s24, s12, 0xd0
	scratch_load_dwordx2 v[2:3], off, s13
	scratch_load_dwordx2 v[4:5], off, s24
	s_add_i32 s13, s12, 0
	s_add_i32 s12, s12, 8
	s_cmp_lg_u32 s12, 32
	s_waitcnt vmcnt(0)
	v_add_u32_e32 v3, v5, v3
	v_add_u32_e32 v2, v4, v2
	scratch_store_dwordx2 off, v[2:3], s13
	s_cbranch_scc1 .LBB2151_52
; %bb.53:
	scratch_load_dwordx4 v[2:5], off, off
	scratch_load_dwordx4 v[6:9], off, off offset:16
.LBB2151_54:
	s_or_b64 exec, exec, s[8:9]
	v_and_b32_e32 v10, 1, v12
	v_cmp_eq_u32_e32 vcc, 1, v10
	v_and_b32_e32 v10, 1, v15
	v_cmp_eq_u32_e64 s[8:9], 1, v10
	s_or_b64 s[8:9], vcc, s[8:9]
	s_nop 0
	v_cndmask_b32_e64 v10, 0, 1, s[8:9]
	scratch_store_byte off, v10, off offset:240
	scratch_load_dword v14, off, off offset:240
	s_waitcnt vmcnt(3)
	scratch_store_dwordx4 off, v[2:5], off offset:208
	s_waitcnt vmcnt(3)
	scratch_store_dwordx4 off, v[6:9], off offset:224
	s_waitcnt vmcnt(2)
	v_mov_b32_e32 v12, v14
.LBB2151_55:
	s_or_b64 exec, exec, s[10:11]
	v_mov_b32_dpp v18, v2 row_shr:4 row_mask:0xf bank_mask:0xf
	v_mov_b32_dpp v19, v3 row_shr:4 row_mask:0xf bank_mask:0xf
	;; [unrolled: 1-line block ×5, first 2 shown]
	v_cmp_lt_u32_e32 vcc, 3, v13
	v_mov_b32_dpp v22, v6 row_shr:4 row_mask:0xf bank_mask:0xf
	v_mov_b32_dpp v23, v7 row_shr:4 row_mask:0xf bank_mask:0xf
	;; [unrolled: 1-line block ×4, first 2 shown]
	scratch_store_dwordx4 off, v[18:21], off offset:112
	scratch_store_dwordx4 off, v[22:25], off offset:128
	scratch_store_dword off, v15, off offset:144
	s_and_saveexec_b64 s[10:11], vcc
	s_cbranch_execz .LBB2151_63
; %bb.56:
	v_mov_b32_e32 v10, 0
	s_mov_b32 s12, 0
	v_cmp_eq_u16_sdwa s[24:25], v12, v10 src0_sel:BYTE_0 src1_sel:DWORD
	s_and_saveexec_b64 s[8:9], s[24:25]
	s_cbranch_execz .LBB2151_62
; %bb.57:
	v_mov_b32_e32 v11, v10
.LBB2151_58:                            ; =>This Inner Loop Header: Depth=1
	s_add_i32 s13, s12, 0
	s_add_i32 s12, s12, 8
	s_cmp_lg_u32 s12, 32
	scratch_store_dwordx2 off, v[10:11], s13
	s_cbranch_scc1 .LBB2151_58
; %bb.59:
	s_mov_b32 s12, 0
.LBB2151_60:                            ; =>This Inner Loop Header: Depth=1
	s_add_i32 s13, s12, 0x70
	s_add_i32 s24, s12, 0xd0
	scratch_load_dwordx2 v[2:3], off, s13
	scratch_load_dwordx2 v[4:5], off, s24
	s_add_i32 s13, s12, 0
	s_add_i32 s12, s12, 8
	s_cmp_lg_u32 s12, 32
	s_waitcnt vmcnt(0)
	v_add_u32_e32 v3, v5, v3
	v_add_u32_e32 v2, v4, v2
	scratch_store_dwordx2 off, v[2:3], s13
	s_cbranch_scc1 .LBB2151_60
; %bb.61:
	scratch_load_dwordx4 v[2:5], off, off
	scratch_load_dwordx4 v[6:9], off, off offset:16
.LBB2151_62:
	s_or_b64 exec, exec, s[8:9]
	v_and_b32_e32 v10, 1, v12
	v_cmp_eq_u32_e32 vcc, 1, v10
	v_and_b32_e32 v10, 1, v15
	v_cmp_eq_u32_e64 s[8:9], 1, v10
	s_or_b64 s[8:9], vcc, s[8:9]
	s_nop 0
	v_cndmask_b32_e64 v10, 0, 1, s[8:9]
	scratch_store_byte off, v10, off offset:240
	scratch_load_dword v14, off, off offset:240
	s_waitcnt vmcnt(3)
	scratch_store_dwordx4 off, v[2:5], off offset:208
	s_waitcnt vmcnt(3)
	scratch_store_dwordx4 off, v[6:9], off offset:224
	s_waitcnt vmcnt(2)
	v_mov_b32_e32 v12, v14
.LBB2151_63:
	s_or_b64 exec, exec, s[10:11]
	v_mov_b32_dpp v18, v2 row_shr:8 row_mask:0xf bank_mask:0xf
	v_mov_b32_dpp v19, v3 row_shr:8 row_mask:0xf bank_mask:0xf
	;; [unrolled: 1-line block ×5, first 2 shown]
	v_cmp_lt_u32_e32 vcc, 7, v13
	v_mov_b32_dpp v22, v6 row_shr:8 row_mask:0xf bank_mask:0xf
	v_mov_b32_dpp v23, v7 row_shr:8 row_mask:0xf bank_mask:0xf
	;; [unrolled: 1-line block ×4, first 2 shown]
	scratch_store_dwordx4 off, v[18:21], off offset:112
	scratch_store_dwordx4 off, v[22:25], off offset:128
	scratch_store_dword off, v15, off offset:144
	s_and_saveexec_b64 s[10:11], vcc
	s_cbranch_execz .LBB2151_71
; %bb.64:
	v_mov_b32_e32 v10, 0
	s_mov_b32 s12, 0
	v_cmp_eq_u16_sdwa s[24:25], v12, v10 src0_sel:BYTE_0 src1_sel:DWORD
	s_and_saveexec_b64 s[8:9], s[24:25]
	s_cbranch_execz .LBB2151_70
; %bb.65:
	v_mov_b32_e32 v11, v10
.LBB2151_66:                            ; =>This Inner Loop Header: Depth=1
	s_add_i32 s13, s12, 0
	s_add_i32 s12, s12, 8
	s_cmp_lg_u32 s12, 32
	scratch_store_dwordx2 off, v[10:11], s13
	s_cbranch_scc1 .LBB2151_66
; %bb.67:
	s_mov_b32 s12, 0
.LBB2151_68:                            ; =>This Inner Loop Header: Depth=1
	s_add_i32 s13, s12, 0x70
	s_add_i32 s24, s12, 0xd0
	scratch_load_dwordx2 v[2:3], off, s13
	scratch_load_dwordx2 v[4:5], off, s24
	s_add_i32 s13, s12, 0
	s_add_i32 s12, s12, 8
	s_cmp_lg_u32 s12, 32
	s_waitcnt vmcnt(0)
	v_add_u32_e32 v3, v5, v3
	v_add_u32_e32 v2, v4, v2
	scratch_store_dwordx2 off, v[2:3], s13
	s_cbranch_scc1 .LBB2151_68
; %bb.69:
	scratch_load_dwordx4 v[2:5], off, off
	scratch_load_dwordx4 v[6:9], off, off offset:16
.LBB2151_70:
	s_or_b64 exec, exec, s[8:9]
	v_and_b32_e32 v10, 1, v12
	v_cmp_eq_u32_e32 vcc, 1, v10
	v_and_b32_e32 v10, 1, v15
	v_cmp_eq_u32_e64 s[8:9], 1, v10
	s_or_b64 s[8:9], vcc, s[8:9]
	s_nop 0
	v_cndmask_b32_e64 v10, 0, 1, s[8:9]
	scratch_store_byte off, v10, off offset:240
	scratch_load_dword v14, off, off offset:240
	s_waitcnt vmcnt(3)
	scratch_store_dwordx4 off, v[2:5], off offset:208
	s_waitcnt vmcnt(3)
	scratch_store_dwordx4 off, v[6:9], off offset:224
	s_waitcnt vmcnt(2)
	v_mov_b32_e32 v12, v14
.LBB2151_71:
	s_or_b64 exec, exec, s[10:11]
	v_and_b32_e32 v10, 16, v1
	v_mov_b32_dpp v18, v2 row_bcast:15 row_mask:0xf bank_mask:0xf
	v_mov_b32_dpp v19, v3 row_bcast:15 row_mask:0xf bank_mask:0xf
	;; [unrolled: 1-line block ×5, first 2 shown]
	v_cmp_ne_u32_e32 vcc, 0, v10
	v_mov_b32_dpp v22, v6 row_bcast:15 row_mask:0xf bank_mask:0xf
	v_mov_b32_dpp v23, v7 row_bcast:15 row_mask:0xf bank_mask:0xf
	v_mov_b32_dpp v24, v8 row_bcast:15 row_mask:0xf bank_mask:0xf
	v_mov_b32_dpp v25, v9 row_bcast:15 row_mask:0xf bank_mask:0xf
	scratch_store_dwordx4 off, v[18:21], off offset:112
	scratch_store_dwordx4 off, v[22:25], off offset:128
	scratch_store_dword off, v13, off offset:144
	s_and_saveexec_b64 s[10:11], vcc
	s_cbranch_execz .LBB2151_79
; %bb.72:
	v_mov_b32_e32 v10, 0
	s_mov_b32 s12, 0
	v_cmp_eq_u16_sdwa s[24:25], v12, v10 src0_sel:BYTE_0 src1_sel:DWORD
	s_and_saveexec_b64 s[8:9], s[24:25]
	s_cbranch_execz .LBB2151_78
; %bb.73:
	v_mov_b32_e32 v11, v10
.LBB2151_74:                            ; =>This Inner Loop Header: Depth=1
	s_add_i32 s13, s12, 0
	s_add_i32 s12, s12, 8
	s_cmp_lg_u32 s12, 32
	scratch_store_dwordx2 off, v[10:11], s13
	s_cbranch_scc1 .LBB2151_74
; %bb.75:
	s_mov_b32 s12, 0
.LBB2151_76:                            ; =>This Inner Loop Header: Depth=1
	s_add_i32 s13, s12, 0x70
	s_add_i32 s24, s12, 0xd0
	scratch_load_dwordx2 v[2:3], off, s13
	scratch_load_dwordx2 v[4:5], off, s24
	s_add_i32 s13, s12, 0
	s_add_i32 s12, s12, 8
	s_cmp_lg_u32 s12, 32
	s_waitcnt vmcnt(0)
	v_add_u32_e32 v3, v5, v3
	v_add_u32_e32 v2, v4, v2
	scratch_store_dwordx2 off, v[2:3], s13
	s_cbranch_scc1 .LBB2151_76
; %bb.77:
	scratch_load_dwordx4 v[2:5], off, off
	scratch_load_dwordx4 v[6:9], off, off offset:16
.LBB2151_78:
	s_or_b64 exec, exec, s[8:9]
	v_and_b32_e32 v10, 1, v12
	v_cmp_eq_u32_e32 vcc, 1, v10
	v_and_b32_e32 v10, 1, v13
	v_cmp_eq_u32_e64 s[8:9], 1, v10
	s_or_b64 s[8:9], vcc, s[8:9]
	s_nop 0
	v_cndmask_b32_e64 v10, 0, 1, s[8:9]
	scratch_store_byte off, v10, off offset:240
	scratch_load_dword v14, off, off offset:240
	s_waitcnt vmcnt(3)
	scratch_store_dwordx4 off, v[2:5], off offset:208
	s_waitcnt vmcnt(3)
	scratch_store_dwordx4 off, v[6:9], off offset:224
	s_waitcnt vmcnt(2)
	v_mov_b32_e32 v12, v14
.LBB2151_79:
	s_or_b64 exec, exec, s[10:11]
	v_mov_b32_dpp v18, v2 row_bcast:31 row_mask:0xf bank_mask:0xf
	v_mov_b32_dpp v19, v3 row_bcast:31 row_mask:0xf bank_mask:0xf
	;; [unrolled: 1-line block ×5, first 2 shown]
	v_cmp_lt_u32_e32 vcc, 31, v1
	v_mov_b32_dpp v22, v6 row_bcast:31 row_mask:0xf bank_mask:0xf
	v_mov_b32_dpp v23, v7 row_bcast:31 row_mask:0xf bank_mask:0xf
	;; [unrolled: 1-line block ×4, first 2 shown]
	scratch_store_dwordx4 off, v[18:21], off offset:112
	scratch_store_dwordx4 off, v[22:25], off offset:128
	scratch_store_dword off, v13, off offset:144
	s_and_saveexec_b64 s[10:11], vcc
	s_cbranch_execz .LBB2151_87
; %bb.80:
	v_mov_b32_e32 v10, 0
	s_mov_b32 s12, 0
	v_cmp_eq_u16_sdwa s[24:25], v12, v10 src0_sel:BYTE_0 src1_sel:DWORD
	s_and_saveexec_b64 s[8:9], s[24:25]
	s_cbranch_execz .LBB2151_86
; %bb.81:
	v_mov_b32_e32 v11, v10
.LBB2151_82:                            ; =>This Inner Loop Header: Depth=1
	s_add_i32 s13, s12, 0
	s_add_i32 s12, s12, 8
	s_cmp_lg_u32 s12, 32
	scratch_store_dwordx2 off, v[10:11], s13
	s_cbranch_scc1 .LBB2151_82
; %bb.83:
	s_mov_b32 s12, 0
.LBB2151_84:                            ; =>This Inner Loop Header: Depth=1
	s_add_i32 s13, s12, 0x70
	s_add_i32 s24, s12, 0xd0
	scratch_load_dwordx2 v[2:3], off, s13
	scratch_load_dwordx2 v[4:5], off, s24
	s_add_i32 s13, s12, 0
	s_add_i32 s12, s12, 8
	s_cmp_lg_u32 s12, 32
	s_waitcnt vmcnt(0)
	v_add_u32_e32 v3, v5, v3
	v_add_u32_e32 v2, v4, v2
	scratch_store_dwordx2 off, v[2:3], s13
	s_cbranch_scc1 .LBB2151_84
; %bb.85:
	scratch_load_dwordx4 v[2:5], off, off
	scratch_load_dwordx4 v[6:9], off, off offset:16
.LBB2151_86:
	s_or_b64 exec, exec, s[8:9]
	v_and_b32_e32 v10, 1, v12
	v_cmp_eq_u32_e32 vcc, 1, v10
	v_and_b32_e32 v10, 1, v13
	v_cmp_eq_u32_e64 s[8:9], 1, v10
	s_or_b64 s[8:9], vcc, s[8:9]
	s_nop 0
	v_cndmask_b32_e64 v12, 0, 1, s[8:9]
	s_waitcnt vmcnt(1)
	scratch_store_dwordx4 off, v[2:5], off offset:208
	s_waitcnt vmcnt(1)
	scratch_store_dwordx4 off, v[6:9], off offset:224
	scratch_store_byte off, v12, off offset:240
.LBB2151_87:
	s_or_b64 exec, exec, s[10:11]
	v_or_b32_e32 v10, 63, v16
	v_lshrrev_b32_e32 v13, 6, v16
	v_cmp_eq_u32_e32 vcc, v10, v16
	s_and_saveexec_b64 s[8:9], vcc
	s_cbranch_execz .LBB2151_89
; %bb.88:
	v_mul_u32_u24_e32 v10, 36, v13
	ds_write2_b32 v10, v2, v3 offset1:1
	ds_write2_b32 v10, v4, v5 offset0:2 offset1:3
	ds_write2_b32 v10, v6, v7 offset0:4 offset1:5
	;; [unrolled: 1-line block ×3, first 2 shown]
	ds_write_b8 v10, v12 offset:32
.LBB2151_89:
	s_or_b64 exec, exec, s[8:9]
	v_cmp_gt_u32_e32 vcc, 4, v16
	s_waitcnt lgkmcnt(0)
	s_barrier
	s_and_saveexec_b64 s[10:11], vcc
	s_cbranch_execz .LBB2151_107
; %bb.90:
	v_mul_u32_u24_e32 v12, 36, v16
	ds_read_b32 v14, v12 offset:32
	ds_read2_b32 v[6:7], v12 offset0:4 offset1:5
	ds_read2_b32 v[4:5], v12 offset0:2 offset1:3
	ds_read2_b32 v[2:3], v12 offset1:1
	ds_read2_b32 v[8:9], v12 offset0:6 offset1:7
	v_and_b32_e32 v15, 3, v1
	s_waitcnt lgkmcnt(4)
	v_mov_b32_dpp v17, v14 row_shr:1 row_mask:0xf bank_mask:0xf
	s_waitcnt lgkmcnt(2)
	v_mov_b32_dpp v20, v4 row_shr:1 row_mask:0xf bank_mask:0xf
	;; [unrolled: 2-line block ×3, first 2 shown]
	v_mov_b32_dpp v19, v3 row_shr:1 row_mask:0xf bank_mask:0xf
	v_mov_b32_dpp v21, v5 row_shr:1 row_mask:0xf bank_mask:0xf
	v_cmp_ne_u32_e32 vcc, 0, v15
	scratch_store_dword off, v14, off offset:32
	scratch_store_dwordx4 off, v[2:5], off
	s_waitcnt lgkmcnt(0)
	scratch_store_dwordx4 off, v[6:9], off offset:16
	v_mov_b32_dpp v22, v6 row_shr:1 row_mask:0xf bank_mask:0xf
	v_mov_b32_dpp v23, v7 row_shr:1 row_mask:0xf bank_mask:0xf
	;; [unrolled: 1-line block ×4, first 2 shown]
	scratch_store_dwordx4 off, v[18:21], off offset:112
	scratch_store_dwordx4 off, v[22:25], off offset:128
	scratch_store_dword off, v17, off offset:144
	s_and_saveexec_b64 s[8:9], vcc
	s_cbranch_execz .LBB2151_98
; %bb.91:
	v_mov_b32_e32 v10, 0
	v_cmp_eq_u16_sdwa s[24:25], v14, v10 src0_sel:BYTE_0 src1_sel:DWORD
	s_and_saveexec_b64 s[12:13], s[24:25]
	s_cbranch_execz .LBB2151_97
; %bb.92:
	s_mov_b32 s24, 0
	v_mov_b32_e32 v11, v10
.LBB2151_93:                            ; =>This Inner Loop Header: Depth=1
	s_add_i32 s25, s24, 36
	s_add_i32 s24, s24, 8
	s_cmp_lg_u32 s24, 32
	scratch_store_dwordx2 off, v[10:11], s25
	s_cbranch_scc1 .LBB2151_93
; %bb.94:
	s_mov_b32 s24, 0
.LBB2151_95:                            ; =>This Inner Loop Header: Depth=1
	s_add_i32 s25, s24, 0x70
	s_add_i32 s28, s24, 0
	scratch_load_dwordx2 v[2:3], off, s25
	scratch_load_dwordx2 v[4:5], off, s28
	s_add_i32 s25, s24, 36
	s_add_i32 s24, s24, 8
	s_cmp_lg_u32 s24, 32
	s_waitcnt vmcnt(0)
	v_add_u32_e32 v3, v5, v3
	v_add_u32_e32 v2, v4, v2
	scratch_store_dwordx2 off, v[2:3], s25
	s_cbranch_scc1 .LBB2151_95
; %bb.96:
	scratch_load_dwordx4 v[2:5], off, off offset:36
	scratch_load_dwordx4 v[6:9], off, off offset:52
.LBB2151_97:
	s_or_b64 exec, exec, s[12:13]
	v_or_b32_e32 v10, v17, v14
	v_and_b32_e32 v10, 1, v10
	scratch_store_byte off, v10, off offset:32
	scratch_load_dword v14, off, off offset:32
	s_waitcnt vmcnt(3)
	scratch_store_dwordx4 off, v[2:5], off
	s_waitcnt vmcnt(3)
	scratch_store_dwordx4 off, v[6:9], off offset:16
.LBB2151_98:
	s_or_b64 exec, exec, s[8:9]
	v_mov_b32_dpp v18, v2 row_shr:2 row_mask:0xf bank_mask:0xf
	v_mov_b32_dpp v19, v3 row_shr:2 row_mask:0xf bank_mask:0xf
	;; [unrolled: 1-line block ×4, first 2 shown]
	s_waitcnt vmcnt(2)
	v_mov_b32_dpp v17, v14 row_shr:2 row_mask:0xf bank_mask:0xf
	v_cmp_lt_u32_e32 vcc, 1, v15
	v_mov_b32_dpp v22, v6 row_shr:2 row_mask:0xf bank_mask:0xf
	v_mov_b32_dpp v23, v7 row_shr:2 row_mask:0xf bank_mask:0xf
	;; [unrolled: 1-line block ×4, first 2 shown]
	scratch_store_dwordx4 off, v[18:21], off offset:112
	scratch_store_dwordx4 off, v[22:25], off offset:128
	scratch_store_dword off, v17, off offset:144
	s_and_saveexec_b64 s[12:13], vcc
	s_cbranch_execz .LBB2151_106
; %bb.99:
	v_mov_b32_e32 v10, 0
	s_mov_b32 s24, 0
	v_cmp_eq_u16_sdwa s[28:29], v14, v10 src0_sel:BYTE_0 src1_sel:DWORD
	s_and_saveexec_b64 s[8:9], s[28:29]
	s_cbranch_execz .LBB2151_105
; %bb.100:
	v_mov_b32_e32 v11, v10
.LBB2151_101:                           ; =>This Inner Loop Header: Depth=1
	s_add_i32 s25, s24, 36
	s_add_i32 s24, s24, 8
	s_cmp_lg_u32 s24, 32
	scratch_store_dwordx2 off, v[10:11], s25
	s_cbranch_scc1 .LBB2151_101
; %bb.102:
	s_mov_b32 s24, 0
.LBB2151_103:                           ; =>This Inner Loop Header: Depth=1
	s_add_i32 s25, s24, 0x70
	s_add_i32 s28, s24, 0
	scratch_load_dwordx2 v[2:3], off, s25
	scratch_load_dwordx2 v[4:5], off, s28
	s_add_i32 s25, s24, 36
	s_add_i32 s24, s24, 8
	s_cmp_lg_u32 s24, 32
	s_waitcnt vmcnt(0)
	v_add_u32_e32 v3, v5, v3
	v_add_u32_e32 v2, v4, v2
	scratch_store_dwordx2 off, v[2:3], s25
	s_cbranch_scc1 .LBB2151_103
; %bb.104:
	scratch_load_dwordx4 v[2:5], off, off offset:36
	scratch_load_dwordx4 v[6:9], off, off offset:52
.LBB2151_105:
	s_or_b64 exec, exec, s[8:9]
	v_and_b32_e32 v10, 1, v14
	v_cmp_eq_u32_e32 vcc, 1, v10
	v_and_b32_e32 v10, 1, v17
	v_cmp_eq_u32_e64 s[8:9], 1, v10
	s_or_b64 s[8:9], vcc, s[8:9]
	s_waitcnt vmcnt(1)
	scratch_store_dwordx4 off, v[2:5], off
	s_waitcnt vmcnt(1)
	scratch_store_dwordx4 off, v[6:9], off offset:16
	v_cndmask_b32_e64 v14, 0, 1, s[8:9]
.LBB2151_106:
	s_or_b64 exec, exec, s[12:13]
	scratch_load_dwordx4 v[2:5], off, off
	scratch_load_dwordx4 v[6:9], off, off offset:16
	s_waitcnt vmcnt(1)
	ds_write2_b32 v12, v4, v5 offset0:2 offset1:3
	ds_write2_b32 v12, v2, v3 offset1:1
	s_waitcnt vmcnt(0)
	ds_write2_b32 v12, v8, v9 offset0:6 offset1:7
	ds_write2_b32 v12, v6, v7 offset0:4 offset1:5
	ds_write_b8 v12, v14 offset:32
.LBB2151_107:
	s_or_b64 exec, exec, s[10:11]
	s_mov_b32 s8, 0
	s_mov_b32 s9, s8
	v_mov_b32_e32 v2, 0
	s_mov_b32 s10, s8
	s_mov_b32 s11, s8
	v_mov_b64_e32 v[4:5], s[8:9]
	v_mov_b64_e32 v[6:7], s[10:11]
	v_mov_b32_e32 v3, v2
	s_waitcnt lgkmcnt(0)
	s_barrier
	scratch_store_dword off, v2, off offset:144
	scratch_store_dwordx4 off, v[4:7], off offset:128
	scratch_store_dwordx4 off, v[4:7], off offset:112
.LBB2151_108:                           ; =>This Inner Loop Header: Depth=1
	s_add_i32 s9, s8, 0x70
	s_add_i32 s8, s8, 8
	s_cmp_lg_u32 s8, 32
	scratch_store_dwordx2 off, v[2:3], s9
	s_cbranch_scc1 .LBB2151_108
; %bb.109:
	v_cmp_gt_u32_e32 vcc, 64, v16
	v_cmp_lt_u32_e64 s[8:9], 63, v16
                                        ; implicit-def: $vgpr2_vgpr3
                                        ; implicit-def: $vgpr6_vgpr7
                                        ; implicit-def: $vgpr10
	s_and_saveexec_b64 s[10:11], s[8:9]
	s_xor_b64 s[10:11], exec, s[10:11]
	s_cbranch_execz .LBB2151_119
; %bb.110:
	scratch_load_ubyte v11, off, off offset:240
	v_not_b32_e32 v2, 35
	v_mad_u32_u24 v10, v13, 36, v2
	ds_read2_b32 v[2:3], v10 offset0:4 offset1:5
	ds_read2_b32 v[8:9], v10 offset0:2 offset1:3
	ds_read2_b32 v[6:7], v10 offset1:1
	ds_read2_b32 v[4:5], v10 offset0:6 offset1:7
	ds_read_u8 v10, v10 offset:32
	s_waitcnt lgkmcnt(2)
	scratch_store_dwordx4 off, v[6:9], off offset:112
	s_waitcnt lgkmcnt(1)
	scratch_store_dwordx4 off, v[2:5], off offset:128
                                        ; implicit-def: $vgpr2_vgpr3
                                        ; implicit-def: $vgpr6_vgpr7
	s_waitcnt vmcnt(2)
	v_cmp_ne_u16_e64 s[8:9], 0, v11
	s_and_saveexec_b64 s[12:13], s[8:9]
	s_xor_b64 s[8:9], exec, s[12:13]
	s_cbranch_execz .LBB2151_112
; %bb.111:
	scratch_load_dwordx4 v[2:5], off, off offset:208
	scratch_load_dwordx4 v[6:9], off, off offset:224
.LBB2151_112:
	s_andn2_saveexec_b64 s[8:9], s[8:9]
	s_cbranch_execz .LBB2151_118
; %bb.113:
	s_waitcnt vmcnt(1)
	v_mov_b32_e32 v2, 0
	s_mov_b32 s12, 0
	v_mov_b32_e32 v3, v2
.LBB2151_114:                           ; =>This Inner Loop Header: Depth=1
	s_add_i32 s13, s12, 0
	s_add_i32 s12, s12, 8
	s_cmp_lg_u32 s12, 32
	scratch_store_dwordx2 off, v[2:3], s13
	s_cbranch_scc1 .LBB2151_114
; %bb.115:
	s_mov_b32 s12, 0
.LBB2151_116:                           ; =>This Inner Loop Header: Depth=1
	s_add_i32 s13, s12, 0x70
	s_add_i32 s24, s12, 0xd0
	scratch_load_dwordx2 v[2:3], off, s13
	scratch_load_dwordx2 v[4:5], off, s24
	s_add_i32 s13, s12, 0
	s_add_i32 s12, s12, 8
	s_cmp_lg_u32 s12, 32
	s_waitcnt vmcnt(0)
	v_add_u32_e32 v3, v5, v3
	v_add_u32_e32 v2, v4, v2
	scratch_store_dwordx2 off, v[2:3], s13
	s_cbranch_scc1 .LBB2151_116
; %bb.117:
	scratch_load_dwordx4 v[2:5], off, off
	scratch_load_dwordx4 v[6:9], off, off offset:16
.LBB2151_118:
	s_or_b64 exec, exec, s[8:9]
	s_waitcnt lgkmcnt(0)
	v_or_b32_e32 v11, v11, v10
	v_and_b32_e32 v11, 1, v11
	scratch_store_byte off, v11, off offset:240
.LBB2151_119:
	s_andn2_saveexec_b64 s[8:9], s[10:11]
	s_cbranch_execz .LBB2151_121
; %bb.120:
	scratch_load_dwordx4 v[2:5], off, off offset:208
	scratch_load_dwordx4 v[6:9], off, off offset:224
	v_mov_b32_e32 v10, 0
.LBB2151_121:
	s_or_b64 exec, exec, s[8:9]
	scratch_load_dword v11, off, off offset:240
	v_add_u32_e32 v12, -1, v1
	v_and_b32_e32 v13, 64, v1
	v_cmp_lt_i32_e64 s[8:9], v12, v13
	s_nop 1
	v_cndmask_b32_e64 v12, v12, v1, s[8:9]
	v_lshlrev_b32_e32 v12, 2, v12
	s_waitcnt vmcnt(2)
	ds_bpermute_b32 v2, v12, v2
	ds_bpermute_b32 v3, v12, v3
	;; [unrolled: 1-line block ×4, first 2 shown]
	s_waitcnt vmcnt(1)
	ds_bpermute_b32 v6, v12, v6
	ds_bpermute_b32 v7, v12, v7
	;; [unrolled: 1-line block ×4, first 2 shown]
	v_cmp_eq_u32_e64 s[8:9], 0, v1
	s_waitcnt vmcnt(0)
	ds_bpermute_b32 v11, v12, v11
	s_waitcnt lgkmcnt(5)
	scratch_store_dwordx4 off, v[2:5], off offset:208
	s_waitcnt lgkmcnt(1)
	scratch_store_dwordx4 off, v[6:9], off offset:224
	s_waitcnt lgkmcnt(0)
	scratch_store_byte off, v11, off offset:240
	v_and_b32_e32 v2, 1, v11
	v_cmp_eq_u32_e64 s[12:13], 1, v2
	s_and_saveexec_b64 s[24:25], s[8:9]
	s_cbranch_execz .LBB2151_123
; %bb.122:
	scratch_load_dwordx4 v[2:5], off, off offset:112
	scratch_load_dwordx4 v[6:9], off, off offset:128
	v_and_b32_e32 v11, 1, v10
	v_cmp_eq_u32_e64 s[10:11], 1, v11
	s_andn2_b64 s[12:13], s[12:13], exec
	s_and_b64 s[10:11], s[10:11], exec
	s_or_b64 s[12:13], s[12:13], s[10:11]
	scratch_store_byte off, v10, off offset:240
	s_waitcnt vmcnt(2)
	scratch_store_dwordx4 off, v[2:5], off offset:208
	s_waitcnt vmcnt(2)
	scratch_store_dwordx4 off, v[6:9], off offset:224
.LBB2151_123:
	s_or_b64 exec, exec, s[24:25]
	s_and_saveexec_b64 s[24:25], vcc
	s_cbranch_execz .LBB2151_260
; %bb.124:
	v_mov_b32_e32 v10, 0
	ds_read2_b32 v[2:3], v10 offset0:27 offset1:28
	ds_read2_b32 v[4:5], v10 offset0:29 offset1:30
	;; [unrolled: 1-line block ×4, first 2 shown]
	ds_read_b32 v11, v10 offset:140
	s_waitcnt lgkmcnt(3)
	scratch_store_dwordx4 off, v[2:5], off offset:72
	s_waitcnt lgkmcnt(1)
	scratch_store_dwordx4 off, v[6:9], off offset:88
	s_waitcnt lgkmcnt(0)
	scratch_store_dword off, v11, off offset:104
	s_and_saveexec_b64 s[10:11], s[8:9]
	s_cbranch_execz .LBB2151_126
; %bb.125:
	v_lshrrev_b32_e32 v12, 8, v11
	s_movk_i32 s28, 0xff
	v_mov_b32_e32 v15, 8
	s_add_i32 s30, s51, 64
	v_and_b32_sdwa v14, v11, s28 dst_sel:DWORD dst_unused:UNUSED_PAD src0_sel:WORD_1 src1_sel:DWORD
	v_lshlrev_b32_sdwa v12, v15, v12 dst_sel:DWORD dst_unused:UNUSED_PAD src0_sel:DWORD src1_sel:BYTE_0
	s_mul_i32 s28, s30, 36
	v_lshrrev_b32_e32 v13, 24, v11
	v_or_b32_sdwa v11, v12, v11 dst_sel:DWORD dst_unused:UNUSED_PAD src0_sel:DWORD src1_sel:BYTE_0
	v_lshlrev_b32_e32 v12, 16, v14
	s_mul_hi_u32 s29, s30, 36
	s_add_u32 s28, s16, s28
	v_or_b32_e32 v11, v11, v12
	v_lshlrev_b32_e32 v12, 24, v13
	s_addc_u32 s29, s17, s29
	v_or_b32_e32 v11, v11, v12
	global_store_dword v10, v2, s[28:29] sc1
	global_store_dword v10, v3, s[28:29] offset:4 sc1
	global_store_dword v10, v4, s[28:29] offset:8 sc1
	;; [unrolled: 1-line block ×8, first 2 shown]
	v_mov_b32_e32 v2, s30
	v_mov_b32_e32 v3, 1
	s_waitcnt vmcnt(0)
	global_store_byte v2, v3, s[20:21] sc1
.LBB2151_126:
	s_or_b64 exec, exec, s[10:11]
	s_mov_b32 s28, 0
	s_mov_b32 s29, s28
	;; [unrolled: 1-line block ×4, first 2 shown]
	v_mov_b64_e32 v[2:3], s[28:29]
	v_mov_b64_e32 v[4:5], s[30:31]
	v_mov_b32_e32 v11, v10
	scratch_store_dword off, v10, off offset:68
	scratch_store_dwordx4 off, v[2:5], off offset:52
	scratch_store_dwordx4 off, v[2:5], off offset:36
.LBB2151_127:                           ; =>This Inner Loop Header: Depth=1
	s_add_i32 s10, s28, 36
	s_add_i32 s28, s28, 8
	s_cmp_lg_u32 s28, 32
	scratch_store_dwordx2 off, v[10:11], s10
	s_cbranch_scc1 .LBB2151_127
; %bb.128:
	v_mov_b32_e32 v3, 0
	v_xad_u32 v10, v1, -1, s51
	scratch_store_byte off, v3, off offset:68
	v_add_u32_e32 v2, 64, v10
	global_load_ubyte v17, v2, s[20:21] sc1
	s_waitcnt vmcnt(0)
	v_cmp_eq_u16_e32 vcc, 0, v17
	s_and_saveexec_b64 s[10:11], vcc
	s_cbranch_execz .LBB2151_132
; %bb.129:
	v_lshl_add_u64 v[4:5], s[20:21], 0, v[2:3]
	s_mov_b64 s[28:29], 0
.LBB2151_130:                           ; =>This Inner Loop Header: Depth=1
	global_load_ubyte v17, v[4:5], off sc1
	s_waitcnt vmcnt(0)
	v_cmp_ne_u16_e32 vcc, 0, v17
	s_or_b64 s[28:29], vcc, s[28:29]
	s_andn2_b64 exec, exec, s[28:29]
	s_cbranch_execnz .LBB2151_130
; %bb.131:
	s_or_b64 exec, exec, s[28:29]
.LBB2151_132:
	s_or_b64 exec, exec, s[10:11]
	v_mov_b32_e32 v3, s19
	v_mov_b32_e32 v4, s17
	v_cmp_eq_u16_e32 vcc, 1, v17
	s_waitcnt vmcnt(0)
	s_nop 0
	v_cndmask_b32_e32 v5, v3, v4, vcc
	v_mov_b32_e32 v3, s18
	v_mov_b32_e32 v4, s16
	v_cndmask_b32_e32 v4, v3, v4, vcc
	v_mad_u64_u32 v[12:13], s[10:11], v2, 36, v[4:5]
	global_load_dword v2, v[12:13], off sc1
	global_load_dword v3, v[12:13], off offset:4 sc1
	global_load_dword v4, v[12:13], off offset:8 sc1
	;; [unrolled: 1-line block ×8, first 2 shown]
	v_mov_b32_e32 v12, 0
	s_mov_b32 s10, 0
	v_mov_b32_e32 v13, v12
	scratch_store_dword off, v12, off offset:144
	s_waitcnt vmcnt(6)
	scratch_store_dwordx4 off, v[2:5], off offset:36
	s_waitcnt vmcnt(3)
	scratch_store_dwordx4 off, v[6:9], off offset:52
	s_waitcnt vmcnt(3)
	scratch_store_byte off, v11, off offset:68
.LBB2151_133:                           ; =>This Inner Loop Header: Depth=1
	s_add_i32 s11, s10, 0x70
	s_add_i32 s10, s10, 8
	s_cmp_lg_u32 s10, 32
	scratch_store_dwordx2 off, v[12:13], s11
	s_cbranch_scc1 .LBB2151_133
; %bb.134:
	scratch_load_dword v30, off, off offset:68
	v_lshlrev_b64 v[12:13], v1, -1
	v_cmp_eq_u16_e32 vcc, 2, v17
	v_and_b32_e32 v18, 63, v1
	s_nop 0
	v_and_b32_e32 v11, vcc_hi, v13
	v_and_b32_e32 v14, vcc_lo, v12
	v_cmp_ne_u32_e32 vcc, 63, v18
	v_or_b32_e32 v11, 0x80000000, v11
	v_ffbl_b32_e32 v11, v11
	v_addc_co_u32_e32 v15, vcc, 0, v1, vcc
	v_lshlrev_b32_e32 v19, 2, v15
	ds_bpermute_b32 v22, v19, v2
	ds_bpermute_b32 v23, v19, v3
	;; [unrolled: 1-line block ×8, first 2 shown]
	v_add_u32_e32 v11, 32, v11
	v_ffbl_b32_e32 v14, v14
	v_min_u32_e32 v11, v14, v11
	v_cmp_lt_u32_e32 vcc, v18, v11
	s_waitcnt lgkmcnt(4)
	scratch_store_dwordx4 off, v[22:25], off offset:112
	s_waitcnt lgkmcnt(0)
	scratch_store_dwordx4 off, v[26:29], off offset:128
	s_waitcnt vmcnt(2)
	ds_bpermute_b32 v20, v19, v30
	s_and_saveexec_b64 s[10:11], vcc
	s_cbranch_execz .LBB2151_142
; %bb.135:
	v_mov_b32_e32 v14, 0
	v_cmp_eq_u16_sdwa s[30:31], v30, v14 src0_sel:BYTE_0 src1_sel:DWORD
	s_and_saveexec_b64 s[28:29], s[30:31]
	s_cbranch_execz .LBB2151_141
; %bb.136:
	s_mov_b32 s30, 0
	v_mov_b32_e32 v15, v14
.LBB2151_137:                           ; =>This Inner Loop Header: Depth=1
	s_add_i32 s31, s30, 0
	s_add_i32 s30, s30, 8
	s_cmp_lg_u32 s30, 32
	scratch_store_dwordx2 off, v[14:15], s31
	s_cbranch_scc1 .LBB2151_137
; %bb.138:
	s_mov_b32 s30, 0
.LBB2151_139:                           ; =>This Inner Loop Header: Depth=1
	s_add_i32 s31, s30, 0x70
	s_add_i32 s38, s30, 36
	scratch_load_dwordx2 v[2:3], off, s31
	scratch_load_dwordx2 v[4:5], off, s38
	s_add_i32 s31, s30, 0
	s_add_i32 s30, s30, 8
	s_cmp_lg_u32 s30, 32
	s_waitcnt vmcnt(0)
	v_add_u32_e32 v3, v5, v3
	v_add_u32_e32 v2, v4, v2
	scratch_store_dwordx2 off, v[2:3], s31
	s_cbranch_scc1 .LBB2151_139
; %bb.140:
	scratch_load_dwordx4 v[2:5], off, off
	scratch_load_dwordx4 v[6:9], off, off offset:16
.LBB2151_141:
	s_or_b64 exec, exec, s[28:29]
	s_waitcnt lgkmcnt(0)
	v_or_b32_e32 v14, v20, v30
	v_and_b32_e32 v14, 1, v14
	scratch_store_byte off, v14, off offset:68
	scratch_load_dword v30, off, off offset:68
	s_waitcnt vmcnt(3)
	scratch_store_dwordx4 off, v[2:5], off offset:36
	s_waitcnt vmcnt(3)
	scratch_store_dwordx4 off, v[6:9], off offset:52
.LBB2151_142:
	s_or_b64 exec, exec, s[10:11]
	v_cmp_gt_u32_e32 vcc, 62, v18
	v_add_u32_e32 v21, 2, v18
	s_nop 0
	v_cndmask_b32_e64 v14, 0, 1, vcc
	v_lshlrev_b32_e32 v14, 1, v14
	s_waitcnt lgkmcnt(0)
	v_add_lshl_u32 v20, v14, v1, 2
	ds_bpermute_b32 v24, v20, v2
	ds_bpermute_b32 v25, v20, v3
	;; [unrolled: 1-line block ×4, first 2 shown]
	s_waitcnt vmcnt(2)
	ds_bpermute_b32 v22, v20, v30
	ds_bpermute_b32 v32, v20, v6
	;; [unrolled: 1-line block ×5, first 2 shown]
	v_cmp_le_u32_e32 vcc, v21, v11
	s_waitcnt lgkmcnt(5)
	scratch_store_dwordx4 off, v[24:27], off offset:112
	s_waitcnt lgkmcnt(0)
	scratch_store_dwordx4 off, v[32:35], off offset:128
	s_and_saveexec_b64 s[28:29], vcc
	s_cbranch_execz .LBB2151_150
; %bb.143:
	v_mov_b32_e32 v14, 0
	s_mov_b32 s30, 0
	v_cmp_eq_u16_sdwa s[38:39], v30, v14 src0_sel:BYTE_0 src1_sel:DWORD
	s_and_saveexec_b64 s[10:11], s[38:39]
	s_cbranch_execz .LBB2151_149
; %bb.144:
	v_mov_b32_e32 v15, v14
.LBB2151_145:                           ; =>This Inner Loop Header: Depth=1
	s_add_i32 s31, s30, 0
	s_add_i32 s30, s30, 8
	s_cmp_lg_u32 s30, 32
	scratch_store_dwordx2 off, v[14:15], s31
	s_cbranch_scc1 .LBB2151_145
; %bb.146:
	s_mov_b32 s30, 0
.LBB2151_147:                           ; =>This Inner Loop Header: Depth=1
	s_add_i32 s31, s30, 0x70
	s_add_i32 s38, s30, 36
	scratch_load_dwordx2 v[2:3], off, s31
	scratch_load_dwordx2 v[4:5], off, s38
	s_add_i32 s31, s30, 0
	s_add_i32 s30, s30, 8
	s_cmp_lg_u32 s30, 32
	s_waitcnt vmcnt(0)
	v_add_u32_e32 v3, v5, v3
	v_add_u32_e32 v2, v4, v2
	scratch_store_dwordx2 off, v[2:3], s31
	s_cbranch_scc1 .LBB2151_147
; %bb.148:
	scratch_load_dwordx4 v[2:5], off, off
	scratch_load_dwordx4 v[6:9], off, off offset:16
.LBB2151_149:
	s_or_b64 exec, exec, s[10:11]
	v_and_b32_e32 v14, 1, v30
	v_cmp_eq_u32_e32 vcc, 1, v14
	v_and_b32_e32 v14, 1, v22
	v_cmp_eq_u32_e64 s[10:11], 1, v14
	s_or_b64 s[10:11], vcc, s[10:11]
	s_nop 0
	v_cndmask_b32_e64 v14, 0, 1, s[10:11]
	scratch_store_byte off, v14, off offset:68
	scratch_load_dword v30, off, off offset:68
	s_waitcnt vmcnt(3)
	scratch_store_dwordx4 off, v[2:5], off offset:36
	s_waitcnt vmcnt(3)
	scratch_store_dwordx4 off, v[6:9], off offset:52
.LBB2151_150:
	s_or_b64 exec, exec, s[28:29]
	v_cmp_gt_u32_e32 vcc, 60, v18
	v_add_u32_e32 v23, 4, v18
	s_nop 0
	v_cndmask_b32_e64 v14, 0, 1, vcc
	v_lshlrev_b32_e32 v14, 2, v14
	v_add_lshl_u32 v22, v14, v1, 2
	ds_bpermute_b32 v26, v22, v2
	ds_bpermute_b32 v27, v22, v3
	;; [unrolled: 1-line block ×4, first 2 shown]
	s_waitcnt vmcnt(2)
	ds_bpermute_b32 v24, v22, v30
	ds_bpermute_b32 v32, v22, v6
	;; [unrolled: 1-line block ×5, first 2 shown]
	v_cmp_le_u32_e32 vcc, v23, v11
	s_waitcnt lgkmcnt(5)
	scratch_store_dwordx4 off, v[26:29], off offset:112
	s_waitcnt lgkmcnt(0)
	scratch_store_dwordx4 off, v[32:35], off offset:128
	s_and_saveexec_b64 s[28:29], vcc
	s_cbranch_execz .LBB2151_158
; %bb.151:
	v_mov_b32_e32 v14, 0
	s_mov_b32 s30, 0
	v_cmp_eq_u16_sdwa s[38:39], v30, v14 src0_sel:BYTE_0 src1_sel:DWORD
	s_and_saveexec_b64 s[10:11], s[38:39]
	s_cbranch_execz .LBB2151_157
; %bb.152:
	v_mov_b32_e32 v15, v14
.LBB2151_153:                           ; =>This Inner Loop Header: Depth=1
	s_add_i32 s31, s30, 0
	s_add_i32 s30, s30, 8
	s_cmp_lg_u32 s30, 32
	scratch_store_dwordx2 off, v[14:15], s31
	s_cbranch_scc1 .LBB2151_153
; %bb.154:
	s_mov_b32 s30, 0
.LBB2151_155:                           ; =>This Inner Loop Header: Depth=1
	s_add_i32 s31, s30, 0x70
	s_add_i32 s38, s30, 36
	scratch_load_dwordx2 v[2:3], off, s31
	scratch_load_dwordx2 v[4:5], off, s38
	s_add_i32 s31, s30, 0
	s_add_i32 s30, s30, 8
	s_cmp_lg_u32 s30, 32
	s_waitcnt vmcnt(0)
	v_add_u32_e32 v3, v5, v3
	v_add_u32_e32 v2, v4, v2
	scratch_store_dwordx2 off, v[2:3], s31
	s_cbranch_scc1 .LBB2151_155
; %bb.156:
	scratch_load_dwordx4 v[2:5], off, off
	scratch_load_dwordx4 v[6:9], off, off offset:16
.LBB2151_157:
	s_or_b64 exec, exec, s[10:11]
	v_and_b32_e32 v14, 1, v30
	v_cmp_eq_u32_e32 vcc, 1, v14
	v_and_b32_e32 v14, 1, v24
	v_cmp_eq_u32_e64 s[10:11], 1, v14
	s_or_b64 s[10:11], vcc, s[10:11]
	s_nop 0
	v_cndmask_b32_e64 v14, 0, 1, s[10:11]
	scratch_store_byte off, v14, off offset:68
	scratch_load_dword v30, off, off offset:68
	s_waitcnt vmcnt(3)
	scratch_store_dwordx4 off, v[2:5], off offset:36
	s_waitcnt vmcnt(3)
	scratch_store_dwordx4 off, v[6:9], off offset:52
.LBB2151_158:
	s_or_b64 exec, exec, s[28:29]
	v_cmp_gt_u32_e32 vcc, 56, v18
	v_add_u32_e32 v25, 8, v18
	s_nop 0
	v_cndmask_b32_e64 v14, 0, 1, vcc
	v_lshlrev_b32_e32 v14, 3, v14
	v_add_lshl_u32 v24, v14, v1, 2
	ds_bpermute_b32 v32, v24, v2
	ds_bpermute_b32 v33, v24, v3
	;; [unrolled: 1-line block ×4, first 2 shown]
	s_waitcnt vmcnt(2)
	ds_bpermute_b32 v26, v24, v30
	ds_bpermute_b32 v36, v24, v6
	;; [unrolled: 1-line block ×5, first 2 shown]
	v_cmp_le_u32_e32 vcc, v25, v11
	s_waitcnt lgkmcnt(5)
	scratch_store_dwordx4 off, v[32:35], off offset:112
	s_waitcnt lgkmcnt(0)
	scratch_store_dwordx4 off, v[36:39], off offset:128
	s_and_saveexec_b64 s[28:29], vcc
	s_cbranch_execz .LBB2151_166
; %bb.159:
	v_mov_b32_e32 v14, 0
	s_mov_b32 s30, 0
	v_cmp_eq_u16_sdwa s[38:39], v30, v14 src0_sel:BYTE_0 src1_sel:DWORD
	s_and_saveexec_b64 s[10:11], s[38:39]
	s_cbranch_execz .LBB2151_165
; %bb.160:
	v_mov_b32_e32 v15, v14
.LBB2151_161:                           ; =>This Inner Loop Header: Depth=1
	s_add_i32 s31, s30, 0
	s_add_i32 s30, s30, 8
	s_cmp_lg_u32 s30, 32
	scratch_store_dwordx2 off, v[14:15], s31
	s_cbranch_scc1 .LBB2151_161
; %bb.162:
	s_mov_b32 s30, 0
.LBB2151_163:                           ; =>This Inner Loop Header: Depth=1
	s_add_i32 s31, s30, 0x70
	s_add_i32 s38, s30, 36
	scratch_load_dwordx2 v[2:3], off, s31
	scratch_load_dwordx2 v[4:5], off, s38
	s_add_i32 s31, s30, 0
	s_add_i32 s30, s30, 8
	s_cmp_lg_u32 s30, 32
	s_waitcnt vmcnt(0)
	v_add_u32_e32 v3, v5, v3
	v_add_u32_e32 v2, v4, v2
	scratch_store_dwordx2 off, v[2:3], s31
	s_cbranch_scc1 .LBB2151_163
; %bb.164:
	scratch_load_dwordx4 v[2:5], off, off
	scratch_load_dwordx4 v[6:9], off, off offset:16
.LBB2151_165:
	s_or_b64 exec, exec, s[10:11]
	v_and_b32_e32 v14, 1, v30
	v_cmp_eq_u32_e32 vcc, 1, v14
	v_and_b32_e32 v14, 1, v26
	v_cmp_eq_u32_e64 s[10:11], 1, v14
	s_or_b64 s[10:11], vcc, s[10:11]
	s_nop 0
	v_cndmask_b32_e64 v14, 0, 1, s[10:11]
	scratch_store_byte off, v14, off offset:68
	scratch_load_dword v30, off, off offset:68
	s_waitcnt vmcnt(3)
	scratch_store_dwordx4 off, v[2:5], off offset:36
	s_waitcnt vmcnt(3)
	scratch_store_dwordx4 off, v[6:9], off offset:52
.LBB2151_166:
	s_or_b64 exec, exec, s[28:29]
	v_cmp_gt_u32_e32 vcc, 48, v18
	v_add_u32_e32 v27, 16, v18
	s_nop 0
	v_cndmask_b32_e64 v14, 0, 1, vcc
	v_lshlrev_b32_e32 v14, 4, v14
	v_add_lshl_u32 v26, v14, v1, 2
	ds_bpermute_b32 v32, v26, v2
	ds_bpermute_b32 v33, v26, v3
	;; [unrolled: 1-line block ×4, first 2 shown]
	s_waitcnt vmcnt(2)
	ds_bpermute_b32 v28, v26, v30
	ds_bpermute_b32 v36, v26, v6
	;; [unrolled: 1-line block ×5, first 2 shown]
	v_cmp_le_u32_e32 vcc, v27, v11
	s_waitcnt lgkmcnt(5)
	scratch_store_dwordx4 off, v[32:35], off offset:112
	s_waitcnt lgkmcnt(0)
	scratch_store_dwordx4 off, v[36:39], off offset:128
	s_and_saveexec_b64 s[28:29], vcc
	s_cbranch_execz .LBB2151_174
; %bb.167:
	v_mov_b32_e32 v14, 0
	s_mov_b32 s30, 0
	v_cmp_eq_u16_sdwa s[38:39], v30, v14 src0_sel:BYTE_0 src1_sel:DWORD
	s_and_saveexec_b64 s[10:11], s[38:39]
	s_cbranch_execz .LBB2151_173
; %bb.168:
	v_mov_b32_e32 v15, v14
.LBB2151_169:                           ; =>This Inner Loop Header: Depth=1
	s_add_i32 s31, s30, 0
	s_add_i32 s30, s30, 8
	s_cmp_lg_u32 s30, 32
	scratch_store_dwordx2 off, v[14:15], s31
	s_cbranch_scc1 .LBB2151_169
; %bb.170:
	s_mov_b32 s30, 0
.LBB2151_171:                           ; =>This Inner Loop Header: Depth=1
	s_add_i32 s31, s30, 0x70
	s_add_i32 s38, s30, 36
	scratch_load_dwordx2 v[2:3], off, s31
	scratch_load_dwordx2 v[4:5], off, s38
	s_add_i32 s31, s30, 0
	s_add_i32 s30, s30, 8
	s_cmp_lg_u32 s30, 32
	s_waitcnt vmcnt(0)
	v_add_u32_e32 v3, v5, v3
	v_add_u32_e32 v2, v4, v2
	scratch_store_dwordx2 off, v[2:3], s31
	s_cbranch_scc1 .LBB2151_171
; %bb.172:
	scratch_load_dwordx4 v[2:5], off, off
	scratch_load_dwordx4 v[6:9], off, off offset:16
.LBB2151_173:
	s_or_b64 exec, exec, s[10:11]
	v_and_b32_e32 v14, 1, v30
	v_cmp_eq_u32_e32 vcc, 1, v14
	v_and_b32_e32 v14, 1, v28
	v_cmp_eq_u32_e64 s[10:11], 1, v14
	s_or_b64 s[10:11], vcc, s[10:11]
	s_nop 0
	v_cndmask_b32_e64 v14, 0, 1, s[10:11]
	scratch_store_byte off, v14, off offset:68
	scratch_load_dword v30, off, off offset:68
	s_waitcnt vmcnt(3)
	scratch_store_dwordx4 off, v[2:5], off offset:36
	s_waitcnt vmcnt(3)
	scratch_store_dwordx4 off, v[6:9], off offset:52
.LBB2151_174:
	s_or_b64 exec, exec, s[28:29]
	v_cmp_gt_u32_e32 vcc, 32, v18
	v_add_u32_e32 v29, 32, v18
	s_nop 0
	v_cndmask_b32_e64 v14, 0, 1, vcc
	v_lshlrev_b32_e32 v14, 5, v14
	v_add_lshl_u32 v28, v14, v1, 2
	ds_bpermute_b32 v32, v28, v2
	ds_bpermute_b32 v33, v28, v3
	;; [unrolled: 1-line block ×4, first 2 shown]
	s_waitcnt vmcnt(2)
	ds_bpermute_b32 v1, v28, v30
	ds_bpermute_b32 v36, v28, v6
	;; [unrolled: 1-line block ×5, first 2 shown]
	v_cmp_le_u32_e32 vcc, v29, v11
	s_waitcnt lgkmcnt(5)
	scratch_store_dwordx4 off, v[32:35], off offset:112
	s_waitcnt lgkmcnt(0)
	scratch_store_dwordx4 off, v[36:39], off offset:128
	s_and_saveexec_b64 s[28:29], vcc
	s_cbranch_execz .LBB2151_182
; %bb.175:
	v_mov_b32_e32 v14, 0
	s_mov_b32 s30, 0
	v_cmp_eq_u16_sdwa s[38:39], v30, v14 src0_sel:BYTE_0 src1_sel:DWORD
	s_and_saveexec_b64 s[10:11], s[38:39]
	s_cbranch_execz .LBB2151_181
; %bb.176:
	v_mov_b32_e32 v15, v14
.LBB2151_177:                           ; =>This Inner Loop Header: Depth=1
	s_add_i32 s31, s30, 0
	s_add_i32 s30, s30, 8
	s_cmp_lg_u32 s30, 32
	scratch_store_dwordx2 off, v[14:15], s31
	s_cbranch_scc1 .LBB2151_177
; %bb.178:
	s_mov_b32 s30, 0
.LBB2151_179:                           ; =>This Inner Loop Header: Depth=1
	s_add_i32 s31, s30, 0x70
	s_add_i32 s38, s30, 36
	scratch_load_dwordx2 v[2:3], off, s31
	scratch_load_dwordx2 v[4:5], off, s38
	s_add_i32 s31, s30, 0
	s_add_i32 s30, s30, 8
	s_cmp_lg_u32 s30, 32
	s_waitcnt vmcnt(0)
	v_add_u32_e32 v3, v5, v3
	v_add_u32_e32 v2, v4, v2
	scratch_store_dwordx2 off, v[2:3], s31
	s_cbranch_scc1 .LBB2151_179
; %bb.180:
	scratch_load_dwordx4 v[2:5], off, off
	scratch_load_dwordx4 v[6:9], off, off offset:16
.LBB2151_181:
	s_or_b64 exec, exec, s[10:11]
	v_and_b32_e32 v11, 1, v30
	v_and_b32_e32 v1, 1, v1
	v_cmp_eq_u32_e32 vcc, 1, v11
	v_cmp_eq_u32_e64 s[10:11], 1, v1
	s_or_b64 s[10:11], vcc, s[10:11]
	s_nop 0
	v_cndmask_b32_e64 v1, 0, 1, s[10:11]
	s_waitcnt vmcnt(1)
	scratch_store_dwordx4 off, v[2:5], off offset:36
	s_waitcnt vmcnt(1)
	scratch_store_dwordx4 off, v[6:9], off offset:52
	scratch_store_byte off, v1, off offset:68
.LBB2151_182:
	s_or_b64 exec, exec, s[28:29]
	scratch_load_dwordx4 v[2:5], off, off offset:36
	scratch_load_dwordx4 v[30:33], off, off offset:52
	scratch_load_dword v1, off, off offset:68
	s_load_dwordx2 s[0:1], s[0:1], 0x4
	v_bfe_u32 v6, v0, 10, 10
	v_bfe_u32 v0, v0, 20, 10
	v_mov_b32_e32 v7, 0x6000
	v_mov_b32_e32 v8, 0
	s_waitcnt lgkmcnt(0)
	s_lshr_b32 s0, s0, 16
	s_mul_i32 s0, s0, s1
	v_mul_u32_u24_e32 v6, s1, v6
	v_mul_lo_u32 v9, s0, v16
	v_add3_u32 v0, v9, v6, v0
	v_lshl_add_u32 v14, v0, 5, v7
	v_mov_b32_e32 v15, 2
	s_waitcnt vmcnt(2)
	scratch_store_dwordx4 off, v[2:5], off
	s_waitcnt vmcnt(2)
	scratch_store_dwordx4 off, v[30:33], off offset:16
	s_waitcnt vmcnt(2)
	scratch_store_dword off, v1, off offset:32
	s_branch .LBB2151_184
.LBB2151_183:                           ;   in Loop: Header=BB2151_184 Depth=1
	s_or_b64 exec, exec, s[10:11]
	v_and_b32_e32 v9, 1, v11
	v_cmp_eq_u32_e32 vcc, 1, v9
	s_or_b64 s[0:1], vcc, s[0:1]
	v_subrev_u32_e32 v10, 64, v10
	v_cndmask_b32_e64 v9, 0, 1, s[0:1]
	s_waitcnt vmcnt(1)
	scratch_store_dwordx4 off, v[0:3], off
	s_waitcnt vmcnt(1)
	scratch_store_dwordx4 off, v[4:7], off offset:16
	scratch_store_byte off, v9, off offset:32
.LBB2151_184:                           ; =>This Loop Header: Depth=1
                                        ;     Child Loop BB2151_187 Depth 2
                                        ;     Child Loop BB2151_190 Depth 2
	;; [unrolled: 1-line block ×16, first 2 shown]
	v_cmp_ne_u16_sdwa s[0:1], v17, v15 src0_sel:BYTE_0 src1_sel:DWORD
	s_nop 1
	v_cndmask_b32_e64 v0, 0, 1, s[0:1]
	;;#ASMSTART
	;;#ASMEND
	s_nop 0
	v_cmp_ne_u32_e32 vcc, 0, v0
	s_cmp_lg_u64 vcc, exec
	s_cbranch_scc1 .LBB2151_247
; %bb.185:                              ;   in Loop: Header=BB2151_184 Depth=1
	global_load_ubyte v17, v10, s[20:21] sc1
	v_mov_b32_e32 v11, v8
	s_waitcnt vmcnt(0)
	v_cmp_eq_u16_e32 vcc, 0, v17
	s_and_saveexec_b64 s[0:1], vcc
	s_cbranch_execz .LBB2151_189
; %bb.186:                              ;   in Loop: Header=BB2151_184 Depth=1
	v_lshl_add_u64 v[0:1], s[20:21], 0, v[10:11]
	s_mov_b64 s[10:11], 0
.LBB2151_187:                           ;   Parent Loop BB2151_184 Depth=1
                                        ; =>  This Inner Loop Header: Depth=2
	global_load_ubyte v17, v[0:1], off sc1
	s_waitcnt vmcnt(0)
	v_cmp_ne_u16_e32 vcc, 0, v17
	s_or_b64 s[10:11], vcc, s[10:11]
	s_andn2_b64 exec, exec, s[10:11]
	s_cbranch_execnz .LBB2151_187
; %bb.188:                              ;   in Loop: Header=BB2151_184 Depth=1
	s_or_b64 exec, exec, s[10:11]
.LBB2151_189:                           ;   in Loop: Header=BB2151_184 Depth=1
	s_or_b64 exec, exec, s[0:1]
	v_mov_b32_e32 v0, s19
	v_mov_b32_e32 v1, s17
	v_cmp_eq_u16_e32 vcc, 1, v17
	v_mov_b32_e32 v2, s16
	s_waitcnt vmcnt(0)
	v_cndmask_b32_e32 v1, v0, v1, vcc
	v_mov_b32_e32 v0, s18
	v_cndmask_b32_e32 v0, v0, v2, vcc
	v_mad_u64_u32 v[30:31], s[0:1], v10, 36, v[0:1]
	global_load_dword v0, v[30:31], off sc1
	global_load_dword v1, v[30:31], off offset:4 sc1
	global_load_dword v2, v[30:31], off offset:8 sc1
	;; [unrolled: 1-line block ×8, first 2 shown]
	s_mov_b32 s0, 0
	scratch_store_dword off, v8, off offset:144
	s_waitcnt vmcnt(6)
	scratch_store_dwordx4 off, v[0:3], off offset:36
	s_waitcnt vmcnt(3)
	scratch_store_dwordx4 off, v[4:7], off offset:52
	s_waitcnt vmcnt(3)
	scratch_store_byte off, v9, off offset:68
.LBB2151_190:                           ;   Parent Loop BB2151_184 Depth=1
                                        ; =>  This Inner Loop Header: Depth=2
	s_add_i32 s1, s0, 0x70
	s_add_i32 s0, s0, 8
	v_mov_b32_e32 v9, v8
	s_cmp_lg_u32 s0, 32
	scratch_store_dwordx2 off, v[8:9], s1
	s_cbranch_scc1 .LBB2151_190
; %bb.191:                              ;   in Loop: Header=BB2151_184 Depth=1
	scratch_load_dword v11, off, off offset:68
	v_cmp_eq_u16_e32 vcc, 2, v17
	ds_bpermute_b32 v32, v19, v0
	ds_bpermute_b32 v33, v19, v1
	v_and_b32_e32 v9, vcc_hi, v13
	v_and_b32_e32 v30, vcc_lo, v12
	v_or_b32_e32 v9, 0x80000000, v9
	ds_bpermute_b32 v34, v19, v2
	ds_bpermute_b32 v35, v19, v3
	v_ffbl_b32_e32 v31, v30
	v_ffbl_b32_e32 v9, v9
	ds_bpermute_b32 v36, v19, v4
	ds_bpermute_b32 v37, v19, v5
	;; [unrolled: 1-line block ×4, first 2 shown]
	v_add_u32_e32 v9, 32, v9
	v_min_u32_e32 v9, v31, v9
	v_cmp_lt_u32_e32 vcc, v18, v9
	s_waitcnt lgkmcnt(4)
	scratch_store_dwordx4 off, v[32:35], off offset:112
	s_waitcnt lgkmcnt(0)
	scratch_store_dwordx4 off, v[36:39], off offset:128
	s_waitcnt vmcnt(2)
	ds_bpermute_b32 v30, v19, v11
	s_and_saveexec_b64 s[0:1], vcc
	s_cbranch_execz .LBB2151_199
; %bb.192:                              ;   in Loop: Header=BB2151_184 Depth=1
	v_cmp_eq_u16_sdwa s[28:29], v11, v8 src0_sel:BYTE_0 src1_sel:DWORD
	s_and_saveexec_b64 s[10:11], s[28:29]
	s_cbranch_execz .LBB2151_198
; %bb.193:                              ;   in Loop: Header=BB2151_184 Depth=1
	s_mov_b32 s28, 0
.LBB2151_194:                           ;   Parent Loop BB2151_184 Depth=1
                                        ; =>  This Inner Loop Header: Depth=2
	v_add_u32_e32 v0, s28, v14
	s_add_i32 s28, s28, 8
	s_cmp_lg_u32 s28, 32
	ds_write2_b32 v0, v8, v8 offset1:1
	s_cbranch_scc1 .LBB2151_194
; %bb.195:                              ;   in Loop: Header=BB2151_184 Depth=1
	s_mov_b32 s28, 0
.LBB2151_196:                           ;   Parent Loop BB2151_184 Depth=1
                                        ; =>  This Inner Loop Header: Depth=2
	s_add_i32 s29, s28, 0x70
	s_add_i32 s30, s28, 36
	scratch_load_dwordx2 v[0:1], off, s29
	scratch_load_dwordx2 v[2:3], off, s30
	v_add_u32_e32 v4, s28, v14
	s_add_i32 s28, s28, 8
	s_cmp_lg_u32 s28, 32
	s_waitcnt vmcnt(0)
	v_add_u32_e32 v1, v3, v1
	v_add_u32_e32 v0, v2, v0
	ds_write2_b32 v4, v0, v1 offset1:1
	s_cbranch_scc1 .LBB2151_196
; %bb.197:                              ;   in Loop: Header=BB2151_184 Depth=1
	ds_read2_b32 v[0:1], v14 offset1:1
	ds_read2_b32 v[2:3], v14 offset0:2 offset1:3
	ds_read2_b32 v[4:5], v14 offset0:4 offset1:5
	;; [unrolled: 1-line block ×3, first 2 shown]
.LBB2151_198:                           ;   in Loop: Header=BB2151_184 Depth=1
	s_or_b64 exec, exec, s[10:11]
	s_waitcnt lgkmcnt(0)
	v_or_b32_e32 v11, v30, v11
	v_and_b32_e32 v11, 1, v11
	scratch_store_byte off, v11, off offset:68
	scratch_load_dword v11, off, off offset:68
	s_nop 0
	scratch_store_dwordx4 off, v[0:3], off offset:36
	scratch_store_dwordx4 off, v[4:7], off offset:52
.LBB2151_199:                           ;   in Loop: Header=BB2151_184 Depth=1
	s_or_b64 exec, exec, s[0:1]
	ds_bpermute_b32 v32, v20, v0
	ds_bpermute_b32 v33, v20, v1
	;; [unrolled: 1-line block ×4, first 2 shown]
	s_waitcnt vmcnt(2) lgkmcnt(4)
	ds_bpermute_b32 v30, v20, v11
	ds_bpermute_b32 v36, v20, v4
	;; [unrolled: 1-line block ×5, first 2 shown]
	v_cmp_le_u32_e32 vcc, v21, v9
	s_waitcnt lgkmcnt(5)
	scratch_store_dwordx4 off, v[32:35], off offset:112
	s_waitcnt lgkmcnt(0)
	scratch_store_dwordx4 off, v[36:39], off offset:128
	s_and_saveexec_b64 s[10:11], vcc
	s_cbranch_execz .LBB2151_207
; %bb.200:                              ;   in Loop: Header=BB2151_184 Depth=1
	v_cmp_eq_u16_sdwa s[28:29], v11, v8 src0_sel:BYTE_0 src1_sel:DWORD
	s_and_saveexec_b64 s[0:1], s[28:29]
	s_cbranch_execz .LBB2151_206
; %bb.201:                              ;   in Loop: Header=BB2151_184 Depth=1
	s_mov_b32 s28, 0
.LBB2151_202:                           ;   Parent Loop BB2151_184 Depth=1
                                        ; =>  This Inner Loop Header: Depth=2
	v_add_u32_e32 v0, s28, v14
	s_add_i32 s28, s28, 8
	s_cmp_lg_u32 s28, 32
	ds_write2_b32 v0, v8, v8 offset1:1
	s_cbranch_scc1 .LBB2151_202
; %bb.203:                              ;   in Loop: Header=BB2151_184 Depth=1
	s_mov_b32 s28, 0
.LBB2151_204:                           ;   Parent Loop BB2151_184 Depth=1
                                        ; =>  This Inner Loop Header: Depth=2
	s_add_i32 s29, s28, 0x70
	s_add_i32 s30, s28, 36
	scratch_load_dwordx2 v[0:1], off, s29
	scratch_load_dwordx2 v[2:3], off, s30
	v_add_u32_e32 v4, s28, v14
	s_add_i32 s28, s28, 8
	s_cmp_lg_u32 s28, 32
	s_waitcnt vmcnt(0)
	v_add_u32_e32 v1, v3, v1
	v_add_u32_e32 v0, v2, v0
	ds_write2_b32 v4, v0, v1 offset1:1
	s_cbranch_scc1 .LBB2151_204
; %bb.205:                              ;   in Loop: Header=BB2151_184 Depth=1
	ds_read2_b32 v[0:1], v14 offset1:1
	ds_read2_b32 v[2:3], v14 offset0:2 offset1:3
	ds_read2_b32 v[4:5], v14 offset0:4 offset1:5
	;; [unrolled: 1-line block ×3, first 2 shown]
.LBB2151_206:                           ;   in Loop: Header=BB2151_184 Depth=1
	s_or_b64 exec, exec, s[0:1]
	v_and_b32_e32 v11, 1, v11
	v_cmp_eq_u32_e32 vcc, 1, v11
	v_and_b32_e32 v11, 1, v30
	v_cmp_eq_u32_e64 s[0:1], 1, v11
	s_or_b64 s[0:1], vcc, s[0:1]
	s_nop 0
	v_cndmask_b32_e64 v11, 0, 1, s[0:1]
	scratch_store_byte off, v11, off offset:68
	scratch_load_dword v11, off, off offset:68
	s_waitcnt lgkmcnt(2)
	scratch_store_dwordx4 off, v[0:3], off offset:36
	s_waitcnt lgkmcnt(0)
	scratch_store_dwordx4 off, v[4:7], off offset:52
.LBB2151_207:                           ;   in Loop: Header=BB2151_184 Depth=1
	s_or_b64 exec, exec, s[10:11]
	ds_bpermute_b32 v32, v22, v0
	ds_bpermute_b32 v33, v22, v1
	;; [unrolled: 1-line block ×4, first 2 shown]
	s_waitcnt vmcnt(2)
	ds_bpermute_b32 v30, v22, v11
	ds_bpermute_b32 v36, v22, v4
	;; [unrolled: 1-line block ×5, first 2 shown]
	v_cmp_le_u32_e32 vcc, v23, v9
	s_waitcnt lgkmcnt(5)
	scratch_store_dwordx4 off, v[32:35], off offset:112
	s_waitcnt lgkmcnt(0)
	scratch_store_dwordx4 off, v[36:39], off offset:128
	s_and_saveexec_b64 s[10:11], vcc
	s_cbranch_execz .LBB2151_215
; %bb.208:                              ;   in Loop: Header=BB2151_184 Depth=1
	v_cmp_eq_u16_sdwa s[28:29], v11, v8 src0_sel:BYTE_0 src1_sel:DWORD
	s_and_saveexec_b64 s[0:1], s[28:29]
	s_cbranch_execz .LBB2151_214
; %bb.209:                              ;   in Loop: Header=BB2151_184 Depth=1
	s_mov_b32 s28, 0
.LBB2151_210:                           ;   Parent Loop BB2151_184 Depth=1
                                        ; =>  This Inner Loop Header: Depth=2
	v_add_u32_e32 v0, s28, v14
	s_add_i32 s28, s28, 8
	s_cmp_lg_u32 s28, 32
	ds_write2_b32 v0, v8, v8 offset1:1
	s_cbranch_scc1 .LBB2151_210
; %bb.211:                              ;   in Loop: Header=BB2151_184 Depth=1
	s_mov_b32 s28, 0
.LBB2151_212:                           ;   Parent Loop BB2151_184 Depth=1
                                        ; =>  This Inner Loop Header: Depth=2
	s_add_i32 s29, s28, 0x70
	s_add_i32 s30, s28, 36
	scratch_load_dwordx2 v[0:1], off, s29
	scratch_load_dwordx2 v[2:3], off, s30
	v_add_u32_e32 v4, s28, v14
	s_add_i32 s28, s28, 8
	s_cmp_lg_u32 s28, 32
	s_waitcnt vmcnt(0)
	v_add_u32_e32 v1, v3, v1
	v_add_u32_e32 v0, v2, v0
	ds_write2_b32 v4, v0, v1 offset1:1
	s_cbranch_scc1 .LBB2151_212
; %bb.213:                              ;   in Loop: Header=BB2151_184 Depth=1
	ds_read2_b32 v[0:1], v14 offset1:1
	ds_read2_b32 v[2:3], v14 offset0:2 offset1:3
	ds_read2_b32 v[4:5], v14 offset0:4 offset1:5
	;; [unrolled: 1-line block ×3, first 2 shown]
.LBB2151_214:                           ;   in Loop: Header=BB2151_184 Depth=1
	s_or_b64 exec, exec, s[0:1]
	v_and_b32_e32 v11, 1, v11
	v_cmp_eq_u32_e32 vcc, 1, v11
	v_and_b32_e32 v11, 1, v30
	v_cmp_eq_u32_e64 s[0:1], 1, v11
	s_or_b64 s[0:1], vcc, s[0:1]
	s_nop 0
	v_cndmask_b32_e64 v11, 0, 1, s[0:1]
	scratch_store_byte off, v11, off offset:68
	scratch_load_dword v11, off, off offset:68
	s_waitcnt lgkmcnt(2)
	scratch_store_dwordx4 off, v[0:3], off offset:36
	s_waitcnt lgkmcnt(0)
	scratch_store_dwordx4 off, v[4:7], off offset:52
.LBB2151_215:                           ;   in Loop: Header=BB2151_184 Depth=1
	s_or_b64 exec, exec, s[10:11]
	ds_bpermute_b32 v32, v24, v0
	ds_bpermute_b32 v33, v24, v1
	;; [unrolled: 1-line block ×4, first 2 shown]
	s_waitcnt vmcnt(2)
	ds_bpermute_b32 v30, v24, v11
	ds_bpermute_b32 v36, v24, v4
	;; [unrolled: 1-line block ×5, first 2 shown]
	v_cmp_le_u32_e32 vcc, v25, v9
	s_waitcnt lgkmcnt(5)
	scratch_store_dwordx4 off, v[32:35], off offset:112
	s_waitcnt lgkmcnt(0)
	scratch_store_dwordx4 off, v[36:39], off offset:128
	s_and_saveexec_b64 s[10:11], vcc
	s_cbranch_execz .LBB2151_223
; %bb.216:                              ;   in Loop: Header=BB2151_184 Depth=1
	v_cmp_eq_u16_sdwa s[28:29], v11, v8 src0_sel:BYTE_0 src1_sel:DWORD
	s_and_saveexec_b64 s[0:1], s[28:29]
	s_cbranch_execz .LBB2151_222
; %bb.217:                              ;   in Loop: Header=BB2151_184 Depth=1
	s_mov_b32 s28, 0
.LBB2151_218:                           ;   Parent Loop BB2151_184 Depth=1
                                        ; =>  This Inner Loop Header: Depth=2
	v_add_u32_e32 v0, s28, v14
	s_add_i32 s28, s28, 8
	s_cmp_lg_u32 s28, 32
	ds_write2_b32 v0, v8, v8 offset1:1
	s_cbranch_scc1 .LBB2151_218
; %bb.219:                              ;   in Loop: Header=BB2151_184 Depth=1
	s_mov_b32 s28, 0
.LBB2151_220:                           ;   Parent Loop BB2151_184 Depth=1
                                        ; =>  This Inner Loop Header: Depth=2
	s_add_i32 s29, s28, 0x70
	s_add_i32 s30, s28, 36
	scratch_load_dwordx2 v[0:1], off, s29
	scratch_load_dwordx2 v[2:3], off, s30
	v_add_u32_e32 v4, s28, v14
	s_add_i32 s28, s28, 8
	s_cmp_lg_u32 s28, 32
	s_waitcnt vmcnt(0)
	v_add_u32_e32 v1, v3, v1
	v_add_u32_e32 v0, v2, v0
	ds_write2_b32 v4, v0, v1 offset1:1
	s_cbranch_scc1 .LBB2151_220
; %bb.221:                              ;   in Loop: Header=BB2151_184 Depth=1
	ds_read2_b32 v[0:1], v14 offset1:1
	ds_read2_b32 v[2:3], v14 offset0:2 offset1:3
	ds_read2_b32 v[4:5], v14 offset0:4 offset1:5
	;; [unrolled: 1-line block ×3, first 2 shown]
.LBB2151_222:                           ;   in Loop: Header=BB2151_184 Depth=1
	s_or_b64 exec, exec, s[0:1]
	v_and_b32_e32 v11, 1, v11
	v_cmp_eq_u32_e32 vcc, 1, v11
	v_and_b32_e32 v11, 1, v30
	v_cmp_eq_u32_e64 s[0:1], 1, v11
	s_or_b64 s[0:1], vcc, s[0:1]
	s_nop 0
	v_cndmask_b32_e64 v11, 0, 1, s[0:1]
	scratch_store_byte off, v11, off offset:68
	scratch_load_dword v11, off, off offset:68
	s_waitcnt lgkmcnt(2)
	scratch_store_dwordx4 off, v[0:3], off offset:36
	s_waitcnt lgkmcnt(0)
	scratch_store_dwordx4 off, v[4:7], off offset:52
.LBB2151_223:                           ;   in Loop: Header=BB2151_184 Depth=1
	s_or_b64 exec, exec, s[10:11]
	ds_bpermute_b32 v32, v26, v0
	ds_bpermute_b32 v33, v26, v1
	;; [unrolled: 1-line block ×4, first 2 shown]
	s_waitcnt vmcnt(2)
	ds_bpermute_b32 v30, v26, v11
	ds_bpermute_b32 v36, v26, v4
	;; [unrolled: 1-line block ×5, first 2 shown]
	v_cmp_le_u32_e32 vcc, v27, v9
	s_waitcnt lgkmcnt(5)
	scratch_store_dwordx4 off, v[32:35], off offset:112
	s_waitcnt lgkmcnt(0)
	scratch_store_dwordx4 off, v[36:39], off offset:128
	s_and_saveexec_b64 s[10:11], vcc
	s_cbranch_execz .LBB2151_231
; %bb.224:                              ;   in Loop: Header=BB2151_184 Depth=1
	v_cmp_eq_u16_sdwa s[28:29], v11, v8 src0_sel:BYTE_0 src1_sel:DWORD
	s_and_saveexec_b64 s[0:1], s[28:29]
	s_cbranch_execz .LBB2151_230
; %bb.225:                              ;   in Loop: Header=BB2151_184 Depth=1
	s_mov_b32 s28, 0
.LBB2151_226:                           ;   Parent Loop BB2151_184 Depth=1
                                        ; =>  This Inner Loop Header: Depth=2
	v_add_u32_e32 v0, s28, v14
	s_add_i32 s28, s28, 8
	s_cmp_lg_u32 s28, 32
	ds_write2_b32 v0, v8, v8 offset1:1
	s_cbranch_scc1 .LBB2151_226
; %bb.227:                              ;   in Loop: Header=BB2151_184 Depth=1
	s_mov_b32 s28, 0
.LBB2151_228:                           ;   Parent Loop BB2151_184 Depth=1
                                        ; =>  This Inner Loop Header: Depth=2
	s_add_i32 s29, s28, 0x70
	s_add_i32 s30, s28, 36
	scratch_load_dwordx2 v[0:1], off, s29
	scratch_load_dwordx2 v[2:3], off, s30
	v_add_u32_e32 v4, s28, v14
	s_add_i32 s28, s28, 8
	s_cmp_lg_u32 s28, 32
	s_waitcnt vmcnt(0)
	v_add_u32_e32 v1, v3, v1
	v_add_u32_e32 v0, v2, v0
	ds_write2_b32 v4, v0, v1 offset1:1
	s_cbranch_scc1 .LBB2151_228
; %bb.229:                              ;   in Loop: Header=BB2151_184 Depth=1
	ds_read2_b32 v[0:1], v14 offset1:1
	ds_read2_b32 v[2:3], v14 offset0:2 offset1:3
	ds_read2_b32 v[4:5], v14 offset0:4 offset1:5
	;; [unrolled: 1-line block ×3, first 2 shown]
.LBB2151_230:                           ;   in Loop: Header=BB2151_184 Depth=1
	s_or_b64 exec, exec, s[0:1]
	v_and_b32_e32 v11, 1, v11
	v_cmp_eq_u32_e32 vcc, 1, v11
	v_and_b32_e32 v11, 1, v30
	v_cmp_eq_u32_e64 s[0:1], 1, v11
	s_or_b64 s[0:1], vcc, s[0:1]
	s_nop 0
	v_cndmask_b32_e64 v11, 0, 1, s[0:1]
	scratch_store_byte off, v11, off offset:68
	scratch_load_dword v11, off, off offset:68
	s_waitcnt lgkmcnt(2)
	scratch_store_dwordx4 off, v[0:3], off offset:36
	s_waitcnt lgkmcnt(0)
	scratch_store_dwordx4 off, v[4:7], off offset:52
.LBB2151_231:                           ;   in Loop: Header=BB2151_184 Depth=1
	s_or_b64 exec, exec, s[10:11]
	ds_bpermute_b32 v32, v28, v0
	ds_bpermute_b32 v33, v28, v1
	;; [unrolled: 1-line block ×4, first 2 shown]
	s_waitcnt vmcnt(2)
	ds_bpermute_b32 v30, v28, v11
	ds_bpermute_b32 v36, v28, v4
	;; [unrolled: 1-line block ×5, first 2 shown]
	v_cmp_le_u32_e32 vcc, v29, v9
	v_and_b32_e32 v9, 1, v11
	v_cmp_eq_u32_e64 s[0:1], 1, v9
	s_waitcnt lgkmcnt(5)
	scratch_store_dwordx4 off, v[32:35], off offset:112
	s_waitcnt lgkmcnt(0)
	scratch_store_dwordx4 off, v[36:39], off offset:128
	s_and_saveexec_b64 s[10:11], vcc
	s_cbranch_execz .LBB2151_239
; %bb.232:                              ;   in Loop: Header=BB2151_184 Depth=1
	v_cmp_eq_u16_sdwa s[30:31], v11, v8 src0_sel:BYTE_0 src1_sel:DWORD
	s_and_saveexec_b64 s[28:29], s[30:31]
	s_cbranch_execz .LBB2151_238
; %bb.233:                              ;   in Loop: Header=BB2151_184 Depth=1
	s_mov_b32 s30, 0
.LBB2151_234:                           ;   Parent Loop BB2151_184 Depth=1
                                        ; =>  This Inner Loop Header: Depth=2
	v_add_u32_e32 v0, s30, v14
	s_add_i32 s30, s30, 8
	s_cmp_lg_u32 s30, 32
	ds_write2_b32 v0, v8, v8 offset1:1
	s_cbranch_scc1 .LBB2151_234
; %bb.235:                              ;   in Loop: Header=BB2151_184 Depth=1
	s_mov_b32 s30, 0
.LBB2151_236:                           ;   Parent Loop BB2151_184 Depth=1
                                        ; =>  This Inner Loop Header: Depth=2
	s_add_i32 s31, s30, 0x70
	s_add_i32 s38, s30, 36
	scratch_load_dwordx2 v[0:1], off, s31
	scratch_load_dwordx2 v[2:3], off, s38
	v_add_u32_e32 v4, s30, v14
	s_add_i32 s30, s30, 8
	s_cmp_lg_u32 s30, 32
	s_waitcnt vmcnt(0)
	v_add_u32_e32 v1, v3, v1
	v_add_u32_e32 v0, v2, v0
	ds_write2_b32 v4, v0, v1 offset1:1
	s_cbranch_scc1 .LBB2151_236
; %bb.237:                              ;   in Loop: Header=BB2151_184 Depth=1
	ds_read2_b32 v[0:1], v14 offset1:1
	ds_read2_b32 v[2:3], v14 offset0:2 offset1:3
	ds_read2_b32 v[4:5], v14 offset0:4 offset1:5
	ds_read2_b32 v[6:7], v14 offset0:6 offset1:7
.LBB2151_238:                           ;   in Loop: Header=BB2151_184 Depth=1
	s_or_b64 exec, exec, s[28:29]
	v_and_b32_e32 v9, 1, v30
	v_cmp_eq_u32_e32 vcc, 1, v9
	s_or_b64 s[28:29], s[0:1], vcc
	v_cndmask_b32_e64 v9, 0, 1, s[28:29]
	s_andn2_b64 s[0:1], s[0:1], exec
	s_and_b64 s[28:29], s[28:29], exec
	s_or_b64 s[0:1], s[0:1], s[28:29]
	s_waitcnt lgkmcnt(2)
	scratch_store_dwordx4 off, v[0:3], off offset:36
	s_waitcnt lgkmcnt(0)
	scratch_store_dwordx4 off, v[4:7], off offset:52
	scratch_store_byte off, v9, off offset:68
.LBB2151_239:                           ;   in Loop: Header=BB2151_184 Depth=1
	s_or_b64 exec, exec, s[10:11]
	scratch_load_ubyte v11, off, off offset:32
                                        ; implicit-def: $vgpr6_vgpr7
                                        ; implicit-def: $vgpr2_vgpr3
	s_waitcnt vmcnt(0)
	v_cmp_ne_u16_e32 vcc, 0, v11
	s_and_saveexec_b64 s[10:11], vcc
	s_xor_b64 s[10:11], exec, s[10:11]
	s_cbranch_execz .LBB2151_241
; %bb.240:                              ;   in Loop: Header=BB2151_184 Depth=1
	scratch_load_dwordx4 v[0:3], off, off
	scratch_load_dwordx4 v[4:7], off, off offset:16
.LBB2151_241:                           ;   in Loop: Header=BB2151_184 Depth=1
	s_andn2_saveexec_b64 s[10:11], s[10:11]
	s_cbranch_execz .LBB2151_183
; %bb.242:                              ;   in Loop: Header=BB2151_184 Depth=1
	s_mov_b32 s28, 0
.LBB2151_243:                           ;   Parent Loop BB2151_184 Depth=1
                                        ; =>  This Inner Loop Header: Depth=2
	s_add_i32 s29, s28, 0x70
	s_add_i32 s28, s28, 8
	v_mov_b32_e32 v9, v8
	s_cmp_lg_u32 s28, 32
	scratch_store_dwordx2 off, v[8:9], s29
	s_cbranch_scc1 .LBB2151_243
; %bb.244:                              ;   in Loop: Header=BB2151_184 Depth=1
	s_mov_b32 s28, 0
.LBB2151_245:                           ;   Parent Loop BB2151_184 Depth=1
                                        ; =>  This Inner Loop Header: Depth=2
	s_add_i32 s29, s28, 36
	s_add_i32 s30, s28, 0
	scratch_load_dwordx2 v[0:1], off, s29
	scratch_load_dwordx2 v[2:3], off, s30
	s_add_i32 s29, s28, 0x70
	s_add_i32 s28, s28, 8
	s_cmp_lg_u32 s28, 32
	s_waitcnt vmcnt(0)
	v_add_u32_e32 v1, v3, v1
	v_add_u32_e32 v0, v2, v0
	scratch_store_dwordx2 off, v[0:1], s29
	s_cbranch_scc1 .LBB2151_245
; %bb.246:                              ;   in Loop: Header=BB2151_184 Depth=1
	scratch_load_dwordx4 v[0:3], off, off offset:112
	scratch_load_dwordx4 v[4:7], off, off offset:128
	s_branch .LBB2151_183
.LBB2151_247:                           ;   in Loop: Header=BB2151_184 Depth=1
                                        ; implicit-def: $vgpr10
                                        ; implicit-def: $vgpr17
	s_cbranch_execz .LBB2151_184
; %bb.248:
	scratch_load_dwordx4 v[4:7], off, off
	scratch_load_dwordx4 v[0:3], off, off offset:16
	scratch_load_dword v15, off, off offset:32
	s_waitcnt vmcnt(2)
	scratch_store_dwordx4 off, v[4:7], off offset:112
	s_waitcnt vmcnt(2)
	scratch_store_dwordx4 off, v[0:3], off offset:128
	s_waitcnt vmcnt(2)
	scratch_store_dword off, v15, off offset:144
	s_and_saveexec_b64 s[0:1], s[8:9]
	s_cbranch_execz .LBB2151_258
; %bb.249:
	scratch_load_ubyte v17, off, off offset:104
                                        ; implicit-def: $vgpr18_vgpr19
                                        ; implicit-def: $vgpr8_vgpr9
                                        ; implicit-def: $vgpr20
                                        ; implicit-def: $vgpr12
	s_waitcnt vmcnt(0)
	v_cmp_ne_u16_e32 vcc, 0, v17
	s_and_saveexec_b64 s[8:9], vcc
	s_xor_b64 s[8:9], exec, s[8:9]
	s_cbranch_execz .LBB2151_251
; %bb.250:
	scratch_load_dwordx3 v[12:14], off, off offset:72
	scratch_load_dwordx4 v[8:11], off, off offset:84
	scratch_load_dword v20, off, off offset:100
	s_waitcnt vmcnt(2)
	v_mov_b32_e32 v18, v13
	v_mov_b32_e32 v19, v14
.LBB2151_251:
	s_andn2_saveexec_b64 s[8:9], s[8:9]
	s_cbranch_execz .LBB2151_257
; %bb.252:
	s_waitcnt vmcnt(1)
	v_mov_b32_e32 v8, 0
	s_mov_b32 s10, 0
	v_mov_b32_e32 v9, v8
.LBB2151_253:                           ; =>This Inner Loop Header: Depth=1
	s_add_i32 s11, s10, 0
	s_add_i32 s10, s10, 8
	s_cmp_lg_u32 s10, 32
	scratch_store_dwordx2 off, v[8:9], s11
	s_cbranch_scc1 .LBB2151_253
; %bb.254:
	s_mov_b32 s10, 0
.LBB2151_255:                           ; =>This Inner Loop Header: Depth=1
	s_add_i32 s11, s10, 0x70
	s_add_i32 s16, s10, 0x48
	scratch_load_dwordx2 v[8:9], off, s11
	scratch_load_dwordx2 v[10:11], off, s16
	s_add_i32 s11, s10, 0
	s_add_i32 s10, s10, 8
	s_cmp_lg_u32 s10, 32
	s_waitcnt vmcnt(0)
	v_add_u32_e32 v9, v11, v9
	v_add_u32_e32 v8, v10, v8
	scratch_store_dwordx2 off, v[8:9], s11
	s_cbranch_scc1 .LBB2151_255
; %bb.256:
	scratch_load_dwordx3 v[12:14], off, off
	scratch_load_dwordx4 v[8:11], off, off offset:12
	scratch_load_dword v20, off, off offset:28
	s_waitcnt vmcnt(2)
	v_mov_b32_e32 v18, v13
	v_mov_b32_e32 v19, v14
.LBB2151_257:
	s_or_b64 exec, exec, s[8:9]
	s_add_i32 s10, s51, 64
	v_and_b32_e32 v13, 1, v17
	s_mul_i32 s8, s10, 36
	v_and_b32_e32 v14, 1, v15
	v_cmp_eq_u32_e32 vcc, 1, v13
	s_mul_hi_u32 s9, s10, 36
	s_add_u32 s8, s18, s8
	v_cndmask_b32_e64 v13, v14, 1, vcc
	s_addc_u32 s9, s19, s9
	v_mov_b32_e32 v14, 0
	global_store_dword v14, v12, s[8:9] sc1
	global_store_dword v14, v18, s[8:9] offset:4 sc1
	global_store_dword v14, v19, s[8:9] offset:8 sc1
	s_waitcnt vmcnt(4)
	global_store_dword v14, v8, s[8:9] offset:12 sc1
	global_store_dword v14, v9, s[8:9] offset:16 sc1
	;; [unrolled: 1-line block ×4, first 2 shown]
	s_waitcnt vmcnt(7)
	global_store_dword v14, v20, s[8:9] offset:28 sc1
	global_store_dword v14, v13, s[8:9] offset:32 sc1
	v_mov_b32_e32 v8, s10
	v_mov_b32_e32 v9, 2
	s_waitcnt vmcnt(0)
	global_store_byte v8, v9, s[20:21] sc1
.LBB2151_258:
	s_or_b64 exec, exec, s[0:1]
	s_and_b64 exec, exec, s[6:7]
	s_cbranch_execz .LBB2151_260
; %bb.259:
	v_mov_b32_e32 v8, 0
	ds_write2_b32 v8, v4, v5 offset0:27 offset1:28
	ds_write2_b32 v8, v6, v7 offset0:29 offset1:30
	ds_write2_b32 v8, v0, v1 offset0:31 offset1:32
	ds_write2_b32 v8, v2, v3 offset0:33 offset1:34
	ds_write_b8 v8, v15 offset:140
.LBB2151_260:
	s_or_b64 exec, exec, s[24:25]
	s_waitcnt lgkmcnt(0)
	s_barrier
	scratch_load_ubyte v8, off, off offset:320
	v_mov_b32_e32 v0, 0
	ds_read2_b32 v[2:3], v0 offset0:27 offset1:28
	ds_read2_b32 v[4:5], v0 offset0:29 offset1:30
	;; [unrolled: 1-line block ×4, first 2 shown]
	ds_read_b32 v9, v0 offset:140
	s_waitcnt lgkmcnt(3)
	scratch_store_dwordx4 off, v[2:5], off offset:112
	s_waitcnt lgkmcnt(1)
	scratch_store_dwordx4 off, v[10:13], off offset:128
	s_waitcnt lgkmcnt(0)
	scratch_store_dword off, v9, off offset:144
	s_and_saveexec_b64 s[0:1], s[4:5]
	s_cbranch_execz .LBB2151_270
; %bb.261:
	s_waitcnt vmcnt(3)
	v_cmp_ne_u16_sdwa s[8:9], v8, v0 src0_sel:BYTE_0 src1_sel:DWORD
                                        ; implicit-def: $vgpr6_vgpr7
                                        ; implicit-def: $vgpr2_vgpr3
	s_and_saveexec_b64 s[10:11], s[8:9]
	s_xor_b64 s[8:9], exec, s[10:11]
	s_cbranch_execz .LBB2151_263
; %bb.262:
	scratch_load_dwordx4 v[0:3], off, off offset:288
	scratch_load_dwordx4 v[4:7], off, off offset:304
.LBB2151_263:
	s_andn2_saveexec_b64 s[8:9], s[8:9]
	s_cbranch_execz .LBB2151_269
; %bb.264:
	s_waitcnt vmcnt(1)
	v_mov_b32_e32 v0, 0
	s_mov_b32 s10, 0
	v_mov_b32_e32 v1, v0
.LBB2151_265:                           ; =>This Inner Loop Header: Depth=1
	s_add_i32 s11, s10, 0
	s_add_i32 s10, s10, 8
	s_cmp_lg_u32 s10, 32
	scratch_store_dwordx2 off, v[0:1], s11
	s_cbranch_scc1 .LBB2151_265
; %bb.266:
	s_mov_b32 s10, 0
.LBB2151_267:                           ; =>This Inner Loop Header: Depth=1
	s_add_i32 s11, s10, 0xd0
	s_add_i32 s16, s10, 0x120
	scratch_load_dwordx2 v[0:1], off, s11
	scratch_load_dwordx2 v[2:3], off, s16
	s_add_i32 s11, s10, 0
	s_add_i32 s10, s10, 8
	s_cmp_lg_u32 s10, 32
	s_waitcnt vmcnt(0)
	v_add_u32_e32 v1, v3, v1
	v_add_u32_e32 v0, v2, v0
	scratch_store_dwordx2 off, v[0:1], s11
	s_cbranch_scc1 .LBB2151_267
; %bb.268:
	scratch_load_dwordx4 v[0:3], off, off
	scratch_load_dwordx4 v[4:7], off, off offset:16
.LBB2151_269:
	s_or_b64 exec, exec, s[8:9]
	v_and_b32_e32 v8, 1, v8
	v_cmp_eq_u32_e32 vcc, 1, v8
	s_or_b64 s[8:9], vcc, s[12:13]
	v_cndmask_b32_e64 v8, 0, 1, s[8:9]
	s_waitcnt vmcnt(1)
	scratch_store_dwordx4 off, v[0:3], off offset:288
	s_waitcnt vmcnt(1)
	scratch_store_dwordx4 off, v[4:7], off offset:304
.LBB2151_270:
	s_or_b64 exec, exec, s[0:1]
	v_mov_b32_e32 v0, 0
	s_waitcnt vmcnt(3)
	v_cmp_ne_u16_sdwa s[0:1], v8, v0 src0_sel:BYTE_0 src1_sel:DWORD
                                        ; implicit-def: $vgpr6_vgpr7
                                        ; implicit-def: $vgpr2_vgpr3
	s_and_saveexec_b64 s[8:9], s[0:1]
	s_xor_b64 s[0:1], exec, s[8:9]
	s_cbranch_execz .LBB2151_272
; %bb.271:
	scratch_load_dwordx4 v[0:3], off, off offset:288
	scratch_load_dwordx4 v[4:7], off, off offset:304
.LBB2151_272:
	s_andn2_saveexec_b64 s[0:1], s[0:1]
	s_cbranch_execz .LBB2151_278
; %bb.273:
	s_waitcnt vmcnt(1)
	v_mov_b32_e32 v0, 0
	s_mov_b32 s8, 0
	v_mov_b32_e32 v1, v0
.LBB2151_274:                           ; =>This Inner Loop Header: Depth=1
	s_add_i32 s9, s8, 0
	s_add_i32 s8, s8, 8
	s_cmp_lg_u32 s8, 32
	scratch_store_dwordx2 off, v[0:1], s9
	s_cbranch_scc1 .LBB2151_274
; %bb.275:
	s_mov_b32 s8, 0
.LBB2151_276:                           ; =>This Inner Loop Header: Depth=1
	s_add_i32 s9, s8, 0x70
	s_add_i32 s10, s8, 0x120
	scratch_load_dwordx2 v[0:1], off, s9
	scratch_load_dwordx2 v[2:3], off, s10
	s_add_i32 s9, s8, 0
	s_add_i32 s8, s8, 8
	s_cmp_lg_u32 s8, 32
	s_waitcnt vmcnt(0)
	v_add_u32_e32 v1, v3, v1
	v_add_u32_e32 v0, v2, v0
	scratch_store_dwordx2 off, v[0:1], s9
	s_cbranch_scc1 .LBB2151_276
; %bb.277:
	scratch_load_dwordx4 v[0:3], off, off
	scratch_load_dwordx4 v[4:7], off, off offset:16
.LBB2151_278:
	s_or_b64 exec, exec, s[0:1]
	scratch_load_ubyte v10, off, off offset:356
	v_or_b32_e32 v8, v8, v9
	v_and_b32_e32 v8, 1, v8
	v_cmp_eq_u32_e32 vcc, 1, v8
	s_waitcnt vmcnt(2)
	scratch_store_dwordx4 off, v[0:3], off offset:288
	s_waitcnt vmcnt(2)
	scratch_store_dwordx4 off, v[4:7], off offset:304
	scratch_store_byte off, v8, off offset:320
                                        ; implicit-def: $vgpr6_vgpr7
                                        ; implicit-def: $vgpr2_vgpr3
	s_waitcnt vmcnt(3)
	v_cmp_ne_u16_e64 s[0:1], 0, v10
	s_and_saveexec_b64 s[8:9], s[0:1]
	s_xor_b64 s[0:1], exec, s[8:9]
	s_cbranch_execz .LBB2151_280
; %bb.279:
	scratch_load_dwordx4 v[0:3], off, off offset:324
	scratch_load_dwordx4 v[4:7], off, off offset:340
.LBB2151_280:
	s_andn2_saveexec_b64 s[0:1], s[0:1]
	s_cbranch_execz .LBB2151_286
; %bb.281:
	s_waitcnt vmcnt(1)
	v_mov_b32_e32 v0, 0
	s_mov_b32 s8, 0
	v_mov_b32_e32 v1, v0
.LBB2151_282:                           ; =>This Inner Loop Header: Depth=1
	s_add_i32 s9, s8, 0
	s_add_i32 s8, s8, 8
	s_cmp_lg_u32 s8, 32
	scratch_store_dwordx2 off, v[0:1], s9
	s_cbranch_scc1 .LBB2151_282
; %bb.283:
	s_mov_b32 s8, 0
	v_mov_b32_e32 v0, 0x120
.LBB2151_284:                           ; =>This Inner Loop Header: Depth=1
	v_add_u32_e32 v1, s8, v0
	s_add_i32 s9, s8, 0x120
	v_add_u32_e32 v1, 36, v1
	scratch_load_dwordx2 v[2:3], off, s9
	scratch_load_dwordx2 v[4:5], v1, off
	s_add_i32 s9, s8, 0
	s_add_i32 s8, s8, 8
	s_cmp_lg_u32 s8, 32
	s_waitcnt vmcnt(0)
	v_add_u32_e32 v3, v5, v3
	v_add_u32_e32 v2, v4, v2
	scratch_store_dwordx2 off, v[2:3], s9
	s_cbranch_scc1 .LBB2151_284
; %bb.285:
	scratch_load_dwordx4 v[0:3], off, off
	scratch_load_dwordx4 v[4:7], off, off offset:16
.LBB2151_286:
	s_or_b64 exec, exec, s[0:1]
	scratch_load_ubyte v8, off, off offset:392
	v_and_b32_e32 v9, 1, v10
	v_cmp_eq_u32_e64 s[0:1], 1, v9
	s_or_b64 s[0:1], s[0:1], vcc
	s_waitcnt vmcnt(0)
	v_cmp_ne_u16_e32 vcc, 0, v8
	v_cndmask_b32_e64 v9, 0, 1, s[0:1]
	scratch_store_dwordx4 off, v[0:3], off offset:324
	scratch_store_dwordx4 off, v[4:7], off offset:340
	scratch_store_byte off, v9, off offset:356
                                        ; implicit-def: $vgpr6_vgpr7
                                        ; implicit-def: $vgpr2_vgpr3
	s_and_saveexec_b64 s[8:9], vcc
	s_xor_b64 s[8:9], exec, s[8:9]
	s_cbranch_execz .LBB2151_288
; %bb.287:
	scratch_load_dwordx4 v[0:3], off, off offset:360
	scratch_load_dwordx4 v[4:7], off, off offset:376
.LBB2151_288:
	s_andn2_saveexec_b64 s[8:9], s[8:9]
	s_cbranch_execz .LBB2151_294
; %bb.289:
	s_waitcnt vmcnt(1)
	v_mov_b32_e32 v0, 0
	s_mov_b32 s10, 0
	v_mov_b32_e32 v1, v0
.LBB2151_290:                           ; =>This Inner Loop Header: Depth=1
	s_add_i32 s11, s10, 0
	s_add_i32 s10, s10, 8
	s_cmp_lg_u32 s10, 32
	scratch_store_dwordx2 off, v[0:1], s11
	s_cbranch_scc1 .LBB2151_290
; %bb.291:
	s_mov_b32 s10, 0
	v_mov_b32_e32 v0, 0x120
.LBB2151_292:                           ; =>This Inner Loop Header: Depth=1
	v_add_u32_e32 v1, s10, v0
	s_waitcnt vmcnt(1)
	v_add_u32_e32 v6, 36, v1
	v_add_u32_e32 v1, 0x48, v1
	scratch_load_dwordx2 v[2:3], v6, off
	scratch_load_dwordx2 v[4:5], v1, off
	s_add_i32 s11, s10, 0
	s_add_i32 s10, s10, 8
	s_cmp_lg_u32 s10, 32
	s_waitcnt vmcnt(0)
	v_add_u32_e32 v3, v5, v3
	v_add_u32_e32 v2, v4, v2
	scratch_store_dwordx2 off, v[2:3], s11
	s_cbranch_scc1 .LBB2151_292
; %bb.293:
	scratch_load_dwordx4 v[0:3], off, off
	scratch_load_dwordx4 v[4:7], off, off offset:16
.LBB2151_294:
	s_or_b64 exec, exec, s[8:9]
	v_and_b32_e32 v8, 1, v8
	v_cmp_eq_u32_e32 vcc, 1, v8
	s_or_b64 s[0:1], vcc, s[0:1]
	v_cndmask_b32_e64 v8, 0, 1, s[0:1]
	s_waitcnt vmcnt(1)
	scratch_store_dwordx4 off, v[0:3], off offset:360
	s_waitcnt vmcnt(1)
	scratch_store_dwordx4 off, v[4:7], off offset:376
	scratch_store_byte off, v8, off offset:392
	s_branch .LBB2151_472
.LBB2151_295:
	v_mov_b64_e32 v[2:3], s[38:39]
	flat_load_dword v2, v[2:3]
	s_add_i32 s52, s50, s22
	v_cmp_gt_u32_e64 s[8:9], s52, v16
	s_waitcnt vmcnt(0) lgkmcnt(0)
	v_mov_b32_e32 v3, v2
	s_and_saveexec_b64 s[10:11], s[8:9]
	s_cbranch_execz .LBB2151_297
; %bb.296:
	v_lshlrev_b32_e32 v6, 2, v16
	v_mov_b32_e32 v7, 0
	v_lshl_add_u64 v[6:7], s[38:39], 0, v[6:7]
	flat_load_dword v3, v[6:7]
.LBB2151_297:
	s_or_b64 exec, exec, s[10:11]
	v_or_b32_e32 v6, 0x100, v16
	v_cmp_gt_u32_e64 s[10:11], s52, v6
	v_mov_b32_e32 v5, v2
	s_and_saveexec_b64 s[12:13], s[10:11]
	s_cbranch_execz .LBB2151_299
; %bb.298:
	v_lshlrev_b32_e32 v8, 2, v16
	v_mov_b32_e32 v9, 0
	v_lshl_add_u64 v[8:9], s[38:39], 0, v[8:9]
	flat_load_dword v5, v[8:9] offset:1024
.LBB2151_299:
	s_or_b64 exec, exec, s[12:13]
	v_or_b32_e32 v7, 0x200, v16
	v_cmp_gt_u32_e64 s[12:13], s52, v7
	v_cmp_le_u32_e32 vcc, s52, v7
	s_and_saveexec_b64 s[24:25], vcc
	s_xor_b64 s[24:25], exec, s[24:25]
; %bb.300:
	v_mov_b32_e32 v17, 0
; %bb.301:
	s_andn2_saveexec_b64 s[24:25], s[24:25]
	s_cbranch_execz .LBB2151_303
; %bb.302:
	v_mov_b32_e32 v17, 0
	v_lshlrev_b32_e32 v8, 2, v16
	v_mov_b32_e32 v9, v17
	v_lshl_add_u64 v[8:9], s[38:39], 0, v[8:9]
	flat_load_dword v2, v[8:9] offset:2048
.LBB2151_303:
	s_or_b64 exec, exec, s[24:25]
	v_lshlrev_b32_e32 v8, 2, v16
	v_lshlrev_b32_e32 v9, 3, v16
	v_add_u32_e32 v10, v8, v9
	s_waitcnt vmcnt(0) lgkmcnt(0)
	ds_write2st64_b32 v8, v3, v5 offset1:4
	ds_write_b32 v8, v2 offset:2048
	s_waitcnt lgkmcnt(0)
	s_barrier
	ds_read2_b32 v[2:3], v10 offset1:1
	ds_read_b32 v5, v10 offset:8
	s_cmp_eq_u64 s[44:45], 0
	s_mov_b64 s[24:25], s[38:39]
	s_cbranch_scc1 .LBB2151_307
; %bb.304:
	s_andn2_b64 vcc, exec, s[42:43]
	s_cbranch_vccnz .LBB2151_495
; %bb.305:
	s_lshl_b64 s[24:25], s[44:45], 2
	s_add_u32 s24, s30, s24
	s_addc_u32 s25, s31, s25
	s_add_u32 s24, s24, -4
	s_addc_u32 s25, s25, -1
	s_andn2_b64 vcc, exec, s[46:47]
	s_cbranch_vccnz .LBB2151_307
.LBB2151_306:
	s_add_u32 s24, s38, -4
	s_addc_u32 s25, s39, -1
.LBB2151_307:
	v_mov_b64_e32 v[12:13], s[24:25]
	flat_load_dword v8, v[12:13]
	v_sub_u32_e32 v9, v10, v9
	s_waitcnt lgkmcnt(0)
	ds_write_b32 v9, v5 offset:3072
	s_waitcnt lgkmcnt(0)
	s_barrier
	s_and_saveexec_b64 s[24:25], s[4:5]
	s_cbranch_execz .LBB2151_309
; %bb.308:
	s_waitcnt vmcnt(0)
	ds_read_b32 v8, v9 offset:3068
.LBB2151_309:
	s_or_b64 exec, exec, s[24:25]
	s_waitcnt lgkmcnt(0)
	s_barrier
	s_and_saveexec_b64 s[24:25], s[8:9]
	s_cbranch_execnz .LBB2151_493
; %bb.310:
	s_or_b64 exec, exec, s[24:25]
	s_and_saveexec_b64 s[8:9], s[10:11]
	s_cbranch_execnz .LBB2151_494
.LBB2151_311:
	s_or_b64 exec, exec, s[8:9]
	s_and_saveexec_b64 s[8:9], s[12:13]
	s_cbranch_execz .LBB2151_313
.LBB2151_312:
	v_lshlrev_b32_e32 v6, 5, v7
	v_mov_b32_e32 v7, 0
	v_lshl_add_u64 v[6:7], s[28:29], 0, v[6:7]
	flat_load_dwordx4 v[10:13], v[6:7]
	flat_load_dwordx4 v[18:21], v[6:7] offset:16
	s_waitcnt vmcnt(0) lgkmcnt(0)
	scratch_store_dwordx4 off, v[10:13], off offset:176
	scratch_store_dwordx4 off, v[18:21], off offset:192
.LBB2151_313:
	s_or_b64 exec, exec, s[8:9]
	scratch_load_dwordx4 v[10:13], off, off offset:112
	scratch_load_dwordx4 v[18:21], off, off offset:128
	scratch_load_dwordx4 v[22:25], v4, off
	scratch_load_dwordx4 v[26:29], v4, off offset:16
	scratch_load_dwordx4 v[30:33], v1, off
	scratch_load_dwordx4 v[34:37], v1, off offset:16
	v_mad_u32_u24 v9, v16, 28, v9
	v_lshl_add_u32 v7, v16, 6, v9
	v_mul_u32_u24_e32 v6, 3, v16
	s_mov_b64 s[10:11], 0
	v_cmp_gt_u32_e32 vcc, s52, v6
	s_mov_b64 s[46:47], 0
                                        ; implicit-def: $sgpr8_sgpr9
	s_waitcnt vmcnt(0)
	ds_write_b128 v9, v[10:13]
	ds_write_b128 v9, v[18:21] offset:16
	ds_write_b128 v9, v[22:25] offset:8192
	ds_write_b128 v9, v[26:29] offset:8208
	ds_write_b128 v9, v[30:33] offset:16384
	ds_write_b128 v9, v[34:37] offset:16400
	s_waitcnt lgkmcnt(0)
	s_barrier
	ds_read_b128 v[10:13], v7 offset:32
	ds_read_b128 v[18:21], v7 offset:48
	;; [unrolled: 1-line block ×4, first 2 shown]
	s_waitcnt lgkmcnt(3)
	scratch_store_dwordx4 v4, v[10:13], off
	s_waitcnt lgkmcnt(2)
	scratch_store_dwordx4 v4, v[18:21], off offset:16
	s_waitcnt lgkmcnt(1)
	scratch_store_dwordx4 v1, v[22:25], off
	s_waitcnt lgkmcnt(0)
	scratch_store_dwordx4 v1, v[26:29], off offset:16
	s_and_saveexec_b64 s[12:13], vcc
	s_cbranch_execz .LBB2151_317
; %bb.314:
	ds_read_b128 v[10:13], v7
	ds_read_b128 v[18:21], v7 offset:16
	v_cmp_ne_u32_e32 vcc, v8, v2
	v_add_u32_e32 v9, 1, v6
                                        ; implicit-def: $sgpr48_sgpr49
	s_nop 0
	v_cndmask_b32_e64 v8, 0, 1, vcc
	v_cmp_gt_u32_e32 vcc, s52, v9
	s_waitcnt lgkmcnt(1)
	scratch_store_dwordx4 off, v[10:13], off offset:288
	s_waitcnt lgkmcnt(0)
	scratch_store_dwordx4 off, v[18:21], off offset:304
	scratch_store_byte off, v8, off offset:320
	s_and_saveexec_b64 s[8:9], vcc
	s_xor_b64 s[24:25], exec, s[8:9]
	s_cbranch_execz .LBB2151_316
; %bb.315:
	v_add_u32_e32 v7, 32, v7
	ds_read2_b32 v[10:11], v7 offset0:6 offset1:7
	ds_read2_b32 v[8:9], v7 offset0:4 offset1:5
	;; [unrolled: 1-line block ×3, first 2 shown]
	ds_read2_b32 v[12:13], v7 offset1:1
	v_cmp_ne_u32_e32 vcc, v3, v5
	v_cmp_ne_u32_e64 s[8:9], v2, v3
	v_add_u32_e32 v3, 2, v6
	s_and_b64 s[48:49], vcc, exec
	v_cndmask_b32_e64 v2, 0, 1, s[8:9]
	v_cmp_gt_u32_e64 s[8:9], s52, v3
	s_waitcnt lgkmcnt(0)
	scratch_store_dwordx4 off, v[12:15], s23
	scratch_store_dwordx4 off, v[8:11], s23 offset:16
	scratch_store_byte off, v2, off offset:356
	s_and_b64 s[46:47], s[8:9], exec
.LBB2151_316:
	s_or_b64 exec, exec, s[24:25]
	s_and_b64 s[8:9], s[48:49], exec
	s_and_b64 s[46:47], s[46:47], exec
.LBB2151_317:
	s_or_b64 exec, exec, s[12:13]
	s_and_b64 vcc, exec, s[10:11]
	s_cbranch_vccz .LBB2151_18
.LBB2151_318:
	v_mov_b32_e32 v3, 0
	v_lshlrev_b32_e32 v2, 2, v16
	v_lshl_add_u64 v[6:7], s[38:39], 0, v[2:3]
	flat_load_dword v3, v[6:7]
	flat_load_dword v5, v[6:7] offset:1024
	flat_load_dword v9, v[6:7] offset:2048
	v_lshlrev_b32_e32 v6, 3, v16
	v_add_u32_e32 v8, v2, v6
	s_cmp_eq_u64 s[44:45], 0
	s_waitcnt vmcnt(0) lgkmcnt(0)
	ds_write2st64_b32 v2, v3, v5 offset1:4
	ds_write_b32 v2, v9 offset:2048
	s_waitcnt lgkmcnt(0)
	s_barrier
	ds_read2_b32 v[2:3], v8 offset1:1
	ds_read_b32 v5, v8 offset:8
	s_cbranch_scc1 .LBB2151_323
; %bb.319:
	s_andn2_b64 vcc, exec, s[42:43]
	s_cbranch_vccnz .LBB2151_496
; %bb.320:
	s_lshl_b64 s[8:9], s[44:45], 2
	s_add_u32 s8, s30, s8
	s_addc_u32 s9, s31, s9
	s_add_u32 s8, s8, -4
	s_addc_u32 s9, s9, -1
	s_cbranch_execnz .LBB2151_322
.LBB2151_321:
	s_add_u32 s8, s38, -4
	s_addc_u32 s9, s39, -1
.LBB2151_322:
	s_mov_b64 s[38:39], s[8:9]
.LBB2151_323:
	v_mov_b64_e32 v[10:11], s[38:39]
	flat_load_dword v7, v[10:11]
	v_sub_u32_e32 v6, v8, v6
	s_waitcnt lgkmcnt(0)
	ds_write_b32 v6, v5 offset:3072
	s_waitcnt lgkmcnt(0)
	s_barrier
	s_and_saveexec_b64 s[8:9], s[4:5]
	s_cbranch_execz .LBB2151_325
; %bb.324:
	s_waitcnt vmcnt(0)
	ds_read_b32 v7, v6 offset:3068
.LBB2151_325:
	s_or_b64 exec, exec, s[8:9]
	v_lshlrev_b32_e32 v8, 5, v16
	v_mov_b32_e32 v9, 0
	v_lshl_add_u64 v[26:27], s[28:29], 0, v[8:9]
	s_waitcnt lgkmcnt(0)
	s_barrier
	flat_load_dwordx4 v[8:11], v[26:27]
	flat_load_dwordx4 v[12:15], v[26:27] offset:16
	s_movk_i32 s8, 0x2000
	v_add_co_u32_e32 v28, vcc, s8, v26
	s_movk_i32 s8, 0x4000
	s_nop 0
	v_addc_co_u32_e32 v29, vcc, 0, v27, vcc
	v_add_co_u32_e32 v34, vcc, s8, v26
	v_cmp_ne_u32_e64 s[8:9], v3, v5
	s_nop 0
	v_addc_co_u32_e32 v35, vcc, 0, v27, vcc
	v_mad_u32_u24 v5, v16, 28, v6
	v_cmp_ne_u32_e32 vcc, v2, v3
	v_lshl_add_u32 v17, v16, 6, v5
	s_mov_b64 s[46:47], -1
	v_cndmask_b32_e64 v3, 0, 1, vcc
	s_waitcnt vmcnt(0)
	v_cmp_ne_u32_e32 vcc, v7, v2
	s_waitcnt lgkmcnt(0)
	scratch_store_dwordx4 off, v[8:11], off offset:112
	scratch_store_dwordx4 off, v[12:15], off offset:128
	flat_load_dwordx4 v[18:21], v[28:29]
	flat_load_dwordx4 v[22:25], v[28:29] offset:16
	v_cndmask_b32_e64 v2, 0, 1, vcc
	s_waitcnt vmcnt(0) lgkmcnt(0)
	scratch_store_dwordx4 off, v[18:21], off offset:144
	scratch_store_dwordx4 off, v[22:25], off offset:160
	flat_load_dwordx4 v[18:21], v[34:35]
	s_nop 0
	flat_load_dwordx4 v[22:25], v[34:35] offset:16
	scratch_load_dwordx4 v[26:29], v4, off
	scratch_load_dwordx4 v[30:33], v4, off offset:16
	s_waitcnt vmcnt(0) lgkmcnt(0)
	scratch_store_dwordx4 off, v[18:21], off offset:176
	scratch_store_dwordx4 off, v[22:25], off offset:192
	scratch_load_dwordx4 v[18:21], v1, off
	s_nop 0
	scratch_load_dwordx4 v[22:25], v1, off offset:16
	ds_write_b128 v5, v[8:11]
	ds_write_b128 v5, v[12:15] offset:16
	ds_write_b128 v5, v[26:29] offset:8192
	;; [unrolled: 1-line block ×3, first 2 shown]
	s_waitcnt vmcnt(1)
	ds_write_b128 v5, v[18:21] offset:16384
	s_waitcnt vmcnt(0)
	ds_write_b128 v5, v[22:25] offset:16400
	s_waitcnt lgkmcnt(0)
	s_barrier
	ds_read_b128 v[6:9], v17
	ds_read_b128 v[10:13], v17 offset:16
	ds_read_b128 v[18:21], v17 offset:32
	;; [unrolled: 1-line block ×5, first 2 shown]
	scratch_store_byte off, v2, off offset:320
	scratch_store_byte off, v3, off offset:356
	s_waitcnt lgkmcnt(3)
	scratch_store_dwordx4 v4, v[18:21], off
	s_waitcnt lgkmcnt(2)
	scratch_store_dwordx4 v4, v[22:25], off offset:16
	s_waitcnt lgkmcnt(1)
	scratch_store_dwordx4 v1, v[26:29], off
	s_waitcnt lgkmcnt(0)
	scratch_store_dwordx4 v1, v[30:33], off offset:16
	scratch_store_dwordx4 off, v[6:9], off offset:288
	scratch_store_dwordx4 off, v[10:13], off offset:304
	scratch_store_dwordx4 off, v[22:25], s23 offset:16
	scratch_store_dwordx4 off, v[18:21], s23
	s_and_saveexec_b64 s[10:11], s[46:47]
	s_cbranch_execnz .LBB2151_19
	s_branch .LBB2151_20
.LBB2151_326:
	s_cbranch_execz .LBB2151_472
; %bb.327:
	s_cmp_lg_u64 s[40:41], 0
	s_cselect_b32 s9, s27, 0
	s_cselect_b32 s8, s26, 0
	s_cmp_lg_u64 s[8:9], 0
	s_cselect_b64 s[0:1], -1, 0
	s_and_b64 s[10:11], s[6:7], s[0:1]
	s_and_saveexec_b64 s[0:1], s[10:11]
	s_cbranch_execz .LBB2151_337
; %bb.328:
	scratch_load_ubyte v8, off, off offset:320
                                        ; implicit-def: $vgpr6_vgpr7
                                        ; implicit-def: $vgpr2_vgpr3
	s_waitcnt vmcnt(0)
	v_cmp_ne_u16_e32 vcc, 0, v8
	s_and_saveexec_b64 s[10:11], vcc
	s_xor_b64 s[10:11], exec, s[10:11]
	s_cbranch_execz .LBB2151_330
; %bb.329:
	scratch_load_dwordx4 v[0:3], off, off offset:288
	scratch_load_dwordx4 v[4:7], off, off offset:304
.LBB2151_330:
	s_andn2_saveexec_b64 s[10:11], s[10:11]
	s_cbranch_execz .LBB2151_336
; %bb.331:
	s_waitcnt vmcnt(1)
	v_mov_b32_e32 v0, 0
	s_mov_b32 s12, 0
	v_mov_b32_e32 v1, v0
.LBB2151_332:                           ; =>This Inner Loop Header: Depth=1
	s_add_i32 s13, s12, 0x70
	s_add_i32 s12, s12, 8
	s_cmp_lg_u32 s12, 32
	scratch_store_dwordx2 off, v[0:1], s13
	s_cbranch_scc1 .LBB2151_332
; %bb.333:
	s_mov_b32 s16, 0
	v_mov_b32_e32 v0, 0
	s_mov_b64 s[12:13], s[8:9]
.LBB2151_334:                           ; =>This Inner Loop Header: Depth=1
	s_add_i32 s17, s16, 0x120
	global_load_dwordx2 v[2:3], v0, s[12:13]
	scratch_load_dwordx2 v[4:5], off, s17
	s_add_i32 s17, s16, 0x70
	s_add_u32 s12, s12, 8
	s_addc_u32 s13, s13, 0
	s_add_i32 s16, s16, 8
	s_cmp_lg_u32 s16, 32
	s_waitcnt vmcnt(0)
	v_add_u32_e32 v3, v5, v3
	v_add_u32_e32 v2, v4, v2
	scratch_store_dwordx2 off, v[2:3], s17
	s_cbranch_scc1 .LBB2151_334
; %bb.335:
	scratch_load_dwordx4 v[0:3], off, off offset:112
	scratch_load_dwordx4 v[4:7], off, off offset:128
.LBB2151_336:
	s_or_b64 exec, exec, s[10:11]
	v_mov_b32_e32 v9, 0
	global_load_ubyte v9, v9, s[8:9] offset:32
	s_waitcnt vmcnt(2)
	scratch_store_dwordx4 off, v[0:3], off offset:288
	s_waitcnt vmcnt(1)
	s_nop 0
	v_or_b32_e32 v0, v8, v9
	v_and_b32_e32 v0, 1, v0
	scratch_store_dwordx4 off, v[4:7], off offset:304
	scratch_store_byte off, v0, off offset:320
.LBB2151_337:
	s_or_b64 exec, exec, s[0:1]
	s_mov_b32 s8, 0
	s_mov_b32 s9, s8
	v_mov_b32_e32 v0, 0
	s_mov_b32 s10, s8
	s_mov_b32 s11, s8
	v_mov_b64_e32 v[2:3], s[8:9]
	v_mov_b64_e32 v[4:5], s[10:11]
	v_mov_b32_e32 v1, v0
	scratch_store_dword off, v0, off offset:240
	scratch_store_dwordx4 off, v[2:5], off offset:224
	scratch_store_dwordx4 off, v[2:5], off offset:208
.LBB2151_338:                           ; =>This Inner Loop Header: Depth=1
	s_add_i32 s0, s8, 0xd0
	s_add_i32 s8, s8, 8
	s_cmp_lg_u32 s8, 32
	scratch_store_dwordx2 off, v[0:1], s0
	s_cbranch_scc1 .LBB2151_338
; %bb.339:
	v_mov_b32_e32 v0, 0
	s_mov_b32 s0, 0
	v_mov_b32_e32 v1, v0
	scratch_store_byte off, v0, off offset:240
	scratch_store_dword off, v0, off offset:144
.LBB2151_340:                           ; =>This Inner Loop Header: Depth=1
	s_add_i32 s1, s0, 0x70
	s_add_i32 s0, s0, 8
	s_cmp_lg_u32 s0, 32
	scratch_store_dwordx2 off, v[0:1], s1
	s_cbranch_scc1 .LBB2151_340
; %bb.341:
	scratch_load_dwordx4 v[0:3], off, off offset:288
	scratch_load_dwordx4 v[4:7], off, off offset:304
	scratch_load_ubyte v9, off, off offset:356
	scratch_load_ubyte v8, off, off offset:320
	s_waitcnt vmcnt(3)
	scratch_store_dwordx4 off, v[0:3], off offset:112
	s_waitcnt vmcnt(3)
	scratch_store_dwordx4 off, v[4:7], off offset:128
	s_waitcnt vmcnt(3)
	v_cmp_ne_u16_e32 vcc, 0, v9
                                        ; implicit-def: $vgpr6_vgpr7
                                        ; implicit-def: $vgpr2_vgpr3
	s_and_saveexec_b64 s[0:1], vcc
	s_xor_b64 s[0:1], exec, s[0:1]
	s_cbranch_execz .LBB2151_343
; %bb.342:
	scratch_load_dwordx4 v[0:3], off, off offset:324
	scratch_load_dwordx4 v[4:7], off, off offset:340
.LBB2151_343:
	s_andn2_saveexec_b64 s[0:1], s[0:1]
	s_cbranch_execz .LBB2151_349
; %bb.344:
	s_waitcnt vmcnt(1)
	v_mov_b32_e32 v0, 0
	s_mov_b32 s8, 0
	v_mov_b32_e32 v1, v0
.LBB2151_345:                           ; =>This Inner Loop Header: Depth=1
	s_add_i32 s9, s8, 0
	s_add_i32 s8, s8, 8
	s_cmp_lg_u32 s8, 32
	scratch_store_dwordx2 off, v[0:1], s9
	s_cbranch_scc1 .LBB2151_345
; %bb.346:
	s_mov_b32 s8, 0
.LBB2151_347:                           ; =>This Inner Loop Header: Depth=1
	s_add_i32 s9, s8, 0x70
	s_add_i32 s10, s23, s8
	scratch_load_dwordx2 v[0:1], off, s9
	scratch_load_dwordx2 v[2:3], off, s10
	s_add_i32 s9, s8, 0
	s_add_i32 s8, s8, 8
	s_cmp_lg_u32 s8, 32
	s_waitcnt vmcnt(0)
	v_add_u32_e32 v1, v3, v1
	v_add_u32_e32 v0, v2, v0
	scratch_store_dwordx2 off, v[0:1], s9
	s_cbranch_scc1 .LBB2151_347
; %bb.348:
	scratch_load_dwordx4 v[0:3], off, off
	scratch_load_dwordx4 v[4:7], off, off offset:16
.LBB2151_349:
	s_or_b64 exec, exec, s[0:1]
	scratch_load_ubyte v10, off, off offset:392
	s_waitcnt vmcnt(2)
	scratch_store_dwordx4 off, v[0:3], off offset:112
	s_waitcnt vmcnt(2)
	scratch_store_dwordx4 off, v[4:7], off offset:128
                                        ; implicit-def: $vgpr6_vgpr7
                                        ; implicit-def: $vgpr2_vgpr3
	s_waitcnt vmcnt(2)
	v_cmp_ne_u16_e32 vcc, 0, v10
	s_and_saveexec_b64 s[0:1], vcc
	s_xor_b64 s[0:1], exec, s[0:1]
	s_cbranch_execz .LBB2151_351
; %bb.350:
	scratch_load_dwordx4 v[0:3], off, off offset:360
	scratch_load_dwordx4 v[4:7], off, off offset:376
.LBB2151_351:
	s_andn2_saveexec_b64 s[0:1], s[0:1]
	s_cbranch_execz .LBB2151_357
; %bb.352:
	s_waitcnt vmcnt(1)
	v_mov_b32_e32 v0, 0
	s_mov_b32 s8, 0
	v_mov_b32_e32 v1, v0
.LBB2151_353:                           ; =>This Inner Loop Header: Depth=1
	s_add_i32 s9, s8, 0
	s_add_i32 s8, s8, 8
	s_cmp_lg_u32 s8, 32
	scratch_store_dwordx2 off, v[0:1], s9
	s_cbranch_scc1 .LBB2151_353
; %bb.354:
	s_mov_b32 s8, 0
.LBB2151_355:                           ; =>This Inner Loop Header: Depth=1
	s_add_i32 s9, s8, 0x70
	s_add_i32 s10, s33, s8
	scratch_load_dwordx2 v[0:1], off, s9
	scratch_load_dwordx2 v[2:3], off, s10
	s_add_i32 s9, s8, 0
	s_add_i32 s8, s8, 8
	s_cmp_lg_u32 s8, 32
	s_waitcnt vmcnt(0)
	v_add_u32_e32 v1, v3, v1
	v_add_u32_e32 v0, v2, v0
	scratch_store_dwordx2 off, v[0:1], s9
	s_cbranch_scc1 .LBB2151_355
; %bb.356:
	scratch_load_dwordx4 v[0:3], off, off
	scratch_load_dwordx4 v[4:7], off, off offset:16
.LBB2151_357:
	s_or_b64 exec, exec, s[0:1]
	scratch_load_ushort v11, off, off offset:145
	scratch_load_sbyte v17, off, off offset:147
	v_or_b32_e32 v9, v10, v9
	s_waitcnt vmcnt(3)
	v_mov_b32_dpp v12, v0 row_shr:1 row_mask:0xf bank_mask:0xf
	v_mov_b32_dpp v13, v1 row_shr:1 row_mask:0xf bank_mask:0xf
	;; [unrolled: 1-line block ×4, first 2 shown]
	v_or_b32_e32 v8, v9, v8
	v_mbcnt_lo_u32_b32 v10, -1, 0
	scratch_store_dwordx4 off, v[0:3], off offset:72
	s_waitcnt vmcnt(3)
	scratch_store_dwordx4 off, v[4:7], off offset:88
	v_mov_b32_dpp v18, v4 row_shr:1 row_mask:0xf bank_mask:0xf
	v_mov_b32_dpp v19, v5 row_shr:1 row_mask:0xf bank_mask:0xf
	;; [unrolled: 1-line block ×4, first 2 shown]
	scratch_store_dwordx4 off, v[12:15], off offset:112
	scratch_store_dwordx4 off, v[18:21], off offset:128
	v_and_b32_e32 v8, 1, v8
	v_mbcnt_hi_u32_b32 v10, -1, v10
	v_and_b32_e32 v12, 15, v10
	v_cmp_ne_u32_e32 vcc, 0, v12
	s_waitcnt vmcnt(5)
	v_lshrrev_b32_e32 v9, 8, v11
	v_lshlrev_b16_e32 v11, 8, v11
	s_waitcnt vmcnt(4)
	v_lshlrev_b16_e32 v13, 8, v17
	v_or_b32_e32 v11, v8, v11
	v_or_b32_sdwa v8, v9, v13 dst_sel:WORD_1 dst_unused:UNUSED_PAD src0_sel:BYTE_0 src1_sel:DWORD
	s_nop 0
	v_or_b32_sdwa v13, v11, v8 dst_sel:DWORD dst_unused:UNUSED_PAD src0_sel:WORD_0 src1_sel:DWORD
	scratch_store_dword off, v13, off offset:104
	s_nop 0
	v_mov_b32_dpp v14, v13 row_shr:1 row_mask:0xf bank_mask:0xf
	scratch_store_dword off, v14, off offset:144
	s_and_saveexec_b64 s[0:1], vcc
	s_cbranch_execz .LBB2151_365
; %bb.358:
	v_mov_b32_e32 v8, 0
	v_cmp_eq_u16_sdwa s[10:11], v11, v8 src0_sel:BYTE_0 src1_sel:DWORD
	s_and_saveexec_b64 s[8:9], s[10:11]
	s_cbranch_execz .LBB2151_364
; %bb.359:
	s_mov_b32 s10, 0
	v_mov_b32_e32 v9, v8
.LBB2151_360:                           ; =>This Inner Loop Header: Depth=1
	s_add_i32 s11, s10, 0
	s_add_i32 s10, s10, 8
	s_cmp_lg_u32 s10, 32
	scratch_store_dwordx2 off, v[8:9], s11
	s_cbranch_scc1 .LBB2151_360
; %bb.361:
	s_mov_b32 s10, 0
.LBB2151_362:                           ; =>This Inner Loop Header: Depth=1
	s_add_i32 s11, s10, 0x70
	s_add_i32 s12, s10, 0x48
	scratch_load_dwordx2 v[0:1], off, s11
	scratch_load_dwordx2 v[2:3], off, s12
	s_add_i32 s11, s10, 0
	s_add_i32 s10, s10, 8
	s_cmp_lg_u32 s10, 32
	s_waitcnt vmcnt(0)
	v_add_u32_e32 v1, v3, v1
	v_add_u32_e32 v0, v2, v0
	scratch_store_dwordx2 off, v[0:1], s11
	s_cbranch_scc1 .LBB2151_362
; %bb.363:
	scratch_load_dwordx4 v[0:3], off, off
	scratch_load_dwordx4 v[4:7], off, off offset:16
.LBB2151_364:
	s_or_b64 exec, exec, s[8:9]
	v_or_b32_e32 v8, v14, v13
	v_and_b32_e32 v8, 1, v8
	scratch_store_byte off, v8, off offset:104
	scratch_load_dword v13, off, off offset:104
	s_waitcnt vmcnt(3)
	scratch_store_dwordx4 off, v[0:3], off offset:72
	s_waitcnt vmcnt(3)
	scratch_store_dwordx4 off, v[4:7], off offset:88
	s_waitcnt vmcnt(2)
	v_mov_b32_e32 v11, v13
.LBB2151_365:
	s_or_b64 exec, exec, s[0:1]
	v_mov_b32_dpp v18, v0 row_shr:2 row_mask:0xf bank_mask:0xf
	v_mov_b32_dpp v19, v1 row_shr:2 row_mask:0xf bank_mask:0xf
	;; [unrolled: 1-line block ×5, first 2 shown]
	v_cmp_lt_u32_e32 vcc, 1, v12
	v_mov_b32_dpp v22, v4 row_shr:2 row_mask:0xf bank_mask:0xf
	v_mov_b32_dpp v23, v5 row_shr:2 row_mask:0xf bank_mask:0xf
	;; [unrolled: 1-line block ×4, first 2 shown]
	scratch_store_dwordx4 off, v[18:21], off offset:112
	scratch_store_dwordx4 off, v[22:25], off offset:128
	scratch_store_dword off, v14, off offset:144
	s_and_saveexec_b64 s[8:9], vcc
	s_cbranch_execz .LBB2151_373
; %bb.366:
	v_mov_b32_e32 v8, 0
	s_mov_b32 s10, 0
	v_cmp_eq_u16_sdwa s[12:13], v11, v8 src0_sel:BYTE_0 src1_sel:DWORD
	s_and_saveexec_b64 s[0:1], s[12:13]
	s_cbranch_execz .LBB2151_372
; %bb.367:
	v_mov_b32_e32 v9, v8
.LBB2151_368:                           ; =>This Inner Loop Header: Depth=1
	s_add_i32 s11, s10, 0
	s_add_i32 s10, s10, 8
	s_cmp_lg_u32 s10, 32
	scratch_store_dwordx2 off, v[8:9], s11
	s_cbranch_scc1 .LBB2151_368
; %bb.369:
	s_mov_b32 s10, 0
.LBB2151_370:                           ; =>This Inner Loop Header: Depth=1
	s_add_i32 s11, s10, 0x70
	s_add_i32 s12, s10, 0x48
	scratch_load_dwordx2 v[0:1], off, s11
	scratch_load_dwordx2 v[2:3], off, s12
	s_add_i32 s11, s10, 0
	s_add_i32 s10, s10, 8
	s_cmp_lg_u32 s10, 32
	s_waitcnt vmcnt(0)
	v_add_u32_e32 v1, v3, v1
	v_add_u32_e32 v0, v2, v0
	scratch_store_dwordx2 off, v[0:1], s11
	s_cbranch_scc1 .LBB2151_370
; %bb.371:
	scratch_load_dwordx4 v[0:3], off, off
	scratch_load_dwordx4 v[4:7], off, off offset:16
.LBB2151_372:
	s_or_b64 exec, exec, s[0:1]
	v_and_b32_e32 v8, 1, v11
	v_cmp_eq_u32_e32 vcc, 1, v8
	v_and_b32_e32 v8, 1, v14
	v_cmp_eq_u32_e64 s[0:1], 1, v8
	s_or_b64 s[0:1], vcc, s[0:1]
	s_nop 0
	v_cndmask_b32_e64 v8, 0, 1, s[0:1]
	scratch_store_byte off, v8, off offset:104
	scratch_load_dword v13, off, off offset:104
	s_waitcnt vmcnt(3)
	scratch_store_dwordx4 off, v[0:3], off offset:72
	s_waitcnt vmcnt(3)
	scratch_store_dwordx4 off, v[4:7], off offset:88
	s_waitcnt vmcnt(2)
	v_mov_b32_e32 v11, v13
.LBB2151_373:
	s_or_b64 exec, exec, s[8:9]
	v_mov_b32_dpp v18, v0 row_shr:4 row_mask:0xf bank_mask:0xf
	v_mov_b32_dpp v19, v1 row_shr:4 row_mask:0xf bank_mask:0xf
	;; [unrolled: 1-line block ×5, first 2 shown]
	v_cmp_lt_u32_e32 vcc, 3, v12
	v_mov_b32_dpp v22, v4 row_shr:4 row_mask:0xf bank_mask:0xf
	v_mov_b32_dpp v23, v5 row_shr:4 row_mask:0xf bank_mask:0xf
	;; [unrolled: 1-line block ×4, first 2 shown]
	scratch_store_dwordx4 off, v[18:21], off offset:112
	scratch_store_dwordx4 off, v[22:25], off offset:128
	scratch_store_dword off, v14, off offset:144
	s_and_saveexec_b64 s[8:9], vcc
	s_cbranch_execz .LBB2151_381
; %bb.374:
	v_mov_b32_e32 v8, 0
	s_mov_b32 s10, 0
	v_cmp_eq_u16_sdwa s[12:13], v11, v8 src0_sel:BYTE_0 src1_sel:DWORD
	s_and_saveexec_b64 s[0:1], s[12:13]
	s_cbranch_execz .LBB2151_380
; %bb.375:
	v_mov_b32_e32 v9, v8
.LBB2151_376:                           ; =>This Inner Loop Header: Depth=1
	s_add_i32 s11, s10, 0
	s_add_i32 s10, s10, 8
	s_cmp_lg_u32 s10, 32
	scratch_store_dwordx2 off, v[8:9], s11
	s_cbranch_scc1 .LBB2151_376
; %bb.377:
	s_mov_b32 s10, 0
.LBB2151_378:                           ; =>This Inner Loop Header: Depth=1
	s_add_i32 s11, s10, 0x70
	s_add_i32 s12, s10, 0x48
	scratch_load_dwordx2 v[0:1], off, s11
	scratch_load_dwordx2 v[2:3], off, s12
	s_add_i32 s11, s10, 0
	s_add_i32 s10, s10, 8
	s_cmp_lg_u32 s10, 32
	s_waitcnt vmcnt(0)
	v_add_u32_e32 v1, v3, v1
	v_add_u32_e32 v0, v2, v0
	scratch_store_dwordx2 off, v[0:1], s11
	s_cbranch_scc1 .LBB2151_378
; %bb.379:
	scratch_load_dwordx4 v[0:3], off, off
	scratch_load_dwordx4 v[4:7], off, off offset:16
.LBB2151_380:
	s_or_b64 exec, exec, s[0:1]
	v_and_b32_e32 v8, 1, v11
	v_cmp_eq_u32_e32 vcc, 1, v8
	v_and_b32_e32 v8, 1, v14
	v_cmp_eq_u32_e64 s[0:1], 1, v8
	s_or_b64 s[0:1], vcc, s[0:1]
	s_nop 0
	v_cndmask_b32_e64 v8, 0, 1, s[0:1]
	scratch_store_byte off, v8, off offset:104
	scratch_load_dword v13, off, off offset:104
	s_waitcnt vmcnt(3)
	scratch_store_dwordx4 off, v[0:3], off offset:72
	s_waitcnt vmcnt(3)
	scratch_store_dwordx4 off, v[4:7], off offset:88
	s_waitcnt vmcnt(2)
	v_mov_b32_e32 v11, v13
.LBB2151_381:
	s_or_b64 exec, exec, s[8:9]
	v_mov_b32_dpp v18, v0 row_shr:8 row_mask:0xf bank_mask:0xf
	v_mov_b32_dpp v19, v1 row_shr:8 row_mask:0xf bank_mask:0xf
	v_mov_b32_dpp v20, v2 row_shr:8 row_mask:0xf bank_mask:0xf
	v_mov_b32_dpp v21, v3 row_shr:8 row_mask:0xf bank_mask:0xf
	v_mov_b32_dpp v14, v13 row_shr:8 row_mask:0xf bank_mask:0xf
	v_cmp_lt_u32_e32 vcc, 7, v12
	v_mov_b32_dpp v22, v4 row_shr:8 row_mask:0xf bank_mask:0xf
	v_mov_b32_dpp v23, v5 row_shr:8 row_mask:0xf bank_mask:0xf
	;; [unrolled: 1-line block ×4, first 2 shown]
	scratch_store_dwordx4 off, v[18:21], off offset:112
	scratch_store_dwordx4 off, v[22:25], off offset:128
	scratch_store_dword off, v14, off offset:144
	s_and_saveexec_b64 s[8:9], vcc
	s_cbranch_execz .LBB2151_389
; %bb.382:
	v_mov_b32_e32 v8, 0
	s_mov_b32 s10, 0
	v_cmp_eq_u16_sdwa s[12:13], v11, v8 src0_sel:BYTE_0 src1_sel:DWORD
	s_and_saveexec_b64 s[0:1], s[12:13]
	s_cbranch_execz .LBB2151_388
; %bb.383:
	v_mov_b32_e32 v9, v8
.LBB2151_384:                           ; =>This Inner Loop Header: Depth=1
	s_add_i32 s11, s10, 0
	s_add_i32 s10, s10, 8
	s_cmp_lg_u32 s10, 32
	scratch_store_dwordx2 off, v[8:9], s11
	s_cbranch_scc1 .LBB2151_384
; %bb.385:
	s_mov_b32 s10, 0
.LBB2151_386:                           ; =>This Inner Loop Header: Depth=1
	s_add_i32 s11, s10, 0x70
	s_add_i32 s12, s10, 0x48
	scratch_load_dwordx2 v[0:1], off, s11
	scratch_load_dwordx2 v[2:3], off, s12
	s_add_i32 s11, s10, 0
	s_add_i32 s10, s10, 8
	s_cmp_lg_u32 s10, 32
	s_waitcnt vmcnt(0)
	v_add_u32_e32 v1, v3, v1
	v_add_u32_e32 v0, v2, v0
	scratch_store_dwordx2 off, v[0:1], s11
	s_cbranch_scc1 .LBB2151_386
; %bb.387:
	scratch_load_dwordx4 v[0:3], off, off
	scratch_load_dwordx4 v[4:7], off, off offset:16
.LBB2151_388:
	s_or_b64 exec, exec, s[0:1]
	v_and_b32_e32 v8, 1, v11
	v_cmp_eq_u32_e32 vcc, 1, v8
	v_and_b32_e32 v8, 1, v14
	v_cmp_eq_u32_e64 s[0:1], 1, v8
	s_or_b64 s[0:1], vcc, s[0:1]
	s_nop 0
	v_cndmask_b32_e64 v8, 0, 1, s[0:1]
	scratch_store_byte off, v8, off offset:104
	scratch_load_dword v13, off, off offset:104
	s_waitcnt vmcnt(3)
	scratch_store_dwordx4 off, v[0:3], off offset:72
	s_waitcnt vmcnt(3)
	scratch_store_dwordx4 off, v[4:7], off offset:88
	s_waitcnt vmcnt(2)
	v_mov_b32_e32 v11, v13
.LBB2151_389:
	s_or_b64 exec, exec, s[8:9]
	v_and_b32_e32 v8, 16, v10
	v_mov_b32_dpp v18, v0 row_bcast:15 row_mask:0xf bank_mask:0xf
	v_mov_b32_dpp v19, v1 row_bcast:15 row_mask:0xf bank_mask:0xf
	;; [unrolled: 1-line block ×5, first 2 shown]
	v_cmp_ne_u32_e32 vcc, 0, v8
	v_mov_b32_dpp v22, v4 row_bcast:15 row_mask:0xf bank_mask:0xf
	v_mov_b32_dpp v23, v5 row_bcast:15 row_mask:0xf bank_mask:0xf
	;; [unrolled: 1-line block ×4, first 2 shown]
	scratch_store_dwordx4 off, v[18:21], off offset:112
	scratch_store_dwordx4 off, v[22:25], off offset:128
	scratch_store_dword off, v12, off offset:144
	s_and_saveexec_b64 s[8:9], vcc
	s_cbranch_execz .LBB2151_397
; %bb.390:
	v_mov_b32_e32 v8, 0
	s_mov_b32 s10, 0
	v_cmp_eq_u16_sdwa s[12:13], v11, v8 src0_sel:BYTE_0 src1_sel:DWORD
	s_and_saveexec_b64 s[0:1], s[12:13]
	s_cbranch_execz .LBB2151_396
; %bb.391:
	v_mov_b32_e32 v9, v8
.LBB2151_392:                           ; =>This Inner Loop Header: Depth=1
	s_add_i32 s11, s10, 0
	s_add_i32 s10, s10, 8
	s_cmp_lg_u32 s10, 32
	scratch_store_dwordx2 off, v[8:9], s11
	s_cbranch_scc1 .LBB2151_392
; %bb.393:
	s_mov_b32 s10, 0
.LBB2151_394:                           ; =>This Inner Loop Header: Depth=1
	s_add_i32 s11, s10, 0x70
	s_add_i32 s12, s10, 0x48
	scratch_load_dwordx2 v[0:1], off, s11
	scratch_load_dwordx2 v[2:3], off, s12
	s_add_i32 s11, s10, 0
	s_add_i32 s10, s10, 8
	s_cmp_lg_u32 s10, 32
	s_waitcnt vmcnt(0)
	v_add_u32_e32 v1, v3, v1
	v_add_u32_e32 v0, v2, v0
	scratch_store_dwordx2 off, v[0:1], s11
	s_cbranch_scc1 .LBB2151_394
; %bb.395:
	scratch_load_dwordx4 v[0:3], off, off
	scratch_load_dwordx4 v[4:7], off, off offset:16
.LBB2151_396:
	s_or_b64 exec, exec, s[0:1]
	v_and_b32_e32 v8, 1, v11
	v_cmp_eq_u32_e32 vcc, 1, v8
	v_and_b32_e32 v8, 1, v12
	v_cmp_eq_u32_e64 s[0:1], 1, v8
	s_or_b64 s[0:1], vcc, s[0:1]
	s_nop 0
	v_cndmask_b32_e64 v8, 0, 1, s[0:1]
	scratch_store_byte off, v8, off offset:104
	scratch_load_dword v13, off, off offset:104
	s_waitcnt vmcnt(3)
	scratch_store_dwordx4 off, v[0:3], off offset:72
	s_waitcnt vmcnt(3)
	scratch_store_dwordx4 off, v[4:7], off offset:88
	s_waitcnt vmcnt(2)
	v_mov_b32_e32 v11, v13
.LBB2151_397:
	s_or_b64 exec, exec, s[8:9]
	v_mov_b32_dpp v18, v0 row_bcast:31 row_mask:0xf bank_mask:0xf
	v_mov_b32_dpp v19, v1 row_bcast:31 row_mask:0xf bank_mask:0xf
	;; [unrolled: 1-line block ×5, first 2 shown]
	v_cmp_lt_u32_e32 vcc, 31, v10
	v_mov_b32_dpp v22, v4 row_bcast:31 row_mask:0xf bank_mask:0xf
	v_mov_b32_dpp v23, v5 row_bcast:31 row_mask:0xf bank_mask:0xf
	;; [unrolled: 1-line block ×4, first 2 shown]
	scratch_store_dwordx4 off, v[18:21], off offset:112
	scratch_store_dwordx4 off, v[22:25], off offset:128
	scratch_store_dword off, v12, off offset:144
	s_and_saveexec_b64 s[8:9], vcc
	s_cbranch_execz .LBB2151_405
; %bb.398:
	v_mov_b32_e32 v8, 0
	s_mov_b32 s10, 0
	v_cmp_eq_u16_sdwa s[12:13], v11, v8 src0_sel:BYTE_0 src1_sel:DWORD
	s_and_saveexec_b64 s[0:1], s[12:13]
	s_cbranch_execz .LBB2151_404
; %bb.399:
	v_mov_b32_e32 v9, v8
.LBB2151_400:                           ; =>This Inner Loop Header: Depth=1
	s_add_i32 s11, s10, 0
	s_add_i32 s10, s10, 8
	s_cmp_lg_u32 s10, 32
	scratch_store_dwordx2 off, v[8:9], s11
	s_cbranch_scc1 .LBB2151_400
; %bb.401:
	s_mov_b32 s10, 0
.LBB2151_402:                           ; =>This Inner Loop Header: Depth=1
	s_add_i32 s11, s10, 0x70
	s_add_i32 s12, s10, 0x48
	scratch_load_dwordx2 v[0:1], off, s11
	scratch_load_dwordx2 v[2:3], off, s12
	s_add_i32 s11, s10, 0
	s_add_i32 s10, s10, 8
	s_cmp_lg_u32 s10, 32
	s_waitcnt vmcnt(0)
	v_add_u32_e32 v1, v3, v1
	v_add_u32_e32 v0, v2, v0
	scratch_store_dwordx2 off, v[0:1], s11
	s_cbranch_scc1 .LBB2151_402
; %bb.403:
	scratch_load_dwordx4 v[0:3], off, off
	scratch_load_dwordx4 v[4:7], off, off offset:16
.LBB2151_404:
	s_or_b64 exec, exec, s[0:1]
	v_and_b32_e32 v8, 1, v11
	v_cmp_eq_u32_e32 vcc, 1, v8
	v_and_b32_e32 v8, 1, v12
	v_cmp_eq_u32_e64 s[0:1], 1, v8
	s_or_b64 s[0:1], vcc, s[0:1]
	s_nop 0
	v_cndmask_b32_e64 v11, 0, 1, s[0:1]
	s_waitcnt vmcnt(1)
	scratch_store_dwordx4 off, v[0:3], off offset:72
	s_waitcnt vmcnt(1)
	scratch_store_dwordx4 off, v[4:7], off offset:88
	scratch_store_byte off, v11, off offset:104
.LBB2151_405:
	s_or_b64 exec, exec, s[8:9]
	v_or_b32_e32 v8, 63, v16
	v_lshrrev_b32_e32 v12, 6, v16
	v_cmp_eq_u32_e32 vcc, v8, v16
	s_and_saveexec_b64 s[0:1], vcc
	s_cbranch_execz .LBB2151_407
; %bb.406:
	v_mul_u32_u24_e32 v8, 36, v12
	ds_write2_b32 v8, v0, v1 offset1:1
	ds_write2_b32 v8, v2, v3 offset0:2 offset1:3
	ds_write2_b32 v8, v4, v5 offset0:4 offset1:5
	ds_write2_b32 v8, v6, v7 offset0:6 offset1:7
	ds_write_b8 v8, v11 offset:32
.LBB2151_407:
	s_or_b64 exec, exec, s[0:1]
	v_cmp_gt_u32_e32 vcc, 4, v16
	s_waitcnt lgkmcnt(0)
	s_barrier
	s_and_saveexec_b64 s[8:9], vcc
	s_cbranch_execz .LBB2151_425
; %bb.408:
	v_mul_u32_u24_e32 v11, 36, v16
	ds_read_b32 v13, v11 offset:32
	ds_read2_b32 v[4:5], v11 offset0:4 offset1:5
	ds_read2_b32 v[2:3], v11 offset0:2 offset1:3
	ds_read2_b32 v[0:1], v11 offset1:1
	ds_read2_b32 v[6:7], v11 offset0:6 offset1:7
	v_and_b32_e32 v14, 3, v10
	s_waitcnt lgkmcnt(4)
	v_mov_b32_dpp v15, v13 row_shr:1 row_mask:0xf bank_mask:0xf
	s_waitcnt lgkmcnt(2)
	v_mov_b32_dpp v20, v2 row_shr:1 row_mask:0xf bank_mask:0xf
	;; [unrolled: 2-line block ×3, first 2 shown]
	v_mov_b32_dpp v19, v1 row_shr:1 row_mask:0xf bank_mask:0xf
	v_mov_b32_dpp v21, v3 row_shr:1 row_mask:0xf bank_mask:0xf
	v_cmp_ne_u32_e32 vcc, 0, v14
	scratch_store_dword off, v13, off offset:32
	scratch_store_dwordx4 off, v[0:3], off
	s_waitcnt lgkmcnt(0)
	scratch_store_dwordx4 off, v[4:7], off offset:16
	v_mov_b32_dpp v22, v4 row_shr:1 row_mask:0xf bank_mask:0xf
	v_mov_b32_dpp v23, v5 row_shr:1 row_mask:0xf bank_mask:0xf
	;; [unrolled: 1-line block ×4, first 2 shown]
	scratch_store_dwordx4 off, v[18:21], off offset:112
	scratch_store_dwordx4 off, v[22:25], off offset:128
	scratch_store_dword off, v15, off offset:144
	s_and_saveexec_b64 s[0:1], vcc
	s_cbranch_execz .LBB2151_416
; %bb.409:
	v_mov_b32_e32 v8, 0
	v_cmp_eq_u16_sdwa s[12:13], v13, v8 src0_sel:BYTE_0 src1_sel:DWORD
	s_and_saveexec_b64 s[10:11], s[12:13]
	s_cbranch_execz .LBB2151_415
; %bb.410:
	s_mov_b32 s12, 0
	v_mov_b32_e32 v9, v8
.LBB2151_411:                           ; =>This Inner Loop Header: Depth=1
	s_add_i32 s13, s12, 36
	s_add_i32 s12, s12, 8
	s_cmp_lg_u32 s12, 32
	scratch_store_dwordx2 off, v[8:9], s13
	s_cbranch_scc1 .LBB2151_411
; %bb.412:
	s_mov_b32 s12, 0
.LBB2151_413:                           ; =>This Inner Loop Header: Depth=1
	s_add_i32 s13, s12, 0x70
	s_add_i32 s16, s12, 0
	scratch_load_dwordx2 v[0:1], off, s13
	scratch_load_dwordx2 v[2:3], off, s16
	s_add_i32 s13, s12, 36
	s_add_i32 s12, s12, 8
	s_cmp_lg_u32 s12, 32
	s_waitcnt vmcnt(0)
	v_add_u32_e32 v1, v3, v1
	v_add_u32_e32 v0, v2, v0
	scratch_store_dwordx2 off, v[0:1], s13
	s_cbranch_scc1 .LBB2151_413
; %bb.414:
	scratch_load_dwordx4 v[0:3], off, off offset:36
	scratch_load_dwordx4 v[4:7], off, off offset:52
.LBB2151_415:
	s_or_b64 exec, exec, s[10:11]
	v_or_b32_e32 v8, v15, v13
	v_and_b32_e32 v8, 1, v8
	scratch_store_byte off, v8, off offset:32
	scratch_load_dword v13, off, off offset:32
	s_waitcnt vmcnt(3)
	scratch_store_dwordx4 off, v[0:3], off
	s_waitcnt vmcnt(3)
	scratch_store_dwordx4 off, v[4:7], off offset:16
.LBB2151_416:
	s_or_b64 exec, exec, s[0:1]
	v_mov_b32_dpp v18, v0 row_shr:2 row_mask:0xf bank_mask:0xf
	v_mov_b32_dpp v19, v1 row_shr:2 row_mask:0xf bank_mask:0xf
	;; [unrolled: 1-line block ×4, first 2 shown]
	s_waitcnt vmcnt(2)
	v_mov_b32_dpp v15, v13 row_shr:2 row_mask:0xf bank_mask:0xf
	v_cmp_lt_u32_e32 vcc, 1, v14
	v_mov_b32_dpp v22, v4 row_shr:2 row_mask:0xf bank_mask:0xf
	v_mov_b32_dpp v23, v5 row_shr:2 row_mask:0xf bank_mask:0xf
	;; [unrolled: 1-line block ×4, first 2 shown]
	scratch_store_dwordx4 off, v[18:21], off offset:112
	scratch_store_dwordx4 off, v[22:25], off offset:128
	scratch_store_dword off, v15, off offset:144
	s_and_saveexec_b64 s[10:11], vcc
	s_cbranch_execz .LBB2151_424
; %bb.417:
	v_mov_b32_e32 v8, 0
	s_mov_b32 s12, 0
	v_cmp_eq_u16_sdwa s[16:17], v13, v8 src0_sel:BYTE_0 src1_sel:DWORD
	s_and_saveexec_b64 s[0:1], s[16:17]
	s_cbranch_execz .LBB2151_423
; %bb.418:
	v_mov_b32_e32 v9, v8
.LBB2151_419:                           ; =>This Inner Loop Header: Depth=1
	s_add_i32 s13, s12, 36
	s_add_i32 s12, s12, 8
	s_cmp_lg_u32 s12, 32
	scratch_store_dwordx2 off, v[8:9], s13
	s_cbranch_scc1 .LBB2151_419
; %bb.420:
	s_mov_b32 s12, 0
.LBB2151_421:                           ; =>This Inner Loop Header: Depth=1
	s_add_i32 s13, s12, 0x70
	s_add_i32 s16, s12, 0
	scratch_load_dwordx2 v[0:1], off, s13
	scratch_load_dwordx2 v[2:3], off, s16
	s_add_i32 s13, s12, 36
	s_add_i32 s12, s12, 8
	s_cmp_lg_u32 s12, 32
	s_waitcnt vmcnt(0)
	v_add_u32_e32 v1, v3, v1
	v_add_u32_e32 v0, v2, v0
	scratch_store_dwordx2 off, v[0:1], s13
	s_cbranch_scc1 .LBB2151_421
; %bb.422:
	scratch_load_dwordx4 v[0:3], off, off offset:36
	scratch_load_dwordx4 v[4:7], off, off offset:52
.LBB2151_423:
	s_or_b64 exec, exec, s[0:1]
	v_and_b32_e32 v8, 1, v13
	v_cmp_eq_u32_e32 vcc, 1, v8
	v_and_b32_e32 v8, 1, v15
	v_cmp_eq_u32_e64 s[0:1], 1, v8
	s_or_b64 s[0:1], vcc, s[0:1]
	s_waitcnt vmcnt(1)
	scratch_store_dwordx4 off, v[0:3], off
	s_waitcnt vmcnt(1)
	scratch_store_dwordx4 off, v[4:7], off offset:16
	v_cndmask_b32_e64 v13, 0, 1, s[0:1]
.LBB2151_424:
	s_or_b64 exec, exec, s[10:11]
	scratch_load_dwordx4 v[0:3], off, off
	scratch_load_dwordx4 v[4:7], off, off offset:16
	s_waitcnt vmcnt(1)
	ds_write2_b32 v11, v2, v3 offset0:2 offset1:3
	ds_write2_b32 v11, v0, v1 offset1:1
	s_waitcnt vmcnt(0)
	ds_write2_b32 v11, v6, v7 offset0:6 offset1:7
	ds_write2_b32 v11, v4, v5 offset0:4 offset1:5
	ds_write_b8 v11, v13 offset:32
.LBB2151_425:
	s_or_b64 exec, exec, s[8:9]
	s_mov_b32 s8, 0
	s_mov_b32 s9, s8
	v_mov_b32_e32 v0, 0
	s_mov_b32 s10, s8
	s_mov_b32 s11, s8
	v_mov_b64_e32 v[2:3], s[8:9]
	v_mov_b64_e32 v[4:5], s[10:11]
	v_mov_b32_e32 v1, v0
	s_waitcnt lgkmcnt(0)
	s_barrier
	scratch_store_dword off, v0, off offset:144
	scratch_store_dwordx4 off, v[2:5], off offset:128
	scratch_store_dwordx4 off, v[2:5], off offset:112
.LBB2151_426:                           ; =>This Inner Loop Header: Depth=1
	s_add_i32 s0, s8, 0x70
	s_add_i32 s8, s8, 8
	s_cmp_lg_u32 s8, 32
	scratch_store_dwordx2 off, v[0:1], s0
	s_cbranch_scc1 .LBB2151_426
; %bb.427:
	v_cmp_lt_u32_e32 vcc, 63, v16
                                        ; implicit-def: $vgpr0_vgpr1
                                        ; implicit-def: $vgpr4_vgpr5
                                        ; implicit-def: $vgpr8
	s_and_saveexec_b64 s[0:1], vcc
	s_xor_b64 s[0:1], exec, s[0:1]
	s_cbranch_execz .LBB2151_437
; %bb.428:
	scratch_load_ubyte v9, off, off offset:104
	v_not_b32_e32 v0, 35
	v_mad_u32_u24 v8, v12, 36, v0
	ds_read2_b32 v[0:1], v8 offset0:4 offset1:5
	ds_read2_b32 v[6:7], v8 offset0:2 offset1:3
	ds_read2_b32 v[4:5], v8 offset1:1
	ds_read2_b32 v[2:3], v8 offset0:6 offset1:7
	ds_read_u8 v8, v8 offset:32
	s_waitcnt lgkmcnt(2)
	scratch_store_dwordx4 off, v[4:7], off offset:112
	s_waitcnt lgkmcnt(1)
	scratch_store_dwordx4 off, v[0:3], off offset:128
                                        ; implicit-def: $vgpr0_vgpr1
                                        ; implicit-def: $vgpr4_vgpr5
	s_waitcnt vmcnt(2)
	v_cmp_ne_u16_e32 vcc, 0, v9
	s_and_saveexec_b64 s[8:9], vcc
	s_xor_b64 s[8:9], exec, s[8:9]
	s_cbranch_execz .LBB2151_430
; %bb.429:
	scratch_load_dwordx4 v[0:3], off, off offset:72
	scratch_load_dwordx4 v[4:7], off, off offset:88
.LBB2151_430:
	s_andn2_saveexec_b64 s[8:9], s[8:9]
	s_cbranch_execz .LBB2151_436
; %bb.431:
	s_waitcnt vmcnt(1)
	v_mov_b32_e32 v0, 0
	s_mov_b32 s10, 0
	v_mov_b32_e32 v1, v0
.LBB2151_432:                           ; =>This Inner Loop Header: Depth=1
	s_add_i32 s11, s10, 0
	s_add_i32 s10, s10, 8
	s_cmp_lg_u32 s10, 32
	scratch_store_dwordx2 off, v[0:1], s11
	s_cbranch_scc1 .LBB2151_432
; %bb.433:
	s_mov_b32 s10, 0
.LBB2151_434:                           ; =>This Inner Loop Header: Depth=1
	s_add_i32 s11, s10, 0x70
	s_add_i32 s12, s10, 0x48
	scratch_load_dwordx2 v[0:1], off, s11
	scratch_load_dwordx2 v[2:3], off, s12
	s_add_i32 s11, s10, 0
	s_add_i32 s10, s10, 8
	s_cmp_lg_u32 s10, 32
	s_waitcnt vmcnt(0)
	v_add_u32_e32 v1, v3, v1
	v_add_u32_e32 v0, v2, v0
	scratch_store_dwordx2 off, v[0:1], s11
	s_cbranch_scc1 .LBB2151_434
; %bb.435:
	scratch_load_dwordx4 v[0:3], off, off
	scratch_load_dwordx4 v[4:7], off, off offset:16
.LBB2151_436:
	s_or_b64 exec, exec, s[8:9]
	s_waitcnt lgkmcnt(0)
	v_or_b32_e32 v9, v9, v8
	v_and_b32_e32 v9, 1, v9
	scratch_store_byte off, v9, off offset:104
.LBB2151_437:
	s_andn2_saveexec_b64 s[0:1], s[0:1]
	s_cbranch_execz .LBB2151_439
; %bb.438:
	scratch_load_dwordx4 v[0:3], off, off offset:72
	scratch_load_dwordx4 v[4:7], off, off offset:88
	v_mov_b32_e32 v8, 0
.LBB2151_439:
	s_or_b64 exec, exec, s[0:1]
	scratch_load_dword v11, off, off offset:104
	v_add_u32_e32 v9, -1, v10
	v_and_b32_e32 v12, 64, v10
	v_cmp_lt_i32_e32 vcc, v9, v12
	s_nop 1
	v_cndmask_b32_e32 v9, v9, v10, vcc
	v_lshlrev_b32_e32 v9, 2, v9
	s_waitcnt vmcnt(2)
	ds_bpermute_b32 v0, v9, v0
	ds_bpermute_b32 v1, v9, v1
	;; [unrolled: 1-line block ×4, first 2 shown]
	s_waitcnt vmcnt(1)
	ds_bpermute_b32 v4, v9, v4
	ds_bpermute_b32 v5, v9, v5
	;; [unrolled: 1-line block ×4, first 2 shown]
	v_cmp_eq_u32_e32 vcc, 0, v10
	s_waitcnt vmcnt(0)
	ds_bpermute_b32 v9, v9, v11
	s_waitcnt lgkmcnt(5)
	scratch_store_dwordx4 off, v[0:3], off offset:72
	s_waitcnt lgkmcnt(1)
	scratch_store_dwordx4 off, v[4:7], off offset:88
	s_waitcnt lgkmcnt(0)
	scratch_store_byte off, v9, off offset:104
	s_and_saveexec_b64 s[0:1], vcc
	s_cbranch_execz .LBB2151_441
; %bb.440:
	scratch_load_dwordx4 v[0:3], off, off offset:112
	scratch_load_dwordx4 v[4:7], off, off offset:128
	v_mov_b32_e32 v9, v8
	scratch_store_byte off, v8, off offset:104
	s_waitcnt vmcnt(2)
	scratch_store_dwordx4 off, v[0:3], off offset:72
	s_waitcnt vmcnt(2)
	scratch_store_dwordx4 off, v[4:7], off offset:88
.LBB2151_441:
	s_or_b64 exec, exec, s[0:1]
	scratch_load_dwordx4 v[12:15], off, off offset:288
	scratch_load_dwordx4 v[18:21], off, off offset:304
	scratch_load_dword v8, off, off offset:320
	s_mov_b32 s0, 0x3020104
	scratch_store_dwordx4 off, v[0:3], off
	scratch_store_dwordx4 off, v[4:7], off offset:16
                                        ; implicit-def: $vgpr6_vgpr7
                                        ; implicit-def: $vgpr2_vgpr3
	s_nop 0
	v_perm_b32 v0, v9, v11, s0
	scratch_store_dword off, v0, off offset:32
	s_waitcnt vmcnt(5)
	scratch_store_dwordx4 off, v[12:15], off offset:36
	s_waitcnt vmcnt(5)
	scratch_store_dwordx4 off, v[18:21], off offset:52
	s_waitcnt vmcnt(5)
	scratch_store_dword off, v8, off offset:68
	s_and_saveexec_b64 s[0:1], s[4:5]
	s_xor_b64 s[0:1], exec, s[0:1]
	s_cbranch_execz .LBB2151_451
; %bb.442:
	v_mov_b32_e32 v0, 0
	v_cmp_ne_u16_sdwa s[4:5], v8, v0 src0_sel:BYTE_0 src1_sel:DWORD
                                        ; implicit-def: $vgpr6_vgpr7
                                        ; implicit-def: $vgpr2_vgpr3
	s_and_saveexec_b64 s[8:9], s[4:5]
	s_xor_b64 s[4:5], exec, s[8:9]
	s_cbranch_execz .LBB2151_444
; %bb.443:
	scratch_load_dwordx4 v[0:3], off, off offset:36
	scratch_load_dwordx4 v[4:7], off, off offset:52
.LBB2151_444:
	s_andn2_saveexec_b64 s[4:5], s[4:5]
	s_cbranch_execz .LBB2151_450
; %bb.445:
	s_waitcnt vmcnt(1)
	v_mov_b32_e32 v0, 0
	s_mov_b32 s8, 0
	v_mov_b32_e32 v1, v0
.LBB2151_446:                           ; =>This Inner Loop Header: Depth=1
	s_add_i32 s9, s8, 0x70
	s_add_i32 s8, s8, 8
	s_cmp_lg_u32 s8, 32
	scratch_store_dwordx2 off, v[0:1], s9
	s_cbranch_scc1 .LBB2151_446
; %bb.447:
	s_mov_b32 s8, 0
.LBB2151_448:                           ; =>This Inner Loop Header: Depth=1
	s_add_i32 s9, s8, 0
	s_add_i32 s10, s8, 36
	scratch_load_dwordx2 v[0:1], off, s9
	scratch_load_dwordx2 v[2:3], off, s10
	s_add_i32 s9, s8, 0x70
	s_add_i32 s8, s8, 8
	s_cmp_lg_u32 s8, 32
	s_waitcnt vmcnt(0)
	v_add_u32_e32 v1, v3, v1
	v_add_u32_e32 v0, v2, v0
	scratch_store_dwordx2 off, v[0:1], s9
	s_cbranch_scc1 .LBB2151_448
; %bb.449:
	scratch_load_dwordx4 v[0:3], off, off offset:112
	scratch_load_dwordx4 v[4:7], off, off offset:128
.LBB2151_450:
	s_or_b64 exec, exec, s[4:5]
	v_or_b32_e32 v8, v8, v9
	v_and_b32_e32 v8, 1, v8
	s_waitcnt vmcnt(1)
	scratch_store_dwordx4 off, v[0:3], off offset:36
	s_waitcnt vmcnt(1)
	scratch_store_dwordx4 off, v[4:7], off offset:52
	;;#ASMSTART
	;;#ASMEND
.LBB2151_451:
	s_andn2_saveexec_b64 s[0:1], s[0:1]
	s_cbranch_execz .LBB2151_453
; %bb.452:
	scratch_load_dwordx4 v[0:3], off, off offset:36
	scratch_load_dwordx4 v[4:7], off, off offset:52
.LBB2151_453:
	s_or_b64 exec, exec, s[0:1]
	scratch_load_dwordx4 v[10:13], off, off offset:36
	scratch_load_dwordx4 v[18:21], off, off offset:52
	scratch_load_ushort v14, off, off offset:69
	scratch_load_ubyte v15, off, off offset:71
	scratch_load_ubyte v9, off, off offset:356
	s_nop 0
	scratch_store_byte off, v8, off offset:320
	s_waitcnt vmcnt(7)
	scratch_store_dwordx4 off, v[0:3], off offset:112
	s_waitcnt vmcnt(7)
	scratch_store_dwordx4 off, v[4:7], off offset:128
	;; [unrolled: 2-line block ×4, first 2 shown]
	s_waitcnt vmcnt(7)
	v_lshrrev_b32_e32 v0, 8, v14
	v_lshlrev_b16_e32 v1, 8, v14
	s_waitcnt vmcnt(6)
	v_lshlrev_b16_e32 v2, 8, v15
	v_or_b32_sdwa v1, v8, v1 dst_sel:DWORD dst_unused:UNUSED_PAD src0_sel:BYTE_0 src1_sel:DWORD
	v_or_b32_sdwa v0, v0, v2 dst_sel:WORD_1 dst_unused:UNUSED_PAD src0_sel:BYTE_0 src1_sel:DWORD
	s_waitcnt vmcnt(5)
	v_cmp_ne_u16_e32 vcc, 0, v9
	v_or_b32_sdwa v0, v1, v0 dst_sel:DWORD dst_unused:UNUSED_PAD src0_sel:WORD_0 src1_sel:DWORD
	scratch_store_dword off, v0, off offset:144
                                        ; implicit-def: $vgpr6_vgpr7
                                        ; implicit-def: $vgpr2_vgpr3
	s_and_saveexec_b64 s[0:1], vcc
	s_xor_b64 s[0:1], exec, s[0:1]
	s_cbranch_execz .LBB2151_455
; %bb.454:
	scratch_load_dwordx4 v[0:3], off, off offset:324
	scratch_load_dwordx4 v[4:7], off, off offset:340
.LBB2151_455:
	s_andn2_saveexec_b64 s[0:1], s[0:1]
	s_cbranch_execz .LBB2151_461
; %bb.456:
	s_waitcnt vmcnt(1)
	v_mov_b32_e32 v0, 0
	s_mov_b32 s4, 0
	v_mov_b32_e32 v1, v0
.LBB2151_457:                           ; =>This Inner Loop Header: Depth=1
	s_add_i32 s5, s4, 0xf4
	s_add_i32 s4, s4, 8
	s_cmp_lg_u32 s4, 32
	scratch_store_dwordx2 off, v[0:1], s5
	s_cbranch_scc1 .LBB2151_457
; %bb.458:
	s_mov_b32 s4, 0
.LBB2151_459:                           ; =>This Inner Loop Header: Depth=1
	s_add_i32 s5, s4, 0x70
	s_add_i32 s8, s23, s4
	scratch_load_dwordx2 v[0:1], off, s5
	scratch_load_dwordx2 v[2:3], off, s8
	s_add_i32 s5, s4, 0xf4
	s_add_i32 s4, s4, 8
	s_cmp_lg_u32 s4, 32
	s_waitcnt vmcnt(0)
	v_add_u32_e32 v1, v3, v1
	v_add_u32_e32 v0, v2, v0
	scratch_store_dwordx2 off, v[0:1], s5
	s_cbranch_scc1 .LBB2151_459
; %bb.460:
	scratch_load_dwordx4 v[0:3], off, off offset:244
	scratch_load_dwordx4 v[4:7], off, off offset:260
.LBB2151_461:
	s_or_b64 exec, exec, s[0:1]
	scratch_load_ubyte v10, off, off offset:392
	v_or_b32_e32 v8, v9, v8
	v_and_b32_e32 v8, 1, v8
	v_cmp_eq_u32_e32 vcc, 1, v8
	s_waitcnt vmcnt(2)
	scratch_store_dwordx4 off, v[0:3], off offset:112
	s_waitcnt vmcnt(2)
	scratch_store_dwordx4 off, v[4:7], off offset:128
	scratch_store_dwordx4 off, v[0:3], s23
	scratch_store_dwordx4 off, v[4:7], s23 offset:16
	scratch_store_byte off, v8, off offset:356
                                        ; implicit-def: $vgpr6_vgpr7
                                        ; implicit-def: $vgpr2_vgpr3
	s_waitcnt vmcnt(5)
	v_cmp_ne_u16_e64 s[0:1], 0, v10
	s_and_saveexec_b64 s[4:5], s[0:1]
	s_xor_b64 s[0:1], exec, s[4:5]
	s_cbranch_execz .LBB2151_463
; %bb.462:
	scratch_load_dwordx4 v[0:3], off, off offset:360
	scratch_load_dwordx4 v[4:7], off, off offset:376
.LBB2151_463:
	s_andn2_saveexec_b64 s[0:1], s[0:1]
	s_cbranch_execz .LBB2151_469
; %bb.464:
	s_waitcnt vmcnt(1)
	v_mov_b32_e32 v0, 0
	s_mov_b32 s4, 0
	v_mov_b32_e32 v1, v0
.LBB2151_465:                           ; =>This Inner Loop Header: Depth=1
	s_add_i32 s5, s4, 0xf4
	s_add_i32 s4, s4, 8
	s_cmp_lg_u32 s4, 32
	scratch_store_dwordx2 off, v[0:1], s5
	s_cbranch_scc1 .LBB2151_465
; %bb.466:
	s_mov_b32 s4, 0
.LBB2151_467:                           ; =>This Inner Loop Header: Depth=1
	s_add_i32 s5, s4, 0x70
	s_add_i32 s8, s33, s4
	scratch_load_dwordx2 v[0:1], off, s5
	scratch_load_dwordx2 v[2:3], off, s8
	s_add_i32 s5, s4, 0xf4
	s_add_i32 s4, s4, 8
	s_cmp_lg_u32 s4, 32
	s_waitcnt vmcnt(0)
	v_add_u32_e32 v1, v3, v1
	v_add_u32_e32 v0, v2, v0
	scratch_store_dwordx2 off, v[0:1], s5
	s_cbranch_scc1 .LBB2151_467
; %bb.468:
	scratch_load_dwordx4 v[0:3], off, off offset:244
	scratch_load_dwordx4 v[4:7], off, off offset:260
.LBB2151_469:
	s_or_b64 exec, exec, s[0:1]
	v_and_b32_e32 v8, 1, v10
	v_cmp_eq_u32_e64 s[0:1], 1, v8
	v_mov_b32_e32 v8, 0
	ds_read2_b32 v[12:13], v8 offset0:33 offset1:34
	ds_read2_b32 v[10:11], v8 offset0:31 offset1:32
	;; [unrolled: 1-line block ×4, first 2 shown]
	s_waitcnt vmcnt(1)
	scratch_store_dwordx4 off, v[0:3], s33
	ds_read_u8 v0, v8 offset:140
	s_or_b64 s[0:1], s[0:1], vcc
	v_cndmask_b32_e64 v9, 0, 1, s[0:1]
	s_waitcnt vmcnt(1)
	scratch_store_dwordx4 off, v[4:7], s33 offset:16
	scratch_store_byte off, v9, off offset:392
	s_waitcnt lgkmcnt(1)
	scratch_store_dwordx4 off, v[18:21], off offset:208
	scratch_store_dwordx4 off, v[10:13], off offset:224
	s_waitcnt lgkmcnt(0)
	scratch_store_byte off, v0, off offset:240
	s_and_saveexec_b64 s[0:1], s[6:7]
	s_cbranch_execz .LBB2151_471
; %bb.470:
	scratch_load_ushort v1, off, off offset:241
	scratch_load_ubyte v6, off, off offset:243
	scratch_load_dwordx4 v[2:5], off, off offset:208
	scratch_load_dwordx4 v[10:13], off, off offset:224
	s_mov_b32 s4, 0x2010004
	v_mov_b32_e32 v7, 2
	s_waitcnt vmcnt(1)
	global_store_dword v8, v2, s[18:19] offset:2304 sc1
	global_store_dword v8, v3, s[18:19] offset:2308 sc1
	;; [unrolled: 1-line block ×4, first 2 shown]
	s_waitcnt vmcnt(4)
	global_store_dword v8, v10, s[18:19] offset:2320 sc1
	global_store_dword v8, v11, s[18:19] offset:2324 sc1
	;; [unrolled: 1-line block ×4, first 2 shown]
	v_lshl_or_b32 v1, v6, 16, v1
	v_perm_b32 v0, v0, v1, s4
	global_store_dword v8, v0, s[18:19] offset:2336 sc1
	s_waitcnt vmcnt(0)
	global_store_byte v8, v7, s[20:21] offset:64 sc1
.LBB2151_471:
	s_or_b64 exec, exec, s[0:1]
.LBB2151_472:
	v_mov_b32_e32 v0, 0
	s_mov_b32 s0, 0
	v_mov_b32_e32 v1, v0
.LBB2151_473:                           ; =>This Inner Loop Header: Depth=1
	s_add_i32 s1, s0, 0x70
	s_add_i32 s0, s0, 8
	s_cmp_lg_u32 s0, 32
	scratch_store_dwordx2 off, v[0:1], s1
	s_cbranch_scc1 .LBB2151_473
; %bb.474:
	v_mov_b32_e32 v0, 0
	s_mov_b32 s0, 32
	v_mov_b32_e32 v1, v0
.LBB2151_475:                           ; =>This Inner Loop Header: Depth=1
	s_add_i32 s1, s0, 0x70
	s_add_i32 s0, s0, 8
	s_cmp_lg_u32 s0, 64
	scratch_store_dwordx2 off, v[0:1], s1
	s_cbranch_scc1 .LBB2151_475
; %bb.476:
	v_mov_b32_e32 v0, 0
	s_mov_b32 s0, 64
	v_mov_b32_e32 v1, v0
.LBB2151_477:                           ; =>This Inner Loop Header: Depth=1
	s_add_i32 s1, s0, 0x70
	s_add_i32 s0, s0, 8
	s_cmpk_lg_i32 s0, 0x60
	scratch_store_dwordx2 off, v[0:1], s1
	s_cbranch_scc1 .LBB2151_477
; %bb.478:
	s_add_u32 s0, s14, s34
	s_addc_u32 s1, s15, s35
	v_mov_b32_e32 v0, 0x70
	s_add_u32 s0, s0, s36
	v_add_u32_e32 v4, 64, v0
	v_add_u32_e32 v5, 32, v0
	s_addc_u32 s1, s1, s37
	s_and_b64 vcc, exec, s[2:3]
	s_cbranch_vccz .LBB2151_488
; %bb.479:
	s_add_i32 s50, s50, s22
	v_mul_u32_u24_e32 v0, 3, v16
	v_cmp_gt_u32_e32 vcc, s50, v0
	s_and_saveexec_b64 s[2:3], vcc
	s_cbranch_execz .LBB2151_483
; %bb.480:
	scratch_load_dwordx4 v[6:9], off, off offset:288
	scratch_load_dwordx4 v[10:13], off, off offset:304
	v_add_u32_e32 v1, 1, v0
	v_cmp_gt_u32_e32 vcc, s50, v1
	s_waitcnt vmcnt(1)
	scratch_store_dwordx4 off, v[6:9], off offset:112
	s_waitcnt vmcnt(1)
	scratch_store_dwordx4 off, v[10:13], off offset:128
	s_and_b64 exec, exec, vcc
	s_cbranch_execz .LBB2151_483
; %bb.481:
	scratch_load_dwordx4 v[6:9], off, s23
	scratch_load_dwordx4 v[10:13], off, s23 offset:16
	v_add_u32_e32 v1, 2, v0
	v_cmp_gt_u32_e32 vcc, s50, v1
	s_waitcnt vmcnt(1)
	scratch_store_dwordx4 v5, v[6:9], off
	s_waitcnt vmcnt(1)
	scratch_store_dwordx4 v5, v[10:13], off offset:16
	s_and_b64 exec, exec, vcc
	s_cbranch_execz .LBB2151_483
; %bb.482:
	scratch_load_dwordx4 v[6:9], off, s33
	scratch_load_dwordx4 v[10:13], off, s33 offset:16
	s_waitcnt vmcnt(1)
	scratch_store_dwordx4 v4, v[6:9], off
	s_waitcnt vmcnt(1)
	scratch_store_dwordx4 v4, v[10:13], off offset:16
.LBB2151_483:
	s_or_b64 exec, exec, s[2:3]
	s_barrier
	scratch_load_dwordx4 v[8:11], off, off offset:112
	scratch_load_dwordx4 v[12:15], off, off offset:128
	scratch_load_dwordx4 v[18:21], v5, off
	scratch_load_dwordx4 v[22:25], v5, off offset:16
	scratch_load_dwordx4 v[26:29], v4, off
	scratch_load_dwordx4 v[30:33], v4, off offset:16
	v_lshlrev_b32_e32 v2, 5, v0
	v_lshlrev_b32_e32 v3, 6, v16
	v_sub_u32_e32 v6, v2, v3
	v_mov_b32_e32 v1, 0
	v_lshlrev_b32_e32 v0, 5, v16
	v_cmp_gt_u32_e32 vcc, s50, v16
	s_waitcnt vmcnt(5)
	ds_write_b128 v2, v[8:11]
	s_waitcnt vmcnt(4)
	ds_write_b128 v2, v[12:15] offset:16
	s_waitcnt vmcnt(3)
	ds_write_b128 v2, v[18:21] offset:32
	;; [unrolled: 2-line block ×5, first 2 shown]
	s_waitcnt lgkmcnt(0)
	s_barrier
	ds_read_b128 v[8:11], v6 offset:8192
	ds_read_b128 v[12:15], v6 offset:8208
	;; [unrolled: 1-line block ×4, first 2 shown]
	v_lshl_add_u64 v[2:3], s[0:1], 0, v[0:1]
	s_waitcnt lgkmcnt(3)
	scratch_store_dwordx4 v5, v[8:11], off
	s_waitcnt lgkmcnt(2)
	scratch_store_dwordx4 v5, v[12:15], off offset:16
	s_waitcnt lgkmcnt(1)
	scratch_store_dwordx4 v4, v[18:21], off
	s_waitcnt lgkmcnt(0)
	scratch_store_dwordx4 v4, v[22:25], off offset:16
	s_and_saveexec_b64 s[2:3], vcc
	s_cbranch_execz .LBB2151_485
; %bb.484:
	ds_read2_b32 v[8:9], v6 offset0:4 offset1:5
	ds_read2_b32 v[10:11], v6 offset0:6 offset1:7
	;; [unrolled: 1-line block ×3, first 2 shown]
	ds_read2_b32 v[12:13], v6 offset1:1
	s_waitcnt lgkmcnt(0)
	flat_store_dwordx4 v[2:3], v[12:15]
	flat_store_dwordx4 v[2:3], v[8:11] offset:16
.LBB2151_485:
	s_or_b64 exec, exec, s[2:3]
	v_or_b32_e32 v0, 0x100, v16
	v_cmp_gt_u32_e32 vcc, s50, v0
	s_and_saveexec_b64 s[2:3], vcc
	s_cbranch_execz .LBB2151_487
; %bb.486:
	scratch_load_dwordx4 v[6:9], v5, off offset:16
	s_mov_b64 s[4:5], 0x2000
	v_lshl_add_u64 v[10:11], v[2:3], 0, s[4:5]
	v_add_co_u32_e32 v2, vcc, 0x2000, v2
	s_waitcnt vmcnt(0)
	flat_store_dwordx4 v[10:11], v[6:9] offset:16
	scratch_load_dwordx4 v[6:9], v5, off
	v_addc_co_u32_e32 v3, vcc, 0, v3, vcc
	s_waitcnt vmcnt(0)
	flat_store_dwordx4 v[2:3], v[6:9]
.LBB2151_487:
	s_or_b64 exec, exec, s[2:3]
	v_or_b32_e32 v0, 0x200, v16
	v_mov_b32_e32 v17, v1
	v_cmp_gt_u32_e64 s[2:3], s50, v0
	s_branch .LBB2151_490
.LBB2151_488:
	s_mov_b64 s[2:3], 0
	s_cbranch_execz .LBB2151_490
; %bb.489:
	scratch_load_dwordx4 v[0:3], off, off offset:288
	scratch_load_dwordx4 v[6:9], off, off offset:304
	scratch_load_dwordx4 v[10:13], off, s23
	scratch_load_dwordx4 v[18:21], off, s23 offset:16
	scratch_load_dwordx4 v[22:25], off, s33
	scratch_load_dwordx4 v[26:29], off, s33 offset:16
	v_mul_u32_u24_e32 v34, 0x60, v16
	v_lshlrev_b32_e32 v15, 6, v16
	v_sub_u32_e32 v35, v34, v15
	v_mov_b32_e32 v17, 0
	v_lshlrev_b32_e32 v14, 5, v16
	v_mov_b32_e32 v15, v17
	v_lshl_add_u64 v[14:15], s[0:1], 0, v[14:15]
	s_mov_b64 s[4:5], 0x2000
	v_add_co_u32_e32 v32, vcc, 0x2000, v14
	s_or_b64 s[2:3], s[2:3], exec
	v_lshl_add_u64 v[30:31], v[14:15], 0, s[4:5]
	v_addc_co_u32_e32 v33, vcc, 0, v15, vcc
	s_waitcnt vmcnt(0)
	scratch_store_dwordx4 off, v[0:3], off offset:112
	scratch_store_dwordx4 off, v[6:9], off offset:128
	scratch_store_dwordx4 v5, v[10:13], off
	scratch_store_dwordx4 v5, v[18:21], off offset:16
	scratch_store_dwordx4 v4, v[22:25], off
	scratch_store_dwordx4 v4, v[26:29], off offset:16
	s_waitcnt lgkmcnt(0)
	s_barrier
	scratch_load_dwordx4 v[0:3], off, off offset:112
	scratch_load_dwordx4 v[6:9], off, off offset:128
	scratch_load_dwordx4 v[10:13], v5, off
	scratch_load_dwordx4 v[18:21], v5, off offset:16
	scratch_load_dwordx4 v[22:25], v4, off
	scratch_load_dwordx4 v[26:29], v4, off offset:16
	s_waitcnt vmcnt(5)
	ds_write_b128 v34, v[0:3]
	s_waitcnt vmcnt(4)
	ds_write_b128 v34, v[6:9] offset:16
	s_waitcnt vmcnt(3)
	ds_write_b128 v34, v[10:13] offset:32
	;; [unrolled: 2-line block ×5, first 2 shown]
	s_waitcnt lgkmcnt(0)
	s_barrier
	ds_read_b128 v[0:3], v35 offset:8192
	ds_read_b128 v[6:9], v35 offset:8208
	;; [unrolled: 1-line block ×4, first 2 shown]
	ds_read2_b32 v[22:23], v35 offset1:1
	ds_read2_b32 v[28:29], v35 offset0:6 offset1:7
	ds_read2_b32 v[26:27], v35 offset0:4 offset1:5
	;; [unrolled: 1-line block ×3, first 2 shown]
	s_waitcnt lgkmcnt(7)
	scratch_store_dwordx4 v5, v[0:3], off
	s_waitcnt lgkmcnt(6)
	scratch_store_dwordx4 v5, v[6:9], off offset:16
	s_waitcnt lgkmcnt(5)
	scratch_store_dwordx4 v4, v[10:13], off
	s_waitcnt lgkmcnt(4)
	scratch_store_dwordx4 v4, v[18:21], off offset:16
	s_waitcnt lgkmcnt(1)
	flat_store_dwordx4 v[14:15], v[26:29] offset:16
	s_waitcnt lgkmcnt(0)
	flat_store_dwordx4 v[14:15], v[22:25]
	flat_store_dwordx4 v[32:33], v[0:3]
	flat_store_dwordx4 v[30:31], v[6:9] offset:16
.LBB2151_490:
	s_and_saveexec_b64 s[4:5], s[2:3]
	s_cbranch_execnz .LBB2151_492
; %bb.491:
	s_endpgm
.LBB2151_492:
	scratch_load_dwordx4 v[0:3], v4, off offset:16
	v_lshlrev_b64 v[6:7], 5, v[16:17]
	v_lshl_add_u64 v[6:7], s[0:1], 0, v[6:7]
	s_mov_b64 s[0:1], 0x4000
	v_lshl_add_u64 v[8:9], v[6:7], 0, s[0:1]
	s_waitcnt vmcnt(0)
	flat_store_dwordx4 v[8:9], v[0:3] offset:16
	scratch_load_dwordx4 v[0:3], v4, off
	v_add_co_u32_e32 v4, vcc, 0x4000, v6
	s_nop 1
	v_addc_co_u32_e32 v5, vcc, 0, v7, vcc
	s_waitcnt vmcnt(0)
	flat_store_dwordx4 v[4:5], v[0:3]
	s_endpgm
.LBB2151_493:
	v_lshlrev_b64 v[10:11], 5, v[16:17]
	v_lshl_add_u64 v[14:15], s[28:29], 0, v[10:11]
	flat_load_dwordx4 v[10:13], v[14:15]
	flat_load_dwordx4 v[18:21], v[14:15] offset:16
	s_waitcnt vmcnt(0) lgkmcnt(0)
	scratch_store_dwordx4 off, v[10:13], off offset:112
	scratch_store_dwordx4 off, v[18:21], off offset:128
	s_or_b64 exec, exec, s[24:25]
	s_and_saveexec_b64 s[8:9], s[10:11]
	s_cbranch_execz .LBB2151_311
.LBB2151_494:
	v_lshlrev_b32_e32 v10, 5, v6
	v_mov_b32_e32 v11, 0
	v_lshl_add_u64 v[14:15], s[28:29], 0, v[10:11]
	flat_load_dwordx4 v[10:13], v[14:15]
	flat_load_dwordx4 v[18:21], v[14:15] offset:16
	s_waitcnt vmcnt(0) lgkmcnt(0)
	scratch_store_dwordx4 off, v[10:13], off offset:144
	scratch_store_dwordx4 off, v[18:21], off offset:160
	s_or_b64 exec, exec, s[8:9]
	s_and_saveexec_b64 s[8:9], s[12:13]
	s_cbranch_execnz .LBB2151_312
	s_branch .LBB2151_313
.LBB2151_495:
                                        ; implicit-def: $sgpr24_sgpr25
	s_branch .LBB2151_306
.LBB2151_496:
                                        ; implicit-def: $sgpr8_sgpr9
	s_branch .LBB2151_321
	.section	.rodata,"a",@progbits
	.p2align	6, 0x0
	.amdhsa_kernel _ZN7rocprim17ROCPRIM_400000_NS6detail17trampoline_kernelINS0_14default_configENS1_27scan_by_key_config_selectorIj11FixedVectorIiLj8EEEEZZNS1_16scan_by_key_implILNS1_25lookback_scan_determinismE0ELb0ES3_N6thrust23THRUST_200600_302600_NS6detail15normal_iteratorINSB_10device_ptrIjEEEENSD_INSE_IS6_EEEESI_S6_NSB_4plusIvEENSB_8equal_toIvEES6_EE10hipError_tPvRmT2_T3_T4_T5_mT6_T7_P12ihipStream_tbENKUlT_T0_E_clISt17integral_constantIbLb0EES12_IbLb1EEEEDaSY_SZ_EUlSY_E_NS1_11comp_targetILNS1_3genE5ELNS1_11target_archE942ELNS1_3gpuE9ELNS1_3repE0EEENS1_30default_config_static_selectorELNS0_4arch9wavefront6targetE1EEEvT1_
		.amdhsa_group_segment_fixed_size 32768
		.amdhsa_private_segment_fixed_size 400
		.amdhsa_kernarg_size 160
		.amdhsa_user_sgpr_count 4
		.amdhsa_user_sgpr_dispatch_ptr 1
		.amdhsa_user_sgpr_queue_ptr 0
		.amdhsa_user_sgpr_kernarg_segment_ptr 1
		.amdhsa_user_sgpr_dispatch_id 0
		.amdhsa_user_sgpr_kernarg_preload_length 0
		.amdhsa_user_sgpr_kernarg_preload_offset 0
		.amdhsa_user_sgpr_private_segment_size 0
		.amdhsa_uses_dynamic_stack 0
		.amdhsa_enable_private_segment 1
		.amdhsa_system_sgpr_workgroup_id_x 1
		.amdhsa_system_sgpr_workgroup_id_y 0
		.amdhsa_system_sgpr_workgroup_id_z 0
		.amdhsa_system_sgpr_workgroup_info 0
		.amdhsa_system_vgpr_workitem_id 2
		.amdhsa_next_free_vgpr 40
		.amdhsa_next_free_sgpr 53
		.amdhsa_accum_offset 40
		.amdhsa_reserve_vcc 1
		.amdhsa_float_round_mode_32 0
		.amdhsa_float_round_mode_16_64 0
		.amdhsa_float_denorm_mode_32 3
		.amdhsa_float_denorm_mode_16_64 3
		.amdhsa_dx10_clamp 1
		.amdhsa_ieee_mode 1
		.amdhsa_fp16_overflow 0
		.amdhsa_tg_split 0
		.amdhsa_exception_fp_ieee_invalid_op 0
		.amdhsa_exception_fp_denorm_src 0
		.amdhsa_exception_fp_ieee_div_zero 0
		.amdhsa_exception_fp_ieee_overflow 0
		.amdhsa_exception_fp_ieee_underflow 0
		.amdhsa_exception_fp_ieee_inexact 0
		.amdhsa_exception_int_div_zero 0
	.end_amdhsa_kernel
	.section	.text._ZN7rocprim17ROCPRIM_400000_NS6detail17trampoline_kernelINS0_14default_configENS1_27scan_by_key_config_selectorIj11FixedVectorIiLj8EEEEZZNS1_16scan_by_key_implILNS1_25lookback_scan_determinismE0ELb0ES3_N6thrust23THRUST_200600_302600_NS6detail15normal_iteratorINSB_10device_ptrIjEEEENSD_INSE_IS6_EEEESI_S6_NSB_4plusIvEENSB_8equal_toIvEES6_EE10hipError_tPvRmT2_T3_T4_T5_mT6_T7_P12ihipStream_tbENKUlT_T0_E_clISt17integral_constantIbLb0EES12_IbLb1EEEEDaSY_SZ_EUlSY_E_NS1_11comp_targetILNS1_3genE5ELNS1_11target_archE942ELNS1_3gpuE9ELNS1_3repE0EEENS1_30default_config_static_selectorELNS0_4arch9wavefront6targetE1EEEvT1_,"axG",@progbits,_ZN7rocprim17ROCPRIM_400000_NS6detail17trampoline_kernelINS0_14default_configENS1_27scan_by_key_config_selectorIj11FixedVectorIiLj8EEEEZZNS1_16scan_by_key_implILNS1_25lookback_scan_determinismE0ELb0ES3_N6thrust23THRUST_200600_302600_NS6detail15normal_iteratorINSB_10device_ptrIjEEEENSD_INSE_IS6_EEEESI_S6_NSB_4plusIvEENSB_8equal_toIvEES6_EE10hipError_tPvRmT2_T3_T4_T5_mT6_T7_P12ihipStream_tbENKUlT_T0_E_clISt17integral_constantIbLb0EES12_IbLb1EEEEDaSY_SZ_EUlSY_E_NS1_11comp_targetILNS1_3genE5ELNS1_11target_archE942ELNS1_3gpuE9ELNS1_3repE0EEENS1_30default_config_static_selectorELNS0_4arch9wavefront6targetE1EEEvT1_,comdat
.Lfunc_end2151:
	.size	_ZN7rocprim17ROCPRIM_400000_NS6detail17trampoline_kernelINS0_14default_configENS1_27scan_by_key_config_selectorIj11FixedVectorIiLj8EEEEZZNS1_16scan_by_key_implILNS1_25lookback_scan_determinismE0ELb0ES3_N6thrust23THRUST_200600_302600_NS6detail15normal_iteratorINSB_10device_ptrIjEEEENSD_INSE_IS6_EEEESI_S6_NSB_4plusIvEENSB_8equal_toIvEES6_EE10hipError_tPvRmT2_T3_T4_T5_mT6_T7_P12ihipStream_tbENKUlT_T0_E_clISt17integral_constantIbLb0EES12_IbLb1EEEEDaSY_SZ_EUlSY_E_NS1_11comp_targetILNS1_3genE5ELNS1_11target_archE942ELNS1_3gpuE9ELNS1_3repE0EEENS1_30default_config_static_selectorELNS0_4arch9wavefront6targetE1EEEvT1_, .Lfunc_end2151-_ZN7rocprim17ROCPRIM_400000_NS6detail17trampoline_kernelINS0_14default_configENS1_27scan_by_key_config_selectorIj11FixedVectorIiLj8EEEEZZNS1_16scan_by_key_implILNS1_25lookback_scan_determinismE0ELb0ES3_N6thrust23THRUST_200600_302600_NS6detail15normal_iteratorINSB_10device_ptrIjEEEENSD_INSE_IS6_EEEESI_S6_NSB_4plusIvEENSB_8equal_toIvEES6_EE10hipError_tPvRmT2_T3_T4_T5_mT6_T7_P12ihipStream_tbENKUlT_T0_E_clISt17integral_constantIbLb0EES12_IbLb1EEEEDaSY_SZ_EUlSY_E_NS1_11comp_targetILNS1_3genE5ELNS1_11target_archE942ELNS1_3gpuE9ELNS1_3repE0EEENS1_30default_config_static_selectorELNS0_4arch9wavefront6targetE1EEEvT1_
                                        ; -- End function
	.section	.AMDGPU.csdata,"",@progbits
; Kernel info:
; codeLenInByte = 20940
; NumSgprs: 59
; NumVgprs: 40
; NumAgprs: 0
; TotalNumVgprs: 40
; ScratchSize: 400
; MemoryBound: 0
; FloatMode: 240
; IeeeMode: 1
; LDSByteSize: 32768 bytes/workgroup (compile time only)
; SGPRBlocks: 7
; VGPRBlocks: 4
; NumSGPRsForWavesPerEU: 59
; NumVGPRsForWavesPerEU: 40
; AccumOffset: 40
; Occupancy: 2
; WaveLimiterHint : 1
; COMPUTE_PGM_RSRC2:SCRATCH_EN: 1
; COMPUTE_PGM_RSRC2:USER_SGPR: 4
; COMPUTE_PGM_RSRC2:TRAP_HANDLER: 0
; COMPUTE_PGM_RSRC2:TGID_X_EN: 1
; COMPUTE_PGM_RSRC2:TGID_Y_EN: 0
; COMPUTE_PGM_RSRC2:TGID_Z_EN: 0
; COMPUTE_PGM_RSRC2:TIDIG_COMP_CNT: 2
; COMPUTE_PGM_RSRC3_GFX90A:ACCUM_OFFSET: 9
; COMPUTE_PGM_RSRC3_GFX90A:TG_SPLIT: 0
	.section	.text._ZN7rocprim17ROCPRIM_400000_NS6detail17trampoline_kernelINS0_14default_configENS1_27scan_by_key_config_selectorIj11FixedVectorIiLj8EEEEZZNS1_16scan_by_key_implILNS1_25lookback_scan_determinismE0ELb0ES3_N6thrust23THRUST_200600_302600_NS6detail15normal_iteratorINSB_10device_ptrIjEEEENSD_INSE_IS6_EEEESI_S6_NSB_4plusIvEENSB_8equal_toIvEES6_EE10hipError_tPvRmT2_T3_T4_T5_mT6_T7_P12ihipStream_tbENKUlT_T0_E_clISt17integral_constantIbLb0EES12_IbLb1EEEEDaSY_SZ_EUlSY_E_NS1_11comp_targetILNS1_3genE4ELNS1_11target_archE910ELNS1_3gpuE8ELNS1_3repE0EEENS1_30default_config_static_selectorELNS0_4arch9wavefront6targetE1EEEvT1_,"axG",@progbits,_ZN7rocprim17ROCPRIM_400000_NS6detail17trampoline_kernelINS0_14default_configENS1_27scan_by_key_config_selectorIj11FixedVectorIiLj8EEEEZZNS1_16scan_by_key_implILNS1_25lookback_scan_determinismE0ELb0ES3_N6thrust23THRUST_200600_302600_NS6detail15normal_iteratorINSB_10device_ptrIjEEEENSD_INSE_IS6_EEEESI_S6_NSB_4plusIvEENSB_8equal_toIvEES6_EE10hipError_tPvRmT2_T3_T4_T5_mT6_T7_P12ihipStream_tbENKUlT_T0_E_clISt17integral_constantIbLb0EES12_IbLb1EEEEDaSY_SZ_EUlSY_E_NS1_11comp_targetILNS1_3genE4ELNS1_11target_archE910ELNS1_3gpuE8ELNS1_3repE0EEENS1_30default_config_static_selectorELNS0_4arch9wavefront6targetE1EEEvT1_,comdat
	.protected	_ZN7rocprim17ROCPRIM_400000_NS6detail17trampoline_kernelINS0_14default_configENS1_27scan_by_key_config_selectorIj11FixedVectorIiLj8EEEEZZNS1_16scan_by_key_implILNS1_25lookback_scan_determinismE0ELb0ES3_N6thrust23THRUST_200600_302600_NS6detail15normal_iteratorINSB_10device_ptrIjEEEENSD_INSE_IS6_EEEESI_S6_NSB_4plusIvEENSB_8equal_toIvEES6_EE10hipError_tPvRmT2_T3_T4_T5_mT6_T7_P12ihipStream_tbENKUlT_T0_E_clISt17integral_constantIbLb0EES12_IbLb1EEEEDaSY_SZ_EUlSY_E_NS1_11comp_targetILNS1_3genE4ELNS1_11target_archE910ELNS1_3gpuE8ELNS1_3repE0EEENS1_30default_config_static_selectorELNS0_4arch9wavefront6targetE1EEEvT1_ ; -- Begin function _ZN7rocprim17ROCPRIM_400000_NS6detail17trampoline_kernelINS0_14default_configENS1_27scan_by_key_config_selectorIj11FixedVectorIiLj8EEEEZZNS1_16scan_by_key_implILNS1_25lookback_scan_determinismE0ELb0ES3_N6thrust23THRUST_200600_302600_NS6detail15normal_iteratorINSB_10device_ptrIjEEEENSD_INSE_IS6_EEEESI_S6_NSB_4plusIvEENSB_8equal_toIvEES6_EE10hipError_tPvRmT2_T3_T4_T5_mT6_T7_P12ihipStream_tbENKUlT_T0_E_clISt17integral_constantIbLb0EES12_IbLb1EEEEDaSY_SZ_EUlSY_E_NS1_11comp_targetILNS1_3genE4ELNS1_11target_archE910ELNS1_3gpuE8ELNS1_3repE0EEENS1_30default_config_static_selectorELNS0_4arch9wavefront6targetE1EEEvT1_
	.globl	_ZN7rocprim17ROCPRIM_400000_NS6detail17trampoline_kernelINS0_14default_configENS1_27scan_by_key_config_selectorIj11FixedVectorIiLj8EEEEZZNS1_16scan_by_key_implILNS1_25lookback_scan_determinismE0ELb0ES3_N6thrust23THRUST_200600_302600_NS6detail15normal_iteratorINSB_10device_ptrIjEEEENSD_INSE_IS6_EEEESI_S6_NSB_4plusIvEENSB_8equal_toIvEES6_EE10hipError_tPvRmT2_T3_T4_T5_mT6_T7_P12ihipStream_tbENKUlT_T0_E_clISt17integral_constantIbLb0EES12_IbLb1EEEEDaSY_SZ_EUlSY_E_NS1_11comp_targetILNS1_3genE4ELNS1_11target_archE910ELNS1_3gpuE8ELNS1_3repE0EEENS1_30default_config_static_selectorELNS0_4arch9wavefront6targetE1EEEvT1_
	.p2align	8
	.type	_ZN7rocprim17ROCPRIM_400000_NS6detail17trampoline_kernelINS0_14default_configENS1_27scan_by_key_config_selectorIj11FixedVectorIiLj8EEEEZZNS1_16scan_by_key_implILNS1_25lookback_scan_determinismE0ELb0ES3_N6thrust23THRUST_200600_302600_NS6detail15normal_iteratorINSB_10device_ptrIjEEEENSD_INSE_IS6_EEEESI_S6_NSB_4plusIvEENSB_8equal_toIvEES6_EE10hipError_tPvRmT2_T3_T4_T5_mT6_T7_P12ihipStream_tbENKUlT_T0_E_clISt17integral_constantIbLb0EES12_IbLb1EEEEDaSY_SZ_EUlSY_E_NS1_11comp_targetILNS1_3genE4ELNS1_11target_archE910ELNS1_3gpuE8ELNS1_3repE0EEENS1_30default_config_static_selectorELNS0_4arch9wavefront6targetE1EEEvT1_,@function
_ZN7rocprim17ROCPRIM_400000_NS6detail17trampoline_kernelINS0_14default_configENS1_27scan_by_key_config_selectorIj11FixedVectorIiLj8EEEEZZNS1_16scan_by_key_implILNS1_25lookback_scan_determinismE0ELb0ES3_N6thrust23THRUST_200600_302600_NS6detail15normal_iteratorINSB_10device_ptrIjEEEENSD_INSE_IS6_EEEESI_S6_NSB_4plusIvEENSB_8equal_toIvEES6_EE10hipError_tPvRmT2_T3_T4_T5_mT6_T7_P12ihipStream_tbENKUlT_T0_E_clISt17integral_constantIbLb0EES12_IbLb1EEEEDaSY_SZ_EUlSY_E_NS1_11comp_targetILNS1_3genE4ELNS1_11target_archE910ELNS1_3gpuE8ELNS1_3repE0EEENS1_30default_config_static_selectorELNS0_4arch9wavefront6targetE1EEEvT1_: ; @_ZN7rocprim17ROCPRIM_400000_NS6detail17trampoline_kernelINS0_14default_configENS1_27scan_by_key_config_selectorIj11FixedVectorIiLj8EEEEZZNS1_16scan_by_key_implILNS1_25lookback_scan_determinismE0ELb0ES3_N6thrust23THRUST_200600_302600_NS6detail15normal_iteratorINSB_10device_ptrIjEEEENSD_INSE_IS6_EEEESI_S6_NSB_4plusIvEENSB_8equal_toIvEES6_EE10hipError_tPvRmT2_T3_T4_T5_mT6_T7_P12ihipStream_tbENKUlT_T0_E_clISt17integral_constantIbLb0EES12_IbLb1EEEEDaSY_SZ_EUlSY_E_NS1_11comp_targetILNS1_3genE4ELNS1_11target_archE910ELNS1_3gpuE8ELNS1_3repE0EEENS1_30default_config_static_selectorELNS0_4arch9wavefront6targetE1EEEvT1_
; %bb.0:
	.section	.rodata,"a",@progbits
	.p2align	6, 0x0
	.amdhsa_kernel _ZN7rocprim17ROCPRIM_400000_NS6detail17trampoline_kernelINS0_14default_configENS1_27scan_by_key_config_selectorIj11FixedVectorIiLj8EEEEZZNS1_16scan_by_key_implILNS1_25lookback_scan_determinismE0ELb0ES3_N6thrust23THRUST_200600_302600_NS6detail15normal_iteratorINSB_10device_ptrIjEEEENSD_INSE_IS6_EEEESI_S6_NSB_4plusIvEENSB_8equal_toIvEES6_EE10hipError_tPvRmT2_T3_T4_T5_mT6_T7_P12ihipStream_tbENKUlT_T0_E_clISt17integral_constantIbLb0EES12_IbLb1EEEEDaSY_SZ_EUlSY_E_NS1_11comp_targetILNS1_3genE4ELNS1_11target_archE910ELNS1_3gpuE8ELNS1_3repE0EEENS1_30default_config_static_selectorELNS0_4arch9wavefront6targetE1EEEvT1_
		.amdhsa_group_segment_fixed_size 0
		.amdhsa_private_segment_fixed_size 0
		.amdhsa_kernarg_size 160
		.amdhsa_user_sgpr_count 2
		.amdhsa_user_sgpr_dispatch_ptr 0
		.amdhsa_user_sgpr_queue_ptr 0
		.amdhsa_user_sgpr_kernarg_segment_ptr 1
		.amdhsa_user_sgpr_dispatch_id 0
		.amdhsa_user_sgpr_kernarg_preload_length 0
		.amdhsa_user_sgpr_kernarg_preload_offset 0
		.amdhsa_user_sgpr_private_segment_size 0
		.amdhsa_uses_dynamic_stack 0
		.amdhsa_enable_private_segment 0
		.amdhsa_system_sgpr_workgroup_id_x 1
		.amdhsa_system_sgpr_workgroup_id_y 0
		.amdhsa_system_sgpr_workgroup_id_z 0
		.amdhsa_system_sgpr_workgroup_info 0
		.amdhsa_system_vgpr_workitem_id 0
		.amdhsa_next_free_vgpr 1
		.amdhsa_next_free_sgpr 0
		.amdhsa_accum_offset 4
		.amdhsa_reserve_vcc 0
		.amdhsa_float_round_mode_32 0
		.amdhsa_float_round_mode_16_64 0
		.amdhsa_float_denorm_mode_32 3
		.amdhsa_float_denorm_mode_16_64 3
		.amdhsa_dx10_clamp 1
		.amdhsa_ieee_mode 1
		.amdhsa_fp16_overflow 0
		.amdhsa_tg_split 0
		.amdhsa_exception_fp_ieee_invalid_op 0
		.amdhsa_exception_fp_denorm_src 0
		.amdhsa_exception_fp_ieee_div_zero 0
		.amdhsa_exception_fp_ieee_overflow 0
		.amdhsa_exception_fp_ieee_underflow 0
		.amdhsa_exception_fp_ieee_inexact 0
		.amdhsa_exception_int_div_zero 0
	.end_amdhsa_kernel
	.section	.text._ZN7rocprim17ROCPRIM_400000_NS6detail17trampoline_kernelINS0_14default_configENS1_27scan_by_key_config_selectorIj11FixedVectorIiLj8EEEEZZNS1_16scan_by_key_implILNS1_25lookback_scan_determinismE0ELb0ES3_N6thrust23THRUST_200600_302600_NS6detail15normal_iteratorINSB_10device_ptrIjEEEENSD_INSE_IS6_EEEESI_S6_NSB_4plusIvEENSB_8equal_toIvEES6_EE10hipError_tPvRmT2_T3_T4_T5_mT6_T7_P12ihipStream_tbENKUlT_T0_E_clISt17integral_constantIbLb0EES12_IbLb1EEEEDaSY_SZ_EUlSY_E_NS1_11comp_targetILNS1_3genE4ELNS1_11target_archE910ELNS1_3gpuE8ELNS1_3repE0EEENS1_30default_config_static_selectorELNS0_4arch9wavefront6targetE1EEEvT1_,"axG",@progbits,_ZN7rocprim17ROCPRIM_400000_NS6detail17trampoline_kernelINS0_14default_configENS1_27scan_by_key_config_selectorIj11FixedVectorIiLj8EEEEZZNS1_16scan_by_key_implILNS1_25lookback_scan_determinismE0ELb0ES3_N6thrust23THRUST_200600_302600_NS6detail15normal_iteratorINSB_10device_ptrIjEEEENSD_INSE_IS6_EEEESI_S6_NSB_4plusIvEENSB_8equal_toIvEES6_EE10hipError_tPvRmT2_T3_T4_T5_mT6_T7_P12ihipStream_tbENKUlT_T0_E_clISt17integral_constantIbLb0EES12_IbLb1EEEEDaSY_SZ_EUlSY_E_NS1_11comp_targetILNS1_3genE4ELNS1_11target_archE910ELNS1_3gpuE8ELNS1_3repE0EEENS1_30default_config_static_selectorELNS0_4arch9wavefront6targetE1EEEvT1_,comdat
.Lfunc_end2152:
	.size	_ZN7rocprim17ROCPRIM_400000_NS6detail17trampoline_kernelINS0_14default_configENS1_27scan_by_key_config_selectorIj11FixedVectorIiLj8EEEEZZNS1_16scan_by_key_implILNS1_25lookback_scan_determinismE0ELb0ES3_N6thrust23THRUST_200600_302600_NS6detail15normal_iteratorINSB_10device_ptrIjEEEENSD_INSE_IS6_EEEESI_S6_NSB_4plusIvEENSB_8equal_toIvEES6_EE10hipError_tPvRmT2_T3_T4_T5_mT6_T7_P12ihipStream_tbENKUlT_T0_E_clISt17integral_constantIbLb0EES12_IbLb1EEEEDaSY_SZ_EUlSY_E_NS1_11comp_targetILNS1_3genE4ELNS1_11target_archE910ELNS1_3gpuE8ELNS1_3repE0EEENS1_30default_config_static_selectorELNS0_4arch9wavefront6targetE1EEEvT1_, .Lfunc_end2152-_ZN7rocprim17ROCPRIM_400000_NS6detail17trampoline_kernelINS0_14default_configENS1_27scan_by_key_config_selectorIj11FixedVectorIiLj8EEEEZZNS1_16scan_by_key_implILNS1_25lookback_scan_determinismE0ELb0ES3_N6thrust23THRUST_200600_302600_NS6detail15normal_iteratorINSB_10device_ptrIjEEEENSD_INSE_IS6_EEEESI_S6_NSB_4plusIvEENSB_8equal_toIvEES6_EE10hipError_tPvRmT2_T3_T4_T5_mT6_T7_P12ihipStream_tbENKUlT_T0_E_clISt17integral_constantIbLb0EES12_IbLb1EEEEDaSY_SZ_EUlSY_E_NS1_11comp_targetILNS1_3genE4ELNS1_11target_archE910ELNS1_3gpuE8ELNS1_3repE0EEENS1_30default_config_static_selectorELNS0_4arch9wavefront6targetE1EEEvT1_
                                        ; -- End function
	.section	.AMDGPU.csdata,"",@progbits
; Kernel info:
; codeLenInByte = 0
; NumSgprs: 6
; NumVgprs: 0
; NumAgprs: 0
; TotalNumVgprs: 0
; ScratchSize: 0
; MemoryBound: 0
; FloatMode: 240
; IeeeMode: 1
; LDSByteSize: 0 bytes/workgroup (compile time only)
; SGPRBlocks: 0
; VGPRBlocks: 0
; NumSGPRsForWavesPerEU: 6
; NumVGPRsForWavesPerEU: 1
; AccumOffset: 4
; Occupancy: 8
; WaveLimiterHint : 0
; COMPUTE_PGM_RSRC2:SCRATCH_EN: 0
; COMPUTE_PGM_RSRC2:USER_SGPR: 2
; COMPUTE_PGM_RSRC2:TRAP_HANDLER: 0
; COMPUTE_PGM_RSRC2:TGID_X_EN: 1
; COMPUTE_PGM_RSRC2:TGID_Y_EN: 0
; COMPUTE_PGM_RSRC2:TGID_Z_EN: 0
; COMPUTE_PGM_RSRC2:TIDIG_COMP_CNT: 0
; COMPUTE_PGM_RSRC3_GFX90A:ACCUM_OFFSET: 0
; COMPUTE_PGM_RSRC3_GFX90A:TG_SPLIT: 0
	.section	.text._ZN7rocprim17ROCPRIM_400000_NS6detail17trampoline_kernelINS0_14default_configENS1_27scan_by_key_config_selectorIj11FixedVectorIiLj8EEEEZZNS1_16scan_by_key_implILNS1_25lookback_scan_determinismE0ELb0ES3_N6thrust23THRUST_200600_302600_NS6detail15normal_iteratorINSB_10device_ptrIjEEEENSD_INSE_IS6_EEEESI_S6_NSB_4plusIvEENSB_8equal_toIvEES6_EE10hipError_tPvRmT2_T3_T4_T5_mT6_T7_P12ihipStream_tbENKUlT_T0_E_clISt17integral_constantIbLb0EES12_IbLb1EEEEDaSY_SZ_EUlSY_E_NS1_11comp_targetILNS1_3genE3ELNS1_11target_archE908ELNS1_3gpuE7ELNS1_3repE0EEENS1_30default_config_static_selectorELNS0_4arch9wavefront6targetE1EEEvT1_,"axG",@progbits,_ZN7rocprim17ROCPRIM_400000_NS6detail17trampoline_kernelINS0_14default_configENS1_27scan_by_key_config_selectorIj11FixedVectorIiLj8EEEEZZNS1_16scan_by_key_implILNS1_25lookback_scan_determinismE0ELb0ES3_N6thrust23THRUST_200600_302600_NS6detail15normal_iteratorINSB_10device_ptrIjEEEENSD_INSE_IS6_EEEESI_S6_NSB_4plusIvEENSB_8equal_toIvEES6_EE10hipError_tPvRmT2_T3_T4_T5_mT6_T7_P12ihipStream_tbENKUlT_T0_E_clISt17integral_constantIbLb0EES12_IbLb1EEEEDaSY_SZ_EUlSY_E_NS1_11comp_targetILNS1_3genE3ELNS1_11target_archE908ELNS1_3gpuE7ELNS1_3repE0EEENS1_30default_config_static_selectorELNS0_4arch9wavefront6targetE1EEEvT1_,comdat
	.protected	_ZN7rocprim17ROCPRIM_400000_NS6detail17trampoline_kernelINS0_14default_configENS1_27scan_by_key_config_selectorIj11FixedVectorIiLj8EEEEZZNS1_16scan_by_key_implILNS1_25lookback_scan_determinismE0ELb0ES3_N6thrust23THRUST_200600_302600_NS6detail15normal_iteratorINSB_10device_ptrIjEEEENSD_INSE_IS6_EEEESI_S6_NSB_4plusIvEENSB_8equal_toIvEES6_EE10hipError_tPvRmT2_T3_T4_T5_mT6_T7_P12ihipStream_tbENKUlT_T0_E_clISt17integral_constantIbLb0EES12_IbLb1EEEEDaSY_SZ_EUlSY_E_NS1_11comp_targetILNS1_3genE3ELNS1_11target_archE908ELNS1_3gpuE7ELNS1_3repE0EEENS1_30default_config_static_selectorELNS0_4arch9wavefront6targetE1EEEvT1_ ; -- Begin function _ZN7rocprim17ROCPRIM_400000_NS6detail17trampoline_kernelINS0_14default_configENS1_27scan_by_key_config_selectorIj11FixedVectorIiLj8EEEEZZNS1_16scan_by_key_implILNS1_25lookback_scan_determinismE0ELb0ES3_N6thrust23THRUST_200600_302600_NS6detail15normal_iteratorINSB_10device_ptrIjEEEENSD_INSE_IS6_EEEESI_S6_NSB_4plusIvEENSB_8equal_toIvEES6_EE10hipError_tPvRmT2_T3_T4_T5_mT6_T7_P12ihipStream_tbENKUlT_T0_E_clISt17integral_constantIbLb0EES12_IbLb1EEEEDaSY_SZ_EUlSY_E_NS1_11comp_targetILNS1_3genE3ELNS1_11target_archE908ELNS1_3gpuE7ELNS1_3repE0EEENS1_30default_config_static_selectorELNS0_4arch9wavefront6targetE1EEEvT1_
	.globl	_ZN7rocprim17ROCPRIM_400000_NS6detail17trampoline_kernelINS0_14default_configENS1_27scan_by_key_config_selectorIj11FixedVectorIiLj8EEEEZZNS1_16scan_by_key_implILNS1_25lookback_scan_determinismE0ELb0ES3_N6thrust23THRUST_200600_302600_NS6detail15normal_iteratorINSB_10device_ptrIjEEEENSD_INSE_IS6_EEEESI_S6_NSB_4plusIvEENSB_8equal_toIvEES6_EE10hipError_tPvRmT2_T3_T4_T5_mT6_T7_P12ihipStream_tbENKUlT_T0_E_clISt17integral_constantIbLb0EES12_IbLb1EEEEDaSY_SZ_EUlSY_E_NS1_11comp_targetILNS1_3genE3ELNS1_11target_archE908ELNS1_3gpuE7ELNS1_3repE0EEENS1_30default_config_static_selectorELNS0_4arch9wavefront6targetE1EEEvT1_
	.p2align	8
	.type	_ZN7rocprim17ROCPRIM_400000_NS6detail17trampoline_kernelINS0_14default_configENS1_27scan_by_key_config_selectorIj11FixedVectorIiLj8EEEEZZNS1_16scan_by_key_implILNS1_25lookback_scan_determinismE0ELb0ES3_N6thrust23THRUST_200600_302600_NS6detail15normal_iteratorINSB_10device_ptrIjEEEENSD_INSE_IS6_EEEESI_S6_NSB_4plusIvEENSB_8equal_toIvEES6_EE10hipError_tPvRmT2_T3_T4_T5_mT6_T7_P12ihipStream_tbENKUlT_T0_E_clISt17integral_constantIbLb0EES12_IbLb1EEEEDaSY_SZ_EUlSY_E_NS1_11comp_targetILNS1_3genE3ELNS1_11target_archE908ELNS1_3gpuE7ELNS1_3repE0EEENS1_30default_config_static_selectorELNS0_4arch9wavefront6targetE1EEEvT1_,@function
_ZN7rocprim17ROCPRIM_400000_NS6detail17trampoline_kernelINS0_14default_configENS1_27scan_by_key_config_selectorIj11FixedVectorIiLj8EEEEZZNS1_16scan_by_key_implILNS1_25lookback_scan_determinismE0ELb0ES3_N6thrust23THRUST_200600_302600_NS6detail15normal_iteratorINSB_10device_ptrIjEEEENSD_INSE_IS6_EEEESI_S6_NSB_4plusIvEENSB_8equal_toIvEES6_EE10hipError_tPvRmT2_T3_T4_T5_mT6_T7_P12ihipStream_tbENKUlT_T0_E_clISt17integral_constantIbLb0EES12_IbLb1EEEEDaSY_SZ_EUlSY_E_NS1_11comp_targetILNS1_3genE3ELNS1_11target_archE908ELNS1_3gpuE7ELNS1_3repE0EEENS1_30default_config_static_selectorELNS0_4arch9wavefront6targetE1EEEvT1_: ; @_ZN7rocprim17ROCPRIM_400000_NS6detail17trampoline_kernelINS0_14default_configENS1_27scan_by_key_config_selectorIj11FixedVectorIiLj8EEEEZZNS1_16scan_by_key_implILNS1_25lookback_scan_determinismE0ELb0ES3_N6thrust23THRUST_200600_302600_NS6detail15normal_iteratorINSB_10device_ptrIjEEEENSD_INSE_IS6_EEEESI_S6_NSB_4plusIvEENSB_8equal_toIvEES6_EE10hipError_tPvRmT2_T3_T4_T5_mT6_T7_P12ihipStream_tbENKUlT_T0_E_clISt17integral_constantIbLb0EES12_IbLb1EEEEDaSY_SZ_EUlSY_E_NS1_11comp_targetILNS1_3genE3ELNS1_11target_archE908ELNS1_3gpuE7ELNS1_3repE0EEENS1_30default_config_static_selectorELNS0_4arch9wavefront6targetE1EEEvT1_
; %bb.0:
	.section	.rodata,"a",@progbits
	.p2align	6, 0x0
	.amdhsa_kernel _ZN7rocprim17ROCPRIM_400000_NS6detail17trampoline_kernelINS0_14default_configENS1_27scan_by_key_config_selectorIj11FixedVectorIiLj8EEEEZZNS1_16scan_by_key_implILNS1_25lookback_scan_determinismE0ELb0ES3_N6thrust23THRUST_200600_302600_NS6detail15normal_iteratorINSB_10device_ptrIjEEEENSD_INSE_IS6_EEEESI_S6_NSB_4plusIvEENSB_8equal_toIvEES6_EE10hipError_tPvRmT2_T3_T4_T5_mT6_T7_P12ihipStream_tbENKUlT_T0_E_clISt17integral_constantIbLb0EES12_IbLb1EEEEDaSY_SZ_EUlSY_E_NS1_11comp_targetILNS1_3genE3ELNS1_11target_archE908ELNS1_3gpuE7ELNS1_3repE0EEENS1_30default_config_static_selectorELNS0_4arch9wavefront6targetE1EEEvT1_
		.amdhsa_group_segment_fixed_size 0
		.amdhsa_private_segment_fixed_size 0
		.amdhsa_kernarg_size 160
		.amdhsa_user_sgpr_count 2
		.amdhsa_user_sgpr_dispatch_ptr 0
		.amdhsa_user_sgpr_queue_ptr 0
		.amdhsa_user_sgpr_kernarg_segment_ptr 1
		.amdhsa_user_sgpr_dispatch_id 0
		.amdhsa_user_sgpr_kernarg_preload_length 0
		.amdhsa_user_sgpr_kernarg_preload_offset 0
		.amdhsa_user_sgpr_private_segment_size 0
		.amdhsa_uses_dynamic_stack 0
		.amdhsa_enable_private_segment 0
		.amdhsa_system_sgpr_workgroup_id_x 1
		.amdhsa_system_sgpr_workgroup_id_y 0
		.amdhsa_system_sgpr_workgroup_id_z 0
		.amdhsa_system_sgpr_workgroup_info 0
		.amdhsa_system_vgpr_workitem_id 0
		.amdhsa_next_free_vgpr 1
		.amdhsa_next_free_sgpr 0
		.amdhsa_accum_offset 4
		.amdhsa_reserve_vcc 0
		.amdhsa_float_round_mode_32 0
		.amdhsa_float_round_mode_16_64 0
		.amdhsa_float_denorm_mode_32 3
		.amdhsa_float_denorm_mode_16_64 3
		.amdhsa_dx10_clamp 1
		.amdhsa_ieee_mode 1
		.amdhsa_fp16_overflow 0
		.amdhsa_tg_split 0
		.amdhsa_exception_fp_ieee_invalid_op 0
		.amdhsa_exception_fp_denorm_src 0
		.amdhsa_exception_fp_ieee_div_zero 0
		.amdhsa_exception_fp_ieee_overflow 0
		.amdhsa_exception_fp_ieee_underflow 0
		.amdhsa_exception_fp_ieee_inexact 0
		.amdhsa_exception_int_div_zero 0
	.end_amdhsa_kernel
	.section	.text._ZN7rocprim17ROCPRIM_400000_NS6detail17trampoline_kernelINS0_14default_configENS1_27scan_by_key_config_selectorIj11FixedVectorIiLj8EEEEZZNS1_16scan_by_key_implILNS1_25lookback_scan_determinismE0ELb0ES3_N6thrust23THRUST_200600_302600_NS6detail15normal_iteratorINSB_10device_ptrIjEEEENSD_INSE_IS6_EEEESI_S6_NSB_4plusIvEENSB_8equal_toIvEES6_EE10hipError_tPvRmT2_T3_T4_T5_mT6_T7_P12ihipStream_tbENKUlT_T0_E_clISt17integral_constantIbLb0EES12_IbLb1EEEEDaSY_SZ_EUlSY_E_NS1_11comp_targetILNS1_3genE3ELNS1_11target_archE908ELNS1_3gpuE7ELNS1_3repE0EEENS1_30default_config_static_selectorELNS0_4arch9wavefront6targetE1EEEvT1_,"axG",@progbits,_ZN7rocprim17ROCPRIM_400000_NS6detail17trampoline_kernelINS0_14default_configENS1_27scan_by_key_config_selectorIj11FixedVectorIiLj8EEEEZZNS1_16scan_by_key_implILNS1_25lookback_scan_determinismE0ELb0ES3_N6thrust23THRUST_200600_302600_NS6detail15normal_iteratorINSB_10device_ptrIjEEEENSD_INSE_IS6_EEEESI_S6_NSB_4plusIvEENSB_8equal_toIvEES6_EE10hipError_tPvRmT2_T3_T4_T5_mT6_T7_P12ihipStream_tbENKUlT_T0_E_clISt17integral_constantIbLb0EES12_IbLb1EEEEDaSY_SZ_EUlSY_E_NS1_11comp_targetILNS1_3genE3ELNS1_11target_archE908ELNS1_3gpuE7ELNS1_3repE0EEENS1_30default_config_static_selectorELNS0_4arch9wavefront6targetE1EEEvT1_,comdat
.Lfunc_end2153:
	.size	_ZN7rocprim17ROCPRIM_400000_NS6detail17trampoline_kernelINS0_14default_configENS1_27scan_by_key_config_selectorIj11FixedVectorIiLj8EEEEZZNS1_16scan_by_key_implILNS1_25lookback_scan_determinismE0ELb0ES3_N6thrust23THRUST_200600_302600_NS6detail15normal_iteratorINSB_10device_ptrIjEEEENSD_INSE_IS6_EEEESI_S6_NSB_4plusIvEENSB_8equal_toIvEES6_EE10hipError_tPvRmT2_T3_T4_T5_mT6_T7_P12ihipStream_tbENKUlT_T0_E_clISt17integral_constantIbLb0EES12_IbLb1EEEEDaSY_SZ_EUlSY_E_NS1_11comp_targetILNS1_3genE3ELNS1_11target_archE908ELNS1_3gpuE7ELNS1_3repE0EEENS1_30default_config_static_selectorELNS0_4arch9wavefront6targetE1EEEvT1_, .Lfunc_end2153-_ZN7rocprim17ROCPRIM_400000_NS6detail17trampoline_kernelINS0_14default_configENS1_27scan_by_key_config_selectorIj11FixedVectorIiLj8EEEEZZNS1_16scan_by_key_implILNS1_25lookback_scan_determinismE0ELb0ES3_N6thrust23THRUST_200600_302600_NS6detail15normal_iteratorINSB_10device_ptrIjEEEENSD_INSE_IS6_EEEESI_S6_NSB_4plusIvEENSB_8equal_toIvEES6_EE10hipError_tPvRmT2_T3_T4_T5_mT6_T7_P12ihipStream_tbENKUlT_T0_E_clISt17integral_constantIbLb0EES12_IbLb1EEEEDaSY_SZ_EUlSY_E_NS1_11comp_targetILNS1_3genE3ELNS1_11target_archE908ELNS1_3gpuE7ELNS1_3repE0EEENS1_30default_config_static_selectorELNS0_4arch9wavefront6targetE1EEEvT1_
                                        ; -- End function
	.section	.AMDGPU.csdata,"",@progbits
; Kernel info:
; codeLenInByte = 0
; NumSgprs: 6
; NumVgprs: 0
; NumAgprs: 0
; TotalNumVgprs: 0
; ScratchSize: 0
; MemoryBound: 0
; FloatMode: 240
; IeeeMode: 1
; LDSByteSize: 0 bytes/workgroup (compile time only)
; SGPRBlocks: 0
; VGPRBlocks: 0
; NumSGPRsForWavesPerEU: 6
; NumVGPRsForWavesPerEU: 1
; AccumOffset: 4
; Occupancy: 8
; WaveLimiterHint : 0
; COMPUTE_PGM_RSRC2:SCRATCH_EN: 0
; COMPUTE_PGM_RSRC2:USER_SGPR: 2
; COMPUTE_PGM_RSRC2:TRAP_HANDLER: 0
; COMPUTE_PGM_RSRC2:TGID_X_EN: 1
; COMPUTE_PGM_RSRC2:TGID_Y_EN: 0
; COMPUTE_PGM_RSRC2:TGID_Z_EN: 0
; COMPUTE_PGM_RSRC2:TIDIG_COMP_CNT: 0
; COMPUTE_PGM_RSRC3_GFX90A:ACCUM_OFFSET: 0
; COMPUTE_PGM_RSRC3_GFX90A:TG_SPLIT: 0
	.section	.text._ZN7rocprim17ROCPRIM_400000_NS6detail17trampoline_kernelINS0_14default_configENS1_27scan_by_key_config_selectorIj11FixedVectorIiLj8EEEEZZNS1_16scan_by_key_implILNS1_25lookback_scan_determinismE0ELb0ES3_N6thrust23THRUST_200600_302600_NS6detail15normal_iteratorINSB_10device_ptrIjEEEENSD_INSE_IS6_EEEESI_S6_NSB_4plusIvEENSB_8equal_toIvEES6_EE10hipError_tPvRmT2_T3_T4_T5_mT6_T7_P12ihipStream_tbENKUlT_T0_E_clISt17integral_constantIbLb0EES12_IbLb1EEEEDaSY_SZ_EUlSY_E_NS1_11comp_targetILNS1_3genE2ELNS1_11target_archE906ELNS1_3gpuE6ELNS1_3repE0EEENS1_30default_config_static_selectorELNS0_4arch9wavefront6targetE1EEEvT1_,"axG",@progbits,_ZN7rocprim17ROCPRIM_400000_NS6detail17trampoline_kernelINS0_14default_configENS1_27scan_by_key_config_selectorIj11FixedVectorIiLj8EEEEZZNS1_16scan_by_key_implILNS1_25lookback_scan_determinismE0ELb0ES3_N6thrust23THRUST_200600_302600_NS6detail15normal_iteratorINSB_10device_ptrIjEEEENSD_INSE_IS6_EEEESI_S6_NSB_4plusIvEENSB_8equal_toIvEES6_EE10hipError_tPvRmT2_T3_T4_T5_mT6_T7_P12ihipStream_tbENKUlT_T0_E_clISt17integral_constantIbLb0EES12_IbLb1EEEEDaSY_SZ_EUlSY_E_NS1_11comp_targetILNS1_3genE2ELNS1_11target_archE906ELNS1_3gpuE6ELNS1_3repE0EEENS1_30default_config_static_selectorELNS0_4arch9wavefront6targetE1EEEvT1_,comdat
	.protected	_ZN7rocprim17ROCPRIM_400000_NS6detail17trampoline_kernelINS0_14default_configENS1_27scan_by_key_config_selectorIj11FixedVectorIiLj8EEEEZZNS1_16scan_by_key_implILNS1_25lookback_scan_determinismE0ELb0ES3_N6thrust23THRUST_200600_302600_NS6detail15normal_iteratorINSB_10device_ptrIjEEEENSD_INSE_IS6_EEEESI_S6_NSB_4plusIvEENSB_8equal_toIvEES6_EE10hipError_tPvRmT2_T3_T4_T5_mT6_T7_P12ihipStream_tbENKUlT_T0_E_clISt17integral_constantIbLb0EES12_IbLb1EEEEDaSY_SZ_EUlSY_E_NS1_11comp_targetILNS1_3genE2ELNS1_11target_archE906ELNS1_3gpuE6ELNS1_3repE0EEENS1_30default_config_static_selectorELNS0_4arch9wavefront6targetE1EEEvT1_ ; -- Begin function _ZN7rocprim17ROCPRIM_400000_NS6detail17trampoline_kernelINS0_14default_configENS1_27scan_by_key_config_selectorIj11FixedVectorIiLj8EEEEZZNS1_16scan_by_key_implILNS1_25lookback_scan_determinismE0ELb0ES3_N6thrust23THRUST_200600_302600_NS6detail15normal_iteratorINSB_10device_ptrIjEEEENSD_INSE_IS6_EEEESI_S6_NSB_4plusIvEENSB_8equal_toIvEES6_EE10hipError_tPvRmT2_T3_T4_T5_mT6_T7_P12ihipStream_tbENKUlT_T0_E_clISt17integral_constantIbLb0EES12_IbLb1EEEEDaSY_SZ_EUlSY_E_NS1_11comp_targetILNS1_3genE2ELNS1_11target_archE906ELNS1_3gpuE6ELNS1_3repE0EEENS1_30default_config_static_selectorELNS0_4arch9wavefront6targetE1EEEvT1_
	.globl	_ZN7rocprim17ROCPRIM_400000_NS6detail17trampoline_kernelINS0_14default_configENS1_27scan_by_key_config_selectorIj11FixedVectorIiLj8EEEEZZNS1_16scan_by_key_implILNS1_25lookback_scan_determinismE0ELb0ES3_N6thrust23THRUST_200600_302600_NS6detail15normal_iteratorINSB_10device_ptrIjEEEENSD_INSE_IS6_EEEESI_S6_NSB_4plusIvEENSB_8equal_toIvEES6_EE10hipError_tPvRmT2_T3_T4_T5_mT6_T7_P12ihipStream_tbENKUlT_T0_E_clISt17integral_constantIbLb0EES12_IbLb1EEEEDaSY_SZ_EUlSY_E_NS1_11comp_targetILNS1_3genE2ELNS1_11target_archE906ELNS1_3gpuE6ELNS1_3repE0EEENS1_30default_config_static_selectorELNS0_4arch9wavefront6targetE1EEEvT1_
	.p2align	8
	.type	_ZN7rocprim17ROCPRIM_400000_NS6detail17trampoline_kernelINS0_14default_configENS1_27scan_by_key_config_selectorIj11FixedVectorIiLj8EEEEZZNS1_16scan_by_key_implILNS1_25lookback_scan_determinismE0ELb0ES3_N6thrust23THRUST_200600_302600_NS6detail15normal_iteratorINSB_10device_ptrIjEEEENSD_INSE_IS6_EEEESI_S6_NSB_4plusIvEENSB_8equal_toIvEES6_EE10hipError_tPvRmT2_T3_T4_T5_mT6_T7_P12ihipStream_tbENKUlT_T0_E_clISt17integral_constantIbLb0EES12_IbLb1EEEEDaSY_SZ_EUlSY_E_NS1_11comp_targetILNS1_3genE2ELNS1_11target_archE906ELNS1_3gpuE6ELNS1_3repE0EEENS1_30default_config_static_selectorELNS0_4arch9wavefront6targetE1EEEvT1_,@function
_ZN7rocprim17ROCPRIM_400000_NS6detail17trampoline_kernelINS0_14default_configENS1_27scan_by_key_config_selectorIj11FixedVectorIiLj8EEEEZZNS1_16scan_by_key_implILNS1_25lookback_scan_determinismE0ELb0ES3_N6thrust23THRUST_200600_302600_NS6detail15normal_iteratorINSB_10device_ptrIjEEEENSD_INSE_IS6_EEEESI_S6_NSB_4plusIvEENSB_8equal_toIvEES6_EE10hipError_tPvRmT2_T3_T4_T5_mT6_T7_P12ihipStream_tbENKUlT_T0_E_clISt17integral_constantIbLb0EES12_IbLb1EEEEDaSY_SZ_EUlSY_E_NS1_11comp_targetILNS1_3genE2ELNS1_11target_archE906ELNS1_3gpuE6ELNS1_3repE0EEENS1_30default_config_static_selectorELNS0_4arch9wavefront6targetE1EEEvT1_: ; @_ZN7rocprim17ROCPRIM_400000_NS6detail17trampoline_kernelINS0_14default_configENS1_27scan_by_key_config_selectorIj11FixedVectorIiLj8EEEEZZNS1_16scan_by_key_implILNS1_25lookback_scan_determinismE0ELb0ES3_N6thrust23THRUST_200600_302600_NS6detail15normal_iteratorINSB_10device_ptrIjEEEENSD_INSE_IS6_EEEESI_S6_NSB_4plusIvEENSB_8equal_toIvEES6_EE10hipError_tPvRmT2_T3_T4_T5_mT6_T7_P12ihipStream_tbENKUlT_T0_E_clISt17integral_constantIbLb0EES12_IbLb1EEEEDaSY_SZ_EUlSY_E_NS1_11comp_targetILNS1_3genE2ELNS1_11target_archE906ELNS1_3gpuE6ELNS1_3repE0EEENS1_30default_config_static_selectorELNS0_4arch9wavefront6targetE1EEEvT1_
; %bb.0:
	.section	.rodata,"a",@progbits
	.p2align	6, 0x0
	.amdhsa_kernel _ZN7rocprim17ROCPRIM_400000_NS6detail17trampoline_kernelINS0_14default_configENS1_27scan_by_key_config_selectorIj11FixedVectorIiLj8EEEEZZNS1_16scan_by_key_implILNS1_25lookback_scan_determinismE0ELb0ES3_N6thrust23THRUST_200600_302600_NS6detail15normal_iteratorINSB_10device_ptrIjEEEENSD_INSE_IS6_EEEESI_S6_NSB_4plusIvEENSB_8equal_toIvEES6_EE10hipError_tPvRmT2_T3_T4_T5_mT6_T7_P12ihipStream_tbENKUlT_T0_E_clISt17integral_constantIbLb0EES12_IbLb1EEEEDaSY_SZ_EUlSY_E_NS1_11comp_targetILNS1_3genE2ELNS1_11target_archE906ELNS1_3gpuE6ELNS1_3repE0EEENS1_30default_config_static_selectorELNS0_4arch9wavefront6targetE1EEEvT1_
		.amdhsa_group_segment_fixed_size 0
		.amdhsa_private_segment_fixed_size 0
		.amdhsa_kernarg_size 160
		.amdhsa_user_sgpr_count 2
		.amdhsa_user_sgpr_dispatch_ptr 0
		.amdhsa_user_sgpr_queue_ptr 0
		.amdhsa_user_sgpr_kernarg_segment_ptr 1
		.amdhsa_user_sgpr_dispatch_id 0
		.amdhsa_user_sgpr_kernarg_preload_length 0
		.amdhsa_user_sgpr_kernarg_preload_offset 0
		.amdhsa_user_sgpr_private_segment_size 0
		.amdhsa_uses_dynamic_stack 0
		.amdhsa_enable_private_segment 0
		.amdhsa_system_sgpr_workgroup_id_x 1
		.amdhsa_system_sgpr_workgroup_id_y 0
		.amdhsa_system_sgpr_workgroup_id_z 0
		.amdhsa_system_sgpr_workgroup_info 0
		.amdhsa_system_vgpr_workitem_id 0
		.amdhsa_next_free_vgpr 1
		.amdhsa_next_free_sgpr 0
		.amdhsa_accum_offset 4
		.amdhsa_reserve_vcc 0
		.amdhsa_float_round_mode_32 0
		.amdhsa_float_round_mode_16_64 0
		.amdhsa_float_denorm_mode_32 3
		.amdhsa_float_denorm_mode_16_64 3
		.amdhsa_dx10_clamp 1
		.amdhsa_ieee_mode 1
		.amdhsa_fp16_overflow 0
		.amdhsa_tg_split 0
		.amdhsa_exception_fp_ieee_invalid_op 0
		.amdhsa_exception_fp_denorm_src 0
		.amdhsa_exception_fp_ieee_div_zero 0
		.amdhsa_exception_fp_ieee_overflow 0
		.amdhsa_exception_fp_ieee_underflow 0
		.amdhsa_exception_fp_ieee_inexact 0
		.amdhsa_exception_int_div_zero 0
	.end_amdhsa_kernel
	.section	.text._ZN7rocprim17ROCPRIM_400000_NS6detail17trampoline_kernelINS0_14default_configENS1_27scan_by_key_config_selectorIj11FixedVectorIiLj8EEEEZZNS1_16scan_by_key_implILNS1_25lookback_scan_determinismE0ELb0ES3_N6thrust23THRUST_200600_302600_NS6detail15normal_iteratorINSB_10device_ptrIjEEEENSD_INSE_IS6_EEEESI_S6_NSB_4plusIvEENSB_8equal_toIvEES6_EE10hipError_tPvRmT2_T3_T4_T5_mT6_T7_P12ihipStream_tbENKUlT_T0_E_clISt17integral_constantIbLb0EES12_IbLb1EEEEDaSY_SZ_EUlSY_E_NS1_11comp_targetILNS1_3genE2ELNS1_11target_archE906ELNS1_3gpuE6ELNS1_3repE0EEENS1_30default_config_static_selectorELNS0_4arch9wavefront6targetE1EEEvT1_,"axG",@progbits,_ZN7rocprim17ROCPRIM_400000_NS6detail17trampoline_kernelINS0_14default_configENS1_27scan_by_key_config_selectorIj11FixedVectorIiLj8EEEEZZNS1_16scan_by_key_implILNS1_25lookback_scan_determinismE0ELb0ES3_N6thrust23THRUST_200600_302600_NS6detail15normal_iteratorINSB_10device_ptrIjEEEENSD_INSE_IS6_EEEESI_S6_NSB_4plusIvEENSB_8equal_toIvEES6_EE10hipError_tPvRmT2_T3_T4_T5_mT6_T7_P12ihipStream_tbENKUlT_T0_E_clISt17integral_constantIbLb0EES12_IbLb1EEEEDaSY_SZ_EUlSY_E_NS1_11comp_targetILNS1_3genE2ELNS1_11target_archE906ELNS1_3gpuE6ELNS1_3repE0EEENS1_30default_config_static_selectorELNS0_4arch9wavefront6targetE1EEEvT1_,comdat
.Lfunc_end2154:
	.size	_ZN7rocprim17ROCPRIM_400000_NS6detail17trampoline_kernelINS0_14default_configENS1_27scan_by_key_config_selectorIj11FixedVectorIiLj8EEEEZZNS1_16scan_by_key_implILNS1_25lookback_scan_determinismE0ELb0ES3_N6thrust23THRUST_200600_302600_NS6detail15normal_iteratorINSB_10device_ptrIjEEEENSD_INSE_IS6_EEEESI_S6_NSB_4plusIvEENSB_8equal_toIvEES6_EE10hipError_tPvRmT2_T3_T4_T5_mT6_T7_P12ihipStream_tbENKUlT_T0_E_clISt17integral_constantIbLb0EES12_IbLb1EEEEDaSY_SZ_EUlSY_E_NS1_11comp_targetILNS1_3genE2ELNS1_11target_archE906ELNS1_3gpuE6ELNS1_3repE0EEENS1_30default_config_static_selectorELNS0_4arch9wavefront6targetE1EEEvT1_, .Lfunc_end2154-_ZN7rocprim17ROCPRIM_400000_NS6detail17trampoline_kernelINS0_14default_configENS1_27scan_by_key_config_selectorIj11FixedVectorIiLj8EEEEZZNS1_16scan_by_key_implILNS1_25lookback_scan_determinismE0ELb0ES3_N6thrust23THRUST_200600_302600_NS6detail15normal_iteratorINSB_10device_ptrIjEEEENSD_INSE_IS6_EEEESI_S6_NSB_4plusIvEENSB_8equal_toIvEES6_EE10hipError_tPvRmT2_T3_T4_T5_mT6_T7_P12ihipStream_tbENKUlT_T0_E_clISt17integral_constantIbLb0EES12_IbLb1EEEEDaSY_SZ_EUlSY_E_NS1_11comp_targetILNS1_3genE2ELNS1_11target_archE906ELNS1_3gpuE6ELNS1_3repE0EEENS1_30default_config_static_selectorELNS0_4arch9wavefront6targetE1EEEvT1_
                                        ; -- End function
	.section	.AMDGPU.csdata,"",@progbits
; Kernel info:
; codeLenInByte = 0
; NumSgprs: 6
; NumVgprs: 0
; NumAgprs: 0
; TotalNumVgprs: 0
; ScratchSize: 0
; MemoryBound: 0
; FloatMode: 240
; IeeeMode: 1
; LDSByteSize: 0 bytes/workgroup (compile time only)
; SGPRBlocks: 0
; VGPRBlocks: 0
; NumSGPRsForWavesPerEU: 6
; NumVGPRsForWavesPerEU: 1
; AccumOffset: 4
; Occupancy: 8
; WaveLimiterHint : 0
; COMPUTE_PGM_RSRC2:SCRATCH_EN: 0
; COMPUTE_PGM_RSRC2:USER_SGPR: 2
; COMPUTE_PGM_RSRC2:TRAP_HANDLER: 0
; COMPUTE_PGM_RSRC2:TGID_X_EN: 1
; COMPUTE_PGM_RSRC2:TGID_Y_EN: 0
; COMPUTE_PGM_RSRC2:TGID_Z_EN: 0
; COMPUTE_PGM_RSRC2:TIDIG_COMP_CNT: 0
; COMPUTE_PGM_RSRC3_GFX90A:ACCUM_OFFSET: 0
; COMPUTE_PGM_RSRC3_GFX90A:TG_SPLIT: 0
	.section	.text._ZN7rocprim17ROCPRIM_400000_NS6detail17trampoline_kernelINS0_14default_configENS1_27scan_by_key_config_selectorIj11FixedVectorIiLj8EEEEZZNS1_16scan_by_key_implILNS1_25lookback_scan_determinismE0ELb0ES3_N6thrust23THRUST_200600_302600_NS6detail15normal_iteratorINSB_10device_ptrIjEEEENSD_INSE_IS6_EEEESI_S6_NSB_4plusIvEENSB_8equal_toIvEES6_EE10hipError_tPvRmT2_T3_T4_T5_mT6_T7_P12ihipStream_tbENKUlT_T0_E_clISt17integral_constantIbLb0EES12_IbLb1EEEEDaSY_SZ_EUlSY_E_NS1_11comp_targetILNS1_3genE10ELNS1_11target_archE1200ELNS1_3gpuE4ELNS1_3repE0EEENS1_30default_config_static_selectorELNS0_4arch9wavefront6targetE1EEEvT1_,"axG",@progbits,_ZN7rocprim17ROCPRIM_400000_NS6detail17trampoline_kernelINS0_14default_configENS1_27scan_by_key_config_selectorIj11FixedVectorIiLj8EEEEZZNS1_16scan_by_key_implILNS1_25lookback_scan_determinismE0ELb0ES3_N6thrust23THRUST_200600_302600_NS6detail15normal_iteratorINSB_10device_ptrIjEEEENSD_INSE_IS6_EEEESI_S6_NSB_4plusIvEENSB_8equal_toIvEES6_EE10hipError_tPvRmT2_T3_T4_T5_mT6_T7_P12ihipStream_tbENKUlT_T0_E_clISt17integral_constantIbLb0EES12_IbLb1EEEEDaSY_SZ_EUlSY_E_NS1_11comp_targetILNS1_3genE10ELNS1_11target_archE1200ELNS1_3gpuE4ELNS1_3repE0EEENS1_30default_config_static_selectorELNS0_4arch9wavefront6targetE1EEEvT1_,comdat
	.protected	_ZN7rocprim17ROCPRIM_400000_NS6detail17trampoline_kernelINS0_14default_configENS1_27scan_by_key_config_selectorIj11FixedVectorIiLj8EEEEZZNS1_16scan_by_key_implILNS1_25lookback_scan_determinismE0ELb0ES3_N6thrust23THRUST_200600_302600_NS6detail15normal_iteratorINSB_10device_ptrIjEEEENSD_INSE_IS6_EEEESI_S6_NSB_4plusIvEENSB_8equal_toIvEES6_EE10hipError_tPvRmT2_T3_T4_T5_mT6_T7_P12ihipStream_tbENKUlT_T0_E_clISt17integral_constantIbLb0EES12_IbLb1EEEEDaSY_SZ_EUlSY_E_NS1_11comp_targetILNS1_3genE10ELNS1_11target_archE1200ELNS1_3gpuE4ELNS1_3repE0EEENS1_30default_config_static_selectorELNS0_4arch9wavefront6targetE1EEEvT1_ ; -- Begin function _ZN7rocprim17ROCPRIM_400000_NS6detail17trampoline_kernelINS0_14default_configENS1_27scan_by_key_config_selectorIj11FixedVectorIiLj8EEEEZZNS1_16scan_by_key_implILNS1_25lookback_scan_determinismE0ELb0ES3_N6thrust23THRUST_200600_302600_NS6detail15normal_iteratorINSB_10device_ptrIjEEEENSD_INSE_IS6_EEEESI_S6_NSB_4plusIvEENSB_8equal_toIvEES6_EE10hipError_tPvRmT2_T3_T4_T5_mT6_T7_P12ihipStream_tbENKUlT_T0_E_clISt17integral_constantIbLb0EES12_IbLb1EEEEDaSY_SZ_EUlSY_E_NS1_11comp_targetILNS1_3genE10ELNS1_11target_archE1200ELNS1_3gpuE4ELNS1_3repE0EEENS1_30default_config_static_selectorELNS0_4arch9wavefront6targetE1EEEvT1_
	.globl	_ZN7rocprim17ROCPRIM_400000_NS6detail17trampoline_kernelINS0_14default_configENS1_27scan_by_key_config_selectorIj11FixedVectorIiLj8EEEEZZNS1_16scan_by_key_implILNS1_25lookback_scan_determinismE0ELb0ES3_N6thrust23THRUST_200600_302600_NS6detail15normal_iteratorINSB_10device_ptrIjEEEENSD_INSE_IS6_EEEESI_S6_NSB_4plusIvEENSB_8equal_toIvEES6_EE10hipError_tPvRmT2_T3_T4_T5_mT6_T7_P12ihipStream_tbENKUlT_T0_E_clISt17integral_constantIbLb0EES12_IbLb1EEEEDaSY_SZ_EUlSY_E_NS1_11comp_targetILNS1_3genE10ELNS1_11target_archE1200ELNS1_3gpuE4ELNS1_3repE0EEENS1_30default_config_static_selectorELNS0_4arch9wavefront6targetE1EEEvT1_
	.p2align	8
	.type	_ZN7rocprim17ROCPRIM_400000_NS6detail17trampoline_kernelINS0_14default_configENS1_27scan_by_key_config_selectorIj11FixedVectorIiLj8EEEEZZNS1_16scan_by_key_implILNS1_25lookback_scan_determinismE0ELb0ES3_N6thrust23THRUST_200600_302600_NS6detail15normal_iteratorINSB_10device_ptrIjEEEENSD_INSE_IS6_EEEESI_S6_NSB_4plusIvEENSB_8equal_toIvEES6_EE10hipError_tPvRmT2_T3_T4_T5_mT6_T7_P12ihipStream_tbENKUlT_T0_E_clISt17integral_constantIbLb0EES12_IbLb1EEEEDaSY_SZ_EUlSY_E_NS1_11comp_targetILNS1_3genE10ELNS1_11target_archE1200ELNS1_3gpuE4ELNS1_3repE0EEENS1_30default_config_static_selectorELNS0_4arch9wavefront6targetE1EEEvT1_,@function
_ZN7rocprim17ROCPRIM_400000_NS6detail17trampoline_kernelINS0_14default_configENS1_27scan_by_key_config_selectorIj11FixedVectorIiLj8EEEEZZNS1_16scan_by_key_implILNS1_25lookback_scan_determinismE0ELb0ES3_N6thrust23THRUST_200600_302600_NS6detail15normal_iteratorINSB_10device_ptrIjEEEENSD_INSE_IS6_EEEESI_S6_NSB_4plusIvEENSB_8equal_toIvEES6_EE10hipError_tPvRmT2_T3_T4_T5_mT6_T7_P12ihipStream_tbENKUlT_T0_E_clISt17integral_constantIbLb0EES12_IbLb1EEEEDaSY_SZ_EUlSY_E_NS1_11comp_targetILNS1_3genE10ELNS1_11target_archE1200ELNS1_3gpuE4ELNS1_3repE0EEENS1_30default_config_static_selectorELNS0_4arch9wavefront6targetE1EEEvT1_: ; @_ZN7rocprim17ROCPRIM_400000_NS6detail17trampoline_kernelINS0_14default_configENS1_27scan_by_key_config_selectorIj11FixedVectorIiLj8EEEEZZNS1_16scan_by_key_implILNS1_25lookback_scan_determinismE0ELb0ES3_N6thrust23THRUST_200600_302600_NS6detail15normal_iteratorINSB_10device_ptrIjEEEENSD_INSE_IS6_EEEESI_S6_NSB_4plusIvEENSB_8equal_toIvEES6_EE10hipError_tPvRmT2_T3_T4_T5_mT6_T7_P12ihipStream_tbENKUlT_T0_E_clISt17integral_constantIbLb0EES12_IbLb1EEEEDaSY_SZ_EUlSY_E_NS1_11comp_targetILNS1_3genE10ELNS1_11target_archE1200ELNS1_3gpuE4ELNS1_3repE0EEENS1_30default_config_static_selectorELNS0_4arch9wavefront6targetE1EEEvT1_
; %bb.0:
	.section	.rodata,"a",@progbits
	.p2align	6, 0x0
	.amdhsa_kernel _ZN7rocprim17ROCPRIM_400000_NS6detail17trampoline_kernelINS0_14default_configENS1_27scan_by_key_config_selectorIj11FixedVectorIiLj8EEEEZZNS1_16scan_by_key_implILNS1_25lookback_scan_determinismE0ELb0ES3_N6thrust23THRUST_200600_302600_NS6detail15normal_iteratorINSB_10device_ptrIjEEEENSD_INSE_IS6_EEEESI_S6_NSB_4plusIvEENSB_8equal_toIvEES6_EE10hipError_tPvRmT2_T3_T4_T5_mT6_T7_P12ihipStream_tbENKUlT_T0_E_clISt17integral_constantIbLb0EES12_IbLb1EEEEDaSY_SZ_EUlSY_E_NS1_11comp_targetILNS1_3genE10ELNS1_11target_archE1200ELNS1_3gpuE4ELNS1_3repE0EEENS1_30default_config_static_selectorELNS0_4arch9wavefront6targetE1EEEvT1_
		.amdhsa_group_segment_fixed_size 0
		.amdhsa_private_segment_fixed_size 0
		.amdhsa_kernarg_size 160
		.amdhsa_user_sgpr_count 2
		.amdhsa_user_sgpr_dispatch_ptr 0
		.amdhsa_user_sgpr_queue_ptr 0
		.amdhsa_user_sgpr_kernarg_segment_ptr 1
		.amdhsa_user_sgpr_dispatch_id 0
		.amdhsa_user_sgpr_kernarg_preload_length 0
		.amdhsa_user_sgpr_kernarg_preload_offset 0
		.amdhsa_user_sgpr_private_segment_size 0
		.amdhsa_uses_dynamic_stack 0
		.amdhsa_enable_private_segment 0
		.amdhsa_system_sgpr_workgroup_id_x 1
		.amdhsa_system_sgpr_workgroup_id_y 0
		.amdhsa_system_sgpr_workgroup_id_z 0
		.amdhsa_system_sgpr_workgroup_info 0
		.amdhsa_system_vgpr_workitem_id 0
		.amdhsa_next_free_vgpr 1
		.amdhsa_next_free_sgpr 0
		.amdhsa_accum_offset 4
		.amdhsa_reserve_vcc 0
		.amdhsa_float_round_mode_32 0
		.amdhsa_float_round_mode_16_64 0
		.amdhsa_float_denorm_mode_32 3
		.amdhsa_float_denorm_mode_16_64 3
		.amdhsa_dx10_clamp 1
		.amdhsa_ieee_mode 1
		.amdhsa_fp16_overflow 0
		.amdhsa_tg_split 0
		.amdhsa_exception_fp_ieee_invalid_op 0
		.amdhsa_exception_fp_denorm_src 0
		.amdhsa_exception_fp_ieee_div_zero 0
		.amdhsa_exception_fp_ieee_overflow 0
		.amdhsa_exception_fp_ieee_underflow 0
		.amdhsa_exception_fp_ieee_inexact 0
		.amdhsa_exception_int_div_zero 0
	.end_amdhsa_kernel
	.section	.text._ZN7rocprim17ROCPRIM_400000_NS6detail17trampoline_kernelINS0_14default_configENS1_27scan_by_key_config_selectorIj11FixedVectorIiLj8EEEEZZNS1_16scan_by_key_implILNS1_25lookback_scan_determinismE0ELb0ES3_N6thrust23THRUST_200600_302600_NS6detail15normal_iteratorINSB_10device_ptrIjEEEENSD_INSE_IS6_EEEESI_S6_NSB_4plusIvEENSB_8equal_toIvEES6_EE10hipError_tPvRmT2_T3_T4_T5_mT6_T7_P12ihipStream_tbENKUlT_T0_E_clISt17integral_constantIbLb0EES12_IbLb1EEEEDaSY_SZ_EUlSY_E_NS1_11comp_targetILNS1_3genE10ELNS1_11target_archE1200ELNS1_3gpuE4ELNS1_3repE0EEENS1_30default_config_static_selectorELNS0_4arch9wavefront6targetE1EEEvT1_,"axG",@progbits,_ZN7rocprim17ROCPRIM_400000_NS6detail17trampoline_kernelINS0_14default_configENS1_27scan_by_key_config_selectorIj11FixedVectorIiLj8EEEEZZNS1_16scan_by_key_implILNS1_25lookback_scan_determinismE0ELb0ES3_N6thrust23THRUST_200600_302600_NS6detail15normal_iteratorINSB_10device_ptrIjEEEENSD_INSE_IS6_EEEESI_S6_NSB_4plusIvEENSB_8equal_toIvEES6_EE10hipError_tPvRmT2_T3_T4_T5_mT6_T7_P12ihipStream_tbENKUlT_T0_E_clISt17integral_constantIbLb0EES12_IbLb1EEEEDaSY_SZ_EUlSY_E_NS1_11comp_targetILNS1_3genE10ELNS1_11target_archE1200ELNS1_3gpuE4ELNS1_3repE0EEENS1_30default_config_static_selectorELNS0_4arch9wavefront6targetE1EEEvT1_,comdat
.Lfunc_end2155:
	.size	_ZN7rocprim17ROCPRIM_400000_NS6detail17trampoline_kernelINS0_14default_configENS1_27scan_by_key_config_selectorIj11FixedVectorIiLj8EEEEZZNS1_16scan_by_key_implILNS1_25lookback_scan_determinismE0ELb0ES3_N6thrust23THRUST_200600_302600_NS6detail15normal_iteratorINSB_10device_ptrIjEEEENSD_INSE_IS6_EEEESI_S6_NSB_4plusIvEENSB_8equal_toIvEES6_EE10hipError_tPvRmT2_T3_T4_T5_mT6_T7_P12ihipStream_tbENKUlT_T0_E_clISt17integral_constantIbLb0EES12_IbLb1EEEEDaSY_SZ_EUlSY_E_NS1_11comp_targetILNS1_3genE10ELNS1_11target_archE1200ELNS1_3gpuE4ELNS1_3repE0EEENS1_30default_config_static_selectorELNS0_4arch9wavefront6targetE1EEEvT1_, .Lfunc_end2155-_ZN7rocprim17ROCPRIM_400000_NS6detail17trampoline_kernelINS0_14default_configENS1_27scan_by_key_config_selectorIj11FixedVectorIiLj8EEEEZZNS1_16scan_by_key_implILNS1_25lookback_scan_determinismE0ELb0ES3_N6thrust23THRUST_200600_302600_NS6detail15normal_iteratorINSB_10device_ptrIjEEEENSD_INSE_IS6_EEEESI_S6_NSB_4plusIvEENSB_8equal_toIvEES6_EE10hipError_tPvRmT2_T3_T4_T5_mT6_T7_P12ihipStream_tbENKUlT_T0_E_clISt17integral_constantIbLb0EES12_IbLb1EEEEDaSY_SZ_EUlSY_E_NS1_11comp_targetILNS1_3genE10ELNS1_11target_archE1200ELNS1_3gpuE4ELNS1_3repE0EEENS1_30default_config_static_selectorELNS0_4arch9wavefront6targetE1EEEvT1_
                                        ; -- End function
	.section	.AMDGPU.csdata,"",@progbits
; Kernel info:
; codeLenInByte = 0
; NumSgprs: 6
; NumVgprs: 0
; NumAgprs: 0
; TotalNumVgprs: 0
; ScratchSize: 0
; MemoryBound: 0
; FloatMode: 240
; IeeeMode: 1
; LDSByteSize: 0 bytes/workgroup (compile time only)
; SGPRBlocks: 0
; VGPRBlocks: 0
; NumSGPRsForWavesPerEU: 6
; NumVGPRsForWavesPerEU: 1
; AccumOffset: 4
; Occupancy: 8
; WaveLimiterHint : 0
; COMPUTE_PGM_RSRC2:SCRATCH_EN: 0
; COMPUTE_PGM_RSRC2:USER_SGPR: 2
; COMPUTE_PGM_RSRC2:TRAP_HANDLER: 0
; COMPUTE_PGM_RSRC2:TGID_X_EN: 1
; COMPUTE_PGM_RSRC2:TGID_Y_EN: 0
; COMPUTE_PGM_RSRC2:TGID_Z_EN: 0
; COMPUTE_PGM_RSRC2:TIDIG_COMP_CNT: 0
; COMPUTE_PGM_RSRC3_GFX90A:ACCUM_OFFSET: 0
; COMPUTE_PGM_RSRC3_GFX90A:TG_SPLIT: 0
	.section	.text._ZN7rocprim17ROCPRIM_400000_NS6detail17trampoline_kernelINS0_14default_configENS1_27scan_by_key_config_selectorIj11FixedVectorIiLj8EEEEZZNS1_16scan_by_key_implILNS1_25lookback_scan_determinismE0ELb0ES3_N6thrust23THRUST_200600_302600_NS6detail15normal_iteratorINSB_10device_ptrIjEEEENSD_INSE_IS6_EEEESI_S6_NSB_4plusIvEENSB_8equal_toIvEES6_EE10hipError_tPvRmT2_T3_T4_T5_mT6_T7_P12ihipStream_tbENKUlT_T0_E_clISt17integral_constantIbLb0EES12_IbLb1EEEEDaSY_SZ_EUlSY_E_NS1_11comp_targetILNS1_3genE9ELNS1_11target_archE1100ELNS1_3gpuE3ELNS1_3repE0EEENS1_30default_config_static_selectorELNS0_4arch9wavefront6targetE1EEEvT1_,"axG",@progbits,_ZN7rocprim17ROCPRIM_400000_NS6detail17trampoline_kernelINS0_14default_configENS1_27scan_by_key_config_selectorIj11FixedVectorIiLj8EEEEZZNS1_16scan_by_key_implILNS1_25lookback_scan_determinismE0ELb0ES3_N6thrust23THRUST_200600_302600_NS6detail15normal_iteratorINSB_10device_ptrIjEEEENSD_INSE_IS6_EEEESI_S6_NSB_4plusIvEENSB_8equal_toIvEES6_EE10hipError_tPvRmT2_T3_T4_T5_mT6_T7_P12ihipStream_tbENKUlT_T0_E_clISt17integral_constantIbLb0EES12_IbLb1EEEEDaSY_SZ_EUlSY_E_NS1_11comp_targetILNS1_3genE9ELNS1_11target_archE1100ELNS1_3gpuE3ELNS1_3repE0EEENS1_30default_config_static_selectorELNS0_4arch9wavefront6targetE1EEEvT1_,comdat
	.protected	_ZN7rocprim17ROCPRIM_400000_NS6detail17trampoline_kernelINS0_14default_configENS1_27scan_by_key_config_selectorIj11FixedVectorIiLj8EEEEZZNS1_16scan_by_key_implILNS1_25lookback_scan_determinismE0ELb0ES3_N6thrust23THRUST_200600_302600_NS6detail15normal_iteratorINSB_10device_ptrIjEEEENSD_INSE_IS6_EEEESI_S6_NSB_4plusIvEENSB_8equal_toIvEES6_EE10hipError_tPvRmT2_T3_T4_T5_mT6_T7_P12ihipStream_tbENKUlT_T0_E_clISt17integral_constantIbLb0EES12_IbLb1EEEEDaSY_SZ_EUlSY_E_NS1_11comp_targetILNS1_3genE9ELNS1_11target_archE1100ELNS1_3gpuE3ELNS1_3repE0EEENS1_30default_config_static_selectorELNS0_4arch9wavefront6targetE1EEEvT1_ ; -- Begin function _ZN7rocprim17ROCPRIM_400000_NS6detail17trampoline_kernelINS0_14default_configENS1_27scan_by_key_config_selectorIj11FixedVectorIiLj8EEEEZZNS1_16scan_by_key_implILNS1_25lookback_scan_determinismE0ELb0ES3_N6thrust23THRUST_200600_302600_NS6detail15normal_iteratorINSB_10device_ptrIjEEEENSD_INSE_IS6_EEEESI_S6_NSB_4plusIvEENSB_8equal_toIvEES6_EE10hipError_tPvRmT2_T3_T4_T5_mT6_T7_P12ihipStream_tbENKUlT_T0_E_clISt17integral_constantIbLb0EES12_IbLb1EEEEDaSY_SZ_EUlSY_E_NS1_11comp_targetILNS1_3genE9ELNS1_11target_archE1100ELNS1_3gpuE3ELNS1_3repE0EEENS1_30default_config_static_selectorELNS0_4arch9wavefront6targetE1EEEvT1_
	.globl	_ZN7rocprim17ROCPRIM_400000_NS6detail17trampoline_kernelINS0_14default_configENS1_27scan_by_key_config_selectorIj11FixedVectorIiLj8EEEEZZNS1_16scan_by_key_implILNS1_25lookback_scan_determinismE0ELb0ES3_N6thrust23THRUST_200600_302600_NS6detail15normal_iteratorINSB_10device_ptrIjEEEENSD_INSE_IS6_EEEESI_S6_NSB_4plusIvEENSB_8equal_toIvEES6_EE10hipError_tPvRmT2_T3_T4_T5_mT6_T7_P12ihipStream_tbENKUlT_T0_E_clISt17integral_constantIbLb0EES12_IbLb1EEEEDaSY_SZ_EUlSY_E_NS1_11comp_targetILNS1_3genE9ELNS1_11target_archE1100ELNS1_3gpuE3ELNS1_3repE0EEENS1_30default_config_static_selectorELNS0_4arch9wavefront6targetE1EEEvT1_
	.p2align	8
	.type	_ZN7rocprim17ROCPRIM_400000_NS6detail17trampoline_kernelINS0_14default_configENS1_27scan_by_key_config_selectorIj11FixedVectorIiLj8EEEEZZNS1_16scan_by_key_implILNS1_25lookback_scan_determinismE0ELb0ES3_N6thrust23THRUST_200600_302600_NS6detail15normal_iteratorINSB_10device_ptrIjEEEENSD_INSE_IS6_EEEESI_S6_NSB_4plusIvEENSB_8equal_toIvEES6_EE10hipError_tPvRmT2_T3_T4_T5_mT6_T7_P12ihipStream_tbENKUlT_T0_E_clISt17integral_constantIbLb0EES12_IbLb1EEEEDaSY_SZ_EUlSY_E_NS1_11comp_targetILNS1_3genE9ELNS1_11target_archE1100ELNS1_3gpuE3ELNS1_3repE0EEENS1_30default_config_static_selectorELNS0_4arch9wavefront6targetE1EEEvT1_,@function
_ZN7rocprim17ROCPRIM_400000_NS6detail17trampoline_kernelINS0_14default_configENS1_27scan_by_key_config_selectorIj11FixedVectorIiLj8EEEEZZNS1_16scan_by_key_implILNS1_25lookback_scan_determinismE0ELb0ES3_N6thrust23THRUST_200600_302600_NS6detail15normal_iteratorINSB_10device_ptrIjEEEENSD_INSE_IS6_EEEESI_S6_NSB_4plusIvEENSB_8equal_toIvEES6_EE10hipError_tPvRmT2_T3_T4_T5_mT6_T7_P12ihipStream_tbENKUlT_T0_E_clISt17integral_constantIbLb0EES12_IbLb1EEEEDaSY_SZ_EUlSY_E_NS1_11comp_targetILNS1_3genE9ELNS1_11target_archE1100ELNS1_3gpuE3ELNS1_3repE0EEENS1_30default_config_static_selectorELNS0_4arch9wavefront6targetE1EEEvT1_: ; @_ZN7rocprim17ROCPRIM_400000_NS6detail17trampoline_kernelINS0_14default_configENS1_27scan_by_key_config_selectorIj11FixedVectorIiLj8EEEEZZNS1_16scan_by_key_implILNS1_25lookback_scan_determinismE0ELb0ES3_N6thrust23THRUST_200600_302600_NS6detail15normal_iteratorINSB_10device_ptrIjEEEENSD_INSE_IS6_EEEESI_S6_NSB_4plusIvEENSB_8equal_toIvEES6_EE10hipError_tPvRmT2_T3_T4_T5_mT6_T7_P12ihipStream_tbENKUlT_T0_E_clISt17integral_constantIbLb0EES12_IbLb1EEEEDaSY_SZ_EUlSY_E_NS1_11comp_targetILNS1_3genE9ELNS1_11target_archE1100ELNS1_3gpuE3ELNS1_3repE0EEENS1_30default_config_static_selectorELNS0_4arch9wavefront6targetE1EEEvT1_
; %bb.0:
	.section	.rodata,"a",@progbits
	.p2align	6, 0x0
	.amdhsa_kernel _ZN7rocprim17ROCPRIM_400000_NS6detail17trampoline_kernelINS0_14default_configENS1_27scan_by_key_config_selectorIj11FixedVectorIiLj8EEEEZZNS1_16scan_by_key_implILNS1_25lookback_scan_determinismE0ELb0ES3_N6thrust23THRUST_200600_302600_NS6detail15normal_iteratorINSB_10device_ptrIjEEEENSD_INSE_IS6_EEEESI_S6_NSB_4plusIvEENSB_8equal_toIvEES6_EE10hipError_tPvRmT2_T3_T4_T5_mT6_T7_P12ihipStream_tbENKUlT_T0_E_clISt17integral_constantIbLb0EES12_IbLb1EEEEDaSY_SZ_EUlSY_E_NS1_11comp_targetILNS1_3genE9ELNS1_11target_archE1100ELNS1_3gpuE3ELNS1_3repE0EEENS1_30default_config_static_selectorELNS0_4arch9wavefront6targetE1EEEvT1_
		.amdhsa_group_segment_fixed_size 0
		.amdhsa_private_segment_fixed_size 0
		.amdhsa_kernarg_size 160
		.amdhsa_user_sgpr_count 2
		.amdhsa_user_sgpr_dispatch_ptr 0
		.amdhsa_user_sgpr_queue_ptr 0
		.amdhsa_user_sgpr_kernarg_segment_ptr 1
		.amdhsa_user_sgpr_dispatch_id 0
		.amdhsa_user_sgpr_kernarg_preload_length 0
		.amdhsa_user_sgpr_kernarg_preload_offset 0
		.amdhsa_user_sgpr_private_segment_size 0
		.amdhsa_uses_dynamic_stack 0
		.amdhsa_enable_private_segment 0
		.amdhsa_system_sgpr_workgroup_id_x 1
		.amdhsa_system_sgpr_workgroup_id_y 0
		.amdhsa_system_sgpr_workgroup_id_z 0
		.amdhsa_system_sgpr_workgroup_info 0
		.amdhsa_system_vgpr_workitem_id 0
		.amdhsa_next_free_vgpr 1
		.amdhsa_next_free_sgpr 0
		.amdhsa_accum_offset 4
		.amdhsa_reserve_vcc 0
		.amdhsa_float_round_mode_32 0
		.amdhsa_float_round_mode_16_64 0
		.amdhsa_float_denorm_mode_32 3
		.amdhsa_float_denorm_mode_16_64 3
		.amdhsa_dx10_clamp 1
		.amdhsa_ieee_mode 1
		.amdhsa_fp16_overflow 0
		.amdhsa_tg_split 0
		.amdhsa_exception_fp_ieee_invalid_op 0
		.amdhsa_exception_fp_denorm_src 0
		.amdhsa_exception_fp_ieee_div_zero 0
		.amdhsa_exception_fp_ieee_overflow 0
		.amdhsa_exception_fp_ieee_underflow 0
		.amdhsa_exception_fp_ieee_inexact 0
		.amdhsa_exception_int_div_zero 0
	.end_amdhsa_kernel
	.section	.text._ZN7rocprim17ROCPRIM_400000_NS6detail17trampoline_kernelINS0_14default_configENS1_27scan_by_key_config_selectorIj11FixedVectorIiLj8EEEEZZNS1_16scan_by_key_implILNS1_25lookback_scan_determinismE0ELb0ES3_N6thrust23THRUST_200600_302600_NS6detail15normal_iteratorINSB_10device_ptrIjEEEENSD_INSE_IS6_EEEESI_S6_NSB_4plusIvEENSB_8equal_toIvEES6_EE10hipError_tPvRmT2_T3_T4_T5_mT6_T7_P12ihipStream_tbENKUlT_T0_E_clISt17integral_constantIbLb0EES12_IbLb1EEEEDaSY_SZ_EUlSY_E_NS1_11comp_targetILNS1_3genE9ELNS1_11target_archE1100ELNS1_3gpuE3ELNS1_3repE0EEENS1_30default_config_static_selectorELNS0_4arch9wavefront6targetE1EEEvT1_,"axG",@progbits,_ZN7rocprim17ROCPRIM_400000_NS6detail17trampoline_kernelINS0_14default_configENS1_27scan_by_key_config_selectorIj11FixedVectorIiLj8EEEEZZNS1_16scan_by_key_implILNS1_25lookback_scan_determinismE0ELb0ES3_N6thrust23THRUST_200600_302600_NS6detail15normal_iteratorINSB_10device_ptrIjEEEENSD_INSE_IS6_EEEESI_S6_NSB_4plusIvEENSB_8equal_toIvEES6_EE10hipError_tPvRmT2_T3_T4_T5_mT6_T7_P12ihipStream_tbENKUlT_T0_E_clISt17integral_constantIbLb0EES12_IbLb1EEEEDaSY_SZ_EUlSY_E_NS1_11comp_targetILNS1_3genE9ELNS1_11target_archE1100ELNS1_3gpuE3ELNS1_3repE0EEENS1_30default_config_static_selectorELNS0_4arch9wavefront6targetE1EEEvT1_,comdat
.Lfunc_end2156:
	.size	_ZN7rocprim17ROCPRIM_400000_NS6detail17trampoline_kernelINS0_14default_configENS1_27scan_by_key_config_selectorIj11FixedVectorIiLj8EEEEZZNS1_16scan_by_key_implILNS1_25lookback_scan_determinismE0ELb0ES3_N6thrust23THRUST_200600_302600_NS6detail15normal_iteratorINSB_10device_ptrIjEEEENSD_INSE_IS6_EEEESI_S6_NSB_4plusIvEENSB_8equal_toIvEES6_EE10hipError_tPvRmT2_T3_T4_T5_mT6_T7_P12ihipStream_tbENKUlT_T0_E_clISt17integral_constantIbLb0EES12_IbLb1EEEEDaSY_SZ_EUlSY_E_NS1_11comp_targetILNS1_3genE9ELNS1_11target_archE1100ELNS1_3gpuE3ELNS1_3repE0EEENS1_30default_config_static_selectorELNS0_4arch9wavefront6targetE1EEEvT1_, .Lfunc_end2156-_ZN7rocprim17ROCPRIM_400000_NS6detail17trampoline_kernelINS0_14default_configENS1_27scan_by_key_config_selectorIj11FixedVectorIiLj8EEEEZZNS1_16scan_by_key_implILNS1_25lookback_scan_determinismE0ELb0ES3_N6thrust23THRUST_200600_302600_NS6detail15normal_iteratorINSB_10device_ptrIjEEEENSD_INSE_IS6_EEEESI_S6_NSB_4plusIvEENSB_8equal_toIvEES6_EE10hipError_tPvRmT2_T3_T4_T5_mT6_T7_P12ihipStream_tbENKUlT_T0_E_clISt17integral_constantIbLb0EES12_IbLb1EEEEDaSY_SZ_EUlSY_E_NS1_11comp_targetILNS1_3genE9ELNS1_11target_archE1100ELNS1_3gpuE3ELNS1_3repE0EEENS1_30default_config_static_selectorELNS0_4arch9wavefront6targetE1EEEvT1_
                                        ; -- End function
	.section	.AMDGPU.csdata,"",@progbits
; Kernel info:
; codeLenInByte = 0
; NumSgprs: 6
; NumVgprs: 0
; NumAgprs: 0
; TotalNumVgprs: 0
; ScratchSize: 0
; MemoryBound: 0
; FloatMode: 240
; IeeeMode: 1
; LDSByteSize: 0 bytes/workgroup (compile time only)
; SGPRBlocks: 0
; VGPRBlocks: 0
; NumSGPRsForWavesPerEU: 6
; NumVGPRsForWavesPerEU: 1
; AccumOffset: 4
; Occupancy: 8
; WaveLimiterHint : 0
; COMPUTE_PGM_RSRC2:SCRATCH_EN: 0
; COMPUTE_PGM_RSRC2:USER_SGPR: 2
; COMPUTE_PGM_RSRC2:TRAP_HANDLER: 0
; COMPUTE_PGM_RSRC2:TGID_X_EN: 1
; COMPUTE_PGM_RSRC2:TGID_Y_EN: 0
; COMPUTE_PGM_RSRC2:TGID_Z_EN: 0
; COMPUTE_PGM_RSRC2:TIDIG_COMP_CNT: 0
; COMPUTE_PGM_RSRC3_GFX90A:ACCUM_OFFSET: 0
; COMPUTE_PGM_RSRC3_GFX90A:TG_SPLIT: 0
	.section	.text._ZN7rocprim17ROCPRIM_400000_NS6detail17trampoline_kernelINS0_14default_configENS1_27scan_by_key_config_selectorIj11FixedVectorIiLj8EEEEZZNS1_16scan_by_key_implILNS1_25lookback_scan_determinismE0ELb0ES3_N6thrust23THRUST_200600_302600_NS6detail15normal_iteratorINSB_10device_ptrIjEEEENSD_INSE_IS6_EEEESI_S6_NSB_4plusIvEENSB_8equal_toIvEES6_EE10hipError_tPvRmT2_T3_T4_T5_mT6_T7_P12ihipStream_tbENKUlT_T0_E_clISt17integral_constantIbLb0EES12_IbLb1EEEEDaSY_SZ_EUlSY_E_NS1_11comp_targetILNS1_3genE8ELNS1_11target_archE1030ELNS1_3gpuE2ELNS1_3repE0EEENS1_30default_config_static_selectorELNS0_4arch9wavefront6targetE1EEEvT1_,"axG",@progbits,_ZN7rocprim17ROCPRIM_400000_NS6detail17trampoline_kernelINS0_14default_configENS1_27scan_by_key_config_selectorIj11FixedVectorIiLj8EEEEZZNS1_16scan_by_key_implILNS1_25lookback_scan_determinismE0ELb0ES3_N6thrust23THRUST_200600_302600_NS6detail15normal_iteratorINSB_10device_ptrIjEEEENSD_INSE_IS6_EEEESI_S6_NSB_4plusIvEENSB_8equal_toIvEES6_EE10hipError_tPvRmT2_T3_T4_T5_mT6_T7_P12ihipStream_tbENKUlT_T0_E_clISt17integral_constantIbLb0EES12_IbLb1EEEEDaSY_SZ_EUlSY_E_NS1_11comp_targetILNS1_3genE8ELNS1_11target_archE1030ELNS1_3gpuE2ELNS1_3repE0EEENS1_30default_config_static_selectorELNS0_4arch9wavefront6targetE1EEEvT1_,comdat
	.protected	_ZN7rocprim17ROCPRIM_400000_NS6detail17trampoline_kernelINS0_14default_configENS1_27scan_by_key_config_selectorIj11FixedVectorIiLj8EEEEZZNS1_16scan_by_key_implILNS1_25lookback_scan_determinismE0ELb0ES3_N6thrust23THRUST_200600_302600_NS6detail15normal_iteratorINSB_10device_ptrIjEEEENSD_INSE_IS6_EEEESI_S6_NSB_4plusIvEENSB_8equal_toIvEES6_EE10hipError_tPvRmT2_T3_T4_T5_mT6_T7_P12ihipStream_tbENKUlT_T0_E_clISt17integral_constantIbLb0EES12_IbLb1EEEEDaSY_SZ_EUlSY_E_NS1_11comp_targetILNS1_3genE8ELNS1_11target_archE1030ELNS1_3gpuE2ELNS1_3repE0EEENS1_30default_config_static_selectorELNS0_4arch9wavefront6targetE1EEEvT1_ ; -- Begin function _ZN7rocprim17ROCPRIM_400000_NS6detail17trampoline_kernelINS0_14default_configENS1_27scan_by_key_config_selectorIj11FixedVectorIiLj8EEEEZZNS1_16scan_by_key_implILNS1_25lookback_scan_determinismE0ELb0ES3_N6thrust23THRUST_200600_302600_NS6detail15normal_iteratorINSB_10device_ptrIjEEEENSD_INSE_IS6_EEEESI_S6_NSB_4plusIvEENSB_8equal_toIvEES6_EE10hipError_tPvRmT2_T3_T4_T5_mT6_T7_P12ihipStream_tbENKUlT_T0_E_clISt17integral_constantIbLb0EES12_IbLb1EEEEDaSY_SZ_EUlSY_E_NS1_11comp_targetILNS1_3genE8ELNS1_11target_archE1030ELNS1_3gpuE2ELNS1_3repE0EEENS1_30default_config_static_selectorELNS0_4arch9wavefront6targetE1EEEvT1_
	.globl	_ZN7rocprim17ROCPRIM_400000_NS6detail17trampoline_kernelINS0_14default_configENS1_27scan_by_key_config_selectorIj11FixedVectorIiLj8EEEEZZNS1_16scan_by_key_implILNS1_25lookback_scan_determinismE0ELb0ES3_N6thrust23THRUST_200600_302600_NS6detail15normal_iteratorINSB_10device_ptrIjEEEENSD_INSE_IS6_EEEESI_S6_NSB_4plusIvEENSB_8equal_toIvEES6_EE10hipError_tPvRmT2_T3_T4_T5_mT6_T7_P12ihipStream_tbENKUlT_T0_E_clISt17integral_constantIbLb0EES12_IbLb1EEEEDaSY_SZ_EUlSY_E_NS1_11comp_targetILNS1_3genE8ELNS1_11target_archE1030ELNS1_3gpuE2ELNS1_3repE0EEENS1_30default_config_static_selectorELNS0_4arch9wavefront6targetE1EEEvT1_
	.p2align	8
	.type	_ZN7rocprim17ROCPRIM_400000_NS6detail17trampoline_kernelINS0_14default_configENS1_27scan_by_key_config_selectorIj11FixedVectorIiLj8EEEEZZNS1_16scan_by_key_implILNS1_25lookback_scan_determinismE0ELb0ES3_N6thrust23THRUST_200600_302600_NS6detail15normal_iteratorINSB_10device_ptrIjEEEENSD_INSE_IS6_EEEESI_S6_NSB_4plusIvEENSB_8equal_toIvEES6_EE10hipError_tPvRmT2_T3_T4_T5_mT6_T7_P12ihipStream_tbENKUlT_T0_E_clISt17integral_constantIbLb0EES12_IbLb1EEEEDaSY_SZ_EUlSY_E_NS1_11comp_targetILNS1_3genE8ELNS1_11target_archE1030ELNS1_3gpuE2ELNS1_3repE0EEENS1_30default_config_static_selectorELNS0_4arch9wavefront6targetE1EEEvT1_,@function
_ZN7rocprim17ROCPRIM_400000_NS6detail17trampoline_kernelINS0_14default_configENS1_27scan_by_key_config_selectorIj11FixedVectorIiLj8EEEEZZNS1_16scan_by_key_implILNS1_25lookback_scan_determinismE0ELb0ES3_N6thrust23THRUST_200600_302600_NS6detail15normal_iteratorINSB_10device_ptrIjEEEENSD_INSE_IS6_EEEESI_S6_NSB_4plusIvEENSB_8equal_toIvEES6_EE10hipError_tPvRmT2_T3_T4_T5_mT6_T7_P12ihipStream_tbENKUlT_T0_E_clISt17integral_constantIbLb0EES12_IbLb1EEEEDaSY_SZ_EUlSY_E_NS1_11comp_targetILNS1_3genE8ELNS1_11target_archE1030ELNS1_3gpuE2ELNS1_3repE0EEENS1_30default_config_static_selectorELNS0_4arch9wavefront6targetE1EEEvT1_: ; @_ZN7rocprim17ROCPRIM_400000_NS6detail17trampoline_kernelINS0_14default_configENS1_27scan_by_key_config_selectorIj11FixedVectorIiLj8EEEEZZNS1_16scan_by_key_implILNS1_25lookback_scan_determinismE0ELb0ES3_N6thrust23THRUST_200600_302600_NS6detail15normal_iteratorINSB_10device_ptrIjEEEENSD_INSE_IS6_EEEESI_S6_NSB_4plusIvEENSB_8equal_toIvEES6_EE10hipError_tPvRmT2_T3_T4_T5_mT6_T7_P12ihipStream_tbENKUlT_T0_E_clISt17integral_constantIbLb0EES12_IbLb1EEEEDaSY_SZ_EUlSY_E_NS1_11comp_targetILNS1_3genE8ELNS1_11target_archE1030ELNS1_3gpuE2ELNS1_3repE0EEENS1_30default_config_static_selectorELNS0_4arch9wavefront6targetE1EEEvT1_
; %bb.0:
	.section	.rodata,"a",@progbits
	.p2align	6, 0x0
	.amdhsa_kernel _ZN7rocprim17ROCPRIM_400000_NS6detail17trampoline_kernelINS0_14default_configENS1_27scan_by_key_config_selectorIj11FixedVectorIiLj8EEEEZZNS1_16scan_by_key_implILNS1_25lookback_scan_determinismE0ELb0ES3_N6thrust23THRUST_200600_302600_NS6detail15normal_iteratorINSB_10device_ptrIjEEEENSD_INSE_IS6_EEEESI_S6_NSB_4plusIvEENSB_8equal_toIvEES6_EE10hipError_tPvRmT2_T3_T4_T5_mT6_T7_P12ihipStream_tbENKUlT_T0_E_clISt17integral_constantIbLb0EES12_IbLb1EEEEDaSY_SZ_EUlSY_E_NS1_11comp_targetILNS1_3genE8ELNS1_11target_archE1030ELNS1_3gpuE2ELNS1_3repE0EEENS1_30default_config_static_selectorELNS0_4arch9wavefront6targetE1EEEvT1_
		.amdhsa_group_segment_fixed_size 0
		.amdhsa_private_segment_fixed_size 0
		.amdhsa_kernarg_size 160
		.amdhsa_user_sgpr_count 2
		.amdhsa_user_sgpr_dispatch_ptr 0
		.amdhsa_user_sgpr_queue_ptr 0
		.amdhsa_user_sgpr_kernarg_segment_ptr 1
		.amdhsa_user_sgpr_dispatch_id 0
		.amdhsa_user_sgpr_kernarg_preload_length 0
		.amdhsa_user_sgpr_kernarg_preload_offset 0
		.amdhsa_user_sgpr_private_segment_size 0
		.amdhsa_uses_dynamic_stack 0
		.amdhsa_enable_private_segment 0
		.amdhsa_system_sgpr_workgroup_id_x 1
		.amdhsa_system_sgpr_workgroup_id_y 0
		.amdhsa_system_sgpr_workgroup_id_z 0
		.amdhsa_system_sgpr_workgroup_info 0
		.amdhsa_system_vgpr_workitem_id 0
		.amdhsa_next_free_vgpr 1
		.amdhsa_next_free_sgpr 0
		.amdhsa_accum_offset 4
		.amdhsa_reserve_vcc 0
		.amdhsa_float_round_mode_32 0
		.amdhsa_float_round_mode_16_64 0
		.amdhsa_float_denorm_mode_32 3
		.amdhsa_float_denorm_mode_16_64 3
		.amdhsa_dx10_clamp 1
		.amdhsa_ieee_mode 1
		.amdhsa_fp16_overflow 0
		.amdhsa_tg_split 0
		.amdhsa_exception_fp_ieee_invalid_op 0
		.amdhsa_exception_fp_denorm_src 0
		.amdhsa_exception_fp_ieee_div_zero 0
		.amdhsa_exception_fp_ieee_overflow 0
		.amdhsa_exception_fp_ieee_underflow 0
		.amdhsa_exception_fp_ieee_inexact 0
		.amdhsa_exception_int_div_zero 0
	.end_amdhsa_kernel
	.section	.text._ZN7rocprim17ROCPRIM_400000_NS6detail17trampoline_kernelINS0_14default_configENS1_27scan_by_key_config_selectorIj11FixedVectorIiLj8EEEEZZNS1_16scan_by_key_implILNS1_25lookback_scan_determinismE0ELb0ES3_N6thrust23THRUST_200600_302600_NS6detail15normal_iteratorINSB_10device_ptrIjEEEENSD_INSE_IS6_EEEESI_S6_NSB_4plusIvEENSB_8equal_toIvEES6_EE10hipError_tPvRmT2_T3_T4_T5_mT6_T7_P12ihipStream_tbENKUlT_T0_E_clISt17integral_constantIbLb0EES12_IbLb1EEEEDaSY_SZ_EUlSY_E_NS1_11comp_targetILNS1_3genE8ELNS1_11target_archE1030ELNS1_3gpuE2ELNS1_3repE0EEENS1_30default_config_static_selectorELNS0_4arch9wavefront6targetE1EEEvT1_,"axG",@progbits,_ZN7rocprim17ROCPRIM_400000_NS6detail17trampoline_kernelINS0_14default_configENS1_27scan_by_key_config_selectorIj11FixedVectorIiLj8EEEEZZNS1_16scan_by_key_implILNS1_25lookback_scan_determinismE0ELb0ES3_N6thrust23THRUST_200600_302600_NS6detail15normal_iteratorINSB_10device_ptrIjEEEENSD_INSE_IS6_EEEESI_S6_NSB_4plusIvEENSB_8equal_toIvEES6_EE10hipError_tPvRmT2_T3_T4_T5_mT6_T7_P12ihipStream_tbENKUlT_T0_E_clISt17integral_constantIbLb0EES12_IbLb1EEEEDaSY_SZ_EUlSY_E_NS1_11comp_targetILNS1_3genE8ELNS1_11target_archE1030ELNS1_3gpuE2ELNS1_3repE0EEENS1_30default_config_static_selectorELNS0_4arch9wavefront6targetE1EEEvT1_,comdat
.Lfunc_end2157:
	.size	_ZN7rocprim17ROCPRIM_400000_NS6detail17trampoline_kernelINS0_14default_configENS1_27scan_by_key_config_selectorIj11FixedVectorIiLj8EEEEZZNS1_16scan_by_key_implILNS1_25lookback_scan_determinismE0ELb0ES3_N6thrust23THRUST_200600_302600_NS6detail15normal_iteratorINSB_10device_ptrIjEEEENSD_INSE_IS6_EEEESI_S6_NSB_4plusIvEENSB_8equal_toIvEES6_EE10hipError_tPvRmT2_T3_T4_T5_mT6_T7_P12ihipStream_tbENKUlT_T0_E_clISt17integral_constantIbLb0EES12_IbLb1EEEEDaSY_SZ_EUlSY_E_NS1_11comp_targetILNS1_3genE8ELNS1_11target_archE1030ELNS1_3gpuE2ELNS1_3repE0EEENS1_30default_config_static_selectorELNS0_4arch9wavefront6targetE1EEEvT1_, .Lfunc_end2157-_ZN7rocprim17ROCPRIM_400000_NS6detail17trampoline_kernelINS0_14default_configENS1_27scan_by_key_config_selectorIj11FixedVectorIiLj8EEEEZZNS1_16scan_by_key_implILNS1_25lookback_scan_determinismE0ELb0ES3_N6thrust23THRUST_200600_302600_NS6detail15normal_iteratorINSB_10device_ptrIjEEEENSD_INSE_IS6_EEEESI_S6_NSB_4plusIvEENSB_8equal_toIvEES6_EE10hipError_tPvRmT2_T3_T4_T5_mT6_T7_P12ihipStream_tbENKUlT_T0_E_clISt17integral_constantIbLb0EES12_IbLb1EEEEDaSY_SZ_EUlSY_E_NS1_11comp_targetILNS1_3genE8ELNS1_11target_archE1030ELNS1_3gpuE2ELNS1_3repE0EEENS1_30default_config_static_selectorELNS0_4arch9wavefront6targetE1EEEvT1_
                                        ; -- End function
	.section	.AMDGPU.csdata,"",@progbits
; Kernel info:
; codeLenInByte = 0
; NumSgprs: 6
; NumVgprs: 0
; NumAgprs: 0
; TotalNumVgprs: 0
; ScratchSize: 0
; MemoryBound: 0
; FloatMode: 240
; IeeeMode: 1
; LDSByteSize: 0 bytes/workgroup (compile time only)
; SGPRBlocks: 0
; VGPRBlocks: 0
; NumSGPRsForWavesPerEU: 6
; NumVGPRsForWavesPerEU: 1
; AccumOffset: 4
; Occupancy: 8
; WaveLimiterHint : 0
; COMPUTE_PGM_RSRC2:SCRATCH_EN: 0
; COMPUTE_PGM_RSRC2:USER_SGPR: 2
; COMPUTE_PGM_RSRC2:TRAP_HANDLER: 0
; COMPUTE_PGM_RSRC2:TGID_X_EN: 1
; COMPUTE_PGM_RSRC2:TGID_Y_EN: 0
; COMPUTE_PGM_RSRC2:TGID_Z_EN: 0
; COMPUTE_PGM_RSRC2:TIDIG_COMP_CNT: 0
; COMPUTE_PGM_RSRC3_GFX90A:ACCUM_OFFSET: 0
; COMPUTE_PGM_RSRC3_GFX90A:TG_SPLIT: 0
	.section	.text._ZN7rocprim17ROCPRIM_400000_NS6detail17trampoline_kernelINS0_14default_configENS1_27scan_by_key_config_selectorIj11FixedVectorIiLj8EEEEZZNS1_16scan_by_key_implILNS1_25lookback_scan_determinismE0ELb1ES3_N6thrust23THRUST_200600_302600_NS6detail15normal_iteratorINSB_10device_ptrIjEEEENSD_INSE_IS6_EEEESI_S6_NSB_4plusIvEENSB_8equal_toIvEES6_EE10hipError_tPvRmT2_T3_T4_T5_mT6_T7_P12ihipStream_tbENKUlT_T0_E_clISt17integral_constantIbLb0EES13_EEDaSY_SZ_EUlSY_E_NS1_11comp_targetILNS1_3genE0ELNS1_11target_archE4294967295ELNS1_3gpuE0ELNS1_3repE0EEENS1_30default_config_static_selectorELNS0_4arch9wavefront6targetE1EEEvT1_,"axG",@progbits,_ZN7rocprim17ROCPRIM_400000_NS6detail17trampoline_kernelINS0_14default_configENS1_27scan_by_key_config_selectorIj11FixedVectorIiLj8EEEEZZNS1_16scan_by_key_implILNS1_25lookback_scan_determinismE0ELb1ES3_N6thrust23THRUST_200600_302600_NS6detail15normal_iteratorINSB_10device_ptrIjEEEENSD_INSE_IS6_EEEESI_S6_NSB_4plusIvEENSB_8equal_toIvEES6_EE10hipError_tPvRmT2_T3_T4_T5_mT6_T7_P12ihipStream_tbENKUlT_T0_E_clISt17integral_constantIbLb0EES13_EEDaSY_SZ_EUlSY_E_NS1_11comp_targetILNS1_3genE0ELNS1_11target_archE4294967295ELNS1_3gpuE0ELNS1_3repE0EEENS1_30default_config_static_selectorELNS0_4arch9wavefront6targetE1EEEvT1_,comdat
	.protected	_ZN7rocprim17ROCPRIM_400000_NS6detail17trampoline_kernelINS0_14default_configENS1_27scan_by_key_config_selectorIj11FixedVectorIiLj8EEEEZZNS1_16scan_by_key_implILNS1_25lookback_scan_determinismE0ELb1ES3_N6thrust23THRUST_200600_302600_NS6detail15normal_iteratorINSB_10device_ptrIjEEEENSD_INSE_IS6_EEEESI_S6_NSB_4plusIvEENSB_8equal_toIvEES6_EE10hipError_tPvRmT2_T3_T4_T5_mT6_T7_P12ihipStream_tbENKUlT_T0_E_clISt17integral_constantIbLb0EES13_EEDaSY_SZ_EUlSY_E_NS1_11comp_targetILNS1_3genE0ELNS1_11target_archE4294967295ELNS1_3gpuE0ELNS1_3repE0EEENS1_30default_config_static_selectorELNS0_4arch9wavefront6targetE1EEEvT1_ ; -- Begin function _ZN7rocprim17ROCPRIM_400000_NS6detail17trampoline_kernelINS0_14default_configENS1_27scan_by_key_config_selectorIj11FixedVectorIiLj8EEEEZZNS1_16scan_by_key_implILNS1_25lookback_scan_determinismE0ELb1ES3_N6thrust23THRUST_200600_302600_NS6detail15normal_iteratorINSB_10device_ptrIjEEEENSD_INSE_IS6_EEEESI_S6_NSB_4plusIvEENSB_8equal_toIvEES6_EE10hipError_tPvRmT2_T3_T4_T5_mT6_T7_P12ihipStream_tbENKUlT_T0_E_clISt17integral_constantIbLb0EES13_EEDaSY_SZ_EUlSY_E_NS1_11comp_targetILNS1_3genE0ELNS1_11target_archE4294967295ELNS1_3gpuE0ELNS1_3repE0EEENS1_30default_config_static_selectorELNS0_4arch9wavefront6targetE1EEEvT1_
	.globl	_ZN7rocprim17ROCPRIM_400000_NS6detail17trampoline_kernelINS0_14default_configENS1_27scan_by_key_config_selectorIj11FixedVectorIiLj8EEEEZZNS1_16scan_by_key_implILNS1_25lookback_scan_determinismE0ELb1ES3_N6thrust23THRUST_200600_302600_NS6detail15normal_iteratorINSB_10device_ptrIjEEEENSD_INSE_IS6_EEEESI_S6_NSB_4plusIvEENSB_8equal_toIvEES6_EE10hipError_tPvRmT2_T3_T4_T5_mT6_T7_P12ihipStream_tbENKUlT_T0_E_clISt17integral_constantIbLb0EES13_EEDaSY_SZ_EUlSY_E_NS1_11comp_targetILNS1_3genE0ELNS1_11target_archE4294967295ELNS1_3gpuE0ELNS1_3repE0EEENS1_30default_config_static_selectorELNS0_4arch9wavefront6targetE1EEEvT1_
	.p2align	8
	.type	_ZN7rocprim17ROCPRIM_400000_NS6detail17trampoline_kernelINS0_14default_configENS1_27scan_by_key_config_selectorIj11FixedVectorIiLj8EEEEZZNS1_16scan_by_key_implILNS1_25lookback_scan_determinismE0ELb1ES3_N6thrust23THRUST_200600_302600_NS6detail15normal_iteratorINSB_10device_ptrIjEEEENSD_INSE_IS6_EEEESI_S6_NSB_4plusIvEENSB_8equal_toIvEES6_EE10hipError_tPvRmT2_T3_T4_T5_mT6_T7_P12ihipStream_tbENKUlT_T0_E_clISt17integral_constantIbLb0EES13_EEDaSY_SZ_EUlSY_E_NS1_11comp_targetILNS1_3genE0ELNS1_11target_archE4294967295ELNS1_3gpuE0ELNS1_3repE0EEENS1_30default_config_static_selectorELNS0_4arch9wavefront6targetE1EEEvT1_,@function
_ZN7rocprim17ROCPRIM_400000_NS6detail17trampoline_kernelINS0_14default_configENS1_27scan_by_key_config_selectorIj11FixedVectorIiLj8EEEEZZNS1_16scan_by_key_implILNS1_25lookback_scan_determinismE0ELb1ES3_N6thrust23THRUST_200600_302600_NS6detail15normal_iteratorINSB_10device_ptrIjEEEENSD_INSE_IS6_EEEESI_S6_NSB_4plusIvEENSB_8equal_toIvEES6_EE10hipError_tPvRmT2_T3_T4_T5_mT6_T7_P12ihipStream_tbENKUlT_T0_E_clISt17integral_constantIbLb0EES13_EEDaSY_SZ_EUlSY_E_NS1_11comp_targetILNS1_3genE0ELNS1_11target_archE4294967295ELNS1_3gpuE0ELNS1_3repE0EEENS1_30default_config_static_selectorELNS0_4arch9wavefront6targetE1EEEvT1_: ; @_ZN7rocprim17ROCPRIM_400000_NS6detail17trampoline_kernelINS0_14default_configENS1_27scan_by_key_config_selectorIj11FixedVectorIiLj8EEEEZZNS1_16scan_by_key_implILNS1_25lookback_scan_determinismE0ELb1ES3_N6thrust23THRUST_200600_302600_NS6detail15normal_iteratorINSB_10device_ptrIjEEEENSD_INSE_IS6_EEEESI_S6_NSB_4plusIvEENSB_8equal_toIvEES6_EE10hipError_tPvRmT2_T3_T4_T5_mT6_T7_P12ihipStream_tbENKUlT_T0_E_clISt17integral_constantIbLb0EES13_EEDaSY_SZ_EUlSY_E_NS1_11comp_targetILNS1_3genE0ELNS1_11target_archE4294967295ELNS1_3gpuE0ELNS1_3repE0EEENS1_30default_config_static_selectorELNS0_4arch9wavefront6targetE1EEEvT1_
; %bb.0:
	.section	.rodata,"a",@progbits
	.p2align	6, 0x0
	.amdhsa_kernel _ZN7rocprim17ROCPRIM_400000_NS6detail17trampoline_kernelINS0_14default_configENS1_27scan_by_key_config_selectorIj11FixedVectorIiLj8EEEEZZNS1_16scan_by_key_implILNS1_25lookback_scan_determinismE0ELb1ES3_N6thrust23THRUST_200600_302600_NS6detail15normal_iteratorINSB_10device_ptrIjEEEENSD_INSE_IS6_EEEESI_S6_NSB_4plusIvEENSB_8equal_toIvEES6_EE10hipError_tPvRmT2_T3_T4_T5_mT6_T7_P12ihipStream_tbENKUlT_T0_E_clISt17integral_constantIbLb0EES13_EEDaSY_SZ_EUlSY_E_NS1_11comp_targetILNS1_3genE0ELNS1_11target_archE4294967295ELNS1_3gpuE0ELNS1_3repE0EEENS1_30default_config_static_selectorELNS0_4arch9wavefront6targetE1EEEvT1_
		.amdhsa_group_segment_fixed_size 0
		.amdhsa_private_segment_fixed_size 0
		.amdhsa_kernarg_size 160
		.amdhsa_user_sgpr_count 2
		.amdhsa_user_sgpr_dispatch_ptr 0
		.amdhsa_user_sgpr_queue_ptr 0
		.amdhsa_user_sgpr_kernarg_segment_ptr 1
		.amdhsa_user_sgpr_dispatch_id 0
		.amdhsa_user_sgpr_kernarg_preload_length 0
		.amdhsa_user_sgpr_kernarg_preload_offset 0
		.amdhsa_user_sgpr_private_segment_size 0
		.amdhsa_uses_dynamic_stack 0
		.amdhsa_enable_private_segment 0
		.amdhsa_system_sgpr_workgroup_id_x 1
		.amdhsa_system_sgpr_workgroup_id_y 0
		.amdhsa_system_sgpr_workgroup_id_z 0
		.amdhsa_system_sgpr_workgroup_info 0
		.amdhsa_system_vgpr_workitem_id 0
		.amdhsa_next_free_vgpr 1
		.amdhsa_next_free_sgpr 0
		.amdhsa_accum_offset 4
		.amdhsa_reserve_vcc 0
		.amdhsa_float_round_mode_32 0
		.amdhsa_float_round_mode_16_64 0
		.amdhsa_float_denorm_mode_32 3
		.amdhsa_float_denorm_mode_16_64 3
		.amdhsa_dx10_clamp 1
		.amdhsa_ieee_mode 1
		.amdhsa_fp16_overflow 0
		.amdhsa_tg_split 0
		.amdhsa_exception_fp_ieee_invalid_op 0
		.amdhsa_exception_fp_denorm_src 0
		.amdhsa_exception_fp_ieee_div_zero 0
		.amdhsa_exception_fp_ieee_overflow 0
		.amdhsa_exception_fp_ieee_underflow 0
		.amdhsa_exception_fp_ieee_inexact 0
		.amdhsa_exception_int_div_zero 0
	.end_amdhsa_kernel
	.section	.text._ZN7rocprim17ROCPRIM_400000_NS6detail17trampoline_kernelINS0_14default_configENS1_27scan_by_key_config_selectorIj11FixedVectorIiLj8EEEEZZNS1_16scan_by_key_implILNS1_25lookback_scan_determinismE0ELb1ES3_N6thrust23THRUST_200600_302600_NS6detail15normal_iteratorINSB_10device_ptrIjEEEENSD_INSE_IS6_EEEESI_S6_NSB_4plusIvEENSB_8equal_toIvEES6_EE10hipError_tPvRmT2_T3_T4_T5_mT6_T7_P12ihipStream_tbENKUlT_T0_E_clISt17integral_constantIbLb0EES13_EEDaSY_SZ_EUlSY_E_NS1_11comp_targetILNS1_3genE0ELNS1_11target_archE4294967295ELNS1_3gpuE0ELNS1_3repE0EEENS1_30default_config_static_selectorELNS0_4arch9wavefront6targetE1EEEvT1_,"axG",@progbits,_ZN7rocprim17ROCPRIM_400000_NS6detail17trampoline_kernelINS0_14default_configENS1_27scan_by_key_config_selectorIj11FixedVectorIiLj8EEEEZZNS1_16scan_by_key_implILNS1_25lookback_scan_determinismE0ELb1ES3_N6thrust23THRUST_200600_302600_NS6detail15normal_iteratorINSB_10device_ptrIjEEEENSD_INSE_IS6_EEEESI_S6_NSB_4plusIvEENSB_8equal_toIvEES6_EE10hipError_tPvRmT2_T3_T4_T5_mT6_T7_P12ihipStream_tbENKUlT_T0_E_clISt17integral_constantIbLb0EES13_EEDaSY_SZ_EUlSY_E_NS1_11comp_targetILNS1_3genE0ELNS1_11target_archE4294967295ELNS1_3gpuE0ELNS1_3repE0EEENS1_30default_config_static_selectorELNS0_4arch9wavefront6targetE1EEEvT1_,comdat
.Lfunc_end2158:
	.size	_ZN7rocprim17ROCPRIM_400000_NS6detail17trampoline_kernelINS0_14default_configENS1_27scan_by_key_config_selectorIj11FixedVectorIiLj8EEEEZZNS1_16scan_by_key_implILNS1_25lookback_scan_determinismE0ELb1ES3_N6thrust23THRUST_200600_302600_NS6detail15normal_iteratorINSB_10device_ptrIjEEEENSD_INSE_IS6_EEEESI_S6_NSB_4plusIvEENSB_8equal_toIvEES6_EE10hipError_tPvRmT2_T3_T4_T5_mT6_T7_P12ihipStream_tbENKUlT_T0_E_clISt17integral_constantIbLb0EES13_EEDaSY_SZ_EUlSY_E_NS1_11comp_targetILNS1_3genE0ELNS1_11target_archE4294967295ELNS1_3gpuE0ELNS1_3repE0EEENS1_30default_config_static_selectorELNS0_4arch9wavefront6targetE1EEEvT1_, .Lfunc_end2158-_ZN7rocprim17ROCPRIM_400000_NS6detail17trampoline_kernelINS0_14default_configENS1_27scan_by_key_config_selectorIj11FixedVectorIiLj8EEEEZZNS1_16scan_by_key_implILNS1_25lookback_scan_determinismE0ELb1ES3_N6thrust23THRUST_200600_302600_NS6detail15normal_iteratorINSB_10device_ptrIjEEEENSD_INSE_IS6_EEEESI_S6_NSB_4plusIvEENSB_8equal_toIvEES6_EE10hipError_tPvRmT2_T3_T4_T5_mT6_T7_P12ihipStream_tbENKUlT_T0_E_clISt17integral_constantIbLb0EES13_EEDaSY_SZ_EUlSY_E_NS1_11comp_targetILNS1_3genE0ELNS1_11target_archE4294967295ELNS1_3gpuE0ELNS1_3repE0EEENS1_30default_config_static_selectorELNS0_4arch9wavefront6targetE1EEEvT1_
                                        ; -- End function
	.section	.AMDGPU.csdata,"",@progbits
; Kernel info:
; codeLenInByte = 0
; NumSgprs: 6
; NumVgprs: 0
; NumAgprs: 0
; TotalNumVgprs: 0
; ScratchSize: 0
; MemoryBound: 0
; FloatMode: 240
; IeeeMode: 1
; LDSByteSize: 0 bytes/workgroup (compile time only)
; SGPRBlocks: 0
; VGPRBlocks: 0
; NumSGPRsForWavesPerEU: 6
; NumVGPRsForWavesPerEU: 1
; AccumOffset: 4
; Occupancy: 8
; WaveLimiterHint : 0
; COMPUTE_PGM_RSRC2:SCRATCH_EN: 0
; COMPUTE_PGM_RSRC2:USER_SGPR: 2
; COMPUTE_PGM_RSRC2:TRAP_HANDLER: 0
; COMPUTE_PGM_RSRC2:TGID_X_EN: 1
; COMPUTE_PGM_RSRC2:TGID_Y_EN: 0
; COMPUTE_PGM_RSRC2:TGID_Z_EN: 0
; COMPUTE_PGM_RSRC2:TIDIG_COMP_CNT: 0
; COMPUTE_PGM_RSRC3_GFX90A:ACCUM_OFFSET: 0
; COMPUTE_PGM_RSRC3_GFX90A:TG_SPLIT: 0
	.section	.text._ZN7rocprim17ROCPRIM_400000_NS6detail17trampoline_kernelINS0_14default_configENS1_27scan_by_key_config_selectorIj11FixedVectorIiLj8EEEEZZNS1_16scan_by_key_implILNS1_25lookback_scan_determinismE0ELb1ES3_N6thrust23THRUST_200600_302600_NS6detail15normal_iteratorINSB_10device_ptrIjEEEENSD_INSE_IS6_EEEESI_S6_NSB_4plusIvEENSB_8equal_toIvEES6_EE10hipError_tPvRmT2_T3_T4_T5_mT6_T7_P12ihipStream_tbENKUlT_T0_E_clISt17integral_constantIbLb0EES13_EEDaSY_SZ_EUlSY_E_NS1_11comp_targetILNS1_3genE10ELNS1_11target_archE1201ELNS1_3gpuE5ELNS1_3repE0EEENS1_30default_config_static_selectorELNS0_4arch9wavefront6targetE1EEEvT1_,"axG",@progbits,_ZN7rocprim17ROCPRIM_400000_NS6detail17trampoline_kernelINS0_14default_configENS1_27scan_by_key_config_selectorIj11FixedVectorIiLj8EEEEZZNS1_16scan_by_key_implILNS1_25lookback_scan_determinismE0ELb1ES3_N6thrust23THRUST_200600_302600_NS6detail15normal_iteratorINSB_10device_ptrIjEEEENSD_INSE_IS6_EEEESI_S6_NSB_4plusIvEENSB_8equal_toIvEES6_EE10hipError_tPvRmT2_T3_T4_T5_mT6_T7_P12ihipStream_tbENKUlT_T0_E_clISt17integral_constantIbLb0EES13_EEDaSY_SZ_EUlSY_E_NS1_11comp_targetILNS1_3genE10ELNS1_11target_archE1201ELNS1_3gpuE5ELNS1_3repE0EEENS1_30default_config_static_selectorELNS0_4arch9wavefront6targetE1EEEvT1_,comdat
	.protected	_ZN7rocprim17ROCPRIM_400000_NS6detail17trampoline_kernelINS0_14default_configENS1_27scan_by_key_config_selectorIj11FixedVectorIiLj8EEEEZZNS1_16scan_by_key_implILNS1_25lookback_scan_determinismE0ELb1ES3_N6thrust23THRUST_200600_302600_NS6detail15normal_iteratorINSB_10device_ptrIjEEEENSD_INSE_IS6_EEEESI_S6_NSB_4plusIvEENSB_8equal_toIvEES6_EE10hipError_tPvRmT2_T3_T4_T5_mT6_T7_P12ihipStream_tbENKUlT_T0_E_clISt17integral_constantIbLb0EES13_EEDaSY_SZ_EUlSY_E_NS1_11comp_targetILNS1_3genE10ELNS1_11target_archE1201ELNS1_3gpuE5ELNS1_3repE0EEENS1_30default_config_static_selectorELNS0_4arch9wavefront6targetE1EEEvT1_ ; -- Begin function _ZN7rocprim17ROCPRIM_400000_NS6detail17trampoline_kernelINS0_14default_configENS1_27scan_by_key_config_selectorIj11FixedVectorIiLj8EEEEZZNS1_16scan_by_key_implILNS1_25lookback_scan_determinismE0ELb1ES3_N6thrust23THRUST_200600_302600_NS6detail15normal_iteratorINSB_10device_ptrIjEEEENSD_INSE_IS6_EEEESI_S6_NSB_4plusIvEENSB_8equal_toIvEES6_EE10hipError_tPvRmT2_T3_T4_T5_mT6_T7_P12ihipStream_tbENKUlT_T0_E_clISt17integral_constantIbLb0EES13_EEDaSY_SZ_EUlSY_E_NS1_11comp_targetILNS1_3genE10ELNS1_11target_archE1201ELNS1_3gpuE5ELNS1_3repE0EEENS1_30default_config_static_selectorELNS0_4arch9wavefront6targetE1EEEvT1_
	.globl	_ZN7rocprim17ROCPRIM_400000_NS6detail17trampoline_kernelINS0_14default_configENS1_27scan_by_key_config_selectorIj11FixedVectorIiLj8EEEEZZNS1_16scan_by_key_implILNS1_25lookback_scan_determinismE0ELb1ES3_N6thrust23THRUST_200600_302600_NS6detail15normal_iteratorINSB_10device_ptrIjEEEENSD_INSE_IS6_EEEESI_S6_NSB_4plusIvEENSB_8equal_toIvEES6_EE10hipError_tPvRmT2_T3_T4_T5_mT6_T7_P12ihipStream_tbENKUlT_T0_E_clISt17integral_constantIbLb0EES13_EEDaSY_SZ_EUlSY_E_NS1_11comp_targetILNS1_3genE10ELNS1_11target_archE1201ELNS1_3gpuE5ELNS1_3repE0EEENS1_30default_config_static_selectorELNS0_4arch9wavefront6targetE1EEEvT1_
	.p2align	8
	.type	_ZN7rocprim17ROCPRIM_400000_NS6detail17trampoline_kernelINS0_14default_configENS1_27scan_by_key_config_selectorIj11FixedVectorIiLj8EEEEZZNS1_16scan_by_key_implILNS1_25lookback_scan_determinismE0ELb1ES3_N6thrust23THRUST_200600_302600_NS6detail15normal_iteratorINSB_10device_ptrIjEEEENSD_INSE_IS6_EEEESI_S6_NSB_4plusIvEENSB_8equal_toIvEES6_EE10hipError_tPvRmT2_T3_T4_T5_mT6_T7_P12ihipStream_tbENKUlT_T0_E_clISt17integral_constantIbLb0EES13_EEDaSY_SZ_EUlSY_E_NS1_11comp_targetILNS1_3genE10ELNS1_11target_archE1201ELNS1_3gpuE5ELNS1_3repE0EEENS1_30default_config_static_selectorELNS0_4arch9wavefront6targetE1EEEvT1_,@function
_ZN7rocprim17ROCPRIM_400000_NS6detail17trampoline_kernelINS0_14default_configENS1_27scan_by_key_config_selectorIj11FixedVectorIiLj8EEEEZZNS1_16scan_by_key_implILNS1_25lookback_scan_determinismE0ELb1ES3_N6thrust23THRUST_200600_302600_NS6detail15normal_iteratorINSB_10device_ptrIjEEEENSD_INSE_IS6_EEEESI_S6_NSB_4plusIvEENSB_8equal_toIvEES6_EE10hipError_tPvRmT2_T3_T4_T5_mT6_T7_P12ihipStream_tbENKUlT_T0_E_clISt17integral_constantIbLb0EES13_EEDaSY_SZ_EUlSY_E_NS1_11comp_targetILNS1_3genE10ELNS1_11target_archE1201ELNS1_3gpuE5ELNS1_3repE0EEENS1_30default_config_static_selectorELNS0_4arch9wavefront6targetE1EEEvT1_: ; @_ZN7rocprim17ROCPRIM_400000_NS6detail17trampoline_kernelINS0_14default_configENS1_27scan_by_key_config_selectorIj11FixedVectorIiLj8EEEEZZNS1_16scan_by_key_implILNS1_25lookback_scan_determinismE0ELb1ES3_N6thrust23THRUST_200600_302600_NS6detail15normal_iteratorINSB_10device_ptrIjEEEENSD_INSE_IS6_EEEESI_S6_NSB_4plusIvEENSB_8equal_toIvEES6_EE10hipError_tPvRmT2_T3_T4_T5_mT6_T7_P12ihipStream_tbENKUlT_T0_E_clISt17integral_constantIbLb0EES13_EEDaSY_SZ_EUlSY_E_NS1_11comp_targetILNS1_3genE10ELNS1_11target_archE1201ELNS1_3gpuE5ELNS1_3repE0EEENS1_30default_config_static_selectorELNS0_4arch9wavefront6targetE1EEEvT1_
; %bb.0:
	.section	.rodata,"a",@progbits
	.p2align	6, 0x0
	.amdhsa_kernel _ZN7rocprim17ROCPRIM_400000_NS6detail17trampoline_kernelINS0_14default_configENS1_27scan_by_key_config_selectorIj11FixedVectorIiLj8EEEEZZNS1_16scan_by_key_implILNS1_25lookback_scan_determinismE0ELb1ES3_N6thrust23THRUST_200600_302600_NS6detail15normal_iteratorINSB_10device_ptrIjEEEENSD_INSE_IS6_EEEESI_S6_NSB_4plusIvEENSB_8equal_toIvEES6_EE10hipError_tPvRmT2_T3_T4_T5_mT6_T7_P12ihipStream_tbENKUlT_T0_E_clISt17integral_constantIbLb0EES13_EEDaSY_SZ_EUlSY_E_NS1_11comp_targetILNS1_3genE10ELNS1_11target_archE1201ELNS1_3gpuE5ELNS1_3repE0EEENS1_30default_config_static_selectorELNS0_4arch9wavefront6targetE1EEEvT1_
		.amdhsa_group_segment_fixed_size 0
		.amdhsa_private_segment_fixed_size 0
		.amdhsa_kernarg_size 160
		.amdhsa_user_sgpr_count 2
		.amdhsa_user_sgpr_dispatch_ptr 0
		.amdhsa_user_sgpr_queue_ptr 0
		.amdhsa_user_sgpr_kernarg_segment_ptr 1
		.amdhsa_user_sgpr_dispatch_id 0
		.amdhsa_user_sgpr_kernarg_preload_length 0
		.amdhsa_user_sgpr_kernarg_preload_offset 0
		.amdhsa_user_sgpr_private_segment_size 0
		.amdhsa_uses_dynamic_stack 0
		.amdhsa_enable_private_segment 0
		.amdhsa_system_sgpr_workgroup_id_x 1
		.amdhsa_system_sgpr_workgroup_id_y 0
		.amdhsa_system_sgpr_workgroup_id_z 0
		.amdhsa_system_sgpr_workgroup_info 0
		.amdhsa_system_vgpr_workitem_id 0
		.amdhsa_next_free_vgpr 1
		.amdhsa_next_free_sgpr 0
		.amdhsa_accum_offset 4
		.amdhsa_reserve_vcc 0
		.amdhsa_float_round_mode_32 0
		.amdhsa_float_round_mode_16_64 0
		.amdhsa_float_denorm_mode_32 3
		.amdhsa_float_denorm_mode_16_64 3
		.amdhsa_dx10_clamp 1
		.amdhsa_ieee_mode 1
		.amdhsa_fp16_overflow 0
		.amdhsa_tg_split 0
		.amdhsa_exception_fp_ieee_invalid_op 0
		.amdhsa_exception_fp_denorm_src 0
		.amdhsa_exception_fp_ieee_div_zero 0
		.amdhsa_exception_fp_ieee_overflow 0
		.amdhsa_exception_fp_ieee_underflow 0
		.amdhsa_exception_fp_ieee_inexact 0
		.amdhsa_exception_int_div_zero 0
	.end_amdhsa_kernel
	.section	.text._ZN7rocprim17ROCPRIM_400000_NS6detail17trampoline_kernelINS0_14default_configENS1_27scan_by_key_config_selectorIj11FixedVectorIiLj8EEEEZZNS1_16scan_by_key_implILNS1_25lookback_scan_determinismE0ELb1ES3_N6thrust23THRUST_200600_302600_NS6detail15normal_iteratorINSB_10device_ptrIjEEEENSD_INSE_IS6_EEEESI_S6_NSB_4plusIvEENSB_8equal_toIvEES6_EE10hipError_tPvRmT2_T3_T4_T5_mT6_T7_P12ihipStream_tbENKUlT_T0_E_clISt17integral_constantIbLb0EES13_EEDaSY_SZ_EUlSY_E_NS1_11comp_targetILNS1_3genE10ELNS1_11target_archE1201ELNS1_3gpuE5ELNS1_3repE0EEENS1_30default_config_static_selectorELNS0_4arch9wavefront6targetE1EEEvT1_,"axG",@progbits,_ZN7rocprim17ROCPRIM_400000_NS6detail17trampoline_kernelINS0_14default_configENS1_27scan_by_key_config_selectorIj11FixedVectorIiLj8EEEEZZNS1_16scan_by_key_implILNS1_25lookback_scan_determinismE0ELb1ES3_N6thrust23THRUST_200600_302600_NS6detail15normal_iteratorINSB_10device_ptrIjEEEENSD_INSE_IS6_EEEESI_S6_NSB_4plusIvEENSB_8equal_toIvEES6_EE10hipError_tPvRmT2_T3_T4_T5_mT6_T7_P12ihipStream_tbENKUlT_T0_E_clISt17integral_constantIbLb0EES13_EEDaSY_SZ_EUlSY_E_NS1_11comp_targetILNS1_3genE10ELNS1_11target_archE1201ELNS1_3gpuE5ELNS1_3repE0EEENS1_30default_config_static_selectorELNS0_4arch9wavefront6targetE1EEEvT1_,comdat
.Lfunc_end2159:
	.size	_ZN7rocprim17ROCPRIM_400000_NS6detail17trampoline_kernelINS0_14default_configENS1_27scan_by_key_config_selectorIj11FixedVectorIiLj8EEEEZZNS1_16scan_by_key_implILNS1_25lookback_scan_determinismE0ELb1ES3_N6thrust23THRUST_200600_302600_NS6detail15normal_iteratorINSB_10device_ptrIjEEEENSD_INSE_IS6_EEEESI_S6_NSB_4plusIvEENSB_8equal_toIvEES6_EE10hipError_tPvRmT2_T3_T4_T5_mT6_T7_P12ihipStream_tbENKUlT_T0_E_clISt17integral_constantIbLb0EES13_EEDaSY_SZ_EUlSY_E_NS1_11comp_targetILNS1_3genE10ELNS1_11target_archE1201ELNS1_3gpuE5ELNS1_3repE0EEENS1_30default_config_static_selectorELNS0_4arch9wavefront6targetE1EEEvT1_, .Lfunc_end2159-_ZN7rocprim17ROCPRIM_400000_NS6detail17trampoline_kernelINS0_14default_configENS1_27scan_by_key_config_selectorIj11FixedVectorIiLj8EEEEZZNS1_16scan_by_key_implILNS1_25lookback_scan_determinismE0ELb1ES3_N6thrust23THRUST_200600_302600_NS6detail15normal_iteratorINSB_10device_ptrIjEEEENSD_INSE_IS6_EEEESI_S6_NSB_4plusIvEENSB_8equal_toIvEES6_EE10hipError_tPvRmT2_T3_T4_T5_mT6_T7_P12ihipStream_tbENKUlT_T0_E_clISt17integral_constantIbLb0EES13_EEDaSY_SZ_EUlSY_E_NS1_11comp_targetILNS1_3genE10ELNS1_11target_archE1201ELNS1_3gpuE5ELNS1_3repE0EEENS1_30default_config_static_selectorELNS0_4arch9wavefront6targetE1EEEvT1_
                                        ; -- End function
	.section	.AMDGPU.csdata,"",@progbits
; Kernel info:
; codeLenInByte = 0
; NumSgprs: 6
; NumVgprs: 0
; NumAgprs: 0
; TotalNumVgprs: 0
; ScratchSize: 0
; MemoryBound: 0
; FloatMode: 240
; IeeeMode: 1
; LDSByteSize: 0 bytes/workgroup (compile time only)
; SGPRBlocks: 0
; VGPRBlocks: 0
; NumSGPRsForWavesPerEU: 6
; NumVGPRsForWavesPerEU: 1
; AccumOffset: 4
; Occupancy: 8
; WaveLimiterHint : 0
; COMPUTE_PGM_RSRC2:SCRATCH_EN: 0
; COMPUTE_PGM_RSRC2:USER_SGPR: 2
; COMPUTE_PGM_RSRC2:TRAP_HANDLER: 0
; COMPUTE_PGM_RSRC2:TGID_X_EN: 1
; COMPUTE_PGM_RSRC2:TGID_Y_EN: 0
; COMPUTE_PGM_RSRC2:TGID_Z_EN: 0
; COMPUTE_PGM_RSRC2:TIDIG_COMP_CNT: 0
; COMPUTE_PGM_RSRC3_GFX90A:ACCUM_OFFSET: 0
; COMPUTE_PGM_RSRC3_GFX90A:TG_SPLIT: 0
	.section	.text._ZN7rocprim17ROCPRIM_400000_NS6detail17trampoline_kernelINS0_14default_configENS1_27scan_by_key_config_selectorIj11FixedVectorIiLj8EEEEZZNS1_16scan_by_key_implILNS1_25lookback_scan_determinismE0ELb1ES3_N6thrust23THRUST_200600_302600_NS6detail15normal_iteratorINSB_10device_ptrIjEEEENSD_INSE_IS6_EEEESI_S6_NSB_4plusIvEENSB_8equal_toIvEES6_EE10hipError_tPvRmT2_T3_T4_T5_mT6_T7_P12ihipStream_tbENKUlT_T0_E_clISt17integral_constantIbLb0EES13_EEDaSY_SZ_EUlSY_E_NS1_11comp_targetILNS1_3genE5ELNS1_11target_archE942ELNS1_3gpuE9ELNS1_3repE0EEENS1_30default_config_static_selectorELNS0_4arch9wavefront6targetE1EEEvT1_,"axG",@progbits,_ZN7rocprim17ROCPRIM_400000_NS6detail17trampoline_kernelINS0_14default_configENS1_27scan_by_key_config_selectorIj11FixedVectorIiLj8EEEEZZNS1_16scan_by_key_implILNS1_25lookback_scan_determinismE0ELb1ES3_N6thrust23THRUST_200600_302600_NS6detail15normal_iteratorINSB_10device_ptrIjEEEENSD_INSE_IS6_EEEESI_S6_NSB_4plusIvEENSB_8equal_toIvEES6_EE10hipError_tPvRmT2_T3_T4_T5_mT6_T7_P12ihipStream_tbENKUlT_T0_E_clISt17integral_constantIbLb0EES13_EEDaSY_SZ_EUlSY_E_NS1_11comp_targetILNS1_3genE5ELNS1_11target_archE942ELNS1_3gpuE9ELNS1_3repE0EEENS1_30default_config_static_selectorELNS0_4arch9wavefront6targetE1EEEvT1_,comdat
	.protected	_ZN7rocprim17ROCPRIM_400000_NS6detail17trampoline_kernelINS0_14default_configENS1_27scan_by_key_config_selectorIj11FixedVectorIiLj8EEEEZZNS1_16scan_by_key_implILNS1_25lookback_scan_determinismE0ELb1ES3_N6thrust23THRUST_200600_302600_NS6detail15normal_iteratorINSB_10device_ptrIjEEEENSD_INSE_IS6_EEEESI_S6_NSB_4plusIvEENSB_8equal_toIvEES6_EE10hipError_tPvRmT2_T3_T4_T5_mT6_T7_P12ihipStream_tbENKUlT_T0_E_clISt17integral_constantIbLb0EES13_EEDaSY_SZ_EUlSY_E_NS1_11comp_targetILNS1_3genE5ELNS1_11target_archE942ELNS1_3gpuE9ELNS1_3repE0EEENS1_30default_config_static_selectorELNS0_4arch9wavefront6targetE1EEEvT1_ ; -- Begin function _ZN7rocprim17ROCPRIM_400000_NS6detail17trampoline_kernelINS0_14default_configENS1_27scan_by_key_config_selectorIj11FixedVectorIiLj8EEEEZZNS1_16scan_by_key_implILNS1_25lookback_scan_determinismE0ELb1ES3_N6thrust23THRUST_200600_302600_NS6detail15normal_iteratorINSB_10device_ptrIjEEEENSD_INSE_IS6_EEEESI_S6_NSB_4plusIvEENSB_8equal_toIvEES6_EE10hipError_tPvRmT2_T3_T4_T5_mT6_T7_P12ihipStream_tbENKUlT_T0_E_clISt17integral_constantIbLb0EES13_EEDaSY_SZ_EUlSY_E_NS1_11comp_targetILNS1_3genE5ELNS1_11target_archE942ELNS1_3gpuE9ELNS1_3repE0EEENS1_30default_config_static_selectorELNS0_4arch9wavefront6targetE1EEEvT1_
	.globl	_ZN7rocprim17ROCPRIM_400000_NS6detail17trampoline_kernelINS0_14default_configENS1_27scan_by_key_config_selectorIj11FixedVectorIiLj8EEEEZZNS1_16scan_by_key_implILNS1_25lookback_scan_determinismE0ELb1ES3_N6thrust23THRUST_200600_302600_NS6detail15normal_iteratorINSB_10device_ptrIjEEEENSD_INSE_IS6_EEEESI_S6_NSB_4plusIvEENSB_8equal_toIvEES6_EE10hipError_tPvRmT2_T3_T4_T5_mT6_T7_P12ihipStream_tbENKUlT_T0_E_clISt17integral_constantIbLb0EES13_EEDaSY_SZ_EUlSY_E_NS1_11comp_targetILNS1_3genE5ELNS1_11target_archE942ELNS1_3gpuE9ELNS1_3repE0EEENS1_30default_config_static_selectorELNS0_4arch9wavefront6targetE1EEEvT1_
	.p2align	8
	.type	_ZN7rocprim17ROCPRIM_400000_NS6detail17trampoline_kernelINS0_14default_configENS1_27scan_by_key_config_selectorIj11FixedVectorIiLj8EEEEZZNS1_16scan_by_key_implILNS1_25lookback_scan_determinismE0ELb1ES3_N6thrust23THRUST_200600_302600_NS6detail15normal_iteratorINSB_10device_ptrIjEEEENSD_INSE_IS6_EEEESI_S6_NSB_4plusIvEENSB_8equal_toIvEES6_EE10hipError_tPvRmT2_T3_T4_T5_mT6_T7_P12ihipStream_tbENKUlT_T0_E_clISt17integral_constantIbLb0EES13_EEDaSY_SZ_EUlSY_E_NS1_11comp_targetILNS1_3genE5ELNS1_11target_archE942ELNS1_3gpuE9ELNS1_3repE0EEENS1_30default_config_static_selectorELNS0_4arch9wavefront6targetE1EEEvT1_,@function
_ZN7rocprim17ROCPRIM_400000_NS6detail17trampoline_kernelINS0_14default_configENS1_27scan_by_key_config_selectorIj11FixedVectorIiLj8EEEEZZNS1_16scan_by_key_implILNS1_25lookback_scan_determinismE0ELb1ES3_N6thrust23THRUST_200600_302600_NS6detail15normal_iteratorINSB_10device_ptrIjEEEENSD_INSE_IS6_EEEESI_S6_NSB_4plusIvEENSB_8equal_toIvEES6_EE10hipError_tPvRmT2_T3_T4_T5_mT6_T7_P12ihipStream_tbENKUlT_T0_E_clISt17integral_constantIbLb0EES13_EEDaSY_SZ_EUlSY_E_NS1_11comp_targetILNS1_3genE5ELNS1_11target_archE942ELNS1_3gpuE9ELNS1_3repE0EEENS1_30default_config_static_selectorELNS0_4arch9wavefront6targetE1EEEvT1_: ; @_ZN7rocprim17ROCPRIM_400000_NS6detail17trampoline_kernelINS0_14default_configENS1_27scan_by_key_config_selectorIj11FixedVectorIiLj8EEEEZZNS1_16scan_by_key_implILNS1_25lookback_scan_determinismE0ELb1ES3_N6thrust23THRUST_200600_302600_NS6detail15normal_iteratorINSB_10device_ptrIjEEEENSD_INSE_IS6_EEEESI_S6_NSB_4plusIvEENSB_8equal_toIvEES6_EE10hipError_tPvRmT2_T3_T4_T5_mT6_T7_P12ihipStream_tbENKUlT_T0_E_clISt17integral_constantIbLb0EES13_EEDaSY_SZ_EUlSY_E_NS1_11comp_targetILNS1_3genE5ELNS1_11target_archE942ELNS1_3gpuE9ELNS1_3repE0EEENS1_30default_config_static_selectorELNS0_4arch9wavefront6targetE1EEEvT1_
; %bb.0:
	s_load_dwordx8 s[20:27], s[2:3], 0x0
	s_load_dwordx8 s[36:43], s[2:3], 0x20
	;; [unrolled: 1-line block ×3, first 2 shown]
	s_load_dwordx2 s[30:31], s[2:3], 0x68
	s_load_dword s5, s[2:3], 0x70
	s_load_dwordx4 s[8:11], s[2:3], 0x78
	s_load_dwordx2 s[34:35], s[0:1], 0x4
	s_mov_b32 s0, 0
	v_and_b32_e32 v16, 0x3ff, v0
	v_bfe_u32 v14, v0, 20, 10
	v_bfe_u32 v0, v0, 10, 10
	s_mov_b32 s2, s0
	s_mov_b32 s3, s0
	s_waitcnt lgkmcnt(0)
	v_mul_u32_u24_e32 v15, s35, v0
	v_mov_b32_e32 v0, 0
	s_mov_b32 s1, s0
	v_mov_b64_e32 v[4:5], s[2:3]
	v_mov_b64_e32 v[2:3], s[0:1]
	v_mov_b32_e32 v1, v0
	s_barrier
	scratch_store_dword off, v0, off offset:304
	scratch_store_dwordx4 off, v[2:5], off offset:288
	scratch_store_dwordx4 off, v[2:5], off offset:272
.LBB2160_1:                             ; =>This Inner Loop Header: Depth=1
	s_add_i32 s1, s0, 0x110
	s_add_i32 s0, s0, 8
	s_cmp_lg_u32 s0, 32
	scratch_store_dwordx2 off, v[0:1], s1
	s_cbranch_scc1 .LBB2160_1
; %bb.2:
	s_mov_b32 s44, 0
	s_mov_b32 s45, s44
	v_mov_b32_e32 v0, 0
	v_mov_b32_e32 v1, 0x110
	s_mov_b32 s46, s44
	s_mov_b32 s47, s44
	v_mov_b64_e32 v[2:3], s[44:45]
	s_mov_b32 s0, 36
	v_add_u32_e32 v20, 36, v1
	v_mov_b64_e32 v[4:5], s[46:47]
	v_mov_b32_e32 v1, v0
	scratch_store_byte off, v0, off offset:304
	scratch_store_dword off, v0, off offset:340
	scratch_store_dwordx4 off, v[2:5], off offset:308
	scratch_store_dwordx4 off, v[2:5], off offset:324
.LBB2160_3:                             ; =>This Inner Loop Header: Depth=1
	s_add_i32 s1, s0, 0x110
	s_add_i32 s0, s0, 8
	s_cmpk_lg_i32 s0, 0x44
	scratch_store_dwordx2 off, v[0:1], s1
	s_cbranch_scc1 .LBB2160_3
; %bb.4:
	s_mov_b32 s44, 0
	s_mov_b32 s45, s44
	v_mov_b32_e32 v0, 0
	v_mov_b32_e32 v1, 0x110
	s_mov_b32 s46, s44
	s_mov_b32 s47, s44
	v_mov_b64_e32 v[2:3], s[44:45]
	s_movk_i32 s0, 0x48
	v_add_u32_e32 v21, 0x48, v1
	v_mov_b64_e32 v[4:5], s[46:47]
	v_mov_b32_e32 v1, v0
	scratch_store_byte off, v0, off offset:340
	scratch_store_dword off, v0, off offset:376
	scratch_store_dwordx4 off, v[2:5], off offset:344
	scratch_store_dwordx4 off, v[2:5], off offset:360
.LBB2160_5:                             ; =>This Inner Loop Header: Depth=1
	s_add_i32 s1, s0, 0x110
	s_add_i32 s0, s0, 8
	s_cmpk_lg_i32 s0, 0x68
	scratch_store_dwordx2 off, v[0:1], s1
	s_cbranch_scc1 .LBB2160_5
; %bb.6:
	v_mov_b32_e32 v0, 0
	v_mov_b32_e32 v2, s36
	;; [unrolled: 1-line block ×5, first 2 shown]
	s_mov_b32 s0, 0
	scratch_store_dwordx4 off, v[2:5], off offset:96
	v_mov_b32_e32 v1, v0
	scratch_store_byte off, v0, off offset:376
	v_mov_b32_e32 v2, s40
	v_mov_b32_e32 v3, s41
	;; [unrolled: 1-line block ×4, first 2 shown]
	scratch_store_dwordx4 off, v[2:5], off offset:112
.LBB2160_7:                             ; =>This Inner Loop Header: Depth=1
	s_add_i32 s1, s0, 0
	s_add_i32 s0, s0, 8
	s_cmp_lg_u32 s0, 32
	scratch_store_dwordx2 off, v[0:1], s1
	s_cbranch_scc1 .LBB2160_7
; %bb.8:
	v_mov_b32_e32 v0, 0
	s_mov_b32 s0, 32
	v_mov_b32_e32 v1, v0
.LBB2160_9:                             ; =>This Inner Loop Header: Depth=1
	s_add_i32 s1, s0, 0
	s_add_i32 s0, s0, 8
	s_cmp_lg_u32 s0, 64
	scratch_store_dwordx2 off, v[0:1], s1
	s_cbranch_scc1 .LBB2160_9
; %bb.10:
	v_mov_b32_e32 v0, 0
	s_mov_b32 s0, 64
	v_mov_b32_e32 v1, v0
.LBB2160_11:                            ; =>This Inner Loop Header: Depth=1
	s_add_i32 s1, s0, 0
	s_add_i32 s0, s0, 8
	s_cmpk_lg_i32 s0, 0x60
	scratch_store_dwordx2 off, v[0:1], s1
	s_cbranch_scc1 .LBB2160_11
; %bb.12:
	s_lshl_b64 s[0:1], s[22:23], 2
	s_add_u32 s6, s20, s0
	s_addc_u32 s7, s21, s1
	s_lshl_b64 s[28:29], s[22:23], 5
	s_add_u32 s19, s24, s28
	s_mul_i32 s1, s31, s5
	s_mul_hi_u32 s2, s30, s5
	s_addc_u32 s21, s25, s29
	s_mul_i32 s0, s4, 0x300
	s_add_i32 s33, s2, s1
	s_mov_b32 s1, 0
	s_lshl_b64 s[2:3], s[0:1], 2
	s_add_u32 s22, s6, s2
	s_addc_u32 s23, s7, s3
	s_lshl_b64 s[24:25], s[0:1], 5
	s_add_u32 s20, s19, s24
	s_mul_i32 s5, s30, s5
	s_addc_u32 s21, s21, s25
	s_add_u32 s0, s5, s4
	s_addc_u32 s1, s33, 0
	s_add_u32 s2, s8, -1
	v_mov_b32_e32 v0, 0
	s_addc_u32 s3, s9, -1
	v_add_u32_e32 v4, 64, v0
	v_add_u32_e32 v5, 32, v0
	v_mov_b64_e32 v[0:1], s[2:3]
	v_cmp_ge_u64_e64 s[0:1], s[0:1], v[0:1]
	s_mov_b64 s[6:7], -1
	s_and_b64 vcc, exec, s[0:1]
	s_mul_i32 s19, s2, 0xfffffd00
	s_cbranch_vccz .LBB2160_32
; %bb.13:
	v_mov_b64_e32 v[0:1], s[22:23]
	flat_load_dword v0, v[0:1]
	s_add_i32 s5, s19, s18
	v_cmp_gt_u32_e32 vcc, s5, v16
	s_waitcnt vmcnt(0) lgkmcnt(0)
	v_mov_b32_e32 v1, v0
	s_and_saveexec_b64 s[2:3], vcc
	s_cbranch_execz .LBB2160_15
; %bb.14:
	v_lshlrev_b32_e32 v2, 2, v16
	v_mov_b32_e32 v3, 0
	v_lshl_add_u64 v[2:3], s[22:23], 0, v[2:3]
	flat_load_dword v1, v[2:3]
.LBB2160_15:
	s_or_b64 exec, exec, s[2:3]
	v_or_b32_e32 v6, 0x100, v16
	v_cmp_gt_u32_e64 s[2:3], s5, v6
	v_mov_b32_e32 v2, v0
	s_and_saveexec_b64 s[6:7], s[2:3]
	s_cbranch_execz .LBB2160_17
; %bb.16:
	v_lshlrev_b32_e32 v2, 2, v16
	v_mov_b32_e32 v3, 0
	v_lshl_add_u64 v[2:3], s[22:23], 0, v[2:3]
	flat_load_dword v2, v[2:3] offset:1024
.LBB2160_17:
	s_or_b64 exec, exec, s[6:7]
	v_or_b32_e32 v7, 0x200, v16
	v_cmp_gt_u32_e64 s[6:7], s5, v7
	v_cmp_le_u32_e64 s[8:9], s5, v7
	s_and_saveexec_b64 s[44:45], s[8:9]
	s_xor_b64 s[8:9], exec, s[44:45]
; %bb.18:
	v_mov_b32_e32 v17, 0
; %bb.19:
	s_andn2_saveexec_b64 s[8:9], s[8:9]
	s_cbranch_execz .LBB2160_21
; %bb.20:
	v_mov_b32_e32 v17, 0
	v_lshlrev_b32_e32 v8, 2, v16
	v_mov_b32_e32 v9, v17
	v_lshl_add_u64 v[8:9], s[22:23], 0, v[8:9]
	flat_load_dword v0, v[8:9] offset:2048
.LBB2160_21:
	s_or_b64 exec, exec, s[8:9]
	v_lshlrev_b32_e32 v8, 2, v16
	s_waitcnt vmcnt(0) lgkmcnt(0)
	ds_write2st64_b32 v8, v1, v2 offset1:4
	ds_write_b32 v8, v0 offset:2048
	v_mov_b64_e32 v[0:1], s[22:23]
	s_waitcnt lgkmcnt(0)
	s_barrier
	flat_load_dword v2, v[0:1]
	v_lshl_add_u32 v0, v16, 3, v8
	ds_read_b32 v3, v0
	ds_read2_b32 v[0:1], v0 offset0:1 offset1:2
	s_movk_i32 s8, 0xff
	v_cmp_ne_u32_e64 s[8:9], s8, v16
	s_waitcnt lgkmcnt(0)
	ds_write_b32 v8, v3 offset:4096
	s_waitcnt lgkmcnt(0)
	s_barrier
	s_and_saveexec_b64 s[44:45], s[8:9]
	s_cbranch_execz .LBB2160_23
; %bb.22:
	s_waitcnt vmcnt(0)
	ds_read_b32 v2, v8 offset:4100
.LBB2160_23:
	s_or_b64 exec, exec, s[44:45]
	s_waitcnt lgkmcnt(0)
	s_barrier
	s_and_saveexec_b64 s[8:9], vcc
	s_cbranch_execnz .LBB2160_434
; %bb.24:
	s_or_b64 exec, exec, s[8:9]
	s_and_saveexec_b64 s[8:9], s[2:3]
	s_cbranch_execnz .LBB2160_435
.LBB2160_25:
	s_or_b64 exec, exec, s[8:9]
	v_mul_u32_u24_e32 v6, 3, v16
	s_and_saveexec_b64 s[2:3], s[6:7]
	s_cbranch_execz .LBB2160_27
.LBB2160_26:
	v_lshlrev_b32_e32 v10, 5, v7
	v_mov_b32_e32 v11, 0
	v_lshl_add_u64 v[18:19], s[20:21], 0, v[10:11]
	flat_load_dwordx4 v[10:13], v[18:19]
	flat_load_dwordx4 v[22:25], v[18:19] offset:16
	s_waitcnt vmcnt(0) lgkmcnt(0)
	scratch_store_dwordx4 off, v[10:13], off offset:64
	scratch_store_dwordx4 off, v[22:25], off offset:80
.LBB2160_27:
	s_or_b64 exec, exec, s[2:3]
	scratch_load_dwordx4 v[10:13], off, off
	scratch_load_dwordx4 v[22:25], off, off offset:16
	scratch_load_dwordx4 v[26:29], v5, off
	scratch_load_dwordx4 v[30:33], v5, off offset:16
	scratch_load_dwordx4 v[34:37], v4, off
	scratch_load_dwordx4 v[38:41], v4, off offset:16
	v_mad_u32_u24 v7, v16, 28, v8
	v_lshl_add_u32 v17, v16, 6, v7
	v_cmp_gt_u32_e32 vcc, s5, v6
	s_mov_b64 s[6:7], 0
	s_mov_b64 s[44:45], 0
                                        ; implicit-def: $sgpr2_sgpr3
	s_waitcnt vmcnt(0)
	ds_write_b128 v7, v[10:13]
	ds_write_b128 v7, v[22:25] offset:16
	ds_write_b128 v7, v[26:29] offset:8192
	;; [unrolled: 1-line block ×5, first 2 shown]
	s_waitcnt lgkmcnt(0)
	s_barrier
	ds_read_b128 v[8:11], v17
	ds_read_b128 v[22:25], v17 offset:16
	ds_read_b128 v[26:29], v17 offset:32
	ds_read_b128 v[30:33], v17 offset:48
	ds_read_b128 v[34:37], v17 offset:64
	ds_read_b128 v[38:41], v17 offset:80
	s_waitcnt lgkmcnt(5)
	scratch_store_dwordx4 off, v[8:11], off
	s_waitcnt lgkmcnt(4)
	scratch_store_dwordx4 off, v[22:25], off offset:16
	s_waitcnt lgkmcnt(3)
	scratch_store_dwordx4 v5, v[26:29], off
	s_waitcnt lgkmcnt(2)
	scratch_store_dwordx4 v5, v[30:33], off offset:16
	s_waitcnt lgkmcnt(1)
	scratch_store_dwordx4 v4, v[34:37], off
	s_waitcnt lgkmcnt(0)
	scratch_store_dwordx4 v4, v[38:41], off offset:16
	s_and_saveexec_b64 s[8:9], vcc
	s_cbranch_execz .LBB2160_31
; %bb.28:
	v_cmp_ne_u32_e32 vcc, v3, v0
	v_mov_b32_e32 v3, 0x60
	v_mov_b32_e32 v8, 0
	v_cndmask_b32_e32 v12, v8, v3, vcc
	scratch_load_dwordx4 v[8:11], v12, off
	scratch_load_dwordx4 v[22:25], v12, off offset:16
	v_add_u32_e32 v12, 1, v6
	v_cndmask_b32_e64 v7, 0, 1, vcc
	v_cmp_gt_u32_e32 vcc, s5, v12
	s_mov_b64 s[46:47], 0
	scratch_store_byte off, v7, off offset:304
                                        ; implicit-def: $sgpr48_sgpr49
	s_waitcnt vmcnt(2)
	scratch_store_dwordx4 off, v[8:11], off offset:272
	s_waitcnt vmcnt(2)
	scratch_store_dwordx4 off, v[22:25], off offset:288
	s_and_saveexec_b64 s[2:3], vcc
	s_xor_b64 s[44:45], exec, s[2:3]
	s_cbranch_execz .LBB2160_30
; %bb.29:
	v_cmp_ne_u32_e32 vcc, v0, v1
	s_nop 1
	v_cndmask_b32_e32 v3, v5, v3, vcc
	scratch_load_dwordx4 v[8:11], v3, off
	scratch_load_dwordx4 v[22:25], v3, off offset:16
	v_cndmask_b32_e64 v0, 0, 1, vcc
	v_cmp_ne_u32_e32 vcc, v1, v2
	v_add_u32_e32 v1, 2, v6
	v_cmp_gt_u32_e64 s[2:3], s5, v1
	scratch_store_byte off, v0, off offset:340
	s_and_b64 s[48:49], vcc, exec
	s_and_b64 s[46:47], s[2:3], exec
	s_waitcnt vmcnt(2)
	scratch_store_dwordx4 v20, v[8:11], off
	s_waitcnt vmcnt(2)
	scratch_store_dwordx4 v20, v[22:25], off offset:16
.LBB2160_30:
	s_or_b64 exec, exec, s[44:45]
	s_and_b64 s[2:3], s[48:49], exec
	s_and_b64 s[44:45], s[46:47], exec
.LBB2160_31:
	s_or_b64 exec, exec, s[8:9]
	s_and_b64 vcc, exec, s[6:7]
	s_cbranch_vccnz .LBB2160_33
	s_branch .LBB2160_36
.LBB2160_32:
	s_mov_b64 s[44:45], 0
                                        ; implicit-def: $sgpr2_sgpr3
	s_and_b64 vcc, exec, s[6:7]
	s_cbranch_vccz .LBB2160_36
.LBB2160_33:
	v_mov_b32_e32 v3, 0
	v_lshlrev_b32_e32 v2, 2, v16
	v_lshl_add_u64 v[0:1], s[22:23], 0, v[2:3]
	flat_load_dword v6, v[0:1]
	flat_load_dword v7, v[0:1] offset:1024
	flat_load_dword v8, v[0:1] offset:2048
	v_mov_b64_e32 v[0:1], s[22:23]
	s_movk_i32 s2, 0xff
	v_cmp_ne_u32_e32 vcc, s2, v16
	s_waitcnt vmcnt(0) lgkmcnt(0)
	ds_write2st64_b32 v2, v6, v7 offset1:4
	ds_write_b32 v2, v8 offset:2048
	s_waitcnt lgkmcnt(0)
	s_barrier
	flat_load_dword v6, v[0:1] offset:3072
	v_lshl_add_u32 v0, v16, 3, v2
	ds_read_b32 v7, v0
	ds_read2_b32 v[0:1], v0 offset0:1 offset1:2
	s_waitcnt lgkmcnt(0)
	ds_write_b32 v2, v7 offset:4096
	s_waitcnt lgkmcnt(0)
	s_barrier
	s_and_saveexec_b64 s[2:3], vcc
	s_cbranch_execz .LBB2160_35
; %bb.34:
	s_waitcnt vmcnt(0)
	ds_read_b32 v6, v2 offset:4100
.LBB2160_35:
	s_or_b64 exec, exec, s[2:3]
	v_lshlrev_b32_e32 v8, 5, v16
	v_mov_b32_e32 v9, v3
	v_lshl_add_u64 v[12:13], s[20:21], 0, v[8:9]
	s_waitcnt lgkmcnt(0)
	s_barrier
	flat_load_dwordx4 v[8:11], v[12:13]
	flat_load_dwordx4 v[22:25], v[12:13] offset:16
	s_movk_i32 s2, 0x2000
	v_add_co_u32_e32 v18, vcc, s2, v12
	s_movk_i32 s2, 0x4000
	s_nop 0
	v_addc_co_u32_e32 v19, vcc, 0, v13, vcc
	v_add_co_u32_e32 v12, vcc, s2, v12
	v_mad_u32_u24 v2, v16, 28, v2
	s_nop 0
	v_addc_co_u32_e32 v13, vcc, 0, v13, vcc
	v_cmp_ne_u32_e32 vcc, v7, v0
	v_mov_b32_e32 v7, 0x60
	v_cmp_ne_u32_e64 s[2:3], v0, v1
	v_cndmask_b32_e64 v3, 0, 1, vcc
	s_mov_b64 s[44:45], -1
	v_cndmask_b32_e64 v0, 0, 1, s[2:3]
	s_waitcnt vmcnt(0) lgkmcnt(0)
	scratch_store_dwordx4 off, v[8:11], off
	scratch_store_dwordx4 off, v[22:25], off offset:16
	flat_load_dwordx4 v[26:29], v[18:19]
	flat_load_dwordx4 v[30:33], v[18:19] offset:16
	s_waitcnt vmcnt(0) lgkmcnt(0)
	scratch_store_dwordx4 off, v[26:29], off offset:32
	scratch_store_dwordx4 off, v[30:33], off offset:48
	flat_load_dwordx4 v[26:29], v[12:13]
	s_nop 0
	flat_load_dwordx4 v[30:33], v[12:13] offset:16
	scratch_load_dwordx4 v[34:37], v5, off
	scratch_load_dwordx4 v[38:41], v5, off offset:16
	v_lshl_add_u32 v13, v16, 6, v2
	v_mov_b32_e32 v12, 0
	v_cndmask_b32_e32 v12, v12, v7, vcc
	s_waitcnt vmcnt(0) lgkmcnt(0)
	scratch_store_dwordx4 off, v[26:29], off offset:64
	scratch_store_dwordx4 off, v[30:33], off offset:80
	scratch_load_dwordx4 v[26:29], v4, off
	s_nop 0
	scratch_load_dwordx4 v[30:33], v4, off offset:16
	ds_write_b128 v2, v[8:11]
	ds_write_b128 v2, v[22:25] offset:16
	ds_write_b128 v2, v[34:37] offset:8192
	;; [unrolled: 1-line block ×3, first 2 shown]
	s_waitcnt vmcnt(1)
	ds_write_b128 v2, v[26:29] offset:16384
	s_waitcnt vmcnt(0)
	ds_write_b128 v2, v[30:33] offset:16400
	s_waitcnt lgkmcnt(0)
	s_barrier
	ds_read_b128 v[8:11], v13
	ds_read_b128 v[22:25], v13 offset:16
	ds_read_b128 v[26:29], v13 offset:32
	ds_read_b128 v[30:33], v13 offset:48
	s_waitcnt lgkmcnt(3)
	scratch_store_dwordx4 off, v[8:11], off
	s_waitcnt lgkmcnt(2)
	scratch_store_dwordx4 off, v[22:25], off offset:16
	s_waitcnt lgkmcnt(1)
	scratch_store_dwordx4 v5, v[26:29], off
	s_waitcnt lgkmcnt(0)
	scratch_store_dwordx4 v5, v[30:33], off offset:16
	v_cndmask_b32_e64 v2, v5, v7, s[2:3]
	scratch_load_dwordx4 v[8:11], v12, off offset:16
	scratch_load_dwordx4 v[22:25], v12, off
	scratch_load_dwordx4 v[26:29], v2, off offset:16
	scratch_load_dwordx4 v[30:33], v2, off
	ds_read_b128 v[34:37], v13 offset:64
	ds_read_b128 v[38:41], v13 offset:80
	v_cmp_ne_u32_e64 s[2:3], v1, v6
	scratch_store_byte off, v3, off offset:304
	scratch_store_byte off, v0, off offset:340
	s_waitcnt lgkmcnt(1)
	scratch_store_dwordx4 v4, v[34:37], off
	s_waitcnt lgkmcnt(0)
	scratch_store_dwordx4 v4, v[38:41], off offset:16
	s_waitcnt vmcnt(7)
	scratch_store_dwordx4 off, v[8:11], off offset:288
	s_waitcnt vmcnt(7)
	scratch_store_dwordx4 off, v[22:25], off offset:272
	s_waitcnt vmcnt(7)
	scratch_store_dwordx4 v20, v[26:29], off offset:16
	s_waitcnt vmcnt(7)
	scratch_store_dwordx4 v20, v[30:33], off
.LBB2160_36:
	s_and_saveexec_b64 s[6:7], s[44:45]
	s_cbranch_execz .LBB2160_38
; %bb.37:
	v_mov_b32_e32 v0, 0x60
	v_cndmask_b32_e64 v8, v4, v0, s[2:3]
	scratch_load_dwordx4 v[0:3], v8, off
	scratch_load_dwordx4 v[4:7], v8, off offset:16
	v_cndmask_b32_e64 v8, 0, 1, s[2:3]
	s_waitcnt vmcnt(1)
	scratch_store_dwordx4 v21, v[0:3], off
	s_waitcnt vmcnt(1)
	scratch_store_dwordx4 v21, v[4:7], off offset:16
	scratch_store_byte off, v8, off offset:376
.LBB2160_38:
	s_or_b64 exec, exec, s[6:7]
	s_cmp_lg_u32 s4, 0
	s_barrier
	s_cbranch_scc0 .LBB2160_305
; %bb.39:
	scratch_load_dwordx4 v[0:3], off, off offset:272
	scratch_load_dwordx4 v[4:7], off, off offset:288
	scratch_load_dword v8, off, off offset:304
	scratch_load_ubyte v9, off, off offset:340
	s_waitcnt vmcnt(3)
	scratch_store_dwordx4 off, v[0:3], off offset:204
	s_waitcnt vmcnt(3)
	scratch_store_dwordx4 off, v[4:7], off offset:220
	s_waitcnt vmcnt(3)
	scratch_store_dword off, v8, off offset:236
	s_waitcnt vmcnt(3)
	v_cmp_ne_u16_e32 vcc, 0, v9
                                        ; implicit-def: $vgpr6_vgpr7
                                        ; implicit-def: $vgpr2_vgpr3
	s_and_saveexec_b64 s[2:3], vcc
	s_xor_b64 s[2:3], exec, s[2:3]
	s_cbranch_execz .LBB2160_41
; %bb.40:
	scratch_load_dwordx4 v[0:3], off, off offset:308
	scratch_load_dwordx4 v[4:7], off, off offset:324
.LBB2160_41:
	s_andn2_saveexec_b64 s[2:3], s[2:3]
	s_cbranch_execz .LBB2160_47
; %bb.42:
	s_waitcnt vmcnt(1)
	v_mov_b32_e32 v0, 0
	s_mov_b32 s5, 0
	v_mov_b32_e32 v1, v0
.LBB2160_43:                            ; =>This Inner Loop Header: Depth=1
	s_add_i32 s6, s5, 0
	s_add_i32 s5, s5, 8
	s_cmp_lg_u32 s5, 32
	scratch_store_dwordx2 off, v[0:1], s6
	s_cbranch_scc1 .LBB2160_43
; %bb.44:
	s_mov_b32 s5, 0
.LBB2160_45:                            ; =>This Inner Loop Header: Depth=1
	s_add_i32 s6, s5, 0xcc
	s_waitcnt vmcnt(1)
	v_add_u32_e32 v4, s5, v20
	scratch_load_dwordx2 v[0:1], off, s6
	scratch_load_dwordx2 v[2:3], v4, off
	s_add_i32 s6, s5, 0
	s_add_i32 s5, s5, 8
	s_cmp_lg_u32 s5, 32
	s_waitcnt vmcnt(0)
	v_add_u32_e32 v1, v3, v1
	v_add_u32_e32 v0, v2, v0
	scratch_store_dwordx2 off, v[0:1], s6
	s_cbranch_scc1 .LBB2160_45
; %bb.46:
	scratch_load_dwordx4 v[0:3], off, off
	scratch_load_dwordx4 v[4:7], off, off offset:16
.LBB2160_47:
	s_or_b64 exec, exec, s[2:3]
	scratch_load_ubyte v10, off, off offset:376
	s_waitcnt vmcnt(2)
	scratch_store_dwordx4 off, v[0:3], off offset:204
	s_waitcnt vmcnt(2)
	scratch_store_dwordx4 off, v[4:7], off offset:220
                                        ; implicit-def: $vgpr6_vgpr7
                                        ; implicit-def: $vgpr2_vgpr3
	s_waitcnt vmcnt(2)
	v_cmp_ne_u16_e32 vcc, 0, v10
	s_and_saveexec_b64 s[2:3], vcc
	s_xor_b64 s[2:3], exec, s[2:3]
	s_cbranch_execz .LBB2160_49
; %bb.48:
	scratch_load_dwordx4 v[0:3], off, off offset:344
	scratch_load_dwordx4 v[4:7], off, off offset:360
.LBB2160_49:
	s_andn2_saveexec_b64 s[2:3], s[2:3]
	s_cbranch_execz .LBB2160_55
; %bb.50:
	s_waitcnt vmcnt(1)
	v_mov_b32_e32 v0, 0
	s_mov_b32 s5, 0
	v_mov_b32_e32 v1, v0
.LBB2160_51:                            ; =>This Inner Loop Header: Depth=1
	s_add_i32 s6, s5, 0
	s_add_i32 s5, s5, 8
	s_cmp_lg_u32 s5, 32
	scratch_store_dwordx2 off, v[0:1], s6
	s_cbranch_scc1 .LBB2160_51
; %bb.52:
	s_mov_b32 s5, 0
.LBB2160_53:                            ; =>This Inner Loop Header: Depth=1
	s_add_i32 s6, s5, 0xcc
	s_waitcnt vmcnt(1)
	v_add_u32_e32 v4, s5, v21
	scratch_load_dwordx2 v[0:1], off, s6
	scratch_load_dwordx2 v[2:3], v4, off
	s_add_i32 s6, s5, 0
	s_add_i32 s5, s5, 8
	s_cmp_lg_u32 s5, 32
	s_waitcnt vmcnt(0)
	v_add_u32_e32 v1, v3, v1
	v_add_u32_e32 v0, v2, v0
	scratch_store_dwordx2 off, v[0:1], s6
	s_cbranch_scc1 .LBB2160_53
; %bb.54:
	scratch_load_dwordx4 v[0:3], off, off
	scratch_load_dwordx4 v[4:7], off, off offset:16
.LBB2160_55:
	s_or_b64 exec, exec, s[2:3]
	v_or_b32_e32 v9, v10, v9
	v_or_b32_e32 v8, v9, v8
	v_and_b32_e32 v8, 1, v8
	scratch_store_byte off, v8, off offset:236
	scratch_load_dword v10, off, off offset:236
	v_mbcnt_lo_u32_b32 v8, -1, 0
	v_mbcnt_hi_u32_b32 v17, -1, v8
	v_and_b32_e32 v11, 15, v17
	s_waitcnt vmcnt(3)
	v_mov_b32_dpp v22, v0 row_shr:1 row_mask:0xf bank_mask:0xf
	v_mov_b32_dpp v23, v1 row_shr:1 row_mask:0xf bank_mask:0xf
	;; [unrolled: 1-line block ×4, first 2 shown]
	v_cmp_ne_u32_e32 vcc, 0, v11
	scratch_store_dwordx4 off, v[0:3], off offset:204
	s_waitcnt vmcnt(3)
	scratch_store_dwordx4 off, v[4:7], off offset:220
	v_mov_b32_dpp v26, v4 row_shr:1 row_mask:0xf bank_mask:0xf
	v_mov_b32_dpp v27, v5 row_shr:1 row_mask:0xf bank_mask:0xf
	;; [unrolled: 1-line block ×4, first 2 shown]
	scratch_store_dwordx4 off, v[22:25], off
	scratch_store_dwordx4 off, v[26:29], off offset:16
	s_waitcnt vmcnt(4)
	v_mov_b32_dpp v12, v10 row_shr:1 row_mask:0xf bank_mask:0xf
	scratch_store_dword off, v12, off offset:32
	s_and_saveexec_b64 s[2:3], vcc
	s_xor_b64 s[2:3], exec, s[2:3]
	s_cbranch_execz .LBB2160_63
; %bb.56:
	v_mov_b32_e32 v8, 0
	v_cmp_eq_u16_sdwa s[8:9], v10, v8 src0_sel:BYTE_0 src1_sel:DWORD
	s_and_saveexec_b64 s[6:7], s[8:9]
	s_cbranch_execz .LBB2160_62
; %bb.57:
	s_mov_b32 s5, 0
	v_mov_b32_e32 v9, v8
.LBB2160_58:                            ; =>This Inner Loop Header: Depth=1
	s_add_i32 s8, s5, 0x60
	s_add_i32 s5, s5, 8
	s_cmp_lg_u32 s5, 32
	scratch_store_dwordx2 off, v[8:9], s8
	s_cbranch_scc1 .LBB2160_58
; %bb.59:
	s_mov_b32 s5, 0
.LBB2160_60:                            ; =>This Inner Loop Header: Depth=1
	s_add_i32 s8, s5, 0
	s_add_i32 s9, s5, 0xcc
	scratch_load_dwordx2 v[0:1], off, s8
	scratch_load_dwordx2 v[2:3], off, s9
	s_add_i32 s8, s5, 0x60
	s_add_i32 s5, s5, 8
	s_cmp_lg_u32 s5, 32
	s_waitcnt vmcnt(0)
	v_add_u32_e32 v1, v3, v1
	v_add_u32_e32 v0, v2, v0
	scratch_store_dwordx2 off, v[0:1], s8
	s_cbranch_scc1 .LBB2160_60
; %bb.61:
	scratch_load_dwordx4 v[0:3], off, off offset:96
	scratch_load_dwordx4 v[4:7], off, off offset:112
.LBB2160_62:
	s_or_b64 exec, exec, s[6:7]
	v_or_b32_e32 v8, v12, v10
	v_and_b32_e32 v8, 1, v8
	scratch_store_byte off, v8, off offset:236
	scratch_load_dword v10, off, off offset:236
	s_waitcnt vmcnt(3)
	scratch_store_dwordx4 off, v[0:3], off offset:204
	s_waitcnt vmcnt(3)
	scratch_store_dwordx4 off, v[4:7], off offset:220
.LBB2160_63:
	s_or_b64 exec, exec, s[2:3]
	v_mov_b32_dpp v22, v0 row_shr:2 row_mask:0xf bank_mask:0xf
	v_mov_b32_dpp v23, v1 row_shr:2 row_mask:0xf bank_mask:0xf
	;; [unrolled: 1-line block ×4, first 2 shown]
	s_waitcnt vmcnt(2)
	v_mov_b32_dpp v12, v10 row_shr:2 row_mask:0xf bank_mask:0xf
	v_cmp_lt_u32_e32 vcc, 1, v11
	v_mov_b32_dpp v26, v4 row_shr:2 row_mask:0xf bank_mask:0xf
	v_mov_b32_dpp v27, v5 row_shr:2 row_mask:0xf bank_mask:0xf
	;; [unrolled: 1-line block ×4, first 2 shown]
	scratch_store_dwordx4 off, v[22:25], off
	scratch_store_dwordx4 off, v[26:29], off offset:16
	scratch_store_dword off, v12, off offset:32
	s_and_saveexec_b64 s[6:7], vcc
	s_cbranch_execz .LBB2160_71
; %bb.64:
	v_mov_b32_e32 v8, 0
	s_mov_b32 s5, 0
	v_cmp_eq_u16_sdwa s[8:9], v10, v8 src0_sel:BYTE_0 src1_sel:DWORD
	s_and_saveexec_b64 s[2:3], s[8:9]
	s_cbranch_execz .LBB2160_70
; %bb.65:
	v_mov_b32_e32 v9, v8
.LBB2160_66:                            ; =>This Inner Loop Header: Depth=1
	s_add_i32 s8, s5, 0x60
	s_add_i32 s5, s5, 8
	s_cmp_lg_u32 s5, 32
	scratch_store_dwordx2 off, v[8:9], s8
	s_cbranch_scc1 .LBB2160_66
; %bb.67:
	s_mov_b32 s5, 0
.LBB2160_68:                            ; =>This Inner Loop Header: Depth=1
	s_add_i32 s8, s5, 0
	s_add_i32 s9, s5, 0xcc
	scratch_load_dwordx2 v[0:1], off, s8
	scratch_load_dwordx2 v[2:3], off, s9
	s_add_i32 s8, s5, 0x60
	s_add_i32 s5, s5, 8
	s_cmp_lg_u32 s5, 32
	s_waitcnt vmcnt(0)
	v_add_u32_e32 v1, v3, v1
	v_add_u32_e32 v0, v2, v0
	scratch_store_dwordx2 off, v[0:1], s8
	s_cbranch_scc1 .LBB2160_68
; %bb.69:
	scratch_load_dwordx4 v[0:3], off, off offset:96
	scratch_load_dwordx4 v[4:7], off, off offset:112
.LBB2160_70:
	s_or_b64 exec, exec, s[2:3]
	v_and_b32_e32 v8, 1, v10
	v_cmp_eq_u32_e32 vcc, 1, v8
	v_and_b32_e32 v8, 1, v12
	v_cmp_eq_u32_e64 s[2:3], 1, v8
	s_or_b64 s[2:3], vcc, s[2:3]
	s_nop 0
	v_cndmask_b32_e64 v8, 0, 1, s[2:3]
	scratch_store_byte off, v8, off offset:236
	scratch_load_dword v10, off, off offset:236
	s_waitcnt vmcnt(3)
	scratch_store_dwordx4 off, v[0:3], off offset:204
	s_waitcnt vmcnt(3)
	scratch_store_dwordx4 off, v[4:7], off offset:220
.LBB2160_71:
	s_or_b64 exec, exec, s[6:7]
	v_mov_b32_dpp v22, v0 row_shr:4 row_mask:0xf bank_mask:0xf
	v_mov_b32_dpp v23, v1 row_shr:4 row_mask:0xf bank_mask:0xf
	;; [unrolled: 1-line block ×4, first 2 shown]
	s_waitcnt vmcnt(2)
	v_mov_b32_dpp v12, v10 row_shr:4 row_mask:0xf bank_mask:0xf
	v_cmp_lt_u32_e32 vcc, 3, v11
	v_mov_b32_dpp v26, v4 row_shr:4 row_mask:0xf bank_mask:0xf
	v_mov_b32_dpp v27, v5 row_shr:4 row_mask:0xf bank_mask:0xf
	;; [unrolled: 1-line block ×4, first 2 shown]
	scratch_store_dwordx4 off, v[22:25], off
	scratch_store_dwordx4 off, v[26:29], off offset:16
	scratch_store_dword off, v12, off offset:32
	s_and_saveexec_b64 s[6:7], vcc
	s_cbranch_execz .LBB2160_79
; %bb.72:
	v_mov_b32_e32 v8, 0
	s_mov_b32 s5, 0
	v_cmp_eq_u16_sdwa s[8:9], v10, v8 src0_sel:BYTE_0 src1_sel:DWORD
	s_and_saveexec_b64 s[2:3], s[8:9]
	s_cbranch_execz .LBB2160_78
; %bb.73:
	v_mov_b32_e32 v9, v8
.LBB2160_74:                            ; =>This Inner Loop Header: Depth=1
	s_add_i32 s8, s5, 0x60
	s_add_i32 s5, s5, 8
	s_cmp_lg_u32 s5, 32
	scratch_store_dwordx2 off, v[8:9], s8
	s_cbranch_scc1 .LBB2160_74
; %bb.75:
	s_mov_b32 s5, 0
.LBB2160_76:                            ; =>This Inner Loop Header: Depth=1
	s_add_i32 s8, s5, 0
	s_add_i32 s9, s5, 0xcc
	scratch_load_dwordx2 v[0:1], off, s8
	scratch_load_dwordx2 v[2:3], off, s9
	s_add_i32 s8, s5, 0x60
	s_add_i32 s5, s5, 8
	s_cmp_lg_u32 s5, 32
	s_waitcnt vmcnt(0)
	v_add_u32_e32 v1, v3, v1
	v_add_u32_e32 v0, v2, v0
	scratch_store_dwordx2 off, v[0:1], s8
	s_cbranch_scc1 .LBB2160_76
; %bb.77:
	scratch_load_dwordx4 v[0:3], off, off offset:96
	scratch_load_dwordx4 v[4:7], off, off offset:112
.LBB2160_78:
	s_or_b64 exec, exec, s[2:3]
	v_and_b32_e32 v8, 1, v10
	v_cmp_eq_u32_e32 vcc, 1, v8
	v_and_b32_e32 v8, 1, v12
	v_cmp_eq_u32_e64 s[2:3], 1, v8
	s_or_b64 s[2:3], vcc, s[2:3]
	s_nop 0
	v_cndmask_b32_e64 v8, 0, 1, s[2:3]
	scratch_store_byte off, v8, off offset:236
	scratch_load_dword v10, off, off offset:236
	s_waitcnt vmcnt(3)
	scratch_store_dwordx4 off, v[0:3], off offset:204
	s_waitcnt vmcnt(3)
	scratch_store_dwordx4 off, v[4:7], off offset:220
.LBB2160_79:
	s_or_b64 exec, exec, s[6:7]
	v_mov_b32_dpp v22, v0 row_shr:8 row_mask:0xf bank_mask:0xf
	v_mov_b32_dpp v23, v1 row_shr:8 row_mask:0xf bank_mask:0xf
	;; [unrolled: 1-line block ×4, first 2 shown]
	s_waitcnt vmcnt(2)
	v_mov_b32_dpp v12, v10 row_shr:8 row_mask:0xf bank_mask:0xf
	v_cmp_lt_u32_e32 vcc, 7, v11
	v_mov_b32_dpp v26, v4 row_shr:8 row_mask:0xf bank_mask:0xf
	v_mov_b32_dpp v27, v5 row_shr:8 row_mask:0xf bank_mask:0xf
	;; [unrolled: 1-line block ×4, first 2 shown]
	scratch_store_dwordx4 off, v[22:25], off
	scratch_store_dwordx4 off, v[26:29], off offset:16
	scratch_store_dword off, v12, off offset:32
	s_and_saveexec_b64 s[6:7], vcc
	s_cbranch_execz .LBB2160_87
; %bb.80:
	v_mov_b32_e32 v8, 0
	s_mov_b32 s5, 0
	v_cmp_eq_u16_sdwa s[8:9], v10, v8 src0_sel:BYTE_0 src1_sel:DWORD
	s_and_saveexec_b64 s[2:3], s[8:9]
	s_cbranch_execz .LBB2160_86
; %bb.81:
	v_mov_b32_e32 v9, v8
.LBB2160_82:                            ; =>This Inner Loop Header: Depth=1
	s_add_i32 s8, s5, 0x60
	s_add_i32 s5, s5, 8
	s_cmp_lg_u32 s5, 32
	scratch_store_dwordx2 off, v[8:9], s8
	s_cbranch_scc1 .LBB2160_82
; %bb.83:
	s_mov_b32 s5, 0
.LBB2160_84:                            ; =>This Inner Loop Header: Depth=1
	s_add_i32 s8, s5, 0
	s_add_i32 s9, s5, 0xcc
	scratch_load_dwordx2 v[0:1], off, s8
	scratch_load_dwordx2 v[2:3], off, s9
	s_add_i32 s8, s5, 0x60
	s_add_i32 s5, s5, 8
	s_cmp_lg_u32 s5, 32
	s_waitcnt vmcnt(0)
	v_add_u32_e32 v1, v3, v1
	v_add_u32_e32 v0, v2, v0
	scratch_store_dwordx2 off, v[0:1], s8
	s_cbranch_scc1 .LBB2160_84
; %bb.85:
	scratch_load_dwordx4 v[0:3], off, off offset:96
	scratch_load_dwordx4 v[4:7], off, off offset:112
.LBB2160_86:
	s_or_b64 exec, exec, s[2:3]
	v_and_b32_e32 v8, 1, v10
	v_cmp_eq_u32_e32 vcc, 1, v8
	v_and_b32_e32 v8, 1, v12
	v_cmp_eq_u32_e64 s[2:3], 1, v8
	s_or_b64 s[2:3], vcc, s[2:3]
	s_nop 0
	v_cndmask_b32_e64 v8, 0, 1, s[2:3]
	scratch_store_byte off, v8, off offset:236
	scratch_load_dword v10, off, off offset:236
	s_waitcnt vmcnt(3)
	scratch_store_dwordx4 off, v[0:3], off offset:204
	s_waitcnt vmcnt(3)
	scratch_store_dwordx4 off, v[4:7], off offset:220
.LBB2160_87:
	s_or_b64 exec, exec, s[6:7]
	v_and_b32_e32 v8, 16, v17
	v_mov_b32_dpp v22, v0 row_bcast:15 row_mask:0xf bank_mask:0xf
	v_mov_b32_dpp v23, v1 row_bcast:15 row_mask:0xf bank_mask:0xf
	;; [unrolled: 1-line block ×4, first 2 shown]
	s_waitcnt vmcnt(2)
	v_mov_b32_dpp v11, v10 row_bcast:15 row_mask:0xf bank_mask:0xf
	v_cmp_ne_u32_e32 vcc, 0, v8
	v_mov_b32_dpp v26, v4 row_bcast:15 row_mask:0xf bank_mask:0xf
	v_mov_b32_dpp v27, v5 row_bcast:15 row_mask:0xf bank_mask:0xf
	;; [unrolled: 1-line block ×4, first 2 shown]
	scratch_store_dwordx4 off, v[22:25], off
	scratch_store_dwordx4 off, v[26:29], off offset:16
	scratch_store_dword off, v11, off offset:32
	s_and_saveexec_b64 s[6:7], vcc
	s_cbranch_execz .LBB2160_95
; %bb.88:
	v_mov_b32_e32 v8, 0
	s_mov_b32 s5, 0
	v_cmp_eq_u16_sdwa s[8:9], v10, v8 src0_sel:BYTE_0 src1_sel:DWORD
	s_and_saveexec_b64 s[2:3], s[8:9]
	s_cbranch_execz .LBB2160_94
; %bb.89:
	v_mov_b32_e32 v9, v8
.LBB2160_90:                            ; =>This Inner Loop Header: Depth=1
	s_add_i32 s8, s5, 0x60
	s_add_i32 s5, s5, 8
	s_cmp_lg_u32 s5, 32
	scratch_store_dwordx2 off, v[8:9], s8
	s_cbranch_scc1 .LBB2160_90
; %bb.91:
	s_mov_b32 s5, 0
.LBB2160_92:                            ; =>This Inner Loop Header: Depth=1
	s_add_i32 s8, s5, 0
	s_add_i32 s9, s5, 0xcc
	scratch_load_dwordx2 v[0:1], off, s8
	scratch_load_dwordx2 v[2:3], off, s9
	s_add_i32 s8, s5, 0x60
	s_add_i32 s5, s5, 8
	s_cmp_lg_u32 s5, 32
	s_waitcnt vmcnt(0)
	v_add_u32_e32 v1, v3, v1
	v_add_u32_e32 v0, v2, v0
	scratch_store_dwordx2 off, v[0:1], s8
	s_cbranch_scc1 .LBB2160_92
; %bb.93:
	scratch_load_dwordx4 v[0:3], off, off offset:96
	scratch_load_dwordx4 v[4:7], off, off offset:112
.LBB2160_94:
	s_or_b64 exec, exec, s[2:3]
	v_and_b32_e32 v8, 1, v10
	v_cmp_eq_u32_e32 vcc, 1, v8
	v_and_b32_e32 v8, 1, v11
	v_cmp_eq_u32_e64 s[2:3], 1, v8
	s_or_b64 s[2:3], vcc, s[2:3]
	s_nop 0
	v_cndmask_b32_e64 v8, 0, 1, s[2:3]
	scratch_store_byte off, v8, off offset:236
	scratch_load_dword v10, off, off offset:236
	s_waitcnt vmcnt(3)
	scratch_store_dwordx4 off, v[0:3], off offset:204
	s_waitcnt vmcnt(3)
	scratch_store_dwordx4 off, v[4:7], off offset:220
.LBB2160_95:
	s_or_b64 exec, exec, s[6:7]
	v_mov_b32_dpp v22, v0 row_bcast:31 row_mask:0xf bank_mask:0xf
	v_mov_b32_dpp v23, v1 row_bcast:31 row_mask:0xf bank_mask:0xf
	;; [unrolled: 1-line block ×4, first 2 shown]
	s_waitcnt vmcnt(2)
	v_mov_b32_dpp v11, v10 row_bcast:31 row_mask:0xf bank_mask:0xf
	v_cmp_lt_u32_e32 vcc, 31, v17
	v_mov_b32_dpp v26, v4 row_bcast:31 row_mask:0xf bank_mask:0xf
	v_mov_b32_dpp v27, v5 row_bcast:31 row_mask:0xf bank_mask:0xf
	;; [unrolled: 1-line block ×4, first 2 shown]
	scratch_store_dwordx4 off, v[22:25], off
	scratch_store_dwordx4 off, v[26:29], off offset:16
	scratch_store_dword off, v11, off offset:32
	s_and_saveexec_b64 s[6:7], vcc
	s_cbranch_execz .LBB2160_103
; %bb.96:
	v_mov_b32_e32 v8, 0
	s_mov_b32 s5, 0
	v_cmp_eq_u16_sdwa s[8:9], v10, v8 src0_sel:BYTE_0 src1_sel:DWORD
	s_and_saveexec_b64 s[2:3], s[8:9]
	s_cbranch_execz .LBB2160_102
; %bb.97:
	v_mov_b32_e32 v9, v8
.LBB2160_98:                            ; =>This Inner Loop Header: Depth=1
	s_add_i32 s8, s5, 0x60
	s_add_i32 s5, s5, 8
	s_cmp_lg_u32 s5, 32
	scratch_store_dwordx2 off, v[8:9], s8
	s_cbranch_scc1 .LBB2160_98
; %bb.99:
	s_mov_b32 s5, 0
.LBB2160_100:                           ; =>This Inner Loop Header: Depth=1
	s_add_i32 s8, s5, 0
	s_add_i32 s9, s5, 0xcc
	scratch_load_dwordx2 v[0:1], off, s8
	scratch_load_dwordx2 v[2:3], off, s9
	s_add_i32 s8, s5, 0x60
	s_add_i32 s5, s5, 8
	s_cmp_lg_u32 s5, 32
	s_waitcnt vmcnt(0)
	v_add_u32_e32 v1, v3, v1
	v_add_u32_e32 v0, v2, v0
	scratch_store_dwordx2 off, v[0:1], s8
	s_cbranch_scc1 .LBB2160_100
; %bb.101:
	scratch_load_dwordx4 v[0:3], off, off offset:96
	scratch_load_dwordx4 v[4:7], off, off offset:112
.LBB2160_102:
	s_or_b64 exec, exec, s[2:3]
	v_and_b32_e32 v8, 1, v10
	v_cmp_eq_u32_e32 vcc, 1, v8
	v_and_b32_e32 v8, 1, v11
	v_cmp_eq_u32_e64 s[2:3], 1, v8
	s_or_b64 s[2:3], vcc, s[2:3]
	s_nop 0
	v_cndmask_b32_e64 v10, 0, 1, s[2:3]
	s_waitcnt vmcnt(1)
	scratch_store_dwordx4 off, v[0:3], off offset:204
	s_waitcnt vmcnt(1)
	scratch_store_dwordx4 off, v[4:7], off offset:220
	scratch_store_byte off, v10, off offset:236
.LBB2160_103:
	s_or_b64 exec, exec, s[6:7]
	v_or_b32_e32 v8, 63, v16
	v_lshrrev_b32_e32 v11, 6, v16
	v_cmp_eq_u32_e32 vcc, v8, v16
	s_and_saveexec_b64 s[2:3], vcc
	s_cbranch_execz .LBB2160_105
; %bb.104:
	v_mul_u32_u24_e32 v8, 36, v11
	ds_write2_b32 v8, v0, v1 offset1:1
	ds_write2_b32 v8, v2, v3 offset0:2 offset1:3
	ds_write2_b32 v8, v4, v5 offset0:4 offset1:5
	ds_write2_b32 v8, v6, v7 offset0:6 offset1:7
	ds_write_b8 v8, v10 offset:32
.LBB2160_105:
	s_or_b64 exec, exec, s[2:3]
	v_cmp_gt_u32_e32 vcc, 4, v16
	s_waitcnt lgkmcnt(0)
	s_barrier
	s_and_saveexec_b64 s[6:7], vcc
	s_cbranch_execz .LBB2160_123
; %bb.106:
	v_mul_u32_u24_e32 v10, 36, v16
	ds_read_b32 v12, v10 offset:32
	ds_read2_b32 v[4:5], v10 offset0:4 offset1:5
	ds_read2_b32 v[2:3], v10 offset0:2 offset1:3
	ds_read2_b32 v[0:1], v10 offset1:1
	ds_read2_b32 v[6:7], v10 offset0:6 offset1:7
	v_and_b32_e32 v13, 3, v17
	s_waitcnt lgkmcnt(4)
	v_mov_b32_dpp v18, v12 row_shr:1 row_mask:0xf bank_mask:0xf
	s_waitcnt lgkmcnt(2)
	v_mov_b32_dpp v24, v2 row_shr:1 row_mask:0xf bank_mask:0xf
	;; [unrolled: 2-line block ×3, first 2 shown]
	v_mov_b32_dpp v23, v1 row_shr:1 row_mask:0xf bank_mask:0xf
	v_mov_b32_dpp v25, v3 row_shr:1 row_mask:0xf bank_mask:0xf
	v_cmp_ne_u32_e32 vcc, 0, v13
	scratch_store_dword off, v12, off offset:128
	scratch_store_dwordx4 off, v[0:3], off offset:96
	s_waitcnt lgkmcnt(0)
	scratch_store_dwordx4 off, v[4:7], off offset:112
	v_mov_b32_dpp v26, v4 row_shr:1 row_mask:0xf bank_mask:0xf
	v_mov_b32_dpp v27, v5 row_shr:1 row_mask:0xf bank_mask:0xf
	;; [unrolled: 1-line block ×4, first 2 shown]
	scratch_store_dwordx4 off, v[22:25], off
	scratch_store_dwordx4 off, v[26:29], off offset:16
	scratch_store_dword off, v18, off offset:32
	s_and_saveexec_b64 s[2:3], vcc
	s_cbranch_execz .LBB2160_114
; %bb.107:
	v_mov_b32_e32 v8, 0
	v_cmp_eq_u16_sdwa s[20:21], v12, v8 src0_sel:BYTE_0 src1_sel:DWORD
	s_and_saveexec_b64 s[8:9], s[20:21]
	s_cbranch_execz .LBB2160_113
; %bb.108:
	s_mov_b32 s5, 0
	v_mov_b32_e32 v9, v8
.LBB2160_109:                           ; =>This Inner Loop Header: Depth=1
	s_add_i32 s20, s5, 0x84
	s_add_i32 s5, s5, 8
	s_cmp_lg_u32 s5, 32
	scratch_store_dwordx2 off, v[8:9], s20
	s_cbranch_scc1 .LBB2160_109
; %bb.110:
	s_mov_b32 s5, 0
.LBB2160_111:                           ; =>This Inner Loop Header: Depth=1
	s_add_i32 s20, s5, 0
	s_add_i32 s21, s5, 0x60
	scratch_load_dwordx2 v[0:1], off, s20
	scratch_load_dwordx2 v[2:3], off, s21
	s_add_i32 s20, s5, 0x84
	s_add_i32 s5, s5, 8
	s_cmp_lg_u32 s5, 32
	s_waitcnt vmcnt(0)
	v_add_u32_e32 v1, v3, v1
	v_add_u32_e32 v0, v2, v0
	scratch_store_dwordx2 off, v[0:1], s20
	s_cbranch_scc1 .LBB2160_111
; %bb.112:
	scratch_load_dwordx4 v[0:3], off, off offset:132
	scratch_load_dwordx4 v[4:7], off, off offset:148
.LBB2160_113:
	s_or_b64 exec, exec, s[8:9]
	v_or_b32_e32 v8, v18, v12
	v_and_b32_e32 v8, 1, v8
	scratch_store_byte off, v8, off offset:128
	scratch_load_dword v12, off, off offset:128
	s_waitcnt vmcnt(3)
	scratch_store_dwordx4 off, v[0:3], off offset:96
	s_waitcnt vmcnt(3)
	scratch_store_dwordx4 off, v[4:7], off offset:112
.LBB2160_114:
	s_or_b64 exec, exec, s[2:3]
	v_mov_b32_dpp v22, v0 row_shr:2 row_mask:0xf bank_mask:0xf
	v_mov_b32_dpp v23, v1 row_shr:2 row_mask:0xf bank_mask:0xf
	;; [unrolled: 1-line block ×4, first 2 shown]
	s_waitcnt vmcnt(2)
	v_mov_b32_dpp v18, v12 row_shr:2 row_mask:0xf bank_mask:0xf
	v_cmp_lt_u32_e32 vcc, 1, v13
	v_mov_b32_dpp v26, v4 row_shr:2 row_mask:0xf bank_mask:0xf
	v_mov_b32_dpp v27, v5 row_shr:2 row_mask:0xf bank_mask:0xf
	v_mov_b32_dpp v28, v6 row_shr:2 row_mask:0xf bank_mask:0xf
	v_mov_b32_dpp v29, v7 row_shr:2 row_mask:0xf bank_mask:0xf
	scratch_store_dwordx4 off, v[22:25], off
	scratch_store_dwordx4 off, v[26:29], off offset:16
	scratch_store_dword off, v18, off offset:32
	s_and_saveexec_b64 s[8:9], vcc
	s_cbranch_execz .LBB2160_122
; %bb.115:
	v_mov_b32_e32 v8, 0
	s_mov_b32 s5, 0
	v_cmp_eq_u16_sdwa s[20:21], v12, v8 src0_sel:BYTE_0 src1_sel:DWORD
	s_and_saveexec_b64 s[2:3], s[20:21]
	s_cbranch_execz .LBB2160_121
; %bb.116:
	v_mov_b32_e32 v9, v8
.LBB2160_117:                           ; =>This Inner Loop Header: Depth=1
	s_add_i32 s20, s5, 0x84
	s_add_i32 s5, s5, 8
	s_cmp_lg_u32 s5, 32
	scratch_store_dwordx2 off, v[8:9], s20
	s_cbranch_scc1 .LBB2160_117
; %bb.118:
	s_mov_b32 s5, 0
.LBB2160_119:                           ; =>This Inner Loop Header: Depth=1
	s_add_i32 s20, s5, 0
	s_add_i32 s21, s5, 0x60
	scratch_load_dwordx2 v[0:1], off, s20
	scratch_load_dwordx2 v[2:3], off, s21
	s_add_i32 s20, s5, 0x84
	s_add_i32 s5, s5, 8
	s_cmp_lg_u32 s5, 32
	s_waitcnt vmcnt(0)
	v_add_u32_e32 v1, v3, v1
	v_add_u32_e32 v0, v2, v0
	scratch_store_dwordx2 off, v[0:1], s20
	s_cbranch_scc1 .LBB2160_119
; %bb.120:
	scratch_load_dwordx4 v[0:3], off, off offset:132
	scratch_load_dwordx4 v[4:7], off, off offset:148
.LBB2160_121:
	s_or_b64 exec, exec, s[2:3]
	v_and_b32_e32 v8, 1, v12
	v_cmp_eq_u32_e32 vcc, 1, v8
	v_and_b32_e32 v8, 1, v18
	v_cmp_eq_u32_e64 s[2:3], 1, v8
	s_or_b64 s[2:3], vcc, s[2:3]
	s_waitcnt vmcnt(1)
	scratch_store_dwordx4 off, v[0:3], off offset:96
	s_waitcnt vmcnt(1)
	scratch_store_dwordx4 off, v[4:7], off offset:112
	v_cndmask_b32_e64 v12, 0, 1, s[2:3]
.LBB2160_122:
	s_or_b64 exec, exec, s[8:9]
	scratch_load_dwordx4 v[0:3], off, off offset:96
	scratch_load_dwordx4 v[4:7], off, off offset:112
	s_waitcnt vmcnt(1)
	ds_write2_b32 v10, v2, v3 offset0:2 offset1:3
	ds_write2_b32 v10, v0, v1 offset1:1
	s_waitcnt vmcnt(0)
	ds_write2_b32 v10, v6, v7 offset0:6 offset1:7
	ds_write2_b32 v10, v4, v5 offset0:4 offset1:5
	ds_write_b8 v10, v12 offset:32
.LBB2160_123:
	s_or_b64 exec, exec, s[6:7]
	s_mov_b32 s20, 0
	s_mov_b32 s21, s20
	v_mov_b32_e32 v0, 0
	s_mov_b32 s22, s20
	s_mov_b32 s23, s20
	v_mov_b64_e32 v[2:3], s[20:21]
	v_mov_b64_e32 v[4:5], s[22:23]
	v_mov_b32_e32 v1, v0
	s_waitcnt lgkmcnt(0)
	s_barrier
	scratch_store_dword off, v0, off offset:32
	scratch_store_dwordx4 off, v[2:5], off offset:16
	scratch_store_dwordx4 off, v[2:5], off
.LBB2160_124:                           ; =>This Inner Loop Header: Depth=1
	s_add_i32 s2, s20, 0
	s_add_i32 s20, s20, 8
	s_cmp_lg_u32 s20, 32
	scratch_store_dwordx2 off, v[0:1], s2
	s_cbranch_scc1 .LBB2160_124
; %bb.125:
	v_cmp_gt_u32_e32 vcc, 64, v16
	v_cmp_lt_u32_e64 s[2:3], 63, v16
                                        ; implicit-def: $vgpr0_vgpr1
                                        ; implicit-def: $vgpr4_vgpr5
                                        ; implicit-def: $vgpr8
	s_and_saveexec_b64 s[6:7], s[2:3]
	s_xor_b64 s[6:7], exec, s[6:7]
	s_cbranch_execz .LBB2160_135
; %bb.126:
	scratch_load_ubyte v9, off, off offset:236
	v_not_b32_e32 v0, 35
	v_mad_u32_u24 v8, v11, 36, v0
	ds_read2_b32 v[0:1], v8 offset0:4 offset1:5
	ds_read2_b32 v[6:7], v8 offset0:2 offset1:3
	ds_read2_b32 v[4:5], v8 offset1:1
	ds_read2_b32 v[2:3], v8 offset0:6 offset1:7
	ds_read_u8 v8, v8 offset:32
	s_waitcnt lgkmcnt(2)
	scratch_store_dwordx4 off, v[4:7], off
	s_waitcnt lgkmcnt(1)
	scratch_store_dwordx4 off, v[0:3], off offset:16
                                        ; implicit-def: $vgpr0_vgpr1
                                        ; implicit-def: $vgpr4_vgpr5
	s_waitcnt vmcnt(2)
	v_cmp_ne_u16_e64 s[2:3], 0, v9
	s_and_saveexec_b64 s[8:9], s[2:3]
	s_xor_b64 s[2:3], exec, s[8:9]
	s_cbranch_execz .LBB2160_128
; %bb.127:
	scratch_load_dwordx4 v[0:3], off, off offset:204
	scratch_load_dwordx4 v[4:7], off, off offset:220
.LBB2160_128:
	s_andn2_saveexec_b64 s[2:3], s[2:3]
	s_cbranch_execz .LBB2160_134
; %bb.129:
	s_waitcnt vmcnt(1)
	v_mov_b32_e32 v0, 0
	s_mov_b32 s5, 0
	v_mov_b32_e32 v1, v0
.LBB2160_130:                           ; =>This Inner Loop Header: Depth=1
	s_add_i32 s8, s5, 0x60
	s_add_i32 s5, s5, 8
	s_cmp_lg_u32 s5, 32
	scratch_store_dwordx2 off, v[0:1], s8
	s_cbranch_scc1 .LBB2160_130
; %bb.131:
	s_mov_b32 s5, 0
.LBB2160_132:                           ; =>This Inner Loop Header: Depth=1
	s_add_i32 s8, s5, 0
	s_add_i32 s9, s5, 0xcc
	scratch_load_dwordx2 v[0:1], off, s8
	scratch_load_dwordx2 v[2:3], off, s9
	s_add_i32 s8, s5, 0x60
	s_add_i32 s5, s5, 8
	s_cmp_lg_u32 s5, 32
	s_waitcnt vmcnt(0)
	v_add_u32_e32 v1, v3, v1
	v_add_u32_e32 v0, v2, v0
	scratch_store_dwordx2 off, v[0:1], s8
	s_cbranch_scc1 .LBB2160_132
; %bb.133:
	scratch_load_dwordx4 v[0:3], off, off offset:96
	scratch_load_dwordx4 v[4:7], off, off offset:112
.LBB2160_134:
	s_or_b64 exec, exec, s[2:3]
	s_waitcnt lgkmcnt(0)
	v_or_b32_e32 v9, v9, v8
	v_and_b32_e32 v9, 1, v9
	scratch_store_byte off, v9, off offset:236
.LBB2160_135:
	s_andn2_saveexec_b64 s[2:3], s[6:7]
	s_cbranch_execz .LBB2160_137
; %bb.136:
	scratch_load_dwordx4 v[0:3], off, off offset:204
	scratch_load_dwordx4 v[4:7], off, off offset:220
	v_mov_b32_e32 v8, 0
.LBB2160_137:
	s_or_b64 exec, exec, s[2:3]
	scratch_load_dword v9, off, off offset:236
	v_add_u32_e32 v10, -1, v17
	v_and_b32_e32 v11, 64, v17
	v_cmp_lt_i32_e64 s[2:3], v10, v11
	s_nop 1
	v_cndmask_b32_e64 v10, v10, v17, s[2:3]
	v_lshlrev_b32_e32 v10, 2, v10
	s_waitcnt vmcnt(2)
	ds_bpermute_b32 v0, v10, v0
	ds_bpermute_b32 v1, v10, v1
	;; [unrolled: 1-line block ×4, first 2 shown]
	s_waitcnt vmcnt(1)
	ds_bpermute_b32 v4, v10, v4
	ds_bpermute_b32 v5, v10, v5
	;; [unrolled: 1-line block ×4, first 2 shown]
	v_cmp_eq_u32_e64 s[2:3], 0, v17
	s_waitcnt vmcnt(0)
	ds_bpermute_b32 v9, v10, v9
	s_waitcnt lgkmcnt(5)
	scratch_store_dwordx4 off, v[0:3], off offset:204
	s_waitcnt lgkmcnt(1)
	scratch_store_dwordx4 off, v[4:7], off offset:220
	s_waitcnt lgkmcnt(0)
	scratch_store_byte off, v9, off offset:236
	s_and_saveexec_b64 s[6:7], s[2:3]
	s_cbranch_execz .LBB2160_139
; %bb.138:
	scratch_load_dwordx4 v[0:3], off, off
	scratch_load_dwordx4 v[4:7], off, off offset:16
	s_waitcnt vmcnt(1)
	scratch_store_dwordx4 off, v[0:3], off offset:204
	s_waitcnt vmcnt(1)
	scratch_store_dwordx4 off, v[4:7], off offset:220
	scratch_store_byte off, v8, off offset:236
.LBB2160_139:
	s_or_b64 exec, exec, s[6:7]
	s_and_saveexec_b64 s[8:9], vcc
	s_cbranch_execz .LBB2160_276
; %bb.140:
	v_mov_b32_e32 v8, 0
	ds_read2_b32 v[0:1], v8 offset0:27 offset1:28
	ds_read2_b32 v[2:3], v8 offset0:29 offset1:30
	;; [unrolled: 1-line block ×4, first 2 shown]
	ds_read_b32 v9, v8 offset:140
	s_waitcnt lgkmcnt(3)
	scratch_store_dwordx4 off, v[0:3], off offset:168
	s_waitcnt lgkmcnt(1)
	scratch_store_dwordx4 off, v[4:7], off offset:184
	s_waitcnt lgkmcnt(0)
	scratch_store_dword off, v9, off offset:200
	s_and_saveexec_b64 s[6:7], s[2:3]
	s_cbranch_execz .LBB2160_142
; %bb.141:
	s_movk_i32 s5, 0xff
	v_lshrrev_b32_e32 v10, 8, v9
	v_and_b32_sdwa v12, v9, s5 dst_sel:DWORD dst_unused:UNUSED_PAD src0_sel:WORD_1 src1_sel:DWORD
	v_mov_b32_e32 v13, 8
	s_add_i32 s5, s4, 64
	v_lshlrev_b32_sdwa v10, v13, v10 dst_sel:DWORD dst_unused:UNUSED_PAD src0_sel:DWORD src1_sel:BYTE_0
	s_mul_i32 s20, s5, 36
	v_lshrrev_b32_e32 v11, 24, v9
	v_or_b32_sdwa v9, v10, v9 dst_sel:DWORD dst_unused:UNUSED_PAD src0_sel:DWORD src1_sel:BYTE_0
	v_lshlrev_b32_e32 v10, 16, v12
	s_mul_hi_u32 s21, s5, 36
	s_add_u32 s20, s12, s20
	v_or_b32_e32 v9, v9, v10
	v_lshlrev_b32_e32 v10, 24, v11
	s_addc_u32 s21, s13, s21
	v_or_b32_e32 v9, v9, v10
	global_store_dword v8, v0, s[20:21] sc1
	global_store_dword v8, v1, s[20:21] offset:4 sc1
	global_store_dword v8, v2, s[20:21] offset:8 sc1
	;; [unrolled: 1-line block ×8, first 2 shown]
	v_mov_b32_e32 v0, s5
	v_mov_b32_e32 v1, 1
	s_waitcnt vmcnt(0)
	global_store_byte v0, v1, s[16:17] sc1
.LBB2160_142:
	s_or_b64 exec, exec, s[6:7]
	s_mov_b32 s20, 0
	s_mov_b32 s21, s20
	;; [unrolled: 1-line block ×4, first 2 shown]
	v_mov_b64_e32 v[0:1], s[20:21]
	v_mov_b64_e32 v[2:3], s[22:23]
	v_mov_b32_e32 v9, v8
	scratch_store_dword off, v8, off offset:164
	scratch_store_dwordx4 off, v[0:3], off offset:148
	scratch_store_dwordx4 off, v[0:3], off offset:132
.LBB2160_143:                           ; =>This Inner Loop Header: Depth=1
	s_add_i32 s5, s20, 0x84
	s_add_i32 s20, s20, 8
	s_cmp_lg_u32 s20, 32
	scratch_store_dwordx2 off, v[8:9], s5
	s_cbranch_scc1 .LBB2160_143
; %bb.144:
	v_mov_b32_e32 v1, 0
	v_xad_u32 v8, v17, -1, s4
	scratch_store_byte off, v1, off offset:164
	v_add_u32_e32 v0, 64, v8
	global_load_ubyte v18, v0, s[16:17] sc1
	s_waitcnt vmcnt(0)
	v_cmp_eq_u16_e32 vcc, 0, v18
	s_and_saveexec_b64 s[6:7], vcc
	s_cbranch_execz .LBB2160_148
; %bb.145:
	v_lshl_add_u64 v[2:3], s[16:17], 0, v[0:1]
	s_mov_b64 s[20:21], 0
.LBB2160_146:                           ; =>This Inner Loop Header: Depth=1
	global_load_ubyte v18, v[2:3], off sc1
	s_waitcnt vmcnt(0)
	v_cmp_ne_u16_e32 vcc, 0, v18
	s_or_b64 s[20:21], vcc, s[20:21]
	s_andn2_b64 exec, exec, s[20:21]
	s_cbranch_execnz .LBB2160_146
; %bb.147:
	s_or_b64 exec, exec, s[20:21]
.LBB2160_148:
	s_or_b64 exec, exec, s[6:7]
	v_mov_b32_e32 v1, s15
	v_mov_b32_e32 v2, s13
	v_cmp_eq_u16_e32 vcc, 1, v18
	s_waitcnt vmcnt(0)
	s_nop 0
	v_cndmask_b32_e32 v3, v1, v2, vcc
	v_mov_b32_e32 v1, s14
	v_mov_b32_e32 v2, s12
	v_cndmask_b32_e32 v2, v1, v2, vcc
	v_mad_u64_u32 v[10:11], s[6:7], v0, 36, v[2:3]
	global_load_dword v0, v[10:11], off sc1
	global_load_dword v1, v[10:11], off offset:4 sc1
	global_load_dword v2, v[10:11], off offset:8 sc1
	;; [unrolled: 1-line block ×8, first 2 shown]
	v_mov_b32_e32 v10, 0
	s_mov_b32 s5, 0
	v_mov_b32_e32 v11, v10
	scratch_store_dword off, v10, off offset:32
	s_waitcnt vmcnt(6)
	scratch_store_dwordx4 off, v[0:3], off offset:132
	s_waitcnt vmcnt(3)
	scratch_store_dwordx4 off, v[4:7], off offset:148
	s_waitcnt vmcnt(3)
	scratch_store_byte off, v9, off offset:164
.LBB2160_149:                           ; =>This Inner Loop Header: Depth=1
	s_add_i32 s6, s5, 0
	s_add_i32 s5, s5, 8
	s_cmp_lg_u32 s5, 32
	scratch_store_dwordx2 off, v[10:11], s6
	s_cbranch_scc1 .LBB2160_149
; %bb.150:
	scratch_load_dword v32, off, off offset:164
	v_lshlrev_b64 v[10:11], v17, -1
	v_cmp_eq_u16_e32 vcc, 2, v18
	v_and_b32_e32 v19, 63, v17
	s_nop 0
	v_and_b32_e32 v9, vcc_hi, v11
	v_and_b32_e32 v12, vcc_lo, v10
	v_cmp_ne_u32_e32 vcc, 63, v19
	v_or_b32_e32 v9, 0x80000000, v9
	v_ffbl_b32_e32 v9, v9
	v_addc_co_u32_e32 v13, vcc, 0, v17, vcc
	v_lshlrev_b32_e32 v22, 2, v13
	ds_bpermute_b32 v24, v22, v0
	ds_bpermute_b32 v25, v22, v1
	;; [unrolled: 1-line block ×8, first 2 shown]
	v_add_u32_e32 v9, 32, v9
	v_ffbl_b32_e32 v12, v12
	v_min_u32_e32 v9, v12, v9
	v_cmp_lt_u32_e32 vcc, v19, v9
	s_waitcnt lgkmcnt(4)
	scratch_store_dwordx4 off, v[24:27], off
	s_waitcnt lgkmcnt(0)
	scratch_store_dwordx4 off, v[28:31], off offset:16
	s_waitcnt vmcnt(2)
	ds_bpermute_b32 v23, v22, v32
	s_and_saveexec_b64 s[6:7], vcc
	s_cbranch_execz .LBB2160_158
; %bb.151:
	v_mov_b32_e32 v12, 0
	v_cmp_eq_u16_sdwa s[22:23], v32, v12 src0_sel:BYTE_0 src1_sel:DWORD
	s_and_saveexec_b64 s[20:21], s[22:23]
	s_cbranch_execz .LBB2160_157
; %bb.152:
	s_mov_b32 s5, 0
	v_mov_b32_e32 v13, v12
.LBB2160_153:                           ; =>This Inner Loop Header: Depth=1
	s_add_i32 s22, s5, 0x60
	s_add_i32 s5, s5, 8
	s_cmp_lg_u32 s5, 32
	scratch_store_dwordx2 off, v[12:13], s22
	s_cbranch_scc1 .LBB2160_153
; %bb.154:
	s_mov_b32 s5, 0
.LBB2160_155:                           ; =>This Inner Loop Header: Depth=1
	s_add_i32 s22, s5, 0
	s_add_i32 s23, s5, 0x84
	scratch_load_dwordx2 v[0:1], off, s22
	scratch_load_dwordx2 v[2:3], off, s23
	s_add_i32 s22, s5, 0x60
	s_add_i32 s5, s5, 8
	s_cmp_lg_u32 s5, 32
	s_waitcnt vmcnt(0)
	v_add_u32_e32 v1, v3, v1
	v_add_u32_e32 v0, v2, v0
	scratch_store_dwordx2 off, v[0:1], s22
	s_cbranch_scc1 .LBB2160_155
; %bb.156:
	scratch_load_dwordx4 v[0:3], off, off offset:96
	scratch_load_dwordx4 v[4:7], off, off offset:112
.LBB2160_157:
	s_or_b64 exec, exec, s[20:21]
	s_waitcnt lgkmcnt(0)
	v_or_b32_e32 v12, v23, v32
	v_and_b32_e32 v12, 1, v12
	scratch_store_byte off, v12, off offset:164
	scratch_load_dword v32, off, off offset:164
	s_waitcnt vmcnt(3)
	scratch_store_dwordx4 off, v[0:3], off offset:132
	s_waitcnt vmcnt(3)
	scratch_store_dwordx4 off, v[4:7], off offset:148
.LBB2160_158:
	s_or_b64 exec, exec, s[6:7]
	v_cmp_gt_u32_e32 vcc, 62, v19
	v_add_u32_e32 v24, 2, v19
	s_nop 0
	v_cndmask_b32_e64 v12, 0, 1, vcc
	v_lshlrev_b32_e32 v12, 1, v12
	s_waitcnt lgkmcnt(0)
	v_add_lshl_u32 v23, v12, v17, 2
	ds_bpermute_b32 v26, v23, v0
	ds_bpermute_b32 v27, v23, v1
	;; [unrolled: 1-line block ×4, first 2 shown]
	s_waitcnt vmcnt(2)
	ds_bpermute_b32 v25, v23, v32
	ds_bpermute_b32 v34, v23, v4
	;; [unrolled: 1-line block ×5, first 2 shown]
	v_cmp_le_u32_e32 vcc, v24, v9
	s_waitcnt lgkmcnt(5)
	scratch_store_dwordx4 off, v[26:29], off
	s_waitcnt lgkmcnt(0)
	scratch_store_dwordx4 off, v[34:37], off offset:16
	s_and_saveexec_b64 s[20:21], vcc
	s_cbranch_execz .LBB2160_166
; %bb.159:
	v_mov_b32_e32 v12, 0
	s_mov_b32 s5, 0
	v_cmp_eq_u16_sdwa s[22:23], v32, v12 src0_sel:BYTE_0 src1_sel:DWORD
	s_and_saveexec_b64 s[6:7], s[22:23]
	s_cbranch_execz .LBB2160_165
; %bb.160:
	v_mov_b32_e32 v13, v12
.LBB2160_161:                           ; =>This Inner Loop Header: Depth=1
	s_add_i32 s22, s5, 0x60
	s_add_i32 s5, s5, 8
	s_cmp_lg_u32 s5, 32
	scratch_store_dwordx2 off, v[12:13], s22
	s_cbranch_scc1 .LBB2160_161
; %bb.162:
	s_mov_b32 s5, 0
.LBB2160_163:                           ; =>This Inner Loop Header: Depth=1
	s_add_i32 s22, s5, 0
	s_add_i32 s23, s5, 0x84
	scratch_load_dwordx2 v[0:1], off, s22
	scratch_load_dwordx2 v[2:3], off, s23
	s_add_i32 s22, s5, 0x60
	s_add_i32 s5, s5, 8
	s_cmp_lg_u32 s5, 32
	s_waitcnt vmcnt(0)
	v_add_u32_e32 v1, v3, v1
	v_add_u32_e32 v0, v2, v0
	scratch_store_dwordx2 off, v[0:1], s22
	s_cbranch_scc1 .LBB2160_163
; %bb.164:
	scratch_load_dwordx4 v[0:3], off, off offset:96
	scratch_load_dwordx4 v[4:7], off, off offset:112
.LBB2160_165:
	s_or_b64 exec, exec, s[6:7]
	v_and_b32_e32 v12, 1, v32
	v_cmp_eq_u32_e32 vcc, 1, v12
	v_and_b32_e32 v12, 1, v25
	v_cmp_eq_u32_e64 s[6:7], 1, v12
	s_or_b64 s[6:7], vcc, s[6:7]
	s_nop 0
	v_cndmask_b32_e64 v12, 0, 1, s[6:7]
	scratch_store_byte off, v12, off offset:164
	scratch_load_dword v32, off, off offset:164
	s_waitcnt vmcnt(3)
	scratch_store_dwordx4 off, v[0:3], off offset:132
	s_waitcnt vmcnt(3)
	scratch_store_dwordx4 off, v[4:7], off offset:148
.LBB2160_166:
	s_or_b64 exec, exec, s[20:21]
	v_cmp_gt_u32_e32 vcc, 60, v19
	v_add_u32_e32 v26, 4, v19
	s_nop 0
	v_cndmask_b32_e64 v12, 0, 1, vcc
	v_lshlrev_b32_e32 v12, 2, v12
	v_add_lshl_u32 v25, v12, v17, 2
	ds_bpermute_b32 v28, v25, v0
	ds_bpermute_b32 v29, v25, v1
	;; [unrolled: 1-line block ×4, first 2 shown]
	s_waitcnt vmcnt(2)
	ds_bpermute_b32 v27, v25, v32
	ds_bpermute_b32 v34, v25, v4
	;; [unrolled: 1-line block ×5, first 2 shown]
	v_cmp_le_u32_e32 vcc, v26, v9
	s_waitcnt lgkmcnt(5)
	scratch_store_dwordx4 off, v[28:31], off
	s_waitcnt lgkmcnt(0)
	scratch_store_dwordx4 off, v[34:37], off offset:16
	s_and_saveexec_b64 s[20:21], vcc
	s_cbranch_execz .LBB2160_174
; %bb.167:
	v_mov_b32_e32 v12, 0
	s_mov_b32 s5, 0
	v_cmp_eq_u16_sdwa s[22:23], v32, v12 src0_sel:BYTE_0 src1_sel:DWORD
	s_and_saveexec_b64 s[6:7], s[22:23]
	s_cbranch_execz .LBB2160_173
; %bb.168:
	v_mov_b32_e32 v13, v12
.LBB2160_169:                           ; =>This Inner Loop Header: Depth=1
	s_add_i32 s22, s5, 0x60
	s_add_i32 s5, s5, 8
	s_cmp_lg_u32 s5, 32
	scratch_store_dwordx2 off, v[12:13], s22
	s_cbranch_scc1 .LBB2160_169
; %bb.170:
	s_mov_b32 s5, 0
.LBB2160_171:                           ; =>This Inner Loop Header: Depth=1
	s_add_i32 s22, s5, 0
	s_add_i32 s23, s5, 0x84
	scratch_load_dwordx2 v[0:1], off, s22
	scratch_load_dwordx2 v[2:3], off, s23
	s_add_i32 s22, s5, 0x60
	s_add_i32 s5, s5, 8
	s_cmp_lg_u32 s5, 32
	s_waitcnt vmcnt(0)
	v_add_u32_e32 v1, v3, v1
	v_add_u32_e32 v0, v2, v0
	scratch_store_dwordx2 off, v[0:1], s22
	s_cbranch_scc1 .LBB2160_171
; %bb.172:
	scratch_load_dwordx4 v[0:3], off, off offset:96
	scratch_load_dwordx4 v[4:7], off, off offset:112
.LBB2160_173:
	s_or_b64 exec, exec, s[6:7]
	v_and_b32_e32 v12, 1, v32
	v_cmp_eq_u32_e32 vcc, 1, v12
	v_and_b32_e32 v12, 1, v27
	v_cmp_eq_u32_e64 s[6:7], 1, v12
	s_or_b64 s[6:7], vcc, s[6:7]
	s_nop 0
	v_cndmask_b32_e64 v12, 0, 1, s[6:7]
	scratch_store_byte off, v12, off offset:164
	scratch_load_dword v32, off, off offset:164
	s_waitcnt vmcnt(3)
	scratch_store_dwordx4 off, v[0:3], off offset:132
	s_waitcnt vmcnt(3)
	scratch_store_dwordx4 off, v[4:7], off offset:148
.LBB2160_174:
	s_or_b64 exec, exec, s[20:21]
	v_cmp_gt_u32_e32 vcc, 56, v19
	v_add_u32_e32 v28, 8, v19
	s_nop 0
	v_cndmask_b32_e64 v12, 0, 1, vcc
	v_lshlrev_b32_e32 v12, 3, v12
	v_add_lshl_u32 v27, v12, v17, 2
	ds_bpermute_b32 v34, v27, v0
	ds_bpermute_b32 v35, v27, v1
	;; [unrolled: 1-line block ×4, first 2 shown]
	s_waitcnt vmcnt(2)
	ds_bpermute_b32 v29, v27, v32
	ds_bpermute_b32 v38, v27, v4
	;; [unrolled: 1-line block ×5, first 2 shown]
	v_cmp_le_u32_e32 vcc, v28, v9
	s_waitcnt lgkmcnt(5)
	scratch_store_dwordx4 off, v[34:37], off
	s_waitcnt lgkmcnt(0)
	scratch_store_dwordx4 off, v[38:41], off offset:16
	s_and_saveexec_b64 s[20:21], vcc
	s_cbranch_execz .LBB2160_182
; %bb.175:
	v_mov_b32_e32 v12, 0
	s_mov_b32 s5, 0
	v_cmp_eq_u16_sdwa s[22:23], v32, v12 src0_sel:BYTE_0 src1_sel:DWORD
	s_and_saveexec_b64 s[6:7], s[22:23]
	s_cbranch_execz .LBB2160_181
; %bb.176:
	v_mov_b32_e32 v13, v12
.LBB2160_177:                           ; =>This Inner Loop Header: Depth=1
	s_add_i32 s22, s5, 0x60
	s_add_i32 s5, s5, 8
	s_cmp_lg_u32 s5, 32
	scratch_store_dwordx2 off, v[12:13], s22
	s_cbranch_scc1 .LBB2160_177
; %bb.178:
	s_mov_b32 s5, 0
.LBB2160_179:                           ; =>This Inner Loop Header: Depth=1
	s_add_i32 s22, s5, 0
	s_add_i32 s23, s5, 0x84
	scratch_load_dwordx2 v[0:1], off, s22
	scratch_load_dwordx2 v[2:3], off, s23
	s_add_i32 s22, s5, 0x60
	s_add_i32 s5, s5, 8
	s_cmp_lg_u32 s5, 32
	s_waitcnt vmcnt(0)
	v_add_u32_e32 v1, v3, v1
	v_add_u32_e32 v0, v2, v0
	scratch_store_dwordx2 off, v[0:1], s22
	s_cbranch_scc1 .LBB2160_179
; %bb.180:
	scratch_load_dwordx4 v[0:3], off, off offset:96
	scratch_load_dwordx4 v[4:7], off, off offset:112
.LBB2160_181:
	s_or_b64 exec, exec, s[6:7]
	v_and_b32_e32 v12, 1, v32
	v_cmp_eq_u32_e32 vcc, 1, v12
	v_and_b32_e32 v12, 1, v29
	v_cmp_eq_u32_e64 s[6:7], 1, v12
	s_or_b64 s[6:7], vcc, s[6:7]
	s_nop 0
	v_cndmask_b32_e64 v12, 0, 1, s[6:7]
	scratch_store_byte off, v12, off offset:164
	scratch_load_dword v32, off, off offset:164
	s_waitcnt vmcnt(3)
	scratch_store_dwordx4 off, v[0:3], off offset:132
	s_waitcnt vmcnt(3)
	scratch_store_dwordx4 off, v[4:7], off offset:148
.LBB2160_182:
	s_or_b64 exec, exec, s[20:21]
	v_cmp_gt_u32_e32 vcc, 48, v19
	v_add_u32_e32 v30, 16, v19
	s_nop 0
	v_cndmask_b32_e64 v12, 0, 1, vcc
	v_lshlrev_b32_e32 v12, 4, v12
	v_add_lshl_u32 v29, v12, v17, 2
	ds_bpermute_b32 v34, v29, v0
	ds_bpermute_b32 v35, v29, v1
	;; [unrolled: 1-line block ×4, first 2 shown]
	s_waitcnt vmcnt(2)
	ds_bpermute_b32 v31, v29, v32
	ds_bpermute_b32 v38, v29, v4
	;; [unrolled: 1-line block ×5, first 2 shown]
	v_cmp_le_u32_e32 vcc, v30, v9
	s_waitcnt lgkmcnt(5)
	scratch_store_dwordx4 off, v[34:37], off
	s_waitcnt lgkmcnt(0)
	scratch_store_dwordx4 off, v[38:41], off offset:16
	s_and_saveexec_b64 s[20:21], vcc
	s_cbranch_execz .LBB2160_190
; %bb.183:
	v_mov_b32_e32 v12, 0
	s_mov_b32 s5, 0
	v_cmp_eq_u16_sdwa s[22:23], v32, v12 src0_sel:BYTE_0 src1_sel:DWORD
	s_and_saveexec_b64 s[6:7], s[22:23]
	s_cbranch_execz .LBB2160_189
; %bb.184:
	v_mov_b32_e32 v13, v12
.LBB2160_185:                           ; =>This Inner Loop Header: Depth=1
	s_add_i32 s22, s5, 0x60
	s_add_i32 s5, s5, 8
	s_cmp_lg_u32 s5, 32
	scratch_store_dwordx2 off, v[12:13], s22
	s_cbranch_scc1 .LBB2160_185
; %bb.186:
	s_mov_b32 s5, 0
.LBB2160_187:                           ; =>This Inner Loop Header: Depth=1
	s_add_i32 s22, s5, 0
	s_add_i32 s23, s5, 0x84
	scratch_load_dwordx2 v[0:1], off, s22
	scratch_load_dwordx2 v[2:3], off, s23
	s_add_i32 s22, s5, 0x60
	s_add_i32 s5, s5, 8
	s_cmp_lg_u32 s5, 32
	s_waitcnt vmcnt(0)
	v_add_u32_e32 v1, v3, v1
	v_add_u32_e32 v0, v2, v0
	scratch_store_dwordx2 off, v[0:1], s22
	s_cbranch_scc1 .LBB2160_187
; %bb.188:
	scratch_load_dwordx4 v[0:3], off, off offset:96
	scratch_load_dwordx4 v[4:7], off, off offset:112
.LBB2160_189:
	s_or_b64 exec, exec, s[6:7]
	v_and_b32_e32 v12, 1, v32
	v_cmp_eq_u32_e32 vcc, 1, v12
	v_and_b32_e32 v12, 1, v31
	v_cmp_eq_u32_e64 s[6:7], 1, v12
	s_or_b64 s[6:7], vcc, s[6:7]
	s_nop 0
	v_cndmask_b32_e64 v12, 0, 1, s[6:7]
	scratch_store_byte off, v12, off offset:164
	scratch_load_dword v32, off, off offset:164
	s_waitcnt vmcnt(3)
	scratch_store_dwordx4 off, v[0:3], off offset:132
	s_waitcnt vmcnt(3)
	scratch_store_dwordx4 off, v[4:7], off offset:148
.LBB2160_190:
	s_or_b64 exec, exec, s[20:21]
	v_cmp_gt_u32_e32 vcc, 32, v19
	v_add_u32_e32 v31, 32, v19
	s_nop 0
	v_cndmask_b32_e64 v12, 0, 1, vcc
	v_lshlrev_b32_e32 v12, 5, v12
	v_add_lshl_u32 v17, v12, v17, 2
	ds_bpermute_b32 v34, v17, v0
	ds_bpermute_b32 v35, v17, v1
	;; [unrolled: 1-line block ×4, first 2 shown]
	s_waitcnt vmcnt(2)
	ds_bpermute_b32 v33, v17, v32
	ds_bpermute_b32 v38, v17, v4
	;; [unrolled: 1-line block ×5, first 2 shown]
	v_cmp_le_u32_e32 vcc, v31, v9
	s_waitcnt lgkmcnt(5)
	scratch_store_dwordx4 off, v[34:37], off
	s_waitcnt lgkmcnt(0)
	scratch_store_dwordx4 off, v[38:41], off offset:16
	s_and_saveexec_b64 s[20:21], vcc
	s_cbranch_execz .LBB2160_198
; %bb.191:
	v_mov_b32_e32 v12, 0
	s_mov_b32 s5, 0
	v_cmp_eq_u16_sdwa s[22:23], v32, v12 src0_sel:BYTE_0 src1_sel:DWORD
	s_and_saveexec_b64 s[6:7], s[22:23]
	s_cbranch_execz .LBB2160_197
; %bb.192:
	v_mov_b32_e32 v13, v12
.LBB2160_193:                           ; =>This Inner Loop Header: Depth=1
	s_add_i32 s22, s5, 0x60
	s_add_i32 s5, s5, 8
	s_cmp_lg_u32 s5, 32
	scratch_store_dwordx2 off, v[12:13], s22
	s_cbranch_scc1 .LBB2160_193
; %bb.194:
	s_mov_b32 s5, 0
.LBB2160_195:                           ; =>This Inner Loop Header: Depth=1
	s_add_i32 s22, s5, 0
	s_add_i32 s23, s5, 0x84
	scratch_load_dwordx2 v[0:1], off, s22
	scratch_load_dwordx2 v[2:3], off, s23
	s_add_i32 s22, s5, 0x60
	s_add_i32 s5, s5, 8
	s_cmp_lg_u32 s5, 32
	s_waitcnt vmcnt(0)
	v_add_u32_e32 v1, v3, v1
	v_add_u32_e32 v0, v2, v0
	scratch_store_dwordx2 off, v[0:1], s22
	s_cbranch_scc1 .LBB2160_195
; %bb.196:
	scratch_load_dwordx4 v[0:3], off, off offset:96
	scratch_load_dwordx4 v[4:7], off, off offset:112
.LBB2160_197:
	s_or_b64 exec, exec, s[6:7]
	v_and_b32_e32 v9, 1, v32
	v_cmp_eq_u32_e32 vcc, 1, v9
	v_and_b32_e32 v9, 1, v33
	v_cmp_eq_u32_e64 s[6:7], 1, v9
	s_or_b64 s[6:7], vcc, s[6:7]
	s_nop 0
	v_cndmask_b32_e64 v9, 0, 1, s[6:7]
	s_waitcnt vmcnt(1)
	scratch_store_dwordx4 off, v[0:3], off offset:132
	s_waitcnt vmcnt(1)
	scratch_store_dwordx4 off, v[4:7], off offset:148
	scratch_store_byte off, v9, off offset:164
.LBB2160_198:
	s_or_b64 exec, exec, s[20:21]
	scratch_load_dwordx4 v[0:3], off, off offset:132
	scratch_load_dwordx4 v[4:7], off, off offset:148
	scratch_load_dword v9, off, off offset:164
	s_lshr_b32 s5, s34, 16
	s_mul_i32 s5, s5, s35
	v_mul_lo_u32 v32, s5, v16
	v_mov_b32_e32 v13, 0x6000
	v_add3_u32 v14, v32, v15, v14
	v_mov_b32_e32 v12, 0
	v_lshl_add_u32 v14, v14, 5, v13
	v_mov_b32_e32 v15, 2
	s_waitcnt vmcnt(2)
	scratch_store_dwordx4 off, v[0:3], off offset:96
	s_waitcnt vmcnt(2)
	scratch_store_dwordx4 off, v[4:7], off offset:112
	s_waitcnt vmcnt(2)
	scratch_store_dword off, v9, off offset:128
	s_branch .LBB2160_200
.LBB2160_199:                           ;   in Loop: Header=BB2160_200 Depth=1
	s_or_b64 exec, exec, s[20:21]
	v_and_b32_e32 v9, 1, v9
	v_cmp_eq_u32_e32 vcc, 1, v9
	s_or_b64 s[6:7], vcc, s[6:7]
	v_subrev_u32_e32 v8, 64, v8
	v_cndmask_b32_e64 v9, 0, 1, s[6:7]
	s_waitcnt vmcnt(1)
	scratch_store_dwordx4 off, v[0:3], off offset:96
	s_waitcnt vmcnt(1)
	scratch_store_dwordx4 off, v[4:7], off offset:112
	scratch_store_byte off, v9, off offset:128
.LBB2160_200:                           ; =>This Loop Header: Depth=1
                                        ;     Child Loop BB2160_203 Depth 2
                                        ;     Child Loop BB2160_206 Depth 2
                                        ;     Child Loop BB2160_210 Depth 2
                                        ;     Child Loop BB2160_212 Depth 2
                                        ;     Child Loop BB2160_218 Depth 2
                                        ;     Child Loop BB2160_220 Depth 2
                                        ;     Child Loop BB2160_226 Depth 2
                                        ;     Child Loop BB2160_228 Depth 2
                                        ;     Child Loop BB2160_234 Depth 2
                                        ;     Child Loop BB2160_236 Depth 2
                                        ;     Child Loop BB2160_242 Depth 2
                                        ;     Child Loop BB2160_244 Depth 2
                                        ;     Child Loop BB2160_250 Depth 2
                                        ;     Child Loop BB2160_252 Depth 2
                                        ;     Child Loop BB2160_259 Depth 2
                                        ;     Child Loop BB2160_261 Depth 2
	v_cmp_ne_u16_sdwa s[6:7], v18, v15 src0_sel:BYTE_0 src1_sel:DWORD
	s_nop 1
	v_cndmask_b32_e64 v0, 0, 1, s[6:7]
	;;#ASMSTART
	;;#ASMEND
	s_nop 0
	v_cmp_ne_u32_e32 vcc, 0, v0
	s_cmp_lg_u64 vcc, exec
	s_cbranch_scc1 .LBB2160_263
; %bb.201:                              ;   in Loop: Header=BB2160_200 Depth=1
	global_load_ubyte v18, v8, s[16:17] sc1
	v_mov_b32_e32 v9, v12
	s_waitcnt vmcnt(0)
	v_cmp_eq_u16_e32 vcc, 0, v18
	s_and_saveexec_b64 s[6:7], vcc
	s_cbranch_execz .LBB2160_205
; %bb.202:                              ;   in Loop: Header=BB2160_200 Depth=1
	v_lshl_add_u64 v[0:1], s[16:17], 0, v[8:9]
	s_mov_b64 s[20:21], 0
.LBB2160_203:                           ;   Parent Loop BB2160_200 Depth=1
                                        ; =>  This Inner Loop Header: Depth=2
	global_load_ubyte v18, v[0:1], off sc1
	s_waitcnt vmcnt(0)
	v_cmp_ne_u16_e32 vcc, 0, v18
	s_or_b64 s[20:21], vcc, s[20:21]
	s_andn2_b64 exec, exec, s[20:21]
	s_cbranch_execnz .LBB2160_203
; %bb.204:                              ;   in Loop: Header=BB2160_200 Depth=1
	s_or_b64 exec, exec, s[20:21]
.LBB2160_205:                           ;   in Loop: Header=BB2160_200 Depth=1
	s_or_b64 exec, exec, s[6:7]
	v_mov_b32_e32 v0, s15
	v_mov_b32_e32 v1, s13
	v_cmp_eq_u16_e32 vcc, 1, v18
	v_mov_b32_e32 v2, s12
	s_waitcnt vmcnt(0)
	v_cndmask_b32_e32 v1, v0, v1, vcc
	v_mov_b32_e32 v0, s14
	v_cndmask_b32_e32 v0, v0, v2, vcc
	v_mad_u64_u32 v[32:33], s[6:7], v8, 36, v[0:1]
	global_load_dword v0, v[32:33], off sc1
	global_load_dword v1, v[32:33], off offset:4 sc1
	global_load_dword v2, v[32:33], off offset:8 sc1
	;; [unrolled: 1-line block ×8, first 2 shown]
	s_mov_b32 s5, 0
	scratch_store_dword off, v12, off offset:32
	s_waitcnt vmcnt(6)
	scratch_store_dwordx4 off, v[0:3], off offset:132
	s_waitcnt vmcnt(3)
	scratch_store_dwordx4 off, v[4:7], off offset:148
	s_waitcnt vmcnt(3)
	scratch_store_byte off, v9, off offset:164
.LBB2160_206:                           ;   Parent Loop BB2160_200 Depth=1
                                        ; =>  This Inner Loop Header: Depth=2
	s_add_i32 s6, s5, 0
	s_add_i32 s5, s5, 8
	v_mov_b32_e32 v13, v12
	s_cmp_lg_u32 s5, 32
	scratch_store_dwordx2 off, v[12:13], s6
	s_cbranch_scc1 .LBB2160_206
; %bb.207:                              ;   in Loop: Header=BB2160_200 Depth=1
	scratch_load_dword v13, off, off offset:164
	v_cmp_eq_u16_e32 vcc, 2, v18
	ds_bpermute_b32 v34, v22, v0
	ds_bpermute_b32 v35, v22, v1
	v_and_b32_e32 v9, vcc_hi, v11
	v_and_b32_e32 v32, vcc_lo, v10
	v_or_b32_e32 v9, 0x80000000, v9
	ds_bpermute_b32 v36, v22, v2
	ds_bpermute_b32 v37, v22, v3
	v_ffbl_b32_e32 v33, v32
	v_ffbl_b32_e32 v9, v9
	ds_bpermute_b32 v38, v22, v4
	ds_bpermute_b32 v39, v22, v5
	;; [unrolled: 1-line block ×4, first 2 shown]
	v_add_u32_e32 v9, 32, v9
	v_min_u32_e32 v9, v33, v9
	v_cmp_lt_u32_e32 vcc, v19, v9
	s_waitcnt lgkmcnt(4)
	scratch_store_dwordx4 off, v[34:37], off
	s_waitcnt lgkmcnt(0)
	scratch_store_dwordx4 off, v[38:41], off offset:16
	s_waitcnt vmcnt(2)
	ds_bpermute_b32 v32, v22, v13
	s_and_saveexec_b64 s[6:7], vcc
	s_cbranch_execz .LBB2160_215
; %bb.208:                              ;   in Loop: Header=BB2160_200 Depth=1
	v_cmp_eq_u16_sdwa s[22:23], v13, v12 src0_sel:BYTE_0 src1_sel:DWORD
	s_and_saveexec_b64 s[20:21], s[22:23]
	s_cbranch_execz .LBB2160_214
; %bb.209:                              ;   in Loop: Header=BB2160_200 Depth=1
	s_mov_b32 s5, 0
.LBB2160_210:                           ;   Parent Loop BB2160_200 Depth=1
                                        ; =>  This Inner Loop Header: Depth=2
	v_add_u32_e32 v0, s5, v14
	s_add_i32 s5, s5, 8
	s_cmp_lg_u32 s5, 32
	ds_write2_b32 v0, v12, v12 offset1:1
	s_cbranch_scc1 .LBB2160_210
; %bb.211:                              ;   in Loop: Header=BB2160_200 Depth=1
	s_mov_b32 s5, 0
.LBB2160_212:                           ;   Parent Loop BB2160_200 Depth=1
                                        ; =>  This Inner Loop Header: Depth=2
	s_add_i32 s22, s5, 0
	s_add_i32 s23, s5, 0x84
	scratch_load_dwordx2 v[0:1], off, s22
	scratch_load_dwordx2 v[2:3], off, s23
	v_add_u32_e32 v4, s5, v14
	s_add_i32 s5, s5, 8
	s_cmp_lg_u32 s5, 32
	s_waitcnt vmcnt(0)
	v_add_u32_e32 v1, v3, v1
	v_add_u32_e32 v0, v2, v0
	ds_write2_b32 v4, v0, v1 offset1:1
	s_cbranch_scc1 .LBB2160_212
; %bb.213:                              ;   in Loop: Header=BB2160_200 Depth=1
	ds_read2_b32 v[0:1], v14 offset1:1
	ds_read2_b32 v[2:3], v14 offset0:2 offset1:3
	ds_read2_b32 v[4:5], v14 offset0:4 offset1:5
	;; [unrolled: 1-line block ×3, first 2 shown]
.LBB2160_214:                           ;   in Loop: Header=BB2160_200 Depth=1
	s_or_b64 exec, exec, s[20:21]
	s_waitcnt lgkmcnt(0)
	v_or_b32_e32 v13, v32, v13
	v_and_b32_e32 v13, 1, v13
	scratch_store_byte off, v13, off offset:164
	scratch_load_dword v13, off, off offset:164
	s_nop 0
	scratch_store_dwordx4 off, v[0:3], off offset:132
	scratch_store_dwordx4 off, v[4:7], off offset:148
.LBB2160_215:                           ;   in Loop: Header=BB2160_200 Depth=1
	s_or_b64 exec, exec, s[6:7]
	ds_bpermute_b32 v34, v23, v0
	ds_bpermute_b32 v35, v23, v1
	;; [unrolled: 1-line block ×4, first 2 shown]
	s_waitcnt vmcnt(2) lgkmcnt(4)
	ds_bpermute_b32 v32, v23, v13
	ds_bpermute_b32 v38, v23, v4
	;; [unrolled: 1-line block ×5, first 2 shown]
	v_cmp_le_u32_e32 vcc, v24, v9
	s_waitcnt lgkmcnt(5)
	scratch_store_dwordx4 off, v[34:37], off
	s_waitcnt lgkmcnt(0)
	scratch_store_dwordx4 off, v[38:41], off offset:16
	s_and_saveexec_b64 s[20:21], vcc
	s_cbranch_execz .LBB2160_223
; %bb.216:                              ;   in Loop: Header=BB2160_200 Depth=1
	v_cmp_eq_u16_sdwa s[22:23], v13, v12 src0_sel:BYTE_0 src1_sel:DWORD
	s_and_saveexec_b64 s[6:7], s[22:23]
	s_cbranch_execz .LBB2160_222
; %bb.217:                              ;   in Loop: Header=BB2160_200 Depth=1
	s_mov_b32 s5, 0
.LBB2160_218:                           ;   Parent Loop BB2160_200 Depth=1
                                        ; =>  This Inner Loop Header: Depth=2
	v_add_u32_e32 v0, s5, v14
	s_add_i32 s5, s5, 8
	s_cmp_lg_u32 s5, 32
	ds_write2_b32 v0, v12, v12 offset1:1
	s_cbranch_scc1 .LBB2160_218
; %bb.219:                              ;   in Loop: Header=BB2160_200 Depth=1
	s_mov_b32 s5, 0
.LBB2160_220:                           ;   Parent Loop BB2160_200 Depth=1
                                        ; =>  This Inner Loop Header: Depth=2
	s_add_i32 s22, s5, 0
	s_add_i32 s23, s5, 0x84
	scratch_load_dwordx2 v[0:1], off, s22
	scratch_load_dwordx2 v[2:3], off, s23
	v_add_u32_e32 v4, s5, v14
	s_add_i32 s5, s5, 8
	s_cmp_lg_u32 s5, 32
	s_waitcnt vmcnt(0)
	v_add_u32_e32 v1, v3, v1
	v_add_u32_e32 v0, v2, v0
	ds_write2_b32 v4, v0, v1 offset1:1
	s_cbranch_scc1 .LBB2160_220
; %bb.221:                              ;   in Loop: Header=BB2160_200 Depth=1
	ds_read2_b32 v[0:1], v14 offset1:1
	ds_read2_b32 v[2:3], v14 offset0:2 offset1:3
	ds_read2_b32 v[4:5], v14 offset0:4 offset1:5
	;; [unrolled: 1-line block ×3, first 2 shown]
.LBB2160_222:                           ;   in Loop: Header=BB2160_200 Depth=1
	s_or_b64 exec, exec, s[6:7]
	v_and_b32_e32 v13, 1, v13
	v_cmp_eq_u32_e32 vcc, 1, v13
	v_and_b32_e32 v13, 1, v32
	v_cmp_eq_u32_e64 s[6:7], 1, v13
	s_or_b64 s[6:7], vcc, s[6:7]
	s_nop 0
	v_cndmask_b32_e64 v13, 0, 1, s[6:7]
	scratch_store_byte off, v13, off offset:164
	scratch_load_dword v13, off, off offset:164
	s_waitcnt lgkmcnt(2)
	scratch_store_dwordx4 off, v[0:3], off offset:132
	s_waitcnt lgkmcnt(0)
	scratch_store_dwordx4 off, v[4:7], off offset:148
.LBB2160_223:                           ;   in Loop: Header=BB2160_200 Depth=1
	s_or_b64 exec, exec, s[20:21]
	ds_bpermute_b32 v34, v25, v0
	ds_bpermute_b32 v35, v25, v1
	;; [unrolled: 1-line block ×4, first 2 shown]
	s_waitcnt vmcnt(2)
	ds_bpermute_b32 v32, v25, v13
	ds_bpermute_b32 v38, v25, v4
	;; [unrolled: 1-line block ×5, first 2 shown]
	v_cmp_le_u32_e32 vcc, v26, v9
	s_waitcnt lgkmcnt(5)
	scratch_store_dwordx4 off, v[34:37], off
	s_waitcnt lgkmcnt(0)
	scratch_store_dwordx4 off, v[38:41], off offset:16
	s_and_saveexec_b64 s[20:21], vcc
	s_cbranch_execz .LBB2160_231
; %bb.224:                              ;   in Loop: Header=BB2160_200 Depth=1
	v_cmp_eq_u16_sdwa s[22:23], v13, v12 src0_sel:BYTE_0 src1_sel:DWORD
	s_and_saveexec_b64 s[6:7], s[22:23]
	s_cbranch_execz .LBB2160_230
; %bb.225:                              ;   in Loop: Header=BB2160_200 Depth=1
	s_mov_b32 s5, 0
.LBB2160_226:                           ;   Parent Loop BB2160_200 Depth=1
                                        ; =>  This Inner Loop Header: Depth=2
	v_add_u32_e32 v0, s5, v14
	s_add_i32 s5, s5, 8
	s_cmp_lg_u32 s5, 32
	ds_write2_b32 v0, v12, v12 offset1:1
	s_cbranch_scc1 .LBB2160_226
; %bb.227:                              ;   in Loop: Header=BB2160_200 Depth=1
	s_mov_b32 s5, 0
.LBB2160_228:                           ;   Parent Loop BB2160_200 Depth=1
                                        ; =>  This Inner Loop Header: Depth=2
	s_add_i32 s22, s5, 0
	s_add_i32 s23, s5, 0x84
	scratch_load_dwordx2 v[0:1], off, s22
	scratch_load_dwordx2 v[2:3], off, s23
	v_add_u32_e32 v4, s5, v14
	s_add_i32 s5, s5, 8
	s_cmp_lg_u32 s5, 32
	s_waitcnt vmcnt(0)
	v_add_u32_e32 v1, v3, v1
	v_add_u32_e32 v0, v2, v0
	ds_write2_b32 v4, v0, v1 offset1:1
	s_cbranch_scc1 .LBB2160_228
; %bb.229:                              ;   in Loop: Header=BB2160_200 Depth=1
	ds_read2_b32 v[0:1], v14 offset1:1
	ds_read2_b32 v[2:3], v14 offset0:2 offset1:3
	ds_read2_b32 v[4:5], v14 offset0:4 offset1:5
	;; [unrolled: 1-line block ×3, first 2 shown]
.LBB2160_230:                           ;   in Loop: Header=BB2160_200 Depth=1
	s_or_b64 exec, exec, s[6:7]
	v_and_b32_e32 v13, 1, v13
	v_cmp_eq_u32_e32 vcc, 1, v13
	v_and_b32_e32 v13, 1, v32
	v_cmp_eq_u32_e64 s[6:7], 1, v13
	s_or_b64 s[6:7], vcc, s[6:7]
	s_nop 0
	v_cndmask_b32_e64 v13, 0, 1, s[6:7]
	scratch_store_byte off, v13, off offset:164
	scratch_load_dword v13, off, off offset:164
	s_waitcnt lgkmcnt(2)
	scratch_store_dwordx4 off, v[0:3], off offset:132
	s_waitcnt lgkmcnt(0)
	scratch_store_dwordx4 off, v[4:7], off offset:148
.LBB2160_231:                           ;   in Loop: Header=BB2160_200 Depth=1
	s_or_b64 exec, exec, s[20:21]
	ds_bpermute_b32 v34, v27, v0
	ds_bpermute_b32 v35, v27, v1
	;; [unrolled: 1-line block ×4, first 2 shown]
	s_waitcnt vmcnt(2)
	ds_bpermute_b32 v32, v27, v13
	ds_bpermute_b32 v38, v27, v4
	ds_bpermute_b32 v39, v27, v5
	ds_bpermute_b32 v40, v27, v6
	ds_bpermute_b32 v41, v27, v7
	v_cmp_le_u32_e32 vcc, v28, v9
	s_waitcnt lgkmcnt(5)
	scratch_store_dwordx4 off, v[34:37], off
	s_waitcnt lgkmcnt(0)
	scratch_store_dwordx4 off, v[38:41], off offset:16
	s_and_saveexec_b64 s[20:21], vcc
	s_cbranch_execz .LBB2160_239
; %bb.232:                              ;   in Loop: Header=BB2160_200 Depth=1
	v_cmp_eq_u16_sdwa s[22:23], v13, v12 src0_sel:BYTE_0 src1_sel:DWORD
	s_and_saveexec_b64 s[6:7], s[22:23]
	s_cbranch_execz .LBB2160_238
; %bb.233:                              ;   in Loop: Header=BB2160_200 Depth=1
	s_mov_b32 s5, 0
.LBB2160_234:                           ;   Parent Loop BB2160_200 Depth=1
                                        ; =>  This Inner Loop Header: Depth=2
	v_add_u32_e32 v0, s5, v14
	s_add_i32 s5, s5, 8
	s_cmp_lg_u32 s5, 32
	ds_write2_b32 v0, v12, v12 offset1:1
	s_cbranch_scc1 .LBB2160_234
; %bb.235:                              ;   in Loop: Header=BB2160_200 Depth=1
	s_mov_b32 s5, 0
.LBB2160_236:                           ;   Parent Loop BB2160_200 Depth=1
                                        ; =>  This Inner Loop Header: Depth=2
	s_add_i32 s22, s5, 0
	s_add_i32 s23, s5, 0x84
	scratch_load_dwordx2 v[0:1], off, s22
	scratch_load_dwordx2 v[2:3], off, s23
	v_add_u32_e32 v4, s5, v14
	s_add_i32 s5, s5, 8
	s_cmp_lg_u32 s5, 32
	s_waitcnt vmcnt(0)
	v_add_u32_e32 v1, v3, v1
	v_add_u32_e32 v0, v2, v0
	ds_write2_b32 v4, v0, v1 offset1:1
	s_cbranch_scc1 .LBB2160_236
; %bb.237:                              ;   in Loop: Header=BB2160_200 Depth=1
	ds_read2_b32 v[0:1], v14 offset1:1
	ds_read2_b32 v[2:3], v14 offset0:2 offset1:3
	ds_read2_b32 v[4:5], v14 offset0:4 offset1:5
	ds_read2_b32 v[6:7], v14 offset0:6 offset1:7
.LBB2160_238:                           ;   in Loop: Header=BB2160_200 Depth=1
	s_or_b64 exec, exec, s[6:7]
	v_and_b32_e32 v13, 1, v13
	v_cmp_eq_u32_e32 vcc, 1, v13
	v_and_b32_e32 v13, 1, v32
	v_cmp_eq_u32_e64 s[6:7], 1, v13
	s_or_b64 s[6:7], vcc, s[6:7]
	s_nop 0
	v_cndmask_b32_e64 v13, 0, 1, s[6:7]
	scratch_store_byte off, v13, off offset:164
	scratch_load_dword v13, off, off offset:164
	s_waitcnt lgkmcnt(2)
	scratch_store_dwordx4 off, v[0:3], off offset:132
	s_waitcnt lgkmcnt(0)
	scratch_store_dwordx4 off, v[4:7], off offset:148
.LBB2160_239:                           ;   in Loop: Header=BB2160_200 Depth=1
	s_or_b64 exec, exec, s[20:21]
	ds_bpermute_b32 v34, v29, v0
	ds_bpermute_b32 v35, v29, v1
	;; [unrolled: 1-line block ×4, first 2 shown]
	s_waitcnt vmcnt(2)
	ds_bpermute_b32 v32, v29, v13
	ds_bpermute_b32 v38, v29, v4
	ds_bpermute_b32 v39, v29, v5
	ds_bpermute_b32 v40, v29, v6
	ds_bpermute_b32 v41, v29, v7
	v_cmp_le_u32_e32 vcc, v30, v9
	s_waitcnt lgkmcnt(5)
	scratch_store_dwordx4 off, v[34:37], off
	s_waitcnt lgkmcnt(0)
	scratch_store_dwordx4 off, v[38:41], off offset:16
	s_and_saveexec_b64 s[20:21], vcc
	s_cbranch_execz .LBB2160_247
; %bb.240:                              ;   in Loop: Header=BB2160_200 Depth=1
	v_cmp_eq_u16_sdwa s[22:23], v13, v12 src0_sel:BYTE_0 src1_sel:DWORD
	s_and_saveexec_b64 s[6:7], s[22:23]
	s_cbranch_execz .LBB2160_246
; %bb.241:                              ;   in Loop: Header=BB2160_200 Depth=1
	s_mov_b32 s5, 0
.LBB2160_242:                           ;   Parent Loop BB2160_200 Depth=1
                                        ; =>  This Inner Loop Header: Depth=2
	v_add_u32_e32 v0, s5, v14
	s_add_i32 s5, s5, 8
	s_cmp_lg_u32 s5, 32
	ds_write2_b32 v0, v12, v12 offset1:1
	s_cbranch_scc1 .LBB2160_242
; %bb.243:                              ;   in Loop: Header=BB2160_200 Depth=1
	s_mov_b32 s5, 0
.LBB2160_244:                           ;   Parent Loop BB2160_200 Depth=1
                                        ; =>  This Inner Loop Header: Depth=2
	s_add_i32 s22, s5, 0
	s_add_i32 s23, s5, 0x84
	scratch_load_dwordx2 v[0:1], off, s22
	scratch_load_dwordx2 v[2:3], off, s23
	v_add_u32_e32 v4, s5, v14
	s_add_i32 s5, s5, 8
	s_cmp_lg_u32 s5, 32
	s_waitcnt vmcnt(0)
	v_add_u32_e32 v1, v3, v1
	v_add_u32_e32 v0, v2, v0
	ds_write2_b32 v4, v0, v1 offset1:1
	s_cbranch_scc1 .LBB2160_244
; %bb.245:                              ;   in Loop: Header=BB2160_200 Depth=1
	ds_read2_b32 v[0:1], v14 offset1:1
	ds_read2_b32 v[2:3], v14 offset0:2 offset1:3
	ds_read2_b32 v[4:5], v14 offset0:4 offset1:5
	;; [unrolled: 1-line block ×3, first 2 shown]
.LBB2160_246:                           ;   in Loop: Header=BB2160_200 Depth=1
	s_or_b64 exec, exec, s[6:7]
	v_and_b32_e32 v13, 1, v13
	v_cmp_eq_u32_e32 vcc, 1, v13
	v_and_b32_e32 v13, 1, v32
	v_cmp_eq_u32_e64 s[6:7], 1, v13
	s_or_b64 s[6:7], vcc, s[6:7]
	s_nop 0
	v_cndmask_b32_e64 v13, 0, 1, s[6:7]
	scratch_store_byte off, v13, off offset:164
	scratch_load_dword v13, off, off offset:164
	s_waitcnt lgkmcnt(2)
	scratch_store_dwordx4 off, v[0:3], off offset:132
	s_waitcnt lgkmcnt(0)
	scratch_store_dwordx4 off, v[4:7], off offset:148
.LBB2160_247:                           ;   in Loop: Header=BB2160_200 Depth=1
	s_or_b64 exec, exec, s[20:21]
	ds_bpermute_b32 v34, v17, v0
	ds_bpermute_b32 v35, v17, v1
	;; [unrolled: 1-line block ×4, first 2 shown]
	s_waitcnt vmcnt(2)
	ds_bpermute_b32 v32, v17, v13
	ds_bpermute_b32 v38, v17, v4
	;; [unrolled: 1-line block ×5, first 2 shown]
	v_cmp_le_u32_e32 vcc, v31, v9
	v_and_b32_e32 v9, 1, v13
	v_cmp_eq_u32_e64 s[6:7], 1, v9
	s_waitcnt lgkmcnt(5)
	scratch_store_dwordx4 off, v[34:37], off
	s_waitcnt lgkmcnt(0)
	scratch_store_dwordx4 off, v[38:41], off offset:16
	s_and_saveexec_b64 s[20:21], vcc
	s_cbranch_execz .LBB2160_255
; %bb.248:                              ;   in Loop: Header=BB2160_200 Depth=1
	v_cmp_eq_u16_sdwa s[34:35], v13, v12 src0_sel:BYTE_0 src1_sel:DWORD
	s_and_saveexec_b64 s[22:23], s[34:35]
	s_cbranch_execz .LBB2160_254
; %bb.249:                              ;   in Loop: Header=BB2160_200 Depth=1
	s_mov_b32 s5, 0
.LBB2160_250:                           ;   Parent Loop BB2160_200 Depth=1
                                        ; =>  This Inner Loop Header: Depth=2
	v_add_u32_e32 v0, s5, v14
	s_add_i32 s5, s5, 8
	s_cmp_lg_u32 s5, 32
	ds_write2_b32 v0, v12, v12 offset1:1
	s_cbranch_scc1 .LBB2160_250
; %bb.251:                              ;   in Loop: Header=BB2160_200 Depth=1
	s_mov_b32 s5, 0
.LBB2160_252:                           ;   Parent Loop BB2160_200 Depth=1
                                        ; =>  This Inner Loop Header: Depth=2
	s_add_i32 s33, s5, 0
	s_add_i32 s34, s5, 0x84
	scratch_load_dwordx2 v[0:1], off, s33
	scratch_load_dwordx2 v[2:3], off, s34
	v_add_u32_e32 v4, s5, v14
	s_add_i32 s5, s5, 8
	s_cmp_lg_u32 s5, 32
	s_waitcnt vmcnt(0)
	v_add_u32_e32 v1, v3, v1
	v_add_u32_e32 v0, v2, v0
	ds_write2_b32 v4, v0, v1 offset1:1
	s_cbranch_scc1 .LBB2160_252
; %bb.253:                              ;   in Loop: Header=BB2160_200 Depth=1
	ds_read2_b32 v[0:1], v14 offset1:1
	ds_read2_b32 v[2:3], v14 offset0:2 offset1:3
	ds_read2_b32 v[4:5], v14 offset0:4 offset1:5
	;; [unrolled: 1-line block ×3, first 2 shown]
.LBB2160_254:                           ;   in Loop: Header=BB2160_200 Depth=1
	s_or_b64 exec, exec, s[22:23]
	v_and_b32_e32 v9, 1, v32
	v_cmp_eq_u32_e32 vcc, 1, v9
	s_or_b64 s[22:23], s[6:7], vcc
	v_cndmask_b32_e64 v9, 0, 1, s[22:23]
	s_andn2_b64 s[6:7], s[6:7], exec
	s_and_b64 s[22:23], s[22:23], exec
	s_or_b64 s[6:7], s[6:7], s[22:23]
	s_waitcnt lgkmcnt(2)
	scratch_store_dwordx4 off, v[0:3], off offset:132
	s_waitcnt lgkmcnt(0)
	scratch_store_dwordx4 off, v[4:7], off offset:148
	scratch_store_byte off, v9, off offset:164
.LBB2160_255:                           ;   in Loop: Header=BB2160_200 Depth=1
	s_or_b64 exec, exec, s[20:21]
	scratch_load_ubyte v9, off, off offset:128
                                        ; implicit-def: $vgpr6_vgpr7
                                        ; implicit-def: $vgpr2_vgpr3
	s_waitcnt vmcnt(0)
	v_cmp_ne_u16_e32 vcc, 0, v9
	s_and_saveexec_b64 s[20:21], vcc
	s_xor_b64 s[20:21], exec, s[20:21]
	s_cbranch_execz .LBB2160_257
; %bb.256:                              ;   in Loop: Header=BB2160_200 Depth=1
	scratch_load_dwordx4 v[0:3], off, off offset:96
	scratch_load_dwordx4 v[4:7], off, off offset:112
.LBB2160_257:                           ;   in Loop: Header=BB2160_200 Depth=1
	s_andn2_saveexec_b64 s[20:21], s[20:21]
	s_cbranch_execz .LBB2160_199
; %bb.258:                              ;   in Loop: Header=BB2160_200 Depth=1
	s_mov_b32 s5, 0
.LBB2160_259:                           ;   Parent Loop BB2160_200 Depth=1
                                        ; =>  This Inner Loop Header: Depth=2
	s_add_i32 s22, s5, 0
	s_add_i32 s5, s5, 8
	v_mov_b32_e32 v13, v12
	s_cmp_lg_u32 s5, 32
	scratch_store_dwordx2 off, v[12:13], s22
	s_cbranch_scc1 .LBB2160_259
; %bb.260:                              ;   in Loop: Header=BB2160_200 Depth=1
	s_mov_b32 s5, 0
.LBB2160_261:                           ;   Parent Loop BB2160_200 Depth=1
                                        ; =>  This Inner Loop Header: Depth=2
	s_add_i32 s22, s5, 0x84
	s_add_i32 s23, s5, 0x60
	scratch_load_dwordx2 v[0:1], off, s22
	scratch_load_dwordx2 v[2:3], off, s23
	s_add_i32 s22, s5, 0
	s_add_i32 s5, s5, 8
	s_cmp_lg_u32 s5, 32
	s_waitcnt vmcnt(0)
	v_add_u32_e32 v1, v3, v1
	v_add_u32_e32 v0, v2, v0
	scratch_store_dwordx2 off, v[0:1], s22
	s_cbranch_scc1 .LBB2160_261
; %bb.262:                              ;   in Loop: Header=BB2160_200 Depth=1
	scratch_load_dwordx4 v[0:3], off, off
	scratch_load_dwordx4 v[4:7], off, off offset:16
	s_branch .LBB2160_199
.LBB2160_263:                           ;   in Loop: Header=BB2160_200 Depth=1
                                        ; implicit-def: $vgpr8
                                        ; implicit-def: $vgpr18
	s_cbranch_execz .LBB2160_200
; %bb.264:
	scratch_load_dwordx4 v[4:7], off, off offset:96
	scratch_load_dwordx4 v[0:3], off, off offset:112
	scratch_load_dword v15, off, off offset:128
	s_waitcnt vmcnt(2)
	scratch_store_dwordx4 off, v[4:7], off
	s_waitcnt vmcnt(2)
	scratch_store_dwordx4 off, v[0:3], off offset:16
	s_waitcnt vmcnt(2)
	scratch_store_dword off, v15, off offset:32
	s_and_saveexec_b64 s[6:7], s[2:3]
	s_cbranch_execz .LBB2160_274
; %bb.265:
	scratch_load_ubyte v17, off, off offset:200
                                        ; implicit-def: $vgpr18_vgpr19
                                        ; implicit-def: $vgpr8_vgpr9
                                        ; implicit-def: $vgpr22
                                        ; implicit-def: $vgpr12
	s_waitcnt vmcnt(0)
	v_cmp_ne_u16_e32 vcc, 0, v17
	s_and_saveexec_b64 s[2:3], vcc
	s_xor_b64 s[2:3], exec, s[2:3]
	s_cbranch_execz .LBB2160_267
; %bb.266:
	scratch_load_dwordx3 v[12:14], off, off offset:168
	scratch_load_dwordx4 v[8:11], off, off offset:180
	scratch_load_dword v22, off, off offset:196
	s_waitcnt vmcnt(2)
	v_mov_b32_e32 v18, v13
	v_mov_b32_e32 v19, v14
.LBB2160_267:
	s_andn2_saveexec_b64 s[2:3], s[2:3]
	s_cbranch_execz .LBB2160_273
; %bb.268:
	s_waitcnt vmcnt(1)
	v_mov_b32_e32 v8, 0
	s_mov_b32 s5, 0
	v_mov_b32_e32 v9, v8
.LBB2160_269:                           ; =>This Inner Loop Header: Depth=1
	s_add_i32 s12, s5, 0x60
	s_add_i32 s5, s5, 8
	s_cmp_lg_u32 s5, 32
	scratch_store_dwordx2 off, v[8:9], s12
	s_cbranch_scc1 .LBB2160_269
; %bb.270:
	s_mov_b32 s5, 0
.LBB2160_271:                           ; =>This Inner Loop Header: Depth=1
	s_add_i32 s12, s5, 0
	s_add_i32 s13, s5, 0xa8
	scratch_load_dwordx2 v[8:9], off, s12
	scratch_load_dwordx2 v[10:11], off, s13
	s_add_i32 s12, s5, 0x60
	s_add_i32 s5, s5, 8
	s_cmp_lg_u32 s5, 32
	s_waitcnt vmcnt(0)
	v_add_u32_e32 v9, v11, v9
	v_add_u32_e32 v8, v10, v8
	scratch_store_dwordx2 off, v[8:9], s12
	s_cbranch_scc1 .LBB2160_271
; %bb.272:
	scratch_load_dwordx3 v[12:14], off, off offset:96
	scratch_load_dwordx4 v[8:11], off, off offset:108
	scratch_load_dword v22, off, off offset:124
	s_waitcnt vmcnt(2)
	v_mov_b32_e32 v18, v13
	v_mov_b32_e32 v19, v14
.LBB2160_273:
	s_or_b64 exec, exec, s[2:3]
	s_add_i32 s4, s4, 64
	v_and_b32_e32 v13, 1, v17
	s_mul_i32 s2, s4, 36
	v_and_b32_e32 v14, 1, v15
	v_cmp_eq_u32_e32 vcc, 1, v13
	s_mul_hi_u32 s3, s4, 36
	s_add_u32 s2, s14, s2
	v_cndmask_b32_e64 v13, v14, 1, vcc
	s_addc_u32 s3, s15, s3
	v_mov_b32_e32 v14, 0
	global_store_dword v14, v12, s[2:3] sc1
	global_store_dword v14, v18, s[2:3] offset:4 sc1
	global_store_dword v14, v19, s[2:3] offset:8 sc1
	s_waitcnt vmcnt(4)
	global_store_dword v14, v8, s[2:3] offset:12 sc1
	global_store_dword v14, v9, s[2:3] offset:16 sc1
	;; [unrolled: 1-line block ×4, first 2 shown]
	s_waitcnt vmcnt(7)
	global_store_dword v14, v22, s[2:3] offset:28 sc1
	global_store_dword v14, v13, s[2:3] offset:32 sc1
	v_mov_b32_e32 v8, s4
	v_mov_b32_e32 v9, 2
	s_waitcnt vmcnt(0)
	global_store_byte v8, v9, s[16:17] sc1
.LBB2160_274:
	s_or_b64 exec, exec, s[6:7]
	v_cmp_eq_u32_e32 vcc, 0, v16
	s_and_b64 exec, exec, vcc
	s_cbranch_execz .LBB2160_276
; %bb.275:
	v_mov_b32_e32 v8, 0
	ds_write2_b32 v8, v4, v5 offset0:27 offset1:28
	ds_write2_b32 v8, v6, v7 offset0:29 offset1:30
	;; [unrolled: 1-line block ×4, first 2 shown]
	ds_write_b8 v8, v15 offset:140
.LBB2160_276:
	s_or_b64 exec, exec, s[8:9]
	s_waitcnt lgkmcnt(0)
	s_barrier
	scratch_load_dwordx4 v[0:3], off, off offset:272
	scratch_load_dwordx4 v[4:7], off, off offset:288
	scratch_load_dword v8, off, off offset:304
	v_mov_b32_e32 v9, 0
	ds_read2_b32 v[10:11], v9 offset0:27 offset1:28
	ds_read2_b32 v[12:13], v9 offset0:29 offset1:30
	;; [unrolled: 1-line block ×4, first 2 shown]
	ds_read_b32 v9, v9 offset:140
	v_cmp_ne_u32_e32 vcc, 0, v16
	s_waitcnt lgkmcnt(3)
	scratch_store_dwordx4 off, v[10:13], off
	s_waitcnt lgkmcnt(1)
	scratch_store_dwordx4 off, v[22:25], off offset:16
	s_waitcnt lgkmcnt(0)
	scratch_store_dword off, v9, off offset:32
	scratch_store_dwordx4 off, v[10:13], off offset:132
	scratch_store_dwordx4 off, v[22:25], off offset:148
	scratch_store_dword off, v9, off offset:164
	s_waitcnt vmcnt(8)
	scratch_store_dwordx4 off, v[0:3], off offset:96
	s_waitcnt vmcnt(8)
	scratch_store_dwordx4 off, v[4:7], off offset:112
	s_waitcnt vmcnt(8)
	scratch_store_dword off, v8, off offset:128
                                        ; implicit-def: $vgpr8
	s_and_saveexec_b64 s[2:3], vcc
	s_xor_b64 s[2:3], exec, s[2:3]
	s_cbranch_execz .LBB2160_286
; %bb.277:
	scratch_load_ubyte v8, off, off offset:236
                                        ; implicit-def: $vgpr6_vgpr7
                                        ; implicit-def: $vgpr2_vgpr3
	s_waitcnt vmcnt(0)
	v_cmp_ne_u16_e32 vcc, 0, v8
	s_and_saveexec_b64 s[4:5], vcc
	s_xor_b64 s[4:5], exec, s[4:5]
	s_cbranch_execz .LBB2160_279
; %bb.278:
	scratch_load_dwordx4 v[0:3], off, off offset:204
	scratch_load_dwordx4 v[4:7], off, off offset:220
.LBB2160_279:
	s_andn2_saveexec_b64 s[4:5], s[4:5]
	s_cbranch_execz .LBB2160_285
; %bb.280:
	s_waitcnt vmcnt(1)
	v_mov_b32_e32 v0, 0
	s_mov_b32 s6, 0
	v_mov_b32_e32 v1, v0
.LBB2160_281:                           ; =>This Inner Loop Header: Depth=1
	s_add_i32 s7, s6, 0xa8
	s_add_i32 s6, s6, 8
	s_cmp_lg_u32 s6, 32
	scratch_store_dwordx2 off, v[0:1], s7
	s_cbranch_scc1 .LBB2160_281
; %bb.282:
	s_mov_b32 s6, 0
.LBB2160_283:                           ; =>This Inner Loop Header: Depth=1
	s_add_i32 s7, s6, 0
	s_add_i32 s8, s6, 0xcc
	scratch_load_dwordx2 v[0:1], off, s7
	scratch_load_dwordx2 v[2:3], off, s8
	s_add_i32 s7, s6, 0xa8
	s_add_i32 s6, s6, 8
	s_cmp_lg_u32 s6, 32
	s_waitcnt vmcnt(0)
	v_add_u32_e32 v1, v3, v1
	v_add_u32_e32 v0, v2, v0
	scratch_store_dwordx2 off, v[0:1], s7
	s_cbranch_scc1 .LBB2160_283
; %bb.284:
	scratch_load_dwordx4 v[0:3], off, off offset:168
	scratch_load_dwordx4 v[4:7], off, off offset:184
.LBB2160_285:
	s_or_b64 exec, exec, s[4:5]
	v_or_b32_e32 v8, v8, v9
	v_and_b32_e32 v8, 1, v8
	s_waitcnt vmcnt(1)
	scratch_store_dwordx4 off, v[0:3], off offset:132
	s_waitcnt vmcnt(1)
	scratch_store_dwordx4 off, v[4:7], off offset:148
.LBB2160_286:
	s_andn2_saveexec_b64 s[2:3], s[2:3]
	s_cbranch_execz .LBB2160_288
; %bb.287:
	scratch_load_ubyte v8, off, off offset:164
.LBB2160_288:
	s_or_b64 exec, exec, s[2:3]
	scratch_load_dwordx4 v[0:3], off, off offset:132
	scratch_load_dwordx4 v[4:7], off, off offset:148
	scratch_load_ubyte v9, off, off offset:128
	s_waitcnt vmcnt(3)
	scratch_store_byte off, v8, off offset:304
	s_waitcnt vmcnt(3)
	scratch_store_dwordx4 off, v[0:3], off offset:272
	s_waitcnt vmcnt(3)
	scratch_store_dwordx4 off, v[4:7], off offset:288
	s_waitcnt vmcnt(3)
	v_cmp_ne_u16_e32 vcc, 0, v9
                                        ; implicit-def: $vgpr6_vgpr7
                                        ; implicit-def: $vgpr2_vgpr3
	s_and_saveexec_b64 s[2:3], vcc
	s_xor_b64 s[2:3], exec, s[2:3]
	s_cbranch_execz .LBB2160_290
; %bb.289:
	scratch_load_dwordx4 v[0:3], off, off offset:96
	scratch_load_dwordx4 v[4:7], off, off offset:112
.LBB2160_290:
	s_andn2_saveexec_b64 s[2:3], s[2:3]
	s_cbranch_execz .LBB2160_296
; %bb.291:
	s_waitcnt vmcnt(1)
	v_mov_b32_e32 v0, 0
	s_mov_b32 s4, 0
	v_mov_b32_e32 v1, v0
.LBB2160_292:                           ; =>This Inner Loop Header: Depth=1
	s_add_i32 s5, s4, 0xa8
	s_add_i32 s4, s4, 8
	s_cmp_lg_u32 s4, 32
	scratch_store_dwordx2 off, v[0:1], s5
	s_cbranch_scc1 .LBB2160_292
; %bb.293:
	s_mov_b32 s4, 0
.LBB2160_294:                           ; =>This Inner Loop Header: Depth=1
	s_add_i32 s5, s4, 0x84
	s_add_i32 s6, s4, 0x60
	scratch_load_dwordx2 v[0:1], off, s5
	scratch_load_dwordx2 v[2:3], off, s6
	s_add_i32 s5, s4, 0xa8
	s_add_i32 s4, s4, 8
	s_cmp_lg_u32 s4, 32
	s_waitcnt vmcnt(0)
	v_add_u32_e32 v1, v3, v1
	v_add_u32_e32 v0, v2, v0
	scratch_store_dwordx2 off, v[0:1], s5
	s_cbranch_scc1 .LBB2160_294
; %bb.295:
	scratch_load_dwordx4 v[0:3], off, off offset:168
	scratch_load_dwordx4 v[4:7], off, off offset:184
.LBB2160_296:
	s_or_b64 exec, exec, s[2:3]
	scratch_load_dwordx4 v[12:15], v20, off
	scratch_load_dwordx4 v[22:25], v20, off offset:16
	scratch_load_ubyte v10, off, off offset:340
	v_or_b32_e32 v8, v9, v8
	s_waitcnt vmcnt(4)
	scratch_store_dwordx4 off, v[0:3], off offset:132
	s_waitcnt vmcnt(4)
	scratch_store_dwordx4 off, v[4:7], off offset:148
	scratch_store_dwordx4 v20, v[0:3], off
	scratch_store_dwordx4 v20, v[4:7], off offset:16
                                        ; implicit-def: $vgpr6_vgpr7
                                        ; implicit-def: $vgpr2_vgpr3
	s_waitcnt vmcnt(4)
	v_cmp_ne_u16_e64 s[2:3], 0, v10
	v_and_b32_e32 v0, 1, v8
	v_cmp_eq_u32_e32 vcc, 1, v0
	scratch_store_byte off, v0, off offset:340
	scratch_store_dwordx4 off, v[12:15], off offset:96
	scratch_store_dwordx4 off, v[22:25], off offset:112
	s_and_saveexec_b64 s[4:5], s[2:3]
	s_xor_b64 s[2:3], exec, s[4:5]
	s_cbranch_execz .LBB2160_298
; %bb.297:
	scratch_load_dwordx4 v[0:3], off, off offset:96
	scratch_load_dwordx4 v[4:7], off, off offset:112
.LBB2160_298:
	s_andn2_saveexec_b64 s[2:3], s[2:3]
	s_cbranch_execz .LBB2160_304
; %bb.299:
	s_waitcnt vmcnt(1)
	v_mov_b32_e32 v0, 0
	s_mov_b32 s4, 0
	v_mov_b32_e32 v1, v0
.LBB2160_300:                           ; =>This Inner Loop Header: Depth=1
	s_add_i32 s5, s4, 0xa8
	s_add_i32 s4, s4, 8
	s_cmp_lg_u32 s4, 32
	scratch_store_dwordx2 off, v[0:1], s5
	s_cbranch_scc1 .LBB2160_300
; %bb.301:
	s_mov_b32 s4, 0
.LBB2160_302:                           ; =>This Inner Loop Header: Depth=1
	s_add_i32 s5, s4, 0x84
	s_add_i32 s6, s4, 0x60
	scratch_load_dwordx2 v[0:1], off, s5
	scratch_load_dwordx2 v[2:3], off, s6
	s_add_i32 s5, s4, 0xa8
	s_add_i32 s4, s4, 8
	s_cmp_lg_u32 s4, 32
	s_waitcnt vmcnt(0)
	v_add_u32_e32 v1, v3, v1
	v_add_u32_e32 v0, v2, v0
	scratch_store_dwordx2 off, v[0:1], s5
	s_cbranch_scc1 .LBB2160_302
; %bb.303:
	scratch_load_dwordx4 v[0:3], off, off offset:168
	scratch_load_dwordx4 v[4:7], off, off offset:184
.LBB2160_304:
	s_or_b64 exec, exec, s[2:3]
	v_and_b32_e32 v8, 1, v10
	v_cmp_eq_u32_e64 s[2:3], 1, v8
	s_or_b64 s[2:3], s[2:3], vcc
	s_nop 0
	v_cndmask_b32_e64 v8, 0, 1, s[2:3]
	s_waitcnt vmcnt(1)
	scratch_store_dwordx4 v21, v[0:3], off
	s_waitcnt vmcnt(1)
	scratch_store_dwordx4 v21, v[4:7], off offset:16
	scratch_store_byte off, v8, off offset:376
	s_branch .LBB2160_445
.LBB2160_305:
	s_cbranch_execz .LBB2160_445
; %bb.306:
	s_cmp_lg_u64 s[30:31], 0
	s_cselect_b32 s3, s11, 0
	s_cselect_b32 s2, s10, 0
	s_mov_b32 s4, 0
	s_cmp_eq_u64 s[2:3], 0
	v_mov_b64_e32 v[4:5], s[36:37]
	v_mov_b64_e32 v[6:7], s[38:39]
	;; [unrolled: 1-line block ×4, first 2 shown]
	s_cbranch_scc1 .LBB2160_308
; %bb.307:
	v_mov_b32_e32 v8, 0
	global_load_dwordx4 v[0:3], v8, s[2:3] offset:16
	global_load_dwordx4 v[4:7], v8, s[2:3]
.LBB2160_308:
	s_mov_b32 s6, s4
	s_mov_b32 s7, s4
	v_mov_b32_e32 v8, 0
	s_mov_b32 s5, s4
	v_mov_b64_e32 v[12:13], s[6:7]
	v_mov_b64_e32 v[10:11], s[4:5]
	v_mov_b32_e32 v9, v8
	scratch_store_dword off, v8, off offset:412
	scratch_store_dwordx4 off, v[10:13], off offset:396
	scratch_store_dwordx4 off, v[10:13], off offset:380
.LBB2160_309:                           ; =>This Inner Loop Header: Depth=1
	s_add_i32 s2, s4, 0x17c
	s_add_i32 s4, s4, 8
	s_cmp_lg_u32 s4, 32
	scratch_store_dwordx2 off, v[8:9], s2
	s_cbranch_scc1 .LBB2160_309
; %bb.310:
	scratch_load_dwordx4 v[8:11], off, off offset:272
	scratch_load_dwordx4 v[12:15], off, off offset:288
	scratch_load_dword v17, off, off offset:304
	scratch_load_ubyte v18, off, off offset:340
	v_mov_b32_e32 v19, 0
	s_waitcnt vmcnt(8)
	scratch_store_dwordx4 off, v[4:7], off offset:204
	scratch_store_dwordx4 off, v[0:3], off offset:220
	scratch_store_byte off, v19, off offset:412
	scratch_store_byte off, v19, off offset:236
	s_waitcnt vmcnt(7)
	scratch_store_dwordx4 off, v[8:11], off offset:168
	s_waitcnt vmcnt(7)
	scratch_store_dwordx4 off, v[12:15], off offset:184
	s_waitcnt vmcnt(7)
	scratch_store_dword off, v17, off offset:200
	s_waitcnt vmcnt(7)
	v_cmp_ne_u16_e32 vcc, 0, v18
                                        ; implicit-def: $vgpr14_vgpr15
                                        ; implicit-def: $vgpr10_vgpr11
	s_and_saveexec_b64 s[2:3], vcc
	s_xor_b64 s[2:3], exec, s[2:3]
	s_cbranch_execz .LBB2160_312
; %bb.311:
	scratch_load_dwordx4 v[8:11], off, off offset:308
	scratch_load_dwordx4 v[12:15], off, off offset:324
.LBB2160_312:
	s_andn2_saveexec_b64 s[2:3], s[2:3]
	s_cbranch_execz .LBB2160_318
; %bb.313:
	s_waitcnt vmcnt(1)
	v_mov_b32_e32 v8, 0
	s_mov_b32 s4, 0
	v_mov_b32_e32 v9, v8
.LBB2160_314:                           ; =>This Inner Loop Header: Depth=1
	s_add_i32 s5, s4, 0
	s_add_i32 s4, s4, 8
	s_cmp_lg_u32 s4, 32
	scratch_store_dwordx2 off, v[8:9], s5
	s_cbranch_scc1 .LBB2160_314
; %bb.315:
	s_mov_b32 s4, 0
.LBB2160_316:                           ; =>This Inner Loop Header: Depth=1
	s_add_i32 s5, s4, 0xa8
	s_waitcnt vmcnt(1)
	v_add_u32_e32 v12, s4, v20
	scratch_load_dwordx2 v[8:9], off, s5
	scratch_load_dwordx2 v[10:11], v12, off
	s_add_i32 s5, s4, 0
	s_add_i32 s4, s4, 8
	s_cmp_lg_u32 s4, 32
	s_waitcnt vmcnt(0)
	v_add_u32_e32 v9, v11, v9
	v_add_u32_e32 v8, v10, v8
	scratch_store_dwordx2 off, v[8:9], s5
	s_cbranch_scc1 .LBB2160_316
; %bb.317:
	scratch_load_dwordx4 v[8:11], off, off
	scratch_load_dwordx4 v[12:15], off, off offset:16
.LBB2160_318:
	s_or_b64 exec, exec, s[2:3]
	scratch_load_ubyte v19, off, off offset:376
	s_waitcnt vmcnt(2)
	scratch_store_dwordx4 off, v[8:11], off offset:168
	s_waitcnt vmcnt(2)
	scratch_store_dwordx4 off, v[12:15], off offset:184
                                        ; implicit-def: $vgpr14_vgpr15
                                        ; implicit-def: $vgpr10_vgpr11
	s_waitcnt vmcnt(2)
	v_cmp_ne_u16_e32 vcc, 0, v19
	s_and_saveexec_b64 s[2:3], vcc
	s_xor_b64 s[2:3], exec, s[2:3]
	s_cbranch_execz .LBB2160_320
; %bb.319:
	scratch_load_dwordx4 v[8:11], off, off offset:344
	scratch_load_dwordx4 v[12:15], off, off offset:360
.LBB2160_320:
	s_andn2_saveexec_b64 s[2:3], s[2:3]
	s_cbranch_execz .LBB2160_326
; %bb.321:
	s_waitcnt vmcnt(1)
	v_mov_b32_e32 v8, 0
	s_mov_b32 s4, 0
	v_mov_b32_e32 v9, v8
.LBB2160_322:                           ; =>This Inner Loop Header: Depth=1
	s_add_i32 s5, s4, 0
	s_add_i32 s4, s4, 8
	s_cmp_lg_u32 s4, 32
	scratch_store_dwordx2 off, v[8:9], s5
	s_cbranch_scc1 .LBB2160_322
; %bb.323:
	s_mov_b32 s4, 0
.LBB2160_324:                           ; =>This Inner Loop Header: Depth=1
	s_add_i32 s5, s4, 0xa8
	s_waitcnt vmcnt(1)
	v_add_u32_e32 v12, s4, v21
	scratch_load_dwordx2 v[8:9], off, s5
	scratch_load_dwordx2 v[10:11], v12, off
	s_add_i32 s5, s4, 0
	s_add_i32 s4, s4, 8
	s_cmp_lg_u32 s4, 32
	s_waitcnt vmcnt(0)
	v_add_u32_e32 v9, v11, v9
	v_add_u32_e32 v8, v10, v8
	scratch_store_dwordx2 off, v[8:9], s5
	s_cbranch_scc1 .LBB2160_324
; %bb.325:
	scratch_load_dwordx4 v[8:11], off, off
	scratch_load_dwordx4 v[12:15], off, off offset:16
.LBB2160_326:
	s_or_b64 exec, exec, s[2:3]
	v_or_b32_e32 v18, v19, v18
	v_or_b32_e32 v17, v18, v17
	v_and_b32_e32 v17, 1, v17
	scratch_store_byte off, v17, off offset:200
	scratch_load_dword v22, off, off offset:200
	v_mbcnt_lo_u32_b32 v17, -1, 0
	v_mbcnt_hi_u32_b32 v17, -1, v17
	v_and_b32_e32 v23, 15, v17
	v_mov_b32_e32 v19, 0
	s_waitcnt vmcnt(3)
	v_mov_b32_dpp v24, v8 row_shr:1 row_mask:0xf bank_mask:0xf
	v_mov_b32_dpp v25, v9 row_shr:1 row_mask:0xf bank_mask:0xf
	;; [unrolled: 1-line block ×4, first 2 shown]
	v_cmp_ne_u32_e32 vcc, 0, v23
	scratch_store_dwordx4 off, v[4:7], off offset:132
	scratch_store_dwordx4 off, v[0:3], off offset:148
	;; [unrolled: 1-line block ×3, first 2 shown]
	s_waitcnt vmcnt(5)
	scratch_store_dwordx4 off, v[12:15], off offset:184
	v_mov_b32_dpp v28, v12 row_shr:1 row_mask:0xf bank_mask:0xf
	v_mov_b32_dpp v29, v13 row_shr:1 row_mask:0xf bank_mask:0xf
	;; [unrolled: 1-line block ×4, first 2 shown]
	scratch_store_byte off, v19, off offset:164
	scratch_store_dwordx4 off, v[24:27], off
	scratch_store_dwordx4 off, v[28:31], off offset:16
	s_waitcnt vmcnt(7)
	v_mov_b32_dpp v18, v22 row_shr:1 row_mask:0xf bank_mask:0xf
	scratch_store_dword off, v18, off offset:32
	s_and_saveexec_b64 s[2:3], vcc
	s_xor_b64 s[2:3], exec, s[2:3]
	s_cbranch_execz .LBB2160_334
; %bb.327:
	v_cmp_eq_u16_sdwa s[6:7], v22, v19 src0_sel:BYTE_0 src1_sel:DWORD
	s_and_saveexec_b64 s[4:5], s[6:7]
	s_cbranch_execz .LBB2160_333
; %bb.328:
	v_mov_b32_e32 v8, 0
	s_mov_b32 s6, 0
	v_mov_b32_e32 v9, v8
.LBB2160_329:                           ; =>This Inner Loop Header: Depth=1
	s_add_i32 s7, s6, 0x60
	s_add_i32 s6, s6, 8
	s_cmp_lg_u32 s6, 32
	scratch_store_dwordx2 off, v[8:9], s7
	s_cbranch_scc1 .LBB2160_329
; %bb.330:
	s_mov_b32 s6, 0
.LBB2160_331:                           ; =>This Inner Loop Header: Depth=1
	s_add_i32 s7, s6, 0
	s_add_i32 s8, s6, 0xa8
	scratch_load_dwordx2 v[8:9], off, s7
	scratch_load_dwordx2 v[10:11], off, s8
	s_add_i32 s7, s6, 0x60
	s_add_i32 s6, s6, 8
	s_cmp_lg_u32 s6, 32
	s_waitcnt vmcnt(0)
	v_add_u32_e32 v9, v11, v9
	v_add_u32_e32 v8, v10, v8
	scratch_store_dwordx2 off, v[8:9], s7
	s_cbranch_scc1 .LBB2160_331
; %bb.332:
	scratch_load_dwordx4 v[8:11], off, off offset:96
	scratch_load_dwordx4 v[12:15], off, off offset:112
.LBB2160_333:
	s_or_b64 exec, exec, s[4:5]
	v_or_b32_e32 v18, v18, v22
	v_and_b32_e32 v18, 1, v18
	scratch_store_byte off, v18, off offset:200
	scratch_load_dword v22, off, off offset:200
	s_waitcnt vmcnt(3)
	scratch_store_dwordx4 off, v[8:11], off offset:168
	s_waitcnt vmcnt(3)
	scratch_store_dwordx4 off, v[12:15], off offset:184
.LBB2160_334:
	s_or_b64 exec, exec, s[2:3]
	v_mov_b32_dpp v26, v8 row_shr:2 row_mask:0xf bank_mask:0xf
	v_mov_b32_dpp v27, v9 row_shr:2 row_mask:0xf bank_mask:0xf
	;; [unrolled: 1-line block ×4, first 2 shown]
	s_waitcnt vmcnt(2)
	v_mov_b32_dpp v24, v22 row_shr:2 row_mask:0xf bank_mask:0xf
	v_cmp_lt_u32_e32 vcc, 1, v23
	v_mov_b32_dpp v30, v12 row_shr:2 row_mask:0xf bank_mask:0xf
	v_mov_b32_dpp v31, v13 row_shr:2 row_mask:0xf bank_mask:0xf
	;; [unrolled: 1-line block ×4, first 2 shown]
	scratch_store_dwordx4 off, v[26:29], off
	scratch_store_dwordx4 off, v[30:33], off offset:16
	scratch_store_dword off, v24, off offset:32
	s_and_saveexec_b64 s[4:5], vcc
	s_cbranch_execz .LBB2160_342
; %bb.335:
	v_mov_b32_e32 v18, 0
	s_mov_b32 s6, 0
	v_cmp_eq_u16_sdwa s[8:9], v22, v18 src0_sel:BYTE_0 src1_sel:DWORD
	s_and_saveexec_b64 s[2:3], s[8:9]
	s_cbranch_execz .LBB2160_341
; %bb.336:
	v_mov_b32_e32 v19, v18
.LBB2160_337:                           ; =>This Inner Loop Header: Depth=1
	s_add_i32 s7, s6, 0x60
	s_add_i32 s6, s6, 8
	s_cmp_lg_u32 s6, 32
	scratch_store_dwordx2 off, v[18:19], s7
	s_cbranch_scc1 .LBB2160_337
; %bb.338:
	s_mov_b32 s6, 0
.LBB2160_339:                           ; =>This Inner Loop Header: Depth=1
	s_add_i32 s7, s6, 0
	s_add_i32 s8, s6, 0xa8
	scratch_load_dwordx2 v[8:9], off, s7
	scratch_load_dwordx2 v[10:11], off, s8
	s_add_i32 s7, s6, 0x60
	s_add_i32 s6, s6, 8
	s_cmp_lg_u32 s6, 32
	s_waitcnt vmcnt(0)
	v_add_u32_e32 v9, v11, v9
	v_add_u32_e32 v8, v10, v8
	scratch_store_dwordx2 off, v[8:9], s7
	s_cbranch_scc1 .LBB2160_339
; %bb.340:
	scratch_load_dwordx4 v[8:11], off, off offset:96
	scratch_load_dwordx4 v[12:15], off, off offset:112
.LBB2160_341:
	s_or_b64 exec, exec, s[2:3]
	v_and_b32_e32 v18, 1, v22
	v_cmp_eq_u32_e32 vcc, 1, v18
	v_and_b32_e32 v18, 1, v24
	v_cmp_eq_u32_e64 s[2:3], 1, v18
	s_or_b64 s[2:3], vcc, s[2:3]
	s_nop 0
	v_cndmask_b32_e64 v18, 0, 1, s[2:3]
	scratch_store_byte off, v18, off offset:200
	scratch_load_dword v22, off, off offset:200
	s_waitcnt vmcnt(3)
	scratch_store_dwordx4 off, v[8:11], off offset:168
	s_waitcnt vmcnt(3)
	scratch_store_dwordx4 off, v[12:15], off offset:184
.LBB2160_342:
	s_or_b64 exec, exec, s[4:5]
	v_mov_b32_dpp v26, v8 row_shr:4 row_mask:0xf bank_mask:0xf
	v_mov_b32_dpp v27, v9 row_shr:4 row_mask:0xf bank_mask:0xf
	;; [unrolled: 1-line block ×4, first 2 shown]
	s_waitcnt vmcnt(2)
	v_mov_b32_dpp v24, v22 row_shr:4 row_mask:0xf bank_mask:0xf
	v_cmp_lt_u32_e32 vcc, 3, v23
	v_mov_b32_dpp v30, v12 row_shr:4 row_mask:0xf bank_mask:0xf
	v_mov_b32_dpp v31, v13 row_shr:4 row_mask:0xf bank_mask:0xf
	;; [unrolled: 1-line block ×4, first 2 shown]
	scratch_store_dwordx4 off, v[26:29], off
	scratch_store_dwordx4 off, v[30:33], off offset:16
	scratch_store_dword off, v24, off offset:32
	s_and_saveexec_b64 s[4:5], vcc
	s_cbranch_execz .LBB2160_350
; %bb.343:
	v_mov_b32_e32 v18, 0
	s_mov_b32 s6, 0
	v_cmp_eq_u16_sdwa s[8:9], v22, v18 src0_sel:BYTE_0 src1_sel:DWORD
	s_and_saveexec_b64 s[2:3], s[8:9]
	s_cbranch_execz .LBB2160_349
; %bb.344:
	v_mov_b32_e32 v19, v18
.LBB2160_345:                           ; =>This Inner Loop Header: Depth=1
	s_add_i32 s7, s6, 0x60
	s_add_i32 s6, s6, 8
	s_cmp_lg_u32 s6, 32
	scratch_store_dwordx2 off, v[18:19], s7
	s_cbranch_scc1 .LBB2160_345
; %bb.346:
	s_mov_b32 s6, 0
.LBB2160_347:                           ; =>This Inner Loop Header: Depth=1
	s_add_i32 s7, s6, 0
	s_add_i32 s8, s6, 0xa8
	scratch_load_dwordx2 v[8:9], off, s7
	scratch_load_dwordx2 v[10:11], off, s8
	s_add_i32 s7, s6, 0x60
	s_add_i32 s6, s6, 8
	s_cmp_lg_u32 s6, 32
	s_waitcnt vmcnt(0)
	v_add_u32_e32 v9, v11, v9
	v_add_u32_e32 v8, v10, v8
	scratch_store_dwordx2 off, v[8:9], s7
	s_cbranch_scc1 .LBB2160_347
; %bb.348:
	scratch_load_dwordx4 v[8:11], off, off offset:96
	scratch_load_dwordx4 v[12:15], off, off offset:112
.LBB2160_349:
	s_or_b64 exec, exec, s[2:3]
	v_and_b32_e32 v18, 1, v22
	v_cmp_eq_u32_e32 vcc, 1, v18
	v_and_b32_e32 v18, 1, v24
	v_cmp_eq_u32_e64 s[2:3], 1, v18
	s_or_b64 s[2:3], vcc, s[2:3]
	s_nop 0
	v_cndmask_b32_e64 v18, 0, 1, s[2:3]
	scratch_store_byte off, v18, off offset:200
	scratch_load_dword v22, off, off offset:200
	s_waitcnt vmcnt(3)
	scratch_store_dwordx4 off, v[8:11], off offset:168
	s_waitcnt vmcnt(3)
	scratch_store_dwordx4 off, v[12:15], off offset:184
.LBB2160_350:
	s_or_b64 exec, exec, s[4:5]
	v_mov_b32_dpp v26, v8 row_shr:8 row_mask:0xf bank_mask:0xf
	v_mov_b32_dpp v27, v9 row_shr:8 row_mask:0xf bank_mask:0xf
	;; [unrolled: 1-line block ×4, first 2 shown]
	s_waitcnt vmcnt(2)
	v_mov_b32_dpp v24, v22 row_shr:8 row_mask:0xf bank_mask:0xf
	v_cmp_lt_u32_e32 vcc, 7, v23
	v_mov_b32_dpp v30, v12 row_shr:8 row_mask:0xf bank_mask:0xf
	v_mov_b32_dpp v31, v13 row_shr:8 row_mask:0xf bank_mask:0xf
	;; [unrolled: 1-line block ×4, first 2 shown]
	scratch_store_dwordx4 off, v[26:29], off
	scratch_store_dwordx4 off, v[30:33], off offset:16
	scratch_store_dword off, v24, off offset:32
	s_and_saveexec_b64 s[4:5], vcc
	s_cbranch_execz .LBB2160_358
; %bb.351:
	v_mov_b32_e32 v18, 0
	s_mov_b32 s6, 0
	v_cmp_eq_u16_sdwa s[8:9], v22, v18 src0_sel:BYTE_0 src1_sel:DWORD
	s_and_saveexec_b64 s[2:3], s[8:9]
	s_cbranch_execz .LBB2160_357
; %bb.352:
	v_mov_b32_e32 v19, v18
.LBB2160_353:                           ; =>This Inner Loop Header: Depth=1
	s_add_i32 s7, s6, 0x60
	s_add_i32 s6, s6, 8
	s_cmp_lg_u32 s6, 32
	scratch_store_dwordx2 off, v[18:19], s7
	s_cbranch_scc1 .LBB2160_353
; %bb.354:
	s_mov_b32 s6, 0
.LBB2160_355:                           ; =>This Inner Loop Header: Depth=1
	s_add_i32 s7, s6, 0
	s_add_i32 s8, s6, 0xa8
	scratch_load_dwordx2 v[8:9], off, s7
	scratch_load_dwordx2 v[10:11], off, s8
	s_add_i32 s7, s6, 0x60
	s_add_i32 s6, s6, 8
	s_cmp_lg_u32 s6, 32
	s_waitcnt vmcnt(0)
	v_add_u32_e32 v9, v11, v9
	v_add_u32_e32 v8, v10, v8
	scratch_store_dwordx2 off, v[8:9], s7
	s_cbranch_scc1 .LBB2160_355
; %bb.356:
	scratch_load_dwordx4 v[8:11], off, off offset:96
	scratch_load_dwordx4 v[12:15], off, off offset:112
.LBB2160_357:
	s_or_b64 exec, exec, s[2:3]
	v_and_b32_e32 v18, 1, v22
	v_cmp_eq_u32_e32 vcc, 1, v18
	v_and_b32_e32 v18, 1, v24
	v_cmp_eq_u32_e64 s[2:3], 1, v18
	s_or_b64 s[2:3], vcc, s[2:3]
	s_nop 0
	v_cndmask_b32_e64 v18, 0, 1, s[2:3]
	scratch_store_byte off, v18, off offset:200
	scratch_load_dword v22, off, off offset:200
	s_waitcnt vmcnt(3)
	scratch_store_dwordx4 off, v[8:11], off offset:168
	s_waitcnt vmcnt(3)
	scratch_store_dwordx4 off, v[12:15], off offset:184
.LBB2160_358:
	s_or_b64 exec, exec, s[4:5]
	v_and_b32_e32 v18, 16, v17
	v_mov_b32_dpp v24, v8 row_bcast:15 row_mask:0xf bank_mask:0xf
	v_mov_b32_dpp v25, v9 row_bcast:15 row_mask:0xf bank_mask:0xf
	v_mov_b32_dpp v26, v10 row_bcast:15 row_mask:0xf bank_mask:0xf
	v_mov_b32_dpp v27, v11 row_bcast:15 row_mask:0xf bank_mask:0xf
	s_waitcnt vmcnt(2)
	v_mov_b32_dpp v23, v22 row_bcast:15 row_mask:0xf bank_mask:0xf
	v_cmp_ne_u32_e32 vcc, 0, v18
	v_mov_b32_dpp v28, v12 row_bcast:15 row_mask:0xf bank_mask:0xf
	v_mov_b32_dpp v29, v13 row_bcast:15 row_mask:0xf bank_mask:0xf
	;; [unrolled: 1-line block ×4, first 2 shown]
	scratch_store_dwordx4 off, v[24:27], off
	scratch_store_dwordx4 off, v[28:31], off offset:16
	scratch_store_dword off, v23, off offset:32
	s_and_saveexec_b64 s[4:5], vcc
	s_cbranch_execz .LBB2160_366
; %bb.359:
	v_mov_b32_e32 v18, 0
	s_mov_b32 s6, 0
	v_cmp_eq_u16_sdwa s[8:9], v22, v18 src0_sel:BYTE_0 src1_sel:DWORD
	s_and_saveexec_b64 s[2:3], s[8:9]
	s_cbranch_execz .LBB2160_365
; %bb.360:
	v_mov_b32_e32 v19, v18
.LBB2160_361:                           ; =>This Inner Loop Header: Depth=1
	s_add_i32 s7, s6, 0x60
	s_add_i32 s6, s6, 8
	s_cmp_lg_u32 s6, 32
	scratch_store_dwordx2 off, v[18:19], s7
	s_cbranch_scc1 .LBB2160_361
; %bb.362:
	s_mov_b32 s6, 0
.LBB2160_363:                           ; =>This Inner Loop Header: Depth=1
	s_add_i32 s7, s6, 0
	s_add_i32 s8, s6, 0xa8
	scratch_load_dwordx2 v[8:9], off, s7
	scratch_load_dwordx2 v[10:11], off, s8
	s_add_i32 s7, s6, 0x60
	s_add_i32 s6, s6, 8
	s_cmp_lg_u32 s6, 32
	s_waitcnt vmcnt(0)
	v_add_u32_e32 v9, v11, v9
	v_add_u32_e32 v8, v10, v8
	scratch_store_dwordx2 off, v[8:9], s7
	s_cbranch_scc1 .LBB2160_363
; %bb.364:
	scratch_load_dwordx4 v[8:11], off, off offset:96
	scratch_load_dwordx4 v[12:15], off, off offset:112
.LBB2160_365:
	s_or_b64 exec, exec, s[2:3]
	v_and_b32_e32 v18, 1, v22
	v_cmp_eq_u32_e32 vcc, 1, v18
	v_and_b32_e32 v18, 1, v23
	v_cmp_eq_u32_e64 s[2:3], 1, v18
	s_or_b64 s[2:3], vcc, s[2:3]
	s_nop 0
	v_cndmask_b32_e64 v18, 0, 1, s[2:3]
	scratch_store_byte off, v18, off offset:200
	scratch_load_dword v22, off, off offset:200
	s_waitcnt vmcnt(3)
	scratch_store_dwordx4 off, v[8:11], off offset:168
	s_waitcnt vmcnt(3)
	scratch_store_dwordx4 off, v[12:15], off offset:184
.LBB2160_366:
	s_or_b64 exec, exec, s[4:5]
	v_mov_b32_dpp v24, v8 row_bcast:31 row_mask:0xf bank_mask:0xf
	v_mov_b32_dpp v25, v9 row_bcast:31 row_mask:0xf bank_mask:0xf
	;; [unrolled: 1-line block ×4, first 2 shown]
	s_waitcnt vmcnt(2)
	v_mov_b32_dpp v23, v22 row_bcast:31 row_mask:0xf bank_mask:0xf
	v_cmp_lt_u32_e32 vcc, 31, v17
	v_mov_b32_dpp v28, v12 row_bcast:31 row_mask:0xf bank_mask:0xf
	v_mov_b32_dpp v29, v13 row_bcast:31 row_mask:0xf bank_mask:0xf
	;; [unrolled: 1-line block ×4, first 2 shown]
	scratch_store_dwordx4 off, v[24:27], off
	scratch_store_dwordx4 off, v[28:31], off offset:16
	scratch_store_dword off, v23, off offset:32
	s_and_saveexec_b64 s[4:5], vcc
	s_cbranch_execz .LBB2160_374
; %bb.367:
	v_mov_b32_e32 v18, 0
	s_mov_b32 s6, 0
	v_cmp_eq_u16_sdwa s[8:9], v22, v18 src0_sel:BYTE_0 src1_sel:DWORD
	s_and_saveexec_b64 s[2:3], s[8:9]
	s_cbranch_execz .LBB2160_373
; %bb.368:
	v_mov_b32_e32 v19, v18
.LBB2160_369:                           ; =>This Inner Loop Header: Depth=1
	s_add_i32 s7, s6, 0x60
	s_add_i32 s6, s6, 8
	s_cmp_lg_u32 s6, 32
	scratch_store_dwordx2 off, v[18:19], s7
	s_cbranch_scc1 .LBB2160_369
; %bb.370:
	s_mov_b32 s6, 0
.LBB2160_371:                           ; =>This Inner Loop Header: Depth=1
	s_add_i32 s7, s6, 0
	s_add_i32 s8, s6, 0xa8
	scratch_load_dwordx2 v[8:9], off, s7
	scratch_load_dwordx2 v[10:11], off, s8
	s_add_i32 s7, s6, 0x60
	s_add_i32 s6, s6, 8
	s_cmp_lg_u32 s6, 32
	s_waitcnt vmcnt(0)
	v_add_u32_e32 v9, v11, v9
	v_add_u32_e32 v8, v10, v8
	scratch_store_dwordx2 off, v[8:9], s7
	s_cbranch_scc1 .LBB2160_371
; %bb.372:
	scratch_load_dwordx4 v[8:11], off, off offset:96
	scratch_load_dwordx4 v[12:15], off, off offset:112
.LBB2160_373:
	s_or_b64 exec, exec, s[2:3]
	v_and_b32_e32 v18, 1, v22
	v_cmp_eq_u32_e32 vcc, 1, v18
	v_and_b32_e32 v18, 1, v23
	v_cmp_eq_u32_e64 s[2:3], 1, v18
	s_or_b64 s[2:3], vcc, s[2:3]
	s_nop 0
	v_cndmask_b32_e64 v22, 0, 1, s[2:3]
	s_waitcnt vmcnt(1)
	scratch_store_dwordx4 off, v[8:11], off offset:168
	s_waitcnt vmcnt(1)
	scratch_store_dwordx4 off, v[12:15], off offset:184
	scratch_store_byte off, v22, off offset:200
.LBB2160_374:
	s_or_b64 exec, exec, s[4:5]
	v_or_b32_e32 v18, 63, v16
	v_lshrrev_b32_e32 v23, 6, v16
	v_cmp_eq_u32_e32 vcc, v18, v16
	s_and_saveexec_b64 s[2:3], vcc
	s_cbranch_execz .LBB2160_376
; %bb.375:
	v_mul_u32_u24_e32 v18, 36, v23
	ds_write2_b32 v18, v8, v9 offset1:1
	ds_write2_b32 v18, v10, v11 offset0:2 offset1:3
	ds_write2_b32 v18, v12, v13 offset0:4 offset1:5
	;; [unrolled: 1-line block ×3, first 2 shown]
	ds_write_b8 v18, v22 offset:32
.LBB2160_376:
	s_or_b64 exec, exec, s[2:3]
	v_cmp_gt_u32_e32 vcc, 4, v16
	s_waitcnt lgkmcnt(0)
	s_barrier
	s_and_saveexec_b64 s[4:5], vcc
	s_cbranch_execz .LBB2160_394
; %bb.377:
	v_mul_u32_u24_e32 v22, 36, v16
	ds_read_b32 v24, v22 offset:32
	ds_read2_b32 v[12:13], v22 offset0:4 offset1:5
	ds_read2_b32 v[10:11], v22 offset0:2 offset1:3
	ds_read2_b32 v[8:9], v22 offset1:1
	ds_read2_b32 v[14:15], v22 offset0:6 offset1:7
	v_and_b32_e32 v25, 3, v17
	s_waitcnt lgkmcnt(4)
	v_mov_b32_dpp v26, v24 row_shr:1 row_mask:0xf bank_mask:0xf
	s_waitcnt lgkmcnt(2)
	v_mov_b32_dpp v30, v10 row_shr:1 row_mask:0xf bank_mask:0xf
	;; [unrolled: 2-line block ×3, first 2 shown]
	v_mov_b32_dpp v29, v9 row_shr:1 row_mask:0xf bank_mask:0xf
	v_mov_b32_dpp v31, v11 row_shr:1 row_mask:0xf bank_mask:0xf
	v_cmp_ne_u32_e32 vcc, 0, v25
	scratch_store_dword off, v24, off offset:128
	scratch_store_dwordx4 off, v[8:11], off offset:96
	s_waitcnt lgkmcnt(0)
	scratch_store_dwordx4 off, v[12:15], off offset:112
	v_mov_b32_dpp v32, v12 row_shr:1 row_mask:0xf bank_mask:0xf
	v_mov_b32_dpp v33, v13 row_shr:1 row_mask:0xf bank_mask:0xf
	;; [unrolled: 1-line block ×4, first 2 shown]
	scratch_store_dwordx4 off, v[28:31], off
	scratch_store_dwordx4 off, v[32:35], off offset:16
	scratch_store_dword off, v26, off offset:32
	s_and_saveexec_b64 s[2:3], vcc
	s_cbranch_execz .LBB2160_385
; %bb.378:
	v_mov_b32_e32 v18, 0
	v_cmp_eq_u16_sdwa s[8:9], v24, v18 src0_sel:BYTE_0 src1_sel:DWORD
	s_and_saveexec_b64 s[6:7], s[8:9]
	s_cbranch_execz .LBB2160_384
; %bb.379:
	s_mov_b32 s8, 0
	v_mov_b32_e32 v19, v18
.LBB2160_380:                           ; =>This Inner Loop Header: Depth=1
	s_add_i32 s9, s8, 0xf0
	s_add_i32 s8, s8, 8
	s_cmp_lg_u32 s8, 32
	scratch_store_dwordx2 off, v[18:19], s9
	s_cbranch_scc1 .LBB2160_380
; %bb.381:
	s_mov_b32 s8, 0
.LBB2160_382:                           ; =>This Inner Loop Header: Depth=1
	s_add_i32 s9, s8, 0
	s_add_i32 s10, s8, 0x60
	scratch_load_dwordx2 v[8:9], off, s9
	scratch_load_dwordx2 v[10:11], off, s10
	s_add_i32 s9, s8, 0xf0
	s_add_i32 s8, s8, 8
	s_cmp_lg_u32 s8, 32
	s_waitcnt vmcnt(0)
	v_add_u32_e32 v9, v11, v9
	v_add_u32_e32 v8, v10, v8
	scratch_store_dwordx2 off, v[8:9], s9
	s_cbranch_scc1 .LBB2160_382
; %bb.383:
	scratch_load_dwordx4 v[8:11], off, off offset:240
	scratch_load_dwordx4 v[12:15], off, off offset:256
.LBB2160_384:
	s_or_b64 exec, exec, s[6:7]
	v_or_b32_e32 v18, v26, v24
	v_and_b32_e32 v18, 1, v18
	scratch_store_byte off, v18, off offset:128
	scratch_load_dword v24, off, off offset:128
	s_waitcnt vmcnt(3)
	scratch_store_dwordx4 off, v[8:11], off offset:96
	s_waitcnt vmcnt(3)
	scratch_store_dwordx4 off, v[12:15], off offset:112
.LBB2160_385:
	s_or_b64 exec, exec, s[2:3]
	v_mov_b32_dpp v28, v8 row_shr:2 row_mask:0xf bank_mask:0xf
	v_mov_b32_dpp v29, v9 row_shr:2 row_mask:0xf bank_mask:0xf
	;; [unrolled: 1-line block ×4, first 2 shown]
	s_waitcnt vmcnt(2)
	v_mov_b32_dpp v26, v24 row_shr:2 row_mask:0xf bank_mask:0xf
	v_cmp_lt_u32_e32 vcc, 1, v25
	v_mov_b32_dpp v32, v12 row_shr:2 row_mask:0xf bank_mask:0xf
	v_mov_b32_dpp v33, v13 row_shr:2 row_mask:0xf bank_mask:0xf
	;; [unrolled: 1-line block ×4, first 2 shown]
	scratch_store_dwordx4 off, v[28:31], off
	scratch_store_dwordx4 off, v[32:35], off offset:16
	scratch_store_dword off, v26, off offset:32
	s_and_saveexec_b64 s[6:7], vcc
	s_cbranch_execz .LBB2160_393
; %bb.386:
	v_mov_b32_e32 v18, 0
	s_mov_b32 s8, 0
	v_cmp_eq_u16_sdwa s[10:11], v24, v18 src0_sel:BYTE_0 src1_sel:DWORD
	s_and_saveexec_b64 s[2:3], s[10:11]
	s_cbranch_execz .LBB2160_392
; %bb.387:
	v_mov_b32_e32 v19, v18
.LBB2160_388:                           ; =>This Inner Loop Header: Depth=1
	s_add_i32 s9, s8, 0xf0
	s_add_i32 s8, s8, 8
	s_cmp_lg_u32 s8, 32
	scratch_store_dwordx2 off, v[18:19], s9
	s_cbranch_scc1 .LBB2160_388
; %bb.389:
	s_mov_b32 s8, 0
.LBB2160_390:                           ; =>This Inner Loop Header: Depth=1
	s_add_i32 s9, s8, 0
	s_add_i32 s10, s8, 0x60
	scratch_load_dwordx2 v[8:9], off, s9
	scratch_load_dwordx2 v[10:11], off, s10
	s_add_i32 s9, s8, 0xf0
	s_add_i32 s8, s8, 8
	s_cmp_lg_u32 s8, 32
	s_waitcnt vmcnt(0)
	v_add_u32_e32 v9, v11, v9
	v_add_u32_e32 v8, v10, v8
	scratch_store_dwordx2 off, v[8:9], s9
	s_cbranch_scc1 .LBB2160_390
; %bb.391:
	scratch_load_dwordx4 v[8:11], off, off offset:240
	scratch_load_dwordx4 v[12:15], off, off offset:256
.LBB2160_392:
	s_or_b64 exec, exec, s[2:3]
	v_and_b32_e32 v18, 1, v24
	v_cmp_eq_u32_e32 vcc, 1, v18
	v_and_b32_e32 v18, 1, v26
	v_cmp_eq_u32_e64 s[2:3], 1, v18
	s_or_b64 s[2:3], vcc, s[2:3]
	s_waitcnt vmcnt(1)
	scratch_store_dwordx4 off, v[8:11], off offset:96
	s_waitcnt vmcnt(1)
	scratch_store_dwordx4 off, v[12:15], off offset:112
	v_cndmask_b32_e64 v24, 0, 1, s[2:3]
.LBB2160_393:
	s_or_b64 exec, exec, s[6:7]
	scratch_load_dwordx4 v[8:11], off, off offset:96
	scratch_load_dwordx4 v[12:15], off, off offset:112
	s_waitcnt vmcnt(1)
	ds_write2_b32 v22, v10, v11 offset0:2 offset1:3
	ds_write2_b32 v22, v8, v9 offset1:1
	s_waitcnt vmcnt(0)
	ds_write2_b32 v22, v14, v15 offset0:6 offset1:7
	ds_write2_b32 v22, v12, v13 offset0:4 offset1:5
	ds_write_b8 v22, v24 offset:32
.LBB2160_394:
	s_or_b64 exec, exec, s[4:5]
	s_waitcnt lgkmcnt(0)
	s_barrier
	scratch_load_dwordx4 v[8:11], off, off offset:132
	scratch_load_dwordx4 v[12:15], off, off offset:148
	scratch_load_dword v18, off, off offset:164
	v_cmp_lt_u32_e32 vcc, 63, v16
	s_waitcnt vmcnt(2)
	scratch_store_dwordx4 off, v[8:11], off
	s_waitcnt vmcnt(2)
	scratch_store_dwordx4 off, v[12:15], off offset:16
	s_waitcnt vmcnt(2)
	scratch_store_dword off, v18, off offset:32
	s_and_saveexec_b64 s[2:3], vcc
	s_cbranch_execz .LBB2160_404
; %bb.395:
	v_not_b32_e32 v8, 35
	v_mad_u32_u24 v19, v23, 36, v8
	ds_read_u8 v18, v19 offset:32
                                        ; implicit-def: $vgpr10_vgpr11
                                        ; implicit-def: $vgpr14_vgpr15
	s_waitcnt lgkmcnt(0)
	v_cmp_ne_u16_e32 vcc, 0, v18
	s_and_saveexec_b64 s[4:5], vcc
	s_xor_b64 s[4:5], exec, s[4:5]
	s_cbranch_execz .LBB2160_397
; %bb.396:
	ds_read2_b32 v[12:13], v19 offset1:1
	ds_read2_b32 v[14:15], v19 offset0:2 offset1:3
	ds_read2_b32 v[8:9], v19 offset0:4 offset1:5
	;; [unrolled: 1-line block ×3, first 2 shown]
                                        ; implicit-def: $vgpr19
.LBB2160_397:
	s_andn2_saveexec_b64 s[4:5], s[4:5]
	s_cbranch_execz .LBB2160_403
; %bb.398:
	s_waitcnt lgkmcnt(1)
	v_mov_b32_e32 v8, 0
	s_mov_b32 s6, 0
	v_mov_b32_e32 v9, v8
.LBB2160_399:                           ; =>This Inner Loop Header: Depth=1
	s_add_i32 s7, s6, 0x60
	s_add_i32 s6, s6, 8
	s_cmp_lg_u32 s6, 32
	scratch_store_dwordx2 off, v[8:9], s7
	s_cbranch_scc1 .LBB2160_399
; %bb.400:
	s_mov_b32 s6, 0
.LBB2160_401:                           ; =>This Inner Loop Header: Depth=1
	s_add_i32 s7, s6, 0x84
	scratch_load_dwordx2 v[8:9], off, s7
	s_waitcnt lgkmcnt(0)
	v_add_u32_e32 v10, s6, v19
	ds_read2_b32 v[10:11], v10 offset1:1
	s_add_i32 s7, s6, 0x60
	s_add_i32 s6, s6, 8
	s_cmp_lg_u32 s6, 32
	s_waitcnt vmcnt(0) lgkmcnt(0)
	v_add_u32_e32 v9, v11, v9
	v_add_u32_e32 v8, v10, v8
	scratch_store_dwordx2 off, v[8:9], s7
	s_cbranch_scc1 .LBB2160_401
; %bb.402:
	scratch_load_dwordx4 v[12:15], off, off offset:96
	scratch_load_dwordx4 v[8:11], off, off offset:112
.LBB2160_403:
	s_or_b64 exec, exec, s[4:5]
	scratch_load_ubyte v19, off, off offset:164
	s_waitcnt vmcnt(2) lgkmcnt(2)
	scratch_store_dwordx4 off, v[12:15], off
	s_waitcnt vmcnt(1)
	s_nop 0
	v_or_b32_e32 v12, v18, v19
	v_and_b32_e32 v12, 1, v12
	s_waitcnt lgkmcnt(0)
	scratch_store_dwordx4 off, v[8:11], off offset:16
	scratch_store_byte off, v12, off offset:32
.LBB2160_404:
	s_or_b64 exec, exec, s[2:3]
	scratch_load_ubyte v15, off, off offset:200
                                        ; implicit-def: $vgpr18_vgpr19
                                        ; implicit-def: $vgpr8_vgpr9
                                        ; implicit-def: $vgpr22
                                        ; implicit-def: $vgpr12
	s_waitcnt vmcnt(0)
	v_cmp_ne_u16_e32 vcc, 0, v15
	s_and_saveexec_b64 s[2:3], vcc
	s_xor_b64 s[2:3], exec, s[2:3]
	s_cbranch_execz .LBB2160_406
; %bb.405:
	scratch_load_dwordx3 v[12:14], off, off offset:168
	scratch_load_dwordx4 v[8:11], off, off offset:180
	scratch_load_dword v22, off, off offset:196
	s_waitcnt vmcnt(2)
	v_mov_b32_e32 v18, v13
	v_mov_b32_e32 v19, v14
.LBB2160_406:
	s_andn2_saveexec_b64 s[2:3], s[2:3]
	s_cbranch_execz .LBB2160_412
; %bb.407:
	s_waitcnt vmcnt(1)
	v_mov_b32_e32 v8, 0
	s_mov_b32 s4, 0
	v_mov_b32_e32 v9, v8
.LBB2160_408:                           ; =>This Inner Loop Header: Depth=1
	s_add_i32 s5, s4, 0x60
	s_add_i32 s4, s4, 8
	s_cmp_lg_u32 s4, 32
	scratch_store_dwordx2 off, v[8:9], s5
	s_cbranch_scc1 .LBB2160_408
; %bb.409:
	s_mov_b32 s4, 0
.LBB2160_410:                           ; =>This Inner Loop Header: Depth=1
	s_add_i32 s5, s4, 0
	s_add_i32 s6, s4, 0xa8
	scratch_load_dwordx2 v[8:9], off, s5
	scratch_load_dwordx2 v[10:11], off, s6
	s_add_i32 s5, s4, 0x60
	s_add_i32 s4, s4, 8
	s_cmp_lg_u32 s4, 32
	s_waitcnt vmcnt(0)
	v_add_u32_e32 v9, v11, v9
	v_add_u32_e32 v8, v10, v8
	scratch_store_dwordx2 off, v[8:9], s5
	s_cbranch_scc1 .LBB2160_410
; %bb.411:
	scratch_load_dwordx3 v[12:14], off, off offset:96
	scratch_load_dwordx4 v[8:11], off, off offset:108
	scratch_load_dword v22, off, off offset:124
	s_waitcnt vmcnt(2)
	v_mov_b32_e32 v18, v13
	v_mov_b32_e32 v19, v14
.LBB2160_412:
	s_or_b64 exec, exec, s[2:3]
	scratch_load_ubyte v13, off, off offset:32
	v_and_b32_e32 v23, 64, v17
	s_waitcnt vmcnt(0)
	v_or_b32_e32 v14, v15, v13
	v_and_b32_e32 v14, 1, v14
	scratch_store_byte off, v14, off offset:200
	scratch_load_dword v14, off, off offset:200
	v_add_u32_e32 v15, -1, v17
	v_cmp_lt_i32_e32 vcc, v15, v23
	s_nop 1
	v_cndmask_b32_e32 v15, v15, v17, vcc
	v_lshlrev_b32_e32 v15, 2, v15
	ds_bpermute_b32 v24, v15, v12
	ds_bpermute_b32 v25, v15, v18
	;; [unrolled: 1-line block ×8, first 2 shown]
	v_cmp_eq_u32_e32 vcc, 0, v17
	s_waitcnt lgkmcnt(4)
	scratch_store_dwordx4 off, v[24:27], off offset:168
	s_waitcnt lgkmcnt(0)
	scratch_store_dwordx4 off, v[28:31], off offset:184
	s_waitcnt vmcnt(2)
	ds_bpermute_b32 v9, v15, v14
	s_and_saveexec_b64 s[2:3], vcc
	s_cbranch_execz .LBB2160_414
; %bb.413:
	s_waitcnt lgkmcnt(0)
	scratch_load_dwordx4 v[8:11], off, off
	scratch_load_dwordx4 v[22:25], off, off offset:16
	s_waitcnt vmcnt(1)
	scratch_store_dwordx4 off, v[8:11], off offset:168
	s_waitcnt vmcnt(1)
	scratch_store_dwordx4 off, v[22:25], off offset:184
	v_mov_b32_e32 v9, v13
.LBB2160_414:
	s_or_b64 exec, exec, s[2:3]
	scratch_load_dwordx4 v[10:13], off, off offset:272
	scratch_load_dwordx4 v[22:25], off, off offset:288
	scratch_load_dword v14, off, off offset:304
	v_mov_b32_e32 v8, 0
	v_cmp_eq_u32_e64 s[2:3], 0, v16
	v_cmp_ne_u32_e32 vcc, 0, v16
	scratch_store_dwordx4 off, v[4:7], off offset:96
	scratch_store_dwordx4 off, v[0:3], off offset:112
	scratch_store_byte off, v8, off offset:128
	s_waitcnt vmcnt(5)
	scratch_store_dwordx4 off, v[10:13], off
	s_waitcnt vmcnt(5)
	scratch_store_dwordx4 off, v[22:25], off offset:16
	s_waitcnt vmcnt(5)
	scratch_store_dword off, v14, off offset:32
	s_and_saveexec_b64 s[4:5], vcc
	s_cbranch_execz .LBB2160_416
; %bb.415:
	scratch_load_dwordx4 v[0:3], off, off offset:168
	scratch_load_dwordx4 v[4:7], off, off offset:184
	s_waitcnt lgkmcnt(0)
	v_mov_b32_e32 v8, v9
	s_waitcnt vmcnt(1)
	scratch_store_dwordx4 off, v[0:3], off offset:96
	s_waitcnt vmcnt(1)
	scratch_store_dwordx4 off, v[4:7], off offset:112
.LBB2160_416:
	s_or_b64 exec, exec, s[4:5]
	scratch_load_dwordx4 v[0:3], off, off offset:96
	scratch_load_dwordx4 v[4:7], off, off offset:112
	s_waitcnt lgkmcnt(0)
	scratch_load_ubyte v9, off, off offset:32
	s_nop 0
	scratch_store_byte off, v8, off offset:304
	s_waitcnt vmcnt(3)
	scratch_store_dwordx4 off, v[0:3], off offset:272
	s_waitcnt vmcnt(3)
	scratch_store_dwordx4 off, v[4:7], off offset:288
	s_waitcnt vmcnt(3)
	v_cmp_ne_u16_e32 vcc, 0, v9
                                        ; implicit-def: $vgpr6_vgpr7
                                        ; implicit-def: $vgpr2_vgpr3
	s_and_saveexec_b64 s[4:5], vcc
	s_xor_b64 s[4:5], exec, s[4:5]
	s_cbranch_execz .LBB2160_418
; %bb.417:
	scratch_load_dwordx4 v[0:3], off, off
	scratch_load_dwordx4 v[4:7], off, off offset:16
.LBB2160_418:
	s_andn2_saveexec_b64 s[4:5], s[4:5]
	s_cbranch_execz .LBB2160_424
; %bb.419:
	s_waitcnt vmcnt(1)
	v_mov_b32_e32 v0, 0
	s_mov_b32 s6, 0
	v_mov_b32_e32 v1, v0
.LBB2160_420:                           ; =>This Inner Loop Header: Depth=1
	s_add_i32 s7, s6, 0x84
	s_add_i32 s6, s6, 8
	s_cmp_lg_u32 s6, 32
	scratch_store_dwordx2 off, v[0:1], s7
	s_cbranch_scc1 .LBB2160_420
; %bb.421:
	s_mov_b32 s6, 0
.LBB2160_422:                           ; =>This Inner Loop Header: Depth=1
	s_add_i32 s7, s6, 0x60
	s_add_i32 s8, s6, 0
	scratch_load_dwordx2 v[0:1], off, s7
	scratch_load_dwordx2 v[2:3], off, s8
	s_add_i32 s7, s6, 0x84
	s_add_i32 s6, s6, 8
	s_cmp_lg_u32 s6, 32
	s_waitcnt vmcnt(0)
	v_add_u32_e32 v1, v3, v1
	v_add_u32_e32 v0, v2, v0
	scratch_store_dwordx2 off, v[0:1], s7
	s_cbranch_scc1 .LBB2160_422
; %bb.423:
	scratch_load_dwordx4 v[0:3], off, off offset:132
	scratch_load_dwordx4 v[4:7], off, off offset:148
.LBB2160_424:
	s_or_b64 exec, exec, s[4:5]
	scratch_load_dwordx4 v[12:15], v20, off
	scratch_load_dwordx4 v[22:25], v20, off offset:16
	scratch_load_ubyte v10, off, off offset:340
	v_or_b32_e32 v8, v9, v8
	s_waitcnt vmcnt(4)
	scratch_store_dwordx4 off, v[0:3], off offset:96
	s_waitcnt vmcnt(4)
	scratch_store_dwordx4 off, v[4:7], off offset:112
	scratch_store_dwordx4 v20, v[0:3], off
	scratch_store_dwordx4 v20, v[4:7], off offset:16
                                        ; implicit-def: $vgpr6_vgpr7
                                        ; implicit-def: $vgpr2_vgpr3
	s_waitcnt vmcnt(4)
	v_cmp_ne_u16_e64 s[4:5], 0, v10
	v_and_b32_e32 v0, 1, v8
	v_cmp_eq_u32_e32 vcc, 1, v0
	scratch_store_byte off, v0, off offset:340
	scratch_store_dwordx4 off, v[12:15], off
	scratch_store_dwordx4 off, v[22:25], off offset:16
	s_and_saveexec_b64 s[6:7], s[4:5]
	s_xor_b64 s[4:5], exec, s[6:7]
	s_cbranch_execz .LBB2160_426
; %bb.425:
	scratch_load_dwordx4 v[0:3], off, off
	scratch_load_dwordx4 v[4:7], off, off offset:16
.LBB2160_426:
	s_andn2_saveexec_b64 s[4:5], s[4:5]
	s_cbranch_execz .LBB2160_432
; %bb.427:
	s_waitcnt vmcnt(1)
	v_mov_b32_e32 v0, 0
	s_mov_b32 s6, 0
	v_mov_b32_e32 v1, v0
.LBB2160_428:                           ; =>This Inner Loop Header: Depth=1
	s_add_i32 s7, s6, 0x84
	s_add_i32 s6, s6, 8
	s_cmp_lg_u32 s6, 32
	scratch_store_dwordx2 off, v[0:1], s7
	s_cbranch_scc1 .LBB2160_428
; %bb.429:
	s_mov_b32 s6, 0
.LBB2160_430:                           ; =>This Inner Loop Header: Depth=1
	s_add_i32 s7, s6, 0x60
	s_add_i32 s8, s6, 0
	scratch_load_dwordx2 v[0:1], off, s7
	scratch_load_dwordx2 v[2:3], off, s8
	s_add_i32 s7, s6, 0x84
	s_add_i32 s6, s6, 8
	s_cmp_lg_u32 s6, 32
	s_waitcnt vmcnt(0)
	v_add_u32_e32 v1, v3, v1
	v_add_u32_e32 v0, v2, v0
	scratch_store_dwordx2 off, v[0:1], s7
	s_cbranch_scc1 .LBB2160_430
; %bb.431:
	scratch_load_dwordx4 v[0:3], off, off offset:132
	scratch_load_dwordx4 v[4:7], off, off offset:148
.LBB2160_432:
	s_or_b64 exec, exec, s[4:5]
	v_and_b32_e32 v8, 1, v10
	v_cmp_eq_u32_e64 s[4:5], 1, v8
	v_mov_b32_e32 v8, 0
	ds_read2_b32 v[12:13], v8 offset0:33 offset1:34
	ds_read2_b32 v[10:11], v8 offset0:31 offset1:32
	;; [unrolled: 1-line block ×4, first 2 shown]
	ds_read_u8 v8, v8 offset:140
	s_or_b64 s[4:5], s[4:5], vcc
	v_cndmask_b32_e64 v9, 0, 1, s[4:5]
	s_waitcnt vmcnt(1)
	scratch_store_dwordx4 v21, v[0:3], off
	s_waitcnt vmcnt(1)
	scratch_store_dwordx4 v21, v[4:7], off offset:16
	scratch_store_byte off, v9, off offset:376
	s_waitcnt lgkmcnt(1)
	scratch_store_dwordx4 off, v[22:25], off offset:380
	scratch_store_dwordx4 off, v[10:13], off offset:396
	s_waitcnt lgkmcnt(0)
	v_cmp_ne_u16_e32 vcc, 0, v8
	s_cbranch_vccz .LBB2160_436
; %bb.433:
	scratch_load_dwordx4 v[0:3], off, off offset:380
	scratch_load_dwordx4 v[4:7], off, off offset:396
	s_cbranch_execz .LBB2160_437
	s_branch .LBB2160_442
.LBB2160_434:
	v_lshlrev_b64 v[10:11], 5, v[16:17]
	v_lshl_add_u64 v[18:19], s[20:21], 0, v[10:11]
	flat_load_dwordx4 v[10:13], v[18:19]
	flat_load_dwordx4 v[22:25], v[18:19] offset:16
	s_waitcnt vmcnt(0) lgkmcnt(0)
	scratch_store_dwordx4 off, v[10:13], off
	scratch_store_dwordx4 off, v[22:25], off offset:16
	s_or_b64 exec, exec, s[8:9]
	s_and_saveexec_b64 s[8:9], s[2:3]
	s_cbranch_execz .LBB2160_25
.LBB2160_435:
	v_lshlrev_b32_e32 v10, 5, v6
	v_mov_b32_e32 v11, 0
	v_lshl_add_u64 v[18:19], s[20:21], 0, v[10:11]
	flat_load_dwordx4 v[10:13], v[18:19]
	flat_load_dwordx4 v[22:25], v[18:19] offset:16
	s_waitcnt vmcnt(0) lgkmcnt(0)
	scratch_store_dwordx4 off, v[10:13], off offset:32
	scratch_store_dwordx4 off, v[22:25], off offset:48
	s_or_b64 exec, exec, s[8:9]
	v_mul_u32_u24_e32 v6, 3, v16
	s_and_saveexec_b64 s[2:3], s[6:7]
	s_cbranch_execnz .LBB2160_26
	s_branch .LBB2160_27
.LBB2160_436:
                                        ; implicit-def: $vgpr6_vgpr7
                                        ; implicit-def: $vgpr2_vgpr3
.LBB2160_437:
	s_waitcnt vmcnt(1)
	v_mov_b32_e32 v0, 0
	s_mov_b32 s4, 0
	v_mov_b32_e32 v1, v0
.LBB2160_438:                           ; =>This Inner Loop Header: Depth=1
	s_add_i32 s5, s4, 0
	s_add_i32 s4, s4, 8
	s_cmp_lg_u32 s4, 32
	scratch_store_dwordx2 off, v[0:1], s5
	s_cbranch_scc1 .LBB2160_438
; %bb.439:
	s_mov_b32 s4, 0
.LBB2160_440:                           ; =>This Inner Loop Header: Depth=1
	s_add_i32 s5, s4, 0xcc
	s_add_i32 s6, s4, 0x17c
	scratch_load_dwordx2 v[0:1], off, s5
	scratch_load_dwordx2 v[2:3], off, s6
	s_add_i32 s5, s4, 0
	s_add_i32 s4, s4, 8
	s_cmp_lg_u32 s4, 32
	s_waitcnt vmcnt(0)
	v_add_u32_e32 v1, v3, v1
	v_add_u32_e32 v0, v2, v0
	scratch_store_dwordx2 off, v[0:1], s5
	s_cbranch_scc1 .LBB2160_440
; %bb.441:
	scratch_load_dwordx4 v[0:3], off, off
	scratch_load_dwordx4 v[4:7], off, off offset:16
.LBB2160_442:
	scratch_load_ubyte v9, off, off offset:236
	s_waitcnt vmcnt(2)
	scratch_store_dwordx4 off, v[0:3], off offset:380
	s_waitcnt vmcnt(2)
	scratch_store_dwordx4 off, v[4:7], off offset:396
	s_waitcnt vmcnt(2)
	v_or_b32_e32 v8, v8, v9
	v_and_b32_e32 v8, 1, v8
	v_cmp_eq_u32_e32 vcc, 1, v8
	scratch_store_byte off, v8, off offset:412
	s_and_saveexec_b64 s[4:5], s[2:3]
	s_cbranch_execz .LBB2160_444
; %bb.443:
	scratch_load_ushort v8, off, off offset:413
	scratch_load_sbyte v9, off, off offset:415
	v_mov_b32_e32 v10, 0
	v_cndmask_b32_e64 v11, 0, 1, vcc
	global_store_dword v10, v0, s[14:15] offset:2304 sc1
	global_store_dword v10, v1, s[14:15] offset:2308 sc1
	;; [unrolled: 1-line block ×8, first 2 shown]
	v_mov_b32_e32 v12, 2
	s_waitcnt vmcnt(9)
	v_and_b32_e32 v0, 0xff, v8
	v_lshlrev_b32_e32 v1, 8, v8
	s_waitcnt vmcnt(8)
	v_lshlrev_b32_e32 v2, 24, v9
	v_lshl_or_b32 v0, v0, 8, v11
	v_and_b32_e32 v1, 0xff0000, v1
	v_or3_b32 v0, v0, v1, v2
	global_store_dword v10, v0, s[14:15] offset:2336 sc1
	s_waitcnt vmcnt(0)
	global_store_byte v10, v12, s[16:17] offset:64 sc1
.LBB2160_444:
	s_or_b64 exec, exec, s[4:5]
.LBB2160_445:
	v_mov_b32_e32 v0, 0
	s_mov_b32 s2, 0
	v_mov_b32_e32 v1, v0
.LBB2160_446:                           ; =>This Inner Loop Header: Depth=1
	s_add_i32 s3, s2, 0
	s_add_i32 s2, s2, 8
	s_cmp_lg_u32 s2, 32
	scratch_store_dwordx2 off, v[0:1], s3
	s_cbranch_scc1 .LBB2160_446
; %bb.447:
	v_mov_b32_e32 v0, 0
	s_mov_b32 s2, 32
	v_mov_b32_e32 v1, v0
.LBB2160_448:                           ; =>This Inner Loop Header: Depth=1
	s_add_i32 s3, s2, 0
	s_add_i32 s2, s2, 8
	s_cmp_lg_u32 s2, 64
	scratch_store_dwordx2 off, v[0:1], s3
	s_cbranch_scc1 .LBB2160_448
; %bb.449:
	v_mov_b32_e32 v0, 0
	s_mov_b32 s2, 64
	v_mov_b32_e32 v1, v0
.LBB2160_450:                           ; =>This Inner Loop Header: Depth=1
	s_add_i32 s3, s2, 0
	s_add_i32 s2, s2, 8
	s_cmpk_lg_i32 s2, 0x60
	scratch_store_dwordx2 off, v[0:1], s3
	s_cbranch_scc1 .LBB2160_450
; %bb.451:
	s_add_u32 s2, s26, s28
	s_addc_u32 s3, s27, s29
	v_mov_b32_e32 v0, 0
	s_add_u32 s2, s2, s24
	v_add_u32_e32 v4, 64, v0
	v_add_u32_e32 v5, 32, v0
	s_addc_u32 s3, s3, s25
	s_and_b64 vcc, exec, s[0:1]
	s_cbranch_vccz .LBB2160_461
; %bb.452:
	s_add_i32 s19, s19, s18
	v_mul_u32_u24_e32 v0, 3, v16
	v_cmp_gt_u32_e32 vcc, s19, v0
	s_and_saveexec_b64 s[0:1], vcc
	s_cbranch_execz .LBB2160_456
; %bb.453:
	scratch_load_dwordx4 v[6:9], off, off offset:272
	scratch_load_dwordx4 v[10:13], off, off offset:288
	v_add_u32_e32 v1, 1, v0
	v_cmp_gt_u32_e32 vcc, s19, v1
	s_waitcnt vmcnt(1)
	scratch_store_dwordx4 off, v[6:9], off
	s_waitcnt vmcnt(1)
	scratch_store_dwordx4 off, v[10:13], off offset:16
	s_and_b64 exec, exec, vcc
	s_cbranch_execz .LBB2160_456
; %bb.454:
	scratch_load_dwordx4 v[6:9], v20, off
	scratch_load_dwordx4 v[10:13], v20, off offset:16
	v_add_u32_e32 v1, 2, v0
	v_cmp_gt_u32_e32 vcc, s19, v1
	s_waitcnt vmcnt(1)
	scratch_store_dwordx4 v5, v[6:9], off
	s_waitcnt vmcnt(1)
	scratch_store_dwordx4 v5, v[10:13], off offset:16
	s_and_b64 exec, exec, vcc
	s_cbranch_execz .LBB2160_456
; %bb.455:
	scratch_load_dwordx4 v[6:9], v21, off
	scratch_load_dwordx4 v[10:13], v21, off offset:16
	s_waitcnt vmcnt(1)
	scratch_store_dwordx4 v4, v[6:9], off
	s_waitcnt vmcnt(1)
	scratch_store_dwordx4 v4, v[10:13], off offset:16
.LBB2160_456:
	s_or_b64 exec, exec, s[0:1]
	s_barrier
	scratch_load_dwordx4 v[8:11], off, off
	scratch_load_dwordx4 v[12:15], off, off offset:16
	scratch_load_dwordx4 v[22:25], v5, off
	scratch_load_dwordx4 v[26:29], v5, off offset:16
	scratch_load_dwordx4 v[30:33], v4, off
	scratch_load_dwordx4 v[34:37], v4, off offset:16
	v_lshlrev_b32_e32 v2, 5, v0
	v_lshlrev_b32_e32 v3, 6, v16
	v_sub_u32_e32 v6, v2, v3
	v_mov_b32_e32 v1, 0
	v_lshlrev_b32_e32 v0, 5, v16
	v_cmp_gt_u32_e32 vcc, s19, v16
	s_waitcnt vmcnt(5)
	ds_write_b128 v2, v[8:11]
	s_waitcnt vmcnt(4)
	ds_write_b128 v2, v[12:15] offset:16
	s_waitcnt vmcnt(3)
	ds_write_b128 v2, v[22:25] offset:32
	;; [unrolled: 2-line block ×5, first 2 shown]
	s_waitcnt lgkmcnt(0)
	s_barrier
	ds_read_b128 v[8:11], v6 offset:8192
	ds_read_b128 v[12:15], v6 offset:8208
	ds_read_b128 v[22:25], v6 offset:16384
	ds_read_b128 v[26:29], v6 offset:16400
	v_lshl_add_u64 v[2:3], s[2:3], 0, v[0:1]
	s_waitcnt lgkmcnt(3)
	scratch_store_dwordx4 v5, v[8:11], off
	s_waitcnt lgkmcnt(2)
	scratch_store_dwordx4 v5, v[12:15], off offset:16
	s_waitcnt lgkmcnt(1)
	scratch_store_dwordx4 v4, v[22:25], off
	s_waitcnt lgkmcnt(0)
	scratch_store_dwordx4 v4, v[26:29], off offset:16
	s_and_saveexec_b64 s[0:1], vcc
	s_cbranch_execz .LBB2160_458
; %bb.457:
	ds_read2_b32 v[8:9], v6 offset0:4 offset1:5
	ds_read2_b32 v[10:11], v6 offset0:6 offset1:7
	;; [unrolled: 1-line block ×3, first 2 shown]
	ds_read2_b32 v[12:13], v6 offset1:1
	s_waitcnt lgkmcnt(0)
	flat_store_dwordx4 v[2:3], v[12:15]
	flat_store_dwordx4 v[2:3], v[8:11] offset:16
.LBB2160_458:
	s_or_b64 exec, exec, s[0:1]
	v_or_b32_e32 v0, 0x100, v16
	v_cmp_gt_u32_e32 vcc, s19, v0
	s_and_saveexec_b64 s[0:1], vcc
	s_cbranch_execz .LBB2160_460
; %bb.459:
	scratch_load_dwordx4 v[6:9], v5, off offset:16
	s_mov_b64 s[4:5], 0x2000
	v_lshl_add_u64 v[10:11], v[2:3], 0, s[4:5]
	v_add_co_u32_e32 v2, vcc, 0x2000, v2
	s_waitcnt vmcnt(0)
	flat_store_dwordx4 v[10:11], v[6:9] offset:16
	scratch_load_dwordx4 v[6:9], v5, off
	v_addc_co_u32_e32 v3, vcc, 0, v3, vcc
	s_waitcnt vmcnt(0)
	flat_store_dwordx4 v[2:3], v[6:9]
.LBB2160_460:
	s_or_b64 exec, exec, s[0:1]
	v_or_b32_e32 v0, 0x200, v16
	v_mov_b32_e32 v17, v1
	v_cmp_gt_u32_e64 s[0:1], s19, v0
	s_branch .LBB2160_463
.LBB2160_461:
	s_mov_b64 s[0:1], 0
	s_cbranch_execz .LBB2160_463
; %bb.462:
	scratch_load_dwordx4 v[0:3], off, off offset:272
	scratch_load_dwordx4 v[6:9], off, off offset:288
	scratch_load_dwordx4 v[10:13], v20, off
	scratch_load_dwordx4 v[22:25], v20, off offset:16
	scratch_load_dwordx4 v[26:29], v21, off
	scratch_load_dwordx4 v[30:33], v21, off offset:16
	v_mul_u32_u24_e32 v34, 0x60, v16
	v_lshlrev_b32_e32 v15, 6, v16
	v_sub_u32_e32 v35, v34, v15
	v_mov_b32_e32 v17, 0
	v_lshlrev_b32_e32 v14, 5, v16
	v_mov_b32_e32 v15, v17
	v_lshl_add_u64 v[14:15], s[2:3], 0, v[14:15]
	s_mov_b64 s[4:5], 0x2000
	s_or_b64 s[0:1], s[0:1], exec
	s_waitcnt vmcnt(0)
	scratch_store_dwordx4 off, v[0:3], off
	scratch_store_dwordx4 off, v[6:9], off offset:16
	scratch_store_dwordx4 v5, v[10:13], off
	scratch_store_dwordx4 v5, v[22:25], off offset:16
	scratch_store_dwordx4 v4, v[26:29], off
	scratch_store_dwordx4 v4, v[30:33], off offset:16
	s_waitcnt lgkmcnt(0)
	s_barrier
	scratch_load_dwordx4 v[0:3], off, off
	scratch_load_dwordx4 v[6:9], off, off offset:16
	scratch_load_dwordx4 v[10:13], v5, off
	scratch_load_dwordx4 v[18:21], v5, off offset:16
	scratch_load_dwordx4 v[22:25], v4, off
	scratch_load_dwordx4 v[26:29], v4, off offset:16
	v_add_co_u32_e32 v32, vcc, 0x2000, v14
	v_lshl_add_u64 v[30:31], v[14:15], 0, s[4:5]
	s_nop 0
	v_addc_co_u32_e32 v33, vcc, 0, v15, vcc
	s_waitcnt vmcnt(5)
	ds_write_b128 v34, v[0:3]
	s_waitcnt vmcnt(4)
	ds_write_b128 v34, v[6:9] offset:16
	s_waitcnt vmcnt(3)
	ds_write_b128 v34, v[10:13] offset:32
	;; [unrolled: 2-line block ×5, first 2 shown]
	s_waitcnt lgkmcnt(0)
	s_barrier
	ds_read_b128 v[0:3], v35 offset:8192
	ds_read_b128 v[6:9], v35 offset:8208
	;; [unrolled: 1-line block ×4, first 2 shown]
	ds_read2_b32 v[22:23], v35 offset1:1
	ds_read2_b32 v[28:29], v35 offset0:6 offset1:7
	ds_read2_b32 v[26:27], v35 offset0:4 offset1:5
	;; [unrolled: 1-line block ×3, first 2 shown]
	s_waitcnt lgkmcnt(7)
	scratch_store_dwordx4 v5, v[0:3], off
	s_waitcnt lgkmcnt(6)
	scratch_store_dwordx4 v5, v[6:9], off offset:16
	s_waitcnt lgkmcnt(5)
	scratch_store_dwordx4 v4, v[10:13], off
	s_waitcnt lgkmcnt(4)
	scratch_store_dwordx4 v4, v[18:21], off offset:16
	s_waitcnt lgkmcnt(1)
	flat_store_dwordx4 v[14:15], v[26:29] offset:16
	s_waitcnt lgkmcnt(0)
	flat_store_dwordx4 v[14:15], v[22:25]
	flat_store_dwordx4 v[32:33], v[0:3]
	flat_store_dwordx4 v[30:31], v[6:9] offset:16
.LBB2160_463:
	s_and_saveexec_b64 s[4:5], s[0:1]
	s_cbranch_execnz .LBB2160_465
; %bb.464:
	s_endpgm
.LBB2160_465:
	scratch_load_dwordx4 v[0:3], v4, off offset:16
	v_lshlrev_b64 v[6:7], 5, v[16:17]
	v_lshl_add_u64 v[6:7], s[2:3], 0, v[6:7]
	s_mov_b64 s[0:1], 0x4000
	v_lshl_add_u64 v[8:9], v[6:7], 0, s[0:1]
	s_waitcnt vmcnt(0)
	flat_store_dwordx4 v[8:9], v[0:3] offset:16
	scratch_load_dwordx4 v[0:3], v4, off
	v_add_co_u32_e32 v4, vcc, 0x4000, v6
	s_nop 1
	v_addc_co_u32_e32 v5, vcc, 0, v7, vcc
	s_waitcnt vmcnt(0)
	flat_store_dwordx4 v[4:5], v[0:3]
	s_endpgm
	.section	.rodata,"a",@progbits
	.p2align	6, 0x0
	.amdhsa_kernel _ZN7rocprim17ROCPRIM_400000_NS6detail17trampoline_kernelINS0_14default_configENS1_27scan_by_key_config_selectorIj11FixedVectorIiLj8EEEEZZNS1_16scan_by_key_implILNS1_25lookback_scan_determinismE0ELb1ES3_N6thrust23THRUST_200600_302600_NS6detail15normal_iteratorINSB_10device_ptrIjEEEENSD_INSE_IS6_EEEESI_S6_NSB_4plusIvEENSB_8equal_toIvEES6_EE10hipError_tPvRmT2_T3_T4_T5_mT6_T7_P12ihipStream_tbENKUlT_T0_E_clISt17integral_constantIbLb0EES13_EEDaSY_SZ_EUlSY_E_NS1_11comp_targetILNS1_3genE5ELNS1_11target_archE942ELNS1_3gpuE9ELNS1_3repE0EEENS1_30default_config_static_selectorELNS0_4arch9wavefront6targetE1EEEvT1_
		.amdhsa_group_segment_fixed_size 32768
		.amdhsa_private_segment_fixed_size 432
		.amdhsa_kernarg_size 160
		.amdhsa_user_sgpr_count 4
		.amdhsa_user_sgpr_dispatch_ptr 1
		.amdhsa_user_sgpr_queue_ptr 0
		.amdhsa_user_sgpr_kernarg_segment_ptr 1
		.amdhsa_user_sgpr_dispatch_id 0
		.amdhsa_user_sgpr_kernarg_preload_length 0
		.amdhsa_user_sgpr_kernarg_preload_offset 0
		.amdhsa_user_sgpr_private_segment_size 0
		.amdhsa_uses_dynamic_stack 0
		.amdhsa_enable_private_segment 1
		.amdhsa_system_sgpr_workgroup_id_x 1
		.amdhsa_system_sgpr_workgroup_id_y 0
		.amdhsa_system_sgpr_workgroup_id_z 0
		.amdhsa_system_sgpr_workgroup_info 0
		.amdhsa_system_vgpr_workitem_id 2
		.amdhsa_next_free_vgpr 42
		.amdhsa_next_free_sgpr 50
		.amdhsa_accum_offset 44
		.amdhsa_reserve_vcc 1
		.amdhsa_float_round_mode_32 0
		.amdhsa_float_round_mode_16_64 0
		.amdhsa_float_denorm_mode_32 3
		.amdhsa_float_denorm_mode_16_64 3
		.amdhsa_dx10_clamp 1
		.amdhsa_ieee_mode 1
		.amdhsa_fp16_overflow 0
		.amdhsa_tg_split 0
		.amdhsa_exception_fp_ieee_invalid_op 0
		.amdhsa_exception_fp_denorm_src 0
		.amdhsa_exception_fp_ieee_div_zero 0
		.amdhsa_exception_fp_ieee_overflow 0
		.amdhsa_exception_fp_ieee_underflow 0
		.amdhsa_exception_fp_ieee_inexact 0
		.amdhsa_exception_int_div_zero 0
	.end_amdhsa_kernel
	.section	.text._ZN7rocprim17ROCPRIM_400000_NS6detail17trampoline_kernelINS0_14default_configENS1_27scan_by_key_config_selectorIj11FixedVectorIiLj8EEEEZZNS1_16scan_by_key_implILNS1_25lookback_scan_determinismE0ELb1ES3_N6thrust23THRUST_200600_302600_NS6detail15normal_iteratorINSB_10device_ptrIjEEEENSD_INSE_IS6_EEEESI_S6_NSB_4plusIvEENSB_8equal_toIvEES6_EE10hipError_tPvRmT2_T3_T4_T5_mT6_T7_P12ihipStream_tbENKUlT_T0_E_clISt17integral_constantIbLb0EES13_EEDaSY_SZ_EUlSY_E_NS1_11comp_targetILNS1_3genE5ELNS1_11target_archE942ELNS1_3gpuE9ELNS1_3repE0EEENS1_30default_config_static_selectorELNS0_4arch9wavefront6targetE1EEEvT1_,"axG",@progbits,_ZN7rocprim17ROCPRIM_400000_NS6detail17trampoline_kernelINS0_14default_configENS1_27scan_by_key_config_selectorIj11FixedVectorIiLj8EEEEZZNS1_16scan_by_key_implILNS1_25lookback_scan_determinismE0ELb1ES3_N6thrust23THRUST_200600_302600_NS6detail15normal_iteratorINSB_10device_ptrIjEEEENSD_INSE_IS6_EEEESI_S6_NSB_4plusIvEENSB_8equal_toIvEES6_EE10hipError_tPvRmT2_T3_T4_T5_mT6_T7_P12ihipStream_tbENKUlT_T0_E_clISt17integral_constantIbLb0EES13_EEDaSY_SZ_EUlSY_E_NS1_11comp_targetILNS1_3genE5ELNS1_11target_archE942ELNS1_3gpuE9ELNS1_3repE0EEENS1_30default_config_static_selectorELNS0_4arch9wavefront6targetE1EEEvT1_,comdat
.Lfunc_end2160:
	.size	_ZN7rocprim17ROCPRIM_400000_NS6detail17trampoline_kernelINS0_14default_configENS1_27scan_by_key_config_selectorIj11FixedVectorIiLj8EEEEZZNS1_16scan_by_key_implILNS1_25lookback_scan_determinismE0ELb1ES3_N6thrust23THRUST_200600_302600_NS6detail15normal_iteratorINSB_10device_ptrIjEEEENSD_INSE_IS6_EEEESI_S6_NSB_4plusIvEENSB_8equal_toIvEES6_EE10hipError_tPvRmT2_T3_T4_T5_mT6_T7_P12ihipStream_tbENKUlT_T0_E_clISt17integral_constantIbLb0EES13_EEDaSY_SZ_EUlSY_E_NS1_11comp_targetILNS1_3genE5ELNS1_11target_archE942ELNS1_3gpuE9ELNS1_3repE0EEENS1_30default_config_static_selectorELNS0_4arch9wavefront6targetE1EEEvT1_, .Lfunc_end2160-_ZN7rocprim17ROCPRIM_400000_NS6detail17trampoline_kernelINS0_14default_configENS1_27scan_by_key_config_selectorIj11FixedVectorIiLj8EEEEZZNS1_16scan_by_key_implILNS1_25lookback_scan_determinismE0ELb1ES3_N6thrust23THRUST_200600_302600_NS6detail15normal_iteratorINSB_10device_ptrIjEEEENSD_INSE_IS6_EEEESI_S6_NSB_4plusIvEENSB_8equal_toIvEES6_EE10hipError_tPvRmT2_T3_T4_T5_mT6_T7_P12ihipStream_tbENKUlT_T0_E_clISt17integral_constantIbLb0EES13_EEDaSY_SZ_EUlSY_E_NS1_11comp_targetILNS1_3genE5ELNS1_11target_archE942ELNS1_3gpuE9ELNS1_3repE0EEENS1_30default_config_static_selectorELNS0_4arch9wavefront6targetE1EEEvT1_
                                        ; -- End function
	.section	.AMDGPU.csdata,"",@progbits
; Kernel info:
; codeLenInByte = 20704
; NumSgprs: 56
; NumVgprs: 42
; NumAgprs: 0
; TotalNumVgprs: 42
; ScratchSize: 432
; MemoryBound: 1
; FloatMode: 240
; IeeeMode: 1
; LDSByteSize: 32768 bytes/workgroup (compile time only)
; SGPRBlocks: 6
; VGPRBlocks: 5
; NumSGPRsForWavesPerEU: 56
; NumVGPRsForWavesPerEU: 42
; AccumOffset: 44
; Occupancy: 2
; WaveLimiterHint : 1
; COMPUTE_PGM_RSRC2:SCRATCH_EN: 1
; COMPUTE_PGM_RSRC2:USER_SGPR: 4
; COMPUTE_PGM_RSRC2:TRAP_HANDLER: 0
; COMPUTE_PGM_RSRC2:TGID_X_EN: 1
; COMPUTE_PGM_RSRC2:TGID_Y_EN: 0
; COMPUTE_PGM_RSRC2:TGID_Z_EN: 0
; COMPUTE_PGM_RSRC2:TIDIG_COMP_CNT: 2
; COMPUTE_PGM_RSRC3_GFX90A:ACCUM_OFFSET: 10
; COMPUTE_PGM_RSRC3_GFX90A:TG_SPLIT: 0
	.section	.text._ZN7rocprim17ROCPRIM_400000_NS6detail17trampoline_kernelINS0_14default_configENS1_27scan_by_key_config_selectorIj11FixedVectorIiLj8EEEEZZNS1_16scan_by_key_implILNS1_25lookback_scan_determinismE0ELb1ES3_N6thrust23THRUST_200600_302600_NS6detail15normal_iteratorINSB_10device_ptrIjEEEENSD_INSE_IS6_EEEESI_S6_NSB_4plusIvEENSB_8equal_toIvEES6_EE10hipError_tPvRmT2_T3_T4_T5_mT6_T7_P12ihipStream_tbENKUlT_T0_E_clISt17integral_constantIbLb0EES13_EEDaSY_SZ_EUlSY_E_NS1_11comp_targetILNS1_3genE4ELNS1_11target_archE910ELNS1_3gpuE8ELNS1_3repE0EEENS1_30default_config_static_selectorELNS0_4arch9wavefront6targetE1EEEvT1_,"axG",@progbits,_ZN7rocprim17ROCPRIM_400000_NS6detail17trampoline_kernelINS0_14default_configENS1_27scan_by_key_config_selectorIj11FixedVectorIiLj8EEEEZZNS1_16scan_by_key_implILNS1_25lookback_scan_determinismE0ELb1ES3_N6thrust23THRUST_200600_302600_NS6detail15normal_iteratorINSB_10device_ptrIjEEEENSD_INSE_IS6_EEEESI_S6_NSB_4plusIvEENSB_8equal_toIvEES6_EE10hipError_tPvRmT2_T3_T4_T5_mT6_T7_P12ihipStream_tbENKUlT_T0_E_clISt17integral_constantIbLb0EES13_EEDaSY_SZ_EUlSY_E_NS1_11comp_targetILNS1_3genE4ELNS1_11target_archE910ELNS1_3gpuE8ELNS1_3repE0EEENS1_30default_config_static_selectorELNS0_4arch9wavefront6targetE1EEEvT1_,comdat
	.protected	_ZN7rocprim17ROCPRIM_400000_NS6detail17trampoline_kernelINS0_14default_configENS1_27scan_by_key_config_selectorIj11FixedVectorIiLj8EEEEZZNS1_16scan_by_key_implILNS1_25lookback_scan_determinismE0ELb1ES3_N6thrust23THRUST_200600_302600_NS6detail15normal_iteratorINSB_10device_ptrIjEEEENSD_INSE_IS6_EEEESI_S6_NSB_4plusIvEENSB_8equal_toIvEES6_EE10hipError_tPvRmT2_T3_T4_T5_mT6_T7_P12ihipStream_tbENKUlT_T0_E_clISt17integral_constantIbLb0EES13_EEDaSY_SZ_EUlSY_E_NS1_11comp_targetILNS1_3genE4ELNS1_11target_archE910ELNS1_3gpuE8ELNS1_3repE0EEENS1_30default_config_static_selectorELNS0_4arch9wavefront6targetE1EEEvT1_ ; -- Begin function _ZN7rocprim17ROCPRIM_400000_NS6detail17trampoline_kernelINS0_14default_configENS1_27scan_by_key_config_selectorIj11FixedVectorIiLj8EEEEZZNS1_16scan_by_key_implILNS1_25lookback_scan_determinismE0ELb1ES3_N6thrust23THRUST_200600_302600_NS6detail15normal_iteratorINSB_10device_ptrIjEEEENSD_INSE_IS6_EEEESI_S6_NSB_4plusIvEENSB_8equal_toIvEES6_EE10hipError_tPvRmT2_T3_T4_T5_mT6_T7_P12ihipStream_tbENKUlT_T0_E_clISt17integral_constantIbLb0EES13_EEDaSY_SZ_EUlSY_E_NS1_11comp_targetILNS1_3genE4ELNS1_11target_archE910ELNS1_3gpuE8ELNS1_3repE0EEENS1_30default_config_static_selectorELNS0_4arch9wavefront6targetE1EEEvT1_
	.globl	_ZN7rocprim17ROCPRIM_400000_NS6detail17trampoline_kernelINS0_14default_configENS1_27scan_by_key_config_selectorIj11FixedVectorIiLj8EEEEZZNS1_16scan_by_key_implILNS1_25lookback_scan_determinismE0ELb1ES3_N6thrust23THRUST_200600_302600_NS6detail15normal_iteratorINSB_10device_ptrIjEEEENSD_INSE_IS6_EEEESI_S6_NSB_4plusIvEENSB_8equal_toIvEES6_EE10hipError_tPvRmT2_T3_T4_T5_mT6_T7_P12ihipStream_tbENKUlT_T0_E_clISt17integral_constantIbLb0EES13_EEDaSY_SZ_EUlSY_E_NS1_11comp_targetILNS1_3genE4ELNS1_11target_archE910ELNS1_3gpuE8ELNS1_3repE0EEENS1_30default_config_static_selectorELNS0_4arch9wavefront6targetE1EEEvT1_
	.p2align	8
	.type	_ZN7rocprim17ROCPRIM_400000_NS6detail17trampoline_kernelINS0_14default_configENS1_27scan_by_key_config_selectorIj11FixedVectorIiLj8EEEEZZNS1_16scan_by_key_implILNS1_25lookback_scan_determinismE0ELb1ES3_N6thrust23THRUST_200600_302600_NS6detail15normal_iteratorINSB_10device_ptrIjEEEENSD_INSE_IS6_EEEESI_S6_NSB_4plusIvEENSB_8equal_toIvEES6_EE10hipError_tPvRmT2_T3_T4_T5_mT6_T7_P12ihipStream_tbENKUlT_T0_E_clISt17integral_constantIbLb0EES13_EEDaSY_SZ_EUlSY_E_NS1_11comp_targetILNS1_3genE4ELNS1_11target_archE910ELNS1_3gpuE8ELNS1_3repE0EEENS1_30default_config_static_selectorELNS0_4arch9wavefront6targetE1EEEvT1_,@function
_ZN7rocprim17ROCPRIM_400000_NS6detail17trampoline_kernelINS0_14default_configENS1_27scan_by_key_config_selectorIj11FixedVectorIiLj8EEEEZZNS1_16scan_by_key_implILNS1_25lookback_scan_determinismE0ELb1ES3_N6thrust23THRUST_200600_302600_NS6detail15normal_iteratorINSB_10device_ptrIjEEEENSD_INSE_IS6_EEEESI_S6_NSB_4plusIvEENSB_8equal_toIvEES6_EE10hipError_tPvRmT2_T3_T4_T5_mT6_T7_P12ihipStream_tbENKUlT_T0_E_clISt17integral_constantIbLb0EES13_EEDaSY_SZ_EUlSY_E_NS1_11comp_targetILNS1_3genE4ELNS1_11target_archE910ELNS1_3gpuE8ELNS1_3repE0EEENS1_30default_config_static_selectorELNS0_4arch9wavefront6targetE1EEEvT1_: ; @_ZN7rocprim17ROCPRIM_400000_NS6detail17trampoline_kernelINS0_14default_configENS1_27scan_by_key_config_selectorIj11FixedVectorIiLj8EEEEZZNS1_16scan_by_key_implILNS1_25lookback_scan_determinismE0ELb1ES3_N6thrust23THRUST_200600_302600_NS6detail15normal_iteratorINSB_10device_ptrIjEEEENSD_INSE_IS6_EEEESI_S6_NSB_4plusIvEENSB_8equal_toIvEES6_EE10hipError_tPvRmT2_T3_T4_T5_mT6_T7_P12ihipStream_tbENKUlT_T0_E_clISt17integral_constantIbLb0EES13_EEDaSY_SZ_EUlSY_E_NS1_11comp_targetILNS1_3genE4ELNS1_11target_archE910ELNS1_3gpuE8ELNS1_3repE0EEENS1_30default_config_static_selectorELNS0_4arch9wavefront6targetE1EEEvT1_
; %bb.0:
	.section	.rodata,"a",@progbits
	.p2align	6, 0x0
	.amdhsa_kernel _ZN7rocprim17ROCPRIM_400000_NS6detail17trampoline_kernelINS0_14default_configENS1_27scan_by_key_config_selectorIj11FixedVectorIiLj8EEEEZZNS1_16scan_by_key_implILNS1_25lookback_scan_determinismE0ELb1ES3_N6thrust23THRUST_200600_302600_NS6detail15normal_iteratorINSB_10device_ptrIjEEEENSD_INSE_IS6_EEEESI_S6_NSB_4plusIvEENSB_8equal_toIvEES6_EE10hipError_tPvRmT2_T3_T4_T5_mT6_T7_P12ihipStream_tbENKUlT_T0_E_clISt17integral_constantIbLb0EES13_EEDaSY_SZ_EUlSY_E_NS1_11comp_targetILNS1_3genE4ELNS1_11target_archE910ELNS1_3gpuE8ELNS1_3repE0EEENS1_30default_config_static_selectorELNS0_4arch9wavefront6targetE1EEEvT1_
		.amdhsa_group_segment_fixed_size 0
		.amdhsa_private_segment_fixed_size 0
		.amdhsa_kernarg_size 160
		.amdhsa_user_sgpr_count 2
		.amdhsa_user_sgpr_dispatch_ptr 0
		.amdhsa_user_sgpr_queue_ptr 0
		.amdhsa_user_sgpr_kernarg_segment_ptr 1
		.amdhsa_user_sgpr_dispatch_id 0
		.amdhsa_user_sgpr_kernarg_preload_length 0
		.amdhsa_user_sgpr_kernarg_preload_offset 0
		.amdhsa_user_sgpr_private_segment_size 0
		.amdhsa_uses_dynamic_stack 0
		.amdhsa_enable_private_segment 0
		.amdhsa_system_sgpr_workgroup_id_x 1
		.amdhsa_system_sgpr_workgroup_id_y 0
		.amdhsa_system_sgpr_workgroup_id_z 0
		.amdhsa_system_sgpr_workgroup_info 0
		.amdhsa_system_vgpr_workitem_id 0
		.amdhsa_next_free_vgpr 1
		.amdhsa_next_free_sgpr 0
		.amdhsa_accum_offset 4
		.amdhsa_reserve_vcc 0
		.amdhsa_float_round_mode_32 0
		.amdhsa_float_round_mode_16_64 0
		.amdhsa_float_denorm_mode_32 3
		.amdhsa_float_denorm_mode_16_64 3
		.amdhsa_dx10_clamp 1
		.amdhsa_ieee_mode 1
		.amdhsa_fp16_overflow 0
		.amdhsa_tg_split 0
		.amdhsa_exception_fp_ieee_invalid_op 0
		.amdhsa_exception_fp_denorm_src 0
		.amdhsa_exception_fp_ieee_div_zero 0
		.amdhsa_exception_fp_ieee_overflow 0
		.amdhsa_exception_fp_ieee_underflow 0
		.amdhsa_exception_fp_ieee_inexact 0
		.amdhsa_exception_int_div_zero 0
	.end_amdhsa_kernel
	.section	.text._ZN7rocprim17ROCPRIM_400000_NS6detail17trampoline_kernelINS0_14default_configENS1_27scan_by_key_config_selectorIj11FixedVectorIiLj8EEEEZZNS1_16scan_by_key_implILNS1_25lookback_scan_determinismE0ELb1ES3_N6thrust23THRUST_200600_302600_NS6detail15normal_iteratorINSB_10device_ptrIjEEEENSD_INSE_IS6_EEEESI_S6_NSB_4plusIvEENSB_8equal_toIvEES6_EE10hipError_tPvRmT2_T3_T4_T5_mT6_T7_P12ihipStream_tbENKUlT_T0_E_clISt17integral_constantIbLb0EES13_EEDaSY_SZ_EUlSY_E_NS1_11comp_targetILNS1_3genE4ELNS1_11target_archE910ELNS1_3gpuE8ELNS1_3repE0EEENS1_30default_config_static_selectorELNS0_4arch9wavefront6targetE1EEEvT1_,"axG",@progbits,_ZN7rocprim17ROCPRIM_400000_NS6detail17trampoline_kernelINS0_14default_configENS1_27scan_by_key_config_selectorIj11FixedVectorIiLj8EEEEZZNS1_16scan_by_key_implILNS1_25lookback_scan_determinismE0ELb1ES3_N6thrust23THRUST_200600_302600_NS6detail15normal_iteratorINSB_10device_ptrIjEEEENSD_INSE_IS6_EEEESI_S6_NSB_4plusIvEENSB_8equal_toIvEES6_EE10hipError_tPvRmT2_T3_T4_T5_mT6_T7_P12ihipStream_tbENKUlT_T0_E_clISt17integral_constantIbLb0EES13_EEDaSY_SZ_EUlSY_E_NS1_11comp_targetILNS1_3genE4ELNS1_11target_archE910ELNS1_3gpuE8ELNS1_3repE0EEENS1_30default_config_static_selectorELNS0_4arch9wavefront6targetE1EEEvT1_,comdat
.Lfunc_end2161:
	.size	_ZN7rocprim17ROCPRIM_400000_NS6detail17trampoline_kernelINS0_14default_configENS1_27scan_by_key_config_selectorIj11FixedVectorIiLj8EEEEZZNS1_16scan_by_key_implILNS1_25lookback_scan_determinismE0ELb1ES3_N6thrust23THRUST_200600_302600_NS6detail15normal_iteratorINSB_10device_ptrIjEEEENSD_INSE_IS6_EEEESI_S6_NSB_4plusIvEENSB_8equal_toIvEES6_EE10hipError_tPvRmT2_T3_T4_T5_mT6_T7_P12ihipStream_tbENKUlT_T0_E_clISt17integral_constantIbLb0EES13_EEDaSY_SZ_EUlSY_E_NS1_11comp_targetILNS1_3genE4ELNS1_11target_archE910ELNS1_3gpuE8ELNS1_3repE0EEENS1_30default_config_static_selectorELNS0_4arch9wavefront6targetE1EEEvT1_, .Lfunc_end2161-_ZN7rocprim17ROCPRIM_400000_NS6detail17trampoline_kernelINS0_14default_configENS1_27scan_by_key_config_selectorIj11FixedVectorIiLj8EEEEZZNS1_16scan_by_key_implILNS1_25lookback_scan_determinismE0ELb1ES3_N6thrust23THRUST_200600_302600_NS6detail15normal_iteratorINSB_10device_ptrIjEEEENSD_INSE_IS6_EEEESI_S6_NSB_4plusIvEENSB_8equal_toIvEES6_EE10hipError_tPvRmT2_T3_T4_T5_mT6_T7_P12ihipStream_tbENKUlT_T0_E_clISt17integral_constantIbLb0EES13_EEDaSY_SZ_EUlSY_E_NS1_11comp_targetILNS1_3genE4ELNS1_11target_archE910ELNS1_3gpuE8ELNS1_3repE0EEENS1_30default_config_static_selectorELNS0_4arch9wavefront6targetE1EEEvT1_
                                        ; -- End function
	.section	.AMDGPU.csdata,"",@progbits
; Kernel info:
; codeLenInByte = 0
; NumSgprs: 6
; NumVgprs: 0
; NumAgprs: 0
; TotalNumVgprs: 0
; ScratchSize: 0
; MemoryBound: 0
; FloatMode: 240
; IeeeMode: 1
; LDSByteSize: 0 bytes/workgroup (compile time only)
; SGPRBlocks: 0
; VGPRBlocks: 0
; NumSGPRsForWavesPerEU: 6
; NumVGPRsForWavesPerEU: 1
; AccumOffset: 4
; Occupancy: 8
; WaveLimiterHint : 0
; COMPUTE_PGM_RSRC2:SCRATCH_EN: 0
; COMPUTE_PGM_RSRC2:USER_SGPR: 2
; COMPUTE_PGM_RSRC2:TRAP_HANDLER: 0
; COMPUTE_PGM_RSRC2:TGID_X_EN: 1
; COMPUTE_PGM_RSRC2:TGID_Y_EN: 0
; COMPUTE_PGM_RSRC2:TGID_Z_EN: 0
; COMPUTE_PGM_RSRC2:TIDIG_COMP_CNT: 0
; COMPUTE_PGM_RSRC3_GFX90A:ACCUM_OFFSET: 0
; COMPUTE_PGM_RSRC3_GFX90A:TG_SPLIT: 0
	.section	.text._ZN7rocprim17ROCPRIM_400000_NS6detail17trampoline_kernelINS0_14default_configENS1_27scan_by_key_config_selectorIj11FixedVectorIiLj8EEEEZZNS1_16scan_by_key_implILNS1_25lookback_scan_determinismE0ELb1ES3_N6thrust23THRUST_200600_302600_NS6detail15normal_iteratorINSB_10device_ptrIjEEEENSD_INSE_IS6_EEEESI_S6_NSB_4plusIvEENSB_8equal_toIvEES6_EE10hipError_tPvRmT2_T3_T4_T5_mT6_T7_P12ihipStream_tbENKUlT_T0_E_clISt17integral_constantIbLb0EES13_EEDaSY_SZ_EUlSY_E_NS1_11comp_targetILNS1_3genE3ELNS1_11target_archE908ELNS1_3gpuE7ELNS1_3repE0EEENS1_30default_config_static_selectorELNS0_4arch9wavefront6targetE1EEEvT1_,"axG",@progbits,_ZN7rocprim17ROCPRIM_400000_NS6detail17trampoline_kernelINS0_14default_configENS1_27scan_by_key_config_selectorIj11FixedVectorIiLj8EEEEZZNS1_16scan_by_key_implILNS1_25lookback_scan_determinismE0ELb1ES3_N6thrust23THRUST_200600_302600_NS6detail15normal_iteratorINSB_10device_ptrIjEEEENSD_INSE_IS6_EEEESI_S6_NSB_4plusIvEENSB_8equal_toIvEES6_EE10hipError_tPvRmT2_T3_T4_T5_mT6_T7_P12ihipStream_tbENKUlT_T0_E_clISt17integral_constantIbLb0EES13_EEDaSY_SZ_EUlSY_E_NS1_11comp_targetILNS1_3genE3ELNS1_11target_archE908ELNS1_3gpuE7ELNS1_3repE0EEENS1_30default_config_static_selectorELNS0_4arch9wavefront6targetE1EEEvT1_,comdat
	.protected	_ZN7rocprim17ROCPRIM_400000_NS6detail17trampoline_kernelINS0_14default_configENS1_27scan_by_key_config_selectorIj11FixedVectorIiLj8EEEEZZNS1_16scan_by_key_implILNS1_25lookback_scan_determinismE0ELb1ES3_N6thrust23THRUST_200600_302600_NS6detail15normal_iteratorINSB_10device_ptrIjEEEENSD_INSE_IS6_EEEESI_S6_NSB_4plusIvEENSB_8equal_toIvEES6_EE10hipError_tPvRmT2_T3_T4_T5_mT6_T7_P12ihipStream_tbENKUlT_T0_E_clISt17integral_constantIbLb0EES13_EEDaSY_SZ_EUlSY_E_NS1_11comp_targetILNS1_3genE3ELNS1_11target_archE908ELNS1_3gpuE7ELNS1_3repE0EEENS1_30default_config_static_selectorELNS0_4arch9wavefront6targetE1EEEvT1_ ; -- Begin function _ZN7rocprim17ROCPRIM_400000_NS6detail17trampoline_kernelINS0_14default_configENS1_27scan_by_key_config_selectorIj11FixedVectorIiLj8EEEEZZNS1_16scan_by_key_implILNS1_25lookback_scan_determinismE0ELb1ES3_N6thrust23THRUST_200600_302600_NS6detail15normal_iteratorINSB_10device_ptrIjEEEENSD_INSE_IS6_EEEESI_S6_NSB_4plusIvEENSB_8equal_toIvEES6_EE10hipError_tPvRmT2_T3_T4_T5_mT6_T7_P12ihipStream_tbENKUlT_T0_E_clISt17integral_constantIbLb0EES13_EEDaSY_SZ_EUlSY_E_NS1_11comp_targetILNS1_3genE3ELNS1_11target_archE908ELNS1_3gpuE7ELNS1_3repE0EEENS1_30default_config_static_selectorELNS0_4arch9wavefront6targetE1EEEvT1_
	.globl	_ZN7rocprim17ROCPRIM_400000_NS6detail17trampoline_kernelINS0_14default_configENS1_27scan_by_key_config_selectorIj11FixedVectorIiLj8EEEEZZNS1_16scan_by_key_implILNS1_25lookback_scan_determinismE0ELb1ES3_N6thrust23THRUST_200600_302600_NS6detail15normal_iteratorINSB_10device_ptrIjEEEENSD_INSE_IS6_EEEESI_S6_NSB_4plusIvEENSB_8equal_toIvEES6_EE10hipError_tPvRmT2_T3_T4_T5_mT6_T7_P12ihipStream_tbENKUlT_T0_E_clISt17integral_constantIbLb0EES13_EEDaSY_SZ_EUlSY_E_NS1_11comp_targetILNS1_3genE3ELNS1_11target_archE908ELNS1_3gpuE7ELNS1_3repE0EEENS1_30default_config_static_selectorELNS0_4arch9wavefront6targetE1EEEvT1_
	.p2align	8
	.type	_ZN7rocprim17ROCPRIM_400000_NS6detail17trampoline_kernelINS0_14default_configENS1_27scan_by_key_config_selectorIj11FixedVectorIiLj8EEEEZZNS1_16scan_by_key_implILNS1_25lookback_scan_determinismE0ELb1ES3_N6thrust23THRUST_200600_302600_NS6detail15normal_iteratorINSB_10device_ptrIjEEEENSD_INSE_IS6_EEEESI_S6_NSB_4plusIvEENSB_8equal_toIvEES6_EE10hipError_tPvRmT2_T3_T4_T5_mT6_T7_P12ihipStream_tbENKUlT_T0_E_clISt17integral_constantIbLb0EES13_EEDaSY_SZ_EUlSY_E_NS1_11comp_targetILNS1_3genE3ELNS1_11target_archE908ELNS1_3gpuE7ELNS1_3repE0EEENS1_30default_config_static_selectorELNS0_4arch9wavefront6targetE1EEEvT1_,@function
_ZN7rocprim17ROCPRIM_400000_NS6detail17trampoline_kernelINS0_14default_configENS1_27scan_by_key_config_selectorIj11FixedVectorIiLj8EEEEZZNS1_16scan_by_key_implILNS1_25lookback_scan_determinismE0ELb1ES3_N6thrust23THRUST_200600_302600_NS6detail15normal_iteratorINSB_10device_ptrIjEEEENSD_INSE_IS6_EEEESI_S6_NSB_4plusIvEENSB_8equal_toIvEES6_EE10hipError_tPvRmT2_T3_T4_T5_mT6_T7_P12ihipStream_tbENKUlT_T0_E_clISt17integral_constantIbLb0EES13_EEDaSY_SZ_EUlSY_E_NS1_11comp_targetILNS1_3genE3ELNS1_11target_archE908ELNS1_3gpuE7ELNS1_3repE0EEENS1_30default_config_static_selectorELNS0_4arch9wavefront6targetE1EEEvT1_: ; @_ZN7rocprim17ROCPRIM_400000_NS6detail17trampoline_kernelINS0_14default_configENS1_27scan_by_key_config_selectorIj11FixedVectorIiLj8EEEEZZNS1_16scan_by_key_implILNS1_25lookback_scan_determinismE0ELb1ES3_N6thrust23THRUST_200600_302600_NS6detail15normal_iteratorINSB_10device_ptrIjEEEENSD_INSE_IS6_EEEESI_S6_NSB_4plusIvEENSB_8equal_toIvEES6_EE10hipError_tPvRmT2_T3_T4_T5_mT6_T7_P12ihipStream_tbENKUlT_T0_E_clISt17integral_constantIbLb0EES13_EEDaSY_SZ_EUlSY_E_NS1_11comp_targetILNS1_3genE3ELNS1_11target_archE908ELNS1_3gpuE7ELNS1_3repE0EEENS1_30default_config_static_selectorELNS0_4arch9wavefront6targetE1EEEvT1_
; %bb.0:
	.section	.rodata,"a",@progbits
	.p2align	6, 0x0
	.amdhsa_kernel _ZN7rocprim17ROCPRIM_400000_NS6detail17trampoline_kernelINS0_14default_configENS1_27scan_by_key_config_selectorIj11FixedVectorIiLj8EEEEZZNS1_16scan_by_key_implILNS1_25lookback_scan_determinismE0ELb1ES3_N6thrust23THRUST_200600_302600_NS6detail15normal_iteratorINSB_10device_ptrIjEEEENSD_INSE_IS6_EEEESI_S6_NSB_4plusIvEENSB_8equal_toIvEES6_EE10hipError_tPvRmT2_T3_T4_T5_mT6_T7_P12ihipStream_tbENKUlT_T0_E_clISt17integral_constantIbLb0EES13_EEDaSY_SZ_EUlSY_E_NS1_11comp_targetILNS1_3genE3ELNS1_11target_archE908ELNS1_3gpuE7ELNS1_3repE0EEENS1_30default_config_static_selectorELNS0_4arch9wavefront6targetE1EEEvT1_
		.amdhsa_group_segment_fixed_size 0
		.amdhsa_private_segment_fixed_size 0
		.amdhsa_kernarg_size 160
		.amdhsa_user_sgpr_count 2
		.amdhsa_user_sgpr_dispatch_ptr 0
		.amdhsa_user_sgpr_queue_ptr 0
		.amdhsa_user_sgpr_kernarg_segment_ptr 1
		.amdhsa_user_sgpr_dispatch_id 0
		.amdhsa_user_sgpr_kernarg_preload_length 0
		.amdhsa_user_sgpr_kernarg_preload_offset 0
		.amdhsa_user_sgpr_private_segment_size 0
		.amdhsa_uses_dynamic_stack 0
		.amdhsa_enable_private_segment 0
		.amdhsa_system_sgpr_workgroup_id_x 1
		.amdhsa_system_sgpr_workgroup_id_y 0
		.amdhsa_system_sgpr_workgroup_id_z 0
		.amdhsa_system_sgpr_workgroup_info 0
		.amdhsa_system_vgpr_workitem_id 0
		.amdhsa_next_free_vgpr 1
		.amdhsa_next_free_sgpr 0
		.amdhsa_accum_offset 4
		.amdhsa_reserve_vcc 0
		.amdhsa_float_round_mode_32 0
		.amdhsa_float_round_mode_16_64 0
		.amdhsa_float_denorm_mode_32 3
		.amdhsa_float_denorm_mode_16_64 3
		.amdhsa_dx10_clamp 1
		.amdhsa_ieee_mode 1
		.amdhsa_fp16_overflow 0
		.amdhsa_tg_split 0
		.amdhsa_exception_fp_ieee_invalid_op 0
		.amdhsa_exception_fp_denorm_src 0
		.amdhsa_exception_fp_ieee_div_zero 0
		.amdhsa_exception_fp_ieee_overflow 0
		.amdhsa_exception_fp_ieee_underflow 0
		.amdhsa_exception_fp_ieee_inexact 0
		.amdhsa_exception_int_div_zero 0
	.end_amdhsa_kernel
	.section	.text._ZN7rocprim17ROCPRIM_400000_NS6detail17trampoline_kernelINS0_14default_configENS1_27scan_by_key_config_selectorIj11FixedVectorIiLj8EEEEZZNS1_16scan_by_key_implILNS1_25lookback_scan_determinismE0ELb1ES3_N6thrust23THRUST_200600_302600_NS6detail15normal_iteratorINSB_10device_ptrIjEEEENSD_INSE_IS6_EEEESI_S6_NSB_4plusIvEENSB_8equal_toIvEES6_EE10hipError_tPvRmT2_T3_T4_T5_mT6_T7_P12ihipStream_tbENKUlT_T0_E_clISt17integral_constantIbLb0EES13_EEDaSY_SZ_EUlSY_E_NS1_11comp_targetILNS1_3genE3ELNS1_11target_archE908ELNS1_3gpuE7ELNS1_3repE0EEENS1_30default_config_static_selectorELNS0_4arch9wavefront6targetE1EEEvT1_,"axG",@progbits,_ZN7rocprim17ROCPRIM_400000_NS6detail17trampoline_kernelINS0_14default_configENS1_27scan_by_key_config_selectorIj11FixedVectorIiLj8EEEEZZNS1_16scan_by_key_implILNS1_25lookback_scan_determinismE0ELb1ES3_N6thrust23THRUST_200600_302600_NS6detail15normal_iteratorINSB_10device_ptrIjEEEENSD_INSE_IS6_EEEESI_S6_NSB_4plusIvEENSB_8equal_toIvEES6_EE10hipError_tPvRmT2_T3_T4_T5_mT6_T7_P12ihipStream_tbENKUlT_T0_E_clISt17integral_constantIbLb0EES13_EEDaSY_SZ_EUlSY_E_NS1_11comp_targetILNS1_3genE3ELNS1_11target_archE908ELNS1_3gpuE7ELNS1_3repE0EEENS1_30default_config_static_selectorELNS0_4arch9wavefront6targetE1EEEvT1_,comdat
.Lfunc_end2162:
	.size	_ZN7rocprim17ROCPRIM_400000_NS6detail17trampoline_kernelINS0_14default_configENS1_27scan_by_key_config_selectorIj11FixedVectorIiLj8EEEEZZNS1_16scan_by_key_implILNS1_25lookback_scan_determinismE0ELb1ES3_N6thrust23THRUST_200600_302600_NS6detail15normal_iteratorINSB_10device_ptrIjEEEENSD_INSE_IS6_EEEESI_S6_NSB_4plusIvEENSB_8equal_toIvEES6_EE10hipError_tPvRmT2_T3_T4_T5_mT6_T7_P12ihipStream_tbENKUlT_T0_E_clISt17integral_constantIbLb0EES13_EEDaSY_SZ_EUlSY_E_NS1_11comp_targetILNS1_3genE3ELNS1_11target_archE908ELNS1_3gpuE7ELNS1_3repE0EEENS1_30default_config_static_selectorELNS0_4arch9wavefront6targetE1EEEvT1_, .Lfunc_end2162-_ZN7rocprim17ROCPRIM_400000_NS6detail17trampoline_kernelINS0_14default_configENS1_27scan_by_key_config_selectorIj11FixedVectorIiLj8EEEEZZNS1_16scan_by_key_implILNS1_25lookback_scan_determinismE0ELb1ES3_N6thrust23THRUST_200600_302600_NS6detail15normal_iteratorINSB_10device_ptrIjEEEENSD_INSE_IS6_EEEESI_S6_NSB_4plusIvEENSB_8equal_toIvEES6_EE10hipError_tPvRmT2_T3_T4_T5_mT6_T7_P12ihipStream_tbENKUlT_T0_E_clISt17integral_constantIbLb0EES13_EEDaSY_SZ_EUlSY_E_NS1_11comp_targetILNS1_3genE3ELNS1_11target_archE908ELNS1_3gpuE7ELNS1_3repE0EEENS1_30default_config_static_selectorELNS0_4arch9wavefront6targetE1EEEvT1_
                                        ; -- End function
	.section	.AMDGPU.csdata,"",@progbits
; Kernel info:
; codeLenInByte = 0
; NumSgprs: 6
; NumVgprs: 0
; NumAgprs: 0
; TotalNumVgprs: 0
; ScratchSize: 0
; MemoryBound: 0
; FloatMode: 240
; IeeeMode: 1
; LDSByteSize: 0 bytes/workgroup (compile time only)
; SGPRBlocks: 0
; VGPRBlocks: 0
; NumSGPRsForWavesPerEU: 6
; NumVGPRsForWavesPerEU: 1
; AccumOffset: 4
; Occupancy: 8
; WaveLimiterHint : 0
; COMPUTE_PGM_RSRC2:SCRATCH_EN: 0
; COMPUTE_PGM_RSRC2:USER_SGPR: 2
; COMPUTE_PGM_RSRC2:TRAP_HANDLER: 0
; COMPUTE_PGM_RSRC2:TGID_X_EN: 1
; COMPUTE_PGM_RSRC2:TGID_Y_EN: 0
; COMPUTE_PGM_RSRC2:TGID_Z_EN: 0
; COMPUTE_PGM_RSRC2:TIDIG_COMP_CNT: 0
; COMPUTE_PGM_RSRC3_GFX90A:ACCUM_OFFSET: 0
; COMPUTE_PGM_RSRC3_GFX90A:TG_SPLIT: 0
	.section	.text._ZN7rocprim17ROCPRIM_400000_NS6detail17trampoline_kernelINS0_14default_configENS1_27scan_by_key_config_selectorIj11FixedVectorIiLj8EEEEZZNS1_16scan_by_key_implILNS1_25lookback_scan_determinismE0ELb1ES3_N6thrust23THRUST_200600_302600_NS6detail15normal_iteratorINSB_10device_ptrIjEEEENSD_INSE_IS6_EEEESI_S6_NSB_4plusIvEENSB_8equal_toIvEES6_EE10hipError_tPvRmT2_T3_T4_T5_mT6_T7_P12ihipStream_tbENKUlT_T0_E_clISt17integral_constantIbLb0EES13_EEDaSY_SZ_EUlSY_E_NS1_11comp_targetILNS1_3genE2ELNS1_11target_archE906ELNS1_3gpuE6ELNS1_3repE0EEENS1_30default_config_static_selectorELNS0_4arch9wavefront6targetE1EEEvT1_,"axG",@progbits,_ZN7rocprim17ROCPRIM_400000_NS6detail17trampoline_kernelINS0_14default_configENS1_27scan_by_key_config_selectorIj11FixedVectorIiLj8EEEEZZNS1_16scan_by_key_implILNS1_25lookback_scan_determinismE0ELb1ES3_N6thrust23THRUST_200600_302600_NS6detail15normal_iteratorINSB_10device_ptrIjEEEENSD_INSE_IS6_EEEESI_S6_NSB_4plusIvEENSB_8equal_toIvEES6_EE10hipError_tPvRmT2_T3_T4_T5_mT6_T7_P12ihipStream_tbENKUlT_T0_E_clISt17integral_constantIbLb0EES13_EEDaSY_SZ_EUlSY_E_NS1_11comp_targetILNS1_3genE2ELNS1_11target_archE906ELNS1_3gpuE6ELNS1_3repE0EEENS1_30default_config_static_selectorELNS0_4arch9wavefront6targetE1EEEvT1_,comdat
	.protected	_ZN7rocprim17ROCPRIM_400000_NS6detail17trampoline_kernelINS0_14default_configENS1_27scan_by_key_config_selectorIj11FixedVectorIiLj8EEEEZZNS1_16scan_by_key_implILNS1_25lookback_scan_determinismE0ELb1ES3_N6thrust23THRUST_200600_302600_NS6detail15normal_iteratorINSB_10device_ptrIjEEEENSD_INSE_IS6_EEEESI_S6_NSB_4plusIvEENSB_8equal_toIvEES6_EE10hipError_tPvRmT2_T3_T4_T5_mT6_T7_P12ihipStream_tbENKUlT_T0_E_clISt17integral_constantIbLb0EES13_EEDaSY_SZ_EUlSY_E_NS1_11comp_targetILNS1_3genE2ELNS1_11target_archE906ELNS1_3gpuE6ELNS1_3repE0EEENS1_30default_config_static_selectorELNS0_4arch9wavefront6targetE1EEEvT1_ ; -- Begin function _ZN7rocprim17ROCPRIM_400000_NS6detail17trampoline_kernelINS0_14default_configENS1_27scan_by_key_config_selectorIj11FixedVectorIiLj8EEEEZZNS1_16scan_by_key_implILNS1_25lookback_scan_determinismE0ELb1ES3_N6thrust23THRUST_200600_302600_NS6detail15normal_iteratorINSB_10device_ptrIjEEEENSD_INSE_IS6_EEEESI_S6_NSB_4plusIvEENSB_8equal_toIvEES6_EE10hipError_tPvRmT2_T3_T4_T5_mT6_T7_P12ihipStream_tbENKUlT_T0_E_clISt17integral_constantIbLb0EES13_EEDaSY_SZ_EUlSY_E_NS1_11comp_targetILNS1_3genE2ELNS1_11target_archE906ELNS1_3gpuE6ELNS1_3repE0EEENS1_30default_config_static_selectorELNS0_4arch9wavefront6targetE1EEEvT1_
	.globl	_ZN7rocprim17ROCPRIM_400000_NS6detail17trampoline_kernelINS0_14default_configENS1_27scan_by_key_config_selectorIj11FixedVectorIiLj8EEEEZZNS1_16scan_by_key_implILNS1_25lookback_scan_determinismE0ELb1ES3_N6thrust23THRUST_200600_302600_NS6detail15normal_iteratorINSB_10device_ptrIjEEEENSD_INSE_IS6_EEEESI_S6_NSB_4plusIvEENSB_8equal_toIvEES6_EE10hipError_tPvRmT2_T3_T4_T5_mT6_T7_P12ihipStream_tbENKUlT_T0_E_clISt17integral_constantIbLb0EES13_EEDaSY_SZ_EUlSY_E_NS1_11comp_targetILNS1_3genE2ELNS1_11target_archE906ELNS1_3gpuE6ELNS1_3repE0EEENS1_30default_config_static_selectorELNS0_4arch9wavefront6targetE1EEEvT1_
	.p2align	8
	.type	_ZN7rocprim17ROCPRIM_400000_NS6detail17trampoline_kernelINS0_14default_configENS1_27scan_by_key_config_selectorIj11FixedVectorIiLj8EEEEZZNS1_16scan_by_key_implILNS1_25lookback_scan_determinismE0ELb1ES3_N6thrust23THRUST_200600_302600_NS6detail15normal_iteratorINSB_10device_ptrIjEEEENSD_INSE_IS6_EEEESI_S6_NSB_4plusIvEENSB_8equal_toIvEES6_EE10hipError_tPvRmT2_T3_T4_T5_mT6_T7_P12ihipStream_tbENKUlT_T0_E_clISt17integral_constantIbLb0EES13_EEDaSY_SZ_EUlSY_E_NS1_11comp_targetILNS1_3genE2ELNS1_11target_archE906ELNS1_3gpuE6ELNS1_3repE0EEENS1_30default_config_static_selectorELNS0_4arch9wavefront6targetE1EEEvT1_,@function
_ZN7rocprim17ROCPRIM_400000_NS6detail17trampoline_kernelINS0_14default_configENS1_27scan_by_key_config_selectorIj11FixedVectorIiLj8EEEEZZNS1_16scan_by_key_implILNS1_25lookback_scan_determinismE0ELb1ES3_N6thrust23THRUST_200600_302600_NS6detail15normal_iteratorINSB_10device_ptrIjEEEENSD_INSE_IS6_EEEESI_S6_NSB_4plusIvEENSB_8equal_toIvEES6_EE10hipError_tPvRmT2_T3_T4_T5_mT6_T7_P12ihipStream_tbENKUlT_T0_E_clISt17integral_constantIbLb0EES13_EEDaSY_SZ_EUlSY_E_NS1_11comp_targetILNS1_3genE2ELNS1_11target_archE906ELNS1_3gpuE6ELNS1_3repE0EEENS1_30default_config_static_selectorELNS0_4arch9wavefront6targetE1EEEvT1_: ; @_ZN7rocprim17ROCPRIM_400000_NS6detail17trampoline_kernelINS0_14default_configENS1_27scan_by_key_config_selectorIj11FixedVectorIiLj8EEEEZZNS1_16scan_by_key_implILNS1_25lookback_scan_determinismE0ELb1ES3_N6thrust23THRUST_200600_302600_NS6detail15normal_iteratorINSB_10device_ptrIjEEEENSD_INSE_IS6_EEEESI_S6_NSB_4plusIvEENSB_8equal_toIvEES6_EE10hipError_tPvRmT2_T3_T4_T5_mT6_T7_P12ihipStream_tbENKUlT_T0_E_clISt17integral_constantIbLb0EES13_EEDaSY_SZ_EUlSY_E_NS1_11comp_targetILNS1_3genE2ELNS1_11target_archE906ELNS1_3gpuE6ELNS1_3repE0EEENS1_30default_config_static_selectorELNS0_4arch9wavefront6targetE1EEEvT1_
; %bb.0:
	.section	.rodata,"a",@progbits
	.p2align	6, 0x0
	.amdhsa_kernel _ZN7rocprim17ROCPRIM_400000_NS6detail17trampoline_kernelINS0_14default_configENS1_27scan_by_key_config_selectorIj11FixedVectorIiLj8EEEEZZNS1_16scan_by_key_implILNS1_25lookback_scan_determinismE0ELb1ES3_N6thrust23THRUST_200600_302600_NS6detail15normal_iteratorINSB_10device_ptrIjEEEENSD_INSE_IS6_EEEESI_S6_NSB_4plusIvEENSB_8equal_toIvEES6_EE10hipError_tPvRmT2_T3_T4_T5_mT6_T7_P12ihipStream_tbENKUlT_T0_E_clISt17integral_constantIbLb0EES13_EEDaSY_SZ_EUlSY_E_NS1_11comp_targetILNS1_3genE2ELNS1_11target_archE906ELNS1_3gpuE6ELNS1_3repE0EEENS1_30default_config_static_selectorELNS0_4arch9wavefront6targetE1EEEvT1_
		.amdhsa_group_segment_fixed_size 0
		.amdhsa_private_segment_fixed_size 0
		.amdhsa_kernarg_size 160
		.amdhsa_user_sgpr_count 2
		.amdhsa_user_sgpr_dispatch_ptr 0
		.amdhsa_user_sgpr_queue_ptr 0
		.amdhsa_user_sgpr_kernarg_segment_ptr 1
		.amdhsa_user_sgpr_dispatch_id 0
		.amdhsa_user_sgpr_kernarg_preload_length 0
		.amdhsa_user_sgpr_kernarg_preload_offset 0
		.amdhsa_user_sgpr_private_segment_size 0
		.amdhsa_uses_dynamic_stack 0
		.amdhsa_enable_private_segment 0
		.amdhsa_system_sgpr_workgroup_id_x 1
		.amdhsa_system_sgpr_workgroup_id_y 0
		.amdhsa_system_sgpr_workgroup_id_z 0
		.amdhsa_system_sgpr_workgroup_info 0
		.amdhsa_system_vgpr_workitem_id 0
		.amdhsa_next_free_vgpr 1
		.amdhsa_next_free_sgpr 0
		.amdhsa_accum_offset 4
		.amdhsa_reserve_vcc 0
		.amdhsa_float_round_mode_32 0
		.amdhsa_float_round_mode_16_64 0
		.amdhsa_float_denorm_mode_32 3
		.amdhsa_float_denorm_mode_16_64 3
		.amdhsa_dx10_clamp 1
		.amdhsa_ieee_mode 1
		.amdhsa_fp16_overflow 0
		.amdhsa_tg_split 0
		.amdhsa_exception_fp_ieee_invalid_op 0
		.amdhsa_exception_fp_denorm_src 0
		.amdhsa_exception_fp_ieee_div_zero 0
		.amdhsa_exception_fp_ieee_overflow 0
		.amdhsa_exception_fp_ieee_underflow 0
		.amdhsa_exception_fp_ieee_inexact 0
		.amdhsa_exception_int_div_zero 0
	.end_amdhsa_kernel
	.section	.text._ZN7rocprim17ROCPRIM_400000_NS6detail17trampoline_kernelINS0_14default_configENS1_27scan_by_key_config_selectorIj11FixedVectorIiLj8EEEEZZNS1_16scan_by_key_implILNS1_25lookback_scan_determinismE0ELb1ES3_N6thrust23THRUST_200600_302600_NS6detail15normal_iteratorINSB_10device_ptrIjEEEENSD_INSE_IS6_EEEESI_S6_NSB_4plusIvEENSB_8equal_toIvEES6_EE10hipError_tPvRmT2_T3_T4_T5_mT6_T7_P12ihipStream_tbENKUlT_T0_E_clISt17integral_constantIbLb0EES13_EEDaSY_SZ_EUlSY_E_NS1_11comp_targetILNS1_3genE2ELNS1_11target_archE906ELNS1_3gpuE6ELNS1_3repE0EEENS1_30default_config_static_selectorELNS0_4arch9wavefront6targetE1EEEvT1_,"axG",@progbits,_ZN7rocprim17ROCPRIM_400000_NS6detail17trampoline_kernelINS0_14default_configENS1_27scan_by_key_config_selectorIj11FixedVectorIiLj8EEEEZZNS1_16scan_by_key_implILNS1_25lookback_scan_determinismE0ELb1ES3_N6thrust23THRUST_200600_302600_NS6detail15normal_iteratorINSB_10device_ptrIjEEEENSD_INSE_IS6_EEEESI_S6_NSB_4plusIvEENSB_8equal_toIvEES6_EE10hipError_tPvRmT2_T3_T4_T5_mT6_T7_P12ihipStream_tbENKUlT_T0_E_clISt17integral_constantIbLb0EES13_EEDaSY_SZ_EUlSY_E_NS1_11comp_targetILNS1_3genE2ELNS1_11target_archE906ELNS1_3gpuE6ELNS1_3repE0EEENS1_30default_config_static_selectorELNS0_4arch9wavefront6targetE1EEEvT1_,comdat
.Lfunc_end2163:
	.size	_ZN7rocprim17ROCPRIM_400000_NS6detail17trampoline_kernelINS0_14default_configENS1_27scan_by_key_config_selectorIj11FixedVectorIiLj8EEEEZZNS1_16scan_by_key_implILNS1_25lookback_scan_determinismE0ELb1ES3_N6thrust23THRUST_200600_302600_NS6detail15normal_iteratorINSB_10device_ptrIjEEEENSD_INSE_IS6_EEEESI_S6_NSB_4plusIvEENSB_8equal_toIvEES6_EE10hipError_tPvRmT2_T3_T4_T5_mT6_T7_P12ihipStream_tbENKUlT_T0_E_clISt17integral_constantIbLb0EES13_EEDaSY_SZ_EUlSY_E_NS1_11comp_targetILNS1_3genE2ELNS1_11target_archE906ELNS1_3gpuE6ELNS1_3repE0EEENS1_30default_config_static_selectorELNS0_4arch9wavefront6targetE1EEEvT1_, .Lfunc_end2163-_ZN7rocprim17ROCPRIM_400000_NS6detail17trampoline_kernelINS0_14default_configENS1_27scan_by_key_config_selectorIj11FixedVectorIiLj8EEEEZZNS1_16scan_by_key_implILNS1_25lookback_scan_determinismE0ELb1ES3_N6thrust23THRUST_200600_302600_NS6detail15normal_iteratorINSB_10device_ptrIjEEEENSD_INSE_IS6_EEEESI_S6_NSB_4plusIvEENSB_8equal_toIvEES6_EE10hipError_tPvRmT2_T3_T4_T5_mT6_T7_P12ihipStream_tbENKUlT_T0_E_clISt17integral_constantIbLb0EES13_EEDaSY_SZ_EUlSY_E_NS1_11comp_targetILNS1_3genE2ELNS1_11target_archE906ELNS1_3gpuE6ELNS1_3repE0EEENS1_30default_config_static_selectorELNS0_4arch9wavefront6targetE1EEEvT1_
                                        ; -- End function
	.section	.AMDGPU.csdata,"",@progbits
; Kernel info:
; codeLenInByte = 0
; NumSgprs: 6
; NumVgprs: 0
; NumAgprs: 0
; TotalNumVgprs: 0
; ScratchSize: 0
; MemoryBound: 0
; FloatMode: 240
; IeeeMode: 1
; LDSByteSize: 0 bytes/workgroup (compile time only)
; SGPRBlocks: 0
; VGPRBlocks: 0
; NumSGPRsForWavesPerEU: 6
; NumVGPRsForWavesPerEU: 1
; AccumOffset: 4
; Occupancy: 8
; WaveLimiterHint : 0
; COMPUTE_PGM_RSRC2:SCRATCH_EN: 0
; COMPUTE_PGM_RSRC2:USER_SGPR: 2
; COMPUTE_PGM_RSRC2:TRAP_HANDLER: 0
; COMPUTE_PGM_RSRC2:TGID_X_EN: 1
; COMPUTE_PGM_RSRC2:TGID_Y_EN: 0
; COMPUTE_PGM_RSRC2:TGID_Z_EN: 0
; COMPUTE_PGM_RSRC2:TIDIG_COMP_CNT: 0
; COMPUTE_PGM_RSRC3_GFX90A:ACCUM_OFFSET: 0
; COMPUTE_PGM_RSRC3_GFX90A:TG_SPLIT: 0
	.section	.text._ZN7rocprim17ROCPRIM_400000_NS6detail17trampoline_kernelINS0_14default_configENS1_27scan_by_key_config_selectorIj11FixedVectorIiLj8EEEEZZNS1_16scan_by_key_implILNS1_25lookback_scan_determinismE0ELb1ES3_N6thrust23THRUST_200600_302600_NS6detail15normal_iteratorINSB_10device_ptrIjEEEENSD_INSE_IS6_EEEESI_S6_NSB_4plusIvEENSB_8equal_toIvEES6_EE10hipError_tPvRmT2_T3_T4_T5_mT6_T7_P12ihipStream_tbENKUlT_T0_E_clISt17integral_constantIbLb0EES13_EEDaSY_SZ_EUlSY_E_NS1_11comp_targetILNS1_3genE10ELNS1_11target_archE1200ELNS1_3gpuE4ELNS1_3repE0EEENS1_30default_config_static_selectorELNS0_4arch9wavefront6targetE1EEEvT1_,"axG",@progbits,_ZN7rocprim17ROCPRIM_400000_NS6detail17trampoline_kernelINS0_14default_configENS1_27scan_by_key_config_selectorIj11FixedVectorIiLj8EEEEZZNS1_16scan_by_key_implILNS1_25lookback_scan_determinismE0ELb1ES3_N6thrust23THRUST_200600_302600_NS6detail15normal_iteratorINSB_10device_ptrIjEEEENSD_INSE_IS6_EEEESI_S6_NSB_4plusIvEENSB_8equal_toIvEES6_EE10hipError_tPvRmT2_T3_T4_T5_mT6_T7_P12ihipStream_tbENKUlT_T0_E_clISt17integral_constantIbLb0EES13_EEDaSY_SZ_EUlSY_E_NS1_11comp_targetILNS1_3genE10ELNS1_11target_archE1200ELNS1_3gpuE4ELNS1_3repE0EEENS1_30default_config_static_selectorELNS0_4arch9wavefront6targetE1EEEvT1_,comdat
	.protected	_ZN7rocprim17ROCPRIM_400000_NS6detail17trampoline_kernelINS0_14default_configENS1_27scan_by_key_config_selectorIj11FixedVectorIiLj8EEEEZZNS1_16scan_by_key_implILNS1_25lookback_scan_determinismE0ELb1ES3_N6thrust23THRUST_200600_302600_NS6detail15normal_iteratorINSB_10device_ptrIjEEEENSD_INSE_IS6_EEEESI_S6_NSB_4plusIvEENSB_8equal_toIvEES6_EE10hipError_tPvRmT2_T3_T4_T5_mT6_T7_P12ihipStream_tbENKUlT_T0_E_clISt17integral_constantIbLb0EES13_EEDaSY_SZ_EUlSY_E_NS1_11comp_targetILNS1_3genE10ELNS1_11target_archE1200ELNS1_3gpuE4ELNS1_3repE0EEENS1_30default_config_static_selectorELNS0_4arch9wavefront6targetE1EEEvT1_ ; -- Begin function _ZN7rocprim17ROCPRIM_400000_NS6detail17trampoline_kernelINS0_14default_configENS1_27scan_by_key_config_selectorIj11FixedVectorIiLj8EEEEZZNS1_16scan_by_key_implILNS1_25lookback_scan_determinismE0ELb1ES3_N6thrust23THRUST_200600_302600_NS6detail15normal_iteratorINSB_10device_ptrIjEEEENSD_INSE_IS6_EEEESI_S6_NSB_4plusIvEENSB_8equal_toIvEES6_EE10hipError_tPvRmT2_T3_T4_T5_mT6_T7_P12ihipStream_tbENKUlT_T0_E_clISt17integral_constantIbLb0EES13_EEDaSY_SZ_EUlSY_E_NS1_11comp_targetILNS1_3genE10ELNS1_11target_archE1200ELNS1_3gpuE4ELNS1_3repE0EEENS1_30default_config_static_selectorELNS0_4arch9wavefront6targetE1EEEvT1_
	.globl	_ZN7rocprim17ROCPRIM_400000_NS6detail17trampoline_kernelINS0_14default_configENS1_27scan_by_key_config_selectorIj11FixedVectorIiLj8EEEEZZNS1_16scan_by_key_implILNS1_25lookback_scan_determinismE0ELb1ES3_N6thrust23THRUST_200600_302600_NS6detail15normal_iteratorINSB_10device_ptrIjEEEENSD_INSE_IS6_EEEESI_S6_NSB_4plusIvEENSB_8equal_toIvEES6_EE10hipError_tPvRmT2_T3_T4_T5_mT6_T7_P12ihipStream_tbENKUlT_T0_E_clISt17integral_constantIbLb0EES13_EEDaSY_SZ_EUlSY_E_NS1_11comp_targetILNS1_3genE10ELNS1_11target_archE1200ELNS1_3gpuE4ELNS1_3repE0EEENS1_30default_config_static_selectorELNS0_4arch9wavefront6targetE1EEEvT1_
	.p2align	8
	.type	_ZN7rocprim17ROCPRIM_400000_NS6detail17trampoline_kernelINS0_14default_configENS1_27scan_by_key_config_selectorIj11FixedVectorIiLj8EEEEZZNS1_16scan_by_key_implILNS1_25lookback_scan_determinismE0ELb1ES3_N6thrust23THRUST_200600_302600_NS6detail15normal_iteratorINSB_10device_ptrIjEEEENSD_INSE_IS6_EEEESI_S6_NSB_4plusIvEENSB_8equal_toIvEES6_EE10hipError_tPvRmT2_T3_T4_T5_mT6_T7_P12ihipStream_tbENKUlT_T0_E_clISt17integral_constantIbLb0EES13_EEDaSY_SZ_EUlSY_E_NS1_11comp_targetILNS1_3genE10ELNS1_11target_archE1200ELNS1_3gpuE4ELNS1_3repE0EEENS1_30default_config_static_selectorELNS0_4arch9wavefront6targetE1EEEvT1_,@function
_ZN7rocprim17ROCPRIM_400000_NS6detail17trampoline_kernelINS0_14default_configENS1_27scan_by_key_config_selectorIj11FixedVectorIiLj8EEEEZZNS1_16scan_by_key_implILNS1_25lookback_scan_determinismE0ELb1ES3_N6thrust23THRUST_200600_302600_NS6detail15normal_iteratorINSB_10device_ptrIjEEEENSD_INSE_IS6_EEEESI_S6_NSB_4plusIvEENSB_8equal_toIvEES6_EE10hipError_tPvRmT2_T3_T4_T5_mT6_T7_P12ihipStream_tbENKUlT_T0_E_clISt17integral_constantIbLb0EES13_EEDaSY_SZ_EUlSY_E_NS1_11comp_targetILNS1_3genE10ELNS1_11target_archE1200ELNS1_3gpuE4ELNS1_3repE0EEENS1_30default_config_static_selectorELNS0_4arch9wavefront6targetE1EEEvT1_: ; @_ZN7rocprim17ROCPRIM_400000_NS6detail17trampoline_kernelINS0_14default_configENS1_27scan_by_key_config_selectorIj11FixedVectorIiLj8EEEEZZNS1_16scan_by_key_implILNS1_25lookback_scan_determinismE0ELb1ES3_N6thrust23THRUST_200600_302600_NS6detail15normal_iteratorINSB_10device_ptrIjEEEENSD_INSE_IS6_EEEESI_S6_NSB_4plusIvEENSB_8equal_toIvEES6_EE10hipError_tPvRmT2_T3_T4_T5_mT6_T7_P12ihipStream_tbENKUlT_T0_E_clISt17integral_constantIbLb0EES13_EEDaSY_SZ_EUlSY_E_NS1_11comp_targetILNS1_3genE10ELNS1_11target_archE1200ELNS1_3gpuE4ELNS1_3repE0EEENS1_30default_config_static_selectorELNS0_4arch9wavefront6targetE1EEEvT1_
; %bb.0:
	.section	.rodata,"a",@progbits
	.p2align	6, 0x0
	.amdhsa_kernel _ZN7rocprim17ROCPRIM_400000_NS6detail17trampoline_kernelINS0_14default_configENS1_27scan_by_key_config_selectorIj11FixedVectorIiLj8EEEEZZNS1_16scan_by_key_implILNS1_25lookback_scan_determinismE0ELb1ES3_N6thrust23THRUST_200600_302600_NS6detail15normal_iteratorINSB_10device_ptrIjEEEENSD_INSE_IS6_EEEESI_S6_NSB_4plusIvEENSB_8equal_toIvEES6_EE10hipError_tPvRmT2_T3_T4_T5_mT6_T7_P12ihipStream_tbENKUlT_T0_E_clISt17integral_constantIbLb0EES13_EEDaSY_SZ_EUlSY_E_NS1_11comp_targetILNS1_3genE10ELNS1_11target_archE1200ELNS1_3gpuE4ELNS1_3repE0EEENS1_30default_config_static_selectorELNS0_4arch9wavefront6targetE1EEEvT1_
		.amdhsa_group_segment_fixed_size 0
		.amdhsa_private_segment_fixed_size 0
		.amdhsa_kernarg_size 160
		.amdhsa_user_sgpr_count 2
		.amdhsa_user_sgpr_dispatch_ptr 0
		.amdhsa_user_sgpr_queue_ptr 0
		.amdhsa_user_sgpr_kernarg_segment_ptr 1
		.amdhsa_user_sgpr_dispatch_id 0
		.amdhsa_user_sgpr_kernarg_preload_length 0
		.amdhsa_user_sgpr_kernarg_preload_offset 0
		.amdhsa_user_sgpr_private_segment_size 0
		.amdhsa_uses_dynamic_stack 0
		.amdhsa_enable_private_segment 0
		.amdhsa_system_sgpr_workgroup_id_x 1
		.amdhsa_system_sgpr_workgroup_id_y 0
		.amdhsa_system_sgpr_workgroup_id_z 0
		.amdhsa_system_sgpr_workgroup_info 0
		.amdhsa_system_vgpr_workitem_id 0
		.amdhsa_next_free_vgpr 1
		.amdhsa_next_free_sgpr 0
		.amdhsa_accum_offset 4
		.amdhsa_reserve_vcc 0
		.amdhsa_float_round_mode_32 0
		.amdhsa_float_round_mode_16_64 0
		.amdhsa_float_denorm_mode_32 3
		.amdhsa_float_denorm_mode_16_64 3
		.amdhsa_dx10_clamp 1
		.amdhsa_ieee_mode 1
		.amdhsa_fp16_overflow 0
		.amdhsa_tg_split 0
		.amdhsa_exception_fp_ieee_invalid_op 0
		.amdhsa_exception_fp_denorm_src 0
		.amdhsa_exception_fp_ieee_div_zero 0
		.amdhsa_exception_fp_ieee_overflow 0
		.amdhsa_exception_fp_ieee_underflow 0
		.amdhsa_exception_fp_ieee_inexact 0
		.amdhsa_exception_int_div_zero 0
	.end_amdhsa_kernel
	.section	.text._ZN7rocprim17ROCPRIM_400000_NS6detail17trampoline_kernelINS0_14default_configENS1_27scan_by_key_config_selectorIj11FixedVectorIiLj8EEEEZZNS1_16scan_by_key_implILNS1_25lookback_scan_determinismE0ELb1ES3_N6thrust23THRUST_200600_302600_NS6detail15normal_iteratorINSB_10device_ptrIjEEEENSD_INSE_IS6_EEEESI_S6_NSB_4plusIvEENSB_8equal_toIvEES6_EE10hipError_tPvRmT2_T3_T4_T5_mT6_T7_P12ihipStream_tbENKUlT_T0_E_clISt17integral_constantIbLb0EES13_EEDaSY_SZ_EUlSY_E_NS1_11comp_targetILNS1_3genE10ELNS1_11target_archE1200ELNS1_3gpuE4ELNS1_3repE0EEENS1_30default_config_static_selectorELNS0_4arch9wavefront6targetE1EEEvT1_,"axG",@progbits,_ZN7rocprim17ROCPRIM_400000_NS6detail17trampoline_kernelINS0_14default_configENS1_27scan_by_key_config_selectorIj11FixedVectorIiLj8EEEEZZNS1_16scan_by_key_implILNS1_25lookback_scan_determinismE0ELb1ES3_N6thrust23THRUST_200600_302600_NS6detail15normal_iteratorINSB_10device_ptrIjEEEENSD_INSE_IS6_EEEESI_S6_NSB_4plusIvEENSB_8equal_toIvEES6_EE10hipError_tPvRmT2_T3_T4_T5_mT6_T7_P12ihipStream_tbENKUlT_T0_E_clISt17integral_constantIbLb0EES13_EEDaSY_SZ_EUlSY_E_NS1_11comp_targetILNS1_3genE10ELNS1_11target_archE1200ELNS1_3gpuE4ELNS1_3repE0EEENS1_30default_config_static_selectorELNS0_4arch9wavefront6targetE1EEEvT1_,comdat
.Lfunc_end2164:
	.size	_ZN7rocprim17ROCPRIM_400000_NS6detail17trampoline_kernelINS0_14default_configENS1_27scan_by_key_config_selectorIj11FixedVectorIiLj8EEEEZZNS1_16scan_by_key_implILNS1_25lookback_scan_determinismE0ELb1ES3_N6thrust23THRUST_200600_302600_NS6detail15normal_iteratorINSB_10device_ptrIjEEEENSD_INSE_IS6_EEEESI_S6_NSB_4plusIvEENSB_8equal_toIvEES6_EE10hipError_tPvRmT2_T3_T4_T5_mT6_T7_P12ihipStream_tbENKUlT_T0_E_clISt17integral_constantIbLb0EES13_EEDaSY_SZ_EUlSY_E_NS1_11comp_targetILNS1_3genE10ELNS1_11target_archE1200ELNS1_3gpuE4ELNS1_3repE0EEENS1_30default_config_static_selectorELNS0_4arch9wavefront6targetE1EEEvT1_, .Lfunc_end2164-_ZN7rocprim17ROCPRIM_400000_NS6detail17trampoline_kernelINS0_14default_configENS1_27scan_by_key_config_selectorIj11FixedVectorIiLj8EEEEZZNS1_16scan_by_key_implILNS1_25lookback_scan_determinismE0ELb1ES3_N6thrust23THRUST_200600_302600_NS6detail15normal_iteratorINSB_10device_ptrIjEEEENSD_INSE_IS6_EEEESI_S6_NSB_4plusIvEENSB_8equal_toIvEES6_EE10hipError_tPvRmT2_T3_T4_T5_mT6_T7_P12ihipStream_tbENKUlT_T0_E_clISt17integral_constantIbLb0EES13_EEDaSY_SZ_EUlSY_E_NS1_11comp_targetILNS1_3genE10ELNS1_11target_archE1200ELNS1_3gpuE4ELNS1_3repE0EEENS1_30default_config_static_selectorELNS0_4arch9wavefront6targetE1EEEvT1_
                                        ; -- End function
	.section	.AMDGPU.csdata,"",@progbits
; Kernel info:
; codeLenInByte = 0
; NumSgprs: 6
; NumVgprs: 0
; NumAgprs: 0
; TotalNumVgprs: 0
; ScratchSize: 0
; MemoryBound: 0
; FloatMode: 240
; IeeeMode: 1
; LDSByteSize: 0 bytes/workgroup (compile time only)
; SGPRBlocks: 0
; VGPRBlocks: 0
; NumSGPRsForWavesPerEU: 6
; NumVGPRsForWavesPerEU: 1
; AccumOffset: 4
; Occupancy: 8
; WaveLimiterHint : 0
; COMPUTE_PGM_RSRC2:SCRATCH_EN: 0
; COMPUTE_PGM_RSRC2:USER_SGPR: 2
; COMPUTE_PGM_RSRC2:TRAP_HANDLER: 0
; COMPUTE_PGM_RSRC2:TGID_X_EN: 1
; COMPUTE_PGM_RSRC2:TGID_Y_EN: 0
; COMPUTE_PGM_RSRC2:TGID_Z_EN: 0
; COMPUTE_PGM_RSRC2:TIDIG_COMP_CNT: 0
; COMPUTE_PGM_RSRC3_GFX90A:ACCUM_OFFSET: 0
; COMPUTE_PGM_RSRC3_GFX90A:TG_SPLIT: 0
	.section	.text._ZN7rocprim17ROCPRIM_400000_NS6detail17trampoline_kernelINS0_14default_configENS1_27scan_by_key_config_selectorIj11FixedVectorIiLj8EEEEZZNS1_16scan_by_key_implILNS1_25lookback_scan_determinismE0ELb1ES3_N6thrust23THRUST_200600_302600_NS6detail15normal_iteratorINSB_10device_ptrIjEEEENSD_INSE_IS6_EEEESI_S6_NSB_4plusIvEENSB_8equal_toIvEES6_EE10hipError_tPvRmT2_T3_T4_T5_mT6_T7_P12ihipStream_tbENKUlT_T0_E_clISt17integral_constantIbLb0EES13_EEDaSY_SZ_EUlSY_E_NS1_11comp_targetILNS1_3genE9ELNS1_11target_archE1100ELNS1_3gpuE3ELNS1_3repE0EEENS1_30default_config_static_selectorELNS0_4arch9wavefront6targetE1EEEvT1_,"axG",@progbits,_ZN7rocprim17ROCPRIM_400000_NS6detail17trampoline_kernelINS0_14default_configENS1_27scan_by_key_config_selectorIj11FixedVectorIiLj8EEEEZZNS1_16scan_by_key_implILNS1_25lookback_scan_determinismE0ELb1ES3_N6thrust23THRUST_200600_302600_NS6detail15normal_iteratorINSB_10device_ptrIjEEEENSD_INSE_IS6_EEEESI_S6_NSB_4plusIvEENSB_8equal_toIvEES6_EE10hipError_tPvRmT2_T3_T4_T5_mT6_T7_P12ihipStream_tbENKUlT_T0_E_clISt17integral_constantIbLb0EES13_EEDaSY_SZ_EUlSY_E_NS1_11comp_targetILNS1_3genE9ELNS1_11target_archE1100ELNS1_3gpuE3ELNS1_3repE0EEENS1_30default_config_static_selectorELNS0_4arch9wavefront6targetE1EEEvT1_,comdat
	.protected	_ZN7rocprim17ROCPRIM_400000_NS6detail17trampoline_kernelINS0_14default_configENS1_27scan_by_key_config_selectorIj11FixedVectorIiLj8EEEEZZNS1_16scan_by_key_implILNS1_25lookback_scan_determinismE0ELb1ES3_N6thrust23THRUST_200600_302600_NS6detail15normal_iteratorINSB_10device_ptrIjEEEENSD_INSE_IS6_EEEESI_S6_NSB_4plusIvEENSB_8equal_toIvEES6_EE10hipError_tPvRmT2_T3_T4_T5_mT6_T7_P12ihipStream_tbENKUlT_T0_E_clISt17integral_constantIbLb0EES13_EEDaSY_SZ_EUlSY_E_NS1_11comp_targetILNS1_3genE9ELNS1_11target_archE1100ELNS1_3gpuE3ELNS1_3repE0EEENS1_30default_config_static_selectorELNS0_4arch9wavefront6targetE1EEEvT1_ ; -- Begin function _ZN7rocprim17ROCPRIM_400000_NS6detail17trampoline_kernelINS0_14default_configENS1_27scan_by_key_config_selectorIj11FixedVectorIiLj8EEEEZZNS1_16scan_by_key_implILNS1_25lookback_scan_determinismE0ELb1ES3_N6thrust23THRUST_200600_302600_NS6detail15normal_iteratorINSB_10device_ptrIjEEEENSD_INSE_IS6_EEEESI_S6_NSB_4plusIvEENSB_8equal_toIvEES6_EE10hipError_tPvRmT2_T3_T4_T5_mT6_T7_P12ihipStream_tbENKUlT_T0_E_clISt17integral_constantIbLb0EES13_EEDaSY_SZ_EUlSY_E_NS1_11comp_targetILNS1_3genE9ELNS1_11target_archE1100ELNS1_3gpuE3ELNS1_3repE0EEENS1_30default_config_static_selectorELNS0_4arch9wavefront6targetE1EEEvT1_
	.globl	_ZN7rocprim17ROCPRIM_400000_NS6detail17trampoline_kernelINS0_14default_configENS1_27scan_by_key_config_selectorIj11FixedVectorIiLj8EEEEZZNS1_16scan_by_key_implILNS1_25lookback_scan_determinismE0ELb1ES3_N6thrust23THRUST_200600_302600_NS6detail15normal_iteratorINSB_10device_ptrIjEEEENSD_INSE_IS6_EEEESI_S6_NSB_4plusIvEENSB_8equal_toIvEES6_EE10hipError_tPvRmT2_T3_T4_T5_mT6_T7_P12ihipStream_tbENKUlT_T0_E_clISt17integral_constantIbLb0EES13_EEDaSY_SZ_EUlSY_E_NS1_11comp_targetILNS1_3genE9ELNS1_11target_archE1100ELNS1_3gpuE3ELNS1_3repE0EEENS1_30default_config_static_selectorELNS0_4arch9wavefront6targetE1EEEvT1_
	.p2align	8
	.type	_ZN7rocprim17ROCPRIM_400000_NS6detail17trampoline_kernelINS0_14default_configENS1_27scan_by_key_config_selectorIj11FixedVectorIiLj8EEEEZZNS1_16scan_by_key_implILNS1_25lookback_scan_determinismE0ELb1ES3_N6thrust23THRUST_200600_302600_NS6detail15normal_iteratorINSB_10device_ptrIjEEEENSD_INSE_IS6_EEEESI_S6_NSB_4plusIvEENSB_8equal_toIvEES6_EE10hipError_tPvRmT2_T3_T4_T5_mT6_T7_P12ihipStream_tbENKUlT_T0_E_clISt17integral_constantIbLb0EES13_EEDaSY_SZ_EUlSY_E_NS1_11comp_targetILNS1_3genE9ELNS1_11target_archE1100ELNS1_3gpuE3ELNS1_3repE0EEENS1_30default_config_static_selectorELNS0_4arch9wavefront6targetE1EEEvT1_,@function
_ZN7rocprim17ROCPRIM_400000_NS6detail17trampoline_kernelINS0_14default_configENS1_27scan_by_key_config_selectorIj11FixedVectorIiLj8EEEEZZNS1_16scan_by_key_implILNS1_25lookback_scan_determinismE0ELb1ES3_N6thrust23THRUST_200600_302600_NS6detail15normal_iteratorINSB_10device_ptrIjEEEENSD_INSE_IS6_EEEESI_S6_NSB_4plusIvEENSB_8equal_toIvEES6_EE10hipError_tPvRmT2_T3_T4_T5_mT6_T7_P12ihipStream_tbENKUlT_T0_E_clISt17integral_constantIbLb0EES13_EEDaSY_SZ_EUlSY_E_NS1_11comp_targetILNS1_3genE9ELNS1_11target_archE1100ELNS1_3gpuE3ELNS1_3repE0EEENS1_30default_config_static_selectorELNS0_4arch9wavefront6targetE1EEEvT1_: ; @_ZN7rocprim17ROCPRIM_400000_NS6detail17trampoline_kernelINS0_14default_configENS1_27scan_by_key_config_selectorIj11FixedVectorIiLj8EEEEZZNS1_16scan_by_key_implILNS1_25lookback_scan_determinismE0ELb1ES3_N6thrust23THRUST_200600_302600_NS6detail15normal_iteratorINSB_10device_ptrIjEEEENSD_INSE_IS6_EEEESI_S6_NSB_4plusIvEENSB_8equal_toIvEES6_EE10hipError_tPvRmT2_T3_T4_T5_mT6_T7_P12ihipStream_tbENKUlT_T0_E_clISt17integral_constantIbLb0EES13_EEDaSY_SZ_EUlSY_E_NS1_11comp_targetILNS1_3genE9ELNS1_11target_archE1100ELNS1_3gpuE3ELNS1_3repE0EEENS1_30default_config_static_selectorELNS0_4arch9wavefront6targetE1EEEvT1_
; %bb.0:
	.section	.rodata,"a",@progbits
	.p2align	6, 0x0
	.amdhsa_kernel _ZN7rocprim17ROCPRIM_400000_NS6detail17trampoline_kernelINS0_14default_configENS1_27scan_by_key_config_selectorIj11FixedVectorIiLj8EEEEZZNS1_16scan_by_key_implILNS1_25lookback_scan_determinismE0ELb1ES3_N6thrust23THRUST_200600_302600_NS6detail15normal_iteratorINSB_10device_ptrIjEEEENSD_INSE_IS6_EEEESI_S6_NSB_4plusIvEENSB_8equal_toIvEES6_EE10hipError_tPvRmT2_T3_T4_T5_mT6_T7_P12ihipStream_tbENKUlT_T0_E_clISt17integral_constantIbLb0EES13_EEDaSY_SZ_EUlSY_E_NS1_11comp_targetILNS1_3genE9ELNS1_11target_archE1100ELNS1_3gpuE3ELNS1_3repE0EEENS1_30default_config_static_selectorELNS0_4arch9wavefront6targetE1EEEvT1_
		.amdhsa_group_segment_fixed_size 0
		.amdhsa_private_segment_fixed_size 0
		.amdhsa_kernarg_size 160
		.amdhsa_user_sgpr_count 2
		.amdhsa_user_sgpr_dispatch_ptr 0
		.amdhsa_user_sgpr_queue_ptr 0
		.amdhsa_user_sgpr_kernarg_segment_ptr 1
		.amdhsa_user_sgpr_dispatch_id 0
		.amdhsa_user_sgpr_kernarg_preload_length 0
		.amdhsa_user_sgpr_kernarg_preload_offset 0
		.amdhsa_user_sgpr_private_segment_size 0
		.amdhsa_uses_dynamic_stack 0
		.amdhsa_enable_private_segment 0
		.amdhsa_system_sgpr_workgroup_id_x 1
		.amdhsa_system_sgpr_workgroup_id_y 0
		.amdhsa_system_sgpr_workgroup_id_z 0
		.amdhsa_system_sgpr_workgroup_info 0
		.amdhsa_system_vgpr_workitem_id 0
		.amdhsa_next_free_vgpr 1
		.amdhsa_next_free_sgpr 0
		.amdhsa_accum_offset 4
		.amdhsa_reserve_vcc 0
		.amdhsa_float_round_mode_32 0
		.amdhsa_float_round_mode_16_64 0
		.amdhsa_float_denorm_mode_32 3
		.amdhsa_float_denorm_mode_16_64 3
		.amdhsa_dx10_clamp 1
		.amdhsa_ieee_mode 1
		.amdhsa_fp16_overflow 0
		.amdhsa_tg_split 0
		.amdhsa_exception_fp_ieee_invalid_op 0
		.amdhsa_exception_fp_denorm_src 0
		.amdhsa_exception_fp_ieee_div_zero 0
		.amdhsa_exception_fp_ieee_overflow 0
		.amdhsa_exception_fp_ieee_underflow 0
		.amdhsa_exception_fp_ieee_inexact 0
		.amdhsa_exception_int_div_zero 0
	.end_amdhsa_kernel
	.section	.text._ZN7rocprim17ROCPRIM_400000_NS6detail17trampoline_kernelINS0_14default_configENS1_27scan_by_key_config_selectorIj11FixedVectorIiLj8EEEEZZNS1_16scan_by_key_implILNS1_25lookback_scan_determinismE0ELb1ES3_N6thrust23THRUST_200600_302600_NS6detail15normal_iteratorINSB_10device_ptrIjEEEENSD_INSE_IS6_EEEESI_S6_NSB_4plusIvEENSB_8equal_toIvEES6_EE10hipError_tPvRmT2_T3_T4_T5_mT6_T7_P12ihipStream_tbENKUlT_T0_E_clISt17integral_constantIbLb0EES13_EEDaSY_SZ_EUlSY_E_NS1_11comp_targetILNS1_3genE9ELNS1_11target_archE1100ELNS1_3gpuE3ELNS1_3repE0EEENS1_30default_config_static_selectorELNS0_4arch9wavefront6targetE1EEEvT1_,"axG",@progbits,_ZN7rocprim17ROCPRIM_400000_NS6detail17trampoline_kernelINS0_14default_configENS1_27scan_by_key_config_selectorIj11FixedVectorIiLj8EEEEZZNS1_16scan_by_key_implILNS1_25lookback_scan_determinismE0ELb1ES3_N6thrust23THRUST_200600_302600_NS6detail15normal_iteratorINSB_10device_ptrIjEEEENSD_INSE_IS6_EEEESI_S6_NSB_4plusIvEENSB_8equal_toIvEES6_EE10hipError_tPvRmT2_T3_T4_T5_mT6_T7_P12ihipStream_tbENKUlT_T0_E_clISt17integral_constantIbLb0EES13_EEDaSY_SZ_EUlSY_E_NS1_11comp_targetILNS1_3genE9ELNS1_11target_archE1100ELNS1_3gpuE3ELNS1_3repE0EEENS1_30default_config_static_selectorELNS0_4arch9wavefront6targetE1EEEvT1_,comdat
.Lfunc_end2165:
	.size	_ZN7rocprim17ROCPRIM_400000_NS6detail17trampoline_kernelINS0_14default_configENS1_27scan_by_key_config_selectorIj11FixedVectorIiLj8EEEEZZNS1_16scan_by_key_implILNS1_25lookback_scan_determinismE0ELb1ES3_N6thrust23THRUST_200600_302600_NS6detail15normal_iteratorINSB_10device_ptrIjEEEENSD_INSE_IS6_EEEESI_S6_NSB_4plusIvEENSB_8equal_toIvEES6_EE10hipError_tPvRmT2_T3_T4_T5_mT6_T7_P12ihipStream_tbENKUlT_T0_E_clISt17integral_constantIbLb0EES13_EEDaSY_SZ_EUlSY_E_NS1_11comp_targetILNS1_3genE9ELNS1_11target_archE1100ELNS1_3gpuE3ELNS1_3repE0EEENS1_30default_config_static_selectorELNS0_4arch9wavefront6targetE1EEEvT1_, .Lfunc_end2165-_ZN7rocprim17ROCPRIM_400000_NS6detail17trampoline_kernelINS0_14default_configENS1_27scan_by_key_config_selectorIj11FixedVectorIiLj8EEEEZZNS1_16scan_by_key_implILNS1_25lookback_scan_determinismE0ELb1ES3_N6thrust23THRUST_200600_302600_NS6detail15normal_iteratorINSB_10device_ptrIjEEEENSD_INSE_IS6_EEEESI_S6_NSB_4plusIvEENSB_8equal_toIvEES6_EE10hipError_tPvRmT2_T3_T4_T5_mT6_T7_P12ihipStream_tbENKUlT_T0_E_clISt17integral_constantIbLb0EES13_EEDaSY_SZ_EUlSY_E_NS1_11comp_targetILNS1_3genE9ELNS1_11target_archE1100ELNS1_3gpuE3ELNS1_3repE0EEENS1_30default_config_static_selectorELNS0_4arch9wavefront6targetE1EEEvT1_
                                        ; -- End function
	.section	.AMDGPU.csdata,"",@progbits
; Kernel info:
; codeLenInByte = 0
; NumSgprs: 6
; NumVgprs: 0
; NumAgprs: 0
; TotalNumVgprs: 0
; ScratchSize: 0
; MemoryBound: 0
; FloatMode: 240
; IeeeMode: 1
; LDSByteSize: 0 bytes/workgroup (compile time only)
; SGPRBlocks: 0
; VGPRBlocks: 0
; NumSGPRsForWavesPerEU: 6
; NumVGPRsForWavesPerEU: 1
; AccumOffset: 4
; Occupancy: 8
; WaveLimiterHint : 0
; COMPUTE_PGM_RSRC2:SCRATCH_EN: 0
; COMPUTE_PGM_RSRC2:USER_SGPR: 2
; COMPUTE_PGM_RSRC2:TRAP_HANDLER: 0
; COMPUTE_PGM_RSRC2:TGID_X_EN: 1
; COMPUTE_PGM_RSRC2:TGID_Y_EN: 0
; COMPUTE_PGM_RSRC2:TGID_Z_EN: 0
; COMPUTE_PGM_RSRC2:TIDIG_COMP_CNT: 0
; COMPUTE_PGM_RSRC3_GFX90A:ACCUM_OFFSET: 0
; COMPUTE_PGM_RSRC3_GFX90A:TG_SPLIT: 0
	.section	.text._ZN7rocprim17ROCPRIM_400000_NS6detail17trampoline_kernelINS0_14default_configENS1_27scan_by_key_config_selectorIj11FixedVectorIiLj8EEEEZZNS1_16scan_by_key_implILNS1_25lookback_scan_determinismE0ELb1ES3_N6thrust23THRUST_200600_302600_NS6detail15normal_iteratorINSB_10device_ptrIjEEEENSD_INSE_IS6_EEEESI_S6_NSB_4plusIvEENSB_8equal_toIvEES6_EE10hipError_tPvRmT2_T3_T4_T5_mT6_T7_P12ihipStream_tbENKUlT_T0_E_clISt17integral_constantIbLb0EES13_EEDaSY_SZ_EUlSY_E_NS1_11comp_targetILNS1_3genE8ELNS1_11target_archE1030ELNS1_3gpuE2ELNS1_3repE0EEENS1_30default_config_static_selectorELNS0_4arch9wavefront6targetE1EEEvT1_,"axG",@progbits,_ZN7rocprim17ROCPRIM_400000_NS6detail17trampoline_kernelINS0_14default_configENS1_27scan_by_key_config_selectorIj11FixedVectorIiLj8EEEEZZNS1_16scan_by_key_implILNS1_25lookback_scan_determinismE0ELb1ES3_N6thrust23THRUST_200600_302600_NS6detail15normal_iteratorINSB_10device_ptrIjEEEENSD_INSE_IS6_EEEESI_S6_NSB_4plusIvEENSB_8equal_toIvEES6_EE10hipError_tPvRmT2_T3_T4_T5_mT6_T7_P12ihipStream_tbENKUlT_T0_E_clISt17integral_constantIbLb0EES13_EEDaSY_SZ_EUlSY_E_NS1_11comp_targetILNS1_3genE8ELNS1_11target_archE1030ELNS1_3gpuE2ELNS1_3repE0EEENS1_30default_config_static_selectorELNS0_4arch9wavefront6targetE1EEEvT1_,comdat
	.protected	_ZN7rocprim17ROCPRIM_400000_NS6detail17trampoline_kernelINS0_14default_configENS1_27scan_by_key_config_selectorIj11FixedVectorIiLj8EEEEZZNS1_16scan_by_key_implILNS1_25lookback_scan_determinismE0ELb1ES3_N6thrust23THRUST_200600_302600_NS6detail15normal_iteratorINSB_10device_ptrIjEEEENSD_INSE_IS6_EEEESI_S6_NSB_4plusIvEENSB_8equal_toIvEES6_EE10hipError_tPvRmT2_T3_T4_T5_mT6_T7_P12ihipStream_tbENKUlT_T0_E_clISt17integral_constantIbLb0EES13_EEDaSY_SZ_EUlSY_E_NS1_11comp_targetILNS1_3genE8ELNS1_11target_archE1030ELNS1_3gpuE2ELNS1_3repE0EEENS1_30default_config_static_selectorELNS0_4arch9wavefront6targetE1EEEvT1_ ; -- Begin function _ZN7rocprim17ROCPRIM_400000_NS6detail17trampoline_kernelINS0_14default_configENS1_27scan_by_key_config_selectorIj11FixedVectorIiLj8EEEEZZNS1_16scan_by_key_implILNS1_25lookback_scan_determinismE0ELb1ES3_N6thrust23THRUST_200600_302600_NS6detail15normal_iteratorINSB_10device_ptrIjEEEENSD_INSE_IS6_EEEESI_S6_NSB_4plusIvEENSB_8equal_toIvEES6_EE10hipError_tPvRmT2_T3_T4_T5_mT6_T7_P12ihipStream_tbENKUlT_T0_E_clISt17integral_constantIbLb0EES13_EEDaSY_SZ_EUlSY_E_NS1_11comp_targetILNS1_3genE8ELNS1_11target_archE1030ELNS1_3gpuE2ELNS1_3repE0EEENS1_30default_config_static_selectorELNS0_4arch9wavefront6targetE1EEEvT1_
	.globl	_ZN7rocprim17ROCPRIM_400000_NS6detail17trampoline_kernelINS0_14default_configENS1_27scan_by_key_config_selectorIj11FixedVectorIiLj8EEEEZZNS1_16scan_by_key_implILNS1_25lookback_scan_determinismE0ELb1ES3_N6thrust23THRUST_200600_302600_NS6detail15normal_iteratorINSB_10device_ptrIjEEEENSD_INSE_IS6_EEEESI_S6_NSB_4plusIvEENSB_8equal_toIvEES6_EE10hipError_tPvRmT2_T3_T4_T5_mT6_T7_P12ihipStream_tbENKUlT_T0_E_clISt17integral_constantIbLb0EES13_EEDaSY_SZ_EUlSY_E_NS1_11comp_targetILNS1_3genE8ELNS1_11target_archE1030ELNS1_3gpuE2ELNS1_3repE0EEENS1_30default_config_static_selectorELNS0_4arch9wavefront6targetE1EEEvT1_
	.p2align	8
	.type	_ZN7rocprim17ROCPRIM_400000_NS6detail17trampoline_kernelINS0_14default_configENS1_27scan_by_key_config_selectorIj11FixedVectorIiLj8EEEEZZNS1_16scan_by_key_implILNS1_25lookback_scan_determinismE0ELb1ES3_N6thrust23THRUST_200600_302600_NS6detail15normal_iteratorINSB_10device_ptrIjEEEENSD_INSE_IS6_EEEESI_S6_NSB_4plusIvEENSB_8equal_toIvEES6_EE10hipError_tPvRmT2_T3_T4_T5_mT6_T7_P12ihipStream_tbENKUlT_T0_E_clISt17integral_constantIbLb0EES13_EEDaSY_SZ_EUlSY_E_NS1_11comp_targetILNS1_3genE8ELNS1_11target_archE1030ELNS1_3gpuE2ELNS1_3repE0EEENS1_30default_config_static_selectorELNS0_4arch9wavefront6targetE1EEEvT1_,@function
_ZN7rocprim17ROCPRIM_400000_NS6detail17trampoline_kernelINS0_14default_configENS1_27scan_by_key_config_selectorIj11FixedVectorIiLj8EEEEZZNS1_16scan_by_key_implILNS1_25lookback_scan_determinismE0ELb1ES3_N6thrust23THRUST_200600_302600_NS6detail15normal_iteratorINSB_10device_ptrIjEEEENSD_INSE_IS6_EEEESI_S6_NSB_4plusIvEENSB_8equal_toIvEES6_EE10hipError_tPvRmT2_T3_T4_T5_mT6_T7_P12ihipStream_tbENKUlT_T0_E_clISt17integral_constantIbLb0EES13_EEDaSY_SZ_EUlSY_E_NS1_11comp_targetILNS1_3genE8ELNS1_11target_archE1030ELNS1_3gpuE2ELNS1_3repE0EEENS1_30default_config_static_selectorELNS0_4arch9wavefront6targetE1EEEvT1_: ; @_ZN7rocprim17ROCPRIM_400000_NS6detail17trampoline_kernelINS0_14default_configENS1_27scan_by_key_config_selectorIj11FixedVectorIiLj8EEEEZZNS1_16scan_by_key_implILNS1_25lookback_scan_determinismE0ELb1ES3_N6thrust23THRUST_200600_302600_NS6detail15normal_iteratorINSB_10device_ptrIjEEEENSD_INSE_IS6_EEEESI_S6_NSB_4plusIvEENSB_8equal_toIvEES6_EE10hipError_tPvRmT2_T3_T4_T5_mT6_T7_P12ihipStream_tbENKUlT_T0_E_clISt17integral_constantIbLb0EES13_EEDaSY_SZ_EUlSY_E_NS1_11comp_targetILNS1_3genE8ELNS1_11target_archE1030ELNS1_3gpuE2ELNS1_3repE0EEENS1_30default_config_static_selectorELNS0_4arch9wavefront6targetE1EEEvT1_
; %bb.0:
	.section	.rodata,"a",@progbits
	.p2align	6, 0x0
	.amdhsa_kernel _ZN7rocprim17ROCPRIM_400000_NS6detail17trampoline_kernelINS0_14default_configENS1_27scan_by_key_config_selectorIj11FixedVectorIiLj8EEEEZZNS1_16scan_by_key_implILNS1_25lookback_scan_determinismE0ELb1ES3_N6thrust23THRUST_200600_302600_NS6detail15normal_iteratorINSB_10device_ptrIjEEEENSD_INSE_IS6_EEEESI_S6_NSB_4plusIvEENSB_8equal_toIvEES6_EE10hipError_tPvRmT2_T3_T4_T5_mT6_T7_P12ihipStream_tbENKUlT_T0_E_clISt17integral_constantIbLb0EES13_EEDaSY_SZ_EUlSY_E_NS1_11comp_targetILNS1_3genE8ELNS1_11target_archE1030ELNS1_3gpuE2ELNS1_3repE0EEENS1_30default_config_static_selectorELNS0_4arch9wavefront6targetE1EEEvT1_
		.amdhsa_group_segment_fixed_size 0
		.amdhsa_private_segment_fixed_size 0
		.amdhsa_kernarg_size 160
		.amdhsa_user_sgpr_count 2
		.amdhsa_user_sgpr_dispatch_ptr 0
		.amdhsa_user_sgpr_queue_ptr 0
		.amdhsa_user_sgpr_kernarg_segment_ptr 1
		.amdhsa_user_sgpr_dispatch_id 0
		.amdhsa_user_sgpr_kernarg_preload_length 0
		.amdhsa_user_sgpr_kernarg_preload_offset 0
		.amdhsa_user_sgpr_private_segment_size 0
		.amdhsa_uses_dynamic_stack 0
		.amdhsa_enable_private_segment 0
		.amdhsa_system_sgpr_workgroup_id_x 1
		.amdhsa_system_sgpr_workgroup_id_y 0
		.amdhsa_system_sgpr_workgroup_id_z 0
		.amdhsa_system_sgpr_workgroup_info 0
		.amdhsa_system_vgpr_workitem_id 0
		.amdhsa_next_free_vgpr 1
		.amdhsa_next_free_sgpr 0
		.amdhsa_accum_offset 4
		.amdhsa_reserve_vcc 0
		.amdhsa_float_round_mode_32 0
		.amdhsa_float_round_mode_16_64 0
		.amdhsa_float_denorm_mode_32 3
		.amdhsa_float_denorm_mode_16_64 3
		.amdhsa_dx10_clamp 1
		.amdhsa_ieee_mode 1
		.amdhsa_fp16_overflow 0
		.amdhsa_tg_split 0
		.amdhsa_exception_fp_ieee_invalid_op 0
		.amdhsa_exception_fp_denorm_src 0
		.amdhsa_exception_fp_ieee_div_zero 0
		.amdhsa_exception_fp_ieee_overflow 0
		.amdhsa_exception_fp_ieee_underflow 0
		.amdhsa_exception_fp_ieee_inexact 0
		.amdhsa_exception_int_div_zero 0
	.end_amdhsa_kernel
	.section	.text._ZN7rocprim17ROCPRIM_400000_NS6detail17trampoline_kernelINS0_14default_configENS1_27scan_by_key_config_selectorIj11FixedVectorIiLj8EEEEZZNS1_16scan_by_key_implILNS1_25lookback_scan_determinismE0ELb1ES3_N6thrust23THRUST_200600_302600_NS6detail15normal_iteratorINSB_10device_ptrIjEEEENSD_INSE_IS6_EEEESI_S6_NSB_4plusIvEENSB_8equal_toIvEES6_EE10hipError_tPvRmT2_T3_T4_T5_mT6_T7_P12ihipStream_tbENKUlT_T0_E_clISt17integral_constantIbLb0EES13_EEDaSY_SZ_EUlSY_E_NS1_11comp_targetILNS1_3genE8ELNS1_11target_archE1030ELNS1_3gpuE2ELNS1_3repE0EEENS1_30default_config_static_selectorELNS0_4arch9wavefront6targetE1EEEvT1_,"axG",@progbits,_ZN7rocprim17ROCPRIM_400000_NS6detail17trampoline_kernelINS0_14default_configENS1_27scan_by_key_config_selectorIj11FixedVectorIiLj8EEEEZZNS1_16scan_by_key_implILNS1_25lookback_scan_determinismE0ELb1ES3_N6thrust23THRUST_200600_302600_NS6detail15normal_iteratorINSB_10device_ptrIjEEEENSD_INSE_IS6_EEEESI_S6_NSB_4plusIvEENSB_8equal_toIvEES6_EE10hipError_tPvRmT2_T3_T4_T5_mT6_T7_P12ihipStream_tbENKUlT_T0_E_clISt17integral_constantIbLb0EES13_EEDaSY_SZ_EUlSY_E_NS1_11comp_targetILNS1_3genE8ELNS1_11target_archE1030ELNS1_3gpuE2ELNS1_3repE0EEENS1_30default_config_static_selectorELNS0_4arch9wavefront6targetE1EEEvT1_,comdat
.Lfunc_end2166:
	.size	_ZN7rocprim17ROCPRIM_400000_NS6detail17trampoline_kernelINS0_14default_configENS1_27scan_by_key_config_selectorIj11FixedVectorIiLj8EEEEZZNS1_16scan_by_key_implILNS1_25lookback_scan_determinismE0ELb1ES3_N6thrust23THRUST_200600_302600_NS6detail15normal_iteratorINSB_10device_ptrIjEEEENSD_INSE_IS6_EEEESI_S6_NSB_4plusIvEENSB_8equal_toIvEES6_EE10hipError_tPvRmT2_T3_T4_T5_mT6_T7_P12ihipStream_tbENKUlT_T0_E_clISt17integral_constantIbLb0EES13_EEDaSY_SZ_EUlSY_E_NS1_11comp_targetILNS1_3genE8ELNS1_11target_archE1030ELNS1_3gpuE2ELNS1_3repE0EEENS1_30default_config_static_selectorELNS0_4arch9wavefront6targetE1EEEvT1_, .Lfunc_end2166-_ZN7rocprim17ROCPRIM_400000_NS6detail17trampoline_kernelINS0_14default_configENS1_27scan_by_key_config_selectorIj11FixedVectorIiLj8EEEEZZNS1_16scan_by_key_implILNS1_25lookback_scan_determinismE0ELb1ES3_N6thrust23THRUST_200600_302600_NS6detail15normal_iteratorINSB_10device_ptrIjEEEENSD_INSE_IS6_EEEESI_S6_NSB_4plusIvEENSB_8equal_toIvEES6_EE10hipError_tPvRmT2_T3_T4_T5_mT6_T7_P12ihipStream_tbENKUlT_T0_E_clISt17integral_constantIbLb0EES13_EEDaSY_SZ_EUlSY_E_NS1_11comp_targetILNS1_3genE8ELNS1_11target_archE1030ELNS1_3gpuE2ELNS1_3repE0EEENS1_30default_config_static_selectorELNS0_4arch9wavefront6targetE1EEEvT1_
                                        ; -- End function
	.section	.AMDGPU.csdata,"",@progbits
; Kernel info:
; codeLenInByte = 0
; NumSgprs: 6
; NumVgprs: 0
; NumAgprs: 0
; TotalNumVgprs: 0
; ScratchSize: 0
; MemoryBound: 0
; FloatMode: 240
; IeeeMode: 1
; LDSByteSize: 0 bytes/workgroup (compile time only)
; SGPRBlocks: 0
; VGPRBlocks: 0
; NumSGPRsForWavesPerEU: 6
; NumVGPRsForWavesPerEU: 1
; AccumOffset: 4
; Occupancy: 8
; WaveLimiterHint : 0
; COMPUTE_PGM_RSRC2:SCRATCH_EN: 0
; COMPUTE_PGM_RSRC2:USER_SGPR: 2
; COMPUTE_PGM_RSRC2:TRAP_HANDLER: 0
; COMPUTE_PGM_RSRC2:TGID_X_EN: 1
; COMPUTE_PGM_RSRC2:TGID_Y_EN: 0
; COMPUTE_PGM_RSRC2:TGID_Z_EN: 0
; COMPUTE_PGM_RSRC2:TIDIG_COMP_CNT: 0
; COMPUTE_PGM_RSRC3_GFX90A:ACCUM_OFFSET: 0
; COMPUTE_PGM_RSRC3_GFX90A:TG_SPLIT: 0
	.section	.text._ZN7rocprim17ROCPRIM_400000_NS6detail17trampoline_kernelINS0_14default_configENS1_27scan_by_key_config_selectorIj11FixedVectorIiLj8EEEEZZNS1_16scan_by_key_implILNS1_25lookback_scan_determinismE0ELb1ES3_N6thrust23THRUST_200600_302600_NS6detail15normal_iteratorINSB_10device_ptrIjEEEENSD_INSE_IS6_EEEESI_S6_NSB_4plusIvEENSB_8equal_toIvEES6_EE10hipError_tPvRmT2_T3_T4_T5_mT6_T7_P12ihipStream_tbENKUlT_T0_E_clISt17integral_constantIbLb1EES13_EEDaSY_SZ_EUlSY_E_NS1_11comp_targetILNS1_3genE0ELNS1_11target_archE4294967295ELNS1_3gpuE0ELNS1_3repE0EEENS1_30default_config_static_selectorELNS0_4arch9wavefront6targetE1EEEvT1_,"axG",@progbits,_ZN7rocprim17ROCPRIM_400000_NS6detail17trampoline_kernelINS0_14default_configENS1_27scan_by_key_config_selectorIj11FixedVectorIiLj8EEEEZZNS1_16scan_by_key_implILNS1_25lookback_scan_determinismE0ELb1ES3_N6thrust23THRUST_200600_302600_NS6detail15normal_iteratorINSB_10device_ptrIjEEEENSD_INSE_IS6_EEEESI_S6_NSB_4plusIvEENSB_8equal_toIvEES6_EE10hipError_tPvRmT2_T3_T4_T5_mT6_T7_P12ihipStream_tbENKUlT_T0_E_clISt17integral_constantIbLb1EES13_EEDaSY_SZ_EUlSY_E_NS1_11comp_targetILNS1_3genE0ELNS1_11target_archE4294967295ELNS1_3gpuE0ELNS1_3repE0EEENS1_30default_config_static_selectorELNS0_4arch9wavefront6targetE1EEEvT1_,comdat
	.protected	_ZN7rocprim17ROCPRIM_400000_NS6detail17trampoline_kernelINS0_14default_configENS1_27scan_by_key_config_selectorIj11FixedVectorIiLj8EEEEZZNS1_16scan_by_key_implILNS1_25lookback_scan_determinismE0ELb1ES3_N6thrust23THRUST_200600_302600_NS6detail15normal_iteratorINSB_10device_ptrIjEEEENSD_INSE_IS6_EEEESI_S6_NSB_4plusIvEENSB_8equal_toIvEES6_EE10hipError_tPvRmT2_T3_T4_T5_mT6_T7_P12ihipStream_tbENKUlT_T0_E_clISt17integral_constantIbLb1EES13_EEDaSY_SZ_EUlSY_E_NS1_11comp_targetILNS1_3genE0ELNS1_11target_archE4294967295ELNS1_3gpuE0ELNS1_3repE0EEENS1_30default_config_static_selectorELNS0_4arch9wavefront6targetE1EEEvT1_ ; -- Begin function _ZN7rocprim17ROCPRIM_400000_NS6detail17trampoline_kernelINS0_14default_configENS1_27scan_by_key_config_selectorIj11FixedVectorIiLj8EEEEZZNS1_16scan_by_key_implILNS1_25lookback_scan_determinismE0ELb1ES3_N6thrust23THRUST_200600_302600_NS6detail15normal_iteratorINSB_10device_ptrIjEEEENSD_INSE_IS6_EEEESI_S6_NSB_4plusIvEENSB_8equal_toIvEES6_EE10hipError_tPvRmT2_T3_T4_T5_mT6_T7_P12ihipStream_tbENKUlT_T0_E_clISt17integral_constantIbLb1EES13_EEDaSY_SZ_EUlSY_E_NS1_11comp_targetILNS1_3genE0ELNS1_11target_archE4294967295ELNS1_3gpuE0ELNS1_3repE0EEENS1_30default_config_static_selectorELNS0_4arch9wavefront6targetE1EEEvT1_
	.globl	_ZN7rocprim17ROCPRIM_400000_NS6detail17trampoline_kernelINS0_14default_configENS1_27scan_by_key_config_selectorIj11FixedVectorIiLj8EEEEZZNS1_16scan_by_key_implILNS1_25lookback_scan_determinismE0ELb1ES3_N6thrust23THRUST_200600_302600_NS6detail15normal_iteratorINSB_10device_ptrIjEEEENSD_INSE_IS6_EEEESI_S6_NSB_4plusIvEENSB_8equal_toIvEES6_EE10hipError_tPvRmT2_T3_T4_T5_mT6_T7_P12ihipStream_tbENKUlT_T0_E_clISt17integral_constantIbLb1EES13_EEDaSY_SZ_EUlSY_E_NS1_11comp_targetILNS1_3genE0ELNS1_11target_archE4294967295ELNS1_3gpuE0ELNS1_3repE0EEENS1_30default_config_static_selectorELNS0_4arch9wavefront6targetE1EEEvT1_
	.p2align	8
	.type	_ZN7rocprim17ROCPRIM_400000_NS6detail17trampoline_kernelINS0_14default_configENS1_27scan_by_key_config_selectorIj11FixedVectorIiLj8EEEEZZNS1_16scan_by_key_implILNS1_25lookback_scan_determinismE0ELb1ES3_N6thrust23THRUST_200600_302600_NS6detail15normal_iteratorINSB_10device_ptrIjEEEENSD_INSE_IS6_EEEESI_S6_NSB_4plusIvEENSB_8equal_toIvEES6_EE10hipError_tPvRmT2_T3_T4_T5_mT6_T7_P12ihipStream_tbENKUlT_T0_E_clISt17integral_constantIbLb1EES13_EEDaSY_SZ_EUlSY_E_NS1_11comp_targetILNS1_3genE0ELNS1_11target_archE4294967295ELNS1_3gpuE0ELNS1_3repE0EEENS1_30default_config_static_selectorELNS0_4arch9wavefront6targetE1EEEvT1_,@function
_ZN7rocprim17ROCPRIM_400000_NS6detail17trampoline_kernelINS0_14default_configENS1_27scan_by_key_config_selectorIj11FixedVectorIiLj8EEEEZZNS1_16scan_by_key_implILNS1_25lookback_scan_determinismE0ELb1ES3_N6thrust23THRUST_200600_302600_NS6detail15normal_iteratorINSB_10device_ptrIjEEEENSD_INSE_IS6_EEEESI_S6_NSB_4plusIvEENSB_8equal_toIvEES6_EE10hipError_tPvRmT2_T3_T4_T5_mT6_T7_P12ihipStream_tbENKUlT_T0_E_clISt17integral_constantIbLb1EES13_EEDaSY_SZ_EUlSY_E_NS1_11comp_targetILNS1_3genE0ELNS1_11target_archE4294967295ELNS1_3gpuE0ELNS1_3repE0EEENS1_30default_config_static_selectorELNS0_4arch9wavefront6targetE1EEEvT1_: ; @_ZN7rocprim17ROCPRIM_400000_NS6detail17trampoline_kernelINS0_14default_configENS1_27scan_by_key_config_selectorIj11FixedVectorIiLj8EEEEZZNS1_16scan_by_key_implILNS1_25lookback_scan_determinismE0ELb1ES3_N6thrust23THRUST_200600_302600_NS6detail15normal_iteratorINSB_10device_ptrIjEEEENSD_INSE_IS6_EEEESI_S6_NSB_4plusIvEENSB_8equal_toIvEES6_EE10hipError_tPvRmT2_T3_T4_T5_mT6_T7_P12ihipStream_tbENKUlT_T0_E_clISt17integral_constantIbLb1EES13_EEDaSY_SZ_EUlSY_E_NS1_11comp_targetILNS1_3genE0ELNS1_11target_archE4294967295ELNS1_3gpuE0ELNS1_3repE0EEENS1_30default_config_static_selectorELNS0_4arch9wavefront6targetE1EEEvT1_
; %bb.0:
	.section	.rodata,"a",@progbits
	.p2align	6, 0x0
	.amdhsa_kernel _ZN7rocprim17ROCPRIM_400000_NS6detail17trampoline_kernelINS0_14default_configENS1_27scan_by_key_config_selectorIj11FixedVectorIiLj8EEEEZZNS1_16scan_by_key_implILNS1_25lookback_scan_determinismE0ELb1ES3_N6thrust23THRUST_200600_302600_NS6detail15normal_iteratorINSB_10device_ptrIjEEEENSD_INSE_IS6_EEEESI_S6_NSB_4plusIvEENSB_8equal_toIvEES6_EE10hipError_tPvRmT2_T3_T4_T5_mT6_T7_P12ihipStream_tbENKUlT_T0_E_clISt17integral_constantIbLb1EES13_EEDaSY_SZ_EUlSY_E_NS1_11comp_targetILNS1_3genE0ELNS1_11target_archE4294967295ELNS1_3gpuE0ELNS1_3repE0EEENS1_30default_config_static_selectorELNS0_4arch9wavefront6targetE1EEEvT1_
		.amdhsa_group_segment_fixed_size 0
		.amdhsa_private_segment_fixed_size 0
		.amdhsa_kernarg_size 160
		.amdhsa_user_sgpr_count 2
		.amdhsa_user_sgpr_dispatch_ptr 0
		.amdhsa_user_sgpr_queue_ptr 0
		.amdhsa_user_sgpr_kernarg_segment_ptr 1
		.amdhsa_user_sgpr_dispatch_id 0
		.amdhsa_user_sgpr_kernarg_preload_length 0
		.amdhsa_user_sgpr_kernarg_preload_offset 0
		.amdhsa_user_sgpr_private_segment_size 0
		.amdhsa_uses_dynamic_stack 0
		.amdhsa_enable_private_segment 0
		.amdhsa_system_sgpr_workgroup_id_x 1
		.amdhsa_system_sgpr_workgroup_id_y 0
		.amdhsa_system_sgpr_workgroup_id_z 0
		.amdhsa_system_sgpr_workgroup_info 0
		.amdhsa_system_vgpr_workitem_id 0
		.amdhsa_next_free_vgpr 1
		.amdhsa_next_free_sgpr 0
		.amdhsa_accum_offset 4
		.amdhsa_reserve_vcc 0
		.amdhsa_float_round_mode_32 0
		.amdhsa_float_round_mode_16_64 0
		.amdhsa_float_denorm_mode_32 3
		.amdhsa_float_denorm_mode_16_64 3
		.amdhsa_dx10_clamp 1
		.amdhsa_ieee_mode 1
		.amdhsa_fp16_overflow 0
		.amdhsa_tg_split 0
		.amdhsa_exception_fp_ieee_invalid_op 0
		.amdhsa_exception_fp_denorm_src 0
		.amdhsa_exception_fp_ieee_div_zero 0
		.amdhsa_exception_fp_ieee_overflow 0
		.amdhsa_exception_fp_ieee_underflow 0
		.amdhsa_exception_fp_ieee_inexact 0
		.amdhsa_exception_int_div_zero 0
	.end_amdhsa_kernel
	.section	.text._ZN7rocprim17ROCPRIM_400000_NS6detail17trampoline_kernelINS0_14default_configENS1_27scan_by_key_config_selectorIj11FixedVectorIiLj8EEEEZZNS1_16scan_by_key_implILNS1_25lookback_scan_determinismE0ELb1ES3_N6thrust23THRUST_200600_302600_NS6detail15normal_iteratorINSB_10device_ptrIjEEEENSD_INSE_IS6_EEEESI_S6_NSB_4plusIvEENSB_8equal_toIvEES6_EE10hipError_tPvRmT2_T3_T4_T5_mT6_T7_P12ihipStream_tbENKUlT_T0_E_clISt17integral_constantIbLb1EES13_EEDaSY_SZ_EUlSY_E_NS1_11comp_targetILNS1_3genE0ELNS1_11target_archE4294967295ELNS1_3gpuE0ELNS1_3repE0EEENS1_30default_config_static_selectorELNS0_4arch9wavefront6targetE1EEEvT1_,"axG",@progbits,_ZN7rocprim17ROCPRIM_400000_NS6detail17trampoline_kernelINS0_14default_configENS1_27scan_by_key_config_selectorIj11FixedVectorIiLj8EEEEZZNS1_16scan_by_key_implILNS1_25lookback_scan_determinismE0ELb1ES3_N6thrust23THRUST_200600_302600_NS6detail15normal_iteratorINSB_10device_ptrIjEEEENSD_INSE_IS6_EEEESI_S6_NSB_4plusIvEENSB_8equal_toIvEES6_EE10hipError_tPvRmT2_T3_T4_T5_mT6_T7_P12ihipStream_tbENKUlT_T0_E_clISt17integral_constantIbLb1EES13_EEDaSY_SZ_EUlSY_E_NS1_11comp_targetILNS1_3genE0ELNS1_11target_archE4294967295ELNS1_3gpuE0ELNS1_3repE0EEENS1_30default_config_static_selectorELNS0_4arch9wavefront6targetE1EEEvT1_,comdat
.Lfunc_end2167:
	.size	_ZN7rocprim17ROCPRIM_400000_NS6detail17trampoline_kernelINS0_14default_configENS1_27scan_by_key_config_selectorIj11FixedVectorIiLj8EEEEZZNS1_16scan_by_key_implILNS1_25lookback_scan_determinismE0ELb1ES3_N6thrust23THRUST_200600_302600_NS6detail15normal_iteratorINSB_10device_ptrIjEEEENSD_INSE_IS6_EEEESI_S6_NSB_4plusIvEENSB_8equal_toIvEES6_EE10hipError_tPvRmT2_T3_T4_T5_mT6_T7_P12ihipStream_tbENKUlT_T0_E_clISt17integral_constantIbLb1EES13_EEDaSY_SZ_EUlSY_E_NS1_11comp_targetILNS1_3genE0ELNS1_11target_archE4294967295ELNS1_3gpuE0ELNS1_3repE0EEENS1_30default_config_static_selectorELNS0_4arch9wavefront6targetE1EEEvT1_, .Lfunc_end2167-_ZN7rocprim17ROCPRIM_400000_NS6detail17trampoline_kernelINS0_14default_configENS1_27scan_by_key_config_selectorIj11FixedVectorIiLj8EEEEZZNS1_16scan_by_key_implILNS1_25lookback_scan_determinismE0ELb1ES3_N6thrust23THRUST_200600_302600_NS6detail15normal_iteratorINSB_10device_ptrIjEEEENSD_INSE_IS6_EEEESI_S6_NSB_4plusIvEENSB_8equal_toIvEES6_EE10hipError_tPvRmT2_T3_T4_T5_mT6_T7_P12ihipStream_tbENKUlT_T0_E_clISt17integral_constantIbLb1EES13_EEDaSY_SZ_EUlSY_E_NS1_11comp_targetILNS1_3genE0ELNS1_11target_archE4294967295ELNS1_3gpuE0ELNS1_3repE0EEENS1_30default_config_static_selectorELNS0_4arch9wavefront6targetE1EEEvT1_
                                        ; -- End function
	.section	.AMDGPU.csdata,"",@progbits
; Kernel info:
; codeLenInByte = 0
; NumSgprs: 6
; NumVgprs: 0
; NumAgprs: 0
; TotalNumVgprs: 0
; ScratchSize: 0
; MemoryBound: 0
; FloatMode: 240
; IeeeMode: 1
; LDSByteSize: 0 bytes/workgroup (compile time only)
; SGPRBlocks: 0
; VGPRBlocks: 0
; NumSGPRsForWavesPerEU: 6
; NumVGPRsForWavesPerEU: 1
; AccumOffset: 4
; Occupancy: 8
; WaveLimiterHint : 0
; COMPUTE_PGM_RSRC2:SCRATCH_EN: 0
; COMPUTE_PGM_RSRC2:USER_SGPR: 2
; COMPUTE_PGM_RSRC2:TRAP_HANDLER: 0
; COMPUTE_PGM_RSRC2:TGID_X_EN: 1
; COMPUTE_PGM_RSRC2:TGID_Y_EN: 0
; COMPUTE_PGM_RSRC2:TGID_Z_EN: 0
; COMPUTE_PGM_RSRC2:TIDIG_COMP_CNT: 0
; COMPUTE_PGM_RSRC3_GFX90A:ACCUM_OFFSET: 0
; COMPUTE_PGM_RSRC3_GFX90A:TG_SPLIT: 0
	.section	.text._ZN7rocprim17ROCPRIM_400000_NS6detail17trampoline_kernelINS0_14default_configENS1_27scan_by_key_config_selectorIj11FixedVectorIiLj8EEEEZZNS1_16scan_by_key_implILNS1_25lookback_scan_determinismE0ELb1ES3_N6thrust23THRUST_200600_302600_NS6detail15normal_iteratorINSB_10device_ptrIjEEEENSD_INSE_IS6_EEEESI_S6_NSB_4plusIvEENSB_8equal_toIvEES6_EE10hipError_tPvRmT2_T3_T4_T5_mT6_T7_P12ihipStream_tbENKUlT_T0_E_clISt17integral_constantIbLb1EES13_EEDaSY_SZ_EUlSY_E_NS1_11comp_targetILNS1_3genE10ELNS1_11target_archE1201ELNS1_3gpuE5ELNS1_3repE0EEENS1_30default_config_static_selectorELNS0_4arch9wavefront6targetE1EEEvT1_,"axG",@progbits,_ZN7rocprim17ROCPRIM_400000_NS6detail17trampoline_kernelINS0_14default_configENS1_27scan_by_key_config_selectorIj11FixedVectorIiLj8EEEEZZNS1_16scan_by_key_implILNS1_25lookback_scan_determinismE0ELb1ES3_N6thrust23THRUST_200600_302600_NS6detail15normal_iteratorINSB_10device_ptrIjEEEENSD_INSE_IS6_EEEESI_S6_NSB_4plusIvEENSB_8equal_toIvEES6_EE10hipError_tPvRmT2_T3_T4_T5_mT6_T7_P12ihipStream_tbENKUlT_T0_E_clISt17integral_constantIbLb1EES13_EEDaSY_SZ_EUlSY_E_NS1_11comp_targetILNS1_3genE10ELNS1_11target_archE1201ELNS1_3gpuE5ELNS1_3repE0EEENS1_30default_config_static_selectorELNS0_4arch9wavefront6targetE1EEEvT1_,comdat
	.protected	_ZN7rocprim17ROCPRIM_400000_NS6detail17trampoline_kernelINS0_14default_configENS1_27scan_by_key_config_selectorIj11FixedVectorIiLj8EEEEZZNS1_16scan_by_key_implILNS1_25lookback_scan_determinismE0ELb1ES3_N6thrust23THRUST_200600_302600_NS6detail15normal_iteratorINSB_10device_ptrIjEEEENSD_INSE_IS6_EEEESI_S6_NSB_4plusIvEENSB_8equal_toIvEES6_EE10hipError_tPvRmT2_T3_T4_T5_mT6_T7_P12ihipStream_tbENKUlT_T0_E_clISt17integral_constantIbLb1EES13_EEDaSY_SZ_EUlSY_E_NS1_11comp_targetILNS1_3genE10ELNS1_11target_archE1201ELNS1_3gpuE5ELNS1_3repE0EEENS1_30default_config_static_selectorELNS0_4arch9wavefront6targetE1EEEvT1_ ; -- Begin function _ZN7rocprim17ROCPRIM_400000_NS6detail17trampoline_kernelINS0_14default_configENS1_27scan_by_key_config_selectorIj11FixedVectorIiLj8EEEEZZNS1_16scan_by_key_implILNS1_25lookback_scan_determinismE0ELb1ES3_N6thrust23THRUST_200600_302600_NS6detail15normal_iteratorINSB_10device_ptrIjEEEENSD_INSE_IS6_EEEESI_S6_NSB_4plusIvEENSB_8equal_toIvEES6_EE10hipError_tPvRmT2_T3_T4_T5_mT6_T7_P12ihipStream_tbENKUlT_T0_E_clISt17integral_constantIbLb1EES13_EEDaSY_SZ_EUlSY_E_NS1_11comp_targetILNS1_3genE10ELNS1_11target_archE1201ELNS1_3gpuE5ELNS1_3repE0EEENS1_30default_config_static_selectorELNS0_4arch9wavefront6targetE1EEEvT1_
	.globl	_ZN7rocprim17ROCPRIM_400000_NS6detail17trampoline_kernelINS0_14default_configENS1_27scan_by_key_config_selectorIj11FixedVectorIiLj8EEEEZZNS1_16scan_by_key_implILNS1_25lookback_scan_determinismE0ELb1ES3_N6thrust23THRUST_200600_302600_NS6detail15normal_iteratorINSB_10device_ptrIjEEEENSD_INSE_IS6_EEEESI_S6_NSB_4plusIvEENSB_8equal_toIvEES6_EE10hipError_tPvRmT2_T3_T4_T5_mT6_T7_P12ihipStream_tbENKUlT_T0_E_clISt17integral_constantIbLb1EES13_EEDaSY_SZ_EUlSY_E_NS1_11comp_targetILNS1_3genE10ELNS1_11target_archE1201ELNS1_3gpuE5ELNS1_3repE0EEENS1_30default_config_static_selectorELNS0_4arch9wavefront6targetE1EEEvT1_
	.p2align	8
	.type	_ZN7rocprim17ROCPRIM_400000_NS6detail17trampoline_kernelINS0_14default_configENS1_27scan_by_key_config_selectorIj11FixedVectorIiLj8EEEEZZNS1_16scan_by_key_implILNS1_25lookback_scan_determinismE0ELb1ES3_N6thrust23THRUST_200600_302600_NS6detail15normal_iteratorINSB_10device_ptrIjEEEENSD_INSE_IS6_EEEESI_S6_NSB_4plusIvEENSB_8equal_toIvEES6_EE10hipError_tPvRmT2_T3_T4_T5_mT6_T7_P12ihipStream_tbENKUlT_T0_E_clISt17integral_constantIbLb1EES13_EEDaSY_SZ_EUlSY_E_NS1_11comp_targetILNS1_3genE10ELNS1_11target_archE1201ELNS1_3gpuE5ELNS1_3repE0EEENS1_30default_config_static_selectorELNS0_4arch9wavefront6targetE1EEEvT1_,@function
_ZN7rocprim17ROCPRIM_400000_NS6detail17trampoline_kernelINS0_14default_configENS1_27scan_by_key_config_selectorIj11FixedVectorIiLj8EEEEZZNS1_16scan_by_key_implILNS1_25lookback_scan_determinismE0ELb1ES3_N6thrust23THRUST_200600_302600_NS6detail15normal_iteratorINSB_10device_ptrIjEEEENSD_INSE_IS6_EEEESI_S6_NSB_4plusIvEENSB_8equal_toIvEES6_EE10hipError_tPvRmT2_T3_T4_T5_mT6_T7_P12ihipStream_tbENKUlT_T0_E_clISt17integral_constantIbLb1EES13_EEDaSY_SZ_EUlSY_E_NS1_11comp_targetILNS1_3genE10ELNS1_11target_archE1201ELNS1_3gpuE5ELNS1_3repE0EEENS1_30default_config_static_selectorELNS0_4arch9wavefront6targetE1EEEvT1_: ; @_ZN7rocprim17ROCPRIM_400000_NS6detail17trampoline_kernelINS0_14default_configENS1_27scan_by_key_config_selectorIj11FixedVectorIiLj8EEEEZZNS1_16scan_by_key_implILNS1_25lookback_scan_determinismE0ELb1ES3_N6thrust23THRUST_200600_302600_NS6detail15normal_iteratorINSB_10device_ptrIjEEEENSD_INSE_IS6_EEEESI_S6_NSB_4plusIvEENSB_8equal_toIvEES6_EE10hipError_tPvRmT2_T3_T4_T5_mT6_T7_P12ihipStream_tbENKUlT_T0_E_clISt17integral_constantIbLb1EES13_EEDaSY_SZ_EUlSY_E_NS1_11comp_targetILNS1_3genE10ELNS1_11target_archE1201ELNS1_3gpuE5ELNS1_3repE0EEENS1_30default_config_static_selectorELNS0_4arch9wavefront6targetE1EEEvT1_
; %bb.0:
	.section	.rodata,"a",@progbits
	.p2align	6, 0x0
	.amdhsa_kernel _ZN7rocprim17ROCPRIM_400000_NS6detail17trampoline_kernelINS0_14default_configENS1_27scan_by_key_config_selectorIj11FixedVectorIiLj8EEEEZZNS1_16scan_by_key_implILNS1_25lookback_scan_determinismE0ELb1ES3_N6thrust23THRUST_200600_302600_NS6detail15normal_iteratorINSB_10device_ptrIjEEEENSD_INSE_IS6_EEEESI_S6_NSB_4plusIvEENSB_8equal_toIvEES6_EE10hipError_tPvRmT2_T3_T4_T5_mT6_T7_P12ihipStream_tbENKUlT_T0_E_clISt17integral_constantIbLb1EES13_EEDaSY_SZ_EUlSY_E_NS1_11comp_targetILNS1_3genE10ELNS1_11target_archE1201ELNS1_3gpuE5ELNS1_3repE0EEENS1_30default_config_static_selectorELNS0_4arch9wavefront6targetE1EEEvT1_
		.amdhsa_group_segment_fixed_size 0
		.amdhsa_private_segment_fixed_size 0
		.amdhsa_kernarg_size 160
		.amdhsa_user_sgpr_count 2
		.amdhsa_user_sgpr_dispatch_ptr 0
		.amdhsa_user_sgpr_queue_ptr 0
		.amdhsa_user_sgpr_kernarg_segment_ptr 1
		.amdhsa_user_sgpr_dispatch_id 0
		.amdhsa_user_sgpr_kernarg_preload_length 0
		.amdhsa_user_sgpr_kernarg_preload_offset 0
		.amdhsa_user_sgpr_private_segment_size 0
		.amdhsa_uses_dynamic_stack 0
		.amdhsa_enable_private_segment 0
		.amdhsa_system_sgpr_workgroup_id_x 1
		.amdhsa_system_sgpr_workgroup_id_y 0
		.amdhsa_system_sgpr_workgroup_id_z 0
		.amdhsa_system_sgpr_workgroup_info 0
		.amdhsa_system_vgpr_workitem_id 0
		.amdhsa_next_free_vgpr 1
		.amdhsa_next_free_sgpr 0
		.amdhsa_accum_offset 4
		.amdhsa_reserve_vcc 0
		.amdhsa_float_round_mode_32 0
		.amdhsa_float_round_mode_16_64 0
		.amdhsa_float_denorm_mode_32 3
		.amdhsa_float_denorm_mode_16_64 3
		.amdhsa_dx10_clamp 1
		.amdhsa_ieee_mode 1
		.amdhsa_fp16_overflow 0
		.amdhsa_tg_split 0
		.amdhsa_exception_fp_ieee_invalid_op 0
		.amdhsa_exception_fp_denorm_src 0
		.amdhsa_exception_fp_ieee_div_zero 0
		.amdhsa_exception_fp_ieee_overflow 0
		.amdhsa_exception_fp_ieee_underflow 0
		.amdhsa_exception_fp_ieee_inexact 0
		.amdhsa_exception_int_div_zero 0
	.end_amdhsa_kernel
	.section	.text._ZN7rocprim17ROCPRIM_400000_NS6detail17trampoline_kernelINS0_14default_configENS1_27scan_by_key_config_selectorIj11FixedVectorIiLj8EEEEZZNS1_16scan_by_key_implILNS1_25lookback_scan_determinismE0ELb1ES3_N6thrust23THRUST_200600_302600_NS6detail15normal_iteratorINSB_10device_ptrIjEEEENSD_INSE_IS6_EEEESI_S6_NSB_4plusIvEENSB_8equal_toIvEES6_EE10hipError_tPvRmT2_T3_T4_T5_mT6_T7_P12ihipStream_tbENKUlT_T0_E_clISt17integral_constantIbLb1EES13_EEDaSY_SZ_EUlSY_E_NS1_11comp_targetILNS1_3genE10ELNS1_11target_archE1201ELNS1_3gpuE5ELNS1_3repE0EEENS1_30default_config_static_selectorELNS0_4arch9wavefront6targetE1EEEvT1_,"axG",@progbits,_ZN7rocprim17ROCPRIM_400000_NS6detail17trampoline_kernelINS0_14default_configENS1_27scan_by_key_config_selectorIj11FixedVectorIiLj8EEEEZZNS1_16scan_by_key_implILNS1_25lookback_scan_determinismE0ELb1ES3_N6thrust23THRUST_200600_302600_NS6detail15normal_iteratorINSB_10device_ptrIjEEEENSD_INSE_IS6_EEEESI_S6_NSB_4plusIvEENSB_8equal_toIvEES6_EE10hipError_tPvRmT2_T3_T4_T5_mT6_T7_P12ihipStream_tbENKUlT_T0_E_clISt17integral_constantIbLb1EES13_EEDaSY_SZ_EUlSY_E_NS1_11comp_targetILNS1_3genE10ELNS1_11target_archE1201ELNS1_3gpuE5ELNS1_3repE0EEENS1_30default_config_static_selectorELNS0_4arch9wavefront6targetE1EEEvT1_,comdat
.Lfunc_end2168:
	.size	_ZN7rocprim17ROCPRIM_400000_NS6detail17trampoline_kernelINS0_14default_configENS1_27scan_by_key_config_selectorIj11FixedVectorIiLj8EEEEZZNS1_16scan_by_key_implILNS1_25lookback_scan_determinismE0ELb1ES3_N6thrust23THRUST_200600_302600_NS6detail15normal_iteratorINSB_10device_ptrIjEEEENSD_INSE_IS6_EEEESI_S6_NSB_4plusIvEENSB_8equal_toIvEES6_EE10hipError_tPvRmT2_T3_T4_T5_mT6_T7_P12ihipStream_tbENKUlT_T0_E_clISt17integral_constantIbLb1EES13_EEDaSY_SZ_EUlSY_E_NS1_11comp_targetILNS1_3genE10ELNS1_11target_archE1201ELNS1_3gpuE5ELNS1_3repE0EEENS1_30default_config_static_selectorELNS0_4arch9wavefront6targetE1EEEvT1_, .Lfunc_end2168-_ZN7rocprim17ROCPRIM_400000_NS6detail17trampoline_kernelINS0_14default_configENS1_27scan_by_key_config_selectorIj11FixedVectorIiLj8EEEEZZNS1_16scan_by_key_implILNS1_25lookback_scan_determinismE0ELb1ES3_N6thrust23THRUST_200600_302600_NS6detail15normal_iteratorINSB_10device_ptrIjEEEENSD_INSE_IS6_EEEESI_S6_NSB_4plusIvEENSB_8equal_toIvEES6_EE10hipError_tPvRmT2_T3_T4_T5_mT6_T7_P12ihipStream_tbENKUlT_T0_E_clISt17integral_constantIbLb1EES13_EEDaSY_SZ_EUlSY_E_NS1_11comp_targetILNS1_3genE10ELNS1_11target_archE1201ELNS1_3gpuE5ELNS1_3repE0EEENS1_30default_config_static_selectorELNS0_4arch9wavefront6targetE1EEEvT1_
                                        ; -- End function
	.section	.AMDGPU.csdata,"",@progbits
; Kernel info:
; codeLenInByte = 0
; NumSgprs: 6
; NumVgprs: 0
; NumAgprs: 0
; TotalNumVgprs: 0
; ScratchSize: 0
; MemoryBound: 0
; FloatMode: 240
; IeeeMode: 1
; LDSByteSize: 0 bytes/workgroup (compile time only)
; SGPRBlocks: 0
; VGPRBlocks: 0
; NumSGPRsForWavesPerEU: 6
; NumVGPRsForWavesPerEU: 1
; AccumOffset: 4
; Occupancy: 8
; WaveLimiterHint : 0
; COMPUTE_PGM_RSRC2:SCRATCH_EN: 0
; COMPUTE_PGM_RSRC2:USER_SGPR: 2
; COMPUTE_PGM_RSRC2:TRAP_HANDLER: 0
; COMPUTE_PGM_RSRC2:TGID_X_EN: 1
; COMPUTE_PGM_RSRC2:TGID_Y_EN: 0
; COMPUTE_PGM_RSRC2:TGID_Z_EN: 0
; COMPUTE_PGM_RSRC2:TIDIG_COMP_CNT: 0
; COMPUTE_PGM_RSRC3_GFX90A:ACCUM_OFFSET: 0
; COMPUTE_PGM_RSRC3_GFX90A:TG_SPLIT: 0
	.section	.text._ZN7rocprim17ROCPRIM_400000_NS6detail17trampoline_kernelINS0_14default_configENS1_27scan_by_key_config_selectorIj11FixedVectorIiLj8EEEEZZNS1_16scan_by_key_implILNS1_25lookback_scan_determinismE0ELb1ES3_N6thrust23THRUST_200600_302600_NS6detail15normal_iteratorINSB_10device_ptrIjEEEENSD_INSE_IS6_EEEESI_S6_NSB_4plusIvEENSB_8equal_toIvEES6_EE10hipError_tPvRmT2_T3_T4_T5_mT6_T7_P12ihipStream_tbENKUlT_T0_E_clISt17integral_constantIbLb1EES13_EEDaSY_SZ_EUlSY_E_NS1_11comp_targetILNS1_3genE5ELNS1_11target_archE942ELNS1_3gpuE9ELNS1_3repE0EEENS1_30default_config_static_selectorELNS0_4arch9wavefront6targetE1EEEvT1_,"axG",@progbits,_ZN7rocprim17ROCPRIM_400000_NS6detail17trampoline_kernelINS0_14default_configENS1_27scan_by_key_config_selectorIj11FixedVectorIiLj8EEEEZZNS1_16scan_by_key_implILNS1_25lookback_scan_determinismE0ELb1ES3_N6thrust23THRUST_200600_302600_NS6detail15normal_iteratorINSB_10device_ptrIjEEEENSD_INSE_IS6_EEEESI_S6_NSB_4plusIvEENSB_8equal_toIvEES6_EE10hipError_tPvRmT2_T3_T4_T5_mT6_T7_P12ihipStream_tbENKUlT_T0_E_clISt17integral_constantIbLb1EES13_EEDaSY_SZ_EUlSY_E_NS1_11comp_targetILNS1_3genE5ELNS1_11target_archE942ELNS1_3gpuE9ELNS1_3repE0EEENS1_30default_config_static_selectorELNS0_4arch9wavefront6targetE1EEEvT1_,comdat
	.protected	_ZN7rocprim17ROCPRIM_400000_NS6detail17trampoline_kernelINS0_14default_configENS1_27scan_by_key_config_selectorIj11FixedVectorIiLj8EEEEZZNS1_16scan_by_key_implILNS1_25lookback_scan_determinismE0ELb1ES3_N6thrust23THRUST_200600_302600_NS6detail15normal_iteratorINSB_10device_ptrIjEEEENSD_INSE_IS6_EEEESI_S6_NSB_4plusIvEENSB_8equal_toIvEES6_EE10hipError_tPvRmT2_T3_T4_T5_mT6_T7_P12ihipStream_tbENKUlT_T0_E_clISt17integral_constantIbLb1EES13_EEDaSY_SZ_EUlSY_E_NS1_11comp_targetILNS1_3genE5ELNS1_11target_archE942ELNS1_3gpuE9ELNS1_3repE0EEENS1_30default_config_static_selectorELNS0_4arch9wavefront6targetE1EEEvT1_ ; -- Begin function _ZN7rocprim17ROCPRIM_400000_NS6detail17trampoline_kernelINS0_14default_configENS1_27scan_by_key_config_selectorIj11FixedVectorIiLj8EEEEZZNS1_16scan_by_key_implILNS1_25lookback_scan_determinismE0ELb1ES3_N6thrust23THRUST_200600_302600_NS6detail15normal_iteratorINSB_10device_ptrIjEEEENSD_INSE_IS6_EEEESI_S6_NSB_4plusIvEENSB_8equal_toIvEES6_EE10hipError_tPvRmT2_T3_T4_T5_mT6_T7_P12ihipStream_tbENKUlT_T0_E_clISt17integral_constantIbLb1EES13_EEDaSY_SZ_EUlSY_E_NS1_11comp_targetILNS1_3genE5ELNS1_11target_archE942ELNS1_3gpuE9ELNS1_3repE0EEENS1_30default_config_static_selectorELNS0_4arch9wavefront6targetE1EEEvT1_
	.globl	_ZN7rocprim17ROCPRIM_400000_NS6detail17trampoline_kernelINS0_14default_configENS1_27scan_by_key_config_selectorIj11FixedVectorIiLj8EEEEZZNS1_16scan_by_key_implILNS1_25lookback_scan_determinismE0ELb1ES3_N6thrust23THRUST_200600_302600_NS6detail15normal_iteratorINSB_10device_ptrIjEEEENSD_INSE_IS6_EEEESI_S6_NSB_4plusIvEENSB_8equal_toIvEES6_EE10hipError_tPvRmT2_T3_T4_T5_mT6_T7_P12ihipStream_tbENKUlT_T0_E_clISt17integral_constantIbLb1EES13_EEDaSY_SZ_EUlSY_E_NS1_11comp_targetILNS1_3genE5ELNS1_11target_archE942ELNS1_3gpuE9ELNS1_3repE0EEENS1_30default_config_static_selectorELNS0_4arch9wavefront6targetE1EEEvT1_
	.p2align	8
	.type	_ZN7rocprim17ROCPRIM_400000_NS6detail17trampoline_kernelINS0_14default_configENS1_27scan_by_key_config_selectorIj11FixedVectorIiLj8EEEEZZNS1_16scan_by_key_implILNS1_25lookback_scan_determinismE0ELb1ES3_N6thrust23THRUST_200600_302600_NS6detail15normal_iteratorINSB_10device_ptrIjEEEENSD_INSE_IS6_EEEESI_S6_NSB_4plusIvEENSB_8equal_toIvEES6_EE10hipError_tPvRmT2_T3_T4_T5_mT6_T7_P12ihipStream_tbENKUlT_T0_E_clISt17integral_constantIbLb1EES13_EEDaSY_SZ_EUlSY_E_NS1_11comp_targetILNS1_3genE5ELNS1_11target_archE942ELNS1_3gpuE9ELNS1_3repE0EEENS1_30default_config_static_selectorELNS0_4arch9wavefront6targetE1EEEvT1_,@function
_ZN7rocprim17ROCPRIM_400000_NS6detail17trampoline_kernelINS0_14default_configENS1_27scan_by_key_config_selectorIj11FixedVectorIiLj8EEEEZZNS1_16scan_by_key_implILNS1_25lookback_scan_determinismE0ELb1ES3_N6thrust23THRUST_200600_302600_NS6detail15normal_iteratorINSB_10device_ptrIjEEEENSD_INSE_IS6_EEEESI_S6_NSB_4plusIvEENSB_8equal_toIvEES6_EE10hipError_tPvRmT2_T3_T4_T5_mT6_T7_P12ihipStream_tbENKUlT_T0_E_clISt17integral_constantIbLb1EES13_EEDaSY_SZ_EUlSY_E_NS1_11comp_targetILNS1_3genE5ELNS1_11target_archE942ELNS1_3gpuE9ELNS1_3repE0EEENS1_30default_config_static_selectorELNS0_4arch9wavefront6targetE1EEEvT1_: ; @_ZN7rocprim17ROCPRIM_400000_NS6detail17trampoline_kernelINS0_14default_configENS1_27scan_by_key_config_selectorIj11FixedVectorIiLj8EEEEZZNS1_16scan_by_key_implILNS1_25lookback_scan_determinismE0ELb1ES3_N6thrust23THRUST_200600_302600_NS6detail15normal_iteratorINSB_10device_ptrIjEEEENSD_INSE_IS6_EEEESI_S6_NSB_4plusIvEENSB_8equal_toIvEES6_EE10hipError_tPvRmT2_T3_T4_T5_mT6_T7_P12ihipStream_tbENKUlT_T0_E_clISt17integral_constantIbLb1EES13_EEDaSY_SZ_EUlSY_E_NS1_11comp_targetILNS1_3genE5ELNS1_11target_archE942ELNS1_3gpuE9ELNS1_3repE0EEENS1_30default_config_static_selectorELNS0_4arch9wavefront6targetE1EEEvT1_
; %bb.0:
	s_load_dwordx2 s[46:47], s[2:3], 0x68
	s_load_dwordx8 s[16:23], s[2:3], 0x48
	v_and_b32_e32 v16, 0x3ff, v0
	v_cmp_ne_u32_e64 s[4:5], 0, v16
	v_cmp_eq_u32_e64 s[6:7], 0, v16
	s_and_saveexec_b64 s[8:9], s[6:7]
	s_cbranch_execz .LBB2169_4
; %bb.1:
	s_mov_b64 s[12:13], exec
	v_mbcnt_lo_u32_b32 v1, s12, 0
	v_mbcnt_hi_u32_b32 v1, s13, v1
	v_cmp_eq_u32_e32 vcc, 0, v1
                                        ; implicit-def: $vgpr2
	s_and_saveexec_b64 s[10:11], vcc
	s_cbranch_execz .LBB2169_3
; %bb.2:
	s_load_dwordx2 s[14:15], s[2:3], 0x98
	s_bcnt1_i32_b64 s12, s[12:13]
	v_mov_b32_e32 v2, 0
	v_mov_b32_e32 v3, s12
	s_waitcnt lgkmcnt(0)
	global_atomic_add v2, v2, v3, s[14:15] sc0
.LBB2169_3:
	s_or_b64 exec, exec, s[10:11]
	s_waitcnt vmcnt(0)
	v_readfirstlane_b32 s10, v2
	v_mov_b32_e32 v2, 0
	s_nop 0
	v_add_u32_e32 v1, s10, v1
	ds_write_b32 v2, v1
.LBB2169_4:
	s_or_b64 exec, exec, s[8:9]
	s_load_dwordx8 s[8:15], s[2:3], 0x0
	s_load_dwordx8 s[24:31], s[2:3], 0x20
	s_waitcnt lgkmcnt(0)
	s_load_dword s23, s[2:3], 0x70
	s_load_dwordx4 s[36:39], s[2:3], 0x78
	v_mov_b32_e32 v2, 0
	s_waitcnt lgkmcnt(0)
	s_barrier
	ds_read_b32 v1, v2
	s_mov_b32 s40, 0
	s_mov_b32 s41, s40
	s_mov_b32 s42, s40
	s_mov_b32 s43, s40
	v_mov_b64_e32 v[4:5], s[40:41]
	s_waitcnt lgkmcnt(0)
	v_readfirstlane_b32 s33, v1
	v_mov_b64_e32 v[6:7], s[42:43]
	v_mov_b32_e32 v3, v2
	s_barrier
	s_barrier
	scratch_store_dword off, v2, off offset:304
	scratch_store_dwordx4 off, v[4:7], off offset:288
	scratch_store_dwordx4 off, v[4:7], off offset:272
.LBB2169_5:                             ; =>This Inner Loop Header: Depth=1
	s_add_i32 s2, s40, 0x110
	s_add_i32 s40, s40, 8
	s_cmp_lg_u32 s40, 32
	scratch_store_dwordx2 off, v[2:3], s2
	s_cbranch_scc1 .LBB2169_5
; %bb.6:
	s_mov_b32 s40, 0
	s_mov_b32 s41, s40
	v_mov_b32_e32 v2, 0
	v_mov_b32_e32 v1, 0x110
	s_mov_b32 s42, s40
	s_mov_b32 s43, s40
	v_mov_b64_e32 v[4:5], s[40:41]
	s_mov_b32 s2, 36
	v_add_u32_e32 v20, 36, v1
	v_mov_b64_e32 v[6:7], s[42:43]
	v_mov_b32_e32 v3, v2
	scratch_store_byte off, v2, off offset:304
	scratch_store_dword off, v2, off offset:340
	scratch_store_dwordx4 off, v[4:7], off offset:308
	scratch_store_dwordx4 off, v[4:7], off offset:324
.LBB2169_7:                             ; =>This Inner Loop Header: Depth=1
	s_add_i32 s3, s2, 0x110
	s_add_i32 s2, s2, 8
	s_cmpk_lg_i32 s2, 0x44
	scratch_store_dwordx2 off, v[2:3], s3
	s_cbranch_scc1 .LBB2169_7
; %bb.8:
	s_mov_b32 s40, 0
	s_mov_b32 s41, s40
	v_mov_b32_e32 v2, 0
	v_mov_b32_e32 v1, 0x110
	s_mov_b32 s42, s40
	s_mov_b32 s43, s40
	v_mov_b64_e32 v[4:5], s[40:41]
	s_movk_i32 s2, 0x48
	v_add_u32_e32 v21, 0x48, v1
	v_mov_b64_e32 v[6:7], s[42:43]
	v_mov_b32_e32 v3, v2
	scratch_store_byte off, v2, off offset:340
	scratch_store_dword off, v2, off offset:376
	scratch_store_dwordx4 off, v[4:7], off offset:344
	scratch_store_dwordx4 off, v[4:7], off offset:360
.LBB2169_9:                             ; =>This Inner Loop Header: Depth=1
	s_add_i32 s3, s2, 0x110
	s_add_i32 s2, s2, 8
	s_cmpk_lg_i32 s2, 0x68
	scratch_store_dwordx2 off, v[2:3], s3
	s_cbranch_scc1 .LBB2169_9
; %bb.10:
	v_mov_b32_e32 v2, 0
	v_mov_b32_e32 v4, s24
	;; [unrolled: 1-line block ×5, first 2 shown]
	s_mov_b32 s2, 0
	scratch_store_dwordx4 off, v[4:7], off offset:96
	v_mov_b32_e32 v3, v2
	scratch_store_byte off, v2, off offset:376
	v_mov_b32_e32 v4, s28
	v_mov_b32_e32 v5, s29
	;; [unrolled: 1-line block ×4, first 2 shown]
	scratch_store_dwordx4 off, v[4:7], off offset:112
.LBB2169_11:                            ; =>This Inner Loop Header: Depth=1
	s_add_i32 s3, s2, 0
	s_add_i32 s2, s2, 8
	s_cmp_lg_u32 s2, 32
	scratch_store_dwordx2 off, v[2:3], s3
	s_cbranch_scc1 .LBB2169_11
; %bb.12:
	v_mov_b32_e32 v2, 0
	s_mov_b32 s2, 32
	v_mov_b32_e32 v3, v2
.LBB2169_13:                            ; =>This Inner Loop Header: Depth=1
	s_add_i32 s3, s2, 0
	s_add_i32 s2, s2, 8
	s_cmp_lg_u32 s2, 64
	scratch_store_dwordx2 off, v[2:3], s3
	s_cbranch_scc1 .LBB2169_13
; %bb.14:
	v_mov_b32_e32 v2, 0
	s_mov_b32 s2, 64
	v_mov_b32_e32 v3, v2
.LBB2169_15:                            ; =>This Inner Loop Header: Depth=1
	s_add_i32 s3, s2, 0
	s_add_i32 s2, s2, 8
	s_cmpk_lg_i32 s2, 0x60
	scratch_store_dwordx2 off, v[2:3], s3
	s_cbranch_scc1 .LBB2169_15
; %bb.16:
	s_lshl_b64 s[2:3], s[10:11], 2
	s_add_u32 s40, s8, s2
	s_addc_u32 s41, s9, s3
	s_lshl_b64 s[34:35], s[10:11], 5
	s_add_u32 s10, s12, s34
	s_mul_i32 s2, s47, s23
	s_mul_hi_u32 s3, s46, s23
	s_addc_u32 s11, s13, s35
	s_add_i32 s12, s3, s2
	s_mul_i32 s2, s33, 0x300
	s_mov_b32 s3, 0
	s_lshl_b64 s[8:9], s[2:3], 2
	s_add_u32 s42, s40, s8
	s_addc_u32 s43, s41, s9
	s_lshl_b64 s[44:45], s[2:3], 5
	s_add_u32 s40, s10, s44
	s_mul_i32 s13, s46, s23
	s_addc_u32 s41, s11, s45
	s_add_u32 s2, s13, s33
	s_addc_u32 s3, s12, 0
	s_add_u32 s8, s36, -1
	v_mov_b32_e32 v2, 0
	s_addc_u32 s9, s37, -1
	v_add_u32_e32 v1, 64, v2
	v_add_u32_e32 v6, 32, v2
	v_mov_b64_e32 v[2:3], s[8:9]
	v_cmp_ge_u64_e64 s[2:3], s[2:3], v[2:3]
	s_mov_b64 s[10:11], -1
	s_and_b64 vcc, exec, s[2:3]
	s_mul_i32 s23, s8, 0xfffffd00
	s_cbranch_vccz .LBB2169_36
; %bb.17:
	v_mov_b64_e32 v[2:3], s[42:43]
	flat_load_dword v2, v[2:3]
	s_add_i32 s52, s23, s22
	v_cmp_gt_u32_e32 vcc, s52, v16
	s_waitcnt vmcnt(0) lgkmcnt(0)
	v_mov_b32_e32 v3, v2
	s_and_saveexec_b64 s[8:9], vcc
	s_cbranch_execz .LBB2169_19
; %bb.18:
	v_lshlrev_b32_e32 v4, 2, v16
	v_mov_b32_e32 v5, 0
	v_lshl_add_u64 v[4:5], s[42:43], 0, v[4:5]
	flat_load_dword v3, v[4:5]
.LBB2169_19:
	s_or_b64 exec, exec, s[8:9]
	v_or_b32_e32 v7, 0x100, v16
	v_cmp_gt_u32_e64 s[8:9], s52, v7
	v_mov_b32_e32 v4, v2
	s_and_saveexec_b64 s[10:11], s[8:9]
	s_cbranch_execz .LBB2169_21
; %bb.20:
	v_lshlrev_b32_e32 v4, 2, v16
	v_mov_b32_e32 v5, 0
	v_lshl_add_u64 v[4:5], s[42:43], 0, v[4:5]
	flat_load_dword v4, v[4:5] offset:1024
.LBB2169_21:
	s_or_b64 exec, exec, s[10:11]
	v_or_b32_e32 v8, 0x200, v16
	v_cmp_gt_u32_e64 s[10:11], s52, v8
	v_cmp_le_u32_e64 s[12:13], s52, v8
	s_and_saveexec_b64 s[36:37], s[12:13]
	s_xor_b64 s[12:13], exec, s[36:37]
; %bb.22:
	v_mov_b32_e32 v17, 0
; %bb.23:
	s_andn2_saveexec_b64 s[12:13], s[12:13]
	s_cbranch_execz .LBB2169_25
; %bb.24:
	v_mov_b32_e32 v17, 0
	v_lshlrev_b32_e32 v10, 2, v16
	v_mov_b32_e32 v11, v17
	v_lshl_add_u64 v[10:11], s[42:43], 0, v[10:11]
	flat_load_dword v2, v[10:11] offset:2048
.LBB2169_25:
	s_or_b64 exec, exec, s[12:13]
	v_lshlrev_b32_e32 v9, 2, v16
	s_waitcnt vmcnt(0) lgkmcnt(0)
	ds_write2st64_b32 v9, v3, v4 offset1:4
	ds_write_b32 v9, v2 offset:2048
	v_mov_b64_e32 v[2:3], s[42:43]
	s_waitcnt lgkmcnt(0)
	s_barrier
	flat_load_dword v4, v[2:3]
	v_lshl_add_u32 v2, v16, 3, v9
	ds_read_b32 v5, v2
	ds_read2_b32 v[2:3], v2 offset0:1 offset1:2
	s_movk_i32 s12, 0xff
	v_cmp_ne_u32_e64 s[12:13], s12, v16
	s_waitcnt lgkmcnt(0)
	ds_write_b32 v9, v5 offset:4096
	s_waitcnt lgkmcnt(0)
	s_barrier
	s_and_saveexec_b64 s[36:37], s[12:13]
	s_cbranch_execz .LBB2169_27
; %bb.26:
	s_waitcnt vmcnt(0)
	ds_read_b32 v4, v9 offset:4100
.LBB2169_27:
	s_or_b64 exec, exec, s[36:37]
	s_waitcnt lgkmcnt(0)
	s_barrier
	s_and_saveexec_b64 s[12:13], vcc
	s_cbranch_execnz .LBB2169_442
; %bb.28:
	s_or_b64 exec, exec, s[12:13]
	s_and_saveexec_b64 s[12:13], s[8:9]
	s_cbranch_execnz .LBB2169_443
.LBB2169_29:
	s_or_b64 exec, exec, s[12:13]
	v_mul_u32_u24_e32 v7, 3, v16
	s_and_saveexec_b64 s[8:9], s[10:11]
	s_cbranch_execz .LBB2169_31
.LBB2169_30:
	v_lshlrev_b32_e32 v10, 5, v8
	v_mov_b32_e32 v11, 0
	v_lshl_add_u64 v[14:15], s[40:41], 0, v[10:11]
	flat_load_dwordx4 v[10:13], v[14:15]
	flat_load_dwordx4 v[22:25], v[14:15] offset:16
	s_waitcnt vmcnt(0) lgkmcnt(0)
	scratch_store_dwordx4 off, v[10:13], off offset:64
	scratch_store_dwordx4 off, v[22:25], off offset:80
.LBB2169_31:
	s_or_b64 exec, exec, s[8:9]
	scratch_load_dwordx4 v[10:13], off, off
	scratch_load_dwordx4 v[22:25], off, off offset:16
	scratch_load_dwordx4 v[26:29], v6, off
	scratch_load_dwordx4 v[30:33], v6, off offset:16
	scratch_load_dwordx4 v[34:37], v1, off
	scratch_load_dwordx4 v[38:41], v1, off offset:16
	v_mad_u32_u24 v8, v16, 28, v9
	v_lshl_add_u32 v17, v16, 6, v8
	v_cmp_gt_u32_e32 vcc, s52, v7
	s_mov_b64 s[10:11], 0
	s_mov_b64 s[36:37], 0
                                        ; implicit-def: $sgpr8_sgpr9
	s_waitcnt vmcnt(0)
	ds_write_b128 v8, v[10:13]
	ds_write_b128 v8, v[22:25] offset:16
	ds_write_b128 v8, v[26:29] offset:8192
	;; [unrolled: 1-line block ×5, first 2 shown]
	s_waitcnt lgkmcnt(0)
	s_barrier
	ds_read_b128 v[8:11], v17
	ds_read_b128 v[12:15], v17 offset:16
	ds_read_b128 v[22:25], v17 offset:32
	;; [unrolled: 1-line block ×5, first 2 shown]
	s_waitcnt lgkmcnt(5)
	scratch_store_dwordx4 off, v[8:11], off
	s_waitcnt lgkmcnt(4)
	scratch_store_dwordx4 off, v[12:15], off offset:16
	s_waitcnt lgkmcnt(3)
	scratch_store_dwordx4 v6, v[22:25], off
	s_waitcnt lgkmcnt(2)
	scratch_store_dwordx4 v6, v[26:29], off offset:16
	s_waitcnt lgkmcnt(1)
	scratch_store_dwordx4 v1, v[30:33], off
	s_waitcnt lgkmcnt(0)
	scratch_store_dwordx4 v1, v[34:37], off offset:16
	s_and_saveexec_b64 s[12:13], vcc
	s_cbranch_execz .LBB2169_35
; %bb.32:
	v_cmp_ne_u32_e32 vcc, v5, v2
	v_mov_b32_e32 v5, 0x60
	v_mov_b32_e32 v8, 0
	v_cndmask_b32_e32 v18, v8, v5, vcc
	scratch_load_dwordx4 v[8:11], v18, off
	scratch_load_dwordx4 v[12:15], v18, off offset:16
	v_add_u32_e32 v18, 1, v7
	v_cndmask_b32_e64 v17, 0, 1, vcc
	v_cmp_gt_u32_e32 vcc, s52, v18
	s_mov_b64 s[48:49], 0
	scratch_store_byte off, v17, off offset:304
                                        ; implicit-def: $sgpr50_sgpr51
	s_waitcnt vmcnt(2)
	scratch_store_dwordx4 off, v[8:11], off offset:272
	s_waitcnt vmcnt(2)
	scratch_store_dwordx4 off, v[12:15], off offset:288
	s_and_saveexec_b64 s[8:9], vcc
	s_xor_b64 s[36:37], exec, s[8:9]
	s_cbranch_execz .LBB2169_34
; %bb.33:
	v_cmp_ne_u32_e32 vcc, v2, v3
	s_nop 1
	v_cndmask_b32_e32 v5, v6, v5, vcc
	scratch_load_dwordx4 v[8:11], v5, off
	scratch_load_dwordx4 v[12:15], v5, off offset:16
	v_cndmask_b32_e64 v2, 0, 1, vcc
	v_cmp_ne_u32_e32 vcc, v3, v4
	v_add_u32_e32 v3, 2, v7
	v_cmp_gt_u32_e64 s[8:9], s52, v3
	scratch_store_byte off, v2, off offset:340
	s_and_b64 s[50:51], vcc, exec
	s_and_b64 s[48:49], s[8:9], exec
	s_waitcnt vmcnt(2)
	scratch_store_dwordx4 v20, v[8:11], off
	s_waitcnt vmcnt(2)
	scratch_store_dwordx4 v20, v[12:15], off offset:16
.LBB2169_34:
	s_or_b64 exec, exec, s[36:37]
	s_and_b64 s[8:9], s[50:51], exec
	s_and_b64 s[36:37], s[48:49], exec
.LBB2169_35:
	s_or_b64 exec, exec, s[12:13]
	s_and_b64 vcc, exec, s[10:11]
	s_cbranch_vccnz .LBB2169_37
	s_branch .LBB2169_40
.LBB2169_36:
	s_mov_b64 s[36:37], 0
                                        ; implicit-def: $sgpr8_sgpr9
	s_and_b64 vcc, exec, s[10:11]
	s_cbranch_vccz .LBB2169_40
.LBB2169_37:
	v_mov_b32_e32 v5, 0
	v_lshlrev_b32_e32 v4, 2, v16
	v_lshl_add_u64 v[2:3], s[42:43], 0, v[4:5]
	flat_load_dword v7, v[2:3]
	flat_load_dword v8, v[2:3] offset:1024
	flat_load_dword v9, v[2:3] offset:2048
	v_mov_b64_e32 v[2:3], s[42:43]
	s_movk_i32 s8, 0xff
	v_cmp_ne_u32_e32 vcc, s8, v16
	s_waitcnt vmcnt(0) lgkmcnt(0)
	ds_write2st64_b32 v4, v7, v8 offset1:4
	ds_write_b32 v4, v9 offset:2048
	s_waitcnt lgkmcnt(0)
	s_barrier
	flat_load_dword v7, v[2:3] offset:3072
	v_lshl_add_u32 v2, v16, 3, v4
	ds_read_b32 v8, v2
	ds_read2_b32 v[2:3], v2 offset0:1 offset1:2
	s_waitcnt lgkmcnt(0)
	ds_write_b32 v4, v8 offset:4096
	s_waitcnt lgkmcnt(0)
	s_barrier
	s_and_saveexec_b64 s[8:9], vcc
	s_cbranch_execz .LBB2169_39
; %bb.38:
	s_waitcnt vmcnt(0)
	ds_read_b32 v7, v4 offset:4100
.LBB2169_39:
	s_or_b64 exec, exec, s[8:9]
	v_lshlrev_b32_e32 v10, 5, v16
	v_mov_b32_e32 v11, v5
	v_lshl_add_u64 v[14:15], s[40:41], 0, v[10:11]
	s_waitcnt lgkmcnt(0)
	s_barrier
	flat_load_dwordx4 v[10:13], v[14:15]
	flat_load_dwordx4 v[22:25], v[14:15] offset:16
	s_movk_i32 s8, 0x2000
	v_add_co_u32_e32 v18, vcc, s8, v14
	s_movk_i32 s8, 0x4000
	s_nop 0
	v_addc_co_u32_e32 v19, vcc, 0, v15, vcc
	v_add_co_u32_e32 v14, vcc, s8, v14
	v_mad_u32_u24 v4, v16, 28, v4
	s_nop 0
	v_addc_co_u32_e32 v15, vcc, 0, v15, vcc
	v_cmp_ne_u32_e32 vcc, v8, v2
	v_mov_b32_e32 v17, 0x60
	v_mov_b32_e32 v8, 0
	v_cmp_ne_u32_e64 s[8:9], v2, v3
	v_cndmask_b32_e64 v5, 0, 1, vcc
	s_mov_b64 s[36:37], -1
	v_cndmask_b32_e64 v2, 0, 1, s[8:9]
	s_waitcnt vmcnt(0) lgkmcnt(0)
	scratch_store_dwordx4 off, v[10:13], off
	scratch_store_dwordx4 off, v[22:25], off offset:16
	flat_load_dwordx4 v[26:29], v[18:19]
	flat_load_dwordx4 v[30:33], v[18:19] offset:16
	v_lshl_add_u32 v18, v16, 6, v4
	v_cndmask_b32_e32 v19, v8, v17, vcc
	s_waitcnt vmcnt(0) lgkmcnt(0)
	scratch_store_dwordx4 off, v[26:29], off offset:32
	scratch_store_dwordx4 off, v[30:33], off offset:48
	flat_load_dwordx4 v[26:29], v[14:15]
	s_nop 0
	flat_load_dwordx4 v[30:33], v[14:15] offset:16
	scratch_load_dwordx4 v[34:37], v6, off
	scratch_load_dwordx4 v[38:41], v6, off offset:16
	s_waitcnt vmcnt(0) lgkmcnt(0)
	scratch_store_dwordx4 off, v[26:29], off offset:64
	scratch_store_dwordx4 off, v[30:33], off offset:80
	scratch_load_dwordx4 v[26:29], v1, off
	s_nop 0
	scratch_load_dwordx4 v[30:33], v1, off offset:16
	ds_write_b128 v4, v[10:13]
	ds_write_b128 v4, v[22:25] offset:16
	ds_write_b128 v4, v[34:37] offset:8192
	;; [unrolled: 1-line block ×3, first 2 shown]
	s_waitcnt vmcnt(1)
	ds_write_b128 v4, v[26:29] offset:16384
	s_waitcnt vmcnt(0)
	ds_write_b128 v4, v[30:33] offset:16400
	s_waitcnt lgkmcnt(0)
	s_barrier
	ds_read_b128 v[8:11], v18
	ds_read_b128 v[12:15], v18 offset:16
	ds_read_b128 v[22:25], v18 offset:32
	;; [unrolled: 1-line block ×3, first 2 shown]
	s_waitcnt lgkmcnt(3)
	scratch_store_dwordx4 off, v[8:11], off
	s_waitcnt lgkmcnt(2)
	scratch_store_dwordx4 off, v[12:15], off offset:16
	s_waitcnt lgkmcnt(1)
	scratch_store_dwordx4 v6, v[22:25], off
	s_waitcnt lgkmcnt(0)
	scratch_store_dwordx4 v6, v[26:29], off offset:16
	v_cndmask_b32_e64 v4, v6, v17, s[8:9]
	scratch_load_dwordx4 v[8:11], v19, off offset:16
	scratch_load_dwordx4 v[12:15], v19, off
	scratch_load_dwordx4 v[22:25], v4, off offset:16
	scratch_load_dwordx4 v[26:29], v4, off
	ds_read_b128 v[30:33], v18 offset:64
	ds_read_b128 v[34:37], v18 offset:80
	v_cmp_ne_u32_e64 s[8:9], v3, v7
	scratch_store_byte off, v5, off offset:304
	scratch_store_byte off, v2, off offset:340
	s_waitcnt lgkmcnt(1)
	scratch_store_dwordx4 v1, v[30:33], off
	s_waitcnt lgkmcnt(0)
	scratch_store_dwordx4 v1, v[34:37], off offset:16
	s_waitcnt vmcnt(7)
	scratch_store_dwordx4 off, v[8:11], off offset:288
	s_waitcnt vmcnt(7)
	scratch_store_dwordx4 off, v[12:15], off offset:272
	s_waitcnt vmcnt(7)
	scratch_store_dwordx4 v20, v[22:25], off offset:16
	s_waitcnt vmcnt(7)
	scratch_store_dwordx4 v20, v[26:29], off
.LBB2169_40:
	s_and_saveexec_b64 s[10:11], s[36:37]
	s_cbranch_execz .LBB2169_42
; %bb.41:
	v_mov_b32_e32 v2, 0x60
	v_cndmask_b32_e64 v1, v1, v2, s[8:9]
	scratch_load_dwordx4 v[2:5], v1, off
	scratch_load_dwordx4 v[6:9], v1, off offset:16
	v_cndmask_b32_e64 v1, 0, 1, s[8:9]
	s_waitcnt vmcnt(1)
	scratch_store_dwordx4 v21, v[2:5], off
	s_waitcnt vmcnt(1)
	scratch_store_dwordx4 v21, v[6:9], off offset:16
	scratch_store_byte off, v1, off offset:376
.LBB2169_42:
	s_or_b64 exec, exec, s[10:11]
	s_cmp_lg_u32 s33, 0
	s_barrier
	s_cbranch_scc0 .LBB2169_313
; %bb.43:
	scratch_load_dwordx4 v[2:5], off, off offset:272
	scratch_load_dwordx4 v[6:9], off, off offset:288
	scratch_load_dword v1, off, off offset:304
	scratch_load_ubyte v10, off, off offset:340
	s_waitcnt vmcnt(3)
	scratch_store_dwordx4 off, v[2:5], off offset:204
	s_waitcnt vmcnt(3)
	scratch_store_dwordx4 off, v[6:9], off offset:220
	s_waitcnt vmcnt(3)
	scratch_store_dword off, v1, off offset:236
	s_waitcnt vmcnt(3)
	v_cmp_ne_u16_e32 vcc, 0, v10
                                        ; implicit-def: $vgpr8_vgpr9
                                        ; implicit-def: $vgpr4_vgpr5
	s_and_saveexec_b64 s[8:9], vcc
	s_xor_b64 s[8:9], exec, s[8:9]
	s_cbranch_execz .LBB2169_45
; %bb.44:
	scratch_load_dwordx4 v[2:5], off, off offset:308
	scratch_load_dwordx4 v[6:9], off, off offset:324
.LBB2169_45:
	s_andn2_saveexec_b64 s[8:9], s[8:9]
	s_cbranch_execz .LBB2169_51
; %bb.46:
	s_waitcnt vmcnt(1)
	v_mov_b32_e32 v2, 0
	s_mov_b32 s10, 0
	v_mov_b32_e32 v3, v2
.LBB2169_47:                            ; =>This Inner Loop Header: Depth=1
	s_add_i32 s11, s10, 0
	s_add_i32 s10, s10, 8
	s_cmp_lg_u32 s10, 32
	scratch_store_dwordx2 off, v[2:3], s11
	s_cbranch_scc1 .LBB2169_47
; %bb.48:
	s_mov_b32 s10, 0
.LBB2169_49:                            ; =>This Inner Loop Header: Depth=1
	s_add_i32 s11, s10, 0xcc
	s_waitcnt vmcnt(1)
	v_add_u32_e32 v6, s10, v20
	scratch_load_dwordx2 v[2:3], off, s11
	scratch_load_dwordx2 v[4:5], v6, off
	s_add_i32 s11, s10, 0
	s_add_i32 s10, s10, 8
	s_cmp_lg_u32 s10, 32
	s_waitcnt vmcnt(0)
	v_add_u32_e32 v3, v5, v3
	v_add_u32_e32 v2, v4, v2
	scratch_store_dwordx2 off, v[2:3], s11
	s_cbranch_scc1 .LBB2169_49
; %bb.50:
	scratch_load_dwordx4 v[2:5], off, off
	scratch_load_dwordx4 v[6:9], off, off offset:16
.LBB2169_51:
	s_or_b64 exec, exec, s[8:9]
	scratch_load_ubyte v11, off, off offset:376
	s_waitcnt vmcnt(2)
	scratch_store_dwordx4 off, v[2:5], off offset:204
	s_waitcnt vmcnt(2)
	scratch_store_dwordx4 off, v[6:9], off offset:220
                                        ; implicit-def: $vgpr8_vgpr9
                                        ; implicit-def: $vgpr4_vgpr5
	s_waitcnt vmcnt(2)
	v_cmp_ne_u16_e32 vcc, 0, v11
	s_and_saveexec_b64 s[8:9], vcc
	s_xor_b64 s[8:9], exec, s[8:9]
	s_cbranch_execz .LBB2169_53
; %bb.52:
	scratch_load_dwordx4 v[2:5], off, off offset:344
	scratch_load_dwordx4 v[6:9], off, off offset:360
.LBB2169_53:
	s_andn2_saveexec_b64 s[8:9], s[8:9]
	s_cbranch_execz .LBB2169_59
; %bb.54:
	s_waitcnt vmcnt(1)
	v_mov_b32_e32 v2, 0
	s_mov_b32 s10, 0
	v_mov_b32_e32 v3, v2
.LBB2169_55:                            ; =>This Inner Loop Header: Depth=1
	s_add_i32 s11, s10, 0
	s_add_i32 s10, s10, 8
	s_cmp_lg_u32 s10, 32
	scratch_store_dwordx2 off, v[2:3], s11
	s_cbranch_scc1 .LBB2169_55
; %bb.56:
	s_mov_b32 s10, 0
.LBB2169_57:                            ; =>This Inner Loop Header: Depth=1
	s_add_i32 s11, s10, 0xcc
	s_waitcnt vmcnt(1)
	v_add_u32_e32 v6, s10, v21
	scratch_load_dwordx2 v[2:3], off, s11
	scratch_load_dwordx2 v[4:5], v6, off
	s_add_i32 s11, s10, 0
	s_add_i32 s10, s10, 8
	s_cmp_lg_u32 s10, 32
	s_waitcnt vmcnt(0)
	v_add_u32_e32 v3, v5, v3
	v_add_u32_e32 v2, v4, v2
	scratch_store_dwordx2 off, v[2:3], s11
	s_cbranch_scc1 .LBB2169_57
; %bb.58:
	scratch_load_dwordx4 v[2:5], off, off
	scratch_load_dwordx4 v[6:9], off, off offset:16
.LBB2169_59:
	s_or_b64 exec, exec, s[8:9]
	v_or_b32_e32 v10, v11, v10
	v_or_b32_e32 v1, v10, v1
	v_and_b32_e32 v1, 1, v1
	scratch_store_byte off, v1, off offset:236
	scratch_load_dword v12, off, off offset:236
	v_mbcnt_lo_u32_b32 v1, -1, 0
	v_mbcnt_hi_u32_b32 v1, -1, v1
	v_and_b32_e32 v13, 15, v1
	s_waitcnt vmcnt(3)
	v_mov_b32_dpp v22, v2 row_shr:1 row_mask:0xf bank_mask:0xf
	v_mov_b32_dpp v23, v3 row_shr:1 row_mask:0xf bank_mask:0xf
	;; [unrolled: 1-line block ×4, first 2 shown]
	v_cmp_ne_u32_e32 vcc, 0, v13
	scratch_store_dwordx4 off, v[2:5], off offset:204
	s_waitcnt vmcnt(3)
	scratch_store_dwordx4 off, v[6:9], off offset:220
	v_mov_b32_dpp v26, v6 row_shr:1 row_mask:0xf bank_mask:0xf
	v_mov_b32_dpp v27, v7 row_shr:1 row_mask:0xf bank_mask:0xf
	;; [unrolled: 1-line block ×4, first 2 shown]
	scratch_store_dwordx4 off, v[22:25], off
	scratch_store_dwordx4 off, v[26:29], off offset:16
	s_waitcnt vmcnt(4)
	v_mov_b32_dpp v14, v12 row_shr:1 row_mask:0xf bank_mask:0xf
	scratch_store_dword off, v14, off offset:32
	s_and_saveexec_b64 s[8:9], vcc
	s_xor_b64 s[8:9], exec, s[8:9]
	s_cbranch_execz .LBB2169_67
; %bb.60:
	v_mov_b32_e32 v10, 0
	v_cmp_eq_u16_sdwa s[12:13], v12, v10 src0_sel:BYTE_0 src1_sel:DWORD
	s_and_saveexec_b64 s[10:11], s[12:13]
	s_cbranch_execz .LBB2169_66
; %bb.61:
	s_mov_b32 s12, 0
	v_mov_b32_e32 v11, v10
.LBB2169_62:                            ; =>This Inner Loop Header: Depth=1
	s_add_i32 s13, s12, 0x60
	s_add_i32 s12, s12, 8
	s_cmp_lg_u32 s12, 32
	scratch_store_dwordx2 off, v[10:11], s13
	s_cbranch_scc1 .LBB2169_62
; %bb.63:
	s_mov_b32 s12, 0
.LBB2169_64:                            ; =>This Inner Loop Header: Depth=1
	s_add_i32 s13, s12, 0
	s_add_i32 s36, s12, 0xcc
	scratch_load_dwordx2 v[2:3], off, s13
	scratch_load_dwordx2 v[4:5], off, s36
	s_add_i32 s13, s12, 0x60
	s_add_i32 s12, s12, 8
	s_cmp_lg_u32 s12, 32
	s_waitcnt vmcnt(0)
	v_add_u32_e32 v3, v5, v3
	v_add_u32_e32 v2, v4, v2
	scratch_store_dwordx2 off, v[2:3], s13
	s_cbranch_scc1 .LBB2169_64
; %bb.65:
	scratch_load_dwordx4 v[2:5], off, off offset:96
	scratch_load_dwordx4 v[6:9], off, off offset:112
.LBB2169_66:
	s_or_b64 exec, exec, s[10:11]
	v_or_b32_e32 v10, v14, v12
	v_and_b32_e32 v10, 1, v10
	scratch_store_byte off, v10, off offset:236
	scratch_load_dword v12, off, off offset:236
	s_waitcnt vmcnt(3)
	scratch_store_dwordx4 off, v[2:5], off offset:204
	s_waitcnt vmcnt(3)
	scratch_store_dwordx4 off, v[6:9], off offset:220
.LBB2169_67:
	s_or_b64 exec, exec, s[8:9]
	v_mov_b32_dpp v22, v2 row_shr:2 row_mask:0xf bank_mask:0xf
	v_mov_b32_dpp v23, v3 row_shr:2 row_mask:0xf bank_mask:0xf
	;; [unrolled: 1-line block ×4, first 2 shown]
	s_waitcnt vmcnt(2)
	v_mov_b32_dpp v14, v12 row_shr:2 row_mask:0xf bank_mask:0xf
	v_cmp_lt_u32_e32 vcc, 1, v13
	v_mov_b32_dpp v26, v6 row_shr:2 row_mask:0xf bank_mask:0xf
	v_mov_b32_dpp v27, v7 row_shr:2 row_mask:0xf bank_mask:0xf
	;; [unrolled: 1-line block ×4, first 2 shown]
	scratch_store_dwordx4 off, v[22:25], off
	scratch_store_dwordx4 off, v[26:29], off offset:16
	scratch_store_dword off, v14, off offset:32
	s_and_saveexec_b64 s[10:11], vcc
	s_cbranch_execz .LBB2169_75
; %bb.68:
	v_mov_b32_e32 v10, 0
	s_mov_b32 s12, 0
	v_cmp_eq_u16_sdwa s[36:37], v12, v10 src0_sel:BYTE_0 src1_sel:DWORD
	s_and_saveexec_b64 s[8:9], s[36:37]
	s_cbranch_execz .LBB2169_74
; %bb.69:
	v_mov_b32_e32 v11, v10
.LBB2169_70:                            ; =>This Inner Loop Header: Depth=1
	s_add_i32 s13, s12, 0x60
	s_add_i32 s12, s12, 8
	s_cmp_lg_u32 s12, 32
	scratch_store_dwordx2 off, v[10:11], s13
	s_cbranch_scc1 .LBB2169_70
; %bb.71:
	s_mov_b32 s12, 0
.LBB2169_72:                            ; =>This Inner Loop Header: Depth=1
	s_add_i32 s13, s12, 0
	s_add_i32 s36, s12, 0xcc
	scratch_load_dwordx2 v[2:3], off, s13
	scratch_load_dwordx2 v[4:5], off, s36
	s_add_i32 s13, s12, 0x60
	s_add_i32 s12, s12, 8
	s_cmp_lg_u32 s12, 32
	s_waitcnt vmcnt(0)
	v_add_u32_e32 v3, v5, v3
	v_add_u32_e32 v2, v4, v2
	scratch_store_dwordx2 off, v[2:3], s13
	s_cbranch_scc1 .LBB2169_72
; %bb.73:
	scratch_load_dwordx4 v[2:5], off, off offset:96
	scratch_load_dwordx4 v[6:9], off, off offset:112
.LBB2169_74:
	s_or_b64 exec, exec, s[8:9]
	v_and_b32_e32 v10, 1, v12
	v_cmp_eq_u32_e32 vcc, 1, v10
	v_and_b32_e32 v10, 1, v14
	v_cmp_eq_u32_e64 s[8:9], 1, v10
	s_or_b64 s[8:9], vcc, s[8:9]
	s_nop 0
	v_cndmask_b32_e64 v10, 0, 1, s[8:9]
	scratch_store_byte off, v10, off offset:236
	scratch_load_dword v12, off, off offset:236
	s_waitcnt vmcnt(3)
	scratch_store_dwordx4 off, v[2:5], off offset:204
	s_waitcnt vmcnt(3)
	scratch_store_dwordx4 off, v[6:9], off offset:220
.LBB2169_75:
	s_or_b64 exec, exec, s[10:11]
	v_mov_b32_dpp v22, v2 row_shr:4 row_mask:0xf bank_mask:0xf
	v_mov_b32_dpp v23, v3 row_shr:4 row_mask:0xf bank_mask:0xf
	;; [unrolled: 1-line block ×4, first 2 shown]
	s_waitcnt vmcnt(2)
	v_mov_b32_dpp v14, v12 row_shr:4 row_mask:0xf bank_mask:0xf
	v_cmp_lt_u32_e32 vcc, 3, v13
	v_mov_b32_dpp v26, v6 row_shr:4 row_mask:0xf bank_mask:0xf
	v_mov_b32_dpp v27, v7 row_shr:4 row_mask:0xf bank_mask:0xf
	;; [unrolled: 1-line block ×4, first 2 shown]
	scratch_store_dwordx4 off, v[22:25], off
	scratch_store_dwordx4 off, v[26:29], off offset:16
	scratch_store_dword off, v14, off offset:32
	s_and_saveexec_b64 s[10:11], vcc
	s_cbranch_execz .LBB2169_83
; %bb.76:
	v_mov_b32_e32 v10, 0
	s_mov_b32 s12, 0
	v_cmp_eq_u16_sdwa s[36:37], v12, v10 src0_sel:BYTE_0 src1_sel:DWORD
	s_and_saveexec_b64 s[8:9], s[36:37]
	s_cbranch_execz .LBB2169_82
; %bb.77:
	v_mov_b32_e32 v11, v10
.LBB2169_78:                            ; =>This Inner Loop Header: Depth=1
	s_add_i32 s13, s12, 0x60
	s_add_i32 s12, s12, 8
	s_cmp_lg_u32 s12, 32
	scratch_store_dwordx2 off, v[10:11], s13
	s_cbranch_scc1 .LBB2169_78
; %bb.79:
	s_mov_b32 s12, 0
.LBB2169_80:                            ; =>This Inner Loop Header: Depth=1
	s_add_i32 s13, s12, 0
	s_add_i32 s36, s12, 0xcc
	scratch_load_dwordx2 v[2:3], off, s13
	scratch_load_dwordx2 v[4:5], off, s36
	s_add_i32 s13, s12, 0x60
	s_add_i32 s12, s12, 8
	s_cmp_lg_u32 s12, 32
	s_waitcnt vmcnt(0)
	v_add_u32_e32 v3, v5, v3
	v_add_u32_e32 v2, v4, v2
	scratch_store_dwordx2 off, v[2:3], s13
	s_cbranch_scc1 .LBB2169_80
; %bb.81:
	scratch_load_dwordx4 v[2:5], off, off offset:96
	scratch_load_dwordx4 v[6:9], off, off offset:112
.LBB2169_82:
	s_or_b64 exec, exec, s[8:9]
	v_and_b32_e32 v10, 1, v12
	v_cmp_eq_u32_e32 vcc, 1, v10
	v_and_b32_e32 v10, 1, v14
	v_cmp_eq_u32_e64 s[8:9], 1, v10
	s_or_b64 s[8:9], vcc, s[8:9]
	s_nop 0
	v_cndmask_b32_e64 v10, 0, 1, s[8:9]
	scratch_store_byte off, v10, off offset:236
	scratch_load_dword v12, off, off offset:236
	s_waitcnt vmcnt(3)
	scratch_store_dwordx4 off, v[2:5], off offset:204
	s_waitcnt vmcnt(3)
	scratch_store_dwordx4 off, v[6:9], off offset:220
.LBB2169_83:
	s_or_b64 exec, exec, s[10:11]
	v_mov_b32_dpp v22, v2 row_shr:8 row_mask:0xf bank_mask:0xf
	v_mov_b32_dpp v23, v3 row_shr:8 row_mask:0xf bank_mask:0xf
	;; [unrolled: 1-line block ×4, first 2 shown]
	s_waitcnt vmcnt(2)
	v_mov_b32_dpp v14, v12 row_shr:8 row_mask:0xf bank_mask:0xf
	v_cmp_lt_u32_e32 vcc, 7, v13
	v_mov_b32_dpp v26, v6 row_shr:8 row_mask:0xf bank_mask:0xf
	v_mov_b32_dpp v27, v7 row_shr:8 row_mask:0xf bank_mask:0xf
	;; [unrolled: 1-line block ×4, first 2 shown]
	scratch_store_dwordx4 off, v[22:25], off
	scratch_store_dwordx4 off, v[26:29], off offset:16
	scratch_store_dword off, v14, off offset:32
	s_and_saveexec_b64 s[10:11], vcc
	s_cbranch_execz .LBB2169_91
; %bb.84:
	v_mov_b32_e32 v10, 0
	s_mov_b32 s12, 0
	v_cmp_eq_u16_sdwa s[36:37], v12, v10 src0_sel:BYTE_0 src1_sel:DWORD
	s_and_saveexec_b64 s[8:9], s[36:37]
	s_cbranch_execz .LBB2169_90
; %bb.85:
	v_mov_b32_e32 v11, v10
.LBB2169_86:                            ; =>This Inner Loop Header: Depth=1
	s_add_i32 s13, s12, 0x60
	s_add_i32 s12, s12, 8
	s_cmp_lg_u32 s12, 32
	scratch_store_dwordx2 off, v[10:11], s13
	s_cbranch_scc1 .LBB2169_86
; %bb.87:
	s_mov_b32 s12, 0
.LBB2169_88:                            ; =>This Inner Loop Header: Depth=1
	s_add_i32 s13, s12, 0
	s_add_i32 s36, s12, 0xcc
	scratch_load_dwordx2 v[2:3], off, s13
	scratch_load_dwordx2 v[4:5], off, s36
	s_add_i32 s13, s12, 0x60
	s_add_i32 s12, s12, 8
	s_cmp_lg_u32 s12, 32
	s_waitcnt vmcnt(0)
	v_add_u32_e32 v3, v5, v3
	v_add_u32_e32 v2, v4, v2
	scratch_store_dwordx2 off, v[2:3], s13
	s_cbranch_scc1 .LBB2169_88
; %bb.89:
	scratch_load_dwordx4 v[2:5], off, off offset:96
	scratch_load_dwordx4 v[6:9], off, off offset:112
.LBB2169_90:
	s_or_b64 exec, exec, s[8:9]
	v_and_b32_e32 v10, 1, v12
	v_cmp_eq_u32_e32 vcc, 1, v10
	v_and_b32_e32 v10, 1, v14
	v_cmp_eq_u32_e64 s[8:9], 1, v10
	s_or_b64 s[8:9], vcc, s[8:9]
	s_nop 0
	v_cndmask_b32_e64 v10, 0, 1, s[8:9]
	scratch_store_byte off, v10, off offset:236
	scratch_load_dword v12, off, off offset:236
	s_waitcnt vmcnt(3)
	scratch_store_dwordx4 off, v[2:5], off offset:204
	s_waitcnt vmcnt(3)
	scratch_store_dwordx4 off, v[6:9], off offset:220
.LBB2169_91:
	s_or_b64 exec, exec, s[10:11]
	v_and_b32_e32 v10, 16, v1
	v_mov_b32_dpp v22, v2 row_bcast:15 row_mask:0xf bank_mask:0xf
	v_mov_b32_dpp v23, v3 row_bcast:15 row_mask:0xf bank_mask:0xf
	;; [unrolled: 1-line block ×4, first 2 shown]
	s_waitcnt vmcnt(2)
	v_mov_b32_dpp v13, v12 row_bcast:15 row_mask:0xf bank_mask:0xf
	v_cmp_ne_u32_e32 vcc, 0, v10
	v_mov_b32_dpp v26, v6 row_bcast:15 row_mask:0xf bank_mask:0xf
	v_mov_b32_dpp v27, v7 row_bcast:15 row_mask:0xf bank_mask:0xf
	;; [unrolled: 1-line block ×4, first 2 shown]
	scratch_store_dwordx4 off, v[22:25], off
	scratch_store_dwordx4 off, v[26:29], off offset:16
	scratch_store_dword off, v13, off offset:32
	s_and_saveexec_b64 s[10:11], vcc
	s_cbranch_execz .LBB2169_99
; %bb.92:
	v_mov_b32_e32 v10, 0
	s_mov_b32 s12, 0
	v_cmp_eq_u16_sdwa s[36:37], v12, v10 src0_sel:BYTE_0 src1_sel:DWORD
	s_and_saveexec_b64 s[8:9], s[36:37]
	s_cbranch_execz .LBB2169_98
; %bb.93:
	v_mov_b32_e32 v11, v10
.LBB2169_94:                            ; =>This Inner Loop Header: Depth=1
	s_add_i32 s13, s12, 0x60
	s_add_i32 s12, s12, 8
	s_cmp_lg_u32 s12, 32
	scratch_store_dwordx2 off, v[10:11], s13
	s_cbranch_scc1 .LBB2169_94
; %bb.95:
	s_mov_b32 s12, 0
.LBB2169_96:                            ; =>This Inner Loop Header: Depth=1
	s_add_i32 s13, s12, 0
	s_add_i32 s36, s12, 0xcc
	scratch_load_dwordx2 v[2:3], off, s13
	scratch_load_dwordx2 v[4:5], off, s36
	s_add_i32 s13, s12, 0x60
	s_add_i32 s12, s12, 8
	s_cmp_lg_u32 s12, 32
	s_waitcnt vmcnt(0)
	v_add_u32_e32 v3, v5, v3
	v_add_u32_e32 v2, v4, v2
	scratch_store_dwordx2 off, v[2:3], s13
	s_cbranch_scc1 .LBB2169_96
; %bb.97:
	scratch_load_dwordx4 v[2:5], off, off offset:96
	scratch_load_dwordx4 v[6:9], off, off offset:112
.LBB2169_98:
	s_or_b64 exec, exec, s[8:9]
	v_and_b32_e32 v10, 1, v12
	v_cmp_eq_u32_e32 vcc, 1, v10
	v_and_b32_e32 v10, 1, v13
	v_cmp_eq_u32_e64 s[8:9], 1, v10
	s_or_b64 s[8:9], vcc, s[8:9]
	s_nop 0
	v_cndmask_b32_e64 v10, 0, 1, s[8:9]
	scratch_store_byte off, v10, off offset:236
	scratch_load_dword v12, off, off offset:236
	s_waitcnt vmcnt(3)
	scratch_store_dwordx4 off, v[2:5], off offset:204
	s_waitcnt vmcnt(3)
	scratch_store_dwordx4 off, v[6:9], off offset:220
.LBB2169_99:
	s_or_b64 exec, exec, s[10:11]
	v_mov_b32_dpp v22, v2 row_bcast:31 row_mask:0xf bank_mask:0xf
	v_mov_b32_dpp v23, v3 row_bcast:31 row_mask:0xf bank_mask:0xf
	v_mov_b32_dpp v24, v4 row_bcast:31 row_mask:0xf bank_mask:0xf
	v_mov_b32_dpp v25, v5 row_bcast:31 row_mask:0xf bank_mask:0xf
	s_waitcnt vmcnt(2)
	v_mov_b32_dpp v13, v12 row_bcast:31 row_mask:0xf bank_mask:0xf
	v_cmp_lt_u32_e32 vcc, 31, v1
	v_mov_b32_dpp v26, v6 row_bcast:31 row_mask:0xf bank_mask:0xf
	v_mov_b32_dpp v27, v7 row_bcast:31 row_mask:0xf bank_mask:0xf
	;; [unrolled: 1-line block ×4, first 2 shown]
	scratch_store_dwordx4 off, v[22:25], off
	scratch_store_dwordx4 off, v[26:29], off offset:16
	scratch_store_dword off, v13, off offset:32
	s_and_saveexec_b64 s[10:11], vcc
	s_cbranch_execz .LBB2169_107
; %bb.100:
	v_mov_b32_e32 v10, 0
	s_mov_b32 s12, 0
	v_cmp_eq_u16_sdwa s[36:37], v12, v10 src0_sel:BYTE_0 src1_sel:DWORD
	s_and_saveexec_b64 s[8:9], s[36:37]
	s_cbranch_execz .LBB2169_106
; %bb.101:
	v_mov_b32_e32 v11, v10
.LBB2169_102:                           ; =>This Inner Loop Header: Depth=1
	s_add_i32 s13, s12, 0x60
	s_add_i32 s12, s12, 8
	s_cmp_lg_u32 s12, 32
	scratch_store_dwordx2 off, v[10:11], s13
	s_cbranch_scc1 .LBB2169_102
; %bb.103:
	s_mov_b32 s12, 0
.LBB2169_104:                           ; =>This Inner Loop Header: Depth=1
	s_add_i32 s13, s12, 0
	s_add_i32 s36, s12, 0xcc
	scratch_load_dwordx2 v[2:3], off, s13
	scratch_load_dwordx2 v[4:5], off, s36
	s_add_i32 s13, s12, 0x60
	s_add_i32 s12, s12, 8
	s_cmp_lg_u32 s12, 32
	s_waitcnt vmcnt(0)
	v_add_u32_e32 v3, v5, v3
	v_add_u32_e32 v2, v4, v2
	scratch_store_dwordx2 off, v[2:3], s13
	s_cbranch_scc1 .LBB2169_104
; %bb.105:
	scratch_load_dwordx4 v[2:5], off, off offset:96
	scratch_load_dwordx4 v[6:9], off, off offset:112
.LBB2169_106:
	s_or_b64 exec, exec, s[8:9]
	v_and_b32_e32 v10, 1, v12
	v_cmp_eq_u32_e32 vcc, 1, v10
	v_and_b32_e32 v10, 1, v13
	v_cmp_eq_u32_e64 s[8:9], 1, v10
	s_or_b64 s[8:9], vcc, s[8:9]
	s_nop 0
	v_cndmask_b32_e64 v12, 0, 1, s[8:9]
	s_waitcnt vmcnt(1)
	scratch_store_dwordx4 off, v[2:5], off offset:204
	s_waitcnt vmcnt(1)
	scratch_store_dwordx4 off, v[6:9], off offset:220
	scratch_store_byte off, v12, off offset:236
.LBB2169_107:
	s_or_b64 exec, exec, s[10:11]
	v_or_b32_e32 v10, 63, v16
	v_lshrrev_b32_e32 v13, 6, v16
	v_cmp_eq_u32_e32 vcc, v10, v16
	s_and_saveexec_b64 s[8:9], vcc
	s_cbranch_execz .LBB2169_109
; %bb.108:
	v_mul_u32_u24_e32 v10, 36, v13
	ds_write2_b32 v10, v2, v3 offset1:1
	ds_write2_b32 v10, v4, v5 offset0:2 offset1:3
	ds_write2_b32 v10, v6, v7 offset0:4 offset1:5
	;; [unrolled: 1-line block ×3, first 2 shown]
	ds_write_b8 v10, v12 offset:32
.LBB2169_109:
	s_or_b64 exec, exec, s[8:9]
	v_cmp_gt_u32_e32 vcc, 4, v16
	s_waitcnt lgkmcnt(0)
	s_barrier
	s_and_saveexec_b64 s[10:11], vcc
	s_cbranch_execz .LBB2169_127
; %bb.110:
	v_mul_u32_u24_e32 v12, 36, v16
	ds_read_b32 v14, v12 offset:32
	ds_read2_b32 v[6:7], v12 offset0:4 offset1:5
	ds_read2_b32 v[4:5], v12 offset0:2 offset1:3
	ds_read2_b32 v[2:3], v12 offset1:1
	ds_read2_b32 v[8:9], v12 offset0:6 offset1:7
	v_and_b32_e32 v15, 3, v1
	s_waitcnt lgkmcnt(4)
	v_mov_b32_dpp v17, v14 row_shr:1 row_mask:0xf bank_mask:0xf
	s_waitcnt lgkmcnt(2)
	v_mov_b32_dpp v24, v4 row_shr:1 row_mask:0xf bank_mask:0xf
	;; [unrolled: 2-line block ×3, first 2 shown]
	v_mov_b32_dpp v23, v3 row_shr:1 row_mask:0xf bank_mask:0xf
	v_mov_b32_dpp v25, v5 row_shr:1 row_mask:0xf bank_mask:0xf
	v_cmp_ne_u32_e32 vcc, 0, v15
	scratch_store_dword off, v14, off offset:128
	scratch_store_dwordx4 off, v[2:5], off offset:96
	s_waitcnt lgkmcnt(0)
	scratch_store_dwordx4 off, v[6:9], off offset:112
	v_mov_b32_dpp v26, v6 row_shr:1 row_mask:0xf bank_mask:0xf
	v_mov_b32_dpp v27, v7 row_shr:1 row_mask:0xf bank_mask:0xf
	;; [unrolled: 1-line block ×4, first 2 shown]
	scratch_store_dwordx4 off, v[22:25], off
	scratch_store_dwordx4 off, v[26:29], off offset:16
	scratch_store_dword off, v17, off offset:32
	s_and_saveexec_b64 s[8:9], vcc
	s_cbranch_execz .LBB2169_118
; %bb.111:
	v_mov_b32_e32 v10, 0
	v_cmp_eq_u16_sdwa s[36:37], v14, v10 src0_sel:BYTE_0 src1_sel:DWORD
	s_and_saveexec_b64 s[12:13], s[36:37]
	s_cbranch_execz .LBB2169_117
; %bb.112:
	s_mov_b32 s36, 0
	v_mov_b32_e32 v11, v10
.LBB2169_113:                           ; =>This Inner Loop Header: Depth=1
	s_add_i32 s37, s36, 0x84
	s_add_i32 s36, s36, 8
	s_cmp_lg_u32 s36, 32
	scratch_store_dwordx2 off, v[10:11], s37
	s_cbranch_scc1 .LBB2169_113
; %bb.114:
	s_mov_b32 s36, 0
.LBB2169_115:                           ; =>This Inner Loop Header: Depth=1
	s_add_i32 s37, s36, 0
	s_add_i32 s40, s36, 0x60
	scratch_load_dwordx2 v[2:3], off, s37
	scratch_load_dwordx2 v[4:5], off, s40
	s_add_i32 s37, s36, 0x84
	s_add_i32 s36, s36, 8
	s_cmp_lg_u32 s36, 32
	s_waitcnt vmcnt(0)
	v_add_u32_e32 v3, v5, v3
	v_add_u32_e32 v2, v4, v2
	scratch_store_dwordx2 off, v[2:3], s37
	s_cbranch_scc1 .LBB2169_115
; %bb.116:
	scratch_load_dwordx4 v[2:5], off, off offset:132
	scratch_load_dwordx4 v[6:9], off, off offset:148
.LBB2169_117:
	s_or_b64 exec, exec, s[12:13]
	v_or_b32_e32 v10, v17, v14
	v_and_b32_e32 v10, 1, v10
	scratch_store_byte off, v10, off offset:128
	scratch_load_dword v14, off, off offset:128
	s_waitcnt vmcnt(3)
	scratch_store_dwordx4 off, v[2:5], off offset:96
	s_waitcnt vmcnt(3)
	scratch_store_dwordx4 off, v[6:9], off offset:112
.LBB2169_118:
	s_or_b64 exec, exec, s[8:9]
	v_mov_b32_dpp v22, v2 row_shr:2 row_mask:0xf bank_mask:0xf
	v_mov_b32_dpp v23, v3 row_shr:2 row_mask:0xf bank_mask:0xf
	v_mov_b32_dpp v24, v4 row_shr:2 row_mask:0xf bank_mask:0xf
	v_mov_b32_dpp v25, v5 row_shr:2 row_mask:0xf bank_mask:0xf
	s_waitcnt vmcnt(2)
	v_mov_b32_dpp v17, v14 row_shr:2 row_mask:0xf bank_mask:0xf
	v_cmp_lt_u32_e32 vcc, 1, v15
	v_mov_b32_dpp v26, v6 row_shr:2 row_mask:0xf bank_mask:0xf
	v_mov_b32_dpp v27, v7 row_shr:2 row_mask:0xf bank_mask:0xf
	;; [unrolled: 1-line block ×4, first 2 shown]
	scratch_store_dwordx4 off, v[22:25], off
	scratch_store_dwordx4 off, v[26:29], off offset:16
	scratch_store_dword off, v17, off offset:32
	s_and_saveexec_b64 s[12:13], vcc
	s_cbranch_execz .LBB2169_126
; %bb.119:
	v_mov_b32_e32 v10, 0
	s_mov_b32 s36, 0
	v_cmp_eq_u16_sdwa s[40:41], v14, v10 src0_sel:BYTE_0 src1_sel:DWORD
	s_and_saveexec_b64 s[8:9], s[40:41]
	s_cbranch_execz .LBB2169_125
; %bb.120:
	v_mov_b32_e32 v11, v10
.LBB2169_121:                           ; =>This Inner Loop Header: Depth=1
	s_add_i32 s37, s36, 0x84
	s_add_i32 s36, s36, 8
	s_cmp_lg_u32 s36, 32
	scratch_store_dwordx2 off, v[10:11], s37
	s_cbranch_scc1 .LBB2169_121
; %bb.122:
	s_mov_b32 s36, 0
.LBB2169_123:                           ; =>This Inner Loop Header: Depth=1
	s_add_i32 s37, s36, 0
	s_add_i32 s40, s36, 0x60
	scratch_load_dwordx2 v[2:3], off, s37
	scratch_load_dwordx2 v[4:5], off, s40
	s_add_i32 s37, s36, 0x84
	s_add_i32 s36, s36, 8
	s_cmp_lg_u32 s36, 32
	s_waitcnt vmcnt(0)
	v_add_u32_e32 v3, v5, v3
	v_add_u32_e32 v2, v4, v2
	scratch_store_dwordx2 off, v[2:3], s37
	s_cbranch_scc1 .LBB2169_123
; %bb.124:
	scratch_load_dwordx4 v[2:5], off, off offset:132
	scratch_load_dwordx4 v[6:9], off, off offset:148
.LBB2169_125:
	s_or_b64 exec, exec, s[8:9]
	v_and_b32_e32 v10, 1, v14
	v_cmp_eq_u32_e32 vcc, 1, v10
	v_and_b32_e32 v10, 1, v17
	v_cmp_eq_u32_e64 s[8:9], 1, v10
	s_or_b64 s[8:9], vcc, s[8:9]
	s_waitcnt vmcnt(1)
	scratch_store_dwordx4 off, v[2:5], off offset:96
	s_waitcnt vmcnt(1)
	scratch_store_dwordx4 off, v[6:9], off offset:112
	v_cndmask_b32_e64 v14, 0, 1, s[8:9]
.LBB2169_126:
	s_or_b64 exec, exec, s[12:13]
	scratch_load_dwordx4 v[2:5], off, off offset:96
	scratch_load_dwordx4 v[6:9], off, off offset:112
	s_waitcnt vmcnt(1)
	ds_write2_b32 v12, v4, v5 offset0:2 offset1:3
	ds_write2_b32 v12, v2, v3 offset1:1
	s_waitcnt vmcnt(0)
	ds_write2_b32 v12, v8, v9 offset0:6 offset1:7
	ds_write2_b32 v12, v6, v7 offset0:4 offset1:5
	ds_write_b8 v12, v14 offset:32
.LBB2169_127:
	s_or_b64 exec, exec, s[10:11]
	s_mov_b32 s8, 0
	s_mov_b32 s9, s8
	v_mov_b32_e32 v2, 0
	s_mov_b32 s10, s8
	s_mov_b32 s11, s8
	v_mov_b64_e32 v[4:5], s[8:9]
	v_mov_b64_e32 v[6:7], s[10:11]
	v_mov_b32_e32 v3, v2
	s_waitcnt lgkmcnt(0)
	s_barrier
	scratch_store_dword off, v2, off offset:32
	scratch_store_dwordx4 off, v[4:7], off offset:16
	scratch_store_dwordx4 off, v[4:7], off
.LBB2169_128:                           ; =>This Inner Loop Header: Depth=1
	s_add_i32 s9, s8, 0
	s_add_i32 s8, s8, 8
	s_cmp_lg_u32 s8, 32
	scratch_store_dwordx2 off, v[2:3], s9
	s_cbranch_scc1 .LBB2169_128
; %bb.129:
	v_cmp_gt_u32_e32 vcc, 64, v16
	v_cmp_lt_u32_e64 s[8:9], 63, v16
                                        ; implicit-def: $vgpr2_vgpr3
                                        ; implicit-def: $vgpr6_vgpr7
                                        ; implicit-def: $vgpr10
	s_and_saveexec_b64 s[10:11], s[8:9]
	s_xor_b64 s[10:11], exec, s[10:11]
	s_cbranch_execz .LBB2169_139
; %bb.130:
	scratch_load_ubyte v11, off, off offset:236
	v_not_b32_e32 v2, 35
	v_mad_u32_u24 v10, v13, 36, v2
	ds_read2_b32 v[2:3], v10 offset0:4 offset1:5
	ds_read2_b32 v[8:9], v10 offset0:2 offset1:3
	ds_read2_b32 v[6:7], v10 offset1:1
	ds_read2_b32 v[4:5], v10 offset0:6 offset1:7
	ds_read_u8 v10, v10 offset:32
	s_waitcnt lgkmcnt(2)
	scratch_store_dwordx4 off, v[6:9], off
	s_waitcnt lgkmcnt(1)
	scratch_store_dwordx4 off, v[2:5], off offset:16
                                        ; implicit-def: $vgpr2_vgpr3
                                        ; implicit-def: $vgpr6_vgpr7
	s_waitcnt vmcnt(2)
	v_cmp_ne_u16_e64 s[8:9], 0, v11
	s_and_saveexec_b64 s[12:13], s[8:9]
	s_xor_b64 s[8:9], exec, s[12:13]
	s_cbranch_execz .LBB2169_132
; %bb.131:
	scratch_load_dwordx4 v[2:5], off, off offset:204
	scratch_load_dwordx4 v[6:9], off, off offset:220
.LBB2169_132:
	s_andn2_saveexec_b64 s[8:9], s[8:9]
	s_cbranch_execz .LBB2169_138
; %bb.133:
	s_waitcnt vmcnt(1)
	v_mov_b32_e32 v2, 0
	s_mov_b32 s12, 0
	v_mov_b32_e32 v3, v2
.LBB2169_134:                           ; =>This Inner Loop Header: Depth=1
	s_add_i32 s13, s12, 0x60
	s_add_i32 s12, s12, 8
	s_cmp_lg_u32 s12, 32
	scratch_store_dwordx2 off, v[2:3], s13
	s_cbranch_scc1 .LBB2169_134
; %bb.135:
	s_mov_b32 s12, 0
.LBB2169_136:                           ; =>This Inner Loop Header: Depth=1
	s_add_i32 s13, s12, 0
	s_add_i32 s36, s12, 0xcc
	scratch_load_dwordx2 v[2:3], off, s13
	scratch_load_dwordx2 v[4:5], off, s36
	s_add_i32 s13, s12, 0x60
	s_add_i32 s12, s12, 8
	s_cmp_lg_u32 s12, 32
	s_waitcnt vmcnt(0)
	v_add_u32_e32 v3, v5, v3
	v_add_u32_e32 v2, v4, v2
	scratch_store_dwordx2 off, v[2:3], s13
	s_cbranch_scc1 .LBB2169_136
; %bb.137:
	scratch_load_dwordx4 v[2:5], off, off offset:96
	scratch_load_dwordx4 v[6:9], off, off offset:112
.LBB2169_138:
	s_or_b64 exec, exec, s[8:9]
	s_waitcnt lgkmcnt(0)
	v_or_b32_e32 v11, v11, v10
	v_and_b32_e32 v11, 1, v11
	scratch_store_byte off, v11, off offset:236
.LBB2169_139:
	s_andn2_saveexec_b64 s[8:9], s[10:11]
	s_cbranch_execz .LBB2169_141
; %bb.140:
	scratch_load_dwordx4 v[2:5], off, off offset:204
	scratch_load_dwordx4 v[6:9], off, off offset:220
	v_mov_b32_e32 v10, 0
.LBB2169_141:
	s_or_b64 exec, exec, s[8:9]
	scratch_load_dword v11, off, off offset:236
	v_add_u32_e32 v12, -1, v1
	v_and_b32_e32 v13, 64, v1
	v_cmp_lt_i32_e64 s[8:9], v12, v13
	s_nop 1
	v_cndmask_b32_e64 v12, v12, v1, s[8:9]
	v_lshlrev_b32_e32 v12, 2, v12
	s_waitcnt vmcnt(2)
	ds_bpermute_b32 v2, v12, v2
	ds_bpermute_b32 v3, v12, v3
	;; [unrolled: 1-line block ×4, first 2 shown]
	s_waitcnt vmcnt(1)
	ds_bpermute_b32 v6, v12, v6
	ds_bpermute_b32 v7, v12, v7
	;; [unrolled: 1-line block ×4, first 2 shown]
	v_cmp_eq_u32_e64 s[8:9], 0, v1
	s_waitcnt vmcnt(0)
	ds_bpermute_b32 v11, v12, v11
	s_waitcnt lgkmcnt(5)
	scratch_store_dwordx4 off, v[2:5], off offset:204
	s_waitcnt lgkmcnt(1)
	scratch_store_dwordx4 off, v[6:9], off offset:220
	s_waitcnt lgkmcnt(0)
	scratch_store_byte off, v11, off offset:236
	s_and_saveexec_b64 s[10:11], s[8:9]
	s_cbranch_execz .LBB2169_143
; %bb.142:
	scratch_load_dwordx4 v[2:5], off, off
	scratch_load_dwordx4 v[6:9], off, off offset:16
	s_waitcnt vmcnt(1)
	scratch_store_dwordx4 off, v[2:5], off offset:204
	s_waitcnt vmcnt(1)
	scratch_store_dwordx4 off, v[6:9], off offset:220
	scratch_store_byte off, v10, off offset:236
.LBB2169_143:
	s_or_b64 exec, exec, s[10:11]
	s_and_saveexec_b64 s[12:13], vcc
	s_cbranch_execz .LBB2169_284
; %bb.144:
	v_mov_b32_e32 v10, 0
	ds_read2_b32 v[2:3], v10 offset0:27 offset1:28
	ds_read2_b32 v[4:5], v10 offset0:29 offset1:30
	;; [unrolled: 1-line block ×4, first 2 shown]
	ds_read_b32 v11, v10 offset:140
	s_waitcnt lgkmcnt(3)
	scratch_store_dwordx4 off, v[2:5], off offset:168
	s_waitcnt lgkmcnt(1)
	scratch_store_dwordx4 off, v[6:9], off offset:184
	s_waitcnt lgkmcnt(0)
	scratch_store_dword off, v11, off offset:200
	s_and_saveexec_b64 s[10:11], s[8:9]
	s_cbranch_execz .LBB2169_146
; %bb.145:
	v_lshrrev_b32_e32 v12, 8, v11
	s_movk_i32 s36, 0xff
	v_mov_b32_e32 v15, 8
	s_add_i32 s40, s33, 64
	v_and_b32_sdwa v14, v11, s36 dst_sel:DWORD dst_unused:UNUSED_PAD src0_sel:WORD_1 src1_sel:DWORD
	v_lshlrev_b32_sdwa v12, v15, v12 dst_sel:DWORD dst_unused:UNUSED_PAD src0_sel:DWORD src1_sel:BYTE_0
	s_mul_i32 s36, s40, 36
	v_lshrrev_b32_e32 v13, 24, v11
	v_or_b32_sdwa v11, v12, v11 dst_sel:DWORD dst_unused:UNUSED_PAD src0_sel:DWORD src1_sel:BYTE_0
	v_lshlrev_b32_e32 v12, 16, v14
	s_mul_hi_u32 s37, s40, 36
	s_add_u32 s36, s16, s36
	v_or_b32_e32 v11, v11, v12
	v_lshlrev_b32_e32 v12, 24, v13
	s_addc_u32 s37, s17, s37
	v_or_b32_e32 v11, v11, v12
	global_store_dword v10, v2, s[36:37] sc1
	global_store_dword v10, v3, s[36:37] offset:4 sc1
	global_store_dword v10, v4, s[36:37] offset:8 sc1
	;; [unrolled: 1-line block ×8, first 2 shown]
	v_mov_b32_e32 v2, s40
	v_mov_b32_e32 v3, 1
	s_waitcnt vmcnt(0)
	global_store_byte v2, v3, s[20:21] sc1
.LBB2169_146:
	s_or_b64 exec, exec, s[10:11]
	s_mov_b32 s40, 0
	s_mov_b32 s41, s40
	;; [unrolled: 1-line block ×4, first 2 shown]
	v_mov_b64_e32 v[2:3], s[40:41]
	v_mov_b64_e32 v[4:5], s[42:43]
	v_mov_b32_e32 v11, v10
	scratch_store_dword off, v10, off offset:164
	scratch_store_dwordx4 off, v[2:5], off offset:148
	scratch_store_dwordx4 off, v[2:5], off offset:132
.LBB2169_147:                           ; =>This Inner Loop Header: Depth=1
	s_add_i32 s10, s40, 0x84
	s_add_i32 s40, s40, 8
	s_cmp_lg_u32 s40, 32
	scratch_store_dwordx2 off, v[10:11], s10
	s_cbranch_scc1 .LBB2169_147
; %bb.148:
	v_mov_b32_e32 v3, 0
	v_xad_u32 v10, v1, -1, s33
	scratch_store_byte off, v3, off offset:164
	v_add_u32_e32 v2, 64, v10
	global_load_ubyte v17, v2, s[20:21] sc1
	s_waitcnt vmcnt(0)
	v_cmp_eq_u16_e32 vcc, 0, v17
	s_and_saveexec_b64 s[10:11], vcc
	s_cbranch_execz .LBB2169_154
; %bb.149:
	v_lshl_add_u64 v[4:5], s[20:21], 0, v[2:3]
	s_mov_b32 s40, 1
	s_mov_b64 s[36:37], 0
.LBB2169_150:                           ; =>This Loop Header: Depth=1
                                        ;     Child Loop BB2169_151 Depth 2
	s_max_u32 s41, s40, 1
.LBB2169_151:                           ;   Parent Loop BB2169_150 Depth=1
                                        ; =>  This Inner Loop Header: Depth=2
	s_add_i32 s41, s41, -1
	s_cmp_eq_u32 s41, 0
	s_sleep 1
	s_cbranch_scc0 .LBB2169_151
; %bb.152:                              ;   in Loop: Header=BB2169_150 Depth=1
	global_load_ubyte v17, v[4:5], off sc1
	s_cmp_lt_u32 s40, 32
	s_cselect_b64 s[42:43], -1, 0
	s_cmp_lg_u64 s[42:43], 0
	s_addc_u32 s40, s40, 0
	s_waitcnt vmcnt(0)
	v_cmp_ne_u16_e32 vcc, 0, v17
	s_or_b64 s[36:37], vcc, s[36:37]
	s_andn2_b64 exec, exec, s[36:37]
	s_cbranch_execnz .LBB2169_150
; %bb.153:
	s_or_b64 exec, exec, s[36:37]
.LBB2169_154:
	s_or_b64 exec, exec, s[10:11]
	v_mov_b32_e32 v3, s19
	v_mov_b32_e32 v4, s17
	v_cmp_eq_u16_e32 vcc, 1, v17
	s_waitcnt vmcnt(0)
	s_nop 0
	v_cndmask_b32_e32 v5, v3, v4, vcc
	v_mov_b32_e32 v3, s18
	v_mov_b32_e32 v4, s16
	v_cndmask_b32_e32 v4, v3, v4, vcc
	v_mad_u64_u32 v[12:13], s[10:11], v2, 36, v[4:5]
	global_load_dword v2, v[12:13], off sc1
	global_load_dword v3, v[12:13], off offset:4 sc1
	global_load_dword v4, v[12:13], off offset:8 sc1
	;; [unrolled: 1-line block ×8, first 2 shown]
	v_mov_b32_e32 v12, 0
	s_mov_b32 s10, 0
	v_mov_b32_e32 v13, v12
	scratch_store_dword off, v12, off offset:32
	s_waitcnt vmcnt(6)
	scratch_store_dwordx4 off, v[2:5], off offset:132
	s_waitcnt vmcnt(3)
	scratch_store_dwordx4 off, v[6:9], off offset:148
	s_waitcnt vmcnt(3)
	scratch_store_byte off, v11, off offset:164
.LBB2169_155:                           ; =>This Inner Loop Header: Depth=1
	s_add_i32 s11, s10, 0
	s_add_i32 s10, s10, 8
	s_cmp_lg_u32 s10, 32
	scratch_store_dwordx2 off, v[12:13], s11
	s_cbranch_scc1 .LBB2169_155
; %bb.156:
	scratch_load_dword v32, off, off offset:164
	v_lshlrev_b64 v[12:13], v1, -1
	v_cmp_eq_u16_e32 vcc, 2, v17
	v_and_b32_e32 v18, 63, v1
	s_nop 0
	v_and_b32_e32 v11, vcc_hi, v13
	v_and_b32_e32 v14, vcc_lo, v12
	v_cmp_ne_u32_e32 vcc, 63, v18
	v_or_b32_e32 v11, 0x80000000, v11
	v_ffbl_b32_e32 v11, v11
	v_addc_co_u32_e32 v15, vcc, 0, v1, vcc
	v_lshlrev_b32_e32 v19, 2, v15
	ds_bpermute_b32 v24, v19, v2
	ds_bpermute_b32 v25, v19, v3
	;; [unrolled: 1-line block ×8, first 2 shown]
	v_add_u32_e32 v11, 32, v11
	v_ffbl_b32_e32 v14, v14
	v_min_u32_e32 v11, v14, v11
	v_cmp_lt_u32_e32 vcc, v18, v11
	s_waitcnt lgkmcnt(4)
	scratch_store_dwordx4 off, v[24:27], off
	s_waitcnt lgkmcnt(0)
	scratch_store_dwordx4 off, v[28:31], off offset:16
	s_waitcnt vmcnt(2)
	ds_bpermute_b32 v22, v19, v32
	s_and_saveexec_b64 s[10:11], vcc
	s_cbranch_execz .LBB2169_164
; %bb.157:
	v_mov_b32_e32 v14, 0
	v_cmp_eq_u16_sdwa s[40:41], v32, v14 src0_sel:BYTE_0 src1_sel:DWORD
	s_and_saveexec_b64 s[36:37], s[40:41]
	s_cbranch_execz .LBB2169_163
; %bb.158:
	s_mov_b32 s40, 0
	v_mov_b32_e32 v15, v14
.LBB2169_159:                           ; =>This Inner Loop Header: Depth=1
	s_add_i32 s41, s40, 0x60
	s_add_i32 s40, s40, 8
	s_cmp_lg_u32 s40, 32
	scratch_store_dwordx2 off, v[14:15], s41
	s_cbranch_scc1 .LBB2169_159
; %bb.160:
	s_mov_b32 s40, 0
.LBB2169_161:                           ; =>This Inner Loop Header: Depth=1
	s_add_i32 s41, s40, 0
	s_add_i32 s42, s40, 0x84
	scratch_load_dwordx2 v[2:3], off, s41
	scratch_load_dwordx2 v[4:5], off, s42
	s_add_i32 s41, s40, 0x60
	s_add_i32 s40, s40, 8
	s_cmp_lg_u32 s40, 32
	s_waitcnt vmcnt(0)
	v_add_u32_e32 v3, v5, v3
	v_add_u32_e32 v2, v4, v2
	scratch_store_dwordx2 off, v[2:3], s41
	s_cbranch_scc1 .LBB2169_161
; %bb.162:
	scratch_load_dwordx4 v[2:5], off, off offset:96
	scratch_load_dwordx4 v[6:9], off, off offset:112
.LBB2169_163:
	s_or_b64 exec, exec, s[36:37]
	s_waitcnt lgkmcnt(0)
	v_or_b32_e32 v14, v22, v32
	v_and_b32_e32 v14, 1, v14
	scratch_store_byte off, v14, off offset:164
	scratch_load_dword v32, off, off offset:164
	s_waitcnt vmcnt(3)
	scratch_store_dwordx4 off, v[2:5], off offset:132
	s_waitcnt vmcnt(3)
	scratch_store_dwordx4 off, v[6:9], off offset:148
.LBB2169_164:
	s_or_b64 exec, exec, s[10:11]
	v_cmp_gt_u32_e32 vcc, 62, v18
	v_add_u32_e32 v23, 2, v18
	s_nop 0
	v_cndmask_b32_e64 v14, 0, 1, vcc
	v_lshlrev_b32_e32 v14, 1, v14
	s_waitcnt lgkmcnt(0)
	v_add_lshl_u32 v22, v14, v1, 2
	ds_bpermute_b32 v26, v22, v2
	ds_bpermute_b32 v27, v22, v3
	;; [unrolled: 1-line block ×4, first 2 shown]
	s_waitcnt vmcnt(2)
	ds_bpermute_b32 v24, v22, v32
	ds_bpermute_b32 v34, v22, v6
	;; [unrolled: 1-line block ×5, first 2 shown]
	v_cmp_le_u32_e32 vcc, v23, v11
	s_waitcnt lgkmcnt(5)
	scratch_store_dwordx4 off, v[26:29], off
	s_waitcnt lgkmcnt(0)
	scratch_store_dwordx4 off, v[34:37], off offset:16
	s_and_saveexec_b64 s[36:37], vcc
	s_cbranch_execz .LBB2169_172
; %bb.165:
	v_mov_b32_e32 v14, 0
	s_mov_b32 s40, 0
	v_cmp_eq_u16_sdwa s[42:43], v32, v14 src0_sel:BYTE_0 src1_sel:DWORD
	s_and_saveexec_b64 s[10:11], s[42:43]
	s_cbranch_execz .LBB2169_171
; %bb.166:
	v_mov_b32_e32 v15, v14
.LBB2169_167:                           ; =>This Inner Loop Header: Depth=1
	s_add_i32 s41, s40, 0x60
	s_add_i32 s40, s40, 8
	s_cmp_lg_u32 s40, 32
	scratch_store_dwordx2 off, v[14:15], s41
	s_cbranch_scc1 .LBB2169_167
; %bb.168:
	s_mov_b32 s40, 0
.LBB2169_169:                           ; =>This Inner Loop Header: Depth=1
	s_add_i32 s41, s40, 0
	s_add_i32 s42, s40, 0x84
	scratch_load_dwordx2 v[2:3], off, s41
	scratch_load_dwordx2 v[4:5], off, s42
	s_add_i32 s41, s40, 0x60
	s_add_i32 s40, s40, 8
	s_cmp_lg_u32 s40, 32
	s_waitcnt vmcnt(0)
	v_add_u32_e32 v3, v5, v3
	v_add_u32_e32 v2, v4, v2
	scratch_store_dwordx2 off, v[2:3], s41
	s_cbranch_scc1 .LBB2169_169
; %bb.170:
	scratch_load_dwordx4 v[2:5], off, off offset:96
	scratch_load_dwordx4 v[6:9], off, off offset:112
.LBB2169_171:
	s_or_b64 exec, exec, s[10:11]
	v_and_b32_e32 v14, 1, v32
	v_cmp_eq_u32_e32 vcc, 1, v14
	v_and_b32_e32 v14, 1, v24
	v_cmp_eq_u32_e64 s[10:11], 1, v14
	s_or_b64 s[10:11], vcc, s[10:11]
	s_nop 0
	v_cndmask_b32_e64 v14, 0, 1, s[10:11]
	scratch_store_byte off, v14, off offset:164
	scratch_load_dword v32, off, off offset:164
	s_waitcnt vmcnt(3)
	scratch_store_dwordx4 off, v[2:5], off offset:132
	s_waitcnt vmcnt(3)
	scratch_store_dwordx4 off, v[6:9], off offset:148
.LBB2169_172:
	s_or_b64 exec, exec, s[36:37]
	v_cmp_gt_u32_e32 vcc, 60, v18
	v_add_u32_e32 v25, 4, v18
	s_nop 0
	v_cndmask_b32_e64 v14, 0, 1, vcc
	v_lshlrev_b32_e32 v14, 2, v14
	v_add_lshl_u32 v24, v14, v1, 2
	ds_bpermute_b32 v28, v24, v2
	ds_bpermute_b32 v29, v24, v3
	;; [unrolled: 1-line block ×4, first 2 shown]
	s_waitcnt vmcnt(2)
	ds_bpermute_b32 v26, v24, v32
	ds_bpermute_b32 v34, v24, v6
	;; [unrolled: 1-line block ×5, first 2 shown]
	v_cmp_le_u32_e32 vcc, v25, v11
	s_waitcnt lgkmcnt(5)
	scratch_store_dwordx4 off, v[28:31], off
	s_waitcnt lgkmcnt(0)
	scratch_store_dwordx4 off, v[34:37], off offset:16
	s_and_saveexec_b64 s[36:37], vcc
	s_cbranch_execz .LBB2169_180
; %bb.173:
	v_mov_b32_e32 v14, 0
	s_mov_b32 s40, 0
	v_cmp_eq_u16_sdwa s[42:43], v32, v14 src0_sel:BYTE_0 src1_sel:DWORD
	s_and_saveexec_b64 s[10:11], s[42:43]
	s_cbranch_execz .LBB2169_179
; %bb.174:
	v_mov_b32_e32 v15, v14
.LBB2169_175:                           ; =>This Inner Loop Header: Depth=1
	s_add_i32 s41, s40, 0x60
	s_add_i32 s40, s40, 8
	s_cmp_lg_u32 s40, 32
	scratch_store_dwordx2 off, v[14:15], s41
	s_cbranch_scc1 .LBB2169_175
; %bb.176:
	s_mov_b32 s40, 0
.LBB2169_177:                           ; =>This Inner Loop Header: Depth=1
	s_add_i32 s41, s40, 0
	s_add_i32 s42, s40, 0x84
	scratch_load_dwordx2 v[2:3], off, s41
	scratch_load_dwordx2 v[4:5], off, s42
	s_add_i32 s41, s40, 0x60
	s_add_i32 s40, s40, 8
	s_cmp_lg_u32 s40, 32
	s_waitcnt vmcnt(0)
	v_add_u32_e32 v3, v5, v3
	v_add_u32_e32 v2, v4, v2
	scratch_store_dwordx2 off, v[2:3], s41
	s_cbranch_scc1 .LBB2169_177
; %bb.178:
	scratch_load_dwordx4 v[2:5], off, off offset:96
	scratch_load_dwordx4 v[6:9], off, off offset:112
.LBB2169_179:
	s_or_b64 exec, exec, s[10:11]
	v_and_b32_e32 v14, 1, v32
	v_cmp_eq_u32_e32 vcc, 1, v14
	v_and_b32_e32 v14, 1, v26
	v_cmp_eq_u32_e64 s[10:11], 1, v14
	s_or_b64 s[10:11], vcc, s[10:11]
	s_nop 0
	v_cndmask_b32_e64 v14, 0, 1, s[10:11]
	scratch_store_byte off, v14, off offset:164
	scratch_load_dword v32, off, off offset:164
	s_waitcnt vmcnt(3)
	scratch_store_dwordx4 off, v[2:5], off offset:132
	s_waitcnt vmcnt(3)
	scratch_store_dwordx4 off, v[6:9], off offset:148
.LBB2169_180:
	s_or_b64 exec, exec, s[36:37]
	v_cmp_gt_u32_e32 vcc, 56, v18
	v_add_u32_e32 v27, 8, v18
	s_nop 0
	v_cndmask_b32_e64 v14, 0, 1, vcc
	v_lshlrev_b32_e32 v14, 3, v14
	v_add_lshl_u32 v26, v14, v1, 2
	ds_bpermute_b32 v34, v26, v2
	ds_bpermute_b32 v35, v26, v3
	;; [unrolled: 1-line block ×4, first 2 shown]
	s_waitcnt vmcnt(2)
	ds_bpermute_b32 v28, v26, v32
	ds_bpermute_b32 v38, v26, v6
	;; [unrolled: 1-line block ×5, first 2 shown]
	v_cmp_le_u32_e32 vcc, v27, v11
	s_waitcnt lgkmcnt(5)
	scratch_store_dwordx4 off, v[34:37], off
	s_waitcnt lgkmcnt(0)
	scratch_store_dwordx4 off, v[38:41], off offset:16
	s_and_saveexec_b64 s[36:37], vcc
	s_cbranch_execz .LBB2169_188
; %bb.181:
	v_mov_b32_e32 v14, 0
	s_mov_b32 s40, 0
	v_cmp_eq_u16_sdwa s[42:43], v32, v14 src0_sel:BYTE_0 src1_sel:DWORD
	s_and_saveexec_b64 s[10:11], s[42:43]
	s_cbranch_execz .LBB2169_187
; %bb.182:
	v_mov_b32_e32 v15, v14
.LBB2169_183:                           ; =>This Inner Loop Header: Depth=1
	s_add_i32 s41, s40, 0x60
	s_add_i32 s40, s40, 8
	s_cmp_lg_u32 s40, 32
	scratch_store_dwordx2 off, v[14:15], s41
	s_cbranch_scc1 .LBB2169_183
; %bb.184:
	s_mov_b32 s40, 0
.LBB2169_185:                           ; =>This Inner Loop Header: Depth=1
	s_add_i32 s41, s40, 0
	s_add_i32 s42, s40, 0x84
	scratch_load_dwordx2 v[2:3], off, s41
	scratch_load_dwordx2 v[4:5], off, s42
	s_add_i32 s41, s40, 0x60
	s_add_i32 s40, s40, 8
	s_cmp_lg_u32 s40, 32
	s_waitcnt vmcnt(0)
	v_add_u32_e32 v3, v5, v3
	v_add_u32_e32 v2, v4, v2
	scratch_store_dwordx2 off, v[2:3], s41
	s_cbranch_scc1 .LBB2169_185
; %bb.186:
	scratch_load_dwordx4 v[2:5], off, off offset:96
	scratch_load_dwordx4 v[6:9], off, off offset:112
.LBB2169_187:
	s_or_b64 exec, exec, s[10:11]
	v_and_b32_e32 v14, 1, v32
	v_cmp_eq_u32_e32 vcc, 1, v14
	v_and_b32_e32 v14, 1, v28
	v_cmp_eq_u32_e64 s[10:11], 1, v14
	s_or_b64 s[10:11], vcc, s[10:11]
	s_nop 0
	v_cndmask_b32_e64 v14, 0, 1, s[10:11]
	scratch_store_byte off, v14, off offset:164
	scratch_load_dword v32, off, off offset:164
	s_waitcnt vmcnt(3)
	scratch_store_dwordx4 off, v[2:5], off offset:132
	s_waitcnt vmcnt(3)
	scratch_store_dwordx4 off, v[6:9], off offset:148
.LBB2169_188:
	s_or_b64 exec, exec, s[36:37]
	v_cmp_gt_u32_e32 vcc, 48, v18
	v_add_u32_e32 v29, 16, v18
	s_nop 0
	v_cndmask_b32_e64 v14, 0, 1, vcc
	v_lshlrev_b32_e32 v14, 4, v14
	v_add_lshl_u32 v28, v14, v1, 2
	ds_bpermute_b32 v34, v28, v2
	ds_bpermute_b32 v35, v28, v3
	;; [unrolled: 1-line block ×4, first 2 shown]
	s_waitcnt vmcnt(2)
	ds_bpermute_b32 v30, v28, v32
	ds_bpermute_b32 v38, v28, v6
	;; [unrolled: 1-line block ×5, first 2 shown]
	v_cmp_le_u32_e32 vcc, v29, v11
	s_waitcnt lgkmcnt(5)
	scratch_store_dwordx4 off, v[34:37], off
	s_waitcnt lgkmcnt(0)
	scratch_store_dwordx4 off, v[38:41], off offset:16
	s_and_saveexec_b64 s[36:37], vcc
	s_cbranch_execz .LBB2169_196
; %bb.189:
	v_mov_b32_e32 v14, 0
	s_mov_b32 s40, 0
	v_cmp_eq_u16_sdwa s[42:43], v32, v14 src0_sel:BYTE_0 src1_sel:DWORD
	s_and_saveexec_b64 s[10:11], s[42:43]
	s_cbranch_execz .LBB2169_195
; %bb.190:
	v_mov_b32_e32 v15, v14
.LBB2169_191:                           ; =>This Inner Loop Header: Depth=1
	s_add_i32 s41, s40, 0x60
	s_add_i32 s40, s40, 8
	s_cmp_lg_u32 s40, 32
	scratch_store_dwordx2 off, v[14:15], s41
	s_cbranch_scc1 .LBB2169_191
; %bb.192:
	s_mov_b32 s40, 0
.LBB2169_193:                           ; =>This Inner Loop Header: Depth=1
	s_add_i32 s41, s40, 0
	s_add_i32 s42, s40, 0x84
	scratch_load_dwordx2 v[2:3], off, s41
	scratch_load_dwordx2 v[4:5], off, s42
	s_add_i32 s41, s40, 0x60
	s_add_i32 s40, s40, 8
	s_cmp_lg_u32 s40, 32
	s_waitcnt vmcnt(0)
	v_add_u32_e32 v3, v5, v3
	v_add_u32_e32 v2, v4, v2
	scratch_store_dwordx2 off, v[2:3], s41
	s_cbranch_scc1 .LBB2169_193
; %bb.194:
	scratch_load_dwordx4 v[2:5], off, off offset:96
	scratch_load_dwordx4 v[6:9], off, off offset:112
.LBB2169_195:
	s_or_b64 exec, exec, s[10:11]
	v_and_b32_e32 v14, 1, v32
	v_cmp_eq_u32_e32 vcc, 1, v14
	v_and_b32_e32 v14, 1, v30
	v_cmp_eq_u32_e64 s[10:11], 1, v14
	s_or_b64 s[10:11], vcc, s[10:11]
	s_nop 0
	v_cndmask_b32_e64 v14, 0, 1, s[10:11]
	scratch_store_byte off, v14, off offset:164
	scratch_load_dword v32, off, off offset:164
	s_waitcnt vmcnt(3)
	scratch_store_dwordx4 off, v[2:5], off offset:132
	s_waitcnt vmcnt(3)
	scratch_store_dwordx4 off, v[6:9], off offset:148
.LBB2169_196:
	s_or_b64 exec, exec, s[36:37]
	v_cmp_gt_u32_e32 vcc, 32, v18
	v_add_u32_e32 v31, 32, v18
	s_nop 0
	v_cndmask_b32_e64 v14, 0, 1, vcc
	v_lshlrev_b32_e32 v14, 5, v14
	v_add_lshl_u32 v30, v14, v1, 2
	ds_bpermute_b32 v34, v30, v2
	ds_bpermute_b32 v35, v30, v3
	;; [unrolled: 1-line block ×4, first 2 shown]
	s_waitcnt vmcnt(2)
	ds_bpermute_b32 v1, v30, v32
	ds_bpermute_b32 v38, v30, v6
	;; [unrolled: 1-line block ×5, first 2 shown]
	v_cmp_le_u32_e32 vcc, v31, v11
	s_waitcnt lgkmcnt(5)
	scratch_store_dwordx4 off, v[34:37], off
	s_waitcnt lgkmcnt(0)
	scratch_store_dwordx4 off, v[38:41], off offset:16
	s_and_saveexec_b64 s[36:37], vcc
	s_cbranch_execz .LBB2169_204
; %bb.197:
	v_mov_b32_e32 v14, 0
	s_mov_b32 s40, 0
	v_cmp_eq_u16_sdwa s[42:43], v32, v14 src0_sel:BYTE_0 src1_sel:DWORD
	s_and_saveexec_b64 s[10:11], s[42:43]
	s_cbranch_execz .LBB2169_203
; %bb.198:
	v_mov_b32_e32 v15, v14
.LBB2169_199:                           ; =>This Inner Loop Header: Depth=1
	s_add_i32 s41, s40, 0x60
	s_add_i32 s40, s40, 8
	s_cmp_lg_u32 s40, 32
	scratch_store_dwordx2 off, v[14:15], s41
	s_cbranch_scc1 .LBB2169_199
; %bb.200:
	s_mov_b32 s40, 0
.LBB2169_201:                           ; =>This Inner Loop Header: Depth=1
	s_add_i32 s41, s40, 0
	s_add_i32 s42, s40, 0x84
	scratch_load_dwordx2 v[2:3], off, s41
	scratch_load_dwordx2 v[4:5], off, s42
	s_add_i32 s41, s40, 0x60
	s_add_i32 s40, s40, 8
	s_cmp_lg_u32 s40, 32
	s_waitcnt vmcnt(0)
	v_add_u32_e32 v3, v5, v3
	v_add_u32_e32 v2, v4, v2
	scratch_store_dwordx2 off, v[2:3], s41
	s_cbranch_scc1 .LBB2169_201
; %bb.202:
	scratch_load_dwordx4 v[2:5], off, off offset:96
	scratch_load_dwordx4 v[6:9], off, off offset:112
.LBB2169_203:
	s_or_b64 exec, exec, s[10:11]
	v_and_b32_e32 v11, 1, v32
	v_and_b32_e32 v1, 1, v1
	v_cmp_eq_u32_e32 vcc, 1, v11
	v_cmp_eq_u32_e64 s[10:11], 1, v1
	s_or_b64 s[10:11], vcc, s[10:11]
	s_nop 0
	v_cndmask_b32_e64 v1, 0, 1, s[10:11]
	s_waitcnt vmcnt(1)
	scratch_store_dwordx4 off, v[2:5], off offset:132
	s_waitcnt vmcnt(1)
	scratch_store_dwordx4 off, v[6:9], off offset:148
	scratch_store_byte off, v1, off offset:164
.LBB2169_204:
	s_or_b64 exec, exec, s[36:37]
	scratch_load_dwordx4 v[2:5], off, off offset:132
	scratch_load_dwordx4 v[32:35], off, off offset:148
	scratch_load_dword v1, off, off offset:164
	s_load_dwordx2 s[0:1], s[0:1], 0x4
	v_bfe_u32 v6, v0, 10, 10
	v_bfe_u32 v0, v0, 20, 10
	v_mov_b32_e32 v7, 0x6000
	v_mov_b32_e32 v8, 0
	s_waitcnt lgkmcnt(0)
	s_lshr_b32 s0, s0, 16
	s_mul_i32 s0, s0, s1
	v_mul_u32_u24_e32 v6, s1, v6
	v_mul_lo_u32 v9, s0, v16
	v_add3_u32 v0, v9, v6, v0
	v_lshl_add_u32 v14, v0, 5, v7
	v_mov_b32_e32 v15, 2
	s_waitcnt vmcnt(2)
	scratch_store_dwordx4 off, v[2:5], off offset:96
	s_waitcnt vmcnt(2)
	scratch_store_dwordx4 off, v[32:35], off offset:112
	s_waitcnt vmcnt(2)
	scratch_store_dword off, v1, off offset:128
	s_branch .LBB2169_206
.LBB2169_205:                           ;   in Loop: Header=BB2169_206 Depth=1
	s_or_b64 exec, exec, s[10:11]
	v_and_b32_e32 v9, 1, v11
	v_cmp_eq_u32_e32 vcc, 1, v9
	s_or_b64 s[0:1], vcc, s[0:1]
	v_subrev_u32_e32 v10, 64, v10
	v_cndmask_b32_e64 v9, 0, 1, s[0:1]
	s_waitcnt vmcnt(1)
	scratch_store_dwordx4 off, v[0:3], off offset:96
	s_waitcnt vmcnt(1)
	scratch_store_dwordx4 off, v[4:7], off offset:112
	scratch_store_byte off, v9, off offset:128
.LBB2169_206:                           ; =>This Loop Header: Depth=1
                                        ;     Child Loop BB2169_209 Depth 2
                                        ;       Child Loop BB2169_210 Depth 3
                                        ;     Child Loop BB2169_214 Depth 2
                                        ;     Child Loop BB2169_218 Depth 2
	;; [unrolled: 1-line block ×15, first 2 shown]
	v_cmp_ne_u16_sdwa s[0:1], v17, v15 src0_sel:BYTE_0 src1_sel:DWORD
	s_nop 1
	v_cndmask_b32_e64 v0, 0, 1, s[0:1]
	;;#ASMSTART
	;;#ASMEND
	s_nop 0
	v_cmp_ne_u32_e32 vcc, 0, v0
	s_cmp_lg_u64 vcc, exec
	s_cbranch_scc1 .LBB2169_271
; %bb.207:                              ;   in Loop: Header=BB2169_206 Depth=1
	global_load_ubyte v17, v10, s[20:21] sc1
	v_mov_b32_e32 v11, v8
	s_waitcnt vmcnt(0)
	v_cmp_eq_u16_e32 vcc, 0, v17
	s_and_saveexec_b64 s[0:1], vcc
	s_cbranch_execz .LBB2169_213
; %bb.208:                              ;   in Loop: Header=BB2169_206 Depth=1
	v_lshl_add_u64 v[0:1], s[20:21], 0, v[10:11]
	s_mov_b32 s36, 1
	s_mov_b64 s[10:11], 0
.LBB2169_209:                           ;   Parent Loop BB2169_206 Depth=1
                                        ; =>  This Loop Header: Depth=2
                                        ;       Child Loop BB2169_210 Depth 3
	s_max_u32 s37, s36, 1
.LBB2169_210:                           ;   Parent Loop BB2169_206 Depth=1
                                        ;     Parent Loop BB2169_209 Depth=2
                                        ; =>    This Inner Loop Header: Depth=3
	s_add_i32 s37, s37, -1
	s_cmp_eq_u32 s37, 0
	s_sleep 1
	s_cbranch_scc0 .LBB2169_210
; %bb.211:                              ;   in Loop: Header=BB2169_209 Depth=2
	global_load_ubyte v17, v[0:1], off sc1
	s_cmp_lt_u32 s36, 32
	s_cselect_b64 s[40:41], -1, 0
	s_cmp_lg_u64 s[40:41], 0
	s_addc_u32 s36, s36, 0
	s_waitcnt vmcnt(0)
	v_cmp_ne_u16_e32 vcc, 0, v17
	s_or_b64 s[10:11], vcc, s[10:11]
	s_andn2_b64 exec, exec, s[10:11]
	s_cbranch_execnz .LBB2169_209
; %bb.212:                              ;   in Loop: Header=BB2169_206 Depth=1
	s_or_b64 exec, exec, s[10:11]
.LBB2169_213:                           ;   in Loop: Header=BB2169_206 Depth=1
	s_or_b64 exec, exec, s[0:1]
	v_mov_b32_e32 v0, s19
	v_mov_b32_e32 v1, s17
	v_cmp_eq_u16_e32 vcc, 1, v17
	v_mov_b32_e32 v2, s16
	s_waitcnt vmcnt(0)
	v_cndmask_b32_e32 v1, v0, v1, vcc
	v_mov_b32_e32 v0, s18
	v_cndmask_b32_e32 v0, v0, v2, vcc
	v_mad_u64_u32 v[32:33], s[0:1], v10, 36, v[0:1]
	global_load_dword v0, v[32:33], off sc1
	global_load_dword v1, v[32:33], off offset:4 sc1
	global_load_dword v2, v[32:33], off offset:8 sc1
	;; [unrolled: 1-line block ×8, first 2 shown]
	s_mov_b32 s0, 0
	scratch_store_dword off, v8, off offset:32
	s_waitcnt vmcnt(6)
	scratch_store_dwordx4 off, v[0:3], off offset:132
	s_waitcnt vmcnt(3)
	scratch_store_dwordx4 off, v[4:7], off offset:148
	s_waitcnt vmcnt(3)
	scratch_store_byte off, v9, off offset:164
.LBB2169_214:                           ;   Parent Loop BB2169_206 Depth=1
                                        ; =>  This Inner Loop Header: Depth=2
	s_add_i32 s1, s0, 0
	s_add_i32 s0, s0, 8
	v_mov_b32_e32 v9, v8
	s_cmp_lg_u32 s0, 32
	scratch_store_dwordx2 off, v[8:9], s1
	s_cbranch_scc1 .LBB2169_214
; %bb.215:                              ;   in Loop: Header=BB2169_206 Depth=1
	scratch_load_dword v11, off, off offset:164
	v_cmp_eq_u16_e32 vcc, 2, v17
	ds_bpermute_b32 v34, v19, v0
	ds_bpermute_b32 v35, v19, v1
	v_and_b32_e32 v9, vcc_hi, v13
	v_and_b32_e32 v32, vcc_lo, v12
	v_or_b32_e32 v9, 0x80000000, v9
	ds_bpermute_b32 v36, v19, v2
	ds_bpermute_b32 v37, v19, v3
	v_ffbl_b32_e32 v33, v32
	v_ffbl_b32_e32 v9, v9
	ds_bpermute_b32 v38, v19, v4
	ds_bpermute_b32 v39, v19, v5
	;; [unrolled: 1-line block ×4, first 2 shown]
	v_add_u32_e32 v9, 32, v9
	v_min_u32_e32 v9, v33, v9
	v_cmp_lt_u32_e32 vcc, v18, v9
	s_waitcnt lgkmcnt(4)
	scratch_store_dwordx4 off, v[34:37], off
	s_waitcnt lgkmcnt(0)
	scratch_store_dwordx4 off, v[38:41], off offset:16
	s_waitcnt vmcnt(2)
	ds_bpermute_b32 v32, v19, v11
	s_and_saveexec_b64 s[0:1], vcc
	s_cbranch_execz .LBB2169_223
; %bb.216:                              ;   in Loop: Header=BB2169_206 Depth=1
	v_cmp_eq_u16_sdwa s[36:37], v11, v8 src0_sel:BYTE_0 src1_sel:DWORD
	s_and_saveexec_b64 s[10:11], s[36:37]
	s_cbranch_execz .LBB2169_222
; %bb.217:                              ;   in Loop: Header=BB2169_206 Depth=1
	s_mov_b32 s36, 0
.LBB2169_218:                           ;   Parent Loop BB2169_206 Depth=1
                                        ; =>  This Inner Loop Header: Depth=2
	v_add_u32_e32 v0, s36, v14
	s_add_i32 s36, s36, 8
	s_cmp_lg_u32 s36, 32
	ds_write2_b32 v0, v8, v8 offset1:1
	s_cbranch_scc1 .LBB2169_218
; %bb.219:                              ;   in Loop: Header=BB2169_206 Depth=1
	s_mov_b32 s36, 0
.LBB2169_220:                           ;   Parent Loop BB2169_206 Depth=1
                                        ; =>  This Inner Loop Header: Depth=2
	s_add_i32 s37, s36, 0
	s_add_i32 s40, s36, 0x84
	scratch_load_dwordx2 v[0:1], off, s37
	scratch_load_dwordx2 v[2:3], off, s40
	v_add_u32_e32 v4, s36, v14
	s_add_i32 s36, s36, 8
	s_cmp_lg_u32 s36, 32
	s_waitcnt vmcnt(0)
	v_add_u32_e32 v1, v3, v1
	v_add_u32_e32 v0, v2, v0
	ds_write2_b32 v4, v0, v1 offset1:1
	s_cbranch_scc1 .LBB2169_220
; %bb.221:                              ;   in Loop: Header=BB2169_206 Depth=1
	ds_read2_b32 v[0:1], v14 offset1:1
	ds_read2_b32 v[2:3], v14 offset0:2 offset1:3
	ds_read2_b32 v[4:5], v14 offset0:4 offset1:5
	;; [unrolled: 1-line block ×3, first 2 shown]
.LBB2169_222:                           ;   in Loop: Header=BB2169_206 Depth=1
	s_or_b64 exec, exec, s[10:11]
	s_waitcnt lgkmcnt(0)
	v_or_b32_e32 v11, v32, v11
	v_and_b32_e32 v11, 1, v11
	scratch_store_byte off, v11, off offset:164
	scratch_load_dword v11, off, off offset:164
	s_nop 0
	scratch_store_dwordx4 off, v[0:3], off offset:132
	scratch_store_dwordx4 off, v[4:7], off offset:148
.LBB2169_223:                           ;   in Loop: Header=BB2169_206 Depth=1
	s_or_b64 exec, exec, s[0:1]
	ds_bpermute_b32 v34, v22, v0
	ds_bpermute_b32 v35, v22, v1
	;; [unrolled: 1-line block ×4, first 2 shown]
	s_waitcnt vmcnt(2) lgkmcnt(4)
	ds_bpermute_b32 v32, v22, v11
	ds_bpermute_b32 v38, v22, v4
	;; [unrolled: 1-line block ×5, first 2 shown]
	v_cmp_le_u32_e32 vcc, v23, v9
	s_waitcnt lgkmcnt(5)
	scratch_store_dwordx4 off, v[34:37], off
	s_waitcnt lgkmcnt(0)
	scratch_store_dwordx4 off, v[38:41], off offset:16
	s_and_saveexec_b64 s[10:11], vcc
	s_cbranch_execz .LBB2169_231
; %bb.224:                              ;   in Loop: Header=BB2169_206 Depth=1
	v_cmp_eq_u16_sdwa s[36:37], v11, v8 src0_sel:BYTE_0 src1_sel:DWORD
	s_and_saveexec_b64 s[0:1], s[36:37]
	s_cbranch_execz .LBB2169_230
; %bb.225:                              ;   in Loop: Header=BB2169_206 Depth=1
	s_mov_b32 s36, 0
.LBB2169_226:                           ;   Parent Loop BB2169_206 Depth=1
                                        ; =>  This Inner Loop Header: Depth=2
	v_add_u32_e32 v0, s36, v14
	s_add_i32 s36, s36, 8
	s_cmp_lg_u32 s36, 32
	ds_write2_b32 v0, v8, v8 offset1:1
	s_cbranch_scc1 .LBB2169_226
; %bb.227:                              ;   in Loop: Header=BB2169_206 Depth=1
	s_mov_b32 s36, 0
.LBB2169_228:                           ;   Parent Loop BB2169_206 Depth=1
                                        ; =>  This Inner Loop Header: Depth=2
	s_add_i32 s37, s36, 0
	s_add_i32 s40, s36, 0x84
	scratch_load_dwordx2 v[0:1], off, s37
	scratch_load_dwordx2 v[2:3], off, s40
	v_add_u32_e32 v4, s36, v14
	s_add_i32 s36, s36, 8
	s_cmp_lg_u32 s36, 32
	s_waitcnt vmcnt(0)
	v_add_u32_e32 v1, v3, v1
	v_add_u32_e32 v0, v2, v0
	ds_write2_b32 v4, v0, v1 offset1:1
	s_cbranch_scc1 .LBB2169_228
; %bb.229:                              ;   in Loop: Header=BB2169_206 Depth=1
	ds_read2_b32 v[0:1], v14 offset1:1
	ds_read2_b32 v[2:3], v14 offset0:2 offset1:3
	ds_read2_b32 v[4:5], v14 offset0:4 offset1:5
	;; [unrolled: 1-line block ×3, first 2 shown]
.LBB2169_230:                           ;   in Loop: Header=BB2169_206 Depth=1
	s_or_b64 exec, exec, s[0:1]
	v_and_b32_e32 v11, 1, v11
	v_cmp_eq_u32_e32 vcc, 1, v11
	v_and_b32_e32 v11, 1, v32
	v_cmp_eq_u32_e64 s[0:1], 1, v11
	s_or_b64 s[0:1], vcc, s[0:1]
	s_nop 0
	v_cndmask_b32_e64 v11, 0, 1, s[0:1]
	scratch_store_byte off, v11, off offset:164
	scratch_load_dword v11, off, off offset:164
	s_waitcnt lgkmcnt(2)
	scratch_store_dwordx4 off, v[0:3], off offset:132
	s_waitcnt lgkmcnt(0)
	scratch_store_dwordx4 off, v[4:7], off offset:148
.LBB2169_231:                           ;   in Loop: Header=BB2169_206 Depth=1
	s_or_b64 exec, exec, s[10:11]
	ds_bpermute_b32 v34, v24, v0
	ds_bpermute_b32 v35, v24, v1
	;; [unrolled: 1-line block ×4, first 2 shown]
	s_waitcnt vmcnt(2)
	ds_bpermute_b32 v32, v24, v11
	ds_bpermute_b32 v38, v24, v4
	;; [unrolled: 1-line block ×5, first 2 shown]
	v_cmp_le_u32_e32 vcc, v25, v9
	s_waitcnt lgkmcnt(5)
	scratch_store_dwordx4 off, v[34:37], off
	s_waitcnt lgkmcnt(0)
	scratch_store_dwordx4 off, v[38:41], off offset:16
	s_and_saveexec_b64 s[10:11], vcc
	s_cbranch_execz .LBB2169_239
; %bb.232:                              ;   in Loop: Header=BB2169_206 Depth=1
	v_cmp_eq_u16_sdwa s[36:37], v11, v8 src0_sel:BYTE_0 src1_sel:DWORD
	s_and_saveexec_b64 s[0:1], s[36:37]
	s_cbranch_execz .LBB2169_238
; %bb.233:                              ;   in Loop: Header=BB2169_206 Depth=1
	s_mov_b32 s36, 0
.LBB2169_234:                           ;   Parent Loop BB2169_206 Depth=1
                                        ; =>  This Inner Loop Header: Depth=2
	v_add_u32_e32 v0, s36, v14
	s_add_i32 s36, s36, 8
	s_cmp_lg_u32 s36, 32
	ds_write2_b32 v0, v8, v8 offset1:1
	s_cbranch_scc1 .LBB2169_234
; %bb.235:                              ;   in Loop: Header=BB2169_206 Depth=1
	s_mov_b32 s36, 0
.LBB2169_236:                           ;   Parent Loop BB2169_206 Depth=1
                                        ; =>  This Inner Loop Header: Depth=2
	s_add_i32 s37, s36, 0
	s_add_i32 s40, s36, 0x84
	scratch_load_dwordx2 v[0:1], off, s37
	scratch_load_dwordx2 v[2:3], off, s40
	v_add_u32_e32 v4, s36, v14
	s_add_i32 s36, s36, 8
	s_cmp_lg_u32 s36, 32
	s_waitcnt vmcnt(0)
	v_add_u32_e32 v1, v3, v1
	v_add_u32_e32 v0, v2, v0
	ds_write2_b32 v4, v0, v1 offset1:1
	s_cbranch_scc1 .LBB2169_236
; %bb.237:                              ;   in Loop: Header=BB2169_206 Depth=1
	ds_read2_b32 v[0:1], v14 offset1:1
	ds_read2_b32 v[2:3], v14 offset0:2 offset1:3
	ds_read2_b32 v[4:5], v14 offset0:4 offset1:5
	;; [unrolled: 1-line block ×3, first 2 shown]
.LBB2169_238:                           ;   in Loop: Header=BB2169_206 Depth=1
	s_or_b64 exec, exec, s[0:1]
	v_and_b32_e32 v11, 1, v11
	v_cmp_eq_u32_e32 vcc, 1, v11
	v_and_b32_e32 v11, 1, v32
	v_cmp_eq_u32_e64 s[0:1], 1, v11
	s_or_b64 s[0:1], vcc, s[0:1]
	s_nop 0
	v_cndmask_b32_e64 v11, 0, 1, s[0:1]
	scratch_store_byte off, v11, off offset:164
	scratch_load_dword v11, off, off offset:164
	s_waitcnt lgkmcnt(2)
	scratch_store_dwordx4 off, v[0:3], off offset:132
	s_waitcnt lgkmcnt(0)
	scratch_store_dwordx4 off, v[4:7], off offset:148
.LBB2169_239:                           ;   in Loop: Header=BB2169_206 Depth=1
	s_or_b64 exec, exec, s[10:11]
	ds_bpermute_b32 v34, v26, v0
	ds_bpermute_b32 v35, v26, v1
	;; [unrolled: 1-line block ×4, first 2 shown]
	s_waitcnt vmcnt(2)
	ds_bpermute_b32 v32, v26, v11
	ds_bpermute_b32 v38, v26, v4
	;; [unrolled: 1-line block ×5, first 2 shown]
	v_cmp_le_u32_e32 vcc, v27, v9
	s_waitcnt lgkmcnt(5)
	scratch_store_dwordx4 off, v[34:37], off
	s_waitcnt lgkmcnt(0)
	scratch_store_dwordx4 off, v[38:41], off offset:16
	s_and_saveexec_b64 s[10:11], vcc
	s_cbranch_execz .LBB2169_247
; %bb.240:                              ;   in Loop: Header=BB2169_206 Depth=1
	v_cmp_eq_u16_sdwa s[36:37], v11, v8 src0_sel:BYTE_0 src1_sel:DWORD
	s_and_saveexec_b64 s[0:1], s[36:37]
	s_cbranch_execz .LBB2169_246
; %bb.241:                              ;   in Loop: Header=BB2169_206 Depth=1
	s_mov_b32 s36, 0
.LBB2169_242:                           ;   Parent Loop BB2169_206 Depth=1
                                        ; =>  This Inner Loop Header: Depth=2
	v_add_u32_e32 v0, s36, v14
	s_add_i32 s36, s36, 8
	s_cmp_lg_u32 s36, 32
	ds_write2_b32 v0, v8, v8 offset1:1
	s_cbranch_scc1 .LBB2169_242
; %bb.243:                              ;   in Loop: Header=BB2169_206 Depth=1
	s_mov_b32 s36, 0
.LBB2169_244:                           ;   Parent Loop BB2169_206 Depth=1
                                        ; =>  This Inner Loop Header: Depth=2
	s_add_i32 s37, s36, 0
	s_add_i32 s40, s36, 0x84
	scratch_load_dwordx2 v[0:1], off, s37
	scratch_load_dwordx2 v[2:3], off, s40
	v_add_u32_e32 v4, s36, v14
	s_add_i32 s36, s36, 8
	s_cmp_lg_u32 s36, 32
	s_waitcnt vmcnt(0)
	v_add_u32_e32 v1, v3, v1
	v_add_u32_e32 v0, v2, v0
	ds_write2_b32 v4, v0, v1 offset1:1
	s_cbranch_scc1 .LBB2169_244
; %bb.245:                              ;   in Loop: Header=BB2169_206 Depth=1
	ds_read2_b32 v[0:1], v14 offset1:1
	ds_read2_b32 v[2:3], v14 offset0:2 offset1:3
	ds_read2_b32 v[4:5], v14 offset0:4 offset1:5
	;; [unrolled: 1-line block ×3, first 2 shown]
.LBB2169_246:                           ;   in Loop: Header=BB2169_206 Depth=1
	s_or_b64 exec, exec, s[0:1]
	v_and_b32_e32 v11, 1, v11
	v_cmp_eq_u32_e32 vcc, 1, v11
	v_and_b32_e32 v11, 1, v32
	v_cmp_eq_u32_e64 s[0:1], 1, v11
	s_or_b64 s[0:1], vcc, s[0:1]
	s_nop 0
	v_cndmask_b32_e64 v11, 0, 1, s[0:1]
	scratch_store_byte off, v11, off offset:164
	scratch_load_dword v11, off, off offset:164
	s_waitcnt lgkmcnt(2)
	scratch_store_dwordx4 off, v[0:3], off offset:132
	s_waitcnt lgkmcnt(0)
	scratch_store_dwordx4 off, v[4:7], off offset:148
.LBB2169_247:                           ;   in Loop: Header=BB2169_206 Depth=1
	s_or_b64 exec, exec, s[10:11]
	ds_bpermute_b32 v34, v28, v0
	ds_bpermute_b32 v35, v28, v1
	ds_bpermute_b32 v36, v28, v2
	ds_bpermute_b32 v37, v28, v3
	s_waitcnt vmcnt(2)
	ds_bpermute_b32 v32, v28, v11
	ds_bpermute_b32 v38, v28, v4
	;; [unrolled: 1-line block ×5, first 2 shown]
	v_cmp_le_u32_e32 vcc, v29, v9
	s_waitcnt lgkmcnt(5)
	scratch_store_dwordx4 off, v[34:37], off
	s_waitcnt lgkmcnt(0)
	scratch_store_dwordx4 off, v[38:41], off offset:16
	s_and_saveexec_b64 s[10:11], vcc
	s_cbranch_execz .LBB2169_255
; %bb.248:                              ;   in Loop: Header=BB2169_206 Depth=1
	v_cmp_eq_u16_sdwa s[36:37], v11, v8 src0_sel:BYTE_0 src1_sel:DWORD
	s_and_saveexec_b64 s[0:1], s[36:37]
	s_cbranch_execz .LBB2169_254
; %bb.249:                              ;   in Loop: Header=BB2169_206 Depth=1
	s_mov_b32 s36, 0
.LBB2169_250:                           ;   Parent Loop BB2169_206 Depth=1
                                        ; =>  This Inner Loop Header: Depth=2
	v_add_u32_e32 v0, s36, v14
	s_add_i32 s36, s36, 8
	s_cmp_lg_u32 s36, 32
	ds_write2_b32 v0, v8, v8 offset1:1
	s_cbranch_scc1 .LBB2169_250
; %bb.251:                              ;   in Loop: Header=BB2169_206 Depth=1
	s_mov_b32 s36, 0
.LBB2169_252:                           ;   Parent Loop BB2169_206 Depth=1
                                        ; =>  This Inner Loop Header: Depth=2
	s_add_i32 s37, s36, 0
	s_add_i32 s40, s36, 0x84
	scratch_load_dwordx2 v[0:1], off, s37
	scratch_load_dwordx2 v[2:3], off, s40
	v_add_u32_e32 v4, s36, v14
	s_add_i32 s36, s36, 8
	s_cmp_lg_u32 s36, 32
	s_waitcnt vmcnt(0)
	v_add_u32_e32 v1, v3, v1
	v_add_u32_e32 v0, v2, v0
	ds_write2_b32 v4, v0, v1 offset1:1
	s_cbranch_scc1 .LBB2169_252
; %bb.253:                              ;   in Loop: Header=BB2169_206 Depth=1
	ds_read2_b32 v[0:1], v14 offset1:1
	ds_read2_b32 v[2:3], v14 offset0:2 offset1:3
	ds_read2_b32 v[4:5], v14 offset0:4 offset1:5
	;; [unrolled: 1-line block ×3, first 2 shown]
.LBB2169_254:                           ;   in Loop: Header=BB2169_206 Depth=1
	s_or_b64 exec, exec, s[0:1]
	v_and_b32_e32 v11, 1, v11
	v_cmp_eq_u32_e32 vcc, 1, v11
	v_and_b32_e32 v11, 1, v32
	v_cmp_eq_u32_e64 s[0:1], 1, v11
	s_or_b64 s[0:1], vcc, s[0:1]
	s_nop 0
	v_cndmask_b32_e64 v11, 0, 1, s[0:1]
	scratch_store_byte off, v11, off offset:164
	scratch_load_dword v11, off, off offset:164
	s_waitcnt lgkmcnt(2)
	scratch_store_dwordx4 off, v[0:3], off offset:132
	s_waitcnt lgkmcnt(0)
	scratch_store_dwordx4 off, v[4:7], off offset:148
.LBB2169_255:                           ;   in Loop: Header=BB2169_206 Depth=1
	s_or_b64 exec, exec, s[10:11]
	ds_bpermute_b32 v34, v30, v0
	ds_bpermute_b32 v35, v30, v1
	;; [unrolled: 1-line block ×4, first 2 shown]
	s_waitcnt vmcnt(2)
	ds_bpermute_b32 v32, v30, v11
	ds_bpermute_b32 v38, v30, v4
	;; [unrolled: 1-line block ×5, first 2 shown]
	v_cmp_le_u32_e32 vcc, v31, v9
	v_and_b32_e32 v9, 1, v11
	v_cmp_eq_u32_e64 s[0:1], 1, v9
	s_waitcnt lgkmcnt(5)
	scratch_store_dwordx4 off, v[34:37], off
	s_waitcnt lgkmcnt(0)
	scratch_store_dwordx4 off, v[38:41], off offset:16
	s_and_saveexec_b64 s[10:11], vcc
	s_cbranch_execz .LBB2169_263
; %bb.256:                              ;   in Loop: Header=BB2169_206 Depth=1
	v_cmp_eq_u16_sdwa s[40:41], v11, v8 src0_sel:BYTE_0 src1_sel:DWORD
	s_and_saveexec_b64 s[36:37], s[40:41]
	s_cbranch_execz .LBB2169_262
; %bb.257:                              ;   in Loop: Header=BB2169_206 Depth=1
	s_mov_b32 s40, 0
.LBB2169_258:                           ;   Parent Loop BB2169_206 Depth=1
                                        ; =>  This Inner Loop Header: Depth=2
	v_add_u32_e32 v0, s40, v14
	s_add_i32 s40, s40, 8
	s_cmp_lg_u32 s40, 32
	ds_write2_b32 v0, v8, v8 offset1:1
	s_cbranch_scc1 .LBB2169_258
; %bb.259:                              ;   in Loop: Header=BB2169_206 Depth=1
	s_mov_b32 s40, 0
.LBB2169_260:                           ;   Parent Loop BB2169_206 Depth=1
                                        ; =>  This Inner Loop Header: Depth=2
	s_add_i32 s41, s40, 0
	s_add_i32 s42, s40, 0x84
	scratch_load_dwordx2 v[0:1], off, s41
	scratch_load_dwordx2 v[2:3], off, s42
	v_add_u32_e32 v4, s40, v14
	s_add_i32 s40, s40, 8
	s_cmp_lg_u32 s40, 32
	s_waitcnt vmcnt(0)
	v_add_u32_e32 v1, v3, v1
	v_add_u32_e32 v0, v2, v0
	ds_write2_b32 v4, v0, v1 offset1:1
	s_cbranch_scc1 .LBB2169_260
; %bb.261:                              ;   in Loop: Header=BB2169_206 Depth=1
	ds_read2_b32 v[0:1], v14 offset1:1
	ds_read2_b32 v[2:3], v14 offset0:2 offset1:3
	ds_read2_b32 v[4:5], v14 offset0:4 offset1:5
	ds_read2_b32 v[6:7], v14 offset0:6 offset1:7
.LBB2169_262:                           ;   in Loop: Header=BB2169_206 Depth=1
	s_or_b64 exec, exec, s[36:37]
	v_and_b32_e32 v9, 1, v32
	v_cmp_eq_u32_e32 vcc, 1, v9
	s_or_b64 s[36:37], s[0:1], vcc
	v_cndmask_b32_e64 v9, 0, 1, s[36:37]
	s_andn2_b64 s[0:1], s[0:1], exec
	s_and_b64 s[36:37], s[36:37], exec
	s_or_b64 s[0:1], s[0:1], s[36:37]
	s_waitcnt lgkmcnt(2)
	scratch_store_dwordx4 off, v[0:3], off offset:132
	s_waitcnt lgkmcnt(0)
	scratch_store_dwordx4 off, v[4:7], off offset:148
	scratch_store_byte off, v9, off offset:164
.LBB2169_263:                           ;   in Loop: Header=BB2169_206 Depth=1
	s_or_b64 exec, exec, s[10:11]
	scratch_load_ubyte v11, off, off offset:128
                                        ; implicit-def: $vgpr6_vgpr7
                                        ; implicit-def: $vgpr2_vgpr3
	s_waitcnt vmcnt(0)
	v_cmp_ne_u16_e32 vcc, 0, v11
	s_and_saveexec_b64 s[10:11], vcc
	s_xor_b64 s[10:11], exec, s[10:11]
	s_cbranch_execz .LBB2169_265
; %bb.264:                              ;   in Loop: Header=BB2169_206 Depth=1
	scratch_load_dwordx4 v[0:3], off, off offset:96
	scratch_load_dwordx4 v[4:7], off, off offset:112
.LBB2169_265:                           ;   in Loop: Header=BB2169_206 Depth=1
	s_andn2_saveexec_b64 s[10:11], s[10:11]
	s_cbranch_execz .LBB2169_205
; %bb.266:                              ;   in Loop: Header=BB2169_206 Depth=1
	s_mov_b32 s36, 0
.LBB2169_267:                           ;   Parent Loop BB2169_206 Depth=1
                                        ; =>  This Inner Loop Header: Depth=2
	s_add_i32 s37, s36, 0
	s_add_i32 s36, s36, 8
	v_mov_b32_e32 v9, v8
	s_cmp_lg_u32 s36, 32
	scratch_store_dwordx2 off, v[8:9], s37
	s_cbranch_scc1 .LBB2169_267
; %bb.268:                              ;   in Loop: Header=BB2169_206 Depth=1
	s_mov_b32 s36, 0
.LBB2169_269:                           ;   Parent Loop BB2169_206 Depth=1
                                        ; =>  This Inner Loop Header: Depth=2
	s_add_i32 s37, s36, 0x84
	s_add_i32 s40, s36, 0x60
	scratch_load_dwordx2 v[0:1], off, s37
	scratch_load_dwordx2 v[2:3], off, s40
	s_add_i32 s37, s36, 0
	s_add_i32 s36, s36, 8
	s_cmp_lg_u32 s36, 32
	s_waitcnt vmcnt(0)
	v_add_u32_e32 v1, v3, v1
	v_add_u32_e32 v0, v2, v0
	scratch_store_dwordx2 off, v[0:1], s37
	s_cbranch_scc1 .LBB2169_269
; %bb.270:                              ;   in Loop: Header=BB2169_206 Depth=1
	scratch_load_dwordx4 v[0:3], off, off
	scratch_load_dwordx4 v[4:7], off, off offset:16
	s_branch .LBB2169_205
.LBB2169_271:                           ;   in Loop: Header=BB2169_206 Depth=1
                                        ; implicit-def: $vgpr10
                                        ; implicit-def: $vgpr17
	s_cbranch_execz .LBB2169_206
; %bb.272:
	scratch_load_dwordx4 v[4:7], off, off offset:96
	scratch_load_dwordx4 v[0:3], off, off offset:112
	scratch_load_dword v15, off, off offset:128
	s_waitcnt vmcnt(2)
	scratch_store_dwordx4 off, v[4:7], off
	s_waitcnt vmcnt(2)
	scratch_store_dwordx4 off, v[0:3], off offset:16
	s_waitcnt vmcnt(2)
	scratch_store_dword off, v15, off offset:32
	s_and_saveexec_b64 s[0:1], s[8:9]
	s_cbranch_execz .LBB2169_282
; %bb.273:
	scratch_load_ubyte v17, off, off offset:200
                                        ; implicit-def: $vgpr18_vgpr19
                                        ; implicit-def: $vgpr8_vgpr9
                                        ; implicit-def: $vgpr22
                                        ; implicit-def: $vgpr12
	s_waitcnt vmcnt(0)
	v_cmp_ne_u16_e32 vcc, 0, v17
	s_and_saveexec_b64 s[8:9], vcc
	s_xor_b64 s[8:9], exec, s[8:9]
	s_cbranch_execz .LBB2169_275
; %bb.274:
	scratch_load_dwordx3 v[12:14], off, off offset:168
	scratch_load_dwordx4 v[8:11], off, off offset:180
	scratch_load_dword v22, off, off offset:196
	s_waitcnt vmcnt(2)
	v_mov_b32_e32 v18, v13
	v_mov_b32_e32 v19, v14
.LBB2169_275:
	s_andn2_saveexec_b64 s[8:9], s[8:9]
	s_cbranch_execz .LBB2169_281
; %bb.276:
	s_waitcnt vmcnt(1)
	v_mov_b32_e32 v8, 0
	s_mov_b32 s10, 0
	v_mov_b32_e32 v9, v8
.LBB2169_277:                           ; =>This Inner Loop Header: Depth=1
	s_add_i32 s11, s10, 0x60
	s_add_i32 s10, s10, 8
	s_cmp_lg_u32 s10, 32
	scratch_store_dwordx2 off, v[8:9], s11
	s_cbranch_scc1 .LBB2169_277
; %bb.278:
	s_mov_b32 s10, 0
.LBB2169_279:                           ; =>This Inner Loop Header: Depth=1
	s_add_i32 s11, s10, 0
	s_add_i32 s16, s10, 0xa8
	scratch_load_dwordx2 v[8:9], off, s11
	scratch_load_dwordx2 v[10:11], off, s16
	s_add_i32 s11, s10, 0x60
	s_add_i32 s10, s10, 8
	s_cmp_lg_u32 s10, 32
	s_waitcnt vmcnt(0)
	v_add_u32_e32 v9, v11, v9
	v_add_u32_e32 v8, v10, v8
	scratch_store_dwordx2 off, v[8:9], s11
	s_cbranch_scc1 .LBB2169_279
; %bb.280:
	scratch_load_dwordx3 v[12:14], off, off offset:96
	scratch_load_dwordx4 v[8:11], off, off offset:108
	scratch_load_dword v22, off, off offset:124
	s_waitcnt vmcnt(2)
	v_mov_b32_e32 v18, v13
	v_mov_b32_e32 v19, v14
.LBB2169_281:
	s_or_b64 exec, exec, s[8:9]
	s_add_i32 s10, s33, 64
	v_and_b32_e32 v13, 1, v17
	s_mul_i32 s8, s10, 36
	v_and_b32_e32 v14, 1, v15
	v_cmp_eq_u32_e32 vcc, 1, v13
	s_mul_hi_u32 s9, s10, 36
	s_add_u32 s8, s18, s8
	v_cndmask_b32_e64 v13, v14, 1, vcc
	s_addc_u32 s9, s19, s9
	v_mov_b32_e32 v14, 0
	global_store_dword v14, v12, s[8:9] sc1
	global_store_dword v14, v18, s[8:9] offset:4 sc1
	global_store_dword v14, v19, s[8:9] offset:8 sc1
	s_waitcnt vmcnt(4)
	global_store_dword v14, v8, s[8:9] offset:12 sc1
	global_store_dword v14, v9, s[8:9] offset:16 sc1
	;; [unrolled: 1-line block ×4, first 2 shown]
	s_waitcnt vmcnt(7)
	global_store_dword v14, v22, s[8:9] offset:28 sc1
	global_store_dword v14, v13, s[8:9] offset:32 sc1
	v_mov_b32_e32 v8, s10
	v_mov_b32_e32 v9, 2
	s_waitcnt vmcnt(0)
	global_store_byte v8, v9, s[20:21] sc1
.LBB2169_282:
	s_or_b64 exec, exec, s[0:1]
	s_and_b64 exec, exec, s[6:7]
	s_cbranch_execz .LBB2169_284
; %bb.283:
	v_mov_b32_e32 v8, 0
	ds_write2_b32 v8, v4, v5 offset0:27 offset1:28
	ds_write2_b32 v8, v6, v7 offset0:29 offset1:30
	;; [unrolled: 1-line block ×4, first 2 shown]
	ds_write_b8 v8, v15 offset:140
.LBB2169_284:
	s_or_b64 exec, exec, s[12:13]
	s_waitcnt lgkmcnt(0)
	s_barrier
	scratch_load_dwordx4 v[0:3], off, off offset:272
	scratch_load_dwordx4 v[4:7], off, off offset:288
	scratch_load_dword v8, off, off offset:304
	v_mov_b32_e32 v9, 0
	ds_read2_b32 v[10:11], v9 offset0:27 offset1:28
	ds_read2_b32 v[12:13], v9 offset0:29 offset1:30
	;; [unrolled: 1-line block ×4, first 2 shown]
	ds_read_b32 v9, v9 offset:140
	s_waitcnt lgkmcnt(3)
	scratch_store_dwordx4 off, v[10:13], off
	s_waitcnt lgkmcnt(1)
	scratch_store_dwordx4 off, v[22:25], off offset:16
	s_waitcnt lgkmcnt(0)
	scratch_store_dword off, v9, off offset:32
	scratch_store_dwordx4 off, v[10:13], off offset:132
	scratch_store_dwordx4 off, v[22:25], off offset:148
	s_waitcnt vmcnt(7)
	scratch_store_dwordx4 off, v[0:3], off offset:96
	s_waitcnt vmcnt(7)
	;; [unrolled: 2-line block ×3, first 2 shown]
	scratch_store_dword off, v8, off offset:128
	scratch_store_dword off, v9, off offset:164
                                        ; implicit-def: $vgpr8
	s_and_saveexec_b64 s[0:1], s[4:5]
	s_xor_b64 s[0:1], exec, s[0:1]
	s_cbranch_execz .LBB2169_294
; %bb.285:
	scratch_load_ubyte v8, off, off offset:236
                                        ; implicit-def: $vgpr6_vgpr7
                                        ; implicit-def: $vgpr2_vgpr3
	s_waitcnt vmcnt(0)
	v_cmp_ne_u16_e32 vcc, 0, v8
	s_and_saveexec_b64 s[8:9], vcc
	s_xor_b64 s[8:9], exec, s[8:9]
	s_cbranch_execz .LBB2169_287
; %bb.286:
	scratch_load_dwordx4 v[0:3], off, off offset:204
	scratch_load_dwordx4 v[4:7], off, off offset:220
.LBB2169_287:
	s_andn2_saveexec_b64 s[8:9], s[8:9]
	s_cbranch_execz .LBB2169_293
; %bb.288:
	s_waitcnt vmcnt(1)
	v_mov_b32_e32 v0, 0
	s_mov_b32 s10, 0
	v_mov_b32_e32 v1, v0
.LBB2169_289:                           ; =>This Inner Loop Header: Depth=1
	s_add_i32 s11, s10, 0xa8
	s_add_i32 s10, s10, 8
	s_cmp_lg_u32 s10, 32
	scratch_store_dwordx2 off, v[0:1], s11
	s_cbranch_scc1 .LBB2169_289
; %bb.290:
	s_mov_b32 s10, 0
.LBB2169_291:                           ; =>This Inner Loop Header: Depth=1
	s_add_i32 s11, s10, 0
	s_add_i32 s12, s10, 0xcc
	scratch_load_dwordx2 v[0:1], off, s11
	scratch_load_dwordx2 v[2:3], off, s12
	s_add_i32 s11, s10, 0xa8
	s_add_i32 s10, s10, 8
	s_cmp_lg_u32 s10, 32
	s_waitcnt vmcnt(0)
	v_add_u32_e32 v1, v3, v1
	v_add_u32_e32 v0, v2, v0
	scratch_store_dwordx2 off, v[0:1], s11
	s_cbranch_scc1 .LBB2169_291
; %bb.292:
	scratch_load_dwordx4 v[0:3], off, off offset:168
	scratch_load_dwordx4 v[4:7], off, off offset:184
.LBB2169_293:
	s_or_b64 exec, exec, s[8:9]
	v_or_b32_e32 v8, v8, v9
	v_and_b32_e32 v8, 1, v8
	s_waitcnt vmcnt(1)
	scratch_store_dwordx4 off, v[0:3], off offset:132
	s_waitcnt vmcnt(1)
	scratch_store_dwordx4 off, v[4:7], off offset:148
.LBB2169_294:
	s_andn2_saveexec_b64 s[0:1], s[0:1]
	s_cbranch_execz .LBB2169_296
; %bb.295:
	scratch_load_ubyte v8, off, off offset:164
.LBB2169_296:
	s_or_b64 exec, exec, s[0:1]
	scratch_load_dwordx4 v[0:3], off, off offset:132
	scratch_load_dwordx4 v[4:7], off, off offset:148
	scratch_load_ubyte v9, off, off offset:128
	s_waitcnt vmcnt(3)
	scratch_store_byte off, v8, off offset:304
	s_waitcnt vmcnt(3)
	scratch_store_dwordx4 off, v[0:3], off offset:272
	s_waitcnt vmcnt(3)
	scratch_store_dwordx4 off, v[4:7], off offset:288
	s_waitcnt vmcnt(3)
	v_cmp_ne_u16_e32 vcc, 0, v9
                                        ; implicit-def: $vgpr6_vgpr7
                                        ; implicit-def: $vgpr2_vgpr3
	s_and_saveexec_b64 s[0:1], vcc
	s_xor_b64 s[0:1], exec, s[0:1]
	s_cbranch_execz .LBB2169_298
; %bb.297:
	scratch_load_dwordx4 v[0:3], off, off offset:96
	scratch_load_dwordx4 v[4:7], off, off offset:112
.LBB2169_298:
	s_andn2_saveexec_b64 s[0:1], s[0:1]
	s_cbranch_execz .LBB2169_304
; %bb.299:
	s_waitcnt vmcnt(1)
	v_mov_b32_e32 v0, 0
	s_mov_b32 s8, 0
	v_mov_b32_e32 v1, v0
.LBB2169_300:                           ; =>This Inner Loop Header: Depth=1
	s_add_i32 s9, s8, 0xa8
	s_add_i32 s8, s8, 8
	s_cmp_lg_u32 s8, 32
	scratch_store_dwordx2 off, v[0:1], s9
	s_cbranch_scc1 .LBB2169_300
; %bb.301:
	s_mov_b32 s8, 0
.LBB2169_302:                           ; =>This Inner Loop Header: Depth=1
	s_add_i32 s9, s8, 0x84
	s_add_i32 s10, s8, 0x60
	scratch_load_dwordx2 v[0:1], off, s9
	scratch_load_dwordx2 v[2:3], off, s10
	s_add_i32 s9, s8, 0xa8
	s_add_i32 s8, s8, 8
	s_cmp_lg_u32 s8, 32
	s_waitcnt vmcnt(0)
	v_add_u32_e32 v1, v3, v1
	v_add_u32_e32 v0, v2, v0
	scratch_store_dwordx2 off, v[0:1], s9
	s_cbranch_scc1 .LBB2169_302
; %bb.303:
	scratch_load_dwordx4 v[0:3], off, off offset:168
	scratch_load_dwordx4 v[4:7], off, off offset:184
.LBB2169_304:
	s_or_b64 exec, exec, s[0:1]
	scratch_load_dwordx4 v[12:15], v20, off
	scratch_load_dwordx4 v[22:25], v20, off offset:16
	scratch_load_ubyte v10, off, off offset:340
	v_or_b32_e32 v8, v9, v8
	s_waitcnt vmcnt(4)
	scratch_store_dwordx4 off, v[0:3], off offset:132
	s_waitcnt vmcnt(4)
	scratch_store_dwordx4 off, v[4:7], off offset:148
	scratch_store_dwordx4 v20, v[0:3], off
	scratch_store_dwordx4 v20, v[4:7], off offset:16
                                        ; implicit-def: $vgpr6_vgpr7
                                        ; implicit-def: $vgpr2_vgpr3
	s_waitcnt vmcnt(4)
	v_cmp_ne_u16_e64 s[0:1], 0, v10
	v_and_b32_e32 v0, 1, v8
	v_cmp_eq_u32_e32 vcc, 1, v0
	scratch_store_byte off, v0, off offset:340
	scratch_store_dwordx4 off, v[12:15], off offset:96
	scratch_store_dwordx4 off, v[22:25], off offset:112
	s_and_saveexec_b64 s[8:9], s[0:1]
	s_xor_b64 s[0:1], exec, s[8:9]
	s_cbranch_execz .LBB2169_306
; %bb.305:
	scratch_load_dwordx4 v[0:3], off, off offset:96
	scratch_load_dwordx4 v[4:7], off, off offset:112
.LBB2169_306:
	s_andn2_saveexec_b64 s[0:1], s[0:1]
	s_cbranch_execz .LBB2169_312
; %bb.307:
	s_waitcnt vmcnt(1)
	v_mov_b32_e32 v0, 0
	s_mov_b32 s8, 0
	v_mov_b32_e32 v1, v0
.LBB2169_308:                           ; =>This Inner Loop Header: Depth=1
	s_add_i32 s9, s8, 0xa8
	s_add_i32 s8, s8, 8
	s_cmp_lg_u32 s8, 32
	scratch_store_dwordx2 off, v[0:1], s9
	s_cbranch_scc1 .LBB2169_308
; %bb.309:
	s_mov_b32 s8, 0
.LBB2169_310:                           ; =>This Inner Loop Header: Depth=1
	s_add_i32 s9, s8, 0x84
	s_add_i32 s10, s8, 0x60
	scratch_load_dwordx2 v[0:1], off, s9
	scratch_load_dwordx2 v[2:3], off, s10
	s_add_i32 s9, s8, 0xa8
	s_add_i32 s8, s8, 8
	s_cmp_lg_u32 s8, 32
	s_waitcnt vmcnt(0)
	v_add_u32_e32 v1, v3, v1
	v_add_u32_e32 v0, v2, v0
	scratch_store_dwordx2 off, v[0:1], s9
	s_cbranch_scc1 .LBB2169_310
; %bb.311:
	scratch_load_dwordx4 v[0:3], off, off offset:168
	scratch_load_dwordx4 v[4:7], off, off offset:184
.LBB2169_312:
	s_or_b64 exec, exec, s[0:1]
	v_and_b32_e32 v8, 1, v10
	v_cmp_eq_u32_e64 s[0:1], 1, v8
	s_or_b64 s[0:1], s[0:1], vcc
	s_nop 0
	v_cndmask_b32_e64 v8, 0, 1, s[0:1]
	s_waitcnt vmcnt(1)
	scratch_store_dwordx4 v21, v[0:3], off
	s_waitcnt vmcnt(1)
	scratch_store_dwordx4 v21, v[4:7], off offset:16
	scratch_store_byte off, v8, off offset:376
	s_branch .LBB2169_453
.LBB2169_313:
	s_cbranch_execz .LBB2169_453
; %bb.314:
	s_cmp_lg_u64 s[46:47], 0
	s_cselect_b32 s1, s39, 0
	s_cselect_b32 s0, s38, 0
	s_mov_b32 s8, 0
	s_cmp_eq_u64 s[0:1], 0
	v_mov_b64_e32 v[4:5], s[24:25]
	v_mov_b64_e32 v[6:7], s[26:27]
	;; [unrolled: 1-line block ×4, first 2 shown]
	s_cbranch_scc1 .LBB2169_316
; %bb.315:
	v_mov_b32_e32 v8, 0
	global_load_dwordx4 v[0:3], v8, s[0:1] offset:16
	global_load_dwordx4 v[4:7], v8, s[0:1]
.LBB2169_316:
	s_mov_b32 s10, s8
	s_mov_b32 s11, s8
	v_mov_b32_e32 v8, 0
	s_mov_b32 s9, s8
	v_mov_b64_e32 v[12:13], s[10:11]
	v_mov_b64_e32 v[10:11], s[8:9]
	v_mov_b32_e32 v9, v8
	scratch_store_dword off, v8, off offset:412
	scratch_store_dwordx4 off, v[10:13], off offset:396
	scratch_store_dwordx4 off, v[10:13], off offset:380
.LBB2169_317:                           ; =>This Inner Loop Header: Depth=1
	s_add_i32 s0, s8, 0x17c
	s_add_i32 s8, s8, 8
	s_cmp_lg_u32 s8, 32
	scratch_store_dwordx2 off, v[8:9], s0
	s_cbranch_scc1 .LBB2169_317
; %bb.318:
	scratch_load_dwordx4 v[8:11], off, off offset:272
	scratch_load_dwordx4 v[12:15], off, off offset:288
	scratch_load_dword v17, off, off offset:304
	scratch_load_ubyte v18, off, off offset:340
	v_mov_b32_e32 v19, 0
	s_waitcnt vmcnt(8)
	scratch_store_dwordx4 off, v[4:7], off offset:204
	scratch_store_dwordx4 off, v[0:3], off offset:220
	scratch_store_byte off, v19, off offset:412
	scratch_store_byte off, v19, off offset:236
	s_waitcnt vmcnt(7)
	scratch_store_dwordx4 off, v[8:11], off offset:168
	s_waitcnt vmcnt(7)
	scratch_store_dwordx4 off, v[12:15], off offset:184
	s_waitcnt vmcnt(7)
	scratch_store_dword off, v17, off offset:200
	s_waitcnt vmcnt(7)
	v_cmp_ne_u16_e32 vcc, 0, v18
                                        ; implicit-def: $vgpr14_vgpr15
                                        ; implicit-def: $vgpr10_vgpr11
	s_and_saveexec_b64 s[0:1], vcc
	s_xor_b64 s[0:1], exec, s[0:1]
	s_cbranch_execz .LBB2169_320
; %bb.319:
	scratch_load_dwordx4 v[8:11], off, off offset:308
	scratch_load_dwordx4 v[12:15], off, off offset:324
.LBB2169_320:
	s_andn2_saveexec_b64 s[0:1], s[0:1]
	s_cbranch_execz .LBB2169_326
; %bb.321:
	s_waitcnt vmcnt(1)
	v_mov_b32_e32 v8, 0
	s_mov_b32 s8, 0
	v_mov_b32_e32 v9, v8
.LBB2169_322:                           ; =>This Inner Loop Header: Depth=1
	s_add_i32 s9, s8, 0
	s_add_i32 s8, s8, 8
	s_cmp_lg_u32 s8, 32
	scratch_store_dwordx2 off, v[8:9], s9
	s_cbranch_scc1 .LBB2169_322
; %bb.323:
	s_mov_b32 s8, 0
.LBB2169_324:                           ; =>This Inner Loop Header: Depth=1
	s_add_i32 s9, s8, 0xa8
	s_waitcnt vmcnt(1)
	v_add_u32_e32 v12, s8, v20
	scratch_load_dwordx2 v[8:9], off, s9
	scratch_load_dwordx2 v[10:11], v12, off
	s_add_i32 s9, s8, 0
	s_add_i32 s8, s8, 8
	s_cmp_lg_u32 s8, 32
	s_waitcnt vmcnt(0)
	v_add_u32_e32 v9, v11, v9
	v_add_u32_e32 v8, v10, v8
	scratch_store_dwordx2 off, v[8:9], s9
	s_cbranch_scc1 .LBB2169_324
; %bb.325:
	scratch_load_dwordx4 v[8:11], off, off
	scratch_load_dwordx4 v[12:15], off, off offset:16
.LBB2169_326:
	s_or_b64 exec, exec, s[0:1]
	scratch_load_ubyte v19, off, off offset:376
	s_waitcnt vmcnt(2)
	scratch_store_dwordx4 off, v[8:11], off offset:168
	s_waitcnt vmcnt(2)
	scratch_store_dwordx4 off, v[12:15], off offset:184
                                        ; implicit-def: $vgpr14_vgpr15
                                        ; implicit-def: $vgpr10_vgpr11
	s_waitcnt vmcnt(2)
	v_cmp_ne_u16_e32 vcc, 0, v19
	s_and_saveexec_b64 s[0:1], vcc
	s_xor_b64 s[0:1], exec, s[0:1]
	s_cbranch_execz .LBB2169_328
; %bb.327:
	scratch_load_dwordx4 v[8:11], off, off offset:344
	scratch_load_dwordx4 v[12:15], off, off offset:360
.LBB2169_328:
	s_andn2_saveexec_b64 s[0:1], s[0:1]
	s_cbranch_execz .LBB2169_334
; %bb.329:
	s_waitcnt vmcnt(1)
	v_mov_b32_e32 v8, 0
	s_mov_b32 s8, 0
	v_mov_b32_e32 v9, v8
.LBB2169_330:                           ; =>This Inner Loop Header: Depth=1
	s_add_i32 s9, s8, 0
	s_add_i32 s8, s8, 8
	s_cmp_lg_u32 s8, 32
	scratch_store_dwordx2 off, v[8:9], s9
	s_cbranch_scc1 .LBB2169_330
; %bb.331:
	s_mov_b32 s8, 0
.LBB2169_332:                           ; =>This Inner Loop Header: Depth=1
	s_add_i32 s9, s8, 0xa8
	s_waitcnt vmcnt(1)
	v_add_u32_e32 v12, s8, v21
	scratch_load_dwordx2 v[8:9], off, s9
	scratch_load_dwordx2 v[10:11], v12, off
	s_add_i32 s9, s8, 0
	s_add_i32 s8, s8, 8
	s_cmp_lg_u32 s8, 32
	s_waitcnt vmcnt(0)
	v_add_u32_e32 v9, v11, v9
	v_add_u32_e32 v8, v10, v8
	scratch_store_dwordx2 off, v[8:9], s9
	s_cbranch_scc1 .LBB2169_332
; %bb.333:
	scratch_load_dwordx4 v[8:11], off, off
	scratch_load_dwordx4 v[12:15], off, off offset:16
.LBB2169_334:
	s_or_b64 exec, exec, s[0:1]
	v_or_b32_e32 v18, v19, v18
	v_or_b32_e32 v17, v18, v17
	v_and_b32_e32 v17, 1, v17
	scratch_store_byte off, v17, off offset:200
	scratch_load_dword v22, off, off offset:200
	v_mbcnt_lo_u32_b32 v17, -1, 0
	v_mbcnt_hi_u32_b32 v17, -1, v17
	v_and_b32_e32 v23, 15, v17
	v_mov_b32_e32 v19, 0
	s_waitcnt vmcnt(3)
	v_mov_b32_dpp v24, v8 row_shr:1 row_mask:0xf bank_mask:0xf
	v_mov_b32_dpp v25, v9 row_shr:1 row_mask:0xf bank_mask:0xf
	;; [unrolled: 1-line block ×4, first 2 shown]
	v_cmp_ne_u32_e32 vcc, 0, v23
	scratch_store_dwordx4 off, v[4:7], off offset:132
	scratch_store_dwordx4 off, v[0:3], off offset:148
	;; [unrolled: 1-line block ×3, first 2 shown]
	s_waitcnt vmcnt(5)
	scratch_store_dwordx4 off, v[12:15], off offset:184
	v_mov_b32_dpp v28, v12 row_shr:1 row_mask:0xf bank_mask:0xf
	v_mov_b32_dpp v29, v13 row_shr:1 row_mask:0xf bank_mask:0xf
	;; [unrolled: 1-line block ×4, first 2 shown]
	scratch_store_byte off, v19, off offset:164
	scratch_store_dwordx4 off, v[24:27], off
	scratch_store_dwordx4 off, v[28:31], off offset:16
	s_waitcnt vmcnt(7)
	v_mov_b32_dpp v18, v22 row_shr:1 row_mask:0xf bank_mask:0xf
	scratch_store_dword off, v18, off offset:32
	s_and_saveexec_b64 s[0:1], vcc
	s_xor_b64 s[0:1], exec, s[0:1]
	s_cbranch_execz .LBB2169_342
; %bb.335:
	v_cmp_eq_u16_sdwa s[10:11], v22, v19 src0_sel:BYTE_0 src1_sel:DWORD
	s_and_saveexec_b64 s[8:9], s[10:11]
	s_cbranch_execz .LBB2169_341
; %bb.336:
	v_mov_b32_e32 v8, 0
	s_mov_b32 s10, 0
	v_mov_b32_e32 v9, v8
.LBB2169_337:                           ; =>This Inner Loop Header: Depth=1
	s_add_i32 s11, s10, 0x60
	s_add_i32 s10, s10, 8
	s_cmp_lg_u32 s10, 32
	scratch_store_dwordx2 off, v[8:9], s11
	s_cbranch_scc1 .LBB2169_337
; %bb.338:
	s_mov_b32 s10, 0
.LBB2169_339:                           ; =>This Inner Loop Header: Depth=1
	s_add_i32 s11, s10, 0
	s_add_i32 s12, s10, 0xa8
	scratch_load_dwordx2 v[8:9], off, s11
	scratch_load_dwordx2 v[10:11], off, s12
	s_add_i32 s11, s10, 0x60
	s_add_i32 s10, s10, 8
	s_cmp_lg_u32 s10, 32
	s_waitcnt vmcnt(0)
	v_add_u32_e32 v9, v11, v9
	v_add_u32_e32 v8, v10, v8
	scratch_store_dwordx2 off, v[8:9], s11
	s_cbranch_scc1 .LBB2169_339
; %bb.340:
	scratch_load_dwordx4 v[8:11], off, off offset:96
	scratch_load_dwordx4 v[12:15], off, off offset:112
.LBB2169_341:
	s_or_b64 exec, exec, s[8:9]
	v_or_b32_e32 v18, v18, v22
	v_and_b32_e32 v18, 1, v18
	scratch_store_byte off, v18, off offset:200
	scratch_load_dword v22, off, off offset:200
	s_waitcnt vmcnt(3)
	scratch_store_dwordx4 off, v[8:11], off offset:168
	s_waitcnt vmcnt(3)
	scratch_store_dwordx4 off, v[12:15], off offset:184
.LBB2169_342:
	s_or_b64 exec, exec, s[0:1]
	v_mov_b32_dpp v26, v8 row_shr:2 row_mask:0xf bank_mask:0xf
	v_mov_b32_dpp v27, v9 row_shr:2 row_mask:0xf bank_mask:0xf
	;; [unrolled: 1-line block ×4, first 2 shown]
	s_waitcnt vmcnt(2)
	v_mov_b32_dpp v24, v22 row_shr:2 row_mask:0xf bank_mask:0xf
	v_cmp_lt_u32_e32 vcc, 1, v23
	v_mov_b32_dpp v30, v12 row_shr:2 row_mask:0xf bank_mask:0xf
	v_mov_b32_dpp v31, v13 row_shr:2 row_mask:0xf bank_mask:0xf
	v_mov_b32_dpp v32, v14 row_shr:2 row_mask:0xf bank_mask:0xf
	v_mov_b32_dpp v33, v15 row_shr:2 row_mask:0xf bank_mask:0xf
	scratch_store_dwordx4 off, v[26:29], off
	scratch_store_dwordx4 off, v[30:33], off offset:16
	scratch_store_dword off, v24, off offset:32
	s_and_saveexec_b64 s[8:9], vcc
	s_cbranch_execz .LBB2169_350
; %bb.343:
	v_mov_b32_e32 v18, 0
	s_mov_b32 s10, 0
	v_cmp_eq_u16_sdwa s[12:13], v22, v18 src0_sel:BYTE_0 src1_sel:DWORD
	s_and_saveexec_b64 s[0:1], s[12:13]
	s_cbranch_execz .LBB2169_349
; %bb.344:
	v_mov_b32_e32 v19, v18
.LBB2169_345:                           ; =>This Inner Loop Header: Depth=1
	s_add_i32 s11, s10, 0x60
	s_add_i32 s10, s10, 8
	s_cmp_lg_u32 s10, 32
	scratch_store_dwordx2 off, v[18:19], s11
	s_cbranch_scc1 .LBB2169_345
; %bb.346:
	s_mov_b32 s10, 0
.LBB2169_347:                           ; =>This Inner Loop Header: Depth=1
	s_add_i32 s11, s10, 0
	s_add_i32 s12, s10, 0xa8
	scratch_load_dwordx2 v[8:9], off, s11
	scratch_load_dwordx2 v[10:11], off, s12
	s_add_i32 s11, s10, 0x60
	s_add_i32 s10, s10, 8
	s_cmp_lg_u32 s10, 32
	s_waitcnt vmcnt(0)
	v_add_u32_e32 v9, v11, v9
	v_add_u32_e32 v8, v10, v8
	scratch_store_dwordx2 off, v[8:9], s11
	s_cbranch_scc1 .LBB2169_347
; %bb.348:
	scratch_load_dwordx4 v[8:11], off, off offset:96
	scratch_load_dwordx4 v[12:15], off, off offset:112
.LBB2169_349:
	s_or_b64 exec, exec, s[0:1]
	v_and_b32_e32 v18, 1, v22
	v_cmp_eq_u32_e32 vcc, 1, v18
	v_and_b32_e32 v18, 1, v24
	v_cmp_eq_u32_e64 s[0:1], 1, v18
	s_or_b64 s[0:1], vcc, s[0:1]
	s_nop 0
	v_cndmask_b32_e64 v18, 0, 1, s[0:1]
	scratch_store_byte off, v18, off offset:200
	scratch_load_dword v22, off, off offset:200
	s_waitcnt vmcnt(3)
	scratch_store_dwordx4 off, v[8:11], off offset:168
	s_waitcnt vmcnt(3)
	scratch_store_dwordx4 off, v[12:15], off offset:184
.LBB2169_350:
	s_or_b64 exec, exec, s[8:9]
	v_mov_b32_dpp v26, v8 row_shr:4 row_mask:0xf bank_mask:0xf
	v_mov_b32_dpp v27, v9 row_shr:4 row_mask:0xf bank_mask:0xf
	;; [unrolled: 1-line block ×4, first 2 shown]
	s_waitcnt vmcnt(2)
	v_mov_b32_dpp v24, v22 row_shr:4 row_mask:0xf bank_mask:0xf
	v_cmp_lt_u32_e32 vcc, 3, v23
	v_mov_b32_dpp v30, v12 row_shr:4 row_mask:0xf bank_mask:0xf
	v_mov_b32_dpp v31, v13 row_shr:4 row_mask:0xf bank_mask:0xf
	v_mov_b32_dpp v32, v14 row_shr:4 row_mask:0xf bank_mask:0xf
	v_mov_b32_dpp v33, v15 row_shr:4 row_mask:0xf bank_mask:0xf
	scratch_store_dwordx4 off, v[26:29], off
	scratch_store_dwordx4 off, v[30:33], off offset:16
	scratch_store_dword off, v24, off offset:32
	s_and_saveexec_b64 s[8:9], vcc
	s_cbranch_execz .LBB2169_358
; %bb.351:
	v_mov_b32_e32 v18, 0
	s_mov_b32 s10, 0
	v_cmp_eq_u16_sdwa s[12:13], v22, v18 src0_sel:BYTE_0 src1_sel:DWORD
	s_and_saveexec_b64 s[0:1], s[12:13]
	s_cbranch_execz .LBB2169_357
; %bb.352:
	v_mov_b32_e32 v19, v18
.LBB2169_353:                           ; =>This Inner Loop Header: Depth=1
	s_add_i32 s11, s10, 0x60
	s_add_i32 s10, s10, 8
	s_cmp_lg_u32 s10, 32
	scratch_store_dwordx2 off, v[18:19], s11
	s_cbranch_scc1 .LBB2169_353
; %bb.354:
	s_mov_b32 s10, 0
.LBB2169_355:                           ; =>This Inner Loop Header: Depth=1
	s_add_i32 s11, s10, 0
	s_add_i32 s12, s10, 0xa8
	scratch_load_dwordx2 v[8:9], off, s11
	scratch_load_dwordx2 v[10:11], off, s12
	s_add_i32 s11, s10, 0x60
	s_add_i32 s10, s10, 8
	s_cmp_lg_u32 s10, 32
	s_waitcnt vmcnt(0)
	v_add_u32_e32 v9, v11, v9
	v_add_u32_e32 v8, v10, v8
	scratch_store_dwordx2 off, v[8:9], s11
	s_cbranch_scc1 .LBB2169_355
; %bb.356:
	scratch_load_dwordx4 v[8:11], off, off offset:96
	scratch_load_dwordx4 v[12:15], off, off offset:112
.LBB2169_357:
	s_or_b64 exec, exec, s[0:1]
	v_and_b32_e32 v18, 1, v22
	v_cmp_eq_u32_e32 vcc, 1, v18
	v_and_b32_e32 v18, 1, v24
	v_cmp_eq_u32_e64 s[0:1], 1, v18
	s_or_b64 s[0:1], vcc, s[0:1]
	s_nop 0
	v_cndmask_b32_e64 v18, 0, 1, s[0:1]
	scratch_store_byte off, v18, off offset:200
	scratch_load_dword v22, off, off offset:200
	s_waitcnt vmcnt(3)
	scratch_store_dwordx4 off, v[8:11], off offset:168
	s_waitcnt vmcnt(3)
	scratch_store_dwordx4 off, v[12:15], off offset:184
.LBB2169_358:
	s_or_b64 exec, exec, s[8:9]
	v_mov_b32_dpp v26, v8 row_shr:8 row_mask:0xf bank_mask:0xf
	v_mov_b32_dpp v27, v9 row_shr:8 row_mask:0xf bank_mask:0xf
	;; [unrolled: 1-line block ×4, first 2 shown]
	s_waitcnt vmcnt(2)
	v_mov_b32_dpp v24, v22 row_shr:8 row_mask:0xf bank_mask:0xf
	v_cmp_lt_u32_e32 vcc, 7, v23
	v_mov_b32_dpp v30, v12 row_shr:8 row_mask:0xf bank_mask:0xf
	v_mov_b32_dpp v31, v13 row_shr:8 row_mask:0xf bank_mask:0xf
	;; [unrolled: 1-line block ×4, first 2 shown]
	scratch_store_dwordx4 off, v[26:29], off
	scratch_store_dwordx4 off, v[30:33], off offset:16
	scratch_store_dword off, v24, off offset:32
	s_and_saveexec_b64 s[8:9], vcc
	s_cbranch_execz .LBB2169_366
; %bb.359:
	v_mov_b32_e32 v18, 0
	s_mov_b32 s10, 0
	v_cmp_eq_u16_sdwa s[12:13], v22, v18 src0_sel:BYTE_0 src1_sel:DWORD
	s_and_saveexec_b64 s[0:1], s[12:13]
	s_cbranch_execz .LBB2169_365
; %bb.360:
	v_mov_b32_e32 v19, v18
.LBB2169_361:                           ; =>This Inner Loop Header: Depth=1
	s_add_i32 s11, s10, 0x60
	s_add_i32 s10, s10, 8
	s_cmp_lg_u32 s10, 32
	scratch_store_dwordx2 off, v[18:19], s11
	s_cbranch_scc1 .LBB2169_361
; %bb.362:
	s_mov_b32 s10, 0
.LBB2169_363:                           ; =>This Inner Loop Header: Depth=1
	s_add_i32 s11, s10, 0
	s_add_i32 s12, s10, 0xa8
	scratch_load_dwordx2 v[8:9], off, s11
	scratch_load_dwordx2 v[10:11], off, s12
	s_add_i32 s11, s10, 0x60
	s_add_i32 s10, s10, 8
	s_cmp_lg_u32 s10, 32
	s_waitcnt vmcnt(0)
	v_add_u32_e32 v9, v11, v9
	v_add_u32_e32 v8, v10, v8
	scratch_store_dwordx2 off, v[8:9], s11
	s_cbranch_scc1 .LBB2169_363
; %bb.364:
	scratch_load_dwordx4 v[8:11], off, off offset:96
	scratch_load_dwordx4 v[12:15], off, off offset:112
.LBB2169_365:
	s_or_b64 exec, exec, s[0:1]
	v_and_b32_e32 v18, 1, v22
	v_cmp_eq_u32_e32 vcc, 1, v18
	v_and_b32_e32 v18, 1, v24
	v_cmp_eq_u32_e64 s[0:1], 1, v18
	s_or_b64 s[0:1], vcc, s[0:1]
	s_nop 0
	v_cndmask_b32_e64 v18, 0, 1, s[0:1]
	scratch_store_byte off, v18, off offset:200
	scratch_load_dword v22, off, off offset:200
	s_waitcnt vmcnt(3)
	scratch_store_dwordx4 off, v[8:11], off offset:168
	s_waitcnt vmcnt(3)
	scratch_store_dwordx4 off, v[12:15], off offset:184
.LBB2169_366:
	s_or_b64 exec, exec, s[8:9]
	v_and_b32_e32 v18, 16, v17
	v_mov_b32_dpp v24, v8 row_bcast:15 row_mask:0xf bank_mask:0xf
	v_mov_b32_dpp v25, v9 row_bcast:15 row_mask:0xf bank_mask:0xf
	;; [unrolled: 1-line block ×4, first 2 shown]
	s_waitcnt vmcnt(2)
	v_mov_b32_dpp v23, v22 row_bcast:15 row_mask:0xf bank_mask:0xf
	v_cmp_ne_u32_e32 vcc, 0, v18
	v_mov_b32_dpp v28, v12 row_bcast:15 row_mask:0xf bank_mask:0xf
	v_mov_b32_dpp v29, v13 row_bcast:15 row_mask:0xf bank_mask:0xf
	;; [unrolled: 1-line block ×4, first 2 shown]
	scratch_store_dwordx4 off, v[24:27], off
	scratch_store_dwordx4 off, v[28:31], off offset:16
	scratch_store_dword off, v23, off offset:32
	s_and_saveexec_b64 s[8:9], vcc
	s_cbranch_execz .LBB2169_374
; %bb.367:
	v_mov_b32_e32 v18, 0
	s_mov_b32 s10, 0
	v_cmp_eq_u16_sdwa s[12:13], v22, v18 src0_sel:BYTE_0 src1_sel:DWORD
	s_and_saveexec_b64 s[0:1], s[12:13]
	s_cbranch_execz .LBB2169_373
; %bb.368:
	v_mov_b32_e32 v19, v18
.LBB2169_369:                           ; =>This Inner Loop Header: Depth=1
	s_add_i32 s11, s10, 0x60
	s_add_i32 s10, s10, 8
	s_cmp_lg_u32 s10, 32
	scratch_store_dwordx2 off, v[18:19], s11
	s_cbranch_scc1 .LBB2169_369
; %bb.370:
	s_mov_b32 s10, 0
.LBB2169_371:                           ; =>This Inner Loop Header: Depth=1
	s_add_i32 s11, s10, 0
	s_add_i32 s12, s10, 0xa8
	scratch_load_dwordx2 v[8:9], off, s11
	scratch_load_dwordx2 v[10:11], off, s12
	s_add_i32 s11, s10, 0x60
	s_add_i32 s10, s10, 8
	s_cmp_lg_u32 s10, 32
	s_waitcnt vmcnt(0)
	v_add_u32_e32 v9, v11, v9
	v_add_u32_e32 v8, v10, v8
	scratch_store_dwordx2 off, v[8:9], s11
	s_cbranch_scc1 .LBB2169_371
; %bb.372:
	scratch_load_dwordx4 v[8:11], off, off offset:96
	scratch_load_dwordx4 v[12:15], off, off offset:112
.LBB2169_373:
	s_or_b64 exec, exec, s[0:1]
	v_and_b32_e32 v18, 1, v22
	v_cmp_eq_u32_e32 vcc, 1, v18
	v_and_b32_e32 v18, 1, v23
	v_cmp_eq_u32_e64 s[0:1], 1, v18
	s_or_b64 s[0:1], vcc, s[0:1]
	s_nop 0
	v_cndmask_b32_e64 v18, 0, 1, s[0:1]
	scratch_store_byte off, v18, off offset:200
	scratch_load_dword v22, off, off offset:200
	s_waitcnt vmcnt(3)
	scratch_store_dwordx4 off, v[8:11], off offset:168
	s_waitcnt vmcnt(3)
	scratch_store_dwordx4 off, v[12:15], off offset:184
.LBB2169_374:
	s_or_b64 exec, exec, s[8:9]
	v_mov_b32_dpp v24, v8 row_bcast:31 row_mask:0xf bank_mask:0xf
	v_mov_b32_dpp v25, v9 row_bcast:31 row_mask:0xf bank_mask:0xf
	;; [unrolled: 1-line block ×4, first 2 shown]
	s_waitcnt vmcnt(2)
	v_mov_b32_dpp v23, v22 row_bcast:31 row_mask:0xf bank_mask:0xf
	v_cmp_lt_u32_e32 vcc, 31, v17
	v_mov_b32_dpp v28, v12 row_bcast:31 row_mask:0xf bank_mask:0xf
	v_mov_b32_dpp v29, v13 row_bcast:31 row_mask:0xf bank_mask:0xf
	;; [unrolled: 1-line block ×4, first 2 shown]
	scratch_store_dwordx4 off, v[24:27], off
	scratch_store_dwordx4 off, v[28:31], off offset:16
	scratch_store_dword off, v23, off offset:32
	s_and_saveexec_b64 s[8:9], vcc
	s_cbranch_execz .LBB2169_382
; %bb.375:
	v_mov_b32_e32 v18, 0
	s_mov_b32 s10, 0
	v_cmp_eq_u16_sdwa s[12:13], v22, v18 src0_sel:BYTE_0 src1_sel:DWORD
	s_and_saveexec_b64 s[0:1], s[12:13]
	s_cbranch_execz .LBB2169_381
; %bb.376:
	v_mov_b32_e32 v19, v18
.LBB2169_377:                           ; =>This Inner Loop Header: Depth=1
	s_add_i32 s11, s10, 0x60
	s_add_i32 s10, s10, 8
	s_cmp_lg_u32 s10, 32
	scratch_store_dwordx2 off, v[18:19], s11
	s_cbranch_scc1 .LBB2169_377
; %bb.378:
	s_mov_b32 s10, 0
.LBB2169_379:                           ; =>This Inner Loop Header: Depth=1
	s_add_i32 s11, s10, 0
	s_add_i32 s12, s10, 0xa8
	scratch_load_dwordx2 v[8:9], off, s11
	scratch_load_dwordx2 v[10:11], off, s12
	s_add_i32 s11, s10, 0x60
	s_add_i32 s10, s10, 8
	s_cmp_lg_u32 s10, 32
	s_waitcnt vmcnt(0)
	v_add_u32_e32 v9, v11, v9
	v_add_u32_e32 v8, v10, v8
	scratch_store_dwordx2 off, v[8:9], s11
	s_cbranch_scc1 .LBB2169_379
; %bb.380:
	scratch_load_dwordx4 v[8:11], off, off offset:96
	scratch_load_dwordx4 v[12:15], off, off offset:112
.LBB2169_381:
	s_or_b64 exec, exec, s[0:1]
	v_and_b32_e32 v18, 1, v22
	v_cmp_eq_u32_e32 vcc, 1, v18
	v_and_b32_e32 v18, 1, v23
	v_cmp_eq_u32_e64 s[0:1], 1, v18
	s_or_b64 s[0:1], vcc, s[0:1]
	s_nop 0
	v_cndmask_b32_e64 v22, 0, 1, s[0:1]
	s_waitcnt vmcnt(1)
	scratch_store_dwordx4 off, v[8:11], off offset:168
	s_waitcnt vmcnt(1)
	scratch_store_dwordx4 off, v[12:15], off offset:184
	scratch_store_byte off, v22, off offset:200
.LBB2169_382:
	s_or_b64 exec, exec, s[8:9]
	v_or_b32_e32 v18, 63, v16
	v_lshrrev_b32_e32 v23, 6, v16
	v_cmp_eq_u32_e32 vcc, v18, v16
	s_and_saveexec_b64 s[0:1], vcc
	s_cbranch_execz .LBB2169_384
; %bb.383:
	v_mul_u32_u24_e32 v18, 36, v23
	ds_write2_b32 v18, v8, v9 offset1:1
	ds_write2_b32 v18, v10, v11 offset0:2 offset1:3
	ds_write2_b32 v18, v12, v13 offset0:4 offset1:5
	;; [unrolled: 1-line block ×3, first 2 shown]
	ds_write_b8 v18, v22 offset:32
.LBB2169_384:
	s_or_b64 exec, exec, s[0:1]
	v_cmp_gt_u32_e32 vcc, 4, v16
	s_waitcnt lgkmcnt(0)
	s_barrier
	s_and_saveexec_b64 s[8:9], vcc
	s_cbranch_execz .LBB2169_402
; %bb.385:
	v_mul_u32_u24_e32 v22, 36, v16
	ds_read_b32 v24, v22 offset:32
	ds_read2_b32 v[12:13], v22 offset0:4 offset1:5
	ds_read2_b32 v[10:11], v22 offset0:2 offset1:3
	ds_read2_b32 v[8:9], v22 offset1:1
	ds_read2_b32 v[14:15], v22 offset0:6 offset1:7
	v_and_b32_e32 v25, 3, v17
	s_waitcnt lgkmcnt(4)
	v_mov_b32_dpp v26, v24 row_shr:1 row_mask:0xf bank_mask:0xf
	s_waitcnt lgkmcnt(2)
	v_mov_b32_dpp v30, v10 row_shr:1 row_mask:0xf bank_mask:0xf
	;; [unrolled: 2-line block ×3, first 2 shown]
	v_mov_b32_dpp v29, v9 row_shr:1 row_mask:0xf bank_mask:0xf
	v_mov_b32_dpp v31, v11 row_shr:1 row_mask:0xf bank_mask:0xf
	v_cmp_ne_u32_e32 vcc, 0, v25
	scratch_store_dword off, v24, off offset:128
	scratch_store_dwordx4 off, v[8:11], off offset:96
	s_waitcnt lgkmcnt(0)
	scratch_store_dwordx4 off, v[12:15], off offset:112
	v_mov_b32_dpp v32, v12 row_shr:1 row_mask:0xf bank_mask:0xf
	v_mov_b32_dpp v33, v13 row_shr:1 row_mask:0xf bank_mask:0xf
	;; [unrolled: 1-line block ×4, first 2 shown]
	scratch_store_dwordx4 off, v[28:31], off
	scratch_store_dwordx4 off, v[32:35], off offset:16
	scratch_store_dword off, v26, off offset:32
	s_and_saveexec_b64 s[0:1], vcc
	s_cbranch_execz .LBB2169_393
; %bb.386:
	v_mov_b32_e32 v18, 0
	v_cmp_eq_u16_sdwa s[12:13], v24, v18 src0_sel:BYTE_0 src1_sel:DWORD
	s_and_saveexec_b64 s[10:11], s[12:13]
	s_cbranch_execz .LBB2169_392
; %bb.387:
	s_mov_b32 s12, 0
	v_mov_b32_e32 v19, v18
.LBB2169_388:                           ; =>This Inner Loop Header: Depth=1
	s_add_i32 s13, s12, 0xf0
	s_add_i32 s12, s12, 8
	s_cmp_lg_u32 s12, 32
	scratch_store_dwordx2 off, v[18:19], s13
	s_cbranch_scc1 .LBB2169_388
; %bb.389:
	s_mov_b32 s12, 0
.LBB2169_390:                           ; =>This Inner Loop Header: Depth=1
	s_add_i32 s13, s12, 0
	s_add_i32 s16, s12, 0x60
	scratch_load_dwordx2 v[8:9], off, s13
	scratch_load_dwordx2 v[10:11], off, s16
	s_add_i32 s13, s12, 0xf0
	s_add_i32 s12, s12, 8
	s_cmp_lg_u32 s12, 32
	s_waitcnt vmcnt(0)
	v_add_u32_e32 v9, v11, v9
	v_add_u32_e32 v8, v10, v8
	scratch_store_dwordx2 off, v[8:9], s13
	s_cbranch_scc1 .LBB2169_390
; %bb.391:
	scratch_load_dwordx4 v[8:11], off, off offset:240
	scratch_load_dwordx4 v[12:15], off, off offset:256
.LBB2169_392:
	s_or_b64 exec, exec, s[10:11]
	v_or_b32_e32 v18, v26, v24
	v_and_b32_e32 v18, 1, v18
	scratch_store_byte off, v18, off offset:128
	scratch_load_dword v24, off, off offset:128
	s_waitcnt vmcnt(3)
	scratch_store_dwordx4 off, v[8:11], off offset:96
	s_waitcnt vmcnt(3)
	scratch_store_dwordx4 off, v[12:15], off offset:112
.LBB2169_393:
	s_or_b64 exec, exec, s[0:1]
	v_mov_b32_dpp v28, v8 row_shr:2 row_mask:0xf bank_mask:0xf
	v_mov_b32_dpp v29, v9 row_shr:2 row_mask:0xf bank_mask:0xf
	;; [unrolled: 1-line block ×4, first 2 shown]
	s_waitcnt vmcnt(2)
	v_mov_b32_dpp v26, v24 row_shr:2 row_mask:0xf bank_mask:0xf
	v_cmp_lt_u32_e32 vcc, 1, v25
	v_mov_b32_dpp v32, v12 row_shr:2 row_mask:0xf bank_mask:0xf
	v_mov_b32_dpp v33, v13 row_shr:2 row_mask:0xf bank_mask:0xf
	;; [unrolled: 1-line block ×4, first 2 shown]
	scratch_store_dwordx4 off, v[28:31], off
	scratch_store_dwordx4 off, v[32:35], off offset:16
	scratch_store_dword off, v26, off offset:32
	s_and_saveexec_b64 s[10:11], vcc
	s_cbranch_execz .LBB2169_401
; %bb.394:
	v_mov_b32_e32 v18, 0
	s_mov_b32 s12, 0
	v_cmp_eq_u16_sdwa s[16:17], v24, v18 src0_sel:BYTE_0 src1_sel:DWORD
	s_and_saveexec_b64 s[0:1], s[16:17]
	s_cbranch_execz .LBB2169_400
; %bb.395:
	v_mov_b32_e32 v19, v18
.LBB2169_396:                           ; =>This Inner Loop Header: Depth=1
	s_add_i32 s13, s12, 0xf0
	s_add_i32 s12, s12, 8
	s_cmp_lg_u32 s12, 32
	scratch_store_dwordx2 off, v[18:19], s13
	s_cbranch_scc1 .LBB2169_396
; %bb.397:
	s_mov_b32 s12, 0
.LBB2169_398:                           ; =>This Inner Loop Header: Depth=1
	s_add_i32 s13, s12, 0
	s_add_i32 s16, s12, 0x60
	scratch_load_dwordx2 v[8:9], off, s13
	scratch_load_dwordx2 v[10:11], off, s16
	s_add_i32 s13, s12, 0xf0
	s_add_i32 s12, s12, 8
	s_cmp_lg_u32 s12, 32
	s_waitcnt vmcnt(0)
	v_add_u32_e32 v9, v11, v9
	v_add_u32_e32 v8, v10, v8
	scratch_store_dwordx2 off, v[8:9], s13
	s_cbranch_scc1 .LBB2169_398
; %bb.399:
	scratch_load_dwordx4 v[8:11], off, off offset:240
	scratch_load_dwordx4 v[12:15], off, off offset:256
.LBB2169_400:
	s_or_b64 exec, exec, s[0:1]
	v_and_b32_e32 v18, 1, v24
	v_cmp_eq_u32_e32 vcc, 1, v18
	v_and_b32_e32 v18, 1, v26
	v_cmp_eq_u32_e64 s[0:1], 1, v18
	s_or_b64 s[0:1], vcc, s[0:1]
	s_waitcnt vmcnt(1)
	scratch_store_dwordx4 off, v[8:11], off offset:96
	s_waitcnt vmcnt(1)
	scratch_store_dwordx4 off, v[12:15], off offset:112
	v_cndmask_b32_e64 v24, 0, 1, s[0:1]
.LBB2169_401:
	s_or_b64 exec, exec, s[10:11]
	scratch_load_dwordx4 v[8:11], off, off offset:96
	scratch_load_dwordx4 v[12:15], off, off offset:112
	s_waitcnt vmcnt(1)
	ds_write2_b32 v22, v10, v11 offset0:2 offset1:3
	ds_write2_b32 v22, v8, v9 offset1:1
	s_waitcnt vmcnt(0)
	ds_write2_b32 v22, v14, v15 offset0:6 offset1:7
	ds_write2_b32 v22, v12, v13 offset0:4 offset1:5
	ds_write_b8 v22, v24 offset:32
.LBB2169_402:
	s_or_b64 exec, exec, s[8:9]
	s_waitcnt lgkmcnt(0)
	s_barrier
	scratch_load_dwordx4 v[8:11], off, off offset:132
	scratch_load_dwordx4 v[12:15], off, off offset:148
	scratch_load_dword v18, off, off offset:164
	v_cmp_lt_u32_e32 vcc, 63, v16
	s_waitcnt vmcnt(2)
	scratch_store_dwordx4 off, v[8:11], off
	s_waitcnt vmcnt(2)
	scratch_store_dwordx4 off, v[12:15], off offset:16
	s_waitcnt vmcnt(2)
	scratch_store_dword off, v18, off offset:32
	s_and_saveexec_b64 s[0:1], vcc
	s_cbranch_execz .LBB2169_412
; %bb.403:
	v_not_b32_e32 v8, 35
	v_mad_u32_u24 v19, v23, 36, v8
	ds_read_u8 v18, v19 offset:32
                                        ; implicit-def: $vgpr10_vgpr11
                                        ; implicit-def: $vgpr14_vgpr15
	s_waitcnt lgkmcnt(0)
	v_cmp_ne_u16_e32 vcc, 0, v18
	s_and_saveexec_b64 s[8:9], vcc
	s_xor_b64 s[8:9], exec, s[8:9]
	s_cbranch_execz .LBB2169_405
; %bb.404:
	ds_read2_b32 v[12:13], v19 offset1:1
	ds_read2_b32 v[14:15], v19 offset0:2 offset1:3
	ds_read2_b32 v[8:9], v19 offset0:4 offset1:5
	;; [unrolled: 1-line block ×3, first 2 shown]
                                        ; implicit-def: $vgpr19
.LBB2169_405:
	s_andn2_saveexec_b64 s[8:9], s[8:9]
	s_cbranch_execz .LBB2169_411
; %bb.406:
	s_waitcnt lgkmcnt(1)
	v_mov_b32_e32 v8, 0
	s_mov_b32 s10, 0
	v_mov_b32_e32 v9, v8
.LBB2169_407:                           ; =>This Inner Loop Header: Depth=1
	s_add_i32 s11, s10, 0x60
	s_add_i32 s10, s10, 8
	s_cmp_lg_u32 s10, 32
	scratch_store_dwordx2 off, v[8:9], s11
	s_cbranch_scc1 .LBB2169_407
; %bb.408:
	s_mov_b32 s10, 0
.LBB2169_409:                           ; =>This Inner Loop Header: Depth=1
	s_add_i32 s11, s10, 0x84
	scratch_load_dwordx2 v[8:9], off, s11
	s_waitcnt lgkmcnt(0)
	v_add_u32_e32 v10, s10, v19
	ds_read2_b32 v[10:11], v10 offset1:1
	s_add_i32 s11, s10, 0x60
	s_add_i32 s10, s10, 8
	s_cmp_lg_u32 s10, 32
	s_waitcnt vmcnt(0) lgkmcnt(0)
	v_add_u32_e32 v9, v11, v9
	v_add_u32_e32 v8, v10, v8
	scratch_store_dwordx2 off, v[8:9], s11
	s_cbranch_scc1 .LBB2169_409
; %bb.410:
	scratch_load_dwordx4 v[12:15], off, off offset:96
	scratch_load_dwordx4 v[8:11], off, off offset:112
.LBB2169_411:
	s_or_b64 exec, exec, s[8:9]
	scratch_load_ubyte v19, off, off offset:164
	s_waitcnt vmcnt(2) lgkmcnt(2)
	scratch_store_dwordx4 off, v[12:15], off
	s_waitcnt vmcnt(1)
	s_nop 0
	v_or_b32_e32 v12, v18, v19
	v_and_b32_e32 v12, 1, v12
	s_waitcnt lgkmcnt(0)
	scratch_store_dwordx4 off, v[8:11], off offset:16
	scratch_store_byte off, v12, off offset:32
.LBB2169_412:
	s_or_b64 exec, exec, s[0:1]
	scratch_load_ubyte v15, off, off offset:200
                                        ; implicit-def: $vgpr18_vgpr19
                                        ; implicit-def: $vgpr8_vgpr9
                                        ; implicit-def: $vgpr22
                                        ; implicit-def: $vgpr12
	s_waitcnt vmcnt(0)
	v_cmp_ne_u16_e32 vcc, 0, v15
	s_and_saveexec_b64 s[0:1], vcc
	s_xor_b64 s[0:1], exec, s[0:1]
	s_cbranch_execz .LBB2169_414
; %bb.413:
	scratch_load_dwordx3 v[12:14], off, off offset:168
	scratch_load_dwordx4 v[8:11], off, off offset:180
	scratch_load_dword v22, off, off offset:196
	s_waitcnt vmcnt(2)
	v_mov_b32_e32 v18, v13
	v_mov_b32_e32 v19, v14
.LBB2169_414:
	s_andn2_saveexec_b64 s[0:1], s[0:1]
	s_cbranch_execz .LBB2169_420
; %bb.415:
	s_waitcnt vmcnt(1)
	v_mov_b32_e32 v8, 0
	s_mov_b32 s8, 0
	v_mov_b32_e32 v9, v8
.LBB2169_416:                           ; =>This Inner Loop Header: Depth=1
	s_add_i32 s9, s8, 0x60
	s_add_i32 s8, s8, 8
	s_cmp_lg_u32 s8, 32
	scratch_store_dwordx2 off, v[8:9], s9
	s_cbranch_scc1 .LBB2169_416
; %bb.417:
	s_mov_b32 s8, 0
.LBB2169_418:                           ; =>This Inner Loop Header: Depth=1
	s_add_i32 s9, s8, 0
	s_add_i32 s10, s8, 0xa8
	scratch_load_dwordx2 v[8:9], off, s9
	scratch_load_dwordx2 v[10:11], off, s10
	s_add_i32 s9, s8, 0x60
	s_add_i32 s8, s8, 8
	s_cmp_lg_u32 s8, 32
	s_waitcnt vmcnt(0)
	v_add_u32_e32 v9, v11, v9
	v_add_u32_e32 v8, v10, v8
	scratch_store_dwordx2 off, v[8:9], s9
	s_cbranch_scc1 .LBB2169_418
; %bb.419:
	scratch_load_dwordx3 v[12:14], off, off offset:96
	scratch_load_dwordx4 v[8:11], off, off offset:108
	scratch_load_dword v22, off, off offset:124
	s_waitcnt vmcnt(2)
	v_mov_b32_e32 v18, v13
	v_mov_b32_e32 v19, v14
.LBB2169_420:
	s_or_b64 exec, exec, s[0:1]
	scratch_load_ubyte v13, off, off offset:32
	v_and_b32_e32 v23, 64, v17
	s_waitcnt vmcnt(0)
	v_or_b32_e32 v14, v15, v13
	v_and_b32_e32 v14, 1, v14
	scratch_store_byte off, v14, off offset:200
	scratch_load_dword v14, off, off offset:200
	v_add_u32_e32 v15, -1, v17
	v_cmp_lt_i32_e32 vcc, v15, v23
	s_nop 1
	v_cndmask_b32_e32 v15, v15, v17, vcc
	v_lshlrev_b32_e32 v15, 2, v15
	ds_bpermute_b32 v24, v15, v12
	ds_bpermute_b32 v25, v15, v18
	;; [unrolled: 1-line block ×8, first 2 shown]
	v_cmp_eq_u32_e32 vcc, 0, v17
	s_waitcnt lgkmcnt(4)
	scratch_store_dwordx4 off, v[24:27], off offset:168
	s_waitcnt lgkmcnt(0)
	scratch_store_dwordx4 off, v[28:31], off offset:184
	s_waitcnt vmcnt(2)
	ds_bpermute_b32 v9, v15, v14
	s_and_saveexec_b64 s[0:1], vcc
	s_cbranch_execz .LBB2169_422
; %bb.421:
	s_waitcnt lgkmcnt(0)
	scratch_load_dwordx4 v[8:11], off, off
	scratch_load_dwordx4 v[22:25], off, off offset:16
	s_waitcnt vmcnt(1)
	scratch_store_dwordx4 off, v[8:11], off offset:168
	s_waitcnt vmcnt(1)
	scratch_store_dwordx4 off, v[22:25], off offset:184
	v_mov_b32_e32 v9, v13
.LBB2169_422:
	s_or_b64 exec, exec, s[0:1]
	scratch_load_dwordx4 v[10:13], off, off offset:272
	scratch_load_dwordx4 v[22:25], off, off offset:288
	scratch_load_dword v14, off, off offset:304
	v_mov_b32_e32 v8, 0
	scratch_store_dwordx4 off, v[4:7], off offset:96
	scratch_store_dwordx4 off, v[0:3], off offset:112
	s_waitcnt vmcnt(4)
	scratch_store_dwordx4 off, v[10:13], off
	s_waitcnt vmcnt(4)
	scratch_store_dwordx4 off, v[22:25], off offset:16
	s_waitcnt vmcnt(4)
	scratch_store_dword off, v14, off offset:32
	scratch_store_byte off, v8, off offset:128
	s_and_saveexec_b64 s[0:1], s[4:5]
	s_cbranch_execz .LBB2169_424
; %bb.423:
	scratch_load_dwordx4 v[0:3], off, off offset:168
	scratch_load_dwordx4 v[4:7], off, off offset:184
	s_waitcnt lgkmcnt(0)
	v_mov_b32_e32 v8, v9
	s_waitcnt vmcnt(1)
	scratch_store_dwordx4 off, v[0:3], off offset:96
	s_waitcnt vmcnt(1)
	scratch_store_dwordx4 off, v[4:7], off offset:112
.LBB2169_424:
	s_or_b64 exec, exec, s[0:1]
	scratch_load_dwordx4 v[0:3], off, off offset:96
	scratch_load_dwordx4 v[4:7], off, off offset:112
	s_waitcnt lgkmcnt(0)
	scratch_load_ubyte v9, off, off offset:32
	s_nop 0
	scratch_store_byte off, v8, off offset:304
	s_waitcnt vmcnt(3)
	scratch_store_dwordx4 off, v[0:3], off offset:272
	s_waitcnt vmcnt(3)
	scratch_store_dwordx4 off, v[4:7], off offset:288
	s_waitcnt vmcnt(3)
	v_cmp_ne_u16_e32 vcc, 0, v9
                                        ; implicit-def: $vgpr6_vgpr7
                                        ; implicit-def: $vgpr2_vgpr3
	s_and_saveexec_b64 s[0:1], vcc
	s_xor_b64 s[0:1], exec, s[0:1]
	s_cbranch_execz .LBB2169_426
; %bb.425:
	scratch_load_dwordx4 v[0:3], off, off
	scratch_load_dwordx4 v[4:7], off, off offset:16
.LBB2169_426:
	s_andn2_saveexec_b64 s[0:1], s[0:1]
	s_cbranch_execz .LBB2169_432
; %bb.427:
	s_waitcnt vmcnt(1)
	v_mov_b32_e32 v0, 0
	s_mov_b32 s4, 0
	v_mov_b32_e32 v1, v0
.LBB2169_428:                           ; =>This Inner Loop Header: Depth=1
	s_add_i32 s5, s4, 0x84
	s_add_i32 s4, s4, 8
	s_cmp_lg_u32 s4, 32
	scratch_store_dwordx2 off, v[0:1], s5
	s_cbranch_scc1 .LBB2169_428
; %bb.429:
	s_mov_b32 s4, 0
.LBB2169_430:                           ; =>This Inner Loop Header: Depth=1
	s_add_i32 s5, s4, 0x60
	s_add_i32 s8, s4, 0
	scratch_load_dwordx2 v[0:1], off, s5
	scratch_load_dwordx2 v[2:3], off, s8
	s_add_i32 s5, s4, 0x84
	s_add_i32 s4, s4, 8
	s_cmp_lg_u32 s4, 32
	s_waitcnt vmcnt(0)
	v_add_u32_e32 v1, v3, v1
	v_add_u32_e32 v0, v2, v0
	scratch_store_dwordx2 off, v[0:1], s5
	s_cbranch_scc1 .LBB2169_430
; %bb.431:
	scratch_load_dwordx4 v[0:3], off, off offset:132
	scratch_load_dwordx4 v[4:7], off, off offset:148
.LBB2169_432:
	s_or_b64 exec, exec, s[0:1]
	scratch_load_dwordx4 v[12:15], v20, off
	scratch_load_dwordx4 v[22:25], v20, off offset:16
	scratch_load_ubyte v10, off, off offset:340
	v_or_b32_e32 v8, v9, v8
	s_waitcnt vmcnt(4)
	scratch_store_dwordx4 off, v[0:3], off offset:96
	s_waitcnt vmcnt(4)
	scratch_store_dwordx4 off, v[4:7], off offset:112
	scratch_store_dwordx4 v20, v[0:3], off
	scratch_store_dwordx4 v20, v[4:7], off offset:16
                                        ; implicit-def: $vgpr6_vgpr7
                                        ; implicit-def: $vgpr2_vgpr3
	s_waitcnt vmcnt(4)
	v_cmp_ne_u16_e64 s[0:1], 0, v10
	v_and_b32_e32 v0, 1, v8
	v_cmp_eq_u32_e32 vcc, 1, v0
	scratch_store_byte off, v0, off offset:340
	scratch_store_dwordx4 off, v[12:15], off
	scratch_store_dwordx4 off, v[22:25], off offset:16
	s_and_saveexec_b64 s[4:5], s[0:1]
	s_xor_b64 s[0:1], exec, s[4:5]
	s_cbranch_execz .LBB2169_434
; %bb.433:
	scratch_load_dwordx4 v[0:3], off, off
	scratch_load_dwordx4 v[4:7], off, off offset:16
.LBB2169_434:
	s_andn2_saveexec_b64 s[0:1], s[0:1]
	s_cbranch_execz .LBB2169_440
; %bb.435:
	s_waitcnt vmcnt(1)
	v_mov_b32_e32 v0, 0
	s_mov_b32 s4, 0
	v_mov_b32_e32 v1, v0
.LBB2169_436:                           ; =>This Inner Loop Header: Depth=1
	s_add_i32 s5, s4, 0x84
	s_add_i32 s4, s4, 8
	s_cmp_lg_u32 s4, 32
	scratch_store_dwordx2 off, v[0:1], s5
	s_cbranch_scc1 .LBB2169_436
; %bb.437:
	s_mov_b32 s4, 0
.LBB2169_438:                           ; =>This Inner Loop Header: Depth=1
	s_add_i32 s5, s4, 0x60
	s_add_i32 s8, s4, 0
	scratch_load_dwordx2 v[0:1], off, s5
	scratch_load_dwordx2 v[2:3], off, s8
	s_add_i32 s5, s4, 0x84
	s_add_i32 s4, s4, 8
	s_cmp_lg_u32 s4, 32
	s_waitcnt vmcnt(0)
	v_add_u32_e32 v1, v3, v1
	v_add_u32_e32 v0, v2, v0
	scratch_store_dwordx2 off, v[0:1], s5
	s_cbranch_scc1 .LBB2169_438
; %bb.439:
	scratch_load_dwordx4 v[0:3], off, off offset:132
	scratch_load_dwordx4 v[4:7], off, off offset:148
.LBB2169_440:
	s_or_b64 exec, exec, s[0:1]
	v_and_b32_e32 v8, 1, v10
	v_cmp_eq_u32_e64 s[0:1], 1, v8
	v_mov_b32_e32 v8, 0
	ds_read2_b32 v[12:13], v8 offset0:33 offset1:34
	ds_read2_b32 v[10:11], v8 offset0:31 offset1:32
	;; [unrolled: 1-line block ×4, first 2 shown]
	ds_read_u8 v8, v8 offset:140
	s_or_b64 s[0:1], s[0:1], vcc
	v_cndmask_b32_e64 v9, 0, 1, s[0:1]
	s_waitcnt vmcnt(1)
	scratch_store_dwordx4 v21, v[0:3], off
	s_waitcnt vmcnt(1)
	scratch_store_dwordx4 v21, v[4:7], off offset:16
	scratch_store_byte off, v9, off offset:376
	s_waitcnt lgkmcnt(1)
	scratch_store_dwordx4 off, v[22:25], off offset:380
	scratch_store_dwordx4 off, v[10:13], off offset:396
	s_waitcnt lgkmcnt(0)
	v_cmp_ne_u16_e32 vcc, 0, v8
	s_cbranch_vccz .LBB2169_444
; %bb.441:
	scratch_load_dwordx4 v[0:3], off, off offset:380
	scratch_load_dwordx4 v[4:7], off, off offset:396
	s_cbranch_execz .LBB2169_445
	s_branch .LBB2169_450
.LBB2169_442:
	v_lshlrev_b64 v[10:11], 5, v[16:17]
	v_lshl_add_u64 v[14:15], s[40:41], 0, v[10:11]
	flat_load_dwordx4 v[10:13], v[14:15]
	flat_load_dwordx4 v[22:25], v[14:15] offset:16
	s_waitcnt vmcnt(0) lgkmcnt(0)
	scratch_store_dwordx4 off, v[10:13], off
	scratch_store_dwordx4 off, v[22:25], off offset:16
	s_or_b64 exec, exec, s[12:13]
	s_and_saveexec_b64 s[12:13], s[8:9]
	s_cbranch_execz .LBB2169_29
.LBB2169_443:
	v_lshlrev_b32_e32 v10, 5, v7
	v_mov_b32_e32 v11, 0
	v_lshl_add_u64 v[14:15], s[40:41], 0, v[10:11]
	flat_load_dwordx4 v[10:13], v[14:15]
	flat_load_dwordx4 v[22:25], v[14:15] offset:16
	s_waitcnt vmcnt(0) lgkmcnt(0)
	scratch_store_dwordx4 off, v[10:13], off offset:32
	scratch_store_dwordx4 off, v[22:25], off offset:48
	s_or_b64 exec, exec, s[12:13]
	v_mul_u32_u24_e32 v7, 3, v16
	s_and_saveexec_b64 s[8:9], s[10:11]
	s_cbranch_execnz .LBB2169_30
	s_branch .LBB2169_31
.LBB2169_444:
                                        ; implicit-def: $vgpr6_vgpr7
                                        ; implicit-def: $vgpr2_vgpr3
.LBB2169_445:
	s_waitcnt vmcnt(1)
	v_mov_b32_e32 v0, 0
	s_mov_b32 s0, 0
	v_mov_b32_e32 v1, v0
.LBB2169_446:                           ; =>This Inner Loop Header: Depth=1
	s_add_i32 s1, s0, 0
	s_add_i32 s0, s0, 8
	s_cmp_lg_u32 s0, 32
	scratch_store_dwordx2 off, v[0:1], s1
	s_cbranch_scc1 .LBB2169_446
; %bb.447:
	s_mov_b32 s0, 0
.LBB2169_448:                           ; =>This Inner Loop Header: Depth=1
	s_add_i32 s1, s0, 0xcc
	s_add_i32 s4, s0, 0x17c
	scratch_load_dwordx2 v[0:1], off, s1
	scratch_load_dwordx2 v[2:3], off, s4
	s_add_i32 s1, s0, 0
	s_add_i32 s0, s0, 8
	s_cmp_lg_u32 s0, 32
	s_waitcnt vmcnt(0)
	v_add_u32_e32 v1, v3, v1
	v_add_u32_e32 v0, v2, v0
	scratch_store_dwordx2 off, v[0:1], s1
	s_cbranch_scc1 .LBB2169_448
; %bb.449:
	scratch_load_dwordx4 v[0:3], off, off
	scratch_load_dwordx4 v[4:7], off, off offset:16
.LBB2169_450:
	scratch_load_ubyte v9, off, off offset:236
	s_waitcnt vmcnt(2)
	scratch_store_dwordx4 off, v[0:3], off offset:380
	s_waitcnt vmcnt(2)
	scratch_store_dwordx4 off, v[4:7], off offset:396
	s_waitcnt vmcnt(2)
	v_or_b32_e32 v8, v8, v9
	v_and_b32_e32 v8, 1, v8
	v_cmp_eq_u32_e32 vcc, 1, v8
	scratch_store_byte off, v8, off offset:412
	s_and_saveexec_b64 s[0:1], s[6:7]
	s_cbranch_execz .LBB2169_452
; %bb.451:
	scratch_load_ushort v8, off, off offset:413
	scratch_load_sbyte v9, off, off offset:415
	v_mov_b32_e32 v10, 0
	v_cndmask_b32_e64 v11, 0, 1, vcc
	global_store_dword v10, v0, s[18:19] offset:2304 sc1
	global_store_dword v10, v1, s[18:19] offset:2308 sc1
	;; [unrolled: 1-line block ×8, first 2 shown]
	v_mov_b32_e32 v12, 2
	s_waitcnt vmcnt(9)
	v_and_b32_e32 v0, 0xff, v8
	v_lshlrev_b32_e32 v1, 8, v8
	s_waitcnt vmcnt(8)
	v_lshlrev_b32_e32 v2, 24, v9
	v_lshl_or_b32 v0, v0, 8, v11
	v_and_b32_e32 v1, 0xff0000, v1
	v_or3_b32 v0, v0, v1, v2
	global_store_dword v10, v0, s[18:19] offset:2336 sc1
	s_waitcnt vmcnt(0)
	global_store_byte v10, v12, s[20:21] offset:64 sc1
.LBB2169_452:
	s_or_b64 exec, exec, s[0:1]
.LBB2169_453:
	v_mov_b32_e32 v0, 0
	s_mov_b32 s0, 0
	v_mov_b32_e32 v1, v0
.LBB2169_454:                           ; =>This Inner Loop Header: Depth=1
	s_add_i32 s1, s0, 0
	s_add_i32 s0, s0, 8
	s_cmp_lg_u32 s0, 32
	scratch_store_dwordx2 off, v[0:1], s1
	s_cbranch_scc1 .LBB2169_454
; %bb.455:
	v_mov_b32_e32 v0, 0
	s_mov_b32 s0, 32
	v_mov_b32_e32 v1, v0
.LBB2169_456:                           ; =>This Inner Loop Header: Depth=1
	s_add_i32 s1, s0, 0
	s_add_i32 s0, s0, 8
	s_cmp_lg_u32 s0, 64
	scratch_store_dwordx2 off, v[0:1], s1
	s_cbranch_scc1 .LBB2169_456
; %bb.457:
	v_mov_b32_e32 v0, 0
	s_mov_b32 s0, 64
	v_mov_b32_e32 v1, v0
.LBB2169_458:                           ; =>This Inner Loop Header: Depth=1
	s_add_i32 s1, s0, 0
	s_add_i32 s0, s0, 8
	s_cmpk_lg_i32 s0, 0x60
	scratch_store_dwordx2 off, v[0:1], s1
	s_cbranch_scc1 .LBB2169_458
; %bb.459:
	s_add_u32 s0, s14, s34
	s_addc_u32 s1, s15, s35
	v_mov_b32_e32 v0, 0
	s_add_u32 s0, s0, s44
	v_add_u32_e32 v4, 64, v0
	v_add_u32_e32 v5, 32, v0
	s_addc_u32 s1, s1, s45
	s_and_b64 vcc, exec, s[2:3]
	s_cbranch_vccz .LBB2169_469
; %bb.460:
	s_add_i32 s23, s23, s22
	v_mul_u32_u24_e32 v0, 3, v16
	v_cmp_gt_u32_e32 vcc, s23, v0
	s_and_saveexec_b64 s[2:3], vcc
	s_cbranch_execz .LBB2169_464
; %bb.461:
	scratch_load_dwordx4 v[6:9], off, off offset:272
	scratch_load_dwordx4 v[10:13], off, off offset:288
	v_add_u32_e32 v1, 1, v0
	v_cmp_gt_u32_e32 vcc, s23, v1
	s_waitcnt vmcnt(1)
	scratch_store_dwordx4 off, v[6:9], off
	s_waitcnt vmcnt(1)
	scratch_store_dwordx4 off, v[10:13], off offset:16
	s_and_b64 exec, exec, vcc
	s_cbranch_execz .LBB2169_464
; %bb.462:
	scratch_load_dwordx4 v[6:9], v20, off
	scratch_load_dwordx4 v[10:13], v20, off offset:16
	v_add_u32_e32 v1, 2, v0
	v_cmp_gt_u32_e32 vcc, s23, v1
	s_waitcnt vmcnt(1)
	scratch_store_dwordx4 v5, v[6:9], off
	s_waitcnt vmcnt(1)
	scratch_store_dwordx4 v5, v[10:13], off offset:16
	s_and_b64 exec, exec, vcc
	s_cbranch_execz .LBB2169_464
; %bb.463:
	scratch_load_dwordx4 v[6:9], v21, off
	scratch_load_dwordx4 v[10:13], v21, off offset:16
	s_waitcnt vmcnt(1)
	scratch_store_dwordx4 v4, v[6:9], off
	s_waitcnt vmcnt(1)
	scratch_store_dwordx4 v4, v[10:13], off offset:16
.LBB2169_464:
	s_or_b64 exec, exec, s[2:3]
	s_barrier
	scratch_load_dwordx4 v[8:11], off, off
	scratch_load_dwordx4 v[12:15], off, off offset:16
	scratch_load_dwordx4 v[22:25], v5, off
	scratch_load_dwordx4 v[26:29], v5, off offset:16
	scratch_load_dwordx4 v[30:33], v4, off
	scratch_load_dwordx4 v[34:37], v4, off offset:16
	v_lshlrev_b32_e32 v2, 5, v0
	v_lshlrev_b32_e32 v3, 6, v16
	v_sub_u32_e32 v6, v2, v3
	v_mov_b32_e32 v1, 0
	v_lshlrev_b32_e32 v0, 5, v16
	v_cmp_gt_u32_e32 vcc, s23, v16
	s_waitcnt vmcnt(5)
	ds_write_b128 v2, v[8:11]
	s_waitcnt vmcnt(4)
	ds_write_b128 v2, v[12:15] offset:16
	s_waitcnt vmcnt(3)
	ds_write_b128 v2, v[22:25] offset:32
	;; [unrolled: 2-line block ×5, first 2 shown]
	s_waitcnt lgkmcnt(0)
	s_barrier
	ds_read_b128 v[8:11], v6 offset:8192
	ds_read_b128 v[12:15], v6 offset:8208
	ds_read_b128 v[22:25], v6 offset:16384
	ds_read_b128 v[26:29], v6 offset:16400
	v_lshl_add_u64 v[2:3], s[0:1], 0, v[0:1]
	s_waitcnt lgkmcnt(3)
	scratch_store_dwordx4 v5, v[8:11], off
	s_waitcnt lgkmcnt(2)
	scratch_store_dwordx4 v5, v[12:15], off offset:16
	s_waitcnt lgkmcnt(1)
	scratch_store_dwordx4 v4, v[22:25], off
	s_waitcnt lgkmcnt(0)
	scratch_store_dwordx4 v4, v[26:29], off offset:16
	s_and_saveexec_b64 s[2:3], vcc
	s_cbranch_execz .LBB2169_466
; %bb.465:
	ds_read2_b32 v[8:9], v6 offset0:4 offset1:5
	ds_read2_b32 v[10:11], v6 offset0:6 offset1:7
	;; [unrolled: 1-line block ×3, first 2 shown]
	ds_read2_b32 v[12:13], v6 offset1:1
	s_waitcnt lgkmcnt(0)
	flat_store_dwordx4 v[2:3], v[12:15]
	flat_store_dwordx4 v[2:3], v[8:11] offset:16
.LBB2169_466:
	s_or_b64 exec, exec, s[2:3]
	v_or_b32_e32 v0, 0x100, v16
	v_cmp_gt_u32_e32 vcc, s23, v0
	s_and_saveexec_b64 s[2:3], vcc
	s_cbranch_execz .LBB2169_468
; %bb.467:
	scratch_load_dwordx4 v[6:9], v5, off offset:16
	s_mov_b64 s[4:5], 0x2000
	v_lshl_add_u64 v[10:11], v[2:3], 0, s[4:5]
	v_add_co_u32_e32 v2, vcc, 0x2000, v2
	s_waitcnt vmcnt(0)
	flat_store_dwordx4 v[10:11], v[6:9] offset:16
	scratch_load_dwordx4 v[6:9], v5, off
	v_addc_co_u32_e32 v3, vcc, 0, v3, vcc
	s_waitcnt vmcnt(0)
	flat_store_dwordx4 v[2:3], v[6:9]
.LBB2169_468:
	s_or_b64 exec, exec, s[2:3]
	v_or_b32_e32 v0, 0x200, v16
	v_mov_b32_e32 v17, v1
	v_cmp_gt_u32_e64 s[2:3], s23, v0
	s_branch .LBB2169_471
.LBB2169_469:
	s_mov_b64 s[2:3], 0
	s_cbranch_execz .LBB2169_471
; %bb.470:
	scratch_load_dwordx4 v[0:3], off, off offset:272
	scratch_load_dwordx4 v[6:9], off, off offset:288
	scratch_load_dwordx4 v[10:13], v20, off
	scratch_load_dwordx4 v[22:25], v20, off offset:16
	scratch_load_dwordx4 v[26:29], v21, off
	scratch_load_dwordx4 v[30:33], v21, off offset:16
	v_mul_u32_u24_e32 v34, 0x60, v16
	v_lshlrev_b32_e32 v15, 6, v16
	v_sub_u32_e32 v35, v34, v15
	v_mov_b32_e32 v17, 0
	v_lshlrev_b32_e32 v14, 5, v16
	v_mov_b32_e32 v15, v17
	v_lshl_add_u64 v[14:15], s[0:1], 0, v[14:15]
	s_mov_b64 s[4:5], 0x2000
	s_or_b64 s[2:3], s[2:3], exec
	s_waitcnt vmcnt(0)
	scratch_store_dwordx4 off, v[0:3], off
	scratch_store_dwordx4 off, v[6:9], off offset:16
	scratch_store_dwordx4 v5, v[10:13], off
	scratch_store_dwordx4 v5, v[22:25], off offset:16
	scratch_store_dwordx4 v4, v[26:29], off
	scratch_store_dwordx4 v4, v[30:33], off offset:16
	s_waitcnt lgkmcnt(0)
	s_barrier
	scratch_load_dwordx4 v[0:3], off, off
	scratch_load_dwordx4 v[6:9], off, off offset:16
	scratch_load_dwordx4 v[10:13], v5, off
	scratch_load_dwordx4 v[18:21], v5, off offset:16
	scratch_load_dwordx4 v[22:25], v4, off
	scratch_load_dwordx4 v[26:29], v4, off offset:16
	v_add_co_u32_e32 v32, vcc, 0x2000, v14
	v_lshl_add_u64 v[30:31], v[14:15], 0, s[4:5]
	s_nop 0
	v_addc_co_u32_e32 v33, vcc, 0, v15, vcc
	s_waitcnt vmcnt(5)
	ds_write_b128 v34, v[0:3]
	s_waitcnt vmcnt(4)
	ds_write_b128 v34, v[6:9] offset:16
	s_waitcnt vmcnt(3)
	ds_write_b128 v34, v[10:13] offset:32
	s_waitcnt vmcnt(2)
	ds_write_b128 v34, v[18:21] offset:48
	s_waitcnt vmcnt(1)
	ds_write_b128 v34, v[22:25] offset:64
	s_waitcnt vmcnt(0)
	ds_write_b128 v34, v[26:29] offset:80
	s_waitcnt lgkmcnt(0)
	s_barrier
	ds_read_b128 v[0:3], v35 offset:8192
	ds_read_b128 v[6:9], v35 offset:8208
	;; [unrolled: 1-line block ×4, first 2 shown]
	ds_read2_b32 v[22:23], v35 offset1:1
	ds_read2_b32 v[28:29], v35 offset0:6 offset1:7
	ds_read2_b32 v[26:27], v35 offset0:4 offset1:5
	;; [unrolled: 1-line block ×3, first 2 shown]
	s_waitcnt lgkmcnt(7)
	scratch_store_dwordx4 v5, v[0:3], off
	s_waitcnt lgkmcnt(6)
	scratch_store_dwordx4 v5, v[6:9], off offset:16
	s_waitcnt lgkmcnt(5)
	scratch_store_dwordx4 v4, v[10:13], off
	s_waitcnt lgkmcnt(4)
	scratch_store_dwordx4 v4, v[18:21], off offset:16
	s_waitcnt lgkmcnt(1)
	flat_store_dwordx4 v[14:15], v[26:29] offset:16
	s_waitcnt lgkmcnt(0)
	flat_store_dwordx4 v[14:15], v[22:25]
	flat_store_dwordx4 v[32:33], v[0:3]
	flat_store_dwordx4 v[30:31], v[6:9] offset:16
.LBB2169_471:
	s_and_saveexec_b64 s[4:5], s[2:3]
	s_cbranch_execnz .LBB2169_473
; %bb.472:
	s_endpgm
.LBB2169_473:
	scratch_load_dwordx4 v[0:3], v4, off offset:16
	v_lshlrev_b64 v[6:7], 5, v[16:17]
	v_lshl_add_u64 v[6:7], s[0:1], 0, v[6:7]
	s_mov_b64 s[0:1], 0x4000
	v_lshl_add_u64 v[8:9], v[6:7], 0, s[0:1]
	s_waitcnt vmcnt(0)
	flat_store_dwordx4 v[8:9], v[0:3] offset:16
	scratch_load_dwordx4 v[0:3], v4, off
	v_add_co_u32_e32 v4, vcc, 0x4000, v6
	s_nop 1
	v_addc_co_u32_e32 v5, vcc, 0, v7, vcc
	s_waitcnt vmcnt(0)
	flat_store_dwordx4 v[4:5], v[0:3]
	s_endpgm
	.section	.rodata,"a",@progbits
	.p2align	6, 0x0
	.amdhsa_kernel _ZN7rocprim17ROCPRIM_400000_NS6detail17trampoline_kernelINS0_14default_configENS1_27scan_by_key_config_selectorIj11FixedVectorIiLj8EEEEZZNS1_16scan_by_key_implILNS1_25lookback_scan_determinismE0ELb1ES3_N6thrust23THRUST_200600_302600_NS6detail15normal_iteratorINSB_10device_ptrIjEEEENSD_INSE_IS6_EEEESI_S6_NSB_4plusIvEENSB_8equal_toIvEES6_EE10hipError_tPvRmT2_T3_T4_T5_mT6_T7_P12ihipStream_tbENKUlT_T0_E_clISt17integral_constantIbLb1EES13_EEDaSY_SZ_EUlSY_E_NS1_11comp_targetILNS1_3genE5ELNS1_11target_archE942ELNS1_3gpuE9ELNS1_3repE0EEENS1_30default_config_static_selectorELNS0_4arch9wavefront6targetE1EEEvT1_
		.amdhsa_group_segment_fixed_size 32768
		.amdhsa_private_segment_fixed_size 432
		.amdhsa_kernarg_size 160
		.amdhsa_user_sgpr_count 4
		.amdhsa_user_sgpr_dispatch_ptr 1
		.amdhsa_user_sgpr_queue_ptr 0
		.amdhsa_user_sgpr_kernarg_segment_ptr 1
		.amdhsa_user_sgpr_dispatch_id 0
		.amdhsa_user_sgpr_kernarg_preload_length 0
		.amdhsa_user_sgpr_kernarg_preload_offset 0
		.amdhsa_user_sgpr_private_segment_size 0
		.amdhsa_uses_dynamic_stack 0
		.amdhsa_enable_private_segment 1
		.amdhsa_system_sgpr_workgroup_id_x 1
		.amdhsa_system_sgpr_workgroup_id_y 0
		.amdhsa_system_sgpr_workgroup_id_z 0
		.amdhsa_system_sgpr_workgroup_info 0
		.amdhsa_system_vgpr_workitem_id 2
		.amdhsa_next_free_vgpr 42
		.amdhsa_next_free_sgpr 53
		.amdhsa_accum_offset 44
		.amdhsa_reserve_vcc 1
		.amdhsa_float_round_mode_32 0
		.amdhsa_float_round_mode_16_64 0
		.amdhsa_float_denorm_mode_32 3
		.amdhsa_float_denorm_mode_16_64 3
		.amdhsa_dx10_clamp 1
		.amdhsa_ieee_mode 1
		.amdhsa_fp16_overflow 0
		.amdhsa_tg_split 0
		.amdhsa_exception_fp_ieee_invalid_op 0
		.amdhsa_exception_fp_denorm_src 0
		.amdhsa_exception_fp_ieee_div_zero 0
		.amdhsa_exception_fp_ieee_overflow 0
		.amdhsa_exception_fp_ieee_underflow 0
		.amdhsa_exception_fp_ieee_inexact 0
		.amdhsa_exception_int_div_zero 0
	.end_amdhsa_kernel
	.section	.text._ZN7rocprim17ROCPRIM_400000_NS6detail17trampoline_kernelINS0_14default_configENS1_27scan_by_key_config_selectorIj11FixedVectorIiLj8EEEEZZNS1_16scan_by_key_implILNS1_25lookback_scan_determinismE0ELb1ES3_N6thrust23THRUST_200600_302600_NS6detail15normal_iteratorINSB_10device_ptrIjEEEENSD_INSE_IS6_EEEESI_S6_NSB_4plusIvEENSB_8equal_toIvEES6_EE10hipError_tPvRmT2_T3_T4_T5_mT6_T7_P12ihipStream_tbENKUlT_T0_E_clISt17integral_constantIbLb1EES13_EEDaSY_SZ_EUlSY_E_NS1_11comp_targetILNS1_3genE5ELNS1_11target_archE942ELNS1_3gpuE9ELNS1_3repE0EEENS1_30default_config_static_selectorELNS0_4arch9wavefront6targetE1EEEvT1_,"axG",@progbits,_ZN7rocprim17ROCPRIM_400000_NS6detail17trampoline_kernelINS0_14default_configENS1_27scan_by_key_config_selectorIj11FixedVectorIiLj8EEEEZZNS1_16scan_by_key_implILNS1_25lookback_scan_determinismE0ELb1ES3_N6thrust23THRUST_200600_302600_NS6detail15normal_iteratorINSB_10device_ptrIjEEEENSD_INSE_IS6_EEEESI_S6_NSB_4plusIvEENSB_8equal_toIvEES6_EE10hipError_tPvRmT2_T3_T4_T5_mT6_T7_P12ihipStream_tbENKUlT_T0_E_clISt17integral_constantIbLb1EES13_EEDaSY_SZ_EUlSY_E_NS1_11comp_targetILNS1_3genE5ELNS1_11target_archE942ELNS1_3gpuE9ELNS1_3repE0EEENS1_30default_config_static_selectorELNS0_4arch9wavefront6targetE1EEEvT1_,comdat
.Lfunc_end2169:
	.size	_ZN7rocprim17ROCPRIM_400000_NS6detail17trampoline_kernelINS0_14default_configENS1_27scan_by_key_config_selectorIj11FixedVectorIiLj8EEEEZZNS1_16scan_by_key_implILNS1_25lookback_scan_determinismE0ELb1ES3_N6thrust23THRUST_200600_302600_NS6detail15normal_iteratorINSB_10device_ptrIjEEEENSD_INSE_IS6_EEEESI_S6_NSB_4plusIvEENSB_8equal_toIvEES6_EE10hipError_tPvRmT2_T3_T4_T5_mT6_T7_P12ihipStream_tbENKUlT_T0_E_clISt17integral_constantIbLb1EES13_EEDaSY_SZ_EUlSY_E_NS1_11comp_targetILNS1_3genE5ELNS1_11target_archE942ELNS1_3gpuE9ELNS1_3repE0EEENS1_30default_config_static_selectorELNS0_4arch9wavefront6targetE1EEEvT1_, .Lfunc_end2169-_ZN7rocprim17ROCPRIM_400000_NS6detail17trampoline_kernelINS0_14default_configENS1_27scan_by_key_config_selectorIj11FixedVectorIiLj8EEEEZZNS1_16scan_by_key_implILNS1_25lookback_scan_determinismE0ELb1ES3_N6thrust23THRUST_200600_302600_NS6detail15normal_iteratorINSB_10device_ptrIjEEEENSD_INSE_IS6_EEEESI_S6_NSB_4plusIvEENSB_8equal_toIvEES6_EE10hipError_tPvRmT2_T3_T4_T5_mT6_T7_P12ihipStream_tbENKUlT_T0_E_clISt17integral_constantIbLb1EES13_EEDaSY_SZ_EUlSY_E_NS1_11comp_targetILNS1_3genE5ELNS1_11target_archE942ELNS1_3gpuE9ELNS1_3repE0EEENS1_30default_config_static_selectorELNS0_4arch9wavefront6targetE1EEEvT1_
                                        ; -- End function
	.section	.AMDGPU.csdata,"",@progbits
; Kernel info:
; codeLenInByte = 20920
; NumSgprs: 59
; NumVgprs: 42
; NumAgprs: 0
; TotalNumVgprs: 42
; ScratchSize: 432
; MemoryBound: 1
; FloatMode: 240
; IeeeMode: 1
; LDSByteSize: 32768 bytes/workgroup (compile time only)
; SGPRBlocks: 7
; VGPRBlocks: 5
; NumSGPRsForWavesPerEU: 59
; NumVGPRsForWavesPerEU: 42
; AccumOffset: 44
; Occupancy: 2
; WaveLimiterHint : 1
; COMPUTE_PGM_RSRC2:SCRATCH_EN: 1
; COMPUTE_PGM_RSRC2:USER_SGPR: 4
; COMPUTE_PGM_RSRC2:TRAP_HANDLER: 0
; COMPUTE_PGM_RSRC2:TGID_X_EN: 1
; COMPUTE_PGM_RSRC2:TGID_Y_EN: 0
; COMPUTE_PGM_RSRC2:TGID_Z_EN: 0
; COMPUTE_PGM_RSRC2:TIDIG_COMP_CNT: 2
; COMPUTE_PGM_RSRC3_GFX90A:ACCUM_OFFSET: 10
; COMPUTE_PGM_RSRC3_GFX90A:TG_SPLIT: 0
	.section	.text._ZN7rocprim17ROCPRIM_400000_NS6detail17trampoline_kernelINS0_14default_configENS1_27scan_by_key_config_selectorIj11FixedVectorIiLj8EEEEZZNS1_16scan_by_key_implILNS1_25lookback_scan_determinismE0ELb1ES3_N6thrust23THRUST_200600_302600_NS6detail15normal_iteratorINSB_10device_ptrIjEEEENSD_INSE_IS6_EEEESI_S6_NSB_4plusIvEENSB_8equal_toIvEES6_EE10hipError_tPvRmT2_T3_T4_T5_mT6_T7_P12ihipStream_tbENKUlT_T0_E_clISt17integral_constantIbLb1EES13_EEDaSY_SZ_EUlSY_E_NS1_11comp_targetILNS1_3genE4ELNS1_11target_archE910ELNS1_3gpuE8ELNS1_3repE0EEENS1_30default_config_static_selectorELNS0_4arch9wavefront6targetE1EEEvT1_,"axG",@progbits,_ZN7rocprim17ROCPRIM_400000_NS6detail17trampoline_kernelINS0_14default_configENS1_27scan_by_key_config_selectorIj11FixedVectorIiLj8EEEEZZNS1_16scan_by_key_implILNS1_25lookback_scan_determinismE0ELb1ES3_N6thrust23THRUST_200600_302600_NS6detail15normal_iteratorINSB_10device_ptrIjEEEENSD_INSE_IS6_EEEESI_S6_NSB_4plusIvEENSB_8equal_toIvEES6_EE10hipError_tPvRmT2_T3_T4_T5_mT6_T7_P12ihipStream_tbENKUlT_T0_E_clISt17integral_constantIbLb1EES13_EEDaSY_SZ_EUlSY_E_NS1_11comp_targetILNS1_3genE4ELNS1_11target_archE910ELNS1_3gpuE8ELNS1_3repE0EEENS1_30default_config_static_selectorELNS0_4arch9wavefront6targetE1EEEvT1_,comdat
	.protected	_ZN7rocprim17ROCPRIM_400000_NS6detail17trampoline_kernelINS0_14default_configENS1_27scan_by_key_config_selectorIj11FixedVectorIiLj8EEEEZZNS1_16scan_by_key_implILNS1_25lookback_scan_determinismE0ELb1ES3_N6thrust23THRUST_200600_302600_NS6detail15normal_iteratorINSB_10device_ptrIjEEEENSD_INSE_IS6_EEEESI_S6_NSB_4plusIvEENSB_8equal_toIvEES6_EE10hipError_tPvRmT2_T3_T4_T5_mT6_T7_P12ihipStream_tbENKUlT_T0_E_clISt17integral_constantIbLb1EES13_EEDaSY_SZ_EUlSY_E_NS1_11comp_targetILNS1_3genE4ELNS1_11target_archE910ELNS1_3gpuE8ELNS1_3repE0EEENS1_30default_config_static_selectorELNS0_4arch9wavefront6targetE1EEEvT1_ ; -- Begin function _ZN7rocprim17ROCPRIM_400000_NS6detail17trampoline_kernelINS0_14default_configENS1_27scan_by_key_config_selectorIj11FixedVectorIiLj8EEEEZZNS1_16scan_by_key_implILNS1_25lookback_scan_determinismE0ELb1ES3_N6thrust23THRUST_200600_302600_NS6detail15normal_iteratorINSB_10device_ptrIjEEEENSD_INSE_IS6_EEEESI_S6_NSB_4plusIvEENSB_8equal_toIvEES6_EE10hipError_tPvRmT2_T3_T4_T5_mT6_T7_P12ihipStream_tbENKUlT_T0_E_clISt17integral_constantIbLb1EES13_EEDaSY_SZ_EUlSY_E_NS1_11comp_targetILNS1_3genE4ELNS1_11target_archE910ELNS1_3gpuE8ELNS1_3repE0EEENS1_30default_config_static_selectorELNS0_4arch9wavefront6targetE1EEEvT1_
	.globl	_ZN7rocprim17ROCPRIM_400000_NS6detail17trampoline_kernelINS0_14default_configENS1_27scan_by_key_config_selectorIj11FixedVectorIiLj8EEEEZZNS1_16scan_by_key_implILNS1_25lookback_scan_determinismE0ELb1ES3_N6thrust23THRUST_200600_302600_NS6detail15normal_iteratorINSB_10device_ptrIjEEEENSD_INSE_IS6_EEEESI_S6_NSB_4plusIvEENSB_8equal_toIvEES6_EE10hipError_tPvRmT2_T3_T4_T5_mT6_T7_P12ihipStream_tbENKUlT_T0_E_clISt17integral_constantIbLb1EES13_EEDaSY_SZ_EUlSY_E_NS1_11comp_targetILNS1_3genE4ELNS1_11target_archE910ELNS1_3gpuE8ELNS1_3repE0EEENS1_30default_config_static_selectorELNS0_4arch9wavefront6targetE1EEEvT1_
	.p2align	8
	.type	_ZN7rocprim17ROCPRIM_400000_NS6detail17trampoline_kernelINS0_14default_configENS1_27scan_by_key_config_selectorIj11FixedVectorIiLj8EEEEZZNS1_16scan_by_key_implILNS1_25lookback_scan_determinismE0ELb1ES3_N6thrust23THRUST_200600_302600_NS6detail15normal_iteratorINSB_10device_ptrIjEEEENSD_INSE_IS6_EEEESI_S6_NSB_4plusIvEENSB_8equal_toIvEES6_EE10hipError_tPvRmT2_T3_T4_T5_mT6_T7_P12ihipStream_tbENKUlT_T0_E_clISt17integral_constantIbLb1EES13_EEDaSY_SZ_EUlSY_E_NS1_11comp_targetILNS1_3genE4ELNS1_11target_archE910ELNS1_3gpuE8ELNS1_3repE0EEENS1_30default_config_static_selectorELNS0_4arch9wavefront6targetE1EEEvT1_,@function
_ZN7rocprim17ROCPRIM_400000_NS6detail17trampoline_kernelINS0_14default_configENS1_27scan_by_key_config_selectorIj11FixedVectorIiLj8EEEEZZNS1_16scan_by_key_implILNS1_25lookback_scan_determinismE0ELb1ES3_N6thrust23THRUST_200600_302600_NS6detail15normal_iteratorINSB_10device_ptrIjEEEENSD_INSE_IS6_EEEESI_S6_NSB_4plusIvEENSB_8equal_toIvEES6_EE10hipError_tPvRmT2_T3_T4_T5_mT6_T7_P12ihipStream_tbENKUlT_T0_E_clISt17integral_constantIbLb1EES13_EEDaSY_SZ_EUlSY_E_NS1_11comp_targetILNS1_3genE4ELNS1_11target_archE910ELNS1_3gpuE8ELNS1_3repE0EEENS1_30default_config_static_selectorELNS0_4arch9wavefront6targetE1EEEvT1_: ; @_ZN7rocprim17ROCPRIM_400000_NS6detail17trampoline_kernelINS0_14default_configENS1_27scan_by_key_config_selectorIj11FixedVectorIiLj8EEEEZZNS1_16scan_by_key_implILNS1_25lookback_scan_determinismE0ELb1ES3_N6thrust23THRUST_200600_302600_NS6detail15normal_iteratorINSB_10device_ptrIjEEEENSD_INSE_IS6_EEEESI_S6_NSB_4plusIvEENSB_8equal_toIvEES6_EE10hipError_tPvRmT2_T3_T4_T5_mT6_T7_P12ihipStream_tbENKUlT_T0_E_clISt17integral_constantIbLb1EES13_EEDaSY_SZ_EUlSY_E_NS1_11comp_targetILNS1_3genE4ELNS1_11target_archE910ELNS1_3gpuE8ELNS1_3repE0EEENS1_30default_config_static_selectorELNS0_4arch9wavefront6targetE1EEEvT1_
; %bb.0:
	.section	.rodata,"a",@progbits
	.p2align	6, 0x0
	.amdhsa_kernel _ZN7rocprim17ROCPRIM_400000_NS6detail17trampoline_kernelINS0_14default_configENS1_27scan_by_key_config_selectorIj11FixedVectorIiLj8EEEEZZNS1_16scan_by_key_implILNS1_25lookback_scan_determinismE0ELb1ES3_N6thrust23THRUST_200600_302600_NS6detail15normal_iteratorINSB_10device_ptrIjEEEENSD_INSE_IS6_EEEESI_S6_NSB_4plusIvEENSB_8equal_toIvEES6_EE10hipError_tPvRmT2_T3_T4_T5_mT6_T7_P12ihipStream_tbENKUlT_T0_E_clISt17integral_constantIbLb1EES13_EEDaSY_SZ_EUlSY_E_NS1_11comp_targetILNS1_3genE4ELNS1_11target_archE910ELNS1_3gpuE8ELNS1_3repE0EEENS1_30default_config_static_selectorELNS0_4arch9wavefront6targetE1EEEvT1_
		.amdhsa_group_segment_fixed_size 0
		.amdhsa_private_segment_fixed_size 0
		.amdhsa_kernarg_size 160
		.amdhsa_user_sgpr_count 2
		.amdhsa_user_sgpr_dispatch_ptr 0
		.amdhsa_user_sgpr_queue_ptr 0
		.amdhsa_user_sgpr_kernarg_segment_ptr 1
		.amdhsa_user_sgpr_dispatch_id 0
		.amdhsa_user_sgpr_kernarg_preload_length 0
		.amdhsa_user_sgpr_kernarg_preload_offset 0
		.amdhsa_user_sgpr_private_segment_size 0
		.amdhsa_uses_dynamic_stack 0
		.amdhsa_enable_private_segment 0
		.amdhsa_system_sgpr_workgroup_id_x 1
		.amdhsa_system_sgpr_workgroup_id_y 0
		.amdhsa_system_sgpr_workgroup_id_z 0
		.amdhsa_system_sgpr_workgroup_info 0
		.amdhsa_system_vgpr_workitem_id 0
		.amdhsa_next_free_vgpr 1
		.amdhsa_next_free_sgpr 0
		.amdhsa_accum_offset 4
		.amdhsa_reserve_vcc 0
		.amdhsa_float_round_mode_32 0
		.amdhsa_float_round_mode_16_64 0
		.amdhsa_float_denorm_mode_32 3
		.amdhsa_float_denorm_mode_16_64 3
		.amdhsa_dx10_clamp 1
		.amdhsa_ieee_mode 1
		.amdhsa_fp16_overflow 0
		.amdhsa_tg_split 0
		.amdhsa_exception_fp_ieee_invalid_op 0
		.amdhsa_exception_fp_denorm_src 0
		.amdhsa_exception_fp_ieee_div_zero 0
		.amdhsa_exception_fp_ieee_overflow 0
		.amdhsa_exception_fp_ieee_underflow 0
		.amdhsa_exception_fp_ieee_inexact 0
		.amdhsa_exception_int_div_zero 0
	.end_amdhsa_kernel
	.section	.text._ZN7rocprim17ROCPRIM_400000_NS6detail17trampoline_kernelINS0_14default_configENS1_27scan_by_key_config_selectorIj11FixedVectorIiLj8EEEEZZNS1_16scan_by_key_implILNS1_25lookback_scan_determinismE0ELb1ES3_N6thrust23THRUST_200600_302600_NS6detail15normal_iteratorINSB_10device_ptrIjEEEENSD_INSE_IS6_EEEESI_S6_NSB_4plusIvEENSB_8equal_toIvEES6_EE10hipError_tPvRmT2_T3_T4_T5_mT6_T7_P12ihipStream_tbENKUlT_T0_E_clISt17integral_constantIbLb1EES13_EEDaSY_SZ_EUlSY_E_NS1_11comp_targetILNS1_3genE4ELNS1_11target_archE910ELNS1_3gpuE8ELNS1_3repE0EEENS1_30default_config_static_selectorELNS0_4arch9wavefront6targetE1EEEvT1_,"axG",@progbits,_ZN7rocprim17ROCPRIM_400000_NS6detail17trampoline_kernelINS0_14default_configENS1_27scan_by_key_config_selectorIj11FixedVectorIiLj8EEEEZZNS1_16scan_by_key_implILNS1_25lookback_scan_determinismE0ELb1ES3_N6thrust23THRUST_200600_302600_NS6detail15normal_iteratorINSB_10device_ptrIjEEEENSD_INSE_IS6_EEEESI_S6_NSB_4plusIvEENSB_8equal_toIvEES6_EE10hipError_tPvRmT2_T3_T4_T5_mT6_T7_P12ihipStream_tbENKUlT_T0_E_clISt17integral_constantIbLb1EES13_EEDaSY_SZ_EUlSY_E_NS1_11comp_targetILNS1_3genE4ELNS1_11target_archE910ELNS1_3gpuE8ELNS1_3repE0EEENS1_30default_config_static_selectorELNS0_4arch9wavefront6targetE1EEEvT1_,comdat
.Lfunc_end2170:
	.size	_ZN7rocprim17ROCPRIM_400000_NS6detail17trampoline_kernelINS0_14default_configENS1_27scan_by_key_config_selectorIj11FixedVectorIiLj8EEEEZZNS1_16scan_by_key_implILNS1_25lookback_scan_determinismE0ELb1ES3_N6thrust23THRUST_200600_302600_NS6detail15normal_iteratorINSB_10device_ptrIjEEEENSD_INSE_IS6_EEEESI_S6_NSB_4plusIvEENSB_8equal_toIvEES6_EE10hipError_tPvRmT2_T3_T4_T5_mT6_T7_P12ihipStream_tbENKUlT_T0_E_clISt17integral_constantIbLb1EES13_EEDaSY_SZ_EUlSY_E_NS1_11comp_targetILNS1_3genE4ELNS1_11target_archE910ELNS1_3gpuE8ELNS1_3repE0EEENS1_30default_config_static_selectorELNS0_4arch9wavefront6targetE1EEEvT1_, .Lfunc_end2170-_ZN7rocprim17ROCPRIM_400000_NS6detail17trampoline_kernelINS0_14default_configENS1_27scan_by_key_config_selectorIj11FixedVectorIiLj8EEEEZZNS1_16scan_by_key_implILNS1_25lookback_scan_determinismE0ELb1ES3_N6thrust23THRUST_200600_302600_NS6detail15normal_iteratorINSB_10device_ptrIjEEEENSD_INSE_IS6_EEEESI_S6_NSB_4plusIvEENSB_8equal_toIvEES6_EE10hipError_tPvRmT2_T3_T4_T5_mT6_T7_P12ihipStream_tbENKUlT_T0_E_clISt17integral_constantIbLb1EES13_EEDaSY_SZ_EUlSY_E_NS1_11comp_targetILNS1_3genE4ELNS1_11target_archE910ELNS1_3gpuE8ELNS1_3repE0EEENS1_30default_config_static_selectorELNS0_4arch9wavefront6targetE1EEEvT1_
                                        ; -- End function
	.section	.AMDGPU.csdata,"",@progbits
; Kernel info:
; codeLenInByte = 0
; NumSgprs: 6
; NumVgprs: 0
; NumAgprs: 0
; TotalNumVgprs: 0
; ScratchSize: 0
; MemoryBound: 0
; FloatMode: 240
; IeeeMode: 1
; LDSByteSize: 0 bytes/workgroup (compile time only)
; SGPRBlocks: 0
; VGPRBlocks: 0
; NumSGPRsForWavesPerEU: 6
; NumVGPRsForWavesPerEU: 1
; AccumOffset: 4
; Occupancy: 8
; WaveLimiterHint : 0
; COMPUTE_PGM_RSRC2:SCRATCH_EN: 0
; COMPUTE_PGM_RSRC2:USER_SGPR: 2
; COMPUTE_PGM_RSRC2:TRAP_HANDLER: 0
; COMPUTE_PGM_RSRC2:TGID_X_EN: 1
; COMPUTE_PGM_RSRC2:TGID_Y_EN: 0
; COMPUTE_PGM_RSRC2:TGID_Z_EN: 0
; COMPUTE_PGM_RSRC2:TIDIG_COMP_CNT: 0
; COMPUTE_PGM_RSRC3_GFX90A:ACCUM_OFFSET: 0
; COMPUTE_PGM_RSRC3_GFX90A:TG_SPLIT: 0
	.section	.text._ZN7rocprim17ROCPRIM_400000_NS6detail17trampoline_kernelINS0_14default_configENS1_27scan_by_key_config_selectorIj11FixedVectorIiLj8EEEEZZNS1_16scan_by_key_implILNS1_25lookback_scan_determinismE0ELb1ES3_N6thrust23THRUST_200600_302600_NS6detail15normal_iteratorINSB_10device_ptrIjEEEENSD_INSE_IS6_EEEESI_S6_NSB_4plusIvEENSB_8equal_toIvEES6_EE10hipError_tPvRmT2_T3_T4_T5_mT6_T7_P12ihipStream_tbENKUlT_T0_E_clISt17integral_constantIbLb1EES13_EEDaSY_SZ_EUlSY_E_NS1_11comp_targetILNS1_3genE3ELNS1_11target_archE908ELNS1_3gpuE7ELNS1_3repE0EEENS1_30default_config_static_selectorELNS0_4arch9wavefront6targetE1EEEvT1_,"axG",@progbits,_ZN7rocprim17ROCPRIM_400000_NS6detail17trampoline_kernelINS0_14default_configENS1_27scan_by_key_config_selectorIj11FixedVectorIiLj8EEEEZZNS1_16scan_by_key_implILNS1_25lookback_scan_determinismE0ELb1ES3_N6thrust23THRUST_200600_302600_NS6detail15normal_iteratorINSB_10device_ptrIjEEEENSD_INSE_IS6_EEEESI_S6_NSB_4plusIvEENSB_8equal_toIvEES6_EE10hipError_tPvRmT2_T3_T4_T5_mT6_T7_P12ihipStream_tbENKUlT_T0_E_clISt17integral_constantIbLb1EES13_EEDaSY_SZ_EUlSY_E_NS1_11comp_targetILNS1_3genE3ELNS1_11target_archE908ELNS1_3gpuE7ELNS1_3repE0EEENS1_30default_config_static_selectorELNS0_4arch9wavefront6targetE1EEEvT1_,comdat
	.protected	_ZN7rocprim17ROCPRIM_400000_NS6detail17trampoline_kernelINS0_14default_configENS1_27scan_by_key_config_selectorIj11FixedVectorIiLj8EEEEZZNS1_16scan_by_key_implILNS1_25lookback_scan_determinismE0ELb1ES3_N6thrust23THRUST_200600_302600_NS6detail15normal_iteratorINSB_10device_ptrIjEEEENSD_INSE_IS6_EEEESI_S6_NSB_4plusIvEENSB_8equal_toIvEES6_EE10hipError_tPvRmT2_T3_T4_T5_mT6_T7_P12ihipStream_tbENKUlT_T0_E_clISt17integral_constantIbLb1EES13_EEDaSY_SZ_EUlSY_E_NS1_11comp_targetILNS1_3genE3ELNS1_11target_archE908ELNS1_3gpuE7ELNS1_3repE0EEENS1_30default_config_static_selectorELNS0_4arch9wavefront6targetE1EEEvT1_ ; -- Begin function _ZN7rocprim17ROCPRIM_400000_NS6detail17trampoline_kernelINS0_14default_configENS1_27scan_by_key_config_selectorIj11FixedVectorIiLj8EEEEZZNS1_16scan_by_key_implILNS1_25lookback_scan_determinismE0ELb1ES3_N6thrust23THRUST_200600_302600_NS6detail15normal_iteratorINSB_10device_ptrIjEEEENSD_INSE_IS6_EEEESI_S6_NSB_4plusIvEENSB_8equal_toIvEES6_EE10hipError_tPvRmT2_T3_T4_T5_mT6_T7_P12ihipStream_tbENKUlT_T0_E_clISt17integral_constantIbLb1EES13_EEDaSY_SZ_EUlSY_E_NS1_11comp_targetILNS1_3genE3ELNS1_11target_archE908ELNS1_3gpuE7ELNS1_3repE0EEENS1_30default_config_static_selectorELNS0_4arch9wavefront6targetE1EEEvT1_
	.globl	_ZN7rocprim17ROCPRIM_400000_NS6detail17trampoline_kernelINS0_14default_configENS1_27scan_by_key_config_selectorIj11FixedVectorIiLj8EEEEZZNS1_16scan_by_key_implILNS1_25lookback_scan_determinismE0ELb1ES3_N6thrust23THRUST_200600_302600_NS6detail15normal_iteratorINSB_10device_ptrIjEEEENSD_INSE_IS6_EEEESI_S6_NSB_4plusIvEENSB_8equal_toIvEES6_EE10hipError_tPvRmT2_T3_T4_T5_mT6_T7_P12ihipStream_tbENKUlT_T0_E_clISt17integral_constantIbLb1EES13_EEDaSY_SZ_EUlSY_E_NS1_11comp_targetILNS1_3genE3ELNS1_11target_archE908ELNS1_3gpuE7ELNS1_3repE0EEENS1_30default_config_static_selectorELNS0_4arch9wavefront6targetE1EEEvT1_
	.p2align	8
	.type	_ZN7rocprim17ROCPRIM_400000_NS6detail17trampoline_kernelINS0_14default_configENS1_27scan_by_key_config_selectorIj11FixedVectorIiLj8EEEEZZNS1_16scan_by_key_implILNS1_25lookback_scan_determinismE0ELb1ES3_N6thrust23THRUST_200600_302600_NS6detail15normal_iteratorINSB_10device_ptrIjEEEENSD_INSE_IS6_EEEESI_S6_NSB_4plusIvEENSB_8equal_toIvEES6_EE10hipError_tPvRmT2_T3_T4_T5_mT6_T7_P12ihipStream_tbENKUlT_T0_E_clISt17integral_constantIbLb1EES13_EEDaSY_SZ_EUlSY_E_NS1_11comp_targetILNS1_3genE3ELNS1_11target_archE908ELNS1_3gpuE7ELNS1_3repE0EEENS1_30default_config_static_selectorELNS0_4arch9wavefront6targetE1EEEvT1_,@function
_ZN7rocprim17ROCPRIM_400000_NS6detail17trampoline_kernelINS0_14default_configENS1_27scan_by_key_config_selectorIj11FixedVectorIiLj8EEEEZZNS1_16scan_by_key_implILNS1_25lookback_scan_determinismE0ELb1ES3_N6thrust23THRUST_200600_302600_NS6detail15normal_iteratorINSB_10device_ptrIjEEEENSD_INSE_IS6_EEEESI_S6_NSB_4plusIvEENSB_8equal_toIvEES6_EE10hipError_tPvRmT2_T3_T4_T5_mT6_T7_P12ihipStream_tbENKUlT_T0_E_clISt17integral_constantIbLb1EES13_EEDaSY_SZ_EUlSY_E_NS1_11comp_targetILNS1_3genE3ELNS1_11target_archE908ELNS1_3gpuE7ELNS1_3repE0EEENS1_30default_config_static_selectorELNS0_4arch9wavefront6targetE1EEEvT1_: ; @_ZN7rocprim17ROCPRIM_400000_NS6detail17trampoline_kernelINS0_14default_configENS1_27scan_by_key_config_selectorIj11FixedVectorIiLj8EEEEZZNS1_16scan_by_key_implILNS1_25lookback_scan_determinismE0ELb1ES3_N6thrust23THRUST_200600_302600_NS6detail15normal_iteratorINSB_10device_ptrIjEEEENSD_INSE_IS6_EEEESI_S6_NSB_4plusIvEENSB_8equal_toIvEES6_EE10hipError_tPvRmT2_T3_T4_T5_mT6_T7_P12ihipStream_tbENKUlT_T0_E_clISt17integral_constantIbLb1EES13_EEDaSY_SZ_EUlSY_E_NS1_11comp_targetILNS1_3genE3ELNS1_11target_archE908ELNS1_3gpuE7ELNS1_3repE0EEENS1_30default_config_static_selectorELNS0_4arch9wavefront6targetE1EEEvT1_
; %bb.0:
	.section	.rodata,"a",@progbits
	.p2align	6, 0x0
	.amdhsa_kernel _ZN7rocprim17ROCPRIM_400000_NS6detail17trampoline_kernelINS0_14default_configENS1_27scan_by_key_config_selectorIj11FixedVectorIiLj8EEEEZZNS1_16scan_by_key_implILNS1_25lookback_scan_determinismE0ELb1ES3_N6thrust23THRUST_200600_302600_NS6detail15normal_iteratorINSB_10device_ptrIjEEEENSD_INSE_IS6_EEEESI_S6_NSB_4plusIvEENSB_8equal_toIvEES6_EE10hipError_tPvRmT2_T3_T4_T5_mT6_T7_P12ihipStream_tbENKUlT_T0_E_clISt17integral_constantIbLb1EES13_EEDaSY_SZ_EUlSY_E_NS1_11comp_targetILNS1_3genE3ELNS1_11target_archE908ELNS1_3gpuE7ELNS1_3repE0EEENS1_30default_config_static_selectorELNS0_4arch9wavefront6targetE1EEEvT1_
		.amdhsa_group_segment_fixed_size 0
		.amdhsa_private_segment_fixed_size 0
		.amdhsa_kernarg_size 160
		.amdhsa_user_sgpr_count 2
		.amdhsa_user_sgpr_dispatch_ptr 0
		.amdhsa_user_sgpr_queue_ptr 0
		.amdhsa_user_sgpr_kernarg_segment_ptr 1
		.amdhsa_user_sgpr_dispatch_id 0
		.amdhsa_user_sgpr_kernarg_preload_length 0
		.amdhsa_user_sgpr_kernarg_preload_offset 0
		.amdhsa_user_sgpr_private_segment_size 0
		.amdhsa_uses_dynamic_stack 0
		.amdhsa_enable_private_segment 0
		.amdhsa_system_sgpr_workgroup_id_x 1
		.amdhsa_system_sgpr_workgroup_id_y 0
		.amdhsa_system_sgpr_workgroup_id_z 0
		.amdhsa_system_sgpr_workgroup_info 0
		.amdhsa_system_vgpr_workitem_id 0
		.amdhsa_next_free_vgpr 1
		.amdhsa_next_free_sgpr 0
		.amdhsa_accum_offset 4
		.amdhsa_reserve_vcc 0
		.amdhsa_float_round_mode_32 0
		.amdhsa_float_round_mode_16_64 0
		.amdhsa_float_denorm_mode_32 3
		.amdhsa_float_denorm_mode_16_64 3
		.amdhsa_dx10_clamp 1
		.amdhsa_ieee_mode 1
		.amdhsa_fp16_overflow 0
		.amdhsa_tg_split 0
		.amdhsa_exception_fp_ieee_invalid_op 0
		.amdhsa_exception_fp_denorm_src 0
		.amdhsa_exception_fp_ieee_div_zero 0
		.amdhsa_exception_fp_ieee_overflow 0
		.amdhsa_exception_fp_ieee_underflow 0
		.amdhsa_exception_fp_ieee_inexact 0
		.amdhsa_exception_int_div_zero 0
	.end_amdhsa_kernel
	.section	.text._ZN7rocprim17ROCPRIM_400000_NS6detail17trampoline_kernelINS0_14default_configENS1_27scan_by_key_config_selectorIj11FixedVectorIiLj8EEEEZZNS1_16scan_by_key_implILNS1_25lookback_scan_determinismE0ELb1ES3_N6thrust23THRUST_200600_302600_NS6detail15normal_iteratorINSB_10device_ptrIjEEEENSD_INSE_IS6_EEEESI_S6_NSB_4plusIvEENSB_8equal_toIvEES6_EE10hipError_tPvRmT2_T3_T4_T5_mT6_T7_P12ihipStream_tbENKUlT_T0_E_clISt17integral_constantIbLb1EES13_EEDaSY_SZ_EUlSY_E_NS1_11comp_targetILNS1_3genE3ELNS1_11target_archE908ELNS1_3gpuE7ELNS1_3repE0EEENS1_30default_config_static_selectorELNS0_4arch9wavefront6targetE1EEEvT1_,"axG",@progbits,_ZN7rocprim17ROCPRIM_400000_NS6detail17trampoline_kernelINS0_14default_configENS1_27scan_by_key_config_selectorIj11FixedVectorIiLj8EEEEZZNS1_16scan_by_key_implILNS1_25lookback_scan_determinismE0ELb1ES3_N6thrust23THRUST_200600_302600_NS6detail15normal_iteratorINSB_10device_ptrIjEEEENSD_INSE_IS6_EEEESI_S6_NSB_4plusIvEENSB_8equal_toIvEES6_EE10hipError_tPvRmT2_T3_T4_T5_mT6_T7_P12ihipStream_tbENKUlT_T0_E_clISt17integral_constantIbLb1EES13_EEDaSY_SZ_EUlSY_E_NS1_11comp_targetILNS1_3genE3ELNS1_11target_archE908ELNS1_3gpuE7ELNS1_3repE0EEENS1_30default_config_static_selectorELNS0_4arch9wavefront6targetE1EEEvT1_,comdat
.Lfunc_end2171:
	.size	_ZN7rocprim17ROCPRIM_400000_NS6detail17trampoline_kernelINS0_14default_configENS1_27scan_by_key_config_selectorIj11FixedVectorIiLj8EEEEZZNS1_16scan_by_key_implILNS1_25lookback_scan_determinismE0ELb1ES3_N6thrust23THRUST_200600_302600_NS6detail15normal_iteratorINSB_10device_ptrIjEEEENSD_INSE_IS6_EEEESI_S6_NSB_4plusIvEENSB_8equal_toIvEES6_EE10hipError_tPvRmT2_T3_T4_T5_mT6_T7_P12ihipStream_tbENKUlT_T0_E_clISt17integral_constantIbLb1EES13_EEDaSY_SZ_EUlSY_E_NS1_11comp_targetILNS1_3genE3ELNS1_11target_archE908ELNS1_3gpuE7ELNS1_3repE0EEENS1_30default_config_static_selectorELNS0_4arch9wavefront6targetE1EEEvT1_, .Lfunc_end2171-_ZN7rocprim17ROCPRIM_400000_NS6detail17trampoline_kernelINS0_14default_configENS1_27scan_by_key_config_selectorIj11FixedVectorIiLj8EEEEZZNS1_16scan_by_key_implILNS1_25lookback_scan_determinismE0ELb1ES3_N6thrust23THRUST_200600_302600_NS6detail15normal_iteratorINSB_10device_ptrIjEEEENSD_INSE_IS6_EEEESI_S6_NSB_4plusIvEENSB_8equal_toIvEES6_EE10hipError_tPvRmT2_T3_T4_T5_mT6_T7_P12ihipStream_tbENKUlT_T0_E_clISt17integral_constantIbLb1EES13_EEDaSY_SZ_EUlSY_E_NS1_11comp_targetILNS1_3genE3ELNS1_11target_archE908ELNS1_3gpuE7ELNS1_3repE0EEENS1_30default_config_static_selectorELNS0_4arch9wavefront6targetE1EEEvT1_
                                        ; -- End function
	.section	.AMDGPU.csdata,"",@progbits
; Kernel info:
; codeLenInByte = 0
; NumSgprs: 6
; NumVgprs: 0
; NumAgprs: 0
; TotalNumVgprs: 0
; ScratchSize: 0
; MemoryBound: 0
; FloatMode: 240
; IeeeMode: 1
; LDSByteSize: 0 bytes/workgroup (compile time only)
; SGPRBlocks: 0
; VGPRBlocks: 0
; NumSGPRsForWavesPerEU: 6
; NumVGPRsForWavesPerEU: 1
; AccumOffset: 4
; Occupancy: 8
; WaveLimiterHint : 0
; COMPUTE_PGM_RSRC2:SCRATCH_EN: 0
; COMPUTE_PGM_RSRC2:USER_SGPR: 2
; COMPUTE_PGM_RSRC2:TRAP_HANDLER: 0
; COMPUTE_PGM_RSRC2:TGID_X_EN: 1
; COMPUTE_PGM_RSRC2:TGID_Y_EN: 0
; COMPUTE_PGM_RSRC2:TGID_Z_EN: 0
; COMPUTE_PGM_RSRC2:TIDIG_COMP_CNT: 0
; COMPUTE_PGM_RSRC3_GFX90A:ACCUM_OFFSET: 0
; COMPUTE_PGM_RSRC3_GFX90A:TG_SPLIT: 0
	.section	.text._ZN7rocprim17ROCPRIM_400000_NS6detail17trampoline_kernelINS0_14default_configENS1_27scan_by_key_config_selectorIj11FixedVectorIiLj8EEEEZZNS1_16scan_by_key_implILNS1_25lookback_scan_determinismE0ELb1ES3_N6thrust23THRUST_200600_302600_NS6detail15normal_iteratorINSB_10device_ptrIjEEEENSD_INSE_IS6_EEEESI_S6_NSB_4plusIvEENSB_8equal_toIvEES6_EE10hipError_tPvRmT2_T3_T4_T5_mT6_T7_P12ihipStream_tbENKUlT_T0_E_clISt17integral_constantIbLb1EES13_EEDaSY_SZ_EUlSY_E_NS1_11comp_targetILNS1_3genE2ELNS1_11target_archE906ELNS1_3gpuE6ELNS1_3repE0EEENS1_30default_config_static_selectorELNS0_4arch9wavefront6targetE1EEEvT1_,"axG",@progbits,_ZN7rocprim17ROCPRIM_400000_NS6detail17trampoline_kernelINS0_14default_configENS1_27scan_by_key_config_selectorIj11FixedVectorIiLj8EEEEZZNS1_16scan_by_key_implILNS1_25lookback_scan_determinismE0ELb1ES3_N6thrust23THRUST_200600_302600_NS6detail15normal_iteratorINSB_10device_ptrIjEEEENSD_INSE_IS6_EEEESI_S6_NSB_4plusIvEENSB_8equal_toIvEES6_EE10hipError_tPvRmT2_T3_T4_T5_mT6_T7_P12ihipStream_tbENKUlT_T0_E_clISt17integral_constantIbLb1EES13_EEDaSY_SZ_EUlSY_E_NS1_11comp_targetILNS1_3genE2ELNS1_11target_archE906ELNS1_3gpuE6ELNS1_3repE0EEENS1_30default_config_static_selectorELNS0_4arch9wavefront6targetE1EEEvT1_,comdat
	.protected	_ZN7rocprim17ROCPRIM_400000_NS6detail17trampoline_kernelINS0_14default_configENS1_27scan_by_key_config_selectorIj11FixedVectorIiLj8EEEEZZNS1_16scan_by_key_implILNS1_25lookback_scan_determinismE0ELb1ES3_N6thrust23THRUST_200600_302600_NS6detail15normal_iteratorINSB_10device_ptrIjEEEENSD_INSE_IS6_EEEESI_S6_NSB_4plusIvEENSB_8equal_toIvEES6_EE10hipError_tPvRmT2_T3_T4_T5_mT6_T7_P12ihipStream_tbENKUlT_T0_E_clISt17integral_constantIbLb1EES13_EEDaSY_SZ_EUlSY_E_NS1_11comp_targetILNS1_3genE2ELNS1_11target_archE906ELNS1_3gpuE6ELNS1_3repE0EEENS1_30default_config_static_selectorELNS0_4arch9wavefront6targetE1EEEvT1_ ; -- Begin function _ZN7rocprim17ROCPRIM_400000_NS6detail17trampoline_kernelINS0_14default_configENS1_27scan_by_key_config_selectorIj11FixedVectorIiLj8EEEEZZNS1_16scan_by_key_implILNS1_25lookback_scan_determinismE0ELb1ES3_N6thrust23THRUST_200600_302600_NS6detail15normal_iteratorINSB_10device_ptrIjEEEENSD_INSE_IS6_EEEESI_S6_NSB_4plusIvEENSB_8equal_toIvEES6_EE10hipError_tPvRmT2_T3_T4_T5_mT6_T7_P12ihipStream_tbENKUlT_T0_E_clISt17integral_constantIbLb1EES13_EEDaSY_SZ_EUlSY_E_NS1_11comp_targetILNS1_3genE2ELNS1_11target_archE906ELNS1_3gpuE6ELNS1_3repE0EEENS1_30default_config_static_selectorELNS0_4arch9wavefront6targetE1EEEvT1_
	.globl	_ZN7rocprim17ROCPRIM_400000_NS6detail17trampoline_kernelINS0_14default_configENS1_27scan_by_key_config_selectorIj11FixedVectorIiLj8EEEEZZNS1_16scan_by_key_implILNS1_25lookback_scan_determinismE0ELb1ES3_N6thrust23THRUST_200600_302600_NS6detail15normal_iteratorINSB_10device_ptrIjEEEENSD_INSE_IS6_EEEESI_S6_NSB_4plusIvEENSB_8equal_toIvEES6_EE10hipError_tPvRmT2_T3_T4_T5_mT6_T7_P12ihipStream_tbENKUlT_T0_E_clISt17integral_constantIbLb1EES13_EEDaSY_SZ_EUlSY_E_NS1_11comp_targetILNS1_3genE2ELNS1_11target_archE906ELNS1_3gpuE6ELNS1_3repE0EEENS1_30default_config_static_selectorELNS0_4arch9wavefront6targetE1EEEvT1_
	.p2align	8
	.type	_ZN7rocprim17ROCPRIM_400000_NS6detail17trampoline_kernelINS0_14default_configENS1_27scan_by_key_config_selectorIj11FixedVectorIiLj8EEEEZZNS1_16scan_by_key_implILNS1_25lookback_scan_determinismE0ELb1ES3_N6thrust23THRUST_200600_302600_NS6detail15normal_iteratorINSB_10device_ptrIjEEEENSD_INSE_IS6_EEEESI_S6_NSB_4plusIvEENSB_8equal_toIvEES6_EE10hipError_tPvRmT2_T3_T4_T5_mT6_T7_P12ihipStream_tbENKUlT_T0_E_clISt17integral_constantIbLb1EES13_EEDaSY_SZ_EUlSY_E_NS1_11comp_targetILNS1_3genE2ELNS1_11target_archE906ELNS1_3gpuE6ELNS1_3repE0EEENS1_30default_config_static_selectorELNS0_4arch9wavefront6targetE1EEEvT1_,@function
_ZN7rocprim17ROCPRIM_400000_NS6detail17trampoline_kernelINS0_14default_configENS1_27scan_by_key_config_selectorIj11FixedVectorIiLj8EEEEZZNS1_16scan_by_key_implILNS1_25lookback_scan_determinismE0ELb1ES3_N6thrust23THRUST_200600_302600_NS6detail15normal_iteratorINSB_10device_ptrIjEEEENSD_INSE_IS6_EEEESI_S6_NSB_4plusIvEENSB_8equal_toIvEES6_EE10hipError_tPvRmT2_T3_T4_T5_mT6_T7_P12ihipStream_tbENKUlT_T0_E_clISt17integral_constantIbLb1EES13_EEDaSY_SZ_EUlSY_E_NS1_11comp_targetILNS1_3genE2ELNS1_11target_archE906ELNS1_3gpuE6ELNS1_3repE0EEENS1_30default_config_static_selectorELNS0_4arch9wavefront6targetE1EEEvT1_: ; @_ZN7rocprim17ROCPRIM_400000_NS6detail17trampoline_kernelINS0_14default_configENS1_27scan_by_key_config_selectorIj11FixedVectorIiLj8EEEEZZNS1_16scan_by_key_implILNS1_25lookback_scan_determinismE0ELb1ES3_N6thrust23THRUST_200600_302600_NS6detail15normal_iteratorINSB_10device_ptrIjEEEENSD_INSE_IS6_EEEESI_S6_NSB_4plusIvEENSB_8equal_toIvEES6_EE10hipError_tPvRmT2_T3_T4_T5_mT6_T7_P12ihipStream_tbENKUlT_T0_E_clISt17integral_constantIbLb1EES13_EEDaSY_SZ_EUlSY_E_NS1_11comp_targetILNS1_3genE2ELNS1_11target_archE906ELNS1_3gpuE6ELNS1_3repE0EEENS1_30default_config_static_selectorELNS0_4arch9wavefront6targetE1EEEvT1_
; %bb.0:
	.section	.rodata,"a",@progbits
	.p2align	6, 0x0
	.amdhsa_kernel _ZN7rocprim17ROCPRIM_400000_NS6detail17trampoline_kernelINS0_14default_configENS1_27scan_by_key_config_selectorIj11FixedVectorIiLj8EEEEZZNS1_16scan_by_key_implILNS1_25lookback_scan_determinismE0ELb1ES3_N6thrust23THRUST_200600_302600_NS6detail15normal_iteratorINSB_10device_ptrIjEEEENSD_INSE_IS6_EEEESI_S6_NSB_4plusIvEENSB_8equal_toIvEES6_EE10hipError_tPvRmT2_T3_T4_T5_mT6_T7_P12ihipStream_tbENKUlT_T0_E_clISt17integral_constantIbLb1EES13_EEDaSY_SZ_EUlSY_E_NS1_11comp_targetILNS1_3genE2ELNS1_11target_archE906ELNS1_3gpuE6ELNS1_3repE0EEENS1_30default_config_static_selectorELNS0_4arch9wavefront6targetE1EEEvT1_
		.amdhsa_group_segment_fixed_size 0
		.amdhsa_private_segment_fixed_size 0
		.amdhsa_kernarg_size 160
		.amdhsa_user_sgpr_count 2
		.amdhsa_user_sgpr_dispatch_ptr 0
		.amdhsa_user_sgpr_queue_ptr 0
		.amdhsa_user_sgpr_kernarg_segment_ptr 1
		.amdhsa_user_sgpr_dispatch_id 0
		.amdhsa_user_sgpr_kernarg_preload_length 0
		.amdhsa_user_sgpr_kernarg_preload_offset 0
		.amdhsa_user_sgpr_private_segment_size 0
		.amdhsa_uses_dynamic_stack 0
		.amdhsa_enable_private_segment 0
		.amdhsa_system_sgpr_workgroup_id_x 1
		.amdhsa_system_sgpr_workgroup_id_y 0
		.amdhsa_system_sgpr_workgroup_id_z 0
		.amdhsa_system_sgpr_workgroup_info 0
		.amdhsa_system_vgpr_workitem_id 0
		.amdhsa_next_free_vgpr 1
		.amdhsa_next_free_sgpr 0
		.amdhsa_accum_offset 4
		.amdhsa_reserve_vcc 0
		.amdhsa_float_round_mode_32 0
		.amdhsa_float_round_mode_16_64 0
		.amdhsa_float_denorm_mode_32 3
		.amdhsa_float_denorm_mode_16_64 3
		.amdhsa_dx10_clamp 1
		.amdhsa_ieee_mode 1
		.amdhsa_fp16_overflow 0
		.amdhsa_tg_split 0
		.amdhsa_exception_fp_ieee_invalid_op 0
		.amdhsa_exception_fp_denorm_src 0
		.amdhsa_exception_fp_ieee_div_zero 0
		.amdhsa_exception_fp_ieee_overflow 0
		.amdhsa_exception_fp_ieee_underflow 0
		.amdhsa_exception_fp_ieee_inexact 0
		.amdhsa_exception_int_div_zero 0
	.end_amdhsa_kernel
	.section	.text._ZN7rocprim17ROCPRIM_400000_NS6detail17trampoline_kernelINS0_14default_configENS1_27scan_by_key_config_selectorIj11FixedVectorIiLj8EEEEZZNS1_16scan_by_key_implILNS1_25lookback_scan_determinismE0ELb1ES3_N6thrust23THRUST_200600_302600_NS6detail15normal_iteratorINSB_10device_ptrIjEEEENSD_INSE_IS6_EEEESI_S6_NSB_4plusIvEENSB_8equal_toIvEES6_EE10hipError_tPvRmT2_T3_T4_T5_mT6_T7_P12ihipStream_tbENKUlT_T0_E_clISt17integral_constantIbLb1EES13_EEDaSY_SZ_EUlSY_E_NS1_11comp_targetILNS1_3genE2ELNS1_11target_archE906ELNS1_3gpuE6ELNS1_3repE0EEENS1_30default_config_static_selectorELNS0_4arch9wavefront6targetE1EEEvT1_,"axG",@progbits,_ZN7rocprim17ROCPRIM_400000_NS6detail17trampoline_kernelINS0_14default_configENS1_27scan_by_key_config_selectorIj11FixedVectorIiLj8EEEEZZNS1_16scan_by_key_implILNS1_25lookback_scan_determinismE0ELb1ES3_N6thrust23THRUST_200600_302600_NS6detail15normal_iteratorINSB_10device_ptrIjEEEENSD_INSE_IS6_EEEESI_S6_NSB_4plusIvEENSB_8equal_toIvEES6_EE10hipError_tPvRmT2_T3_T4_T5_mT6_T7_P12ihipStream_tbENKUlT_T0_E_clISt17integral_constantIbLb1EES13_EEDaSY_SZ_EUlSY_E_NS1_11comp_targetILNS1_3genE2ELNS1_11target_archE906ELNS1_3gpuE6ELNS1_3repE0EEENS1_30default_config_static_selectorELNS0_4arch9wavefront6targetE1EEEvT1_,comdat
.Lfunc_end2172:
	.size	_ZN7rocprim17ROCPRIM_400000_NS6detail17trampoline_kernelINS0_14default_configENS1_27scan_by_key_config_selectorIj11FixedVectorIiLj8EEEEZZNS1_16scan_by_key_implILNS1_25lookback_scan_determinismE0ELb1ES3_N6thrust23THRUST_200600_302600_NS6detail15normal_iteratorINSB_10device_ptrIjEEEENSD_INSE_IS6_EEEESI_S6_NSB_4plusIvEENSB_8equal_toIvEES6_EE10hipError_tPvRmT2_T3_T4_T5_mT6_T7_P12ihipStream_tbENKUlT_T0_E_clISt17integral_constantIbLb1EES13_EEDaSY_SZ_EUlSY_E_NS1_11comp_targetILNS1_3genE2ELNS1_11target_archE906ELNS1_3gpuE6ELNS1_3repE0EEENS1_30default_config_static_selectorELNS0_4arch9wavefront6targetE1EEEvT1_, .Lfunc_end2172-_ZN7rocprim17ROCPRIM_400000_NS6detail17trampoline_kernelINS0_14default_configENS1_27scan_by_key_config_selectorIj11FixedVectorIiLj8EEEEZZNS1_16scan_by_key_implILNS1_25lookback_scan_determinismE0ELb1ES3_N6thrust23THRUST_200600_302600_NS6detail15normal_iteratorINSB_10device_ptrIjEEEENSD_INSE_IS6_EEEESI_S6_NSB_4plusIvEENSB_8equal_toIvEES6_EE10hipError_tPvRmT2_T3_T4_T5_mT6_T7_P12ihipStream_tbENKUlT_T0_E_clISt17integral_constantIbLb1EES13_EEDaSY_SZ_EUlSY_E_NS1_11comp_targetILNS1_3genE2ELNS1_11target_archE906ELNS1_3gpuE6ELNS1_3repE0EEENS1_30default_config_static_selectorELNS0_4arch9wavefront6targetE1EEEvT1_
                                        ; -- End function
	.section	.AMDGPU.csdata,"",@progbits
; Kernel info:
; codeLenInByte = 0
; NumSgprs: 6
; NumVgprs: 0
; NumAgprs: 0
; TotalNumVgprs: 0
; ScratchSize: 0
; MemoryBound: 0
; FloatMode: 240
; IeeeMode: 1
; LDSByteSize: 0 bytes/workgroup (compile time only)
; SGPRBlocks: 0
; VGPRBlocks: 0
; NumSGPRsForWavesPerEU: 6
; NumVGPRsForWavesPerEU: 1
; AccumOffset: 4
; Occupancy: 8
; WaveLimiterHint : 0
; COMPUTE_PGM_RSRC2:SCRATCH_EN: 0
; COMPUTE_PGM_RSRC2:USER_SGPR: 2
; COMPUTE_PGM_RSRC2:TRAP_HANDLER: 0
; COMPUTE_PGM_RSRC2:TGID_X_EN: 1
; COMPUTE_PGM_RSRC2:TGID_Y_EN: 0
; COMPUTE_PGM_RSRC2:TGID_Z_EN: 0
; COMPUTE_PGM_RSRC2:TIDIG_COMP_CNT: 0
; COMPUTE_PGM_RSRC3_GFX90A:ACCUM_OFFSET: 0
; COMPUTE_PGM_RSRC3_GFX90A:TG_SPLIT: 0
	.section	.text._ZN7rocprim17ROCPRIM_400000_NS6detail17trampoline_kernelINS0_14default_configENS1_27scan_by_key_config_selectorIj11FixedVectorIiLj8EEEEZZNS1_16scan_by_key_implILNS1_25lookback_scan_determinismE0ELb1ES3_N6thrust23THRUST_200600_302600_NS6detail15normal_iteratorINSB_10device_ptrIjEEEENSD_INSE_IS6_EEEESI_S6_NSB_4plusIvEENSB_8equal_toIvEES6_EE10hipError_tPvRmT2_T3_T4_T5_mT6_T7_P12ihipStream_tbENKUlT_T0_E_clISt17integral_constantIbLb1EES13_EEDaSY_SZ_EUlSY_E_NS1_11comp_targetILNS1_3genE10ELNS1_11target_archE1200ELNS1_3gpuE4ELNS1_3repE0EEENS1_30default_config_static_selectorELNS0_4arch9wavefront6targetE1EEEvT1_,"axG",@progbits,_ZN7rocprim17ROCPRIM_400000_NS6detail17trampoline_kernelINS0_14default_configENS1_27scan_by_key_config_selectorIj11FixedVectorIiLj8EEEEZZNS1_16scan_by_key_implILNS1_25lookback_scan_determinismE0ELb1ES3_N6thrust23THRUST_200600_302600_NS6detail15normal_iteratorINSB_10device_ptrIjEEEENSD_INSE_IS6_EEEESI_S6_NSB_4plusIvEENSB_8equal_toIvEES6_EE10hipError_tPvRmT2_T3_T4_T5_mT6_T7_P12ihipStream_tbENKUlT_T0_E_clISt17integral_constantIbLb1EES13_EEDaSY_SZ_EUlSY_E_NS1_11comp_targetILNS1_3genE10ELNS1_11target_archE1200ELNS1_3gpuE4ELNS1_3repE0EEENS1_30default_config_static_selectorELNS0_4arch9wavefront6targetE1EEEvT1_,comdat
	.protected	_ZN7rocprim17ROCPRIM_400000_NS6detail17trampoline_kernelINS0_14default_configENS1_27scan_by_key_config_selectorIj11FixedVectorIiLj8EEEEZZNS1_16scan_by_key_implILNS1_25lookback_scan_determinismE0ELb1ES3_N6thrust23THRUST_200600_302600_NS6detail15normal_iteratorINSB_10device_ptrIjEEEENSD_INSE_IS6_EEEESI_S6_NSB_4plusIvEENSB_8equal_toIvEES6_EE10hipError_tPvRmT2_T3_T4_T5_mT6_T7_P12ihipStream_tbENKUlT_T0_E_clISt17integral_constantIbLb1EES13_EEDaSY_SZ_EUlSY_E_NS1_11comp_targetILNS1_3genE10ELNS1_11target_archE1200ELNS1_3gpuE4ELNS1_3repE0EEENS1_30default_config_static_selectorELNS0_4arch9wavefront6targetE1EEEvT1_ ; -- Begin function _ZN7rocprim17ROCPRIM_400000_NS6detail17trampoline_kernelINS0_14default_configENS1_27scan_by_key_config_selectorIj11FixedVectorIiLj8EEEEZZNS1_16scan_by_key_implILNS1_25lookback_scan_determinismE0ELb1ES3_N6thrust23THRUST_200600_302600_NS6detail15normal_iteratorINSB_10device_ptrIjEEEENSD_INSE_IS6_EEEESI_S6_NSB_4plusIvEENSB_8equal_toIvEES6_EE10hipError_tPvRmT2_T3_T4_T5_mT6_T7_P12ihipStream_tbENKUlT_T0_E_clISt17integral_constantIbLb1EES13_EEDaSY_SZ_EUlSY_E_NS1_11comp_targetILNS1_3genE10ELNS1_11target_archE1200ELNS1_3gpuE4ELNS1_3repE0EEENS1_30default_config_static_selectorELNS0_4arch9wavefront6targetE1EEEvT1_
	.globl	_ZN7rocprim17ROCPRIM_400000_NS6detail17trampoline_kernelINS0_14default_configENS1_27scan_by_key_config_selectorIj11FixedVectorIiLj8EEEEZZNS1_16scan_by_key_implILNS1_25lookback_scan_determinismE0ELb1ES3_N6thrust23THRUST_200600_302600_NS6detail15normal_iteratorINSB_10device_ptrIjEEEENSD_INSE_IS6_EEEESI_S6_NSB_4plusIvEENSB_8equal_toIvEES6_EE10hipError_tPvRmT2_T3_T4_T5_mT6_T7_P12ihipStream_tbENKUlT_T0_E_clISt17integral_constantIbLb1EES13_EEDaSY_SZ_EUlSY_E_NS1_11comp_targetILNS1_3genE10ELNS1_11target_archE1200ELNS1_3gpuE4ELNS1_3repE0EEENS1_30default_config_static_selectorELNS0_4arch9wavefront6targetE1EEEvT1_
	.p2align	8
	.type	_ZN7rocprim17ROCPRIM_400000_NS6detail17trampoline_kernelINS0_14default_configENS1_27scan_by_key_config_selectorIj11FixedVectorIiLj8EEEEZZNS1_16scan_by_key_implILNS1_25lookback_scan_determinismE0ELb1ES3_N6thrust23THRUST_200600_302600_NS6detail15normal_iteratorINSB_10device_ptrIjEEEENSD_INSE_IS6_EEEESI_S6_NSB_4plusIvEENSB_8equal_toIvEES6_EE10hipError_tPvRmT2_T3_T4_T5_mT6_T7_P12ihipStream_tbENKUlT_T0_E_clISt17integral_constantIbLb1EES13_EEDaSY_SZ_EUlSY_E_NS1_11comp_targetILNS1_3genE10ELNS1_11target_archE1200ELNS1_3gpuE4ELNS1_3repE0EEENS1_30default_config_static_selectorELNS0_4arch9wavefront6targetE1EEEvT1_,@function
_ZN7rocprim17ROCPRIM_400000_NS6detail17trampoline_kernelINS0_14default_configENS1_27scan_by_key_config_selectorIj11FixedVectorIiLj8EEEEZZNS1_16scan_by_key_implILNS1_25lookback_scan_determinismE0ELb1ES3_N6thrust23THRUST_200600_302600_NS6detail15normal_iteratorINSB_10device_ptrIjEEEENSD_INSE_IS6_EEEESI_S6_NSB_4plusIvEENSB_8equal_toIvEES6_EE10hipError_tPvRmT2_T3_T4_T5_mT6_T7_P12ihipStream_tbENKUlT_T0_E_clISt17integral_constantIbLb1EES13_EEDaSY_SZ_EUlSY_E_NS1_11comp_targetILNS1_3genE10ELNS1_11target_archE1200ELNS1_3gpuE4ELNS1_3repE0EEENS1_30default_config_static_selectorELNS0_4arch9wavefront6targetE1EEEvT1_: ; @_ZN7rocprim17ROCPRIM_400000_NS6detail17trampoline_kernelINS0_14default_configENS1_27scan_by_key_config_selectorIj11FixedVectorIiLj8EEEEZZNS1_16scan_by_key_implILNS1_25lookback_scan_determinismE0ELb1ES3_N6thrust23THRUST_200600_302600_NS6detail15normal_iteratorINSB_10device_ptrIjEEEENSD_INSE_IS6_EEEESI_S6_NSB_4plusIvEENSB_8equal_toIvEES6_EE10hipError_tPvRmT2_T3_T4_T5_mT6_T7_P12ihipStream_tbENKUlT_T0_E_clISt17integral_constantIbLb1EES13_EEDaSY_SZ_EUlSY_E_NS1_11comp_targetILNS1_3genE10ELNS1_11target_archE1200ELNS1_3gpuE4ELNS1_3repE0EEENS1_30default_config_static_selectorELNS0_4arch9wavefront6targetE1EEEvT1_
; %bb.0:
	.section	.rodata,"a",@progbits
	.p2align	6, 0x0
	.amdhsa_kernel _ZN7rocprim17ROCPRIM_400000_NS6detail17trampoline_kernelINS0_14default_configENS1_27scan_by_key_config_selectorIj11FixedVectorIiLj8EEEEZZNS1_16scan_by_key_implILNS1_25lookback_scan_determinismE0ELb1ES3_N6thrust23THRUST_200600_302600_NS6detail15normal_iteratorINSB_10device_ptrIjEEEENSD_INSE_IS6_EEEESI_S6_NSB_4plusIvEENSB_8equal_toIvEES6_EE10hipError_tPvRmT2_T3_T4_T5_mT6_T7_P12ihipStream_tbENKUlT_T0_E_clISt17integral_constantIbLb1EES13_EEDaSY_SZ_EUlSY_E_NS1_11comp_targetILNS1_3genE10ELNS1_11target_archE1200ELNS1_3gpuE4ELNS1_3repE0EEENS1_30default_config_static_selectorELNS0_4arch9wavefront6targetE1EEEvT1_
		.amdhsa_group_segment_fixed_size 0
		.amdhsa_private_segment_fixed_size 0
		.amdhsa_kernarg_size 160
		.amdhsa_user_sgpr_count 2
		.amdhsa_user_sgpr_dispatch_ptr 0
		.amdhsa_user_sgpr_queue_ptr 0
		.amdhsa_user_sgpr_kernarg_segment_ptr 1
		.amdhsa_user_sgpr_dispatch_id 0
		.amdhsa_user_sgpr_kernarg_preload_length 0
		.amdhsa_user_sgpr_kernarg_preload_offset 0
		.amdhsa_user_sgpr_private_segment_size 0
		.amdhsa_uses_dynamic_stack 0
		.amdhsa_enable_private_segment 0
		.amdhsa_system_sgpr_workgroup_id_x 1
		.amdhsa_system_sgpr_workgroup_id_y 0
		.amdhsa_system_sgpr_workgroup_id_z 0
		.amdhsa_system_sgpr_workgroup_info 0
		.amdhsa_system_vgpr_workitem_id 0
		.amdhsa_next_free_vgpr 1
		.amdhsa_next_free_sgpr 0
		.amdhsa_accum_offset 4
		.amdhsa_reserve_vcc 0
		.amdhsa_float_round_mode_32 0
		.amdhsa_float_round_mode_16_64 0
		.amdhsa_float_denorm_mode_32 3
		.amdhsa_float_denorm_mode_16_64 3
		.amdhsa_dx10_clamp 1
		.amdhsa_ieee_mode 1
		.amdhsa_fp16_overflow 0
		.amdhsa_tg_split 0
		.amdhsa_exception_fp_ieee_invalid_op 0
		.amdhsa_exception_fp_denorm_src 0
		.amdhsa_exception_fp_ieee_div_zero 0
		.amdhsa_exception_fp_ieee_overflow 0
		.amdhsa_exception_fp_ieee_underflow 0
		.amdhsa_exception_fp_ieee_inexact 0
		.amdhsa_exception_int_div_zero 0
	.end_amdhsa_kernel
	.section	.text._ZN7rocprim17ROCPRIM_400000_NS6detail17trampoline_kernelINS0_14default_configENS1_27scan_by_key_config_selectorIj11FixedVectorIiLj8EEEEZZNS1_16scan_by_key_implILNS1_25lookback_scan_determinismE0ELb1ES3_N6thrust23THRUST_200600_302600_NS6detail15normal_iteratorINSB_10device_ptrIjEEEENSD_INSE_IS6_EEEESI_S6_NSB_4plusIvEENSB_8equal_toIvEES6_EE10hipError_tPvRmT2_T3_T4_T5_mT6_T7_P12ihipStream_tbENKUlT_T0_E_clISt17integral_constantIbLb1EES13_EEDaSY_SZ_EUlSY_E_NS1_11comp_targetILNS1_3genE10ELNS1_11target_archE1200ELNS1_3gpuE4ELNS1_3repE0EEENS1_30default_config_static_selectorELNS0_4arch9wavefront6targetE1EEEvT1_,"axG",@progbits,_ZN7rocprim17ROCPRIM_400000_NS6detail17trampoline_kernelINS0_14default_configENS1_27scan_by_key_config_selectorIj11FixedVectorIiLj8EEEEZZNS1_16scan_by_key_implILNS1_25lookback_scan_determinismE0ELb1ES3_N6thrust23THRUST_200600_302600_NS6detail15normal_iteratorINSB_10device_ptrIjEEEENSD_INSE_IS6_EEEESI_S6_NSB_4plusIvEENSB_8equal_toIvEES6_EE10hipError_tPvRmT2_T3_T4_T5_mT6_T7_P12ihipStream_tbENKUlT_T0_E_clISt17integral_constantIbLb1EES13_EEDaSY_SZ_EUlSY_E_NS1_11comp_targetILNS1_3genE10ELNS1_11target_archE1200ELNS1_3gpuE4ELNS1_3repE0EEENS1_30default_config_static_selectorELNS0_4arch9wavefront6targetE1EEEvT1_,comdat
.Lfunc_end2173:
	.size	_ZN7rocprim17ROCPRIM_400000_NS6detail17trampoline_kernelINS0_14default_configENS1_27scan_by_key_config_selectorIj11FixedVectorIiLj8EEEEZZNS1_16scan_by_key_implILNS1_25lookback_scan_determinismE0ELb1ES3_N6thrust23THRUST_200600_302600_NS6detail15normal_iteratorINSB_10device_ptrIjEEEENSD_INSE_IS6_EEEESI_S6_NSB_4plusIvEENSB_8equal_toIvEES6_EE10hipError_tPvRmT2_T3_T4_T5_mT6_T7_P12ihipStream_tbENKUlT_T0_E_clISt17integral_constantIbLb1EES13_EEDaSY_SZ_EUlSY_E_NS1_11comp_targetILNS1_3genE10ELNS1_11target_archE1200ELNS1_3gpuE4ELNS1_3repE0EEENS1_30default_config_static_selectorELNS0_4arch9wavefront6targetE1EEEvT1_, .Lfunc_end2173-_ZN7rocprim17ROCPRIM_400000_NS6detail17trampoline_kernelINS0_14default_configENS1_27scan_by_key_config_selectorIj11FixedVectorIiLj8EEEEZZNS1_16scan_by_key_implILNS1_25lookback_scan_determinismE0ELb1ES3_N6thrust23THRUST_200600_302600_NS6detail15normal_iteratorINSB_10device_ptrIjEEEENSD_INSE_IS6_EEEESI_S6_NSB_4plusIvEENSB_8equal_toIvEES6_EE10hipError_tPvRmT2_T3_T4_T5_mT6_T7_P12ihipStream_tbENKUlT_T0_E_clISt17integral_constantIbLb1EES13_EEDaSY_SZ_EUlSY_E_NS1_11comp_targetILNS1_3genE10ELNS1_11target_archE1200ELNS1_3gpuE4ELNS1_3repE0EEENS1_30default_config_static_selectorELNS0_4arch9wavefront6targetE1EEEvT1_
                                        ; -- End function
	.section	.AMDGPU.csdata,"",@progbits
; Kernel info:
; codeLenInByte = 0
; NumSgprs: 6
; NumVgprs: 0
; NumAgprs: 0
; TotalNumVgprs: 0
; ScratchSize: 0
; MemoryBound: 0
; FloatMode: 240
; IeeeMode: 1
; LDSByteSize: 0 bytes/workgroup (compile time only)
; SGPRBlocks: 0
; VGPRBlocks: 0
; NumSGPRsForWavesPerEU: 6
; NumVGPRsForWavesPerEU: 1
; AccumOffset: 4
; Occupancy: 8
; WaveLimiterHint : 0
; COMPUTE_PGM_RSRC2:SCRATCH_EN: 0
; COMPUTE_PGM_RSRC2:USER_SGPR: 2
; COMPUTE_PGM_RSRC2:TRAP_HANDLER: 0
; COMPUTE_PGM_RSRC2:TGID_X_EN: 1
; COMPUTE_PGM_RSRC2:TGID_Y_EN: 0
; COMPUTE_PGM_RSRC2:TGID_Z_EN: 0
; COMPUTE_PGM_RSRC2:TIDIG_COMP_CNT: 0
; COMPUTE_PGM_RSRC3_GFX90A:ACCUM_OFFSET: 0
; COMPUTE_PGM_RSRC3_GFX90A:TG_SPLIT: 0
	.section	.text._ZN7rocprim17ROCPRIM_400000_NS6detail17trampoline_kernelINS0_14default_configENS1_27scan_by_key_config_selectorIj11FixedVectorIiLj8EEEEZZNS1_16scan_by_key_implILNS1_25lookback_scan_determinismE0ELb1ES3_N6thrust23THRUST_200600_302600_NS6detail15normal_iteratorINSB_10device_ptrIjEEEENSD_INSE_IS6_EEEESI_S6_NSB_4plusIvEENSB_8equal_toIvEES6_EE10hipError_tPvRmT2_T3_T4_T5_mT6_T7_P12ihipStream_tbENKUlT_T0_E_clISt17integral_constantIbLb1EES13_EEDaSY_SZ_EUlSY_E_NS1_11comp_targetILNS1_3genE9ELNS1_11target_archE1100ELNS1_3gpuE3ELNS1_3repE0EEENS1_30default_config_static_selectorELNS0_4arch9wavefront6targetE1EEEvT1_,"axG",@progbits,_ZN7rocprim17ROCPRIM_400000_NS6detail17trampoline_kernelINS0_14default_configENS1_27scan_by_key_config_selectorIj11FixedVectorIiLj8EEEEZZNS1_16scan_by_key_implILNS1_25lookback_scan_determinismE0ELb1ES3_N6thrust23THRUST_200600_302600_NS6detail15normal_iteratorINSB_10device_ptrIjEEEENSD_INSE_IS6_EEEESI_S6_NSB_4plusIvEENSB_8equal_toIvEES6_EE10hipError_tPvRmT2_T3_T4_T5_mT6_T7_P12ihipStream_tbENKUlT_T0_E_clISt17integral_constantIbLb1EES13_EEDaSY_SZ_EUlSY_E_NS1_11comp_targetILNS1_3genE9ELNS1_11target_archE1100ELNS1_3gpuE3ELNS1_3repE0EEENS1_30default_config_static_selectorELNS0_4arch9wavefront6targetE1EEEvT1_,comdat
	.protected	_ZN7rocprim17ROCPRIM_400000_NS6detail17trampoline_kernelINS0_14default_configENS1_27scan_by_key_config_selectorIj11FixedVectorIiLj8EEEEZZNS1_16scan_by_key_implILNS1_25lookback_scan_determinismE0ELb1ES3_N6thrust23THRUST_200600_302600_NS6detail15normal_iteratorINSB_10device_ptrIjEEEENSD_INSE_IS6_EEEESI_S6_NSB_4plusIvEENSB_8equal_toIvEES6_EE10hipError_tPvRmT2_T3_T4_T5_mT6_T7_P12ihipStream_tbENKUlT_T0_E_clISt17integral_constantIbLb1EES13_EEDaSY_SZ_EUlSY_E_NS1_11comp_targetILNS1_3genE9ELNS1_11target_archE1100ELNS1_3gpuE3ELNS1_3repE0EEENS1_30default_config_static_selectorELNS0_4arch9wavefront6targetE1EEEvT1_ ; -- Begin function _ZN7rocprim17ROCPRIM_400000_NS6detail17trampoline_kernelINS0_14default_configENS1_27scan_by_key_config_selectorIj11FixedVectorIiLj8EEEEZZNS1_16scan_by_key_implILNS1_25lookback_scan_determinismE0ELb1ES3_N6thrust23THRUST_200600_302600_NS6detail15normal_iteratorINSB_10device_ptrIjEEEENSD_INSE_IS6_EEEESI_S6_NSB_4plusIvEENSB_8equal_toIvEES6_EE10hipError_tPvRmT2_T3_T4_T5_mT6_T7_P12ihipStream_tbENKUlT_T0_E_clISt17integral_constantIbLb1EES13_EEDaSY_SZ_EUlSY_E_NS1_11comp_targetILNS1_3genE9ELNS1_11target_archE1100ELNS1_3gpuE3ELNS1_3repE0EEENS1_30default_config_static_selectorELNS0_4arch9wavefront6targetE1EEEvT1_
	.globl	_ZN7rocprim17ROCPRIM_400000_NS6detail17trampoline_kernelINS0_14default_configENS1_27scan_by_key_config_selectorIj11FixedVectorIiLj8EEEEZZNS1_16scan_by_key_implILNS1_25lookback_scan_determinismE0ELb1ES3_N6thrust23THRUST_200600_302600_NS6detail15normal_iteratorINSB_10device_ptrIjEEEENSD_INSE_IS6_EEEESI_S6_NSB_4plusIvEENSB_8equal_toIvEES6_EE10hipError_tPvRmT2_T3_T4_T5_mT6_T7_P12ihipStream_tbENKUlT_T0_E_clISt17integral_constantIbLb1EES13_EEDaSY_SZ_EUlSY_E_NS1_11comp_targetILNS1_3genE9ELNS1_11target_archE1100ELNS1_3gpuE3ELNS1_3repE0EEENS1_30default_config_static_selectorELNS0_4arch9wavefront6targetE1EEEvT1_
	.p2align	8
	.type	_ZN7rocprim17ROCPRIM_400000_NS6detail17trampoline_kernelINS0_14default_configENS1_27scan_by_key_config_selectorIj11FixedVectorIiLj8EEEEZZNS1_16scan_by_key_implILNS1_25lookback_scan_determinismE0ELb1ES3_N6thrust23THRUST_200600_302600_NS6detail15normal_iteratorINSB_10device_ptrIjEEEENSD_INSE_IS6_EEEESI_S6_NSB_4plusIvEENSB_8equal_toIvEES6_EE10hipError_tPvRmT2_T3_T4_T5_mT6_T7_P12ihipStream_tbENKUlT_T0_E_clISt17integral_constantIbLb1EES13_EEDaSY_SZ_EUlSY_E_NS1_11comp_targetILNS1_3genE9ELNS1_11target_archE1100ELNS1_3gpuE3ELNS1_3repE0EEENS1_30default_config_static_selectorELNS0_4arch9wavefront6targetE1EEEvT1_,@function
_ZN7rocprim17ROCPRIM_400000_NS6detail17trampoline_kernelINS0_14default_configENS1_27scan_by_key_config_selectorIj11FixedVectorIiLj8EEEEZZNS1_16scan_by_key_implILNS1_25lookback_scan_determinismE0ELb1ES3_N6thrust23THRUST_200600_302600_NS6detail15normal_iteratorINSB_10device_ptrIjEEEENSD_INSE_IS6_EEEESI_S6_NSB_4plusIvEENSB_8equal_toIvEES6_EE10hipError_tPvRmT2_T3_T4_T5_mT6_T7_P12ihipStream_tbENKUlT_T0_E_clISt17integral_constantIbLb1EES13_EEDaSY_SZ_EUlSY_E_NS1_11comp_targetILNS1_3genE9ELNS1_11target_archE1100ELNS1_3gpuE3ELNS1_3repE0EEENS1_30default_config_static_selectorELNS0_4arch9wavefront6targetE1EEEvT1_: ; @_ZN7rocprim17ROCPRIM_400000_NS6detail17trampoline_kernelINS0_14default_configENS1_27scan_by_key_config_selectorIj11FixedVectorIiLj8EEEEZZNS1_16scan_by_key_implILNS1_25lookback_scan_determinismE0ELb1ES3_N6thrust23THRUST_200600_302600_NS6detail15normal_iteratorINSB_10device_ptrIjEEEENSD_INSE_IS6_EEEESI_S6_NSB_4plusIvEENSB_8equal_toIvEES6_EE10hipError_tPvRmT2_T3_T4_T5_mT6_T7_P12ihipStream_tbENKUlT_T0_E_clISt17integral_constantIbLb1EES13_EEDaSY_SZ_EUlSY_E_NS1_11comp_targetILNS1_3genE9ELNS1_11target_archE1100ELNS1_3gpuE3ELNS1_3repE0EEENS1_30default_config_static_selectorELNS0_4arch9wavefront6targetE1EEEvT1_
; %bb.0:
	.section	.rodata,"a",@progbits
	.p2align	6, 0x0
	.amdhsa_kernel _ZN7rocprim17ROCPRIM_400000_NS6detail17trampoline_kernelINS0_14default_configENS1_27scan_by_key_config_selectorIj11FixedVectorIiLj8EEEEZZNS1_16scan_by_key_implILNS1_25lookback_scan_determinismE0ELb1ES3_N6thrust23THRUST_200600_302600_NS6detail15normal_iteratorINSB_10device_ptrIjEEEENSD_INSE_IS6_EEEESI_S6_NSB_4plusIvEENSB_8equal_toIvEES6_EE10hipError_tPvRmT2_T3_T4_T5_mT6_T7_P12ihipStream_tbENKUlT_T0_E_clISt17integral_constantIbLb1EES13_EEDaSY_SZ_EUlSY_E_NS1_11comp_targetILNS1_3genE9ELNS1_11target_archE1100ELNS1_3gpuE3ELNS1_3repE0EEENS1_30default_config_static_selectorELNS0_4arch9wavefront6targetE1EEEvT1_
		.amdhsa_group_segment_fixed_size 0
		.amdhsa_private_segment_fixed_size 0
		.amdhsa_kernarg_size 160
		.amdhsa_user_sgpr_count 2
		.amdhsa_user_sgpr_dispatch_ptr 0
		.amdhsa_user_sgpr_queue_ptr 0
		.amdhsa_user_sgpr_kernarg_segment_ptr 1
		.amdhsa_user_sgpr_dispatch_id 0
		.amdhsa_user_sgpr_kernarg_preload_length 0
		.amdhsa_user_sgpr_kernarg_preload_offset 0
		.amdhsa_user_sgpr_private_segment_size 0
		.amdhsa_uses_dynamic_stack 0
		.amdhsa_enable_private_segment 0
		.amdhsa_system_sgpr_workgroup_id_x 1
		.amdhsa_system_sgpr_workgroup_id_y 0
		.amdhsa_system_sgpr_workgroup_id_z 0
		.amdhsa_system_sgpr_workgroup_info 0
		.amdhsa_system_vgpr_workitem_id 0
		.amdhsa_next_free_vgpr 1
		.amdhsa_next_free_sgpr 0
		.amdhsa_accum_offset 4
		.amdhsa_reserve_vcc 0
		.amdhsa_float_round_mode_32 0
		.amdhsa_float_round_mode_16_64 0
		.amdhsa_float_denorm_mode_32 3
		.amdhsa_float_denorm_mode_16_64 3
		.amdhsa_dx10_clamp 1
		.amdhsa_ieee_mode 1
		.amdhsa_fp16_overflow 0
		.amdhsa_tg_split 0
		.amdhsa_exception_fp_ieee_invalid_op 0
		.amdhsa_exception_fp_denorm_src 0
		.amdhsa_exception_fp_ieee_div_zero 0
		.amdhsa_exception_fp_ieee_overflow 0
		.amdhsa_exception_fp_ieee_underflow 0
		.amdhsa_exception_fp_ieee_inexact 0
		.amdhsa_exception_int_div_zero 0
	.end_amdhsa_kernel
	.section	.text._ZN7rocprim17ROCPRIM_400000_NS6detail17trampoline_kernelINS0_14default_configENS1_27scan_by_key_config_selectorIj11FixedVectorIiLj8EEEEZZNS1_16scan_by_key_implILNS1_25lookback_scan_determinismE0ELb1ES3_N6thrust23THRUST_200600_302600_NS6detail15normal_iteratorINSB_10device_ptrIjEEEENSD_INSE_IS6_EEEESI_S6_NSB_4plusIvEENSB_8equal_toIvEES6_EE10hipError_tPvRmT2_T3_T4_T5_mT6_T7_P12ihipStream_tbENKUlT_T0_E_clISt17integral_constantIbLb1EES13_EEDaSY_SZ_EUlSY_E_NS1_11comp_targetILNS1_3genE9ELNS1_11target_archE1100ELNS1_3gpuE3ELNS1_3repE0EEENS1_30default_config_static_selectorELNS0_4arch9wavefront6targetE1EEEvT1_,"axG",@progbits,_ZN7rocprim17ROCPRIM_400000_NS6detail17trampoline_kernelINS0_14default_configENS1_27scan_by_key_config_selectorIj11FixedVectorIiLj8EEEEZZNS1_16scan_by_key_implILNS1_25lookback_scan_determinismE0ELb1ES3_N6thrust23THRUST_200600_302600_NS6detail15normal_iteratorINSB_10device_ptrIjEEEENSD_INSE_IS6_EEEESI_S6_NSB_4plusIvEENSB_8equal_toIvEES6_EE10hipError_tPvRmT2_T3_T4_T5_mT6_T7_P12ihipStream_tbENKUlT_T0_E_clISt17integral_constantIbLb1EES13_EEDaSY_SZ_EUlSY_E_NS1_11comp_targetILNS1_3genE9ELNS1_11target_archE1100ELNS1_3gpuE3ELNS1_3repE0EEENS1_30default_config_static_selectorELNS0_4arch9wavefront6targetE1EEEvT1_,comdat
.Lfunc_end2174:
	.size	_ZN7rocprim17ROCPRIM_400000_NS6detail17trampoline_kernelINS0_14default_configENS1_27scan_by_key_config_selectorIj11FixedVectorIiLj8EEEEZZNS1_16scan_by_key_implILNS1_25lookback_scan_determinismE0ELb1ES3_N6thrust23THRUST_200600_302600_NS6detail15normal_iteratorINSB_10device_ptrIjEEEENSD_INSE_IS6_EEEESI_S6_NSB_4plusIvEENSB_8equal_toIvEES6_EE10hipError_tPvRmT2_T3_T4_T5_mT6_T7_P12ihipStream_tbENKUlT_T0_E_clISt17integral_constantIbLb1EES13_EEDaSY_SZ_EUlSY_E_NS1_11comp_targetILNS1_3genE9ELNS1_11target_archE1100ELNS1_3gpuE3ELNS1_3repE0EEENS1_30default_config_static_selectorELNS0_4arch9wavefront6targetE1EEEvT1_, .Lfunc_end2174-_ZN7rocprim17ROCPRIM_400000_NS6detail17trampoline_kernelINS0_14default_configENS1_27scan_by_key_config_selectorIj11FixedVectorIiLj8EEEEZZNS1_16scan_by_key_implILNS1_25lookback_scan_determinismE0ELb1ES3_N6thrust23THRUST_200600_302600_NS6detail15normal_iteratorINSB_10device_ptrIjEEEENSD_INSE_IS6_EEEESI_S6_NSB_4plusIvEENSB_8equal_toIvEES6_EE10hipError_tPvRmT2_T3_T4_T5_mT6_T7_P12ihipStream_tbENKUlT_T0_E_clISt17integral_constantIbLb1EES13_EEDaSY_SZ_EUlSY_E_NS1_11comp_targetILNS1_3genE9ELNS1_11target_archE1100ELNS1_3gpuE3ELNS1_3repE0EEENS1_30default_config_static_selectorELNS0_4arch9wavefront6targetE1EEEvT1_
                                        ; -- End function
	.section	.AMDGPU.csdata,"",@progbits
; Kernel info:
; codeLenInByte = 0
; NumSgprs: 6
; NumVgprs: 0
; NumAgprs: 0
; TotalNumVgprs: 0
; ScratchSize: 0
; MemoryBound: 0
; FloatMode: 240
; IeeeMode: 1
; LDSByteSize: 0 bytes/workgroup (compile time only)
; SGPRBlocks: 0
; VGPRBlocks: 0
; NumSGPRsForWavesPerEU: 6
; NumVGPRsForWavesPerEU: 1
; AccumOffset: 4
; Occupancy: 8
; WaveLimiterHint : 0
; COMPUTE_PGM_RSRC2:SCRATCH_EN: 0
; COMPUTE_PGM_RSRC2:USER_SGPR: 2
; COMPUTE_PGM_RSRC2:TRAP_HANDLER: 0
; COMPUTE_PGM_RSRC2:TGID_X_EN: 1
; COMPUTE_PGM_RSRC2:TGID_Y_EN: 0
; COMPUTE_PGM_RSRC2:TGID_Z_EN: 0
; COMPUTE_PGM_RSRC2:TIDIG_COMP_CNT: 0
; COMPUTE_PGM_RSRC3_GFX90A:ACCUM_OFFSET: 0
; COMPUTE_PGM_RSRC3_GFX90A:TG_SPLIT: 0
	.section	.text._ZN7rocprim17ROCPRIM_400000_NS6detail17trampoline_kernelINS0_14default_configENS1_27scan_by_key_config_selectorIj11FixedVectorIiLj8EEEEZZNS1_16scan_by_key_implILNS1_25lookback_scan_determinismE0ELb1ES3_N6thrust23THRUST_200600_302600_NS6detail15normal_iteratorINSB_10device_ptrIjEEEENSD_INSE_IS6_EEEESI_S6_NSB_4plusIvEENSB_8equal_toIvEES6_EE10hipError_tPvRmT2_T3_T4_T5_mT6_T7_P12ihipStream_tbENKUlT_T0_E_clISt17integral_constantIbLb1EES13_EEDaSY_SZ_EUlSY_E_NS1_11comp_targetILNS1_3genE8ELNS1_11target_archE1030ELNS1_3gpuE2ELNS1_3repE0EEENS1_30default_config_static_selectorELNS0_4arch9wavefront6targetE1EEEvT1_,"axG",@progbits,_ZN7rocprim17ROCPRIM_400000_NS6detail17trampoline_kernelINS0_14default_configENS1_27scan_by_key_config_selectorIj11FixedVectorIiLj8EEEEZZNS1_16scan_by_key_implILNS1_25lookback_scan_determinismE0ELb1ES3_N6thrust23THRUST_200600_302600_NS6detail15normal_iteratorINSB_10device_ptrIjEEEENSD_INSE_IS6_EEEESI_S6_NSB_4plusIvEENSB_8equal_toIvEES6_EE10hipError_tPvRmT2_T3_T4_T5_mT6_T7_P12ihipStream_tbENKUlT_T0_E_clISt17integral_constantIbLb1EES13_EEDaSY_SZ_EUlSY_E_NS1_11comp_targetILNS1_3genE8ELNS1_11target_archE1030ELNS1_3gpuE2ELNS1_3repE0EEENS1_30default_config_static_selectorELNS0_4arch9wavefront6targetE1EEEvT1_,comdat
	.protected	_ZN7rocprim17ROCPRIM_400000_NS6detail17trampoline_kernelINS0_14default_configENS1_27scan_by_key_config_selectorIj11FixedVectorIiLj8EEEEZZNS1_16scan_by_key_implILNS1_25lookback_scan_determinismE0ELb1ES3_N6thrust23THRUST_200600_302600_NS6detail15normal_iteratorINSB_10device_ptrIjEEEENSD_INSE_IS6_EEEESI_S6_NSB_4plusIvEENSB_8equal_toIvEES6_EE10hipError_tPvRmT2_T3_T4_T5_mT6_T7_P12ihipStream_tbENKUlT_T0_E_clISt17integral_constantIbLb1EES13_EEDaSY_SZ_EUlSY_E_NS1_11comp_targetILNS1_3genE8ELNS1_11target_archE1030ELNS1_3gpuE2ELNS1_3repE0EEENS1_30default_config_static_selectorELNS0_4arch9wavefront6targetE1EEEvT1_ ; -- Begin function _ZN7rocprim17ROCPRIM_400000_NS6detail17trampoline_kernelINS0_14default_configENS1_27scan_by_key_config_selectorIj11FixedVectorIiLj8EEEEZZNS1_16scan_by_key_implILNS1_25lookback_scan_determinismE0ELb1ES3_N6thrust23THRUST_200600_302600_NS6detail15normal_iteratorINSB_10device_ptrIjEEEENSD_INSE_IS6_EEEESI_S6_NSB_4plusIvEENSB_8equal_toIvEES6_EE10hipError_tPvRmT2_T3_T4_T5_mT6_T7_P12ihipStream_tbENKUlT_T0_E_clISt17integral_constantIbLb1EES13_EEDaSY_SZ_EUlSY_E_NS1_11comp_targetILNS1_3genE8ELNS1_11target_archE1030ELNS1_3gpuE2ELNS1_3repE0EEENS1_30default_config_static_selectorELNS0_4arch9wavefront6targetE1EEEvT1_
	.globl	_ZN7rocprim17ROCPRIM_400000_NS6detail17trampoline_kernelINS0_14default_configENS1_27scan_by_key_config_selectorIj11FixedVectorIiLj8EEEEZZNS1_16scan_by_key_implILNS1_25lookback_scan_determinismE0ELb1ES3_N6thrust23THRUST_200600_302600_NS6detail15normal_iteratorINSB_10device_ptrIjEEEENSD_INSE_IS6_EEEESI_S6_NSB_4plusIvEENSB_8equal_toIvEES6_EE10hipError_tPvRmT2_T3_T4_T5_mT6_T7_P12ihipStream_tbENKUlT_T0_E_clISt17integral_constantIbLb1EES13_EEDaSY_SZ_EUlSY_E_NS1_11comp_targetILNS1_3genE8ELNS1_11target_archE1030ELNS1_3gpuE2ELNS1_3repE0EEENS1_30default_config_static_selectorELNS0_4arch9wavefront6targetE1EEEvT1_
	.p2align	8
	.type	_ZN7rocprim17ROCPRIM_400000_NS6detail17trampoline_kernelINS0_14default_configENS1_27scan_by_key_config_selectorIj11FixedVectorIiLj8EEEEZZNS1_16scan_by_key_implILNS1_25lookback_scan_determinismE0ELb1ES3_N6thrust23THRUST_200600_302600_NS6detail15normal_iteratorINSB_10device_ptrIjEEEENSD_INSE_IS6_EEEESI_S6_NSB_4plusIvEENSB_8equal_toIvEES6_EE10hipError_tPvRmT2_T3_T4_T5_mT6_T7_P12ihipStream_tbENKUlT_T0_E_clISt17integral_constantIbLb1EES13_EEDaSY_SZ_EUlSY_E_NS1_11comp_targetILNS1_3genE8ELNS1_11target_archE1030ELNS1_3gpuE2ELNS1_3repE0EEENS1_30default_config_static_selectorELNS0_4arch9wavefront6targetE1EEEvT1_,@function
_ZN7rocprim17ROCPRIM_400000_NS6detail17trampoline_kernelINS0_14default_configENS1_27scan_by_key_config_selectorIj11FixedVectorIiLj8EEEEZZNS1_16scan_by_key_implILNS1_25lookback_scan_determinismE0ELb1ES3_N6thrust23THRUST_200600_302600_NS6detail15normal_iteratorINSB_10device_ptrIjEEEENSD_INSE_IS6_EEEESI_S6_NSB_4plusIvEENSB_8equal_toIvEES6_EE10hipError_tPvRmT2_T3_T4_T5_mT6_T7_P12ihipStream_tbENKUlT_T0_E_clISt17integral_constantIbLb1EES13_EEDaSY_SZ_EUlSY_E_NS1_11comp_targetILNS1_3genE8ELNS1_11target_archE1030ELNS1_3gpuE2ELNS1_3repE0EEENS1_30default_config_static_selectorELNS0_4arch9wavefront6targetE1EEEvT1_: ; @_ZN7rocprim17ROCPRIM_400000_NS6detail17trampoline_kernelINS0_14default_configENS1_27scan_by_key_config_selectorIj11FixedVectorIiLj8EEEEZZNS1_16scan_by_key_implILNS1_25lookback_scan_determinismE0ELb1ES3_N6thrust23THRUST_200600_302600_NS6detail15normal_iteratorINSB_10device_ptrIjEEEENSD_INSE_IS6_EEEESI_S6_NSB_4plusIvEENSB_8equal_toIvEES6_EE10hipError_tPvRmT2_T3_T4_T5_mT6_T7_P12ihipStream_tbENKUlT_T0_E_clISt17integral_constantIbLb1EES13_EEDaSY_SZ_EUlSY_E_NS1_11comp_targetILNS1_3genE8ELNS1_11target_archE1030ELNS1_3gpuE2ELNS1_3repE0EEENS1_30default_config_static_selectorELNS0_4arch9wavefront6targetE1EEEvT1_
; %bb.0:
	.section	.rodata,"a",@progbits
	.p2align	6, 0x0
	.amdhsa_kernel _ZN7rocprim17ROCPRIM_400000_NS6detail17trampoline_kernelINS0_14default_configENS1_27scan_by_key_config_selectorIj11FixedVectorIiLj8EEEEZZNS1_16scan_by_key_implILNS1_25lookback_scan_determinismE0ELb1ES3_N6thrust23THRUST_200600_302600_NS6detail15normal_iteratorINSB_10device_ptrIjEEEENSD_INSE_IS6_EEEESI_S6_NSB_4plusIvEENSB_8equal_toIvEES6_EE10hipError_tPvRmT2_T3_T4_T5_mT6_T7_P12ihipStream_tbENKUlT_T0_E_clISt17integral_constantIbLb1EES13_EEDaSY_SZ_EUlSY_E_NS1_11comp_targetILNS1_3genE8ELNS1_11target_archE1030ELNS1_3gpuE2ELNS1_3repE0EEENS1_30default_config_static_selectorELNS0_4arch9wavefront6targetE1EEEvT1_
		.amdhsa_group_segment_fixed_size 0
		.amdhsa_private_segment_fixed_size 0
		.amdhsa_kernarg_size 160
		.amdhsa_user_sgpr_count 2
		.amdhsa_user_sgpr_dispatch_ptr 0
		.amdhsa_user_sgpr_queue_ptr 0
		.amdhsa_user_sgpr_kernarg_segment_ptr 1
		.amdhsa_user_sgpr_dispatch_id 0
		.amdhsa_user_sgpr_kernarg_preload_length 0
		.amdhsa_user_sgpr_kernarg_preload_offset 0
		.amdhsa_user_sgpr_private_segment_size 0
		.amdhsa_uses_dynamic_stack 0
		.amdhsa_enable_private_segment 0
		.amdhsa_system_sgpr_workgroup_id_x 1
		.amdhsa_system_sgpr_workgroup_id_y 0
		.amdhsa_system_sgpr_workgroup_id_z 0
		.amdhsa_system_sgpr_workgroup_info 0
		.amdhsa_system_vgpr_workitem_id 0
		.amdhsa_next_free_vgpr 1
		.amdhsa_next_free_sgpr 0
		.amdhsa_accum_offset 4
		.amdhsa_reserve_vcc 0
		.amdhsa_float_round_mode_32 0
		.amdhsa_float_round_mode_16_64 0
		.amdhsa_float_denorm_mode_32 3
		.amdhsa_float_denorm_mode_16_64 3
		.amdhsa_dx10_clamp 1
		.amdhsa_ieee_mode 1
		.amdhsa_fp16_overflow 0
		.amdhsa_tg_split 0
		.amdhsa_exception_fp_ieee_invalid_op 0
		.amdhsa_exception_fp_denorm_src 0
		.amdhsa_exception_fp_ieee_div_zero 0
		.amdhsa_exception_fp_ieee_overflow 0
		.amdhsa_exception_fp_ieee_underflow 0
		.amdhsa_exception_fp_ieee_inexact 0
		.amdhsa_exception_int_div_zero 0
	.end_amdhsa_kernel
	.section	.text._ZN7rocprim17ROCPRIM_400000_NS6detail17trampoline_kernelINS0_14default_configENS1_27scan_by_key_config_selectorIj11FixedVectorIiLj8EEEEZZNS1_16scan_by_key_implILNS1_25lookback_scan_determinismE0ELb1ES3_N6thrust23THRUST_200600_302600_NS6detail15normal_iteratorINSB_10device_ptrIjEEEENSD_INSE_IS6_EEEESI_S6_NSB_4plusIvEENSB_8equal_toIvEES6_EE10hipError_tPvRmT2_T3_T4_T5_mT6_T7_P12ihipStream_tbENKUlT_T0_E_clISt17integral_constantIbLb1EES13_EEDaSY_SZ_EUlSY_E_NS1_11comp_targetILNS1_3genE8ELNS1_11target_archE1030ELNS1_3gpuE2ELNS1_3repE0EEENS1_30default_config_static_selectorELNS0_4arch9wavefront6targetE1EEEvT1_,"axG",@progbits,_ZN7rocprim17ROCPRIM_400000_NS6detail17trampoline_kernelINS0_14default_configENS1_27scan_by_key_config_selectorIj11FixedVectorIiLj8EEEEZZNS1_16scan_by_key_implILNS1_25lookback_scan_determinismE0ELb1ES3_N6thrust23THRUST_200600_302600_NS6detail15normal_iteratorINSB_10device_ptrIjEEEENSD_INSE_IS6_EEEESI_S6_NSB_4plusIvEENSB_8equal_toIvEES6_EE10hipError_tPvRmT2_T3_T4_T5_mT6_T7_P12ihipStream_tbENKUlT_T0_E_clISt17integral_constantIbLb1EES13_EEDaSY_SZ_EUlSY_E_NS1_11comp_targetILNS1_3genE8ELNS1_11target_archE1030ELNS1_3gpuE2ELNS1_3repE0EEENS1_30default_config_static_selectorELNS0_4arch9wavefront6targetE1EEEvT1_,comdat
.Lfunc_end2175:
	.size	_ZN7rocprim17ROCPRIM_400000_NS6detail17trampoline_kernelINS0_14default_configENS1_27scan_by_key_config_selectorIj11FixedVectorIiLj8EEEEZZNS1_16scan_by_key_implILNS1_25lookback_scan_determinismE0ELb1ES3_N6thrust23THRUST_200600_302600_NS6detail15normal_iteratorINSB_10device_ptrIjEEEENSD_INSE_IS6_EEEESI_S6_NSB_4plusIvEENSB_8equal_toIvEES6_EE10hipError_tPvRmT2_T3_T4_T5_mT6_T7_P12ihipStream_tbENKUlT_T0_E_clISt17integral_constantIbLb1EES13_EEDaSY_SZ_EUlSY_E_NS1_11comp_targetILNS1_3genE8ELNS1_11target_archE1030ELNS1_3gpuE2ELNS1_3repE0EEENS1_30default_config_static_selectorELNS0_4arch9wavefront6targetE1EEEvT1_, .Lfunc_end2175-_ZN7rocprim17ROCPRIM_400000_NS6detail17trampoline_kernelINS0_14default_configENS1_27scan_by_key_config_selectorIj11FixedVectorIiLj8EEEEZZNS1_16scan_by_key_implILNS1_25lookback_scan_determinismE0ELb1ES3_N6thrust23THRUST_200600_302600_NS6detail15normal_iteratorINSB_10device_ptrIjEEEENSD_INSE_IS6_EEEESI_S6_NSB_4plusIvEENSB_8equal_toIvEES6_EE10hipError_tPvRmT2_T3_T4_T5_mT6_T7_P12ihipStream_tbENKUlT_T0_E_clISt17integral_constantIbLb1EES13_EEDaSY_SZ_EUlSY_E_NS1_11comp_targetILNS1_3genE8ELNS1_11target_archE1030ELNS1_3gpuE2ELNS1_3repE0EEENS1_30default_config_static_selectorELNS0_4arch9wavefront6targetE1EEEvT1_
                                        ; -- End function
	.section	.AMDGPU.csdata,"",@progbits
; Kernel info:
; codeLenInByte = 0
; NumSgprs: 6
; NumVgprs: 0
; NumAgprs: 0
; TotalNumVgprs: 0
; ScratchSize: 0
; MemoryBound: 0
; FloatMode: 240
; IeeeMode: 1
; LDSByteSize: 0 bytes/workgroup (compile time only)
; SGPRBlocks: 0
; VGPRBlocks: 0
; NumSGPRsForWavesPerEU: 6
; NumVGPRsForWavesPerEU: 1
; AccumOffset: 4
; Occupancy: 8
; WaveLimiterHint : 0
; COMPUTE_PGM_RSRC2:SCRATCH_EN: 0
; COMPUTE_PGM_RSRC2:USER_SGPR: 2
; COMPUTE_PGM_RSRC2:TRAP_HANDLER: 0
; COMPUTE_PGM_RSRC2:TGID_X_EN: 1
; COMPUTE_PGM_RSRC2:TGID_Y_EN: 0
; COMPUTE_PGM_RSRC2:TGID_Z_EN: 0
; COMPUTE_PGM_RSRC2:TIDIG_COMP_CNT: 0
; COMPUTE_PGM_RSRC3_GFX90A:ACCUM_OFFSET: 0
; COMPUTE_PGM_RSRC3_GFX90A:TG_SPLIT: 0
	.section	.text._ZN7rocprim17ROCPRIM_400000_NS6detail17trampoline_kernelINS0_14default_configENS1_27scan_by_key_config_selectorIj11FixedVectorIiLj8EEEEZZNS1_16scan_by_key_implILNS1_25lookback_scan_determinismE0ELb1ES3_N6thrust23THRUST_200600_302600_NS6detail15normal_iteratorINSB_10device_ptrIjEEEENSD_INSE_IS6_EEEESI_S6_NSB_4plusIvEENSB_8equal_toIvEES6_EE10hipError_tPvRmT2_T3_T4_T5_mT6_T7_P12ihipStream_tbENKUlT_T0_E_clISt17integral_constantIbLb1EES12_IbLb0EEEEDaSY_SZ_EUlSY_E_NS1_11comp_targetILNS1_3genE0ELNS1_11target_archE4294967295ELNS1_3gpuE0ELNS1_3repE0EEENS1_30default_config_static_selectorELNS0_4arch9wavefront6targetE1EEEvT1_,"axG",@progbits,_ZN7rocprim17ROCPRIM_400000_NS6detail17trampoline_kernelINS0_14default_configENS1_27scan_by_key_config_selectorIj11FixedVectorIiLj8EEEEZZNS1_16scan_by_key_implILNS1_25lookback_scan_determinismE0ELb1ES3_N6thrust23THRUST_200600_302600_NS6detail15normal_iteratorINSB_10device_ptrIjEEEENSD_INSE_IS6_EEEESI_S6_NSB_4plusIvEENSB_8equal_toIvEES6_EE10hipError_tPvRmT2_T3_T4_T5_mT6_T7_P12ihipStream_tbENKUlT_T0_E_clISt17integral_constantIbLb1EES12_IbLb0EEEEDaSY_SZ_EUlSY_E_NS1_11comp_targetILNS1_3genE0ELNS1_11target_archE4294967295ELNS1_3gpuE0ELNS1_3repE0EEENS1_30default_config_static_selectorELNS0_4arch9wavefront6targetE1EEEvT1_,comdat
	.protected	_ZN7rocprim17ROCPRIM_400000_NS6detail17trampoline_kernelINS0_14default_configENS1_27scan_by_key_config_selectorIj11FixedVectorIiLj8EEEEZZNS1_16scan_by_key_implILNS1_25lookback_scan_determinismE0ELb1ES3_N6thrust23THRUST_200600_302600_NS6detail15normal_iteratorINSB_10device_ptrIjEEEENSD_INSE_IS6_EEEESI_S6_NSB_4plusIvEENSB_8equal_toIvEES6_EE10hipError_tPvRmT2_T3_T4_T5_mT6_T7_P12ihipStream_tbENKUlT_T0_E_clISt17integral_constantIbLb1EES12_IbLb0EEEEDaSY_SZ_EUlSY_E_NS1_11comp_targetILNS1_3genE0ELNS1_11target_archE4294967295ELNS1_3gpuE0ELNS1_3repE0EEENS1_30default_config_static_selectorELNS0_4arch9wavefront6targetE1EEEvT1_ ; -- Begin function _ZN7rocprim17ROCPRIM_400000_NS6detail17trampoline_kernelINS0_14default_configENS1_27scan_by_key_config_selectorIj11FixedVectorIiLj8EEEEZZNS1_16scan_by_key_implILNS1_25lookback_scan_determinismE0ELb1ES3_N6thrust23THRUST_200600_302600_NS6detail15normal_iteratorINSB_10device_ptrIjEEEENSD_INSE_IS6_EEEESI_S6_NSB_4plusIvEENSB_8equal_toIvEES6_EE10hipError_tPvRmT2_T3_T4_T5_mT6_T7_P12ihipStream_tbENKUlT_T0_E_clISt17integral_constantIbLb1EES12_IbLb0EEEEDaSY_SZ_EUlSY_E_NS1_11comp_targetILNS1_3genE0ELNS1_11target_archE4294967295ELNS1_3gpuE0ELNS1_3repE0EEENS1_30default_config_static_selectorELNS0_4arch9wavefront6targetE1EEEvT1_
	.globl	_ZN7rocprim17ROCPRIM_400000_NS6detail17trampoline_kernelINS0_14default_configENS1_27scan_by_key_config_selectorIj11FixedVectorIiLj8EEEEZZNS1_16scan_by_key_implILNS1_25lookback_scan_determinismE0ELb1ES3_N6thrust23THRUST_200600_302600_NS6detail15normal_iteratorINSB_10device_ptrIjEEEENSD_INSE_IS6_EEEESI_S6_NSB_4plusIvEENSB_8equal_toIvEES6_EE10hipError_tPvRmT2_T3_T4_T5_mT6_T7_P12ihipStream_tbENKUlT_T0_E_clISt17integral_constantIbLb1EES12_IbLb0EEEEDaSY_SZ_EUlSY_E_NS1_11comp_targetILNS1_3genE0ELNS1_11target_archE4294967295ELNS1_3gpuE0ELNS1_3repE0EEENS1_30default_config_static_selectorELNS0_4arch9wavefront6targetE1EEEvT1_
	.p2align	8
	.type	_ZN7rocprim17ROCPRIM_400000_NS6detail17trampoline_kernelINS0_14default_configENS1_27scan_by_key_config_selectorIj11FixedVectorIiLj8EEEEZZNS1_16scan_by_key_implILNS1_25lookback_scan_determinismE0ELb1ES3_N6thrust23THRUST_200600_302600_NS6detail15normal_iteratorINSB_10device_ptrIjEEEENSD_INSE_IS6_EEEESI_S6_NSB_4plusIvEENSB_8equal_toIvEES6_EE10hipError_tPvRmT2_T3_T4_T5_mT6_T7_P12ihipStream_tbENKUlT_T0_E_clISt17integral_constantIbLb1EES12_IbLb0EEEEDaSY_SZ_EUlSY_E_NS1_11comp_targetILNS1_3genE0ELNS1_11target_archE4294967295ELNS1_3gpuE0ELNS1_3repE0EEENS1_30default_config_static_selectorELNS0_4arch9wavefront6targetE1EEEvT1_,@function
_ZN7rocprim17ROCPRIM_400000_NS6detail17trampoline_kernelINS0_14default_configENS1_27scan_by_key_config_selectorIj11FixedVectorIiLj8EEEEZZNS1_16scan_by_key_implILNS1_25lookback_scan_determinismE0ELb1ES3_N6thrust23THRUST_200600_302600_NS6detail15normal_iteratorINSB_10device_ptrIjEEEENSD_INSE_IS6_EEEESI_S6_NSB_4plusIvEENSB_8equal_toIvEES6_EE10hipError_tPvRmT2_T3_T4_T5_mT6_T7_P12ihipStream_tbENKUlT_T0_E_clISt17integral_constantIbLb1EES12_IbLb0EEEEDaSY_SZ_EUlSY_E_NS1_11comp_targetILNS1_3genE0ELNS1_11target_archE4294967295ELNS1_3gpuE0ELNS1_3repE0EEENS1_30default_config_static_selectorELNS0_4arch9wavefront6targetE1EEEvT1_: ; @_ZN7rocprim17ROCPRIM_400000_NS6detail17trampoline_kernelINS0_14default_configENS1_27scan_by_key_config_selectorIj11FixedVectorIiLj8EEEEZZNS1_16scan_by_key_implILNS1_25lookback_scan_determinismE0ELb1ES3_N6thrust23THRUST_200600_302600_NS6detail15normal_iteratorINSB_10device_ptrIjEEEENSD_INSE_IS6_EEEESI_S6_NSB_4plusIvEENSB_8equal_toIvEES6_EE10hipError_tPvRmT2_T3_T4_T5_mT6_T7_P12ihipStream_tbENKUlT_T0_E_clISt17integral_constantIbLb1EES12_IbLb0EEEEDaSY_SZ_EUlSY_E_NS1_11comp_targetILNS1_3genE0ELNS1_11target_archE4294967295ELNS1_3gpuE0ELNS1_3repE0EEENS1_30default_config_static_selectorELNS0_4arch9wavefront6targetE1EEEvT1_
; %bb.0:
	.section	.rodata,"a",@progbits
	.p2align	6, 0x0
	.amdhsa_kernel _ZN7rocprim17ROCPRIM_400000_NS6detail17trampoline_kernelINS0_14default_configENS1_27scan_by_key_config_selectorIj11FixedVectorIiLj8EEEEZZNS1_16scan_by_key_implILNS1_25lookback_scan_determinismE0ELb1ES3_N6thrust23THRUST_200600_302600_NS6detail15normal_iteratorINSB_10device_ptrIjEEEENSD_INSE_IS6_EEEESI_S6_NSB_4plusIvEENSB_8equal_toIvEES6_EE10hipError_tPvRmT2_T3_T4_T5_mT6_T7_P12ihipStream_tbENKUlT_T0_E_clISt17integral_constantIbLb1EES12_IbLb0EEEEDaSY_SZ_EUlSY_E_NS1_11comp_targetILNS1_3genE0ELNS1_11target_archE4294967295ELNS1_3gpuE0ELNS1_3repE0EEENS1_30default_config_static_selectorELNS0_4arch9wavefront6targetE1EEEvT1_
		.amdhsa_group_segment_fixed_size 0
		.amdhsa_private_segment_fixed_size 0
		.amdhsa_kernarg_size 160
		.amdhsa_user_sgpr_count 2
		.amdhsa_user_sgpr_dispatch_ptr 0
		.amdhsa_user_sgpr_queue_ptr 0
		.amdhsa_user_sgpr_kernarg_segment_ptr 1
		.amdhsa_user_sgpr_dispatch_id 0
		.amdhsa_user_sgpr_kernarg_preload_length 0
		.amdhsa_user_sgpr_kernarg_preload_offset 0
		.amdhsa_user_sgpr_private_segment_size 0
		.amdhsa_uses_dynamic_stack 0
		.amdhsa_enable_private_segment 0
		.amdhsa_system_sgpr_workgroup_id_x 1
		.amdhsa_system_sgpr_workgroup_id_y 0
		.amdhsa_system_sgpr_workgroup_id_z 0
		.amdhsa_system_sgpr_workgroup_info 0
		.amdhsa_system_vgpr_workitem_id 0
		.amdhsa_next_free_vgpr 1
		.amdhsa_next_free_sgpr 0
		.amdhsa_accum_offset 4
		.amdhsa_reserve_vcc 0
		.amdhsa_float_round_mode_32 0
		.amdhsa_float_round_mode_16_64 0
		.amdhsa_float_denorm_mode_32 3
		.amdhsa_float_denorm_mode_16_64 3
		.amdhsa_dx10_clamp 1
		.amdhsa_ieee_mode 1
		.amdhsa_fp16_overflow 0
		.amdhsa_tg_split 0
		.amdhsa_exception_fp_ieee_invalid_op 0
		.amdhsa_exception_fp_denorm_src 0
		.amdhsa_exception_fp_ieee_div_zero 0
		.amdhsa_exception_fp_ieee_overflow 0
		.amdhsa_exception_fp_ieee_underflow 0
		.amdhsa_exception_fp_ieee_inexact 0
		.amdhsa_exception_int_div_zero 0
	.end_amdhsa_kernel
	.section	.text._ZN7rocprim17ROCPRIM_400000_NS6detail17trampoline_kernelINS0_14default_configENS1_27scan_by_key_config_selectorIj11FixedVectorIiLj8EEEEZZNS1_16scan_by_key_implILNS1_25lookback_scan_determinismE0ELb1ES3_N6thrust23THRUST_200600_302600_NS6detail15normal_iteratorINSB_10device_ptrIjEEEENSD_INSE_IS6_EEEESI_S6_NSB_4plusIvEENSB_8equal_toIvEES6_EE10hipError_tPvRmT2_T3_T4_T5_mT6_T7_P12ihipStream_tbENKUlT_T0_E_clISt17integral_constantIbLb1EES12_IbLb0EEEEDaSY_SZ_EUlSY_E_NS1_11comp_targetILNS1_3genE0ELNS1_11target_archE4294967295ELNS1_3gpuE0ELNS1_3repE0EEENS1_30default_config_static_selectorELNS0_4arch9wavefront6targetE1EEEvT1_,"axG",@progbits,_ZN7rocprim17ROCPRIM_400000_NS6detail17trampoline_kernelINS0_14default_configENS1_27scan_by_key_config_selectorIj11FixedVectorIiLj8EEEEZZNS1_16scan_by_key_implILNS1_25lookback_scan_determinismE0ELb1ES3_N6thrust23THRUST_200600_302600_NS6detail15normal_iteratorINSB_10device_ptrIjEEEENSD_INSE_IS6_EEEESI_S6_NSB_4plusIvEENSB_8equal_toIvEES6_EE10hipError_tPvRmT2_T3_T4_T5_mT6_T7_P12ihipStream_tbENKUlT_T0_E_clISt17integral_constantIbLb1EES12_IbLb0EEEEDaSY_SZ_EUlSY_E_NS1_11comp_targetILNS1_3genE0ELNS1_11target_archE4294967295ELNS1_3gpuE0ELNS1_3repE0EEENS1_30default_config_static_selectorELNS0_4arch9wavefront6targetE1EEEvT1_,comdat
.Lfunc_end2176:
	.size	_ZN7rocprim17ROCPRIM_400000_NS6detail17trampoline_kernelINS0_14default_configENS1_27scan_by_key_config_selectorIj11FixedVectorIiLj8EEEEZZNS1_16scan_by_key_implILNS1_25lookback_scan_determinismE0ELb1ES3_N6thrust23THRUST_200600_302600_NS6detail15normal_iteratorINSB_10device_ptrIjEEEENSD_INSE_IS6_EEEESI_S6_NSB_4plusIvEENSB_8equal_toIvEES6_EE10hipError_tPvRmT2_T3_T4_T5_mT6_T7_P12ihipStream_tbENKUlT_T0_E_clISt17integral_constantIbLb1EES12_IbLb0EEEEDaSY_SZ_EUlSY_E_NS1_11comp_targetILNS1_3genE0ELNS1_11target_archE4294967295ELNS1_3gpuE0ELNS1_3repE0EEENS1_30default_config_static_selectorELNS0_4arch9wavefront6targetE1EEEvT1_, .Lfunc_end2176-_ZN7rocprim17ROCPRIM_400000_NS6detail17trampoline_kernelINS0_14default_configENS1_27scan_by_key_config_selectorIj11FixedVectorIiLj8EEEEZZNS1_16scan_by_key_implILNS1_25lookback_scan_determinismE0ELb1ES3_N6thrust23THRUST_200600_302600_NS6detail15normal_iteratorINSB_10device_ptrIjEEEENSD_INSE_IS6_EEEESI_S6_NSB_4plusIvEENSB_8equal_toIvEES6_EE10hipError_tPvRmT2_T3_T4_T5_mT6_T7_P12ihipStream_tbENKUlT_T0_E_clISt17integral_constantIbLb1EES12_IbLb0EEEEDaSY_SZ_EUlSY_E_NS1_11comp_targetILNS1_3genE0ELNS1_11target_archE4294967295ELNS1_3gpuE0ELNS1_3repE0EEENS1_30default_config_static_selectorELNS0_4arch9wavefront6targetE1EEEvT1_
                                        ; -- End function
	.section	.AMDGPU.csdata,"",@progbits
; Kernel info:
; codeLenInByte = 0
; NumSgprs: 6
; NumVgprs: 0
; NumAgprs: 0
; TotalNumVgprs: 0
; ScratchSize: 0
; MemoryBound: 0
; FloatMode: 240
; IeeeMode: 1
; LDSByteSize: 0 bytes/workgroup (compile time only)
; SGPRBlocks: 0
; VGPRBlocks: 0
; NumSGPRsForWavesPerEU: 6
; NumVGPRsForWavesPerEU: 1
; AccumOffset: 4
; Occupancy: 8
; WaveLimiterHint : 0
; COMPUTE_PGM_RSRC2:SCRATCH_EN: 0
; COMPUTE_PGM_RSRC2:USER_SGPR: 2
; COMPUTE_PGM_RSRC2:TRAP_HANDLER: 0
; COMPUTE_PGM_RSRC2:TGID_X_EN: 1
; COMPUTE_PGM_RSRC2:TGID_Y_EN: 0
; COMPUTE_PGM_RSRC2:TGID_Z_EN: 0
; COMPUTE_PGM_RSRC2:TIDIG_COMP_CNT: 0
; COMPUTE_PGM_RSRC3_GFX90A:ACCUM_OFFSET: 0
; COMPUTE_PGM_RSRC3_GFX90A:TG_SPLIT: 0
	.section	.text._ZN7rocprim17ROCPRIM_400000_NS6detail17trampoline_kernelINS0_14default_configENS1_27scan_by_key_config_selectorIj11FixedVectorIiLj8EEEEZZNS1_16scan_by_key_implILNS1_25lookback_scan_determinismE0ELb1ES3_N6thrust23THRUST_200600_302600_NS6detail15normal_iteratorINSB_10device_ptrIjEEEENSD_INSE_IS6_EEEESI_S6_NSB_4plusIvEENSB_8equal_toIvEES6_EE10hipError_tPvRmT2_T3_T4_T5_mT6_T7_P12ihipStream_tbENKUlT_T0_E_clISt17integral_constantIbLb1EES12_IbLb0EEEEDaSY_SZ_EUlSY_E_NS1_11comp_targetILNS1_3genE10ELNS1_11target_archE1201ELNS1_3gpuE5ELNS1_3repE0EEENS1_30default_config_static_selectorELNS0_4arch9wavefront6targetE1EEEvT1_,"axG",@progbits,_ZN7rocprim17ROCPRIM_400000_NS6detail17trampoline_kernelINS0_14default_configENS1_27scan_by_key_config_selectorIj11FixedVectorIiLj8EEEEZZNS1_16scan_by_key_implILNS1_25lookback_scan_determinismE0ELb1ES3_N6thrust23THRUST_200600_302600_NS6detail15normal_iteratorINSB_10device_ptrIjEEEENSD_INSE_IS6_EEEESI_S6_NSB_4plusIvEENSB_8equal_toIvEES6_EE10hipError_tPvRmT2_T3_T4_T5_mT6_T7_P12ihipStream_tbENKUlT_T0_E_clISt17integral_constantIbLb1EES12_IbLb0EEEEDaSY_SZ_EUlSY_E_NS1_11comp_targetILNS1_3genE10ELNS1_11target_archE1201ELNS1_3gpuE5ELNS1_3repE0EEENS1_30default_config_static_selectorELNS0_4arch9wavefront6targetE1EEEvT1_,comdat
	.protected	_ZN7rocprim17ROCPRIM_400000_NS6detail17trampoline_kernelINS0_14default_configENS1_27scan_by_key_config_selectorIj11FixedVectorIiLj8EEEEZZNS1_16scan_by_key_implILNS1_25lookback_scan_determinismE0ELb1ES3_N6thrust23THRUST_200600_302600_NS6detail15normal_iteratorINSB_10device_ptrIjEEEENSD_INSE_IS6_EEEESI_S6_NSB_4plusIvEENSB_8equal_toIvEES6_EE10hipError_tPvRmT2_T3_T4_T5_mT6_T7_P12ihipStream_tbENKUlT_T0_E_clISt17integral_constantIbLb1EES12_IbLb0EEEEDaSY_SZ_EUlSY_E_NS1_11comp_targetILNS1_3genE10ELNS1_11target_archE1201ELNS1_3gpuE5ELNS1_3repE0EEENS1_30default_config_static_selectorELNS0_4arch9wavefront6targetE1EEEvT1_ ; -- Begin function _ZN7rocprim17ROCPRIM_400000_NS6detail17trampoline_kernelINS0_14default_configENS1_27scan_by_key_config_selectorIj11FixedVectorIiLj8EEEEZZNS1_16scan_by_key_implILNS1_25lookback_scan_determinismE0ELb1ES3_N6thrust23THRUST_200600_302600_NS6detail15normal_iteratorINSB_10device_ptrIjEEEENSD_INSE_IS6_EEEESI_S6_NSB_4plusIvEENSB_8equal_toIvEES6_EE10hipError_tPvRmT2_T3_T4_T5_mT6_T7_P12ihipStream_tbENKUlT_T0_E_clISt17integral_constantIbLb1EES12_IbLb0EEEEDaSY_SZ_EUlSY_E_NS1_11comp_targetILNS1_3genE10ELNS1_11target_archE1201ELNS1_3gpuE5ELNS1_3repE0EEENS1_30default_config_static_selectorELNS0_4arch9wavefront6targetE1EEEvT1_
	.globl	_ZN7rocprim17ROCPRIM_400000_NS6detail17trampoline_kernelINS0_14default_configENS1_27scan_by_key_config_selectorIj11FixedVectorIiLj8EEEEZZNS1_16scan_by_key_implILNS1_25lookback_scan_determinismE0ELb1ES3_N6thrust23THRUST_200600_302600_NS6detail15normal_iteratorINSB_10device_ptrIjEEEENSD_INSE_IS6_EEEESI_S6_NSB_4plusIvEENSB_8equal_toIvEES6_EE10hipError_tPvRmT2_T3_T4_T5_mT6_T7_P12ihipStream_tbENKUlT_T0_E_clISt17integral_constantIbLb1EES12_IbLb0EEEEDaSY_SZ_EUlSY_E_NS1_11comp_targetILNS1_3genE10ELNS1_11target_archE1201ELNS1_3gpuE5ELNS1_3repE0EEENS1_30default_config_static_selectorELNS0_4arch9wavefront6targetE1EEEvT1_
	.p2align	8
	.type	_ZN7rocprim17ROCPRIM_400000_NS6detail17trampoline_kernelINS0_14default_configENS1_27scan_by_key_config_selectorIj11FixedVectorIiLj8EEEEZZNS1_16scan_by_key_implILNS1_25lookback_scan_determinismE0ELb1ES3_N6thrust23THRUST_200600_302600_NS6detail15normal_iteratorINSB_10device_ptrIjEEEENSD_INSE_IS6_EEEESI_S6_NSB_4plusIvEENSB_8equal_toIvEES6_EE10hipError_tPvRmT2_T3_T4_T5_mT6_T7_P12ihipStream_tbENKUlT_T0_E_clISt17integral_constantIbLb1EES12_IbLb0EEEEDaSY_SZ_EUlSY_E_NS1_11comp_targetILNS1_3genE10ELNS1_11target_archE1201ELNS1_3gpuE5ELNS1_3repE0EEENS1_30default_config_static_selectorELNS0_4arch9wavefront6targetE1EEEvT1_,@function
_ZN7rocprim17ROCPRIM_400000_NS6detail17trampoline_kernelINS0_14default_configENS1_27scan_by_key_config_selectorIj11FixedVectorIiLj8EEEEZZNS1_16scan_by_key_implILNS1_25lookback_scan_determinismE0ELb1ES3_N6thrust23THRUST_200600_302600_NS6detail15normal_iteratorINSB_10device_ptrIjEEEENSD_INSE_IS6_EEEESI_S6_NSB_4plusIvEENSB_8equal_toIvEES6_EE10hipError_tPvRmT2_T3_T4_T5_mT6_T7_P12ihipStream_tbENKUlT_T0_E_clISt17integral_constantIbLb1EES12_IbLb0EEEEDaSY_SZ_EUlSY_E_NS1_11comp_targetILNS1_3genE10ELNS1_11target_archE1201ELNS1_3gpuE5ELNS1_3repE0EEENS1_30default_config_static_selectorELNS0_4arch9wavefront6targetE1EEEvT1_: ; @_ZN7rocprim17ROCPRIM_400000_NS6detail17trampoline_kernelINS0_14default_configENS1_27scan_by_key_config_selectorIj11FixedVectorIiLj8EEEEZZNS1_16scan_by_key_implILNS1_25lookback_scan_determinismE0ELb1ES3_N6thrust23THRUST_200600_302600_NS6detail15normal_iteratorINSB_10device_ptrIjEEEENSD_INSE_IS6_EEEESI_S6_NSB_4plusIvEENSB_8equal_toIvEES6_EE10hipError_tPvRmT2_T3_T4_T5_mT6_T7_P12ihipStream_tbENKUlT_T0_E_clISt17integral_constantIbLb1EES12_IbLb0EEEEDaSY_SZ_EUlSY_E_NS1_11comp_targetILNS1_3genE10ELNS1_11target_archE1201ELNS1_3gpuE5ELNS1_3repE0EEENS1_30default_config_static_selectorELNS0_4arch9wavefront6targetE1EEEvT1_
; %bb.0:
	.section	.rodata,"a",@progbits
	.p2align	6, 0x0
	.amdhsa_kernel _ZN7rocprim17ROCPRIM_400000_NS6detail17trampoline_kernelINS0_14default_configENS1_27scan_by_key_config_selectorIj11FixedVectorIiLj8EEEEZZNS1_16scan_by_key_implILNS1_25lookback_scan_determinismE0ELb1ES3_N6thrust23THRUST_200600_302600_NS6detail15normal_iteratorINSB_10device_ptrIjEEEENSD_INSE_IS6_EEEESI_S6_NSB_4plusIvEENSB_8equal_toIvEES6_EE10hipError_tPvRmT2_T3_T4_T5_mT6_T7_P12ihipStream_tbENKUlT_T0_E_clISt17integral_constantIbLb1EES12_IbLb0EEEEDaSY_SZ_EUlSY_E_NS1_11comp_targetILNS1_3genE10ELNS1_11target_archE1201ELNS1_3gpuE5ELNS1_3repE0EEENS1_30default_config_static_selectorELNS0_4arch9wavefront6targetE1EEEvT1_
		.amdhsa_group_segment_fixed_size 0
		.amdhsa_private_segment_fixed_size 0
		.amdhsa_kernarg_size 160
		.amdhsa_user_sgpr_count 2
		.amdhsa_user_sgpr_dispatch_ptr 0
		.amdhsa_user_sgpr_queue_ptr 0
		.amdhsa_user_sgpr_kernarg_segment_ptr 1
		.amdhsa_user_sgpr_dispatch_id 0
		.amdhsa_user_sgpr_kernarg_preload_length 0
		.amdhsa_user_sgpr_kernarg_preload_offset 0
		.amdhsa_user_sgpr_private_segment_size 0
		.amdhsa_uses_dynamic_stack 0
		.amdhsa_enable_private_segment 0
		.amdhsa_system_sgpr_workgroup_id_x 1
		.amdhsa_system_sgpr_workgroup_id_y 0
		.amdhsa_system_sgpr_workgroup_id_z 0
		.amdhsa_system_sgpr_workgroup_info 0
		.amdhsa_system_vgpr_workitem_id 0
		.amdhsa_next_free_vgpr 1
		.amdhsa_next_free_sgpr 0
		.amdhsa_accum_offset 4
		.amdhsa_reserve_vcc 0
		.amdhsa_float_round_mode_32 0
		.amdhsa_float_round_mode_16_64 0
		.amdhsa_float_denorm_mode_32 3
		.amdhsa_float_denorm_mode_16_64 3
		.amdhsa_dx10_clamp 1
		.amdhsa_ieee_mode 1
		.amdhsa_fp16_overflow 0
		.amdhsa_tg_split 0
		.amdhsa_exception_fp_ieee_invalid_op 0
		.amdhsa_exception_fp_denorm_src 0
		.amdhsa_exception_fp_ieee_div_zero 0
		.amdhsa_exception_fp_ieee_overflow 0
		.amdhsa_exception_fp_ieee_underflow 0
		.amdhsa_exception_fp_ieee_inexact 0
		.amdhsa_exception_int_div_zero 0
	.end_amdhsa_kernel
	.section	.text._ZN7rocprim17ROCPRIM_400000_NS6detail17trampoline_kernelINS0_14default_configENS1_27scan_by_key_config_selectorIj11FixedVectorIiLj8EEEEZZNS1_16scan_by_key_implILNS1_25lookback_scan_determinismE0ELb1ES3_N6thrust23THRUST_200600_302600_NS6detail15normal_iteratorINSB_10device_ptrIjEEEENSD_INSE_IS6_EEEESI_S6_NSB_4plusIvEENSB_8equal_toIvEES6_EE10hipError_tPvRmT2_T3_T4_T5_mT6_T7_P12ihipStream_tbENKUlT_T0_E_clISt17integral_constantIbLb1EES12_IbLb0EEEEDaSY_SZ_EUlSY_E_NS1_11comp_targetILNS1_3genE10ELNS1_11target_archE1201ELNS1_3gpuE5ELNS1_3repE0EEENS1_30default_config_static_selectorELNS0_4arch9wavefront6targetE1EEEvT1_,"axG",@progbits,_ZN7rocprim17ROCPRIM_400000_NS6detail17trampoline_kernelINS0_14default_configENS1_27scan_by_key_config_selectorIj11FixedVectorIiLj8EEEEZZNS1_16scan_by_key_implILNS1_25lookback_scan_determinismE0ELb1ES3_N6thrust23THRUST_200600_302600_NS6detail15normal_iteratorINSB_10device_ptrIjEEEENSD_INSE_IS6_EEEESI_S6_NSB_4plusIvEENSB_8equal_toIvEES6_EE10hipError_tPvRmT2_T3_T4_T5_mT6_T7_P12ihipStream_tbENKUlT_T0_E_clISt17integral_constantIbLb1EES12_IbLb0EEEEDaSY_SZ_EUlSY_E_NS1_11comp_targetILNS1_3genE10ELNS1_11target_archE1201ELNS1_3gpuE5ELNS1_3repE0EEENS1_30default_config_static_selectorELNS0_4arch9wavefront6targetE1EEEvT1_,comdat
.Lfunc_end2177:
	.size	_ZN7rocprim17ROCPRIM_400000_NS6detail17trampoline_kernelINS0_14default_configENS1_27scan_by_key_config_selectorIj11FixedVectorIiLj8EEEEZZNS1_16scan_by_key_implILNS1_25lookback_scan_determinismE0ELb1ES3_N6thrust23THRUST_200600_302600_NS6detail15normal_iteratorINSB_10device_ptrIjEEEENSD_INSE_IS6_EEEESI_S6_NSB_4plusIvEENSB_8equal_toIvEES6_EE10hipError_tPvRmT2_T3_T4_T5_mT6_T7_P12ihipStream_tbENKUlT_T0_E_clISt17integral_constantIbLb1EES12_IbLb0EEEEDaSY_SZ_EUlSY_E_NS1_11comp_targetILNS1_3genE10ELNS1_11target_archE1201ELNS1_3gpuE5ELNS1_3repE0EEENS1_30default_config_static_selectorELNS0_4arch9wavefront6targetE1EEEvT1_, .Lfunc_end2177-_ZN7rocprim17ROCPRIM_400000_NS6detail17trampoline_kernelINS0_14default_configENS1_27scan_by_key_config_selectorIj11FixedVectorIiLj8EEEEZZNS1_16scan_by_key_implILNS1_25lookback_scan_determinismE0ELb1ES3_N6thrust23THRUST_200600_302600_NS6detail15normal_iteratorINSB_10device_ptrIjEEEENSD_INSE_IS6_EEEESI_S6_NSB_4plusIvEENSB_8equal_toIvEES6_EE10hipError_tPvRmT2_T3_T4_T5_mT6_T7_P12ihipStream_tbENKUlT_T0_E_clISt17integral_constantIbLb1EES12_IbLb0EEEEDaSY_SZ_EUlSY_E_NS1_11comp_targetILNS1_3genE10ELNS1_11target_archE1201ELNS1_3gpuE5ELNS1_3repE0EEENS1_30default_config_static_selectorELNS0_4arch9wavefront6targetE1EEEvT1_
                                        ; -- End function
	.section	.AMDGPU.csdata,"",@progbits
; Kernel info:
; codeLenInByte = 0
; NumSgprs: 6
; NumVgprs: 0
; NumAgprs: 0
; TotalNumVgprs: 0
; ScratchSize: 0
; MemoryBound: 0
; FloatMode: 240
; IeeeMode: 1
; LDSByteSize: 0 bytes/workgroup (compile time only)
; SGPRBlocks: 0
; VGPRBlocks: 0
; NumSGPRsForWavesPerEU: 6
; NumVGPRsForWavesPerEU: 1
; AccumOffset: 4
; Occupancy: 8
; WaveLimiterHint : 0
; COMPUTE_PGM_RSRC2:SCRATCH_EN: 0
; COMPUTE_PGM_RSRC2:USER_SGPR: 2
; COMPUTE_PGM_RSRC2:TRAP_HANDLER: 0
; COMPUTE_PGM_RSRC2:TGID_X_EN: 1
; COMPUTE_PGM_RSRC2:TGID_Y_EN: 0
; COMPUTE_PGM_RSRC2:TGID_Z_EN: 0
; COMPUTE_PGM_RSRC2:TIDIG_COMP_CNT: 0
; COMPUTE_PGM_RSRC3_GFX90A:ACCUM_OFFSET: 0
; COMPUTE_PGM_RSRC3_GFX90A:TG_SPLIT: 0
	.section	.text._ZN7rocprim17ROCPRIM_400000_NS6detail17trampoline_kernelINS0_14default_configENS1_27scan_by_key_config_selectorIj11FixedVectorIiLj8EEEEZZNS1_16scan_by_key_implILNS1_25lookback_scan_determinismE0ELb1ES3_N6thrust23THRUST_200600_302600_NS6detail15normal_iteratorINSB_10device_ptrIjEEEENSD_INSE_IS6_EEEESI_S6_NSB_4plusIvEENSB_8equal_toIvEES6_EE10hipError_tPvRmT2_T3_T4_T5_mT6_T7_P12ihipStream_tbENKUlT_T0_E_clISt17integral_constantIbLb1EES12_IbLb0EEEEDaSY_SZ_EUlSY_E_NS1_11comp_targetILNS1_3genE5ELNS1_11target_archE942ELNS1_3gpuE9ELNS1_3repE0EEENS1_30default_config_static_selectorELNS0_4arch9wavefront6targetE1EEEvT1_,"axG",@progbits,_ZN7rocprim17ROCPRIM_400000_NS6detail17trampoline_kernelINS0_14default_configENS1_27scan_by_key_config_selectorIj11FixedVectorIiLj8EEEEZZNS1_16scan_by_key_implILNS1_25lookback_scan_determinismE0ELb1ES3_N6thrust23THRUST_200600_302600_NS6detail15normal_iteratorINSB_10device_ptrIjEEEENSD_INSE_IS6_EEEESI_S6_NSB_4plusIvEENSB_8equal_toIvEES6_EE10hipError_tPvRmT2_T3_T4_T5_mT6_T7_P12ihipStream_tbENKUlT_T0_E_clISt17integral_constantIbLb1EES12_IbLb0EEEEDaSY_SZ_EUlSY_E_NS1_11comp_targetILNS1_3genE5ELNS1_11target_archE942ELNS1_3gpuE9ELNS1_3repE0EEENS1_30default_config_static_selectorELNS0_4arch9wavefront6targetE1EEEvT1_,comdat
	.protected	_ZN7rocprim17ROCPRIM_400000_NS6detail17trampoline_kernelINS0_14default_configENS1_27scan_by_key_config_selectorIj11FixedVectorIiLj8EEEEZZNS1_16scan_by_key_implILNS1_25lookback_scan_determinismE0ELb1ES3_N6thrust23THRUST_200600_302600_NS6detail15normal_iteratorINSB_10device_ptrIjEEEENSD_INSE_IS6_EEEESI_S6_NSB_4plusIvEENSB_8equal_toIvEES6_EE10hipError_tPvRmT2_T3_T4_T5_mT6_T7_P12ihipStream_tbENKUlT_T0_E_clISt17integral_constantIbLb1EES12_IbLb0EEEEDaSY_SZ_EUlSY_E_NS1_11comp_targetILNS1_3genE5ELNS1_11target_archE942ELNS1_3gpuE9ELNS1_3repE0EEENS1_30default_config_static_selectorELNS0_4arch9wavefront6targetE1EEEvT1_ ; -- Begin function _ZN7rocprim17ROCPRIM_400000_NS6detail17trampoline_kernelINS0_14default_configENS1_27scan_by_key_config_selectorIj11FixedVectorIiLj8EEEEZZNS1_16scan_by_key_implILNS1_25lookback_scan_determinismE0ELb1ES3_N6thrust23THRUST_200600_302600_NS6detail15normal_iteratorINSB_10device_ptrIjEEEENSD_INSE_IS6_EEEESI_S6_NSB_4plusIvEENSB_8equal_toIvEES6_EE10hipError_tPvRmT2_T3_T4_T5_mT6_T7_P12ihipStream_tbENKUlT_T0_E_clISt17integral_constantIbLb1EES12_IbLb0EEEEDaSY_SZ_EUlSY_E_NS1_11comp_targetILNS1_3genE5ELNS1_11target_archE942ELNS1_3gpuE9ELNS1_3repE0EEENS1_30default_config_static_selectorELNS0_4arch9wavefront6targetE1EEEvT1_
	.globl	_ZN7rocprim17ROCPRIM_400000_NS6detail17trampoline_kernelINS0_14default_configENS1_27scan_by_key_config_selectorIj11FixedVectorIiLj8EEEEZZNS1_16scan_by_key_implILNS1_25lookback_scan_determinismE0ELb1ES3_N6thrust23THRUST_200600_302600_NS6detail15normal_iteratorINSB_10device_ptrIjEEEENSD_INSE_IS6_EEEESI_S6_NSB_4plusIvEENSB_8equal_toIvEES6_EE10hipError_tPvRmT2_T3_T4_T5_mT6_T7_P12ihipStream_tbENKUlT_T0_E_clISt17integral_constantIbLb1EES12_IbLb0EEEEDaSY_SZ_EUlSY_E_NS1_11comp_targetILNS1_3genE5ELNS1_11target_archE942ELNS1_3gpuE9ELNS1_3repE0EEENS1_30default_config_static_selectorELNS0_4arch9wavefront6targetE1EEEvT1_
	.p2align	8
	.type	_ZN7rocprim17ROCPRIM_400000_NS6detail17trampoline_kernelINS0_14default_configENS1_27scan_by_key_config_selectorIj11FixedVectorIiLj8EEEEZZNS1_16scan_by_key_implILNS1_25lookback_scan_determinismE0ELb1ES3_N6thrust23THRUST_200600_302600_NS6detail15normal_iteratorINSB_10device_ptrIjEEEENSD_INSE_IS6_EEEESI_S6_NSB_4plusIvEENSB_8equal_toIvEES6_EE10hipError_tPvRmT2_T3_T4_T5_mT6_T7_P12ihipStream_tbENKUlT_T0_E_clISt17integral_constantIbLb1EES12_IbLb0EEEEDaSY_SZ_EUlSY_E_NS1_11comp_targetILNS1_3genE5ELNS1_11target_archE942ELNS1_3gpuE9ELNS1_3repE0EEENS1_30default_config_static_selectorELNS0_4arch9wavefront6targetE1EEEvT1_,@function
_ZN7rocprim17ROCPRIM_400000_NS6detail17trampoline_kernelINS0_14default_configENS1_27scan_by_key_config_selectorIj11FixedVectorIiLj8EEEEZZNS1_16scan_by_key_implILNS1_25lookback_scan_determinismE0ELb1ES3_N6thrust23THRUST_200600_302600_NS6detail15normal_iteratorINSB_10device_ptrIjEEEENSD_INSE_IS6_EEEESI_S6_NSB_4plusIvEENSB_8equal_toIvEES6_EE10hipError_tPvRmT2_T3_T4_T5_mT6_T7_P12ihipStream_tbENKUlT_T0_E_clISt17integral_constantIbLb1EES12_IbLb0EEEEDaSY_SZ_EUlSY_E_NS1_11comp_targetILNS1_3genE5ELNS1_11target_archE942ELNS1_3gpuE9ELNS1_3repE0EEENS1_30default_config_static_selectorELNS0_4arch9wavefront6targetE1EEEvT1_: ; @_ZN7rocprim17ROCPRIM_400000_NS6detail17trampoline_kernelINS0_14default_configENS1_27scan_by_key_config_selectorIj11FixedVectorIiLj8EEEEZZNS1_16scan_by_key_implILNS1_25lookback_scan_determinismE0ELb1ES3_N6thrust23THRUST_200600_302600_NS6detail15normal_iteratorINSB_10device_ptrIjEEEENSD_INSE_IS6_EEEESI_S6_NSB_4plusIvEENSB_8equal_toIvEES6_EE10hipError_tPvRmT2_T3_T4_T5_mT6_T7_P12ihipStream_tbENKUlT_T0_E_clISt17integral_constantIbLb1EES12_IbLb0EEEEDaSY_SZ_EUlSY_E_NS1_11comp_targetILNS1_3genE5ELNS1_11target_archE942ELNS1_3gpuE9ELNS1_3repE0EEENS1_30default_config_static_selectorELNS0_4arch9wavefront6targetE1EEEvT1_
; %bb.0:
	s_load_dwordx8 s[20:27], s[2:3], 0x0
	s_load_dwordx8 s[36:43], s[2:3], 0x20
	;; [unrolled: 1-line block ×3, first 2 shown]
	s_load_dwordx2 s[30:31], s[2:3], 0x68
	s_load_dword s5, s[2:3], 0x70
	s_load_dwordx4 s[8:11], s[2:3], 0x78
	s_load_dwordx2 s[34:35], s[0:1], 0x4
	s_mov_b32 s0, 0
	v_and_b32_e32 v16, 0x3ff, v0
	v_bfe_u32 v14, v0, 20, 10
	v_bfe_u32 v0, v0, 10, 10
	s_mov_b32 s2, s0
	s_mov_b32 s3, s0
	s_waitcnt lgkmcnt(0)
	v_mul_u32_u24_e32 v15, s35, v0
	v_mov_b32_e32 v0, 0
	s_mov_b32 s1, s0
	v_mov_b64_e32 v[4:5], s[2:3]
	v_mov_b64_e32 v[2:3], s[0:1]
	v_mov_b32_e32 v1, v0
	s_barrier
	scratch_store_dword off, v0, off offset:304
	scratch_store_dwordx4 off, v[2:5], off offset:288
	scratch_store_dwordx4 off, v[2:5], off offset:272
.LBB2178_1:                             ; =>This Inner Loop Header: Depth=1
	s_add_i32 s1, s0, 0x110
	s_add_i32 s0, s0, 8
	s_cmp_lg_u32 s0, 32
	scratch_store_dwordx2 off, v[0:1], s1
	s_cbranch_scc1 .LBB2178_1
; %bb.2:
	s_mov_b32 s44, 0
	s_mov_b32 s45, s44
	v_mov_b32_e32 v0, 0
	v_mov_b32_e32 v1, 0x110
	s_mov_b32 s46, s44
	s_mov_b32 s47, s44
	v_mov_b64_e32 v[2:3], s[44:45]
	s_mov_b32 s0, 36
	v_add_u32_e32 v20, 36, v1
	v_mov_b64_e32 v[4:5], s[46:47]
	v_mov_b32_e32 v1, v0
	scratch_store_byte off, v0, off offset:304
	scratch_store_dword off, v0, off offset:340
	scratch_store_dwordx4 off, v[2:5], off offset:308
	scratch_store_dwordx4 off, v[2:5], off offset:324
.LBB2178_3:                             ; =>This Inner Loop Header: Depth=1
	s_add_i32 s1, s0, 0x110
	s_add_i32 s0, s0, 8
	s_cmpk_lg_i32 s0, 0x44
	scratch_store_dwordx2 off, v[0:1], s1
	s_cbranch_scc1 .LBB2178_3
; %bb.4:
	s_mov_b32 s44, 0
	s_mov_b32 s45, s44
	v_mov_b32_e32 v0, 0
	v_mov_b32_e32 v1, 0x110
	s_mov_b32 s46, s44
	s_mov_b32 s47, s44
	v_mov_b64_e32 v[2:3], s[44:45]
	s_movk_i32 s0, 0x48
	v_add_u32_e32 v21, 0x48, v1
	v_mov_b64_e32 v[4:5], s[46:47]
	v_mov_b32_e32 v1, v0
	scratch_store_byte off, v0, off offset:340
	scratch_store_dword off, v0, off offset:376
	scratch_store_dwordx4 off, v[2:5], off offset:344
	scratch_store_dwordx4 off, v[2:5], off offset:360
.LBB2178_5:                             ; =>This Inner Loop Header: Depth=1
	s_add_i32 s1, s0, 0x110
	s_add_i32 s0, s0, 8
	s_cmpk_lg_i32 s0, 0x68
	scratch_store_dwordx2 off, v[0:1], s1
	s_cbranch_scc1 .LBB2178_5
; %bb.6:
	v_mov_b32_e32 v0, 0
	v_mov_b32_e32 v2, s36
	;; [unrolled: 1-line block ×5, first 2 shown]
	s_mov_b32 s0, 0
	scratch_store_dwordx4 off, v[2:5], off offset:96
	v_mov_b32_e32 v1, v0
	scratch_store_byte off, v0, off offset:376
	v_mov_b32_e32 v2, s40
	v_mov_b32_e32 v3, s41
	;; [unrolled: 1-line block ×4, first 2 shown]
	scratch_store_dwordx4 off, v[2:5], off offset:112
.LBB2178_7:                             ; =>This Inner Loop Header: Depth=1
	s_add_i32 s1, s0, 0
	s_add_i32 s0, s0, 8
	s_cmp_lg_u32 s0, 32
	scratch_store_dwordx2 off, v[0:1], s1
	s_cbranch_scc1 .LBB2178_7
; %bb.8:
	v_mov_b32_e32 v0, 0
	s_mov_b32 s0, 32
	v_mov_b32_e32 v1, v0
.LBB2178_9:                             ; =>This Inner Loop Header: Depth=1
	s_add_i32 s1, s0, 0
	s_add_i32 s0, s0, 8
	s_cmp_lg_u32 s0, 64
	scratch_store_dwordx2 off, v[0:1], s1
	s_cbranch_scc1 .LBB2178_9
; %bb.10:
	v_mov_b32_e32 v0, 0
	s_mov_b32 s0, 64
	v_mov_b32_e32 v1, v0
.LBB2178_11:                            ; =>This Inner Loop Header: Depth=1
	s_add_i32 s1, s0, 0
	s_add_i32 s0, s0, 8
	s_cmpk_lg_i32 s0, 0x60
	scratch_store_dwordx2 off, v[0:1], s1
	s_cbranch_scc1 .LBB2178_11
; %bb.12:
	s_lshl_b64 s[0:1], s[22:23], 2
	s_add_u32 s6, s20, s0
	s_addc_u32 s7, s21, s1
	s_lshl_b64 s[28:29], s[22:23], 5
	s_add_u32 s19, s24, s28
	s_mul_i32 s1, s31, s5
	s_mul_hi_u32 s2, s30, s5
	s_addc_u32 s21, s25, s29
	s_mul_i32 s0, s4, 0x300
	s_add_i32 s33, s2, s1
	s_mov_b32 s1, 0
	s_lshl_b64 s[2:3], s[0:1], 2
	s_add_u32 s22, s6, s2
	s_addc_u32 s23, s7, s3
	s_lshl_b64 s[24:25], s[0:1], 5
	s_add_u32 s20, s19, s24
	s_mul_i32 s5, s30, s5
	s_addc_u32 s21, s21, s25
	s_add_u32 s0, s5, s4
	s_addc_u32 s1, s33, 0
	s_add_u32 s2, s8, -1
	v_mov_b32_e32 v0, 0
	s_addc_u32 s3, s9, -1
	v_add_u32_e32 v4, 64, v0
	v_add_u32_e32 v5, 32, v0
	v_mov_b64_e32 v[0:1], s[2:3]
	v_cmp_ge_u64_e64 s[0:1], s[0:1], v[0:1]
	s_mov_b64 s[6:7], -1
	s_and_b64 vcc, exec, s[0:1]
	s_mul_i32 s19, s2, 0xfffffd00
	s_cbranch_vccz .LBB2178_32
; %bb.13:
	v_mov_b64_e32 v[0:1], s[22:23]
	flat_load_dword v0, v[0:1]
	s_add_i32 s5, s19, s18
	v_cmp_gt_u32_e32 vcc, s5, v16
	s_waitcnt vmcnt(0) lgkmcnt(0)
	v_mov_b32_e32 v1, v0
	s_and_saveexec_b64 s[2:3], vcc
	s_cbranch_execz .LBB2178_15
; %bb.14:
	v_lshlrev_b32_e32 v2, 2, v16
	v_mov_b32_e32 v3, 0
	v_lshl_add_u64 v[2:3], s[22:23], 0, v[2:3]
	flat_load_dword v1, v[2:3]
.LBB2178_15:
	s_or_b64 exec, exec, s[2:3]
	v_or_b32_e32 v6, 0x100, v16
	v_cmp_gt_u32_e64 s[2:3], s5, v6
	v_mov_b32_e32 v2, v0
	s_and_saveexec_b64 s[6:7], s[2:3]
	s_cbranch_execz .LBB2178_17
; %bb.16:
	v_lshlrev_b32_e32 v2, 2, v16
	v_mov_b32_e32 v3, 0
	v_lshl_add_u64 v[2:3], s[22:23], 0, v[2:3]
	flat_load_dword v2, v[2:3] offset:1024
.LBB2178_17:
	s_or_b64 exec, exec, s[6:7]
	v_or_b32_e32 v7, 0x200, v16
	v_cmp_gt_u32_e64 s[6:7], s5, v7
	v_cmp_le_u32_e64 s[8:9], s5, v7
	s_and_saveexec_b64 s[44:45], s[8:9]
	s_xor_b64 s[8:9], exec, s[44:45]
; %bb.18:
	v_mov_b32_e32 v17, 0
; %bb.19:
	s_andn2_saveexec_b64 s[8:9], s[8:9]
	s_cbranch_execz .LBB2178_21
; %bb.20:
	v_mov_b32_e32 v17, 0
	v_lshlrev_b32_e32 v8, 2, v16
	v_mov_b32_e32 v9, v17
	v_lshl_add_u64 v[8:9], s[22:23], 0, v[8:9]
	flat_load_dword v0, v[8:9] offset:2048
.LBB2178_21:
	s_or_b64 exec, exec, s[8:9]
	v_lshlrev_b32_e32 v8, 2, v16
	s_waitcnt vmcnt(0) lgkmcnt(0)
	ds_write2st64_b32 v8, v1, v2 offset1:4
	ds_write_b32 v8, v0 offset:2048
	v_mov_b64_e32 v[0:1], s[22:23]
	s_waitcnt lgkmcnt(0)
	s_barrier
	flat_load_dword v2, v[0:1]
	v_lshl_add_u32 v0, v16, 3, v8
	ds_read_b32 v3, v0
	ds_read2_b32 v[0:1], v0 offset0:1 offset1:2
	s_movk_i32 s8, 0xff
	v_cmp_ne_u32_e64 s[8:9], s8, v16
	s_waitcnt lgkmcnt(0)
	ds_write_b32 v8, v3 offset:4096
	s_waitcnt lgkmcnt(0)
	s_barrier
	s_and_saveexec_b64 s[44:45], s[8:9]
	s_cbranch_execz .LBB2178_23
; %bb.22:
	s_waitcnt vmcnt(0)
	ds_read_b32 v2, v8 offset:4100
.LBB2178_23:
	s_or_b64 exec, exec, s[44:45]
	s_waitcnt lgkmcnt(0)
	s_barrier
	s_and_saveexec_b64 s[8:9], vcc
	s_cbranch_execnz .LBB2178_438
; %bb.24:
	s_or_b64 exec, exec, s[8:9]
	s_and_saveexec_b64 s[8:9], s[2:3]
	s_cbranch_execnz .LBB2178_439
.LBB2178_25:
	s_or_b64 exec, exec, s[8:9]
	v_mul_u32_u24_e32 v6, 3, v16
	s_and_saveexec_b64 s[2:3], s[6:7]
	s_cbranch_execz .LBB2178_27
.LBB2178_26:
	v_lshlrev_b32_e32 v10, 5, v7
	v_mov_b32_e32 v11, 0
	v_lshl_add_u64 v[18:19], s[20:21], 0, v[10:11]
	flat_load_dwordx4 v[10:13], v[18:19]
	flat_load_dwordx4 v[22:25], v[18:19] offset:16
	s_waitcnt vmcnt(0) lgkmcnt(0)
	scratch_store_dwordx4 off, v[10:13], off offset:64
	scratch_store_dwordx4 off, v[22:25], off offset:80
.LBB2178_27:
	s_or_b64 exec, exec, s[2:3]
	scratch_load_dwordx4 v[10:13], off, off
	scratch_load_dwordx4 v[22:25], off, off offset:16
	scratch_load_dwordx4 v[26:29], v5, off
	scratch_load_dwordx4 v[30:33], v5, off offset:16
	scratch_load_dwordx4 v[34:37], v4, off
	scratch_load_dwordx4 v[38:41], v4, off offset:16
	v_mad_u32_u24 v7, v16, 28, v8
	v_lshl_add_u32 v17, v16, 6, v7
	v_cmp_gt_u32_e32 vcc, s5, v6
	s_mov_b64 s[6:7], 0
	s_mov_b64 s[44:45], 0
                                        ; implicit-def: $sgpr2_sgpr3
	s_waitcnt vmcnt(0)
	ds_write_b128 v7, v[10:13]
	ds_write_b128 v7, v[22:25] offset:16
	ds_write_b128 v7, v[26:29] offset:8192
	;; [unrolled: 1-line block ×5, first 2 shown]
	s_waitcnt lgkmcnt(0)
	s_barrier
	ds_read_b128 v[8:11], v17
	ds_read_b128 v[22:25], v17 offset:16
	ds_read_b128 v[26:29], v17 offset:32
	;; [unrolled: 1-line block ×5, first 2 shown]
	s_waitcnt lgkmcnt(5)
	scratch_store_dwordx4 off, v[8:11], off
	s_waitcnt lgkmcnt(4)
	scratch_store_dwordx4 off, v[22:25], off offset:16
	s_waitcnt lgkmcnt(3)
	scratch_store_dwordx4 v5, v[26:29], off
	s_waitcnt lgkmcnt(2)
	scratch_store_dwordx4 v5, v[30:33], off offset:16
	s_waitcnt lgkmcnt(1)
	scratch_store_dwordx4 v4, v[34:37], off
	s_waitcnt lgkmcnt(0)
	scratch_store_dwordx4 v4, v[38:41], off offset:16
	s_and_saveexec_b64 s[8:9], vcc
	s_cbranch_execz .LBB2178_31
; %bb.28:
	v_cmp_ne_u32_e32 vcc, v3, v0
	v_mov_b32_e32 v3, 0x60
	v_mov_b32_e32 v8, 0
	v_cndmask_b32_e32 v12, v8, v3, vcc
	scratch_load_dwordx4 v[8:11], v12, off
	scratch_load_dwordx4 v[22:25], v12, off offset:16
	v_add_u32_e32 v12, 1, v6
	v_cndmask_b32_e64 v7, 0, 1, vcc
	v_cmp_gt_u32_e32 vcc, s5, v12
	s_mov_b64 s[46:47], 0
	scratch_store_byte off, v7, off offset:304
                                        ; implicit-def: $sgpr48_sgpr49
	s_waitcnt vmcnt(2)
	scratch_store_dwordx4 off, v[8:11], off offset:272
	s_waitcnt vmcnt(2)
	scratch_store_dwordx4 off, v[22:25], off offset:288
	s_and_saveexec_b64 s[2:3], vcc
	s_xor_b64 s[44:45], exec, s[2:3]
	s_cbranch_execz .LBB2178_30
; %bb.29:
	v_cmp_ne_u32_e32 vcc, v0, v1
	s_nop 1
	v_cndmask_b32_e32 v3, v5, v3, vcc
	scratch_load_dwordx4 v[8:11], v3, off
	scratch_load_dwordx4 v[22:25], v3, off offset:16
	v_cndmask_b32_e64 v0, 0, 1, vcc
	v_cmp_ne_u32_e32 vcc, v1, v2
	v_add_u32_e32 v1, 2, v6
	v_cmp_gt_u32_e64 s[2:3], s5, v1
	scratch_store_byte off, v0, off offset:340
	s_and_b64 s[48:49], vcc, exec
	s_and_b64 s[46:47], s[2:3], exec
	s_waitcnt vmcnt(2)
	scratch_store_dwordx4 v20, v[8:11], off
	s_waitcnt vmcnt(2)
	scratch_store_dwordx4 v20, v[22:25], off offset:16
.LBB2178_30:
	s_or_b64 exec, exec, s[44:45]
	s_and_b64 s[2:3], s[48:49], exec
	s_and_b64 s[44:45], s[46:47], exec
.LBB2178_31:
	s_or_b64 exec, exec, s[8:9]
	s_and_b64 vcc, exec, s[6:7]
	s_cbranch_vccnz .LBB2178_33
	s_branch .LBB2178_36
.LBB2178_32:
	s_mov_b64 s[44:45], 0
                                        ; implicit-def: $sgpr2_sgpr3
	s_and_b64 vcc, exec, s[6:7]
	s_cbranch_vccz .LBB2178_36
.LBB2178_33:
	v_mov_b32_e32 v3, 0
	v_lshlrev_b32_e32 v2, 2, v16
	v_lshl_add_u64 v[0:1], s[22:23], 0, v[2:3]
	flat_load_dword v6, v[0:1]
	flat_load_dword v7, v[0:1] offset:1024
	flat_load_dword v8, v[0:1] offset:2048
	v_mov_b64_e32 v[0:1], s[22:23]
	s_movk_i32 s2, 0xff
	v_cmp_ne_u32_e32 vcc, s2, v16
	s_waitcnt vmcnt(0) lgkmcnt(0)
	ds_write2st64_b32 v2, v6, v7 offset1:4
	ds_write_b32 v2, v8 offset:2048
	s_waitcnt lgkmcnt(0)
	s_barrier
	flat_load_dword v6, v[0:1] offset:3072
	v_lshl_add_u32 v0, v16, 3, v2
	ds_read_b32 v7, v0
	ds_read2_b32 v[0:1], v0 offset0:1 offset1:2
	s_waitcnt lgkmcnt(0)
	ds_write_b32 v2, v7 offset:4096
	s_waitcnt lgkmcnt(0)
	s_barrier
	s_and_saveexec_b64 s[2:3], vcc
	s_cbranch_execz .LBB2178_35
; %bb.34:
	s_waitcnt vmcnt(0)
	ds_read_b32 v6, v2 offset:4100
.LBB2178_35:
	s_or_b64 exec, exec, s[2:3]
	v_lshlrev_b32_e32 v8, 5, v16
	v_mov_b32_e32 v9, v3
	v_lshl_add_u64 v[12:13], s[20:21], 0, v[8:9]
	s_waitcnt lgkmcnt(0)
	s_barrier
	flat_load_dwordx4 v[8:11], v[12:13]
	flat_load_dwordx4 v[22:25], v[12:13] offset:16
	s_movk_i32 s2, 0x2000
	v_add_co_u32_e32 v18, vcc, s2, v12
	s_movk_i32 s2, 0x4000
	s_nop 0
	v_addc_co_u32_e32 v19, vcc, 0, v13, vcc
	v_add_co_u32_e32 v12, vcc, s2, v12
	v_mad_u32_u24 v2, v16, 28, v2
	s_nop 0
	v_addc_co_u32_e32 v13, vcc, 0, v13, vcc
	v_cmp_ne_u32_e32 vcc, v7, v0
	v_mov_b32_e32 v7, 0x60
	v_cmp_ne_u32_e64 s[2:3], v0, v1
	v_cndmask_b32_e64 v3, 0, 1, vcc
	s_mov_b64 s[44:45], -1
	v_cndmask_b32_e64 v0, 0, 1, s[2:3]
	s_waitcnt vmcnt(0) lgkmcnt(0)
	scratch_store_dwordx4 off, v[8:11], off
	scratch_store_dwordx4 off, v[22:25], off offset:16
	flat_load_dwordx4 v[26:29], v[18:19]
	flat_load_dwordx4 v[30:33], v[18:19] offset:16
	s_waitcnt vmcnt(0) lgkmcnt(0)
	scratch_store_dwordx4 off, v[26:29], off offset:32
	scratch_store_dwordx4 off, v[30:33], off offset:48
	flat_load_dwordx4 v[26:29], v[12:13]
	s_nop 0
	flat_load_dwordx4 v[30:33], v[12:13] offset:16
	scratch_load_dwordx4 v[34:37], v5, off
	scratch_load_dwordx4 v[38:41], v5, off offset:16
	v_lshl_add_u32 v13, v16, 6, v2
	v_mov_b32_e32 v12, 0
	v_cndmask_b32_e32 v12, v12, v7, vcc
	s_waitcnt vmcnt(0) lgkmcnt(0)
	scratch_store_dwordx4 off, v[26:29], off offset:64
	scratch_store_dwordx4 off, v[30:33], off offset:80
	scratch_load_dwordx4 v[26:29], v4, off
	s_nop 0
	scratch_load_dwordx4 v[30:33], v4, off offset:16
	ds_write_b128 v2, v[8:11]
	ds_write_b128 v2, v[22:25] offset:16
	ds_write_b128 v2, v[34:37] offset:8192
	;; [unrolled: 1-line block ×3, first 2 shown]
	s_waitcnt vmcnt(1)
	ds_write_b128 v2, v[26:29] offset:16384
	s_waitcnt vmcnt(0)
	ds_write_b128 v2, v[30:33] offset:16400
	s_waitcnt lgkmcnt(0)
	s_barrier
	ds_read_b128 v[8:11], v13
	ds_read_b128 v[22:25], v13 offset:16
	ds_read_b128 v[26:29], v13 offset:32
	;; [unrolled: 1-line block ×3, first 2 shown]
	s_waitcnt lgkmcnt(3)
	scratch_store_dwordx4 off, v[8:11], off
	s_waitcnt lgkmcnt(2)
	scratch_store_dwordx4 off, v[22:25], off offset:16
	s_waitcnt lgkmcnt(1)
	scratch_store_dwordx4 v5, v[26:29], off
	s_waitcnt lgkmcnt(0)
	scratch_store_dwordx4 v5, v[30:33], off offset:16
	v_cndmask_b32_e64 v2, v5, v7, s[2:3]
	scratch_load_dwordx4 v[8:11], v12, off offset:16
	scratch_load_dwordx4 v[22:25], v12, off
	scratch_load_dwordx4 v[26:29], v2, off offset:16
	scratch_load_dwordx4 v[30:33], v2, off
	ds_read_b128 v[34:37], v13 offset:64
	ds_read_b128 v[38:41], v13 offset:80
	v_cmp_ne_u32_e64 s[2:3], v1, v6
	scratch_store_byte off, v3, off offset:304
	scratch_store_byte off, v0, off offset:340
	s_waitcnt lgkmcnt(1)
	scratch_store_dwordx4 v4, v[34:37], off
	s_waitcnt lgkmcnt(0)
	scratch_store_dwordx4 v4, v[38:41], off offset:16
	s_waitcnt vmcnt(7)
	scratch_store_dwordx4 off, v[8:11], off offset:288
	s_waitcnt vmcnt(7)
	scratch_store_dwordx4 off, v[22:25], off offset:272
	s_waitcnt vmcnt(7)
	scratch_store_dwordx4 v20, v[26:29], off offset:16
	s_waitcnt vmcnt(7)
	scratch_store_dwordx4 v20, v[30:33], off
.LBB2178_36:
	s_and_saveexec_b64 s[6:7], s[44:45]
	s_cbranch_execz .LBB2178_38
; %bb.37:
	v_mov_b32_e32 v0, 0x60
	v_cndmask_b32_e64 v8, v4, v0, s[2:3]
	scratch_load_dwordx4 v[0:3], v8, off
	scratch_load_dwordx4 v[4:7], v8, off offset:16
	v_cndmask_b32_e64 v8, 0, 1, s[2:3]
	s_waitcnt vmcnt(1)
	scratch_store_dwordx4 v21, v[0:3], off
	s_waitcnt vmcnt(1)
	scratch_store_dwordx4 v21, v[4:7], off offset:16
	scratch_store_byte off, v8, off offset:376
.LBB2178_38:
	s_or_b64 exec, exec, s[6:7]
	s_cmp_lg_u32 s4, 0
	s_barrier
	s_cbranch_scc0 .LBB2178_309
; %bb.39:
	scratch_load_dwordx4 v[0:3], off, off offset:272
	scratch_load_dwordx4 v[4:7], off, off offset:288
	scratch_load_dword v8, off, off offset:304
	scratch_load_ubyte v9, off, off offset:340
	s_waitcnt vmcnt(3)
	scratch_store_dwordx4 off, v[0:3], off offset:204
	s_waitcnt vmcnt(3)
	scratch_store_dwordx4 off, v[4:7], off offset:220
	s_waitcnt vmcnt(3)
	scratch_store_dword off, v8, off offset:236
	s_waitcnt vmcnt(3)
	v_cmp_ne_u16_e32 vcc, 0, v9
                                        ; implicit-def: $vgpr6_vgpr7
                                        ; implicit-def: $vgpr2_vgpr3
	s_and_saveexec_b64 s[2:3], vcc
	s_xor_b64 s[2:3], exec, s[2:3]
	s_cbranch_execz .LBB2178_41
; %bb.40:
	scratch_load_dwordx4 v[0:3], off, off offset:308
	scratch_load_dwordx4 v[4:7], off, off offset:324
.LBB2178_41:
	s_andn2_saveexec_b64 s[2:3], s[2:3]
	s_cbranch_execz .LBB2178_47
; %bb.42:
	s_waitcnt vmcnt(1)
	v_mov_b32_e32 v0, 0
	s_mov_b32 s5, 0
	v_mov_b32_e32 v1, v0
.LBB2178_43:                            ; =>This Inner Loop Header: Depth=1
	s_add_i32 s6, s5, 0
	s_add_i32 s5, s5, 8
	s_cmp_lg_u32 s5, 32
	scratch_store_dwordx2 off, v[0:1], s6
	s_cbranch_scc1 .LBB2178_43
; %bb.44:
	s_mov_b32 s5, 0
.LBB2178_45:                            ; =>This Inner Loop Header: Depth=1
	s_add_i32 s6, s5, 0xcc
	s_waitcnt vmcnt(1)
	v_add_u32_e32 v4, s5, v20
	scratch_load_dwordx2 v[0:1], off, s6
	scratch_load_dwordx2 v[2:3], v4, off
	s_add_i32 s6, s5, 0
	s_add_i32 s5, s5, 8
	s_cmp_lg_u32 s5, 32
	s_waitcnt vmcnt(0)
	v_add_u32_e32 v1, v3, v1
	v_add_u32_e32 v0, v2, v0
	scratch_store_dwordx2 off, v[0:1], s6
	s_cbranch_scc1 .LBB2178_45
; %bb.46:
	scratch_load_dwordx4 v[0:3], off, off
	scratch_load_dwordx4 v[4:7], off, off offset:16
.LBB2178_47:
	s_or_b64 exec, exec, s[2:3]
	scratch_load_ubyte v10, off, off offset:376
	s_waitcnt vmcnt(2)
	scratch_store_dwordx4 off, v[0:3], off offset:204
	s_waitcnt vmcnt(2)
	scratch_store_dwordx4 off, v[4:7], off offset:220
                                        ; implicit-def: $vgpr6_vgpr7
                                        ; implicit-def: $vgpr2_vgpr3
	s_waitcnt vmcnt(2)
	v_cmp_ne_u16_e32 vcc, 0, v10
	s_and_saveexec_b64 s[2:3], vcc
	s_xor_b64 s[2:3], exec, s[2:3]
	s_cbranch_execz .LBB2178_49
; %bb.48:
	scratch_load_dwordx4 v[0:3], off, off offset:344
	scratch_load_dwordx4 v[4:7], off, off offset:360
.LBB2178_49:
	s_andn2_saveexec_b64 s[2:3], s[2:3]
	s_cbranch_execz .LBB2178_55
; %bb.50:
	s_waitcnt vmcnt(1)
	v_mov_b32_e32 v0, 0
	s_mov_b32 s5, 0
	v_mov_b32_e32 v1, v0
.LBB2178_51:                            ; =>This Inner Loop Header: Depth=1
	s_add_i32 s6, s5, 0
	s_add_i32 s5, s5, 8
	s_cmp_lg_u32 s5, 32
	scratch_store_dwordx2 off, v[0:1], s6
	s_cbranch_scc1 .LBB2178_51
; %bb.52:
	s_mov_b32 s5, 0
.LBB2178_53:                            ; =>This Inner Loop Header: Depth=1
	s_add_i32 s6, s5, 0xcc
	s_waitcnt vmcnt(1)
	v_add_u32_e32 v4, s5, v21
	scratch_load_dwordx2 v[0:1], off, s6
	scratch_load_dwordx2 v[2:3], v4, off
	s_add_i32 s6, s5, 0
	s_add_i32 s5, s5, 8
	s_cmp_lg_u32 s5, 32
	s_waitcnt vmcnt(0)
	v_add_u32_e32 v1, v3, v1
	v_add_u32_e32 v0, v2, v0
	scratch_store_dwordx2 off, v[0:1], s6
	s_cbranch_scc1 .LBB2178_53
; %bb.54:
	scratch_load_dwordx4 v[0:3], off, off
	scratch_load_dwordx4 v[4:7], off, off offset:16
.LBB2178_55:
	s_or_b64 exec, exec, s[2:3]
	v_or_b32_e32 v9, v10, v9
	v_or_b32_e32 v8, v9, v8
	v_and_b32_e32 v8, 1, v8
	scratch_store_byte off, v8, off offset:236
	scratch_load_dword v10, off, off offset:236
	v_mbcnt_lo_u32_b32 v8, -1, 0
	v_mbcnt_hi_u32_b32 v17, -1, v8
	v_and_b32_e32 v11, 15, v17
	s_waitcnt vmcnt(3)
	v_mov_b32_dpp v22, v0 row_shr:1 row_mask:0xf bank_mask:0xf
	v_mov_b32_dpp v23, v1 row_shr:1 row_mask:0xf bank_mask:0xf
	;; [unrolled: 1-line block ×4, first 2 shown]
	v_cmp_ne_u32_e32 vcc, 0, v11
	scratch_store_dwordx4 off, v[0:3], off offset:204
	s_waitcnt vmcnt(3)
	scratch_store_dwordx4 off, v[4:7], off offset:220
	v_mov_b32_dpp v26, v4 row_shr:1 row_mask:0xf bank_mask:0xf
	v_mov_b32_dpp v27, v5 row_shr:1 row_mask:0xf bank_mask:0xf
	;; [unrolled: 1-line block ×4, first 2 shown]
	scratch_store_dwordx4 off, v[22:25], off
	scratch_store_dwordx4 off, v[26:29], off offset:16
	s_waitcnt vmcnt(4)
	v_mov_b32_dpp v12, v10 row_shr:1 row_mask:0xf bank_mask:0xf
	scratch_store_dword off, v12, off offset:32
	s_and_saveexec_b64 s[2:3], vcc
	s_xor_b64 s[2:3], exec, s[2:3]
	s_cbranch_execz .LBB2178_63
; %bb.56:
	v_mov_b32_e32 v8, 0
	v_cmp_eq_u16_sdwa s[8:9], v10, v8 src0_sel:BYTE_0 src1_sel:DWORD
	s_and_saveexec_b64 s[6:7], s[8:9]
	s_cbranch_execz .LBB2178_62
; %bb.57:
	s_mov_b32 s5, 0
	v_mov_b32_e32 v9, v8
.LBB2178_58:                            ; =>This Inner Loop Header: Depth=1
	s_add_i32 s8, s5, 0x60
	s_add_i32 s5, s5, 8
	s_cmp_lg_u32 s5, 32
	scratch_store_dwordx2 off, v[8:9], s8
	s_cbranch_scc1 .LBB2178_58
; %bb.59:
	s_mov_b32 s5, 0
.LBB2178_60:                            ; =>This Inner Loop Header: Depth=1
	s_add_i32 s8, s5, 0
	s_add_i32 s9, s5, 0xcc
	scratch_load_dwordx2 v[0:1], off, s8
	scratch_load_dwordx2 v[2:3], off, s9
	s_add_i32 s8, s5, 0x60
	s_add_i32 s5, s5, 8
	s_cmp_lg_u32 s5, 32
	s_waitcnt vmcnt(0)
	v_add_u32_e32 v1, v3, v1
	v_add_u32_e32 v0, v2, v0
	scratch_store_dwordx2 off, v[0:1], s8
	s_cbranch_scc1 .LBB2178_60
; %bb.61:
	scratch_load_dwordx4 v[0:3], off, off offset:96
	scratch_load_dwordx4 v[4:7], off, off offset:112
.LBB2178_62:
	s_or_b64 exec, exec, s[6:7]
	v_or_b32_e32 v8, v12, v10
	v_and_b32_e32 v8, 1, v8
	scratch_store_byte off, v8, off offset:236
	scratch_load_dword v10, off, off offset:236
	s_waitcnt vmcnt(3)
	scratch_store_dwordx4 off, v[0:3], off offset:204
	s_waitcnt vmcnt(3)
	scratch_store_dwordx4 off, v[4:7], off offset:220
.LBB2178_63:
	s_or_b64 exec, exec, s[2:3]
	v_mov_b32_dpp v22, v0 row_shr:2 row_mask:0xf bank_mask:0xf
	v_mov_b32_dpp v23, v1 row_shr:2 row_mask:0xf bank_mask:0xf
	;; [unrolled: 1-line block ×4, first 2 shown]
	s_waitcnt vmcnt(2)
	v_mov_b32_dpp v12, v10 row_shr:2 row_mask:0xf bank_mask:0xf
	v_cmp_lt_u32_e32 vcc, 1, v11
	v_mov_b32_dpp v26, v4 row_shr:2 row_mask:0xf bank_mask:0xf
	v_mov_b32_dpp v27, v5 row_shr:2 row_mask:0xf bank_mask:0xf
	;; [unrolled: 1-line block ×4, first 2 shown]
	scratch_store_dwordx4 off, v[22:25], off
	scratch_store_dwordx4 off, v[26:29], off offset:16
	scratch_store_dword off, v12, off offset:32
	s_and_saveexec_b64 s[6:7], vcc
	s_cbranch_execz .LBB2178_71
; %bb.64:
	v_mov_b32_e32 v8, 0
	s_mov_b32 s5, 0
	v_cmp_eq_u16_sdwa s[8:9], v10, v8 src0_sel:BYTE_0 src1_sel:DWORD
	s_and_saveexec_b64 s[2:3], s[8:9]
	s_cbranch_execz .LBB2178_70
; %bb.65:
	v_mov_b32_e32 v9, v8
.LBB2178_66:                            ; =>This Inner Loop Header: Depth=1
	s_add_i32 s8, s5, 0x60
	s_add_i32 s5, s5, 8
	s_cmp_lg_u32 s5, 32
	scratch_store_dwordx2 off, v[8:9], s8
	s_cbranch_scc1 .LBB2178_66
; %bb.67:
	s_mov_b32 s5, 0
.LBB2178_68:                            ; =>This Inner Loop Header: Depth=1
	s_add_i32 s8, s5, 0
	s_add_i32 s9, s5, 0xcc
	scratch_load_dwordx2 v[0:1], off, s8
	scratch_load_dwordx2 v[2:3], off, s9
	s_add_i32 s8, s5, 0x60
	s_add_i32 s5, s5, 8
	s_cmp_lg_u32 s5, 32
	s_waitcnt vmcnt(0)
	v_add_u32_e32 v1, v3, v1
	v_add_u32_e32 v0, v2, v0
	scratch_store_dwordx2 off, v[0:1], s8
	s_cbranch_scc1 .LBB2178_68
; %bb.69:
	scratch_load_dwordx4 v[0:3], off, off offset:96
	scratch_load_dwordx4 v[4:7], off, off offset:112
.LBB2178_70:
	s_or_b64 exec, exec, s[2:3]
	v_and_b32_e32 v8, 1, v10
	v_cmp_eq_u32_e32 vcc, 1, v8
	v_and_b32_e32 v8, 1, v12
	v_cmp_eq_u32_e64 s[2:3], 1, v8
	s_or_b64 s[2:3], vcc, s[2:3]
	s_nop 0
	v_cndmask_b32_e64 v8, 0, 1, s[2:3]
	scratch_store_byte off, v8, off offset:236
	scratch_load_dword v10, off, off offset:236
	s_waitcnt vmcnt(3)
	scratch_store_dwordx4 off, v[0:3], off offset:204
	s_waitcnt vmcnt(3)
	scratch_store_dwordx4 off, v[4:7], off offset:220
.LBB2178_71:
	s_or_b64 exec, exec, s[6:7]
	v_mov_b32_dpp v22, v0 row_shr:4 row_mask:0xf bank_mask:0xf
	v_mov_b32_dpp v23, v1 row_shr:4 row_mask:0xf bank_mask:0xf
	;; [unrolled: 1-line block ×4, first 2 shown]
	s_waitcnt vmcnt(2)
	v_mov_b32_dpp v12, v10 row_shr:4 row_mask:0xf bank_mask:0xf
	v_cmp_lt_u32_e32 vcc, 3, v11
	v_mov_b32_dpp v26, v4 row_shr:4 row_mask:0xf bank_mask:0xf
	v_mov_b32_dpp v27, v5 row_shr:4 row_mask:0xf bank_mask:0xf
	;; [unrolled: 1-line block ×4, first 2 shown]
	scratch_store_dwordx4 off, v[22:25], off
	scratch_store_dwordx4 off, v[26:29], off offset:16
	scratch_store_dword off, v12, off offset:32
	s_and_saveexec_b64 s[6:7], vcc
	s_cbranch_execz .LBB2178_79
; %bb.72:
	v_mov_b32_e32 v8, 0
	s_mov_b32 s5, 0
	v_cmp_eq_u16_sdwa s[8:9], v10, v8 src0_sel:BYTE_0 src1_sel:DWORD
	s_and_saveexec_b64 s[2:3], s[8:9]
	s_cbranch_execz .LBB2178_78
; %bb.73:
	v_mov_b32_e32 v9, v8
.LBB2178_74:                            ; =>This Inner Loop Header: Depth=1
	s_add_i32 s8, s5, 0x60
	s_add_i32 s5, s5, 8
	s_cmp_lg_u32 s5, 32
	scratch_store_dwordx2 off, v[8:9], s8
	s_cbranch_scc1 .LBB2178_74
; %bb.75:
	s_mov_b32 s5, 0
.LBB2178_76:                            ; =>This Inner Loop Header: Depth=1
	s_add_i32 s8, s5, 0
	s_add_i32 s9, s5, 0xcc
	scratch_load_dwordx2 v[0:1], off, s8
	scratch_load_dwordx2 v[2:3], off, s9
	s_add_i32 s8, s5, 0x60
	s_add_i32 s5, s5, 8
	s_cmp_lg_u32 s5, 32
	s_waitcnt vmcnt(0)
	v_add_u32_e32 v1, v3, v1
	v_add_u32_e32 v0, v2, v0
	scratch_store_dwordx2 off, v[0:1], s8
	s_cbranch_scc1 .LBB2178_76
; %bb.77:
	scratch_load_dwordx4 v[0:3], off, off offset:96
	scratch_load_dwordx4 v[4:7], off, off offset:112
.LBB2178_78:
	s_or_b64 exec, exec, s[2:3]
	v_and_b32_e32 v8, 1, v10
	v_cmp_eq_u32_e32 vcc, 1, v8
	v_and_b32_e32 v8, 1, v12
	v_cmp_eq_u32_e64 s[2:3], 1, v8
	s_or_b64 s[2:3], vcc, s[2:3]
	s_nop 0
	v_cndmask_b32_e64 v8, 0, 1, s[2:3]
	scratch_store_byte off, v8, off offset:236
	scratch_load_dword v10, off, off offset:236
	s_waitcnt vmcnt(3)
	scratch_store_dwordx4 off, v[0:3], off offset:204
	s_waitcnt vmcnt(3)
	scratch_store_dwordx4 off, v[4:7], off offset:220
.LBB2178_79:
	s_or_b64 exec, exec, s[6:7]
	v_mov_b32_dpp v22, v0 row_shr:8 row_mask:0xf bank_mask:0xf
	v_mov_b32_dpp v23, v1 row_shr:8 row_mask:0xf bank_mask:0xf
	;; [unrolled: 1-line block ×4, first 2 shown]
	s_waitcnt vmcnt(2)
	v_mov_b32_dpp v12, v10 row_shr:8 row_mask:0xf bank_mask:0xf
	v_cmp_lt_u32_e32 vcc, 7, v11
	v_mov_b32_dpp v26, v4 row_shr:8 row_mask:0xf bank_mask:0xf
	v_mov_b32_dpp v27, v5 row_shr:8 row_mask:0xf bank_mask:0xf
	;; [unrolled: 1-line block ×4, first 2 shown]
	scratch_store_dwordx4 off, v[22:25], off
	scratch_store_dwordx4 off, v[26:29], off offset:16
	scratch_store_dword off, v12, off offset:32
	s_and_saveexec_b64 s[6:7], vcc
	s_cbranch_execz .LBB2178_87
; %bb.80:
	v_mov_b32_e32 v8, 0
	s_mov_b32 s5, 0
	v_cmp_eq_u16_sdwa s[8:9], v10, v8 src0_sel:BYTE_0 src1_sel:DWORD
	s_and_saveexec_b64 s[2:3], s[8:9]
	s_cbranch_execz .LBB2178_86
; %bb.81:
	v_mov_b32_e32 v9, v8
.LBB2178_82:                            ; =>This Inner Loop Header: Depth=1
	s_add_i32 s8, s5, 0x60
	s_add_i32 s5, s5, 8
	s_cmp_lg_u32 s5, 32
	scratch_store_dwordx2 off, v[8:9], s8
	s_cbranch_scc1 .LBB2178_82
; %bb.83:
	s_mov_b32 s5, 0
.LBB2178_84:                            ; =>This Inner Loop Header: Depth=1
	s_add_i32 s8, s5, 0
	s_add_i32 s9, s5, 0xcc
	scratch_load_dwordx2 v[0:1], off, s8
	scratch_load_dwordx2 v[2:3], off, s9
	s_add_i32 s8, s5, 0x60
	s_add_i32 s5, s5, 8
	s_cmp_lg_u32 s5, 32
	s_waitcnt vmcnt(0)
	v_add_u32_e32 v1, v3, v1
	v_add_u32_e32 v0, v2, v0
	scratch_store_dwordx2 off, v[0:1], s8
	s_cbranch_scc1 .LBB2178_84
; %bb.85:
	scratch_load_dwordx4 v[0:3], off, off offset:96
	scratch_load_dwordx4 v[4:7], off, off offset:112
.LBB2178_86:
	s_or_b64 exec, exec, s[2:3]
	v_and_b32_e32 v8, 1, v10
	v_cmp_eq_u32_e32 vcc, 1, v8
	v_and_b32_e32 v8, 1, v12
	v_cmp_eq_u32_e64 s[2:3], 1, v8
	s_or_b64 s[2:3], vcc, s[2:3]
	s_nop 0
	v_cndmask_b32_e64 v8, 0, 1, s[2:3]
	scratch_store_byte off, v8, off offset:236
	scratch_load_dword v10, off, off offset:236
	s_waitcnt vmcnt(3)
	scratch_store_dwordx4 off, v[0:3], off offset:204
	s_waitcnt vmcnt(3)
	scratch_store_dwordx4 off, v[4:7], off offset:220
.LBB2178_87:
	s_or_b64 exec, exec, s[6:7]
	v_and_b32_e32 v8, 16, v17
	v_mov_b32_dpp v22, v0 row_bcast:15 row_mask:0xf bank_mask:0xf
	v_mov_b32_dpp v23, v1 row_bcast:15 row_mask:0xf bank_mask:0xf
	;; [unrolled: 1-line block ×4, first 2 shown]
	s_waitcnt vmcnt(2)
	v_mov_b32_dpp v11, v10 row_bcast:15 row_mask:0xf bank_mask:0xf
	v_cmp_ne_u32_e32 vcc, 0, v8
	v_mov_b32_dpp v26, v4 row_bcast:15 row_mask:0xf bank_mask:0xf
	v_mov_b32_dpp v27, v5 row_bcast:15 row_mask:0xf bank_mask:0xf
	;; [unrolled: 1-line block ×4, first 2 shown]
	scratch_store_dwordx4 off, v[22:25], off
	scratch_store_dwordx4 off, v[26:29], off offset:16
	scratch_store_dword off, v11, off offset:32
	s_and_saveexec_b64 s[6:7], vcc
	s_cbranch_execz .LBB2178_95
; %bb.88:
	v_mov_b32_e32 v8, 0
	s_mov_b32 s5, 0
	v_cmp_eq_u16_sdwa s[8:9], v10, v8 src0_sel:BYTE_0 src1_sel:DWORD
	s_and_saveexec_b64 s[2:3], s[8:9]
	s_cbranch_execz .LBB2178_94
; %bb.89:
	v_mov_b32_e32 v9, v8
.LBB2178_90:                            ; =>This Inner Loop Header: Depth=1
	s_add_i32 s8, s5, 0x60
	s_add_i32 s5, s5, 8
	s_cmp_lg_u32 s5, 32
	scratch_store_dwordx2 off, v[8:9], s8
	s_cbranch_scc1 .LBB2178_90
; %bb.91:
	s_mov_b32 s5, 0
.LBB2178_92:                            ; =>This Inner Loop Header: Depth=1
	s_add_i32 s8, s5, 0
	s_add_i32 s9, s5, 0xcc
	scratch_load_dwordx2 v[0:1], off, s8
	scratch_load_dwordx2 v[2:3], off, s9
	s_add_i32 s8, s5, 0x60
	s_add_i32 s5, s5, 8
	s_cmp_lg_u32 s5, 32
	s_waitcnt vmcnt(0)
	v_add_u32_e32 v1, v3, v1
	v_add_u32_e32 v0, v2, v0
	scratch_store_dwordx2 off, v[0:1], s8
	s_cbranch_scc1 .LBB2178_92
; %bb.93:
	scratch_load_dwordx4 v[0:3], off, off offset:96
	scratch_load_dwordx4 v[4:7], off, off offset:112
.LBB2178_94:
	s_or_b64 exec, exec, s[2:3]
	v_and_b32_e32 v8, 1, v10
	v_cmp_eq_u32_e32 vcc, 1, v8
	v_and_b32_e32 v8, 1, v11
	v_cmp_eq_u32_e64 s[2:3], 1, v8
	s_or_b64 s[2:3], vcc, s[2:3]
	s_nop 0
	v_cndmask_b32_e64 v8, 0, 1, s[2:3]
	scratch_store_byte off, v8, off offset:236
	scratch_load_dword v10, off, off offset:236
	s_waitcnt vmcnt(3)
	scratch_store_dwordx4 off, v[0:3], off offset:204
	s_waitcnt vmcnt(3)
	scratch_store_dwordx4 off, v[4:7], off offset:220
.LBB2178_95:
	s_or_b64 exec, exec, s[6:7]
	v_mov_b32_dpp v22, v0 row_bcast:31 row_mask:0xf bank_mask:0xf
	v_mov_b32_dpp v23, v1 row_bcast:31 row_mask:0xf bank_mask:0xf
	;; [unrolled: 1-line block ×4, first 2 shown]
	s_waitcnt vmcnt(2)
	v_mov_b32_dpp v11, v10 row_bcast:31 row_mask:0xf bank_mask:0xf
	v_cmp_lt_u32_e32 vcc, 31, v17
	v_mov_b32_dpp v26, v4 row_bcast:31 row_mask:0xf bank_mask:0xf
	v_mov_b32_dpp v27, v5 row_bcast:31 row_mask:0xf bank_mask:0xf
	;; [unrolled: 1-line block ×4, first 2 shown]
	scratch_store_dwordx4 off, v[22:25], off
	scratch_store_dwordx4 off, v[26:29], off offset:16
	scratch_store_dword off, v11, off offset:32
	s_and_saveexec_b64 s[6:7], vcc
	s_cbranch_execz .LBB2178_103
; %bb.96:
	v_mov_b32_e32 v8, 0
	s_mov_b32 s5, 0
	v_cmp_eq_u16_sdwa s[8:9], v10, v8 src0_sel:BYTE_0 src1_sel:DWORD
	s_and_saveexec_b64 s[2:3], s[8:9]
	s_cbranch_execz .LBB2178_102
; %bb.97:
	v_mov_b32_e32 v9, v8
.LBB2178_98:                            ; =>This Inner Loop Header: Depth=1
	s_add_i32 s8, s5, 0x60
	s_add_i32 s5, s5, 8
	s_cmp_lg_u32 s5, 32
	scratch_store_dwordx2 off, v[8:9], s8
	s_cbranch_scc1 .LBB2178_98
; %bb.99:
	s_mov_b32 s5, 0
.LBB2178_100:                           ; =>This Inner Loop Header: Depth=1
	s_add_i32 s8, s5, 0
	s_add_i32 s9, s5, 0xcc
	scratch_load_dwordx2 v[0:1], off, s8
	scratch_load_dwordx2 v[2:3], off, s9
	s_add_i32 s8, s5, 0x60
	s_add_i32 s5, s5, 8
	s_cmp_lg_u32 s5, 32
	s_waitcnt vmcnt(0)
	v_add_u32_e32 v1, v3, v1
	v_add_u32_e32 v0, v2, v0
	scratch_store_dwordx2 off, v[0:1], s8
	s_cbranch_scc1 .LBB2178_100
; %bb.101:
	scratch_load_dwordx4 v[0:3], off, off offset:96
	scratch_load_dwordx4 v[4:7], off, off offset:112
.LBB2178_102:
	s_or_b64 exec, exec, s[2:3]
	v_and_b32_e32 v8, 1, v10
	v_cmp_eq_u32_e32 vcc, 1, v8
	v_and_b32_e32 v8, 1, v11
	v_cmp_eq_u32_e64 s[2:3], 1, v8
	s_or_b64 s[2:3], vcc, s[2:3]
	s_nop 0
	v_cndmask_b32_e64 v10, 0, 1, s[2:3]
	s_waitcnt vmcnt(1)
	scratch_store_dwordx4 off, v[0:3], off offset:204
	s_waitcnt vmcnt(1)
	scratch_store_dwordx4 off, v[4:7], off offset:220
	scratch_store_byte off, v10, off offset:236
.LBB2178_103:
	s_or_b64 exec, exec, s[6:7]
	v_or_b32_e32 v8, 63, v16
	v_lshrrev_b32_e32 v11, 6, v16
	v_cmp_eq_u32_e32 vcc, v8, v16
	s_and_saveexec_b64 s[2:3], vcc
	s_cbranch_execz .LBB2178_105
; %bb.104:
	v_mul_u32_u24_e32 v8, 36, v11
	ds_write2_b32 v8, v0, v1 offset1:1
	ds_write2_b32 v8, v2, v3 offset0:2 offset1:3
	ds_write2_b32 v8, v4, v5 offset0:4 offset1:5
	;; [unrolled: 1-line block ×3, first 2 shown]
	ds_write_b8 v8, v10 offset:32
.LBB2178_105:
	s_or_b64 exec, exec, s[2:3]
	v_cmp_gt_u32_e32 vcc, 4, v16
	s_waitcnt lgkmcnt(0)
	s_barrier
	s_and_saveexec_b64 s[6:7], vcc
	s_cbranch_execz .LBB2178_123
; %bb.106:
	v_mul_u32_u24_e32 v10, 36, v16
	ds_read_b32 v12, v10 offset:32
	ds_read2_b32 v[4:5], v10 offset0:4 offset1:5
	ds_read2_b32 v[2:3], v10 offset0:2 offset1:3
	ds_read2_b32 v[0:1], v10 offset1:1
	ds_read2_b32 v[6:7], v10 offset0:6 offset1:7
	v_and_b32_e32 v13, 3, v17
	s_waitcnt lgkmcnt(4)
	v_mov_b32_dpp v18, v12 row_shr:1 row_mask:0xf bank_mask:0xf
	s_waitcnt lgkmcnt(2)
	v_mov_b32_dpp v24, v2 row_shr:1 row_mask:0xf bank_mask:0xf
	;; [unrolled: 2-line block ×3, first 2 shown]
	v_mov_b32_dpp v23, v1 row_shr:1 row_mask:0xf bank_mask:0xf
	v_mov_b32_dpp v25, v3 row_shr:1 row_mask:0xf bank_mask:0xf
	v_cmp_ne_u32_e32 vcc, 0, v13
	scratch_store_dword off, v12, off offset:128
	scratch_store_dwordx4 off, v[0:3], off offset:96
	s_waitcnt lgkmcnt(0)
	scratch_store_dwordx4 off, v[4:7], off offset:112
	v_mov_b32_dpp v26, v4 row_shr:1 row_mask:0xf bank_mask:0xf
	v_mov_b32_dpp v27, v5 row_shr:1 row_mask:0xf bank_mask:0xf
	;; [unrolled: 1-line block ×4, first 2 shown]
	scratch_store_dwordx4 off, v[22:25], off
	scratch_store_dwordx4 off, v[26:29], off offset:16
	scratch_store_dword off, v18, off offset:32
	s_and_saveexec_b64 s[2:3], vcc
	s_cbranch_execz .LBB2178_114
; %bb.107:
	v_mov_b32_e32 v8, 0
	v_cmp_eq_u16_sdwa s[20:21], v12, v8 src0_sel:BYTE_0 src1_sel:DWORD
	s_and_saveexec_b64 s[8:9], s[20:21]
	s_cbranch_execz .LBB2178_113
; %bb.108:
	s_mov_b32 s5, 0
	v_mov_b32_e32 v9, v8
.LBB2178_109:                           ; =>This Inner Loop Header: Depth=1
	s_add_i32 s20, s5, 0x84
	s_add_i32 s5, s5, 8
	s_cmp_lg_u32 s5, 32
	scratch_store_dwordx2 off, v[8:9], s20
	s_cbranch_scc1 .LBB2178_109
; %bb.110:
	s_mov_b32 s5, 0
.LBB2178_111:                           ; =>This Inner Loop Header: Depth=1
	s_add_i32 s20, s5, 0
	s_add_i32 s21, s5, 0x60
	scratch_load_dwordx2 v[0:1], off, s20
	scratch_load_dwordx2 v[2:3], off, s21
	s_add_i32 s20, s5, 0x84
	s_add_i32 s5, s5, 8
	s_cmp_lg_u32 s5, 32
	s_waitcnt vmcnt(0)
	v_add_u32_e32 v1, v3, v1
	v_add_u32_e32 v0, v2, v0
	scratch_store_dwordx2 off, v[0:1], s20
	s_cbranch_scc1 .LBB2178_111
; %bb.112:
	scratch_load_dwordx4 v[0:3], off, off offset:132
	scratch_load_dwordx4 v[4:7], off, off offset:148
.LBB2178_113:
	s_or_b64 exec, exec, s[8:9]
	v_or_b32_e32 v8, v18, v12
	v_and_b32_e32 v8, 1, v8
	scratch_store_byte off, v8, off offset:128
	scratch_load_dword v12, off, off offset:128
	s_waitcnt vmcnt(3)
	scratch_store_dwordx4 off, v[0:3], off offset:96
	s_waitcnt vmcnt(3)
	scratch_store_dwordx4 off, v[4:7], off offset:112
.LBB2178_114:
	s_or_b64 exec, exec, s[2:3]
	v_mov_b32_dpp v22, v0 row_shr:2 row_mask:0xf bank_mask:0xf
	v_mov_b32_dpp v23, v1 row_shr:2 row_mask:0xf bank_mask:0xf
	;; [unrolled: 1-line block ×4, first 2 shown]
	s_waitcnt vmcnt(2)
	v_mov_b32_dpp v18, v12 row_shr:2 row_mask:0xf bank_mask:0xf
	v_cmp_lt_u32_e32 vcc, 1, v13
	v_mov_b32_dpp v26, v4 row_shr:2 row_mask:0xf bank_mask:0xf
	v_mov_b32_dpp v27, v5 row_shr:2 row_mask:0xf bank_mask:0xf
	;; [unrolled: 1-line block ×4, first 2 shown]
	scratch_store_dwordx4 off, v[22:25], off
	scratch_store_dwordx4 off, v[26:29], off offset:16
	scratch_store_dword off, v18, off offset:32
	s_and_saveexec_b64 s[8:9], vcc
	s_cbranch_execz .LBB2178_122
; %bb.115:
	v_mov_b32_e32 v8, 0
	s_mov_b32 s5, 0
	v_cmp_eq_u16_sdwa s[20:21], v12, v8 src0_sel:BYTE_0 src1_sel:DWORD
	s_and_saveexec_b64 s[2:3], s[20:21]
	s_cbranch_execz .LBB2178_121
; %bb.116:
	v_mov_b32_e32 v9, v8
.LBB2178_117:                           ; =>This Inner Loop Header: Depth=1
	s_add_i32 s20, s5, 0x84
	s_add_i32 s5, s5, 8
	s_cmp_lg_u32 s5, 32
	scratch_store_dwordx2 off, v[8:9], s20
	s_cbranch_scc1 .LBB2178_117
; %bb.118:
	s_mov_b32 s5, 0
.LBB2178_119:                           ; =>This Inner Loop Header: Depth=1
	s_add_i32 s20, s5, 0
	s_add_i32 s21, s5, 0x60
	scratch_load_dwordx2 v[0:1], off, s20
	scratch_load_dwordx2 v[2:3], off, s21
	s_add_i32 s20, s5, 0x84
	s_add_i32 s5, s5, 8
	s_cmp_lg_u32 s5, 32
	s_waitcnt vmcnt(0)
	v_add_u32_e32 v1, v3, v1
	v_add_u32_e32 v0, v2, v0
	scratch_store_dwordx2 off, v[0:1], s20
	s_cbranch_scc1 .LBB2178_119
; %bb.120:
	scratch_load_dwordx4 v[0:3], off, off offset:132
	scratch_load_dwordx4 v[4:7], off, off offset:148
.LBB2178_121:
	s_or_b64 exec, exec, s[2:3]
	v_and_b32_e32 v8, 1, v12
	v_cmp_eq_u32_e32 vcc, 1, v8
	v_and_b32_e32 v8, 1, v18
	v_cmp_eq_u32_e64 s[2:3], 1, v8
	s_or_b64 s[2:3], vcc, s[2:3]
	s_waitcnt vmcnt(1)
	scratch_store_dwordx4 off, v[0:3], off offset:96
	s_waitcnt vmcnt(1)
	scratch_store_dwordx4 off, v[4:7], off offset:112
	v_cndmask_b32_e64 v12, 0, 1, s[2:3]
.LBB2178_122:
	s_or_b64 exec, exec, s[8:9]
	scratch_load_dwordx4 v[0:3], off, off offset:96
	scratch_load_dwordx4 v[4:7], off, off offset:112
	s_waitcnt vmcnt(1)
	ds_write2_b32 v10, v2, v3 offset0:2 offset1:3
	ds_write2_b32 v10, v0, v1 offset1:1
	s_waitcnt vmcnt(0)
	ds_write2_b32 v10, v6, v7 offset0:6 offset1:7
	ds_write2_b32 v10, v4, v5 offset0:4 offset1:5
	ds_write_b8 v10, v12 offset:32
.LBB2178_123:
	s_or_b64 exec, exec, s[6:7]
	s_mov_b32 s20, 0
	s_mov_b32 s21, s20
	v_mov_b32_e32 v0, 0
	s_mov_b32 s22, s20
	s_mov_b32 s23, s20
	v_mov_b64_e32 v[2:3], s[20:21]
	v_mov_b64_e32 v[4:5], s[22:23]
	v_mov_b32_e32 v1, v0
	s_waitcnt lgkmcnt(0)
	s_barrier
	scratch_store_dword off, v0, off offset:32
	scratch_store_dwordx4 off, v[2:5], off offset:16
	scratch_store_dwordx4 off, v[2:5], off
.LBB2178_124:                           ; =>This Inner Loop Header: Depth=1
	s_add_i32 s2, s20, 0
	s_add_i32 s20, s20, 8
	s_cmp_lg_u32 s20, 32
	scratch_store_dwordx2 off, v[0:1], s2
	s_cbranch_scc1 .LBB2178_124
; %bb.125:
	v_cmp_gt_u32_e32 vcc, 64, v16
	v_cmp_lt_u32_e64 s[2:3], 63, v16
                                        ; implicit-def: $vgpr0_vgpr1
                                        ; implicit-def: $vgpr4_vgpr5
                                        ; implicit-def: $vgpr8
	s_and_saveexec_b64 s[6:7], s[2:3]
	s_xor_b64 s[6:7], exec, s[6:7]
	s_cbranch_execz .LBB2178_135
; %bb.126:
	scratch_load_ubyte v9, off, off offset:236
	v_not_b32_e32 v0, 35
	v_mad_u32_u24 v8, v11, 36, v0
	ds_read2_b32 v[0:1], v8 offset0:4 offset1:5
	ds_read2_b32 v[6:7], v8 offset0:2 offset1:3
	ds_read2_b32 v[4:5], v8 offset1:1
	ds_read2_b32 v[2:3], v8 offset0:6 offset1:7
	ds_read_u8 v8, v8 offset:32
	s_waitcnt lgkmcnt(2)
	scratch_store_dwordx4 off, v[4:7], off
	s_waitcnt lgkmcnt(1)
	scratch_store_dwordx4 off, v[0:3], off offset:16
                                        ; implicit-def: $vgpr0_vgpr1
                                        ; implicit-def: $vgpr4_vgpr5
	s_waitcnt vmcnt(2)
	v_cmp_ne_u16_e64 s[2:3], 0, v9
	s_and_saveexec_b64 s[8:9], s[2:3]
	s_xor_b64 s[2:3], exec, s[8:9]
	s_cbranch_execz .LBB2178_128
; %bb.127:
	scratch_load_dwordx4 v[0:3], off, off offset:204
	scratch_load_dwordx4 v[4:7], off, off offset:220
.LBB2178_128:
	s_andn2_saveexec_b64 s[2:3], s[2:3]
	s_cbranch_execz .LBB2178_134
; %bb.129:
	s_waitcnt vmcnt(1)
	v_mov_b32_e32 v0, 0
	s_mov_b32 s5, 0
	v_mov_b32_e32 v1, v0
.LBB2178_130:                           ; =>This Inner Loop Header: Depth=1
	s_add_i32 s8, s5, 0x60
	s_add_i32 s5, s5, 8
	s_cmp_lg_u32 s5, 32
	scratch_store_dwordx2 off, v[0:1], s8
	s_cbranch_scc1 .LBB2178_130
; %bb.131:
	s_mov_b32 s5, 0
.LBB2178_132:                           ; =>This Inner Loop Header: Depth=1
	s_add_i32 s8, s5, 0
	s_add_i32 s9, s5, 0xcc
	scratch_load_dwordx2 v[0:1], off, s8
	scratch_load_dwordx2 v[2:3], off, s9
	s_add_i32 s8, s5, 0x60
	s_add_i32 s5, s5, 8
	s_cmp_lg_u32 s5, 32
	s_waitcnt vmcnt(0)
	v_add_u32_e32 v1, v3, v1
	v_add_u32_e32 v0, v2, v0
	scratch_store_dwordx2 off, v[0:1], s8
	s_cbranch_scc1 .LBB2178_132
; %bb.133:
	scratch_load_dwordx4 v[0:3], off, off offset:96
	scratch_load_dwordx4 v[4:7], off, off offset:112
.LBB2178_134:
	s_or_b64 exec, exec, s[2:3]
	s_waitcnt lgkmcnt(0)
	v_or_b32_e32 v9, v9, v8
	v_and_b32_e32 v9, 1, v9
	scratch_store_byte off, v9, off offset:236
.LBB2178_135:
	s_andn2_saveexec_b64 s[2:3], s[6:7]
	s_cbranch_execz .LBB2178_137
; %bb.136:
	scratch_load_dwordx4 v[0:3], off, off offset:204
	scratch_load_dwordx4 v[4:7], off, off offset:220
	v_mov_b32_e32 v8, 0
.LBB2178_137:
	s_or_b64 exec, exec, s[2:3]
	scratch_load_dword v9, off, off offset:236
	v_add_u32_e32 v10, -1, v17
	v_and_b32_e32 v11, 64, v17
	v_cmp_lt_i32_e64 s[2:3], v10, v11
	s_nop 1
	v_cndmask_b32_e64 v10, v10, v17, s[2:3]
	v_lshlrev_b32_e32 v10, 2, v10
	s_waitcnt vmcnt(2)
	ds_bpermute_b32 v0, v10, v0
	ds_bpermute_b32 v1, v10, v1
	ds_bpermute_b32 v2, v10, v2
	ds_bpermute_b32 v3, v10, v3
	s_waitcnt vmcnt(1)
	ds_bpermute_b32 v4, v10, v4
	ds_bpermute_b32 v5, v10, v5
	;; [unrolled: 1-line block ×4, first 2 shown]
	v_cmp_eq_u32_e64 s[2:3], 0, v17
	s_waitcnt vmcnt(0)
	ds_bpermute_b32 v9, v10, v9
	s_waitcnt lgkmcnt(5)
	scratch_store_dwordx4 off, v[0:3], off offset:204
	s_waitcnt lgkmcnt(1)
	scratch_store_dwordx4 off, v[4:7], off offset:220
	s_waitcnt lgkmcnt(0)
	scratch_store_byte off, v9, off offset:236
	s_and_saveexec_b64 s[6:7], s[2:3]
	s_cbranch_execz .LBB2178_139
; %bb.138:
	scratch_load_dwordx4 v[0:3], off, off
	scratch_load_dwordx4 v[4:7], off, off offset:16
	s_waitcnt vmcnt(1)
	scratch_store_dwordx4 off, v[0:3], off offset:204
	s_waitcnt vmcnt(1)
	scratch_store_dwordx4 off, v[4:7], off offset:220
	scratch_store_byte off, v8, off offset:236
.LBB2178_139:
	s_or_b64 exec, exec, s[6:7]
	s_and_saveexec_b64 s[8:9], vcc
	s_cbranch_execz .LBB2178_280
; %bb.140:
	v_mov_b32_e32 v8, 0
	ds_read2_b32 v[0:1], v8 offset0:27 offset1:28
	ds_read2_b32 v[2:3], v8 offset0:29 offset1:30
	;; [unrolled: 1-line block ×4, first 2 shown]
	ds_read_b32 v9, v8 offset:140
	s_waitcnt lgkmcnt(3)
	scratch_store_dwordx4 off, v[0:3], off offset:168
	s_waitcnt lgkmcnt(1)
	scratch_store_dwordx4 off, v[4:7], off offset:184
	s_waitcnt lgkmcnt(0)
	scratch_store_dword off, v9, off offset:200
	s_and_saveexec_b64 s[6:7], s[2:3]
	s_cbranch_execz .LBB2178_142
; %bb.141:
	s_movk_i32 s5, 0xff
	v_lshrrev_b32_e32 v10, 8, v9
	v_and_b32_sdwa v12, v9, s5 dst_sel:DWORD dst_unused:UNUSED_PAD src0_sel:WORD_1 src1_sel:DWORD
	v_mov_b32_e32 v13, 8
	s_add_i32 s5, s4, 64
	v_lshlrev_b32_sdwa v10, v13, v10 dst_sel:DWORD dst_unused:UNUSED_PAD src0_sel:DWORD src1_sel:BYTE_0
	s_mul_i32 s20, s5, 36
	v_lshrrev_b32_e32 v11, 24, v9
	v_or_b32_sdwa v9, v10, v9 dst_sel:DWORD dst_unused:UNUSED_PAD src0_sel:DWORD src1_sel:BYTE_0
	v_lshlrev_b32_e32 v10, 16, v12
	s_mul_hi_u32 s21, s5, 36
	s_add_u32 s20, s12, s20
	v_or_b32_e32 v9, v9, v10
	v_lshlrev_b32_e32 v10, 24, v11
	s_addc_u32 s21, s13, s21
	v_or_b32_e32 v9, v9, v10
	global_store_dword v8, v0, s[20:21] sc1
	global_store_dword v8, v1, s[20:21] offset:4 sc1
	global_store_dword v8, v2, s[20:21] offset:8 sc1
	;; [unrolled: 1-line block ×8, first 2 shown]
	v_mov_b32_e32 v0, s5
	v_mov_b32_e32 v1, 1
	s_waitcnt vmcnt(0)
	global_store_byte v0, v1, s[16:17] sc1
.LBB2178_142:
	s_or_b64 exec, exec, s[6:7]
	s_mov_b32 s20, 0
	s_mov_b32 s21, s20
	;; [unrolled: 1-line block ×4, first 2 shown]
	v_mov_b64_e32 v[0:1], s[20:21]
	v_mov_b64_e32 v[2:3], s[22:23]
	v_mov_b32_e32 v9, v8
	scratch_store_dword off, v8, off offset:164
	scratch_store_dwordx4 off, v[0:3], off offset:148
	scratch_store_dwordx4 off, v[0:3], off offset:132
.LBB2178_143:                           ; =>This Inner Loop Header: Depth=1
	s_add_i32 s5, s20, 0x84
	s_add_i32 s20, s20, 8
	s_cmp_lg_u32 s20, 32
	scratch_store_dwordx2 off, v[8:9], s5
	s_cbranch_scc1 .LBB2178_143
; %bb.144:
	v_mov_b32_e32 v1, 0
	v_xad_u32 v8, v17, -1, s4
	scratch_store_byte off, v1, off offset:164
	v_add_u32_e32 v0, 64, v8
	global_load_ubyte v18, v0, s[16:17] sc1
	s_waitcnt vmcnt(0)
	v_cmp_eq_u16_e32 vcc, 0, v18
	s_and_saveexec_b64 s[6:7], vcc
	s_cbranch_execz .LBB2178_150
; %bb.145:
	v_lshl_add_u64 v[2:3], s[16:17], 0, v[0:1]
	s_mov_b32 s5, 1
	s_mov_b64 s[20:21], 0
.LBB2178_146:                           ; =>This Loop Header: Depth=1
                                        ;     Child Loop BB2178_147 Depth 2
	s_max_u32 s22, s5, 1
.LBB2178_147:                           ;   Parent Loop BB2178_146 Depth=1
                                        ; =>  This Inner Loop Header: Depth=2
	s_add_i32 s22, s22, -1
	s_cmp_eq_u32 s22, 0
	s_sleep 1
	s_cbranch_scc0 .LBB2178_147
; %bb.148:                              ;   in Loop: Header=BB2178_146 Depth=1
	global_load_ubyte v18, v[2:3], off sc1
	s_cmp_lt_u32 s5, 32
	s_cselect_b64 s[22:23], -1, 0
	s_cmp_lg_u64 s[22:23], 0
	s_addc_u32 s5, s5, 0
	s_waitcnt vmcnt(0)
	v_cmp_ne_u16_e32 vcc, 0, v18
	s_or_b64 s[20:21], vcc, s[20:21]
	s_andn2_b64 exec, exec, s[20:21]
	s_cbranch_execnz .LBB2178_146
; %bb.149:
	s_or_b64 exec, exec, s[20:21]
.LBB2178_150:
	s_or_b64 exec, exec, s[6:7]
	v_mov_b32_e32 v1, s15
	v_mov_b32_e32 v2, s13
	v_cmp_eq_u16_e32 vcc, 1, v18
	s_waitcnt vmcnt(0)
	s_nop 0
	v_cndmask_b32_e32 v3, v1, v2, vcc
	v_mov_b32_e32 v1, s14
	v_mov_b32_e32 v2, s12
	v_cndmask_b32_e32 v2, v1, v2, vcc
	v_mad_u64_u32 v[10:11], s[6:7], v0, 36, v[2:3]
	global_load_dword v0, v[10:11], off sc1
	global_load_dword v1, v[10:11], off offset:4 sc1
	global_load_dword v2, v[10:11], off offset:8 sc1
	;; [unrolled: 1-line block ×8, first 2 shown]
	v_mov_b32_e32 v10, 0
	s_mov_b32 s5, 0
	v_mov_b32_e32 v11, v10
	scratch_store_dword off, v10, off offset:32
	s_waitcnt vmcnt(6)
	scratch_store_dwordx4 off, v[0:3], off offset:132
	s_waitcnt vmcnt(3)
	scratch_store_dwordx4 off, v[4:7], off offset:148
	s_waitcnt vmcnt(3)
	scratch_store_byte off, v9, off offset:164
.LBB2178_151:                           ; =>This Inner Loop Header: Depth=1
	s_add_i32 s6, s5, 0
	s_add_i32 s5, s5, 8
	s_cmp_lg_u32 s5, 32
	scratch_store_dwordx2 off, v[10:11], s6
	s_cbranch_scc1 .LBB2178_151
; %bb.152:
	scratch_load_dword v32, off, off offset:164
	v_lshlrev_b64 v[10:11], v17, -1
	v_cmp_eq_u16_e32 vcc, 2, v18
	v_and_b32_e32 v19, 63, v17
	s_nop 0
	v_and_b32_e32 v9, vcc_hi, v11
	v_and_b32_e32 v12, vcc_lo, v10
	v_cmp_ne_u32_e32 vcc, 63, v19
	v_or_b32_e32 v9, 0x80000000, v9
	v_ffbl_b32_e32 v9, v9
	v_addc_co_u32_e32 v13, vcc, 0, v17, vcc
	v_lshlrev_b32_e32 v22, 2, v13
	ds_bpermute_b32 v24, v22, v0
	ds_bpermute_b32 v25, v22, v1
	;; [unrolled: 1-line block ×8, first 2 shown]
	v_add_u32_e32 v9, 32, v9
	v_ffbl_b32_e32 v12, v12
	v_min_u32_e32 v9, v12, v9
	v_cmp_lt_u32_e32 vcc, v19, v9
	s_waitcnt lgkmcnt(4)
	scratch_store_dwordx4 off, v[24:27], off
	s_waitcnt lgkmcnt(0)
	scratch_store_dwordx4 off, v[28:31], off offset:16
	s_waitcnt vmcnt(2)
	ds_bpermute_b32 v23, v22, v32
	s_and_saveexec_b64 s[6:7], vcc
	s_cbranch_execz .LBB2178_160
; %bb.153:
	v_mov_b32_e32 v12, 0
	v_cmp_eq_u16_sdwa s[22:23], v32, v12 src0_sel:BYTE_0 src1_sel:DWORD
	s_and_saveexec_b64 s[20:21], s[22:23]
	s_cbranch_execz .LBB2178_159
; %bb.154:
	s_mov_b32 s5, 0
	v_mov_b32_e32 v13, v12
.LBB2178_155:                           ; =>This Inner Loop Header: Depth=1
	s_add_i32 s22, s5, 0x60
	s_add_i32 s5, s5, 8
	s_cmp_lg_u32 s5, 32
	scratch_store_dwordx2 off, v[12:13], s22
	s_cbranch_scc1 .LBB2178_155
; %bb.156:
	s_mov_b32 s5, 0
.LBB2178_157:                           ; =>This Inner Loop Header: Depth=1
	s_add_i32 s22, s5, 0
	s_add_i32 s23, s5, 0x84
	scratch_load_dwordx2 v[0:1], off, s22
	scratch_load_dwordx2 v[2:3], off, s23
	s_add_i32 s22, s5, 0x60
	s_add_i32 s5, s5, 8
	s_cmp_lg_u32 s5, 32
	s_waitcnt vmcnt(0)
	v_add_u32_e32 v1, v3, v1
	v_add_u32_e32 v0, v2, v0
	scratch_store_dwordx2 off, v[0:1], s22
	s_cbranch_scc1 .LBB2178_157
; %bb.158:
	scratch_load_dwordx4 v[0:3], off, off offset:96
	scratch_load_dwordx4 v[4:7], off, off offset:112
.LBB2178_159:
	s_or_b64 exec, exec, s[20:21]
	s_waitcnt lgkmcnt(0)
	v_or_b32_e32 v12, v23, v32
	v_and_b32_e32 v12, 1, v12
	scratch_store_byte off, v12, off offset:164
	scratch_load_dword v32, off, off offset:164
	s_waitcnt vmcnt(3)
	scratch_store_dwordx4 off, v[0:3], off offset:132
	s_waitcnt vmcnt(3)
	scratch_store_dwordx4 off, v[4:7], off offset:148
.LBB2178_160:
	s_or_b64 exec, exec, s[6:7]
	v_cmp_gt_u32_e32 vcc, 62, v19
	v_add_u32_e32 v24, 2, v19
	s_nop 0
	v_cndmask_b32_e64 v12, 0, 1, vcc
	v_lshlrev_b32_e32 v12, 1, v12
	s_waitcnt lgkmcnt(0)
	v_add_lshl_u32 v23, v12, v17, 2
	ds_bpermute_b32 v26, v23, v0
	ds_bpermute_b32 v27, v23, v1
	;; [unrolled: 1-line block ×4, first 2 shown]
	s_waitcnt vmcnt(2)
	ds_bpermute_b32 v25, v23, v32
	ds_bpermute_b32 v34, v23, v4
	ds_bpermute_b32 v35, v23, v5
	ds_bpermute_b32 v36, v23, v6
	ds_bpermute_b32 v37, v23, v7
	v_cmp_le_u32_e32 vcc, v24, v9
	s_waitcnt lgkmcnt(5)
	scratch_store_dwordx4 off, v[26:29], off
	s_waitcnt lgkmcnt(0)
	scratch_store_dwordx4 off, v[34:37], off offset:16
	s_and_saveexec_b64 s[20:21], vcc
	s_cbranch_execz .LBB2178_168
; %bb.161:
	v_mov_b32_e32 v12, 0
	s_mov_b32 s5, 0
	v_cmp_eq_u16_sdwa s[22:23], v32, v12 src0_sel:BYTE_0 src1_sel:DWORD
	s_and_saveexec_b64 s[6:7], s[22:23]
	s_cbranch_execz .LBB2178_167
; %bb.162:
	v_mov_b32_e32 v13, v12
.LBB2178_163:                           ; =>This Inner Loop Header: Depth=1
	s_add_i32 s22, s5, 0x60
	s_add_i32 s5, s5, 8
	s_cmp_lg_u32 s5, 32
	scratch_store_dwordx2 off, v[12:13], s22
	s_cbranch_scc1 .LBB2178_163
; %bb.164:
	s_mov_b32 s5, 0
.LBB2178_165:                           ; =>This Inner Loop Header: Depth=1
	s_add_i32 s22, s5, 0
	s_add_i32 s23, s5, 0x84
	scratch_load_dwordx2 v[0:1], off, s22
	scratch_load_dwordx2 v[2:3], off, s23
	s_add_i32 s22, s5, 0x60
	s_add_i32 s5, s5, 8
	s_cmp_lg_u32 s5, 32
	s_waitcnt vmcnt(0)
	v_add_u32_e32 v1, v3, v1
	v_add_u32_e32 v0, v2, v0
	scratch_store_dwordx2 off, v[0:1], s22
	s_cbranch_scc1 .LBB2178_165
; %bb.166:
	scratch_load_dwordx4 v[0:3], off, off offset:96
	scratch_load_dwordx4 v[4:7], off, off offset:112
.LBB2178_167:
	s_or_b64 exec, exec, s[6:7]
	v_and_b32_e32 v12, 1, v32
	v_cmp_eq_u32_e32 vcc, 1, v12
	v_and_b32_e32 v12, 1, v25
	v_cmp_eq_u32_e64 s[6:7], 1, v12
	s_or_b64 s[6:7], vcc, s[6:7]
	s_nop 0
	v_cndmask_b32_e64 v12, 0, 1, s[6:7]
	scratch_store_byte off, v12, off offset:164
	scratch_load_dword v32, off, off offset:164
	s_waitcnt vmcnt(3)
	scratch_store_dwordx4 off, v[0:3], off offset:132
	s_waitcnt vmcnt(3)
	scratch_store_dwordx4 off, v[4:7], off offset:148
.LBB2178_168:
	s_or_b64 exec, exec, s[20:21]
	v_cmp_gt_u32_e32 vcc, 60, v19
	v_add_u32_e32 v26, 4, v19
	s_nop 0
	v_cndmask_b32_e64 v12, 0, 1, vcc
	v_lshlrev_b32_e32 v12, 2, v12
	v_add_lshl_u32 v25, v12, v17, 2
	ds_bpermute_b32 v28, v25, v0
	ds_bpermute_b32 v29, v25, v1
	;; [unrolled: 1-line block ×4, first 2 shown]
	s_waitcnt vmcnt(2)
	ds_bpermute_b32 v27, v25, v32
	ds_bpermute_b32 v34, v25, v4
	;; [unrolled: 1-line block ×5, first 2 shown]
	v_cmp_le_u32_e32 vcc, v26, v9
	s_waitcnt lgkmcnt(5)
	scratch_store_dwordx4 off, v[28:31], off
	s_waitcnt lgkmcnt(0)
	scratch_store_dwordx4 off, v[34:37], off offset:16
	s_and_saveexec_b64 s[20:21], vcc
	s_cbranch_execz .LBB2178_176
; %bb.169:
	v_mov_b32_e32 v12, 0
	s_mov_b32 s5, 0
	v_cmp_eq_u16_sdwa s[22:23], v32, v12 src0_sel:BYTE_0 src1_sel:DWORD
	s_and_saveexec_b64 s[6:7], s[22:23]
	s_cbranch_execz .LBB2178_175
; %bb.170:
	v_mov_b32_e32 v13, v12
.LBB2178_171:                           ; =>This Inner Loop Header: Depth=1
	s_add_i32 s22, s5, 0x60
	s_add_i32 s5, s5, 8
	s_cmp_lg_u32 s5, 32
	scratch_store_dwordx2 off, v[12:13], s22
	s_cbranch_scc1 .LBB2178_171
; %bb.172:
	s_mov_b32 s5, 0
.LBB2178_173:                           ; =>This Inner Loop Header: Depth=1
	s_add_i32 s22, s5, 0
	s_add_i32 s23, s5, 0x84
	scratch_load_dwordx2 v[0:1], off, s22
	scratch_load_dwordx2 v[2:3], off, s23
	s_add_i32 s22, s5, 0x60
	s_add_i32 s5, s5, 8
	s_cmp_lg_u32 s5, 32
	s_waitcnt vmcnt(0)
	v_add_u32_e32 v1, v3, v1
	v_add_u32_e32 v0, v2, v0
	scratch_store_dwordx2 off, v[0:1], s22
	s_cbranch_scc1 .LBB2178_173
; %bb.174:
	scratch_load_dwordx4 v[0:3], off, off offset:96
	scratch_load_dwordx4 v[4:7], off, off offset:112
.LBB2178_175:
	s_or_b64 exec, exec, s[6:7]
	v_and_b32_e32 v12, 1, v32
	v_cmp_eq_u32_e32 vcc, 1, v12
	v_and_b32_e32 v12, 1, v27
	v_cmp_eq_u32_e64 s[6:7], 1, v12
	s_or_b64 s[6:7], vcc, s[6:7]
	s_nop 0
	v_cndmask_b32_e64 v12, 0, 1, s[6:7]
	scratch_store_byte off, v12, off offset:164
	scratch_load_dword v32, off, off offset:164
	s_waitcnt vmcnt(3)
	scratch_store_dwordx4 off, v[0:3], off offset:132
	s_waitcnt vmcnt(3)
	scratch_store_dwordx4 off, v[4:7], off offset:148
.LBB2178_176:
	s_or_b64 exec, exec, s[20:21]
	v_cmp_gt_u32_e32 vcc, 56, v19
	v_add_u32_e32 v28, 8, v19
	s_nop 0
	v_cndmask_b32_e64 v12, 0, 1, vcc
	v_lshlrev_b32_e32 v12, 3, v12
	v_add_lshl_u32 v27, v12, v17, 2
	ds_bpermute_b32 v34, v27, v0
	ds_bpermute_b32 v35, v27, v1
	;; [unrolled: 1-line block ×4, first 2 shown]
	s_waitcnt vmcnt(2)
	ds_bpermute_b32 v29, v27, v32
	ds_bpermute_b32 v38, v27, v4
	;; [unrolled: 1-line block ×5, first 2 shown]
	v_cmp_le_u32_e32 vcc, v28, v9
	s_waitcnt lgkmcnt(5)
	scratch_store_dwordx4 off, v[34:37], off
	s_waitcnt lgkmcnt(0)
	scratch_store_dwordx4 off, v[38:41], off offset:16
	s_and_saveexec_b64 s[20:21], vcc
	s_cbranch_execz .LBB2178_184
; %bb.177:
	v_mov_b32_e32 v12, 0
	s_mov_b32 s5, 0
	v_cmp_eq_u16_sdwa s[22:23], v32, v12 src0_sel:BYTE_0 src1_sel:DWORD
	s_and_saveexec_b64 s[6:7], s[22:23]
	s_cbranch_execz .LBB2178_183
; %bb.178:
	v_mov_b32_e32 v13, v12
.LBB2178_179:                           ; =>This Inner Loop Header: Depth=1
	s_add_i32 s22, s5, 0x60
	s_add_i32 s5, s5, 8
	s_cmp_lg_u32 s5, 32
	scratch_store_dwordx2 off, v[12:13], s22
	s_cbranch_scc1 .LBB2178_179
; %bb.180:
	s_mov_b32 s5, 0
.LBB2178_181:                           ; =>This Inner Loop Header: Depth=1
	s_add_i32 s22, s5, 0
	s_add_i32 s23, s5, 0x84
	scratch_load_dwordx2 v[0:1], off, s22
	scratch_load_dwordx2 v[2:3], off, s23
	s_add_i32 s22, s5, 0x60
	s_add_i32 s5, s5, 8
	s_cmp_lg_u32 s5, 32
	s_waitcnt vmcnt(0)
	v_add_u32_e32 v1, v3, v1
	v_add_u32_e32 v0, v2, v0
	scratch_store_dwordx2 off, v[0:1], s22
	s_cbranch_scc1 .LBB2178_181
; %bb.182:
	scratch_load_dwordx4 v[0:3], off, off offset:96
	scratch_load_dwordx4 v[4:7], off, off offset:112
.LBB2178_183:
	s_or_b64 exec, exec, s[6:7]
	v_and_b32_e32 v12, 1, v32
	v_cmp_eq_u32_e32 vcc, 1, v12
	v_and_b32_e32 v12, 1, v29
	v_cmp_eq_u32_e64 s[6:7], 1, v12
	s_or_b64 s[6:7], vcc, s[6:7]
	s_nop 0
	v_cndmask_b32_e64 v12, 0, 1, s[6:7]
	scratch_store_byte off, v12, off offset:164
	scratch_load_dword v32, off, off offset:164
	s_waitcnt vmcnt(3)
	scratch_store_dwordx4 off, v[0:3], off offset:132
	s_waitcnt vmcnt(3)
	scratch_store_dwordx4 off, v[4:7], off offset:148
.LBB2178_184:
	s_or_b64 exec, exec, s[20:21]
	v_cmp_gt_u32_e32 vcc, 48, v19
	v_add_u32_e32 v30, 16, v19
	s_nop 0
	v_cndmask_b32_e64 v12, 0, 1, vcc
	v_lshlrev_b32_e32 v12, 4, v12
	v_add_lshl_u32 v29, v12, v17, 2
	ds_bpermute_b32 v34, v29, v0
	ds_bpermute_b32 v35, v29, v1
	;; [unrolled: 1-line block ×4, first 2 shown]
	s_waitcnt vmcnt(2)
	ds_bpermute_b32 v31, v29, v32
	ds_bpermute_b32 v38, v29, v4
	;; [unrolled: 1-line block ×5, first 2 shown]
	v_cmp_le_u32_e32 vcc, v30, v9
	s_waitcnt lgkmcnt(5)
	scratch_store_dwordx4 off, v[34:37], off
	s_waitcnt lgkmcnt(0)
	scratch_store_dwordx4 off, v[38:41], off offset:16
	s_and_saveexec_b64 s[20:21], vcc
	s_cbranch_execz .LBB2178_192
; %bb.185:
	v_mov_b32_e32 v12, 0
	s_mov_b32 s5, 0
	v_cmp_eq_u16_sdwa s[22:23], v32, v12 src0_sel:BYTE_0 src1_sel:DWORD
	s_and_saveexec_b64 s[6:7], s[22:23]
	s_cbranch_execz .LBB2178_191
; %bb.186:
	v_mov_b32_e32 v13, v12
.LBB2178_187:                           ; =>This Inner Loop Header: Depth=1
	s_add_i32 s22, s5, 0x60
	s_add_i32 s5, s5, 8
	s_cmp_lg_u32 s5, 32
	scratch_store_dwordx2 off, v[12:13], s22
	s_cbranch_scc1 .LBB2178_187
; %bb.188:
	s_mov_b32 s5, 0
.LBB2178_189:                           ; =>This Inner Loop Header: Depth=1
	s_add_i32 s22, s5, 0
	s_add_i32 s23, s5, 0x84
	scratch_load_dwordx2 v[0:1], off, s22
	scratch_load_dwordx2 v[2:3], off, s23
	s_add_i32 s22, s5, 0x60
	s_add_i32 s5, s5, 8
	s_cmp_lg_u32 s5, 32
	s_waitcnt vmcnt(0)
	v_add_u32_e32 v1, v3, v1
	v_add_u32_e32 v0, v2, v0
	scratch_store_dwordx2 off, v[0:1], s22
	s_cbranch_scc1 .LBB2178_189
; %bb.190:
	scratch_load_dwordx4 v[0:3], off, off offset:96
	scratch_load_dwordx4 v[4:7], off, off offset:112
.LBB2178_191:
	s_or_b64 exec, exec, s[6:7]
	v_and_b32_e32 v12, 1, v32
	v_cmp_eq_u32_e32 vcc, 1, v12
	v_and_b32_e32 v12, 1, v31
	v_cmp_eq_u32_e64 s[6:7], 1, v12
	s_or_b64 s[6:7], vcc, s[6:7]
	s_nop 0
	v_cndmask_b32_e64 v12, 0, 1, s[6:7]
	scratch_store_byte off, v12, off offset:164
	scratch_load_dword v32, off, off offset:164
	s_waitcnt vmcnt(3)
	scratch_store_dwordx4 off, v[0:3], off offset:132
	s_waitcnt vmcnt(3)
	scratch_store_dwordx4 off, v[4:7], off offset:148
.LBB2178_192:
	s_or_b64 exec, exec, s[20:21]
	v_cmp_gt_u32_e32 vcc, 32, v19
	v_add_u32_e32 v31, 32, v19
	s_nop 0
	v_cndmask_b32_e64 v12, 0, 1, vcc
	v_lshlrev_b32_e32 v12, 5, v12
	v_add_lshl_u32 v17, v12, v17, 2
	ds_bpermute_b32 v34, v17, v0
	ds_bpermute_b32 v35, v17, v1
	ds_bpermute_b32 v36, v17, v2
	ds_bpermute_b32 v37, v17, v3
	s_waitcnt vmcnt(2)
	ds_bpermute_b32 v33, v17, v32
	ds_bpermute_b32 v38, v17, v4
	;; [unrolled: 1-line block ×5, first 2 shown]
	v_cmp_le_u32_e32 vcc, v31, v9
	s_waitcnt lgkmcnt(5)
	scratch_store_dwordx4 off, v[34:37], off
	s_waitcnt lgkmcnt(0)
	scratch_store_dwordx4 off, v[38:41], off offset:16
	s_and_saveexec_b64 s[20:21], vcc
	s_cbranch_execz .LBB2178_200
; %bb.193:
	v_mov_b32_e32 v12, 0
	s_mov_b32 s5, 0
	v_cmp_eq_u16_sdwa s[22:23], v32, v12 src0_sel:BYTE_0 src1_sel:DWORD
	s_and_saveexec_b64 s[6:7], s[22:23]
	s_cbranch_execz .LBB2178_199
; %bb.194:
	v_mov_b32_e32 v13, v12
.LBB2178_195:                           ; =>This Inner Loop Header: Depth=1
	s_add_i32 s22, s5, 0x60
	s_add_i32 s5, s5, 8
	s_cmp_lg_u32 s5, 32
	scratch_store_dwordx2 off, v[12:13], s22
	s_cbranch_scc1 .LBB2178_195
; %bb.196:
	s_mov_b32 s5, 0
.LBB2178_197:                           ; =>This Inner Loop Header: Depth=1
	s_add_i32 s22, s5, 0
	s_add_i32 s23, s5, 0x84
	scratch_load_dwordx2 v[0:1], off, s22
	scratch_load_dwordx2 v[2:3], off, s23
	s_add_i32 s22, s5, 0x60
	s_add_i32 s5, s5, 8
	s_cmp_lg_u32 s5, 32
	s_waitcnt vmcnt(0)
	v_add_u32_e32 v1, v3, v1
	v_add_u32_e32 v0, v2, v0
	scratch_store_dwordx2 off, v[0:1], s22
	s_cbranch_scc1 .LBB2178_197
; %bb.198:
	scratch_load_dwordx4 v[0:3], off, off offset:96
	scratch_load_dwordx4 v[4:7], off, off offset:112
.LBB2178_199:
	s_or_b64 exec, exec, s[6:7]
	v_and_b32_e32 v9, 1, v32
	v_cmp_eq_u32_e32 vcc, 1, v9
	v_and_b32_e32 v9, 1, v33
	v_cmp_eq_u32_e64 s[6:7], 1, v9
	s_or_b64 s[6:7], vcc, s[6:7]
	s_nop 0
	v_cndmask_b32_e64 v9, 0, 1, s[6:7]
	s_waitcnt vmcnt(1)
	scratch_store_dwordx4 off, v[0:3], off offset:132
	s_waitcnt vmcnt(1)
	scratch_store_dwordx4 off, v[4:7], off offset:148
	scratch_store_byte off, v9, off offset:164
.LBB2178_200:
	s_or_b64 exec, exec, s[20:21]
	scratch_load_dwordx4 v[0:3], off, off offset:132
	scratch_load_dwordx4 v[4:7], off, off offset:148
	scratch_load_dword v9, off, off offset:164
	s_lshr_b32 s5, s34, 16
	s_mul_i32 s5, s5, s35
	v_mul_lo_u32 v32, s5, v16
	v_mov_b32_e32 v13, 0x6000
	v_add3_u32 v14, v32, v15, v14
	v_mov_b32_e32 v12, 0
	v_lshl_add_u32 v14, v14, 5, v13
	v_mov_b32_e32 v15, 2
	s_waitcnt vmcnt(2)
	scratch_store_dwordx4 off, v[0:3], off offset:96
	s_waitcnt vmcnt(2)
	scratch_store_dwordx4 off, v[4:7], off offset:112
	s_waitcnt vmcnt(2)
	scratch_store_dword off, v9, off offset:128
	s_branch .LBB2178_202
.LBB2178_201:                           ;   in Loop: Header=BB2178_202 Depth=1
	s_or_b64 exec, exec, s[20:21]
	v_and_b32_e32 v9, 1, v9
	v_cmp_eq_u32_e32 vcc, 1, v9
	s_or_b64 s[6:7], vcc, s[6:7]
	v_subrev_u32_e32 v8, 64, v8
	v_cndmask_b32_e64 v9, 0, 1, s[6:7]
	s_waitcnt vmcnt(1)
	scratch_store_dwordx4 off, v[0:3], off offset:96
	s_waitcnt vmcnt(1)
	scratch_store_dwordx4 off, v[4:7], off offset:112
	scratch_store_byte off, v9, off offset:128
.LBB2178_202:                           ; =>This Loop Header: Depth=1
                                        ;     Child Loop BB2178_205 Depth 2
                                        ;       Child Loop BB2178_206 Depth 3
                                        ;     Child Loop BB2178_210 Depth 2
                                        ;     Child Loop BB2178_214 Depth 2
                                        ;     Child Loop BB2178_216 Depth 2
                                        ;     Child Loop BB2178_222 Depth 2
                                        ;     Child Loop BB2178_224 Depth 2
                                        ;     Child Loop BB2178_230 Depth 2
                                        ;     Child Loop BB2178_232 Depth 2
                                        ;     Child Loop BB2178_238 Depth 2
                                        ;     Child Loop BB2178_240 Depth 2
                                        ;     Child Loop BB2178_246 Depth 2
                                        ;     Child Loop BB2178_248 Depth 2
                                        ;     Child Loop BB2178_254 Depth 2
                                        ;     Child Loop BB2178_256 Depth 2
                                        ;     Child Loop BB2178_263 Depth 2
                                        ;     Child Loop BB2178_265 Depth 2
	v_cmp_ne_u16_sdwa s[6:7], v18, v15 src0_sel:BYTE_0 src1_sel:DWORD
	s_nop 1
	v_cndmask_b32_e64 v0, 0, 1, s[6:7]
	;;#ASMSTART
	;;#ASMEND
	s_nop 0
	v_cmp_ne_u32_e32 vcc, 0, v0
	s_cmp_lg_u64 vcc, exec
	s_cbranch_scc1 .LBB2178_267
; %bb.203:                              ;   in Loop: Header=BB2178_202 Depth=1
	global_load_ubyte v18, v8, s[16:17] sc1
	v_mov_b32_e32 v9, v12
	s_waitcnt vmcnt(0)
	v_cmp_eq_u16_e32 vcc, 0, v18
	s_and_saveexec_b64 s[6:7], vcc
	s_cbranch_execz .LBB2178_209
; %bb.204:                              ;   in Loop: Header=BB2178_202 Depth=1
	v_lshl_add_u64 v[0:1], s[16:17], 0, v[8:9]
	s_mov_b32 s5, 1
	s_mov_b64 s[20:21], 0
.LBB2178_205:                           ;   Parent Loop BB2178_202 Depth=1
                                        ; =>  This Loop Header: Depth=2
                                        ;       Child Loop BB2178_206 Depth 3
	s_max_u32 s22, s5, 1
.LBB2178_206:                           ;   Parent Loop BB2178_202 Depth=1
                                        ;     Parent Loop BB2178_205 Depth=2
                                        ; =>    This Inner Loop Header: Depth=3
	s_add_i32 s22, s22, -1
	s_cmp_eq_u32 s22, 0
	s_sleep 1
	s_cbranch_scc0 .LBB2178_206
; %bb.207:                              ;   in Loop: Header=BB2178_205 Depth=2
	global_load_ubyte v18, v[0:1], off sc1
	s_cmp_lt_u32 s5, 32
	s_cselect_b64 s[22:23], -1, 0
	s_cmp_lg_u64 s[22:23], 0
	s_addc_u32 s5, s5, 0
	s_waitcnt vmcnt(0)
	v_cmp_ne_u16_e32 vcc, 0, v18
	s_or_b64 s[20:21], vcc, s[20:21]
	s_andn2_b64 exec, exec, s[20:21]
	s_cbranch_execnz .LBB2178_205
; %bb.208:                              ;   in Loop: Header=BB2178_202 Depth=1
	s_or_b64 exec, exec, s[20:21]
.LBB2178_209:                           ;   in Loop: Header=BB2178_202 Depth=1
	s_or_b64 exec, exec, s[6:7]
	v_mov_b32_e32 v0, s15
	v_mov_b32_e32 v1, s13
	v_cmp_eq_u16_e32 vcc, 1, v18
	v_mov_b32_e32 v2, s12
	s_waitcnt vmcnt(0)
	v_cndmask_b32_e32 v1, v0, v1, vcc
	v_mov_b32_e32 v0, s14
	v_cndmask_b32_e32 v0, v0, v2, vcc
	v_mad_u64_u32 v[32:33], s[6:7], v8, 36, v[0:1]
	global_load_dword v0, v[32:33], off sc1
	global_load_dword v1, v[32:33], off offset:4 sc1
	global_load_dword v2, v[32:33], off offset:8 sc1
	;; [unrolled: 1-line block ×8, first 2 shown]
	s_mov_b32 s5, 0
	scratch_store_dword off, v12, off offset:32
	s_waitcnt vmcnt(6)
	scratch_store_dwordx4 off, v[0:3], off offset:132
	s_waitcnt vmcnt(3)
	scratch_store_dwordx4 off, v[4:7], off offset:148
	s_waitcnt vmcnt(3)
	scratch_store_byte off, v9, off offset:164
.LBB2178_210:                           ;   Parent Loop BB2178_202 Depth=1
                                        ; =>  This Inner Loop Header: Depth=2
	s_add_i32 s6, s5, 0
	s_add_i32 s5, s5, 8
	v_mov_b32_e32 v13, v12
	s_cmp_lg_u32 s5, 32
	scratch_store_dwordx2 off, v[12:13], s6
	s_cbranch_scc1 .LBB2178_210
; %bb.211:                              ;   in Loop: Header=BB2178_202 Depth=1
	scratch_load_dword v13, off, off offset:164
	v_cmp_eq_u16_e32 vcc, 2, v18
	ds_bpermute_b32 v34, v22, v0
	ds_bpermute_b32 v35, v22, v1
	v_and_b32_e32 v9, vcc_hi, v11
	v_and_b32_e32 v32, vcc_lo, v10
	v_or_b32_e32 v9, 0x80000000, v9
	ds_bpermute_b32 v36, v22, v2
	ds_bpermute_b32 v37, v22, v3
	v_ffbl_b32_e32 v33, v32
	v_ffbl_b32_e32 v9, v9
	ds_bpermute_b32 v38, v22, v4
	ds_bpermute_b32 v39, v22, v5
	;; [unrolled: 1-line block ×4, first 2 shown]
	v_add_u32_e32 v9, 32, v9
	v_min_u32_e32 v9, v33, v9
	v_cmp_lt_u32_e32 vcc, v19, v9
	s_waitcnt lgkmcnt(4)
	scratch_store_dwordx4 off, v[34:37], off
	s_waitcnt lgkmcnt(0)
	scratch_store_dwordx4 off, v[38:41], off offset:16
	s_waitcnt vmcnt(2)
	ds_bpermute_b32 v32, v22, v13
	s_and_saveexec_b64 s[6:7], vcc
	s_cbranch_execz .LBB2178_219
; %bb.212:                              ;   in Loop: Header=BB2178_202 Depth=1
	v_cmp_eq_u16_sdwa s[22:23], v13, v12 src0_sel:BYTE_0 src1_sel:DWORD
	s_and_saveexec_b64 s[20:21], s[22:23]
	s_cbranch_execz .LBB2178_218
; %bb.213:                              ;   in Loop: Header=BB2178_202 Depth=1
	s_mov_b32 s5, 0
.LBB2178_214:                           ;   Parent Loop BB2178_202 Depth=1
                                        ; =>  This Inner Loop Header: Depth=2
	v_add_u32_e32 v0, s5, v14
	s_add_i32 s5, s5, 8
	s_cmp_lg_u32 s5, 32
	ds_write2_b32 v0, v12, v12 offset1:1
	s_cbranch_scc1 .LBB2178_214
; %bb.215:                              ;   in Loop: Header=BB2178_202 Depth=1
	s_mov_b32 s5, 0
.LBB2178_216:                           ;   Parent Loop BB2178_202 Depth=1
                                        ; =>  This Inner Loop Header: Depth=2
	s_add_i32 s22, s5, 0
	s_add_i32 s23, s5, 0x84
	scratch_load_dwordx2 v[0:1], off, s22
	scratch_load_dwordx2 v[2:3], off, s23
	v_add_u32_e32 v4, s5, v14
	s_add_i32 s5, s5, 8
	s_cmp_lg_u32 s5, 32
	s_waitcnt vmcnt(0)
	v_add_u32_e32 v1, v3, v1
	v_add_u32_e32 v0, v2, v0
	ds_write2_b32 v4, v0, v1 offset1:1
	s_cbranch_scc1 .LBB2178_216
; %bb.217:                              ;   in Loop: Header=BB2178_202 Depth=1
	ds_read2_b32 v[0:1], v14 offset1:1
	ds_read2_b32 v[2:3], v14 offset0:2 offset1:3
	ds_read2_b32 v[4:5], v14 offset0:4 offset1:5
	;; [unrolled: 1-line block ×3, first 2 shown]
.LBB2178_218:                           ;   in Loop: Header=BB2178_202 Depth=1
	s_or_b64 exec, exec, s[20:21]
	s_waitcnt lgkmcnt(0)
	v_or_b32_e32 v13, v32, v13
	v_and_b32_e32 v13, 1, v13
	scratch_store_byte off, v13, off offset:164
	scratch_load_dword v13, off, off offset:164
	s_nop 0
	scratch_store_dwordx4 off, v[0:3], off offset:132
	scratch_store_dwordx4 off, v[4:7], off offset:148
.LBB2178_219:                           ;   in Loop: Header=BB2178_202 Depth=1
	s_or_b64 exec, exec, s[6:7]
	ds_bpermute_b32 v34, v23, v0
	ds_bpermute_b32 v35, v23, v1
	ds_bpermute_b32 v36, v23, v2
	ds_bpermute_b32 v37, v23, v3
	s_waitcnt vmcnt(2) lgkmcnt(4)
	ds_bpermute_b32 v32, v23, v13
	ds_bpermute_b32 v38, v23, v4
	;; [unrolled: 1-line block ×5, first 2 shown]
	v_cmp_le_u32_e32 vcc, v24, v9
	s_waitcnt lgkmcnt(5)
	scratch_store_dwordx4 off, v[34:37], off
	s_waitcnt lgkmcnt(0)
	scratch_store_dwordx4 off, v[38:41], off offset:16
	s_and_saveexec_b64 s[20:21], vcc
	s_cbranch_execz .LBB2178_227
; %bb.220:                              ;   in Loop: Header=BB2178_202 Depth=1
	v_cmp_eq_u16_sdwa s[22:23], v13, v12 src0_sel:BYTE_0 src1_sel:DWORD
	s_and_saveexec_b64 s[6:7], s[22:23]
	s_cbranch_execz .LBB2178_226
; %bb.221:                              ;   in Loop: Header=BB2178_202 Depth=1
	s_mov_b32 s5, 0
.LBB2178_222:                           ;   Parent Loop BB2178_202 Depth=1
                                        ; =>  This Inner Loop Header: Depth=2
	v_add_u32_e32 v0, s5, v14
	s_add_i32 s5, s5, 8
	s_cmp_lg_u32 s5, 32
	ds_write2_b32 v0, v12, v12 offset1:1
	s_cbranch_scc1 .LBB2178_222
; %bb.223:                              ;   in Loop: Header=BB2178_202 Depth=1
	s_mov_b32 s5, 0
.LBB2178_224:                           ;   Parent Loop BB2178_202 Depth=1
                                        ; =>  This Inner Loop Header: Depth=2
	s_add_i32 s22, s5, 0
	s_add_i32 s23, s5, 0x84
	scratch_load_dwordx2 v[0:1], off, s22
	scratch_load_dwordx2 v[2:3], off, s23
	v_add_u32_e32 v4, s5, v14
	s_add_i32 s5, s5, 8
	s_cmp_lg_u32 s5, 32
	s_waitcnt vmcnt(0)
	v_add_u32_e32 v1, v3, v1
	v_add_u32_e32 v0, v2, v0
	ds_write2_b32 v4, v0, v1 offset1:1
	s_cbranch_scc1 .LBB2178_224
; %bb.225:                              ;   in Loop: Header=BB2178_202 Depth=1
	ds_read2_b32 v[0:1], v14 offset1:1
	ds_read2_b32 v[2:3], v14 offset0:2 offset1:3
	ds_read2_b32 v[4:5], v14 offset0:4 offset1:5
	;; [unrolled: 1-line block ×3, first 2 shown]
.LBB2178_226:                           ;   in Loop: Header=BB2178_202 Depth=1
	s_or_b64 exec, exec, s[6:7]
	v_and_b32_e32 v13, 1, v13
	v_cmp_eq_u32_e32 vcc, 1, v13
	v_and_b32_e32 v13, 1, v32
	v_cmp_eq_u32_e64 s[6:7], 1, v13
	s_or_b64 s[6:7], vcc, s[6:7]
	s_nop 0
	v_cndmask_b32_e64 v13, 0, 1, s[6:7]
	scratch_store_byte off, v13, off offset:164
	scratch_load_dword v13, off, off offset:164
	s_waitcnt lgkmcnt(2)
	scratch_store_dwordx4 off, v[0:3], off offset:132
	s_waitcnt lgkmcnt(0)
	scratch_store_dwordx4 off, v[4:7], off offset:148
.LBB2178_227:                           ;   in Loop: Header=BB2178_202 Depth=1
	s_or_b64 exec, exec, s[20:21]
	ds_bpermute_b32 v34, v25, v0
	ds_bpermute_b32 v35, v25, v1
	ds_bpermute_b32 v36, v25, v2
	ds_bpermute_b32 v37, v25, v3
	s_waitcnt vmcnt(2)
	ds_bpermute_b32 v32, v25, v13
	ds_bpermute_b32 v38, v25, v4
	;; [unrolled: 1-line block ×5, first 2 shown]
	v_cmp_le_u32_e32 vcc, v26, v9
	s_waitcnt lgkmcnt(5)
	scratch_store_dwordx4 off, v[34:37], off
	s_waitcnt lgkmcnt(0)
	scratch_store_dwordx4 off, v[38:41], off offset:16
	s_and_saveexec_b64 s[20:21], vcc
	s_cbranch_execz .LBB2178_235
; %bb.228:                              ;   in Loop: Header=BB2178_202 Depth=1
	v_cmp_eq_u16_sdwa s[22:23], v13, v12 src0_sel:BYTE_0 src1_sel:DWORD
	s_and_saveexec_b64 s[6:7], s[22:23]
	s_cbranch_execz .LBB2178_234
; %bb.229:                              ;   in Loop: Header=BB2178_202 Depth=1
	s_mov_b32 s5, 0
.LBB2178_230:                           ;   Parent Loop BB2178_202 Depth=1
                                        ; =>  This Inner Loop Header: Depth=2
	v_add_u32_e32 v0, s5, v14
	s_add_i32 s5, s5, 8
	s_cmp_lg_u32 s5, 32
	ds_write2_b32 v0, v12, v12 offset1:1
	s_cbranch_scc1 .LBB2178_230
; %bb.231:                              ;   in Loop: Header=BB2178_202 Depth=1
	s_mov_b32 s5, 0
.LBB2178_232:                           ;   Parent Loop BB2178_202 Depth=1
                                        ; =>  This Inner Loop Header: Depth=2
	s_add_i32 s22, s5, 0
	s_add_i32 s23, s5, 0x84
	scratch_load_dwordx2 v[0:1], off, s22
	scratch_load_dwordx2 v[2:3], off, s23
	v_add_u32_e32 v4, s5, v14
	s_add_i32 s5, s5, 8
	s_cmp_lg_u32 s5, 32
	s_waitcnt vmcnt(0)
	v_add_u32_e32 v1, v3, v1
	v_add_u32_e32 v0, v2, v0
	ds_write2_b32 v4, v0, v1 offset1:1
	s_cbranch_scc1 .LBB2178_232
; %bb.233:                              ;   in Loop: Header=BB2178_202 Depth=1
	ds_read2_b32 v[0:1], v14 offset1:1
	ds_read2_b32 v[2:3], v14 offset0:2 offset1:3
	ds_read2_b32 v[4:5], v14 offset0:4 offset1:5
	;; [unrolled: 1-line block ×3, first 2 shown]
.LBB2178_234:                           ;   in Loop: Header=BB2178_202 Depth=1
	s_or_b64 exec, exec, s[6:7]
	v_and_b32_e32 v13, 1, v13
	v_cmp_eq_u32_e32 vcc, 1, v13
	v_and_b32_e32 v13, 1, v32
	v_cmp_eq_u32_e64 s[6:7], 1, v13
	s_or_b64 s[6:7], vcc, s[6:7]
	s_nop 0
	v_cndmask_b32_e64 v13, 0, 1, s[6:7]
	scratch_store_byte off, v13, off offset:164
	scratch_load_dword v13, off, off offset:164
	s_waitcnt lgkmcnt(2)
	scratch_store_dwordx4 off, v[0:3], off offset:132
	s_waitcnt lgkmcnt(0)
	scratch_store_dwordx4 off, v[4:7], off offset:148
.LBB2178_235:                           ;   in Loop: Header=BB2178_202 Depth=1
	s_or_b64 exec, exec, s[20:21]
	ds_bpermute_b32 v34, v27, v0
	ds_bpermute_b32 v35, v27, v1
	;; [unrolled: 1-line block ×4, first 2 shown]
	s_waitcnt vmcnt(2)
	ds_bpermute_b32 v32, v27, v13
	ds_bpermute_b32 v38, v27, v4
	;; [unrolled: 1-line block ×5, first 2 shown]
	v_cmp_le_u32_e32 vcc, v28, v9
	s_waitcnt lgkmcnt(5)
	scratch_store_dwordx4 off, v[34:37], off
	s_waitcnt lgkmcnt(0)
	scratch_store_dwordx4 off, v[38:41], off offset:16
	s_and_saveexec_b64 s[20:21], vcc
	s_cbranch_execz .LBB2178_243
; %bb.236:                              ;   in Loop: Header=BB2178_202 Depth=1
	v_cmp_eq_u16_sdwa s[22:23], v13, v12 src0_sel:BYTE_0 src1_sel:DWORD
	s_and_saveexec_b64 s[6:7], s[22:23]
	s_cbranch_execz .LBB2178_242
; %bb.237:                              ;   in Loop: Header=BB2178_202 Depth=1
	s_mov_b32 s5, 0
.LBB2178_238:                           ;   Parent Loop BB2178_202 Depth=1
                                        ; =>  This Inner Loop Header: Depth=2
	v_add_u32_e32 v0, s5, v14
	s_add_i32 s5, s5, 8
	s_cmp_lg_u32 s5, 32
	ds_write2_b32 v0, v12, v12 offset1:1
	s_cbranch_scc1 .LBB2178_238
; %bb.239:                              ;   in Loop: Header=BB2178_202 Depth=1
	s_mov_b32 s5, 0
.LBB2178_240:                           ;   Parent Loop BB2178_202 Depth=1
                                        ; =>  This Inner Loop Header: Depth=2
	s_add_i32 s22, s5, 0
	s_add_i32 s23, s5, 0x84
	scratch_load_dwordx2 v[0:1], off, s22
	scratch_load_dwordx2 v[2:3], off, s23
	v_add_u32_e32 v4, s5, v14
	s_add_i32 s5, s5, 8
	s_cmp_lg_u32 s5, 32
	s_waitcnt vmcnt(0)
	v_add_u32_e32 v1, v3, v1
	v_add_u32_e32 v0, v2, v0
	ds_write2_b32 v4, v0, v1 offset1:1
	s_cbranch_scc1 .LBB2178_240
; %bb.241:                              ;   in Loop: Header=BB2178_202 Depth=1
	ds_read2_b32 v[0:1], v14 offset1:1
	ds_read2_b32 v[2:3], v14 offset0:2 offset1:3
	ds_read2_b32 v[4:5], v14 offset0:4 offset1:5
	;; [unrolled: 1-line block ×3, first 2 shown]
.LBB2178_242:                           ;   in Loop: Header=BB2178_202 Depth=1
	s_or_b64 exec, exec, s[6:7]
	v_and_b32_e32 v13, 1, v13
	v_cmp_eq_u32_e32 vcc, 1, v13
	v_and_b32_e32 v13, 1, v32
	v_cmp_eq_u32_e64 s[6:7], 1, v13
	s_or_b64 s[6:7], vcc, s[6:7]
	s_nop 0
	v_cndmask_b32_e64 v13, 0, 1, s[6:7]
	scratch_store_byte off, v13, off offset:164
	scratch_load_dword v13, off, off offset:164
	s_waitcnt lgkmcnt(2)
	scratch_store_dwordx4 off, v[0:3], off offset:132
	s_waitcnt lgkmcnt(0)
	scratch_store_dwordx4 off, v[4:7], off offset:148
.LBB2178_243:                           ;   in Loop: Header=BB2178_202 Depth=1
	s_or_b64 exec, exec, s[20:21]
	ds_bpermute_b32 v34, v29, v0
	ds_bpermute_b32 v35, v29, v1
	ds_bpermute_b32 v36, v29, v2
	ds_bpermute_b32 v37, v29, v3
	s_waitcnt vmcnt(2)
	ds_bpermute_b32 v32, v29, v13
	ds_bpermute_b32 v38, v29, v4
	ds_bpermute_b32 v39, v29, v5
	ds_bpermute_b32 v40, v29, v6
	ds_bpermute_b32 v41, v29, v7
	v_cmp_le_u32_e32 vcc, v30, v9
	s_waitcnt lgkmcnt(5)
	scratch_store_dwordx4 off, v[34:37], off
	s_waitcnt lgkmcnt(0)
	scratch_store_dwordx4 off, v[38:41], off offset:16
	s_and_saveexec_b64 s[20:21], vcc
	s_cbranch_execz .LBB2178_251
; %bb.244:                              ;   in Loop: Header=BB2178_202 Depth=1
	v_cmp_eq_u16_sdwa s[22:23], v13, v12 src0_sel:BYTE_0 src1_sel:DWORD
	s_and_saveexec_b64 s[6:7], s[22:23]
	s_cbranch_execz .LBB2178_250
; %bb.245:                              ;   in Loop: Header=BB2178_202 Depth=1
	s_mov_b32 s5, 0
.LBB2178_246:                           ;   Parent Loop BB2178_202 Depth=1
                                        ; =>  This Inner Loop Header: Depth=2
	v_add_u32_e32 v0, s5, v14
	s_add_i32 s5, s5, 8
	s_cmp_lg_u32 s5, 32
	ds_write2_b32 v0, v12, v12 offset1:1
	s_cbranch_scc1 .LBB2178_246
; %bb.247:                              ;   in Loop: Header=BB2178_202 Depth=1
	s_mov_b32 s5, 0
.LBB2178_248:                           ;   Parent Loop BB2178_202 Depth=1
                                        ; =>  This Inner Loop Header: Depth=2
	s_add_i32 s22, s5, 0
	s_add_i32 s23, s5, 0x84
	scratch_load_dwordx2 v[0:1], off, s22
	scratch_load_dwordx2 v[2:3], off, s23
	v_add_u32_e32 v4, s5, v14
	s_add_i32 s5, s5, 8
	s_cmp_lg_u32 s5, 32
	s_waitcnt vmcnt(0)
	v_add_u32_e32 v1, v3, v1
	v_add_u32_e32 v0, v2, v0
	ds_write2_b32 v4, v0, v1 offset1:1
	s_cbranch_scc1 .LBB2178_248
; %bb.249:                              ;   in Loop: Header=BB2178_202 Depth=1
	ds_read2_b32 v[0:1], v14 offset1:1
	ds_read2_b32 v[2:3], v14 offset0:2 offset1:3
	ds_read2_b32 v[4:5], v14 offset0:4 offset1:5
	;; [unrolled: 1-line block ×3, first 2 shown]
.LBB2178_250:                           ;   in Loop: Header=BB2178_202 Depth=1
	s_or_b64 exec, exec, s[6:7]
	v_and_b32_e32 v13, 1, v13
	v_cmp_eq_u32_e32 vcc, 1, v13
	v_and_b32_e32 v13, 1, v32
	v_cmp_eq_u32_e64 s[6:7], 1, v13
	s_or_b64 s[6:7], vcc, s[6:7]
	s_nop 0
	v_cndmask_b32_e64 v13, 0, 1, s[6:7]
	scratch_store_byte off, v13, off offset:164
	scratch_load_dword v13, off, off offset:164
	s_waitcnt lgkmcnt(2)
	scratch_store_dwordx4 off, v[0:3], off offset:132
	s_waitcnt lgkmcnt(0)
	scratch_store_dwordx4 off, v[4:7], off offset:148
.LBB2178_251:                           ;   in Loop: Header=BB2178_202 Depth=1
	s_or_b64 exec, exec, s[20:21]
	ds_bpermute_b32 v34, v17, v0
	ds_bpermute_b32 v35, v17, v1
	;; [unrolled: 1-line block ×4, first 2 shown]
	s_waitcnt vmcnt(2)
	ds_bpermute_b32 v32, v17, v13
	ds_bpermute_b32 v38, v17, v4
	;; [unrolled: 1-line block ×5, first 2 shown]
	v_cmp_le_u32_e32 vcc, v31, v9
	v_and_b32_e32 v9, 1, v13
	v_cmp_eq_u32_e64 s[6:7], 1, v9
	s_waitcnt lgkmcnt(5)
	scratch_store_dwordx4 off, v[34:37], off
	s_waitcnt lgkmcnt(0)
	scratch_store_dwordx4 off, v[38:41], off offset:16
	s_and_saveexec_b64 s[20:21], vcc
	s_cbranch_execz .LBB2178_259
; %bb.252:                              ;   in Loop: Header=BB2178_202 Depth=1
	v_cmp_eq_u16_sdwa s[34:35], v13, v12 src0_sel:BYTE_0 src1_sel:DWORD
	s_and_saveexec_b64 s[22:23], s[34:35]
	s_cbranch_execz .LBB2178_258
; %bb.253:                              ;   in Loop: Header=BB2178_202 Depth=1
	s_mov_b32 s5, 0
.LBB2178_254:                           ;   Parent Loop BB2178_202 Depth=1
                                        ; =>  This Inner Loop Header: Depth=2
	v_add_u32_e32 v0, s5, v14
	s_add_i32 s5, s5, 8
	s_cmp_lg_u32 s5, 32
	ds_write2_b32 v0, v12, v12 offset1:1
	s_cbranch_scc1 .LBB2178_254
; %bb.255:                              ;   in Loop: Header=BB2178_202 Depth=1
	s_mov_b32 s5, 0
.LBB2178_256:                           ;   Parent Loop BB2178_202 Depth=1
                                        ; =>  This Inner Loop Header: Depth=2
	s_add_i32 s33, s5, 0
	s_add_i32 s34, s5, 0x84
	scratch_load_dwordx2 v[0:1], off, s33
	scratch_load_dwordx2 v[2:3], off, s34
	v_add_u32_e32 v4, s5, v14
	s_add_i32 s5, s5, 8
	s_cmp_lg_u32 s5, 32
	s_waitcnt vmcnt(0)
	v_add_u32_e32 v1, v3, v1
	v_add_u32_e32 v0, v2, v0
	ds_write2_b32 v4, v0, v1 offset1:1
	s_cbranch_scc1 .LBB2178_256
; %bb.257:                              ;   in Loop: Header=BB2178_202 Depth=1
	ds_read2_b32 v[0:1], v14 offset1:1
	ds_read2_b32 v[2:3], v14 offset0:2 offset1:3
	ds_read2_b32 v[4:5], v14 offset0:4 offset1:5
	;; [unrolled: 1-line block ×3, first 2 shown]
.LBB2178_258:                           ;   in Loop: Header=BB2178_202 Depth=1
	s_or_b64 exec, exec, s[22:23]
	v_and_b32_e32 v9, 1, v32
	v_cmp_eq_u32_e32 vcc, 1, v9
	s_or_b64 s[22:23], s[6:7], vcc
	v_cndmask_b32_e64 v9, 0, 1, s[22:23]
	s_andn2_b64 s[6:7], s[6:7], exec
	s_and_b64 s[22:23], s[22:23], exec
	s_or_b64 s[6:7], s[6:7], s[22:23]
	s_waitcnt lgkmcnt(2)
	scratch_store_dwordx4 off, v[0:3], off offset:132
	s_waitcnt lgkmcnt(0)
	scratch_store_dwordx4 off, v[4:7], off offset:148
	scratch_store_byte off, v9, off offset:164
.LBB2178_259:                           ;   in Loop: Header=BB2178_202 Depth=1
	s_or_b64 exec, exec, s[20:21]
	scratch_load_ubyte v9, off, off offset:128
                                        ; implicit-def: $vgpr6_vgpr7
                                        ; implicit-def: $vgpr2_vgpr3
	s_waitcnt vmcnt(0)
	v_cmp_ne_u16_e32 vcc, 0, v9
	s_and_saveexec_b64 s[20:21], vcc
	s_xor_b64 s[20:21], exec, s[20:21]
	s_cbranch_execz .LBB2178_261
; %bb.260:                              ;   in Loop: Header=BB2178_202 Depth=1
	scratch_load_dwordx4 v[0:3], off, off offset:96
	scratch_load_dwordx4 v[4:7], off, off offset:112
.LBB2178_261:                           ;   in Loop: Header=BB2178_202 Depth=1
	s_andn2_saveexec_b64 s[20:21], s[20:21]
	s_cbranch_execz .LBB2178_201
; %bb.262:                              ;   in Loop: Header=BB2178_202 Depth=1
	s_mov_b32 s5, 0
.LBB2178_263:                           ;   Parent Loop BB2178_202 Depth=1
                                        ; =>  This Inner Loop Header: Depth=2
	s_add_i32 s22, s5, 0
	s_add_i32 s5, s5, 8
	v_mov_b32_e32 v13, v12
	s_cmp_lg_u32 s5, 32
	scratch_store_dwordx2 off, v[12:13], s22
	s_cbranch_scc1 .LBB2178_263
; %bb.264:                              ;   in Loop: Header=BB2178_202 Depth=1
	s_mov_b32 s5, 0
.LBB2178_265:                           ;   Parent Loop BB2178_202 Depth=1
                                        ; =>  This Inner Loop Header: Depth=2
	s_add_i32 s22, s5, 0x84
	s_add_i32 s23, s5, 0x60
	scratch_load_dwordx2 v[0:1], off, s22
	scratch_load_dwordx2 v[2:3], off, s23
	s_add_i32 s22, s5, 0
	s_add_i32 s5, s5, 8
	s_cmp_lg_u32 s5, 32
	s_waitcnt vmcnt(0)
	v_add_u32_e32 v1, v3, v1
	v_add_u32_e32 v0, v2, v0
	scratch_store_dwordx2 off, v[0:1], s22
	s_cbranch_scc1 .LBB2178_265
; %bb.266:                              ;   in Loop: Header=BB2178_202 Depth=1
	scratch_load_dwordx4 v[0:3], off, off
	scratch_load_dwordx4 v[4:7], off, off offset:16
	s_branch .LBB2178_201
.LBB2178_267:                           ;   in Loop: Header=BB2178_202 Depth=1
                                        ; implicit-def: $vgpr8
                                        ; implicit-def: $vgpr18
	s_cbranch_execz .LBB2178_202
; %bb.268:
	scratch_load_dwordx4 v[4:7], off, off offset:96
	scratch_load_dwordx4 v[0:3], off, off offset:112
	scratch_load_dword v15, off, off offset:128
	s_waitcnt vmcnt(2)
	scratch_store_dwordx4 off, v[4:7], off
	s_waitcnt vmcnt(2)
	scratch_store_dwordx4 off, v[0:3], off offset:16
	s_waitcnt vmcnt(2)
	scratch_store_dword off, v15, off offset:32
	s_and_saveexec_b64 s[6:7], s[2:3]
	s_cbranch_execz .LBB2178_278
; %bb.269:
	scratch_load_ubyte v17, off, off offset:200
                                        ; implicit-def: $vgpr18_vgpr19
                                        ; implicit-def: $vgpr8_vgpr9
                                        ; implicit-def: $vgpr22
                                        ; implicit-def: $vgpr12
	s_waitcnt vmcnt(0)
	v_cmp_ne_u16_e32 vcc, 0, v17
	s_and_saveexec_b64 s[2:3], vcc
	s_xor_b64 s[2:3], exec, s[2:3]
	s_cbranch_execz .LBB2178_271
; %bb.270:
	scratch_load_dwordx3 v[12:14], off, off offset:168
	scratch_load_dwordx4 v[8:11], off, off offset:180
	scratch_load_dword v22, off, off offset:196
	s_waitcnt vmcnt(2)
	v_mov_b32_e32 v18, v13
	v_mov_b32_e32 v19, v14
.LBB2178_271:
	s_andn2_saveexec_b64 s[2:3], s[2:3]
	s_cbranch_execz .LBB2178_277
; %bb.272:
	s_waitcnt vmcnt(1)
	v_mov_b32_e32 v8, 0
	s_mov_b32 s5, 0
	v_mov_b32_e32 v9, v8
.LBB2178_273:                           ; =>This Inner Loop Header: Depth=1
	s_add_i32 s12, s5, 0x60
	s_add_i32 s5, s5, 8
	s_cmp_lg_u32 s5, 32
	scratch_store_dwordx2 off, v[8:9], s12
	s_cbranch_scc1 .LBB2178_273
; %bb.274:
	s_mov_b32 s5, 0
.LBB2178_275:                           ; =>This Inner Loop Header: Depth=1
	s_add_i32 s12, s5, 0
	s_add_i32 s13, s5, 0xa8
	scratch_load_dwordx2 v[8:9], off, s12
	scratch_load_dwordx2 v[10:11], off, s13
	s_add_i32 s12, s5, 0x60
	s_add_i32 s5, s5, 8
	s_cmp_lg_u32 s5, 32
	s_waitcnt vmcnt(0)
	v_add_u32_e32 v9, v11, v9
	v_add_u32_e32 v8, v10, v8
	scratch_store_dwordx2 off, v[8:9], s12
	s_cbranch_scc1 .LBB2178_275
; %bb.276:
	scratch_load_dwordx3 v[12:14], off, off offset:96
	scratch_load_dwordx4 v[8:11], off, off offset:108
	scratch_load_dword v22, off, off offset:124
	s_waitcnt vmcnt(2)
	v_mov_b32_e32 v18, v13
	v_mov_b32_e32 v19, v14
.LBB2178_277:
	s_or_b64 exec, exec, s[2:3]
	s_add_i32 s4, s4, 64
	v_and_b32_e32 v13, 1, v17
	s_mul_i32 s2, s4, 36
	v_and_b32_e32 v14, 1, v15
	v_cmp_eq_u32_e32 vcc, 1, v13
	s_mul_hi_u32 s3, s4, 36
	s_add_u32 s2, s14, s2
	v_cndmask_b32_e64 v13, v14, 1, vcc
	s_addc_u32 s3, s15, s3
	v_mov_b32_e32 v14, 0
	global_store_dword v14, v12, s[2:3] sc1
	global_store_dword v14, v18, s[2:3] offset:4 sc1
	global_store_dword v14, v19, s[2:3] offset:8 sc1
	s_waitcnt vmcnt(4)
	global_store_dword v14, v8, s[2:3] offset:12 sc1
	global_store_dword v14, v9, s[2:3] offset:16 sc1
	;; [unrolled: 1-line block ×4, first 2 shown]
	s_waitcnt vmcnt(7)
	global_store_dword v14, v22, s[2:3] offset:28 sc1
	global_store_dword v14, v13, s[2:3] offset:32 sc1
	v_mov_b32_e32 v8, s4
	v_mov_b32_e32 v9, 2
	s_waitcnt vmcnt(0)
	global_store_byte v8, v9, s[16:17] sc1
.LBB2178_278:
	s_or_b64 exec, exec, s[6:7]
	v_cmp_eq_u32_e32 vcc, 0, v16
	s_and_b64 exec, exec, vcc
	s_cbranch_execz .LBB2178_280
; %bb.279:
	v_mov_b32_e32 v8, 0
	ds_write2_b32 v8, v4, v5 offset0:27 offset1:28
	ds_write2_b32 v8, v6, v7 offset0:29 offset1:30
	;; [unrolled: 1-line block ×4, first 2 shown]
	ds_write_b8 v8, v15 offset:140
.LBB2178_280:
	s_or_b64 exec, exec, s[8:9]
	s_waitcnt lgkmcnt(0)
	s_barrier
	scratch_load_dwordx4 v[0:3], off, off offset:272
	scratch_load_dwordx4 v[4:7], off, off offset:288
	scratch_load_dword v8, off, off offset:304
	v_mov_b32_e32 v9, 0
	ds_read2_b32 v[10:11], v9 offset0:27 offset1:28
	ds_read2_b32 v[12:13], v9 offset0:29 offset1:30
	ds_read2_b32 v[22:23], v9 offset0:31 offset1:32
	ds_read2_b32 v[24:25], v9 offset0:33 offset1:34
	ds_read_b32 v9, v9 offset:140
	v_cmp_ne_u32_e32 vcc, 0, v16
	s_waitcnt lgkmcnt(3)
	scratch_store_dwordx4 off, v[10:13], off
	s_waitcnt lgkmcnt(1)
	scratch_store_dwordx4 off, v[22:25], off offset:16
	s_waitcnt lgkmcnt(0)
	scratch_store_dword off, v9, off offset:32
	scratch_store_dwordx4 off, v[10:13], off offset:132
	scratch_store_dwordx4 off, v[22:25], off offset:148
	scratch_store_dword off, v9, off offset:164
	s_waitcnt vmcnt(8)
	scratch_store_dwordx4 off, v[0:3], off offset:96
	s_waitcnt vmcnt(8)
	scratch_store_dwordx4 off, v[4:7], off offset:112
	s_waitcnt vmcnt(8)
	scratch_store_dword off, v8, off offset:128
                                        ; implicit-def: $vgpr8
	s_and_saveexec_b64 s[2:3], vcc
	s_xor_b64 s[2:3], exec, s[2:3]
	s_cbranch_execz .LBB2178_290
; %bb.281:
	scratch_load_ubyte v8, off, off offset:236
                                        ; implicit-def: $vgpr6_vgpr7
                                        ; implicit-def: $vgpr2_vgpr3
	s_waitcnt vmcnt(0)
	v_cmp_ne_u16_e32 vcc, 0, v8
	s_and_saveexec_b64 s[4:5], vcc
	s_xor_b64 s[4:5], exec, s[4:5]
	s_cbranch_execz .LBB2178_283
; %bb.282:
	scratch_load_dwordx4 v[0:3], off, off offset:204
	scratch_load_dwordx4 v[4:7], off, off offset:220
.LBB2178_283:
	s_andn2_saveexec_b64 s[4:5], s[4:5]
	s_cbranch_execz .LBB2178_289
; %bb.284:
	s_waitcnt vmcnt(1)
	v_mov_b32_e32 v0, 0
	s_mov_b32 s6, 0
	v_mov_b32_e32 v1, v0
.LBB2178_285:                           ; =>This Inner Loop Header: Depth=1
	s_add_i32 s7, s6, 0xa8
	s_add_i32 s6, s6, 8
	s_cmp_lg_u32 s6, 32
	scratch_store_dwordx2 off, v[0:1], s7
	s_cbranch_scc1 .LBB2178_285
; %bb.286:
	s_mov_b32 s6, 0
.LBB2178_287:                           ; =>This Inner Loop Header: Depth=1
	s_add_i32 s7, s6, 0
	s_add_i32 s8, s6, 0xcc
	scratch_load_dwordx2 v[0:1], off, s7
	scratch_load_dwordx2 v[2:3], off, s8
	s_add_i32 s7, s6, 0xa8
	s_add_i32 s6, s6, 8
	s_cmp_lg_u32 s6, 32
	s_waitcnt vmcnt(0)
	v_add_u32_e32 v1, v3, v1
	v_add_u32_e32 v0, v2, v0
	scratch_store_dwordx2 off, v[0:1], s7
	s_cbranch_scc1 .LBB2178_287
; %bb.288:
	scratch_load_dwordx4 v[0:3], off, off offset:168
	scratch_load_dwordx4 v[4:7], off, off offset:184
.LBB2178_289:
	s_or_b64 exec, exec, s[4:5]
	v_or_b32_e32 v8, v8, v9
	v_and_b32_e32 v8, 1, v8
	s_waitcnt vmcnt(1)
	scratch_store_dwordx4 off, v[0:3], off offset:132
	s_waitcnt vmcnt(1)
	scratch_store_dwordx4 off, v[4:7], off offset:148
.LBB2178_290:
	s_andn2_saveexec_b64 s[2:3], s[2:3]
	s_cbranch_execz .LBB2178_292
; %bb.291:
	scratch_load_ubyte v8, off, off offset:164
.LBB2178_292:
	s_or_b64 exec, exec, s[2:3]
	scratch_load_dwordx4 v[0:3], off, off offset:132
	scratch_load_dwordx4 v[4:7], off, off offset:148
	scratch_load_ubyte v9, off, off offset:128
	s_waitcnt vmcnt(3)
	scratch_store_byte off, v8, off offset:304
	s_waitcnt vmcnt(3)
	scratch_store_dwordx4 off, v[0:3], off offset:272
	s_waitcnt vmcnt(3)
	scratch_store_dwordx4 off, v[4:7], off offset:288
	s_waitcnt vmcnt(3)
	v_cmp_ne_u16_e32 vcc, 0, v9
                                        ; implicit-def: $vgpr6_vgpr7
                                        ; implicit-def: $vgpr2_vgpr3
	s_and_saveexec_b64 s[2:3], vcc
	s_xor_b64 s[2:3], exec, s[2:3]
	s_cbranch_execz .LBB2178_294
; %bb.293:
	scratch_load_dwordx4 v[0:3], off, off offset:96
	scratch_load_dwordx4 v[4:7], off, off offset:112
.LBB2178_294:
	s_andn2_saveexec_b64 s[2:3], s[2:3]
	s_cbranch_execz .LBB2178_300
; %bb.295:
	s_waitcnt vmcnt(1)
	v_mov_b32_e32 v0, 0
	s_mov_b32 s4, 0
	v_mov_b32_e32 v1, v0
.LBB2178_296:                           ; =>This Inner Loop Header: Depth=1
	s_add_i32 s5, s4, 0xa8
	s_add_i32 s4, s4, 8
	s_cmp_lg_u32 s4, 32
	scratch_store_dwordx2 off, v[0:1], s5
	s_cbranch_scc1 .LBB2178_296
; %bb.297:
	s_mov_b32 s4, 0
.LBB2178_298:                           ; =>This Inner Loop Header: Depth=1
	s_add_i32 s5, s4, 0x84
	s_add_i32 s6, s4, 0x60
	scratch_load_dwordx2 v[0:1], off, s5
	scratch_load_dwordx2 v[2:3], off, s6
	s_add_i32 s5, s4, 0xa8
	s_add_i32 s4, s4, 8
	s_cmp_lg_u32 s4, 32
	s_waitcnt vmcnt(0)
	v_add_u32_e32 v1, v3, v1
	v_add_u32_e32 v0, v2, v0
	scratch_store_dwordx2 off, v[0:1], s5
	s_cbranch_scc1 .LBB2178_298
; %bb.299:
	scratch_load_dwordx4 v[0:3], off, off offset:168
	scratch_load_dwordx4 v[4:7], off, off offset:184
.LBB2178_300:
	s_or_b64 exec, exec, s[2:3]
	scratch_load_dwordx4 v[12:15], v20, off
	scratch_load_dwordx4 v[22:25], v20, off offset:16
	scratch_load_ubyte v10, off, off offset:340
	v_or_b32_e32 v8, v9, v8
	s_waitcnt vmcnt(4)
	scratch_store_dwordx4 off, v[0:3], off offset:132
	s_waitcnt vmcnt(4)
	scratch_store_dwordx4 off, v[4:7], off offset:148
	scratch_store_dwordx4 v20, v[0:3], off
	scratch_store_dwordx4 v20, v[4:7], off offset:16
                                        ; implicit-def: $vgpr6_vgpr7
                                        ; implicit-def: $vgpr2_vgpr3
	s_waitcnt vmcnt(4)
	v_cmp_ne_u16_e64 s[2:3], 0, v10
	v_and_b32_e32 v0, 1, v8
	v_cmp_eq_u32_e32 vcc, 1, v0
	scratch_store_byte off, v0, off offset:340
	scratch_store_dwordx4 off, v[12:15], off offset:96
	scratch_store_dwordx4 off, v[22:25], off offset:112
	s_and_saveexec_b64 s[4:5], s[2:3]
	s_xor_b64 s[2:3], exec, s[4:5]
	s_cbranch_execz .LBB2178_302
; %bb.301:
	scratch_load_dwordx4 v[0:3], off, off offset:96
	scratch_load_dwordx4 v[4:7], off, off offset:112
.LBB2178_302:
	s_andn2_saveexec_b64 s[2:3], s[2:3]
	s_cbranch_execz .LBB2178_308
; %bb.303:
	s_waitcnt vmcnt(1)
	v_mov_b32_e32 v0, 0
	s_mov_b32 s4, 0
	v_mov_b32_e32 v1, v0
.LBB2178_304:                           ; =>This Inner Loop Header: Depth=1
	s_add_i32 s5, s4, 0xa8
	s_add_i32 s4, s4, 8
	s_cmp_lg_u32 s4, 32
	scratch_store_dwordx2 off, v[0:1], s5
	s_cbranch_scc1 .LBB2178_304
; %bb.305:
	s_mov_b32 s4, 0
.LBB2178_306:                           ; =>This Inner Loop Header: Depth=1
	s_add_i32 s5, s4, 0x84
	s_add_i32 s6, s4, 0x60
	scratch_load_dwordx2 v[0:1], off, s5
	scratch_load_dwordx2 v[2:3], off, s6
	s_add_i32 s5, s4, 0xa8
	s_add_i32 s4, s4, 8
	s_cmp_lg_u32 s4, 32
	s_waitcnt vmcnt(0)
	v_add_u32_e32 v1, v3, v1
	v_add_u32_e32 v0, v2, v0
	scratch_store_dwordx2 off, v[0:1], s5
	s_cbranch_scc1 .LBB2178_306
; %bb.307:
	scratch_load_dwordx4 v[0:3], off, off offset:168
	scratch_load_dwordx4 v[4:7], off, off offset:184
.LBB2178_308:
	s_or_b64 exec, exec, s[2:3]
	v_and_b32_e32 v8, 1, v10
	v_cmp_eq_u32_e64 s[2:3], 1, v8
	s_or_b64 s[2:3], s[2:3], vcc
	s_nop 0
	v_cndmask_b32_e64 v8, 0, 1, s[2:3]
	s_waitcnt vmcnt(1)
	scratch_store_dwordx4 v21, v[0:3], off
	s_waitcnt vmcnt(1)
	scratch_store_dwordx4 v21, v[4:7], off offset:16
	scratch_store_byte off, v8, off offset:376
	s_branch .LBB2178_449
.LBB2178_309:
	s_cbranch_execz .LBB2178_449
; %bb.310:
	s_cmp_lg_u64 s[30:31], 0
	s_cselect_b32 s3, s11, 0
	s_cselect_b32 s2, s10, 0
	s_mov_b32 s4, 0
	s_cmp_eq_u64 s[2:3], 0
	v_mov_b64_e32 v[4:5], s[36:37]
	v_mov_b64_e32 v[6:7], s[38:39]
	;; [unrolled: 1-line block ×4, first 2 shown]
	s_cbranch_scc1 .LBB2178_312
; %bb.311:
	v_mov_b32_e32 v8, 0
	global_load_dwordx4 v[0:3], v8, s[2:3] offset:16
	global_load_dwordx4 v[4:7], v8, s[2:3]
.LBB2178_312:
	s_mov_b32 s6, s4
	s_mov_b32 s7, s4
	v_mov_b32_e32 v8, 0
	s_mov_b32 s5, s4
	v_mov_b64_e32 v[12:13], s[6:7]
	v_mov_b64_e32 v[10:11], s[4:5]
	v_mov_b32_e32 v9, v8
	scratch_store_dword off, v8, off offset:412
	scratch_store_dwordx4 off, v[10:13], off offset:396
	scratch_store_dwordx4 off, v[10:13], off offset:380
.LBB2178_313:                           ; =>This Inner Loop Header: Depth=1
	s_add_i32 s2, s4, 0x17c
	s_add_i32 s4, s4, 8
	s_cmp_lg_u32 s4, 32
	scratch_store_dwordx2 off, v[8:9], s2
	s_cbranch_scc1 .LBB2178_313
; %bb.314:
	scratch_load_dwordx4 v[8:11], off, off offset:272
	scratch_load_dwordx4 v[12:15], off, off offset:288
	scratch_load_dword v17, off, off offset:304
	scratch_load_ubyte v18, off, off offset:340
	v_mov_b32_e32 v19, 0
	s_waitcnt vmcnt(8)
	scratch_store_dwordx4 off, v[4:7], off offset:204
	scratch_store_dwordx4 off, v[0:3], off offset:220
	scratch_store_byte off, v19, off offset:412
	scratch_store_byte off, v19, off offset:236
	s_waitcnt vmcnt(7)
	scratch_store_dwordx4 off, v[8:11], off offset:168
	s_waitcnt vmcnt(7)
	scratch_store_dwordx4 off, v[12:15], off offset:184
	s_waitcnt vmcnt(7)
	scratch_store_dword off, v17, off offset:200
	s_waitcnt vmcnt(7)
	v_cmp_ne_u16_e32 vcc, 0, v18
                                        ; implicit-def: $vgpr14_vgpr15
                                        ; implicit-def: $vgpr10_vgpr11
	s_and_saveexec_b64 s[2:3], vcc
	s_xor_b64 s[2:3], exec, s[2:3]
	s_cbranch_execz .LBB2178_316
; %bb.315:
	scratch_load_dwordx4 v[8:11], off, off offset:308
	scratch_load_dwordx4 v[12:15], off, off offset:324
.LBB2178_316:
	s_andn2_saveexec_b64 s[2:3], s[2:3]
	s_cbranch_execz .LBB2178_322
; %bb.317:
	s_waitcnt vmcnt(1)
	v_mov_b32_e32 v8, 0
	s_mov_b32 s4, 0
	v_mov_b32_e32 v9, v8
.LBB2178_318:                           ; =>This Inner Loop Header: Depth=1
	s_add_i32 s5, s4, 0
	s_add_i32 s4, s4, 8
	s_cmp_lg_u32 s4, 32
	scratch_store_dwordx2 off, v[8:9], s5
	s_cbranch_scc1 .LBB2178_318
; %bb.319:
	s_mov_b32 s4, 0
.LBB2178_320:                           ; =>This Inner Loop Header: Depth=1
	s_add_i32 s5, s4, 0xa8
	s_waitcnt vmcnt(1)
	v_add_u32_e32 v12, s4, v20
	scratch_load_dwordx2 v[8:9], off, s5
	scratch_load_dwordx2 v[10:11], v12, off
	s_add_i32 s5, s4, 0
	s_add_i32 s4, s4, 8
	s_cmp_lg_u32 s4, 32
	s_waitcnt vmcnt(0)
	v_add_u32_e32 v9, v11, v9
	v_add_u32_e32 v8, v10, v8
	scratch_store_dwordx2 off, v[8:9], s5
	s_cbranch_scc1 .LBB2178_320
; %bb.321:
	scratch_load_dwordx4 v[8:11], off, off
	scratch_load_dwordx4 v[12:15], off, off offset:16
.LBB2178_322:
	s_or_b64 exec, exec, s[2:3]
	scratch_load_ubyte v19, off, off offset:376
	s_waitcnt vmcnt(2)
	scratch_store_dwordx4 off, v[8:11], off offset:168
	s_waitcnt vmcnt(2)
	scratch_store_dwordx4 off, v[12:15], off offset:184
                                        ; implicit-def: $vgpr14_vgpr15
                                        ; implicit-def: $vgpr10_vgpr11
	s_waitcnt vmcnt(2)
	v_cmp_ne_u16_e32 vcc, 0, v19
	s_and_saveexec_b64 s[2:3], vcc
	s_xor_b64 s[2:3], exec, s[2:3]
	s_cbranch_execz .LBB2178_324
; %bb.323:
	scratch_load_dwordx4 v[8:11], off, off offset:344
	scratch_load_dwordx4 v[12:15], off, off offset:360
.LBB2178_324:
	s_andn2_saveexec_b64 s[2:3], s[2:3]
	s_cbranch_execz .LBB2178_330
; %bb.325:
	s_waitcnt vmcnt(1)
	v_mov_b32_e32 v8, 0
	s_mov_b32 s4, 0
	v_mov_b32_e32 v9, v8
.LBB2178_326:                           ; =>This Inner Loop Header: Depth=1
	s_add_i32 s5, s4, 0
	s_add_i32 s4, s4, 8
	s_cmp_lg_u32 s4, 32
	scratch_store_dwordx2 off, v[8:9], s5
	s_cbranch_scc1 .LBB2178_326
; %bb.327:
	s_mov_b32 s4, 0
.LBB2178_328:                           ; =>This Inner Loop Header: Depth=1
	s_add_i32 s5, s4, 0xa8
	s_waitcnt vmcnt(1)
	v_add_u32_e32 v12, s4, v21
	scratch_load_dwordx2 v[8:9], off, s5
	scratch_load_dwordx2 v[10:11], v12, off
	s_add_i32 s5, s4, 0
	s_add_i32 s4, s4, 8
	s_cmp_lg_u32 s4, 32
	s_waitcnt vmcnt(0)
	v_add_u32_e32 v9, v11, v9
	v_add_u32_e32 v8, v10, v8
	scratch_store_dwordx2 off, v[8:9], s5
	s_cbranch_scc1 .LBB2178_328
; %bb.329:
	scratch_load_dwordx4 v[8:11], off, off
	scratch_load_dwordx4 v[12:15], off, off offset:16
.LBB2178_330:
	s_or_b64 exec, exec, s[2:3]
	v_or_b32_e32 v18, v19, v18
	v_or_b32_e32 v17, v18, v17
	v_and_b32_e32 v17, 1, v17
	scratch_store_byte off, v17, off offset:200
	scratch_load_dword v22, off, off offset:200
	v_mbcnt_lo_u32_b32 v17, -1, 0
	v_mbcnt_hi_u32_b32 v17, -1, v17
	v_and_b32_e32 v23, 15, v17
	v_mov_b32_e32 v19, 0
	s_waitcnt vmcnt(3)
	v_mov_b32_dpp v24, v8 row_shr:1 row_mask:0xf bank_mask:0xf
	v_mov_b32_dpp v25, v9 row_shr:1 row_mask:0xf bank_mask:0xf
	;; [unrolled: 1-line block ×4, first 2 shown]
	v_cmp_ne_u32_e32 vcc, 0, v23
	scratch_store_dwordx4 off, v[4:7], off offset:132
	scratch_store_dwordx4 off, v[0:3], off offset:148
	;; [unrolled: 1-line block ×3, first 2 shown]
	s_waitcnt vmcnt(5)
	scratch_store_dwordx4 off, v[12:15], off offset:184
	v_mov_b32_dpp v28, v12 row_shr:1 row_mask:0xf bank_mask:0xf
	v_mov_b32_dpp v29, v13 row_shr:1 row_mask:0xf bank_mask:0xf
	;; [unrolled: 1-line block ×4, first 2 shown]
	scratch_store_byte off, v19, off offset:164
	scratch_store_dwordx4 off, v[24:27], off
	scratch_store_dwordx4 off, v[28:31], off offset:16
	s_waitcnt vmcnt(7)
	v_mov_b32_dpp v18, v22 row_shr:1 row_mask:0xf bank_mask:0xf
	scratch_store_dword off, v18, off offset:32
	s_and_saveexec_b64 s[2:3], vcc
	s_xor_b64 s[2:3], exec, s[2:3]
	s_cbranch_execz .LBB2178_338
; %bb.331:
	v_cmp_eq_u16_sdwa s[6:7], v22, v19 src0_sel:BYTE_0 src1_sel:DWORD
	s_and_saveexec_b64 s[4:5], s[6:7]
	s_cbranch_execz .LBB2178_337
; %bb.332:
	v_mov_b32_e32 v8, 0
	s_mov_b32 s6, 0
	v_mov_b32_e32 v9, v8
.LBB2178_333:                           ; =>This Inner Loop Header: Depth=1
	s_add_i32 s7, s6, 0x60
	s_add_i32 s6, s6, 8
	s_cmp_lg_u32 s6, 32
	scratch_store_dwordx2 off, v[8:9], s7
	s_cbranch_scc1 .LBB2178_333
; %bb.334:
	s_mov_b32 s6, 0
.LBB2178_335:                           ; =>This Inner Loop Header: Depth=1
	s_add_i32 s7, s6, 0
	s_add_i32 s8, s6, 0xa8
	scratch_load_dwordx2 v[8:9], off, s7
	scratch_load_dwordx2 v[10:11], off, s8
	s_add_i32 s7, s6, 0x60
	s_add_i32 s6, s6, 8
	s_cmp_lg_u32 s6, 32
	s_waitcnt vmcnt(0)
	v_add_u32_e32 v9, v11, v9
	v_add_u32_e32 v8, v10, v8
	scratch_store_dwordx2 off, v[8:9], s7
	s_cbranch_scc1 .LBB2178_335
; %bb.336:
	scratch_load_dwordx4 v[8:11], off, off offset:96
	scratch_load_dwordx4 v[12:15], off, off offset:112
.LBB2178_337:
	s_or_b64 exec, exec, s[4:5]
	v_or_b32_e32 v18, v18, v22
	v_and_b32_e32 v18, 1, v18
	scratch_store_byte off, v18, off offset:200
	scratch_load_dword v22, off, off offset:200
	s_waitcnt vmcnt(3)
	scratch_store_dwordx4 off, v[8:11], off offset:168
	s_waitcnt vmcnt(3)
	scratch_store_dwordx4 off, v[12:15], off offset:184
.LBB2178_338:
	s_or_b64 exec, exec, s[2:3]
	v_mov_b32_dpp v26, v8 row_shr:2 row_mask:0xf bank_mask:0xf
	v_mov_b32_dpp v27, v9 row_shr:2 row_mask:0xf bank_mask:0xf
	;; [unrolled: 1-line block ×4, first 2 shown]
	s_waitcnt vmcnt(2)
	v_mov_b32_dpp v24, v22 row_shr:2 row_mask:0xf bank_mask:0xf
	v_cmp_lt_u32_e32 vcc, 1, v23
	v_mov_b32_dpp v30, v12 row_shr:2 row_mask:0xf bank_mask:0xf
	v_mov_b32_dpp v31, v13 row_shr:2 row_mask:0xf bank_mask:0xf
	;; [unrolled: 1-line block ×4, first 2 shown]
	scratch_store_dwordx4 off, v[26:29], off
	scratch_store_dwordx4 off, v[30:33], off offset:16
	scratch_store_dword off, v24, off offset:32
	s_and_saveexec_b64 s[4:5], vcc
	s_cbranch_execz .LBB2178_346
; %bb.339:
	v_mov_b32_e32 v18, 0
	s_mov_b32 s6, 0
	v_cmp_eq_u16_sdwa s[8:9], v22, v18 src0_sel:BYTE_0 src1_sel:DWORD
	s_and_saveexec_b64 s[2:3], s[8:9]
	s_cbranch_execz .LBB2178_345
; %bb.340:
	v_mov_b32_e32 v19, v18
.LBB2178_341:                           ; =>This Inner Loop Header: Depth=1
	s_add_i32 s7, s6, 0x60
	s_add_i32 s6, s6, 8
	s_cmp_lg_u32 s6, 32
	scratch_store_dwordx2 off, v[18:19], s7
	s_cbranch_scc1 .LBB2178_341
; %bb.342:
	s_mov_b32 s6, 0
.LBB2178_343:                           ; =>This Inner Loop Header: Depth=1
	s_add_i32 s7, s6, 0
	s_add_i32 s8, s6, 0xa8
	scratch_load_dwordx2 v[8:9], off, s7
	scratch_load_dwordx2 v[10:11], off, s8
	s_add_i32 s7, s6, 0x60
	s_add_i32 s6, s6, 8
	s_cmp_lg_u32 s6, 32
	s_waitcnt vmcnt(0)
	v_add_u32_e32 v9, v11, v9
	v_add_u32_e32 v8, v10, v8
	scratch_store_dwordx2 off, v[8:9], s7
	s_cbranch_scc1 .LBB2178_343
; %bb.344:
	scratch_load_dwordx4 v[8:11], off, off offset:96
	scratch_load_dwordx4 v[12:15], off, off offset:112
.LBB2178_345:
	s_or_b64 exec, exec, s[2:3]
	v_and_b32_e32 v18, 1, v22
	v_cmp_eq_u32_e32 vcc, 1, v18
	v_and_b32_e32 v18, 1, v24
	v_cmp_eq_u32_e64 s[2:3], 1, v18
	s_or_b64 s[2:3], vcc, s[2:3]
	s_nop 0
	v_cndmask_b32_e64 v18, 0, 1, s[2:3]
	scratch_store_byte off, v18, off offset:200
	scratch_load_dword v22, off, off offset:200
	s_waitcnt vmcnt(3)
	scratch_store_dwordx4 off, v[8:11], off offset:168
	s_waitcnt vmcnt(3)
	scratch_store_dwordx4 off, v[12:15], off offset:184
.LBB2178_346:
	s_or_b64 exec, exec, s[4:5]
	v_mov_b32_dpp v26, v8 row_shr:4 row_mask:0xf bank_mask:0xf
	v_mov_b32_dpp v27, v9 row_shr:4 row_mask:0xf bank_mask:0xf
	;; [unrolled: 1-line block ×4, first 2 shown]
	s_waitcnt vmcnt(2)
	v_mov_b32_dpp v24, v22 row_shr:4 row_mask:0xf bank_mask:0xf
	v_cmp_lt_u32_e32 vcc, 3, v23
	v_mov_b32_dpp v30, v12 row_shr:4 row_mask:0xf bank_mask:0xf
	v_mov_b32_dpp v31, v13 row_shr:4 row_mask:0xf bank_mask:0xf
	;; [unrolled: 1-line block ×4, first 2 shown]
	scratch_store_dwordx4 off, v[26:29], off
	scratch_store_dwordx4 off, v[30:33], off offset:16
	scratch_store_dword off, v24, off offset:32
	s_and_saveexec_b64 s[4:5], vcc
	s_cbranch_execz .LBB2178_354
; %bb.347:
	v_mov_b32_e32 v18, 0
	s_mov_b32 s6, 0
	v_cmp_eq_u16_sdwa s[8:9], v22, v18 src0_sel:BYTE_0 src1_sel:DWORD
	s_and_saveexec_b64 s[2:3], s[8:9]
	s_cbranch_execz .LBB2178_353
; %bb.348:
	v_mov_b32_e32 v19, v18
.LBB2178_349:                           ; =>This Inner Loop Header: Depth=1
	s_add_i32 s7, s6, 0x60
	s_add_i32 s6, s6, 8
	s_cmp_lg_u32 s6, 32
	scratch_store_dwordx2 off, v[18:19], s7
	s_cbranch_scc1 .LBB2178_349
; %bb.350:
	s_mov_b32 s6, 0
.LBB2178_351:                           ; =>This Inner Loop Header: Depth=1
	s_add_i32 s7, s6, 0
	s_add_i32 s8, s6, 0xa8
	scratch_load_dwordx2 v[8:9], off, s7
	scratch_load_dwordx2 v[10:11], off, s8
	s_add_i32 s7, s6, 0x60
	s_add_i32 s6, s6, 8
	s_cmp_lg_u32 s6, 32
	s_waitcnt vmcnt(0)
	v_add_u32_e32 v9, v11, v9
	v_add_u32_e32 v8, v10, v8
	scratch_store_dwordx2 off, v[8:9], s7
	s_cbranch_scc1 .LBB2178_351
; %bb.352:
	scratch_load_dwordx4 v[8:11], off, off offset:96
	scratch_load_dwordx4 v[12:15], off, off offset:112
.LBB2178_353:
	s_or_b64 exec, exec, s[2:3]
	v_and_b32_e32 v18, 1, v22
	v_cmp_eq_u32_e32 vcc, 1, v18
	v_and_b32_e32 v18, 1, v24
	v_cmp_eq_u32_e64 s[2:3], 1, v18
	s_or_b64 s[2:3], vcc, s[2:3]
	s_nop 0
	v_cndmask_b32_e64 v18, 0, 1, s[2:3]
	scratch_store_byte off, v18, off offset:200
	scratch_load_dword v22, off, off offset:200
	s_waitcnt vmcnt(3)
	scratch_store_dwordx4 off, v[8:11], off offset:168
	s_waitcnt vmcnt(3)
	scratch_store_dwordx4 off, v[12:15], off offset:184
.LBB2178_354:
	s_or_b64 exec, exec, s[4:5]
	v_mov_b32_dpp v26, v8 row_shr:8 row_mask:0xf bank_mask:0xf
	v_mov_b32_dpp v27, v9 row_shr:8 row_mask:0xf bank_mask:0xf
	;; [unrolled: 1-line block ×4, first 2 shown]
	s_waitcnt vmcnt(2)
	v_mov_b32_dpp v24, v22 row_shr:8 row_mask:0xf bank_mask:0xf
	v_cmp_lt_u32_e32 vcc, 7, v23
	v_mov_b32_dpp v30, v12 row_shr:8 row_mask:0xf bank_mask:0xf
	v_mov_b32_dpp v31, v13 row_shr:8 row_mask:0xf bank_mask:0xf
	;; [unrolled: 1-line block ×4, first 2 shown]
	scratch_store_dwordx4 off, v[26:29], off
	scratch_store_dwordx4 off, v[30:33], off offset:16
	scratch_store_dword off, v24, off offset:32
	s_and_saveexec_b64 s[4:5], vcc
	s_cbranch_execz .LBB2178_362
; %bb.355:
	v_mov_b32_e32 v18, 0
	s_mov_b32 s6, 0
	v_cmp_eq_u16_sdwa s[8:9], v22, v18 src0_sel:BYTE_0 src1_sel:DWORD
	s_and_saveexec_b64 s[2:3], s[8:9]
	s_cbranch_execz .LBB2178_361
; %bb.356:
	v_mov_b32_e32 v19, v18
.LBB2178_357:                           ; =>This Inner Loop Header: Depth=1
	s_add_i32 s7, s6, 0x60
	s_add_i32 s6, s6, 8
	s_cmp_lg_u32 s6, 32
	scratch_store_dwordx2 off, v[18:19], s7
	s_cbranch_scc1 .LBB2178_357
; %bb.358:
	s_mov_b32 s6, 0
.LBB2178_359:                           ; =>This Inner Loop Header: Depth=1
	s_add_i32 s7, s6, 0
	s_add_i32 s8, s6, 0xa8
	scratch_load_dwordx2 v[8:9], off, s7
	scratch_load_dwordx2 v[10:11], off, s8
	s_add_i32 s7, s6, 0x60
	s_add_i32 s6, s6, 8
	s_cmp_lg_u32 s6, 32
	s_waitcnt vmcnt(0)
	v_add_u32_e32 v9, v11, v9
	v_add_u32_e32 v8, v10, v8
	scratch_store_dwordx2 off, v[8:9], s7
	s_cbranch_scc1 .LBB2178_359
; %bb.360:
	scratch_load_dwordx4 v[8:11], off, off offset:96
	scratch_load_dwordx4 v[12:15], off, off offset:112
.LBB2178_361:
	s_or_b64 exec, exec, s[2:3]
	v_and_b32_e32 v18, 1, v22
	v_cmp_eq_u32_e32 vcc, 1, v18
	v_and_b32_e32 v18, 1, v24
	v_cmp_eq_u32_e64 s[2:3], 1, v18
	s_or_b64 s[2:3], vcc, s[2:3]
	s_nop 0
	v_cndmask_b32_e64 v18, 0, 1, s[2:3]
	scratch_store_byte off, v18, off offset:200
	scratch_load_dword v22, off, off offset:200
	s_waitcnt vmcnt(3)
	scratch_store_dwordx4 off, v[8:11], off offset:168
	s_waitcnt vmcnt(3)
	scratch_store_dwordx4 off, v[12:15], off offset:184
.LBB2178_362:
	s_or_b64 exec, exec, s[4:5]
	v_and_b32_e32 v18, 16, v17
	v_mov_b32_dpp v24, v8 row_bcast:15 row_mask:0xf bank_mask:0xf
	v_mov_b32_dpp v25, v9 row_bcast:15 row_mask:0xf bank_mask:0xf
	;; [unrolled: 1-line block ×4, first 2 shown]
	s_waitcnt vmcnt(2)
	v_mov_b32_dpp v23, v22 row_bcast:15 row_mask:0xf bank_mask:0xf
	v_cmp_ne_u32_e32 vcc, 0, v18
	v_mov_b32_dpp v28, v12 row_bcast:15 row_mask:0xf bank_mask:0xf
	v_mov_b32_dpp v29, v13 row_bcast:15 row_mask:0xf bank_mask:0xf
	;; [unrolled: 1-line block ×4, first 2 shown]
	scratch_store_dwordx4 off, v[24:27], off
	scratch_store_dwordx4 off, v[28:31], off offset:16
	scratch_store_dword off, v23, off offset:32
	s_and_saveexec_b64 s[4:5], vcc
	s_cbranch_execz .LBB2178_370
; %bb.363:
	v_mov_b32_e32 v18, 0
	s_mov_b32 s6, 0
	v_cmp_eq_u16_sdwa s[8:9], v22, v18 src0_sel:BYTE_0 src1_sel:DWORD
	s_and_saveexec_b64 s[2:3], s[8:9]
	s_cbranch_execz .LBB2178_369
; %bb.364:
	v_mov_b32_e32 v19, v18
.LBB2178_365:                           ; =>This Inner Loop Header: Depth=1
	s_add_i32 s7, s6, 0x60
	s_add_i32 s6, s6, 8
	s_cmp_lg_u32 s6, 32
	scratch_store_dwordx2 off, v[18:19], s7
	s_cbranch_scc1 .LBB2178_365
; %bb.366:
	s_mov_b32 s6, 0
.LBB2178_367:                           ; =>This Inner Loop Header: Depth=1
	s_add_i32 s7, s6, 0
	s_add_i32 s8, s6, 0xa8
	scratch_load_dwordx2 v[8:9], off, s7
	scratch_load_dwordx2 v[10:11], off, s8
	s_add_i32 s7, s6, 0x60
	s_add_i32 s6, s6, 8
	s_cmp_lg_u32 s6, 32
	s_waitcnt vmcnt(0)
	v_add_u32_e32 v9, v11, v9
	v_add_u32_e32 v8, v10, v8
	scratch_store_dwordx2 off, v[8:9], s7
	s_cbranch_scc1 .LBB2178_367
; %bb.368:
	scratch_load_dwordx4 v[8:11], off, off offset:96
	scratch_load_dwordx4 v[12:15], off, off offset:112
.LBB2178_369:
	s_or_b64 exec, exec, s[2:3]
	v_and_b32_e32 v18, 1, v22
	v_cmp_eq_u32_e32 vcc, 1, v18
	v_and_b32_e32 v18, 1, v23
	v_cmp_eq_u32_e64 s[2:3], 1, v18
	s_or_b64 s[2:3], vcc, s[2:3]
	s_nop 0
	v_cndmask_b32_e64 v18, 0, 1, s[2:3]
	scratch_store_byte off, v18, off offset:200
	scratch_load_dword v22, off, off offset:200
	s_waitcnt vmcnt(3)
	scratch_store_dwordx4 off, v[8:11], off offset:168
	s_waitcnt vmcnt(3)
	scratch_store_dwordx4 off, v[12:15], off offset:184
.LBB2178_370:
	s_or_b64 exec, exec, s[4:5]
	v_mov_b32_dpp v24, v8 row_bcast:31 row_mask:0xf bank_mask:0xf
	v_mov_b32_dpp v25, v9 row_bcast:31 row_mask:0xf bank_mask:0xf
	;; [unrolled: 1-line block ×4, first 2 shown]
	s_waitcnt vmcnt(2)
	v_mov_b32_dpp v23, v22 row_bcast:31 row_mask:0xf bank_mask:0xf
	v_cmp_lt_u32_e32 vcc, 31, v17
	v_mov_b32_dpp v28, v12 row_bcast:31 row_mask:0xf bank_mask:0xf
	v_mov_b32_dpp v29, v13 row_bcast:31 row_mask:0xf bank_mask:0xf
	;; [unrolled: 1-line block ×4, first 2 shown]
	scratch_store_dwordx4 off, v[24:27], off
	scratch_store_dwordx4 off, v[28:31], off offset:16
	scratch_store_dword off, v23, off offset:32
	s_and_saveexec_b64 s[4:5], vcc
	s_cbranch_execz .LBB2178_378
; %bb.371:
	v_mov_b32_e32 v18, 0
	s_mov_b32 s6, 0
	v_cmp_eq_u16_sdwa s[8:9], v22, v18 src0_sel:BYTE_0 src1_sel:DWORD
	s_and_saveexec_b64 s[2:3], s[8:9]
	s_cbranch_execz .LBB2178_377
; %bb.372:
	v_mov_b32_e32 v19, v18
.LBB2178_373:                           ; =>This Inner Loop Header: Depth=1
	s_add_i32 s7, s6, 0x60
	s_add_i32 s6, s6, 8
	s_cmp_lg_u32 s6, 32
	scratch_store_dwordx2 off, v[18:19], s7
	s_cbranch_scc1 .LBB2178_373
; %bb.374:
	s_mov_b32 s6, 0
.LBB2178_375:                           ; =>This Inner Loop Header: Depth=1
	s_add_i32 s7, s6, 0
	s_add_i32 s8, s6, 0xa8
	scratch_load_dwordx2 v[8:9], off, s7
	scratch_load_dwordx2 v[10:11], off, s8
	s_add_i32 s7, s6, 0x60
	s_add_i32 s6, s6, 8
	s_cmp_lg_u32 s6, 32
	s_waitcnt vmcnt(0)
	v_add_u32_e32 v9, v11, v9
	v_add_u32_e32 v8, v10, v8
	scratch_store_dwordx2 off, v[8:9], s7
	s_cbranch_scc1 .LBB2178_375
; %bb.376:
	scratch_load_dwordx4 v[8:11], off, off offset:96
	scratch_load_dwordx4 v[12:15], off, off offset:112
.LBB2178_377:
	s_or_b64 exec, exec, s[2:3]
	v_and_b32_e32 v18, 1, v22
	v_cmp_eq_u32_e32 vcc, 1, v18
	v_and_b32_e32 v18, 1, v23
	v_cmp_eq_u32_e64 s[2:3], 1, v18
	s_or_b64 s[2:3], vcc, s[2:3]
	s_nop 0
	v_cndmask_b32_e64 v22, 0, 1, s[2:3]
	s_waitcnt vmcnt(1)
	scratch_store_dwordx4 off, v[8:11], off offset:168
	s_waitcnt vmcnt(1)
	scratch_store_dwordx4 off, v[12:15], off offset:184
	scratch_store_byte off, v22, off offset:200
.LBB2178_378:
	s_or_b64 exec, exec, s[4:5]
	v_or_b32_e32 v18, 63, v16
	v_lshrrev_b32_e32 v23, 6, v16
	v_cmp_eq_u32_e32 vcc, v18, v16
	s_and_saveexec_b64 s[2:3], vcc
	s_cbranch_execz .LBB2178_380
; %bb.379:
	v_mul_u32_u24_e32 v18, 36, v23
	ds_write2_b32 v18, v8, v9 offset1:1
	ds_write2_b32 v18, v10, v11 offset0:2 offset1:3
	ds_write2_b32 v18, v12, v13 offset0:4 offset1:5
	;; [unrolled: 1-line block ×3, first 2 shown]
	ds_write_b8 v18, v22 offset:32
.LBB2178_380:
	s_or_b64 exec, exec, s[2:3]
	v_cmp_gt_u32_e32 vcc, 4, v16
	s_waitcnt lgkmcnt(0)
	s_barrier
	s_and_saveexec_b64 s[4:5], vcc
	s_cbranch_execz .LBB2178_398
; %bb.381:
	v_mul_u32_u24_e32 v22, 36, v16
	ds_read_b32 v24, v22 offset:32
	ds_read2_b32 v[12:13], v22 offset0:4 offset1:5
	ds_read2_b32 v[10:11], v22 offset0:2 offset1:3
	ds_read2_b32 v[8:9], v22 offset1:1
	ds_read2_b32 v[14:15], v22 offset0:6 offset1:7
	v_and_b32_e32 v25, 3, v17
	s_waitcnt lgkmcnt(4)
	v_mov_b32_dpp v26, v24 row_shr:1 row_mask:0xf bank_mask:0xf
	s_waitcnt lgkmcnt(2)
	v_mov_b32_dpp v30, v10 row_shr:1 row_mask:0xf bank_mask:0xf
	;; [unrolled: 2-line block ×3, first 2 shown]
	v_mov_b32_dpp v29, v9 row_shr:1 row_mask:0xf bank_mask:0xf
	v_mov_b32_dpp v31, v11 row_shr:1 row_mask:0xf bank_mask:0xf
	v_cmp_ne_u32_e32 vcc, 0, v25
	scratch_store_dword off, v24, off offset:128
	scratch_store_dwordx4 off, v[8:11], off offset:96
	s_waitcnt lgkmcnt(0)
	scratch_store_dwordx4 off, v[12:15], off offset:112
	v_mov_b32_dpp v32, v12 row_shr:1 row_mask:0xf bank_mask:0xf
	v_mov_b32_dpp v33, v13 row_shr:1 row_mask:0xf bank_mask:0xf
	;; [unrolled: 1-line block ×4, first 2 shown]
	scratch_store_dwordx4 off, v[28:31], off
	scratch_store_dwordx4 off, v[32:35], off offset:16
	scratch_store_dword off, v26, off offset:32
	s_and_saveexec_b64 s[2:3], vcc
	s_cbranch_execz .LBB2178_389
; %bb.382:
	v_mov_b32_e32 v18, 0
	v_cmp_eq_u16_sdwa s[8:9], v24, v18 src0_sel:BYTE_0 src1_sel:DWORD
	s_and_saveexec_b64 s[6:7], s[8:9]
	s_cbranch_execz .LBB2178_388
; %bb.383:
	s_mov_b32 s8, 0
	v_mov_b32_e32 v19, v18
.LBB2178_384:                           ; =>This Inner Loop Header: Depth=1
	s_add_i32 s9, s8, 0xf0
	s_add_i32 s8, s8, 8
	s_cmp_lg_u32 s8, 32
	scratch_store_dwordx2 off, v[18:19], s9
	s_cbranch_scc1 .LBB2178_384
; %bb.385:
	s_mov_b32 s8, 0
.LBB2178_386:                           ; =>This Inner Loop Header: Depth=1
	s_add_i32 s9, s8, 0
	s_add_i32 s10, s8, 0x60
	scratch_load_dwordx2 v[8:9], off, s9
	scratch_load_dwordx2 v[10:11], off, s10
	s_add_i32 s9, s8, 0xf0
	s_add_i32 s8, s8, 8
	s_cmp_lg_u32 s8, 32
	s_waitcnt vmcnt(0)
	v_add_u32_e32 v9, v11, v9
	v_add_u32_e32 v8, v10, v8
	scratch_store_dwordx2 off, v[8:9], s9
	s_cbranch_scc1 .LBB2178_386
; %bb.387:
	scratch_load_dwordx4 v[8:11], off, off offset:240
	scratch_load_dwordx4 v[12:15], off, off offset:256
.LBB2178_388:
	s_or_b64 exec, exec, s[6:7]
	v_or_b32_e32 v18, v26, v24
	v_and_b32_e32 v18, 1, v18
	scratch_store_byte off, v18, off offset:128
	scratch_load_dword v24, off, off offset:128
	s_waitcnt vmcnt(3)
	scratch_store_dwordx4 off, v[8:11], off offset:96
	s_waitcnt vmcnt(3)
	scratch_store_dwordx4 off, v[12:15], off offset:112
.LBB2178_389:
	s_or_b64 exec, exec, s[2:3]
	v_mov_b32_dpp v28, v8 row_shr:2 row_mask:0xf bank_mask:0xf
	v_mov_b32_dpp v29, v9 row_shr:2 row_mask:0xf bank_mask:0xf
	v_mov_b32_dpp v30, v10 row_shr:2 row_mask:0xf bank_mask:0xf
	v_mov_b32_dpp v31, v11 row_shr:2 row_mask:0xf bank_mask:0xf
	s_waitcnt vmcnt(2)
	v_mov_b32_dpp v26, v24 row_shr:2 row_mask:0xf bank_mask:0xf
	v_cmp_lt_u32_e32 vcc, 1, v25
	v_mov_b32_dpp v32, v12 row_shr:2 row_mask:0xf bank_mask:0xf
	v_mov_b32_dpp v33, v13 row_shr:2 row_mask:0xf bank_mask:0xf
	;; [unrolled: 1-line block ×4, first 2 shown]
	scratch_store_dwordx4 off, v[28:31], off
	scratch_store_dwordx4 off, v[32:35], off offset:16
	scratch_store_dword off, v26, off offset:32
	s_and_saveexec_b64 s[6:7], vcc
	s_cbranch_execz .LBB2178_397
; %bb.390:
	v_mov_b32_e32 v18, 0
	s_mov_b32 s8, 0
	v_cmp_eq_u16_sdwa s[10:11], v24, v18 src0_sel:BYTE_0 src1_sel:DWORD
	s_and_saveexec_b64 s[2:3], s[10:11]
	s_cbranch_execz .LBB2178_396
; %bb.391:
	v_mov_b32_e32 v19, v18
.LBB2178_392:                           ; =>This Inner Loop Header: Depth=1
	s_add_i32 s9, s8, 0xf0
	s_add_i32 s8, s8, 8
	s_cmp_lg_u32 s8, 32
	scratch_store_dwordx2 off, v[18:19], s9
	s_cbranch_scc1 .LBB2178_392
; %bb.393:
	s_mov_b32 s8, 0
.LBB2178_394:                           ; =>This Inner Loop Header: Depth=1
	s_add_i32 s9, s8, 0
	s_add_i32 s10, s8, 0x60
	scratch_load_dwordx2 v[8:9], off, s9
	scratch_load_dwordx2 v[10:11], off, s10
	s_add_i32 s9, s8, 0xf0
	s_add_i32 s8, s8, 8
	s_cmp_lg_u32 s8, 32
	s_waitcnt vmcnt(0)
	v_add_u32_e32 v9, v11, v9
	v_add_u32_e32 v8, v10, v8
	scratch_store_dwordx2 off, v[8:9], s9
	s_cbranch_scc1 .LBB2178_394
; %bb.395:
	scratch_load_dwordx4 v[8:11], off, off offset:240
	scratch_load_dwordx4 v[12:15], off, off offset:256
.LBB2178_396:
	s_or_b64 exec, exec, s[2:3]
	v_and_b32_e32 v18, 1, v24
	v_cmp_eq_u32_e32 vcc, 1, v18
	v_and_b32_e32 v18, 1, v26
	v_cmp_eq_u32_e64 s[2:3], 1, v18
	s_or_b64 s[2:3], vcc, s[2:3]
	s_waitcnt vmcnt(1)
	scratch_store_dwordx4 off, v[8:11], off offset:96
	s_waitcnt vmcnt(1)
	scratch_store_dwordx4 off, v[12:15], off offset:112
	v_cndmask_b32_e64 v24, 0, 1, s[2:3]
.LBB2178_397:
	s_or_b64 exec, exec, s[6:7]
	scratch_load_dwordx4 v[8:11], off, off offset:96
	scratch_load_dwordx4 v[12:15], off, off offset:112
	s_waitcnt vmcnt(1)
	ds_write2_b32 v22, v10, v11 offset0:2 offset1:3
	ds_write2_b32 v22, v8, v9 offset1:1
	s_waitcnt vmcnt(0)
	ds_write2_b32 v22, v14, v15 offset0:6 offset1:7
	ds_write2_b32 v22, v12, v13 offset0:4 offset1:5
	ds_write_b8 v22, v24 offset:32
.LBB2178_398:
	s_or_b64 exec, exec, s[4:5]
	s_waitcnt lgkmcnt(0)
	s_barrier
	scratch_load_dwordx4 v[8:11], off, off offset:132
	scratch_load_dwordx4 v[12:15], off, off offset:148
	scratch_load_dword v18, off, off offset:164
	v_cmp_lt_u32_e32 vcc, 63, v16
	s_waitcnt vmcnt(2)
	scratch_store_dwordx4 off, v[8:11], off
	s_waitcnt vmcnt(2)
	scratch_store_dwordx4 off, v[12:15], off offset:16
	s_waitcnt vmcnt(2)
	scratch_store_dword off, v18, off offset:32
	s_and_saveexec_b64 s[2:3], vcc
	s_cbranch_execz .LBB2178_408
; %bb.399:
	v_not_b32_e32 v8, 35
	v_mad_u32_u24 v19, v23, 36, v8
	ds_read_u8 v18, v19 offset:32
                                        ; implicit-def: $vgpr10_vgpr11
                                        ; implicit-def: $vgpr14_vgpr15
	s_waitcnt lgkmcnt(0)
	v_cmp_ne_u16_e32 vcc, 0, v18
	s_and_saveexec_b64 s[4:5], vcc
	s_xor_b64 s[4:5], exec, s[4:5]
	s_cbranch_execz .LBB2178_401
; %bb.400:
	ds_read2_b32 v[12:13], v19 offset1:1
	ds_read2_b32 v[14:15], v19 offset0:2 offset1:3
	ds_read2_b32 v[8:9], v19 offset0:4 offset1:5
	;; [unrolled: 1-line block ×3, first 2 shown]
                                        ; implicit-def: $vgpr19
.LBB2178_401:
	s_andn2_saveexec_b64 s[4:5], s[4:5]
	s_cbranch_execz .LBB2178_407
; %bb.402:
	s_waitcnt lgkmcnt(1)
	v_mov_b32_e32 v8, 0
	s_mov_b32 s6, 0
	v_mov_b32_e32 v9, v8
.LBB2178_403:                           ; =>This Inner Loop Header: Depth=1
	s_add_i32 s7, s6, 0x60
	s_add_i32 s6, s6, 8
	s_cmp_lg_u32 s6, 32
	scratch_store_dwordx2 off, v[8:9], s7
	s_cbranch_scc1 .LBB2178_403
; %bb.404:
	s_mov_b32 s6, 0
.LBB2178_405:                           ; =>This Inner Loop Header: Depth=1
	s_add_i32 s7, s6, 0x84
	scratch_load_dwordx2 v[8:9], off, s7
	s_waitcnt lgkmcnt(0)
	v_add_u32_e32 v10, s6, v19
	ds_read2_b32 v[10:11], v10 offset1:1
	s_add_i32 s7, s6, 0x60
	s_add_i32 s6, s6, 8
	s_cmp_lg_u32 s6, 32
	s_waitcnt vmcnt(0) lgkmcnt(0)
	v_add_u32_e32 v9, v11, v9
	v_add_u32_e32 v8, v10, v8
	scratch_store_dwordx2 off, v[8:9], s7
	s_cbranch_scc1 .LBB2178_405
; %bb.406:
	scratch_load_dwordx4 v[12:15], off, off offset:96
	scratch_load_dwordx4 v[8:11], off, off offset:112
.LBB2178_407:
	s_or_b64 exec, exec, s[4:5]
	scratch_load_ubyte v19, off, off offset:164
	s_waitcnt vmcnt(2) lgkmcnt(2)
	scratch_store_dwordx4 off, v[12:15], off
	s_waitcnt vmcnt(1)
	s_nop 0
	v_or_b32_e32 v12, v18, v19
	v_and_b32_e32 v12, 1, v12
	s_waitcnt lgkmcnt(0)
	scratch_store_dwordx4 off, v[8:11], off offset:16
	scratch_store_byte off, v12, off offset:32
.LBB2178_408:
	s_or_b64 exec, exec, s[2:3]
	scratch_load_ubyte v15, off, off offset:200
                                        ; implicit-def: $vgpr18_vgpr19
                                        ; implicit-def: $vgpr8_vgpr9
                                        ; implicit-def: $vgpr22
                                        ; implicit-def: $vgpr12
	s_waitcnt vmcnt(0)
	v_cmp_ne_u16_e32 vcc, 0, v15
	s_and_saveexec_b64 s[2:3], vcc
	s_xor_b64 s[2:3], exec, s[2:3]
	s_cbranch_execz .LBB2178_410
; %bb.409:
	scratch_load_dwordx3 v[12:14], off, off offset:168
	scratch_load_dwordx4 v[8:11], off, off offset:180
	scratch_load_dword v22, off, off offset:196
	s_waitcnt vmcnt(2)
	v_mov_b32_e32 v18, v13
	v_mov_b32_e32 v19, v14
.LBB2178_410:
	s_andn2_saveexec_b64 s[2:3], s[2:3]
	s_cbranch_execz .LBB2178_416
; %bb.411:
	s_waitcnt vmcnt(1)
	v_mov_b32_e32 v8, 0
	s_mov_b32 s4, 0
	v_mov_b32_e32 v9, v8
.LBB2178_412:                           ; =>This Inner Loop Header: Depth=1
	s_add_i32 s5, s4, 0x60
	s_add_i32 s4, s4, 8
	s_cmp_lg_u32 s4, 32
	scratch_store_dwordx2 off, v[8:9], s5
	s_cbranch_scc1 .LBB2178_412
; %bb.413:
	s_mov_b32 s4, 0
.LBB2178_414:                           ; =>This Inner Loop Header: Depth=1
	s_add_i32 s5, s4, 0
	s_add_i32 s6, s4, 0xa8
	scratch_load_dwordx2 v[8:9], off, s5
	scratch_load_dwordx2 v[10:11], off, s6
	s_add_i32 s5, s4, 0x60
	s_add_i32 s4, s4, 8
	s_cmp_lg_u32 s4, 32
	s_waitcnt vmcnt(0)
	v_add_u32_e32 v9, v11, v9
	v_add_u32_e32 v8, v10, v8
	scratch_store_dwordx2 off, v[8:9], s5
	s_cbranch_scc1 .LBB2178_414
; %bb.415:
	scratch_load_dwordx3 v[12:14], off, off offset:96
	scratch_load_dwordx4 v[8:11], off, off offset:108
	scratch_load_dword v22, off, off offset:124
	s_waitcnt vmcnt(2)
	v_mov_b32_e32 v18, v13
	v_mov_b32_e32 v19, v14
.LBB2178_416:
	s_or_b64 exec, exec, s[2:3]
	scratch_load_ubyte v13, off, off offset:32
	v_and_b32_e32 v23, 64, v17
	s_waitcnt vmcnt(0)
	v_or_b32_e32 v14, v15, v13
	v_and_b32_e32 v14, 1, v14
	scratch_store_byte off, v14, off offset:200
	scratch_load_dword v14, off, off offset:200
	v_add_u32_e32 v15, -1, v17
	v_cmp_lt_i32_e32 vcc, v15, v23
	s_nop 1
	v_cndmask_b32_e32 v15, v15, v17, vcc
	v_lshlrev_b32_e32 v15, 2, v15
	ds_bpermute_b32 v24, v15, v12
	ds_bpermute_b32 v25, v15, v18
	;; [unrolled: 1-line block ×8, first 2 shown]
	v_cmp_eq_u32_e32 vcc, 0, v17
	s_waitcnt lgkmcnt(4)
	scratch_store_dwordx4 off, v[24:27], off offset:168
	s_waitcnt lgkmcnt(0)
	scratch_store_dwordx4 off, v[28:31], off offset:184
	s_waitcnt vmcnt(2)
	ds_bpermute_b32 v9, v15, v14
	s_and_saveexec_b64 s[2:3], vcc
	s_cbranch_execz .LBB2178_418
; %bb.417:
	s_waitcnt lgkmcnt(0)
	scratch_load_dwordx4 v[8:11], off, off
	scratch_load_dwordx4 v[22:25], off, off offset:16
	s_waitcnt vmcnt(1)
	scratch_store_dwordx4 off, v[8:11], off offset:168
	s_waitcnt vmcnt(1)
	scratch_store_dwordx4 off, v[22:25], off offset:184
	v_mov_b32_e32 v9, v13
.LBB2178_418:
	s_or_b64 exec, exec, s[2:3]
	scratch_load_dwordx4 v[10:13], off, off offset:272
	scratch_load_dwordx4 v[22:25], off, off offset:288
	scratch_load_dword v14, off, off offset:304
	v_mov_b32_e32 v8, 0
	v_cmp_eq_u32_e64 s[2:3], 0, v16
	v_cmp_ne_u32_e32 vcc, 0, v16
	scratch_store_dwordx4 off, v[4:7], off offset:96
	scratch_store_dwordx4 off, v[0:3], off offset:112
	scratch_store_byte off, v8, off offset:128
	s_waitcnt vmcnt(5)
	scratch_store_dwordx4 off, v[10:13], off
	s_waitcnt vmcnt(5)
	scratch_store_dwordx4 off, v[22:25], off offset:16
	s_waitcnt vmcnt(5)
	scratch_store_dword off, v14, off offset:32
	s_and_saveexec_b64 s[4:5], vcc
	s_cbranch_execz .LBB2178_420
; %bb.419:
	scratch_load_dwordx4 v[0:3], off, off offset:168
	scratch_load_dwordx4 v[4:7], off, off offset:184
	s_waitcnt lgkmcnt(0)
	v_mov_b32_e32 v8, v9
	s_waitcnt vmcnt(1)
	scratch_store_dwordx4 off, v[0:3], off offset:96
	s_waitcnt vmcnt(1)
	scratch_store_dwordx4 off, v[4:7], off offset:112
.LBB2178_420:
	s_or_b64 exec, exec, s[4:5]
	scratch_load_dwordx4 v[0:3], off, off offset:96
	scratch_load_dwordx4 v[4:7], off, off offset:112
	s_waitcnt lgkmcnt(0)
	scratch_load_ubyte v9, off, off offset:32
	s_nop 0
	scratch_store_byte off, v8, off offset:304
	s_waitcnt vmcnt(3)
	scratch_store_dwordx4 off, v[0:3], off offset:272
	s_waitcnt vmcnt(3)
	scratch_store_dwordx4 off, v[4:7], off offset:288
	s_waitcnt vmcnt(3)
	v_cmp_ne_u16_e32 vcc, 0, v9
                                        ; implicit-def: $vgpr6_vgpr7
                                        ; implicit-def: $vgpr2_vgpr3
	s_and_saveexec_b64 s[4:5], vcc
	s_xor_b64 s[4:5], exec, s[4:5]
	s_cbranch_execz .LBB2178_422
; %bb.421:
	scratch_load_dwordx4 v[0:3], off, off
	scratch_load_dwordx4 v[4:7], off, off offset:16
.LBB2178_422:
	s_andn2_saveexec_b64 s[4:5], s[4:5]
	s_cbranch_execz .LBB2178_428
; %bb.423:
	s_waitcnt vmcnt(1)
	v_mov_b32_e32 v0, 0
	s_mov_b32 s6, 0
	v_mov_b32_e32 v1, v0
.LBB2178_424:                           ; =>This Inner Loop Header: Depth=1
	s_add_i32 s7, s6, 0x84
	s_add_i32 s6, s6, 8
	s_cmp_lg_u32 s6, 32
	scratch_store_dwordx2 off, v[0:1], s7
	s_cbranch_scc1 .LBB2178_424
; %bb.425:
	s_mov_b32 s6, 0
.LBB2178_426:                           ; =>This Inner Loop Header: Depth=1
	s_add_i32 s7, s6, 0x60
	s_add_i32 s8, s6, 0
	scratch_load_dwordx2 v[0:1], off, s7
	scratch_load_dwordx2 v[2:3], off, s8
	s_add_i32 s7, s6, 0x84
	s_add_i32 s6, s6, 8
	s_cmp_lg_u32 s6, 32
	s_waitcnt vmcnt(0)
	v_add_u32_e32 v1, v3, v1
	v_add_u32_e32 v0, v2, v0
	scratch_store_dwordx2 off, v[0:1], s7
	s_cbranch_scc1 .LBB2178_426
; %bb.427:
	scratch_load_dwordx4 v[0:3], off, off offset:132
	scratch_load_dwordx4 v[4:7], off, off offset:148
.LBB2178_428:
	s_or_b64 exec, exec, s[4:5]
	scratch_load_dwordx4 v[12:15], v20, off
	scratch_load_dwordx4 v[22:25], v20, off offset:16
	scratch_load_ubyte v10, off, off offset:340
	v_or_b32_e32 v8, v9, v8
	s_waitcnt vmcnt(4)
	scratch_store_dwordx4 off, v[0:3], off offset:96
	s_waitcnt vmcnt(4)
	scratch_store_dwordx4 off, v[4:7], off offset:112
	scratch_store_dwordx4 v20, v[0:3], off
	scratch_store_dwordx4 v20, v[4:7], off offset:16
                                        ; implicit-def: $vgpr6_vgpr7
                                        ; implicit-def: $vgpr2_vgpr3
	s_waitcnt vmcnt(4)
	v_cmp_ne_u16_e64 s[4:5], 0, v10
	v_and_b32_e32 v0, 1, v8
	v_cmp_eq_u32_e32 vcc, 1, v0
	scratch_store_byte off, v0, off offset:340
	scratch_store_dwordx4 off, v[12:15], off
	scratch_store_dwordx4 off, v[22:25], off offset:16
	s_and_saveexec_b64 s[6:7], s[4:5]
	s_xor_b64 s[4:5], exec, s[6:7]
	s_cbranch_execz .LBB2178_430
; %bb.429:
	scratch_load_dwordx4 v[0:3], off, off
	scratch_load_dwordx4 v[4:7], off, off offset:16
.LBB2178_430:
	s_andn2_saveexec_b64 s[4:5], s[4:5]
	s_cbranch_execz .LBB2178_436
; %bb.431:
	s_waitcnt vmcnt(1)
	v_mov_b32_e32 v0, 0
	s_mov_b32 s6, 0
	v_mov_b32_e32 v1, v0
.LBB2178_432:                           ; =>This Inner Loop Header: Depth=1
	s_add_i32 s7, s6, 0x84
	s_add_i32 s6, s6, 8
	s_cmp_lg_u32 s6, 32
	scratch_store_dwordx2 off, v[0:1], s7
	s_cbranch_scc1 .LBB2178_432
; %bb.433:
	s_mov_b32 s6, 0
.LBB2178_434:                           ; =>This Inner Loop Header: Depth=1
	s_add_i32 s7, s6, 0x60
	s_add_i32 s8, s6, 0
	scratch_load_dwordx2 v[0:1], off, s7
	scratch_load_dwordx2 v[2:3], off, s8
	s_add_i32 s7, s6, 0x84
	s_add_i32 s6, s6, 8
	s_cmp_lg_u32 s6, 32
	s_waitcnt vmcnt(0)
	v_add_u32_e32 v1, v3, v1
	v_add_u32_e32 v0, v2, v0
	scratch_store_dwordx2 off, v[0:1], s7
	s_cbranch_scc1 .LBB2178_434
; %bb.435:
	scratch_load_dwordx4 v[0:3], off, off offset:132
	scratch_load_dwordx4 v[4:7], off, off offset:148
.LBB2178_436:
	s_or_b64 exec, exec, s[4:5]
	v_and_b32_e32 v8, 1, v10
	v_cmp_eq_u32_e64 s[4:5], 1, v8
	v_mov_b32_e32 v8, 0
	ds_read2_b32 v[12:13], v8 offset0:33 offset1:34
	ds_read2_b32 v[10:11], v8 offset0:31 offset1:32
	;; [unrolled: 1-line block ×4, first 2 shown]
	ds_read_u8 v8, v8 offset:140
	s_or_b64 s[4:5], s[4:5], vcc
	v_cndmask_b32_e64 v9, 0, 1, s[4:5]
	s_waitcnt vmcnt(1)
	scratch_store_dwordx4 v21, v[0:3], off
	s_waitcnt vmcnt(1)
	scratch_store_dwordx4 v21, v[4:7], off offset:16
	scratch_store_byte off, v9, off offset:376
	s_waitcnt lgkmcnt(1)
	scratch_store_dwordx4 off, v[22:25], off offset:380
	scratch_store_dwordx4 off, v[10:13], off offset:396
	s_waitcnt lgkmcnt(0)
	v_cmp_ne_u16_e32 vcc, 0, v8
	s_cbranch_vccz .LBB2178_440
; %bb.437:
	scratch_load_dwordx4 v[0:3], off, off offset:380
	scratch_load_dwordx4 v[4:7], off, off offset:396
	s_cbranch_execz .LBB2178_441
	s_branch .LBB2178_446
.LBB2178_438:
	v_lshlrev_b64 v[10:11], 5, v[16:17]
	v_lshl_add_u64 v[18:19], s[20:21], 0, v[10:11]
	flat_load_dwordx4 v[10:13], v[18:19]
	flat_load_dwordx4 v[22:25], v[18:19] offset:16
	s_waitcnt vmcnt(0) lgkmcnt(0)
	scratch_store_dwordx4 off, v[10:13], off
	scratch_store_dwordx4 off, v[22:25], off offset:16
	s_or_b64 exec, exec, s[8:9]
	s_and_saveexec_b64 s[8:9], s[2:3]
	s_cbranch_execz .LBB2178_25
.LBB2178_439:
	v_lshlrev_b32_e32 v10, 5, v6
	v_mov_b32_e32 v11, 0
	v_lshl_add_u64 v[18:19], s[20:21], 0, v[10:11]
	flat_load_dwordx4 v[10:13], v[18:19]
	flat_load_dwordx4 v[22:25], v[18:19] offset:16
	s_waitcnt vmcnt(0) lgkmcnt(0)
	scratch_store_dwordx4 off, v[10:13], off offset:32
	scratch_store_dwordx4 off, v[22:25], off offset:48
	s_or_b64 exec, exec, s[8:9]
	v_mul_u32_u24_e32 v6, 3, v16
	s_and_saveexec_b64 s[2:3], s[6:7]
	s_cbranch_execnz .LBB2178_26
	s_branch .LBB2178_27
.LBB2178_440:
                                        ; implicit-def: $vgpr6_vgpr7
                                        ; implicit-def: $vgpr2_vgpr3
.LBB2178_441:
	s_waitcnt vmcnt(1)
	v_mov_b32_e32 v0, 0
	s_mov_b32 s4, 0
	v_mov_b32_e32 v1, v0
.LBB2178_442:                           ; =>This Inner Loop Header: Depth=1
	s_add_i32 s5, s4, 0
	s_add_i32 s4, s4, 8
	s_cmp_lg_u32 s4, 32
	scratch_store_dwordx2 off, v[0:1], s5
	s_cbranch_scc1 .LBB2178_442
; %bb.443:
	s_mov_b32 s4, 0
.LBB2178_444:                           ; =>This Inner Loop Header: Depth=1
	s_add_i32 s5, s4, 0xcc
	s_add_i32 s6, s4, 0x17c
	scratch_load_dwordx2 v[0:1], off, s5
	scratch_load_dwordx2 v[2:3], off, s6
	s_add_i32 s5, s4, 0
	s_add_i32 s4, s4, 8
	s_cmp_lg_u32 s4, 32
	s_waitcnt vmcnt(0)
	v_add_u32_e32 v1, v3, v1
	v_add_u32_e32 v0, v2, v0
	scratch_store_dwordx2 off, v[0:1], s5
	s_cbranch_scc1 .LBB2178_444
; %bb.445:
	scratch_load_dwordx4 v[0:3], off, off
	scratch_load_dwordx4 v[4:7], off, off offset:16
.LBB2178_446:
	scratch_load_ubyte v9, off, off offset:236
	s_waitcnt vmcnt(2)
	scratch_store_dwordx4 off, v[0:3], off offset:380
	s_waitcnt vmcnt(2)
	scratch_store_dwordx4 off, v[4:7], off offset:396
	s_waitcnt vmcnt(2)
	v_or_b32_e32 v8, v8, v9
	v_and_b32_e32 v8, 1, v8
	v_cmp_eq_u32_e32 vcc, 1, v8
	scratch_store_byte off, v8, off offset:412
	s_and_saveexec_b64 s[4:5], s[2:3]
	s_cbranch_execz .LBB2178_448
; %bb.447:
	scratch_load_ushort v8, off, off offset:413
	scratch_load_sbyte v9, off, off offset:415
	v_mov_b32_e32 v10, 0
	v_cndmask_b32_e64 v11, 0, 1, vcc
	global_store_dword v10, v0, s[14:15] offset:2304 sc1
	global_store_dword v10, v1, s[14:15] offset:2308 sc1
	;; [unrolled: 1-line block ×8, first 2 shown]
	v_mov_b32_e32 v12, 2
	s_waitcnt vmcnt(9)
	v_and_b32_e32 v0, 0xff, v8
	v_lshlrev_b32_e32 v1, 8, v8
	s_waitcnt vmcnt(8)
	v_lshlrev_b32_e32 v2, 24, v9
	v_lshl_or_b32 v0, v0, 8, v11
	v_and_b32_e32 v1, 0xff0000, v1
	v_or3_b32 v0, v0, v1, v2
	global_store_dword v10, v0, s[14:15] offset:2336 sc1
	s_waitcnt vmcnt(0)
	global_store_byte v10, v12, s[16:17] offset:64 sc1
.LBB2178_448:
	s_or_b64 exec, exec, s[4:5]
.LBB2178_449:
	v_mov_b32_e32 v0, 0
	s_mov_b32 s2, 0
	v_mov_b32_e32 v1, v0
.LBB2178_450:                           ; =>This Inner Loop Header: Depth=1
	s_add_i32 s3, s2, 0
	s_add_i32 s2, s2, 8
	s_cmp_lg_u32 s2, 32
	scratch_store_dwordx2 off, v[0:1], s3
	s_cbranch_scc1 .LBB2178_450
; %bb.451:
	v_mov_b32_e32 v0, 0
	s_mov_b32 s2, 32
	v_mov_b32_e32 v1, v0
.LBB2178_452:                           ; =>This Inner Loop Header: Depth=1
	s_add_i32 s3, s2, 0
	s_add_i32 s2, s2, 8
	s_cmp_lg_u32 s2, 64
	scratch_store_dwordx2 off, v[0:1], s3
	s_cbranch_scc1 .LBB2178_452
; %bb.453:
	v_mov_b32_e32 v0, 0
	s_mov_b32 s2, 64
	v_mov_b32_e32 v1, v0
.LBB2178_454:                           ; =>This Inner Loop Header: Depth=1
	s_add_i32 s3, s2, 0
	s_add_i32 s2, s2, 8
	s_cmpk_lg_i32 s2, 0x60
	scratch_store_dwordx2 off, v[0:1], s3
	s_cbranch_scc1 .LBB2178_454
; %bb.455:
	s_add_u32 s2, s26, s28
	s_addc_u32 s3, s27, s29
	v_mov_b32_e32 v0, 0
	s_add_u32 s2, s2, s24
	v_add_u32_e32 v4, 64, v0
	v_add_u32_e32 v5, 32, v0
	s_addc_u32 s3, s3, s25
	s_and_b64 vcc, exec, s[0:1]
	s_cbranch_vccz .LBB2178_465
; %bb.456:
	s_add_i32 s19, s19, s18
	v_mul_u32_u24_e32 v0, 3, v16
	v_cmp_gt_u32_e32 vcc, s19, v0
	s_and_saveexec_b64 s[0:1], vcc
	s_cbranch_execz .LBB2178_460
; %bb.457:
	scratch_load_dwordx4 v[6:9], off, off offset:272
	scratch_load_dwordx4 v[10:13], off, off offset:288
	v_add_u32_e32 v1, 1, v0
	v_cmp_gt_u32_e32 vcc, s19, v1
	s_waitcnt vmcnt(1)
	scratch_store_dwordx4 off, v[6:9], off
	s_waitcnt vmcnt(1)
	scratch_store_dwordx4 off, v[10:13], off offset:16
	s_and_b64 exec, exec, vcc
	s_cbranch_execz .LBB2178_460
; %bb.458:
	scratch_load_dwordx4 v[6:9], v20, off
	scratch_load_dwordx4 v[10:13], v20, off offset:16
	v_add_u32_e32 v1, 2, v0
	v_cmp_gt_u32_e32 vcc, s19, v1
	s_waitcnt vmcnt(1)
	scratch_store_dwordx4 v5, v[6:9], off
	s_waitcnt vmcnt(1)
	scratch_store_dwordx4 v5, v[10:13], off offset:16
	s_and_b64 exec, exec, vcc
	s_cbranch_execz .LBB2178_460
; %bb.459:
	scratch_load_dwordx4 v[6:9], v21, off
	scratch_load_dwordx4 v[10:13], v21, off offset:16
	s_waitcnt vmcnt(1)
	scratch_store_dwordx4 v4, v[6:9], off
	s_waitcnt vmcnt(1)
	scratch_store_dwordx4 v4, v[10:13], off offset:16
.LBB2178_460:
	s_or_b64 exec, exec, s[0:1]
	s_barrier
	scratch_load_dwordx4 v[8:11], off, off
	scratch_load_dwordx4 v[12:15], off, off offset:16
	scratch_load_dwordx4 v[22:25], v5, off
	scratch_load_dwordx4 v[26:29], v5, off offset:16
	scratch_load_dwordx4 v[30:33], v4, off
	scratch_load_dwordx4 v[34:37], v4, off offset:16
	v_lshlrev_b32_e32 v2, 5, v0
	v_lshlrev_b32_e32 v3, 6, v16
	v_sub_u32_e32 v6, v2, v3
	v_mov_b32_e32 v1, 0
	v_lshlrev_b32_e32 v0, 5, v16
	v_cmp_gt_u32_e32 vcc, s19, v16
	s_waitcnt vmcnt(5)
	ds_write_b128 v2, v[8:11]
	s_waitcnt vmcnt(4)
	ds_write_b128 v2, v[12:15] offset:16
	s_waitcnt vmcnt(3)
	ds_write_b128 v2, v[22:25] offset:32
	;; [unrolled: 2-line block ×5, first 2 shown]
	s_waitcnt lgkmcnt(0)
	s_barrier
	ds_read_b128 v[8:11], v6 offset:8192
	ds_read_b128 v[12:15], v6 offset:8208
	;; [unrolled: 1-line block ×4, first 2 shown]
	v_lshl_add_u64 v[2:3], s[2:3], 0, v[0:1]
	s_waitcnt lgkmcnt(3)
	scratch_store_dwordx4 v5, v[8:11], off
	s_waitcnt lgkmcnt(2)
	scratch_store_dwordx4 v5, v[12:15], off offset:16
	s_waitcnt lgkmcnt(1)
	scratch_store_dwordx4 v4, v[22:25], off
	s_waitcnt lgkmcnt(0)
	scratch_store_dwordx4 v4, v[26:29], off offset:16
	s_and_saveexec_b64 s[0:1], vcc
	s_cbranch_execz .LBB2178_462
; %bb.461:
	ds_read2_b32 v[8:9], v6 offset0:4 offset1:5
	ds_read2_b32 v[10:11], v6 offset0:6 offset1:7
	;; [unrolled: 1-line block ×3, first 2 shown]
	ds_read2_b32 v[12:13], v6 offset1:1
	s_waitcnt lgkmcnt(0)
	flat_store_dwordx4 v[2:3], v[12:15]
	flat_store_dwordx4 v[2:3], v[8:11] offset:16
.LBB2178_462:
	s_or_b64 exec, exec, s[0:1]
	v_or_b32_e32 v0, 0x100, v16
	v_cmp_gt_u32_e32 vcc, s19, v0
	s_and_saveexec_b64 s[0:1], vcc
	s_cbranch_execz .LBB2178_464
; %bb.463:
	scratch_load_dwordx4 v[6:9], v5, off offset:16
	s_mov_b64 s[4:5], 0x2000
	v_lshl_add_u64 v[10:11], v[2:3], 0, s[4:5]
	v_add_co_u32_e32 v2, vcc, 0x2000, v2
	s_waitcnt vmcnt(0)
	flat_store_dwordx4 v[10:11], v[6:9] offset:16
	scratch_load_dwordx4 v[6:9], v5, off
	v_addc_co_u32_e32 v3, vcc, 0, v3, vcc
	s_waitcnt vmcnt(0)
	flat_store_dwordx4 v[2:3], v[6:9]
.LBB2178_464:
	s_or_b64 exec, exec, s[0:1]
	v_or_b32_e32 v0, 0x200, v16
	v_mov_b32_e32 v17, v1
	v_cmp_gt_u32_e64 s[0:1], s19, v0
	s_branch .LBB2178_467
.LBB2178_465:
	s_mov_b64 s[0:1], 0
	s_cbranch_execz .LBB2178_467
; %bb.466:
	scratch_load_dwordx4 v[0:3], off, off offset:272
	scratch_load_dwordx4 v[6:9], off, off offset:288
	scratch_load_dwordx4 v[10:13], v20, off
	scratch_load_dwordx4 v[22:25], v20, off offset:16
	scratch_load_dwordx4 v[26:29], v21, off
	scratch_load_dwordx4 v[30:33], v21, off offset:16
	v_mul_u32_u24_e32 v34, 0x60, v16
	v_lshlrev_b32_e32 v15, 6, v16
	v_sub_u32_e32 v35, v34, v15
	v_mov_b32_e32 v17, 0
	v_lshlrev_b32_e32 v14, 5, v16
	v_mov_b32_e32 v15, v17
	v_lshl_add_u64 v[14:15], s[2:3], 0, v[14:15]
	s_mov_b64 s[4:5], 0x2000
	s_or_b64 s[0:1], s[0:1], exec
	s_waitcnt vmcnt(0)
	scratch_store_dwordx4 off, v[0:3], off
	scratch_store_dwordx4 off, v[6:9], off offset:16
	scratch_store_dwordx4 v5, v[10:13], off
	scratch_store_dwordx4 v5, v[22:25], off offset:16
	scratch_store_dwordx4 v4, v[26:29], off
	scratch_store_dwordx4 v4, v[30:33], off offset:16
	s_waitcnt lgkmcnt(0)
	s_barrier
	scratch_load_dwordx4 v[0:3], off, off
	scratch_load_dwordx4 v[6:9], off, off offset:16
	scratch_load_dwordx4 v[10:13], v5, off
	scratch_load_dwordx4 v[18:21], v5, off offset:16
	scratch_load_dwordx4 v[22:25], v4, off
	scratch_load_dwordx4 v[26:29], v4, off offset:16
	v_add_co_u32_e32 v32, vcc, 0x2000, v14
	v_lshl_add_u64 v[30:31], v[14:15], 0, s[4:5]
	s_nop 0
	v_addc_co_u32_e32 v33, vcc, 0, v15, vcc
	s_waitcnt vmcnt(5)
	ds_write_b128 v34, v[0:3]
	s_waitcnt vmcnt(4)
	ds_write_b128 v34, v[6:9] offset:16
	s_waitcnt vmcnt(3)
	ds_write_b128 v34, v[10:13] offset:32
	;; [unrolled: 2-line block ×5, first 2 shown]
	s_waitcnt lgkmcnt(0)
	s_barrier
	ds_read_b128 v[0:3], v35 offset:8192
	ds_read_b128 v[6:9], v35 offset:8208
	;; [unrolled: 1-line block ×4, first 2 shown]
	ds_read2_b32 v[22:23], v35 offset1:1
	ds_read2_b32 v[28:29], v35 offset0:6 offset1:7
	ds_read2_b32 v[26:27], v35 offset0:4 offset1:5
	;; [unrolled: 1-line block ×3, first 2 shown]
	s_waitcnt lgkmcnt(7)
	scratch_store_dwordx4 v5, v[0:3], off
	s_waitcnt lgkmcnt(6)
	scratch_store_dwordx4 v5, v[6:9], off offset:16
	s_waitcnt lgkmcnt(5)
	scratch_store_dwordx4 v4, v[10:13], off
	s_waitcnt lgkmcnt(4)
	scratch_store_dwordx4 v4, v[18:21], off offset:16
	s_waitcnt lgkmcnt(1)
	flat_store_dwordx4 v[14:15], v[26:29] offset:16
	s_waitcnt lgkmcnt(0)
	flat_store_dwordx4 v[14:15], v[22:25]
	flat_store_dwordx4 v[32:33], v[0:3]
	flat_store_dwordx4 v[30:31], v[6:9] offset:16
.LBB2178_467:
	s_and_saveexec_b64 s[4:5], s[0:1]
	s_cbranch_execnz .LBB2178_469
; %bb.468:
	s_endpgm
.LBB2178_469:
	scratch_load_dwordx4 v[0:3], v4, off offset:16
	v_lshlrev_b64 v[6:7], 5, v[16:17]
	v_lshl_add_u64 v[6:7], s[2:3], 0, v[6:7]
	s_mov_b64 s[0:1], 0x4000
	v_lshl_add_u64 v[8:9], v[6:7], 0, s[0:1]
	s_waitcnt vmcnt(0)
	flat_store_dwordx4 v[8:9], v[0:3] offset:16
	scratch_load_dwordx4 v[0:3], v4, off
	v_add_co_u32_e32 v4, vcc, 0x4000, v6
	s_nop 1
	v_addc_co_u32_e32 v5, vcc, 0, v7, vcc
	s_waitcnt vmcnt(0)
	flat_store_dwordx4 v[4:5], v[0:3]
	s_endpgm
	.section	.rodata,"a",@progbits
	.p2align	6, 0x0
	.amdhsa_kernel _ZN7rocprim17ROCPRIM_400000_NS6detail17trampoline_kernelINS0_14default_configENS1_27scan_by_key_config_selectorIj11FixedVectorIiLj8EEEEZZNS1_16scan_by_key_implILNS1_25lookback_scan_determinismE0ELb1ES3_N6thrust23THRUST_200600_302600_NS6detail15normal_iteratorINSB_10device_ptrIjEEEENSD_INSE_IS6_EEEESI_S6_NSB_4plusIvEENSB_8equal_toIvEES6_EE10hipError_tPvRmT2_T3_T4_T5_mT6_T7_P12ihipStream_tbENKUlT_T0_E_clISt17integral_constantIbLb1EES12_IbLb0EEEEDaSY_SZ_EUlSY_E_NS1_11comp_targetILNS1_3genE5ELNS1_11target_archE942ELNS1_3gpuE9ELNS1_3repE0EEENS1_30default_config_static_selectorELNS0_4arch9wavefront6targetE1EEEvT1_
		.amdhsa_group_segment_fixed_size 32768
		.amdhsa_private_segment_fixed_size 432
		.amdhsa_kernarg_size 160
		.amdhsa_user_sgpr_count 4
		.amdhsa_user_sgpr_dispatch_ptr 1
		.amdhsa_user_sgpr_queue_ptr 0
		.amdhsa_user_sgpr_kernarg_segment_ptr 1
		.amdhsa_user_sgpr_dispatch_id 0
		.amdhsa_user_sgpr_kernarg_preload_length 0
		.amdhsa_user_sgpr_kernarg_preload_offset 0
		.amdhsa_user_sgpr_private_segment_size 0
		.amdhsa_uses_dynamic_stack 0
		.amdhsa_enable_private_segment 1
		.amdhsa_system_sgpr_workgroup_id_x 1
		.amdhsa_system_sgpr_workgroup_id_y 0
		.amdhsa_system_sgpr_workgroup_id_z 0
		.amdhsa_system_sgpr_workgroup_info 0
		.amdhsa_system_vgpr_workitem_id 2
		.amdhsa_next_free_vgpr 42
		.amdhsa_next_free_sgpr 50
		.amdhsa_accum_offset 44
		.amdhsa_reserve_vcc 1
		.amdhsa_float_round_mode_32 0
		.amdhsa_float_round_mode_16_64 0
		.amdhsa_float_denorm_mode_32 3
		.amdhsa_float_denorm_mode_16_64 3
		.amdhsa_dx10_clamp 1
		.amdhsa_ieee_mode 1
		.amdhsa_fp16_overflow 0
		.amdhsa_tg_split 0
		.amdhsa_exception_fp_ieee_invalid_op 0
		.amdhsa_exception_fp_denorm_src 0
		.amdhsa_exception_fp_ieee_div_zero 0
		.amdhsa_exception_fp_ieee_overflow 0
		.amdhsa_exception_fp_ieee_underflow 0
		.amdhsa_exception_fp_ieee_inexact 0
		.amdhsa_exception_int_div_zero 0
	.end_amdhsa_kernel
	.section	.text._ZN7rocprim17ROCPRIM_400000_NS6detail17trampoline_kernelINS0_14default_configENS1_27scan_by_key_config_selectorIj11FixedVectorIiLj8EEEEZZNS1_16scan_by_key_implILNS1_25lookback_scan_determinismE0ELb1ES3_N6thrust23THRUST_200600_302600_NS6detail15normal_iteratorINSB_10device_ptrIjEEEENSD_INSE_IS6_EEEESI_S6_NSB_4plusIvEENSB_8equal_toIvEES6_EE10hipError_tPvRmT2_T3_T4_T5_mT6_T7_P12ihipStream_tbENKUlT_T0_E_clISt17integral_constantIbLb1EES12_IbLb0EEEEDaSY_SZ_EUlSY_E_NS1_11comp_targetILNS1_3genE5ELNS1_11target_archE942ELNS1_3gpuE9ELNS1_3repE0EEENS1_30default_config_static_selectorELNS0_4arch9wavefront6targetE1EEEvT1_,"axG",@progbits,_ZN7rocprim17ROCPRIM_400000_NS6detail17trampoline_kernelINS0_14default_configENS1_27scan_by_key_config_selectorIj11FixedVectorIiLj8EEEEZZNS1_16scan_by_key_implILNS1_25lookback_scan_determinismE0ELb1ES3_N6thrust23THRUST_200600_302600_NS6detail15normal_iteratorINSB_10device_ptrIjEEEENSD_INSE_IS6_EEEESI_S6_NSB_4plusIvEENSB_8equal_toIvEES6_EE10hipError_tPvRmT2_T3_T4_T5_mT6_T7_P12ihipStream_tbENKUlT_T0_E_clISt17integral_constantIbLb1EES12_IbLb0EEEEDaSY_SZ_EUlSY_E_NS1_11comp_targetILNS1_3genE5ELNS1_11target_archE942ELNS1_3gpuE9ELNS1_3repE0EEENS1_30default_config_static_selectorELNS0_4arch9wavefront6targetE1EEEvT1_,comdat
.Lfunc_end2178:
	.size	_ZN7rocprim17ROCPRIM_400000_NS6detail17trampoline_kernelINS0_14default_configENS1_27scan_by_key_config_selectorIj11FixedVectorIiLj8EEEEZZNS1_16scan_by_key_implILNS1_25lookback_scan_determinismE0ELb1ES3_N6thrust23THRUST_200600_302600_NS6detail15normal_iteratorINSB_10device_ptrIjEEEENSD_INSE_IS6_EEEESI_S6_NSB_4plusIvEENSB_8equal_toIvEES6_EE10hipError_tPvRmT2_T3_T4_T5_mT6_T7_P12ihipStream_tbENKUlT_T0_E_clISt17integral_constantIbLb1EES12_IbLb0EEEEDaSY_SZ_EUlSY_E_NS1_11comp_targetILNS1_3genE5ELNS1_11target_archE942ELNS1_3gpuE9ELNS1_3repE0EEENS1_30default_config_static_selectorELNS0_4arch9wavefront6targetE1EEEvT1_, .Lfunc_end2178-_ZN7rocprim17ROCPRIM_400000_NS6detail17trampoline_kernelINS0_14default_configENS1_27scan_by_key_config_selectorIj11FixedVectorIiLj8EEEEZZNS1_16scan_by_key_implILNS1_25lookback_scan_determinismE0ELb1ES3_N6thrust23THRUST_200600_302600_NS6detail15normal_iteratorINSB_10device_ptrIjEEEENSD_INSE_IS6_EEEESI_S6_NSB_4plusIvEENSB_8equal_toIvEES6_EE10hipError_tPvRmT2_T3_T4_T5_mT6_T7_P12ihipStream_tbENKUlT_T0_E_clISt17integral_constantIbLb1EES12_IbLb0EEEEDaSY_SZ_EUlSY_E_NS1_11comp_targetILNS1_3genE5ELNS1_11target_archE942ELNS1_3gpuE9ELNS1_3repE0EEENS1_30default_config_static_selectorELNS0_4arch9wavefront6targetE1EEEvT1_
                                        ; -- End function
	.section	.AMDGPU.csdata,"",@progbits
; Kernel info:
; codeLenInByte = 20784
; NumSgprs: 56
; NumVgprs: 42
; NumAgprs: 0
; TotalNumVgprs: 42
; ScratchSize: 432
; MemoryBound: 1
; FloatMode: 240
; IeeeMode: 1
; LDSByteSize: 32768 bytes/workgroup (compile time only)
; SGPRBlocks: 6
; VGPRBlocks: 5
; NumSGPRsForWavesPerEU: 56
; NumVGPRsForWavesPerEU: 42
; AccumOffset: 44
; Occupancy: 2
; WaveLimiterHint : 1
; COMPUTE_PGM_RSRC2:SCRATCH_EN: 1
; COMPUTE_PGM_RSRC2:USER_SGPR: 4
; COMPUTE_PGM_RSRC2:TRAP_HANDLER: 0
; COMPUTE_PGM_RSRC2:TGID_X_EN: 1
; COMPUTE_PGM_RSRC2:TGID_Y_EN: 0
; COMPUTE_PGM_RSRC2:TGID_Z_EN: 0
; COMPUTE_PGM_RSRC2:TIDIG_COMP_CNT: 2
; COMPUTE_PGM_RSRC3_GFX90A:ACCUM_OFFSET: 10
; COMPUTE_PGM_RSRC3_GFX90A:TG_SPLIT: 0
	.section	.text._ZN7rocprim17ROCPRIM_400000_NS6detail17trampoline_kernelINS0_14default_configENS1_27scan_by_key_config_selectorIj11FixedVectorIiLj8EEEEZZNS1_16scan_by_key_implILNS1_25lookback_scan_determinismE0ELb1ES3_N6thrust23THRUST_200600_302600_NS6detail15normal_iteratorINSB_10device_ptrIjEEEENSD_INSE_IS6_EEEESI_S6_NSB_4plusIvEENSB_8equal_toIvEES6_EE10hipError_tPvRmT2_T3_T4_T5_mT6_T7_P12ihipStream_tbENKUlT_T0_E_clISt17integral_constantIbLb1EES12_IbLb0EEEEDaSY_SZ_EUlSY_E_NS1_11comp_targetILNS1_3genE4ELNS1_11target_archE910ELNS1_3gpuE8ELNS1_3repE0EEENS1_30default_config_static_selectorELNS0_4arch9wavefront6targetE1EEEvT1_,"axG",@progbits,_ZN7rocprim17ROCPRIM_400000_NS6detail17trampoline_kernelINS0_14default_configENS1_27scan_by_key_config_selectorIj11FixedVectorIiLj8EEEEZZNS1_16scan_by_key_implILNS1_25lookback_scan_determinismE0ELb1ES3_N6thrust23THRUST_200600_302600_NS6detail15normal_iteratorINSB_10device_ptrIjEEEENSD_INSE_IS6_EEEESI_S6_NSB_4plusIvEENSB_8equal_toIvEES6_EE10hipError_tPvRmT2_T3_T4_T5_mT6_T7_P12ihipStream_tbENKUlT_T0_E_clISt17integral_constantIbLb1EES12_IbLb0EEEEDaSY_SZ_EUlSY_E_NS1_11comp_targetILNS1_3genE4ELNS1_11target_archE910ELNS1_3gpuE8ELNS1_3repE0EEENS1_30default_config_static_selectorELNS0_4arch9wavefront6targetE1EEEvT1_,comdat
	.protected	_ZN7rocprim17ROCPRIM_400000_NS6detail17trampoline_kernelINS0_14default_configENS1_27scan_by_key_config_selectorIj11FixedVectorIiLj8EEEEZZNS1_16scan_by_key_implILNS1_25lookback_scan_determinismE0ELb1ES3_N6thrust23THRUST_200600_302600_NS6detail15normal_iteratorINSB_10device_ptrIjEEEENSD_INSE_IS6_EEEESI_S6_NSB_4plusIvEENSB_8equal_toIvEES6_EE10hipError_tPvRmT2_T3_T4_T5_mT6_T7_P12ihipStream_tbENKUlT_T0_E_clISt17integral_constantIbLb1EES12_IbLb0EEEEDaSY_SZ_EUlSY_E_NS1_11comp_targetILNS1_3genE4ELNS1_11target_archE910ELNS1_3gpuE8ELNS1_3repE0EEENS1_30default_config_static_selectorELNS0_4arch9wavefront6targetE1EEEvT1_ ; -- Begin function _ZN7rocprim17ROCPRIM_400000_NS6detail17trampoline_kernelINS0_14default_configENS1_27scan_by_key_config_selectorIj11FixedVectorIiLj8EEEEZZNS1_16scan_by_key_implILNS1_25lookback_scan_determinismE0ELb1ES3_N6thrust23THRUST_200600_302600_NS6detail15normal_iteratorINSB_10device_ptrIjEEEENSD_INSE_IS6_EEEESI_S6_NSB_4plusIvEENSB_8equal_toIvEES6_EE10hipError_tPvRmT2_T3_T4_T5_mT6_T7_P12ihipStream_tbENKUlT_T0_E_clISt17integral_constantIbLb1EES12_IbLb0EEEEDaSY_SZ_EUlSY_E_NS1_11comp_targetILNS1_3genE4ELNS1_11target_archE910ELNS1_3gpuE8ELNS1_3repE0EEENS1_30default_config_static_selectorELNS0_4arch9wavefront6targetE1EEEvT1_
	.globl	_ZN7rocprim17ROCPRIM_400000_NS6detail17trampoline_kernelINS0_14default_configENS1_27scan_by_key_config_selectorIj11FixedVectorIiLj8EEEEZZNS1_16scan_by_key_implILNS1_25lookback_scan_determinismE0ELb1ES3_N6thrust23THRUST_200600_302600_NS6detail15normal_iteratorINSB_10device_ptrIjEEEENSD_INSE_IS6_EEEESI_S6_NSB_4plusIvEENSB_8equal_toIvEES6_EE10hipError_tPvRmT2_T3_T4_T5_mT6_T7_P12ihipStream_tbENKUlT_T0_E_clISt17integral_constantIbLb1EES12_IbLb0EEEEDaSY_SZ_EUlSY_E_NS1_11comp_targetILNS1_3genE4ELNS1_11target_archE910ELNS1_3gpuE8ELNS1_3repE0EEENS1_30default_config_static_selectorELNS0_4arch9wavefront6targetE1EEEvT1_
	.p2align	8
	.type	_ZN7rocprim17ROCPRIM_400000_NS6detail17trampoline_kernelINS0_14default_configENS1_27scan_by_key_config_selectorIj11FixedVectorIiLj8EEEEZZNS1_16scan_by_key_implILNS1_25lookback_scan_determinismE0ELb1ES3_N6thrust23THRUST_200600_302600_NS6detail15normal_iteratorINSB_10device_ptrIjEEEENSD_INSE_IS6_EEEESI_S6_NSB_4plusIvEENSB_8equal_toIvEES6_EE10hipError_tPvRmT2_T3_T4_T5_mT6_T7_P12ihipStream_tbENKUlT_T0_E_clISt17integral_constantIbLb1EES12_IbLb0EEEEDaSY_SZ_EUlSY_E_NS1_11comp_targetILNS1_3genE4ELNS1_11target_archE910ELNS1_3gpuE8ELNS1_3repE0EEENS1_30default_config_static_selectorELNS0_4arch9wavefront6targetE1EEEvT1_,@function
_ZN7rocprim17ROCPRIM_400000_NS6detail17trampoline_kernelINS0_14default_configENS1_27scan_by_key_config_selectorIj11FixedVectorIiLj8EEEEZZNS1_16scan_by_key_implILNS1_25lookback_scan_determinismE0ELb1ES3_N6thrust23THRUST_200600_302600_NS6detail15normal_iteratorINSB_10device_ptrIjEEEENSD_INSE_IS6_EEEESI_S6_NSB_4plusIvEENSB_8equal_toIvEES6_EE10hipError_tPvRmT2_T3_T4_T5_mT6_T7_P12ihipStream_tbENKUlT_T0_E_clISt17integral_constantIbLb1EES12_IbLb0EEEEDaSY_SZ_EUlSY_E_NS1_11comp_targetILNS1_3genE4ELNS1_11target_archE910ELNS1_3gpuE8ELNS1_3repE0EEENS1_30default_config_static_selectorELNS0_4arch9wavefront6targetE1EEEvT1_: ; @_ZN7rocprim17ROCPRIM_400000_NS6detail17trampoline_kernelINS0_14default_configENS1_27scan_by_key_config_selectorIj11FixedVectorIiLj8EEEEZZNS1_16scan_by_key_implILNS1_25lookback_scan_determinismE0ELb1ES3_N6thrust23THRUST_200600_302600_NS6detail15normal_iteratorINSB_10device_ptrIjEEEENSD_INSE_IS6_EEEESI_S6_NSB_4plusIvEENSB_8equal_toIvEES6_EE10hipError_tPvRmT2_T3_T4_T5_mT6_T7_P12ihipStream_tbENKUlT_T0_E_clISt17integral_constantIbLb1EES12_IbLb0EEEEDaSY_SZ_EUlSY_E_NS1_11comp_targetILNS1_3genE4ELNS1_11target_archE910ELNS1_3gpuE8ELNS1_3repE0EEENS1_30default_config_static_selectorELNS0_4arch9wavefront6targetE1EEEvT1_
; %bb.0:
	.section	.rodata,"a",@progbits
	.p2align	6, 0x0
	.amdhsa_kernel _ZN7rocprim17ROCPRIM_400000_NS6detail17trampoline_kernelINS0_14default_configENS1_27scan_by_key_config_selectorIj11FixedVectorIiLj8EEEEZZNS1_16scan_by_key_implILNS1_25lookback_scan_determinismE0ELb1ES3_N6thrust23THRUST_200600_302600_NS6detail15normal_iteratorINSB_10device_ptrIjEEEENSD_INSE_IS6_EEEESI_S6_NSB_4plusIvEENSB_8equal_toIvEES6_EE10hipError_tPvRmT2_T3_T4_T5_mT6_T7_P12ihipStream_tbENKUlT_T0_E_clISt17integral_constantIbLb1EES12_IbLb0EEEEDaSY_SZ_EUlSY_E_NS1_11comp_targetILNS1_3genE4ELNS1_11target_archE910ELNS1_3gpuE8ELNS1_3repE0EEENS1_30default_config_static_selectorELNS0_4arch9wavefront6targetE1EEEvT1_
		.amdhsa_group_segment_fixed_size 0
		.amdhsa_private_segment_fixed_size 0
		.amdhsa_kernarg_size 160
		.amdhsa_user_sgpr_count 2
		.amdhsa_user_sgpr_dispatch_ptr 0
		.amdhsa_user_sgpr_queue_ptr 0
		.amdhsa_user_sgpr_kernarg_segment_ptr 1
		.amdhsa_user_sgpr_dispatch_id 0
		.amdhsa_user_sgpr_kernarg_preload_length 0
		.amdhsa_user_sgpr_kernarg_preload_offset 0
		.amdhsa_user_sgpr_private_segment_size 0
		.amdhsa_uses_dynamic_stack 0
		.amdhsa_enable_private_segment 0
		.amdhsa_system_sgpr_workgroup_id_x 1
		.amdhsa_system_sgpr_workgroup_id_y 0
		.amdhsa_system_sgpr_workgroup_id_z 0
		.amdhsa_system_sgpr_workgroup_info 0
		.amdhsa_system_vgpr_workitem_id 0
		.amdhsa_next_free_vgpr 1
		.amdhsa_next_free_sgpr 0
		.amdhsa_accum_offset 4
		.amdhsa_reserve_vcc 0
		.amdhsa_float_round_mode_32 0
		.amdhsa_float_round_mode_16_64 0
		.amdhsa_float_denorm_mode_32 3
		.amdhsa_float_denorm_mode_16_64 3
		.amdhsa_dx10_clamp 1
		.amdhsa_ieee_mode 1
		.amdhsa_fp16_overflow 0
		.amdhsa_tg_split 0
		.amdhsa_exception_fp_ieee_invalid_op 0
		.amdhsa_exception_fp_denorm_src 0
		.amdhsa_exception_fp_ieee_div_zero 0
		.amdhsa_exception_fp_ieee_overflow 0
		.amdhsa_exception_fp_ieee_underflow 0
		.amdhsa_exception_fp_ieee_inexact 0
		.amdhsa_exception_int_div_zero 0
	.end_amdhsa_kernel
	.section	.text._ZN7rocprim17ROCPRIM_400000_NS6detail17trampoline_kernelINS0_14default_configENS1_27scan_by_key_config_selectorIj11FixedVectorIiLj8EEEEZZNS1_16scan_by_key_implILNS1_25lookback_scan_determinismE0ELb1ES3_N6thrust23THRUST_200600_302600_NS6detail15normal_iteratorINSB_10device_ptrIjEEEENSD_INSE_IS6_EEEESI_S6_NSB_4plusIvEENSB_8equal_toIvEES6_EE10hipError_tPvRmT2_T3_T4_T5_mT6_T7_P12ihipStream_tbENKUlT_T0_E_clISt17integral_constantIbLb1EES12_IbLb0EEEEDaSY_SZ_EUlSY_E_NS1_11comp_targetILNS1_3genE4ELNS1_11target_archE910ELNS1_3gpuE8ELNS1_3repE0EEENS1_30default_config_static_selectorELNS0_4arch9wavefront6targetE1EEEvT1_,"axG",@progbits,_ZN7rocprim17ROCPRIM_400000_NS6detail17trampoline_kernelINS0_14default_configENS1_27scan_by_key_config_selectorIj11FixedVectorIiLj8EEEEZZNS1_16scan_by_key_implILNS1_25lookback_scan_determinismE0ELb1ES3_N6thrust23THRUST_200600_302600_NS6detail15normal_iteratorINSB_10device_ptrIjEEEENSD_INSE_IS6_EEEESI_S6_NSB_4plusIvEENSB_8equal_toIvEES6_EE10hipError_tPvRmT2_T3_T4_T5_mT6_T7_P12ihipStream_tbENKUlT_T0_E_clISt17integral_constantIbLb1EES12_IbLb0EEEEDaSY_SZ_EUlSY_E_NS1_11comp_targetILNS1_3genE4ELNS1_11target_archE910ELNS1_3gpuE8ELNS1_3repE0EEENS1_30default_config_static_selectorELNS0_4arch9wavefront6targetE1EEEvT1_,comdat
.Lfunc_end2179:
	.size	_ZN7rocprim17ROCPRIM_400000_NS6detail17trampoline_kernelINS0_14default_configENS1_27scan_by_key_config_selectorIj11FixedVectorIiLj8EEEEZZNS1_16scan_by_key_implILNS1_25lookback_scan_determinismE0ELb1ES3_N6thrust23THRUST_200600_302600_NS6detail15normal_iteratorINSB_10device_ptrIjEEEENSD_INSE_IS6_EEEESI_S6_NSB_4plusIvEENSB_8equal_toIvEES6_EE10hipError_tPvRmT2_T3_T4_T5_mT6_T7_P12ihipStream_tbENKUlT_T0_E_clISt17integral_constantIbLb1EES12_IbLb0EEEEDaSY_SZ_EUlSY_E_NS1_11comp_targetILNS1_3genE4ELNS1_11target_archE910ELNS1_3gpuE8ELNS1_3repE0EEENS1_30default_config_static_selectorELNS0_4arch9wavefront6targetE1EEEvT1_, .Lfunc_end2179-_ZN7rocprim17ROCPRIM_400000_NS6detail17trampoline_kernelINS0_14default_configENS1_27scan_by_key_config_selectorIj11FixedVectorIiLj8EEEEZZNS1_16scan_by_key_implILNS1_25lookback_scan_determinismE0ELb1ES3_N6thrust23THRUST_200600_302600_NS6detail15normal_iteratorINSB_10device_ptrIjEEEENSD_INSE_IS6_EEEESI_S6_NSB_4plusIvEENSB_8equal_toIvEES6_EE10hipError_tPvRmT2_T3_T4_T5_mT6_T7_P12ihipStream_tbENKUlT_T0_E_clISt17integral_constantIbLb1EES12_IbLb0EEEEDaSY_SZ_EUlSY_E_NS1_11comp_targetILNS1_3genE4ELNS1_11target_archE910ELNS1_3gpuE8ELNS1_3repE0EEENS1_30default_config_static_selectorELNS0_4arch9wavefront6targetE1EEEvT1_
                                        ; -- End function
	.section	.AMDGPU.csdata,"",@progbits
; Kernel info:
; codeLenInByte = 0
; NumSgprs: 6
; NumVgprs: 0
; NumAgprs: 0
; TotalNumVgprs: 0
; ScratchSize: 0
; MemoryBound: 0
; FloatMode: 240
; IeeeMode: 1
; LDSByteSize: 0 bytes/workgroup (compile time only)
; SGPRBlocks: 0
; VGPRBlocks: 0
; NumSGPRsForWavesPerEU: 6
; NumVGPRsForWavesPerEU: 1
; AccumOffset: 4
; Occupancy: 8
; WaveLimiterHint : 0
; COMPUTE_PGM_RSRC2:SCRATCH_EN: 0
; COMPUTE_PGM_RSRC2:USER_SGPR: 2
; COMPUTE_PGM_RSRC2:TRAP_HANDLER: 0
; COMPUTE_PGM_RSRC2:TGID_X_EN: 1
; COMPUTE_PGM_RSRC2:TGID_Y_EN: 0
; COMPUTE_PGM_RSRC2:TGID_Z_EN: 0
; COMPUTE_PGM_RSRC2:TIDIG_COMP_CNT: 0
; COMPUTE_PGM_RSRC3_GFX90A:ACCUM_OFFSET: 0
; COMPUTE_PGM_RSRC3_GFX90A:TG_SPLIT: 0
	.section	.text._ZN7rocprim17ROCPRIM_400000_NS6detail17trampoline_kernelINS0_14default_configENS1_27scan_by_key_config_selectorIj11FixedVectorIiLj8EEEEZZNS1_16scan_by_key_implILNS1_25lookback_scan_determinismE0ELb1ES3_N6thrust23THRUST_200600_302600_NS6detail15normal_iteratorINSB_10device_ptrIjEEEENSD_INSE_IS6_EEEESI_S6_NSB_4plusIvEENSB_8equal_toIvEES6_EE10hipError_tPvRmT2_T3_T4_T5_mT6_T7_P12ihipStream_tbENKUlT_T0_E_clISt17integral_constantIbLb1EES12_IbLb0EEEEDaSY_SZ_EUlSY_E_NS1_11comp_targetILNS1_3genE3ELNS1_11target_archE908ELNS1_3gpuE7ELNS1_3repE0EEENS1_30default_config_static_selectorELNS0_4arch9wavefront6targetE1EEEvT1_,"axG",@progbits,_ZN7rocprim17ROCPRIM_400000_NS6detail17trampoline_kernelINS0_14default_configENS1_27scan_by_key_config_selectorIj11FixedVectorIiLj8EEEEZZNS1_16scan_by_key_implILNS1_25lookback_scan_determinismE0ELb1ES3_N6thrust23THRUST_200600_302600_NS6detail15normal_iteratorINSB_10device_ptrIjEEEENSD_INSE_IS6_EEEESI_S6_NSB_4plusIvEENSB_8equal_toIvEES6_EE10hipError_tPvRmT2_T3_T4_T5_mT6_T7_P12ihipStream_tbENKUlT_T0_E_clISt17integral_constantIbLb1EES12_IbLb0EEEEDaSY_SZ_EUlSY_E_NS1_11comp_targetILNS1_3genE3ELNS1_11target_archE908ELNS1_3gpuE7ELNS1_3repE0EEENS1_30default_config_static_selectorELNS0_4arch9wavefront6targetE1EEEvT1_,comdat
	.protected	_ZN7rocprim17ROCPRIM_400000_NS6detail17trampoline_kernelINS0_14default_configENS1_27scan_by_key_config_selectorIj11FixedVectorIiLj8EEEEZZNS1_16scan_by_key_implILNS1_25lookback_scan_determinismE0ELb1ES3_N6thrust23THRUST_200600_302600_NS6detail15normal_iteratorINSB_10device_ptrIjEEEENSD_INSE_IS6_EEEESI_S6_NSB_4plusIvEENSB_8equal_toIvEES6_EE10hipError_tPvRmT2_T3_T4_T5_mT6_T7_P12ihipStream_tbENKUlT_T0_E_clISt17integral_constantIbLb1EES12_IbLb0EEEEDaSY_SZ_EUlSY_E_NS1_11comp_targetILNS1_3genE3ELNS1_11target_archE908ELNS1_3gpuE7ELNS1_3repE0EEENS1_30default_config_static_selectorELNS0_4arch9wavefront6targetE1EEEvT1_ ; -- Begin function _ZN7rocprim17ROCPRIM_400000_NS6detail17trampoline_kernelINS0_14default_configENS1_27scan_by_key_config_selectorIj11FixedVectorIiLj8EEEEZZNS1_16scan_by_key_implILNS1_25lookback_scan_determinismE0ELb1ES3_N6thrust23THRUST_200600_302600_NS6detail15normal_iteratorINSB_10device_ptrIjEEEENSD_INSE_IS6_EEEESI_S6_NSB_4plusIvEENSB_8equal_toIvEES6_EE10hipError_tPvRmT2_T3_T4_T5_mT6_T7_P12ihipStream_tbENKUlT_T0_E_clISt17integral_constantIbLb1EES12_IbLb0EEEEDaSY_SZ_EUlSY_E_NS1_11comp_targetILNS1_3genE3ELNS1_11target_archE908ELNS1_3gpuE7ELNS1_3repE0EEENS1_30default_config_static_selectorELNS0_4arch9wavefront6targetE1EEEvT1_
	.globl	_ZN7rocprim17ROCPRIM_400000_NS6detail17trampoline_kernelINS0_14default_configENS1_27scan_by_key_config_selectorIj11FixedVectorIiLj8EEEEZZNS1_16scan_by_key_implILNS1_25lookback_scan_determinismE0ELb1ES3_N6thrust23THRUST_200600_302600_NS6detail15normal_iteratorINSB_10device_ptrIjEEEENSD_INSE_IS6_EEEESI_S6_NSB_4plusIvEENSB_8equal_toIvEES6_EE10hipError_tPvRmT2_T3_T4_T5_mT6_T7_P12ihipStream_tbENKUlT_T0_E_clISt17integral_constantIbLb1EES12_IbLb0EEEEDaSY_SZ_EUlSY_E_NS1_11comp_targetILNS1_3genE3ELNS1_11target_archE908ELNS1_3gpuE7ELNS1_3repE0EEENS1_30default_config_static_selectorELNS0_4arch9wavefront6targetE1EEEvT1_
	.p2align	8
	.type	_ZN7rocprim17ROCPRIM_400000_NS6detail17trampoline_kernelINS0_14default_configENS1_27scan_by_key_config_selectorIj11FixedVectorIiLj8EEEEZZNS1_16scan_by_key_implILNS1_25lookback_scan_determinismE0ELb1ES3_N6thrust23THRUST_200600_302600_NS6detail15normal_iteratorINSB_10device_ptrIjEEEENSD_INSE_IS6_EEEESI_S6_NSB_4plusIvEENSB_8equal_toIvEES6_EE10hipError_tPvRmT2_T3_T4_T5_mT6_T7_P12ihipStream_tbENKUlT_T0_E_clISt17integral_constantIbLb1EES12_IbLb0EEEEDaSY_SZ_EUlSY_E_NS1_11comp_targetILNS1_3genE3ELNS1_11target_archE908ELNS1_3gpuE7ELNS1_3repE0EEENS1_30default_config_static_selectorELNS0_4arch9wavefront6targetE1EEEvT1_,@function
_ZN7rocprim17ROCPRIM_400000_NS6detail17trampoline_kernelINS0_14default_configENS1_27scan_by_key_config_selectorIj11FixedVectorIiLj8EEEEZZNS1_16scan_by_key_implILNS1_25lookback_scan_determinismE0ELb1ES3_N6thrust23THRUST_200600_302600_NS6detail15normal_iteratorINSB_10device_ptrIjEEEENSD_INSE_IS6_EEEESI_S6_NSB_4plusIvEENSB_8equal_toIvEES6_EE10hipError_tPvRmT2_T3_T4_T5_mT6_T7_P12ihipStream_tbENKUlT_T0_E_clISt17integral_constantIbLb1EES12_IbLb0EEEEDaSY_SZ_EUlSY_E_NS1_11comp_targetILNS1_3genE3ELNS1_11target_archE908ELNS1_3gpuE7ELNS1_3repE0EEENS1_30default_config_static_selectorELNS0_4arch9wavefront6targetE1EEEvT1_: ; @_ZN7rocprim17ROCPRIM_400000_NS6detail17trampoline_kernelINS0_14default_configENS1_27scan_by_key_config_selectorIj11FixedVectorIiLj8EEEEZZNS1_16scan_by_key_implILNS1_25lookback_scan_determinismE0ELb1ES3_N6thrust23THRUST_200600_302600_NS6detail15normal_iteratorINSB_10device_ptrIjEEEENSD_INSE_IS6_EEEESI_S6_NSB_4plusIvEENSB_8equal_toIvEES6_EE10hipError_tPvRmT2_T3_T4_T5_mT6_T7_P12ihipStream_tbENKUlT_T0_E_clISt17integral_constantIbLb1EES12_IbLb0EEEEDaSY_SZ_EUlSY_E_NS1_11comp_targetILNS1_3genE3ELNS1_11target_archE908ELNS1_3gpuE7ELNS1_3repE0EEENS1_30default_config_static_selectorELNS0_4arch9wavefront6targetE1EEEvT1_
; %bb.0:
	.section	.rodata,"a",@progbits
	.p2align	6, 0x0
	.amdhsa_kernel _ZN7rocprim17ROCPRIM_400000_NS6detail17trampoline_kernelINS0_14default_configENS1_27scan_by_key_config_selectorIj11FixedVectorIiLj8EEEEZZNS1_16scan_by_key_implILNS1_25lookback_scan_determinismE0ELb1ES3_N6thrust23THRUST_200600_302600_NS6detail15normal_iteratorINSB_10device_ptrIjEEEENSD_INSE_IS6_EEEESI_S6_NSB_4plusIvEENSB_8equal_toIvEES6_EE10hipError_tPvRmT2_T3_T4_T5_mT6_T7_P12ihipStream_tbENKUlT_T0_E_clISt17integral_constantIbLb1EES12_IbLb0EEEEDaSY_SZ_EUlSY_E_NS1_11comp_targetILNS1_3genE3ELNS1_11target_archE908ELNS1_3gpuE7ELNS1_3repE0EEENS1_30default_config_static_selectorELNS0_4arch9wavefront6targetE1EEEvT1_
		.amdhsa_group_segment_fixed_size 0
		.amdhsa_private_segment_fixed_size 0
		.amdhsa_kernarg_size 160
		.amdhsa_user_sgpr_count 2
		.amdhsa_user_sgpr_dispatch_ptr 0
		.amdhsa_user_sgpr_queue_ptr 0
		.amdhsa_user_sgpr_kernarg_segment_ptr 1
		.amdhsa_user_sgpr_dispatch_id 0
		.amdhsa_user_sgpr_kernarg_preload_length 0
		.amdhsa_user_sgpr_kernarg_preload_offset 0
		.amdhsa_user_sgpr_private_segment_size 0
		.amdhsa_uses_dynamic_stack 0
		.amdhsa_enable_private_segment 0
		.amdhsa_system_sgpr_workgroup_id_x 1
		.amdhsa_system_sgpr_workgroup_id_y 0
		.amdhsa_system_sgpr_workgroup_id_z 0
		.amdhsa_system_sgpr_workgroup_info 0
		.amdhsa_system_vgpr_workitem_id 0
		.amdhsa_next_free_vgpr 1
		.amdhsa_next_free_sgpr 0
		.amdhsa_accum_offset 4
		.amdhsa_reserve_vcc 0
		.amdhsa_float_round_mode_32 0
		.amdhsa_float_round_mode_16_64 0
		.amdhsa_float_denorm_mode_32 3
		.amdhsa_float_denorm_mode_16_64 3
		.amdhsa_dx10_clamp 1
		.amdhsa_ieee_mode 1
		.amdhsa_fp16_overflow 0
		.amdhsa_tg_split 0
		.amdhsa_exception_fp_ieee_invalid_op 0
		.amdhsa_exception_fp_denorm_src 0
		.amdhsa_exception_fp_ieee_div_zero 0
		.amdhsa_exception_fp_ieee_overflow 0
		.amdhsa_exception_fp_ieee_underflow 0
		.amdhsa_exception_fp_ieee_inexact 0
		.amdhsa_exception_int_div_zero 0
	.end_amdhsa_kernel
	.section	.text._ZN7rocprim17ROCPRIM_400000_NS6detail17trampoline_kernelINS0_14default_configENS1_27scan_by_key_config_selectorIj11FixedVectorIiLj8EEEEZZNS1_16scan_by_key_implILNS1_25lookback_scan_determinismE0ELb1ES3_N6thrust23THRUST_200600_302600_NS6detail15normal_iteratorINSB_10device_ptrIjEEEENSD_INSE_IS6_EEEESI_S6_NSB_4plusIvEENSB_8equal_toIvEES6_EE10hipError_tPvRmT2_T3_T4_T5_mT6_T7_P12ihipStream_tbENKUlT_T0_E_clISt17integral_constantIbLb1EES12_IbLb0EEEEDaSY_SZ_EUlSY_E_NS1_11comp_targetILNS1_3genE3ELNS1_11target_archE908ELNS1_3gpuE7ELNS1_3repE0EEENS1_30default_config_static_selectorELNS0_4arch9wavefront6targetE1EEEvT1_,"axG",@progbits,_ZN7rocprim17ROCPRIM_400000_NS6detail17trampoline_kernelINS0_14default_configENS1_27scan_by_key_config_selectorIj11FixedVectorIiLj8EEEEZZNS1_16scan_by_key_implILNS1_25lookback_scan_determinismE0ELb1ES3_N6thrust23THRUST_200600_302600_NS6detail15normal_iteratorINSB_10device_ptrIjEEEENSD_INSE_IS6_EEEESI_S6_NSB_4plusIvEENSB_8equal_toIvEES6_EE10hipError_tPvRmT2_T3_T4_T5_mT6_T7_P12ihipStream_tbENKUlT_T0_E_clISt17integral_constantIbLb1EES12_IbLb0EEEEDaSY_SZ_EUlSY_E_NS1_11comp_targetILNS1_3genE3ELNS1_11target_archE908ELNS1_3gpuE7ELNS1_3repE0EEENS1_30default_config_static_selectorELNS0_4arch9wavefront6targetE1EEEvT1_,comdat
.Lfunc_end2180:
	.size	_ZN7rocprim17ROCPRIM_400000_NS6detail17trampoline_kernelINS0_14default_configENS1_27scan_by_key_config_selectorIj11FixedVectorIiLj8EEEEZZNS1_16scan_by_key_implILNS1_25lookback_scan_determinismE0ELb1ES3_N6thrust23THRUST_200600_302600_NS6detail15normal_iteratorINSB_10device_ptrIjEEEENSD_INSE_IS6_EEEESI_S6_NSB_4plusIvEENSB_8equal_toIvEES6_EE10hipError_tPvRmT2_T3_T4_T5_mT6_T7_P12ihipStream_tbENKUlT_T0_E_clISt17integral_constantIbLb1EES12_IbLb0EEEEDaSY_SZ_EUlSY_E_NS1_11comp_targetILNS1_3genE3ELNS1_11target_archE908ELNS1_3gpuE7ELNS1_3repE0EEENS1_30default_config_static_selectorELNS0_4arch9wavefront6targetE1EEEvT1_, .Lfunc_end2180-_ZN7rocprim17ROCPRIM_400000_NS6detail17trampoline_kernelINS0_14default_configENS1_27scan_by_key_config_selectorIj11FixedVectorIiLj8EEEEZZNS1_16scan_by_key_implILNS1_25lookback_scan_determinismE0ELb1ES3_N6thrust23THRUST_200600_302600_NS6detail15normal_iteratorINSB_10device_ptrIjEEEENSD_INSE_IS6_EEEESI_S6_NSB_4plusIvEENSB_8equal_toIvEES6_EE10hipError_tPvRmT2_T3_T4_T5_mT6_T7_P12ihipStream_tbENKUlT_T0_E_clISt17integral_constantIbLb1EES12_IbLb0EEEEDaSY_SZ_EUlSY_E_NS1_11comp_targetILNS1_3genE3ELNS1_11target_archE908ELNS1_3gpuE7ELNS1_3repE0EEENS1_30default_config_static_selectorELNS0_4arch9wavefront6targetE1EEEvT1_
                                        ; -- End function
	.section	.AMDGPU.csdata,"",@progbits
; Kernel info:
; codeLenInByte = 0
; NumSgprs: 6
; NumVgprs: 0
; NumAgprs: 0
; TotalNumVgprs: 0
; ScratchSize: 0
; MemoryBound: 0
; FloatMode: 240
; IeeeMode: 1
; LDSByteSize: 0 bytes/workgroup (compile time only)
; SGPRBlocks: 0
; VGPRBlocks: 0
; NumSGPRsForWavesPerEU: 6
; NumVGPRsForWavesPerEU: 1
; AccumOffset: 4
; Occupancy: 8
; WaveLimiterHint : 0
; COMPUTE_PGM_RSRC2:SCRATCH_EN: 0
; COMPUTE_PGM_RSRC2:USER_SGPR: 2
; COMPUTE_PGM_RSRC2:TRAP_HANDLER: 0
; COMPUTE_PGM_RSRC2:TGID_X_EN: 1
; COMPUTE_PGM_RSRC2:TGID_Y_EN: 0
; COMPUTE_PGM_RSRC2:TGID_Z_EN: 0
; COMPUTE_PGM_RSRC2:TIDIG_COMP_CNT: 0
; COMPUTE_PGM_RSRC3_GFX90A:ACCUM_OFFSET: 0
; COMPUTE_PGM_RSRC3_GFX90A:TG_SPLIT: 0
	.section	.text._ZN7rocprim17ROCPRIM_400000_NS6detail17trampoline_kernelINS0_14default_configENS1_27scan_by_key_config_selectorIj11FixedVectorIiLj8EEEEZZNS1_16scan_by_key_implILNS1_25lookback_scan_determinismE0ELb1ES3_N6thrust23THRUST_200600_302600_NS6detail15normal_iteratorINSB_10device_ptrIjEEEENSD_INSE_IS6_EEEESI_S6_NSB_4plusIvEENSB_8equal_toIvEES6_EE10hipError_tPvRmT2_T3_T4_T5_mT6_T7_P12ihipStream_tbENKUlT_T0_E_clISt17integral_constantIbLb1EES12_IbLb0EEEEDaSY_SZ_EUlSY_E_NS1_11comp_targetILNS1_3genE2ELNS1_11target_archE906ELNS1_3gpuE6ELNS1_3repE0EEENS1_30default_config_static_selectorELNS0_4arch9wavefront6targetE1EEEvT1_,"axG",@progbits,_ZN7rocprim17ROCPRIM_400000_NS6detail17trampoline_kernelINS0_14default_configENS1_27scan_by_key_config_selectorIj11FixedVectorIiLj8EEEEZZNS1_16scan_by_key_implILNS1_25lookback_scan_determinismE0ELb1ES3_N6thrust23THRUST_200600_302600_NS6detail15normal_iteratorINSB_10device_ptrIjEEEENSD_INSE_IS6_EEEESI_S6_NSB_4plusIvEENSB_8equal_toIvEES6_EE10hipError_tPvRmT2_T3_T4_T5_mT6_T7_P12ihipStream_tbENKUlT_T0_E_clISt17integral_constantIbLb1EES12_IbLb0EEEEDaSY_SZ_EUlSY_E_NS1_11comp_targetILNS1_3genE2ELNS1_11target_archE906ELNS1_3gpuE6ELNS1_3repE0EEENS1_30default_config_static_selectorELNS0_4arch9wavefront6targetE1EEEvT1_,comdat
	.protected	_ZN7rocprim17ROCPRIM_400000_NS6detail17trampoline_kernelINS0_14default_configENS1_27scan_by_key_config_selectorIj11FixedVectorIiLj8EEEEZZNS1_16scan_by_key_implILNS1_25lookback_scan_determinismE0ELb1ES3_N6thrust23THRUST_200600_302600_NS6detail15normal_iteratorINSB_10device_ptrIjEEEENSD_INSE_IS6_EEEESI_S6_NSB_4plusIvEENSB_8equal_toIvEES6_EE10hipError_tPvRmT2_T3_T4_T5_mT6_T7_P12ihipStream_tbENKUlT_T0_E_clISt17integral_constantIbLb1EES12_IbLb0EEEEDaSY_SZ_EUlSY_E_NS1_11comp_targetILNS1_3genE2ELNS1_11target_archE906ELNS1_3gpuE6ELNS1_3repE0EEENS1_30default_config_static_selectorELNS0_4arch9wavefront6targetE1EEEvT1_ ; -- Begin function _ZN7rocprim17ROCPRIM_400000_NS6detail17trampoline_kernelINS0_14default_configENS1_27scan_by_key_config_selectorIj11FixedVectorIiLj8EEEEZZNS1_16scan_by_key_implILNS1_25lookback_scan_determinismE0ELb1ES3_N6thrust23THRUST_200600_302600_NS6detail15normal_iteratorINSB_10device_ptrIjEEEENSD_INSE_IS6_EEEESI_S6_NSB_4plusIvEENSB_8equal_toIvEES6_EE10hipError_tPvRmT2_T3_T4_T5_mT6_T7_P12ihipStream_tbENKUlT_T0_E_clISt17integral_constantIbLb1EES12_IbLb0EEEEDaSY_SZ_EUlSY_E_NS1_11comp_targetILNS1_3genE2ELNS1_11target_archE906ELNS1_3gpuE6ELNS1_3repE0EEENS1_30default_config_static_selectorELNS0_4arch9wavefront6targetE1EEEvT1_
	.globl	_ZN7rocprim17ROCPRIM_400000_NS6detail17trampoline_kernelINS0_14default_configENS1_27scan_by_key_config_selectorIj11FixedVectorIiLj8EEEEZZNS1_16scan_by_key_implILNS1_25lookback_scan_determinismE0ELb1ES3_N6thrust23THRUST_200600_302600_NS6detail15normal_iteratorINSB_10device_ptrIjEEEENSD_INSE_IS6_EEEESI_S6_NSB_4plusIvEENSB_8equal_toIvEES6_EE10hipError_tPvRmT2_T3_T4_T5_mT6_T7_P12ihipStream_tbENKUlT_T0_E_clISt17integral_constantIbLb1EES12_IbLb0EEEEDaSY_SZ_EUlSY_E_NS1_11comp_targetILNS1_3genE2ELNS1_11target_archE906ELNS1_3gpuE6ELNS1_3repE0EEENS1_30default_config_static_selectorELNS0_4arch9wavefront6targetE1EEEvT1_
	.p2align	8
	.type	_ZN7rocprim17ROCPRIM_400000_NS6detail17trampoline_kernelINS0_14default_configENS1_27scan_by_key_config_selectorIj11FixedVectorIiLj8EEEEZZNS1_16scan_by_key_implILNS1_25lookback_scan_determinismE0ELb1ES3_N6thrust23THRUST_200600_302600_NS6detail15normal_iteratorINSB_10device_ptrIjEEEENSD_INSE_IS6_EEEESI_S6_NSB_4plusIvEENSB_8equal_toIvEES6_EE10hipError_tPvRmT2_T3_T4_T5_mT6_T7_P12ihipStream_tbENKUlT_T0_E_clISt17integral_constantIbLb1EES12_IbLb0EEEEDaSY_SZ_EUlSY_E_NS1_11comp_targetILNS1_3genE2ELNS1_11target_archE906ELNS1_3gpuE6ELNS1_3repE0EEENS1_30default_config_static_selectorELNS0_4arch9wavefront6targetE1EEEvT1_,@function
_ZN7rocprim17ROCPRIM_400000_NS6detail17trampoline_kernelINS0_14default_configENS1_27scan_by_key_config_selectorIj11FixedVectorIiLj8EEEEZZNS1_16scan_by_key_implILNS1_25lookback_scan_determinismE0ELb1ES3_N6thrust23THRUST_200600_302600_NS6detail15normal_iteratorINSB_10device_ptrIjEEEENSD_INSE_IS6_EEEESI_S6_NSB_4plusIvEENSB_8equal_toIvEES6_EE10hipError_tPvRmT2_T3_T4_T5_mT6_T7_P12ihipStream_tbENKUlT_T0_E_clISt17integral_constantIbLb1EES12_IbLb0EEEEDaSY_SZ_EUlSY_E_NS1_11comp_targetILNS1_3genE2ELNS1_11target_archE906ELNS1_3gpuE6ELNS1_3repE0EEENS1_30default_config_static_selectorELNS0_4arch9wavefront6targetE1EEEvT1_: ; @_ZN7rocprim17ROCPRIM_400000_NS6detail17trampoline_kernelINS0_14default_configENS1_27scan_by_key_config_selectorIj11FixedVectorIiLj8EEEEZZNS1_16scan_by_key_implILNS1_25lookback_scan_determinismE0ELb1ES3_N6thrust23THRUST_200600_302600_NS6detail15normal_iteratorINSB_10device_ptrIjEEEENSD_INSE_IS6_EEEESI_S6_NSB_4plusIvEENSB_8equal_toIvEES6_EE10hipError_tPvRmT2_T3_T4_T5_mT6_T7_P12ihipStream_tbENKUlT_T0_E_clISt17integral_constantIbLb1EES12_IbLb0EEEEDaSY_SZ_EUlSY_E_NS1_11comp_targetILNS1_3genE2ELNS1_11target_archE906ELNS1_3gpuE6ELNS1_3repE0EEENS1_30default_config_static_selectorELNS0_4arch9wavefront6targetE1EEEvT1_
; %bb.0:
	.section	.rodata,"a",@progbits
	.p2align	6, 0x0
	.amdhsa_kernel _ZN7rocprim17ROCPRIM_400000_NS6detail17trampoline_kernelINS0_14default_configENS1_27scan_by_key_config_selectorIj11FixedVectorIiLj8EEEEZZNS1_16scan_by_key_implILNS1_25lookback_scan_determinismE0ELb1ES3_N6thrust23THRUST_200600_302600_NS6detail15normal_iteratorINSB_10device_ptrIjEEEENSD_INSE_IS6_EEEESI_S6_NSB_4plusIvEENSB_8equal_toIvEES6_EE10hipError_tPvRmT2_T3_T4_T5_mT6_T7_P12ihipStream_tbENKUlT_T0_E_clISt17integral_constantIbLb1EES12_IbLb0EEEEDaSY_SZ_EUlSY_E_NS1_11comp_targetILNS1_3genE2ELNS1_11target_archE906ELNS1_3gpuE6ELNS1_3repE0EEENS1_30default_config_static_selectorELNS0_4arch9wavefront6targetE1EEEvT1_
		.amdhsa_group_segment_fixed_size 0
		.amdhsa_private_segment_fixed_size 0
		.amdhsa_kernarg_size 160
		.amdhsa_user_sgpr_count 2
		.amdhsa_user_sgpr_dispatch_ptr 0
		.amdhsa_user_sgpr_queue_ptr 0
		.amdhsa_user_sgpr_kernarg_segment_ptr 1
		.amdhsa_user_sgpr_dispatch_id 0
		.amdhsa_user_sgpr_kernarg_preload_length 0
		.amdhsa_user_sgpr_kernarg_preload_offset 0
		.amdhsa_user_sgpr_private_segment_size 0
		.amdhsa_uses_dynamic_stack 0
		.amdhsa_enable_private_segment 0
		.amdhsa_system_sgpr_workgroup_id_x 1
		.amdhsa_system_sgpr_workgroup_id_y 0
		.amdhsa_system_sgpr_workgroup_id_z 0
		.amdhsa_system_sgpr_workgroup_info 0
		.amdhsa_system_vgpr_workitem_id 0
		.amdhsa_next_free_vgpr 1
		.amdhsa_next_free_sgpr 0
		.amdhsa_accum_offset 4
		.amdhsa_reserve_vcc 0
		.amdhsa_float_round_mode_32 0
		.amdhsa_float_round_mode_16_64 0
		.amdhsa_float_denorm_mode_32 3
		.amdhsa_float_denorm_mode_16_64 3
		.amdhsa_dx10_clamp 1
		.amdhsa_ieee_mode 1
		.amdhsa_fp16_overflow 0
		.amdhsa_tg_split 0
		.amdhsa_exception_fp_ieee_invalid_op 0
		.amdhsa_exception_fp_denorm_src 0
		.amdhsa_exception_fp_ieee_div_zero 0
		.amdhsa_exception_fp_ieee_overflow 0
		.amdhsa_exception_fp_ieee_underflow 0
		.amdhsa_exception_fp_ieee_inexact 0
		.amdhsa_exception_int_div_zero 0
	.end_amdhsa_kernel
	.section	.text._ZN7rocprim17ROCPRIM_400000_NS6detail17trampoline_kernelINS0_14default_configENS1_27scan_by_key_config_selectorIj11FixedVectorIiLj8EEEEZZNS1_16scan_by_key_implILNS1_25lookback_scan_determinismE0ELb1ES3_N6thrust23THRUST_200600_302600_NS6detail15normal_iteratorINSB_10device_ptrIjEEEENSD_INSE_IS6_EEEESI_S6_NSB_4plusIvEENSB_8equal_toIvEES6_EE10hipError_tPvRmT2_T3_T4_T5_mT6_T7_P12ihipStream_tbENKUlT_T0_E_clISt17integral_constantIbLb1EES12_IbLb0EEEEDaSY_SZ_EUlSY_E_NS1_11comp_targetILNS1_3genE2ELNS1_11target_archE906ELNS1_3gpuE6ELNS1_3repE0EEENS1_30default_config_static_selectorELNS0_4arch9wavefront6targetE1EEEvT1_,"axG",@progbits,_ZN7rocprim17ROCPRIM_400000_NS6detail17trampoline_kernelINS0_14default_configENS1_27scan_by_key_config_selectorIj11FixedVectorIiLj8EEEEZZNS1_16scan_by_key_implILNS1_25lookback_scan_determinismE0ELb1ES3_N6thrust23THRUST_200600_302600_NS6detail15normal_iteratorINSB_10device_ptrIjEEEENSD_INSE_IS6_EEEESI_S6_NSB_4plusIvEENSB_8equal_toIvEES6_EE10hipError_tPvRmT2_T3_T4_T5_mT6_T7_P12ihipStream_tbENKUlT_T0_E_clISt17integral_constantIbLb1EES12_IbLb0EEEEDaSY_SZ_EUlSY_E_NS1_11comp_targetILNS1_3genE2ELNS1_11target_archE906ELNS1_3gpuE6ELNS1_3repE0EEENS1_30default_config_static_selectorELNS0_4arch9wavefront6targetE1EEEvT1_,comdat
.Lfunc_end2181:
	.size	_ZN7rocprim17ROCPRIM_400000_NS6detail17trampoline_kernelINS0_14default_configENS1_27scan_by_key_config_selectorIj11FixedVectorIiLj8EEEEZZNS1_16scan_by_key_implILNS1_25lookback_scan_determinismE0ELb1ES3_N6thrust23THRUST_200600_302600_NS6detail15normal_iteratorINSB_10device_ptrIjEEEENSD_INSE_IS6_EEEESI_S6_NSB_4plusIvEENSB_8equal_toIvEES6_EE10hipError_tPvRmT2_T3_T4_T5_mT6_T7_P12ihipStream_tbENKUlT_T0_E_clISt17integral_constantIbLb1EES12_IbLb0EEEEDaSY_SZ_EUlSY_E_NS1_11comp_targetILNS1_3genE2ELNS1_11target_archE906ELNS1_3gpuE6ELNS1_3repE0EEENS1_30default_config_static_selectorELNS0_4arch9wavefront6targetE1EEEvT1_, .Lfunc_end2181-_ZN7rocprim17ROCPRIM_400000_NS6detail17trampoline_kernelINS0_14default_configENS1_27scan_by_key_config_selectorIj11FixedVectorIiLj8EEEEZZNS1_16scan_by_key_implILNS1_25lookback_scan_determinismE0ELb1ES3_N6thrust23THRUST_200600_302600_NS6detail15normal_iteratorINSB_10device_ptrIjEEEENSD_INSE_IS6_EEEESI_S6_NSB_4plusIvEENSB_8equal_toIvEES6_EE10hipError_tPvRmT2_T3_T4_T5_mT6_T7_P12ihipStream_tbENKUlT_T0_E_clISt17integral_constantIbLb1EES12_IbLb0EEEEDaSY_SZ_EUlSY_E_NS1_11comp_targetILNS1_3genE2ELNS1_11target_archE906ELNS1_3gpuE6ELNS1_3repE0EEENS1_30default_config_static_selectorELNS0_4arch9wavefront6targetE1EEEvT1_
                                        ; -- End function
	.section	.AMDGPU.csdata,"",@progbits
; Kernel info:
; codeLenInByte = 0
; NumSgprs: 6
; NumVgprs: 0
; NumAgprs: 0
; TotalNumVgprs: 0
; ScratchSize: 0
; MemoryBound: 0
; FloatMode: 240
; IeeeMode: 1
; LDSByteSize: 0 bytes/workgroup (compile time only)
; SGPRBlocks: 0
; VGPRBlocks: 0
; NumSGPRsForWavesPerEU: 6
; NumVGPRsForWavesPerEU: 1
; AccumOffset: 4
; Occupancy: 8
; WaveLimiterHint : 0
; COMPUTE_PGM_RSRC2:SCRATCH_EN: 0
; COMPUTE_PGM_RSRC2:USER_SGPR: 2
; COMPUTE_PGM_RSRC2:TRAP_HANDLER: 0
; COMPUTE_PGM_RSRC2:TGID_X_EN: 1
; COMPUTE_PGM_RSRC2:TGID_Y_EN: 0
; COMPUTE_PGM_RSRC2:TGID_Z_EN: 0
; COMPUTE_PGM_RSRC2:TIDIG_COMP_CNT: 0
; COMPUTE_PGM_RSRC3_GFX90A:ACCUM_OFFSET: 0
; COMPUTE_PGM_RSRC3_GFX90A:TG_SPLIT: 0
	.section	.text._ZN7rocprim17ROCPRIM_400000_NS6detail17trampoline_kernelINS0_14default_configENS1_27scan_by_key_config_selectorIj11FixedVectorIiLj8EEEEZZNS1_16scan_by_key_implILNS1_25lookback_scan_determinismE0ELb1ES3_N6thrust23THRUST_200600_302600_NS6detail15normal_iteratorINSB_10device_ptrIjEEEENSD_INSE_IS6_EEEESI_S6_NSB_4plusIvEENSB_8equal_toIvEES6_EE10hipError_tPvRmT2_T3_T4_T5_mT6_T7_P12ihipStream_tbENKUlT_T0_E_clISt17integral_constantIbLb1EES12_IbLb0EEEEDaSY_SZ_EUlSY_E_NS1_11comp_targetILNS1_3genE10ELNS1_11target_archE1200ELNS1_3gpuE4ELNS1_3repE0EEENS1_30default_config_static_selectorELNS0_4arch9wavefront6targetE1EEEvT1_,"axG",@progbits,_ZN7rocprim17ROCPRIM_400000_NS6detail17trampoline_kernelINS0_14default_configENS1_27scan_by_key_config_selectorIj11FixedVectorIiLj8EEEEZZNS1_16scan_by_key_implILNS1_25lookback_scan_determinismE0ELb1ES3_N6thrust23THRUST_200600_302600_NS6detail15normal_iteratorINSB_10device_ptrIjEEEENSD_INSE_IS6_EEEESI_S6_NSB_4plusIvEENSB_8equal_toIvEES6_EE10hipError_tPvRmT2_T3_T4_T5_mT6_T7_P12ihipStream_tbENKUlT_T0_E_clISt17integral_constantIbLb1EES12_IbLb0EEEEDaSY_SZ_EUlSY_E_NS1_11comp_targetILNS1_3genE10ELNS1_11target_archE1200ELNS1_3gpuE4ELNS1_3repE0EEENS1_30default_config_static_selectorELNS0_4arch9wavefront6targetE1EEEvT1_,comdat
	.protected	_ZN7rocprim17ROCPRIM_400000_NS6detail17trampoline_kernelINS0_14default_configENS1_27scan_by_key_config_selectorIj11FixedVectorIiLj8EEEEZZNS1_16scan_by_key_implILNS1_25lookback_scan_determinismE0ELb1ES3_N6thrust23THRUST_200600_302600_NS6detail15normal_iteratorINSB_10device_ptrIjEEEENSD_INSE_IS6_EEEESI_S6_NSB_4plusIvEENSB_8equal_toIvEES6_EE10hipError_tPvRmT2_T3_T4_T5_mT6_T7_P12ihipStream_tbENKUlT_T0_E_clISt17integral_constantIbLb1EES12_IbLb0EEEEDaSY_SZ_EUlSY_E_NS1_11comp_targetILNS1_3genE10ELNS1_11target_archE1200ELNS1_3gpuE4ELNS1_3repE0EEENS1_30default_config_static_selectorELNS0_4arch9wavefront6targetE1EEEvT1_ ; -- Begin function _ZN7rocprim17ROCPRIM_400000_NS6detail17trampoline_kernelINS0_14default_configENS1_27scan_by_key_config_selectorIj11FixedVectorIiLj8EEEEZZNS1_16scan_by_key_implILNS1_25lookback_scan_determinismE0ELb1ES3_N6thrust23THRUST_200600_302600_NS6detail15normal_iteratorINSB_10device_ptrIjEEEENSD_INSE_IS6_EEEESI_S6_NSB_4plusIvEENSB_8equal_toIvEES6_EE10hipError_tPvRmT2_T3_T4_T5_mT6_T7_P12ihipStream_tbENKUlT_T0_E_clISt17integral_constantIbLb1EES12_IbLb0EEEEDaSY_SZ_EUlSY_E_NS1_11comp_targetILNS1_3genE10ELNS1_11target_archE1200ELNS1_3gpuE4ELNS1_3repE0EEENS1_30default_config_static_selectorELNS0_4arch9wavefront6targetE1EEEvT1_
	.globl	_ZN7rocprim17ROCPRIM_400000_NS6detail17trampoline_kernelINS0_14default_configENS1_27scan_by_key_config_selectorIj11FixedVectorIiLj8EEEEZZNS1_16scan_by_key_implILNS1_25lookback_scan_determinismE0ELb1ES3_N6thrust23THRUST_200600_302600_NS6detail15normal_iteratorINSB_10device_ptrIjEEEENSD_INSE_IS6_EEEESI_S6_NSB_4plusIvEENSB_8equal_toIvEES6_EE10hipError_tPvRmT2_T3_T4_T5_mT6_T7_P12ihipStream_tbENKUlT_T0_E_clISt17integral_constantIbLb1EES12_IbLb0EEEEDaSY_SZ_EUlSY_E_NS1_11comp_targetILNS1_3genE10ELNS1_11target_archE1200ELNS1_3gpuE4ELNS1_3repE0EEENS1_30default_config_static_selectorELNS0_4arch9wavefront6targetE1EEEvT1_
	.p2align	8
	.type	_ZN7rocprim17ROCPRIM_400000_NS6detail17trampoline_kernelINS0_14default_configENS1_27scan_by_key_config_selectorIj11FixedVectorIiLj8EEEEZZNS1_16scan_by_key_implILNS1_25lookback_scan_determinismE0ELb1ES3_N6thrust23THRUST_200600_302600_NS6detail15normal_iteratorINSB_10device_ptrIjEEEENSD_INSE_IS6_EEEESI_S6_NSB_4plusIvEENSB_8equal_toIvEES6_EE10hipError_tPvRmT2_T3_T4_T5_mT6_T7_P12ihipStream_tbENKUlT_T0_E_clISt17integral_constantIbLb1EES12_IbLb0EEEEDaSY_SZ_EUlSY_E_NS1_11comp_targetILNS1_3genE10ELNS1_11target_archE1200ELNS1_3gpuE4ELNS1_3repE0EEENS1_30default_config_static_selectorELNS0_4arch9wavefront6targetE1EEEvT1_,@function
_ZN7rocprim17ROCPRIM_400000_NS6detail17trampoline_kernelINS0_14default_configENS1_27scan_by_key_config_selectorIj11FixedVectorIiLj8EEEEZZNS1_16scan_by_key_implILNS1_25lookback_scan_determinismE0ELb1ES3_N6thrust23THRUST_200600_302600_NS6detail15normal_iteratorINSB_10device_ptrIjEEEENSD_INSE_IS6_EEEESI_S6_NSB_4plusIvEENSB_8equal_toIvEES6_EE10hipError_tPvRmT2_T3_T4_T5_mT6_T7_P12ihipStream_tbENKUlT_T0_E_clISt17integral_constantIbLb1EES12_IbLb0EEEEDaSY_SZ_EUlSY_E_NS1_11comp_targetILNS1_3genE10ELNS1_11target_archE1200ELNS1_3gpuE4ELNS1_3repE0EEENS1_30default_config_static_selectorELNS0_4arch9wavefront6targetE1EEEvT1_: ; @_ZN7rocprim17ROCPRIM_400000_NS6detail17trampoline_kernelINS0_14default_configENS1_27scan_by_key_config_selectorIj11FixedVectorIiLj8EEEEZZNS1_16scan_by_key_implILNS1_25lookback_scan_determinismE0ELb1ES3_N6thrust23THRUST_200600_302600_NS6detail15normal_iteratorINSB_10device_ptrIjEEEENSD_INSE_IS6_EEEESI_S6_NSB_4plusIvEENSB_8equal_toIvEES6_EE10hipError_tPvRmT2_T3_T4_T5_mT6_T7_P12ihipStream_tbENKUlT_T0_E_clISt17integral_constantIbLb1EES12_IbLb0EEEEDaSY_SZ_EUlSY_E_NS1_11comp_targetILNS1_3genE10ELNS1_11target_archE1200ELNS1_3gpuE4ELNS1_3repE0EEENS1_30default_config_static_selectorELNS0_4arch9wavefront6targetE1EEEvT1_
; %bb.0:
	.section	.rodata,"a",@progbits
	.p2align	6, 0x0
	.amdhsa_kernel _ZN7rocprim17ROCPRIM_400000_NS6detail17trampoline_kernelINS0_14default_configENS1_27scan_by_key_config_selectorIj11FixedVectorIiLj8EEEEZZNS1_16scan_by_key_implILNS1_25lookback_scan_determinismE0ELb1ES3_N6thrust23THRUST_200600_302600_NS6detail15normal_iteratorINSB_10device_ptrIjEEEENSD_INSE_IS6_EEEESI_S6_NSB_4plusIvEENSB_8equal_toIvEES6_EE10hipError_tPvRmT2_T3_T4_T5_mT6_T7_P12ihipStream_tbENKUlT_T0_E_clISt17integral_constantIbLb1EES12_IbLb0EEEEDaSY_SZ_EUlSY_E_NS1_11comp_targetILNS1_3genE10ELNS1_11target_archE1200ELNS1_3gpuE4ELNS1_3repE0EEENS1_30default_config_static_selectorELNS0_4arch9wavefront6targetE1EEEvT1_
		.amdhsa_group_segment_fixed_size 0
		.amdhsa_private_segment_fixed_size 0
		.amdhsa_kernarg_size 160
		.amdhsa_user_sgpr_count 2
		.amdhsa_user_sgpr_dispatch_ptr 0
		.amdhsa_user_sgpr_queue_ptr 0
		.amdhsa_user_sgpr_kernarg_segment_ptr 1
		.amdhsa_user_sgpr_dispatch_id 0
		.amdhsa_user_sgpr_kernarg_preload_length 0
		.amdhsa_user_sgpr_kernarg_preload_offset 0
		.amdhsa_user_sgpr_private_segment_size 0
		.amdhsa_uses_dynamic_stack 0
		.amdhsa_enable_private_segment 0
		.amdhsa_system_sgpr_workgroup_id_x 1
		.amdhsa_system_sgpr_workgroup_id_y 0
		.amdhsa_system_sgpr_workgroup_id_z 0
		.amdhsa_system_sgpr_workgroup_info 0
		.amdhsa_system_vgpr_workitem_id 0
		.amdhsa_next_free_vgpr 1
		.amdhsa_next_free_sgpr 0
		.amdhsa_accum_offset 4
		.amdhsa_reserve_vcc 0
		.amdhsa_float_round_mode_32 0
		.amdhsa_float_round_mode_16_64 0
		.amdhsa_float_denorm_mode_32 3
		.amdhsa_float_denorm_mode_16_64 3
		.amdhsa_dx10_clamp 1
		.amdhsa_ieee_mode 1
		.amdhsa_fp16_overflow 0
		.amdhsa_tg_split 0
		.amdhsa_exception_fp_ieee_invalid_op 0
		.amdhsa_exception_fp_denorm_src 0
		.amdhsa_exception_fp_ieee_div_zero 0
		.amdhsa_exception_fp_ieee_overflow 0
		.amdhsa_exception_fp_ieee_underflow 0
		.amdhsa_exception_fp_ieee_inexact 0
		.amdhsa_exception_int_div_zero 0
	.end_amdhsa_kernel
	.section	.text._ZN7rocprim17ROCPRIM_400000_NS6detail17trampoline_kernelINS0_14default_configENS1_27scan_by_key_config_selectorIj11FixedVectorIiLj8EEEEZZNS1_16scan_by_key_implILNS1_25lookback_scan_determinismE0ELb1ES3_N6thrust23THRUST_200600_302600_NS6detail15normal_iteratorINSB_10device_ptrIjEEEENSD_INSE_IS6_EEEESI_S6_NSB_4plusIvEENSB_8equal_toIvEES6_EE10hipError_tPvRmT2_T3_T4_T5_mT6_T7_P12ihipStream_tbENKUlT_T0_E_clISt17integral_constantIbLb1EES12_IbLb0EEEEDaSY_SZ_EUlSY_E_NS1_11comp_targetILNS1_3genE10ELNS1_11target_archE1200ELNS1_3gpuE4ELNS1_3repE0EEENS1_30default_config_static_selectorELNS0_4arch9wavefront6targetE1EEEvT1_,"axG",@progbits,_ZN7rocprim17ROCPRIM_400000_NS6detail17trampoline_kernelINS0_14default_configENS1_27scan_by_key_config_selectorIj11FixedVectorIiLj8EEEEZZNS1_16scan_by_key_implILNS1_25lookback_scan_determinismE0ELb1ES3_N6thrust23THRUST_200600_302600_NS6detail15normal_iteratorINSB_10device_ptrIjEEEENSD_INSE_IS6_EEEESI_S6_NSB_4plusIvEENSB_8equal_toIvEES6_EE10hipError_tPvRmT2_T3_T4_T5_mT6_T7_P12ihipStream_tbENKUlT_T0_E_clISt17integral_constantIbLb1EES12_IbLb0EEEEDaSY_SZ_EUlSY_E_NS1_11comp_targetILNS1_3genE10ELNS1_11target_archE1200ELNS1_3gpuE4ELNS1_3repE0EEENS1_30default_config_static_selectorELNS0_4arch9wavefront6targetE1EEEvT1_,comdat
.Lfunc_end2182:
	.size	_ZN7rocprim17ROCPRIM_400000_NS6detail17trampoline_kernelINS0_14default_configENS1_27scan_by_key_config_selectorIj11FixedVectorIiLj8EEEEZZNS1_16scan_by_key_implILNS1_25lookback_scan_determinismE0ELb1ES3_N6thrust23THRUST_200600_302600_NS6detail15normal_iteratorINSB_10device_ptrIjEEEENSD_INSE_IS6_EEEESI_S6_NSB_4plusIvEENSB_8equal_toIvEES6_EE10hipError_tPvRmT2_T3_T4_T5_mT6_T7_P12ihipStream_tbENKUlT_T0_E_clISt17integral_constantIbLb1EES12_IbLb0EEEEDaSY_SZ_EUlSY_E_NS1_11comp_targetILNS1_3genE10ELNS1_11target_archE1200ELNS1_3gpuE4ELNS1_3repE0EEENS1_30default_config_static_selectorELNS0_4arch9wavefront6targetE1EEEvT1_, .Lfunc_end2182-_ZN7rocprim17ROCPRIM_400000_NS6detail17trampoline_kernelINS0_14default_configENS1_27scan_by_key_config_selectorIj11FixedVectorIiLj8EEEEZZNS1_16scan_by_key_implILNS1_25lookback_scan_determinismE0ELb1ES3_N6thrust23THRUST_200600_302600_NS6detail15normal_iteratorINSB_10device_ptrIjEEEENSD_INSE_IS6_EEEESI_S6_NSB_4plusIvEENSB_8equal_toIvEES6_EE10hipError_tPvRmT2_T3_T4_T5_mT6_T7_P12ihipStream_tbENKUlT_T0_E_clISt17integral_constantIbLb1EES12_IbLb0EEEEDaSY_SZ_EUlSY_E_NS1_11comp_targetILNS1_3genE10ELNS1_11target_archE1200ELNS1_3gpuE4ELNS1_3repE0EEENS1_30default_config_static_selectorELNS0_4arch9wavefront6targetE1EEEvT1_
                                        ; -- End function
	.section	.AMDGPU.csdata,"",@progbits
; Kernel info:
; codeLenInByte = 0
; NumSgprs: 6
; NumVgprs: 0
; NumAgprs: 0
; TotalNumVgprs: 0
; ScratchSize: 0
; MemoryBound: 0
; FloatMode: 240
; IeeeMode: 1
; LDSByteSize: 0 bytes/workgroup (compile time only)
; SGPRBlocks: 0
; VGPRBlocks: 0
; NumSGPRsForWavesPerEU: 6
; NumVGPRsForWavesPerEU: 1
; AccumOffset: 4
; Occupancy: 8
; WaveLimiterHint : 0
; COMPUTE_PGM_RSRC2:SCRATCH_EN: 0
; COMPUTE_PGM_RSRC2:USER_SGPR: 2
; COMPUTE_PGM_RSRC2:TRAP_HANDLER: 0
; COMPUTE_PGM_RSRC2:TGID_X_EN: 1
; COMPUTE_PGM_RSRC2:TGID_Y_EN: 0
; COMPUTE_PGM_RSRC2:TGID_Z_EN: 0
; COMPUTE_PGM_RSRC2:TIDIG_COMP_CNT: 0
; COMPUTE_PGM_RSRC3_GFX90A:ACCUM_OFFSET: 0
; COMPUTE_PGM_RSRC3_GFX90A:TG_SPLIT: 0
	.section	.text._ZN7rocprim17ROCPRIM_400000_NS6detail17trampoline_kernelINS0_14default_configENS1_27scan_by_key_config_selectorIj11FixedVectorIiLj8EEEEZZNS1_16scan_by_key_implILNS1_25lookback_scan_determinismE0ELb1ES3_N6thrust23THRUST_200600_302600_NS6detail15normal_iteratorINSB_10device_ptrIjEEEENSD_INSE_IS6_EEEESI_S6_NSB_4plusIvEENSB_8equal_toIvEES6_EE10hipError_tPvRmT2_T3_T4_T5_mT6_T7_P12ihipStream_tbENKUlT_T0_E_clISt17integral_constantIbLb1EES12_IbLb0EEEEDaSY_SZ_EUlSY_E_NS1_11comp_targetILNS1_3genE9ELNS1_11target_archE1100ELNS1_3gpuE3ELNS1_3repE0EEENS1_30default_config_static_selectorELNS0_4arch9wavefront6targetE1EEEvT1_,"axG",@progbits,_ZN7rocprim17ROCPRIM_400000_NS6detail17trampoline_kernelINS0_14default_configENS1_27scan_by_key_config_selectorIj11FixedVectorIiLj8EEEEZZNS1_16scan_by_key_implILNS1_25lookback_scan_determinismE0ELb1ES3_N6thrust23THRUST_200600_302600_NS6detail15normal_iteratorINSB_10device_ptrIjEEEENSD_INSE_IS6_EEEESI_S6_NSB_4plusIvEENSB_8equal_toIvEES6_EE10hipError_tPvRmT2_T3_T4_T5_mT6_T7_P12ihipStream_tbENKUlT_T0_E_clISt17integral_constantIbLb1EES12_IbLb0EEEEDaSY_SZ_EUlSY_E_NS1_11comp_targetILNS1_3genE9ELNS1_11target_archE1100ELNS1_3gpuE3ELNS1_3repE0EEENS1_30default_config_static_selectorELNS0_4arch9wavefront6targetE1EEEvT1_,comdat
	.protected	_ZN7rocprim17ROCPRIM_400000_NS6detail17trampoline_kernelINS0_14default_configENS1_27scan_by_key_config_selectorIj11FixedVectorIiLj8EEEEZZNS1_16scan_by_key_implILNS1_25lookback_scan_determinismE0ELb1ES3_N6thrust23THRUST_200600_302600_NS6detail15normal_iteratorINSB_10device_ptrIjEEEENSD_INSE_IS6_EEEESI_S6_NSB_4plusIvEENSB_8equal_toIvEES6_EE10hipError_tPvRmT2_T3_T4_T5_mT6_T7_P12ihipStream_tbENKUlT_T0_E_clISt17integral_constantIbLb1EES12_IbLb0EEEEDaSY_SZ_EUlSY_E_NS1_11comp_targetILNS1_3genE9ELNS1_11target_archE1100ELNS1_3gpuE3ELNS1_3repE0EEENS1_30default_config_static_selectorELNS0_4arch9wavefront6targetE1EEEvT1_ ; -- Begin function _ZN7rocprim17ROCPRIM_400000_NS6detail17trampoline_kernelINS0_14default_configENS1_27scan_by_key_config_selectorIj11FixedVectorIiLj8EEEEZZNS1_16scan_by_key_implILNS1_25lookback_scan_determinismE0ELb1ES3_N6thrust23THRUST_200600_302600_NS6detail15normal_iteratorINSB_10device_ptrIjEEEENSD_INSE_IS6_EEEESI_S6_NSB_4plusIvEENSB_8equal_toIvEES6_EE10hipError_tPvRmT2_T3_T4_T5_mT6_T7_P12ihipStream_tbENKUlT_T0_E_clISt17integral_constantIbLb1EES12_IbLb0EEEEDaSY_SZ_EUlSY_E_NS1_11comp_targetILNS1_3genE9ELNS1_11target_archE1100ELNS1_3gpuE3ELNS1_3repE0EEENS1_30default_config_static_selectorELNS0_4arch9wavefront6targetE1EEEvT1_
	.globl	_ZN7rocprim17ROCPRIM_400000_NS6detail17trampoline_kernelINS0_14default_configENS1_27scan_by_key_config_selectorIj11FixedVectorIiLj8EEEEZZNS1_16scan_by_key_implILNS1_25lookback_scan_determinismE0ELb1ES3_N6thrust23THRUST_200600_302600_NS6detail15normal_iteratorINSB_10device_ptrIjEEEENSD_INSE_IS6_EEEESI_S6_NSB_4plusIvEENSB_8equal_toIvEES6_EE10hipError_tPvRmT2_T3_T4_T5_mT6_T7_P12ihipStream_tbENKUlT_T0_E_clISt17integral_constantIbLb1EES12_IbLb0EEEEDaSY_SZ_EUlSY_E_NS1_11comp_targetILNS1_3genE9ELNS1_11target_archE1100ELNS1_3gpuE3ELNS1_3repE0EEENS1_30default_config_static_selectorELNS0_4arch9wavefront6targetE1EEEvT1_
	.p2align	8
	.type	_ZN7rocprim17ROCPRIM_400000_NS6detail17trampoline_kernelINS0_14default_configENS1_27scan_by_key_config_selectorIj11FixedVectorIiLj8EEEEZZNS1_16scan_by_key_implILNS1_25lookback_scan_determinismE0ELb1ES3_N6thrust23THRUST_200600_302600_NS6detail15normal_iteratorINSB_10device_ptrIjEEEENSD_INSE_IS6_EEEESI_S6_NSB_4plusIvEENSB_8equal_toIvEES6_EE10hipError_tPvRmT2_T3_T4_T5_mT6_T7_P12ihipStream_tbENKUlT_T0_E_clISt17integral_constantIbLb1EES12_IbLb0EEEEDaSY_SZ_EUlSY_E_NS1_11comp_targetILNS1_3genE9ELNS1_11target_archE1100ELNS1_3gpuE3ELNS1_3repE0EEENS1_30default_config_static_selectorELNS0_4arch9wavefront6targetE1EEEvT1_,@function
_ZN7rocprim17ROCPRIM_400000_NS6detail17trampoline_kernelINS0_14default_configENS1_27scan_by_key_config_selectorIj11FixedVectorIiLj8EEEEZZNS1_16scan_by_key_implILNS1_25lookback_scan_determinismE0ELb1ES3_N6thrust23THRUST_200600_302600_NS6detail15normal_iteratorINSB_10device_ptrIjEEEENSD_INSE_IS6_EEEESI_S6_NSB_4plusIvEENSB_8equal_toIvEES6_EE10hipError_tPvRmT2_T3_T4_T5_mT6_T7_P12ihipStream_tbENKUlT_T0_E_clISt17integral_constantIbLb1EES12_IbLb0EEEEDaSY_SZ_EUlSY_E_NS1_11comp_targetILNS1_3genE9ELNS1_11target_archE1100ELNS1_3gpuE3ELNS1_3repE0EEENS1_30default_config_static_selectorELNS0_4arch9wavefront6targetE1EEEvT1_: ; @_ZN7rocprim17ROCPRIM_400000_NS6detail17trampoline_kernelINS0_14default_configENS1_27scan_by_key_config_selectorIj11FixedVectorIiLj8EEEEZZNS1_16scan_by_key_implILNS1_25lookback_scan_determinismE0ELb1ES3_N6thrust23THRUST_200600_302600_NS6detail15normal_iteratorINSB_10device_ptrIjEEEENSD_INSE_IS6_EEEESI_S6_NSB_4plusIvEENSB_8equal_toIvEES6_EE10hipError_tPvRmT2_T3_T4_T5_mT6_T7_P12ihipStream_tbENKUlT_T0_E_clISt17integral_constantIbLb1EES12_IbLb0EEEEDaSY_SZ_EUlSY_E_NS1_11comp_targetILNS1_3genE9ELNS1_11target_archE1100ELNS1_3gpuE3ELNS1_3repE0EEENS1_30default_config_static_selectorELNS0_4arch9wavefront6targetE1EEEvT1_
; %bb.0:
	.section	.rodata,"a",@progbits
	.p2align	6, 0x0
	.amdhsa_kernel _ZN7rocprim17ROCPRIM_400000_NS6detail17trampoline_kernelINS0_14default_configENS1_27scan_by_key_config_selectorIj11FixedVectorIiLj8EEEEZZNS1_16scan_by_key_implILNS1_25lookback_scan_determinismE0ELb1ES3_N6thrust23THRUST_200600_302600_NS6detail15normal_iteratorINSB_10device_ptrIjEEEENSD_INSE_IS6_EEEESI_S6_NSB_4plusIvEENSB_8equal_toIvEES6_EE10hipError_tPvRmT2_T3_T4_T5_mT6_T7_P12ihipStream_tbENKUlT_T0_E_clISt17integral_constantIbLb1EES12_IbLb0EEEEDaSY_SZ_EUlSY_E_NS1_11comp_targetILNS1_3genE9ELNS1_11target_archE1100ELNS1_3gpuE3ELNS1_3repE0EEENS1_30default_config_static_selectorELNS0_4arch9wavefront6targetE1EEEvT1_
		.amdhsa_group_segment_fixed_size 0
		.amdhsa_private_segment_fixed_size 0
		.amdhsa_kernarg_size 160
		.amdhsa_user_sgpr_count 2
		.amdhsa_user_sgpr_dispatch_ptr 0
		.amdhsa_user_sgpr_queue_ptr 0
		.amdhsa_user_sgpr_kernarg_segment_ptr 1
		.amdhsa_user_sgpr_dispatch_id 0
		.amdhsa_user_sgpr_kernarg_preload_length 0
		.amdhsa_user_sgpr_kernarg_preload_offset 0
		.amdhsa_user_sgpr_private_segment_size 0
		.amdhsa_uses_dynamic_stack 0
		.amdhsa_enable_private_segment 0
		.amdhsa_system_sgpr_workgroup_id_x 1
		.amdhsa_system_sgpr_workgroup_id_y 0
		.amdhsa_system_sgpr_workgroup_id_z 0
		.amdhsa_system_sgpr_workgroup_info 0
		.amdhsa_system_vgpr_workitem_id 0
		.amdhsa_next_free_vgpr 1
		.amdhsa_next_free_sgpr 0
		.amdhsa_accum_offset 4
		.amdhsa_reserve_vcc 0
		.amdhsa_float_round_mode_32 0
		.amdhsa_float_round_mode_16_64 0
		.amdhsa_float_denorm_mode_32 3
		.amdhsa_float_denorm_mode_16_64 3
		.amdhsa_dx10_clamp 1
		.amdhsa_ieee_mode 1
		.amdhsa_fp16_overflow 0
		.amdhsa_tg_split 0
		.amdhsa_exception_fp_ieee_invalid_op 0
		.amdhsa_exception_fp_denorm_src 0
		.amdhsa_exception_fp_ieee_div_zero 0
		.amdhsa_exception_fp_ieee_overflow 0
		.amdhsa_exception_fp_ieee_underflow 0
		.amdhsa_exception_fp_ieee_inexact 0
		.amdhsa_exception_int_div_zero 0
	.end_amdhsa_kernel
	.section	.text._ZN7rocprim17ROCPRIM_400000_NS6detail17trampoline_kernelINS0_14default_configENS1_27scan_by_key_config_selectorIj11FixedVectorIiLj8EEEEZZNS1_16scan_by_key_implILNS1_25lookback_scan_determinismE0ELb1ES3_N6thrust23THRUST_200600_302600_NS6detail15normal_iteratorINSB_10device_ptrIjEEEENSD_INSE_IS6_EEEESI_S6_NSB_4plusIvEENSB_8equal_toIvEES6_EE10hipError_tPvRmT2_T3_T4_T5_mT6_T7_P12ihipStream_tbENKUlT_T0_E_clISt17integral_constantIbLb1EES12_IbLb0EEEEDaSY_SZ_EUlSY_E_NS1_11comp_targetILNS1_3genE9ELNS1_11target_archE1100ELNS1_3gpuE3ELNS1_3repE0EEENS1_30default_config_static_selectorELNS0_4arch9wavefront6targetE1EEEvT1_,"axG",@progbits,_ZN7rocprim17ROCPRIM_400000_NS6detail17trampoline_kernelINS0_14default_configENS1_27scan_by_key_config_selectorIj11FixedVectorIiLj8EEEEZZNS1_16scan_by_key_implILNS1_25lookback_scan_determinismE0ELb1ES3_N6thrust23THRUST_200600_302600_NS6detail15normal_iteratorINSB_10device_ptrIjEEEENSD_INSE_IS6_EEEESI_S6_NSB_4plusIvEENSB_8equal_toIvEES6_EE10hipError_tPvRmT2_T3_T4_T5_mT6_T7_P12ihipStream_tbENKUlT_T0_E_clISt17integral_constantIbLb1EES12_IbLb0EEEEDaSY_SZ_EUlSY_E_NS1_11comp_targetILNS1_3genE9ELNS1_11target_archE1100ELNS1_3gpuE3ELNS1_3repE0EEENS1_30default_config_static_selectorELNS0_4arch9wavefront6targetE1EEEvT1_,comdat
.Lfunc_end2183:
	.size	_ZN7rocprim17ROCPRIM_400000_NS6detail17trampoline_kernelINS0_14default_configENS1_27scan_by_key_config_selectorIj11FixedVectorIiLj8EEEEZZNS1_16scan_by_key_implILNS1_25lookback_scan_determinismE0ELb1ES3_N6thrust23THRUST_200600_302600_NS6detail15normal_iteratorINSB_10device_ptrIjEEEENSD_INSE_IS6_EEEESI_S6_NSB_4plusIvEENSB_8equal_toIvEES6_EE10hipError_tPvRmT2_T3_T4_T5_mT6_T7_P12ihipStream_tbENKUlT_T0_E_clISt17integral_constantIbLb1EES12_IbLb0EEEEDaSY_SZ_EUlSY_E_NS1_11comp_targetILNS1_3genE9ELNS1_11target_archE1100ELNS1_3gpuE3ELNS1_3repE0EEENS1_30default_config_static_selectorELNS0_4arch9wavefront6targetE1EEEvT1_, .Lfunc_end2183-_ZN7rocprim17ROCPRIM_400000_NS6detail17trampoline_kernelINS0_14default_configENS1_27scan_by_key_config_selectorIj11FixedVectorIiLj8EEEEZZNS1_16scan_by_key_implILNS1_25lookback_scan_determinismE0ELb1ES3_N6thrust23THRUST_200600_302600_NS6detail15normal_iteratorINSB_10device_ptrIjEEEENSD_INSE_IS6_EEEESI_S6_NSB_4plusIvEENSB_8equal_toIvEES6_EE10hipError_tPvRmT2_T3_T4_T5_mT6_T7_P12ihipStream_tbENKUlT_T0_E_clISt17integral_constantIbLb1EES12_IbLb0EEEEDaSY_SZ_EUlSY_E_NS1_11comp_targetILNS1_3genE9ELNS1_11target_archE1100ELNS1_3gpuE3ELNS1_3repE0EEENS1_30default_config_static_selectorELNS0_4arch9wavefront6targetE1EEEvT1_
                                        ; -- End function
	.section	.AMDGPU.csdata,"",@progbits
; Kernel info:
; codeLenInByte = 0
; NumSgprs: 6
; NumVgprs: 0
; NumAgprs: 0
; TotalNumVgprs: 0
; ScratchSize: 0
; MemoryBound: 0
; FloatMode: 240
; IeeeMode: 1
; LDSByteSize: 0 bytes/workgroup (compile time only)
; SGPRBlocks: 0
; VGPRBlocks: 0
; NumSGPRsForWavesPerEU: 6
; NumVGPRsForWavesPerEU: 1
; AccumOffset: 4
; Occupancy: 8
; WaveLimiterHint : 0
; COMPUTE_PGM_RSRC2:SCRATCH_EN: 0
; COMPUTE_PGM_RSRC2:USER_SGPR: 2
; COMPUTE_PGM_RSRC2:TRAP_HANDLER: 0
; COMPUTE_PGM_RSRC2:TGID_X_EN: 1
; COMPUTE_PGM_RSRC2:TGID_Y_EN: 0
; COMPUTE_PGM_RSRC2:TGID_Z_EN: 0
; COMPUTE_PGM_RSRC2:TIDIG_COMP_CNT: 0
; COMPUTE_PGM_RSRC3_GFX90A:ACCUM_OFFSET: 0
; COMPUTE_PGM_RSRC3_GFX90A:TG_SPLIT: 0
	.section	.text._ZN7rocprim17ROCPRIM_400000_NS6detail17trampoline_kernelINS0_14default_configENS1_27scan_by_key_config_selectorIj11FixedVectorIiLj8EEEEZZNS1_16scan_by_key_implILNS1_25lookback_scan_determinismE0ELb1ES3_N6thrust23THRUST_200600_302600_NS6detail15normal_iteratorINSB_10device_ptrIjEEEENSD_INSE_IS6_EEEESI_S6_NSB_4plusIvEENSB_8equal_toIvEES6_EE10hipError_tPvRmT2_T3_T4_T5_mT6_T7_P12ihipStream_tbENKUlT_T0_E_clISt17integral_constantIbLb1EES12_IbLb0EEEEDaSY_SZ_EUlSY_E_NS1_11comp_targetILNS1_3genE8ELNS1_11target_archE1030ELNS1_3gpuE2ELNS1_3repE0EEENS1_30default_config_static_selectorELNS0_4arch9wavefront6targetE1EEEvT1_,"axG",@progbits,_ZN7rocprim17ROCPRIM_400000_NS6detail17trampoline_kernelINS0_14default_configENS1_27scan_by_key_config_selectorIj11FixedVectorIiLj8EEEEZZNS1_16scan_by_key_implILNS1_25lookback_scan_determinismE0ELb1ES3_N6thrust23THRUST_200600_302600_NS6detail15normal_iteratorINSB_10device_ptrIjEEEENSD_INSE_IS6_EEEESI_S6_NSB_4plusIvEENSB_8equal_toIvEES6_EE10hipError_tPvRmT2_T3_T4_T5_mT6_T7_P12ihipStream_tbENKUlT_T0_E_clISt17integral_constantIbLb1EES12_IbLb0EEEEDaSY_SZ_EUlSY_E_NS1_11comp_targetILNS1_3genE8ELNS1_11target_archE1030ELNS1_3gpuE2ELNS1_3repE0EEENS1_30default_config_static_selectorELNS0_4arch9wavefront6targetE1EEEvT1_,comdat
	.protected	_ZN7rocprim17ROCPRIM_400000_NS6detail17trampoline_kernelINS0_14default_configENS1_27scan_by_key_config_selectorIj11FixedVectorIiLj8EEEEZZNS1_16scan_by_key_implILNS1_25lookback_scan_determinismE0ELb1ES3_N6thrust23THRUST_200600_302600_NS6detail15normal_iteratorINSB_10device_ptrIjEEEENSD_INSE_IS6_EEEESI_S6_NSB_4plusIvEENSB_8equal_toIvEES6_EE10hipError_tPvRmT2_T3_T4_T5_mT6_T7_P12ihipStream_tbENKUlT_T0_E_clISt17integral_constantIbLb1EES12_IbLb0EEEEDaSY_SZ_EUlSY_E_NS1_11comp_targetILNS1_3genE8ELNS1_11target_archE1030ELNS1_3gpuE2ELNS1_3repE0EEENS1_30default_config_static_selectorELNS0_4arch9wavefront6targetE1EEEvT1_ ; -- Begin function _ZN7rocprim17ROCPRIM_400000_NS6detail17trampoline_kernelINS0_14default_configENS1_27scan_by_key_config_selectorIj11FixedVectorIiLj8EEEEZZNS1_16scan_by_key_implILNS1_25lookback_scan_determinismE0ELb1ES3_N6thrust23THRUST_200600_302600_NS6detail15normal_iteratorINSB_10device_ptrIjEEEENSD_INSE_IS6_EEEESI_S6_NSB_4plusIvEENSB_8equal_toIvEES6_EE10hipError_tPvRmT2_T3_T4_T5_mT6_T7_P12ihipStream_tbENKUlT_T0_E_clISt17integral_constantIbLb1EES12_IbLb0EEEEDaSY_SZ_EUlSY_E_NS1_11comp_targetILNS1_3genE8ELNS1_11target_archE1030ELNS1_3gpuE2ELNS1_3repE0EEENS1_30default_config_static_selectorELNS0_4arch9wavefront6targetE1EEEvT1_
	.globl	_ZN7rocprim17ROCPRIM_400000_NS6detail17trampoline_kernelINS0_14default_configENS1_27scan_by_key_config_selectorIj11FixedVectorIiLj8EEEEZZNS1_16scan_by_key_implILNS1_25lookback_scan_determinismE0ELb1ES3_N6thrust23THRUST_200600_302600_NS6detail15normal_iteratorINSB_10device_ptrIjEEEENSD_INSE_IS6_EEEESI_S6_NSB_4plusIvEENSB_8equal_toIvEES6_EE10hipError_tPvRmT2_T3_T4_T5_mT6_T7_P12ihipStream_tbENKUlT_T0_E_clISt17integral_constantIbLb1EES12_IbLb0EEEEDaSY_SZ_EUlSY_E_NS1_11comp_targetILNS1_3genE8ELNS1_11target_archE1030ELNS1_3gpuE2ELNS1_3repE0EEENS1_30default_config_static_selectorELNS0_4arch9wavefront6targetE1EEEvT1_
	.p2align	8
	.type	_ZN7rocprim17ROCPRIM_400000_NS6detail17trampoline_kernelINS0_14default_configENS1_27scan_by_key_config_selectorIj11FixedVectorIiLj8EEEEZZNS1_16scan_by_key_implILNS1_25lookback_scan_determinismE0ELb1ES3_N6thrust23THRUST_200600_302600_NS6detail15normal_iteratorINSB_10device_ptrIjEEEENSD_INSE_IS6_EEEESI_S6_NSB_4plusIvEENSB_8equal_toIvEES6_EE10hipError_tPvRmT2_T3_T4_T5_mT6_T7_P12ihipStream_tbENKUlT_T0_E_clISt17integral_constantIbLb1EES12_IbLb0EEEEDaSY_SZ_EUlSY_E_NS1_11comp_targetILNS1_3genE8ELNS1_11target_archE1030ELNS1_3gpuE2ELNS1_3repE0EEENS1_30default_config_static_selectorELNS0_4arch9wavefront6targetE1EEEvT1_,@function
_ZN7rocprim17ROCPRIM_400000_NS6detail17trampoline_kernelINS0_14default_configENS1_27scan_by_key_config_selectorIj11FixedVectorIiLj8EEEEZZNS1_16scan_by_key_implILNS1_25lookback_scan_determinismE0ELb1ES3_N6thrust23THRUST_200600_302600_NS6detail15normal_iteratorINSB_10device_ptrIjEEEENSD_INSE_IS6_EEEESI_S6_NSB_4plusIvEENSB_8equal_toIvEES6_EE10hipError_tPvRmT2_T3_T4_T5_mT6_T7_P12ihipStream_tbENKUlT_T0_E_clISt17integral_constantIbLb1EES12_IbLb0EEEEDaSY_SZ_EUlSY_E_NS1_11comp_targetILNS1_3genE8ELNS1_11target_archE1030ELNS1_3gpuE2ELNS1_3repE0EEENS1_30default_config_static_selectorELNS0_4arch9wavefront6targetE1EEEvT1_: ; @_ZN7rocprim17ROCPRIM_400000_NS6detail17trampoline_kernelINS0_14default_configENS1_27scan_by_key_config_selectorIj11FixedVectorIiLj8EEEEZZNS1_16scan_by_key_implILNS1_25lookback_scan_determinismE0ELb1ES3_N6thrust23THRUST_200600_302600_NS6detail15normal_iteratorINSB_10device_ptrIjEEEENSD_INSE_IS6_EEEESI_S6_NSB_4plusIvEENSB_8equal_toIvEES6_EE10hipError_tPvRmT2_T3_T4_T5_mT6_T7_P12ihipStream_tbENKUlT_T0_E_clISt17integral_constantIbLb1EES12_IbLb0EEEEDaSY_SZ_EUlSY_E_NS1_11comp_targetILNS1_3genE8ELNS1_11target_archE1030ELNS1_3gpuE2ELNS1_3repE0EEENS1_30default_config_static_selectorELNS0_4arch9wavefront6targetE1EEEvT1_
; %bb.0:
	.section	.rodata,"a",@progbits
	.p2align	6, 0x0
	.amdhsa_kernel _ZN7rocprim17ROCPRIM_400000_NS6detail17trampoline_kernelINS0_14default_configENS1_27scan_by_key_config_selectorIj11FixedVectorIiLj8EEEEZZNS1_16scan_by_key_implILNS1_25lookback_scan_determinismE0ELb1ES3_N6thrust23THRUST_200600_302600_NS6detail15normal_iteratorINSB_10device_ptrIjEEEENSD_INSE_IS6_EEEESI_S6_NSB_4plusIvEENSB_8equal_toIvEES6_EE10hipError_tPvRmT2_T3_T4_T5_mT6_T7_P12ihipStream_tbENKUlT_T0_E_clISt17integral_constantIbLb1EES12_IbLb0EEEEDaSY_SZ_EUlSY_E_NS1_11comp_targetILNS1_3genE8ELNS1_11target_archE1030ELNS1_3gpuE2ELNS1_3repE0EEENS1_30default_config_static_selectorELNS0_4arch9wavefront6targetE1EEEvT1_
		.amdhsa_group_segment_fixed_size 0
		.amdhsa_private_segment_fixed_size 0
		.amdhsa_kernarg_size 160
		.amdhsa_user_sgpr_count 2
		.amdhsa_user_sgpr_dispatch_ptr 0
		.amdhsa_user_sgpr_queue_ptr 0
		.amdhsa_user_sgpr_kernarg_segment_ptr 1
		.amdhsa_user_sgpr_dispatch_id 0
		.amdhsa_user_sgpr_kernarg_preload_length 0
		.amdhsa_user_sgpr_kernarg_preload_offset 0
		.amdhsa_user_sgpr_private_segment_size 0
		.amdhsa_uses_dynamic_stack 0
		.amdhsa_enable_private_segment 0
		.amdhsa_system_sgpr_workgroup_id_x 1
		.amdhsa_system_sgpr_workgroup_id_y 0
		.amdhsa_system_sgpr_workgroup_id_z 0
		.amdhsa_system_sgpr_workgroup_info 0
		.amdhsa_system_vgpr_workitem_id 0
		.amdhsa_next_free_vgpr 1
		.amdhsa_next_free_sgpr 0
		.amdhsa_accum_offset 4
		.amdhsa_reserve_vcc 0
		.amdhsa_float_round_mode_32 0
		.amdhsa_float_round_mode_16_64 0
		.amdhsa_float_denorm_mode_32 3
		.amdhsa_float_denorm_mode_16_64 3
		.amdhsa_dx10_clamp 1
		.amdhsa_ieee_mode 1
		.amdhsa_fp16_overflow 0
		.amdhsa_tg_split 0
		.amdhsa_exception_fp_ieee_invalid_op 0
		.amdhsa_exception_fp_denorm_src 0
		.amdhsa_exception_fp_ieee_div_zero 0
		.amdhsa_exception_fp_ieee_overflow 0
		.amdhsa_exception_fp_ieee_underflow 0
		.amdhsa_exception_fp_ieee_inexact 0
		.amdhsa_exception_int_div_zero 0
	.end_amdhsa_kernel
	.section	.text._ZN7rocprim17ROCPRIM_400000_NS6detail17trampoline_kernelINS0_14default_configENS1_27scan_by_key_config_selectorIj11FixedVectorIiLj8EEEEZZNS1_16scan_by_key_implILNS1_25lookback_scan_determinismE0ELb1ES3_N6thrust23THRUST_200600_302600_NS6detail15normal_iteratorINSB_10device_ptrIjEEEENSD_INSE_IS6_EEEESI_S6_NSB_4plusIvEENSB_8equal_toIvEES6_EE10hipError_tPvRmT2_T3_T4_T5_mT6_T7_P12ihipStream_tbENKUlT_T0_E_clISt17integral_constantIbLb1EES12_IbLb0EEEEDaSY_SZ_EUlSY_E_NS1_11comp_targetILNS1_3genE8ELNS1_11target_archE1030ELNS1_3gpuE2ELNS1_3repE0EEENS1_30default_config_static_selectorELNS0_4arch9wavefront6targetE1EEEvT1_,"axG",@progbits,_ZN7rocprim17ROCPRIM_400000_NS6detail17trampoline_kernelINS0_14default_configENS1_27scan_by_key_config_selectorIj11FixedVectorIiLj8EEEEZZNS1_16scan_by_key_implILNS1_25lookback_scan_determinismE0ELb1ES3_N6thrust23THRUST_200600_302600_NS6detail15normal_iteratorINSB_10device_ptrIjEEEENSD_INSE_IS6_EEEESI_S6_NSB_4plusIvEENSB_8equal_toIvEES6_EE10hipError_tPvRmT2_T3_T4_T5_mT6_T7_P12ihipStream_tbENKUlT_T0_E_clISt17integral_constantIbLb1EES12_IbLb0EEEEDaSY_SZ_EUlSY_E_NS1_11comp_targetILNS1_3genE8ELNS1_11target_archE1030ELNS1_3gpuE2ELNS1_3repE0EEENS1_30default_config_static_selectorELNS0_4arch9wavefront6targetE1EEEvT1_,comdat
.Lfunc_end2184:
	.size	_ZN7rocprim17ROCPRIM_400000_NS6detail17trampoline_kernelINS0_14default_configENS1_27scan_by_key_config_selectorIj11FixedVectorIiLj8EEEEZZNS1_16scan_by_key_implILNS1_25lookback_scan_determinismE0ELb1ES3_N6thrust23THRUST_200600_302600_NS6detail15normal_iteratorINSB_10device_ptrIjEEEENSD_INSE_IS6_EEEESI_S6_NSB_4plusIvEENSB_8equal_toIvEES6_EE10hipError_tPvRmT2_T3_T4_T5_mT6_T7_P12ihipStream_tbENKUlT_T0_E_clISt17integral_constantIbLb1EES12_IbLb0EEEEDaSY_SZ_EUlSY_E_NS1_11comp_targetILNS1_3genE8ELNS1_11target_archE1030ELNS1_3gpuE2ELNS1_3repE0EEENS1_30default_config_static_selectorELNS0_4arch9wavefront6targetE1EEEvT1_, .Lfunc_end2184-_ZN7rocprim17ROCPRIM_400000_NS6detail17trampoline_kernelINS0_14default_configENS1_27scan_by_key_config_selectorIj11FixedVectorIiLj8EEEEZZNS1_16scan_by_key_implILNS1_25lookback_scan_determinismE0ELb1ES3_N6thrust23THRUST_200600_302600_NS6detail15normal_iteratorINSB_10device_ptrIjEEEENSD_INSE_IS6_EEEESI_S6_NSB_4plusIvEENSB_8equal_toIvEES6_EE10hipError_tPvRmT2_T3_T4_T5_mT6_T7_P12ihipStream_tbENKUlT_T0_E_clISt17integral_constantIbLb1EES12_IbLb0EEEEDaSY_SZ_EUlSY_E_NS1_11comp_targetILNS1_3genE8ELNS1_11target_archE1030ELNS1_3gpuE2ELNS1_3repE0EEENS1_30default_config_static_selectorELNS0_4arch9wavefront6targetE1EEEvT1_
                                        ; -- End function
	.section	.AMDGPU.csdata,"",@progbits
; Kernel info:
; codeLenInByte = 0
; NumSgprs: 6
; NumVgprs: 0
; NumAgprs: 0
; TotalNumVgprs: 0
; ScratchSize: 0
; MemoryBound: 0
; FloatMode: 240
; IeeeMode: 1
; LDSByteSize: 0 bytes/workgroup (compile time only)
; SGPRBlocks: 0
; VGPRBlocks: 0
; NumSGPRsForWavesPerEU: 6
; NumVGPRsForWavesPerEU: 1
; AccumOffset: 4
; Occupancy: 8
; WaveLimiterHint : 0
; COMPUTE_PGM_RSRC2:SCRATCH_EN: 0
; COMPUTE_PGM_RSRC2:USER_SGPR: 2
; COMPUTE_PGM_RSRC2:TRAP_HANDLER: 0
; COMPUTE_PGM_RSRC2:TGID_X_EN: 1
; COMPUTE_PGM_RSRC2:TGID_Y_EN: 0
; COMPUTE_PGM_RSRC2:TGID_Z_EN: 0
; COMPUTE_PGM_RSRC2:TIDIG_COMP_CNT: 0
; COMPUTE_PGM_RSRC3_GFX90A:ACCUM_OFFSET: 0
; COMPUTE_PGM_RSRC3_GFX90A:TG_SPLIT: 0
	.section	.text._ZN7rocprim17ROCPRIM_400000_NS6detail17trampoline_kernelINS0_14default_configENS1_27scan_by_key_config_selectorIj11FixedVectorIiLj8EEEEZZNS1_16scan_by_key_implILNS1_25lookback_scan_determinismE0ELb1ES3_N6thrust23THRUST_200600_302600_NS6detail15normal_iteratorINSB_10device_ptrIjEEEENSD_INSE_IS6_EEEESI_S6_NSB_4plusIvEENSB_8equal_toIvEES6_EE10hipError_tPvRmT2_T3_T4_T5_mT6_T7_P12ihipStream_tbENKUlT_T0_E_clISt17integral_constantIbLb0EES12_IbLb1EEEEDaSY_SZ_EUlSY_E_NS1_11comp_targetILNS1_3genE0ELNS1_11target_archE4294967295ELNS1_3gpuE0ELNS1_3repE0EEENS1_30default_config_static_selectorELNS0_4arch9wavefront6targetE1EEEvT1_,"axG",@progbits,_ZN7rocprim17ROCPRIM_400000_NS6detail17trampoline_kernelINS0_14default_configENS1_27scan_by_key_config_selectorIj11FixedVectorIiLj8EEEEZZNS1_16scan_by_key_implILNS1_25lookback_scan_determinismE0ELb1ES3_N6thrust23THRUST_200600_302600_NS6detail15normal_iteratorINSB_10device_ptrIjEEEENSD_INSE_IS6_EEEESI_S6_NSB_4plusIvEENSB_8equal_toIvEES6_EE10hipError_tPvRmT2_T3_T4_T5_mT6_T7_P12ihipStream_tbENKUlT_T0_E_clISt17integral_constantIbLb0EES12_IbLb1EEEEDaSY_SZ_EUlSY_E_NS1_11comp_targetILNS1_3genE0ELNS1_11target_archE4294967295ELNS1_3gpuE0ELNS1_3repE0EEENS1_30default_config_static_selectorELNS0_4arch9wavefront6targetE1EEEvT1_,comdat
	.protected	_ZN7rocprim17ROCPRIM_400000_NS6detail17trampoline_kernelINS0_14default_configENS1_27scan_by_key_config_selectorIj11FixedVectorIiLj8EEEEZZNS1_16scan_by_key_implILNS1_25lookback_scan_determinismE0ELb1ES3_N6thrust23THRUST_200600_302600_NS6detail15normal_iteratorINSB_10device_ptrIjEEEENSD_INSE_IS6_EEEESI_S6_NSB_4plusIvEENSB_8equal_toIvEES6_EE10hipError_tPvRmT2_T3_T4_T5_mT6_T7_P12ihipStream_tbENKUlT_T0_E_clISt17integral_constantIbLb0EES12_IbLb1EEEEDaSY_SZ_EUlSY_E_NS1_11comp_targetILNS1_3genE0ELNS1_11target_archE4294967295ELNS1_3gpuE0ELNS1_3repE0EEENS1_30default_config_static_selectorELNS0_4arch9wavefront6targetE1EEEvT1_ ; -- Begin function _ZN7rocprim17ROCPRIM_400000_NS6detail17trampoline_kernelINS0_14default_configENS1_27scan_by_key_config_selectorIj11FixedVectorIiLj8EEEEZZNS1_16scan_by_key_implILNS1_25lookback_scan_determinismE0ELb1ES3_N6thrust23THRUST_200600_302600_NS6detail15normal_iteratorINSB_10device_ptrIjEEEENSD_INSE_IS6_EEEESI_S6_NSB_4plusIvEENSB_8equal_toIvEES6_EE10hipError_tPvRmT2_T3_T4_T5_mT6_T7_P12ihipStream_tbENKUlT_T0_E_clISt17integral_constantIbLb0EES12_IbLb1EEEEDaSY_SZ_EUlSY_E_NS1_11comp_targetILNS1_3genE0ELNS1_11target_archE4294967295ELNS1_3gpuE0ELNS1_3repE0EEENS1_30default_config_static_selectorELNS0_4arch9wavefront6targetE1EEEvT1_
	.globl	_ZN7rocprim17ROCPRIM_400000_NS6detail17trampoline_kernelINS0_14default_configENS1_27scan_by_key_config_selectorIj11FixedVectorIiLj8EEEEZZNS1_16scan_by_key_implILNS1_25lookback_scan_determinismE0ELb1ES3_N6thrust23THRUST_200600_302600_NS6detail15normal_iteratorINSB_10device_ptrIjEEEENSD_INSE_IS6_EEEESI_S6_NSB_4plusIvEENSB_8equal_toIvEES6_EE10hipError_tPvRmT2_T3_T4_T5_mT6_T7_P12ihipStream_tbENKUlT_T0_E_clISt17integral_constantIbLb0EES12_IbLb1EEEEDaSY_SZ_EUlSY_E_NS1_11comp_targetILNS1_3genE0ELNS1_11target_archE4294967295ELNS1_3gpuE0ELNS1_3repE0EEENS1_30default_config_static_selectorELNS0_4arch9wavefront6targetE1EEEvT1_
	.p2align	8
	.type	_ZN7rocprim17ROCPRIM_400000_NS6detail17trampoline_kernelINS0_14default_configENS1_27scan_by_key_config_selectorIj11FixedVectorIiLj8EEEEZZNS1_16scan_by_key_implILNS1_25lookback_scan_determinismE0ELb1ES3_N6thrust23THRUST_200600_302600_NS6detail15normal_iteratorINSB_10device_ptrIjEEEENSD_INSE_IS6_EEEESI_S6_NSB_4plusIvEENSB_8equal_toIvEES6_EE10hipError_tPvRmT2_T3_T4_T5_mT6_T7_P12ihipStream_tbENKUlT_T0_E_clISt17integral_constantIbLb0EES12_IbLb1EEEEDaSY_SZ_EUlSY_E_NS1_11comp_targetILNS1_3genE0ELNS1_11target_archE4294967295ELNS1_3gpuE0ELNS1_3repE0EEENS1_30default_config_static_selectorELNS0_4arch9wavefront6targetE1EEEvT1_,@function
_ZN7rocprim17ROCPRIM_400000_NS6detail17trampoline_kernelINS0_14default_configENS1_27scan_by_key_config_selectorIj11FixedVectorIiLj8EEEEZZNS1_16scan_by_key_implILNS1_25lookback_scan_determinismE0ELb1ES3_N6thrust23THRUST_200600_302600_NS6detail15normal_iteratorINSB_10device_ptrIjEEEENSD_INSE_IS6_EEEESI_S6_NSB_4plusIvEENSB_8equal_toIvEES6_EE10hipError_tPvRmT2_T3_T4_T5_mT6_T7_P12ihipStream_tbENKUlT_T0_E_clISt17integral_constantIbLb0EES12_IbLb1EEEEDaSY_SZ_EUlSY_E_NS1_11comp_targetILNS1_3genE0ELNS1_11target_archE4294967295ELNS1_3gpuE0ELNS1_3repE0EEENS1_30default_config_static_selectorELNS0_4arch9wavefront6targetE1EEEvT1_: ; @_ZN7rocprim17ROCPRIM_400000_NS6detail17trampoline_kernelINS0_14default_configENS1_27scan_by_key_config_selectorIj11FixedVectorIiLj8EEEEZZNS1_16scan_by_key_implILNS1_25lookback_scan_determinismE0ELb1ES3_N6thrust23THRUST_200600_302600_NS6detail15normal_iteratorINSB_10device_ptrIjEEEENSD_INSE_IS6_EEEESI_S6_NSB_4plusIvEENSB_8equal_toIvEES6_EE10hipError_tPvRmT2_T3_T4_T5_mT6_T7_P12ihipStream_tbENKUlT_T0_E_clISt17integral_constantIbLb0EES12_IbLb1EEEEDaSY_SZ_EUlSY_E_NS1_11comp_targetILNS1_3genE0ELNS1_11target_archE4294967295ELNS1_3gpuE0ELNS1_3repE0EEENS1_30default_config_static_selectorELNS0_4arch9wavefront6targetE1EEEvT1_
; %bb.0:
	.section	.rodata,"a",@progbits
	.p2align	6, 0x0
	.amdhsa_kernel _ZN7rocprim17ROCPRIM_400000_NS6detail17trampoline_kernelINS0_14default_configENS1_27scan_by_key_config_selectorIj11FixedVectorIiLj8EEEEZZNS1_16scan_by_key_implILNS1_25lookback_scan_determinismE0ELb1ES3_N6thrust23THRUST_200600_302600_NS6detail15normal_iteratorINSB_10device_ptrIjEEEENSD_INSE_IS6_EEEESI_S6_NSB_4plusIvEENSB_8equal_toIvEES6_EE10hipError_tPvRmT2_T3_T4_T5_mT6_T7_P12ihipStream_tbENKUlT_T0_E_clISt17integral_constantIbLb0EES12_IbLb1EEEEDaSY_SZ_EUlSY_E_NS1_11comp_targetILNS1_3genE0ELNS1_11target_archE4294967295ELNS1_3gpuE0ELNS1_3repE0EEENS1_30default_config_static_selectorELNS0_4arch9wavefront6targetE1EEEvT1_
		.amdhsa_group_segment_fixed_size 0
		.amdhsa_private_segment_fixed_size 0
		.amdhsa_kernarg_size 160
		.amdhsa_user_sgpr_count 2
		.amdhsa_user_sgpr_dispatch_ptr 0
		.amdhsa_user_sgpr_queue_ptr 0
		.amdhsa_user_sgpr_kernarg_segment_ptr 1
		.amdhsa_user_sgpr_dispatch_id 0
		.amdhsa_user_sgpr_kernarg_preload_length 0
		.amdhsa_user_sgpr_kernarg_preload_offset 0
		.amdhsa_user_sgpr_private_segment_size 0
		.amdhsa_uses_dynamic_stack 0
		.amdhsa_enable_private_segment 0
		.amdhsa_system_sgpr_workgroup_id_x 1
		.amdhsa_system_sgpr_workgroup_id_y 0
		.amdhsa_system_sgpr_workgroup_id_z 0
		.amdhsa_system_sgpr_workgroup_info 0
		.amdhsa_system_vgpr_workitem_id 0
		.amdhsa_next_free_vgpr 1
		.amdhsa_next_free_sgpr 0
		.amdhsa_accum_offset 4
		.amdhsa_reserve_vcc 0
		.amdhsa_float_round_mode_32 0
		.amdhsa_float_round_mode_16_64 0
		.amdhsa_float_denorm_mode_32 3
		.amdhsa_float_denorm_mode_16_64 3
		.amdhsa_dx10_clamp 1
		.amdhsa_ieee_mode 1
		.amdhsa_fp16_overflow 0
		.amdhsa_tg_split 0
		.amdhsa_exception_fp_ieee_invalid_op 0
		.amdhsa_exception_fp_denorm_src 0
		.amdhsa_exception_fp_ieee_div_zero 0
		.amdhsa_exception_fp_ieee_overflow 0
		.amdhsa_exception_fp_ieee_underflow 0
		.amdhsa_exception_fp_ieee_inexact 0
		.amdhsa_exception_int_div_zero 0
	.end_amdhsa_kernel
	.section	.text._ZN7rocprim17ROCPRIM_400000_NS6detail17trampoline_kernelINS0_14default_configENS1_27scan_by_key_config_selectorIj11FixedVectorIiLj8EEEEZZNS1_16scan_by_key_implILNS1_25lookback_scan_determinismE0ELb1ES3_N6thrust23THRUST_200600_302600_NS6detail15normal_iteratorINSB_10device_ptrIjEEEENSD_INSE_IS6_EEEESI_S6_NSB_4plusIvEENSB_8equal_toIvEES6_EE10hipError_tPvRmT2_T3_T4_T5_mT6_T7_P12ihipStream_tbENKUlT_T0_E_clISt17integral_constantIbLb0EES12_IbLb1EEEEDaSY_SZ_EUlSY_E_NS1_11comp_targetILNS1_3genE0ELNS1_11target_archE4294967295ELNS1_3gpuE0ELNS1_3repE0EEENS1_30default_config_static_selectorELNS0_4arch9wavefront6targetE1EEEvT1_,"axG",@progbits,_ZN7rocprim17ROCPRIM_400000_NS6detail17trampoline_kernelINS0_14default_configENS1_27scan_by_key_config_selectorIj11FixedVectorIiLj8EEEEZZNS1_16scan_by_key_implILNS1_25lookback_scan_determinismE0ELb1ES3_N6thrust23THRUST_200600_302600_NS6detail15normal_iteratorINSB_10device_ptrIjEEEENSD_INSE_IS6_EEEESI_S6_NSB_4plusIvEENSB_8equal_toIvEES6_EE10hipError_tPvRmT2_T3_T4_T5_mT6_T7_P12ihipStream_tbENKUlT_T0_E_clISt17integral_constantIbLb0EES12_IbLb1EEEEDaSY_SZ_EUlSY_E_NS1_11comp_targetILNS1_3genE0ELNS1_11target_archE4294967295ELNS1_3gpuE0ELNS1_3repE0EEENS1_30default_config_static_selectorELNS0_4arch9wavefront6targetE1EEEvT1_,comdat
.Lfunc_end2185:
	.size	_ZN7rocprim17ROCPRIM_400000_NS6detail17trampoline_kernelINS0_14default_configENS1_27scan_by_key_config_selectorIj11FixedVectorIiLj8EEEEZZNS1_16scan_by_key_implILNS1_25lookback_scan_determinismE0ELb1ES3_N6thrust23THRUST_200600_302600_NS6detail15normal_iteratorINSB_10device_ptrIjEEEENSD_INSE_IS6_EEEESI_S6_NSB_4plusIvEENSB_8equal_toIvEES6_EE10hipError_tPvRmT2_T3_T4_T5_mT6_T7_P12ihipStream_tbENKUlT_T0_E_clISt17integral_constantIbLb0EES12_IbLb1EEEEDaSY_SZ_EUlSY_E_NS1_11comp_targetILNS1_3genE0ELNS1_11target_archE4294967295ELNS1_3gpuE0ELNS1_3repE0EEENS1_30default_config_static_selectorELNS0_4arch9wavefront6targetE1EEEvT1_, .Lfunc_end2185-_ZN7rocprim17ROCPRIM_400000_NS6detail17trampoline_kernelINS0_14default_configENS1_27scan_by_key_config_selectorIj11FixedVectorIiLj8EEEEZZNS1_16scan_by_key_implILNS1_25lookback_scan_determinismE0ELb1ES3_N6thrust23THRUST_200600_302600_NS6detail15normal_iteratorINSB_10device_ptrIjEEEENSD_INSE_IS6_EEEESI_S6_NSB_4plusIvEENSB_8equal_toIvEES6_EE10hipError_tPvRmT2_T3_T4_T5_mT6_T7_P12ihipStream_tbENKUlT_T0_E_clISt17integral_constantIbLb0EES12_IbLb1EEEEDaSY_SZ_EUlSY_E_NS1_11comp_targetILNS1_3genE0ELNS1_11target_archE4294967295ELNS1_3gpuE0ELNS1_3repE0EEENS1_30default_config_static_selectorELNS0_4arch9wavefront6targetE1EEEvT1_
                                        ; -- End function
	.section	.AMDGPU.csdata,"",@progbits
; Kernel info:
; codeLenInByte = 0
; NumSgprs: 6
; NumVgprs: 0
; NumAgprs: 0
; TotalNumVgprs: 0
; ScratchSize: 0
; MemoryBound: 0
; FloatMode: 240
; IeeeMode: 1
; LDSByteSize: 0 bytes/workgroup (compile time only)
; SGPRBlocks: 0
; VGPRBlocks: 0
; NumSGPRsForWavesPerEU: 6
; NumVGPRsForWavesPerEU: 1
; AccumOffset: 4
; Occupancy: 8
; WaveLimiterHint : 0
; COMPUTE_PGM_RSRC2:SCRATCH_EN: 0
; COMPUTE_PGM_RSRC2:USER_SGPR: 2
; COMPUTE_PGM_RSRC2:TRAP_HANDLER: 0
; COMPUTE_PGM_RSRC2:TGID_X_EN: 1
; COMPUTE_PGM_RSRC2:TGID_Y_EN: 0
; COMPUTE_PGM_RSRC2:TGID_Z_EN: 0
; COMPUTE_PGM_RSRC2:TIDIG_COMP_CNT: 0
; COMPUTE_PGM_RSRC3_GFX90A:ACCUM_OFFSET: 0
; COMPUTE_PGM_RSRC3_GFX90A:TG_SPLIT: 0
	.section	.text._ZN7rocprim17ROCPRIM_400000_NS6detail17trampoline_kernelINS0_14default_configENS1_27scan_by_key_config_selectorIj11FixedVectorIiLj8EEEEZZNS1_16scan_by_key_implILNS1_25lookback_scan_determinismE0ELb1ES3_N6thrust23THRUST_200600_302600_NS6detail15normal_iteratorINSB_10device_ptrIjEEEENSD_INSE_IS6_EEEESI_S6_NSB_4plusIvEENSB_8equal_toIvEES6_EE10hipError_tPvRmT2_T3_T4_T5_mT6_T7_P12ihipStream_tbENKUlT_T0_E_clISt17integral_constantIbLb0EES12_IbLb1EEEEDaSY_SZ_EUlSY_E_NS1_11comp_targetILNS1_3genE10ELNS1_11target_archE1201ELNS1_3gpuE5ELNS1_3repE0EEENS1_30default_config_static_selectorELNS0_4arch9wavefront6targetE1EEEvT1_,"axG",@progbits,_ZN7rocprim17ROCPRIM_400000_NS6detail17trampoline_kernelINS0_14default_configENS1_27scan_by_key_config_selectorIj11FixedVectorIiLj8EEEEZZNS1_16scan_by_key_implILNS1_25lookback_scan_determinismE0ELb1ES3_N6thrust23THRUST_200600_302600_NS6detail15normal_iteratorINSB_10device_ptrIjEEEENSD_INSE_IS6_EEEESI_S6_NSB_4plusIvEENSB_8equal_toIvEES6_EE10hipError_tPvRmT2_T3_T4_T5_mT6_T7_P12ihipStream_tbENKUlT_T0_E_clISt17integral_constantIbLb0EES12_IbLb1EEEEDaSY_SZ_EUlSY_E_NS1_11comp_targetILNS1_3genE10ELNS1_11target_archE1201ELNS1_3gpuE5ELNS1_3repE0EEENS1_30default_config_static_selectorELNS0_4arch9wavefront6targetE1EEEvT1_,comdat
	.protected	_ZN7rocprim17ROCPRIM_400000_NS6detail17trampoline_kernelINS0_14default_configENS1_27scan_by_key_config_selectorIj11FixedVectorIiLj8EEEEZZNS1_16scan_by_key_implILNS1_25lookback_scan_determinismE0ELb1ES3_N6thrust23THRUST_200600_302600_NS6detail15normal_iteratorINSB_10device_ptrIjEEEENSD_INSE_IS6_EEEESI_S6_NSB_4plusIvEENSB_8equal_toIvEES6_EE10hipError_tPvRmT2_T3_T4_T5_mT6_T7_P12ihipStream_tbENKUlT_T0_E_clISt17integral_constantIbLb0EES12_IbLb1EEEEDaSY_SZ_EUlSY_E_NS1_11comp_targetILNS1_3genE10ELNS1_11target_archE1201ELNS1_3gpuE5ELNS1_3repE0EEENS1_30default_config_static_selectorELNS0_4arch9wavefront6targetE1EEEvT1_ ; -- Begin function _ZN7rocprim17ROCPRIM_400000_NS6detail17trampoline_kernelINS0_14default_configENS1_27scan_by_key_config_selectorIj11FixedVectorIiLj8EEEEZZNS1_16scan_by_key_implILNS1_25lookback_scan_determinismE0ELb1ES3_N6thrust23THRUST_200600_302600_NS6detail15normal_iteratorINSB_10device_ptrIjEEEENSD_INSE_IS6_EEEESI_S6_NSB_4plusIvEENSB_8equal_toIvEES6_EE10hipError_tPvRmT2_T3_T4_T5_mT6_T7_P12ihipStream_tbENKUlT_T0_E_clISt17integral_constantIbLb0EES12_IbLb1EEEEDaSY_SZ_EUlSY_E_NS1_11comp_targetILNS1_3genE10ELNS1_11target_archE1201ELNS1_3gpuE5ELNS1_3repE0EEENS1_30default_config_static_selectorELNS0_4arch9wavefront6targetE1EEEvT1_
	.globl	_ZN7rocprim17ROCPRIM_400000_NS6detail17trampoline_kernelINS0_14default_configENS1_27scan_by_key_config_selectorIj11FixedVectorIiLj8EEEEZZNS1_16scan_by_key_implILNS1_25lookback_scan_determinismE0ELb1ES3_N6thrust23THRUST_200600_302600_NS6detail15normal_iteratorINSB_10device_ptrIjEEEENSD_INSE_IS6_EEEESI_S6_NSB_4plusIvEENSB_8equal_toIvEES6_EE10hipError_tPvRmT2_T3_T4_T5_mT6_T7_P12ihipStream_tbENKUlT_T0_E_clISt17integral_constantIbLb0EES12_IbLb1EEEEDaSY_SZ_EUlSY_E_NS1_11comp_targetILNS1_3genE10ELNS1_11target_archE1201ELNS1_3gpuE5ELNS1_3repE0EEENS1_30default_config_static_selectorELNS0_4arch9wavefront6targetE1EEEvT1_
	.p2align	8
	.type	_ZN7rocprim17ROCPRIM_400000_NS6detail17trampoline_kernelINS0_14default_configENS1_27scan_by_key_config_selectorIj11FixedVectorIiLj8EEEEZZNS1_16scan_by_key_implILNS1_25lookback_scan_determinismE0ELb1ES3_N6thrust23THRUST_200600_302600_NS6detail15normal_iteratorINSB_10device_ptrIjEEEENSD_INSE_IS6_EEEESI_S6_NSB_4plusIvEENSB_8equal_toIvEES6_EE10hipError_tPvRmT2_T3_T4_T5_mT6_T7_P12ihipStream_tbENKUlT_T0_E_clISt17integral_constantIbLb0EES12_IbLb1EEEEDaSY_SZ_EUlSY_E_NS1_11comp_targetILNS1_3genE10ELNS1_11target_archE1201ELNS1_3gpuE5ELNS1_3repE0EEENS1_30default_config_static_selectorELNS0_4arch9wavefront6targetE1EEEvT1_,@function
_ZN7rocprim17ROCPRIM_400000_NS6detail17trampoline_kernelINS0_14default_configENS1_27scan_by_key_config_selectorIj11FixedVectorIiLj8EEEEZZNS1_16scan_by_key_implILNS1_25lookback_scan_determinismE0ELb1ES3_N6thrust23THRUST_200600_302600_NS6detail15normal_iteratorINSB_10device_ptrIjEEEENSD_INSE_IS6_EEEESI_S6_NSB_4plusIvEENSB_8equal_toIvEES6_EE10hipError_tPvRmT2_T3_T4_T5_mT6_T7_P12ihipStream_tbENKUlT_T0_E_clISt17integral_constantIbLb0EES12_IbLb1EEEEDaSY_SZ_EUlSY_E_NS1_11comp_targetILNS1_3genE10ELNS1_11target_archE1201ELNS1_3gpuE5ELNS1_3repE0EEENS1_30default_config_static_selectorELNS0_4arch9wavefront6targetE1EEEvT1_: ; @_ZN7rocprim17ROCPRIM_400000_NS6detail17trampoline_kernelINS0_14default_configENS1_27scan_by_key_config_selectorIj11FixedVectorIiLj8EEEEZZNS1_16scan_by_key_implILNS1_25lookback_scan_determinismE0ELb1ES3_N6thrust23THRUST_200600_302600_NS6detail15normal_iteratorINSB_10device_ptrIjEEEENSD_INSE_IS6_EEEESI_S6_NSB_4plusIvEENSB_8equal_toIvEES6_EE10hipError_tPvRmT2_T3_T4_T5_mT6_T7_P12ihipStream_tbENKUlT_T0_E_clISt17integral_constantIbLb0EES12_IbLb1EEEEDaSY_SZ_EUlSY_E_NS1_11comp_targetILNS1_3genE10ELNS1_11target_archE1201ELNS1_3gpuE5ELNS1_3repE0EEENS1_30default_config_static_selectorELNS0_4arch9wavefront6targetE1EEEvT1_
; %bb.0:
	.section	.rodata,"a",@progbits
	.p2align	6, 0x0
	.amdhsa_kernel _ZN7rocprim17ROCPRIM_400000_NS6detail17trampoline_kernelINS0_14default_configENS1_27scan_by_key_config_selectorIj11FixedVectorIiLj8EEEEZZNS1_16scan_by_key_implILNS1_25lookback_scan_determinismE0ELb1ES3_N6thrust23THRUST_200600_302600_NS6detail15normal_iteratorINSB_10device_ptrIjEEEENSD_INSE_IS6_EEEESI_S6_NSB_4plusIvEENSB_8equal_toIvEES6_EE10hipError_tPvRmT2_T3_T4_T5_mT6_T7_P12ihipStream_tbENKUlT_T0_E_clISt17integral_constantIbLb0EES12_IbLb1EEEEDaSY_SZ_EUlSY_E_NS1_11comp_targetILNS1_3genE10ELNS1_11target_archE1201ELNS1_3gpuE5ELNS1_3repE0EEENS1_30default_config_static_selectorELNS0_4arch9wavefront6targetE1EEEvT1_
		.amdhsa_group_segment_fixed_size 0
		.amdhsa_private_segment_fixed_size 0
		.amdhsa_kernarg_size 160
		.amdhsa_user_sgpr_count 2
		.amdhsa_user_sgpr_dispatch_ptr 0
		.amdhsa_user_sgpr_queue_ptr 0
		.amdhsa_user_sgpr_kernarg_segment_ptr 1
		.amdhsa_user_sgpr_dispatch_id 0
		.amdhsa_user_sgpr_kernarg_preload_length 0
		.amdhsa_user_sgpr_kernarg_preload_offset 0
		.amdhsa_user_sgpr_private_segment_size 0
		.amdhsa_uses_dynamic_stack 0
		.amdhsa_enable_private_segment 0
		.amdhsa_system_sgpr_workgroup_id_x 1
		.amdhsa_system_sgpr_workgroup_id_y 0
		.amdhsa_system_sgpr_workgroup_id_z 0
		.amdhsa_system_sgpr_workgroup_info 0
		.amdhsa_system_vgpr_workitem_id 0
		.amdhsa_next_free_vgpr 1
		.amdhsa_next_free_sgpr 0
		.amdhsa_accum_offset 4
		.amdhsa_reserve_vcc 0
		.amdhsa_float_round_mode_32 0
		.amdhsa_float_round_mode_16_64 0
		.amdhsa_float_denorm_mode_32 3
		.amdhsa_float_denorm_mode_16_64 3
		.amdhsa_dx10_clamp 1
		.amdhsa_ieee_mode 1
		.amdhsa_fp16_overflow 0
		.amdhsa_tg_split 0
		.amdhsa_exception_fp_ieee_invalid_op 0
		.amdhsa_exception_fp_denorm_src 0
		.amdhsa_exception_fp_ieee_div_zero 0
		.amdhsa_exception_fp_ieee_overflow 0
		.amdhsa_exception_fp_ieee_underflow 0
		.amdhsa_exception_fp_ieee_inexact 0
		.amdhsa_exception_int_div_zero 0
	.end_amdhsa_kernel
	.section	.text._ZN7rocprim17ROCPRIM_400000_NS6detail17trampoline_kernelINS0_14default_configENS1_27scan_by_key_config_selectorIj11FixedVectorIiLj8EEEEZZNS1_16scan_by_key_implILNS1_25lookback_scan_determinismE0ELb1ES3_N6thrust23THRUST_200600_302600_NS6detail15normal_iteratorINSB_10device_ptrIjEEEENSD_INSE_IS6_EEEESI_S6_NSB_4plusIvEENSB_8equal_toIvEES6_EE10hipError_tPvRmT2_T3_T4_T5_mT6_T7_P12ihipStream_tbENKUlT_T0_E_clISt17integral_constantIbLb0EES12_IbLb1EEEEDaSY_SZ_EUlSY_E_NS1_11comp_targetILNS1_3genE10ELNS1_11target_archE1201ELNS1_3gpuE5ELNS1_3repE0EEENS1_30default_config_static_selectorELNS0_4arch9wavefront6targetE1EEEvT1_,"axG",@progbits,_ZN7rocprim17ROCPRIM_400000_NS6detail17trampoline_kernelINS0_14default_configENS1_27scan_by_key_config_selectorIj11FixedVectorIiLj8EEEEZZNS1_16scan_by_key_implILNS1_25lookback_scan_determinismE0ELb1ES3_N6thrust23THRUST_200600_302600_NS6detail15normal_iteratorINSB_10device_ptrIjEEEENSD_INSE_IS6_EEEESI_S6_NSB_4plusIvEENSB_8equal_toIvEES6_EE10hipError_tPvRmT2_T3_T4_T5_mT6_T7_P12ihipStream_tbENKUlT_T0_E_clISt17integral_constantIbLb0EES12_IbLb1EEEEDaSY_SZ_EUlSY_E_NS1_11comp_targetILNS1_3genE10ELNS1_11target_archE1201ELNS1_3gpuE5ELNS1_3repE0EEENS1_30default_config_static_selectorELNS0_4arch9wavefront6targetE1EEEvT1_,comdat
.Lfunc_end2186:
	.size	_ZN7rocprim17ROCPRIM_400000_NS6detail17trampoline_kernelINS0_14default_configENS1_27scan_by_key_config_selectorIj11FixedVectorIiLj8EEEEZZNS1_16scan_by_key_implILNS1_25lookback_scan_determinismE0ELb1ES3_N6thrust23THRUST_200600_302600_NS6detail15normal_iteratorINSB_10device_ptrIjEEEENSD_INSE_IS6_EEEESI_S6_NSB_4plusIvEENSB_8equal_toIvEES6_EE10hipError_tPvRmT2_T3_T4_T5_mT6_T7_P12ihipStream_tbENKUlT_T0_E_clISt17integral_constantIbLb0EES12_IbLb1EEEEDaSY_SZ_EUlSY_E_NS1_11comp_targetILNS1_3genE10ELNS1_11target_archE1201ELNS1_3gpuE5ELNS1_3repE0EEENS1_30default_config_static_selectorELNS0_4arch9wavefront6targetE1EEEvT1_, .Lfunc_end2186-_ZN7rocprim17ROCPRIM_400000_NS6detail17trampoline_kernelINS0_14default_configENS1_27scan_by_key_config_selectorIj11FixedVectorIiLj8EEEEZZNS1_16scan_by_key_implILNS1_25lookback_scan_determinismE0ELb1ES3_N6thrust23THRUST_200600_302600_NS6detail15normal_iteratorINSB_10device_ptrIjEEEENSD_INSE_IS6_EEEESI_S6_NSB_4plusIvEENSB_8equal_toIvEES6_EE10hipError_tPvRmT2_T3_T4_T5_mT6_T7_P12ihipStream_tbENKUlT_T0_E_clISt17integral_constantIbLb0EES12_IbLb1EEEEDaSY_SZ_EUlSY_E_NS1_11comp_targetILNS1_3genE10ELNS1_11target_archE1201ELNS1_3gpuE5ELNS1_3repE0EEENS1_30default_config_static_selectorELNS0_4arch9wavefront6targetE1EEEvT1_
                                        ; -- End function
	.section	.AMDGPU.csdata,"",@progbits
; Kernel info:
; codeLenInByte = 0
; NumSgprs: 6
; NumVgprs: 0
; NumAgprs: 0
; TotalNumVgprs: 0
; ScratchSize: 0
; MemoryBound: 0
; FloatMode: 240
; IeeeMode: 1
; LDSByteSize: 0 bytes/workgroup (compile time only)
; SGPRBlocks: 0
; VGPRBlocks: 0
; NumSGPRsForWavesPerEU: 6
; NumVGPRsForWavesPerEU: 1
; AccumOffset: 4
; Occupancy: 8
; WaveLimiterHint : 0
; COMPUTE_PGM_RSRC2:SCRATCH_EN: 0
; COMPUTE_PGM_RSRC2:USER_SGPR: 2
; COMPUTE_PGM_RSRC2:TRAP_HANDLER: 0
; COMPUTE_PGM_RSRC2:TGID_X_EN: 1
; COMPUTE_PGM_RSRC2:TGID_Y_EN: 0
; COMPUTE_PGM_RSRC2:TGID_Z_EN: 0
; COMPUTE_PGM_RSRC2:TIDIG_COMP_CNT: 0
; COMPUTE_PGM_RSRC3_GFX90A:ACCUM_OFFSET: 0
; COMPUTE_PGM_RSRC3_GFX90A:TG_SPLIT: 0
	.section	.text._ZN7rocprim17ROCPRIM_400000_NS6detail17trampoline_kernelINS0_14default_configENS1_27scan_by_key_config_selectorIj11FixedVectorIiLj8EEEEZZNS1_16scan_by_key_implILNS1_25lookback_scan_determinismE0ELb1ES3_N6thrust23THRUST_200600_302600_NS6detail15normal_iteratorINSB_10device_ptrIjEEEENSD_INSE_IS6_EEEESI_S6_NSB_4plusIvEENSB_8equal_toIvEES6_EE10hipError_tPvRmT2_T3_T4_T5_mT6_T7_P12ihipStream_tbENKUlT_T0_E_clISt17integral_constantIbLb0EES12_IbLb1EEEEDaSY_SZ_EUlSY_E_NS1_11comp_targetILNS1_3genE5ELNS1_11target_archE942ELNS1_3gpuE9ELNS1_3repE0EEENS1_30default_config_static_selectorELNS0_4arch9wavefront6targetE1EEEvT1_,"axG",@progbits,_ZN7rocprim17ROCPRIM_400000_NS6detail17trampoline_kernelINS0_14default_configENS1_27scan_by_key_config_selectorIj11FixedVectorIiLj8EEEEZZNS1_16scan_by_key_implILNS1_25lookback_scan_determinismE0ELb1ES3_N6thrust23THRUST_200600_302600_NS6detail15normal_iteratorINSB_10device_ptrIjEEEENSD_INSE_IS6_EEEESI_S6_NSB_4plusIvEENSB_8equal_toIvEES6_EE10hipError_tPvRmT2_T3_T4_T5_mT6_T7_P12ihipStream_tbENKUlT_T0_E_clISt17integral_constantIbLb0EES12_IbLb1EEEEDaSY_SZ_EUlSY_E_NS1_11comp_targetILNS1_3genE5ELNS1_11target_archE942ELNS1_3gpuE9ELNS1_3repE0EEENS1_30default_config_static_selectorELNS0_4arch9wavefront6targetE1EEEvT1_,comdat
	.protected	_ZN7rocprim17ROCPRIM_400000_NS6detail17trampoline_kernelINS0_14default_configENS1_27scan_by_key_config_selectorIj11FixedVectorIiLj8EEEEZZNS1_16scan_by_key_implILNS1_25lookback_scan_determinismE0ELb1ES3_N6thrust23THRUST_200600_302600_NS6detail15normal_iteratorINSB_10device_ptrIjEEEENSD_INSE_IS6_EEEESI_S6_NSB_4plusIvEENSB_8equal_toIvEES6_EE10hipError_tPvRmT2_T3_T4_T5_mT6_T7_P12ihipStream_tbENKUlT_T0_E_clISt17integral_constantIbLb0EES12_IbLb1EEEEDaSY_SZ_EUlSY_E_NS1_11comp_targetILNS1_3genE5ELNS1_11target_archE942ELNS1_3gpuE9ELNS1_3repE0EEENS1_30default_config_static_selectorELNS0_4arch9wavefront6targetE1EEEvT1_ ; -- Begin function _ZN7rocprim17ROCPRIM_400000_NS6detail17trampoline_kernelINS0_14default_configENS1_27scan_by_key_config_selectorIj11FixedVectorIiLj8EEEEZZNS1_16scan_by_key_implILNS1_25lookback_scan_determinismE0ELb1ES3_N6thrust23THRUST_200600_302600_NS6detail15normal_iteratorINSB_10device_ptrIjEEEENSD_INSE_IS6_EEEESI_S6_NSB_4plusIvEENSB_8equal_toIvEES6_EE10hipError_tPvRmT2_T3_T4_T5_mT6_T7_P12ihipStream_tbENKUlT_T0_E_clISt17integral_constantIbLb0EES12_IbLb1EEEEDaSY_SZ_EUlSY_E_NS1_11comp_targetILNS1_3genE5ELNS1_11target_archE942ELNS1_3gpuE9ELNS1_3repE0EEENS1_30default_config_static_selectorELNS0_4arch9wavefront6targetE1EEEvT1_
	.globl	_ZN7rocprim17ROCPRIM_400000_NS6detail17trampoline_kernelINS0_14default_configENS1_27scan_by_key_config_selectorIj11FixedVectorIiLj8EEEEZZNS1_16scan_by_key_implILNS1_25lookback_scan_determinismE0ELb1ES3_N6thrust23THRUST_200600_302600_NS6detail15normal_iteratorINSB_10device_ptrIjEEEENSD_INSE_IS6_EEEESI_S6_NSB_4plusIvEENSB_8equal_toIvEES6_EE10hipError_tPvRmT2_T3_T4_T5_mT6_T7_P12ihipStream_tbENKUlT_T0_E_clISt17integral_constantIbLb0EES12_IbLb1EEEEDaSY_SZ_EUlSY_E_NS1_11comp_targetILNS1_3genE5ELNS1_11target_archE942ELNS1_3gpuE9ELNS1_3repE0EEENS1_30default_config_static_selectorELNS0_4arch9wavefront6targetE1EEEvT1_
	.p2align	8
	.type	_ZN7rocprim17ROCPRIM_400000_NS6detail17trampoline_kernelINS0_14default_configENS1_27scan_by_key_config_selectorIj11FixedVectorIiLj8EEEEZZNS1_16scan_by_key_implILNS1_25lookback_scan_determinismE0ELb1ES3_N6thrust23THRUST_200600_302600_NS6detail15normal_iteratorINSB_10device_ptrIjEEEENSD_INSE_IS6_EEEESI_S6_NSB_4plusIvEENSB_8equal_toIvEES6_EE10hipError_tPvRmT2_T3_T4_T5_mT6_T7_P12ihipStream_tbENKUlT_T0_E_clISt17integral_constantIbLb0EES12_IbLb1EEEEDaSY_SZ_EUlSY_E_NS1_11comp_targetILNS1_3genE5ELNS1_11target_archE942ELNS1_3gpuE9ELNS1_3repE0EEENS1_30default_config_static_selectorELNS0_4arch9wavefront6targetE1EEEvT1_,@function
_ZN7rocprim17ROCPRIM_400000_NS6detail17trampoline_kernelINS0_14default_configENS1_27scan_by_key_config_selectorIj11FixedVectorIiLj8EEEEZZNS1_16scan_by_key_implILNS1_25lookback_scan_determinismE0ELb1ES3_N6thrust23THRUST_200600_302600_NS6detail15normal_iteratorINSB_10device_ptrIjEEEENSD_INSE_IS6_EEEESI_S6_NSB_4plusIvEENSB_8equal_toIvEES6_EE10hipError_tPvRmT2_T3_T4_T5_mT6_T7_P12ihipStream_tbENKUlT_T0_E_clISt17integral_constantIbLb0EES12_IbLb1EEEEDaSY_SZ_EUlSY_E_NS1_11comp_targetILNS1_3genE5ELNS1_11target_archE942ELNS1_3gpuE9ELNS1_3repE0EEENS1_30default_config_static_selectorELNS0_4arch9wavefront6targetE1EEEvT1_: ; @_ZN7rocprim17ROCPRIM_400000_NS6detail17trampoline_kernelINS0_14default_configENS1_27scan_by_key_config_selectorIj11FixedVectorIiLj8EEEEZZNS1_16scan_by_key_implILNS1_25lookback_scan_determinismE0ELb1ES3_N6thrust23THRUST_200600_302600_NS6detail15normal_iteratorINSB_10device_ptrIjEEEENSD_INSE_IS6_EEEESI_S6_NSB_4plusIvEENSB_8equal_toIvEES6_EE10hipError_tPvRmT2_T3_T4_T5_mT6_T7_P12ihipStream_tbENKUlT_T0_E_clISt17integral_constantIbLb0EES12_IbLb1EEEEDaSY_SZ_EUlSY_E_NS1_11comp_targetILNS1_3genE5ELNS1_11target_archE942ELNS1_3gpuE9ELNS1_3repE0EEENS1_30default_config_static_selectorELNS0_4arch9wavefront6targetE1EEEvT1_
; %bb.0:
	s_load_dwordx2 s[46:47], s[2:3], 0x68
	s_load_dwordx8 s[16:23], s[2:3], 0x48
	v_and_b32_e32 v16, 0x3ff, v0
	v_cmp_ne_u32_e64 s[4:5], 0, v16
	v_cmp_eq_u32_e64 s[6:7], 0, v16
	s_and_saveexec_b64 s[8:9], s[6:7]
	s_cbranch_execz .LBB2187_4
; %bb.1:
	s_mov_b64 s[12:13], exec
	v_mbcnt_lo_u32_b32 v1, s12, 0
	v_mbcnt_hi_u32_b32 v1, s13, v1
	v_cmp_eq_u32_e32 vcc, 0, v1
                                        ; implicit-def: $vgpr2
	s_and_saveexec_b64 s[10:11], vcc
	s_cbranch_execz .LBB2187_3
; %bb.2:
	s_load_dwordx2 s[14:15], s[2:3], 0x98
	s_bcnt1_i32_b64 s12, s[12:13]
	v_mov_b32_e32 v2, 0
	v_mov_b32_e32 v3, s12
	s_waitcnt lgkmcnt(0)
	global_atomic_add v2, v2, v3, s[14:15] sc0
.LBB2187_3:
	s_or_b64 exec, exec, s[10:11]
	s_waitcnt vmcnt(0)
	v_readfirstlane_b32 s10, v2
	v_mov_b32_e32 v2, 0
	s_nop 0
	v_add_u32_e32 v1, s10, v1
	ds_write_b32 v2, v1
.LBB2187_4:
	s_or_b64 exec, exec, s[8:9]
	s_load_dwordx8 s[8:15], s[2:3], 0x0
	s_load_dwordx8 s[24:31], s[2:3], 0x20
	s_waitcnt lgkmcnt(0)
	s_load_dword s23, s[2:3], 0x70
	s_load_dwordx4 s[36:39], s[2:3], 0x78
	v_mov_b32_e32 v2, 0
	s_waitcnt lgkmcnt(0)
	s_barrier
	ds_read_b32 v1, v2
	s_mov_b32 s40, 0
	s_mov_b32 s41, s40
	;; [unrolled: 1-line block ×4, first 2 shown]
	v_mov_b64_e32 v[4:5], s[40:41]
	s_waitcnt lgkmcnt(0)
	v_readfirstlane_b32 s33, v1
	v_mov_b64_e32 v[6:7], s[42:43]
	v_mov_b32_e32 v3, v2
	s_barrier
	s_barrier
	scratch_store_dword off, v2, off offset:304
	scratch_store_dwordx4 off, v[4:7], off offset:288
	scratch_store_dwordx4 off, v[4:7], off offset:272
.LBB2187_5:                             ; =>This Inner Loop Header: Depth=1
	s_add_i32 s2, s40, 0x110
	s_add_i32 s40, s40, 8
	s_cmp_lg_u32 s40, 32
	scratch_store_dwordx2 off, v[2:3], s2
	s_cbranch_scc1 .LBB2187_5
; %bb.6:
	s_mov_b32 s40, 0
	s_mov_b32 s41, s40
	v_mov_b32_e32 v2, 0
	v_mov_b32_e32 v1, 0x110
	s_mov_b32 s42, s40
	s_mov_b32 s43, s40
	v_mov_b64_e32 v[4:5], s[40:41]
	s_mov_b32 s2, 36
	v_add_u32_e32 v20, 36, v1
	v_mov_b64_e32 v[6:7], s[42:43]
	v_mov_b32_e32 v3, v2
	scratch_store_byte off, v2, off offset:304
	scratch_store_dword off, v2, off offset:340
	scratch_store_dwordx4 off, v[4:7], off offset:308
	scratch_store_dwordx4 off, v[4:7], off offset:324
.LBB2187_7:                             ; =>This Inner Loop Header: Depth=1
	s_add_i32 s3, s2, 0x110
	s_add_i32 s2, s2, 8
	s_cmpk_lg_i32 s2, 0x44
	scratch_store_dwordx2 off, v[2:3], s3
	s_cbranch_scc1 .LBB2187_7
; %bb.8:
	s_mov_b32 s40, 0
	s_mov_b32 s41, s40
	v_mov_b32_e32 v2, 0
	v_mov_b32_e32 v1, 0x110
	s_mov_b32 s42, s40
	s_mov_b32 s43, s40
	v_mov_b64_e32 v[4:5], s[40:41]
	s_movk_i32 s2, 0x48
	v_add_u32_e32 v21, 0x48, v1
	v_mov_b64_e32 v[6:7], s[42:43]
	v_mov_b32_e32 v3, v2
	scratch_store_byte off, v2, off offset:340
	scratch_store_dword off, v2, off offset:376
	scratch_store_dwordx4 off, v[4:7], off offset:344
	scratch_store_dwordx4 off, v[4:7], off offset:360
.LBB2187_9:                             ; =>This Inner Loop Header: Depth=1
	s_add_i32 s3, s2, 0x110
	s_add_i32 s2, s2, 8
	s_cmpk_lg_i32 s2, 0x68
	scratch_store_dwordx2 off, v[2:3], s3
	s_cbranch_scc1 .LBB2187_9
; %bb.10:
	v_mov_b32_e32 v2, 0
	v_mov_b32_e32 v4, s24
	;; [unrolled: 1-line block ×5, first 2 shown]
	s_mov_b32 s2, 0
	scratch_store_dwordx4 off, v[4:7], off offset:96
	v_mov_b32_e32 v3, v2
	scratch_store_byte off, v2, off offset:376
	v_mov_b32_e32 v4, s28
	v_mov_b32_e32 v5, s29
	;; [unrolled: 1-line block ×4, first 2 shown]
	scratch_store_dwordx4 off, v[4:7], off offset:112
.LBB2187_11:                            ; =>This Inner Loop Header: Depth=1
	s_add_i32 s3, s2, 0
	s_add_i32 s2, s2, 8
	s_cmp_lg_u32 s2, 32
	scratch_store_dwordx2 off, v[2:3], s3
	s_cbranch_scc1 .LBB2187_11
; %bb.12:
	v_mov_b32_e32 v2, 0
	s_mov_b32 s2, 32
	v_mov_b32_e32 v3, v2
.LBB2187_13:                            ; =>This Inner Loop Header: Depth=1
	s_add_i32 s3, s2, 0
	s_add_i32 s2, s2, 8
	s_cmp_lg_u32 s2, 64
	scratch_store_dwordx2 off, v[2:3], s3
	s_cbranch_scc1 .LBB2187_13
; %bb.14:
	v_mov_b32_e32 v2, 0
	s_mov_b32 s2, 64
	v_mov_b32_e32 v3, v2
.LBB2187_15:                            ; =>This Inner Loop Header: Depth=1
	s_add_i32 s3, s2, 0
	s_add_i32 s2, s2, 8
	s_cmpk_lg_i32 s2, 0x60
	scratch_store_dwordx2 off, v[2:3], s3
	s_cbranch_scc1 .LBB2187_15
; %bb.16:
	s_lshl_b64 s[2:3], s[10:11], 2
	s_add_u32 s40, s8, s2
	s_addc_u32 s41, s9, s3
	s_lshl_b64 s[34:35], s[10:11], 5
	s_add_u32 s10, s12, s34
	s_mul_i32 s2, s47, s23
	s_mul_hi_u32 s3, s46, s23
	s_addc_u32 s11, s13, s35
	s_add_i32 s12, s3, s2
	s_mul_i32 s2, s33, 0x300
	s_mov_b32 s3, 0
	s_lshl_b64 s[8:9], s[2:3], 2
	s_add_u32 s42, s40, s8
	s_addc_u32 s43, s41, s9
	s_lshl_b64 s[44:45], s[2:3], 5
	s_add_u32 s40, s10, s44
	s_mul_i32 s13, s46, s23
	s_addc_u32 s41, s11, s45
	s_add_u32 s2, s13, s33
	s_addc_u32 s3, s12, 0
	s_add_u32 s8, s36, -1
	v_mov_b32_e32 v2, 0
	s_addc_u32 s9, s37, -1
	v_add_u32_e32 v1, 64, v2
	v_add_u32_e32 v6, 32, v2
	v_mov_b64_e32 v[2:3], s[8:9]
	v_cmp_ge_u64_e64 s[2:3], s[2:3], v[2:3]
	s_mov_b64 s[10:11], -1
	s_and_b64 vcc, exec, s[2:3]
	s_mul_i32 s23, s8, 0xfffffd00
	s_cbranch_vccz .LBB2187_36
; %bb.17:
	v_mov_b64_e32 v[2:3], s[42:43]
	flat_load_dword v2, v[2:3]
	s_add_i32 s52, s23, s22
	v_cmp_gt_u32_e32 vcc, s52, v16
	s_waitcnt vmcnt(0) lgkmcnt(0)
	v_mov_b32_e32 v3, v2
	s_and_saveexec_b64 s[8:9], vcc
	s_cbranch_execz .LBB2187_19
; %bb.18:
	v_lshlrev_b32_e32 v4, 2, v16
	v_mov_b32_e32 v5, 0
	v_lshl_add_u64 v[4:5], s[42:43], 0, v[4:5]
	flat_load_dword v3, v[4:5]
.LBB2187_19:
	s_or_b64 exec, exec, s[8:9]
	v_or_b32_e32 v7, 0x100, v16
	v_cmp_gt_u32_e64 s[8:9], s52, v7
	v_mov_b32_e32 v4, v2
	s_and_saveexec_b64 s[10:11], s[8:9]
	s_cbranch_execz .LBB2187_21
; %bb.20:
	v_lshlrev_b32_e32 v4, 2, v16
	v_mov_b32_e32 v5, 0
	v_lshl_add_u64 v[4:5], s[42:43], 0, v[4:5]
	flat_load_dword v4, v[4:5] offset:1024
.LBB2187_21:
	s_or_b64 exec, exec, s[10:11]
	v_or_b32_e32 v8, 0x200, v16
	v_cmp_gt_u32_e64 s[10:11], s52, v8
	v_cmp_le_u32_e64 s[12:13], s52, v8
	s_and_saveexec_b64 s[36:37], s[12:13]
	s_xor_b64 s[12:13], exec, s[36:37]
; %bb.22:
	v_mov_b32_e32 v17, 0
; %bb.23:
	s_andn2_saveexec_b64 s[12:13], s[12:13]
	s_cbranch_execz .LBB2187_25
; %bb.24:
	v_mov_b32_e32 v17, 0
	v_lshlrev_b32_e32 v10, 2, v16
	v_mov_b32_e32 v11, v17
	v_lshl_add_u64 v[10:11], s[42:43], 0, v[10:11]
	flat_load_dword v2, v[10:11] offset:2048
.LBB2187_25:
	s_or_b64 exec, exec, s[12:13]
	v_lshlrev_b32_e32 v9, 2, v16
	s_waitcnt vmcnt(0) lgkmcnt(0)
	ds_write2st64_b32 v9, v3, v4 offset1:4
	ds_write_b32 v9, v2 offset:2048
	v_mov_b64_e32 v[2:3], s[42:43]
	s_waitcnt lgkmcnt(0)
	s_barrier
	flat_load_dword v4, v[2:3]
	v_lshl_add_u32 v2, v16, 3, v9
	ds_read_b32 v5, v2
	ds_read2_b32 v[2:3], v2 offset0:1 offset1:2
	s_movk_i32 s12, 0xff
	v_cmp_ne_u32_e64 s[12:13], s12, v16
	s_waitcnt lgkmcnt(0)
	ds_write_b32 v9, v5 offset:4096
	s_waitcnt lgkmcnt(0)
	s_barrier
	s_and_saveexec_b64 s[36:37], s[12:13]
	s_cbranch_execz .LBB2187_27
; %bb.26:
	s_waitcnt vmcnt(0)
	ds_read_b32 v4, v9 offset:4100
.LBB2187_27:
	s_or_b64 exec, exec, s[36:37]
	s_waitcnt lgkmcnt(0)
	s_barrier
	s_and_saveexec_b64 s[12:13], vcc
	s_cbranch_execnz .LBB2187_438
; %bb.28:
	s_or_b64 exec, exec, s[12:13]
	s_and_saveexec_b64 s[12:13], s[8:9]
	s_cbranch_execnz .LBB2187_439
.LBB2187_29:
	s_or_b64 exec, exec, s[12:13]
	v_mul_u32_u24_e32 v7, 3, v16
	s_and_saveexec_b64 s[8:9], s[10:11]
	s_cbranch_execz .LBB2187_31
.LBB2187_30:
	v_lshlrev_b32_e32 v10, 5, v8
	v_mov_b32_e32 v11, 0
	v_lshl_add_u64 v[14:15], s[40:41], 0, v[10:11]
	flat_load_dwordx4 v[10:13], v[14:15]
	flat_load_dwordx4 v[22:25], v[14:15] offset:16
	s_waitcnt vmcnt(0) lgkmcnt(0)
	scratch_store_dwordx4 off, v[10:13], off offset:64
	scratch_store_dwordx4 off, v[22:25], off offset:80
.LBB2187_31:
	s_or_b64 exec, exec, s[8:9]
	scratch_load_dwordx4 v[10:13], off, off
	scratch_load_dwordx4 v[22:25], off, off offset:16
	scratch_load_dwordx4 v[26:29], v6, off
	scratch_load_dwordx4 v[30:33], v6, off offset:16
	scratch_load_dwordx4 v[34:37], v1, off
	scratch_load_dwordx4 v[38:41], v1, off offset:16
	v_mad_u32_u24 v8, v16, 28, v9
	v_lshl_add_u32 v17, v16, 6, v8
	v_cmp_gt_u32_e32 vcc, s52, v7
	s_mov_b64 s[10:11], 0
	s_mov_b64 s[36:37], 0
                                        ; implicit-def: $sgpr8_sgpr9
	s_waitcnt vmcnt(0)
	ds_write_b128 v8, v[10:13]
	ds_write_b128 v8, v[22:25] offset:16
	ds_write_b128 v8, v[26:29] offset:8192
	;; [unrolled: 1-line block ×5, first 2 shown]
	s_waitcnt lgkmcnt(0)
	s_barrier
	ds_read_b128 v[8:11], v17
	ds_read_b128 v[12:15], v17 offset:16
	ds_read_b128 v[22:25], v17 offset:32
	;; [unrolled: 1-line block ×5, first 2 shown]
	s_waitcnt lgkmcnt(5)
	scratch_store_dwordx4 off, v[8:11], off
	s_waitcnt lgkmcnt(4)
	scratch_store_dwordx4 off, v[12:15], off offset:16
	s_waitcnt lgkmcnt(3)
	scratch_store_dwordx4 v6, v[22:25], off
	s_waitcnt lgkmcnt(2)
	scratch_store_dwordx4 v6, v[26:29], off offset:16
	s_waitcnt lgkmcnt(1)
	scratch_store_dwordx4 v1, v[30:33], off
	s_waitcnt lgkmcnt(0)
	scratch_store_dwordx4 v1, v[34:37], off offset:16
	s_and_saveexec_b64 s[12:13], vcc
	s_cbranch_execz .LBB2187_35
; %bb.32:
	v_cmp_ne_u32_e32 vcc, v5, v2
	v_mov_b32_e32 v5, 0x60
	v_mov_b32_e32 v8, 0
	v_cndmask_b32_e32 v18, v8, v5, vcc
	scratch_load_dwordx4 v[8:11], v18, off
	scratch_load_dwordx4 v[12:15], v18, off offset:16
	v_add_u32_e32 v18, 1, v7
	v_cndmask_b32_e64 v17, 0, 1, vcc
	v_cmp_gt_u32_e32 vcc, s52, v18
	s_mov_b64 s[48:49], 0
	scratch_store_byte off, v17, off offset:304
                                        ; implicit-def: $sgpr50_sgpr51
	s_waitcnt vmcnt(2)
	scratch_store_dwordx4 off, v[8:11], off offset:272
	s_waitcnt vmcnt(2)
	scratch_store_dwordx4 off, v[12:15], off offset:288
	s_and_saveexec_b64 s[8:9], vcc
	s_xor_b64 s[36:37], exec, s[8:9]
	s_cbranch_execz .LBB2187_34
; %bb.33:
	v_cmp_ne_u32_e32 vcc, v2, v3
	s_nop 1
	v_cndmask_b32_e32 v5, v6, v5, vcc
	scratch_load_dwordx4 v[8:11], v5, off
	scratch_load_dwordx4 v[12:15], v5, off offset:16
	v_cndmask_b32_e64 v2, 0, 1, vcc
	v_cmp_ne_u32_e32 vcc, v3, v4
	v_add_u32_e32 v3, 2, v7
	v_cmp_gt_u32_e64 s[8:9], s52, v3
	scratch_store_byte off, v2, off offset:340
	s_and_b64 s[50:51], vcc, exec
	s_and_b64 s[48:49], s[8:9], exec
	s_waitcnt vmcnt(2)
	scratch_store_dwordx4 v20, v[8:11], off
	s_waitcnt vmcnt(2)
	scratch_store_dwordx4 v20, v[12:15], off offset:16
.LBB2187_34:
	s_or_b64 exec, exec, s[36:37]
	s_and_b64 s[8:9], s[50:51], exec
	s_and_b64 s[36:37], s[48:49], exec
.LBB2187_35:
	s_or_b64 exec, exec, s[12:13]
	s_and_b64 vcc, exec, s[10:11]
	s_cbranch_vccnz .LBB2187_37
	s_branch .LBB2187_40
.LBB2187_36:
	s_mov_b64 s[36:37], 0
                                        ; implicit-def: $sgpr8_sgpr9
	s_and_b64 vcc, exec, s[10:11]
	s_cbranch_vccz .LBB2187_40
.LBB2187_37:
	v_mov_b32_e32 v5, 0
	v_lshlrev_b32_e32 v4, 2, v16
	v_lshl_add_u64 v[2:3], s[42:43], 0, v[4:5]
	flat_load_dword v7, v[2:3]
	flat_load_dword v8, v[2:3] offset:1024
	flat_load_dword v9, v[2:3] offset:2048
	v_mov_b64_e32 v[2:3], s[42:43]
	s_movk_i32 s8, 0xff
	v_cmp_ne_u32_e32 vcc, s8, v16
	s_waitcnt vmcnt(0) lgkmcnt(0)
	ds_write2st64_b32 v4, v7, v8 offset1:4
	ds_write_b32 v4, v9 offset:2048
	s_waitcnt lgkmcnt(0)
	s_barrier
	flat_load_dword v7, v[2:3] offset:3072
	v_lshl_add_u32 v2, v16, 3, v4
	ds_read_b32 v8, v2
	ds_read2_b32 v[2:3], v2 offset0:1 offset1:2
	s_waitcnt lgkmcnt(0)
	ds_write_b32 v4, v8 offset:4096
	s_waitcnt lgkmcnt(0)
	s_barrier
	s_and_saveexec_b64 s[8:9], vcc
	s_cbranch_execz .LBB2187_39
; %bb.38:
	s_waitcnt vmcnt(0)
	ds_read_b32 v7, v4 offset:4100
.LBB2187_39:
	s_or_b64 exec, exec, s[8:9]
	v_lshlrev_b32_e32 v10, 5, v16
	v_mov_b32_e32 v11, v5
	v_lshl_add_u64 v[14:15], s[40:41], 0, v[10:11]
	s_waitcnt lgkmcnt(0)
	s_barrier
	flat_load_dwordx4 v[10:13], v[14:15]
	flat_load_dwordx4 v[22:25], v[14:15] offset:16
	s_movk_i32 s8, 0x2000
	v_add_co_u32_e32 v18, vcc, s8, v14
	s_movk_i32 s8, 0x4000
	s_nop 0
	v_addc_co_u32_e32 v19, vcc, 0, v15, vcc
	v_add_co_u32_e32 v14, vcc, s8, v14
	v_mad_u32_u24 v4, v16, 28, v4
	s_nop 0
	v_addc_co_u32_e32 v15, vcc, 0, v15, vcc
	v_cmp_ne_u32_e32 vcc, v8, v2
	v_mov_b32_e32 v17, 0x60
	v_mov_b32_e32 v8, 0
	v_cmp_ne_u32_e64 s[8:9], v2, v3
	v_cndmask_b32_e64 v5, 0, 1, vcc
	s_mov_b64 s[36:37], -1
	v_cndmask_b32_e64 v2, 0, 1, s[8:9]
	s_waitcnt vmcnt(0) lgkmcnt(0)
	scratch_store_dwordx4 off, v[10:13], off
	scratch_store_dwordx4 off, v[22:25], off offset:16
	flat_load_dwordx4 v[26:29], v[18:19]
	flat_load_dwordx4 v[30:33], v[18:19] offset:16
	v_lshl_add_u32 v18, v16, 6, v4
	v_cndmask_b32_e32 v19, v8, v17, vcc
	s_waitcnt vmcnt(0) lgkmcnt(0)
	scratch_store_dwordx4 off, v[26:29], off offset:32
	scratch_store_dwordx4 off, v[30:33], off offset:48
	flat_load_dwordx4 v[26:29], v[14:15]
	s_nop 0
	flat_load_dwordx4 v[30:33], v[14:15] offset:16
	scratch_load_dwordx4 v[34:37], v6, off
	scratch_load_dwordx4 v[38:41], v6, off offset:16
	s_waitcnt vmcnt(0) lgkmcnt(0)
	scratch_store_dwordx4 off, v[26:29], off offset:64
	scratch_store_dwordx4 off, v[30:33], off offset:80
	scratch_load_dwordx4 v[26:29], v1, off
	s_nop 0
	scratch_load_dwordx4 v[30:33], v1, off offset:16
	ds_write_b128 v4, v[10:13]
	ds_write_b128 v4, v[22:25] offset:16
	ds_write_b128 v4, v[34:37] offset:8192
	;; [unrolled: 1-line block ×3, first 2 shown]
	s_waitcnt vmcnt(1)
	ds_write_b128 v4, v[26:29] offset:16384
	s_waitcnt vmcnt(0)
	ds_write_b128 v4, v[30:33] offset:16400
	s_waitcnt lgkmcnt(0)
	s_barrier
	ds_read_b128 v[8:11], v18
	ds_read_b128 v[12:15], v18 offset:16
	ds_read_b128 v[22:25], v18 offset:32
	;; [unrolled: 1-line block ×3, first 2 shown]
	s_waitcnt lgkmcnt(3)
	scratch_store_dwordx4 off, v[8:11], off
	s_waitcnt lgkmcnt(2)
	scratch_store_dwordx4 off, v[12:15], off offset:16
	s_waitcnt lgkmcnt(1)
	scratch_store_dwordx4 v6, v[22:25], off
	s_waitcnt lgkmcnt(0)
	scratch_store_dwordx4 v6, v[26:29], off offset:16
	v_cndmask_b32_e64 v4, v6, v17, s[8:9]
	scratch_load_dwordx4 v[8:11], v19, off offset:16
	scratch_load_dwordx4 v[12:15], v19, off
	scratch_load_dwordx4 v[22:25], v4, off offset:16
	scratch_load_dwordx4 v[26:29], v4, off
	ds_read_b128 v[30:33], v18 offset:64
	ds_read_b128 v[34:37], v18 offset:80
	v_cmp_ne_u32_e64 s[8:9], v3, v7
	scratch_store_byte off, v5, off offset:304
	scratch_store_byte off, v2, off offset:340
	s_waitcnt lgkmcnt(1)
	scratch_store_dwordx4 v1, v[30:33], off
	s_waitcnt lgkmcnt(0)
	scratch_store_dwordx4 v1, v[34:37], off offset:16
	s_waitcnt vmcnt(7)
	scratch_store_dwordx4 off, v[8:11], off offset:288
	s_waitcnt vmcnt(7)
	scratch_store_dwordx4 off, v[12:15], off offset:272
	s_waitcnt vmcnt(7)
	scratch_store_dwordx4 v20, v[22:25], off offset:16
	s_waitcnt vmcnt(7)
	scratch_store_dwordx4 v20, v[26:29], off
.LBB2187_40:
	s_and_saveexec_b64 s[10:11], s[36:37]
	s_cbranch_execz .LBB2187_42
; %bb.41:
	v_mov_b32_e32 v2, 0x60
	v_cndmask_b32_e64 v1, v1, v2, s[8:9]
	scratch_load_dwordx4 v[2:5], v1, off
	scratch_load_dwordx4 v[6:9], v1, off offset:16
	v_cndmask_b32_e64 v1, 0, 1, s[8:9]
	s_waitcnt vmcnt(1)
	scratch_store_dwordx4 v21, v[2:5], off
	s_waitcnt vmcnt(1)
	scratch_store_dwordx4 v21, v[6:9], off offset:16
	scratch_store_byte off, v1, off offset:376
.LBB2187_42:
	s_or_b64 exec, exec, s[10:11]
	s_cmp_lg_u32 s33, 0
	s_barrier
	s_cbranch_scc0 .LBB2187_309
; %bb.43:
	scratch_load_dwordx4 v[2:5], off, off offset:272
	scratch_load_dwordx4 v[6:9], off, off offset:288
	scratch_load_dword v1, off, off offset:304
	scratch_load_ubyte v10, off, off offset:340
	s_waitcnt vmcnt(3)
	scratch_store_dwordx4 off, v[2:5], off offset:204
	s_waitcnt vmcnt(3)
	scratch_store_dwordx4 off, v[6:9], off offset:220
	s_waitcnt vmcnt(3)
	scratch_store_dword off, v1, off offset:236
	s_waitcnt vmcnt(3)
	v_cmp_ne_u16_e32 vcc, 0, v10
                                        ; implicit-def: $vgpr8_vgpr9
                                        ; implicit-def: $vgpr4_vgpr5
	s_and_saveexec_b64 s[8:9], vcc
	s_xor_b64 s[8:9], exec, s[8:9]
	s_cbranch_execz .LBB2187_45
; %bb.44:
	scratch_load_dwordx4 v[2:5], off, off offset:308
	scratch_load_dwordx4 v[6:9], off, off offset:324
.LBB2187_45:
	s_andn2_saveexec_b64 s[8:9], s[8:9]
	s_cbranch_execz .LBB2187_51
; %bb.46:
	s_waitcnt vmcnt(1)
	v_mov_b32_e32 v2, 0
	s_mov_b32 s10, 0
	v_mov_b32_e32 v3, v2
.LBB2187_47:                            ; =>This Inner Loop Header: Depth=1
	s_add_i32 s11, s10, 0
	s_add_i32 s10, s10, 8
	s_cmp_lg_u32 s10, 32
	scratch_store_dwordx2 off, v[2:3], s11
	s_cbranch_scc1 .LBB2187_47
; %bb.48:
	s_mov_b32 s10, 0
.LBB2187_49:                            ; =>This Inner Loop Header: Depth=1
	s_add_i32 s11, s10, 0xcc
	s_waitcnt vmcnt(1)
	v_add_u32_e32 v6, s10, v20
	scratch_load_dwordx2 v[2:3], off, s11
	scratch_load_dwordx2 v[4:5], v6, off
	s_add_i32 s11, s10, 0
	s_add_i32 s10, s10, 8
	s_cmp_lg_u32 s10, 32
	s_waitcnt vmcnt(0)
	v_add_u32_e32 v3, v5, v3
	v_add_u32_e32 v2, v4, v2
	scratch_store_dwordx2 off, v[2:3], s11
	s_cbranch_scc1 .LBB2187_49
; %bb.50:
	scratch_load_dwordx4 v[2:5], off, off
	scratch_load_dwordx4 v[6:9], off, off offset:16
.LBB2187_51:
	s_or_b64 exec, exec, s[8:9]
	scratch_load_ubyte v11, off, off offset:376
	s_waitcnt vmcnt(2)
	scratch_store_dwordx4 off, v[2:5], off offset:204
	s_waitcnt vmcnt(2)
	scratch_store_dwordx4 off, v[6:9], off offset:220
                                        ; implicit-def: $vgpr8_vgpr9
                                        ; implicit-def: $vgpr4_vgpr5
	s_waitcnt vmcnt(2)
	v_cmp_ne_u16_e32 vcc, 0, v11
	s_and_saveexec_b64 s[8:9], vcc
	s_xor_b64 s[8:9], exec, s[8:9]
	s_cbranch_execz .LBB2187_53
; %bb.52:
	scratch_load_dwordx4 v[2:5], off, off offset:344
	scratch_load_dwordx4 v[6:9], off, off offset:360
.LBB2187_53:
	s_andn2_saveexec_b64 s[8:9], s[8:9]
	s_cbranch_execz .LBB2187_59
; %bb.54:
	s_waitcnt vmcnt(1)
	v_mov_b32_e32 v2, 0
	s_mov_b32 s10, 0
	v_mov_b32_e32 v3, v2
.LBB2187_55:                            ; =>This Inner Loop Header: Depth=1
	s_add_i32 s11, s10, 0
	s_add_i32 s10, s10, 8
	s_cmp_lg_u32 s10, 32
	scratch_store_dwordx2 off, v[2:3], s11
	s_cbranch_scc1 .LBB2187_55
; %bb.56:
	s_mov_b32 s10, 0
.LBB2187_57:                            ; =>This Inner Loop Header: Depth=1
	s_add_i32 s11, s10, 0xcc
	s_waitcnt vmcnt(1)
	v_add_u32_e32 v6, s10, v21
	scratch_load_dwordx2 v[2:3], off, s11
	scratch_load_dwordx2 v[4:5], v6, off
	s_add_i32 s11, s10, 0
	s_add_i32 s10, s10, 8
	s_cmp_lg_u32 s10, 32
	s_waitcnt vmcnt(0)
	v_add_u32_e32 v3, v5, v3
	v_add_u32_e32 v2, v4, v2
	scratch_store_dwordx2 off, v[2:3], s11
	s_cbranch_scc1 .LBB2187_57
; %bb.58:
	scratch_load_dwordx4 v[2:5], off, off
	scratch_load_dwordx4 v[6:9], off, off offset:16
.LBB2187_59:
	s_or_b64 exec, exec, s[8:9]
	v_or_b32_e32 v10, v11, v10
	v_or_b32_e32 v1, v10, v1
	v_and_b32_e32 v1, 1, v1
	scratch_store_byte off, v1, off offset:236
	scratch_load_dword v12, off, off offset:236
	v_mbcnt_lo_u32_b32 v1, -1, 0
	v_mbcnt_hi_u32_b32 v1, -1, v1
	v_and_b32_e32 v13, 15, v1
	s_waitcnt vmcnt(3)
	v_mov_b32_dpp v22, v2 row_shr:1 row_mask:0xf bank_mask:0xf
	v_mov_b32_dpp v23, v3 row_shr:1 row_mask:0xf bank_mask:0xf
	;; [unrolled: 1-line block ×4, first 2 shown]
	v_cmp_ne_u32_e32 vcc, 0, v13
	scratch_store_dwordx4 off, v[2:5], off offset:204
	s_waitcnt vmcnt(3)
	scratch_store_dwordx4 off, v[6:9], off offset:220
	v_mov_b32_dpp v26, v6 row_shr:1 row_mask:0xf bank_mask:0xf
	v_mov_b32_dpp v27, v7 row_shr:1 row_mask:0xf bank_mask:0xf
	v_mov_b32_dpp v28, v8 row_shr:1 row_mask:0xf bank_mask:0xf
	v_mov_b32_dpp v29, v9 row_shr:1 row_mask:0xf bank_mask:0xf
	scratch_store_dwordx4 off, v[22:25], off
	scratch_store_dwordx4 off, v[26:29], off offset:16
	s_waitcnt vmcnt(4)
	v_mov_b32_dpp v14, v12 row_shr:1 row_mask:0xf bank_mask:0xf
	scratch_store_dword off, v14, off offset:32
	s_and_saveexec_b64 s[8:9], vcc
	s_xor_b64 s[8:9], exec, s[8:9]
	s_cbranch_execz .LBB2187_67
; %bb.60:
	v_mov_b32_e32 v10, 0
	v_cmp_eq_u16_sdwa s[12:13], v12, v10 src0_sel:BYTE_0 src1_sel:DWORD
	s_and_saveexec_b64 s[10:11], s[12:13]
	s_cbranch_execz .LBB2187_66
; %bb.61:
	s_mov_b32 s12, 0
	v_mov_b32_e32 v11, v10
.LBB2187_62:                            ; =>This Inner Loop Header: Depth=1
	s_add_i32 s13, s12, 0x60
	s_add_i32 s12, s12, 8
	s_cmp_lg_u32 s12, 32
	scratch_store_dwordx2 off, v[10:11], s13
	s_cbranch_scc1 .LBB2187_62
; %bb.63:
	s_mov_b32 s12, 0
.LBB2187_64:                            ; =>This Inner Loop Header: Depth=1
	s_add_i32 s13, s12, 0
	s_add_i32 s36, s12, 0xcc
	scratch_load_dwordx2 v[2:3], off, s13
	scratch_load_dwordx2 v[4:5], off, s36
	s_add_i32 s13, s12, 0x60
	s_add_i32 s12, s12, 8
	s_cmp_lg_u32 s12, 32
	s_waitcnt vmcnt(0)
	v_add_u32_e32 v3, v5, v3
	v_add_u32_e32 v2, v4, v2
	scratch_store_dwordx2 off, v[2:3], s13
	s_cbranch_scc1 .LBB2187_64
; %bb.65:
	scratch_load_dwordx4 v[2:5], off, off offset:96
	scratch_load_dwordx4 v[6:9], off, off offset:112
.LBB2187_66:
	s_or_b64 exec, exec, s[10:11]
	v_or_b32_e32 v10, v14, v12
	v_and_b32_e32 v10, 1, v10
	scratch_store_byte off, v10, off offset:236
	scratch_load_dword v12, off, off offset:236
	s_waitcnt vmcnt(3)
	scratch_store_dwordx4 off, v[2:5], off offset:204
	s_waitcnt vmcnt(3)
	scratch_store_dwordx4 off, v[6:9], off offset:220
.LBB2187_67:
	s_or_b64 exec, exec, s[8:9]
	v_mov_b32_dpp v22, v2 row_shr:2 row_mask:0xf bank_mask:0xf
	v_mov_b32_dpp v23, v3 row_shr:2 row_mask:0xf bank_mask:0xf
	v_mov_b32_dpp v24, v4 row_shr:2 row_mask:0xf bank_mask:0xf
	v_mov_b32_dpp v25, v5 row_shr:2 row_mask:0xf bank_mask:0xf
	s_waitcnt vmcnt(2)
	v_mov_b32_dpp v14, v12 row_shr:2 row_mask:0xf bank_mask:0xf
	v_cmp_lt_u32_e32 vcc, 1, v13
	v_mov_b32_dpp v26, v6 row_shr:2 row_mask:0xf bank_mask:0xf
	v_mov_b32_dpp v27, v7 row_shr:2 row_mask:0xf bank_mask:0xf
	;; [unrolled: 1-line block ×4, first 2 shown]
	scratch_store_dwordx4 off, v[22:25], off
	scratch_store_dwordx4 off, v[26:29], off offset:16
	scratch_store_dword off, v14, off offset:32
	s_and_saveexec_b64 s[10:11], vcc
	s_cbranch_execz .LBB2187_75
; %bb.68:
	v_mov_b32_e32 v10, 0
	s_mov_b32 s12, 0
	v_cmp_eq_u16_sdwa s[36:37], v12, v10 src0_sel:BYTE_0 src1_sel:DWORD
	s_and_saveexec_b64 s[8:9], s[36:37]
	s_cbranch_execz .LBB2187_74
; %bb.69:
	v_mov_b32_e32 v11, v10
.LBB2187_70:                            ; =>This Inner Loop Header: Depth=1
	s_add_i32 s13, s12, 0x60
	s_add_i32 s12, s12, 8
	s_cmp_lg_u32 s12, 32
	scratch_store_dwordx2 off, v[10:11], s13
	s_cbranch_scc1 .LBB2187_70
; %bb.71:
	s_mov_b32 s12, 0
.LBB2187_72:                            ; =>This Inner Loop Header: Depth=1
	s_add_i32 s13, s12, 0
	s_add_i32 s36, s12, 0xcc
	scratch_load_dwordx2 v[2:3], off, s13
	scratch_load_dwordx2 v[4:5], off, s36
	s_add_i32 s13, s12, 0x60
	s_add_i32 s12, s12, 8
	s_cmp_lg_u32 s12, 32
	s_waitcnt vmcnt(0)
	v_add_u32_e32 v3, v5, v3
	v_add_u32_e32 v2, v4, v2
	scratch_store_dwordx2 off, v[2:3], s13
	s_cbranch_scc1 .LBB2187_72
; %bb.73:
	scratch_load_dwordx4 v[2:5], off, off offset:96
	scratch_load_dwordx4 v[6:9], off, off offset:112
.LBB2187_74:
	s_or_b64 exec, exec, s[8:9]
	v_and_b32_e32 v10, 1, v12
	v_cmp_eq_u32_e32 vcc, 1, v10
	v_and_b32_e32 v10, 1, v14
	v_cmp_eq_u32_e64 s[8:9], 1, v10
	s_or_b64 s[8:9], vcc, s[8:9]
	s_nop 0
	v_cndmask_b32_e64 v10, 0, 1, s[8:9]
	scratch_store_byte off, v10, off offset:236
	scratch_load_dword v12, off, off offset:236
	s_waitcnt vmcnt(3)
	scratch_store_dwordx4 off, v[2:5], off offset:204
	s_waitcnt vmcnt(3)
	scratch_store_dwordx4 off, v[6:9], off offset:220
.LBB2187_75:
	s_or_b64 exec, exec, s[10:11]
	v_mov_b32_dpp v22, v2 row_shr:4 row_mask:0xf bank_mask:0xf
	v_mov_b32_dpp v23, v3 row_shr:4 row_mask:0xf bank_mask:0xf
	;; [unrolled: 1-line block ×4, first 2 shown]
	s_waitcnt vmcnt(2)
	v_mov_b32_dpp v14, v12 row_shr:4 row_mask:0xf bank_mask:0xf
	v_cmp_lt_u32_e32 vcc, 3, v13
	v_mov_b32_dpp v26, v6 row_shr:4 row_mask:0xf bank_mask:0xf
	v_mov_b32_dpp v27, v7 row_shr:4 row_mask:0xf bank_mask:0xf
	v_mov_b32_dpp v28, v8 row_shr:4 row_mask:0xf bank_mask:0xf
	v_mov_b32_dpp v29, v9 row_shr:4 row_mask:0xf bank_mask:0xf
	scratch_store_dwordx4 off, v[22:25], off
	scratch_store_dwordx4 off, v[26:29], off offset:16
	scratch_store_dword off, v14, off offset:32
	s_and_saveexec_b64 s[10:11], vcc
	s_cbranch_execz .LBB2187_83
; %bb.76:
	v_mov_b32_e32 v10, 0
	s_mov_b32 s12, 0
	v_cmp_eq_u16_sdwa s[36:37], v12, v10 src0_sel:BYTE_0 src1_sel:DWORD
	s_and_saveexec_b64 s[8:9], s[36:37]
	s_cbranch_execz .LBB2187_82
; %bb.77:
	v_mov_b32_e32 v11, v10
.LBB2187_78:                            ; =>This Inner Loop Header: Depth=1
	s_add_i32 s13, s12, 0x60
	s_add_i32 s12, s12, 8
	s_cmp_lg_u32 s12, 32
	scratch_store_dwordx2 off, v[10:11], s13
	s_cbranch_scc1 .LBB2187_78
; %bb.79:
	s_mov_b32 s12, 0
.LBB2187_80:                            ; =>This Inner Loop Header: Depth=1
	s_add_i32 s13, s12, 0
	s_add_i32 s36, s12, 0xcc
	scratch_load_dwordx2 v[2:3], off, s13
	scratch_load_dwordx2 v[4:5], off, s36
	s_add_i32 s13, s12, 0x60
	s_add_i32 s12, s12, 8
	s_cmp_lg_u32 s12, 32
	s_waitcnt vmcnt(0)
	v_add_u32_e32 v3, v5, v3
	v_add_u32_e32 v2, v4, v2
	scratch_store_dwordx2 off, v[2:3], s13
	s_cbranch_scc1 .LBB2187_80
; %bb.81:
	scratch_load_dwordx4 v[2:5], off, off offset:96
	scratch_load_dwordx4 v[6:9], off, off offset:112
.LBB2187_82:
	s_or_b64 exec, exec, s[8:9]
	v_and_b32_e32 v10, 1, v12
	v_cmp_eq_u32_e32 vcc, 1, v10
	v_and_b32_e32 v10, 1, v14
	v_cmp_eq_u32_e64 s[8:9], 1, v10
	s_or_b64 s[8:9], vcc, s[8:9]
	s_nop 0
	v_cndmask_b32_e64 v10, 0, 1, s[8:9]
	scratch_store_byte off, v10, off offset:236
	scratch_load_dword v12, off, off offset:236
	s_waitcnt vmcnt(3)
	scratch_store_dwordx4 off, v[2:5], off offset:204
	s_waitcnt vmcnt(3)
	scratch_store_dwordx4 off, v[6:9], off offset:220
.LBB2187_83:
	s_or_b64 exec, exec, s[10:11]
	v_mov_b32_dpp v22, v2 row_shr:8 row_mask:0xf bank_mask:0xf
	v_mov_b32_dpp v23, v3 row_shr:8 row_mask:0xf bank_mask:0xf
	;; [unrolled: 1-line block ×4, first 2 shown]
	s_waitcnt vmcnt(2)
	v_mov_b32_dpp v14, v12 row_shr:8 row_mask:0xf bank_mask:0xf
	v_cmp_lt_u32_e32 vcc, 7, v13
	v_mov_b32_dpp v26, v6 row_shr:8 row_mask:0xf bank_mask:0xf
	v_mov_b32_dpp v27, v7 row_shr:8 row_mask:0xf bank_mask:0xf
	;; [unrolled: 1-line block ×4, first 2 shown]
	scratch_store_dwordx4 off, v[22:25], off
	scratch_store_dwordx4 off, v[26:29], off offset:16
	scratch_store_dword off, v14, off offset:32
	s_and_saveexec_b64 s[10:11], vcc
	s_cbranch_execz .LBB2187_91
; %bb.84:
	v_mov_b32_e32 v10, 0
	s_mov_b32 s12, 0
	v_cmp_eq_u16_sdwa s[36:37], v12, v10 src0_sel:BYTE_0 src1_sel:DWORD
	s_and_saveexec_b64 s[8:9], s[36:37]
	s_cbranch_execz .LBB2187_90
; %bb.85:
	v_mov_b32_e32 v11, v10
.LBB2187_86:                            ; =>This Inner Loop Header: Depth=1
	s_add_i32 s13, s12, 0x60
	s_add_i32 s12, s12, 8
	s_cmp_lg_u32 s12, 32
	scratch_store_dwordx2 off, v[10:11], s13
	s_cbranch_scc1 .LBB2187_86
; %bb.87:
	s_mov_b32 s12, 0
.LBB2187_88:                            ; =>This Inner Loop Header: Depth=1
	s_add_i32 s13, s12, 0
	s_add_i32 s36, s12, 0xcc
	scratch_load_dwordx2 v[2:3], off, s13
	scratch_load_dwordx2 v[4:5], off, s36
	s_add_i32 s13, s12, 0x60
	s_add_i32 s12, s12, 8
	s_cmp_lg_u32 s12, 32
	s_waitcnt vmcnt(0)
	v_add_u32_e32 v3, v5, v3
	v_add_u32_e32 v2, v4, v2
	scratch_store_dwordx2 off, v[2:3], s13
	s_cbranch_scc1 .LBB2187_88
; %bb.89:
	scratch_load_dwordx4 v[2:5], off, off offset:96
	scratch_load_dwordx4 v[6:9], off, off offset:112
.LBB2187_90:
	s_or_b64 exec, exec, s[8:9]
	v_and_b32_e32 v10, 1, v12
	v_cmp_eq_u32_e32 vcc, 1, v10
	v_and_b32_e32 v10, 1, v14
	v_cmp_eq_u32_e64 s[8:9], 1, v10
	s_or_b64 s[8:9], vcc, s[8:9]
	s_nop 0
	v_cndmask_b32_e64 v10, 0, 1, s[8:9]
	scratch_store_byte off, v10, off offset:236
	scratch_load_dword v12, off, off offset:236
	s_waitcnt vmcnt(3)
	scratch_store_dwordx4 off, v[2:5], off offset:204
	s_waitcnt vmcnt(3)
	scratch_store_dwordx4 off, v[6:9], off offset:220
.LBB2187_91:
	s_or_b64 exec, exec, s[10:11]
	v_and_b32_e32 v10, 16, v1
	v_mov_b32_dpp v22, v2 row_bcast:15 row_mask:0xf bank_mask:0xf
	v_mov_b32_dpp v23, v3 row_bcast:15 row_mask:0xf bank_mask:0xf
	v_mov_b32_dpp v24, v4 row_bcast:15 row_mask:0xf bank_mask:0xf
	v_mov_b32_dpp v25, v5 row_bcast:15 row_mask:0xf bank_mask:0xf
	s_waitcnt vmcnt(2)
	v_mov_b32_dpp v13, v12 row_bcast:15 row_mask:0xf bank_mask:0xf
	v_cmp_ne_u32_e32 vcc, 0, v10
	v_mov_b32_dpp v26, v6 row_bcast:15 row_mask:0xf bank_mask:0xf
	v_mov_b32_dpp v27, v7 row_bcast:15 row_mask:0xf bank_mask:0xf
	v_mov_b32_dpp v28, v8 row_bcast:15 row_mask:0xf bank_mask:0xf
	v_mov_b32_dpp v29, v9 row_bcast:15 row_mask:0xf bank_mask:0xf
	scratch_store_dwordx4 off, v[22:25], off
	scratch_store_dwordx4 off, v[26:29], off offset:16
	scratch_store_dword off, v13, off offset:32
	s_and_saveexec_b64 s[10:11], vcc
	s_cbranch_execz .LBB2187_99
; %bb.92:
	v_mov_b32_e32 v10, 0
	s_mov_b32 s12, 0
	v_cmp_eq_u16_sdwa s[36:37], v12, v10 src0_sel:BYTE_0 src1_sel:DWORD
	s_and_saveexec_b64 s[8:9], s[36:37]
	s_cbranch_execz .LBB2187_98
; %bb.93:
	v_mov_b32_e32 v11, v10
.LBB2187_94:                            ; =>This Inner Loop Header: Depth=1
	s_add_i32 s13, s12, 0x60
	s_add_i32 s12, s12, 8
	s_cmp_lg_u32 s12, 32
	scratch_store_dwordx2 off, v[10:11], s13
	s_cbranch_scc1 .LBB2187_94
; %bb.95:
	s_mov_b32 s12, 0
.LBB2187_96:                            ; =>This Inner Loop Header: Depth=1
	s_add_i32 s13, s12, 0
	s_add_i32 s36, s12, 0xcc
	scratch_load_dwordx2 v[2:3], off, s13
	scratch_load_dwordx2 v[4:5], off, s36
	s_add_i32 s13, s12, 0x60
	s_add_i32 s12, s12, 8
	s_cmp_lg_u32 s12, 32
	s_waitcnt vmcnt(0)
	v_add_u32_e32 v3, v5, v3
	v_add_u32_e32 v2, v4, v2
	scratch_store_dwordx2 off, v[2:3], s13
	s_cbranch_scc1 .LBB2187_96
; %bb.97:
	scratch_load_dwordx4 v[2:5], off, off offset:96
	scratch_load_dwordx4 v[6:9], off, off offset:112
.LBB2187_98:
	s_or_b64 exec, exec, s[8:9]
	v_and_b32_e32 v10, 1, v12
	v_cmp_eq_u32_e32 vcc, 1, v10
	v_and_b32_e32 v10, 1, v13
	v_cmp_eq_u32_e64 s[8:9], 1, v10
	s_or_b64 s[8:9], vcc, s[8:9]
	s_nop 0
	v_cndmask_b32_e64 v10, 0, 1, s[8:9]
	scratch_store_byte off, v10, off offset:236
	scratch_load_dword v12, off, off offset:236
	s_waitcnt vmcnt(3)
	scratch_store_dwordx4 off, v[2:5], off offset:204
	s_waitcnt vmcnt(3)
	scratch_store_dwordx4 off, v[6:9], off offset:220
.LBB2187_99:
	s_or_b64 exec, exec, s[10:11]
	v_mov_b32_dpp v22, v2 row_bcast:31 row_mask:0xf bank_mask:0xf
	v_mov_b32_dpp v23, v3 row_bcast:31 row_mask:0xf bank_mask:0xf
	v_mov_b32_dpp v24, v4 row_bcast:31 row_mask:0xf bank_mask:0xf
	v_mov_b32_dpp v25, v5 row_bcast:31 row_mask:0xf bank_mask:0xf
	s_waitcnt vmcnt(2)
	v_mov_b32_dpp v13, v12 row_bcast:31 row_mask:0xf bank_mask:0xf
	v_cmp_lt_u32_e32 vcc, 31, v1
	v_mov_b32_dpp v26, v6 row_bcast:31 row_mask:0xf bank_mask:0xf
	v_mov_b32_dpp v27, v7 row_bcast:31 row_mask:0xf bank_mask:0xf
	v_mov_b32_dpp v28, v8 row_bcast:31 row_mask:0xf bank_mask:0xf
	v_mov_b32_dpp v29, v9 row_bcast:31 row_mask:0xf bank_mask:0xf
	scratch_store_dwordx4 off, v[22:25], off
	scratch_store_dwordx4 off, v[26:29], off offset:16
	scratch_store_dword off, v13, off offset:32
	s_and_saveexec_b64 s[10:11], vcc
	s_cbranch_execz .LBB2187_107
; %bb.100:
	v_mov_b32_e32 v10, 0
	s_mov_b32 s12, 0
	v_cmp_eq_u16_sdwa s[36:37], v12, v10 src0_sel:BYTE_0 src1_sel:DWORD
	s_and_saveexec_b64 s[8:9], s[36:37]
	s_cbranch_execz .LBB2187_106
; %bb.101:
	v_mov_b32_e32 v11, v10
.LBB2187_102:                           ; =>This Inner Loop Header: Depth=1
	s_add_i32 s13, s12, 0x60
	s_add_i32 s12, s12, 8
	s_cmp_lg_u32 s12, 32
	scratch_store_dwordx2 off, v[10:11], s13
	s_cbranch_scc1 .LBB2187_102
; %bb.103:
	s_mov_b32 s12, 0
.LBB2187_104:                           ; =>This Inner Loop Header: Depth=1
	s_add_i32 s13, s12, 0
	s_add_i32 s36, s12, 0xcc
	scratch_load_dwordx2 v[2:3], off, s13
	scratch_load_dwordx2 v[4:5], off, s36
	s_add_i32 s13, s12, 0x60
	s_add_i32 s12, s12, 8
	s_cmp_lg_u32 s12, 32
	s_waitcnt vmcnt(0)
	v_add_u32_e32 v3, v5, v3
	v_add_u32_e32 v2, v4, v2
	scratch_store_dwordx2 off, v[2:3], s13
	s_cbranch_scc1 .LBB2187_104
; %bb.105:
	scratch_load_dwordx4 v[2:5], off, off offset:96
	scratch_load_dwordx4 v[6:9], off, off offset:112
.LBB2187_106:
	s_or_b64 exec, exec, s[8:9]
	v_and_b32_e32 v10, 1, v12
	v_cmp_eq_u32_e32 vcc, 1, v10
	v_and_b32_e32 v10, 1, v13
	v_cmp_eq_u32_e64 s[8:9], 1, v10
	s_or_b64 s[8:9], vcc, s[8:9]
	s_nop 0
	v_cndmask_b32_e64 v12, 0, 1, s[8:9]
	s_waitcnt vmcnt(1)
	scratch_store_dwordx4 off, v[2:5], off offset:204
	s_waitcnt vmcnt(1)
	scratch_store_dwordx4 off, v[6:9], off offset:220
	scratch_store_byte off, v12, off offset:236
.LBB2187_107:
	s_or_b64 exec, exec, s[10:11]
	v_or_b32_e32 v10, 63, v16
	v_lshrrev_b32_e32 v13, 6, v16
	v_cmp_eq_u32_e32 vcc, v10, v16
	s_and_saveexec_b64 s[8:9], vcc
	s_cbranch_execz .LBB2187_109
; %bb.108:
	v_mul_u32_u24_e32 v10, 36, v13
	ds_write2_b32 v10, v2, v3 offset1:1
	ds_write2_b32 v10, v4, v5 offset0:2 offset1:3
	ds_write2_b32 v10, v6, v7 offset0:4 offset1:5
	;; [unrolled: 1-line block ×3, first 2 shown]
	ds_write_b8 v10, v12 offset:32
.LBB2187_109:
	s_or_b64 exec, exec, s[8:9]
	v_cmp_gt_u32_e32 vcc, 4, v16
	s_waitcnt lgkmcnt(0)
	s_barrier
	s_and_saveexec_b64 s[10:11], vcc
	s_cbranch_execz .LBB2187_127
; %bb.110:
	v_mul_u32_u24_e32 v12, 36, v16
	ds_read_b32 v14, v12 offset:32
	ds_read2_b32 v[6:7], v12 offset0:4 offset1:5
	ds_read2_b32 v[4:5], v12 offset0:2 offset1:3
	ds_read2_b32 v[2:3], v12 offset1:1
	ds_read2_b32 v[8:9], v12 offset0:6 offset1:7
	v_and_b32_e32 v15, 3, v1
	s_waitcnt lgkmcnt(4)
	v_mov_b32_dpp v17, v14 row_shr:1 row_mask:0xf bank_mask:0xf
	s_waitcnt lgkmcnt(2)
	v_mov_b32_dpp v24, v4 row_shr:1 row_mask:0xf bank_mask:0xf
	;; [unrolled: 2-line block ×3, first 2 shown]
	v_mov_b32_dpp v23, v3 row_shr:1 row_mask:0xf bank_mask:0xf
	v_mov_b32_dpp v25, v5 row_shr:1 row_mask:0xf bank_mask:0xf
	v_cmp_ne_u32_e32 vcc, 0, v15
	scratch_store_dword off, v14, off offset:128
	scratch_store_dwordx4 off, v[2:5], off offset:96
	s_waitcnt lgkmcnt(0)
	scratch_store_dwordx4 off, v[6:9], off offset:112
	v_mov_b32_dpp v26, v6 row_shr:1 row_mask:0xf bank_mask:0xf
	v_mov_b32_dpp v27, v7 row_shr:1 row_mask:0xf bank_mask:0xf
	;; [unrolled: 1-line block ×4, first 2 shown]
	scratch_store_dwordx4 off, v[22:25], off
	scratch_store_dwordx4 off, v[26:29], off offset:16
	scratch_store_dword off, v17, off offset:32
	s_and_saveexec_b64 s[8:9], vcc
	s_cbranch_execz .LBB2187_118
; %bb.111:
	v_mov_b32_e32 v10, 0
	v_cmp_eq_u16_sdwa s[36:37], v14, v10 src0_sel:BYTE_0 src1_sel:DWORD
	s_and_saveexec_b64 s[12:13], s[36:37]
	s_cbranch_execz .LBB2187_117
; %bb.112:
	s_mov_b32 s36, 0
	v_mov_b32_e32 v11, v10
.LBB2187_113:                           ; =>This Inner Loop Header: Depth=1
	s_add_i32 s37, s36, 0x84
	s_add_i32 s36, s36, 8
	s_cmp_lg_u32 s36, 32
	scratch_store_dwordx2 off, v[10:11], s37
	s_cbranch_scc1 .LBB2187_113
; %bb.114:
	s_mov_b32 s36, 0
.LBB2187_115:                           ; =>This Inner Loop Header: Depth=1
	s_add_i32 s37, s36, 0
	s_add_i32 s40, s36, 0x60
	scratch_load_dwordx2 v[2:3], off, s37
	scratch_load_dwordx2 v[4:5], off, s40
	s_add_i32 s37, s36, 0x84
	s_add_i32 s36, s36, 8
	s_cmp_lg_u32 s36, 32
	s_waitcnt vmcnt(0)
	v_add_u32_e32 v3, v5, v3
	v_add_u32_e32 v2, v4, v2
	scratch_store_dwordx2 off, v[2:3], s37
	s_cbranch_scc1 .LBB2187_115
; %bb.116:
	scratch_load_dwordx4 v[2:5], off, off offset:132
	scratch_load_dwordx4 v[6:9], off, off offset:148
.LBB2187_117:
	s_or_b64 exec, exec, s[12:13]
	v_or_b32_e32 v10, v17, v14
	v_and_b32_e32 v10, 1, v10
	scratch_store_byte off, v10, off offset:128
	scratch_load_dword v14, off, off offset:128
	s_waitcnt vmcnt(3)
	scratch_store_dwordx4 off, v[2:5], off offset:96
	s_waitcnt vmcnt(3)
	scratch_store_dwordx4 off, v[6:9], off offset:112
.LBB2187_118:
	s_or_b64 exec, exec, s[8:9]
	v_mov_b32_dpp v22, v2 row_shr:2 row_mask:0xf bank_mask:0xf
	v_mov_b32_dpp v23, v3 row_shr:2 row_mask:0xf bank_mask:0xf
	;; [unrolled: 1-line block ×4, first 2 shown]
	s_waitcnt vmcnt(2)
	v_mov_b32_dpp v17, v14 row_shr:2 row_mask:0xf bank_mask:0xf
	v_cmp_lt_u32_e32 vcc, 1, v15
	v_mov_b32_dpp v26, v6 row_shr:2 row_mask:0xf bank_mask:0xf
	v_mov_b32_dpp v27, v7 row_shr:2 row_mask:0xf bank_mask:0xf
	;; [unrolled: 1-line block ×4, first 2 shown]
	scratch_store_dwordx4 off, v[22:25], off
	scratch_store_dwordx4 off, v[26:29], off offset:16
	scratch_store_dword off, v17, off offset:32
	s_and_saveexec_b64 s[12:13], vcc
	s_cbranch_execz .LBB2187_126
; %bb.119:
	v_mov_b32_e32 v10, 0
	s_mov_b32 s36, 0
	v_cmp_eq_u16_sdwa s[40:41], v14, v10 src0_sel:BYTE_0 src1_sel:DWORD
	s_and_saveexec_b64 s[8:9], s[40:41]
	s_cbranch_execz .LBB2187_125
; %bb.120:
	v_mov_b32_e32 v11, v10
.LBB2187_121:                           ; =>This Inner Loop Header: Depth=1
	s_add_i32 s37, s36, 0x84
	s_add_i32 s36, s36, 8
	s_cmp_lg_u32 s36, 32
	scratch_store_dwordx2 off, v[10:11], s37
	s_cbranch_scc1 .LBB2187_121
; %bb.122:
	s_mov_b32 s36, 0
.LBB2187_123:                           ; =>This Inner Loop Header: Depth=1
	s_add_i32 s37, s36, 0
	s_add_i32 s40, s36, 0x60
	scratch_load_dwordx2 v[2:3], off, s37
	scratch_load_dwordx2 v[4:5], off, s40
	s_add_i32 s37, s36, 0x84
	s_add_i32 s36, s36, 8
	s_cmp_lg_u32 s36, 32
	s_waitcnt vmcnt(0)
	v_add_u32_e32 v3, v5, v3
	v_add_u32_e32 v2, v4, v2
	scratch_store_dwordx2 off, v[2:3], s37
	s_cbranch_scc1 .LBB2187_123
; %bb.124:
	scratch_load_dwordx4 v[2:5], off, off offset:132
	scratch_load_dwordx4 v[6:9], off, off offset:148
.LBB2187_125:
	s_or_b64 exec, exec, s[8:9]
	v_and_b32_e32 v10, 1, v14
	v_cmp_eq_u32_e32 vcc, 1, v10
	v_and_b32_e32 v10, 1, v17
	v_cmp_eq_u32_e64 s[8:9], 1, v10
	s_or_b64 s[8:9], vcc, s[8:9]
	s_waitcnt vmcnt(1)
	scratch_store_dwordx4 off, v[2:5], off offset:96
	s_waitcnt vmcnt(1)
	scratch_store_dwordx4 off, v[6:9], off offset:112
	v_cndmask_b32_e64 v14, 0, 1, s[8:9]
.LBB2187_126:
	s_or_b64 exec, exec, s[12:13]
	scratch_load_dwordx4 v[2:5], off, off offset:96
	scratch_load_dwordx4 v[6:9], off, off offset:112
	s_waitcnt vmcnt(1)
	ds_write2_b32 v12, v4, v5 offset0:2 offset1:3
	ds_write2_b32 v12, v2, v3 offset1:1
	s_waitcnt vmcnt(0)
	ds_write2_b32 v12, v8, v9 offset0:6 offset1:7
	ds_write2_b32 v12, v6, v7 offset0:4 offset1:5
	ds_write_b8 v12, v14 offset:32
.LBB2187_127:
	s_or_b64 exec, exec, s[10:11]
	s_mov_b32 s8, 0
	s_mov_b32 s9, s8
	v_mov_b32_e32 v2, 0
	s_mov_b32 s10, s8
	s_mov_b32 s11, s8
	v_mov_b64_e32 v[4:5], s[8:9]
	v_mov_b64_e32 v[6:7], s[10:11]
	v_mov_b32_e32 v3, v2
	s_waitcnt lgkmcnt(0)
	s_barrier
	scratch_store_dword off, v2, off offset:32
	scratch_store_dwordx4 off, v[4:7], off offset:16
	scratch_store_dwordx4 off, v[4:7], off
.LBB2187_128:                           ; =>This Inner Loop Header: Depth=1
	s_add_i32 s9, s8, 0
	s_add_i32 s8, s8, 8
	s_cmp_lg_u32 s8, 32
	scratch_store_dwordx2 off, v[2:3], s9
	s_cbranch_scc1 .LBB2187_128
; %bb.129:
	v_cmp_gt_u32_e32 vcc, 64, v16
	v_cmp_lt_u32_e64 s[8:9], 63, v16
                                        ; implicit-def: $vgpr2_vgpr3
                                        ; implicit-def: $vgpr6_vgpr7
                                        ; implicit-def: $vgpr10
	s_and_saveexec_b64 s[10:11], s[8:9]
	s_xor_b64 s[10:11], exec, s[10:11]
	s_cbranch_execz .LBB2187_139
; %bb.130:
	scratch_load_ubyte v11, off, off offset:236
	v_not_b32_e32 v2, 35
	v_mad_u32_u24 v10, v13, 36, v2
	ds_read2_b32 v[2:3], v10 offset0:4 offset1:5
	ds_read2_b32 v[8:9], v10 offset0:2 offset1:3
	ds_read2_b32 v[6:7], v10 offset1:1
	ds_read2_b32 v[4:5], v10 offset0:6 offset1:7
	ds_read_u8 v10, v10 offset:32
	s_waitcnt lgkmcnt(2)
	scratch_store_dwordx4 off, v[6:9], off
	s_waitcnt lgkmcnt(1)
	scratch_store_dwordx4 off, v[2:5], off offset:16
                                        ; implicit-def: $vgpr2_vgpr3
                                        ; implicit-def: $vgpr6_vgpr7
	s_waitcnt vmcnt(2)
	v_cmp_ne_u16_e64 s[8:9], 0, v11
	s_and_saveexec_b64 s[12:13], s[8:9]
	s_xor_b64 s[8:9], exec, s[12:13]
	s_cbranch_execz .LBB2187_132
; %bb.131:
	scratch_load_dwordx4 v[2:5], off, off offset:204
	scratch_load_dwordx4 v[6:9], off, off offset:220
.LBB2187_132:
	s_andn2_saveexec_b64 s[8:9], s[8:9]
	s_cbranch_execz .LBB2187_138
; %bb.133:
	s_waitcnt vmcnt(1)
	v_mov_b32_e32 v2, 0
	s_mov_b32 s12, 0
	v_mov_b32_e32 v3, v2
.LBB2187_134:                           ; =>This Inner Loop Header: Depth=1
	s_add_i32 s13, s12, 0x60
	s_add_i32 s12, s12, 8
	s_cmp_lg_u32 s12, 32
	scratch_store_dwordx2 off, v[2:3], s13
	s_cbranch_scc1 .LBB2187_134
; %bb.135:
	s_mov_b32 s12, 0
.LBB2187_136:                           ; =>This Inner Loop Header: Depth=1
	s_add_i32 s13, s12, 0
	s_add_i32 s36, s12, 0xcc
	scratch_load_dwordx2 v[2:3], off, s13
	scratch_load_dwordx2 v[4:5], off, s36
	s_add_i32 s13, s12, 0x60
	s_add_i32 s12, s12, 8
	s_cmp_lg_u32 s12, 32
	s_waitcnt vmcnt(0)
	v_add_u32_e32 v3, v5, v3
	v_add_u32_e32 v2, v4, v2
	scratch_store_dwordx2 off, v[2:3], s13
	s_cbranch_scc1 .LBB2187_136
; %bb.137:
	scratch_load_dwordx4 v[2:5], off, off offset:96
	scratch_load_dwordx4 v[6:9], off, off offset:112
.LBB2187_138:
	s_or_b64 exec, exec, s[8:9]
	s_waitcnt lgkmcnt(0)
	v_or_b32_e32 v11, v11, v10
	v_and_b32_e32 v11, 1, v11
	scratch_store_byte off, v11, off offset:236
.LBB2187_139:
	s_andn2_saveexec_b64 s[8:9], s[10:11]
	s_cbranch_execz .LBB2187_141
; %bb.140:
	scratch_load_dwordx4 v[2:5], off, off offset:204
	scratch_load_dwordx4 v[6:9], off, off offset:220
	v_mov_b32_e32 v10, 0
.LBB2187_141:
	s_or_b64 exec, exec, s[8:9]
	scratch_load_dword v11, off, off offset:236
	v_add_u32_e32 v12, -1, v1
	v_and_b32_e32 v13, 64, v1
	v_cmp_lt_i32_e64 s[8:9], v12, v13
	s_nop 1
	v_cndmask_b32_e64 v12, v12, v1, s[8:9]
	v_lshlrev_b32_e32 v12, 2, v12
	s_waitcnt vmcnt(2)
	ds_bpermute_b32 v2, v12, v2
	ds_bpermute_b32 v3, v12, v3
	;; [unrolled: 1-line block ×4, first 2 shown]
	s_waitcnt vmcnt(1)
	ds_bpermute_b32 v6, v12, v6
	ds_bpermute_b32 v7, v12, v7
	;; [unrolled: 1-line block ×4, first 2 shown]
	v_cmp_eq_u32_e64 s[8:9], 0, v1
	s_waitcnt vmcnt(0)
	ds_bpermute_b32 v11, v12, v11
	s_waitcnt lgkmcnt(5)
	scratch_store_dwordx4 off, v[2:5], off offset:204
	s_waitcnt lgkmcnt(1)
	scratch_store_dwordx4 off, v[6:9], off offset:220
	s_waitcnt lgkmcnt(0)
	scratch_store_byte off, v11, off offset:236
	s_and_saveexec_b64 s[10:11], s[8:9]
	s_cbranch_execz .LBB2187_143
; %bb.142:
	scratch_load_dwordx4 v[2:5], off, off
	scratch_load_dwordx4 v[6:9], off, off offset:16
	s_waitcnt vmcnt(1)
	scratch_store_dwordx4 off, v[2:5], off offset:204
	s_waitcnt vmcnt(1)
	scratch_store_dwordx4 off, v[6:9], off offset:220
	scratch_store_byte off, v10, off offset:236
.LBB2187_143:
	s_or_b64 exec, exec, s[10:11]
	s_and_saveexec_b64 s[12:13], vcc
	s_cbranch_execz .LBB2187_280
; %bb.144:
	v_mov_b32_e32 v10, 0
	ds_read2_b32 v[2:3], v10 offset0:27 offset1:28
	ds_read2_b32 v[4:5], v10 offset0:29 offset1:30
	;; [unrolled: 1-line block ×4, first 2 shown]
	ds_read_b32 v11, v10 offset:140
	s_waitcnt lgkmcnt(3)
	scratch_store_dwordx4 off, v[2:5], off offset:168
	s_waitcnt lgkmcnt(1)
	scratch_store_dwordx4 off, v[6:9], off offset:184
	s_waitcnt lgkmcnt(0)
	scratch_store_dword off, v11, off offset:200
	s_and_saveexec_b64 s[10:11], s[8:9]
	s_cbranch_execz .LBB2187_146
; %bb.145:
	v_lshrrev_b32_e32 v12, 8, v11
	s_movk_i32 s36, 0xff
	v_mov_b32_e32 v15, 8
	s_add_i32 s40, s33, 64
	v_and_b32_sdwa v14, v11, s36 dst_sel:DWORD dst_unused:UNUSED_PAD src0_sel:WORD_1 src1_sel:DWORD
	v_lshlrev_b32_sdwa v12, v15, v12 dst_sel:DWORD dst_unused:UNUSED_PAD src0_sel:DWORD src1_sel:BYTE_0
	s_mul_i32 s36, s40, 36
	v_lshrrev_b32_e32 v13, 24, v11
	v_or_b32_sdwa v11, v12, v11 dst_sel:DWORD dst_unused:UNUSED_PAD src0_sel:DWORD src1_sel:BYTE_0
	v_lshlrev_b32_e32 v12, 16, v14
	s_mul_hi_u32 s37, s40, 36
	s_add_u32 s36, s16, s36
	v_or_b32_e32 v11, v11, v12
	v_lshlrev_b32_e32 v12, 24, v13
	s_addc_u32 s37, s17, s37
	v_or_b32_e32 v11, v11, v12
	global_store_dword v10, v2, s[36:37] sc1
	global_store_dword v10, v3, s[36:37] offset:4 sc1
	global_store_dword v10, v4, s[36:37] offset:8 sc1
	;; [unrolled: 1-line block ×8, first 2 shown]
	v_mov_b32_e32 v2, s40
	v_mov_b32_e32 v3, 1
	s_waitcnt vmcnt(0)
	global_store_byte v2, v3, s[20:21] sc1
.LBB2187_146:
	s_or_b64 exec, exec, s[10:11]
	s_mov_b32 s40, 0
	s_mov_b32 s41, s40
	;; [unrolled: 1-line block ×4, first 2 shown]
	v_mov_b64_e32 v[2:3], s[40:41]
	v_mov_b64_e32 v[4:5], s[42:43]
	v_mov_b32_e32 v11, v10
	scratch_store_dword off, v10, off offset:164
	scratch_store_dwordx4 off, v[2:5], off offset:148
	scratch_store_dwordx4 off, v[2:5], off offset:132
.LBB2187_147:                           ; =>This Inner Loop Header: Depth=1
	s_add_i32 s10, s40, 0x84
	s_add_i32 s40, s40, 8
	s_cmp_lg_u32 s40, 32
	scratch_store_dwordx2 off, v[10:11], s10
	s_cbranch_scc1 .LBB2187_147
; %bb.148:
	v_mov_b32_e32 v3, 0
	v_xad_u32 v10, v1, -1, s33
	scratch_store_byte off, v3, off offset:164
	v_add_u32_e32 v2, 64, v10
	global_load_ubyte v17, v2, s[20:21] sc1
	s_waitcnt vmcnt(0)
	v_cmp_eq_u16_e32 vcc, 0, v17
	s_and_saveexec_b64 s[10:11], vcc
	s_cbranch_execz .LBB2187_152
; %bb.149:
	v_lshl_add_u64 v[4:5], s[20:21], 0, v[2:3]
	s_mov_b64 s[36:37], 0
.LBB2187_150:                           ; =>This Inner Loop Header: Depth=1
	global_load_ubyte v17, v[4:5], off sc1
	s_waitcnt vmcnt(0)
	v_cmp_ne_u16_e32 vcc, 0, v17
	s_or_b64 s[36:37], vcc, s[36:37]
	s_andn2_b64 exec, exec, s[36:37]
	s_cbranch_execnz .LBB2187_150
; %bb.151:
	s_or_b64 exec, exec, s[36:37]
.LBB2187_152:
	s_or_b64 exec, exec, s[10:11]
	v_mov_b32_e32 v3, s19
	v_mov_b32_e32 v4, s17
	v_cmp_eq_u16_e32 vcc, 1, v17
	s_waitcnt vmcnt(0)
	s_nop 0
	v_cndmask_b32_e32 v5, v3, v4, vcc
	v_mov_b32_e32 v3, s18
	v_mov_b32_e32 v4, s16
	v_cndmask_b32_e32 v4, v3, v4, vcc
	v_mad_u64_u32 v[12:13], s[10:11], v2, 36, v[4:5]
	global_load_dword v2, v[12:13], off sc1
	global_load_dword v3, v[12:13], off offset:4 sc1
	global_load_dword v4, v[12:13], off offset:8 sc1
	;; [unrolled: 1-line block ×8, first 2 shown]
	v_mov_b32_e32 v12, 0
	s_mov_b32 s10, 0
	v_mov_b32_e32 v13, v12
	scratch_store_dword off, v12, off offset:32
	s_waitcnt vmcnt(6)
	scratch_store_dwordx4 off, v[2:5], off offset:132
	s_waitcnt vmcnt(3)
	scratch_store_dwordx4 off, v[6:9], off offset:148
	s_waitcnt vmcnt(3)
	scratch_store_byte off, v11, off offset:164
.LBB2187_153:                           ; =>This Inner Loop Header: Depth=1
	s_add_i32 s11, s10, 0
	s_add_i32 s10, s10, 8
	s_cmp_lg_u32 s10, 32
	scratch_store_dwordx2 off, v[12:13], s11
	s_cbranch_scc1 .LBB2187_153
; %bb.154:
	scratch_load_dword v32, off, off offset:164
	v_lshlrev_b64 v[12:13], v1, -1
	v_cmp_eq_u16_e32 vcc, 2, v17
	v_and_b32_e32 v18, 63, v1
	s_nop 0
	v_and_b32_e32 v11, vcc_hi, v13
	v_and_b32_e32 v14, vcc_lo, v12
	v_cmp_ne_u32_e32 vcc, 63, v18
	v_or_b32_e32 v11, 0x80000000, v11
	v_ffbl_b32_e32 v11, v11
	v_addc_co_u32_e32 v15, vcc, 0, v1, vcc
	v_lshlrev_b32_e32 v19, 2, v15
	ds_bpermute_b32 v24, v19, v2
	ds_bpermute_b32 v25, v19, v3
	;; [unrolled: 1-line block ×8, first 2 shown]
	v_add_u32_e32 v11, 32, v11
	v_ffbl_b32_e32 v14, v14
	v_min_u32_e32 v11, v14, v11
	v_cmp_lt_u32_e32 vcc, v18, v11
	s_waitcnt lgkmcnt(4)
	scratch_store_dwordx4 off, v[24:27], off
	s_waitcnt lgkmcnt(0)
	scratch_store_dwordx4 off, v[28:31], off offset:16
	s_waitcnt vmcnt(2)
	ds_bpermute_b32 v22, v19, v32
	s_and_saveexec_b64 s[10:11], vcc
	s_cbranch_execz .LBB2187_162
; %bb.155:
	v_mov_b32_e32 v14, 0
	v_cmp_eq_u16_sdwa s[40:41], v32, v14 src0_sel:BYTE_0 src1_sel:DWORD
	s_and_saveexec_b64 s[36:37], s[40:41]
	s_cbranch_execz .LBB2187_161
; %bb.156:
	s_mov_b32 s40, 0
	v_mov_b32_e32 v15, v14
.LBB2187_157:                           ; =>This Inner Loop Header: Depth=1
	s_add_i32 s41, s40, 0x60
	s_add_i32 s40, s40, 8
	s_cmp_lg_u32 s40, 32
	scratch_store_dwordx2 off, v[14:15], s41
	s_cbranch_scc1 .LBB2187_157
; %bb.158:
	s_mov_b32 s40, 0
.LBB2187_159:                           ; =>This Inner Loop Header: Depth=1
	s_add_i32 s41, s40, 0
	s_add_i32 s42, s40, 0x84
	scratch_load_dwordx2 v[2:3], off, s41
	scratch_load_dwordx2 v[4:5], off, s42
	s_add_i32 s41, s40, 0x60
	s_add_i32 s40, s40, 8
	s_cmp_lg_u32 s40, 32
	s_waitcnt vmcnt(0)
	v_add_u32_e32 v3, v5, v3
	v_add_u32_e32 v2, v4, v2
	scratch_store_dwordx2 off, v[2:3], s41
	s_cbranch_scc1 .LBB2187_159
; %bb.160:
	scratch_load_dwordx4 v[2:5], off, off offset:96
	scratch_load_dwordx4 v[6:9], off, off offset:112
.LBB2187_161:
	s_or_b64 exec, exec, s[36:37]
	s_waitcnt lgkmcnt(0)
	v_or_b32_e32 v14, v22, v32
	v_and_b32_e32 v14, 1, v14
	scratch_store_byte off, v14, off offset:164
	scratch_load_dword v32, off, off offset:164
	s_waitcnt vmcnt(3)
	scratch_store_dwordx4 off, v[2:5], off offset:132
	s_waitcnt vmcnt(3)
	scratch_store_dwordx4 off, v[6:9], off offset:148
.LBB2187_162:
	s_or_b64 exec, exec, s[10:11]
	v_cmp_gt_u32_e32 vcc, 62, v18
	v_add_u32_e32 v23, 2, v18
	s_nop 0
	v_cndmask_b32_e64 v14, 0, 1, vcc
	v_lshlrev_b32_e32 v14, 1, v14
	s_waitcnt lgkmcnt(0)
	v_add_lshl_u32 v22, v14, v1, 2
	ds_bpermute_b32 v26, v22, v2
	ds_bpermute_b32 v27, v22, v3
	;; [unrolled: 1-line block ×4, first 2 shown]
	s_waitcnt vmcnt(2)
	ds_bpermute_b32 v24, v22, v32
	ds_bpermute_b32 v34, v22, v6
	;; [unrolled: 1-line block ×5, first 2 shown]
	v_cmp_le_u32_e32 vcc, v23, v11
	s_waitcnt lgkmcnt(5)
	scratch_store_dwordx4 off, v[26:29], off
	s_waitcnt lgkmcnt(0)
	scratch_store_dwordx4 off, v[34:37], off offset:16
	s_and_saveexec_b64 s[36:37], vcc
	s_cbranch_execz .LBB2187_170
; %bb.163:
	v_mov_b32_e32 v14, 0
	s_mov_b32 s40, 0
	v_cmp_eq_u16_sdwa s[42:43], v32, v14 src0_sel:BYTE_0 src1_sel:DWORD
	s_and_saveexec_b64 s[10:11], s[42:43]
	s_cbranch_execz .LBB2187_169
; %bb.164:
	v_mov_b32_e32 v15, v14
.LBB2187_165:                           ; =>This Inner Loop Header: Depth=1
	s_add_i32 s41, s40, 0x60
	s_add_i32 s40, s40, 8
	s_cmp_lg_u32 s40, 32
	scratch_store_dwordx2 off, v[14:15], s41
	s_cbranch_scc1 .LBB2187_165
; %bb.166:
	s_mov_b32 s40, 0
.LBB2187_167:                           ; =>This Inner Loop Header: Depth=1
	s_add_i32 s41, s40, 0
	s_add_i32 s42, s40, 0x84
	scratch_load_dwordx2 v[2:3], off, s41
	scratch_load_dwordx2 v[4:5], off, s42
	s_add_i32 s41, s40, 0x60
	s_add_i32 s40, s40, 8
	s_cmp_lg_u32 s40, 32
	s_waitcnt vmcnt(0)
	v_add_u32_e32 v3, v5, v3
	v_add_u32_e32 v2, v4, v2
	scratch_store_dwordx2 off, v[2:3], s41
	s_cbranch_scc1 .LBB2187_167
; %bb.168:
	scratch_load_dwordx4 v[2:5], off, off offset:96
	scratch_load_dwordx4 v[6:9], off, off offset:112
.LBB2187_169:
	s_or_b64 exec, exec, s[10:11]
	v_and_b32_e32 v14, 1, v32
	v_cmp_eq_u32_e32 vcc, 1, v14
	v_and_b32_e32 v14, 1, v24
	v_cmp_eq_u32_e64 s[10:11], 1, v14
	s_or_b64 s[10:11], vcc, s[10:11]
	s_nop 0
	v_cndmask_b32_e64 v14, 0, 1, s[10:11]
	scratch_store_byte off, v14, off offset:164
	scratch_load_dword v32, off, off offset:164
	s_waitcnt vmcnt(3)
	scratch_store_dwordx4 off, v[2:5], off offset:132
	s_waitcnt vmcnt(3)
	scratch_store_dwordx4 off, v[6:9], off offset:148
.LBB2187_170:
	s_or_b64 exec, exec, s[36:37]
	v_cmp_gt_u32_e32 vcc, 60, v18
	v_add_u32_e32 v25, 4, v18
	s_nop 0
	v_cndmask_b32_e64 v14, 0, 1, vcc
	v_lshlrev_b32_e32 v14, 2, v14
	v_add_lshl_u32 v24, v14, v1, 2
	ds_bpermute_b32 v28, v24, v2
	ds_bpermute_b32 v29, v24, v3
	;; [unrolled: 1-line block ×4, first 2 shown]
	s_waitcnt vmcnt(2)
	ds_bpermute_b32 v26, v24, v32
	ds_bpermute_b32 v34, v24, v6
	;; [unrolled: 1-line block ×5, first 2 shown]
	v_cmp_le_u32_e32 vcc, v25, v11
	s_waitcnt lgkmcnt(5)
	scratch_store_dwordx4 off, v[28:31], off
	s_waitcnt lgkmcnt(0)
	scratch_store_dwordx4 off, v[34:37], off offset:16
	s_and_saveexec_b64 s[36:37], vcc
	s_cbranch_execz .LBB2187_178
; %bb.171:
	v_mov_b32_e32 v14, 0
	s_mov_b32 s40, 0
	v_cmp_eq_u16_sdwa s[42:43], v32, v14 src0_sel:BYTE_0 src1_sel:DWORD
	s_and_saveexec_b64 s[10:11], s[42:43]
	s_cbranch_execz .LBB2187_177
; %bb.172:
	v_mov_b32_e32 v15, v14
.LBB2187_173:                           ; =>This Inner Loop Header: Depth=1
	s_add_i32 s41, s40, 0x60
	s_add_i32 s40, s40, 8
	s_cmp_lg_u32 s40, 32
	scratch_store_dwordx2 off, v[14:15], s41
	s_cbranch_scc1 .LBB2187_173
; %bb.174:
	s_mov_b32 s40, 0
.LBB2187_175:                           ; =>This Inner Loop Header: Depth=1
	s_add_i32 s41, s40, 0
	s_add_i32 s42, s40, 0x84
	scratch_load_dwordx2 v[2:3], off, s41
	scratch_load_dwordx2 v[4:5], off, s42
	s_add_i32 s41, s40, 0x60
	s_add_i32 s40, s40, 8
	s_cmp_lg_u32 s40, 32
	s_waitcnt vmcnt(0)
	v_add_u32_e32 v3, v5, v3
	v_add_u32_e32 v2, v4, v2
	scratch_store_dwordx2 off, v[2:3], s41
	s_cbranch_scc1 .LBB2187_175
; %bb.176:
	scratch_load_dwordx4 v[2:5], off, off offset:96
	scratch_load_dwordx4 v[6:9], off, off offset:112
.LBB2187_177:
	s_or_b64 exec, exec, s[10:11]
	v_and_b32_e32 v14, 1, v32
	v_cmp_eq_u32_e32 vcc, 1, v14
	v_and_b32_e32 v14, 1, v26
	v_cmp_eq_u32_e64 s[10:11], 1, v14
	s_or_b64 s[10:11], vcc, s[10:11]
	s_nop 0
	v_cndmask_b32_e64 v14, 0, 1, s[10:11]
	scratch_store_byte off, v14, off offset:164
	scratch_load_dword v32, off, off offset:164
	s_waitcnt vmcnt(3)
	scratch_store_dwordx4 off, v[2:5], off offset:132
	s_waitcnt vmcnt(3)
	scratch_store_dwordx4 off, v[6:9], off offset:148
.LBB2187_178:
	s_or_b64 exec, exec, s[36:37]
	v_cmp_gt_u32_e32 vcc, 56, v18
	v_add_u32_e32 v27, 8, v18
	s_nop 0
	v_cndmask_b32_e64 v14, 0, 1, vcc
	v_lshlrev_b32_e32 v14, 3, v14
	v_add_lshl_u32 v26, v14, v1, 2
	ds_bpermute_b32 v34, v26, v2
	ds_bpermute_b32 v35, v26, v3
	;; [unrolled: 1-line block ×4, first 2 shown]
	s_waitcnt vmcnt(2)
	ds_bpermute_b32 v28, v26, v32
	ds_bpermute_b32 v38, v26, v6
	;; [unrolled: 1-line block ×5, first 2 shown]
	v_cmp_le_u32_e32 vcc, v27, v11
	s_waitcnt lgkmcnt(5)
	scratch_store_dwordx4 off, v[34:37], off
	s_waitcnt lgkmcnt(0)
	scratch_store_dwordx4 off, v[38:41], off offset:16
	s_and_saveexec_b64 s[36:37], vcc
	s_cbranch_execz .LBB2187_186
; %bb.179:
	v_mov_b32_e32 v14, 0
	s_mov_b32 s40, 0
	v_cmp_eq_u16_sdwa s[42:43], v32, v14 src0_sel:BYTE_0 src1_sel:DWORD
	s_and_saveexec_b64 s[10:11], s[42:43]
	s_cbranch_execz .LBB2187_185
; %bb.180:
	v_mov_b32_e32 v15, v14
.LBB2187_181:                           ; =>This Inner Loop Header: Depth=1
	s_add_i32 s41, s40, 0x60
	s_add_i32 s40, s40, 8
	s_cmp_lg_u32 s40, 32
	scratch_store_dwordx2 off, v[14:15], s41
	s_cbranch_scc1 .LBB2187_181
; %bb.182:
	s_mov_b32 s40, 0
.LBB2187_183:                           ; =>This Inner Loop Header: Depth=1
	s_add_i32 s41, s40, 0
	s_add_i32 s42, s40, 0x84
	scratch_load_dwordx2 v[2:3], off, s41
	scratch_load_dwordx2 v[4:5], off, s42
	s_add_i32 s41, s40, 0x60
	s_add_i32 s40, s40, 8
	s_cmp_lg_u32 s40, 32
	s_waitcnt vmcnt(0)
	v_add_u32_e32 v3, v5, v3
	v_add_u32_e32 v2, v4, v2
	scratch_store_dwordx2 off, v[2:3], s41
	s_cbranch_scc1 .LBB2187_183
; %bb.184:
	scratch_load_dwordx4 v[2:5], off, off offset:96
	scratch_load_dwordx4 v[6:9], off, off offset:112
.LBB2187_185:
	s_or_b64 exec, exec, s[10:11]
	v_and_b32_e32 v14, 1, v32
	v_cmp_eq_u32_e32 vcc, 1, v14
	v_and_b32_e32 v14, 1, v28
	v_cmp_eq_u32_e64 s[10:11], 1, v14
	s_or_b64 s[10:11], vcc, s[10:11]
	s_nop 0
	v_cndmask_b32_e64 v14, 0, 1, s[10:11]
	scratch_store_byte off, v14, off offset:164
	scratch_load_dword v32, off, off offset:164
	s_waitcnt vmcnt(3)
	scratch_store_dwordx4 off, v[2:5], off offset:132
	s_waitcnt vmcnt(3)
	scratch_store_dwordx4 off, v[6:9], off offset:148
.LBB2187_186:
	s_or_b64 exec, exec, s[36:37]
	v_cmp_gt_u32_e32 vcc, 48, v18
	v_add_u32_e32 v29, 16, v18
	s_nop 0
	v_cndmask_b32_e64 v14, 0, 1, vcc
	v_lshlrev_b32_e32 v14, 4, v14
	v_add_lshl_u32 v28, v14, v1, 2
	ds_bpermute_b32 v34, v28, v2
	ds_bpermute_b32 v35, v28, v3
	;; [unrolled: 1-line block ×4, first 2 shown]
	s_waitcnt vmcnt(2)
	ds_bpermute_b32 v30, v28, v32
	ds_bpermute_b32 v38, v28, v6
	ds_bpermute_b32 v39, v28, v7
	ds_bpermute_b32 v40, v28, v8
	ds_bpermute_b32 v41, v28, v9
	v_cmp_le_u32_e32 vcc, v29, v11
	s_waitcnt lgkmcnt(5)
	scratch_store_dwordx4 off, v[34:37], off
	s_waitcnt lgkmcnt(0)
	scratch_store_dwordx4 off, v[38:41], off offset:16
	s_and_saveexec_b64 s[36:37], vcc
	s_cbranch_execz .LBB2187_194
; %bb.187:
	v_mov_b32_e32 v14, 0
	s_mov_b32 s40, 0
	v_cmp_eq_u16_sdwa s[42:43], v32, v14 src0_sel:BYTE_0 src1_sel:DWORD
	s_and_saveexec_b64 s[10:11], s[42:43]
	s_cbranch_execz .LBB2187_193
; %bb.188:
	v_mov_b32_e32 v15, v14
.LBB2187_189:                           ; =>This Inner Loop Header: Depth=1
	s_add_i32 s41, s40, 0x60
	s_add_i32 s40, s40, 8
	s_cmp_lg_u32 s40, 32
	scratch_store_dwordx2 off, v[14:15], s41
	s_cbranch_scc1 .LBB2187_189
; %bb.190:
	s_mov_b32 s40, 0
.LBB2187_191:                           ; =>This Inner Loop Header: Depth=1
	s_add_i32 s41, s40, 0
	s_add_i32 s42, s40, 0x84
	scratch_load_dwordx2 v[2:3], off, s41
	scratch_load_dwordx2 v[4:5], off, s42
	s_add_i32 s41, s40, 0x60
	s_add_i32 s40, s40, 8
	s_cmp_lg_u32 s40, 32
	s_waitcnt vmcnt(0)
	v_add_u32_e32 v3, v5, v3
	v_add_u32_e32 v2, v4, v2
	scratch_store_dwordx2 off, v[2:3], s41
	s_cbranch_scc1 .LBB2187_191
; %bb.192:
	scratch_load_dwordx4 v[2:5], off, off offset:96
	scratch_load_dwordx4 v[6:9], off, off offset:112
.LBB2187_193:
	s_or_b64 exec, exec, s[10:11]
	v_and_b32_e32 v14, 1, v32
	v_cmp_eq_u32_e32 vcc, 1, v14
	v_and_b32_e32 v14, 1, v30
	v_cmp_eq_u32_e64 s[10:11], 1, v14
	s_or_b64 s[10:11], vcc, s[10:11]
	s_nop 0
	v_cndmask_b32_e64 v14, 0, 1, s[10:11]
	scratch_store_byte off, v14, off offset:164
	scratch_load_dword v32, off, off offset:164
	s_waitcnt vmcnt(3)
	scratch_store_dwordx4 off, v[2:5], off offset:132
	s_waitcnt vmcnt(3)
	scratch_store_dwordx4 off, v[6:9], off offset:148
.LBB2187_194:
	s_or_b64 exec, exec, s[36:37]
	v_cmp_gt_u32_e32 vcc, 32, v18
	v_add_u32_e32 v31, 32, v18
	s_nop 0
	v_cndmask_b32_e64 v14, 0, 1, vcc
	v_lshlrev_b32_e32 v14, 5, v14
	v_add_lshl_u32 v30, v14, v1, 2
	ds_bpermute_b32 v34, v30, v2
	ds_bpermute_b32 v35, v30, v3
	;; [unrolled: 1-line block ×4, first 2 shown]
	s_waitcnt vmcnt(2)
	ds_bpermute_b32 v1, v30, v32
	ds_bpermute_b32 v38, v30, v6
	ds_bpermute_b32 v39, v30, v7
	ds_bpermute_b32 v40, v30, v8
	ds_bpermute_b32 v41, v30, v9
	v_cmp_le_u32_e32 vcc, v31, v11
	s_waitcnt lgkmcnt(5)
	scratch_store_dwordx4 off, v[34:37], off
	s_waitcnt lgkmcnt(0)
	scratch_store_dwordx4 off, v[38:41], off offset:16
	s_and_saveexec_b64 s[36:37], vcc
	s_cbranch_execz .LBB2187_202
; %bb.195:
	v_mov_b32_e32 v14, 0
	s_mov_b32 s40, 0
	v_cmp_eq_u16_sdwa s[42:43], v32, v14 src0_sel:BYTE_0 src1_sel:DWORD
	s_and_saveexec_b64 s[10:11], s[42:43]
	s_cbranch_execz .LBB2187_201
; %bb.196:
	v_mov_b32_e32 v15, v14
.LBB2187_197:                           ; =>This Inner Loop Header: Depth=1
	s_add_i32 s41, s40, 0x60
	s_add_i32 s40, s40, 8
	s_cmp_lg_u32 s40, 32
	scratch_store_dwordx2 off, v[14:15], s41
	s_cbranch_scc1 .LBB2187_197
; %bb.198:
	s_mov_b32 s40, 0
.LBB2187_199:                           ; =>This Inner Loop Header: Depth=1
	s_add_i32 s41, s40, 0
	s_add_i32 s42, s40, 0x84
	scratch_load_dwordx2 v[2:3], off, s41
	scratch_load_dwordx2 v[4:5], off, s42
	s_add_i32 s41, s40, 0x60
	s_add_i32 s40, s40, 8
	s_cmp_lg_u32 s40, 32
	s_waitcnt vmcnt(0)
	v_add_u32_e32 v3, v5, v3
	v_add_u32_e32 v2, v4, v2
	scratch_store_dwordx2 off, v[2:3], s41
	s_cbranch_scc1 .LBB2187_199
; %bb.200:
	scratch_load_dwordx4 v[2:5], off, off offset:96
	scratch_load_dwordx4 v[6:9], off, off offset:112
.LBB2187_201:
	s_or_b64 exec, exec, s[10:11]
	v_and_b32_e32 v11, 1, v32
	v_and_b32_e32 v1, 1, v1
	v_cmp_eq_u32_e32 vcc, 1, v11
	v_cmp_eq_u32_e64 s[10:11], 1, v1
	s_or_b64 s[10:11], vcc, s[10:11]
	s_nop 0
	v_cndmask_b32_e64 v1, 0, 1, s[10:11]
	s_waitcnt vmcnt(1)
	scratch_store_dwordx4 off, v[2:5], off offset:132
	s_waitcnt vmcnt(1)
	scratch_store_dwordx4 off, v[6:9], off offset:148
	scratch_store_byte off, v1, off offset:164
.LBB2187_202:
	s_or_b64 exec, exec, s[36:37]
	scratch_load_dwordx4 v[2:5], off, off offset:132
	scratch_load_dwordx4 v[32:35], off, off offset:148
	scratch_load_dword v1, off, off offset:164
	s_load_dwordx2 s[0:1], s[0:1], 0x4
	v_bfe_u32 v6, v0, 10, 10
	v_bfe_u32 v0, v0, 20, 10
	v_mov_b32_e32 v7, 0x6000
	v_mov_b32_e32 v8, 0
	s_waitcnt lgkmcnt(0)
	s_lshr_b32 s0, s0, 16
	s_mul_i32 s0, s0, s1
	v_mul_u32_u24_e32 v6, s1, v6
	v_mul_lo_u32 v9, s0, v16
	v_add3_u32 v0, v9, v6, v0
	v_lshl_add_u32 v14, v0, 5, v7
	v_mov_b32_e32 v15, 2
	s_waitcnt vmcnt(2)
	scratch_store_dwordx4 off, v[2:5], off offset:96
	s_waitcnt vmcnt(2)
	scratch_store_dwordx4 off, v[32:35], off offset:112
	s_waitcnt vmcnt(2)
	scratch_store_dword off, v1, off offset:128
	s_branch .LBB2187_204
.LBB2187_203:                           ;   in Loop: Header=BB2187_204 Depth=1
	s_or_b64 exec, exec, s[10:11]
	v_and_b32_e32 v9, 1, v11
	v_cmp_eq_u32_e32 vcc, 1, v9
	s_or_b64 s[0:1], vcc, s[0:1]
	v_subrev_u32_e32 v10, 64, v10
	v_cndmask_b32_e64 v9, 0, 1, s[0:1]
	s_waitcnt vmcnt(1)
	scratch_store_dwordx4 off, v[0:3], off offset:96
	s_waitcnt vmcnt(1)
	scratch_store_dwordx4 off, v[4:7], off offset:112
	scratch_store_byte off, v9, off offset:128
.LBB2187_204:                           ; =>This Loop Header: Depth=1
                                        ;     Child Loop BB2187_207 Depth 2
                                        ;     Child Loop BB2187_210 Depth 2
	;; [unrolled: 1-line block ×16, first 2 shown]
	v_cmp_ne_u16_sdwa s[0:1], v17, v15 src0_sel:BYTE_0 src1_sel:DWORD
	s_nop 1
	v_cndmask_b32_e64 v0, 0, 1, s[0:1]
	;;#ASMSTART
	;;#ASMEND
	s_nop 0
	v_cmp_ne_u32_e32 vcc, 0, v0
	s_cmp_lg_u64 vcc, exec
	s_cbranch_scc1 .LBB2187_267
; %bb.205:                              ;   in Loop: Header=BB2187_204 Depth=1
	global_load_ubyte v17, v10, s[20:21] sc1
	v_mov_b32_e32 v11, v8
	s_waitcnt vmcnt(0)
	v_cmp_eq_u16_e32 vcc, 0, v17
	s_and_saveexec_b64 s[0:1], vcc
	s_cbranch_execz .LBB2187_209
; %bb.206:                              ;   in Loop: Header=BB2187_204 Depth=1
	v_lshl_add_u64 v[0:1], s[20:21], 0, v[10:11]
	s_mov_b64 s[10:11], 0
.LBB2187_207:                           ;   Parent Loop BB2187_204 Depth=1
                                        ; =>  This Inner Loop Header: Depth=2
	global_load_ubyte v17, v[0:1], off sc1
	s_waitcnt vmcnt(0)
	v_cmp_ne_u16_e32 vcc, 0, v17
	s_or_b64 s[10:11], vcc, s[10:11]
	s_andn2_b64 exec, exec, s[10:11]
	s_cbranch_execnz .LBB2187_207
; %bb.208:                              ;   in Loop: Header=BB2187_204 Depth=1
	s_or_b64 exec, exec, s[10:11]
.LBB2187_209:                           ;   in Loop: Header=BB2187_204 Depth=1
	s_or_b64 exec, exec, s[0:1]
	v_mov_b32_e32 v0, s19
	v_mov_b32_e32 v1, s17
	v_cmp_eq_u16_e32 vcc, 1, v17
	v_mov_b32_e32 v2, s16
	s_waitcnt vmcnt(0)
	v_cndmask_b32_e32 v1, v0, v1, vcc
	v_mov_b32_e32 v0, s18
	v_cndmask_b32_e32 v0, v0, v2, vcc
	v_mad_u64_u32 v[32:33], s[0:1], v10, 36, v[0:1]
	global_load_dword v0, v[32:33], off sc1
	global_load_dword v1, v[32:33], off offset:4 sc1
	global_load_dword v2, v[32:33], off offset:8 sc1
	;; [unrolled: 1-line block ×8, first 2 shown]
	s_mov_b32 s0, 0
	scratch_store_dword off, v8, off offset:32
	s_waitcnt vmcnt(6)
	scratch_store_dwordx4 off, v[0:3], off offset:132
	s_waitcnt vmcnt(3)
	scratch_store_dwordx4 off, v[4:7], off offset:148
	s_waitcnt vmcnt(3)
	scratch_store_byte off, v9, off offset:164
.LBB2187_210:                           ;   Parent Loop BB2187_204 Depth=1
                                        ; =>  This Inner Loop Header: Depth=2
	s_add_i32 s1, s0, 0
	s_add_i32 s0, s0, 8
	v_mov_b32_e32 v9, v8
	s_cmp_lg_u32 s0, 32
	scratch_store_dwordx2 off, v[8:9], s1
	s_cbranch_scc1 .LBB2187_210
; %bb.211:                              ;   in Loop: Header=BB2187_204 Depth=1
	scratch_load_dword v11, off, off offset:164
	v_cmp_eq_u16_e32 vcc, 2, v17
	ds_bpermute_b32 v34, v19, v0
	ds_bpermute_b32 v35, v19, v1
	v_and_b32_e32 v9, vcc_hi, v13
	v_and_b32_e32 v32, vcc_lo, v12
	v_or_b32_e32 v9, 0x80000000, v9
	ds_bpermute_b32 v36, v19, v2
	ds_bpermute_b32 v37, v19, v3
	v_ffbl_b32_e32 v33, v32
	v_ffbl_b32_e32 v9, v9
	ds_bpermute_b32 v38, v19, v4
	ds_bpermute_b32 v39, v19, v5
	;; [unrolled: 1-line block ×4, first 2 shown]
	v_add_u32_e32 v9, 32, v9
	v_min_u32_e32 v9, v33, v9
	v_cmp_lt_u32_e32 vcc, v18, v9
	s_waitcnt lgkmcnt(4)
	scratch_store_dwordx4 off, v[34:37], off
	s_waitcnt lgkmcnt(0)
	scratch_store_dwordx4 off, v[38:41], off offset:16
	s_waitcnt vmcnt(2)
	ds_bpermute_b32 v32, v19, v11
	s_and_saveexec_b64 s[0:1], vcc
	s_cbranch_execz .LBB2187_219
; %bb.212:                              ;   in Loop: Header=BB2187_204 Depth=1
	v_cmp_eq_u16_sdwa s[36:37], v11, v8 src0_sel:BYTE_0 src1_sel:DWORD
	s_and_saveexec_b64 s[10:11], s[36:37]
	s_cbranch_execz .LBB2187_218
; %bb.213:                              ;   in Loop: Header=BB2187_204 Depth=1
	s_mov_b32 s36, 0
.LBB2187_214:                           ;   Parent Loop BB2187_204 Depth=1
                                        ; =>  This Inner Loop Header: Depth=2
	v_add_u32_e32 v0, s36, v14
	s_add_i32 s36, s36, 8
	s_cmp_lg_u32 s36, 32
	ds_write2_b32 v0, v8, v8 offset1:1
	s_cbranch_scc1 .LBB2187_214
; %bb.215:                              ;   in Loop: Header=BB2187_204 Depth=1
	s_mov_b32 s36, 0
.LBB2187_216:                           ;   Parent Loop BB2187_204 Depth=1
                                        ; =>  This Inner Loop Header: Depth=2
	s_add_i32 s37, s36, 0
	s_add_i32 s40, s36, 0x84
	scratch_load_dwordx2 v[0:1], off, s37
	scratch_load_dwordx2 v[2:3], off, s40
	v_add_u32_e32 v4, s36, v14
	s_add_i32 s36, s36, 8
	s_cmp_lg_u32 s36, 32
	s_waitcnt vmcnt(0)
	v_add_u32_e32 v1, v3, v1
	v_add_u32_e32 v0, v2, v0
	ds_write2_b32 v4, v0, v1 offset1:1
	s_cbranch_scc1 .LBB2187_216
; %bb.217:                              ;   in Loop: Header=BB2187_204 Depth=1
	ds_read2_b32 v[0:1], v14 offset1:1
	ds_read2_b32 v[2:3], v14 offset0:2 offset1:3
	ds_read2_b32 v[4:5], v14 offset0:4 offset1:5
	;; [unrolled: 1-line block ×3, first 2 shown]
.LBB2187_218:                           ;   in Loop: Header=BB2187_204 Depth=1
	s_or_b64 exec, exec, s[10:11]
	s_waitcnt lgkmcnt(0)
	v_or_b32_e32 v11, v32, v11
	v_and_b32_e32 v11, 1, v11
	scratch_store_byte off, v11, off offset:164
	scratch_load_dword v11, off, off offset:164
	s_nop 0
	scratch_store_dwordx4 off, v[0:3], off offset:132
	scratch_store_dwordx4 off, v[4:7], off offset:148
.LBB2187_219:                           ;   in Loop: Header=BB2187_204 Depth=1
	s_or_b64 exec, exec, s[0:1]
	ds_bpermute_b32 v34, v22, v0
	ds_bpermute_b32 v35, v22, v1
	;; [unrolled: 1-line block ×4, first 2 shown]
	s_waitcnt vmcnt(2) lgkmcnt(4)
	ds_bpermute_b32 v32, v22, v11
	ds_bpermute_b32 v38, v22, v4
	;; [unrolled: 1-line block ×5, first 2 shown]
	v_cmp_le_u32_e32 vcc, v23, v9
	s_waitcnt lgkmcnt(5)
	scratch_store_dwordx4 off, v[34:37], off
	s_waitcnt lgkmcnt(0)
	scratch_store_dwordx4 off, v[38:41], off offset:16
	s_and_saveexec_b64 s[10:11], vcc
	s_cbranch_execz .LBB2187_227
; %bb.220:                              ;   in Loop: Header=BB2187_204 Depth=1
	v_cmp_eq_u16_sdwa s[36:37], v11, v8 src0_sel:BYTE_0 src1_sel:DWORD
	s_and_saveexec_b64 s[0:1], s[36:37]
	s_cbranch_execz .LBB2187_226
; %bb.221:                              ;   in Loop: Header=BB2187_204 Depth=1
	s_mov_b32 s36, 0
.LBB2187_222:                           ;   Parent Loop BB2187_204 Depth=1
                                        ; =>  This Inner Loop Header: Depth=2
	v_add_u32_e32 v0, s36, v14
	s_add_i32 s36, s36, 8
	s_cmp_lg_u32 s36, 32
	ds_write2_b32 v0, v8, v8 offset1:1
	s_cbranch_scc1 .LBB2187_222
; %bb.223:                              ;   in Loop: Header=BB2187_204 Depth=1
	s_mov_b32 s36, 0
.LBB2187_224:                           ;   Parent Loop BB2187_204 Depth=1
                                        ; =>  This Inner Loop Header: Depth=2
	s_add_i32 s37, s36, 0
	s_add_i32 s40, s36, 0x84
	scratch_load_dwordx2 v[0:1], off, s37
	scratch_load_dwordx2 v[2:3], off, s40
	v_add_u32_e32 v4, s36, v14
	s_add_i32 s36, s36, 8
	s_cmp_lg_u32 s36, 32
	s_waitcnt vmcnt(0)
	v_add_u32_e32 v1, v3, v1
	v_add_u32_e32 v0, v2, v0
	ds_write2_b32 v4, v0, v1 offset1:1
	s_cbranch_scc1 .LBB2187_224
; %bb.225:                              ;   in Loop: Header=BB2187_204 Depth=1
	ds_read2_b32 v[0:1], v14 offset1:1
	ds_read2_b32 v[2:3], v14 offset0:2 offset1:3
	ds_read2_b32 v[4:5], v14 offset0:4 offset1:5
	;; [unrolled: 1-line block ×3, first 2 shown]
.LBB2187_226:                           ;   in Loop: Header=BB2187_204 Depth=1
	s_or_b64 exec, exec, s[0:1]
	v_and_b32_e32 v11, 1, v11
	v_cmp_eq_u32_e32 vcc, 1, v11
	v_and_b32_e32 v11, 1, v32
	v_cmp_eq_u32_e64 s[0:1], 1, v11
	s_or_b64 s[0:1], vcc, s[0:1]
	s_nop 0
	v_cndmask_b32_e64 v11, 0, 1, s[0:1]
	scratch_store_byte off, v11, off offset:164
	scratch_load_dword v11, off, off offset:164
	s_waitcnt lgkmcnt(2)
	scratch_store_dwordx4 off, v[0:3], off offset:132
	s_waitcnt lgkmcnt(0)
	scratch_store_dwordx4 off, v[4:7], off offset:148
.LBB2187_227:                           ;   in Loop: Header=BB2187_204 Depth=1
	s_or_b64 exec, exec, s[10:11]
	ds_bpermute_b32 v34, v24, v0
	ds_bpermute_b32 v35, v24, v1
	ds_bpermute_b32 v36, v24, v2
	ds_bpermute_b32 v37, v24, v3
	s_waitcnt vmcnt(2)
	ds_bpermute_b32 v32, v24, v11
	ds_bpermute_b32 v38, v24, v4
	;; [unrolled: 1-line block ×5, first 2 shown]
	v_cmp_le_u32_e32 vcc, v25, v9
	s_waitcnt lgkmcnt(5)
	scratch_store_dwordx4 off, v[34:37], off
	s_waitcnt lgkmcnt(0)
	scratch_store_dwordx4 off, v[38:41], off offset:16
	s_and_saveexec_b64 s[10:11], vcc
	s_cbranch_execz .LBB2187_235
; %bb.228:                              ;   in Loop: Header=BB2187_204 Depth=1
	v_cmp_eq_u16_sdwa s[36:37], v11, v8 src0_sel:BYTE_0 src1_sel:DWORD
	s_and_saveexec_b64 s[0:1], s[36:37]
	s_cbranch_execz .LBB2187_234
; %bb.229:                              ;   in Loop: Header=BB2187_204 Depth=1
	s_mov_b32 s36, 0
.LBB2187_230:                           ;   Parent Loop BB2187_204 Depth=1
                                        ; =>  This Inner Loop Header: Depth=2
	v_add_u32_e32 v0, s36, v14
	s_add_i32 s36, s36, 8
	s_cmp_lg_u32 s36, 32
	ds_write2_b32 v0, v8, v8 offset1:1
	s_cbranch_scc1 .LBB2187_230
; %bb.231:                              ;   in Loop: Header=BB2187_204 Depth=1
	s_mov_b32 s36, 0
.LBB2187_232:                           ;   Parent Loop BB2187_204 Depth=1
                                        ; =>  This Inner Loop Header: Depth=2
	s_add_i32 s37, s36, 0
	s_add_i32 s40, s36, 0x84
	scratch_load_dwordx2 v[0:1], off, s37
	scratch_load_dwordx2 v[2:3], off, s40
	v_add_u32_e32 v4, s36, v14
	s_add_i32 s36, s36, 8
	s_cmp_lg_u32 s36, 32
	s_waitcnt vmcnt(0)
	v_add_u32_e32 v1, v3, v1
	v_add_u32_e32 v0, v2, v0
	ds_write2_b32 v4, v0, v1 offset1:1
	s_cbranch_scc1 .LBB2187_232
; %bb.233:                              ;   in Loop: Header=BB2187_204 Depth=1
	ds_read2_b32 v[0:1], v14 offset1:1
	ds_read2_b32 v[2:3], v14 offset0:2 offset1:3
	ds_read2_b32 v[4:5], v14 offset0:4 offset1:5
	;; [unrolled: 1-line block ×3, first 2 shown]
.LBB2187_234:                           ;   in Loop: Header=BB2187_204 Depth=1
	s_or_b64 exec, exec, s[0:1]
	v_and_b32_e32 v11, 1, v11
	v_cmp_eq_u32_e32 vcc, 1, v11
	v_and_b32_e32 v11, 1, v32
	v_cmp_eq_u32_e64 s[0:1], 1, v11
	s_or_b64 s[0:1], vcc, s[0:1]
	s_nop 0
	v_cndmask_b32_e64 v11, 0, 1, s[0:1]
	scratch_store_byte off, v11, off offset:164
	scratch_load_dword v11, off, off offset:164
	s_waitcnt lgkmcnt(2)
	scratch_store_dwordx4 off, v[0:3], off offset:132
	s_waitcnt lgkmcnt(0)
	scratch_store_dwordx4 off, v[4:7], off offset:148
.LBB2187_235:                           ;   in Loop: Header=BB2187_204 Depth=1
	s_or_b64 exec, exec, s[10:11]
	ds_bpermute_b32 v34, v26, v0
	ds_bpermute_b32 v35, v26, v1
	;; [unrolled: 1-line block ×4, first 2 shown]
	s_waitcnt vmcnt(2)
	ds_bpermute_b32 v32, v26, v11
	ds_bpermute_b32 v38, v26, v4
	;; [unrolled: 1-line block ×5, first 2 shown]
	v_cmp_le_u32_e32 vcc, v27, v9
	s_waitcnt lgkmcnt(5)
	scratch_store_dwordx4 off, v[34:37], off
	s_waitcnt lgkmcnt(0)
	scratch_store_dwordx4 off, v[38:41], off offset:16
	s_and_saveexec_b64 s[10:11], vcc
	s_cbranch_execz .LBB2187_243
; %bb.236:                              ;   in Loop: Header=BB2187_204 Depth=1
	v_cmp_eq_u16_sdwa s[36:37], v11, v8 src0_sel:BYTE_0 src1_sel:DWORD
	s_and_saveexec_b64 s[0:1], s[36:37]
	s_cbranch_execz .LBB2187_242
; %bb.237:                              ;   in Loop: Header=BB2187_204 Depth=1
	s_mov_b32 s36, 0
.LBB2187_238:                           ;   Parent Loop BB2187_204 Depth=1
                                        ; =>  This Inner Loop Header: Depth=2
	v_add_u32_e32 v0, s36, v14
	s_add_i32 s36, s36, 8
	s_cmp_lg_u32 s36, 32
	ds_write2_b32 v0, v8, v8 offset1:1
	s_cbranch_scc1 .LBB2187_238
; %bb.239:                              ;   in Loop: Header=BB2187_204 Depth=1
	s_mov_b32 s36, 0
.LBB2187_240:                           ;   Parent Loop BB2187_204 Depth=1
                                        ; =>  This Inner Loop Header: Depth=2
	s_add_i32 s37, s36, 0
	s_add_i32 s40, s36, 0x84
	scratch_load_dwordx2 v[0:1], off, s37
	scratch_load_dwordx2 v[2:3], off, s40
	v_add_u32_e32 v4, s36, v14
	s_add_i32 s36, s36, 8
	s_cmp_lg_u32 s36, 32
	s_waitcnt vmcnt(0)
	v_add_u32_e32 v1, v3, v1
	v_add_u32_e32 v0, v2, v0
	ds_write2_b32 v4, v0, v1 offset1:1
	s_cbranch_scc1 .LBB2187_240
; %bb.241:                              ;   in Loop: Header=BB2187_204 Depth=1
	ds_read2_b32 v[0:1], v14 offset1:1
	ds_read2_b32 v[2:3], v14 offset0:2 offset1:3
	ds_read2_b32 v[4:5], v14 offset0:4 offset1:5
	;; [unrolled: 1-line block ×3, first 2 shown]
.LBB2187_242:                           ;   in Loop: Header=BB2187_204 Depth=1
	s_or_b64 exec, exec, s[0:1]
	v_and_b32_e32 v11, 1, v11
	v_cmp_eq_u32_e32 vcc, 1, v11
	v_and_b32_e32 v11, 1, v32
	v_cmp_eq_u32_e64 s[0:1], 1, v11
	s_or_b64 s[0:1], vcc, s[0:1]
	s_nop 0
	v_cndmask_b32_e64 v11, 0, 1, s[0:1]
	scratch_store_byte off, v11, off offset:164
	scratch_load_dword v11, off, off offset:164
	s_waitcnt lgkmcnt(2)
	scratch_store_dwordx4 off, v[0:3], off offset:132
	s_waitcnt lgkmcnt(0)
	scratch_store_dwordx4 off, v[4:7], off offset:148
.LBB2187_243:                           ;   in Loop: Header=BB2187_204 Depth=1
	s_or_b64 exec, exec, s[10:11]
	ds_bpermute_b32 v34, v28, v0
	ds_bpermute_b32 v35, v28, v1
	;; [unrolled: 1-line block ×4, first 2 shown]
	s_waitcnt vmcnt(2)
	ds_bpermute_b32 v32, v28, v11
	ds_bpermute_b32 v38, v28, v4
	;; [unrolled: 1-line block ×5, first 2 shown]
	v_cmp_le_u32_e32 vcc, v29, v9
	s_waitcnt lgkmcnt(5)
	scratch_store_dwordx4 off, v[34:37], off
	s_waitcnt lgkmcnt(0)
	scratch_store_dwordx4 off, v[38:41], off offset:16
	s_and_saveexec_b64 s[10:11], vcc
	s_cbranch_execz .LBB2187_251
; %bb.244:                              ;   in Loop: Header=BB2187_204 Depth=1
	v_cmp_eq_u16_sdwa s[36:37], v11, v8 src0_sel:BYTE_0 src1_sel:DWORD
	s_and_saveexec_b64 s[0:1], s[36:37]
	s_cbranch_execz .LBB2187_250
; %bb.245:                              ;   in Loop: Header=BB2187_204 Depth=1
	s_mov_b32 s36, 0
.LBB2187_246:                           ;   Parent Loop BB2187_204 Depth=1
                                        ; =>  This Inner Loop Header: Depth=2
	v_add_u32_e32 v0, s36, v14
	s_add_i32 s36, s36, 8
	s_cmp_lg_u32 s36, 32
	ds_write2_b32 v0, v8, v8 offset1:1
	s_cbranch_scc1 .LBB2187_246
; %bb.247:                              ;   in Loop: Header=BB2187_204 Depth=1
	s_mov_b32 s36, 0
.LBB2187_248:                           ;   Parent Loop BB2187_204 Depth=1
                                        ; =>  This Inner Loop Header: Depth=2
	s_add_i32 s37, s36, 0
	s_add_i32 s40, s36, 0x84
	scratch_load_dwordx2 v[0:1], off, s37
	scratch_load_dwordx2 v[2:3], off, s40
	v_add_u32_e32 v4, s36, v14
	s_add_i32 s36, s36, 8
	s_cmp_lg_u32 s36, 32
	s_waitcnt vmcnt(0)
	v_add_u32_e32 v1, v3, v1
	v_add_u32_e32 v0, v2, v0
	ds_write2_b32 v4, v0, v1 offset1:1
	s_cbranch_scc1 .LBB2187_248
; %bb.249:                              ;   in Loop: Header=BB2187_204 Depth=1
	ds_read2_b32 v[0:1], v14 offset1:1
	ds_read2_b32 v[2:3], v14 offset0:2 offset1:3
	ds_read2_b32 v[4:5], v14 offset0:4 offset1:5
	;; [unrolled: 1-line block ×3, first 2 shown]
.LBB2187_250:                           ;   in Loop: Header=BB2187_204 Depth=1
	s_or_b64 exec, exec, s[0:1]
	v_and_b32_e32 v11, 1, v11
	v_cmp_eq_u32_e32 vcc, 1, v11
	v_and_b32_e32 v11, 1, v32
	v_cmp_eq_u32_e64 s[0:1], 1, v11
	s_or_b64 s[0:1], vcc, s[0:1]
	s_nop 0
	v_cndmask_b32_e64 v11, 0, 1, s[0:1]
	scratch_store_byte off, v11, off offset:164
	scratch_load_dword v11, off, off offset:164
	s_waitcnt lgkmcnt(2)
	scratch_store_dwordx4 off, v[0:3], off offset:132
	s_waitcnt lgkmcnt(0)
	scratch_store_dwordx4 off, v[4:7], off offset:148
.LBB2187_251:                           ;   in Loop: Header=BB2187_204 Depth=1
	s_or_b64 exec, exec, s[10:11]
	ds_bpermute_b32 v34, v30, v0
	ds_bpermute_b32 v35, v30, v1
	ds_bpermute_b32 v36, v30, v2
	ds_bpermute_b32 v37, v30, v3
	s_waitcnt vmcnt(2)
	ds_bpermute_b32 v32, v30, v11
	ds_bpermute_b32 v38, v30, v4
	;; [unrolled: 1-line block ×5, first 2 shown]
	v_cmp_le_u32_e32 vcc, v31, v9
	v_and_b32_e32 v9, 1, v11
	v_cmp_eq_u32_e64 s[0:1], 1, v9
	s_waitcnt lgkmcnt(5)
	scratch_store_dwordx4 off, v[34:37], off
	s_waitcnt lgkmcnt(0)
	scratch_store_dwordx4 off, v[38:41], off offset:16
	s_and_saveexec_b64 s[10:11], vcc
	s_cbranch_execz .LBB2187_259
; %bb.252:                              ;   in Loop: Header=BB2187_204 Depth=1
	v_cmp_eq_u16_sdwa s[40:41], v11, v8 src0_sel:BYTE_0 src1_sel:DWORD
	s_and_saveexec_b64 s[36:37], s[40:41]
	s_cbranch_execz .LBB2187_258
; %bb.253:                              ;   in Loop: Header=BB2187_204 Depth=1
	s_mov_b32 s40, 0
.LBB2187_254:                           ;   Parent Loop BB2187_204 Depth=1
                                        ; =>  This Inner Loop Header: Depth=2
	v_add_u32_e32 v0, s40, v14
	s_add_i32 s40, s40, 8
	s_cmp_lg_u32 s40, 32
	ds_write2_b32 v0, v8, v8 offset1:1
	s_cbranch_scc1 .LBB2187_254
; %bb.255:                              ;   in Loop: Header=BB2187_204 Depth=1
	s_mov_b32 s40, 0
.LBB2187_256:                           ;   Parent Loop BB2187_204 Depth=1
                                        ; =>  This Inner Loop Header: Depth=2
	s_add_i32 s41, s40, 0
	s_add_i32 s42, s40, 0x84
	scratch_load_dwordx2 v[0:1], off, s41
	scratch_load_dwordx2 v[2:3], off, s42
	v_add_u32_e32 v4, s40, v14
	s_add_i32 s40, s40, 8
	s_cmp_lg_u32 s40, 32
	s_waitcnt vmcnt(0)
	v_add_u32_e32 v1, v3, v1
	v_add_u32_e32 v0, v2, v0
	ds_write2_b32 v4, v0, v1 offset1:1
	s_cbranch_scc1 .LBB2187_256
; %bb.257:                              ;   in Loop: Header=BB2187_204 Depth=1
	ds_read2_b32 v[0:1], v14 offset1:1
	ds_read2_b32 v[2:3], v14 offset0:2 offset1:3
	ds_read2_b32 v[4:5], v14 offset0:4 offset1:5
	;; [unrolled: 1-line block ×3, first 2 shown]
.LBB2187_258:                           ;   in Loop: Header=BB2187_204 Depth=1
	s_or_b64 exec, exec, s[36:37]
	v_and_b32_e32 v9, 1, v32
	v_cmp_eq_u32_e32 vcc, 1, v9
	s_or_b64 s[36:37], s[0:1], vcc
	v_cndmask_b32_e64 v9, 0, 1, s[36:37]
	s_andn2_b64 s[0:1], s[0:1], exec
	s_and_b64 s[36:37], s[36:37], exec
	s_or_b64 s[0:1], s[0:1], s[36:37]
	s_waitcnt lgkmcnt(2)
	scratch_store_dwordx4 off, v[0:3], off offset:132
	s_waitcnt lgkmcnt(0)
	scratch_store_dwordx4 off, v[4:7], off offset:148
	scratch_store_byte off, v9, off offset:164
.LBB2187_259:                           ;   in Loop: Header=BB2187_204 Depth=1
	s_or_b64 exec, exec, s[10:11]
	scratch_load_ubyte v11, off, off offset:128
                                        ; implicit-def: $vgpr6_vgpr7
                                        ; implicit-def: $vgpr2_vgpr3
	s_waitcnt vmcnt(0)
	v_cmp_ne_u16_e32 vcc, 0, v11
	s_and_saveexec_b64 s[10:11], vcc
	s_xor_b64 s[10:11], exec, s[10:11]
	s_cbranch_execz .LBB2187_261
; %bb.260:                              ;   in Loop: Header=BB2187_204 Depth=1
	scratch_load_dwordx4 v[0:3], off, off offset:96
	scratch_load_dwordx4 v[4:7], off, off offset:112
.LBB2187_261:                           ;   in Loop: Header=BB2187_204 Depth=1
	s_andn2_saveexec_b64 s[10:11], s[10:11]
	s_cbranch_execz .LBB2187_203
; %bb.262:                              ;   in Loop: Header=BB2187_204 Depth=1
	s_mov_b32 s36, 0
.LBB2187_263:                           ;   Parent Loop BB2187_204 Depth=1
                                        ; =>  This Inner Loop Header: Depth=2
	s_add_i32 s37, s36, 0
	s_add_i32 s36, s36, 8
	v_mov_b32_e32 v9, v8
	s_cmp_lg_u32 s36, 32
	scratch_store_dwordx2 off, v[8:9], s37
	s_cbranch_scc1 .LBB2187_263
; %bb.264:                              ;   in Loop: Header=BB2187_204 Depth=1
	s_mov_b32 s36, 0
.LBB2187_265:                           ;   Parent Loop BB2187_204 Depth=1
                                        ; =>  This Inner Loop Header: Depth=2
	s_add_i32 s37, s36, 0x84
	s_add_i32 s40, s36, 0x60
	scratch_load_dwordx2 v[0:1], off, s37
	scratch_load_dwordx2 v[2:3], off, s40
	s_add_i32 s37, s36, 0
	s_add_i32 s36, s36, 8
	s_cmp_lg_u32 s36, 32
	s_waitcnt vmcnt(0)
	v_add_u32_e32 v1, v3, v1
	v_add_u32_e32 v0, v2, v0
	scratch_store_dwordx2 off, v[0:1], s37
	s_cbranch_scc1 .LBB2187_265
; %bb.266:                              ;   in Loop: Header=BB2187_204 Depth=1
	scratch_load_dwordx4 v[0:3], off, off
	scratch_load_dwordx4 v[4:7], off, off offset:16
	s_branch .LBB2187_203
.LBB2187_267:                           ;   in Loop: Header=BB2187_204 Depth=1
                                        ; implicit-def: $vgpr10
                                        ; implicit-def: $vgpr17
	s_cbranch_execz .LBB2187_204
; %bb.268:
	scratch_load_dwordx4 v[4:7], off, off offset:96
	scratch_load_dwordx4 v[0:3], off, off offset:112
	scratch_load_dword v15, off, off offset:128
	s_waitcnt vmcnt(2)
	scratch_store_dwordx4 off, v[4:7], off
	s_waitcnt vmcnt(2)
	scratch_store_dwordx4 off, v[0:3], off offset:16
	s_waitcnt vmcnt(2)
	scratch_store_dword off, v15, off offset:32
	s_and_saveexec_b64 s[0:1], s[8:9]
	s_cbranch_execz .LBB2187_278
; %bb.269:
	scratch_load_ubyte v17, off, off offset:200
                                        ; implicit-def: $vgpr18_vgpr19
                                        ; implicit-def: $vgpr8_vgpr9
                                        ; implicit-def: $vgpr22
                                        ; implicit-def: $vgpr12
	s_waitcnt vmcnt(0)
	v_cmp_ne_u16_e32 vcc, 0, v17
	s_and_saveexec_b64 s[8:9], vcc
	s_xor_b64 s[8:9], exec, s[8:9]
	s_cbranch_execz .LBB2187_271
; %bb.270:
	scratch_load_dwordx3 v[12:14], off, off offset:168
	scratch_load_dwordx4 v[8:11], off, off offset:180
	scratch_load_dword v22, off, off offset:196
	s_waitcnt vmcnt(2)
	v_mov_b32_e32 v18, v13
	v_mov_b32_e32 v19, v14
.LBB2187_271:
	s_andn2_saveexec_b64 s[8:9], s[8:9]
	s_cbranch_execz .LBB2187_277
; %bb.272:
	s_waitcnt vmcnt(1)
	v_mov_b32_e32 v8, 0
	s_mov_b32 s10, 0
	v_mov_b32_e32 v9, v8
.LBB2187_273:                           ; =>This Inner Loop Header: Depth=1
	s_add_i32 s11, s10, 0x60
	s_add_i32 s10, s10, 8
	s_cmp_lg_u32 s10, 32
	scratch_store_dwordx2 off, v[8:9], s11
	s_cbranch_scc1 .LBB2187_273
; %bb.274:
	s_mov_b32 s10, 0
.LBB2187_275:                           ; =>This Inner Loop Header: Depth=1
	s_add_i32 s11, s10, 0
	s_add_i32 s16, s10, 0xa8
	scratch_load_dwordx2 v[8:9], off, s11
	scratch_load_dwordx2 v[10:11], off, s16
	s_add_i32 s11, s10, 0x60
	s_add_i32 s10, s10, 8
	s_cmp_lg_u32 s10, 32
	s_waitcnt vmcnt(0)
	v_add_u32_e32 v9, v11, v9
	v_add_u32_e32 v8, v10, v8
	scratch_store_dwordx2 off, v[8:9], s11
	s_cbranch_scc1 .LBB2187_275
; %bb.276:
	scratch_load_dwordx3 v[12:14], off, off offset:96
	scratch_load_dwordx4 v[8:11], off, off offset:108
	scratch_load_dword v22, off, off offset:124
	s_waitcnt vmcnt(2)
	v_mov_b32_e32 v18, v13
	v_mov_b32_e32 v19, v14
.LBB2187_277:
	s_or_b64 exec, exec, s[8:9]
	s_add_i32 s10, s33, 64
	v_and_b32_e32 v13, 1, v17
	s_mul_i32 s8, s10, 36
	v_and_b32_e32 v14, 1, v15
	v_cmp_eq_u32_e32 vcc, 1, v13
	s_mul_hi_u32 s9, s10, 36
	s_add_u32 s8, s18, s8
	v_cndmask_b32_e64 v13, v14, 1, vcc
	s_addc_u32 s9, s19, s9
	v_mov_b32_e32 v14, 0
	global_store_dword v14, v12, s[8:9] sc1
	global_store_dword v14, v18, s[8:9] offset:4 sc1
	global_store_dword v14, v19, s[8:9] offset:8 sc1
	s_waitcnt vmcnt(4)
	global_store_dword v14, v8, s[8:9] offset:12 sc1
	global_store_dword v14, v9, s[8:9] offset:16 sc1
	;; [unrolled: 1-line block ×4, first 2 shown]
	s_waitcnt vmcnt(7)
	global_store_dword v14, v22, s[8:9] offset:28 sc1
	global_store_dword v14, v13, s[8:9] offset:32 sc1
	v_mov_b32_e32 v8, s10
	v_mov_b32_e32 v9, 2
	s_waitcnt vmcnt(0)
	global_store_byte v8, v9, s[20:21] sc1
.LBB2187_278:
	s_or_b64 exec, exec, s[0:1]
	s_and_b64 exec, exec, s[6:7]
	s_cbranch_execz .LBB2187_280
; %bb.279:
	v_mov_b32_e32 v8, 0
	ds_write2_b32 v8, v4, v5 offset0:27 offset1:28
	ds_write2_b32 v8, v6, v7 offset0:29 offset1:30
	ds_write2_b32 v8, v0, v1 offset0:31 offset1:32
	ds_write2_b32 v8, v2, v3 offset0:33 offset1:34
	ds_write_b8 v8, v15 offset:140
.LBB2187_280:
	s_or_b64 exec, exec, s[12:13]
	s_waitcnt lgkmcnt(0)
	s_barrier
	scratch_load_dwordx4 v[0:3], off, off offset:272
	scratch_load_dwordx4 v[4:7], off, off offset:288
	scratch_load_dword v8, off, off offset:304
	v_mov_b32_e32 v9, 0
	ds_read2_b32 v[10:11], v9 offset0:27 offset1:28
	ds_read2_b32 v[12:13], v9 offset0:29 offset1:30
	;; [unrolled: 1-line block ×4, first 2 shown]
	ds_read_b32 v9, v9 offset:140
	s_waitcnt lgkmcnt(3)
	scratch_store_dwordx4 off, v[10:13], off
	s_waitcnt lgkmcnt(1)
	scratch_store_dwordx4 off, v[22:25], off offset:16
	s_waitcnt lgkmcnt(0)
	scratch_store_dword off, v9, off offset:32
	scratch_store_dwordx4 off, v[10:13], off offset:132
	scratch_store_dwordx4 off, v[22:25], off offset:148
	s_waitcnt vmcnt(7)
	scratch_store_dwordx4 off, v[0:3], off offset:96
	s_waitcnt vmcnt(7)
	;; [unrolled: 2-line block ×3, first 2 shown]
	scratch_store_dword off, v8, off offset:128
	scratch_store_dword off, v9, off offset:164
                                        ; implicit-def: $vgpr8
	s_and_saveexec_b64 s[0:1], s[4:5]
	s_xor_b64 s[0:1], exec, s[0:1]
	s_cbranch_execz .LBB2187_290
; %bb.281:
	scratch_load_ubyte v8, off, off offset:236
                                        ; implicit-def: $vgpr6_vgpr7
                                        ; implicit-def: $vgpr2_vgpr3
	s_waitcnt vmcnt(0)
	v_cmp_ne_u16_e32 vcc, 0, v8
	s_and_saveexec_b64 s[8:9], vcc
	s_xor_b64 s[8:9], exec, s[8:9]
	s_cbranch_execz .LBB2187_283
; %bb.282:
	scratch_load_dwordx4 v[0:3], off, off offset:204
	scratch_load_dwordx4 v[4:7], off, off offset:220
.LBB2187_283:
	s_andn2_saveexec_b64 s[8:9], s[8:9]
	s_cbranch_execz .LBB2187_289
; %bb.284:
	s_waitcnt vmcnt(1)
	v_mov_b32_e32 v0, 0
	s_mov_b32 s10, 0
	v_mov_b32_e32 v1, v0
.LBB2187_285:                           ; =>This Inner Loop Header: Depth=1
	s_add_i32 s11, s10, 0xa8
	s_add_i32 s10, s10, 8
	s_cmp_lg_u32 s10, 32
	scratch_store_dwordx2 off, v[0:1], s11
	s_cbranch_scc1 .LBB2187_285
; %bb.286:
	s_mov_b32 s10, 0
.LBB2187_287:                           ; =>This Inner Loop Header: Depth=1
	s_add_i32 s11, s10, 0
	s_add_i32 s12, s10, 0xcc
	scratch_load_dwordx2 v[0:1], off, s11
	scratch_load_dwordx2 v[2:3], off, s12
	s_add_i32 s11, s10, 0xa8
	s_add_i32 s10, s10, 8
	s_cmp_lg_u32 s10, 32
	s_waitcnt vmcnt(0)
	v_add_u32_e32 v1, v3, v1
	v_add_u32_e32 v0, v2, v0
	scratch_store_dwordx2 off, v[0:1], s11
	s_cbranch_scc1 .LBB2187_287
; %bb.288:
	scratch_load_dwordx4 v[0:3], off, off offset:168
	scratch_load_dwordx4 v[4:7], off, off offset:184
.LBB2187_289:
	s_or_b64 exec, exec, s[8:9]
	v_or_b32_e32 v8, v8, v9
	v_and_b32_e32 v8, 1, v8
	s_waitcnt vmcnt(1)
	scratch_store_dwordx4 off, v[0:3], off offset:132
	s_waitcnt vmcnt(1)
	scratch_store_dwordx4 off, v[4:7], off offset:148
.LBB2187_290:
	s_andn2_saveexec_b64 s[0:1], s[0:1]
	s_cbranch_execz .LBB2187_292
; %bb.291:
	scratch_load_ubyte v8, off, off offset:164
.LBB2187_292:
	s_or_b64 exec, exec, s[0:1]
	scratch_load_dwordx4 v[0:3], off, off offset:132
	scratch_load_dwordx4 v[4:7], off, off offset:148
	scratch_load_ubyte v9, off, off offset:128
	s_waitcnt vmcnt(3)
	scratch_store_byte off, v8, off offset:304
	s_waitcnt vmcnt(3)
	scratch_store_dwordx4 off, v[0:3], off offset:272
	s_waitcnt vmcnt(3)
	scratch_store_dwordx4 off, v[4:7], off offset:288
	s_waitcnt vmcnt(3)
	v_cmp_ne_u16_e32 vcc, 0, v9
                                        ; implicit-def: $vgpr6_vgpr7
                                        ; implicit-def: $vgpr2_vgpr3
	s_and_saveexec_b64 s[0:1], vcc
	s_xor_b64 s[0:1], exec, s[0:1]
	s_cbranch_execz .LBB2187_294
; %bb.293:
	scratch_load_dwordx4 v[0:3], off, off offset:96
	scratch_load_dwordx4 v[4:7], off, off offset:112
.LBB2187_294:
	s_andn2_saveexec_b64 s[0:1], s[0:1]
	s_cbranch_execz .LBB2187_300
; %bb.295:
	s_waitcnt vmcnt(1)
	v_mov_b32_e32 v0, 0
	s_mov_b32 s8, 0
	v_mov_b32_e32 v1, v0
.LBB2187_296:                           ; =>This Inner Loop Header: Depth=1
	s_add_i32 s9, s8, 0xa8
	s_add_i32 s8, s8, 8
	s_cmp_lg_u32 s8, 32
	scratch_store_dwordx2 off, v[0:1], s9
	s_cbranch_scc1 .LBB2187_296
; %bb.297:
	s_mov_b32 s8, 0
.LBB2187_298:                           ; =>This Inner Loop Header: Depth=1
	s_add_i32 s9, s8, 0x84
	s_add_i32 s10, s8, 0x60
	scratch_load_dwordx2 v[0:1], off, s9
	scratch_load_dwordx2 v[2:3], off, s10
	s_add_i32 s9, s8, 0xa8
	s_add_i32 s8, s8, 8
	s_cmp_lg_u32 s8, 32
	s_waitcnt vmcnt(0)
	v_add_u32_e32 v1, v3, v1
	v_add_u32_e32 v0, v2, v0
	scratch_store_dwordx2 off, v[0:1], s9
	s_cbranch_scc1 .LBB2187_298
; %bb.299:
	scratch_load_dwordx4 v[0:3], off, off offset:168
	scratch_load_dwordx4 v[4:7], off, off offset:184
.LBB2187_300:
	s_or_b64 exec, exec, s[0:1]
	scratch_load_dwordx4 v[12:15], v20, off
	scratch_load_dwordx4 v[22:25], v20, off offset:16
	scratch_load_ubyte v10, off, off offset:340
	v_or_b32_e32 v8, v9, v8
	s_waitcnt vmcnt(4)
	scratch_store_dwordx4 off, v[0:3], off offset:132
	s_waitcnt vmcnt(4)
	scratch_store_dwordx4 off, v[4:7], off offset:148
	scratch_store_dwordx4 v20, v[0:3], off
	scratch_store_dwordx4 v20, v[4:7], off offset:16
                                        ; implicit-def: $vgpr6_vgpr7
                                        ; implicit-def: $vgpr2_vgpr3
	s_waitcnt vmcnt(4)
	v_cmp_ne_u16_e64 s[0:1], 0, v10
	v_and_b32_e32 v0, 1, v8
	v_cmp_eq_u32_e32 vcc, 1, v0
	scratch_store_byte off, v0, off offset:340
	scratch_store_dwordx4 off, v[12:15], off offset:96
	scratch_store_dwordx4 off, v[22:25], off offset:112
	s_and_saveexec_b64 s[8:9], s[0:1]
	s_xor_b64 s[0:1], exec, s[8:9]
	s_cbranch_execz .LBB2187_302
; %bb.301:
	scratch_load_dwordx4 v[0:3], off, off offset:96
	scratch_load_dwordx4 v[4:7], off, off offset:112
.LBB2187_302:
	s_andn2_saveexec_b64 s[0:1], s[0:1]
	s_cbranch_execz .LBB2187_308
; %bb.303:
	s_waitcnt vmcnt(1)
	v_mov_b32_e32 v0, 0
	s_mov_b32 s8, 0
	v_mov_b32_e32 v1, v0
.LBB2187_304:                           ; =>This Inner Loop Header: Depth=1
	s_add_i32 s9, s8, 0xa8
	s_add_i32 s8, s8, 8
	s_cmp_lg_u32 s8, 32
	scratch_store_dwordx2 off, v[0:1], s9
	s_cbranch_scc1 .LBB2187_304
; %bb.305:
	s_mov_b32 s8, 0
.LBB2187_306:                           ; =>This Inner Loop Header: Depth=1
	s_add_i32 s9, s8, 0x84
	s_add_i32 s10, s8, 0x60
	scratch_load_dwordx2 v[0:1], off, s9
	scratch_load_dwordx2 v[2:3], off, s10
	s_add_i32 s9, s8, 0xa8
	s_add_i32 s8, s8, 8
	s_cmp_lg_u32 s8, 32
	s_waitcnt vmcnt(0)
	v_add_u32_e32 v1, v3, v1
	v_add_u32_e32 v0, v2, v0
	scratch_store_dwordx2 off, v[0:1], s9
	s_cbranch_scc1 .LBB2187_306
; %bb.307:
	scratch_load_dwordx4 v[0:3], off, off offset:168
	scratch_load_dwordx4 v[4:7], off, off offset:184
.LBB2187_308:
	s_or_b64 exec, exec, s[0:1]
	v_and_b32_e32 v8, 1, v10
	v_cmp_eq_u32_e64 s[0:1], 1, v8
	s_or_b64 s[0:1], s[0:1], vcc
	s_nop 0
	v_cndmask_b32_e64 v8, 0, 1, s[0:1]
	s_waitcnt vmcnt(1)
	scratch_store_dwordx4 v21, v[0:3], off
	s_waitcnt vmcnt(1)
	scratch_store_dwordx4 v21, v[4:7], off offset:16
	scratch_store_byte off, v8, off offset:376
	s_branch .LBB2187_449
.LBB2187_309:
	s_cbranch_execz .LBB2187_449
; %bb.310:
	s_cmp_lg_u64 s[46:47], 0
	s_cselect_b32 s1, s39, 0
	s_cselect_b32 s0, s38, 0
	s_mov_b32 s8, 0
	s_cmp_eq_u64 s[0:1], 0
	v_mov_b64_e32 v[4:5], s[24:25]
	v_mov_b64_e32 v[6:7], s[26:27]
	;; [unrolled: 1-line block ×4, first 2 shown]
	s_cbranch_scc1 .LBB2187_312
; %bb.311:
	v_mov_b32_e32 v8, 0
	global_load_dwordx4 v[0:3], v8, s[0:1] offset:16
	global_load_dwordx4 v[4:7], v8, s[0:1]
.LBB2187_312:
	s_mov_b32 s10, s8
	s_mov_b32 s11, s8
	v_mov_b32_e32 v8, 0
	s_mov_b32 s9, s8
	v_mov_b64_e32 v[12:13], s[10:11]
	v_mov_b64_e32 v[10:11], s[8:9]
	v_mov_b32_e32 v9, v8
	scratch_store_dword off, v8, off offset:412
	scratch_store_dwordx4 off, v[10:13], off offset:396
	scratch_store_dwordx4 off, v[10:13], off offset:380
.LBB2187_313:                           ; =>This Inner Loop Header: Depth=1
	s_add_i32 s0, s8, 0x17c
	s_add_i32 s8, s8, 8
	s_cmp_lg_u32 s8, 32
	scratch_store_dwordx2 off, v[8:9], s0
	s_cbranch_scc1 .LBB2187_313
; %bb.314:
	scratch_load_dwordx4 v[8:11], off, off offset:272
	scratch_load_dwordx4 v[12:15], off, off offset:288
	scratch_load_dword v17, off, off offset:304
	scratch_load_ubyte v18, off, off offset:340
	v_mov_b32_e32 v19, 0
	s_waitcnt vmcnt(8)
	scratch_store_dwordx4 off, v[4:7], off offset:204
	scratch_store_dwordx4 off, v[0:3], off offset:220
	scratch_store_byte off, v19, off offset:412
	scratch_store_byte off, v19, off offset:236
	s_waitcnt vmcnt(7)
	scratch_store_dwordx4 off, v[8:11], off offset:168
	s_waitcnt vmcnt(7)
	scratch_store_dwordx4 off, v[12:15], off offset:184
	s_waitcnt vmcnt(7)
	scratch_store_dword off, v17, off offset:200
	s_waitcnt vmcnt(7)
	v_cmp_ne_u16_e32 vcc, 0, v18
                                        ; implicit-def: $vgpr14_vgpr15
                                        ; implicit-def: $vgpr10_vgpr11
	s_and_saveexec_b64 s[0:1], vcc
	s_xor_b64 s[0:1], exec, s[0:1]
	s_cbranch_execz .LBB2187_316
; %bb.315:
	scratch_load_dwordx4 v[8:11], off, off offset:308
	scratch_load_dwordx4 v[12:15], off, off offset:324
.LBB2187_316:
	s_andn2_saveexec_b64 s[0:1], s[0:1]
	s_cbranch_execz .LBB2187_322
; %bb.317:
	s_waitcnt vmcnt(1)
	v_mov_b32_e32 v8, 0
	s_mov_b32 s8, 0
	v_mov_b32_e32 v9, v8
.LBB2187_318:                           ; =>This Inner Loop Header: Depth=1
	s_add_i32 s9, s8, 0
	s_add_i32 s8, s8, 8
	s_cmp_lg_u32 s8, 32
	scratch_store_dwordx2 off, v[8:9], s9
	s_cbranch_scc1 .LBB2187_318
; %bb.319:
	s_mov_b32 s8, 0
.LBB2187_320:                           ; =>This Inner Loop Header: Depth=1
	s_add_i32 s9, s8, 0xa8
	s_waitcnt vmcnt(1)
	v_add_u32_e32 v12, s8, v20
	scratch_load_dwordx2 v[8:9], off, s9
	scratch_load_dwordx2 v[10:11], v12, off
	s_add_i32 s9, s8, 0
	s_add_i32 s8, s8, 8
	s_cmp_lg_u32 s8, 32
	s_waitcnt vmcnt(0)
	v_add_u32_e32 v9, v11, v9
	v_add_u32_e32 v8, v10, v8
	scratch_store_dwordx2 off, v[8:9], s9
	s_cbranch_scc1 .LBB2187_320
; %bb.321:
	scratch_load_dwordx4 v[8:11], off, off
	scratch_load_dwordx4 v[12:15], off, off offset:16
.LBB2187_322:
	s_or_b64 exec, exec, s[0:1]
	scratch_load_ubyte v19, off, off offset:376
	s_waitcnt vmcnt(2)
	scratch_store_dwordx4 off, v[8:11], off offset:168
	s_waitcnt vmcnt(2)
	scratch_store_dwordx4 off, v[12:15], off offset:184
                                        ; implicit-def: $vgpr14_vgpr15
                                        ; implicit-def: $vgpr10_vgpr11
	s_waitcnt vmcnt(2)
	v_cmp_ne_u16_e32 vcc, 0, v19
	s_and_saveexec_b64 s[0:1], vcc
	s_xor_b64 s[0:1], exec, s[0:1]
	s_cbranch_execz .LBB2187_324
; %bb.323:
	scratch_load_dwordx4 v[8:11], off, off offset:344
	scratch_load_dwordx4 v[12:15], off, off offset:360
.LBB2187_324:
	s_andn2_saveexec_b64 s[0:1], s[0:1]
	s_cbranch_execz .LBB2187_330
; %bb.325:
	s_waitcnt vmcnt(1)
	v_mov_b32_e32 v8, 0
	s_mov_b32 s8, 0
	v_mov_b32_e32 v9, v8
.LBB2187_326:                           ; =>This Inner Loop Header: Depth=1
	s_add_i32 s9, s8, 0
	s_add_i32 s8, s8, 8
	s_cmp_lg_u32 s8, 32
	scratch_store_dwordx2 off, v[8:9], s9
	s_cbranch_scc1 .LBB2187_326
; %bb.327:
	s_mov_b32 s8, 0
.LBB2187_328:                           ; =>This Inner Loop Header: Depth=1
	s_add_i32 s9, s8, 0xa8
	s_waitcnt vmcnt(1)
	v_add_u32_e32 v12, s8, v21
	scratch_load_dwordx2 v[8:9], off, s9
	scratch_load_dwordx2 v[10:11], v12, off
	s_add_i32 s9, s8, 0
	s_add_i32 s8, s8, 8
	s_cmp_lg_u32 s8, 32
	s_waitcnt vmcnt(0)
	v_add_u32_e32 v9, v11, v9
	v_add_u32_e32 v8, v10, v8
	scratch_store_dwordx2 off, v[8:9], s9
	s_cbranch_scc1 .LBB2187_328
; %bb.329:
	scratch_load_dwordx4 v[8:11], off, off
	scratch_load_dwordx4 v[12:15], off, off offset:16
.LBB2187_330:
	s_or_b64 exec, exec, s[0:1]
	v_or_b32_e32 v18, v19, v18
	v_or_b32_e32 v17, v18, v17
	v_and_b32_e32 v17, 1, v17
	scratch_store_byte off, v17, off offset:200
	scratch_load_dword v22, off, off offset:200
	v_mbcnt_lo_u32_b32 v17, -1, 0
	v_mbcnt_hi_u32_b32 v17, -1, v17
	v_and_b32_e32 v23, 15, v17
	v_mov_b32_e32 v19, 0
	s_waitcnt vmcnt(3)
	v_mov_b32_dpp v24, v8 row_shr:1 row_mask:0xf bank_mask:0xf
	v_mov_b32_dpp v25, v9 row_shr:1 row_mask:0xf bank_mask:0xf
	;; [unrolled: 1-line block ×4, first 2 shown]
	v_cmp_ne_u32_e32 vcc, 0, v23
	scratch_store_dwordx4 off, v[4:7], off offset:132
	scratch_store_dwordx4 off, v[0:3], off offset:148
	;; [unrolled: 1-line block ×3, first 2 shown]
	s_waitcnt vmcnt(5)
	scratch_store_dwordx4 off, v[12:15], off offset:184
	v_mov_b32_dpp v28, v12 row_shr:1 row_mask:0xf bank_mask:0xf
	v_mov_b32_dpp v29, v13 row_shr:1 row_mask:0xf bank_mask:0xf
	;; [unrolled: 1-line block ×4, first 2 shown]
	scratch_store_byte off, v19, off offset:164
	scratch_store_dwordx4 off, v[24:27], off
	scratch_store_dwordx4 off, v[28:31], off offset:16
	s_waitcnt vmcnt(7)
	v_mov_b32_dpp v18, v22 row_shr:1 row_mask:0xf bank_mask:0xf
	scratch_store_dword off, v18, off offset:32
	s_and_saveexec_b64 s[0:1], vcc
	s_xor_b64 s[0:1], exec, s[0:1]
	s_cbranch_execz .LBB2187_338
; %bb.331:
	v_cmp_eq_u16_sdwa s[10:11], v22, v19 src0_sel:BYTE_0 src1_sel:DWORD
	s_and_saveexec_b64 s[8:9], s[10:11]
	s_cbranch_execz .LBB2187_337
; %bb.332:
	v_mov_b32_e32 v8, 0
	s_mov_b32 s10, 0
	v_mov_b32_e32 v9, v8
.LBB2187_333:                           ; =>This Inner Loop Header: Depth=1
	s_add_i32 s11, s10, 0x60
	s_add_i32 s10, s10, 8
	s_cmp_lg_u32 s10, 32
	scratch_store_dwordx2 off, v[8:9], s11
	s_cbranch_scc1 .LBB2187_333
; %bb.334:
	s_mov_b32 s10, 0
.LBB2187_335:                           ; =>This Inner Loop Header: Depth=1
	s_add_i32 s11, s10, 0
	s_add_i32 s12, s10, 0xa8
	scratch_load_dwordx2 v[8:9], off, s11
	scratch_load_dwordx2 v[10:11], off, s12
	s_add_i32 s11, s10, 0x60
	s_add_i32 s10, s10, 8
	s_cmp_lg_u32 s10, 32
	s_waitcnt vmcnt(0)
	v_add_u32_e32 v9, v11, v9
	v_add_u32_e32 v8, v10, v8
	scratch_store_dwordx2 off, v[8:9], s11
	s_cbranch_scc1 .LBB2187_335
; %bb.336:
	scratch_load_dwordx4 v[8:11], off, off offset:96
	scratch_load_dwordx4 v[12:15], off, off offset:112
.LBB2187_337:
	s_or_b64 exec, exec, s[8:9]
	v_or_b32_e32 v18, v18, v22
	v_and_b32_e32 v18, 1, v18
	scratch_store_byte off, v18, off offset:200
	scratch_load_dword v22, off, off offset:200
	s_waitcnt vmcnt(3)
	scratch_store_dwordx4 off, v[8:11], off offset:168
	s_waitcnt vmcnt(3)
	scratch_store_dwordx4 off, v[12:15], off offset:184
.LBB2187_338:
	s_or_b64 exec, exec, s[0:1]
	v_mov_b32_dpp v26, v8 row_shr:2 row_mask:0xf bank_mask:0xf
	v_mov_b32_dpp v27, v9 row_shr:2 row_mask:0xf bank_mask:0xf
	;; [unrolled: 1-line block ×4, first 2 shown]
	s_waitcnt vmcnt(2)
	v_mov_b32_dpp v24, v22 row_shr:2 row_mask:0xf bank_mask:0xf
	v_cmp_lt_u32_e32 vcc, 1, v23
	v_mov_b32_dpp v30, v12 row_shr:2 row_mask:0xf bank_mask:0xf
	v_mov_b32_dpp v31, v13 row_shr:2 row_mask:0xf bank_mask:0xf
	;; [unrolled: 1-line block ×4, first 2 shown]
	scratch_store_dwordx4 off, v[26:29], off
	scratch_store_dwordx4 off, v[30:33], off offset:16
	scratch_store_dword off, v24, off offset:32
	s_and_saveexec_b64 s[8:9], vcc
	s_cbranch_execz .LBB2187_346
; %bb.339:
	v_mov_b32_e32 v18, 0
	s_mov_b32 s10, 0
	v_cmp_eq_u16_sdwa s[12:13], v22, v18 src0_sel:BYTE_0 src1_sel:DWORD
	s_and_saveexec_b64 s[0:1], s[12:13]
	s_cbranch_execz .LBB2187_345
; %bb.340:
	v_mov_b32_e32 v19, v18
.LBB2187_341:                           ; =>This Inner Loop Header: Depth=1
	s_add_i32 s11, s10, 0x60
	s_add_i32 s10, s10, 8
	s_cmp_lg_u32 s10, 32
	scratch_store_dwordx2 off, v[18:19], s11
	s_cbranch_scc1 .LBB2187_341
; %bb.342:
	s_mov_b32 s10, 0
.LBB2187_343:                           ; =>This Inner Loop Header: Depth=1
	s_add_i32 s11, s10, 0
	s_add_i32 s12, s10, 0xa8
	scratch_load_dwordx2 v[8:9], off, s11
	scratch_load_dwordx2 v[10:11], off, s12
	s_add_i32 s11, s10, 0x60
	s_add_i32 s10, s10, 8
	s_cmp_lg_u32 s10, 32
	s_waitcnt vmcnt(0)
	v_add_u32_e32 v9, v11, v9
	v_add_u32_e32 v8, v10, v8
	scratch_store_dwordx2 off, v[8:9], s11
	s_cbranch_scc1 .LBB2187_343
; %bb.344:
	scratch_load_dwordx4 v[8:11], off, off offset:96
	scratch_load_dwordx4 v[12:15], off, off offset:112
.LBB2187_345:
	s_or_b64 exec, exec, s[0:1]
	v_and_b32_e32 v18, 1, v22
	v_cmp_eq_u32_e32 vcc, 1, v18
	v_and_b32_e32 v18, 1, v24
	v_cmp_eq_u32_e64 s[0:1], 1, v18
	s_or_b64 s[0:1], vcc, s[0:1]
	s_nop 0
	v_cndmask_b32_e64 v18, 0, 1, s[0:1]
	scratch_store_byte off, v18, off offset:200
	scratch_load_dword v22, off, off offset:200
	s_waitcnt vmcnt(3)
	scratch_store_dwordx4 off, v[8:11], off offset:168
	s_waitcnt vmcnt(3)
	scratch_store_dwordx4 off, v[12:15], off offset:184
.LBB2187_346:
	s_or_b64 exec, exec, s[8:9]
	v_mov_b32_dpp v26, v8 row_shr:4 row_mask:0xf bank_mask:0xf
	v_mov_b32_dpp v27, v9 row_shr:4 row_mask:0xf bank_mask:0xf
	;; [unrolled: 1-line block ×4, first 2 shown]
	s_waitcnt vmcnt(2)
	v_mov_b32_dpp v24, v22 row_shr:4 row_mask:0xf bank_mask:0xf
	v_cmp_lt_u32_e32 vcc, 3, v23
	v_mov_b32_dpp v30, v12 row_shr:4 row_mask:0xf bank_mask:0xf
	v_mov_b32_dpp v31, v13 row_shr:4 row_mask:0xf bank_mask:0xf
	;; [unrolled: 1-line block ×4, first 2 shown]
	scratch_store_dwordx4 off, v[26:29], off
	scratch_store_dwordx4 off, v[30:33], off offset:16
	scratch_store_dword off, v24, off offset:32
	s_and_saveexec_b64 s[8:9], vcc
	s_cbranch_execz .LBB2187_354
; %bb.347:
	v_mov_b32_e32 v18, 0
	s_mov_b32 s10, 0
	v_cmp_eq_u16_sdwa s[12:13], v22, v18 src0_sel:BYTE_0 src1_sel:DWORD
	s_and_saveexec_b64 s[0:1], s[12:13]
	s_cbranch_execz .LBB2187_353
; %bb.348:
	v_mov_b32_e32 v19, v18
.LBB2187_349:                           ; =>This Inner Loop Header: Depth=1
	s_add_i32 s11, s10, 0x60
	s_add_i32 s10, s10, 8
	s_cmp_lg_u32 s10, 32
	scratch_store_dwordx2 off, v[18:19], s11
	s_cbranch_scc1 .LBB2187_349
; %bb.350:
	s_mov_b32 s10, 0
.LBB2187_351:                           ; =>This Inner Loop Header: Depth=1
	s_add_i32 s11, s10, 0
	s_add_i32 s12, s10, 0xa8
	scratch_load_dwordx2 v[8:9], off, s11
	scratch_load_dwordx2 v[10:11], off, s12
	s_add_i32 s11, s10, 0x60
	s_add_i32 s10, s10, 8
	s_cmp_lg_u32 s10, 32
	s_waitcnt vmcnt(0)
	v_add_u32_e32 v9, v11, v9
	v_add_u32_e32 v8, v10, v8
	scratch_store_dwordx2 off, v[8:9], s11
	s_cbranch_scc1 .LBB2187_351
; %bb.352:
	scratch_load_dwordx4 v[8:11], off, off offset:96
	scratch_load_dwordx4 v[12:15], off, off offset:112
.LBB2187_353:
	s_or_b64 exec, exec, s[0:1]
	v_and_b32_e32 v18, 1, v22
	v_cmp_eq_u32_e32 vcc, 1, v18
	v_and_b32_e32 v18, 1, v24
	v_cmp_eq_u32_e64 s[0:1], 1, v18
	s_or_b64 s[0:1], vcc, s[0:1]
	s_nop 0
	v_cndmask_b32_e64 v18, 0, 1, s[0:1]
	scratch_store_byte off, v18, off offset:200
	scratch_load_dword v22, off, off offset:200
	s_waitcnt vmcnt(3)
	scratch_store_dwordx4 off, v[8:11], off offset:168
	s_waitcnt vmcnt(3)
	scratch_store_dwordx4 off, v[12:15], off offset:184
.LBB2187_354:
	s_or_b64 exec, exec, s[8:9]
	v_mov_b32_dpp v26, v8 row_shr:8 row_mask:0xf bank_mask:0xf
	v_mov_b32_dpp v27, v9 row_shr:8 row_mask:0xf bank_mask:0xf
	;; [unrolled: 1-line block ×4, first 2 shown]
	s_waitcnt vmcnt(2)
	v_mov_b32_dpp v24, v22 row_shr:8 row_mask:0xf bank_mask:0xf
	v_cmp_lt_u32_e32 vcc, 7, v23
	v_mov_b32_dpp v30, v12 row_shr:8 row_mask:0xf bank_mask:0xf
	v_mov_b32_dpp v31, v13 row_shr:8 row_mask:0xf bank_mask:0xf
	v_mov_b32_dpp v32, v14 row_shr:8 row_mask:0xf bank_mask:0xf
	v_mov_b32_dpp v33, v15 row_shr:8 row_mask:0xf bank_mask:0xf
	scratch_store_dwordx4 off, v[26:29], off
	scratch_store_dwordx4 off, v[30:33], off offset:16
	scratch_store_dword off, v24, off offset:32
	s_and_saveexec_b64 s[8:9], vcc
	s_cbranch_execz .LBB2187_362
; %bb.355:
	v_mov_b32_e32 v18, 0
	s_mov_b32 s10, 0
	v_cmp_eq_u16_sdwa s[12:13], v22, v18 src0_sel:BYTE_0 src1_sel:DWORD
	s_and_saveexec_b64 s[0:1], s[12:13]
	s_cbranch_execz .LBB2187_361
; %bb.356:
	v_mov_b32_e32 v19, v18
.LBB2187_357:                           ; =>This Inner Loop Header: Depth=1
	s_add_i32 s11, s10, 0x60
	s_add_i32 s10, s10, 8
	s_cmp_lg_u32 s10, 32
	scratch_store_dwordx2 off, v[18:19], s11
	s_cbranch_scc1 .LBB2187_357
; %bb.358:
	s_mov_b32 s10, 0
.LBB2187_359:                           ; =>This Inner Loop Header: Depth=1
	s_add_i32 s11, s10, 0
	s_add_i32 s12, s10, 0xa8
	scratch_load_dwordx2 v[8:9], off, s11
	scratch_load_dwordx2 v[10:11], off, s12
	s_add_i32 s11, s10, 0x60
	s_add_i32 s10, s10, 8
	s_cmp_lg_u32 s10, 32
	s_waitcnt vmcnt(0)
	v_add_u32_e32 v9, v11, v9
	v_add_u32_e32 v8, v10, v8
	scratch_store_dwordx2 off, v[8:9], s11
	s_cbranch_scc1 .LBB2187_359
; %bb.360:
	scratch_load_dwordx4 v[8:11], off, off offset:96
	scratch_load_dwordx4 v[12:15], off, off offset:112
.LBB2187_361:
	s_or_b64 exec, exec, s[0:1]
	v_and_b32_e32 v18, 1, v22
	v_cmp_eq_u32_e32 vcc, 1, v18
	v_and_b32_e32 v18, 1, v24
	v_cmp_eq_u32_e64 s[0:1], 1, v18
	s_or_b64 s[0:1], vcc, s[0:1]
	s_nop 0
	v_cndmask_b32_e64 v18, 0, 1, s[0:1]
	scratch_store_byte off, v18, off offset:200
	scratch_load_dword v22, off, off offset:200
	s_waitcnt vmcnt(3)
	scratch_store_dwordx4 off, v[8:11], off offset:168
	s_waitcnt vmcnt(3)
	scratch_store_dwordx4 off, v[12:15], off offset:184
.LBB2187_362:
	s_or_b64 exec, exec, s[8:9]
	v_and_b32_e32 v18, 16, v17
	v_mov_b32_dpp v24, v8 row_bcast:15 row_mask:0xf bank_mask:0xf
	v_mov_b32_dpp v25, v9 row_bcast:15 row_mask:0xf bank_mask:0xf
	;; [unrolled: 1-line block ×4, first 2 shown]
	s_waitcnt vmcnt(2)
	v_mov_b32_dpp v23, v22 row_bcast:15 row_mask:0xf bank_mask:0xf
	v_cmp_ne_u32_e32 vcc, 0, v18
	v_mov_b32_dpp v28, v12 row_bcast:15 row_mask:0xf bank_mask:0xf
	v_mov_b32_dpp v29, v13 row_bcast:15 row_mask:0xf bank_mask:0xf
	;; [unrolled: 1-line block ×4, first 2 shown]
	scratch_store_dwordx4 off, v[24:27], off
	scratch_store_dwordx4 off, v[28:31], off offset:16
	scratch_store_dword off, v23, off offset:32
	s_and_saveexec_b64 s[8:9], vcc
	s_cbranch_execz .LBB2187_370
; %bb.363:
	v_mov_b32_e32 v18, 0
	s_mov_b32 s10, 0
	v_cmp_eq_u16_sdwa s[12:13], v22, v18 src0_sel:BYTE_0 src1_sel:DWORD
	s_and_saveexec_b64 s[0:1], s[12:13]
	s_cbranch_execz .LBB2187_369
; %bb.364:
	v_mov_b32_e32 v19, v18
.LBB2187_365:                           ; =>This Inner Loop Header: Depth=1
	s_add_i32 s11, s10, 0x60
	s_add_i32 s10, s10, 8
	s_cmp_lg_u32 s10, 32
	scratch_store_dwordx2 off, v[18:19], s11
	s_cbranch_scc1 .LBB2187_365
; %bb.366:
	s_mov_b32 s10, 0
.LBB2187_367:                           ; =>This Inner Loop Header: Depth=1
	s_add_i32 s11, s10, 0
	s_add_i32 s12, s10, 0xa8
	scratch_load_dwordx2 v[8:9], off, s11
	scratch_load_dwordx2 v[10:11], off, s12
	s_add_i32 s11, s10, 0x60
	s_add_i32 s10, s10, 8
	s_cmp_lg_u32 s10, 32
	s_waitcnt vmcnt(0)
	v_add_u32_e32 v9, v11, v9
	v_add_u32_e32 v8, v10, v8
	scratch_store_dwordx2 off, v[8:9], s11
	s_cbranch_scc1 .LBB2187_367
; %bb.368:
	scratch_load_dwordx4 v[8:11], off, off offset:96
	scratch_load_dwordx4 v[12:15], off, off offset:112
.LBB2187_369:
	s_or_b64 exec, exec, s[0:1]
	v_and_b32_e32 v18, 1, v22
	v_cmp_eq_u32_e32 vcc, 1, v18
	v_and_b32_e32 v18, 1, v23
	v_cmp_eq_u32_e64 s[0:1], 1, v18
	s_or_b64 s[0:1], vcc, s[0:1]
	s_nop 0
	v_cndmask_b32_e64 v18, 0, 1, s[0:1]
	scratch_store_byte off, v18, off offset:200
	scratch_load_dword v22, off, off offset:200
	s_waitcnt vmcnt(3)
	scratch_store_dwordx4 off, v[8:11], off offset:168
	s_waitcnt vmcnt(3)
	scratch_store_dwordx4 off, v[12:15], off offset:184
.LBB2187_370:
	s_or_b64 exec, exec, s[8:9]
	v_mov_b32_dpp v24, v8 row_bcast:31 row_mask:0xf bank_mask:0xf
	v_mov_b32_dpp v25, v9 row_bcast:31 row_mask:0xf bank_mask:0xf
	;; [unrolled: 1-line block ×4, first 2 shown]
	s_waitcnt vmcnt(2)
	v_mov_b32_dpp v23, v22 row_bcast:31 row_mask:0xf bank_mask:0xf
	v_cmp_lt_u32_e32 vcc, 31, v17
	v_mov_b32_dpp v28, v12 row_bcast:31 row_mask:0xf bank_mask:0xf
	v_mov_b32_dpp v29, v13 row_bcast:31 row_mask:0xf bank_mask:0xf
	;; [unrolled: 1-line block ×4, first 2 shown]
	scratch_store_dwordx4 off, v[24:27], off
	scratch_store_dwordx4 off, v[28:31], off offset:16
	scratch_store_dword off, v23, off offset:32
	s_and_saveexec_b64 s[8:9], vcc
	s_cbranch_execz .LBB2187_378
; %bb.371:
	v_mov_b32_e32 v18, 0
	s_mov_b32 s10, 0
	v_cmp_eq_u16_sdwa s[12:13], v22, v18 src0_sel:BYTE_0 src1_sel:DWORD
	s_and_saveexec_b64 s[0:1], s[12:13]
	s_cbranch_execz .LBB2187_377
; %bb.372:
	v_mov_b32_e32 v19, v18
.LBB2187_373:                           ; =>This Inner Loop Header: Depth=1
	s_add_i32 s11, s10, 0x60
	s_add_i32 s10, s10, 8
	s_cmp_lg_u32 s10, 32
	scratch_store_dwordx2 off, v[18:19], s11
	s_cbranch_scc1 .LBB2187_373
; %bb.374:
	s_mov_b32 s10, 0
.LBB2187_375:                           ; =>This Inner Loop Header: Depth=1
	s_add_i32 s11, s10, 0
	s_add_i32 s12, s10, 0xa8
	scratch_load_dwordx2 v[8:9], off, s11
	scratch_load_dwordx2 v[10:11], off, s12
	s_add_i32 s11, s10, 0x60
	s_add_i32 s10, s10, 8
	s_cmp_lg_u32 s10, 32
	s_waitcnt vmcnt(0)
	v_add_u32_e32 v9, v11, v9
	v_add_u32_e32 v8, v10, v8
	scratch_store_dwordx2 off, v[8:9], s11
	s_cbranch_scc1 .LBB2187_375
; %bb.376:
	scratch_load_dwordx4 v[8:11], off, off offset:96
	scratch_load_dwordx4 v[12:15], off, off offset:112
.LBB2187_377:
	s_or_b64 exec, exec, s[0:1]
	v_and_b32_e32 v18, 1, v22
	v_cmp_eq_u32_e32 vcc, 1, v18
	v_and_b32_e32 v18, 1, v23
	v_cmp_eq_u32_e64 s[0:1], 1, v18
	s_or_b64 s[0:1], vcc, s[0:1]
	s_nop 0
	v_cndmask_b32_e64 v22, 0, 1, s[0:1]
	s_waitcnt vmcnt(1)
	scratch_store_dwordx4 off, v[8:11], off offset:168
	s_waitcnt vmcnt(1)
	scratch_store_dwordx4 off, v[12:15], off offset:184
	scratch_store_byte off, v22, off offset:200
.LBB2187_378:
	s_or_b64 exec, exec, s[8:9]
	v_or_b32_e32 v18, 63, v16
	v_lshrrev_b32_e32 v23, 6, v16
	v_cmp_eq_u32_e32 vcc, v18, v16
	s_and_saveexec_b64 s[0:1], vcc
	s_cbranch_execz .LBB2187_380
; %bb.379:
	v_mul_u32_u24_e32 v18, 36, v23
	ds_write2_b32 v18, v8, v9 offset1:1
	ds_write2_b32 v18, v10, v11 offset0:2 offset1:3
	ds_write2_b32 v18, v12, v13 offset0:4 offset1:5
	;; [unrolled: 1-line block ×3, first 2 shown]
	ds_write_b8 v18, v22 offset:32
.LBB2187_380:
	s_or_b64 exec, exec, s[0:1]
	v_cmp_gt_u32_e32 vcc, 4, v16
	s_waitcnt lgkmcnt(0)
	s_barrier
	s_and_saveexec_b64 s[8:9], vcc
	s_cbranch_execz .LBB2187_398
; %bb.381:
	v_mul_u32_u24_e32 v22, 36, v16
	ds_read_b32 v24, v22 offset:32
	ds_read2_b32 v[12:13], v22 offset0:4 offset1:5
	ds_read2_b32 v[10:11], v22 offset0:2 offset1:3
	ds_read2_b32 v[8:9], v22 offset1:1
	ds_read2_b32 v[14:15], v22 offset0:6 offset1:7
	v_and_b32_e32 v25, 3, v17
	s_waitcnt lgkmcnt(4)
	v_mov_b32_dpp v26, v24 row_shr:1 row_mask:0xf bank_mask:0xf
	s_waitcnt lgkmcnt(2)
	v_mov_b32_dpp v30, v10 row_shr:1 row_mask:0xf bank_mask:0xf
	;; [unrolled: 2-line block ×3, first 2 shown]
	v_mov_b32_dpp v29, v9 row_shr:1 row_mask:0xf bank_mask:0xf
	v_mov_b32_dpp v31, v11 row_shr:1 row_mask:0xf bank_mask:0xf
	v_cmp_ne_u32_e32 vcc, 0, v25
	scratch_store_dword off, v24, off offset:128
	scratch_store_dwordx4 off, v[8:11], off offset:96
	s_waitcnt lgkmcnt(0)
	scratch_store_dwordx4 off, v[12:15], off offset:112
	v_mov_b32_dpp v32, v12 row_shr:1 row_mask:0xf bank_mask:0xf
	v_mov_b32_dpp v33, v13 row_shr:1 row_mask:0xf bank_mask:0xf
	;; [unrolled: 1-line block ×4, first 2 shown]
	scratch_store_dwordx4 off, v[28:31], off
	scratch_store_dwordx4 off, v[32:35], off offset:16
	scratch_store_dword off, v26, off offset:32
	s_and_saveexec_b64 s[0:1], vcc
	s_cbranch_execz .LBB2187_389
; %bb.382:
	v_mov_b32_e32 v18, 0
	v_cmp_eq_u16_sdwa s[12:13], v24, v18 src0_sel:BYTE_0 src1_sel:DWORD
	s_and_saveexec_b64 s[10:11], s[12:13]
	s_cbranch_execz .LBB2187_388
; %bb.383:
	s_mov_b32 s12, 0
	v_mov_b32_e32 v19, v18
.LBB2187_384:                           ; =>This Inner Loop Header: Depth=1
	s_add_i32 s13, s12, 0xf0
	s_add_i32 s12, s12, 8
	s_cmp_lg_u32 s12, 32
	scratch_store_dwordx2 off, v[18:19], s13
	s_cbranch_scc1 .LBB2187_384
; %bb.385:
	s_mov_b32 s12, 0
.LBB2187_386:                           ; =>This Inner Loop Header: Depth=1
	s_add_i32 s13, s12, 0
	s_add_i32 s16, s12, 0x60
	scratch_load_dwordx2 v[8:9], off, s13
	scratch_load_dwordx2 v[10:11], off, s16
	s_add_i32 s13, s12, 0xf0
	s_add_i32 s12, s12, 8
	s_cmp_lg_u32 s12, 32
	s_waitcnt vmcnt(0)
	v_add_u32_e32 v9, v11, v9
	v_add_u32_e32 v8, v10, v8
	scratch_store_dwordx2 off, v[8:9], s13
	s_cbranch_scc1 .LBB2187_386
; %bb.387:
	scratch_load_dwordx4 v[8:11], off, off offset:240
	scratch_load_dwordx4 v[12:15], off, off offset:256
.LBB2187_388:
	s_or_b64 exec, exec, s[10:11]
	v_or_b32_e32 v18, v26, v24
	v_and_b32_e32 v18, 1, v18
	scratch_store_byte off, v18, off offset:128
	scratch_load_dword v24, off, off offset:128
	s_waitcnt vmcnt(3)
	scratch_store_dwordx4 off, v[8:11], off offset:96
	s_waitcnt vmcnt(3)
	scratch_store_dwordx4 off, v[12:15], off offset:112
.LBB2187_389:
	s_or_b64 exec, exec, s[0:1]
	v_mov_b32_dpp v28, v8 row_shr:2 row_mask:0xf bank_mask:0xf
	v_mov_b32_dpp v29, v9 row_shr:2 row_mask:0xf bank_mask:0xf
	;; [unrolled: 1-line block ×4, first 2 shown]
	s_waitcnt vmcnt(2)
	v_mov_b32_dpp v26, v24 row_shr:2 row_mask:0xf bank_mask:0xf
	v_cmp_lt_u32_e32 vcc, 1, v25
	v_mov_b32_dpp v32, v12 row_shr:2 row_mask:0xf bank_mask:0xf
	v_mov_b32_dpp v33, v13 row_shr:2 row_mask:0xf bank_mask:0xf
	;; [unrolled: 1-line block ×4, first 2 shown]
	scratch_store_dwordx4 off, v[28:31], off
	scratch_store_dwordx4 off, v[32:35], off offset:16
	scratch_store_dword off, v26, off offset:32
	s_and_saveexec_b64 s[10:11], vcc
	s_cbranch_execz .LBB2187_397
; %bb.390:
	v_mov_b32_e32 v18, 0
	s_mov_b32 s12, 0
	v_cmp_eq_u16_sdwa s[16:17], v24, v18 src0_sel:BYTE_0 src1_sel:DWORD
	s_and_saveexec_b64 s[0:1], s[16:17]
	s_cbranch_execz .LBB2187_396
; %bb.391:
	v_mov_b32_e32 v19, v18
.LBB2187_392:                           ; =>This Inner Loop Header: Depth=1
	s_add_i32 s13, s12, 0xf0
	s_add_i32 s12, s12, 8
	s_cmp_lg_u32 s12, 32
	scratch_store_dwordx2 off, v[18:19], s13
	s_cbranch_scc1 .LBB2187_392
; %bb.393:
	s_mov_b32 s12, 0
.LBB2187_394:                           ; =>This Inner Loop Header: Depth=1
	s_add_i32 s13, s12, 0
	s_add_i32 s16, s12, 0x60
	scratch_load_dwordx2 v[8:9], off, s13
	scratch_load_dwordx2 v[10:11], off, s16
	s_add_i32 s13, s12, 0xf0
	s_add_i32 s12, s12, 8
	s_cmp_lg_u32 s12, 32
	s_waitcnt vmcnt(0)
	v_add_u32_e32 v9, v11, v9
	v_add_u32_e32 v8, v10, v8
	scratch_store_dwordx2 off, v[8:9], s13
	s_cbranch_scc1 .LBB2187_394
; %bb.395:
	scratch_load_dwordx4 v[8:11], off, off offset:240
	scratch_load_dwordx4 v[12:15], off, off offset:256
.LBB2187_396:
	s_or_b64 exec, exec, s[0:1]
	v_and_b32_e32 v18, 1, v24
	v_cmp_eq_u32_e32 vcc, 1, v18
	v_and_b32_e32 v18, 1, v26
	v_cmp_eq_u32_e64 s[0:1], 1, v18
	s_or_b64 s[0:1], vcc, s[0:1]
	s_waitcnt vmcnt(1)
	scratch_store_dwordx4 off, v[8:11], off offset:96
	s_waitcnt vmcnt(1)
	scratch_store_dwordx4 off, v[12:15], off offset:112
	v_cndmask_b32_e64 v24, 0, 1, s[0:1]
.LBB2187_397:
	s_or_b64 exec, exec, s[10:11]
	scratch_load_dwordx4 v[8:11], off, off offset:96
	scratch_load_dwordx4 v[12:15], off, off offset:112
	s_waitcnt vmcnt(1)
	ds_write2_b32 v22, v10, v11 offset0:2 offset1:3
	ds_write2_b32 v22, v8, v9 offset1:1
	s_waitcnt vmcnt(0)
	ds_write2_b32 v22, v14, v15 offset0:6 offset1:7
	ds_write2_b32 v22, v12, v13 offset0:4 offset1:5
	ds_write_b8 v22, v24 offset:32
.LBB2187_398:
	s_or_b64 exec, exec, s[8:9]
	s_waitcnt lgkmcnt(0)
	s_barrier
	scratch_load_dwordx4 v[8:11], off, off offset:132
	scratch_load_dwordx4 v[12:15], off, off offset:148
	scratch_load_dword v18, off, off offset:164
	v_cmp_lt_u32_e32 vcc, 63, v16
	s_waitcnt vmcnt(2)
	scratch_store_dwordx4 off, v[8:11], off
	s_waitcnt vmcnt(2)
	scratch_store_dwordx4 off, v[12:15], off offset:16
	s_waitcnt vmcnt(2)
	scratch_store_dword off, v18, off offset:32
	s_and_saveexec_b64 s[0:1], vcc
	s_cbranch_execz .LBB2187_408
; %bb.399:
	v_not_b32_e32 v8, 35
	v_mad_u32_u24 v19, v23, 36, v8
	ds_read_u8 v18, v19 offset:32
                                        ; implicit-def: $vgpr10_vgpr11
                                        ; implicit-def: $vgpr14_vgpr15
	s_waitcnt lgkmcnt(0)
	v_cmp_ne_u16_e32 vcc, 0, v18
	s_and_saveexec_b64 s[8:9], vcc
	s_xor_b64 s[8:9], exec, s[8:9]
	s_cbranch_execz .LBB2187_401
; %bb.400:
	ds_read2_b32 v[12:13], v19 offset1:1
	ds_read2_b32 v[14:15], v19 offset0:2 offset1:3
	ds_read2_b32 v[8:9], v19 offset0:4 offset1:5
	;; [unrolled: 1-line block ×3, first 2 shown]
                                        ; implicit-def: $vgpr19
.LBB2187_401:
	s_andn2_saveexec_b64 s[8:9], s[8:9]
	s_cbranch_execz .LBB2187_407
; %bb.402:
	s_waitcnt lgkmcnt(1)
	v_mov_b32_e32 v8, 0
	s_mov_b32 s10, 0
	v_mov_b32_e32 v9, v8
.LBB2187_403:                           ; =>This Inner Loop Header: Depth=1
	s_add_i32 s11, s10, 0x60
	s_add_i32 s10, s10, 8
	s_cmp_lg_u32 s10, 32
	scratch_store_dwordx2 off, v[8:9], s11
	s_cbranch_scc1 .LBB2187_403
; %bb.404:
	s_mov_b32 s10, 0
.LBB2187_405:                           ; =>This Inner Loop Header: Depth=1
	s_add_i32 s11, s10, 0x84
	scratch_load_dwordx2 v[8:9], off, s11
	s_waitcnt lgkmcnt(0)
	v_add_u32_e32 v10, s10, v19
	ds_read2_b32 v[10:11], v10 offset1:1
	s_add_i32 s11, s10, 0x60
	s_add_i32 s10, s10, 8
	s_cmp_lg_u32 s10, 32
	s_waitcnt vmcnt(0) lgkmcnt(0)
	v_add_u32_e32 v9, v11, v9
	v_add_u32_e32 v8, v10, v8
	scratch_store_dwordx2 off, v[8:9], s11
	s_cbranch_scc1 .LBB2187_405
; %bb.406:
	scratch_load_dwordx4 v[12:15], off, off offset:96
	scratch_load_dwordx4 v[8:11], off, off offset:112
.LBB2187_407:
	s_or_b64 exec, exec, s[8:9]
	scratch_load_ubyte v19, off, off offset:164
	s_waitcnt vmcnt(2) lgkmcnt(2)
	scratch_store_dwordx4 off, v[12:15], off
	s_waitcnt vmcnt(1)
	s_nop 0
	v_or_b32_e32 v12, v18, v19
	v_and_b32_e32 v12, 1, v12
	s_waitcnt lgkmcnt(0)
	scratch_store_dwordx4 off, v[8:11], off offset:16
	scratch_store_byte off, v12, off offset:32
.LBB2187_408:
	s_or_b64 exec, exec, s[0:1]
	scratch_load_ubyte v15, off, off offset:200
                                        ; implicit-def: $vgpr18_vgpr19
                                        ; implicit-def: $vgpr8_vgpr9
                                        ; implicit-def: $vgpr22
                                        ; implicit-def: $vgpr12
	s_waitcnt vmcnt(0)
	v_cmp_ne_u16_e32 vcc, 0, v15
	s_and_saveexec_b64 s[0:1], vcc
	s_xor_b64 s[0:1], exec, s[0:1]
	s_cbranch_execz .LBB2187_410
; %bb.409:
	scratch_load_dwordx3 v[12:14], off, off offset:168
	scratch_load_dwordx4 v[8:11], off, off offset:180
	scratch_load_dword v22, off, off offset:196
	s_waitcnt vmcnt(2)
	v_mov_b32_e32 v18, v13
	v_mov_b32_e32 v19, v14
.LBB2187_410:
	s_andn2_saveexec_b64 s[0:1], s[0:1]
	s_cbranch_execz .LBB2187_416
; %bb.411:
	s_waitcnt vmcnt(1)
	v_mov_b32_e32 v8, 0
	s_mov_b32 s8, 0
	v_mov_b32_e32 v9, v8
.LBB2187_412:                           ; =>This Inner Loop Header: Depth=1
	s_add_i32 s9, s8, 0x60
	s_add_i32 s8, s8, 8
	s_cmp_lg_u32 s8, 32
	scratch_store_dwordx2 off, v[8:9], s9
	s_cbranch_scc1 .LBB2187_412
; %bb.413:
	s_mov_b32 s8, 0
.LBB2187_414:                           ; =>This Inner Loop Header: Depth=1
	s_add_i32 s9, s8, 0
	s_add_i32 s10, s8, 0xa8
	scratch_load_dwordx2 v[8:9], off, s9
	scratch_load_dwordx2 v[10:11], off, s10
	s_add_i32 s9, s8, 0x60
	s_add_i32 s8, s8, 8
	s_cmp_lg_u32 s8, 32
	s_waitcnt vmcnt(0)
	v_add_u32_e32 v9, v11, v9
	v_add_u32_e32 v8, v10, v8
	scratch_store_dwordx2 off, v[8:9], s9
	s_cbranch_scc1 .LBB2187_414
; %bb.415:
	scratch_load_dwordx3 v[12:14], off, off offset:96
	scratch_load_dwordx4 v[8:11], off, off offset:108
	scratch_load_dword v22, off, off offset:124
	s_waitcnt vmcnt(2)
	v_mov_b32_e32 v18, v13
	v_mov_b32_e32 v19, v14
.LBB2187_416:
	s_or_b64 exec, exec, s[0:1]
	scratch_load_ubyte v13, off, off offset:32
	v_and_b32_e32 v23, 64, v17
	s_waitcnt vmcnt(0)
	v_or_b32_e32 v14, v15, v13
	v_and_b32_e32 v14, 1, v14
	scratch_store_byte off, v14, off offset:200
	scratch_load_dword v14, off, off offset:200
	v_add_u32_e32 v15, -1, v17
	v_cmp_lt_i32_e32 vcc, v15, v23
	s_nop 1
	v_cndmask_b32_e32 v15, v15, v17, vcc
	v_lshlrev_b32_e32 v15, 2, v15
	ds_bpermute_b32 v24, v15, v12
	ds_bpermute_b32 v25, v15, v18
	;; [unrolled: 1-line block ×8, first 2 shown]
	v_cmp_eq_u32_e32 vcc, 0, v17
	s_waitcnt lgkmcnt(4)
	scratch_store_dwordx4 off, v[24:27], off offset:168
	s_waitcnt lgkmcnt(0)
	scratch_store_dwordx4 off, v[28:31], off offset:184
	s_waitcnt vmcnt(2)
	ds_bpermute_b32 v9, v15, v14
	s_and_saveexec_b64 s[0:1], vcc
	s_cbranch_execz .LBB2187_418
; %bb.417:
	s_waitcnt lgkmcnt(0)
	scratch_load_dwordx4 v[8:11], off, off
	scratch_load_dwordx4 v[22:25], off, off offset:16
	s_waitcnt vmcnt(1)
	scratch_store_dwordx4 off, v[8:11], off offset:168
	s_waitcnt vmcnt(1)
	scratch_store_dwordx4 off, v[22:25], off offset:184
	v_mov_b32_e32 v9, v13
.LBB2187_418:
	s_or_b64 exec, exec, s[0:1]
	scratch_load_dwordx4 v[10:13], off, off offset:272
	scratch_load_dwordx4 v[22:25], off, off offset:288
	scratch_load_dword v14, off, off offset:304
	v_mov_b32_e32 v8, 0
	scratch_store_dwordx4 off, v[4:7], off offset:96
	scratch_store_dwordx4 off, v[0:3], off offset:112
	s_waitcnt vmcnt(4)
	scratch_store_dwordx4 off, v[10:13], off
	s_waitcnt vmcnt(4)
	scratch_store_dwordx4 off, v[22:25], off offset:16
	s_waitcnt vmcnt(4)
	scratch_store_dword off, v14, off offset:32
	scratch_store_byte off, v8, off offset:128
	s_and_saveexec_b64 s[0:1], s[4:5]
	s_cbranch_execz .LBB2187_420
; %bb.419:
	scratch_load_dwordx4 v[0:3], off, off offset:168
	scratch_load_dwordx4 v[4:7], off, off offset:184
	s_waitcnt lgkmcnt(0)
	v_mov_b32_e32 v8, v9
	s_waitcnt vmcnt(1)
	scratch_store_dwordx4 off, v[0:3], off offset:96
	s_waitcnt vmcnt(1)
	scratch_store_dwordx4 off, v[4:7], off offset:112
.LBB2187_420:
	s_or_b64 exec, exec, s[0:1]
	scratch_load_dwordx4 v[0:3], off, off offset:96
	scratch_load_dwordx4 v[4:7], off, off offset:112
	s_waitcnt lgkmcnt(0)
	scratch_load_ubyte v9, off, off offset:32
	s_nop 0
	scratch_store_byte off, v8, off offset:304
	s_waitcnt vmcnt(3)
	scratch_store_dwordx4 off, v[0:3], off offset:272
	s_waitcnt vmcnt(3)
	scratch_store_dwordx4 off, v[4:7], off offset:288
	s_waitcnt vmcnt(3)
	v_cmp_ne_u16_e32 vcc, 0, v9
                                        ; implicit-def: $vgpr6_vgpr7
                                        ; implicit-def: $vgpr2_vgpr3
	s_and_saveexec_b64 s[0:1], vcc
	s_xor_b64 s[0:1], exec, s[0:1]
	s_cbranch_execz .LBB2187_422
; %bb.421:
	scratch_load_dwordx4 v[0:3], off, off
	scratch_load_dwordx4 v[4:7], off, off offset:16
.LBB2187_422:
	s_andn2_saveexec_b64 s[0:1], s[0:1]
	s_cbranch_execz .LBB2187_428
; %bb.423:
	s_waitcnt vmcnt(1)
	v_mov_b32_e32 v0, 0
	s_mov_b32 s4, 0
	v_mov_b32_e32 v1, v0
.LBB2187_424:                           ; =>This Inner Loop Header: Depth=1
	s_add_i32 s5, s4, 0x84
	s_add_i32 s4, s4, 8
	s_cmp_lg_u32 s4, 32
	scratch_store_dwordx2 off, v[0:1], s5
	s_cbranch_scc1 .LBB2187_424
; %bb.425:
	s_mov_b32 s4, 0
.LBB2187_426:                           ; =>This Inner Loop Header: Depth=1
	s_add_i32 s5, s4, 0x60
	s_add_i32 s8, s4, 0
	scratch_load_dwordx2 v[0:1], off, s5
	scratch_load_dwordx2 v[2:3], off, s8
	s_add_i32 s5, s4, 0x84
	s_add_i32 s4, s4, 8
	s_cmp_lg_u32 s4, 32
	s_waitcnt vmcnt(0)
	v_add_u32_e32 v1, v3, v1
	v_add_u32_e32 v0, v2, v0
	scratch_store_dwordx2 off, v[0:1], s5
	s_cbranch_scc1 .LBB2187_426
; %bb.427:
	scratch_load_dwordx4 v[0:3], off, off offset:132
	scratch_load_dwordx4 v[4:7], off, off offset:148
.LBB2187_428:
	s_or_b64 exec, exec, s[0:1]
	scratch_load_dwordx4 v[12:15], v20, off
	scratch_load_dwordx4 v[22:25], v20, off offset:16
	scratch_load_ubyte v10, off, off offset:340
	v_or_b32_e32 v8, v9, v8
	s_waitcnt vmcnt(4)
	scratch_store_dwordx4 off, v[0:3], off offset:96
	s_waitcnt vmcnt(4)
	scratch_store_dwordx4 off, v[4:7], off offset:112
	scratch_store_dwordx4 v20, v[0:3], off
	scratch_store_dwordx4 v20, v[4:7], off offset:16
                                        ; implicit-def: $vgpr6_vgpr7
                                        ; implicit-def: $vgpr2_vgpr3
	s_waitcnt vmcnt(4)
	v_cmp_ne_u16_e64 s[0:1], 0, v10
	v_and_b32_e32 v0, 1, v8
	v_cmp_eq_u32_e32 vcc, 1, v0
	scratch_store_byte off, v0, off offset:340
	scratch_store_dwordx4 off, v[12:15], off
	scratch_store_dwordx4 off, v[22:25], off offset:16
	s_and_saveexec_b64 s[4:5], s[0:1]
	s_xor_b64 s[0:1], exec, s[4:5]
	s_cbranch_execz .LBB2187_430
; %bb.429:
	scratch_load_dwordx4 v[0:3], off, off
	scratch_load_dwordx4 v[4:7], off, off offset:16
.LBB2187_430:
	s_andn2_saveexec_b64 s[0:1], s[0:1]
	s_cbranch_execz .LBB2187_436
; %bb.431:
	s_waitcnt vmcnt(1)
	v_mov_b32_e32 v0, 0
	s_mov_b32 s4, 0
	v_mov_b32_e32 v1, v0
.LBB2187_432:                           ; =>This Inner Loop Header: Depth=1
	s_add_i32 s5, s4, 0x84
	s_add_i32 s4, s4, 8
	s_cmp_lg_u32 s4, 32
	scratch_store_dwordx2 off, v[0:1], s5
	s_cbranch_scc1 .LBB2187_432
; %bb.433:
	s_mov_b32 s4, 0
.LBB2187_434:                           ; =>This Inner Loop Header: Depth=1
	s_add_i32 s5, s4, 0x60
	s_add_i32 s8, s4, 0
	scratch_load_dwordx2 v[0:1], off, s5
	scratch_load_dwordx2 v[2:3], off, s8
	s_add_i32 s5, s4, 0x84
	s_add_i32 s4, s4, 8
	s_cmp_lg_u32 s4, 32
	s_waitcnt vmcnt(0)
	v_add_u32_e32 v1, v3, v1
	v_add_u32_e32 v0, v2, v0
	scratch_store_dwordx2 off, v[0:1], s5
	s_cbranch_scc1 .LBB2187_434
; %bb.435:
	scratch_load_dwordx4 v[0:3], off, off offset:132
	scratch_load_dwordx4 v[4:7], off, off offset:148
.LBB2187_436:
	s_or_b64 exec, exec, s[0:1]
	v_and_b32_e32 v8, 1, v10
	v_cmp_eq_u32_e64 s[0:1], 1, v8
	v_mov_b32_e32 v8, 0
	ds_read2_b32 v[12:13], v8 offset0:33 offset1:34
	ds_read2_b32 v[10:11], v8 offset0:31 offset1:32
	;; [unrolled: 1-line block ×4, first 2 shown]
	ds_read_u8 v8, v8 offset:140
	s_or_b64 s[0:1], s[0:1], vcc
	v_cndmask_b32_e64 v9, 0, 1, s[0:1]
	s_waitcnt vmcnt(1)
	scratch_store_dwordx4 v21, v[0:3], off
	s_waitcnt vmcnt(1)
	scratch_store_dwordx4 v21, v[4:7], off offset:16
	scratch_store_byte off, v9, off offset:376
	s_waitcnt lgkmcnt(1)
	scratch_store_dwordx4 off, v[22:25], off offset:380
	scratch_store_dwordx4 off, v[10:13], off offset:396
	s_waitcnt lgkmcnt(0)
	v_cmp_ne_u16_e32 vcc, 0, v8
	s_cbranch_vccz .LBB2187_440
; %bb.437:
	scratch_load_dwordx4 v[0:3], off, off offset:380
	scratch_load_dwordx4 v[4:7], off, off offset:396
	s_cbranch_execz .LBB2187_441
	s_branch .LBB2187_446
.LBB2187_438:
	v_lshlrev_b64 v[10:11], 5, v[16:17]
	v_lshl_add_u64 v[14:15], s[40:41], 0, v[10:11]
	flat_load_dwordx4 v[10:13], v[14:15]
	flat_load_dwordx4 v[22:25], v[14:15] offset:16
	s_waitcnt vmcnt(0) lgkmcnt(0)
	scratch_store_dwordx4 off, v[10:13], off
	scratch_store_dwordx4 off, v[22:25], off offset:16
	s_or_b64 exec, exec, s[12:13]
	s_and_saveexec_b64 s[12:13], s[8:9]
	s_cbranch_execz .LBB2187_29
.LBB2187_439:
	v_lshlrev_b32_e32 v10, 5, v7
	v_mov_b32_e32 v11, 0
	v_lshl_add_u64 v[14:15], s[40:41], 0, v[10:11]
	flat_load_dwordx4 v[10:13], v[14:15]
	flat_load_dwordx4 v[22:25], v[14:15] offset:16
	s_waitcnt vmcnt(0) lgkmcnt(0)
	scratch_store_dwordx4 off, v[10:13], off offset:32
	scratch_store_dwordx4 off, v[22:25], off offset:48
	s_or_b64 exec, exec, s[12:13]
	v_mul_u32_u24_e32 v7, 3, v16
	s_and_saveexec_b64 s[8:9], s[10:11]
	s_cbranch_execnz .LBB2187_30
	s_branch .LBB2187_31
.LBB2187_440:
                                        ; implicit-def: $vgpr6_vgpr7
                                        ; implicit-def: $vgpr2_vgpr3
.LBB2187_441:
	s_waitcnt vmcnt(1)
	v_mov_b32_e32 v0, 0
	s_mov_b32 s0, 0
	v_mov_b32_e32 v1, v0
.LBB2187_442:                           ; =>This Inner Loop Header: Depth=1
	s_add_i32 s1, s0, 0
	s_add_i32 s0, s0, 8
	s_cmp_lg_u32 s0, 32
	scratch_store_dwordx2 off, v[0:1], s1
	s_cbranch_scc1 .LBB2187_442
; %bb.443:
	s_mov_b32 s0, 0
.LBB2187_444:                           ; =>This Inner Loop Header: Depth=1
	s_add_i32 s1, s0, 0xcc
	s_add_i32 s4, s0, 0x17c
	scratch_load_dwordx2 v[0:1], off, s1
	scratch_load_dwordx2 v[2:3], off, s4
	s_add_i32 s1, s0, 0
	s_add_i32 s0, s0, 8
	s_cmp_lg_u32 s0, 32
	s_waitcnt vmcnt(0)
	v_add_u32_e32 v1, v3, v1
	v_add_u32_e32 v0, v2, v0
	scratch_store_dwordx2 off, v[0:1], s1
	s_cbranch_scc1 .LBB2187_444
; %bb.445:
	scratch_load_dwordx4 v[0:3], off, off
	scratch_load_dwordx4 v[4:7], off, off offset:16
.LBB2187_446:
	scratch_load_ubyte v9, off, off offset:236
	s_waitcnt vmcnt(2)
	scratch_store_dwordx4 off, v[0:3], off offset:380
	s_waitcnt vmcnt(2)
	scratch_store_dwordx4 off, v[4:7], off offset:396
	s_waitcnt vmcnt(2)
	v_or_b32_e32 v8, v8, v9
	v_and_b32_e32 v8, 1, v8
	v_cmp_eq_u32_e32 vcc, 1, v8
	scratch_store_byte off, v8, off offset:412
	s_and_saveexec_b64 s[0:1], s[6:7]
	s_cbranch_execz .LBB2187_448
; %bb.447:
	scratch_load_ushort v8, off, off offset:413
	scratch_load_sbyte v9, off, off offset:415
	v_mov_b32_e32 v10, 0
	v_cndmask_b32_e64 v11, 0, 1, vcc
	global_store_dword v10, v0, s[18:19] offset:2304 sc1
	global_store_dword v10, v1, s[18:19] offset:2308 sc1
	;; [unrolled: 1-line block ×8, first 2 shown]
	v_mov_b32_e32 v12, 2
	s_waitcnt vmcnt(9)
	v_and_b32_e32 v0, 0xff, v8
	v_lshlrev_b32_e32 v1, 8, v8
	s_waitcnt vmcnt(8)
	v_lshlrev_b32_e32 v2, 24, v9
	v_lshl_or_b32 v0, v0, 8, v11
	v_and_b32_e32 v1, 0xff0000, v1
	v_or3_b32 v0, v0, v1, v2
	global_store_dword v10, v0, s[18:19] offset:2336 sc1
	s_waitcnt vmcnt(0)
	global_store_byte v10, v12, s[20:21] offset:64 sc1
.LBB2187_448:
	s_or_b64 exec, exec, s[0:1]
.LBB2187_449:
	v_mov_b32_e32 v0, 0
	s_mov_b32 s0, 0
	v_mov_b32_e32 v1, v0
.LBB2187_450:                           ; =>This Inner Loop Header: Depth=1
	s_add_i32 s1, s0, 0
	s_add_i32 s0, s0, 8
	s_cmp_lg_u32 s0, 32
	scratch_store_dwordx2 off, v[0:1], s1
	s_cbranch_scc1 .LBB2187_450
; %bb.451:
	v_mov_b32_e32 v0, 0
	s_mov_b32 s0, 32
	v_mov_b32_e32 v1, v0
.LBB2187_452:                           ; =>This Inner Loop Header: Depth=1
	s_add_i32 s1, s0, 0
	s_add_i32 s0, s0, 8
	s_cmp_lg_u32 s0, 64
	scratch_store_dwordx2 off, v[0:1], s1
	s_cbranch_scc1 .LBB2187_452
; %bb.453:
	v_mov_b32_e32 v0, 0
	s_mov_b32 s0, 64
	v_mov_b32_e32 v1, v0
.LBB2187_454:                           ; =>This Inner Loop Header: Depth=1
	s_add_i32 s1, s0, 0
	s_add_i32 s0, s0, 8
	s_cmpk_lg_i32 s0, 0x60
	scratch_store_dwordx2 off, v[0:1], s1
	s_cbranch_scc1 .LBB2187_454
; %bb.455:
	s_add_u32 s0, s14, s34
	s_addc_u32 s1, s15, s35
	v_mov_b32_e32 v0, 0
	s_add_u32 s0, s0, s44
	v_add_u32_e32 v4, 64, v0
	v_add_u32_e32 v5, 32, v0
	s_addc_u32 s1, s1, s45
	s_and_b64 vcc, exec, s[2:3]
	s_cbranch_vccz .LBB2187_465
; %bb.456:
	s_add_i32 s23, s23, s22
	v_mul_u32_u24_e32 v0, 3, v16
	v_cmp_gt_u32_e32 vcc, s23, v0
	s_and_saveexec_b64 s[2:3], vcc
	s_cbranch_execz .LBB2187_460
; %bb.457:
	scratch_load_dwordx4 v[6:9], off, off offset:272
	scratch_load_dwordx4 v[10:13], off, off offset:288
	v_add_u32_e32 v1, 1, v0
	v_cmp_gt_u32_e32 vcc, s23, v1
	s_waitcnt vmcnt(1)
	scratch_store_dwordx4 off, v[6:9], off
	s_waitcnt vmcnt(1)
	scratch_store_dwordx4 off, v[10:13], off offset:16
	s_and_b64 exec, exec, vcc
	s_cbranch_execz .LBB2187_460
; %bb.458:
	scratch_load_dwordx4 v[6:9], v20, off
	scratch_load_dwordx4 v[10:13], v20, off offset:16
	v_add_u32_e32 v1, 2, v0
	v_cmp_gt_u32_e32 vcc, s23, v1
	s_waitcnt vmcnt(1)
	scratch_store_dwordx4 v5, v[6:9], off
	s_waitcnt vmcnt(1)
	scratch_store_dwordx4 v5, v[10:13], off offset:16
	s_and_b64 exec, exec, vcc
	s_cbranch_execz .LBB2187_460
; %bb.459:
	scratch_load_dwordx4 v[6:9], v21, off
	scratch_load_dwordx4 v[10:13], v21, off offset:16
	s_waitcnt vmcnt(1)
	scratch_store_dwordx4 v4, v[6:9], off
	s_waitcnt vmcnt(1)
	scratch_store_dwordx4 v4, v[10:13], off offset:16
.LBB2187_460:
	s_or_b64 exec, exec, s[2:3]
	s_barrier
	scratch_load_dwordx4 v[8:11], off, off
	scratch_load_dwordx4 v[12:15], off, off offset:16
	scratch_load_dwordx4 v[22:25], v5, off
	scratch_load_dwordx4 v[26:29], v5, off offset:16
	scratch_load_dwordx4 v[30:33], v4, off
	scratch_load_dwordx4 v[34:37], v4, off offset:16
	v_lshlrev_b32_e32 v2, 5, v0
	v_lshlrev_b32_e32 v3, 6, v16
	v_sub_u32_e32 v6, v2, v3
	v_mov_b32_e32 v1, 0
	v_lshlrev_b32_e32 v0, 5, v16
	v_cmp_gt_u32_e32 vcc, s23, v16
	s_waitcnt vmcnt(5)
	ds_write_b128 v2, v[8:11]
	s_waitcnt vmcnt(4)
	ds_write_b128 v2, v[12:15] offset:16
	s_waitcnt vmcnt(3)
	ds_write_b128 v2, v[22:25] offset:32
	;; [unrolled: 2-line block ×5, first 2 shown]
	s_waitcnt lgkmcnt(0)
	s_barrier
	ds_read_b128 v[8:11], v6 offset:8192
	ds_read_b128 v[12:15], v6 offset:8208
	;; [unrolled: 1-line block ×4, first 2 shown]
	v_lshl_add_u64 v[2:3], s[0:1], 0, v[0:1]
	s_waitcnt lgkmcnt(3)
	scratch_store_dwordx4 v5, v[8:11], off
	s_waitcnt lgkmcnt(2)
	scratch_store_dwordx4 v5, v[12:15], off offset:16
	s_waitcnt lgkmcnt(1)
	scratch_store_dwordx4 v4, v[22:25], off
	s_waitcnt lgkmcnt(0)
	scratch_store_dwordx4 v4, v[26:29], off offset:16
	s_and_saveexec_b64 s[2:3], vcc
	s_cbranch_execz .LBB2187_462
; %bb.461:
	ds_read2_b32 v[8:9], v6 offset0:4 offset1:5
	ds_read2_b32 v[10:11], v6 offset0:6 offset1:7
	;; [unrolled: 1-line block ×3, first 2 shown]
	ds_read2_b32 v[12:13], v6 offset1:1
	s_waitcnt lgkmcnt(0)
	flat_store_dwordx4 v[2:3], v[12:15]
	flat_store_dwordx4 v[2:3], v[8:11] offset:16
.LBB2187_462:
	s_or_b64 exec, exec, s[2:3]
	v_or_b32_e32 v0, 0x100, v16
	v_cmp_gt_u32_e32 vcc, s23, v0
	s_and_saveexec_b64 s[2:3], vcc
	s_cbranch_execz .LBB2187_464
; %bb.463:
	scratch_load_dwordx4 v[6:9], v5, off offset:16
	s_mov_b64 s[4:5], 0x2000
	v_lshl_add_u64 v[10:11], v[2:3], 0, s[4:5]
	v_add_co_u32_e32 v2, vcc, 0x2000, v2
	s_waitcnt vmcnt(0)
	flat_store_dwordx4 v[10:11], v[6:9] offset:16
	scratch_load_dwordx4 v[6:9], v5, off
	v_addc_co_u32_e32 v3, vcc, 0, v3, vcc
	s_waitcnt vmcnt(0)
	flat_store_dwordx4 v[2:3], v[6:9]
.LBB2187_464:
	s_or_b64 exec, exec, s[2:3]
	v_or_b32_e32 v0, 0x200, v16
	v_mov_b32_e32 v17, v1
	v_cmp_gt_u32_e64 s[2:3], s23, v0
	s_branch .LBB2187_467
.LBB2187_465:
	s_mov_b64 s[2:3], 0
	s_cbranch_execz .LBB2187_467
; %bb.466:
	scratch_load_dwordx4 v[0:3], off, off offset:272
	scratch_load_dwordx4 v[6:9], off, off offset:288
	scratch_load_dwordx4 v[10:13], v20, off
	scratch_load_dwordx4 v[22:25], v20, off offset:16
	scratch_load_dwordx4 v[26:29], v21, off
	scratch_load_dwordx4 v[30:33], v21, off offset:16
	v_mul_u32_u24_e32 v34, 0x60, v16
	v_lshlrev_b32_e32 v15, 6, v16
	v_sub_u32_e32 v35, v34, v15
	v_mov_b32_e32 v17, 0
	v_lshlrev_b32_e32 v14, 5, v16
	v_mov_b32_e32 v15, v17
	v_lshl_add_u64 v[14:15], s[0:1], 0, v[14:15]
	s_mov_b64 s[4:5], 0x2000
	s_or_b64 s[2:3], s[2:3], exec
	s_waitcnt vmcnt(0)
	scratch_store_dwordx4 off, v[0:3], off
	scratch_store_dwordx4 off, v[6:9], off offset:16
	scratch_store_dwordx4 v5, v[10:13], off
	scratch_store_dwordx4 v5, v[22:25], off offset:16
	scratch_store_dwordx4 v4, v[26:29], off
	scratch_store_dwordx4 v4, v[30:33], off offset:16
	s_waitcnt lgkmcnt(0)
	s_barrier
	scratch_load_dwordx4 v[0:3], off, off
	scratch_load_dwordx4 v[6:9], off, off offset:16
	scratch_load_dwordx4 v[10:13], v5, off
	scratch_load_dwordx4 v[18:21], v5, off offset:16
	scratch_load_dwordx4 v[22:25], v4, off
	scratch_load_dwordx4 v[26:29], v4, off offset:16
	v_add_co_u32_e32 v32, vcc, 0x2000, v14
	v_lshl_add_u64 v[30:31], v[14:15], 0, s[4:5]
	s_nop 0
	v_addc_co_u32_e32 v33, vcc, 0, v15, vcc
	s_waitcnt vmcnt(5)
	ds_write_b128 v34, v[0:3]
	s_waitcnt vmcnt(4)
	ds_write_b128 v34, v[6:9] offset:16
	s_waitcnt vmcnt(3)
	ds_write_b128 v34, v[10:13] offset:32
	;; [unrolled: 2-line block ×5, first 2 shown]
	s_waitcnt lgkmcnt(0)
	s_barrier
	ds_read_b128 v[0:3], v35 offset:8192
	ds_read_b128 v[6:9], v35 offset:8208
	;; [unrolled: 1-line block ×4, first 2 shown]
	ds_read2_b32 v[22:23], v35 offset1:1
	ds_read2_b32 v[28:29], v35 offset0:6 offset1:7
	ds_read2_b32 v[26:27], v35 offset0:4 offset1:5
	;; [unrolled: 1-line block ×3, first 2 shown]
	s_waitcnt lgkmcnt(7)
	scratch_store_dwordx4 v5, v[0:3], off
	s_waitcnt lgkmcnt(6)
	scratch_store_dwordx4 v5, v[6:9], off offset:16
	s_waitcnt lgkmcnt(5)
	scratch_store_dwordx4 v4, v[10:13], off
	s_waitcnt lgkmcnt(4)
	scratch_store_dwordx4 v4, v[18:21], off offset:16
	s_waitcnt lgkmcnt(1)
	flat_store_dwordx4 v[14:15], v[26:29] offset:16
	s_waitcnt lgkmcnt(0)
	flat_store_dwordx4 v[14:15], v[22:25]
	flat_store_dwordx4 v[32:33], v[0:3]
	flat_store_dwordx4 v[30:31], v[6:9] offset:16
.LBB2187_467:
	s_and_saveexec_b64 s[4:5], s[2:3]
	s_cbranch_execnz .LBB2187_469
; %bb.468:
	s_endpgm
.LBB2187_469:
	scratch_load_dwordx4 v[0:3], v4, off offset:16
	v_lshlrev_b64 v[6:7], 5, v[16:17]
	v_lshl_add_u64 v[6:7], s[0:1], 0, v[6:7]
	s_mov_b64 s[0:1], 0x4000
	v_lshl_add_u64 v[8:9], v[6:7], 0, s[0:1]
	s_waitcnt vmcnt(0)
	flat_store_dwordx4 v[8:9], v[0:3] offset:16
	scratch_load_dwordx4 v[0:3], v4, off
	v_add_co_u32_e32 v4, vcc, 0x4000, v6
	s_nop 1
	v_addc_co_u32_e32 v5, vcc, 0, v7, vcc
	s_waitcnt vmcnt(0)
	flat_store_dwordx4 v[4:5], v[0:3]
	s_endpgm
	.section	.rodata,"a",@progbits
	.p2align	6, 0x0
	.amdhsa_kernel _ZN7rocprim17ROCPRIM_400000_NS6detail17trampoline_kernelINS0_14default_configENS1_27scan_by_key_config_selectorIj11FixedVectorIiLj8EEEEZZNS1_16scan_by_key_implILNS1_25lookback_scan_determinismE0ELb1ES3_N6thrust23THRUST_200600_302600_NS6detail15normal_iteratorINSB_10device_ptrIjEEEENSD_INSE_IS6_EEEESI_S6_NSB_4plusIvEENSB_8equal_toIvEES6_EE10hipError_tPvRmT2_T3_T4_T5_mT6_T7_P12ihipStream_tbENKUlT_T0_E_clISt17integral_constantIbLb0EES12_IbLb1EEEEDaSY_SZ_EUlSY_E_NS1_11comp_targetILNS1_3genE5ELNS1_11target_archE942ELNS1_3gpuE9ELNS1_3repE0EEENS1_30default_config_static_selectorELNS0_4arch9wavefront6targetE1EEEvT1_
		.amdhsa_group_segment_fixed_size 32768
		.amdhsa_private_segment_fixed_size 432
		.amdhsa_kernarg_size 160
		.amdhsa_user_sgpr_count 4
		.amdhsa_user_sgpr_dispatch_ptr 1
		.amdhsa_user_sgpr_queue_ptr 0
		.amdhsa_user_sgpr_kernarg_segment_ptr 1
		.amdhsa_user_sgpr_dispatch_id 0
		.amdhsa_user_sgpr_kernarg_preload_length 0
		.amdhsa_user_sgpr_kernarg_preload_offset 0
		.amdhsa_user_sgpr_private_segment_size 0
		.amdhsa_uses_dynamic_stack 0
		.amdhsa_enable_private_segment 1
		.amdhsa_system_sgpr_workgroup_id_x 1
		.amdhsa_system_sgpr_workgroup_id_y 0
		.amdhsa_system_sgpr_workgroup_id_z 0
		.amdhsa_system_sgpr_workgroup_info 0
		.amdhsa_system_vgpr_workitem_id 2
		.amdhsa_next_free_vgpr 42
		.amdhsa_next_free_sgpr 53
		.amdhsa_accum_offset 44
		.amdhsa_reserve_vcc 1
		.amdhsa_float_round_mode_32 0
		.amdhsa_float_round_mode_16_64 0
		.amdhsa_float_denorm_mode_32 3
		.amdhsa_float_denorm_mode_16_64 3
		.amdhsa_dx10_clamp 1
		.amdhsa_ieee_mode 1
		.amdhsa_fp16_overflow 0
		.amdhsa_tg_split 0
		.amdhsa_exception_fp_ieee_invalid_op 0
		.amdhsa_exception_fp_denorm_src 0
		.amdhsa_exception_fp_ieee_div_zero 0
		.amdhsa_exception_fp_ieee_overflow 0
		.amdhsa_exception_fp_ieee_underflow 0
		.amdhsa_exception_fp_ieee_inexact 0
		.amdhsa_exception_int_div_zero 0
	.end_amdhsa_kernel
	.section	.text._ZN7rocprim17ROCPRIM_400000_NS6detail17trampoline_kernelINS0_14default_configENS1_27scan_by_key_config_selectorIj11FixedVectorIiLj8EEEEZZNS1_16scan_by_key_implILNS1_25lookback_scan_determinismE0ELb1ES3_N6thrust23THRUST_200600_302600_NS6detail15normal_iteratorINSB_10device_ptrIjEEEENSD_INSE_IS6_EEEESI_S6_NSB_4plusIvEENSB_8equal_toIvEES6_EE10hipError_tPvRmT2_T3_T4_T5_mT6_T7_P12ihipStream_tbENKUlT_T0_E_clISt17integral_constantIbLb0EES12_IbLb1EEEEDaSY_SZ_EUlSY_E_NS1_11comp_targetILNS1_3genE5ELNS1_11target_archE942ELNS1_3gpuE9ELNS1_3repE0EEENS1_30default_config_static_selectorELNS0_4arch9wavefront6targetE1EEEvT1_,"axG",@progbits,_ZN7rocprim17ROCPRIM_400000_NS6detail17trampoline_kernelINS0_14default_configENS1_27scan_by_key_config_selectorIj11FixedVectorIiLj8EEEEZZNS1_16scan_by_key_implILNS1_25lookback_scan_determinismE0ELb1ES3_N6thrust23THRUST_200600_302600_NS6detail15normal_iteratorINSB_10device_ptrIjEEEENSD_INSE_IS6_EEEESI_S6_NSB_4plusIvEENSB_8equal_toIvEES6_EE10hipError_tPvRmT2_T3_T4_T5_mT6_T7_P12ihipStream_tbENKUlT_T0_E_clISt17integral_constantIbLb0EES12_IbLb1EEEEDaSY_SZ_EUlSY_E_NS1_11comp_targetILNS1_3genE5ELNS1_11target_archE942ELNS1_3gpuE9ELNS1_3repE0EEENS1_30default_config_static_selectorELNS0_4arch9wavefront6targetE1EEEvT1_,comdat
.Lfunc_end2187:
	.size	_ZN7rocprim17ROCPRIM_400000_NS6detail17trampoline_kernelINS0_14default_configENS1_27scan_by_key_config_selectorIj11FixedVectorIiLj8EEEEZZNS1_16scan_by_key_implILNS1_25lookback_scan_determinismE0ELb1ES3_N6thrust23THRUST_200600_302600_NS6detail15normal_iteratorINSB_10device_ptrIjEEEENSD_INSE_IS6_EEEESI_S6_NSB_4plusIvEENSB_8equal_toIvEES6_EE10hipError_tPvRmT2_T3_T4_T5_mT6_T7_P12ihipStream_tbENKUlT_T0_E_clISt17integral_constantIbLb0EES12_IbLb1EEEEDaSY_SZ_EUlSY_E_NS1_11comp_targetILNS1_3genE5ELNS1_11target_archE942ELNS1_3gpuE9ELNS1_3repE0EEENS1_30default_config_static_selectorELNS0_4arch9wavefront6targetE1EEEvT1_, .Lfunc_end2187-_ZN7rocprim17ROCPRIM_400000_NS6detail17trampoline_kernelINS0_14default_configENS1_27scan_by_key_config_selectorIj11FixedVectorIiLj8EEEEZZNS1_16scan_by_key_implILNS1_25lookback_scan_determinismE0ELb1ES3_N6thrust23THRUST_200600_302600_NS6detail15normal_iteratorINSB_10device_ptrIjEEEENSD_INSE_IS6_EEEESI_S6_NSB_4plusIvEENSB_8equal_toIvEES6_EE10hipError_tPvRmT2_T3_T4_T5_mT6_T7_P12ihipStream_tbENKUlT_T0_E_clISt17integral_constantIbLb0EES12_IbLb1EEEEDaSY_SZ_EUlSY_E_NS1_11comp_targetILNS1_3genE5ELNS1_11target_archE942ELNS1_3gpuE9ELNS1_3repE0EEENS1_30default_config_static_selectorELNS0_4arch9wavefront6targetE1EEEvT1_
                                        ; -- End function
	.section	.AMDGPU.csdata,"",@progbits
; Kernel info:
; codeLenInByte = 20840
; NumSgprs: 59
; NumVgprs: 42
; NumAgprs: 0
; TotalNumVgprs: 42
; ScratchSize: 432
; MemoryBound: 1
; FloatMode: 240
; IeeeMode: 1
; LDSByteSize: 32768 bytes/workgroup (compile time only)
; SGPRBlocks: 7
; VGPRBlocks: 5
; NumSGPRsForWavesPerEU: 59
; NumVGPRsForWavesPerEU: 42
; AccumOffset: 44
; Occupancy: 2
; WaveLimiterHint : 1
; COMPUTE_PGM_RSRC2:SCRATCH_EN: 1
; COMPUTE_PGM_RSRC2:USER_SGPR: 4
; COMPUTE_PGM_RSRC2:TRAP_HANDLER: 0
; COMPUTE_PGM_RSRC2:TGID_X_EN: 1
; COMPUTE_PGM_RSRC2:TGID_Y_EN: 0
; COMPUTE_PGM_RSRC2:TGID_Z_EN: 0
; COMPUTE_PGM_RSRC2:TIDIG_COMP_CNT: 2
; COMPUTE_PGM_RSRC3_GFX90A:ACCUM_OFFSET: 10
; COMPUTE_PGM_RSRC3_GFX90A:TG_SPLIT: 0
	.section	.text._ZN7rocprim17ROCPRIM_400000_NS6detail17trampoline_kernelINS0_14default_configENS1_27scan_by_key_config_selectorIj11FixedVectorIiLj8EEEEZZNS1_16scan_by_key_implILNS1_25lookback_scan_determinismE0ELb1ES3_N6thrust23THRUST_200600_302600_NS6detail15normal_iteratorINSB_10device_ptrIjEEEENSD_INSE_IS6_EEEESI_S6_NSB_4plusIvEENSB_8equal_toIvEES6_EE10hipError_tPvRmT2_T3_T4_T5_mT6_T7_P12ihipStream_tbENKUlT_T0_E_clISt17integral_constantIbLb0EES12_IbLb1EEEEDaSY_SZ_EUlSY_E_NS1_11comp_targetILNS1_3genE4ELNS1_11target_archE910ELNS1_3gpuE8ELNS1_3repE0EEENS1_30default_config_static_selectorELNS0_4arch9wavefront6targetE1EEEvT1_,"axG",@progbits,_ZN7rocprim17ROCPRIM_400000_NS6detail17trampoline_kernelINS0_14default_configENS1_27scan_by_key_config_selectorIj11FixedVectorIiLj8EEEEZZNS1_16scan_by_key_implILNS1_25lookback_scan_determinismE0ELb1ES3_N6thrust23THRUST_200600_302600_NS6detail15normal_iteratorINSB_10device_ptrIjEEEENSD_INSE_IS6_EEEESI_S6_NSB_4plusIvEENSB_8equal_toIvEES6_EE10hipError_tPvRmT2_T3_T4_T5_mT6_T7_P12ihipStream_tbENKUlT_T0_E_clISt17integral_constantIbLb0EES12_IbLb1EEEEDaSY_SZ_EUlSY_E_NS1_11comp_targetILNS1_3genE4ELNS1_11target_archE910ELNS1_3gpuE8ELNS1_3repE0EEENS1_30default_config_static_selectorELNS0_4arch9wavefront6targetE1EEEvT1_,comdat
	.protected	_ZN7rocprim17ROCPRIM_400000_NS6detail17trampoline_kernelINS0_14default_configENS1_27scan_by_key_config_selectorIj11FixedVectorIiLj8EEEEZZNS1_16scan_by_key_implILNS1_25lookback_scan_determinismE0ELb1ES3_N6thrust23THRUST_200600_302600_NS6detail15normal_iteratorINSB_10device_ptrIjEEEENSD_INSE_IS6_EEEESI_S6_NSB_4plusIvEENSB_8equal_toIvEES6_EE10hipError_tPvRmT2_T3_T4_T5_mT6_T7_P12ihipStream_tbENKUlT_T0_E_clISt17integral_constantIbLb0EES12_IbLb1EEEEDaSY_SZ_EUlSY_E_NS1_11comp_targetILNS1_3genE4ELNS1_11target_archE910ELNS1_3gpuE8ELNS1_3repE0EEENS1_30default_config_static_selectorELNS0_4arch9wavefront6targetE1EEEvT1_ ; -- Begin function _ZN7rocprim17ROCPRIM_400000_NS6detail17trampoline_kernelINS0_14default_configENS1_27scan_by_key_config_selectorIj11FixedVectorIiLj8EEEEZZNS1_16scan_by_key_implILNS1_25lookback_scan_determinismE0ELb1ES3_N6thrust23THRUST_200600_302600_NS6detail15normal_iteratorINSB_10device_ptrIjEEEENSD_INSE_IS6_EEEESI_S6_NSB_4plusIvEENSB_8equal_toIvEES6_EE10hipError_tPvRmT2_T3_T4_T5_mT6_T7_P12ihipStream_tbENKUlT_T0_E_clISt17integral_constantIbLb0EES12_IbLb1EEEEDaSY_SZ_EUlSY_E_NS1_11comp_targetILNS1_3genE4ELNS1_11target_archE910ELNS1_3gpuE8ELNS1_3repE0EEENS1_30default_config_static_selectorELNS0_4arch9wavefront6targetE1EEEvT1_
	.globl	_ZN7rocprim17ROCPRIM_400000_NS6detail17trampoline_kernelINS0_14default_configENS1_27scan_by_key_config_selectorIj11FixedVectorIiLj8EEEEZZNS1_16scan_by_key_implILNS1_25lookback_scan_determinismE0ELb1ES3_N6thrust23THRUST_200600_302600_NS6detail15normal_iteratorINSB_10device_ptrIjEEEENSD_INSE_IS6_EEEESI_S6_NSB_4plusIvEENSB_8equal_toIvEES6_EE10hipError_tPvRmT2_T3_T4_T5_mT6_T7_P12ihipStream_tbENKUlT_T0_E_clISt17integral_constantIbLb0EES12_IbLb1EEEEDaSY_SZ_EUlSY_E_NS1_11comp_targetILNS1_3genE4ELNS1_11target_archE910ELNS1_3gpuE8ELNS1_3repE0EEENS1_30default_config_static_selectorELNS0_4arch9wavefront6targetE1EEEvT1_
	.p2align	8
	.type	_ZN7rocprim17ROCPRIM_400000_NS6detail17trampoline_kernelINS0_14default_configENS1_27scan_by_key_config_selectorIj11FixedVectorIiLj8EEEEZZNS1_16scan_by_key_implILNS1_25lookback_scan_determinismE0ELb1ES3_N6thrust23THRUST_200600_302600_NS6detail15normal_iteratorINSB_10device_ptrIjEEEENSD_INSE_IS6_EEEESI_S6_NSB_4plusIvEENSB_8equal_toIvEES6_EE10hipError_tPvRmT2_T3_T4_T5_mT6_T7_P12ihipStream_tbENKUlT_T0_E_clISt17integral_constantIbLb0EES12_IbLb1EEEEDaSY_SZ_EUlSY_E_NS1_11comp_targetILNS1_3genE4ELNS1_11target_archE910ELNS1_3gpuE8ELNS1_3repE0EEENS1_30default_config_static_selectorELNS0_4arch9wavefront6targetE1EEEvT1_,@function
_ZN7rocprim17ROCPRIM_400000_NS6detail17trampoline_kernelINS0_14default_configENS1_27scan_by_key_config_selectorIj11FixedVectorIiLj8EEEEZZNS1_16scan_by_key_implILNS1_25lookback_scan_determinismE0ELb1ES3_N6thrust23THRUST_200600_302600_NS6detail15normal_iteratorINSB_10device_ptrIjEEEENSD_INSE_IS6_EEEESI_S6_NSB_4plusIvEENSB_8equal_toIvEES6_EE10hipError_tPvRmT2_T3_T4_T5_mT6_T7_P12ihipStream_tbENKUlT_T0_E_clISt17integral_constantIbLb0EES12_IbLb1EEEEDaSY_SZ_EUlSY_E_NS1_11comp_targetILNS1_3genE4ELNS1_11target_archE910ELNS1_3gpuE8ELNS1_3repE0EEENS1_30default_config_static_selectorELNS0_4arch9wavefront6targetE1EEEvT1_: ; @_ZN7rocprim17ROCPRIM_400000_NS6detail17trampoline_kernelINS0_14default_configENS1_27scan_by_key_config_selectorIj11FixedVectorIiLj8EEEEZZNS1_16scan_by_key_implILNS1_25lookback_scan_determinismE0ELb1ES3_N6thrust23THRUST_200600_302600_NS6detail15normal_iteratorINSB_10device_ptrIjEEEENSD_INSE_IS6_EEEESI_S6_NSB_4plusIvEENSB_8equal_toIvEES6_EE10hipError_tPvRmT2_T3_T4_T5_mT6_T7_P12ihipStream_tbENKUlT_T0_E_clISt17integral_constantIbLb0EES12_IbLb1EEEEDaSY_SZ_EUlSY_E_NS1_11comp_targetILNS1_3genE4ELNS1_11target_archE910ELNS1_3gpuE8ELNS1_3repE0EEENS1_30default_config_static_selectorELNS0_4arch9wavefront6targetE1EEEvT1_
; %bb.0:
	.section	.rodata,"a",@progbits
	.p2align	6, 0x0
	.amdhsa_kernel _ZN7rocprim17ROCPRIM_400000_NS6detail17trampoline_kernelINS0_14default_configENS1_27scan_by_key_config_selectorIj11FixedVectorIiLj8EEEEZZNS1_16scan_by_key_implILNS1_25lookback_scan_determinismE0ELb1ES3_N6thrust23THRUST_200600_302600_NS6detail15normal_iteratorINSB_10device_ptrIjEEEENSD_INSE_IS6_EEEESI_S6_NSB_4plusIvEENSB_8equal_toIvEES6_EE10hipError_tPvRmT2_T3_T4_T5_mT6_T7_P12ihipStream_tbENKUlT_T0_E_clISt17integral_constantIbLb0EES12_IbLb1EEEEDaSY_SZ_EUlSY_E_NS1_11comp_targetILNS1_3genE4ELNS1_11target_archE910ELNS1_3gpuE8ELNS1_3repE0EEENS1_30default_config_static_selectorELNS0_4arch9wavefront6targetE1EEEvT1_
		.amdhsa_group_segment_fixed_size 0
		.amdhsa_private_segment_fixed_size 0
		.amdhsa_kernarg_size 160
		.amdhsa_user_sgpr_count 2
		.amdhsa_user_sgpr_dispatch_ptr 0
		.amdhsa_user_sgpr_queue_ptr 0
		.amdhsa_user_sgpr_kernarg_segment_ptr 1
		.amdhsa_user_sgpr_dispatch_id 0
		.amdhsa_user_sgpr_kernarg_preload_length 0
		.amdhsa_user_sgpr_kernarg_preload_offset 0
		.amdhsa_user_sgpr_private_segment_size 0
		.amdhsa_uses_dynamic_stack 0
		.amdhsa_enable_private_segment 0
		.amdhsa_system_sgpr_workgroup_id_x 1
		.amdhsa_system_sgpr_workgroup_id_y 0
		.amdhsa_system_sgpr_workgroup_id_z 0
		.amdhsa_system_sgpr_workgroup_info 0
		.amdhsa_system_vgpr_workitem_id 0
		.amdhsa_next_free_vgpr 1
		.amdhsa_next_free_sgpr 0
		.amdhsa_accum_offset 4
		.amdhsa_reserve_vcc 0
		.amdhsa_float_round_mode_32 0
		.amdhsa_float_round_mode_16_64 0
		.amdhsa_float_denorm_mode_32 3
		.amdhsa_float_denorm_mode_16_64 3
		.amdhsa_dx10_clamp 1
		.amdhsa_ieee_mode 1
		.amdhsa_fp16_overflow 0
		.amdhsa_tg_split 0
		.amdhsa_exception_fp_ieee_invalid_op 0
		.amdhsa_exception_fp_denorm_src 0
		.amdhsa_exception_fp_ieee_div_zero 0
		.amdhsa_exception_fp_ieee_overflow 0
		.amdhsa_exception_fp_ieee_underflow 0
		.amdhsa_exception_fp_ieee_inexact 0
		.amdhsa_exception_int_div_zero 0
	.end_amdhsa_kernel
	.section	.text._ZN7rocprim17ROCPRIM_400000_NS6detail17trampoline_kernelINS0_14default_configENS1_27scan_by_key_config_selectorIj11FixedVectorIiLj8EEEEZZNS1_16scan_by_key_implILNS1_25lookback_scan_determinismE0ELb1ES3_N6thrust23THRUST_200600_302600_NS6detail15normal_iteratorINSB_10device_ptrIjEEEENSD_INSE_IS6_EEEESI_S6_NSB_4plusIvEENSB_8equal_toIvEES6_EE10hipError_tPvRmT2_T3_T4_T5_mT6_T7_P12ihipStream_tbENKUlT_T0_E_clISt17integral_constantIbLb0EES12_IbLb1EEEEDaSY_SZ_EUlSY_E_NS1_11comp_targetILNS1_3genE4ELNS1_11target_archE910ELNS1_3gpuE8ELNS1_3repE0EEENS1_30default_config_static_selectorELNS0_4arch9wavefront6targetE1EEEvT1_,"axG",@progbits,_ZN7rocprim17ROCPRIM_400000_NS6detail17trampoline_kernelINS0_14default_configENS1_27scan_by_key_config_selectorIj11FixedVectorIiLj8EEEEZZNS1_16scan_by_key_implILNS1_25lookback_scan_determinismE0ELb1ES3_N6thrust23THRUST_200600_302600_NS6detail15normal_iteratorINSB_10device_ptrIjEEEENSD_INSE_IS6_EEEESI_S6_NSB_4plusIvEENSB_8equal_toIvEES6_EE10hipError_tPvRmT2_T3_T4_T5_mT6_T7_P12ihipStream_tbENKUlT_T0_E_clISt17integral_constantIbLb0EES12_IbLb1EEEEDaSY_SZ_EUlSY_E_NS1_11comp_targetILNS1_3genE4ELNS1_11target_archE910ELNS1_3gpuE8ELNS1_3repE0EEENS1_30default_config_static_selectorELNS0_4arch9wavefront6targetE1EEEvT1_,comdat
.Lfunc_end2188:
	.size	_ZN7rocprim17ROCPRIM_400000_NS6detail17trampoline_kernelINS0_14default_configENS1_27scan_by_key_config_selectorIj11FixedVectorIiLj8EEEEZZNS1_16scan_by_key_implILNS1_25lookback_scan_determinismE0ELb1ES3_N6thrust23THRUST_200600_302600_NS6detail15normal_iteratorINSB_10device_ptrIjEEEENSD_INSE_IS6_EEEESI_S6_NSB_4plusIvEENSB_8equal_toIvEES6_EE10hipError_tPvRmT2_T3_T4_T5_mT6_T7_P12ihipStream_tbENKUlT_T0_E_clISt17integral_constantIbLb0EES12_IbLb1EEEEDaSY_SZ_EUlSY_E_NS1_11comp_targetILNS1_3genE4ELNS1_11target_archE910ELNS1_3gpuE8ELNS1_3repE0EEENS1_30default_config_static_selectorELNS0_4arch9wavefront6targetE1EEEvT1_, .Lfunc_end2188-_ZN7rocprim17ROCPRIM_400000_NS6detail17trampoline_kernelINS0_14default_configENS1_27scan_by_key_config_selectorIj11FixedVectorIiLj8EEEEZZNS1_16scan_by_key_implILNS1_25lookback_scan_determinismE0ELb1ES3_N6thrust23THRUST_200600_302600_NS6detail15normal_iteratorINSB_10device_ptrIjEEEENSD_INSE_IS6_EEEESI_S6_NSB_4plusIvEENSB_8equal_toIvEES6_EE10hipError_tPvRmT2_T3_T4_T5_mT6_T7_P12ihipStream_tbENKUlT_T0_E_clISt17integral_constantIbLb0EES12_IbLb1EEEEDaSY_SZ_EUlSY_E_NS1_11comp_targetILNS1_3genE4ELNS1_11target_archE910ELNS1_3gpuE8ELNS1_3repE0EEENS1_30default_config_static_selectorELNS0_4arch9wavefront6targetE1EEEvT1_
                                        ; -- End function
	.section	.AMDGPU.csdata,"",@progbits
; Kernel info:
; codeLenInByte = 0
; NumSgprs: 6
; NumVgprs: 0
; NumAgprs: 0
; TotalNumVgprs: 0
; ScratchSize: 0
; MemoryBound: 0
; FloatMode: 240
; IeeeMode: 1
; LDSByteSize: 0 bytes/workgroup (compile time only)
; SGPRBlocks: 0
; VGPRBlocks: 0
; NumSGPRsForWavesPerEU: 6
; NumVGPRsForWavesPerEU: 1
; AccumOffset: 4
; Occupancy: 8
; WaveLimiterHint : 0
; COMPUTE_PGM_RSRC2:SCRATCH_EN: 0
; COMPUTE_PGM_RSRC2:USER_SGPR: 2
; COMPUTE_PGM_RSRC2:TRAP_HANDLER: 0
; COMPUTE_PGM_RSRC2:TGID_X_EN: 1
; COMPUTE_PGM_RSRC2:TGID_Y_EN: 0
; COMPUTE_PGM_RSRC2:TGID_Z_EN: 0
; COMPUTE_PGM_RSRC2:TIDIG_COMP_CNT: 0
; COMPUTE_PGM_RSRC3_GFX90A:ACCUM_OFFSET: 0
; COMPUTE_PGM_RSRC3_GFX90A:TG_SPLIT: 0
	.section	.text._ZN7rocprim17ROCPRIM_400000_NS6detail17trampoline_kernelINS0_14default_configENS1_27scan_by_key_config_selectorIj11FixedVectorIiLj8EEEEZZNS1_16scan_by_key_implILNS1_25lookback_scan_determinismE0ELb1ES3_N6thrust23THRUST_200600_302600_NS6detail15normal_iteratorINSB_10device_ptrIjEEEENSD_INSE_IS6_EEEESI_S6_NSB_4plusIvEENSB_8equal_toIvEES6_EE10hipError_tPvRmT2_T3_T4_T5_mT6_T7_P12ihipStream_tbENKUlT_T0_E_clISt17integral_constantIbLb0EES12_IbLb1EEEEDaSY_SZ_EUlSY_E_NS1_11comp_targetILNS1_3genE3ELNS1_11target_archE908ELNS1_3gpuE7ELNS1_3repE0EEENS1_30default_config_static_selectorELNS0_4arch9wavefront6targetE1EEEvT1_,"axG",@progbits,_ZN7rocprim17ROCPRIM_400000_NS6detail17trampoline_kernelINS0_14default_configENS1_27scan_by_key_config_selectorIj11FixedVectorIiLj8EEEEZZNS1_16scan_by_key_implILNS1_25lookback_scan_determinismE0ELb1ES3_N6thrust23THRUST_200600_302600_NS6detail15normal_iteratorINSB_10device_ptrIjEEEENSD_INSE_IS6_EEEESI_S6_NSB_4plusIvEENSB_8equal_toIvEES6_EE10hipError_tPvRmT2_T3_T4_T5_mT6_T7_P12ihipStream_tbENKUlT_T0_E_clISt17integral_constantIbLb0EES12_IbLb1EEEEDaSY_SZ_EUlSY_E_NS1_11comp_targetILNS1_3genE3ELNS1_11target_archE908ELNS1_3gpuE7ELNS1_3repE0EEENS1_30default_config_static_selectorELNS0_4arch9wavefront6targetE1EEEvT1_,comdat
	.protected	_ZN7rocprim17ROCPRIM_400000_NS6detail17trampoline_kernelINS0_14default_configENS1_27scan_by_key_config_selectorIj11FixedVectorIiLj8EEEEZZNS1_16scan_by_key_implILNS1_25lookback_scan_determinismE0ELb1ES3_N6thrust23THRUST_200600_302600_NS6detail15normal_iteratorINSB_10device_ptrIjEEEENSD_INSE_IS6_EEEESI_S6_NSB_4plusIvEENSB_8equal_toIvEES6_EE10hipError_tPvRmT2_T3_T4_T5_mT6_T7_P12ihipStream_tbENKUlT_T0_E_clISt17integral_constantIbLb0EES12_IbLb1EEEEDaSY_SZ_EUlSY_E_NS1_11comp_targetILNS1_3genE3ELNS1_11target_archE908ELNS1_3gpuE7ELNS1_3repE0EEENS1_30default_config_static_selectorELNS0_4arch9wavefront6targetE1EEEvT1_ ; -- Begin function _ZN7rocprim17ROCPRIM_400000_NS6detail17trampoline_kernelINS0_14default_configENS1_27scan_by_key_config_selectorIj11FixedVectorIiLj8EEEEZZNS1_16scan_by_key_implILNS1_25lookback_scan_determinismE0ELb1ES3_N6thrust23THRUST_200600_302600_NS6detail15normal_iteratorINSB_10device_ptrIjEEEENSD_INSE_IS6_EEEESI_S6_NSB_4plusIvEENSB_8equal_toIvEES6_EE10hipError_tPvRmT2_T3_T4_T5_mT6_T7_P12ihipStream_tbENKUlT_T0_E_clISt17integral_constantIbLb0EES12_IbLb1EEEEDaSY_SZ_EUlSY_E_NS1_11comp_targetILNS1_3genE3ELNS1_11target_archE908ELNS1_3gpuE7ELNS1_3repE0EEENS1_30default_config_static_selectorELNS0_4arch9wavefront6targetE1EEEvT1_
	.globl	_ZN7rocprim17ROCPRIM_400000_NS6detail17trampoline_kernelINS0_14default_configENS1_27scan_by_key_config_selectorIj11FixedVectorIiLj8EEEEZZNS1_16scan_by_key_implILNS1_25lookback_scan_determinismE0ELb1ES3_N6thrust23THRUST_200600_302600_NS6detail15normal_iteratorINSB_10device_ptrIjEEEENSD_INSE_IS6_EEEESI_S6_NSB_4plusIvEENSB_8equal_toIvEES6_EE10hipError_tPvRmT2_T3_T4_T5_mT6_T7_P12ihipStream_tbENKUlT_T0_E_clISt17integral_constantIbLb0EES12_IbLb1EEEEDaSY_SZ_EUlSY_E_NS1_11comp_targetILNS1_3genE3ELNS1_11target_archE908ELNS1_3gpuE7ELNS1_3repE0EEENS1_30default_config_static_selectorELNS0_4arch9wavefront6targetE1EEEvT1_
	.p2align	8
	.type	_ZN7rocprim17ROCPRIM_400000_NS6detail17trampoline_kernelINS0_14default_configENS1_27scan_by_key_config_selectorIj11FixedVectorIiLj8EEEEZZNS1_16scan_by_key_implILNS1_25lookback_scan_determinismE0ELb1ES3_N6thrust23THRUST_200600_302600_NS6detail15normal_iteratorINSB_10device_ptrIjEEEENSD_INSE_IS6_EEEESI_S6_NSB_4plusIvEENSB_8equal_toIvEES6_EE10hipError_tPvRmT2_T3_T4_T5_mT6_T7_P12ihipStream_tbENKUlT_T0_E_clISt17integral_constantIbLb0EES12_IbLb1EEEEDaSY_SZ_EUlSY_E_NS1_11comp_targetILNS1_3genE3ELNS1_11target_archE908ELNS1_3gpuE7ELNS1_3repE0EEENS1_30default_config_static_selectorELNS0_4arch9wavefront6targetE1EEEvT1_,@function
_ZN7rocprim17ROCPRIM_400000_NS6detail17trampoline_kernelINS0_14default_configENS1_27scan_by_key_config_selectorIj11FixedVectorIiLj8EEEEZZNS1_16scan_by_key_implILNS1_25lookback_scan_determinismE0ELb1ES3_N6thrust23THRUST_200600_302600_NS6detail15normal_iteratorINSB_10device_ptrIjEEEENSD_INSE_IS6_EEEESI_S6_NSB_4plusIvEENSB_8equal_toIvEES6_EE10hipError_tPvRmT2_T3_T4_T5_mT6_T7_P12ihipStream_tbENKUlT_T0_E_clISt17integral_constantIbLb0EES12_IbLb1EEEEDaSY_SZ_EUlSY_E_NS1_11comp_targetILNS1_3genE3ELNS1_11target_archE908ELNS1_3gpuE7ELNS1_3repE0EEENS1_30default_config_static_selectorELNS0_4arch9wavefront6targetE1EEEvT1_: ; @_ZN7rocprim17ROCPRIM_400000_NS6detail17trampoline_kernelINS0_14default_configENS1_27scan_by_key_config_selectorIj11FixedVectorIiLj8EEEEZZNS1_16scan_by_key_implILNS1_25lookback_scan_determinismE0ELb1ES3_N6thrust23THRUST_200600_302600_NS6detail15normal_iteratorINSB_10device_ptrIjEEEENSD_INSE_IS6_EEEESI_S6_NSB_4plusIvEENSB_8equal_toIvEES6_EE10hipError_tPvRmT2_T3_T4_T5_mT6_T7_P12ihipStream_tbENKUlT_T0_E_clISt17integral_constantIbLb0EES12_IbLb1EEEEDaSY_SZ_EUlSY_E_NS1_11comp_targetILNS1_3genE3ELNS1_11target_archE908ELNS1_3gpuE7ELNS1_3repE0EEENS1_30default_config_static_selectorELNS0_4arch9wavefront6targetE1EEEvT1_
; %bb.0:
	.section	.rodata,"a",@progbits
	.p2align	6, 0x0
	.amdhsa_kernel _ZN7rocprim17ROCPRIM_400000_NS6detail17trampoline_kernelINS0_14default_configENS1_27scan_by_key_config_selectorIj11FixedVectorIiLj8EEEEZZNS1_16scan_by_key_implILNS1_25lookback_scan_determinismE0ELb1ES3_N6thrust23THRUST_200600_302600_NS6detail15normal_iteratorINSB_10device_ptrIjEEEENSD_INSE_IS6_EEEESI_S6_NSB_4plusIvEENSB_8equal_toIvEES6_EE10hipError_tPvRmT2_T3_T4_T5_mT6_T7_P12ihipStream_tbENKUlT_T0_E_clISt17integral_constantIbLb0EES12_IbLb1EEEEDaSY_SZ_EUlSY_E_NS1_11comp_targetILNS1_3genE3ELNS1_11target_archE908ELNS1_3gpuE7ELNS1_3repE0EEENS1_30default_config_static_selectorELNS0_4arch9wavefront6targetE1EEEvT1_
		.amdhsa_group_segment_fixed_size 0
		.amdhsa_private_segment_fixed_size 0
		.amdhsa_kernarg_size 160
		.amdhsa_user_sgpr_count 2
		.amdhsa_user_sgpr_dispatch_ptr 0
		.amdhsa_user_sgpr_queue_ptr 0
		.amdhsa_user_sgpr_kernarg_segment_ptr 1
		.amdhsa_user_sgpr_dispatch_id 0
		.amdhsa_user_sgpr_kernarg_preload_length 0
		.amdhsa_user_sgpr_kernarg_preload_offset 0
		.amdhsa_user_sgpr_private_segment_size 0
		.amdhsa_uses_dynamic_stack 0
		.amdhsa_enable_private_segment 0
		.amdhsa_system_sgpr_workgroup_id_x 1
		.amdhsa_system_sgpr_workgroup_id_y 0
		.amdhsa_system_sgpr_workgroup_id_z 0
		.amdhsa_system_sgpr_workgroup_info 0
		.amdhsa_system_vgpr_workitem_id 0
		.amdhsa_next_free_vgpr 1
		.amdhsa_next_free_sgpr 0
		.amdhsa_accum_offset 4
		.amdhsa_reserve_vcc 0
		.amdhsa_float_round_mode_32 0
		.amdhsa_float_round_mode_16_64 0
		.amdhsa_float_denorm_mode_32 3
		.amdhsa_float_denorm_mode_16_64 3
		.amdhsa_dx10_clamp 1
		.amdhsa_ieee_mode 1
		.amdhsa_fp16_overflow 0
		.amdhsa_tg_split 0
		.amdhsa_exception_fp_ieee_invalid_op 0
		.amdhsa_exception_fp_denorm_src 0
		.amdhsa_exception_fp_ieee_div_zero 0
		.amdhsa_exception_fp_ieee_overflow 0
		.amdhsa_exception_fp_ieee_underflow 0
		.amdhsa_exception_fp_ieee_inexact 0
		.amdhsa_exception_int_div_zero 0
	.end_amdhsa_kernel
	.section	.text._ZN7rocprim17ROCPRIM_400000_NS6detail17trampoline_kernelINS0_14default_configENS1_27scan_by_key_config_selectorIj11FixedVectorIiLj8EEEEZZNS1_16scan_by_key_implILNS1_25lookback_scan_determinismE0ELb1ES3_N6thrust23THRUST_200600_302600_NS6detail15normal_iteratorINSB_10device_ptrIjEEEENSD_INSE_IS6_EEEESI_S6_NSB_4plusIvEENSB_8equal_toIvEES6_EE10hipError_tPvRmT2_T3_T4_T5_mT6_T7_P12ihipStream_tbENKUlT_T0_E_clISt17integral_constantIbLb0EES12_IbLb1EEEEDaSY_SZ_EUlSY_E_NS1_11comp_targetILNS1_3genE3ELNS1_11target_archE908ELNS1_3gpuE7ELNS1_3repE0EEENS1_30default_config_static_selectorELNS0_4arch9wavefront6targetE1EEEvT1_,"axG",@progbits,_ZN7rocprim17ROCPRIM_400000_NS6detail17trampoline_kernelINS0_14default_configENS1_27scan_by_key_config_selectorIj11FixedVectorIiLj8EEEEZZNS1_16scan_by_key_implILNS1_25lookback_scan_determinismE0ELb1ES3_N6thrust23THRUST_200600_302600_NS6detail15normal_iteratorINSB_10device_ptrIjEEEENSD_INSE_IS6_EEEESI_S6_NSB_4plusIvEENSB_8equal_toIvEES6_EE10hipError_tPvRmT2_T3_T4_T5_mT6_T7_P12ihipStream_tbENKUlT_T0_E_clISt17integral_constantIbLb0EES12_IbLb1EEEEDaSY_SZ_EUlSY_E_NS1_11comp_targetILNS1_3genE3ELNS1_11target_archE908ELNS1_3gpuE7ELNS1_3repE0EEENS1_30default_config_static_selectorELNS0_4arch9wavefront6targetE1EEEvT1_,comdat
.Lfunc_end2189:
	.size	_ZN7rocprim17ROCPRIM_400000_NS6detail17trampoline_kernelINS0_14default_configENS1_27scan_by_key_config_selectorIj11FixedVectorIiLj8EEEEZZNS1_16scan_by_key_implILNS1_25lookback_scan_determinismE0ELb1ES3_N6thrust23THRUST_200600_302600_NS6detail15normal_iteratorINSB_10device_ptrIjEEEENSD_INSE_IS6_EEEESI_S6_NSB_4plusIvEENSB_8equal_toIvEES6_EE10hipError_tPvRmT2_T3_T4_T5_mT6_T7_P12ihipStream_tbENKUlT_T0_E_clISt17integral_constantIbLb0EES12_IbLb1EEEEDaSY_SZ_EUlSY_E_NS1_11comp_targetILNS1_3genE3ELNS1_11target_archE908ELNS1_3gpuE7ELNS1_3repE0EEENS1_30default_config_static_selectorELNS0_4arch9wavefront6targetE1EEEvT1_, .Lfunc_end2189-_ZN7rocprim17ROCPRIM_400000_NS6detail17trampoline_kernelINS0_14default_configENS1_27scan_by_key_config_selectorIj11FixedVectorIiLj8EEEEZZNS1_16scan_by_key_implILNS1_25lookback_scan_determinismE0ELb1ES3_N6thrust23THRUST_200600_302600_NS6detail15normal_iteratorINSB_10device_ptrIjEEEENSD_INSE_IS6_EEEESI_S6_NSB_4plusIvEENSB_8equal_toIvEES6_EE10hipError_tPvRmT2_T3_T4_T5_mT6_T7_P12ihipStream_tbENKUlT_T0_E_clISt17integral_constantIbLb0EES12_IbLb1EEEEDaSY_SZ_EUlSY_E_NS1_11comp_targetILNS1_3genE3ELNS1_11target_archE908ELNS1_3gpuE7ELNS1_3repE0EEENS1_30default_config_static_selectorELNS0_4arch9wavefront6targetE1EEEvT1_
                                        ; -- End function
	.section	.AMDGPU.csdata,"",@progbits
; Kernel info:
; codeLenInByte = 0
; NumSgprs: 6
; NumVgprs: 0
; NumAgprs: 0
; TotalNumVgprs: 0
; ScratchSize: 0
; MemoryBound: 0
; FloatMode: 240
; IeeeMode: 1
; LDSByteSize: 0 bytes/workgroup (compile time only)
; SGPRBlocks: 0
; VGPRBlocks: 0
; NumSGPRsForWavesPerEU: 6
; NumVGPRsForWavesPerEU: 1
; AccumOffset: 4
; Occupancy: 8
; WaveLimiterHint : 0
; COMPUTE_PGM_RSRC2:SCRATCH_EN: 0
; COMPUTE_PGM_RSRC2:USER_SGPR: 2
; COMPUTE_PGM_RSRC2:TRAP_HANDLER: 0
; COMPUTE_PGM_RSRC2:TGID_X_EN: 1
; COMPUTE_PGM_RSRC2:TGID_Y_EN: 0
; COMPUTE_PGM_RSRC2:TGID_Z_EN: 0
; COMPUTE_PGM_RSRC2:TIDIG_COMP_CNT: 0
; COMPUTE_PGM_RSRC3_GFX90A:ACCUM_OFFSET: 0
; COMPUTE_PGM_RSRC3_GFX90A:TG_SPLIT: 0
	.section	.text._ZN7rocprim17ROCPRIM_400000_NS6detail17trampoline_kernelINS0_14default_configENS1_27scan_by_key_config_selectorIj11FixedVectorIiLj8EEEEZZNS1_16scan_by_key_implILNS1_25lookback_scan_determinismE0ELb1ES3_N6thrust23THRUST_200600_302600_NS6detail15normal_iteratorINSB_10device_ptrIjEEEENSD_INSE_IS6_EEEESI_S6_NSB_4plusIvEENSB_8equal_toIvEES6_EE10hipError_tPvRmT2_T3_T4_T5_mT6_T7_P12ihipStream_tbENKUlT_T0_E_clISt17integral_constantIbLb0EES12_IbLb1EEEEDaSY_SZ_EUlSY_E_NS1_11comp_targetILNS1_3genE2ELNS1_11target_archE906ELNS1_3gpuE6ELNS1_3repE0EEENS1_30default_config_static_selectorELNS0_4arch9wavefront6targetE1EEEvT1_,"axG",@progbits,_ZN7rocprim17ROCPRIM_400000_NS6detail17trampoline_kernelINS0_14default_configENS1_27scan_by_key_config_selectorIj11FixedVectorIiLj8EEEEZZNS1_16scan_by_key_implILNS1_25lookback_scan_determinismE0ELb1ES3_N6thrust23THRUST_200600_302600_NS6detail15normal_iteratorINSB_10device_ptrIjEEEENSD_INSE_IS6_EEEESI_S6_NSB_4plusIvEENSB_8equal_toIvEES6_EE10hipError_tPvRmT2_T3_T4_T5_mT6_T7_P12ihipStream_tbENKUlT_T0_E_clISt17integral_constantIbLb0EES12_IbLb1EEEEDaSY_SZ_EUlSY_E_NS1_11comp_targetILNS1_3genE2ELNS1_11target_archE906ELNS1_3gpuE6ELNS1_3repE0EEENS1_30default_config_static_selectorELNS0_4arch9wavefront6targetE1EEEvT1_,comdat
	.protected	_ZN7rocprim17ROCPRIM_400000_NS6detail17trampoline_kernelINS0_14default_configENS1_27scan_by_key_config_selectorIj11FixedVectorIiLj8EEEEZZNS1_16scan_by_key_implILNS1_25lookback_scan_determinismE0ELb1ES3_N6thrust23THRUST_200600_302600_NS6detail15normal_iteratorINSB_10device_ptrIjEEEENSD_INSE_IS6_EEEESI_S6_NSB_4plusIvEENSB_8equal_toIvEES6_EE10hipError_tPvRmT2_T3_T4_T5_mT6_T7_P12ihipStream_tbENKUlT_T0_E_clISt17integral_constantIbLb0EES12_IbLb1EEEEDaSY_SZ_EUlSY_E_NS1_11comp_targetILNS1_3genE2ELNS1_11target_archE906ELNS1_3gpuE6ELNS1_3repE0EEENS1_30default_config_static_selectorELNS0_4arch9wavefront6targetE1EEEvT1_ ; -- Begin function _ZN7rocprim17ROCPRIM_400000_NS6detail17trampoline_kernelINS0_14default_configENS1_27scan_by_key_config_selectorIj11FixedVectorIiLj8EEEEZZNS1_16scan_by_key_implILNS1_25lookback_scan_determinismE0ELb1ES3_N6thrust23THRUST_200600_302600_NS6detail15normal_iteratorINSB_10device_ptrIjEEEENSD_INSE_IS6_EEEESI_S6_NSB_4plusIvEENSB_8equal_toIvEES6_EE10hipError_tPvRmT2_T3_T4_T5_mT6_T7_P12ihipStream_tbENKUlT_T0_E_clISt17integral_constantIbLb0EES12_IbLb1EEEEDaSY_SZ_EUlSY_E_NS1_11comp_targetILNS1_3genE2ELNS1_11target_archE906ELNS1_3gpuE6ELNS1_3repE0EEENS1_30default_config_static_selectorELNS0_4arch9wavefront6targetE1EEEvT1_
	.globl	_ZN7rocprim17ROCPRIM_400000_NS6detail17trampoline_kernelINS0_14default_configENS1_27scan_by_key_config_selectorIj11FixedVectorIiLj8EEEEZZNS1_16scan_by_key_implILNS1_25lookback_scan_determinismE0ELb1ES3_N6thrust23THRUST_200600_302600_NS6detail15normal_iteratorINSB_10device_ptrIjEEEENSD_INSE_IS6_EEEESI_S6_NSB_4plusIvEENSB_8equal_toIvEES6_EE10hipError_tPvRmT2_T3_T4_T5_mT6_T7_P12ihipStream_tbENKUlT_T0_E_clISt17integral_constantIbLb0EES12_IbLb1EEEEDaSY_SZ_EUlSY_E_NS1_11comp_targetILNS1_3genE2ELNS1_11target_archE906ELNS1_3gpuE6ELNS1_3repE0EEENS1_30default_config_static_selectorELNS0_4arch9wavefront6targetE1EEEvT1_
	.p2align	8
	.type	_ZN7rocprim17ROCPRIM_400000_NS6detail17trampoline_kernelINS0_14default_configENS1_27scan_by_key_config_selectorIj11FixedVectorIiLj8EEEEZZNS1_16scan_by_key_implILNS1_25lookback_scan_determinismE0ELb1ES3_N6thrust23THRUST_200600_302600_NS6detail15normal_iteratorINSB_10device_ptrIjEEEENSD_INSE_IS6_EEEESI_S6_NSB_4plusIvEENSB_8equal_toIvEES6_EE10hipError_tPvRmT2_T3_T4_T5_mT6_T7_P12ihipStream_tbENKUlT_T0_E_clISt17integral_constantIbLb0EES12_IbLb1EEEEDaSY_SZ_EUlSY_E_NS1_11comp_targetILNS1_3genE2ELNS1_11target_archE906ELNS1_3gpuE6ELNS1_3repE0EEENS1_30default_config_static_selectorELNS0_4arch9wavefront6targetE1EEEvT1_,@function
_ZN7rocprim17ROCPRIM_400000_NS6detail17trampoline_kernelINS0_14default_configENS1_27scan_by_key_config_selectorIj11FixedVectorIiLj8EEEEZZNS1_16scan_by_key_implILNS1_25lookback_scan_determinismE0ELb1ES3_N6thrust23THRUST_200600_302600_NS6detail15normal_iteratorINSB_10device_ptrIjEEEENSD_INSE_IS6_EEEESI_S6_NSB_4plusIvEENSB_8equal_toIvEES6_EE10hipError_tPvRmT2_T3_T4_T5_mT6_T7_P12ihipStream_tbENKUlT_T0_E_clISt17integral_constantIbLb0EES12_IbLb1EEEEDaSY_SZ_EUlSY_E_NS1_11comp_targetILNS1_3genE2ELNS1_11target_archE906ELNS1_3gpuE6ELNS1_3repE0EEENS1_30default_config_static_selectorELNS0_4arch9wavefront6targetE1EEEvT1_: ; @_ZN7rocprim17ROCPRIM_400000_NS6detail17trampoline_kernelINS0_14default_configENS1_27scan_by_key_config_selectorIj11FixedVectorIiLj8EEEEZZNS1_16scan_by_key_implILNS1_25lookback_scan_determinismE0ELb1ES3_N6thrust23THRUST_200600_302600_NS6detail15normal_iteratorINSB_10device_ptrIjEEEENSD_INSE_IS6_EEEESI_S6_NSB_4plusIvEENSB_8equal_toIvEES6_EE10hipError_tPvRmT2_T3_T4_T5_mT6_T7_P12ihipStream_tbENKUlT_T0_E_clISt17integral_constantIbLb0EES12_IbLb1EEEEDaSY_SZ_EUlSY_E_NS1_11comp_targetILNS1_3genE2ELNS1_11target_archE906ELNS1_3gpuE6ELNS1_3repE0EEENS1_30default_config_static_selectorELNS0_4arch9wavefront6targetE1EEEvT1_
; %bb.0:
	.section	.rodata,"a",@progbits
	.p2align	6, 0x0
	.amdhsa_kernel _ZN7rocprim17ROCPRIM_400000_NS6detail17trampoline_kernelINS0_14default_configENS1_27scan_by_key_config_selectorIj11FixedVectorIiLj8EEEEZZNS1_16scan_by_key_implILNS1_25lookback_scan_determinismE0ELb1ES3_N6thrust23THRUST_200600_302600_NS6detail15normal_iteratorINSB_10device_ptrIjEEEENSD_INSE_IS6_EEEESI_S6_NSB_4plusIvEENSB_8equal_toIvEES6_EE10hipError_tPvRmT2_T3_T4_T5_mT6_T7_P12ihipStream_tbENKUlT_T0_E_clISt17integral_constantIbLb0EES12_IbLb1EEEEDaSY_SZ_EUlSY_E_NS1_11comp_targetILNS1_3genE2ELNS1_11target_archE906ELNS1_3gpuE6ELNS1_3repE0EEENS1_30default_config_static_selectorELNS0_4arch9wavefront6targetE1EEEvT1_
		.amdhsa_group_segment_fixed_size 0
		.amdhsa_private_segment_fixed_size 0
		.amdhsa_kernarg_size 160
		.amdhsa_user_sgpr_count 2
		.amdhsa_user_sgpr_dispatch_ptr 0
		.amdhsa_user_sgpr_queue_ptr 0
		.amdhsa_user_sgpr_kernarg_segment_ptr 1
		.amdhsa_user_sgpr_dispatch_id 0
		.amdhsa_user_sgpr_kernarg_preload_length 0
		.amdhsa_user_sgpr_kernarg_preload_offset 0
		.amdhsa_user_sgpr_private_segment_size 0
		.amdhsa_uses_dynamic_stack 0
		.amdhsa_enable_private_segment 0
		.amdhsa_system_sgpr_workgroup_id_x 1
		.amdhsa_system_sgpr_workgroup_id_y 0
		.amdhsa_system_sgpr_workgroup_id_z 0
		.amdhsa_system_sgpr_workgroup_info 0
		.amdhsa_system_vgpr_workitem_id 0
		.amdhsa_next_free_vgpr 1
		.amdhsa_next_free_sgpr 0
		.amdhsa_accum_offset 4
		.amdhsa_reserve_vcc 0
		.amdhsa_float_round_mode_32 0
		.amdhsa_float_round_mode_16_64 0
		.amdhsa_float_denorm_mode_32 3
		.amdhsa_float_denorm_mode_16_64 3
		.amdhsa_dx10_clamp 1
		.amdhsa_ieee_mode 1
		.amdhsa_fp16_overflow 0
		.amdhsa_tg_split 0
		.amdhsa_exception_fp_ieee_invalid_op 0
		.amdhsa_exception_fp_denorm_src 0
		.amdhsa_exception_fp_ieee_div_zero 0
		.amdhsa_exception_fp_ieee_overflow 0
		.amdhsa_exception_fp_ieee_underflow 0
		.amdhsa_exception_fp_ieee_inexact 0
		.amdhsa_exception_int_div_zero 0
	.end_amdhsa_kernel
	.section	.text._ZN7rocprim17ROCPRIM_400000_NS6detail17trampoline_kernelINS0_14default_configENS1_27scan_by_key_config_selectorIj11FixedVectorIiLj8EEEEZZNS1_16scan_by_key_implILNS1_25lookback_scan_determinismE0ELb1ES3_N6thrust23THRUST_200600_302600_NS6detail15normal_iteratorINSB_10device_ptrIjEEEENSD_INSE_IS6_EEEESI_S6_NSB_4plusIvEENSB_8equal_toIvEES6_EE10hipError_tPvRmT2_T3_T4_T5_mT6_T7_P12ihipStream_tbENKUlT_T0_E_clISt17integral_constantIbLb0EES12_IbLb1EEEEDaSY_SZ_EUlSY_E_NS1_11comp_targetILNS1_3genE2ELNS1_11target_archE906ELNS1_3gpuE6ELNS1_3repE0EEENS1_30default_config_static_selectorELNS0_4arch9wavefront6targetE1EEEvT1_,"axG",@progbits,_ZN7rocprim17ROCPRIM_400000_NS6detail17trampoline_kernelINS0_14default_configENS1_27scan_by_key_config_selectorIj11FixedVectorIiLj8EEEEZZNS1_16scan_by_key_implILNS1_25lookback_scan_determinismE0ELb1ES3_N6thrust23THRUST_200600_302600_NS6detail15normal_iteratorINSB_10device_ptrIjEEEENSD_INSE_IS6_EEEESI_S6_NSB_4plusIvEENSB_8equal_toIvEES6_EE10hipError_tPvRmT2_T3_T4_T5_mT6_T7_P12ihipStream_tbENKUlT_T0_E_clISt17integral_constantIbLb0EES12_IbLb1EEEEDaSY_SZ_EUlSY_E_NS1_11comp_targetILNS1_3genE2ELNS1_11target_archE906ELNS1_3gpuE6ELNS1_3repE0EEENS1_30default_config_static_selectorELNS0_4arch9wavefront6targetE1EEEvT1_,comdat
.Lfunc_end2190:
	.size	_ZN7rocprim17ROCPRIM_400000_NS6detail17trampoline_kernelINS0_14default_configENS1_27scan_by_key_config_selectorIj11FixedVectorIiLj8EEEEZZNS1_16scan_by_key_implILNS1_25lookback_scan_determinismE0ELb1ES3_N6thrust23THRUST_200600_302600_NS6detail15normal_iteratorINSB_10device_ptrIjEEEENSD_INSE_IS6_EEEESI_S6_NSB_4plusIvEENSB_8equal_toIvEES6_EE10hipError_tPvRmT2_T3_T4_T5_mT6_T7_P12ihipStream_tbENKUlT_T0_E_clISt17integral_constantIbLb0EES12_IbLb1EEEEDaSY_SZ_EUlSY_E_NS1_11comp_targetILNS1_3genE2ELNS1_11target_archE906ELNS1_3gpuE6ELNS1_3repE0EEENS1_30default_config_static_selectorELNS0_4arch9wavefront6targetE1EEEvT1_, .Lfunc_end2190-_ZN7rocprim17ROCPRIM_400000_NS6detail17trampoline_kernelINS0_14default_configENS1_27scan_by_key_config_selectorIj11FixedVectorIiLj8EEEEZZNS1_16scan_by_key_implILNS1_25lookback_scan_determinismE0ELb1ES3_N6thrust23THRUST_200600_302600_NS6detail15normal_iteratorINSB_10device_ptrIjEEEENSD_INSE_IS6_EEEESI_S6_NSB_4plusIvEENSB_8equal_toIvEES6_EE10hipError_tPvRmT2_T3_T4_T5_mT6_T7_P12ihipStream_tbENKUlT_T0_E_clISt17integral_constantIbLb0EES12_IbLb1EEEEDaSY_SZ_EUlSY_E_NS1_11comp_targetILNS1_3genE2ELNS1_11target_archE906ELNS1_3gpuE6ELNS1_3repE0EEENS1_30default_config_static_selectorELNS0_4arch9wavefront6targetE1EEEvT1_
                                        ; -- End function
	.section	.AMDGPU.csdata,"",@progbits
; Kernel info:
; codeLenInByte = 0
; NumSgprs: 6
; NumVgprs: 0
; NumAgprs: 0
; TotalNumVgprs: 0
; ScratchSize: 0
; MemoryBound: 0
; FloatMode: 240
; IeeeMode: 1
; LDSByteSize: 0 bytes/workgroup (compile time only)
; SGPRBlocks: 0
; VGPRBlocks: 0
; NumSGPRsForWavesPerEU: 6
; NumVGPRsForWavesPerEU: 1
; AccumOffset: 4
; Occupancy: 8
; WaveLimiterHint : 0
; COMPUTE_PGM_RSRC2:SCRATCH_EN: 0
; COMPUTE_PGM_RSRC2:USER_SGPR: 2
; COMPUTE_PGM_RSRC2:TRAP_HANDLER: 0
; COMPUTE_PGM_RSRC2:TGID_X_EN: 1
; COMPUTE_PGM_RSRC2:TGID_Y_EN: 0
; COMPUTE_PGM_RSRC2:TGID_Z_EN: 0
; COMPUTE_PGM_RSRC2:TIDIG_COMP_CNT: 0
; COMPUTE_PGM_RSRC3_GFX90A:ACCUM_OFFSET: 0
; COMPUTE_PGM_RSRC3_GFX90A:TG_SPLIT: 0
	.section	.text._ZN7rocprim17ROCPRIM_400000_NS6detail17trampoline_kernelINS0_14default_configENS1_27scan_by_key_config_selectorIj11FixedVectorIiLj8EEEEZZNS1_16scan_by_key_implILNS1_25lookback_scan_determinismE0ELb1ES3_N6thrust23THRUST_200600_302600_NS6detail15normal_iteratorINSB_10device_ptrIjEEEENSD_INSE_IS6_EEEESI_S6_NSB_4plusIvEENSB_8equal_toIvEES6_EE10hipError_tPvRmT2_T3_T4_T5_mT6_T7_P12ihipStream_tbENKUlT_T0_E_clISt17integral_constantIbLb0EES12_IbLb1EEEEDaSY_SZ_EUlSY_E_NS1_11comp_targetILNS1_3genE10ELNS1_11target_archE1200ELNS1_3gpuE4ELNS1_3repE0EEENS1_30default_config_static_selectorELNS0_4arch9wavefront6targetE1EEEvT1_,"axG",@progbits,_ZN7rocprim17ROCPRIM_400000_NS6detail17trampoline_kernelINS0_14default_configENS1_27scan_by_key_config_selectorIj11FixedVectorIiLj8EEEEZZNS1_16scan_by_key_implILNS1_25lookback_scan_determinismE0ELb1ES3_N6thrust23THRUST_200600_302600_NS6detail15normal_iteratorINSB_10device_ptrIjEEEENSD_INSE_IS6_EEEESI_S6_NSB_4plusIvEENSB_8equal_toIvEES6_EE10hipError_tPvRmT2_T3_T4_T5_mT6_T7_P12ihipStream_tbENKUlT_T0_E_clISt17integral_constantIbLb0EES12_IbLb1EEEEDaSY_SZ_EUlSY_E_NS1_11comp_targetILNS1_3genE10ELNS1_11target_archE1200ELNS1_3gpuE4ELNS1_3repE0EEENS1_30default_config_static_selectorELNS0_4arch9wavefront6targetE1EEEvT1_,comdat
	.protected	_ZN7rocprim17ROCPRIM_400000_NS6detail17trampoline_kernelINS0_14default_configENS1_27scan_by_key_config_selectorIj11FixedVectorIiLj8EEEEZZNS1_16scan_by_key_implILNS1_25lookback_scan_determinismE0ELb1ES3_N6thrust23THRUST_200600_302600_NS6detail15normal_iteratorINSB_10device_ptrIjEEEENSD_INSE_IS6_EEEESI_S6_NSB_4plusIvEENSB_8equal_toIvEES6_EE10hipError_tPvRmT2_T3_T4_T5_mT6_T7_P12ihipStream_tbENKUlT_T0_E_clISt17integral_constantIbLb0EES12_IbLb1EEEEDaSY_SZ_EUlSY_E_NS1_11comp_targetILNS1_3genE10ELNS1_11target_archE1200ELNS1_3gpuE4ELNS1_3repE0EEENS1_30default_config_static_selectorELNS0_4arch9wavefront6targetE1EEEvT1_ ; -- Begin function _ZN7rocprim17ROCPRIM_400000_NS6detail17trampoline_kernelINS0_14default_configENS1_27scan_by_key_config_selectorIj11FixedVectorIiLj8EEEEZZNS1_16scan_by_key_implILNS1_25lookback_scan_determinismE0ELb1ES3_N6thrust23THRUST_200600_302600_NS6detail15normal_iteratorINSB_10device_ptrIjEEEENSD_INSE_IS6_EEEESI_S6_NSB_4plusIvEENSB_8equal_toIvEES6_EE10hipError_tPvRmT2_T3_T4_T5_mT6_T7_P12ihipStream_tbENKUlT_T0_E_clISt17integral_constantIbLb0EES12_IbLb1EEEEDaSY_SZ_EUlSY_E_NS1_11comp_targetILNS1_3genE10ELNS1_11target_archE1200ELNS1_3gpuE4ELNS1_3repE0EEENS1_30default_config_static_selectorELNS0_4arch9wavefront6targetE1EEEvT1_
	.globl	_ZN7rocprim17ROCPRIM_400000_NS6detail17trampoline_kernelINS0_14default_configENS1_27scan_by_key_config_selectorIj11FixedVectorIiLj8EEEEZZNS1_16scan_by_key_implILNS1_25lookback_scan_determinismE0ELb1ES3_N6thrust23THRUST_200600_302600_NS6detail15normal_iteratorINSB_10device_ptrIjEEEENSD_INSE_IS6_EEEESI_S6_NSB_4plusIvEENSB_8equal_toIvEES6_EE10hipError_tPvRmT2_T3_T4_T5_mT6_T7_P12ihipStream_tbENKUlT_T0_E_clISt17integral_constantIbLb0EES12_IbLb1EEEEDaSY_SZ_EUlSY_E_NS1_11comp_targetILNS1_3genE10ELNS1_11target_archE1200ELNS1_3gpuE4ELNS1_3repE0EEENS1_30default_config_static_selectorELNS0_4arch9wavefront6targetE1EEEvT1_
	.p2align	8
	.type	_ZN7rocprim17ROCPRIM_400000_NS6detail17trampoline_kernelINS0_14default_configENS1_27scan_by_key_config_selectorIj11FixedVectorIiLj8EEEEZZNS1_16scan_by_key_implILNS1_25lookback_scan_determinismE0ELb1ES3_N6thrust23THRUST_200600_302600_NS6detail15normal_iteratorINSB_10device_ptrIjEEEENSD_INSE_IS6_EEEESI_S6_NSB_4plusIvEENSB_8equal_toIvEES6_EE10hipError_tPvRmT2_T3_T4_T5_mT6_T7_P12ihipStream_tbENKUlT_T0_E_clISt17integral_constantIbLb0EES12_IbLb1EEEEDaSY_SZ_EUlSY_E_NS1_11comp_targetILNS1_3genE10ELNS1_11target_archE1200ELNS1_3gpuE4ELNS1_3repE0EEENS1_30default_config_static_selectorELNS0_4arch9wavefront6targetE1EEEvT1_,@function
_ZN7rocprim17ROCPRIM_400000_NS6detail17trampoline_kernelINS0_14default_configENS1_27scan_by_key_config_selectorIj11FixedVectorIiLj8EEEEZZNS1_16scan_by_key_implILNS1_25lookback_scan_determinismE0ELb1ES3_N6thrust23THRUST_200600_302600_NS6detail15normal_iteratorINSB_10device_ptrIjEEEENSD_INSE_IS6_EEEESI_S6_NSB_4plusIvEENSB_8equal_toIvEES6_EE10hipError_tPvRmT2_T3_T4_T5_mT6_T7_P12ihipStream_tbENKUlT_T0_E_clISt17integral_constantIbLb0EES12_IbLb1EEEEDaSY_SZ_EUlSY_E_NS1_11comp_targetILNS1_3genE10ELNS1_11target_archE1200ELNS1_3gpuE4ELNS1_3repE0EEENS1_30default_config_static_selectorELNS0_4arch9wavefront6targetE1EEEvT1_: ; @_ZN7rocprim17ROCPRIM_400000_NS6detail17trampoline_kernelINS0_14default_configENS1_27scan_by_key_config_selectorIj11FixedVectorIiLj8EEEEZZNS1_16scan_by_key_implILNS1_25lookback_scan_determinismE0ELb1ES3_N6thrust23THRUST_200600_302600_NS6detail15normal_iteratorINSB_10device_ptrIjEEEENSD_INSE_IS6_EEEESI_S6_NSB_4plusIvEENSB_8equal_toIvEES6_EE10hipError_tPvRmT2_T3_T4_T5_mT6_T7_P12ihipStream_tbENKUlT_T0_E_clISt17integral_constantIbLb0EES12_IbLb1EEEEDaSY_SZ_EUlSY_E_NS1_11comp_targetILNS1_3genE10ELNS1_11target_archE1200ELNS1_3gpuE4ELNS1_3repE0EEENS1_30default_config_static_selectorELNS0_4arch9wavefront6targetE1EEEvT1_
; %bb.0:
	.section	.rodata,"a",@progbits
	.p2align	6, 0x0
	.amdhsa_kernel _ZN7rocprim17ROCPRIM_400000_NS6detail17trampoline_kernelINS0_14default_configENS1_27scan_by_key_config_selectorIj11FixedVectorIiLj8EEEEZZNS1_16scan_by_key_implILNS1_25lookback_scan_determinismE0ELb1ES3_N6thrust23THRUST_200600_302600_NS6detail15normal_iteratorINSB_10device_ptrIjEEEENSD_INSE_IS6_EEEESI_S6_NSB_4plusIvEENSB_8equal_toIvEES6_EE10hipError_tPvRmT2_T3_T4_T5_mT6_T7_P12ihipStream_tbENKUlT_T0_E_clISt17integral_constantIbLb0EES12_IbLb1EEEEDaSY_SZ_EUlSY_E_NS1_11comp_targetILNS1_3genE10ELNS1_11target_archE1200ELNS1_3gpuE4ELNS1_3repE0EEENS1_30default_config_static_selectorELNS0_4arch9wavefront6targetE1EEEvT1_
		.amdhsa_group_segment_fixed_size 0
		.amdhsa_private_segment_fixed_size 0
		.amdhsa_kernarg_size 160
		.amdhsa_user_sgpr_count 2
		.amdhsa_user_sgpr_dispatch_ptr 0
		.amdhsa_user_sgpr_queue_ptr 0
		.amdhsa_user_sgpr_kernarg_segment_ptr 1
		.amdhsa_user_sgpr_dispatch_id 0
		.amdhsa_user_sgpr_kernarg_preload_length 0
		.amdhsa_user_sgpr_kernarg_preload_offset 0
		.amdhsa_user_sgpr_private_segment_size 0
		.amdhsa_uses_dynamic_stack 0
		.amdhsa_enable_private_segment 0
		.amdhsa_system_sgpr_workgroup_id_x 1
		.amdhsa_system_sgpr_workgroup_id_y 0
		.amdhsa_system_sgpr_workgroup_id_z 0
		.amdhsa_system_sgpr_workgroup_info 0
		.amdhsa_system_vgpr_workitem_id 0
		.amdhsa_next_free_vgpr 1
		.amdhsa_next_free_sgpr 0
		.amdhsa_accum_offset 4
		.amdhsa_reserve_vcc 0
		.amdhsa_float_round_mode_32 0
		.amdhsa_float_round_mode_16_64 0
		.amdhsa_float_denorm_mode_32 3
		.amdhsa_float_denorm_mode_16_64 3
		.amdhsa_dx10_clamp 1
		.amdhsa_ieee_mode 1
		.amdhsa_fp16_overflow 0
		.amdhsa_tg_split 0
		.amdhsa_exception_fp_ieee_invalid_op 0
		.amdhsa_exception_fp_denorm_src 0
		.amdhsa_exception_fp_ieee_div_zero 0
		.amdhsa_exception_fp_ieee_overflow 0
		.amdhsa_exception_fp_ieee_underflow 0
		.amdhsa_exception_fp_ieee_inexact 0
		.amdhsa_exception_int_div_zero 0
	.end_amdhsa_kernel
	.section	.text._ZN7rocprim17ROCPRIM_400000_NS6detail17trampoline_kernelINS0_14default_configENS1_27scan_by_key_config_selectorIj11FixedVectorIiLj8EEEEZZNS1_16scan_by_key_implILNS1_25lookback_scan_determinismE0ELb1ES3_N6thrust23THRUST_200600_302600_NS6detail15normal_iteratorINSB_10device_ptrIjEEEENSD_INSE_IS6_EEEESI_S6_NSB_4plusIvEENSB_8equal_toIvEES6_EE10hipError_tPvRmT2_T3_T4_T5_mT6_T7_P12ihipStream_tbENKUlT_T0_E_clISt17integral_constantIbLb0EES12_IbLb1EEEEDaSY_SZ_EUlSY_E_NS1_11comp_targetILNS1_3genE10ELNS1_11target_archE1200ELNS1_3gpuE4ELNS1_3repE0EEENS1_30default_config_static_selectorELNS0_4arch9wavefront6targetE1EEEvT1_,"axG",@progbits,_ZN7rocprim17ROCPRIM_400000_NS6detail17trampoline_kernelINS0_14default_configENS1_27scan_by_key_config_selectorIj11FixedVectorIiLj8EEEEZZNS1_16scan_by_key_implILNS1_25lookback_scan_determinismE0ELb1ES3_N6thrust23THRUST_200600_302600_NS6detail15normal_iteratorINSB_10device_ptrIjEEEENSD_INSE_IS6_EEEESI_S6_NSB_4plusIvEENSB_8equal_toIvEES6_EE10hipError_tPvRmT2_T3_T4_T5_mT6_T7_P12ihipStream_tbENKUlT_T0_E_clISt17integral_constantIbLb0EES12_IbLb1EEEEDaSY_SZ_EUlSY_E_NS1_11comp_targetILNS1_3genE10ELNS1_11target_archE1200ELNS1_3gpuE4ELNS1_3repE0EEENS1_30default_config_static_selectorELNS0_4arch9wavefront6targetE1EEEvT1_,comdat
.Lfunc_end2191:
	.size	_ZN7rocprim17ROCPRIM_400000_NS6detail17trampoline_kernelINS0_14default_configENS1_27scan_by_key_config_selectorIj11FixedVectorIiLj8EEEEZZNS1_16scan_by_key_implILNS1_25lookback_scan_determinismE0ELb1ES3_N6thrust23THRUST_200600_302600_NS6detail15normal_iteratorINSB_10device_ptrIjEEEENSD_INSE_IS6_EEEESI_S6_NSB_4plusIvEENSB_8equal_toIvEES6_EE10hipError_tPvRmT2_T3_T4_T5_mT6_T7_P12ihipStream_tbENKUlT_T0_E_clISt17integral_constantIbLb0EES12_IbLb1EEEEDaSY_SZ_EUlSY_E_NS1_11comp_targetILNS1_3genE10ELNS1_11target_archE1200ELNS1_3gpuE4ELNS1_3repE0EEENS1_30default_config_static_selectorELNS0_4arch9wavefront6targetE1EEEvT1_, .Lfunc_end2191-_ZN7rocprim17ROCPRIM_400000_NS6detail17trampoline_kernelINS0_14default_configENS1_27scan_by_key_config_selectorIj11FixedVectorIiLj8EEEEZZNS1_16scan_by_key_implILNS1_25lookback_scan_determinismE0ELb1ES3_N6thrust23THRUST_200600_302600_NS6detail15normal_iteratorINSB_10device_ptrIjEEEENSD_INSE_IS6_EEEESI_S6_NSB_4plusIvEENSB_8equal_toIvEES6_EE10hipError_tPvRmT2_T3_T4_T5_mT6_T7_P12ihipStream_tbENKUlT_T0_E_clISt17integral_constantIbLb0EES12_IbLb1EEEEDaSY_SZ_EUlSY_E_NS1_11comp_targetILNS1_3genE10ELNS1_11target_archE1200ELNS1_3gpuE4ELNS1_3repE0EEENS1_30default_config_static_selectorELNS0_4arch9wavefront6targetE1EEEvT1_
                                        ; -- End function
	.section	.AMDGPU.csdata,"",@progbits
; Kernel info:
; codeLenInByte = 0
; NumSgprs: 6
; NumVgprs: 0
; NumAgprs: 0
; TotalNumVgprs: 0
; ScratchSize: 0
; MemoryBound: 0
; FloatMode: 240
; IeeeMode: 1
; LDSByteSize: 0 bytes/workgroup (compile time only)
; SGPRBlocks: 0
; VGPRBlocks: 0
; NumSGPRsForWavesPerEU: 6
; NumVGPRsForWavesPerEU: 1
; AccumOffset: 4
; Occupancy: 8
; WaveLimiterHint : 0
; COMPUTE_PGM_RSRC2:SCRATCH_EN: 0
; COMPUTE_PGM_RSRC2:USER_SGPR: 2
; COMPUTE_PGM_RSRC2:TRAP_HANDLER: 0
; COMPUTE_PGM_RSRC2:TGID_X_EN: 1
; COMPUTE_PGM_RSRC2:TGID_Y_EN: 0
; COMPUTE_PGM_RSRC2:TGID_Z_EN: 0
; COMPUTE_PGM_RSRC2:TIDIG_COMP_CNT: 0
; COMPUTE_PGM_RSRC3_GFX90A:ACCUM_OFFSET: 0
; COMPUTE_PGM_RSRC3_GFX90A:TG_SPLIT: 0
	.section	.text._ZN7rocprim17ROCPRIM_400000_NS6detail17trampoline_kernelINS0_14default_configENS1_27scan_by_key_config_selectorIj11FixedVectorIiLj8EEEEZZNS1_16scan_by_key_implILNS1_25lookback_scan_determinismE0ELb1ES3_N6thrust23THRUST_200600_302600_NS6detail15normal_iteratorINSB_10device_ptrIjEEEENSD_INSE_IS6_EEEESI_S6_NSB_4plusIvEENSB_8equal_toIvEES6_EE10hipError_tPvRmT2_T3_T4_T5_mT6_T7_P12ihipStream_tbENKUlT_T0_E_clISt17integral_constantIbLb0EES12_IbLb1EEEEDaSY_SZ_EUlSY_E_NS1_11comp_targetILNS1_3genE9ELNS1_11target_archE1100ELNS1_3gpuE3ELNS1_3repE0EEENS1_30default_config_static_selectorELNS0_4arch9wavefront6targetE1EEEvT1_,"axG",@progbits,_ZN7rocprim17ROCPRIM_400000_NS6detail17trampoline_kernelINS0_14default_configENS1_27scan_by_key_config_selectorIj11FixedVectorIiLj8EEEEZZNS1_16scan_by_key_implILNS1_25lookback_scan_determinismE0ELb1ES3_N6thrust23THRUST_200600_302600_NS6detail15normal_iteratorINSB_10device_ptrIjEEEENSD_INSE_IS6_EEEESI_S6_NSB_4plusIvEENSB_8equal_toIvEES6_EE10hipError_tPvRmT2_T3_T4_T5_mT6_T7_P12ihipStream_tbENKUlT_T0_E_clISt17integral_constantIbLb0EES12_IbLb1EEEEDaSY_SZ_EUlSY_E_NS1_11comp_targetILNS1_3genE9ELNS1_11target_archE1100ELNS1_3gpuE3ELNS1_3repE0EEENS1_30default_config_static_selectorELNS0_4arch9wavefront6targetE1EEEvT1_,comdat
	.protected	_ZN7rocprim17ROCPRIM_400000_NS6detail17trampoline_kernelINS0_14default_configENS1_27scan_by_key_config_selectorIj11FixedVectorIiLj8EEEEZZNS1_16scan_by_key_implILNS1_25lookback_scan_determinismE0ELb1ES3_N6thrust23THRUST_200600_302600_NS6detail15normal_iteratorINSB_10device_ptrIjEEEENSD_INSE_IS6_EEEESI_S6_NSB_4plusIvEENSB_8equal_toIvEES6_EE10hipError_tPvRmT2_T3_T4_T5_mT6_T7_P12ihipStream_tbENKUlT_T0_E_clISt17integral_constantIbLb0EES12_IbLb1EEEEDaSY_SZ_EUlSY_E_NS1_11comp_targetILNS1_3genE9ELNS1_11target_archE1100ELNS1_3gpuE3ELNS1_3repE0EEENS1_30default_config_static_selectorELNS0_4arch9wavefront6targetE1EEEvT1_ ; -- Begin function _ZN7rocprim17ROCPRIM_400000_NS6detail17trampoline_kernelINS0_14default_configENS1_27scan_by_key_config_selectorIj11FixedVectorIiLj8EEEEZZNS1_16scan_by_key_implILNS1_25lookback_scan_determinismE0ELb1ES3_N6thrust23THRUST_200600_302600_NS6detail15normal_iteratorINSB_10device_ptrIjEEEENSD_INSE_IS6_EEEESI_S6_NSB_4plusIvEENSB_8equal_toIvEES6_EE10hipError_tPvRmT2_T3_T4_T5_mT6_T7_P12ihipStream_tbENKUlT_T0_E_clISt17integral_constantIbLb0EES12_IbLb1EEEEDaSY_SZ_EUlSY_E_NS1_11comp_targetILNS1_3genE9ELNS1_11target_archE1100ELNS1_3gpuE3ELNS1_3repE0EEENS1_30default_config_static_selectorELNS0_4arch9wavefront6targetE1EEEvT1_
	.globl	_ZN7rocprim17ROCPRIM_400000_NS6detail17trampoline_kernelINS0_14default_configENS1_27scan_by_key_config_selectorIj11FixedVectorIiLj8EEEEZZNS1_16scan_by_key_implILNS1_25lookback_scan_determinismE0ELb1ES3_N6thrust23THRUST_200600_302600_NS6detail15normal_iteratorINSB_10device_ptrIjEEEENSD_INSE_IS6_EEEESI_S6_NSB_4plusIvEENSB_8equal_toIvEES6_EE10hipError_tPvRmT2_T3_T4_T5_mT6_T7_P12ihipStream_tbENKUlT_T0_E_clISt17integral_constantIbLb0EES12_IbLb1EEEEDaSY_SZ_EUlSY_E_NS1_11comp_targetILNS1_3genE9ELNS1_11target_archE1100ELNS1_3gpuE3ELNS1_3repE0EEENS1_30default_config_static_selectorELNS0_4arch9wavefront6targetE1EEEvT1_
	.p2align	8
	.type	_ZN7rocprim17ROCPRIM_400000_NS6detail17trampoline_kernelINS0_14default_configENS1_27scan_by_key_config_selectorIj11FixedVectorIiLj8EEEEZZNS1_16scan_by_key_implILNS1_25lookback_scan_determinismE0ELb1ES3_N6thrust23THRUST_200600_302600_NS6detail15normal_iteratorINSB_10device_ptrIjEEEENSD_INSE_IS6_EEEESI_S6_NSB_4plusIvEENSB_8equal_toIvEES6_EE10hipError_tPvRmT2_T3_T4_T5_mT6_T7_P12ihipStream_tbENKUlT_T0_E_clISt17integral_constantIbLb0EES12_IbLb1EEEEDaSY_SZ_EUlSY_E_NS1_11comp_targetILNS1_3genE9ELNS1_11target_archE1100ELNS1_3gpuE3ELNS1_3repE0EEENS1_30default_config_static_selectorELNS0_4arch9wavefront6targetE1EEEvT1_,@function
_ZN7rocprim17ROCPRIM_400000_NS6detail17trampoline_kernelINS0_14default_configENS1_27scan_by_key_config_selectorIj11FixedVectorIiLj8EEEEZZNS1_16scan_by_key_implILNS1_25lookback_scan_determinismE0ELb1ES3_N6thrust23THRUST_200600_302600_NS6detail15normal_iteratorINSB_10device_ptrIjEEEENSD_INSE_IS6_EEEESI_S6_NSB_4plusIvEENSB_8equal_toIvEES6_EE10hipError_tPvRmT2_T3_T4_T5_mT6_T7_P12ihipStream_tbENKUlT_T0_E_clISt17integral_constantIbLb0EES12_IbLb1EEEEDaSY_SZ_EUlSY_E_NS1_11comp_targetILNS1_3genE9ELNS1_11target_archE1100ELNS1_3gpuE3ELNS1_3repE0EEENS1_30default_config_static_selectorELNS0_4arch9wavefront6targetE1EEEvT1_: ; @_ZN7rocprim17ROCPRIM_400000_NS6detail17trampoline_kernelINS0_14default_configENS1_27scan_by_key_config_selectorIj11FixedVectorIiLj8EEEEZZNS1_16scan_by_key_implILNS1_25lookback_scan_determinismE0ELb1ES3_N6thrust23THRUST_200600_302600_NS6detail15normal_iteratorINSB_10device_ptrIjEEEENSD_INSE_IS6_EEEESI_S6_NSB_4plusIvEENSB_8equal_toIvEES6_EE10hipError_tPvRmT2_T3_T4_T5_mT6_T7_P12ihipStream_tbENKUlT_T0_E_clISt17integral_constantIbLb0EES12_IbLb1EEEEDaSY_SZ_EUlSY_E_NS1_11comp_targetILNS1_3genE9ELNS1_11target_archE1100ELNS1_3gpuE3ELNS1_3repE0EEENS1_30default_config_static_selectorELNS0_4arch9wavefront6targetE1EEEvT1_
; %bb.0:
	.section	.rodata,"a",@progbits
	.p2align	6, 0x0
	.amdhsa_kernel _ZN7rocprim17ROCPRIM_400000_NS6detail17trampoline_kernelINS0_14default_configENS1_27scan_by_key_config_selectorIj11FixedVectorIiLj8EEEEZZNS1_16scan_by_key_implILNS1_25lookback_scan_determinismE0ELb1ES3_N6thrust23THRUST_200600_302600_NS6detail15normal_iteratorINSB_10device_ptrIjEEEENSD_INSE_IS6_EEEESI_S6_NSB_4plusIvEENSB_8equal_toIvEES6_EE10hipError_tPvRmT2_T3_T4_T5_mT6_T7_P12ihipStream_tbENKUlT_T0_E_clISt17integral_constantIbLb0EES12_IbLb1EEEEDaSY_SZ_EUlSY_E_NS1_11comp_targetILNS1_3genE9ELNS1_11target_archE1100ELNS1_3gpuE3ELNS1_3repE0EEENS1_30default_config_static_selectorELNS0_4arch9wavefront6targetE1EEEvT1_
		.amdhsa_group_segment_fixed_size 0
		.amdhsa_private_segment_fixed_size 0
		.amdhsa_kernarg_size 160
		.amdhsa_user_sgpr_count 2
		.amdhsa_user_sgpr_dispatch_ptr 0
		.amdhsa_user_sgpr_queue_ptr 0
		.amdhsa_user_sgpr_kernarg_segment_ptr 1
		.amdhsa_user_sgpr_dispatch_id 0
		.amdhsa_user_sgpr_kernarg_preload_length 0
		.amdhsa_user_sgpr_kernarg_preload_offset 0
		.amdhsa_user_sgpr_private_segment_size 0
		.amdhsa_uses_dynamic_stack 0
		.amdhsa_enable_private_segment 0
		.amdhsa_system_sgpr_workgroup_id_x 1
		.amdhsa_system_sgpr_workgroup_id_y 0
		.amdhsa_system_sgpr_workgroup_id_z 0
		.amdhsa_system_sgpr_workgroup_info 0
		.amdhsa_system_vgpr_workitem_id 0
		.amdhsa_next_free_vgpr 1
		.amdhsa_next_free_sgpr 0
		.amdhsa_accum_offset 4
		.amdhsa_reserve_vcc 0
		.amdhsa_float_round_mode_32 0
		.amdhsa_float_round_mode_16_64 0
		.amdhsa_float_denorm_mode_32 3
		.amdhsa_float_denorm_mode_16_64 3
		.amdhsa_dx10_clamp 1
		.amdhsa_ieee_mode 1
		.amdhsa_fp16_overflow 0
		.amdhsa_tg_split 0
		.amdhsa_exception_fp_ieee_invalid_op 0
		.amdhsa_exception_fp_denorm_src 0
		.amdhsa_exception_fp_ieee_div_zero 0
		.amdhsa_exception_fp_ieee_overflow 0
		.amdhsa_exception_fp_ieee_underflow 0
		.amdhsa_exception_fp_ieee_inexact 0
		.amdhsa_exception_int_div_zero 0
	.end_amdhsa_kernel
	.section	.text._ZN7rocprim17ROCPRIM_400000_NS6detail17trampoline_kernelINS0_14default_configENS1_27scan_by_key_config_selectorIj11FixedVectorIiLj8EEEEZZNS1_16scan_by_key_implILNS1_25lookback_scan_determinismE0ELb1ES3_N6thrust23THRUST_200600_302600_NS6detail15normal_iteratorINSB_10device_ptrIjEEEENSD_INSE_IS6_EEEESI_S6_NSB_4plusIvEENSB_8equal_toIvEES6_EE10hipError_tPvRmT2_T3_T4_T5_mT6_T7_P12ihipStream_tbENKUlT_T0_E_clISt17integral_constantIbLb0EES12_IbLb1EEEEDaSY_SZ_EUlSY_E_NS1_11comp_targetILNS1_3genE9ELNS1_11target_archE1100ELNS1_3gpuE3ELNS1_3repE0EEENS1_30default_config_static_selectorELNS0_4arch9wavefront6targetE1EEEvT1_,"axG",@progbits,_ZN7rocprim17ROCPRIM_400000_NS6detail17trampoline_kernelINS0_14default_configENS1_27scan_by_key_config_selectorIj11FixedVectorIiLj8EEEEZZNS1_16scan_by_key_implILNS1_25lookback_scan_determinismE0ELb1ES3_N6thrust23THRUST_200600_302600_NS6detail15normal_iteratorINSB_10device_ptrIjEEEENSD_INSE_IS6_EEEESI_S6_NSB_4plusIvEENSB_8equal_toIvEES6_EE10hipError_tPvRmT2_T3_T4_T5_mT6_T7_P12ihipStream_tbENKUlT_T0_E_clISt17integral_constantIbLb0EES12_IbLb1EEEEDaSY_SZ_EUlSY_E_NS1_11comp_targetILNS1_3genE9ELNS1_11target_archE1100ELNS1_3gpuE3ELNS1_3repE0EEENS1_30default_config_static_selectorELNS0_4arch9wavefront6targetE1EEEvT1_,comdat
.Lfunc_end2192:
	.size	_ZN7rocprim17ROCPRIM_400000_NS6detail17trampoline_kernelINS0_14default_configENS1_27scan_by_key_config_selectorIj11FixedVectorIiLj8EEEEZZNS1_16scan_by_key_implILNS1_25lookback_scan_determinismE0ELb1ES3_N6thrust23THRUST_200600_302600_NS6detail15normal_iteratorINSB_10device_ptrIjEEEENSD_INSE_IS6_EEEESI_S6_NSB_4plusIvEENSB_8equal_toIvEES6_EE10hipError_tPvRmT2_T3_T4_T5_mT6_T7_P12ihipStream_tbENKUlT_T0_E_clISt17integral_constantIbLb0EES12_IbLb1EEEEDaSY_SZ_EUlSY_E_NS1_11comp_targetILNS1_3genE9ELNS1_11target_archE1100ELNS1_3gpuE3ELNS1_3repE0EEENS1_30default_config_static_selectorELNS0_4arch9wavefront6targetE1EEEvT1_, .Lfunc_end2192-_ZN7rocprim17ROCPRIM_400000_NS6detail17trampoline_kernelINS0_14default_configENS1_27scan_by_key_config_selectorIj11FixedVectorIiLj8EEEEZZNS1_16scan_by_key_implILNS1_25lookback_scan_determinismE0ELb1ES3_N6thrust23THRUST_200600_302600_NS6detail15normal_iteratorINSB_10device_ptrIjEEEENSD_INSE_IS6_EEEESI_S6_NSB_4plusIvEENSB_8equal_toIvEES6_EE10hipError_tPvRmT2_T3_T4_T5_mT6_T7_P12ihipStream_tbENKUlT_T0_E_clISt17integral_constantIbLb0EES12_IbLb1EEEEDaSY_SZ_EUlSY_E_NS1_11comp_targetILNS1_3genE9ELNS1_11target_archE1100ELNS1_3gpuE3ELNS1_3repE0EEENS1_30default_config_static_selectorELNS0_4arch9wavefront6targetE1EEEvT1_
                                        ; -- End function
	.section	.AMDGPU.csdata,"",@progbits
; Kernel info:
; codeLenInByte = 0
; NumSgprs: 6
; NumVgprs: 0
; NumAgprs: 0
; TotalNumVgprs: 0
; ScratchSize: 0
; MemoryBound: 0
; FloatMode: 240
; IeeeMode: 1
; LDSByteSize: 0 bytes/workgroup (compile time only)
; SGPRBlocks: 0
; VGPRBlocks: 0
; NumSGPRsForWavesPerEU: 6
; NumVGPRsForWavesPerEU: 1
; AccumOffset: 4
; Occupancy: 8
; WaveLimiterHint : 0
; COMPUTE_PGM_RSRC2:SCRATCH_EN: 0
; COMPUTE_PGM_RSRC2:USER_SGPR: 2
; COMPUTE_PGM_RSRC2:TRAP_HANDLER: 0
; COMPUTE_PGM_RSRC2:TGID_X_EN: 1
; COMPUTE_PGM_RSRC2:TGID_Y_EN: 0
; COMPUTE_PGM_RSRC2:TGID_Z_EN: 0
; COMPUTE_PGM_RSRC2:TIDIG_COMP_CNT: 0
; COMPUTE_PGM_RSRC3_GFX90A:ACCUM_OFFSET: 0
; COMPUTE_PGM_RSRC3_GFX90A:TG_SPLIT: 0
	.section	.text._ZN7rocprim17ROCPRIM_400000_NS6detail17trampoline_kernelINS0_14default_configENS1_27scan_by_key_config_selectorIj11FixedVectorIiLj8EEEEZZNS1_16scan_by_key_implILNS1_25lookback_scan_determinismE0ELb1ES3_N6thrust23THRUST_200600_302600_NS6detail15normal_iteratorINSB_10device_ptrIjEEEENSD_INSE_IS6_EEEESI_S6_NSB_4plusIvEENSB_8equal_toIvEES6_EE10hipError_tPvRmT2_T3_T4_T5_mT6_T7_P12ihipStream_tbENKUlT_T0_E_clISt17integral_constantIbLb0EES12_IbLb1EEEEDaSY_SZ_EUlSY_E_NS1_11comp_targetILNS1_3genE8ELNS1_11target_archE1030ELNS1_3gpuE2ELNS1_3repE0EEENS1_30default_config_static_selectorELNS0_4arch9wavefront6targetE1EEEvT1_,"axG",@progbits,_ZN7rocprim17ROCPRIM_400000_NS6detail17trampoline_kernelINS0_14default_configENS1_27scan_by_key_config_selectorIj11FixedVectorIiLj8EEEEZZNS1_16scan_by_key_implILNS1_25lookback_scan_determinismE0ELb1ES3_N6thrust23THRUST_200600_302600_NS6detail15normal_iteratorINSB_10device_ptrIjEEEENSD_INSE_IS6_EEEESI_S6_NSB_4plusIvEENSB_8equal_toIvEES6_EE10hipError_tPvRmT2_T3_T4_T5_mT6_T7_P12ihipStream_tbENKUlT_T0_E_clISt17integral_constantIbLb0EES12_IbLb1EEEEDaSY_SZ_EUlSY_E_NS1_11comp_targetILNS1_3genE8ELNS1_11target_archE1030ELNS1_3gpuE2ELNS1_3repE0EEENS1_30default_config_static_selectorELNS0_4arch9wavefront6targetE1EEEvT1_,comdat
	.protected	_ZN7rocprim17ROCPRIM_400000_NS6detail17trampoline_kernelINS0_14default_configENS1_27scan_by_key_config_selectorIj11FixedVectorIiLj8EEEEZZNS1_16scan_by_key_implILNS1_25lookback_scan_determinismE0ELb1ES3_N6thrust23THRUST_200600_302600_NS6detail15normal_iteratorINSB_10device_ptrIjEEEENSD_INSE_IS6_EEEESI_S6_NSB_4plusIvEENSB_8equal_toIvEES6_EE10hipError_tPvRmT2_T3_T4_T5_mT6_T7_P12ihipStream_tbENKUlT_T0_E_clISt17integral_constantIbLb0EES12_IbLb1EEEEDaSY_SZ_EUlSY_E_NS1_11comp_targetILNS1_3genE8ELNS1_11target_archE1030ELNS1_3gpuE2ELNS1_3repE0EEENS1_30default_config_static_selectorELNS0_4arch9wavefront6targetE1EEEvT1_ ; -- Begin function _ZN7rocprim17ROCPRIM_400000_NS6detail17trampoline_kernelINS0_14default_configENS1_27scan_by_key_config_selectorIj11FixedVectorIiLj8EEEEZZNS1_16scan_by_key_implILNS1_25lookback_scan_determinismE0ELb1ES3_N6thrust23THRUST_200600_302600_NS6detail15normal_iteratorINSB_10device_ptrIjEEEENSD_INSE_IS6_EEEESI_S6_NSB_4plusIvEENSB_8equal_toIvEES6_EE10hipError_tPvRmT2_T3_T4_T5_mT6_T7_P12ihipStream_tbENKUlT_T0_E_clISt17integral_constantIbLb0EES12_IbLb1EEEEDaSY_SZ_EUlSY_E_NS1_11comp_targetILNS1_3genE8ELNS1_11target_archE1030ELNS1_3gpuE2ELNS1_3repE0EEENS1_30default_config_static_selectorELNS0_4arch9wavefront6targetE1EEEvT1_
	.globl	_ZN7rocprim17ROCPRIM_400000_NS6detail17trampoline_kernelINS0_14default_configENS1_27scan_by_key_config_selectorIj11FixedVectorIiLj8EEEEZZNS1_16scan_by_key_implILNS1_25lookback_scan_determinismE0ELb1ES3_N6thrust23THRUST_200600_302600_NS6detail15normal_iteratorINSB_10device_ptrIjEEEENSD_INSE_IS6_EEEESI_S6_NSB_4plusIvEENSB_8equal_toIvEES6_EE10hipError_tPvRmT2_T3_T4_T5_mT6_T7_P12ihipStream_tbENKUlT_T0_E_clISt17integral_constantIbLb0EES12_IbLb1EEEEDaSY_SZ_EUlSY_E_NS1_11comp_targetILNS1_3genE8ELNS1_11target_archE1030ELNS1_3gpuE2ELNS1_3repE0EEENS1_30default_config_static_selectorELNS0_4arch9wavefront6targetE1EEEvT1_
	.p2align	8
	.type	_ZN7rocprim17ROCPRIM_400000_NS6detail17trampoline_kernelINS0_14default_configENS1_27scan_by_key_config_selectorIj11FixedVectorIiLj8EEEEZZNS1_16scan_by_key_implILNS1_25lookback_scan_determinismE0ELb1ES3_N6thrust23THRUST_200600_302600_NS6detail15normal_iteratorINSB_10device_ptrIjEEEENSD_INSE_IS6_EEEESI_S6_NSB_4plusIvEENSB_8equal_toIvEES6_EE10hipError_tPvRmT2_T3_T4_T5_mT6_T7_P12ihipStream_tbENKUlT_T0_E_clISt17integral_constantIbLb0EES12_IbLb1EEEEDaSY_SZ_EUlSY_E_NS1_11comp_targetILNS1_3genE8ELNS1_11target_archE1030ELNS1_3gpuE2ELNS1_3repE0EEENS1_30default_config_static_selectorELNS0_4arch9wavefront6targetE1EEEvT1_,@function
_ZN7rocprim17ROCPRIM_400000_NS6detail17trampoline_kernelINS0_14default_configENS1_27scan_by_key_config_selectorIj11FixedVectorIiLj8EEEEZZNS1_16scan_by_key_implILNS1_25lookback_scan_determinismE0ELb1ES3_N6thrust23THRUST_200600_302600_NS6detail15normal_iteratorINSB_10device_ptrIjEEEENSD_INSE_IS6_EEEESI_S6_NSB_4plusIvEENSB_8equal_toIvEES6_EE10hipError_tPvRmT2_T3_T4_T5_mT6_T7_P12ihipStream_tbENKUlT_T0_E_clISt17integral_constantIbLb0EES12_IbLb1EEEEDaSY_SZ_EUlSY_E_NS1_11comp_targetILNS1_3genE8ELNS1_11target_archE1030ELNS1_3gpuE2ELNS1_3repE0EEENS1_30default_config_static_selectorELNS0_4arch9wavefront6targetE1EEEvT1_: ; @_ZN7rocprim17ROCPRIM_400000_NS6detail17trampoline_kernelINS0_14default_configENS1_27scan_by_key_config_selectorIj11FixedVectorIiLj8EEEEZZNS1_16scan_by_key_implILNS1_25lookback_scan_determinismE0ELb1ES3_N6thrust23THRUST_200600_302600_NS6detail15normal_iteratorINSB_10device_ptrIjEEEENSD_INSE_IS6_EEEESI_S6_NSB_4plusIvEENSB_8equal_toIvEES6_EE10hipError_tPvRmT2_T3_T4_T5_mT6_T7_P12ihipStream_tbENKUlT_T0_E_clISt17integral_constantIbLb0EES12_IbLb1EEEEDaSY_SZ_EUlSY_E_NS1_11comp_targetILNS1_3genE8ELNS1_11target_archE1030ELNS1_3gpuE2ELNS1_3repE0EEENS1_30default_config_static_selectorELNS0_4arch9wavefront6targetE1EEEvT1_
; %bb.0:
	.section	.rodata,"a",@progbits
	.p2align	6, 0x0
	.amdhsa_kernel _ZN7rocprim17ROCPRIM_400000_NS6detail17trampoline_kernelINS0_14default_configENS1_27scan_by_key_config_selectorIj11FixedVectorIiLj8EEEEZZNS1_16scan_by_key_implILNS1_25lookback_scan_determinismE0ELb1ES3_N6thrust23THRUST_200600_302600_NS6detail15normal_iteratorINSB_10device_ptrIjEEEENSD_INSE_IS6_EEEESI_S6_NSB_4plusIvEENSB_8equal_toIvEES6_EE10hipError_tPvRmT2_T3_T4_T5_mT6_T7_P12ihipStream_tbENKUlT_T0_E_clISt17integral_constantIbLb0EES12_IbLb1EEEEDaSY_SZ_EUlSY_E_NS1_11comp_targetILNS1_3genE8ELNS1_11target_archE1030ELNS1_3gpuE2ELNS1_3repE0EEENS1_30default_config_static_selectorELNS0_4arch9wavefront6targetE1EEEvT1_
		.amdhsa_group_segment_fixed_size 0
		.amdhsa_private_segment_fixed_size 0
		.amdhsa_kernarg_size 160
		.amdhsa_user_sgpr_count 2
		.amdhsa_user_sgpr_dispatch_ptr 0
		.amdhsa_user_sgpr_queue_ptr 0
		.amdhsa_user_sgpr_kernarg_segment_ptr 1
		.amdhsa_user_sgpr_dispatch_id 0
		.amdhsa_user_sgpr_kernarg_preload_length 0
		.amdhsa_user_sgpr_kernarg_preload_offset 0
		.amdhsa_user_sgpr_private_segment_size 0
		.amdhsa_uses_dynamic_stack 0
		.amdhsa_enable_private_segment 0
		.amdhsa_system_sgpr_workgroup_id_x 1
		.amdhsa_system_sgpr_workgroup_id_y 0
		.amdhsa_system_sgpr_workgroup_id_z 0
		.amdhsa_system_sgpr_workgroup_info 0
		.amdhsa_system_vgpr_workitem_id 0
		.amdhsa_next_free_vgpr 1
		.amdhsa_next_free_sgpr 0
		.amdhsa_accum_offset 4
		.amdhsa_reserve_vcc 0
		.amdhsa_float_round_mode_32 0
		.amdhsa_float_round_mode_16_64 0
		.amdhsa_float_denorm_mode_32 3
		.amdhsa_float_denorm_mode_16_64 3
		.amdhsa_dx10_clamp 1
		.amdhsa_ieee_mode 1
		.amdhsa_fp16_overflow 0
		.amdhsa_tg_split 0
		.amdhsa_exception_fp_ieee_invalid_op 0
		.amdhsa_exception_fp_denorm_src 0
		.amdhsa_exception_fp_ieee_div_zero 0
		.amdhsa_exception_fp_ieee_overflow 0
		.amdhsa_exception_fp_ieee_underflow 0
		.amdhsa_exception_fp_ieee_inexact 0
		.amdhsa_exception_int_div_zero 0
	.end_amdhsa_kernel
	.section	.text._ZN7rocprim17ROCPRIM_400000_NS6detail17trampoline_kernelINS0_14default_configENS1_27scan_by_key_config_selectorIj11FixedVectorIiLj8EEEEZZNS1_16scan_by_key_implILNS1_25lookback_scan_determinismE0ELb1ES3_N6thrust23THRUST_200600_302600_NS6detail15normal_iteratorINSB_10device_ptrIjEEEENSD_INSE_IS6_EEEESI_S6_NSB_4plusIvEENSB_8equal_toIvEES6_EE10hipError_tPvRmT2_T3_T4_T5_mT6_T7_P12ihipStream_tbENKUlT_T0_E_clISt17integral_constantIbLb0EES12_IbLb1EEEEDaSY_SZ_EUlSY_E_NS1_11comp_targetILNS1_3genE8ELNS1_11target_archE1030ELNS1_3gpuE2ELNS1_3repE0EEENS1_30default_config_static_selectorELNS0_4arch9wavefront6targetE1EEEvT1_,"axG",@progbits,_ZN7rocprim17ROCPRIM_400000_NS6detail17trampoline_kernelINS0_14default_configENS1_27scan_by_key_config_selectorIj11FixedVectorIiLj8EEEEZZNS1_16scan_by_key_implILNS1_25lookback_scan_determinismE0ELb1ES3_N6thrust23THRUST_200600_302600_NS6detail15normal_iteratorINSB_10device_ptrIjEEEENSD_INSE_IS6_EEEESI_S6_NSB_4plusIvEENSB_8equal_toIvEES6_EE10hipError_tPvRmT2_T3_T4_T5_mT6_T7_P12ihipStream_tbENKUlT_T0_E_clISt17integral_constantIbLb0EES12_IbLb1EEEEDaSY_SZ_EUlSY_E_NS1_11comp_targetILNS1_3genE8ELNS1_11target_archE1030ELNS1_3gpuE2ELNS1_3repE0EEENS1_30default_config_static_selectorELNS0_4arch9wavefront6targetE1EEEvT1_,comdat
.Lfunc_end2193:
	.size	_ZN7rocprim17ROCPRIM_400000_NS6detail17trampoline_kernelINS0_14default_configENS1_27scan_by_key_config_selectorIj11FixedVectorIiLj8EEEEZZNS1_16scan_by_key_implILNS1_25lookback_scan_determinismE0ELb1ES3_N6thrust23THRUST_200600_302600_NS6detail15normal_iteratorINSB_10device_ptrIjEEEENSD_INSE_IS6_EEEESI_S6_NSB_4plusIvEENSB_8equal_toIvEES6_EE10hipError_tPvRmT2_T3_T4_T5_mT6_T7_P12ihipStream_tbENKUlT_T0_E_clISt17integral_constantIbLb0EES12_IbLb1EEEEDaSY_SZ_EUlSY_E_NS1_11comp_targetILNS1_3genE8ELNS1_11target_archE1030ELNS1_3gpuE2ELNS1_3repE0EEENS1_30default_config_static_selectorELNS0_4arch9wavefront6targetE1EEEvT1_, .Lfunc_end2193-_ZN7rocprim17ROCPRIM_400000_NS6detail17trampoline_kernelINS0_14default_configENS1_27scan_by_key_config_selectorIj11FixedVectorIiLj8EEEEZZNS1_16scan_by_key_implILNS1_25lookback_scan_determinismE0ELb1ES3_N6thrust23THRUST_200600_302600_NS6detail15normal_iteratorINSB_10device_ptrIjEEEENSD_INSE_IS6_EEEESI_S6_NSB_4plusIvEENSB_8equal_toIvEES6_EE10hipError_tPvRmT2_T3_T4_T5_mT6_T7_P12ihipStream_tbENKUlT_T0_E_clISt17integral_constantIbLb0EES12_IbLb1EEEEDaSY_SZ_EUlSY_E_NS1_11comp_targetILNS1_3genE8ELNS1_11target_archE1030ELNS1_3gpuE2ELNS1_3repE0EEENS1_30default_config_static_selectorELNS0_4arch9wavefront6targetE1EEEvT1_
                                        ; -- End function
	.section	.AMDGPU.csdata,"",@progbits
; Kernel info:
; codeLenInByte = 0
; NumSgprs: 6
; NumVgprs: 0
; NumAgprs: 0
; TotalNumVgprs: 0
; ScratchSize: 0
; MemoryBound: 0
; FloatMode: 240
; IeeeMode: 1
; LDSByteSize: 0 bytes/workgroup (compile time only)
; SGPRBlocks: 0
; VGPRBlocks: 0
; NumSGPRsForWavesPerEU: 6
; NumVGPRsForWavesPerEU: 1
; AccumOffset: 4
; Occupancy: 8
; WaveLimiterHint : 0
; COMPUTE_PGM_RSRC2:SCRATCH_EN: 0
; COMPUTE_PGM_RSRC2:USER_SGPR: 2
; COMPUTE_PGM_RSRC2:TRAP_HANDLER: 0
; COMPUTE_PGM_RSRC2:TGID_X_EN: 1
; COMPUTE_PGM_RSRC2:TGID_Y_EN: 0
; COMPUTE_PGM_RSRC2:TGID_Z_EN: 0
; COMPUTE_PGM_RSRC2:TIDIG_COMP_CNT: 0
; COMPUTE_PGM_RSRC3_GFX90A:ACCUM_OFFSET: 0
; COMPUTE_PGM_RSRC3_GFX90A:TG_SPLIT: 0
	.section	.text._ZN7rocprim17ROCPRIM_400000_NS6detail30init_device_scan_by_key_kernelINS1_19lookback_scan_stateINS0_5tupleIJibEEELb0ELb1EEEN6thrust23THRUST_200600_302600_NS10device_ptrIiEEjNS1_16block_id_wrapperIjLb0EEEEEvT_jjPNSD_10value_typeET0_PNSt15iterator_traitsISG_E10value_typeEmT1_T2_,"axG",@progbits,_ZN7rocprim17ROCPRIM_400000_NS6detail30init_device_scan_by_key_kernelINS1_19lookback_scan_stateINS0_5tupleIJibEEELb0ELb1EEEN6thrust23THRUST_200600_302600_NS10device_ptrIiEEjNS1_16block_id_wrapperIjLb0EEEEEvT_jjPNSD_10value_typeET0_PNSt15iterator_traitsISG_E10value_typeEmT1_T2_,comdat
	.protected	_ZN7rocprim17ROCPRIM_400000_NS6detail30init_device_scan_by_key_kernelINS1_19lookback_scan_stateINS0_5tupleIJibEEELb0ELb1EEEN6thrust23THRUST_200600_302600_NS10device_ptrIiEEjNS1_16block_id_wrapperIjLb0EEEEEvT_jjPNSD_10value_typeET0_PNSt15iterator_traitsISG_E10value_typeEmT1_T2_ ; -- Begin function _ZN7rocprim17ROCPRIM_400000_NS6detail30init_device_scan_by_key_kernelINS1_19lookback_scan_stateINS0_5tupleIJibEEELb0ELb1EEEN6thrust23THRUST_200600_302600_NS10device_ptrIiEEjNS1_16block_id_wrapperIjLb0EEEEEvT_jjPNSD_10value_typeET0_PNSt15iterator_traitsISG_E10value_typeEmT1_T2_
	.globl	_ZN7rocprim17ROCPRIM_400000_NS6detail30init_device_scan_by_key_kernelINS1_19lookback_scan_stateINS0_5tupleIJibEEELb0ELb1EEEN6thrust23THRUST_200600_302600_NS10device_ptrIiEEjNS1_16block_id_wrapperIjLb0EEEEEvT_jjPNSD_10value_typeET0_PNSt15iterator_traitsISG_E10value_typeEmT1_T2_
	.p2align	8
	.type	_ZN7rocprim17ROCPRIM_400000_NS6detail30init_device_scan_by_key_kernelINS1_19lookback_scan_stateINS0_5tupleIJibEEELb0ELb1EEEN6thrust23THRUST_200600_302600_NS10device_ptrIiEEjNS1_16block_id_wrapperIjLb0EEEEEvT_jjPNSD_10value_typeET0_PNSt15iterator_traitsISG_E10value_typeEmT1_T2_,@function
_ZN7rocprim17ROCPRIM_400000_NS6detail30init_device_scan_by_key_kernelINS1_19lookback_scan_stateINS0_5tupleIJibEEELb0ELb1EEEN6thrust23THRUST_200600_302600_NS10device_ptrIiEEjNS1_16block_id_wrapperIjLb0EEEEEvT_jjPNSD_10value_typeET0_PNSt15iterator_traitsISG_E10value_typeEmT1_T2_: ; @_ZN7rocprim17ROCPRIM_400000_NS6detail30init_device_scan_by_key_kernelINS1_19lookback_scan_stateINS0_5tupleIJibEEELb0ELb1EEEN6thrust23THRUST_200600_302600_NS10device_ptrIiEEjNS1_16block_id_wrapperIjLb0EEEEEvT_jjPNSD_10value_typeET0_PNSt15iterator_traitsISG_E10value_typeEmT1_T2_
; %bb.0:
	s_load_dword s3, s[0:1], 0x44
	s_load_dwordx8 s[4:11], s[0:1], 0x0
	s_load_dword s18, s[0:1], 0x38
	s_waitcnt lgkmcnt(0)
	s_and_b32 s19, s3, 0xffff
	s_mul_i32 s2, s2, s19
	s_cmp_eq_u64 s[8:9], 0
	v_add_u32_e32 v4, s2, v0
	s_cbranch_scc1 .LBB2194_8
; %bb.1:
	s_cmp_lt_u32 s7, s6
	s_cselect_b32 s2, s7, 0
	s_mov_b32 s13, 0
	v_cmp_eq_u32_e32 vcc, s2, v4
	s_and_saveexec_b64 s[2:3], vcc
	s_cbranch_execz .LBB2194_7
; %bb.2:
	s_add_i32 s12, s7, 64
	s_lshl_b64 s[12:13], s[12:13], 4
	s_add_u32 s16, s4, s12
	s_addc_u32 s17, s5, s13
	v_mov_b64_e32 v[0:1], s[16:17]
	;;#ASMSTART
	global_load_dwordx4 v[0:3], v[0:1] off sc1	
s_waitcnt vmcnt(0)
	;;#ASMEND
	v_mov_b32_e32 v7, 0
	v_and_b32_e32 v6, 0xff, v2
	s_mov_b64 s[14:15], 0
	v_cmp_eq_u64_e32 vcc, 0, v[6:7]
	s_and_saveexec_b64 s[12:13], vcc
	s_cbranch_execz .LBB2194_6
; %bb.3:
	v_mov_b64_e32 v[8:9], s[16:17]
.LBB2194_4:                             ; =>This Inner Loop Header: Depth=1
	;;#ASMSTART
	global_load_dwordx4 v[0:3], v[8:9] off sc1	
s_waitcnt vmcnt(0)
	;;#ASMEND
	s_nop 0
	v_and_b32_e32 v6, 0xff, v2
	v_cmp_ne_u64_e32 vcc, 0, v[6:7]
	s_or_b64 s[14:15], vcc, s[14:15]
	s_andn2_b64 exec, exec, s[14:15]
	s_cbranch_execnz .LBB2194_4
; %bb.5:
	s_or_b64 exec, exec, s[14:15]
.LBB2194_6:
	s_or_b64 exec, exec, s[12:13]
	v_mov_b32_e32 v2, 0
	global_store_dword v2, v0, s[8:9]
	global_store_byte v2, v1, s[8:9] offset:4
.LBB2194_7:
	s_or_b64 exec, exec, s[2:3]
.LBB2194_8:
	v_cmp_gt_u32_e32 vcc, s6, v4
	s_and_saveexec_b64 s[2:3], vcc
	s_cbranch_execz .LBB2194_10
; %bb.9:
	v_add_u32_e32 v0, 64, v4
	v_mov_b32_e32 v1, 0
	v_lshl_add_u64 v[6:7], v[0:1], 4, s[4:5]
	v_mov_b32_e32 v0, v1
	v_mov_b32_e32 v2, v1
	;; [unrolled: 1-line block ×3, first 2 shown]
	global_store_dwordx4 v[6:7], v[0:3], off
.LBB2194_10:
	s_or_b64 exec, exec, s[2:3]
	v_cmp_gt_u32_e32 vcc, 64, v4
	v_mov_b32_e32 v5, 0
	s_and_saveexec_b64 s[2:3], vcc
	s_cbranch_execz .LBB2194_12
; %bb.11:
	v_lshl_add_u64 v[6:7], v[4:5], 4, s[4:5]
	v_mov_b32_e32 v2, 0xff
	v_mov_b32_e32 v0, v5
	;; [unrolled: 1-line block ×4, first 2 shown]
	global_store_dwordx4 v[6:7], v[0:3], off
.LBB2194_12:
	s_or_b64 exec, exec, s[2:3]
	s_load_dwordx2 s[2:3], s[0:1], 0x28
	s_waitcnt lgkmcnt(0)
	v_cmp_gt_u64_e32 vcc, s[2:3], v[4:5]
	s_and_saveexec_b64 s[4:5], vcc
	s_cbranch_execz .LBB2194_15
; %bb.13:
	s_load_dword s12, s[0:1], 0x30
	s_load_dwordx2 s[6:7], s[0:1], 0x20
	s_mov_b32 s5, 0
	s_mov_b32 s1, s5
	s_mul_i32 s0, s18, s19
	s_waitcnt lgkmcnt(0)
	s_add_i32 s4, s12, -1
	s_lshl_b64 s[4:5], s[4:5], 2
	s_add_u32 s4, s10, s4
	v_mad_u64_u32 v[0:1], s[8:9], s12, v4, 0
	s_addc_u32 s5, s11, s5
	v_lshl_add_u64 v[0:1], v[0:1], 2, s[4:5]
	s_mul_hi_u32 s5, s12, s0
	s_mul_i32 s4, s12, s0
	s_lshl_b64 s[4:5], s[4:5], 2
	v_lshl_add_u64 v[2:3], v[4:5], 2, s[6:7]
	s_lshl_b64 s[6:7], s[0:1], 2
	s_mov_b64 s[8:9], 0
.LBB2194_14:                            ; =>This Inner Loop Header: Depth=1
	global_load_dword v6, v[0:1], off
	v_lshl_add_u64 v[4:5], v[4:5], 0, s[0:1]
	v_cmp_le_u64_e32 vcc, s[2:3], v[4:5]
	v_lshl_add_u64 v[0:1], v[0:1], 0, s[4:5]
	s_or_b64 s[8:9], vcc, s[8:9]
	s_waitcnt vmcnt(0)
	global_store_dword v[2:3], v6, off
	v_lshl_add_u64 v[2:3], v[2:3], 0, s[6:7]
	s_andn2_b64 exec, exec, s[8:9]
	s_cbranch_execnz .LBB2194_14
.LBB2194_15:
	s_endpgm
	.section	.rodata,"a",@progbits
	.p2align	6, 0x0
	.amdhsa_kernel _ZN7rocprim17ROCPRIM_400000_NS6detail30init_device_scan_by_key_kernelINS1_19lookback_scan_stateINS0_5tupleIJibEEELb0ELb1EEEN6thrust23THRUST_200600_302600_NS10device_ptrIiEEjNS1_16block_id_wrapperIjLb0EEEEEvT_jjPNSD_10value_typeET0_PNSt15iterator_traitsISG_E10value_typeEmT1_T2_
		.amdhsa_group_segment_fixed_size 0
		.amdhsa_private_segment_fixed_size 0
		.amdhsa_kernarg_size 312
		.amdhsa_user_sgpr_count 2
		.amdhsa_user_sgpr_dispatch_ptr 0
		.amdhsa_user_sgpr_queue_ptr 0
		.amdhsa_user_sgpr_kernarg_segment_ptr 1
		.amdhsa_user_sgpr_dispatch_id 0
		.amdhsa_user_sgpr_kernarg_preload_length 0
		.amdhsa_user_sgpr_kernarg_preload_offset 0
		.amdhsa_user_sgpr_private_segment_size 0
		.amdhsa_uses_dynamic_stack 0
		.amdhsa_enable_private_segment 0
		.amdhsa_system_sgpr_workgroup_id_x 1
		.amdhsa_system_sgpr_workgroup_id_y 0
		.amdhsa_system_sgpr_workgroup_id_z 0
		.amdhsa_system_sgpr_workgroup_info 0
		.amdhsa_system_vgpr_workitem_id 0
		.amdhsa_next_free_vgpr 10
		.amdhsa_next_free_sgpr 20
		.amdhsa_accum_offset 12
		.amdhsa_reserve_vcc 1
		.amdhsa_float_round_mode_32 0
		.amdhsa_float_round_mode_16_64 0
		.amdhsa_float_denorm_mode_32 3
		.amdhsa_float_denorm_mode_16_64 3
		.amdhsa_dx10_clamp 1
		.amdhsa_ieee_mode 1
		.amdhsa_fp16_overflow 0
		.amdhsa_tg_split 0
		.amdhsa_exception_fp_ieee_invalid_op 0
		.amdhsa_exception_fp_denorm_src 0
		.amdhsa_exception_fp_ieee_div_zero 0
		.amdhsa_exception_fp_ieee_overflow 0
		.amdhsa_exception_fp_ieee_underflow 0
		.amdhsa_exception_fp_ieee_inexact 0
		.amdhsa_exception_int_div_zero 0
	.end_amdhsa_kernel
	.section	.text._ZN7rocprim17ROCPRIM_400000_NS6detail30init_device_scan_by_key_kernelINS1_19lookback_scan_stateINS0_5tupleIJibEEELb0ELb1EEEN6thrust23THRUST_200600_302600_NS10device_ptrIiEEjNS1_16block_id_wrapperIjLb0EEEEEvT_jjPNSD_10value_typeET0_PNSt15iterator_traitsISG_E10value_typeEmT1_T2_,"axG",@progbits,_ZN7rocprim17ROCPRIM_400000_NS6detail30init_device_scan_by_key_kernelINS1_19lookback_scan_stateINS0_5tupleIJibEEELb0ELb1EEEN6thrust23THRUST_200600_302600_NS10device_ptrIiEEjNS1_16block_id_wrapperIjLb0EEEEEvT_jjPNSD_10value_typeET0_PNSt15iterator_traitsISG_E10value_typeEmT1_T2_,comdat
.Lfunc_end2194:
	.size	_ZN7rocprim17ROCPRIM_400000_NS6detail30init_device_scan_by_key_kernelINS1_19lookback_scan_stateINS0_5tupleIJibEEELb0ELb1EEEN6thrust23THRUST_200600_302600_NS10device_ptrIiEEjNS1_16block_id_wrapperIjLb0EEEEEvT_jjPNSD_10value_typeET0_PNSt15iterator_traitsISG_E10value_typeEmT1_T2_, .Lfunc_end2194-_ZN7rocprim17ROCPRIM_400000_NS6detail30init_device_scan_by_key_kernelINS1_19lookback_scan_stateINS0_5tupleIJibEEELb0ELb1EEEN6thrust23THRUST_200600_302600_NS10device_ptrIiEEjNS1_16block_id_wrapperIjLb0EEEEEvT_jjPNSD_10value_typeET0_PNSt15iterator_traitsISG_E10value_typeEmT1_T2_
                                        ; -- End function
	.section	.AMDGPU.csdata,"",@progbits
; Kernel info:
; codeLenInByte = 508
; NumSgprs: 26
; NumVgprs: 10
; NumAgprs: 0
; TotalNumVgprs: 10
; ScratchSize: 0
; MemoryBound: 0
; FloatMode: 240
; IeeeMode: 1
; LDSByteSize: 0 bytes/workgroup (compile time only)
; SGPRBlocks: 3
; VGPRBlocks: 1
; NumSGPRsForWavesPerEU: 26
; NumVGPRsForWavesPerEU: 10
; AccumOffset: 12
; Occupancy: 8
; WaveLimiterHint : 0
; COMPUTE_PGM_RSRC2:SCRATCH_EN: 0
; COMPUTE_PGM_RSRC2:USER_SGPR: 2
; COMPUTE_PGM_RSRC2:TRAP_HANDLER: 0
; COMPUTE_PGM_RSRC2:TGID_X_EN: 1
; COMPUTE_PGM_RSRC2:TGID_Y_EN: 0
; COMPUTE_PGM_RSRC2:TGID_Z_EN: 0
; COMPUTE_PGM_RSRC2:TIDIG_COMP_CNT: 0
; COMPUTE_PGM_RSRC3_GFX90A:ACCUM_OFFSET: 2
; COMPUTE_PGM_RSRC3_GFX90A:TG_SPLIT: 0
	.section	.text._ZN7rocprim17ROCPRIM_400000_NS6detail17trampoline_kernelINS0_14default_configENS1_27scan_by_key_config_selectorIiiEEZZNS1_16scan_by_key_implILNS1_25lookback_scan_determinismE0ELb0ES3_N6thrust23THRUST_200600_302600_NS10device_ptrIiEESB_SB_iNS9_4plusIvEENS9_8equal_toIvEEiEE10hipError_tPvRmT2_T3_T4_T5_mT6_T7_P12ihipStream_tbENKUlT_T0_E_clISt17integral_constantIbLb0EESW_EEDaSR_SS_EUlSR_E_NS1_11comp_targetILNS1_3genE0ELNS1_11target_archE4294967295ELNS1_3gpuE0ELNS1_3repE0EEENS1_30default_config_static_selectorELNS0_4arch9wavefront6targetE1EEEvT1_,"axG",@progbits,_ZN7rocprim17ROCPRIM_400000_NS6detail17trampoline_kernelINS0_14default_configENS1_27scan_by_key_config_selectorIiiEEZZNS1_16scan_by_key_implILNS1_25lookback_scan_determinismE0ELb0ES3_N6thrust23THRUST_200600_302600_NS10device_ptrIiEESB_SB_iNS9_4plusIvEENS9_8equal_toIvEEiEE10hipError_tPvRmT2_T3_T4_T5_mT6_T7_P12ihipStream_tbENKUlT_T0_E_clISt17integral_constantIbLb0EESW_EEDaSR_SS_EUlSR_E_NS1_11comp_targetILNS1_3genE0ELNS1_11target_archE4294967295ELNS1_3gpuE0ELNS1_3repE0EEENS1_30default_config_static_selectorELNS0_4arch9wavefront6targetE1EEEvT1_,comdat
	.protected	_ZN7rocprim17ROCPRIM_400000_NS6detail17trampoline_kernelINS0_14default_configENS1_27scan_by_key_config_selectorIiiEEZZNS1_16scan_by_key_implILNS1_25lookback_scan_determinismE0ELb0ES3_N6thrust23THRUST_200600_302600_NS10device_ptrIiEESB_SB_iNS9_4plusIvEENS9_8equal_toIvEEiEE10hipError_tPvRmT2_T3_T4_T5_mT6_T7_P12ihipStream_tbENKUlT_T0_E_clISt17integral_constantIbLb0EESW_EEDaSR_SS_EUlSR_E_NS1_11comp_targetILNS1_3genE0ELNS1_11target_archE4294967295ELNS1_3gpuE0ELNS1_3repE0EEENS1_30default_config_static_selectorELNS0_4arch9wavefront6targetE1EEEvT1_ ; -- Begin function _ZN7rocprim17ROCPRIM_400000_NS6detail17trampoline_kernelINS0_14default_configENS1_27scan_by_key_config_selectorIiiEEZZNS1_16scan_by_key_implILNS1_25lookback_scan_determinismE0ELb0ES3_N6thrust23THRUST_200600_302600_NS10device_ptrIiEESB_SB_iNS9_4plusIvEENS9_8equal_toIvEEiEE10hipError_tPvRmT2_T3_T4_T5_mT6_T7_P12ihipStream_tbENKUlT_T0_E_clISt17integral_constantIbLb0EESW_EEDaSR_SS_EUlSR_E_NS1_11comp_targetILNS1_3genE0ELNS1_11target_archE4294967295ELNS1_3gpuE0ELNS1_3repE0EEENS1_30default_config_static_selectorELNS0_4arch9wavefront6targetE1EEEvT1_
	.globl	_ZN7rocprim17ROCPRIM_400000_NS6detail17trampoline_kernelINS0_14default_configENS1_27scan_by_key_config_selectorIiiEEZZNS1_16scan_by_key_implILNS1_25lookback_scan_determinismE0ELb0ES3_N6thrust23THRUST_200600_302600_NS10device_ptrIiEESB_SB_iNS9_4plusIvEENS9_8equal_toIvEEiEE10hipError_tPvRmT2_T3_T4_T5_mT6_T7_P12ihipStream_tbENKUlT_T0_E_clISt17integral_constantIbLb0EESW_EEDaSR_SS_EUlSR_E_NS1_11comp_targetILNS1_3genE0ELNS1_11target_archE4294967295ELNS1_3gpuE0ELNS1_3repE0EEENS1_30default_config_static_selectorELNS0_4arch9wavefront6targetE1EEEvT1_
	.p2align	8
	.type	_ZN7rocprim17ROCPRIM_400000_NS6detail17trampoline_kernelINS0_14default_configENS1_27scan_by_key_config_selectorIiiEEZZNS1_16scan_by_key_implILNS1_25lookback_scan_determinismE0ELb0ES3_N6thrust23THRUST_200600_302600_NS10device_ptrIiEESB_SB_iNS9_4plusIvEENS9_8equal_toIvEEiEE10hipError_tPvRmT2_T3_T4_T5_mT6_T7_P12ihipStream_tbENKUlT_T0_E_clISt17integral_constantIbLb0EESW_EEDaSR_SS_EUlSR_E_NS1_11comp_targetILNS1_3genE0ELNS1_11target_archE4294967295ELNS1_3gpuE0ELNS1_3repE0EEENS1_30default_config_static_selectorELNS0_4arch9wavefront6targetE1EEEvT1_,@function
_ZN7rocprim17ROCPRIM_400000_NS6detail17trampoline_kernelINS0_14default_configENS1_27scan_by_key_config_selectorIiiEEZZNS1_16scan_by_key_implILNS1_25lookback_scan_determinismE0ELb0ES3_N6thrust23THRUST_200600_302600_NS10device_ptrIiEESB_SB_iNS9_4plusIvEENS9_8equal_toIvEEiEE10hipError_tPvRmT2_T3_T4_T5_mT6_T7_P12ihipStream_tbENKUlT_T0_E_clISt17integral_constantIbLb0EESW_EEDaSR_SS_EUlSR_E_NS1_11comp_targetILNS1_3genE0ELNS1_11target_archE4294967295ELNS1_3gpuE0ELNS1_3repE0EEENS1_30default_config_static_selectorELNS0_4arch9wavefront6targetE1EEEvT1_: ; @_ZN7rocprim17ROCPRIM_400000_NS6detail17trampoline_kernelINS0_14default_configENS1_27scan_by_key_config_selectorIiiEEZZNS1_16scan_by_key_implILNS1_25lookback_scan_determinismE0ELb0ES3_N6thrust23THRUST_200600_302600_NS10device_ptrIiEESB_SB_iNS9_4plusIvEENS9_8equal_toIvEEiEE10hipError_tPvRmT2_T3_T4_T5_mT6_T7_P12ihipStream_tbENKUlT_T0_E_clISt17integral_constantIbLb0EESW_EEDaSR_SS_EUlSR_E_NS1_11comp_targetILNS1_3genE0ELNS1_11target_archE4294967295ELNS1_3gpuE0ELNS1_3repE0EEENS1_30default_config_static_selectorELNS0_4arch9wavefront6targetE1EEEvT1_
; %bb.0:
	.section	.rodata,"a",@progbits
	.p2align	6, 0x0
	.amdhsa_kernel _ZN7rocprim17ROCPRIM_400000_NS6detail17trampoline_kernelINS0_14default_configENS1_27scan_by_key_config_selectorIiiEEZZNS1_16scan_by_key_implILNS1_25lookback_scan_determinismE0ELb0ES3_N6thrust23THRUST_200600_302600_NS10device_ptrIiEESB_SB_iNS9_4plusIvEENS9_8equal_toIvEEiEE10hipError_tPvRmT2_T3_T4_T5_mT6_T7_P12ihipStream_tbENKUlT_T0_E_clISt17integral_constantIbLb0EESW_EEDaSR_SS_EUlSR_E_NS1_11comp_targetILNS1_3genE0ELNS1_11target_archE4294967295ELNS1_3gpuE0ELNS1_3repE0EEENS1_30default_config_static_selectorELNS0_4arch9wavefront6targetE1EEEvT1_
		.amdhsa_group_segment_fixed_size 0
		.amdhsa_private_segment_fixed_size 0
		.amdhsa_kernarg_size 112
		.amdhsa_user_sgpr_count 2
		.amdhsa_user_sgpr_dispatch_ptr 0
		.amdhsa_user_sgpr_queue_ptr 0
		.amdhsa_user_sgpr_kernarg_segment_ptr 1
		.amdhsa_user_sgpr_dispatch_id 0
		.amdhsa_user_sgpr_kernarg_preload_length 0
		.amdhsa_user_sgpr_kernarg_preload_offset 0
		.amdhsa_user_sgpr_private_segment_size 0
		.amdhsa_uses_dynamic_stack 0
		.amdhsa_enable_private_segment 0
		.amdhsa_system_sgpr_workgroup_id_x 1
		.amdhsa_system_sgpr_workgroup_id_y 0
		.amdhsa_system_sgpr_workgroup_id_z 0
		.amdhsa_system_sgpr_workgroup_info 0
		.amdhsa_system_vgpr_workitem_id 0
		.amdhsa_next_free_vgpr 1
		.amdhsa_next_free_sgpr 0
		.amdhsa_accum_offset 4
		.amdhsa_reserve_vcc 0
		.amdhsa_float_round_mode_32 0
		.amdhsa_float_round_mode_16_64 0
		.amdhsa_float_denorm_mode_32 3
		.amdhsa_float_denorm_mode_16_64 3
		.amdhsa_dx10_clamp 1
		.amdhsa_ieee_mode 1
		.amdhsa_fp16_overflow 0
		.amdhsa_tg_split 0
		.amdhsa_exception_fp_ieee_invalid_op 0
		.amdhsa_exception_fp_denorm_src 0
		.amdhsa_exception_fp_ieee_div_zero 0
		.amdhsa_exception_fp_ieee_overflow 0
		.amdhsa_exception_fp_ieee_underflow 0
		.amdhsa_exception_fp_ieee_inexact 0
		.amdhsa_exception_int_div_zero 0
	.end_amdhsa_kernel
	.section	.text._ZN7rocprim17ROCPRIM_400000_NS6detail17trampoline_kernelINS0_14default_configENS1_27scan_by_key_config_selectorIiiEEZZNS1_16scan_by_key_implILNS1_25lookback_scan_determinismE0ELb0ES3_N6thrust23THRUST_200600_302600_NS10device_ptrIiEESB_SB_iNS9_4plusIvEENS9_8equal_toIvEEiEE10hipError_tPvRmT2_T3_T4_T5_mT6_T7_P12ihipStream_tbENKUlT_T0_E_clISt17integral_constantIbLb0EESW_EEDaSR_SS_EUlSR_E_NS1_11comp_targetILNS1_3genE0ELNS1_11target_archE4294967295ELNS1_3gpuE0ELNS1_3repE0EEENS1_30default_config_static_selectorELNS0_4arch9wavefront6targetE1EEEvT1_,"axG",@progbits,_ZN7rocprim17ROCPRIM_400000_NS6detail17trampoline_kernelINS0_14default_configENS1_27scan_by_key_config_selectorIiiEEZZNS1_16scan_by_key_implILNS1_25lookback_scan_determinismE0ELb0ES3_N6thrust23THRUST_200600_302600_NS10device_ptrIiEESB_SB_iNS9_4plusIvEENS9_8equal_toIvEEiEE10hipError_tPvRmT2_T3_T4_T5_mT6_T7_P12ihipStream_tbENKUlT_T0_E_clISt17integral_constantIbLb0EESW_EEDaSR_SS_EUlSR_E_NS1_11comp_targetILNS1_3genE0ELNS1_11target_archE4294967295ELNS1_3gpuE0ELNS1_3repE0EEENS1_30default_config_static_selectorELNS0_4arch9wavefront6targetE1EEEvT1_,comdat
.Lfunc_end2195:
	.size	_ZN7rocprim17ROCPRIM_400000_NS6detail17trampoline_kernelINS0_14default_configENS1_27scan_by_key_config_selectorIiiEEZZNS1_16scan_by_key_implILNS1_25lookback_scan_determinismE0ELb0ES3_N6thrust23THRUST_200600_302600_NS10device_ptrIiEESB_SB_iNS9_4plusIvEENS9_8equal_toIvEEiEE10hipError_tPvRmT2_T3_T4_T5_mT6_T7_P12ihipStream_tbENKUlT_T0_E_clISt17integral_constantIbLb0EESW_EEDaSR_SS_EUlSR_E_NS1_11comp_targetILNS1_3genE0ELNS1_11target_archE4294967295ELNS1_3gpuE0ELNS1_3repE0EEENS1_30default_config_static_selectorELNS0_4arch9wavefront6targetE1EEEvT1_, .Lfunc_end2195-_ZN7rocprim17ROCPRIM_400000_NS6detail17trampoline_kernelINS0_14default_configENS1_27scan_by_key_config_selectorIiiEEZZNS1_16scan_by_key_implILNS1_25lookback_scan_determinismE0ELb0ES3_N6thrust23THRUST_200600_302600_NS10device_ptrIiEESB_SB_iNS9_4plusIvEENS9_8equal_toIvEEiEE10hipError_tPvRmT2_T3_T4_T5_mT6_T7_P12ihipStream_tbENKUlT_T0_E_clISt17integral_constantIbLb0EESW_EEDaSR_SS_EUlSR_E_NS1_11comp_targetILNS1_3genE0ELNS1_11target_archE4294967295ELNS1_3gpuE0ELNS1_3repE0EEENS1_30default_config_static_selectorELNS0_4arch9wavefront6targetE1EEEvT1_
                                        ; -- End function
	.section	.AMDGPU.csdata,"",@progbits
; Kernel info:
; codeLenInByte = 0
; NumSgprs: 6
; NumVgprs: 0
; NumAgprs: 0
; TotalNumVgprs: 0
; ScratchSize: 0
; MemoryBound: 0
; FloatMode: 240
; IeeeMode: 1
; LDSByteSize: 0 bytes/workgroup (compile time only)
; SGPRBlocks: 0
; VGPRBlocks: 0
; NumSGPRsForWavesPerEU: 6
; NumVGPRsForWavesPerEU: 1
; AccumOffset: 4
; Occupancy: 8
; WaveLimiterHint : 0
; COMPUTE_PGM_RSRC2:SCRATCH_EN: 0
; COMPUTE_PGM_RSRC2:USER_SGPR: 2
; COMPUTE_PGM_RSRC2:TRAP_HANDLER: 0
; COMPUTE_PGM_RSRC2:TGID_X_EN: 1
; COMPUTE_PGM_RSRC2:TGID_Y_EN: 0
; COMPUTE_PGM_RSRC2:TGID_Z_EN: 0
; COMPUTE_PGM_RSRC2:TIDIG_COMP_CNT: 0
; COMPUTE_PGM_RSRC3_GFX90A:ACCUM_OFFSET: 0
; COMPUTE_PGM_RSRC3_GFX90A:TG_SPLIT: 0
	.section	.text._ZN7rocprim17ROCPRIM_400000_NS6detail17trampoline_kernelINS0_14default_configENS1_27scan_by_key_config_selectorIiiEEZZNS1_16scan_by_key_implILNS1_25lookback_scan_determinismE0ELb0ES3_N6thrust23THRUST_200600_302600_NS10device_ptrIiEESB_SB_iNS9_4plusIvEENS9_8equal_toIvEEiEE10hipError_tPvRmT2_T3_T4_T5_mT6_T7_P12ihipStream_tbENKUlT_T0_E_clISt17integral_constantIbLb0EESW_EEDaSR_SS_EUlSR_E_NS1_11comp_targetILNS1_3genE10ELNS1_11target_archE1201ELNS1_3gpuE5ELNS1_3repE0EEENS1_30default_config_static_selectorELNS0_4arch9wavefront6targetE1EEEvT1_,"axG",@progbits,_ZN7rocprim17ROCPRIM_400000_NS6detail17trampoline_kernelINS0_14default_configENS1_27scan_by_key_config_selectorIiiEEZZNS1_16scan_by_key_implILNS1_25lookback_scan_determinismE0ELb0ES3_N6thrust23THRUST_200600_302600_NS10device_ptrIiEESB_SB_iNS9_4plusIvEENS9_8equal_toIvEEiEE10hipError_tPvRmT2_T3_T4_T5_mT6_T7_P12ihipStream_tbENKUlT_T0_E_clISt17integral_constantIbLb0EESW_EEDaSR_SS_EUlSR_E_NS1_11comp_targetILNS1_3genE10ELNS1_11target_archE1201ELNS1_3gpuE5ELNS1_3repE0EEENS1_30default_config_static_selectorELNS0_4arch9wavefront6targetE1EEEvT1_,comdat
	.protected	_ZN7rocprim17ROCPRIM_400000_NS6detail17trampoline_kernelINS0_14default_configENS1_27scan_by_key_config_selectorIiiEEZZNS1_16scan_by_key_implILNS1_25lookback_scan_determinismE0ELb0ES3_N6thrust23THRUST_200600_302600_NS10device_ptrIiEESB_SB_iNS9_4plusIvEENS9_8equal_toIvEEiEE10hipError_tPvRmT2_T3_T4_T5_mT6_T7_P12ihipStream_tbENKUlT_T0_E_clISt17integral_constantIbLb0EESW_EEDaSR_SS_EUlSR_E_NS1_11comp_targetILNS1_3genE10ELNS1_11target_archE1201ELNS1_3gpuE5ELNS1_3repE0EEENS1_30default_config_static_selectorELNS0_4arch9wavefront6targetE1EEEvT1_ ; -- Begin function _ZN7rocprim17ROCPRIM_400000_NS6detail17trampoline_kernelINS0_14default_configENS1_27scan_by_key_config_selectorIiiEEZZNS1_16scan_by_key_implILNS1_25lookback_scan_determinismE0ELb0ES3_N6thrust23THRUST_200600_302600_NS10device_ptrIiEESB_SB_iNS9_4plusIvEENS9_8equal_toIvEEiEE10hipError_tPvRmT2_T3_T4_T5_mT6_T7_P12ihipStream_tbENKUlT_T0_E_clISt17integral_constantIbLb0EESW_EEDaSR_SS_EUlSR_E_NS1_11comp_targetILNS1_3genE10ELNS1_11target_archE1201ELNS1_3gpuE5ELNS1_3repE0EEENS1_30default_config_static_selectorELNS0_4arch9wavefront6targetE1EEEvT1_
	.globl	_ZN7rocprim17ROCPRIM_400000_NS6detail17trampoline_kernelINS0_14default_configENS1_27scan_by_key_config_selectorIiiEEZZNS1_16scan_by_key_implILNS1_25lookback_scan_determinismE0ELb0ES3_N6thrust23THRUST_200600_302600_NS10device_ptrIiEESB_SB_iNS9_4plusIvEENS9_8equal_toIvEEiEE10hipError_tPvRmT2_T3_T4_T5_mT6_T7_P12ihipStream_tbENKUlT_T0_E_clISt17integral_constantIbLb0EESW_EEDaSR_SS_EUlSR_E_NS1_11comp_targetILNS1_3genE10ELNS1_11target_archE1201ELNS1_3gpuE5ELNS1_3repE0EEENS1_30default_config_static_selectorELNS0_4arch9wavefront6targetE1EEEvT1_
	.p2align	8
	.type	_ZN7rocprim17ROCPRIM_400000_NS6detail17trampoline_kernelINS0_14default_configENS1_27scan_by_key_config_selectorIiiEEZZNS1_16scan_by_key_implILNS1_25lookback_scan_determinismE0ELb0ES3_N6thrust23THRUST_200600_302600_NS10device_ptrIiEESB_SB_iNS9_4plusIvEENS9_8equal_toIvEEiEE10hipError_tPvRmT2_T3_T4_T5_mT6_T7_P12ihipStream_tbENKUlT_T0_E_clISt17integral_constantIbLb0EESW_EEDaSR_SS_EUlSR_E_NS1_11comp_targetILNS1_3genE10ELNS1_11target_archE1201ELNS1_3gpuE5ELNS1_3repE0EEENS1_30default_config_static_selectorELNS0_4arch9wavefront6targetE1EEEvT1_,@function
_ZN7rocprim17ROCPRIM_400000_NS6detail17trampoline_kernelINS0_14default_configENS1_27scan_by_key_config_selectorIiiEEZZNS1_16scan_by_key_implILNS1_25lookback_scan_determinismE0ELb0ES3_N6thrust23THRUST_200600_302600_NS10device_ptrIiEESB_SB_iNS9_4plusIvEENS9_8equal_toIvEEiEE10hipError_tPvRmT2_T3_T4_T5_mT6_T7_P12ihipStream_tbENKUlT_T0_E_clISt17integral_constantIbLb0EESW_EEDaSR_SS_EUlSR_E_NS1_11comp_targetILNS1_3genE10ELNS1_11target_archE1201ELNS1_3gpuE5ELNS1_3repE0EEENS1_30default_config_static_selectorELNS0_4arch9wavefront6targetE1EEEvT1_: ; @_ZN7rocprim17ROCPRIM_400000_NS6detail17trampoline_kernelINS0_14default_configENS1_27scan_by_key_config_selectorIiiEEZZNS1_16scan_by_key_implILNS1_25lookback_scan_determinismE0ELb0ES3_N6thrust23THRUST_200600_302600_NS10device_ptrIiEESB_SB_iNS9_4plusIvEENS9_8equal_toIvEEiEE10hipError_tPvRmT2_T3_T4_T5_mT6_T7_P12ihipStream_tbENKUlT_T0_E_clISt17integral_constantIbLb0EESW_EEDaSR_SS_EUlSR_E_NS1_11comp_targetILNS1_3genE10ELNS1_11target_archE1201ELNS1_3gpuE5ELNS1_3repE0EEENS1_30default_config_static_selectorELNS0_4arch9wavefront6targetE1EEEvT1_
; %bb.0:
	.section	.rodata,"a",@progbits
	.p2align	6, 0x0
	.amdhsa_kernel _ZN7rocprim17ROCPRIM_400000_NS6detail17trampoline_kernelINS0_14default_configENS1_27scan_by_key_config_selectorIiiEEZZNS1_16scan_by_key_implILNS1_25lookback_scan_determinismE0ELb0ES3_N6thrust23THRUST_200600_302600_NS10device_ptrIiEESB_SB_iNS9_4plusIvEENS9_8equal_toIvEEiEE10hipError_tPvRmT2_T3_T4_T5_mT6_T7_P12ihipStream_tbENKUlT_T0_E_clISt17integral_constantIbLb0EESW_EEDaSR_SS_EUlSR_E_NS1_11comp_targetILNS1_3genE10ELNS1_11target_archE1201ELNS1_3gpuE5ELNS1_3repE0EEENS1_30default_config_static_selectorELNS0_4arch9wavefront6targetE1EEEvT1_
		.amdhsa_group_segment_fixed_size 0
		.amdhsa_private_segment_fixed_size 0
		.amdhsa_kernarg_size 112
		.amdhsa_user_sgpr_count 2
		.amdhsa_user_sgpr_dispatch_ptr 0
		.amdhsa_user_sgpr_queue_ptr 0
		.amdhsa_user_sgpr_kernarg_segment_ptr 1
		.amdhsa_user_sgpr_dispatch_id 0
		.amdhsa_user_sgpr_kernarg_preload_length 0
		.amdhsa_user_sgpr_kernarg_preload_offset 0
		.amdhsa_user_sgpr_private_segment_size 0
		.amdhsa_uses_dynamic_stack 0
		.amdhsa_enable_private_segment 0
		.amdhsa_system_sgpr_workgroup_id_x 1
		.amdhsa_system_sgpr_workgroup_id_y 0
		.amdhsa_system_sgpr_workgroup_id_z 0
		.amdhsa_system_sgpr_workgroup_info 0
		.amdhsa_system_vgpr_workitem_id 0
		.amdhsa_next_free_vgpr 1
		.amdhsa_next_free_sgpr 0
		.amdhsa_accum_offset 4
		.amdhsa_reserve_vcc 0
		.amdhsa_float_round_mode_32 0
		.amdhsa_float_round_mode_16_64 0
		.amdhsa_float_denorm_mode_32 3
		.amdhsa_float_denorm_mode_16_64 3
		.amdhsa_dx10_clamp 1
		.amdhsa_ieee_mode 1
		.amdhsa_fp16_overflow 0
		.amdhsa_tg_split 0
		.amdhsa_exception_fp_ieee_invalid_op 0
		.amdhsa_exception_fp_denorm_src 0
		.amdhsa_exception_fp_ieee_div_zero 0
		.amdhsa_exception_fp_ieee_overflow 0
		.amdhsa_exception_fp_ieee_underflow 0
		.amdhsa_exception_fp_ieee_inexact 0
		.amdhsa_exception_int_div_zero 0
	.end_amdhsa_kernel
	.section	.text._ZN7rocprim17ROCPRIM_400000_NS6detail17trampoline_kernelINS0_14default_configENS1_27scan_by_key_config_selectorIiiEEZZNS1_16scan_by_key_implILNS1_25lookback_scan_determinismE0ELb0ES3_N6thrust23THRUST_200600_302600_NS10device_ptrIiEESB_SB_iNS9_4plusIvEENS9_8equal_toIvEEiEE10hipError_tPvRmT2_T3_T4_T5_mT6_T7_P12ihipStream_tbENKUlT_T0_E_clISt17integral_constantIbLb0EESW_EEDaSR_SS_EUlSR_E_NS1_11comp_targetILNS1_3genE10ELNS1_11target_archE1201ELNS1_3gpuE5ELNS1_3repE0EEENS1_30default_config_static_selectorELNS0_4arch9wavefront6targetE1EEEvT1_,"axG",@progbits,_ZN7rocprim17ROCPRIM_400000_NS6detail17trampoline_kernelINS0_14default_configENS1_27scan_by_key_config_selectorIiiEEZZNS1_16scan_by_key_implILNS1_25lookback_scan_determinismE0ELb0ES3_N6thrust23THRUST_200600_302600_NS10device_ptrIiEESB_SB_iNS9_4plusIvEENS9_8equal_toIvEEiEE10hipError_tPvRmT2_T3_T4_T5_mT6_T7_P12ihipStream_tbENKUlT_T0_E_clISt17integral_constantIbLb0EESW_EEDaSR_SS_EUlSR_E_NS1_11comp_targetILNS1_3genE10ELNS1_11target_archE1201ELNS1_3gpuE5ELNS1_3repE0EEENS1_30default_config_static_selectorELNS0_4arch9wavefront6targetE1EEEvT1_,comdat
.Lfunc_end2196:
	.size	_ZN7rocprim17ROCPRIM_400000_NS6detail17trampoline_kernelINS0_14default_configENS1_27scan_by_key_config_selectorIiiEEZZNS1_16scan_by_key_implILNS1_25lookback_scan_determinismE0ELb0ES3_N6thrust23THRUST_200600_302600_NS10device_ptrIiEESB_SB_iNS9_4plusIvEENS9_8equal_toIvEEiEE10hipError_tPvRmT2_T3_T4_T5_mT6_T7_P12ihipStream_tbENKUlT_T0_E_clISt17integral_constantIbLb0EESW_EEDaSR_SS_EUlSR_E_NS1_11comp_targetILNS1_3genE10ELNS1_11target_archE1201ELNS1_3gpuE5ELNS1_3repE0EEENS1_30default_config_static_selectorELNS0_4arch9wavefront6targetE1EEEvT1_, .Lfunc_end2196-_ZN7rocprim17ROCPRIM_400000_NS6detail17trampoline_kernelINS0_14default_configENS1_27scan_by_key_config_selectorIiiEEZZNS1_16scan_by_key_implILNS1_25lookback_scan_determinismE0ELb0ES3_N6thrust23THRUST_200600_302600_NS10device_ptrIiEESB_SB_iNS9_4plusIvEENS9_8equal_toIvEEiEE10hipError_tPvRmT2_T3_T4_T5_mT6_T7_P12ihipStream_tbENKUlT_T0_E_clISt17integral_constantIbLb0EESW_EEDaSR_SS_EUlSR_E_NS1_11comp_targetILNS1_3genE10ELNS1_11target_archE1201ELNS1_3gpuE5ELNS1_3repE0EEENS1_30default_config_static_selectorELNS0_4arch9wavefront6targetE1EEEvT1_
                                        ; -- End function
	.section	.AMDGPU.csdata,"",@progbits
; Kernel info:
; codeLenInByte = 0
; NumSgprs: 6
; NumVgprs: 0
; NumAgprs: 0
; TotalNumVgprs: 0
; ScratchSize: 0
; MemoryBound: 0
; FloatMode: 240
; IeeeMode: 1
; LDSByteSize: 0 bytes/workgroup (compile time only)
; SGPRBlocks: 0
; VGPRBlocks: 0
; NumSGPRsForWavesPerEU: 6
; NumVGPRsForWavesPerEU: 1
; AccumOffset: 4
; Occupancy: 8
; WaveLimiterHint : 0
; COMPUTE_PGM_RSRC2:SCRATCH_EN: 0
; COMPUTE_PGM_RSRC2:USER_SGPR: 2
; COMPUTE_PGM_RSRC2:TRAP_HANDLER: 0
; COMPUTE_PGM_RSRC2:TGID_X_EN: 1
; COMPUTE_PGM_RSRC2:TGID_Y_EN: 0
; COMPUTE_PGM_RSRC2:TGID_Z_EN: 0
; COMPUTE_PGM_RSRC2:TIDIG_COMP_CNT: 0
; COMPUTE_PGM_RSRC3_GFX90A:ACCUM_OFFSET: 0
; COMPUTE_PGM_RSRC3_GFX90A:TG_SPLIT: 0
	.section	.text._ZN7rocprim17ROCPRIM_400000_NS6detail17trampoline_kernelINS0_14default_configENS1_27scan_by_key_config_selectorIiiEEZZNS1_16scan_by_key_implILNS1_25lookback_scan_determinismE0ELb0ES3_N6thrust23THRUST_200600_302600_NS10device_ptrIiEESB_SB_iNS9_4plusIvEENS9_8equal_toIvEEiEE10hipError_tPvRmT2_T3_T4_T5_mT6_T7_P12ihipStream_tbENKUlT_T0_E_clISt17integral_constantIbLb0EESW_EEDaSR_SS_EUlSR_E_NS1_11comp_targetILNS1_3genE5ELNS1_11target_archE942ELNS1_3gpuE9ELNS1_3repE0EEENS1_30default_config_static_selectorELNS0_4arch9wavefront6targetE1EEEvT1_,"axG",@progbits,_ZN7rocprim17ROCPRIM_400000_NS6detail17trampoline_kernelINS0_14default_configENS1_27scan_by_key_config_selectorIiiEEZZNS1_16scan_by_key_implILNS1_25lookback_scan_determinismE0ELb0ES3_N6thrust23THRUST_200600_302600_NS10device_ptrIiEESB_SB_iNS9_4plusIvEENS9_8equal_toIvEEiEE10hipError_tPvRmT2_T3_T4_T5_mT6_T7_P12ihipStream_tbENKUlT_T0_E_clISt17integral_constantIbLb0EESW_EEDaSR_SS_EUlSR_E_NS1_11comp_targetILNS1_3genE5ELNS1_11target_archE942ELNS1_3gpuE9ELNS1_3repE0EEENS1_30default_config_static_selectorELNS0_4arch9wavefront6targetE1EEEvT1_,comdat
	.protected	_ZN7rocprim17ROCPRIM_400000_NS6detail17trampoline_kernelINS0_14default_configENS1_27scan_by_key_config_selectorIiiEEZZNS1_16scan_by_key_implILNS1_25lookback_scan_determinismE0ELb0ES3_N6thrust23THRUST_200600_302600_NS10device_ptrIiEESB_SB_iNS9_4plusIvEENS9_8equal_toIvEEiEE10hipError_tPvRmT2_T3_T4_T5_mT6_T7_P12ihipStream_tbENKUlT_T0_E_clISt17integral_constantIbLb0EESW_EEDaSR_SS_EUlSR_E_NS1_11comp_targetILNS1_3genE5ELNS1_11target_archE942ELNS1_3gpuE9ELNS1_3repE0EEENS1_30default_config_static_selectorELNS0_4arch9wavefront6targetE1EEEvT1_ ; -- Begin function _ZN7rocprim17ROCPRIM_400000_NS6detail17trampoline_kernelINS0_14default_configENS1_27scan_by_key_config_selectorIiiEEZZNS1_16scan_by_key_implILNS1_25lookback_scan_determinismE0ELb0ES3_N6thrust23THRUST_200600_302600_NS10device_ptrIiEESB_SB_iNS9_4plusIvEENS9_8equal_toIvEEiEE10hipError_tPvRmT2_T3_T4_T5_mT6_T7_P12ihipStream_tbENKUlT_T0_E_clISt17integral_constantIbLb0EESW_EEDaSR_SS_EUlSR_E_NS1_11comp_targetILNS1_3genE5ELNS1_11target_archE942ELNS1_3gpuE9ELNS1_3repE0EEENS1_30default_config_static_selectorELNS0_4arch9wavefront6targetE1EEEvT1_
	.globl	_ZN7rocprim17ROCPRIM_400000_NS6detail17trampoline_kernelINS0_14default_configENS1_27scan_by_key_config_selectorIiiEEZZNS1_16scan_by_key_implILNS1_25lookback_scan_determinismE0ELb0ES3_N6thrust23THRUST_200600_302600_NS10device_ptrIiEESB_SB_iNS9_4plusIvEENS9_8equal_toIvEEiEE10hipError_tPvRmT2_T3_T4_T5_mT6_T7_P12ihipStream_tbENKUlT_T0_E_clISt17integral_constantIbLb0EESW_EEDaSR_SS_EUlSR_E_NS1_11comp_targetILNS1_3genE5ELNS1_11target_archE942ELNS1_3gpuE9ELNS1_3repE0EEENS1_30default_config_static_selectorELNS0_4arch9wavefront6targetE1EEEvT1_
	.p2align	8
	.type	_ZN7rocprim17ROCPRIM_400000_NS6detail17trampoline_kernelINS0_14default_configENS1_27scan_by_key_config_selectorIiiEEZZNS1_16scan_by_key_implILNS1_25lookback_scan_determinismE0ELb0ES3_N6thrust23THRUST_200600_302600_NS10device_ptrIiEESB_SB_iNS9_4plusIvEENS9_8equal_toIvEEiEE10hipError_tPvRmT2_T3_T4_T5_mT6_T7_P12ihipStream_tbENKUlT_T0_E_clISt17integral_constantIbLb0EESW_EEDaSR_SS_EUlSR_E_NS1_11comp_targetILNS1_3genE5ELNS1_11target_archE942ELNS1_3gpuE9ELNS1_3repE0EEENS1_30default_config_static_selectorELNS0_4arch9wavefront6targetE1EEEvT1_,@function
_ZN7rocprim17ROCPRIM_400000_NS6detail17trampoline_kernelINS0_14default_configENS1_27scan_by_key_config_selectorIiiEEZZNS1_16scan_by_key_implILNS1_25lookback_scan_determinismE0ELb0ES3_N6thrust23THRUST_200600_302600_NS10device_ptrIiEESB_SB_iNS9_4plusIvEENS9_8equal_toIvEEiEE10hipError_tPvRmT2_T3_T4_T5_mT6_T7_P12ihipStream_tbENKUlT_T0_E_clISt17integral_constantIbLb0EESW_EEDaSR_SS_EUlSR_E_NS1_11comp_targetILNS1_3genE5ELNS1_11target_archE942ELNS1_3gpuE9ELNS1_3repE0EEENS1_30default_config_static_selectorELNS0_4arch9wavefront6targetE1EEEvT1_: ; @_ZN7rocprim17ROCPRIM_400000_NS6detail17trampoline_kernelINS0_14default_configENS1_27scan_by_key_config_selectorIiiEEZZNS1_16scan_by_key_implILNS1_25lookback_scan_determinismE0ELb0ES3_N6thrust23THRUST_200600_302600_NS10device_ptrIiEESB_SB_iNS9_4plusIvEENS9_8equal_toIvEEiEE10hipError_tPvRmT2_T3_T4_T5_mT6_T7_P12ihipStream_tbENKUlT_T0_E_clISt17integral_constantIbLb0EESW_EEDaSR_SS_EUlSR_E_NS1_11comp_targetILNS1_3genE5ELNS1_11target_archE942ELNS1_3gpuE9ELNS1_3repE0EEENS1_30default_config_static_selectorELNS0_4arch9wavefront6targetE1EEEvT1_
; %bb.0:
	s_load_dwordx8 s[52:59], s[0:1], 0x0
	s_load_dwordx4 s[68:71], s[0:1], 0x28
	s_load_dwordx2 s[74:75], s[0:1], 0x38
	s_load_dword s3, s[0:1], 0x40
	s_load_dwordx8 s[60:67], s[0:1], 0x48
	s_waitcnt lgkmcnt(0)
	s_lshl_b64 s[72:73], s[54:55], 2
	s_add_u32 s4, s52, s72
	s_addc_u32 s5, s53, s73
	s_add_u32 s6, s56, s72
	s_mul_i32 s0, s75, s3
	s_mul_hi_u32 s1, s74, s3
	s_addc_u32 s7, s57, s73
	s_add_i32 s8, s1, s0
	s_cmp_lg_u64 s[64:65], 0
	s_mul_i32 s0, s2, 0x1700
	s_mov_b32 s1, 0
	s_cselect_b64 s[64:65], -1, 0
	s_lshl_b64 s[56:57], s[0:1], 2
	s_add_u32 s54, s4, s56
	s_addc_u32 s55, s5, s57
	s_add_u32 s52, s6, s56
	s_mul_i32 s3, s74, s3
	s_addc_u32 s53, s7, s57
	s_add_u32 s76, s3, s2
	s_addc_u32 s77, s8, 0
	s_add_u32 s4, s60, -1
	s_addc_u32 s5, s61, -1
	v_mov_b64_e32 v[2:3], s[4:5]
	v_cmp_ge_u64_e64 s[0:1], s[76:77], v[2:3]
	s_mov_b64 s[10:11], 0
	s_mov_b64 s[6:7], -1
	s_and_b64 vcc, exec, s[0:1]
	s_mul_i32 s33, s4, 0xffffe900
	s_barrier
	s_cbranch_vccz .LBB2197_122
; %bb.1:
	v_mov_b64_e32 v[2:3], s[54:55]
	flat_load_dword v1, v[2:3]
	s_add_i32 s3, s33, s70
	v_cmp_gt_u32_e64 s[50:51], s3, v0
	s_waitcnt vmcnt(0) lgkmcnt(0)
	v_mov_b32_e32 v4, v1
	s_and_saveexec_b64 s[4:5], s[50:51]
	s_cbranch_execz .LBB2197_3
; %bb.2:
	v_lshlrev_b32_e32 v2, 2, v0
	v_mov_b32_e32 v3, 0
	v_lshl_add_u64 v[2:3], s[54:55], 0, v[2:3]
	flat_load_dword v4, v[2:3]
.LBB2197_3:
	s_or_b64 exec, exec, s[4:5]
	v_or_b32_e32 v2, 0x100, v0
	v_cmp_gt_u32_e64 s[4:5], s3, v2
	v_mov_b32_e32 v5, v1
	s_and_saveexec_b64 s[6:7], s[4:5]
	s_cbranch_execz .LBB2197_5
; %bb.4:
	v_lshlrev_b32_e32 v2, 2, v0
	v_mov_b32_e32 v3, 0
	v_lshl_add_u64 v[2:3], s[54:55], 0, v[2:3]
	flat_load_dword v5, v[2:3] offset:1024
.LBB2197_5:
	s_or_b64 exec, exec, s[6:7]
	v_or_b32_e32 v2, 0x200, v0
	v_cmp_gt_u32_e64 s[6:7], s3, v2
	v_mov_b32_e32 v6, v1
	s_and_saveexec_b64 s[8:9], s[6:7]
	s_cbranch_execz .LBB2197_7
; %bb.6:
	v_lshlrev_b32_e32 v2, 2, v0
	v_mov_b32_e32 v3, 0
	v_lshl_add_u64 v[2:3], s[54:55], 0, v[2:3]
	flat_load_dword v6, v[2:3] offset:2048
.LBB2197_7:
	s_or_b64 exec, exec, s[8:9]
	v_or_b32_e32 v2, 0x300, v0
	v_cmp_gt_u32_e64 s[8:9], s3, v2
	v_mov_b32_e32 v7, v1
	s_and_saveexec_b64 s[10:11], s[8:9]
	s_cbranch_execz .LBB2197_9
; %bb.8:
	v_lshlrev_b32_e32 v2, 2, v0
	v_mov_b32_e32 v3, 0
	v_lshl_add_u64 v[2:3], s[54:55], 0, v[2:3]
	flat_load_dword v7, v[2:3] offset:3072
.LBB2197_9:
	s_or_b64 exec, exec, s[10:11]
	v_or_b32_e32 v2, 0x400, v0
	v_cmp_gt_u32_e64 s[10:11], s3, v2
	v_lshlrev_b32_e32 v2, 2, v2
	v_mov_b32_e32 v3, v1
	s_and_saveexec_b64 s[12:13], s[10:11]
	s_cbranch_execz .LBB2197_11
; %bb.10:
	v_mov_b32_e32 v3, 0
	v_lshl_add_u64 v[8:9], s[54:55], 0, v[2:3]
	flat_load_dword v3, v[8:9]
.LBB2197_11:
	s_or_b64 exec, exec, s[12:13]
	v_or_b32_e32 v8, 0x500, v0
	v_cmp_gt_u32_e64 s[12:13], s3, v8
	v_lshlrev_b32_e32 v10, 2, v8
	v_mov_b32_e32 v8, v1
	s_and_saveexec_b64 s[14:15], s[12:13]
	s_cbranch_execz .LBB2197_13
; %bb.12:
	v_mov_b32_e32 v11, 0
	v_lshl_add_u64 v[8:9], s[54:55], 0, v[10:11]
	flat_load_dword v8, v[8:9]
.LBB2197_13:
	;; [unrolled: 12-line block ×18, first 2 shown]
	s_or_b64 exec, exec, s[48:49]
	v_or_b32_e32 v41, 0x1600, v0
	v_cmp_gt_u32_e64 s[48:49], s3, v41
	v_lshlrev_b32_e32 v46, 2, v41
	s_and_saveexec_b64 s[60:61], s[48:49]
	s_cbranch_execz .LBB2197_47
; %bb.46:
	v_mov_b32_e32 v47, 0
	v_lshl_add_u64 v[44:45], s[54:55], 0, v[46:47]
	flat_load_dword v1, v[44:45]
.LBB2197_47:
	s_or_b64 exec, exec, s[60:61]
	v_lshlrev_b32_e32 v44, 2, v0
	s_movk_i32 s60, 0x58
	s_waitcnt vmcnt(0) lgkmcnt(0)
	ds_write2st64_b32 v44, v4, v5 offset1:4
	ds_write2st64_b32 v44, v6, v7 offset0:8 offset1:12
	ds_write2st64_b32 v44, v3, v8 offset0:16 offset1:20
	;; [unrolled: 1-line block ×10, first 2 shown]
	ds_write_b32 v44, v1 offset:22528
	v_mad_u32_u24 v1, v0, s60, v44
	s_waitcnt lgkmcnt(0)
	s_barrier
	ds_read2_b32 v[68:69], v1 offset1:1
	ds_read2_b32 v[66:67], v1 offset0:2 offset1:3
	ds_read2_b32 v[64:65], v1 offset0:4 offset1:5
	;; [unrolled: 1-line block ×10, first 2 shown]
	ds_read_b32 v72, v1 offset:88
	s_cmp_eq_u64 s[76:77], 0
	s_mov_b64 s[60:61], s[54:55]
	s_cbranch_scc1 .LBB2197_51
; %bb.48:
	s_andn2_b64 vcc, exec, s[64:65]
	s_cbranch_vccnz .LBB2197_263
; %bb.49:
	s_lshl_b64 s[60:61], s[76:77], 2
	s_add_u32 s60, s66, s60
	s_addc_u32 s61, s67, s61
	s_add_u32 s60, s60, -4
	s_addc_u32 s61, s61, -1
	s_cbranch_execnz .LBB2197_51
.LBB2197_50:
	s_add_u32 s60, s54, -4
	s_addc_u32 s61, s55, -1
.LBB2197_51:
	v_mov_b64_e32 v[48:49], s[60:61]
	flat_load_dword v70, v[48:49]
	s_movk_i32 s60, 0xffa8
	v_mad_i32_i24 v3, v0, s60, v1
	v_cmp_ne_u32_e32 vcc, 0, v0
	s_waitcnt lgkmcnt(0)
	ds_write_b32 v3, v72 offset:23552
	s_waitcnt lgkmcnt(0)
	s_barrier
	s_and_saveexec_b64 s[60:61], vcc
	s_cbranch_execz .LBB2197_53
; %bb.52:
	v_mul_i32_i24_e32 v3, 0xffffffa8, v0
	v_add_u32_e32 v3, v1, v3
	s_waitcnt vmcnt(0)
	ds_read_b32 v70, v3 offset:23548
.LBB2197_53:
	s_or_b64 exec, exec, s[60:61]
	v_mov_b32_e32 v45, 0
	s_waitcnt lgkmcnt(0)
	s_barrier
	s_waitcnt lgkmcnt(0)
                                        ; implicit-def: $vgpr48
	s_and_saveexec_b64 s[60:61], s[50:51]
	s_cbranch_execnz .LBB2197_239
; %bb.54:
	s_or_b64 exec, exec, s[60:61]
                                        ; implicit-def: $vgpr49
	s_and_saveexec_b64 s[50:51], s[4:5]
	s_cbranch_execnz .LBB2197_240
.LBB2197_55:
	s_or_b64 exec, exec, s[50:51]
                                        ; implicit-def: $vgpr50
	s_and_saveexec_b64 s[4:5], s[6:7]
	s_cbranch_execnz .LBB2197_241
.LBB2197_56:
	s_or_b64 exec, exec, s[4:5]
                                        ; implicit-def: $vgpr45
	s_and_saveexec_b64 s[4:5], s[8:9]
	s_cbranch_execnz .LBB2197_242
.LBB2197_57:
	s_or_b64 exec, exec, s[4:5]
                                        ; implicit-def: $vgpr3
	s_and_saveexec_b64 s[4:5], s[10:11]
	s_cbranch_execnz .LBB2197_243
.LBB2197_58:
	s_or_b64 exec, exec, s[4:5]
                                        ; implicit-def: $vgpr2
	s_and_saveexec_b64 s[4:5], s[12:13]
	s_cbranch_execnz .LBB2197_244
.LBB2197_59:
	s_or_b64 exec, exec, s[4:5]
                                        ; implicit-def: $vgpr10
	s_and_saveexec_b64 s[4:5], s[14:15]
	s_cbranch_execnz .LBB2197_245
.LBB2197_60:
	s_or_b64 exec, exec, s[4:5]
                                        ; implicit-def: $vgpr11
	s_and_saveexec_b64 s[4:5], s[16:17]
	s_cbranch_execnz .LBB2197_246
.LBB2197_61:
	s_or_b64 exec, exec, s[4:5]
                                        ; implicit-def: $vgpr12
	s_and_saveexec_b64 s[4:5], s[18:19]
	s_cbranch_execnz .LBB2197_247
.LBB2197_62:
	s_or_b64 exec, exec, s[4:5]
                                        ; implicit-def: $vgpr13
	s_and_saveexec_b64 s[4:5], s[20:21]
	s_cbranch_execnz .LBB2197_248
.LBB2197_63:
	s_or_b64 exec, exec, s[4:5]
                                        ; implicit-def: $vgpr14
	s_and_saveexec_b64 s[4:5], s[22:23]
	s_cbranch_execnz .LBB2197_249
.LBB2197_64:
	s_or_b64 exec, exec, s[4:5]
                                        ; implicit-def: $vgpr15
	s_and_saveexec_b64 s[4:5], s[24:25]
	s_cbranch_execnz .LBB2197_250
.LBB2197_65:
	s_or_b64 exec, exec, s[4:5]
                                        ; implicit-def: $vgpr16
	s_and_saveexec_b64 s[4:5], s[26:27]
	s_cbranch_execnz .LBB2197_251
.LBB2197_66:
	s_or_b64 exec, exec, s[4:5]
                                        ; implicit-def: $vgpr17
	s_and_saveexec_b64 s[4:5], s[28:29]
	s_cbranch_execnz .LBB2197_252
.LBB2197_67:
	s_or_b64 exec, exec, s[4:5]
                                        ; implicit-def: $vgpr18
	s_and_saveexec_b64 s[4:5], s[30:31]
	s_cbranch_execnz .LBB2197_253
.LBB2197_68:
	s_or_b64 exec, exec, s[4:5]
                                        ; implicit-def: $vgpr19
	s_and_saveexec_b64 s[4:5], s[34:35]
	s_cbranch_execnz .LBB2197_254
.LBB2197_69:
	s_or_b64 exec, exec, s[4:5]
                                        ; implicit-def: $vgpr20
	s_and_saveexec_b64 s[4:5], s[36:37]
	s_cbranch_execnz .LBB2197_255
.LBB2197_70:
	s_or_b64 exec, exec, s[4:5]
                                        ; implicit-def: $vgpr21
	s_and_saveexec_b64 s[4:5], s[38:39]
	s_cbranch_execnz .LBB2197_256
.LBB2197_71:
	s_or_b64 exec, exec, s[4:5]
                                        ; implicit-def: $vgpr22
	s_and_saveexec_b64 s[4:5], s[40:41]
	s_cbranch_execnz .LBB2197_257
.LBB2197_72:
	s_or_b64 exec, exec, s[4:5]
                                        ; implicit-def: $vgpr23
	s_and_saveexec_b64 s[4:5], s[42:43]
	s_cbranch_execnz .LBB2197_258
.LBB2197_73:
	s_or_b64 exec, exec, s[4:5]
                                        ; implicit-def: $vgpr24
	s_and_saveexec_b64 s[4:5], s[44:45]
	s_cbranch_execnz .LBB2197_259
.LBB2197_74:
	s_or_b64 exec, exec, s[4:5]
                                        ; implicit-def: $vgpr25
	s_and_saveexec_b64 s[4:5], s[46:47]
	s_cbranch_execnz .LBB2197_260
.LBB2197_75:
	s_or_b64 exec, exec, s[4:5]
                                        ; implicit-def: $vgpr26
	s_and_saveexec_b64 s[4:5], s[48:49]
	s_cbranch_execz .LBB2197_77
.LBB2197_76:
	v_mov_b32_e32 v47, 0
	v_lshl_add_u64 v[26:27], s[52:53], 0, v[46:47]
	flat_load_dword v26, v[26:27]
.LBB2197_77:
	s_or_b64 exec, exec, s[4:5]
	v_mul_u32_u24_e32 v73, 23, v0
	s_waitcnt vmcnt(0) lgkmcnt(0)
	ds_write2st64_b32 v44, v48, v49 offset1:4
	ds_write2st64_b32 v44, v50, v45 offset0:8 offset1:12
	ds_write2st64_b32 v44, v3, v2 offset0:16 offset1:20
	ds_write2st64_b32 v44, v10, v11 offset0:24 offset1:28
	ds_write2st64_b32 v44, v12, v13 offset0:32 offset1:36
	ds_write2st64_b32 v44, v14, v15 offset0:40 offset1:44
	ds_write2st64_b32 v44, v16, v17 offset0:48 offset1:52
	ds_write2st64_b32 v44, v18, v19 offset0:56 offset1:60
	ds_write2st64_b32 v44, v20, v21 offset0:64 offset1:68
	ds_write2st64_b32 v44, v22, v23 offset0:72 offset1:76
	ds_write2st64_b32 v44, v24, v25 offset0:80 offset1:84
	ds_write_b32 v44, v26 offset:22528
	v_mov_b64_e32 v[10:11], 0
	v_cmp_gt_u32_e32 vcc, s3, v73
	s_mov_b64 s[10:11], 0
	s_mov_b64 s[6:7], 0
	v_mov_b64_e32 v[12:13], v[10:11]
	v_mov_b64_e32 v[14:15], v[10:11]
	;; [unrolled: 1-line block ×21, first 2 shown]
	s_waitcnt lgkmcnt(0)
	s_barrier
	s_waitcnt lgkmcnt(0)
                                        ; implicit-def: $sgpr4_sgpr5
                                        ; implicit-def: $vgpr3
	s_and_saveexec_b64 s[8:9], vcc
	s_cbranch_execz .LBB2197_121
; %bb.78:
	ds_read_b32 v10, v1
	v_add_u32_e32 v2, 1, v73
	v_cmp_ne_u32_e32 vcc, v70, v68
	v_mov_b64_e32 v[12:13], 0
	s_mov_b64 s[12:13], 0
	v_cndmask_b32_e64 v11, 0, 1, vcc
	v_cmp_gt_u32_e32 vcc, s3, v2
	s_mov_b64 s[4:5], 0
	v_mov_b64_e32 v[14:15], v[12:13]
	v_mov_b64_e32 v[16:17], v[12:13]
	;; [unrolled: 1-line block ×20, first 2 shown]
                                        ; implicit-def: $sgpr14_sgpr15
                                        ; implicit-def: $vgpr3
	s_and_saveexec_b64 s[10:11], vcc
	s_cbranch_execz .LBB2197_120
; %bb.79:
	ds_read2_b32 v[70:71], v1 offset0:1 offset1:2
	v_add_u32_e32 v2, 2, v73
	v_cmp_ne_u32_e32 vcc, v68, v69
	v_mov_b64_e32 v[14:15], 0
	s_mov_b64 s[16:17], 0
	v_cndmask_b32_e64 v13, 0, 1, vcc
	v_cmp_gt_u32_e32 vcc, s3, v2
	s_waitcnt lgkmcnt(0)
	v_mov_b32_e32 v12, v70
	v_mov_b64_e32 v[16:17], v[14:15]
	v_mov_b64_e32 v[18:19], v[14:15]
	v_mov_b64_e32 v[20:21], v[14:15]
	v_mov_b64_e32 v[22:23], v[14:15]
	v_mov_b64_e32 v[24:25], v[14:15]
	v_mov_b64_e32 v[26:27], v[14:15]
	v_mov_b64_e32 v[28:29], v[14:15]
	v_mov_b64_e32 v[30:31], v[14:15]
	v_mov_b64_e32 v[32:33], v[14:15]
	v_mov_b64_e32 v[34:35], v[14:15]
	v_mov_b64_e32 v[36:37], v[14:15]
	v_mov_b64_e32 v[38:39], v[14:15]
	v_mov_b64_e32 v[40:41], v[14:15]
	v_mov_b64_e32 v[42:43], v[14:15]
	v_mov_b64_e32 v[44:45], v[14:15]
	v_mov_b64_e32 v[46:47], v[14:15]
	v_mov_b64_e32 v[48:49], v[14:15]
	v_mov_b64_e32 v[50:51], v[14:15]
	v_mov_b64_e32 v[52:53], v[14:15]
                                        ; implicit-def: $sgpr14_sgpr15
                                        ; implicit-def: $vgpr3
	s_and_saveexec_b64 s[12:13], vcc
	s_cbranch_execz .LBB2197_119
; %bb.80:
	v_add_u32_e32 v2, 3, v73
	v_cmp_ne_u32_e32 vcc, v69, v66
	v_mov_b64_e32 v[16:17], 0
	v_mov_b32_e32 v14, v71
	v_cndmask_b32_e64 v15, 0, 1, vcc
	v_cmp_gt_u32_e32 vcc, s3, v2
	v_mov_b64_e32 v[18:19], v[16:17]
	v_mov_b64_e32 v[20:21], v[16:17]
	;; [unrolled: 1-line block ×18, first 2 shown]
                                        ; implicit-def: $sgpr18_sgpr19
                                        ; implicit-def: $vgpr3
	s_and_saveexec_b64 s[14:15], vcc
	s_cbranch_execz .LBB2197_118
; %bb.81:
	ds_read2_b32 v[68:69], v1 offset0:3 offset1:4
	v_add_u32_e32 v2, 4, v73
	v_cmp_ne_u32_e32 vcc, v66, v67
	v_mov_b64_e32 v[18:19], 0
	s_mov_b64 s[20:21], 0
	v_cndmask_b32_e64 v17, 0, 1, vcc
	v_cmp_gt_u32_e32 vcc, s3, v2
	s_waitcnt lgkmcnt(0)
	v_mov_b32_e32 v16, v68
	v_mov_b64_e32 v[20:21], v[18:19]
	v_mov_b64_e32 v[22:23], v[18:19]
	;; [unrolled: 1-line block ×17, first 2 shown]
                                        ; implicit-def: $sgpr18_sgpr19
                                        ; implicit-def: $vgpr3
	s_and_saveexec_b64 s[16:17], vcc
	s_cbranch_execz .LBB2197_117
; %bb.82:
	v_add_u32_e32 v2, 5, v73
	v_cmp_ne_u32_e32 vcc, v67, v64
	v_mov_b64_e32 v[20:21], 0
	v_mov_b32_e32 v18, v69
	v_cndmask_b32_e64 v19, 0, 1, vcc
	v_cmp_gt_u32_e32 vcc, s3, v2
	v_mov_b64_e32 v[22:23], v[20:21]
	v_mov_b64_e32 v[24:25], v[20:21]
	;; [unrolled: 1-line block ×16, first 2 shown]
                                        ; implicit-def: $sgpr22_sgpr23
                                        ; implicit-def: $vgpr3
	s_and_saveexec_b64 s[18:19], vcc
	s_cbranch_execz .LBB2197_116
; %bb.83:
	ds_read2_b32 v[66:67], v1 offset0:5 offset1:6
	v_add_u32_e32 v2, 6, v73
	v_cmp_ne_u32_e32 vcc, v64, v65
	v_mov_b64_e32 v[22:23], 0
	s_mov_b64 s[24:25], 0
	v_cndmask_b32_e64 v21, 0, 1, vcc
	v_cmp_gt_u32_e32 vcc, s3, v2
	s_waitcnt lgkmcnt(0)
	v_mov_b32_e32 v20, v66
	v_mov_b64_e32 v[24:25], v[22:23]
	v_mov_b64_e32 v[26:27], v[22:23]
	;; [unrolled: 1-line block ×15, first 2 shown]
                                        ; implicit-def: $sgpr22_sgpr23
                                        ; implicit-def: $vgpr3
	s_and_saveexec_b64 s[20:21], vcc
	s_cbranch_execz .LBB2197_115
; %bb.84:
	v_add_u32_e32 v2, 7, v73
	v_cmp_ne_u32_e32 vcc, v65, v62
	v_mov_b64_e32 v[24:25], 0
	v_mov_b32_e32 v22, v67
	v_cndmask_b32_e64 v23, 0, 1, vcc
	v_cmp_gt_u32_e32 vcc, s3, v2
	v_mov_b64_e32 v[26:27], v[24:25]
	v_mov_b64_e32 v[28:29], v[24:25]
	;; [unrolled: 1-line block ×14, first 2 shown]
                                        ; implicit-def: $sgpr26_sgpr27
                                        ; implicit-def: $vgpr3
	s_and_saveexec_b64 s[22:23], vcc
	s_cbranch_execz .LBB2197_114
; %bb.85:
	ds_read2_b32 v[64:65], v1 offset0:7 offset1:8
	v_add_u32_e32 v2, 8, v73
	v_cmp_ne_u32_e32 vcc, v62, v63
	v_mov_b64_e32 v[26:27], 0
	s_mov_b64 s[28:29], 0
	v_cndmask_b32_e64 v25, 0, 1, vcc
	v_cmp_gt_u32_e32 vcc, s3, v2
	s_waitcnt lgkmcnt(0)
	v_mov_b32_e32 v24, v64
	v_mov_b64_e32 v[28:29], v[26:27]
	v_mov_b64_e32 v[30:31], v[26:27]
	;; [unrolled: 1-line block ×13, first 2 shown]
                                        ; implicit-def: $sgpr26_sgpr27
                                        ; implicit-def: $vgpr3
	s_and_saveexec_b64 s[24:25], vcc
	s_cbranch_execz .LBB2197_113
; %bb.86:
	v_add_u32_e32 v2, 9, v73
	v_cmp_ne_u32_e32 vcc, v63, v60
	v_mov_b64_e32 v[28:29], 0
	v_mov_b32_e32 v26, v65
	v_cndmask_b32_e64 v27, 0, 1, vcc
	v_cmp_gt_u32_e32 vcc, s3, v2
	v_mov_b64_e32 v[30:31], v[28:29]
	v_mov_b64_e32 v[32:33], v[28:29]
	;; [unrolled: 1-line block ×12, first 2 shown]
                                        ; implicit-def: $sgpr30_sgpr31
                                        ; implicit-def: $vgpr3
	s_and_saveexec_b64 s[26:27], vcc
	s_cbranch_execz .LBB2197_112
; %bb.87:
	ds_read2_b32 v[62:63], v1 offset0:9 offset1:10
	v_add_u32_e32 v2, 10, v73
	v_cmp_ne_u32_e32 vcc, v60, v61
	v_mov_b64_e32 v[30:31], 0
	s_mov_b64 s[34:35], 0
	v_cndmask_b32_e64 v29, 0, 1, vcc
	v_cmp_gt_u32_e32 vcc, s3, v2
	s_waitcnt lgkmcnt(0)
	v_mov_b32_e32 v28, v62
	v_mov_b64_e32 v[32:33], v[30:31]
	v_mov_b64_e32 v[34:35], v[30:31]
	;; [unrolled: 1-line block ×11, first 2 shown]
                                        ; implicit-def: $sgpr30_sgpr31
                                        ; implicit-def: $vgpr3
	s_and_saveexec_b64 s[28:29], vcc
	s_cbranch_execz .LBB2197_111
; %bb.88:
	v_add_u32_e32 v2, 11, v73
	v_cmp_ne_u32_e32 vcc, v61, v58
	v_mov_b64_e32 v[32:33], 0
	v_mov_b32_e32 v30, v63
	v_cndmask_b32_e64 v31, 0, 1, vcc
	v_cmp_gt_u32_e32 vcc, s3, v2
	v_mov_b64_e32 v[34:35], v[32:33]
	v_mov_b64_e32 v[36:37], v[32:33]
	;; [unrolled: 1-line block ×10, first 2 shown]
                                        ; implicit-def: $sgpr36_sgpr37
                                        ; implicit-def: $vgpr3
	s_and_saveexec_b64 s[30:31], vcc
	s_cbranch_execz .LBB2197_110
; %bb.89:
	ds_read2_b32 v[60:61], v1 offset0:11 offset1:12
	v_add_u32_e32 v2, 12, v73
	v_cmp_ne_u32_e32 vcc, v58, v59
	v_mov_b64_e32 v[34:35], 0
	s_mov_b64 s[38:39], 0
	v_cndmask_b32_e64 v33, 0, 1, vcc
	v_cmp_gt_u32_e32 vcc, s3, v2
	s_waitcnt lgkmcnt(0)
	v_mov_b32_e32 v32, v60
	v_mov_b64_e32 v[36:37], v[34:35]
	v_mov_b64_e32 v[38:39], v[34:35]
	;; [unrolled: 1-line block ×9, first 2 shown]
                                        ; implicit-def: $sgpr36_sgpr37
                                        ; implicit-def: $vgpr3
	s_and_saveexec_b64 s[34:35], vcc
	s_cbranch_execz .LBB2197_109
; %bb.90:
	v_add_u32_e32 v2, 13, v73
	v_cmp_ne_u32_e32 vcc, v59, v56
	v_mov_b64_e32 v[36:37], 0
	v_mov_b32_e32 v34, v61
	v_cndmask_b32_e64 v35, 0, 1, vcc
	v_cmp_gt_u32_e32 vcc, s3, v2
	v_mov_b64_e32 v[38:39], v[36:37]
	v_mov_b64_e32 v[40:41], v[36:37]
	;; [unrolled: 1-line block ×8, first 2 shown]
                                        ; implicit-def: $sgpr40_sgpr41
                                        ; implicit-def: $vgpr3
	s_and_saveexec_b64 s[36:37], vcc
	s_cbranch_execz .LBB2197_108
; %bb.91:
	ds_read2_b32 v[58:59], v1 offset0:13 offset1:14
	v_add_u32_e32 v2, 14, v73
	v_cmp_ne_u32_e32 vcc, v56, v57
	v_mov_b64_e32 v[38:39], 0
	s_mov_b64 s[42:43], 0
	v_cndmask_b32_e64 v37, 0, 1, vcc
	v_cmp_gt_u32_e32 vcc, s3, v2
	s_waitcnt lgkmcnt(0)
	v_mov_b32_e32 v36, v58
	v_mov_b64_e32 v[40:41], v[38:39]
	v_mov_b64_e32 v[42:43], v[38:39]
	;; [unrolled: 1-line block ×7, first 2 shown]
                                        ; implicit-def: $sgpr40_sgpr41
                                        ; implicit-def: $vgpr3
	s_and_saveexec_b64 s[38:39], vcc
	s_cbranch_execz .LBB2197_107
; %bb.92:
	v_add_u32_e32 v2, 15, v73
	v_cmp_ne_u32_e32 vcc, v57, v54
	v_mov_b64_e32 v[40:41], 0
	v_mov_b32_e32 v38, v59
	v_cndmask_b32_e64 v39, 0, 1, vcc
	v_cmp_gt_u32_e32 vcc, s3, v2
	v_mov_b64_e32 v[42:43], v[40:41]
	v_mov_b64_e32 v[44:45], v[40:41]
	;; [unrolled: 1-line block ×6, first 2 shown]
                                        ; implicit-def: $sgpr44_sgpr45
                                        ; implicit-def: $vgpr3
	s_and_saveexec_b64 s[40:41], vcc
	s_cbranch_execz .LBB2197_106
; %bb.93:
	ds_read2_b32 v[56:57], v1 offset0:15 offset1:16
	v_add_u32_e32 v2, 16, v73
	v_cmp_ne_u32_e32 vcc, v54, v55
	v_mov_b64_e32 v[42:43], 0
	s_mov_b64 s[46:47], 0
	v_cndmask_b32_e64 v41, 0, 1, vcc
	v_cmp_gt_u32_e32 vcc, s3, v2
	s_waitcnt lgkmcnt(0)
	v_mov_b32_e32 v40, v56
	v_mov_b64_e32 v[44:45], v[42:43]
	v_mov_b64_e32 v[46:47], v[42:43]
	;; [unrolled: 1-line block ×5, first 2 shown]
                                        ; implicit-def: $sgpr44_sgpr45
                                        ; implicit-def: $vgpr3
	s_and_saveexec_b64 s[42:43], vcc
	s_cbranch_execz .LBB2197_105
; %bb.94:
	v_add_u32_e32 v2, 17, v73
	v_cmp_ne_u32_e32 vcc, v55, v8
	v_mov_b64_e32 v[44:45], 0
	v_mov_b32_e32 v42, v57
	v_cndmask_b32_e64 v43, 0, 1, vcc
	v_cmp_gt_u32_e32 vcc, s3, v2
	v_mov_b64_e32 v[46:47], v[44:45]
	v_mov_b64_e32 v[48:49], v[44:45]
	;; [unrolled: 1-line block ×4, first 2 shown]
                                        ; implicit-def: $sgpr48_sgpr49
                                        ; implicit-def: $vgpr3
	s_and_saveexec_b64 s[44:45], vcc
	s_cbranch_execz .LBB2197_104
; %bb.95:
	ds_read2_b32 v[54:55], v1 offset0:17 offset1:18
	v_add_u32_e32 v2, 18, v73
	v_cmp_ne_u32_e32 vcc, v8, v9
	v_mov_b64_e32 v[46:47], 0
	s_mov_b64 s[50:51], 0
	v_cndmask_b32_e64 v45, 0, 1, vcc
	v_cmp_gt_u32_e32 vcc, s3, v2
	s_waitcnt lgkmcnt(0)
	v_mov_b32_e32 v44, v54
	v_mov_b64_e32 v[48:49], v[46:47]
	v_mov_b64_e32 v[50:51], v[46:47]
	;; [unrolled: 1-line block ×3, first 2 shown]
                                        ; implicit-def: $sgpr48_sgpr49
                                        ; implicit-def: $vgpr3
	s_and_saveexec_b64 s[46:47], vcc
	s_cbranch_execz .LBB2197_103
; %bb.96:
	v_add_u32_e32 v2, 19, v73
	v_cmp_ne_u32_e32 vcc, v9, v6
	v_mov_b64_e32 v[48:49], 0
	v_mov_b32_e32 v46, v55
	v_cndmask_b32_e64 v47, 0, 1, vcc
	v_cmp_gt_u32_e32 vcc, s3, v2
	v_mov_b64_e32 v[50:51], v[48:49]
	v_mov_b64_e32 v[52:53], v[48:49]
                                        ; implicit-def: $sgpr60_sgpr61
                                        ; implicit-def: $vgpr3
	s_and_saveexec_b64 s[48:49], vcc
	s_cbranch_execz .LBB2197_102
; %bb.97:
	ds_read2_b32 v[8:9], v1 offset0:19 offset1:20
	v_add_u32_e32 v2, 20, v73
	v_cmp_ne_u32_e32 vcc, v6, v7
	v_mov_b64_e32 v[50:51], 0
	s_mov_b64 s[60:61], 0
	v_cndmask_b32_e64 v49, 0, 1, vcc
	v_cmp_gt_u32_e32 vcc, s3, v2
	s_waitcnt lgkmcnt(0)
	v_mov_b32_e32 v48, v8
	v_mov_b64_e32 v[52:53], v[50:51]
                                        ; implicit-def: $sgpr78_sgpr79
                                        ; implicit-def: $vgpr3
	s_and_saveexec_b64 s[50:51], vcc
	s_cbranch_execz .LBB2197_101
; %bb.98:
	v_add_u32_e32 v2, 21, v73
	v_cmp_ne_u32_e32 vcc, v7, v4
	v_mov_b32_e32 v50, v9
	v_mov_b64_e32 v[52:53], 0
	v_cndmask_b32_e64 v51, 0, 1, vcc
	v_cmp_gt_u32_e32 vcc, s3, v2
                                        ; implicit-def: $sgpr78_sgpr79
                                        ; implicit-def: $vgpr3
	s_and_saveexec_b64 s[4:5], vcc
	s_xor_b64 s[80:81], exec, s[4:5]
	s_cbranch_execz .LBB2197_100
; %bb.99:
	ds_read2_b32 v[2:3], v1 offset0:21 offset1:22
	v_add_u32_e32 v1, 22, v73
	v_cmp_ne_u32_e64 s[4:5], v4, v5
	v_cmp_ne_u32_e32 vcc, v5, v72
	s_and_b64 s[78:79], vcc, exec
	v_cndmask_b32_e64 v53, 0, 1, s[4:5]
	v_cmp_gt_u32_e64 s[4:5], s3, v1
	s_waitcnt lgkmcnt(0)
	v_mov_b32_e32 v52, v2
	s_and_b64 s[60:61], s[4:5], exec
.LBB2197_100:
	s_or_b64 exec, exec, s[80:81]
	s_and_b64 s[78:79], s[78:79], exec
	s_and_b64 s[4:5], s[60:61], exec
.LBB2197_101:
	s_or_b64 exec, exec, s[50:51]
	s_and_b64 s[60:61], s[78:79], exec
	s_and_b64 s[50:51], s[4:5], exec
.LBB2197_102:
	s_or_b64 exec, exec, s[48:49]
	s_and_b64 s[48:49], s[60:61], exec
	s_and_b64 s[4:5], s[50:51], exec
.LBB2197_103:
	s_or_b64 exec, exec, s[46:47]
	s_and_b64 s[48:49], s[48:49], exec
	s_and_b64 s[46:47], s[4:5], exec
.LBB2197_104:
	s_or_b64 exec, exec, s[44:45]
	s_and_b64 s[44:45], s[48:49], exec
	s_and_b64 s[4:5], s[46:47], exec
.LBB2197_105:
	s_or_b64 exec, exec, s[42:43]
	s_and_b64 s[44:45], s[44:45], exec
	s_and_b64 s[42:43], s[4:5], exec
.LBB2197_106:
	s_or_b64 exec, exec, s[40:41]
	s_and_b64 s[40:41], s[44:45], exec
	s_and_b64 s[4:5], s[42:43], exec
.LBB2197_107:
	s_or_b64 exec, exec, s[38:39]
	s_and_b64 s[40:41], s[40:41], exec
	s_and_b64 s[38:39], s[4:5], exec
.LBB2197_108:
	s_or_b64 exec, exec, s[36:37]
	s_and_b64 s[36:37], s[40:41], exec
	s_and_b64 s[4:5], s[38:39], exec
.LBB2197_109:
	s_or_b64 exec, exec, s[34:35]
	s_and_b64 s[36:37], s[36:37], exec
	s_and_b64 s[34:35], s[4:5], exec
.LBB2197_110:
	s_or_b64 exec, exec, s[30:31]
	s_and_b64 s[30:31], s[36:37], exec
	s_and_b64 s[4:5], s[34:35], exec
.LBB2197_111:
	s_or_b64 exec, exec, s[28:29]
	s_and_b64 s[30:31], s[30:31], exec
	s_and_b64 s[28:29], s[4:5], exec
.LBB2197_112:
	s_or_b64 exec, exec, s[26:27]
	s_and_b64 s[26:27], s[30:31], exec
	s_and_b64 s[4:5], s[28:29], exec
.LBB2197_113:
	s_or_b64 exec, exec, s[24:25]
	s_and_b64 s[26:27], s[26:27], exec
	s_and_b64 s[24:25], s[4:5], exec
.LBB2197_114:
	s_or_b64 exec, exec, s[22:23]
	s_and_b64 s[22:23], s[26:27], exec
	s_and_b64 s[4:5], s[24:25], exec
.LBB2197_115:
	s_or_b64 exec, exec, s[20:21]
	s_and_b64 s[22:23], s[22:23], exec
	s_and_b64 s[20:21], s[4:5], exec
.LBB2197_116:
	s_or_b64 exec, exec, s[18:19]
	s_and_b64 s[18:19], s[22:23], exec
	s_and_b64 s[4:5], s[20:21], exec
.LBB2197_117:
	s_or_b64 exec, exec, s[16:17]
	s_and_b64 s[18:19], s[18:19], exec
	s_and_b64 s[16:17], s[4:5], exec
.LBB2197_118:
	s_or_b64 exec, exec, s[14:15]
	s_and_b64 s[14:15], s[18:19], exec
	s_and_b64 s[4:5], s[16:17], exec
.LBB2197_119:
	s_or_b64 exec, exec, s[12:13]
	s_and_b64 s[14:15], s[14:15], exec
	s_and_b64 s[12:13], s[4:5], exec
.LBB2197_120:
	s_or_b64 exec, exec, s[10:11]
	s_and_b64 s[4:5], s[14:15], exec
	s_and_b64 s[10:11], s[12:13], exec
.LBB2197_121:
	s_or_b64 exec, exec, s[8:9]
	s_mov_b64 s[8:9], 0
	s_and_b64 vcc, exec, s[6:7]
	v_lshlrev_b32_e32 v54, 2, v0
	s_cbranch_vccnz .LBB2197_123
	s_branch .LBB2197_131
.LBB2197_122:
                                        ; implicit-def: $sgpr4_sgpr5
                                        ; implicit-def: $vgpr3
                                        ; implicit-def: $vgpr10_vgpr11
                                        ; implicit-def: $vgpr12_vgpr13
                                        ; implicit-def: $vgpr14_vgpr15
                                        ; implicit-def: $vgpr16_vgpr17
                                        ; implicit-def: $vgpr18_vgpr19
                                        ; implicit-def: $vgpr20_vgpr21
                                        ; implicit-def: $vgpr22_vgpr23
                                        ; implicit-def: $vgpr24_vgpr25
                                        ; implicit-def: $vgpr26_vgpr27
                                        ; implicit-def: $vgpr28_vgpr29
                                        ; implicit-def: $vgpr30_vgpr31
                                        ; implicit-def: $vgpr32_vgpr33
                                        ; implicit-def: $vgpr34_vgpr35
                                        ; implicit-def: $vgpr36_vgpr37
                                        ; implicit-def: $vgpr38_vgpr39
                                        ; implicit-def: $vgpr40_vgpr41
                                        ; implicit-def: $vgpr42_vgpr43
                                        ; implicit-def: $vgpr44_vgpr45
                                        ; implicit-def: $vgpr46_vgpr47
                                        ; implicit-def: $vgpr48_vgpr49
                                        ; implicit-def: $vgpr50_vgpr51
                                        ; implicit-def: $vgpr52_vgpr53
                                        ; implicit-def: $sgpr8_sgpr9
	s_and_b64 vcc, exec, s[6:7]
	v_lshlrev_b32_e32 v54, 2, v0
	s_cbranch_vccz .LBB2197_131
.LBB2197_123:
	v_mov_b32_e32 v55, 0
	v_lshl_add_u64 v[2:3], s[54:55], 0, v[54:55]
	v_add_co_u32_e32 v4, vcc, 0x1000, v2
	s_movk_i32 s3, 0x58
	s_nop 0
	v_addc_co_u32_e32 v5, vcc, 0, v3, vcc
	flat_load_dword v8, v[2:3]
	flat_load_dword v9, v[2:3] offset:1024
	s_waitcnt lgkmcnt(0)
	flat_load_dword v10, v[2:3] offset:2048
	flat_load_dword v11, v[2:3] offset:3072
	flat_load_dword v12, v[4:5]
	flat_load_dword v13, v[4:5] offset:1024
	flat_load_dword v14, v[4:5] offset:2048
	;; [unrolled: 1-line block ×3, first 2 shown]
	v_add_co_u32_e32 v4, vcc, 0x2000, v2
	v_mad_u32_u24 v1, v0, s3, v54
	s_nop 0
	v_addc_co_u32_e32 v5, vcc, 0, v3, vcc
	v_add_co_u32_e32 v6, vcc, 0x3000, v2
	s_cmp_eq_u64 s[76:77], 0
	s_nop 0
	v_addc_co_u32_e32 v7, vcc, 0, v3, vcc
	flat_load_dword v16, v[4:5]
	flat_load_dword v17, v[4:5] offset:1024
	flat_load_dword v18, v[4:5] offset:2048
	;; [unrolled: 1-line block ×3, first 2 shown]
	flat_load_dword v20, v[6:7]
	flat_load_dword v21, v[6:7] offset:1024
	flat_load_dword v22, v[6:7] offset:2048
	;; [unrolled: 1-line block ×3, first 2 shown]
	v_add_co_u32_e32 v4, vcc, 0x4000, v2
	s_nop 1
	v_addc_co_u32_e32 v5, vcc, 0, v3, vcc
	v_add_co_u32_e32 v2, vcc, 0x5000, v2
	s_nop 1
	v_addc_co_u32_e32 v3, vcc, 0, v3, vcc
	flat_load_dword v6, v[4:5]
	flat_load_dword v7, v[4:5] offset:1024
	flat_load_dword v24, v[4:5] offset:2048
	;; [unrolled: 1-line block ×3, first 2 shown]
	flat_load_dword v26, v[2:3]
	flat_load_dword v27, v[2:3] offset:1024
	flat_load_dword v28, v[2:3] offset:2048
	s_waitcnt vmcnt(0)
	ds_write2st64_b32 v54, v8, v9 offset1:4
	s_waitcnt lgkmcnt(0)
	ds_write2st64_b32 v54, v10, v11 offset0:8 offset1:12
	ds_write2st64_b32 v54, v12, v13 offset0:16 offset1:20
	;; [unrolled: 1-line block ×10, first 2 shown]
	ds_write_b32 v54, v28 offset:22528
	s_waitcnt lgkmcnt(0)
	s_barrier
	ds_read2_b32 v[2:3], v1 offset1:1
	ds_read2_b32 v[18:19], v1 offset0:2 offset1:3
	ds_read2_b32 v[22:23], v1 offset0:4 offset1:5
	;; [unrolled: 1-line block ×10, first 2 shown]
	ds_read_b32 v10, v1 offset:88
	s_cbranch_scc1 .LBB2197_128
; %bb.124:
	s_andn2_b64 vcc, exec, s[64:65]
	s_cbranch_vccnz .LBB2197_264
; %bb.125:
	s_lshl_b64 s[4:5], s[76:77], 2
	s_add_u32 s3, s66, s4
	s_addc_u32 s5, s67, s5
	s_add_u32 s4, s3, -4
	s_addc_u32 s5, s5, -1
	s_cbranch_execnz .LBB2197_127
.LBB2197_126:
	s_add_u32 s4, s54, -4
	s_addc_u32 s5, s55, -1
.LBB2197_127:
	s_mov_b64 s[54:55], s[4:5]
.LBB2197_128:
	v_mov_b64_e32 v[12:13], s[54:55]
	flat_load_dword v11, v[12:13]
	s_movk_i32 s3, 0xffa8
	v_mad_i32_i24 v12, v0, s3, v1
	v_cmp_ne_u32_e32 vcc, 0, v0
	s_waitcnt lgkmcnt(0)
	ds_write_b32 v12, v10 offset:23552
	s_waitcnt lgkmcnt(0)
	s_barrier
	s_and_saveexec_b64 s[4:5], vcc
	s_cbranch_execz .LBB2197_130
; %bb.129:
	s_waitcnt vmcnt(0)
	v_mul_i32_i24_e32 v11, 0xffffffa8, v0
	v_add_u32_e32 v11, v1, v11
	ds_read_b32 v11, v11 offset:23548
.LBB2197_130:
	s_or_b64 exec, exec, s[4:5]
	v_mov_b32_e32 v55, 0
	v_lshl_add_u64 v[12:13], s[52:53], 0, v[54:55]
	s_movk_i32 s3, 0x1000
	v_add_co_u32_e32 v14, vcc, s3, v12
	s_movk_i32 s3, 0x2000
	s_nop 0
	v_addc_co_u32_e32 v15, vcc, 0, v13, vcc
	s_waitcnt lgkmcnt(0)
	s_barrier
	flat_load_dword v20, v[12:13]
	flat_load_dword v21, v[12:13] offset:1024
	flat_load_dword v24, v[12:13] offset:2048
	;; [unrolled: 1-line block ×3, first 2 shown]
	flat_load_dword v28, v[14:15]
	flat_load_dword v29, v[14:15] offset:1024
	flat_load_dword v32, v[14:15] offset:2048
	;; [unrolled: 1-line block ×3, first 2 shown]
	v_add_co_u32_e32 v14, vcc, s3, v12
	s_movk_i32 s3, 0x3000
	s_nop 0
	v_addc_co_u32_e32 v15, vcc, 0, v13, vcc
	v_add_co_u32_e32 v16, vcc, s3, v12
	s_movk_i32 s3, 0x4000
	s_nop 0
	v_addc_co_u32_e32 v17, vcc, 0, v13, vcc
	flat_load_dword v36, v[14:15]
	flat_load_dword v37, v[14:15] offset:1024
	flat_load_dword v40, v[14:15] offset:2048
	;; [unrolled: 1-line block ×3, first 2 shown]
	flat_load_dword v44, v[16:17]
	flat_load_dword v45, v[16:17] offset:1024
	flat_load_dword v46, v[16:17] offset:2048
	;; [unrolled: 1-line block ×3, first 2 shown]
	v_add_co_u32_e32 v14, vcc, s3, v12
	s_movk_i32 s3, 0x5000
	s_nop 0
	v_addc_co_u32_e32 v15, vcc, 0, v13, vcc
	v_add_co_u32_e32 v12, vcc, s3, v12
	v_cmp_ne_u32_e64 s[4:5], v5, v10
	s_nop 0
	v_addc_co_u32_e32 v13, vcc, 0, v13, vcc
	flat_load_dword v16, v[14:15]
	flat_load_dword v17, v[14:15] offset:1024
	flat_load_dword v48, v[14:15] offset:2048
	;; [unrolled: 1-line block ×3, first 2 shown]
	flat_load_dword v50, v[12:13]
	flat_load_dword v51, v[12:13] offset:1024
	flat_load_dword v52, v[12:13] offset:2048
	s_waitcnt vmcnt(0)
	v_cmp_ne_u32_e32 vcc, v11, v2
	s_mov_b64 s[10:11], -1
                                        ; implicit-def: $sgpr8_sgpr9
	s_waitcnt lgkmcnt(0)
	ds_write2st64_b32 v54, v20, v21 offset1:4
	ds_write2st64_b32 v54, v24, v25 offset0:8 offset1:12
	ds_write2st64_b32 v54, v28, v29 offset0:16 offset1:20
	;; [unrolled: 1-line block ×10, first 2 shown]
	ds_write_b32 v54, v52 offset:22528
	v_cndmask_b32_e64 v11, 0, 1, vcc
	v_cmp_ne_u32_e32 vcc, v2, v3
	s_waitcnt lgkmcnt(0)
	s_barrier
	v_cndmask_b32_e64 v13, 0, 1, vcc
	v_cmp_ne_u32_e32 vcc, v3, v18
	ds_read2_b32 v[16:17], v1 offset1:1
	ds_read2_b32 v[20:21], v1 offset0:2 offset1:3
	ds_read2_b32 v[24:25], v1 offset0:4 offset1:5
	;; [unrolled: 1-line block ×10, first 2 shown]
	ds_read_b32 v3, v1 offset:88
	v_cndmask_b32_e64 v15, 0, 1, vcc
	v_cmp_ne_u32_e32 vcc, v18, v19
	s_waitcnt lgkmcnt(11)
	v_mov_b32_e32 v12, v17
	v_mov_b32_e32 v10, v16
	v_cndmask_b32_e64 v17, 0, 1, vcc
	v_cmp_ne_u32_e32 vcc, v19, v22
	s_waitcnt lgkmcnt(10)
	v_mov_b32_e32 v16, v21
	v_mov_b32_e32 v14, v20
	;; [unrolled: 5-line block ×5, first 2 shown]
	v_cndmask_b32_e64 v25, 0, 1, vcc
	v_cmp_ne_u32_e32 vcc, v27, v30
	s_waitcnt lgkmcnt(6)
	v_mov_b32_e32 v32, v37
	s_waitcnt lgkmcnt(2)
	v_mov_b32_e32 v48, v51
	v_cndmask_b32_e64 v27, 0, 1, vcc
	v_cmp_ne_u32_e32 vcc, v30, v31
	v_mov_b32_e32 v30, v36
	v_mov_b32_e32 v36, v41
	v_cndmask_b32_e64 v29, 0, 1, vcc
	v_cmp_ne_u32_e32 vcc, v31, v34
	s_waitcnt lgkmcnt(1)
	v_mov_b32_e32 v52, v57
	v_cndmask_b32_e64 v31, 0, 1, vcc
	v_cmp_ne_u32_e32 vcc, v34, v35
	v_mov_b32_e32 v34, v40
	v_mov_b32_e32 v40, v45
	v_cndmask_b32_e64 v33, 0, 1, vcc
	v_cmp_ne_u32_e32 vcc, v35, v38
	s_nop 1
	v_cndmask_b32_e64 v35, 0, 1, vcc
	v_cmp_ne_u32_e32 vcc, v38, v39
	v_mov_b32_e32 v38, v44
	v_mov_b32_e32 v44, v47
	v_cndmask_b32_e64 v37, 0, 1, vcc
	v_cmp_ne_u32_e32 vcc, v39, v42
	s_nop 1
	v_cndmask_b32_e64 v39, 0, 1, vcc
	v_cmp_ne_u32_e32 vcc, v42, v43
	v_mov_b32_e32 v42, v46
	v_mov_b32_e32 v46, v50
	v_cndmask_b32_e64 v41, 0, 1, vcc
	v_cmp_ne_u32_e32 vcc, v43, v8
	v_mov_b32_e32 v50, v56
	s_nop 0
	v_cndmask_b32_e64 v43, 0, 1, vcc
	v_cmp_ne_u32_e32 vcc, v8, v9
	s_nop 1
	v_cndmask_b32_e64 v45, 0, 1, vcc
	v_cmp_ne_u32_e32 vcc, v9, v6
	;; [unrolled: 3-line block ×5, first 2 shown]
	s_nop 1
	v_cndmask_b32_e64 v53, 0, 1, vcc
.LBB2197_131:
	v_mov_b64_e32 v[56:57], s[8:9]
	s_and_saveexec_b64 s[6:7], s[10:11]
	s_cbranch_execz .LBB2197_133
; %bb.132:
	v_cndmask_b32_e64 v57, 0, 1, s[4:5]
	s_waitcnt lgkmcnt(0)
	v_mov_b32_e32 v56, v3
.LBB2197_133:
	s_or_b64 exec, exec, s[6:7]
	s_mov_b32 s46, 0
	s_cmp_lg_u32 s2, 0
	v_or_b32_e32 v55, v57, v53
	v_lshrrev_b32_e32 v1, 5, v0
	v_cmp_gt_u32_e32 vcc, 64, v0
	s_waitcnt lgkmcnt(0)
	s_barrier
	s_cbranch_scc0 .LBB2197_168
; %bb.134:
	s_mov_b32 s47, 1
	v_cmp_gt_u64_e64 s[52:53], s[46:47], v[12:13]
	v_cmp_gt_u64_e64 s[4:5], s[46:47], v[14:15]
	v_cmp_gt_u64_e64 s[6:7], s[46:47], v[16:17]
	v_cndmask_b32_e64 v2, 0, v10, s[52:53]
	v_add_u32_e32 v2, v2, v12
	v_cndmask_b32_e64 v2, 0, v2, s[4:5]
	v_add_u32_e32 v2, v2, v14
	v_cndmask_b32_e64 v2, 0, v2, s[6:7]
	v_add_u32_e32 v2, v2, v16
	v_cmp_gt_u64_e64 s[8:9], s[46:47], v[18:19]
	v_cmp_gt_u64_e64 s[10:11], s[46:47], v[20:21]
	v_cmp_gt_u64_e64 s[12:13], s[46:47], v[22:23]
	v_cndmask_b32_e64 v2, 0, v2, s[8:9]
	v_add_u32_e32 v2, v2, v18
	v_cndmask_b32_e64 v2, 0, v2, s[10:11]
	v_add_u32_e32 v2, v2, v20
	v_cndmask_b32_e64 v2, 0, v2, s[12:13]
	v_add_u32_e32 v2, v2, v22
	;; [unrolled: 9-line block ×7, first 2 shown]
	v_cmp_gt_u64_e64 s[46:47], s[46:47], v[56:57]
	s_nop 1
	v_cndmask_b32_e64 v2, 0, v2, s[46:47]
	v_add_u32_e32 v62, v2, v56
	v_or3_b32 v2, v55, v51, v49
	v_or3_b32 v2, v2, v47, v45
	;; [unrolled: 1-line block ×10, first 2 shown]
	v_and_b32_e32 v2, 1, v2
	v_cmp_eq_u32_e64 s[48:49], 1, v2
	v_add_lshl_u32 v2, v1, v0, 3
	s_nop 0
	v_cndmask_b32_e64 v63, v11, 1, s[48:49]
	ds_write_b32 v2, v62
	ds_write_b8 v2, v63 offset:4
	s_waitcnt lgkmcnt(0)
	s_barrier
	s_and_saveexec_b64 s[50:51], vcc
	s_cbranch_execz .LBB2197_146
; %bb.135:
	v_lshrrev_b32_e32 v2, 3, v0
	v_add_lshl_u32 v4, v2, v54, 3
	ds_read2_b32 v[6:7], v4 offset0:2 offset1:4
	ds_read_b64 v[2:3], v4
	ds_read_u8 v8, v4 offset:12
	ds_read_u8 v9, v4 offset:20
	ds_read_b32 v58, v4 offset:24
	ds_read_u8 v59, v4 offset:28
	v_mov_b32_e32 v60, 0
	s_waitcnt lgkmcnt(3)
	v_cmp_eq_u16_sdwa s[48:49], v8, v60 src0_sel:BYTE_0 src1_sel:DWORD
	v_and_b32_e32 v5, 1, v3
	s_nop 0
	v_cndmask_b32_e64 v61, 0, v2, s[48:49]
	v_add_u32_e32 v6, v61, v6
	s_waitcnt lgkmcnt(2)
	v_cmp_eq_u16_sdwa s[48:49], v9, v60 src0_sel:BYTE_0 src1_sel:DWORD
	s_nop 1
	v_cndmask_b32_e64 v6, 0, v6, s[48:49]
	v_add_u32_e32 v6, v6, v7
	s_waitcnt lgkmcnt(0)
	v_cmp_eq_u16_e64 s[48:49], 0, v59
	s_nop 1
	v_cndmask_b32_e64 v6, 0, v6, s[48:49]
	v_add_u32_e32 v7, v6, v58
	v_or_b32_e32 v6, v59, v9
	v_or_b32_e32 v6, v6, v8
	v_and_b32_e32 v6, 1, v6
	v_cmp_eq_u32_e64 s[48:49], 1, v6
	v_mbcnt_lo_u32_b32 v8, -1, 0
	v_and_b32_e32 v6, 0xffffff00, v3
	v_cndmask_b32_e64 v9, v5, 1, s[48:49]
	v_mbcnt_hi_u32_b32 v8, -1, v8
	v_and_b32_e32 v59, 15, v8
	v_or_b32_sdwa v58, v6, v9 dst_sel:DWORD dst_unused:UNUSED_PAD src0_sel:DWORD src1_sel:WORD_0
	v_mov_b32_dpp v60, v7 row_shr:1 row_mask:0xf bank_mask:0xf
	v_cmp_ne_u32_e64 s[48:49], 0, v59
	v_mov_b32_dpp v61, v58 row_shr:1 row_mask:0xf bank_mask:0xf
	s_and_saveexec_b64 s[54:55], s[48:49]
; %bb.136:
	v_and_b32_e32 v58, 1, v9
	v_and_b32_e32 v61, 1, v61
	v_cmp_eq_u32_e64 s[48:49], 1, v58
	s_nop 1
	v_cndmask_b32_e64 v61, v61, 1, s[48:49]
	v_cmp_eq_u16_e64 s[48:49], 0, v9
	v_or_b32_sdwa v58, v6, v61 dst_sel:DWORD dst_unused:UNUSED_PAD src0_sel:DWORD src1_sel:WORD_0
	s_nop 0
	v_cndmask_b32_e64 v9, 0, v60, s[48:49]
	v_add_u32_e32 v7, v9, v7
	v_mov_b32_e32 v9, v61
; %bb.137:
	s_or_b64 exec, exec, s[54:55]
	v_mov_b32_dpp v60, v7 row_shr:2 row_mask:0xf bank_mask:0xf
	v_mov_b32_dpp v61, v58 row_shr:2 row_mask:0xf bank_mask:0xf
	v_cmp_lt_u32_e64 s[48:49], 1, v59
	s_and_saveexec_b64 s[54:55], s[48:49]
; %bb.138:
	v_and_b32_e32 v58, 1, v9
	v_and_b32_e32 v61, 1, v61
	v_cmp_eq_u32_e64 s[48:49], 1, v58
	s_nop 1
	v_cndmask_b32_e64 v61, v61, 1, s[48:49]
	v_cmp_eq_u16_e64 s[48:49], 0, v9
	v_or_b32_sdwa v58, v6, v61 dst_sel:DWORD dst_unused:UNUSED_PAD src0_sel:DWORD src1_sel:WORD_0
	s_nop 0
	v_cndmask_b32_e64 v9, 0, v60, s[48:49]
	v_add_u32_e32 v7, v9, v7
	v_mov_b32_e32 v9, v61
; %bb.139:
	s_or_b64 exec, exec, s[54:55]
	v_mov_b32_dpp v60, v7 row_shr:4 row_mask:0xf bank_mask:0xf
	v_mov_b32_dpp v61, v58 row_shr:4 row_mask:0xf bank_mask:0xf
	v_cmp_lt_u32_e64 s[48:49], 3, v59
	;; [unrolled: 18-line block ×3, first 2 shown]
	s_and_saveexec_b64 s[54:55], s[48:49]
; %bb.142:
	v_and_b32_e32 v58, 1, v9
	v_and_b32_e32 v59, 1, v61
	v_cmp_eq_u32_e64 s[48:49], 1, v58
	s_nop 1
	v_cndmask_b32_e64 v59, v59, 1, s[48:49]
	v_cmp_eq_u16_e64 s[48:49], 0, v9
	v_or_b32_sdwa v58, v6, v59 dst_sel:DWORD dst_unused:UNUSED_PAD src0_sel:DWORD src1_sel:WORD_0
	s_nop 0
	v_cndmask_b32_e64 v9, 0, v60, s[48:49]
	v_add_u32_e32 v7, v9, v7
	v_mov_b32_e32 v9, v59
; %bb.143:
	s_or_b64 exec, exec, s[54:55]
	v_and_b32_e32 v61, 16, v8
	v_mov_b32_dpp v59, v7 row_bcast:15 row_mask:0xf bank_mask:0xf
	v_mov_b32_dpp v60, v58 row_bcast:15 row_mask:0xf bank_mask:0xf
	v_cmp_ne_u32_e64 s[48:49], 0, v61
	s_and_saveexec_b64 s[54:55], s[48:49]
; %bb.144:
	v_and_b32_e32 v58, 1, v9
	v_and_b32_e32 v60, 1, v60
	v_cmp_eq_u32_e64 s[48:49], 1, v58
	s_nop 1
	v_cndmask_b32_e64 v60, v60, 1, s[48:49]
	v_cmp_eq_u16_e64 s[48:49], 0, v9
	v_or_b32_sdwa v58, v6, v60 dst_sel:DWORD dst_unused:UNUSED_PAD src0_sel:DWORD src1_sel:WORD_0
	s_nop 0
	v_cndmask_b32_e64 v9, 0, v59, s[48:49]
	v_add_u32_e32 v7, v9, v7
	v_mov_b32_e32 v9, v60
; %bb.145:
	s_or_b64 exec, exec, s[54:55]
	v_mov_b32_dpp v58, v58 row_bcast:31 row_mask:0xf bank_mask:0xf
	v_and_b32_e32 v60, 1, v9
	v_and_b32_e32 v58, 1, v58
	v_cmp_eq_u32_e64 s[48:49], 1, v60
	v_mov_b32_e32 v60, 0
	v_cmp_eq_u16_sdwa s[54:55], v9, v60 src0_sel:BYTE_0 src1_sel:DWORD
	v_cndmask_b32_e64 v58, v58, 1, s[48:49]
	v_cmp_lt_u32_e64 s[48:49], 31, v8
	v_mov_b32_dpp v59, v7 row_bcast:31 row_mask:0xf bank_mask:0xf
	s_movk_i32 s3, 0xff
	v_cndmask_b32_e64 v9, v9, v58, s[48:49]
	s_and_b64 s[48:49], s[48:49], s[54:55]
	v_cndmask_b32_e64 v58, 0, v59, s[48:49]
	v_add_u32_e32 v7, v58, v7
	v_add_u32_e32 v58, -1, v8
	v_and_b32_e32 v59, 64, v8
	v_cmp_lt_i32_e64 s[48:49], v58, v59
	v_and_or_b32 v6, v9, s3, v6
	s_nop 0
	v_cndmask_b32_e64 v8, v58, v8, s[48:49]
	v_lshlrev_b32_e32 v8, 2, v8
	ds_bpermute_b32 v7, v8, v7
	ds_bpermute_b32 v6, v8, v6
	v_cmp_eq_u16_sdwa s[48:49], v3, v60 src0_sel:BYTE_0 src1_sel:DWORD
	; wave barrier
	s_waitcnt lgkmcnt(1)
	s_nop 0
	v_cndmask_b32_e64 v3, 0, v7, s[48:49]
	v_add_u32_e32 v2, v3, v2
	s_waitcnt lgkmcnt(0)
	v_and_b32_e32 v3, 1, v6
	v_cmp_eq_u32_e64 s[48:49], 1, v5
	s_nop 1
	v_cndmask_b32_e64 v3, v3, 1, s[48:49]
	v_cmp_eq_u32_e64 s[48:49], 0, v0
	s_nop 1
	v_cndmask_b32_e64 v5, v2, v62, s[48:49]
	v_cndmask_b32_e64 v6, v3, v63, s[48:49]
	ds_write_b32 v4, v5
	ds_write_b8 v4, v6 offset:4
	; wave barrier
	ds_read_u8 v7, v4 offset:12
	ds_read2_b32 v[2:3], v4 offset0:2 offset1:4
	ds_read_u8 v8, v4 offset:20
	ds_read_b32 v9, v4 offset:24
	ds_read_u8 v58, v4 offset:28
	s_waitcnt lgkmcnt(4)
	v_cmp_eq_u16_e64 s[48:49], 0, v7
	s_nop 1
	v_cndmask_b32_e64 v5, 0, v5, s[48:49]
	s_waitcnt lgkmcnt(3)
	v_add_u32_e32 v2, v5, v2
	v_and_b32_e32 v5, 1, v7
	v_cmp_eq_u32_e64 s[48:49], 1, v5
	s_nop 1
	v_cndmask_b32_e64 v5, v6, 1, s[48:49]
	s_waitcnt lgkmcnt(2)
	v_cmp_eq_u16_e64 s[48:49], 0, v8
	ds_write_b8 v4, v5 offset:12
	s_nop 0
	v_cndmask_b32_e64 v6, 0, v2, s[48:49]
	v_add_u32_e32 v3, v6, v3
	v_and_b32_e32 v6, 1, v8
	v_cmp_eq_u32_e64 s[48:49], 1, v6
	s_nop 1
	v_cndmask_b32_e64 v5, v5, 1, s[48:49]
	s_waitcnt lgkmcnt(1)
	v_cmp_eq_u16_e64 s[48:49], 0, v58
	ds_write2_b32 v4, v2, v3 offset0:2 offset1:4
	ds_write_b8 v4, v5 offset:20
	v_cndmask_b32_e64 v2, 0, v3, s[48:49]
	v_and_b32_e32 v3, 1, v58
	v_add_u32_e32 v2, v2, v9
	v_cmp_eq_u32_e64 s[48:49], 1, v3
	s_nop 1
	v_cndmask_b32_e64 v3, v5, 1, s[48:49]
	ds_write_b32 v4, v2 offset:24
	ds_write_b8 v4, v3 offset:28
.LBB2197_146:
	s_or_b64 exec, exec, s[50:51]
	v_cmp_eq_u32_e64 s[48:49], 0, v0
	v_cmp_ne_u32_e64 s[50:51], 0, v0
	s_waitcnt lgkmcnt(0)
	s_barrier
	s_and_saveexec_b64 s[54:55], s[50:51]
	s_cbranch_execz .LBB2197_148
; %bb.147:
	v_add_u32_e32 v2, -1, v0
	v_lshrrev_b32_e32 v3, 5, v2
	v_add_lshl_u32 v2, v3, v2, 3
	ds_read_b32 v62, v2
	ds_read_u8 v63, v2 offset:4
.LBB2197_148:
	s_or_b64 exec, exec, s[54:55]
	s_and_saveexec_b64 s[60:61], vcc
	s_cbranch_execz .LBB2197_167
; %bb.149:
	v_mov_b32_e32 v5, 0
	ds_read_b64 v[2:3], v5 offset:2096
	v_mbcnt_lo_u32_b32 v4, -1, 0
	v_mbcnt_hi_u32_b32 v73, -1, v4
	s_mov_b32 s65, 0
	v_cmp_eq_u32_e64 s[50:51], 0, v73
	s_waitcnt lgkmcnt(0)
	v_readfirstlane_b32 s3, v3
	s_and_saveexec_b64 s[54:55], s[50:51]
	s_cbranch_execz .LBB2197_151
; %bb.150:
	s_add_i32 s64, s2, 64
	s_lshl_b64 s[66:67], s[64:65], 4
	s_add_u32 s66, s68, s66
	s_addc_u32 s67, s69, s67
	s_and_b32 s77, s3, 0xff000000
	s_mov_b32 s76, s65
	s_and_b32 s79, s3, 0xff0000
	s_mov_b32 s78, s65
	s_or_b64 s[76:77], s[78:79], s[76:77]
	s_and_b32 s79, s3, 0xff00
	s_or_b64 s[76:77], s[76:77], s[78:79]
	s_and_b32 s79, s3, 0xff
	s_or_b64 s[64:65], s[76:77], s[78:79]
	v_mov_b32_e32 v3, s65
	v_mov_b32_e32 v4, 1
	v_mov_b64_e32 v[6:7], s[66:67]
	;;#ASMSTART
	global_store_dwordx4 v[6:7], v[2:5] off sc1	
s_waitcnt vmcnt(0)
	;;#ASMEND
.LBB2197_151:
	s_or_b64 exec, exec, s[54:55]
	v_xad_u32 v58, v73, -1, s2
	v_add_u32_e32 v4, 64, v58
	v_lshl_add_u64 v[60:61], v[4:5], 4, s[68:69]
	;;#ASMSTART
	global_load_dwordx4 v[6:9], v[60:61] off sc1	
s_waitcnt vmcnt(0)
	;;#ASMEND
	s_nop 0
	v_and_b32_e32 v3, 0xff0000, v6
	v_and_b32_e32 v4, 0xff000000, v6
	;; [unrolled: 1-line block ×3, first 2 shown]
	v_or_b32_sdwa v3, v6, v3 dst_sel:DWORD dst_unused:UNUSED_PAD src0_sel:WORD_0 src1_sel:DWORD
	v_or3_b32 v7, 0, 0, v7
	v_or3_b32 v6, v3, v4, 0
	v_cmp_eq_u16_sdwa s[64:65], v8, v5 src0_sel:BYTE_0 src1_sel:DWORD
	s_and_saveexec_b64 s[54:55], s[64:65]
	s_cbranch_execz .LBB2197_155
; %bb.152:
	s_mov_b64 s[64:65], 0
	v_mov_b32_e32 v3, 0
.LBB2197_153:                           ; =>This Inner Loop Header: Depth=1
	;;#ASMSTART
	global_load_dwordx4 v[6:9], v[60:61] off sc1	
s_waitcnt vmcnt(0)
	;;#ASMEND
	s_nop 0
	v_cmp_ne_u16_sdwa s[66:67], v8, v3 src0_sel:BYTE_0 src1_sel:DWORD
	s_or_b64 s[64:65], s[66:67], s[64:65]
	s_andn2_b64 exec, exec, s[64:65]
	s_cbranch_execnz .LBB2197_153
; %bb.154:
	s_or_b64 exec, exec, s[64:65]
	v_and_b32_e32 v7, 0xff, v7
.LBB2197_155:
	s_or_b64 exec, exec, s[54:55]
	v_mov_b32_e32 v3, 2
	v_cmp_eq_u16_sdwa s[54:55], v8, v3 src0_sel:BYTE_0 src1_sel:DWORD
	v_lshlrev_b64 v[4:5], v73, -1
	v_and_b32_e32 v64, 63, v73
	v_and_b32_e32 v9, s55, v5
	v_or_b32_e32 v9, 0x80000000, v9
	v_and_b32_e32 v59, s54, v4
	v_ffbl_b32_e32 v9, v9
	v_add_u32_e32 v9, 32, v9
	v_ffbl_b32_e32 v59, v59
	v_cmp_ne_u32_e32 vcc, 63, v64
	v_min_u32_e32 v9, v59, v9
	s_mov_b32 s64, 0
	v_addc_co_u32_e32 v59, vcc, 0, v73, vcc
	v_lshlrev_b32_e32 v65, 2, v59
	ds_bpermute_b32 v59, v65, v7
	ds_bpermute_b32 v60, v65, v6
	v_and_b32_e32 v61, 1, v7
	s_mov_b32 s65, 1
	v_cmp_eq_u32_e32 vcc, 1, v61
	s_waitcnt lgkmcnt(1)
	v_and_b32_e32 v59, 1, v59
	v_cmp_lt_u32_e64 s[54:55], v64, v9
	v_cndmask_b32_e64 v59, v59, 1, vcc
	v_cmp_gt_u64_e32 vcc, s[64:65], v[6:7]
	s_and_b64 vcc, s[54:55], vcc
	v_and_b32_e32 v61, 0xffff, v59
	v_cndmask_b32_e64 v68, v7, v59, s[54:55]
	s_waitcnt lgkmcnt(0)
	v_cndmask_b32_e32 v59, 0, v60, vcc
	v_cmp_gt_u32_e32 vcc, 62, v64
	v_cndmask_b32_e64 v7, v7, v61, s[54:55]
	v_add_u32_e32 v6, v59, v6
	v_cndmask_b32_e64 v60, 0, 1, vcc
	v_lshlrev_b32_e32 v60, 1, v60
	v_add_lshl_u32 v66, v60, v73, 2
	ds_bpermute_b32 v60, v66, v7
	ds_bpermute_b32 v61, v66, v6
	v_and_b32_e32 v59, 1, v68
	v_cmp_eq_u32_e32 vcc, 1, v59
	v_mov_b32_e32 v59, 0
	s_waitcnt lgkmcnt(1)
	v_and_b32_e32 v60, 1, v60
	v_add_u32_e32 v67, 2, v64
	v_cndmask_b32_e64 v60, v60, 1, vcc
	v_cmp_eq_u16_sdwa vcc, v68, v59 src0_sel:BYTE_0 src1_sel:DWORD
	v_and_b32_e32 v69, 0xffff, v60
	v_add_u32_e32 v77, 32, v64
	s_waitcnt lgkmcnt(0)
	v_cndmask_b32_e32 v61, 0, v61, vcc
	v_cmp_gt_u32_e32 vcc, v67, v9
	s_nop 1
	v_cndmask_b32_e32 v60, v60, v68, vcc
	v_cndmask_b32_e64 v61, v61, 0, vcc
	v_cndmask_b32_e32 v7, v69, v7, vcc
	v_cmp_gt_u32_e32 vcc, 60, v64
	v_add_u32_e32 v6, v61, v6
	v_and_b32_e32 v71, 1, v60
	v_cndmask_b32_e64 v68, 0, 1, vcc
	v_lshlrev_b32_e32 v68, 2, v68
	v_add_lshl_u32 v68, v68, v73, 2
	ds_bpermute_b32 v70, v68, v7
	ds_bpermute_b32 v61, v68, v6
	v_cmp_eq_u32_e32 vcc, 1, v71
	v_add_u32_e32 v69, 4, v64
	s_waitcnt lgkmcnt(1)
	v_and_b32_e32 v70, 1, v70
	v_cndmask_b32_e64 v70, v70, 1, vcc
	v_cmp_eq_u16_sdwa vcc, v60, v59 src0_sel:BYTE_0 src1_sel:DWORD
	v_and_b32_e32 v71, 0xffff, v70
	s_waitcnt lgkmcnt(0)
	v_cndmask_b32_e32 v61, 0, v61, vcc
	v_cmp_gt_u32_e32 vcc, v69, v9
	s_nop 1
	v_cndmask_b32_e32 v60, v70, v60, vcc
	v_cndmask_b32_e64 v61, v61, 0, vcc
	v_cndmask_b32_e32 v7, v71, v7, vcc
	v_cmp_gt_u32_e32 vcc, 56, v64
	v_add_u32_e32 v6, v61, v6
	v_and_b32_e32 v74, 1, v60
	v_cndmask_b32_e64 v70, 0, 1, vcc
	v_lshlrev_b32_e32 v70, 3, v70
	v_add_lshl_u32 v70, v70, v73, 2
	ds_bpermute_b32 v72, v70, v7
	ds_bpermute_b32 v61, v70, v6
	v_cmp_eq_u32_e32 vcc, 1, v74
	v_add_u32_e32 v71, 8, v64
	s_waitcnt lgkmcnt(1)
	v_and_b32_e32 v72, 1, v72
	v_cndmask_b32_e64 v72, v72, 1, vcc
	v_cmp_eq_u16_sdwa vcc, v60, v59 src0_sel:BYTE_0 src1_sel:DWORD
	v_and_b32_e32 v74, 0xffff, v72
	s_waitcnt lgkmcnt(0)
	v_cndmask_b32_e32 v61, 0, v61, vcc
	v_cmp_gt_u32_e32 vcc, v71, v9
	s_nop 1
	v_cndmask_b32_e32 v60, v72, v60, vcc
	v_cndmask_b32_e64 v61, v61, 0, vcc
	v_cndmask_b32_e32 v7, v74, v7, vcc
	v_cmp_gt_u32_e32 vcc, 48, v64
	v_add_u32_e32 v6, v61, v6
	v_and_b32_e32 v76, 1, v60
	v_cndmask_b32_e64 v72, 0, 1, vcc
	v_lshlrev_b32_e32 v72, 4, v72
	v_add_lshl_u32 v72, v72, v73, 2
	ds_bpermute_b32 v75, v72, v7
	ds_bpermute_b32 v61, v72, v6
	v_cmp_eq_u32_e32 vcc, 1, v76
	v_add_u32_e32 v74, 16, v64
	s_waitcnt lgkmcnt(1)
	v_and_b32_e32 v75, 1, v75
	v_cndmask_b32_e64 v75, v75, 1, vcc
	v_cmp_eq_u16_sdwa vcc, v60, v59 src0_sel:BYTE_0 src1_sel:DWORD
	v_and_b32_e32 v76, 0xffff, v75
	s_waitcnt lgkmcnt(0)
	v_cndmask_b32_e32 v61, 0, v61, vcc
	v_cmp_gt_u32_e32 vcc, v74, v9
	s_nop 1
	v_cndmask_b32_e32 v60, v75, v60, vcc
	v_cndmask_b32_e64 v61, v61, 0, vcc
	v_cndmask_b32_e32 v7, v76, v7, vcc
	v_cmp_gt_u32_e32 vcc, 32, v64
	v_add_u32_e32 v6, v61, v6
	s_nop 0
	v_cndmask_b32_e64 v75, 0, 1, vcc
	v_lshlrev_b32_e32 v75, 5, v75
	v_add_lshl_u32 v76, v75, v73, 2
	ds_bpermute_b32 v7, v76, v7
	ds_bpermute_b32 v61, v76, v6
	v_and_b32_e32 v73, 1, v60
	v_cmp_eq_u32_e32 vcc, 1, v73
	s_waitcnt lgkmcnt(1)
	v_and_b32_e32 v7, 1, v7
	v_cndmask_b32_e64 v7, v7, 1, vcc
	v_cmp_eq_u16_sdwa vcc, v60, v59 src0_sel:BYTE_0 src1_sel:DWORD
	s_waitcnt lgkmcnt(0)
	s_nop 0
	v_cndmask_b32_e32 v61, 0, v61, vcc
	v_cmp_gt_u32_e32 vcc, v77, v9
	s_nop 1
	v_cndmask_b32_e64 v9, v61, 0, vcc
	v_cndmask_b32_e32 v7, v7, v60, vcc
	v_add_u32_e32 v6, v9, v6
	s_branch .LBB2197_157
.LBB2197_156:                           ;   in Loop: Header=BB2197_157 Depth=1
	s_or_b64 exec, exec, s[54:55]
	v_cmp_eq_u16_sdwa s[54:55], v8, v3 src0_sel:BYTE_0 src1_sel:DWORD
	ds_bpermute_b32 v61, v65, v7
	v_and_b32_e32 v78, 1, v7
	v_and_b32_e32 v9, s55, v5
	v_or_b32_e32 v9, 0x80000000, v9
	v_and_b32_e32 v60, s54, v4
	v_ffbl_b32_e32 v9, v9
	v_add_u32_e32 v9, 32, v9
	v_ffbl_b32_e32 v60, v60
	v_min_u32_e32 v9, v60, v9
	ds_bpermute_b32 v60, v65, v6
	s_waitcnt lgkmcnt(1)
	v_and_b32_e32 v61, 1, v61
	v_cmp_eq_u32_e32 vcc, 1, v78
	v_cmp_lt_u32_e64 s[54:55], v64, v9
	v_subrev_u32_e32 v58, 64, v58
	v_cndmask_b32_e64 v61, v61, 1, vcc
	v_cmp_gt_u64_e32 vcc, s[64:65], v[6:7]
	v_and_b32_e32 v78, 0xffff, v61
	v_cndmask_b32_e64 v61, v7, v61, s[54:55]
	v_cndmask_b32_e64 v7, v7, v78, s[54:55]
	s_and_b64 vcc, s[54:55], vcc
	ds_bpermute_b32 v78, v66, v7
	s_waitcnt lgkmcnt(1)
	v_cndmask_b32_e32 v60, 0, v60, vcc
	v_add_u32_e32 v6, v60, v6
	ds_bpermute_b32 v60, v66, v6
	v_and_b32_e32 v79, 1, v61
	s_waitcnt lgkmcnt(1)
	v_and_b32_e32 v78, 1, v78
	v_cmp_eq_u32_e32 vcc, 1, v79
	s_nop 1
	v_cndmask_b32_e64 v78, v78, 1, vcc
	v_cmp_eq_u16_sdwa vcc, v61, v59 src0_sel:BYTE_0 src1_sel:DWORD
	v_and_b32_e32 v79, 0xffff, v78
	s_waitcnt lgkmcnt(0)
	v_cndmask_b32_e32 v60, 0, v60, vcc
	v_cmp_gt_u32_e32 vcc, v67, v9
	s_nop 1
	v_cndmask_b32_e32 v7, v79, v7, vcc
	v_cndmask_b32_e32 v61, v78, v61, vcc
	ds_bpermute_b32 v78, v68, v7
	v_cndmask_b32_e64 v60, v60, 0, vcc
	v_add_u32_e32 v6, v60, v6
	ds_bpermute_b32 v60, v68, v6
	v_and_b32_e32 v79, 1, v61
	s_waitcnt lgkmcnt(1)
	v_and_b32_e32 v78, 1, v78
	v_cmp_eq_u32_e32 vcc, 1, v79
	s_nop 1
	v_cndmask_b32_e64 v78, v78, 1, vcc
	v_cmp_eq_u16_sdwa vcc, v61, v59 src0_sel:BYTE_0 src1_sel:DWORD
	v_and_b32_e32 v79, 0xffff, v78
	s_waitcnt lgkmcnt(0)
	v_cndmask_b32_e32 v60, 0, v60, vcc
	v_cmp_gt_u32_e32 vcc, v69, v9
	s_nop 1
	v_cndmask_b32_e32 v7, v79, v7, vcc
	v_cndmask_b32_e32 v61, v78, v61, vcc
	ds_bpermute_b32 v78, v70, v7
	v_cndmask_b32_e64 v60, v60, 0, vcc
	;; [unrolled: 18-line block ×3, first 2 shown]
	v_add_u32_e32 v6, v60, v6
	ds_bpermute_b32 v60, v72, v6
	v_and_b32_e32 v79, 1, v61
	s_waitcnt lgkmcnt(1)
	v_and_b32_e32 v78, 1, v78
	v_cmp_eq_u32_e32 vcc, 1, v79
	s_nop 1
	v_cndmask_b32_e64 v78, v78, 1, vcc
	v_cmp_eq_u16_sdwa vcc, v61, v59 src0_sel:BYTE_0 src1_sel:DWORD
	v_and_b32_e32 v79, 0xffff, v78
	s_waitcnt lgkmcnt(0)
	v_cndmask_b32_e32 v60, 0, v60, vcc
	v_cmp_gt_u32_e32 vcc, v74, v9
	s_nop 1
	v_cndmask_b32_e64 v60, v60, 0, vcc
	v_cndmask_b32_e32 v7, v79, v7, vcc
	ds_bpermute_b32 v7, v76, v7
	v_add_u32_e32 v6, v60, v6
	ds_bpermute_b32 v60, v76, v6
	v_cndmask_b32_e32 v61, v78, v61, vcc
	v_and_b32_e32 v78, 1, v61
	v_cmp_eq_u32_e32 vcc, 1, v78
	s_waitcnt lgkmcnt(1)
	s_nop 0
	v_cndmask_b32_e64 v7, v7, 1, vcc
	v_cmp_eq_u16_sdwa vcc, v61, v59 src0_sel:BYTE_0 src1_sel:DWORD
	s_waitcnt lgkmcnt(0)
	s_nop 0
	v_cndmask_b32_e32 v60, 0, v60, vcc
	v_cmp_gt_u32_e32 vcc, v77, v9
	s_nop 1
	v_cndmask_b32_e64 v9, v60, 0, vcc
	v_cndmask_b32_e32 v7, v7, v61, vcc
	v_add_u32_e32 v6, v9, v6
	v_cmp_eq_u16_sdwa vcc, v73, v59 src0_sel:BYTE_0 src1_sel:DWORD
	v_and_b32_e32 v9, 1, v73
	v_and_b32_e32 v7, 1, v7
	v_cndmask_b32_e32 v6, 0, v6, vcc
	v_cmp_eq_u32_e32 vcc, 1, v9
	v_add_u32_e32 v6, v6, v75
	s_nop 0
	v_cndmask_b32_e64 v7, v7, 1, vcc
.LBB2197_157:                           ; =>This Loop Header: Depth=1
                                        ;     Child Loop BB2197_160 Depth 2
	v_cmp_ne_u16_sdwa s[54:55], v8, v3 src0_sel:BYTE_0 src1_sel:DWORD
	v_mov_b32_e32 v73, v7
	v_mov_b32_e32 v75, v6
	v_cndmask_b32_e64 v7, 0, 1, s[54:55]
	;;#ASMSTART
	;;#ASMEND
	s_nop 0
	v_cmp_ne_u32_e32 vcc, 0, v7
	s_cmp_lg_u64 vcc, exec
	s_cbranch_scc1 .LBB2197_162
; %bb.158:                              ;   in Loop: Header=BB2197_157 Depth=1
	v_lshl_add_u64 v[60:61], v[58:59], 4, s[68:69]
	;;#ASMSTART
	global_load_dwordx4 v[6:9], v[60:61] off sc1	
s_waitcnt vmcnt(0)
	;;#ASMEND
	s_nop 0
	v_and_b32_e32 v9, 0xff0000, v6
	v_and_b32_e32 v78, 0xff000000, v6
	v_and_b32_e32 v7, 0xff, v7
	v_or_b32_sdwa v6, v6, v9 dst_sel:DWORD dst_unused:UNUSED_PAD src0_sel:WORD_0 src1_sel:DWORD
	v_or3_b32 v7, 0, 0, v7
	v_or3_b32 v6, v6, v78, 0
	v_cmp_eq_u16_sdwa s[66:67], v8, v59 src0_sel:BYTE_0 src1_sel:DWORD
	s_and_saveexec_b64 s[54:55], s[66:67]
	s_cbranch_execz .LBB2197_156
; %bb.159:                              ;   in Loop: Header=BB2197_157 Depth=1
	s_mov_b64 s[66:67], 0
.LBB2197_160:                           ;   Parent Loop BB2197_157 Depth=1
                                        ; =>  This Inner Loop Header: Depth=2
	;;#ASMSTART
	global_load_dwordx4 v[6:9], v[60:61] off sc1	
s_waitcnt vmcnt(0)
	;;#ASMEND
	s_nop 0
	v_cmp_ne_u16_sdwa s[76:77], v8, v59 src0_sel:BYTE_0 src1_sel:DWORD
	s_or_b64 s[66:67], s[76:77], s[66:67]
	s_andn2_b64 exec, exec, s[66:67]
	s_cbranch_execnz .LBB2197_160
; %bb.161:                              ;   in Loop: Header=BB2197_157 Depth=1
	s_or_b64 exec, exec, s[66:67]
	v_and_b32_e32 v7, 0xff, v7
	s_branch .LBB2197_156
.LBB2197_162:                           ;   in Loop: Header=BB2197_157 Depth=1
                                        ; implicit-def: $vgpr7
                                        ; implicit-def: $vgpr6
                                        ; implicit-def: $vgpr8
	s_cbranch_execz .LBB2197_157
; %bb.163:
	s_and_saveexec_b64 s[54:55], s[50:51]
	s_cbranch_execz .LBB2197_165
; %bb.164:
	s_and_b32 s50, s3, 0xff
	s_cmp_eq_u32 s50, 0
	s_cselect_b64 vcc, -1, 0
	s_bitcmp1_b32 s3, 0
	s_mov_b32 s51, 0
	s_cselect_b64 s[64:65], -1, 0
	s_add_i32 s50, s2, 64
	s_lshl_b64 s[2:3], s[50:51], 4
	v_cndmask_b32_e32 v3, 0, v75, vcc
	s_add_u32 s2, s68, s2
	v_add_u32_e32 v2, v3, v2
	v_and_b32_e32 v3, 1, v73
	s_addc_u32 s3, s69, s3
	v_mov_b32_e32 v5, 0
	v_cndmask_b32_e64 v3, v3, 1, s[64:65]
	v_mov_b32_e32 v4, 2
	v_mov_b64_e32 v[6:7], s[2:3]
	;;#ASMSTART
	global_store_dwordx4 v[6:7], v[2:5] off sc1	
s_waitcnt vmcnt(0)
	;;#ASMEND
.LBB2197_165:
	s_or_b64 exec, exec, s[54:55]
	s_and_b64 exec, exec, s[48:49]
	s_cbranch_execz .LBB2197_167
; %bb.166:
	v_mov_b32_e32 v2, 0
	ds_write_b32 v2, v75
	ds_write_b8 v2, v73 offset:4
.LBB2197_167:
	s_or_b64 exec, exec, s[60:61]
	s_mov_b32 s2, 0
	v_mov_b32_e32 v2, 0
	s_mov_b32 s3, 1
	s_waitcnt lgkmcnt(0)
	s_barrier
	ds_read_b32 v3, v2
	v_cmp_gt_u64_e32 vcc, s[2:3], v[10:11]
	v_and_b32_e32 v5, 1, v11
	v_and_b32_e32 v6, 1, v63
	v_cndmask_b32_e32 v4, 0, v62, vcc
	v_cmp_eq_u32_e32 vcc, 1, v5
	v_cndmask_b32_e64 v4, v4, 0, s[48:49]
	s_nop 0
	v_cndmask_b32_e64 v5, v6, 1, vcc
	v_cndmask_b32_e64 v5, v5, v11, s[48:49]
	v_cmp_eq_u16_sdwa vcc, v5, v2 src0_sel:BYTE_0 src1_sel:DWORD
	s_waitcnt lgkmcnt(0)
	s_nop 0
	v_cndmask_b32_e32 v2, 0, v3, vcc
	v_add3_u32 v80, v4, v10, v2
	v_cndmask_b32_e64 v2, 0, v80, s[52:53]
	v_add_u32_e32 v58, v2, v12
	v_cndmask_b32_e64 v2, 0, v58, s[4:5]
	v_add_u32_e32 v59, v2, v14
	;; [unrolled: 2-line block ×22, first 2 shown]
	s_branch .LBB2197_188
.LBB2197_168:
                                        ; implicit-def: $vgpr78
                                        ; implicit-def: $vgpr77
                                        ; implicit-def: $vgpr76
                                        ; implicit-def: $vgpr75
                                        ; implicit-def: $vgpr74
                                        ; implicit-def: $vgpr73
                                        ; implicit-def: $vgpr72
                                        ; implicit-def: $vgpr71
                                        ; implicit-def: $vgpr70
                                        ; implicit-def: $vgpr69
                                        ; implicit-def: $vgpr68
                                        ; implicit-def: $vgpr67
                                        ; implicit-def: $vgpr66
                                        ; implicit-def: $vgpr65
                                        ; implicit-def: $vgpr64
                                        ; implicit-def: $vgpr63
                                        ; implicit-def: $vgpr62
                                        ; implicit-def: $vgpr61
                                        ; implicit-def: $vgpr60
                                        ; implicit-def: $vgpr59
                                        ; implicit-def: $vgpr58
                                        ; implicit-def: $vgpr80
                                        ; implicit-def: $vgpr79
	s_cbranch_execz .LBB2197_188
; %bb.169:
	s_cmp_lg_u64 s[74:75], 0
	s_cselect_b32 s5, s63, 0
	s_cselect_b32 s4, s62, 0
	s_cmp_lg_u64 s[4:5], 0
	s_cselect_b64 s[6:7], -1, 0
	v_cmp_eq_u32_e32 vcc, 0, v0
	s_mov_b32 s48, 0
	v_cmp_ne_u32_e64 s[2:3], 0, v0
	s_and_b64 s[8:9], vcc, s[6:7]
	s_and_saveexec_b64 s[6:7], s[8:9]
	s_cbranch_execz .LBB2197_171
; %bb.170:
	v_mov_b32_e32 v2, 0
	global_load_dword v4, v2, s[4:5]
	global_load_ubyte v5, v2, s[4:5] offset:4
	s_mov_b32 s49, 1
	v_and_b32_e32 v3, 1, v11
	v_cmp_gt_u64_e64 s[4:5], s[48:49], v[10:11]
	s_waitcnt vmcnt(0)
	v_and_b32_e32 v5, 1, v5
	v_cndmask_b32_e64 v4, 0, v4, s[4:5]
	v_cmp_eq_u64_e64 s[4:5], 0, v[2:3]
	v_add_u32_e32 v10, v4, v10
	s_nop 0
	v_cndmask_b32_e64 v11, 1, v5, s[4:5]
.LBB2197_171:
	s_or_b64 exec, exec, s[6:7]
	s_mov_b32 s49, 1
	v_cmp_gt_u64_e64 s[4:5], s[48:49], v[12:13]
	v_cmp_gt_u64_e64 s[6:7], s[48:49], v[14:15]
	v_cmp_gt_u64_e64 s[8:9], s[48:49], v[16:17]
	v_cndmask_b32_e64 v2, 0, v10, s[4:5]
	v_add_u32_e32 v58, v2, v12
	v_cndmask_b32_e64 v2, 0, v58, s[6:7]
	v_add_u32_e32 v59, v2, v14
	v_cndmask_b32_e64 v2, 0, v59, s[8:9]
	v_add_u32_e32 v60, v2, v16
	v_cmp_gt_u64_e64 s[10:11], s[48:49], v[18:19]
	v_cmp_gt_u64_e64 s[12:13], s[48:49], v[20:21]
	v_cmp_gt_u64_e64 s[14:15], s[48:49], v[22:23]
	v_cndmask_b32_e64 v2, 0, v60, s[10:11]
	v_add_u32_e32 v61, v2, v18
	v_cndmask_b32_e64 v2, 0, v61, s[12:13]
	v_add_u32_e32 v62, v2, v20
	v_cndmask_b32_e64 v2, 0, v62, s[14:15]
	v_add_u32_e32 v63, v2, v22
	;; [unrolled: 9-line block ×7, first 2 shown]
	v_cmp_gt_u64_e64 s[48:49], s[48:49], v[56:57]
	v_add_lshl_u32 v1, v1, v0, 3
	s_nop 0
	v_cndmask_b32_e64 v2, 0, v78, s[48:49]
	v_add_u32_e32 v79, v2, v56
	v_or3_b32 v2, v55, v51, v49
	v_or3_b32 v2, v2, v47, v45
	;; [unrolled: 1-line block ×10, first 2 shown]
	v_and_b32_e32 v2, 1, v2
	v_cmp_eq_u32_e64 s[50:51], 1, v2
	s_nop 1
	v_cndmask_b32_e64 v4, v11, 1, s[50:51]
	v_cmp_gt_u32_e64 s[50:51], 64, v0
	ds_write_b32 v1, v79
	ds_write_b8 v1, v4 offset:4
	s_waitcnt lgkmcnt(0)
	s_barrier
	s_and_saveexec_b64 s[52:53], s[50:51]
	s_cbranch_execz .LBB2197_183
; %bb.172:
	v_lshrrev_b32_e32 v1, 3, v0
	v_add_lshl_u32 v1, v1, v54, 3
	ds_read2_b32 v[6:7], v1 offset0:2 offset1:4
	ds_read_b64 v[2:3], v1
	ds_read_u8 v8, v1 offset:12
	ds_read_u8 v9, v1 offset:20
	ds_read_b32 v13, v1 offset:24
	ds_read_u8 v15, v1 offset:28
	v_mov_b32_e32 v17, 0
	s_waitcnt lgkmcnt(3)
	v_cmp_eq_u16_sdwa s[50:51], v8, v17 src0_sel:BYTE_0 src1_sel:DWORD
	v_and_b32_e32 v5, 1, v3
	s_nop 0
	v_cndmask_b32_e64 v19, 0, v2, s[50:51]
	v_add_u32_e32 v6, v19, v6
	s_waitcnt lgkmcnt(2)
	v_cmp_eq_u16_sdwa s[50:51], v9, v17 src0_sel:BYTE_0 src1_sel:DWORD
	s_nop 1
	v_cndmask_b32_e64 v6, 0, v6, s[50:51]
	v_add_u32_e32 v6, v6, v7
	s_waitcnt lgkmcnt(0)
	v_cmp_eq_u16_e64 s[50:51], 0, v15
	s_nop 1
	v_cndmask_b32_e64 v6, 0, v6, s[50:51]
	v_add_u32_e32 v7, v6, v13
	v_or_b32_e32 v6, v15, v9
	v_or_b32_e32 v6, v6, v8
	v_and_b32_e32 v6, 1, v6
	v_cmp_eq_u32_e64 s[50:51], 1, v6
	v_mbcnt_lo_u32_b32 v8, -1, 0
	v_and_b32_e32 v6, 0xffffff00, v3
	v_cndmask_b32_e64 v9, v5, 1, s[50:51]
	v_mbcnt_hi_u32_b32 v8, -1, v8
	v_and_b32_e32 v15, 15, v8
	v_or_b32_sdwa v13, v6, v9 dst_sel:DWORD dst_unused:UNUSED_PAD src0_sel:DWORD src1_sel:WORD_0
	v_mov_b32_dpp v17, v7 row_shr:1 row_mask:0xf bank_mask:0xf
	v_cmp_ne_u32_e64 s[50:51], 0, v15
	v_mov_b32_dpp v19, v13 row_shr:1 row_mask:0xf bank_mask:0xf
	s_and_saveexec_b64 s[54:55], s[50:51]
; %bb.173:
	v_and_b32_e32 v13, 1, v9
	v_and_b32_e32 v19, 1, v19
	v_cmp_eq_u32_e64 s[50:51], 1, v13
	s_nop 1
	v_cndmask_b32_e64 v19, v19, 1, s[50:51]
	v_cmp_eq_u16_e64 s[50:51], 0, v9
	v_or_b32_sdwa v13, v6, v19 dst_sel:DWORD dst_unused:UNUSED_PAD src0_sel:DWORD src1_sel:WORD_0
	s_nop 0
	v_cndmask_b32_e64 v9, 0, v17, s[50:51]
	v_add_u32_e32 v7, v9, v7
	v_mov_b32_e32 v9, v19
; %bb.174:
	s_or_b64 exec, exec, s[54:55]
	v_mov_b32_dpp v17, v7 row_shr:2 row_mask:0xf bank_mask:0xf
	v_mov_b32_dpp v19, v13 row_shr:2 row_mask:0xf bank_mask:0xf
	v_cmp_lt_u32_e64 s[50:51], 1, v15
	s_and_saveexec_b64 s[54:55], s[50:51]
; %bb.175:
	v_and_b32_e32 v13, 1, v9
	v_and_b32_e32 v19, 1, v19
	v_cmp_eq_u32_e64 s[50:51], 1, v13
	s_nop 1
	v_cndmask_b32_e64 v19, v19, 1, s[50:51]
	v_cmp_eq_u16_e64 s[50:51], 0, v9
	v_or_b32_sdwa v13, v6, v19 dst_sel:DWORD dst_unused:UNUSED_PAD src0_sel:DWORD src1_sel:WORD_0
	s_nop 0
	v_cndmask_b32_e64 v9, 0, v17, s[50:51]
	v_add_u32_e32 v7, v9, v7
	v_mov_b32_e32 v9, v19
; %bb.176:
	s_or_b64 exec, exec, s[54:55]
	v_mov_b32_dpp v17, v7 row_shr:4 row_mask:0xf bank_mask:0xf
	v_mov_b32_dpp v19, v13 row_shr:4 row_mask:0xf bank_mask:0xf
	v_cmp_lt_u32_e64 s[50:51], 3, v15
	;; [unrolled: 18-line block ×3, first 2 shown]
	s_and_saveexec_b64 s[54:55], s[50:51]
; %bb.179:
	v_and_b32_e32 v13, 1, v9
	v_and_b32_e32 v15, 1, v19
	v_cmp_eq_u32_e64 s[50:51], 1, v13
	s_nop 1
	v_cndmask_b32_e64 v15, v15, 1, s[50:51]
	v_cmp_eq_u16_e64 s[50:51], 0, v9
	v_or_b32_sdwa v13, v6, v15 dst_sel:DWORD dst_unused:UNUSED_PAD src0_sel:DWORD src1_sel:WORD_0
	s_nop 0
	v_cndmask_b32_e64 v9, 0, v17, s[50:51]
	v_add_u32_e32 v7, v9, v7
	v_mov_b32_e32 v9, v15
; %bb.180:
	s_or_b64 exec, exec, s[54:55]
	v_and_b32_e32 v19, 16, v8
	v_mov_b32_dpp v15, v7 row_bcast:15 row_mask:0xf bank_mask:0xf
	v_mov_b32_dpp v17, v13 row_bcast:15 row_mask:0xf bank_mask:0xf
	v_cmp_ne_u32_e64 s[50:51], 0, v19
	s_and_saveexec_b64 s[54:55], s[50:51]
; %bb.181:
	v_and_b32_e32 v13, 1, v9
	v_and_b32_e32 v17, 1, v17
	v_cmp_eq_u32_e64 s[50:51], 1, v13
	s_nop 1
	v_cndmask_b32_e64 v17, v17, 1, s[50:51]
	v_cmp_eq_u16_e64 s[50:51], 0, v9
	v_or_b32_sdwa v13, v6, v17 dst_sel:DWORD dst_unused:UNUSED_PAD src0_sel:DWORD src1_sel:WORD_0
	s_nop 0
	v_cndmask_b32_e64 v9, 0, v15, s[50:51]
	v_add_u32_e32 v7, v9, v7
	v_mov_b32_e32 v9, v17
; %bb.182:
	s_or_b64 exec, exec, s[54:55]
	v_mov_b32_dpp v13, v13 row_bcast:31 row_mask:0xf bank_mask:0xf
	v_and_b32_e32 v17, 1, v9
	v_and_b32_e32 v13, 1, v13
	v_cmp_eq_u32_e64 s[50:51], 1, v17
	v_mov_b32_e32 v17, 0
	v_cmp_eq_u16_sdwa s[54:55], v9, v17 src0_sel:BYTE_0 src1_sel:DWORD
	v_cndmask_b32_e64 v13, v13, 1, s[50:51]
	v_cmp_lt_u32_e64 s[50:51], 31, v8
	v_mov_b32_dpp v15, v7 row_bcast:31 row_mask:0xf bank_mask:0xf
	s_movk_i32 s60, 0xff
	v_cndmask_b32_e64 v9, v9, v13, s[50:51]
	s_and_b64 s[50:51], s[50:51], s[54:55]
	v_cndmask_b32_e64 v13, 0, v15, s[50:51]
	v_add_u32_e32 v7, v13, v7
	v_add_u32_e32 v13, -1, v8
	v_and_b32_e32 v15, 64, v8
	v_cmp_lt_i32_e64 s[50:51], v13, v15
	v_and_or_b32 v6, v9, s60, v6
	s_nop 0
	v_cndmask_b32_e64 v8, v13, v8, s[50:51]
	v_lshlrev_b32_e32 v8, 2, v8
	ds_bpermute_b32 v7, v8, v7
	ds_bpermute_b32 v6, v8, v6
	v_cmp_eq_u16_sdwa s[50:51], v3, v17 src0_sel:BYTE_0 src1_sel:DWORD
	; wave barrier
	s_waitcnt lgkmcnt(1)
	s_nop 0
	v_cndmask_b32_e64 v3, 0, v7, s[50:51]
	v_add_u32_e32 v2, v3, v2
	s_waitcnt lgkmcnt(0)
	v_and_b32_e32 v3, 1, v6
	v_cmp_eq_u32_e64 s[50:51], 1, v5
	v_cndmask_b32_e32 v5, v2, v79, vcc
	s_nop 0
	v_cndmask_b32_e64 v3, v3, 1, s[50:51]
	v_cndmask_b32_e32 v4, v3, v4, vcc
	ds_write_b32 v1, v5
	ds_write_b8 v1, v4 offset:4
	; wave barrier
	ds_read_u8 v6, v1 offset:12
	ds_read2_b32 v[2:3], v1 offset0:2 offset1:4
	ds_read_u8 v7, v1 offset:20
	ds_read_b32 v8, v1 offset:24
	ds_read_u8 v9, v1 offset:28
	s_waitcnt lgkmcnt(4)
	v_cmp_eq_u16_e64 s[50:51], 0, v6
	s_nop 1
	v_cndmask_b32_e64 v5, 0, v5, s[50:51]
	s_waitcnt lgkmcnt(3)
	v_add_u32_e32 v2, v5, v2
	v_and_b32_e32 v5, 1, v6
	v_cmp_eq_u32_e64 s[50:51], 1, v5
	s_nop 1
	v_cndmask_b32_e64 v4, v4, 1, s[50:51]
	s_waitcnt lgkmcnt(2)
	v_cmp_eq_u16_e64 s[50:51], 0, v7
	ds_write_b8 v1, v4 offset:12
	s_nop 0
	v_cndmask_b32_e64 v5, 0, v2, s[50:51]
	v_add_u32_e32 v3, v5, v3
	v_and_b32_e32 v5, 1, v7
	v_cmp_eq_u32_e64 s[50:51], 1, v5
	s_nop 1
	v_cndmask_b32_e64 v4, v4, 1, s[50:51]
	s_waitcnt lgkmcnt(1)
	v_cmp_eq_u16_e64 s[50:51], 0, v9
	ds_write2_b32 v1, v2, v3 offset0:2 offset1:4
	ds_write_b8 v1, v4 offset:20
	v_cndmask_b32_e64 v2, 0, v3, s[50:51]
	v_and_b32_e32 v3, 1, v9
	v_add_u32_e32 v2, v2, v8
	v_cmp_eq_u32_e64 s[50:51], 1, v3
	s_nop 1
	v_cndmask_b32_e64 v3, v4, 1, s[50:51]
	ds_write_b32 v1, v2 offset:24
	ds_write_b8 v1, v3 offset:28
.LBB2197_183:
	s_or_b64 exec, exec, s[52:53]
	v_mov_b32_e32 v1, v79
	s_waitcnt lgkmcnt(0)
	s_barrier
	s_and_saveexec_b64 s[50:51], s[2:3]
	s_cbranch_execnz .LBB2197_261
; %bb.184:
	s_or_b64 exec, exec, s[50:51]
	s_and_saveexec_b64 s[50:51], s[2:3]
	s_cbranch_execnz .LBB2197_262
.LBB2197_185:
	s_or_b64 exec, exec, s[50:51]
	s_and_saveexec_b64 s[2:3], vcc
	s_cbranch_execz .LBB2197_187
.LBB2197_186:
	v_mov_b32_e32 v5, 0
	ds_read_b32 v2, v5 offset:2096
	ds_read_u8 v3, v5 offset:2100
	s_add_u32 s4, s68, 0x400
	s_addc_u32 s5, s69, 0
	v_mov_b32_e32 v4, 2
	v_mov_b64_e32 v[6:7], s[4:5]
	s_waitcnt lgkmcnt(0)
	;;#ASMSTART
	global_store_dwordx4 v[6:7], v[2:5] off sc1	
s_waitcnt vmcnt(0)
	;;#ASMEND
.LBB2197_187:
	s_or_b64 exec, exec, s[2:3]
	v_mov_b32_e32 v80, v10
.LBB2197_188:
	s_add_u32 s2, s58, s72
	s_addc_u32 s3, s59, s73
	s_add_u32 s2, s2, s56
	s_addc_u32 s3, s3, s57
	s_and_b64 vcc, exec, s[0:1]
	s_cbranch_vccz .LBB2197_234
; %bb.189:
	s_movk_i32 s0, 0x5c
	v_mul_i32_i24_e32 v26, 0xffffffa8, v0
	s_waitcnt lgkmcnt(0)
	v_mul_u32_u24_e32 v1, 0x5c, v0
	v_mad_u32_u24 v2, v0, s0, v26
	s_barrier
	ds_write2_b32 v1, v80, v58 offset1:1
	ds_write2_b32 v1, v59, v60 offset0:2 offset1:3
	ds_write2_b32 v1, v61, v62 offset0:4 offset1:5
	;; [unrolled: 1-line block ×10, first 2 shown]
	ds_write_b32 v1, v79 offset:88
	s_waitcnt lgkmcnt(0)
	s_barrier
	ds_read2st64_b32 v[24:25], v2 offset0:4 offset1:8
	ds_read2st64_b32 v[22:23], v2 offset0:12 offset1:16
	;; [unrolled: 1-line block ×11, first 2 shown]
	s_add_i32 s33, s33, s70
	v_mov_b32_e32 v55, 0
	v_lshl_add_u64 v[4:5], s[2:3], 0, v[54:55]
	v_cmp_gt_u32_e32 vcc, s33, v0
	s_and_saveexec_b64 s[0:1], vcc
	s_cbranch_execz .LBB2197_191
; %bb.190:
	v_add_u32_e32 v1, v1, v26
	ds_read_b32 v1, v1
	s_waitcnt lgkmcnt(0)
	flat_store_dword v[4:5], v1
.LBB2197_191:
	s_or_b64 exec, exec, s[0:1]
	v_or_b32_e32 v1, 0x100, v0
	v_cmp_gt_u32_e32 vcc, s33, v1
	s_and_saveexec_b64 s[0:1], vcc
	s_cbranch_execz .LBB2197_193
; %bb.192:
	s_waitcnt lgkmcnt(0)
	flat_store_dword v[4:5], v24 offset:1024
.LBB2197_193:
	s_or_b64 exec, exec, s[0:1]
	v_or_b32_e32 v1, 0x200, v0
	v_cmp_gt_u32_e32 vcc, s33, v1
	s_and_saveexec_b64 s[0:1], vcc
	s_cbranch_execz .LBB2197_195
; %bb.194:
	s_waitcnt lgkmcnt(0)
	flat_store_dword v[4:5], v25 offset:2048
.LBB2197_195:
	;; [unrolled: 9-line block ×3, first 2 shown]
	s_or_b64 exec, exec, s[0:1]
	v_or_b32_e32 v1, 0x400, v0
	v_cmp_gt_u32_e32 vcc, s33, v1
	s_and_saveexec_b64 s[0:1], vcc
	s_cbranch_execz .LBB2197_199
; %bb.198:
	s_waitcnt lgkmcnt(0)
	v_add_co_u32_e32 v24, vcc, 0x1000, v4
	s_nop 1
	v_addc_co_u32_e32 v25, vcc, 0, v5, vcc
	flat_store_dword v[24:25], v23
.LBB2197_199:
	s_or_b64 exec, exec, s[0:1]
	v_or_b32_e32 v1, 0x500, v0
	v_cmp_gt_u32_e32 vcc, s33, v1
	s_and_saveexec_b64 s[0:1], vcc
	s_cbranch_execz .LBB2197_201
; %bb.200:
	s_waitcnt lgkmcnt(0)
	v_add_co_u32_e32 v22, vcc, 0x1000, v4
	s_nop 1
	v_addc_co_u32_e32 v23, vcc, 0, v5, vcc
	flat_store_dword v[22:23], v20 offset:1024
.LBB2197_201:
	s_or_b64 exec, exec, s[0:1]
	v_or_b32_e32 v1, 0x600, v0
	v_cmp_gt_u32_e32 vcc, s33, v1
	s_and_saveexec_b64 s[0:1], vcc
	s_cbranch_execz .LBB2197_203
; %bb.202:
	s_waitcnt lgkmcnt(0)
	v_add_co_u32_e32 v22, vcc, 0x1000, v4
	s_nop 1
	v_addc_co_u32_e32 v23, vcc, 0, v5, vcc
	flat_store_dword v[22:23], v21 offset:2048
.LBB2197_203:
	s_or_b64 exec, exec, s[0:1]
	v_or_b32_e32 v1, 0x700, v0
	v_cmp_gt_u32_e32 vcc, s33, v1
	s_and_saveexec_b64 s[0:1], vcc
	s_cbranch_execz .LBB2197_205
; %bb.204:
	s_waitcnt lgkmcnt(0)
	v_add_co_u32_e32 v20, vcc, 0x1000, v4
	s_nop 1
	v_addc_co_u32_e32 v21, vcc, 0, v5, vcc
	flat_store_dword v[20:21], v18 offset:3072
.LBB2197_205:
	s_or_b64 exec, exec, s[0:1]
	v_or_b32_e32 v1, 0x800, v0
	v_cmp_gt_u32_e32 vcc, s33, v1
	s_and_saveexec_b64 s[0:1], vcc
	s_cbranch_execz .LBB2197_207
; %bb.206:
	s_waitcnt lgkmcnt(0)
	v_add_co_u32_e32 v20, vcc, 0x2000, v4
	s_nop 1
	v_addc_co_u32_e32 v21, vcc, 0, v5, vcc
	flat_store_dword v[20:21], v19
.LBB2197_207:
	s_or_b64 exec, exec, s[0:1]
	v_or_b32_e32 v1, 0x900, v0
	v_cmp_gt_u32_e32 vcc, s33, v1
	s_and_saveexec_b64 s[0:1], vcc
	s_cbranch_execz .LBB2197_209
; %bb.208:
	s_waitcnt lgkmcnt(0)
	v_add_co_u32_e32 v18, vcc, 0x2000, v4
	s_nop 1
	v_addc_co_u32_e32 v19, vcc, 0, v5, vcc
	flat_store_dword v[18:19], v16 offset:1024
.LBB2197_209:
	s_or_b64 exec, exec, s[0:1]
	v_or_b32_e32 v1, 0xa00, v0
	v_cmp_gt_u32_e32 vcc, s33, v1
	s_and_saveexec_b64 s[0:1], vcc
	s_cbranch_execz .LBB2197_211
; %bb.210:
	s_waitcnt lgkmcnt(0)
	v_add_co_u32_e32 v18, vcc, 0x2000, v4
	s_nop 1
	v_addc_co_u32_e32 v19, vcc, 0, v5, vcc
	flat_store_dword v[18:19], v17 offset:2048
.LBB2197_211:
	s_or_b64 exec, exec, s[0:1]
	v_or_b32_e32 v1, 0xb00, v0
	v_cmp_gt_u32_e32 vcc, s33, v1
	s_and_saveexec_b64 s[0:1], vcc
	s_cbranch_execz .LBB2197_213
; %bb.212:
	s_waitcnt lgkmcnt(0)
	v_add_co_u32_e32 v16, vcc, 0x2000, v4
	s_nop 1
	v_addc_co_u32_e32 v17, vcc, 0, v5, vcc
	flat_store_dword v[16:17], v14 offset:3072
.LBB2197_213:
	;; [unrolled: 48-line block ×4, first 2 shown]
	s_or_b64 exec, exec, s[0:1]
	v_or_b32_e32 v1, 0x1400, v0
	v_cmp_gt_u32_e32 vcc, s33, v1
	s_and_saveexec_b64 s[0:1], vcc
	s_cbranch_execz .LBB2197_231
; %bb.230:
	s_waitcnt lgkmcnt(0)
	v_add_co_u32_e32 v8, vcc, 0x5000, v4
	s_nop 1
	v_addc_co_u32_e32 v9, vcc, 0, v5, vcc
	flat_store_dword v[8:9], v7
.LBB2197_231:
	s_or_b64 exec, exec, s[0:1]
	v_or_b32_e32 v1, 0x1500, v0
	v_cmp_gt_u32_e32 vcc, s33, v1
	s_and_saveexec_b64 s[0:1], vcc
	s_cbranch_execz .LBB2197_233
; %bb.232:
	v_add_co_u32_e32 v4, vcc, 0x5000, v4
	s_nop 1
	v_addc_co_u32_e32 v5, vcc, 0, v5, vcc
	s_waitcnt lgkmcnt(0)
	flat_store_dword v[4:5], v2 offset:1024
.LBB2197_233:
	s_or_b64 exec, exec, s[0:1]
	s_waitcnt lgkmcnt(0)
	v_or_b32_e32 v2, 0x1600, v0
	v_mov_b32_e32 v1, v55
	v_cmp_gt_u32_e64 s[0:1], s33, v2
	s_branch .LBB2197_236
.LBB2197_234:
	s_mov_b64 s[0:1], 0
                                        ; implicit-def: $vgpr3
	s_cbranch_execz .LBB2197_236
; %bb.235:
	s_waitcnt lgkmcnt(0)
	v_mul_u32_u24_e32 v1, 0x5c, v0
	s_barrier
	s_movk_i32 s4, 0x5c
	ds_write2_b32 v1, v80, v58 offset1:1
	ds_write2_b32 v1, v59, v60 offset0:2 offset1:3
	ds_write2_b32 v1, v61, v62 offset0:4 offset1:5
	ds_write2_b32 v1, v63, v64 offset0:6 offset1:7
	ds_write2_b32 v1, v65, v66 offset0:8 offset1:9
	ds_write2_b32 v1, v67, v68 offset0:10 offset1:11
	ds_write2_b32 v1, v69, v70 offset0:12 offset1:13
	ds_write2_b32 v1, v71, v72 offset0:14 offset1:15
	ds_write2_b32 v1, v73, v74 offset0:16 offset1:17
	ds_write2_b32 v1, v75, v76 offset0:18 offset1:19
	ds_write2_b32 v1, v77, v78 offset0:20 offset1:21
	ds_write_b32 v1, v79 offset:88
	v_mov_b32_e32 v1, 0
	v_mul_i32_i24_e32 v2, 0xffffffa8, v0
	v_mad_u32_u24 v2, v0, s4, v2
	v_mov_b32_e32 v55, v1
	s_waitcnt lgkmcnt(0)
	s_barrier
	ds_read2st64_b32 v[4:5], v2 offset1:4
	ds_read2st64_b32 v[6:7], v2 offset0:8 offset1:12
	ds_read2st64_b32 v[8:9], v2 offset0:16 offset1:20
	;; [unrolled: 1-line block ×10, first 2 shown]
	ds_read_b32 v3, v2 offset:22528
	v_lshl_add_u64 v[26:27], s[2:3], 0, v[54:55]
	s_movk_i32 s4, 0x1000
	s_waitcnt lgkmcnt(0)
	flat_store_dword v[26:27], v4
	flat_store_dword v[26:27], v5 offset:1024
	flat_store_dword v[26:27], v6 offset:2048
	;; [unrolled: 1-line block ×3, first 2 shown]
	v_add_co_u32_e32 v4, vcc, s4, v26
	s_movk_i32 s4, 0x2000
	s_nop 0
	v_addc_co_u32_e32 v5, vcc, 0, v27, vcc
	flat_store_dword v[4:5], v8
	flat_store_dword v[4:5], v9 offset:1024
	flat_store_dword v[4:5], v10 offset:2048
	;; [unrolled: 1-line block ×3, first 2 shown]
	v_add_co_u32_e32 v4, vcc, s4, v26
	s_movk_i32 s4, 0x3000
	s_nop 0
	v_addc_co_u32_e32 v5, vcc, 0, v27, vcc
	flat_store_dword v[4:5], v12
	flat_store_dword v[4:5], v13 offset:1024
	flat_store_dword v[4:5], v14 offset:2048
	;; [unrolled: 1-line block ×3, first 2 shown]
	v_add_co_u32_e32 v4, vcc, s4, v26
	s_or_b64 s[0:1], s[0:1], exec
	s_nop 0
	v_addc_co_u32_e32 v5, vcc, 0, v27, vcc
	flat_store_dword v[4:5], v16
	flat_store_dword v[4:5], v17 offset:1024
	flat_store_dword v[4:5], v18 offset:2048
	;; [unrolled: 1-line block ×3, first 2 shown]
	v_add_co_u32_e32 v4, vcc, 0x4000, v26
	s_nop 1
	v_addc_co_u32_e32 v5, vcc, 0, v27, vcc
	flat_store_dword v[4:5], v20
	flat_store_dword v[4:5], v21 offset:1024
	flat_store_dword v[4:5], v22 offset:2048
	;; [unrolled: 1-line block ×3, first 2 shown]
	v_add_co_u32_e32 v4, vcc, 0x5000, v26
	s_nop 1
	v_addc_co_u32_e32 v5, vcc, 0, v27, vcc
	flat_store_dword v[4:5], v24
	flat_store_dword v[4:5], v25 offset:1024
.LBB2197_236:
	s_and_saveexec_b64 s[4:5], s[0:1]
	s_cbranch_execnz .LBB2197_238
; %bb.237:
	s_endpgm
.LBB2197_238:
	s_waitcnt lgkmcnt(0)
	v_lshl_add_u64 v[0:1], v[0:1], 2, s[2:3]
	v_add_co_u32_e32 v0, vcc, 0x5000, v0
	s_nop 1
	v_addc_co_u32_e32 v1, vcc, 0, v1, vcc
	flat_store_dword v[0:1], v3 offset:2048
	s_endpgm
.LBB2197_239:
	v_lshl_add_u64 v[48:49], s[52:53], 0, v[44:45]
	flat_load_dword v48, v[48:49]
	s_or_b64 exec, exec, s[60:61]
                                        ; implicit-def: $vgpr49
	s_and_saveexec_b64 s[50:51], s[4:5]
	s_cbranch_execz .LBB2197_55
.LBB2197_240:
	v_mov_b32_e32 v45, 0
	v_lshl_add_u64 v[50:51], s[52:53], 0, v[44:45]
	flat_load_dword v49, v[50:51] offset:1024
	s_or_b64 exec, exec, s[50:51]
                                        ; implicit-def: $vgpr50
	s_and_saveexec_b64 s[4:5], s[6:7]
	s_cbranch_execz .LBB2197_56
.LBB2197_241:
	v_mov_b32_e32 v45, 0
	v_lshl_add_u64 v[50:51], s[52:53], 0, v[44:45]
	flat_load_dword v50, v[50:51] offset:2048
	s_or_b64 exec, exec, s[4:5]
                                        ; implicit-def: $vgpr45
	s_and_saveexec_b64 s[4:5], s[8:9]
	s_cbranch_execz .LBB2197_57
.LBB2197_242:
	v_mov_b32_e32 v45, 0
	v_lshl_add_u64 v[52:53], s[52:53], 0, v[44:45]
	flat_load_dword v45, v[52:53] offset:3072
	s_or_b64 exec, exec, s[4:5]
                                        ; implicit-def: $vgpr3
	s_and_saveexec_b64 s[4:5], s[10:11]
	s_cbranch_execz .LBB2197_58
.LBB2197_243:
	v_mov_b32_e32 v3, 0
	v_lshl_add_u64 v[2:3], s[52:53], 0, v[2:3]
	flat_load_dword v3, v[2:3]
	s_or_b64 exec, exec, s[4:5]
                                        ; implicit-def: $vgpr2
	s_and_saveexec_b64 s[4:5], s[12:13]
	s_cbranch_execz .LBB2197_59
.LBB2197_244:
	v_mov_b32_e32 v11, 0
	v_lshl_add_u64 v[10:11], s[52:53], 0, v[10:11]
	flat_load_dword v2, v[10:11]
	s_or_b64 exec, exec, s[4:5]
                                        ; implicit-def: $vgpr10
	s_and_saveexec_b64 s[4:5], s[14:15]
	s_cbranch_execz .LBB2197_60
.LBB2197_245:
	v_mov_b32_e32 v13, 0
	v_lshl_add_u64 v[10:11], s[52:53], 0, v[12:13]
	flat_load_dword v10, v[10:11]
	s_or_b64 exec, exec, s[4:5]
                                        ; implicit-def: $vgpr11
	s_and_saveexec_b64 s[4:5], s[16:17]
	s_cbranch_execz .LBB2197_61
.LBB2197_246:
	v_mov_b32_e32 v15, 0
	v_lshl_add_u64 v[12:13], s[52:53], 0, v[14:15]
	flat_load_dword v11, v[12:13]
	s_or_b64 exec, exec, s[4:5]
                                        ; implicit-def: $vgpr12
	s_and_saveexec_b64 s[4:5], s[18:19]
	s_cbranch_execz .LBB2197_62
.LBB2197_247:
	v_mov_b32_e32 v17, 0
	v_lshl_add_u64 v[12:13], s[52:53], 0, v[16:17]
	flat_load_dword v12, v[12:13]
	s_or_b64 exec, exec, s[4:5]
                                        ; implicit-def: $vgpr13
	s_and_saveexec_b64 s[4:5], s[20:21]
	s_cbranch_execz .LBB2197_63
.LBB2197_248:
	v_mov_b32_e32 v19, 0
	v_lshl_add_u64 v[14:15], s[52:53], 0, v[18:19]
	flat_load_dword v13, v[14:15]
	s_or_b64 exec, exec, s[4:5]
                                        ; implicit-def: $vgpr14
	s_and_saveexec_b64 s[4:5], s[22:23]
	s_cbranch_execz .LBB2197_64
.LBB2197_249:
	v_mov_b32_e32 v21, 0
	v_lshl_add_u64 v[14:15], s[52:53], 0, v[20:21]
	flat_load_dword v14, v[14:15]
	s_or_b64 exec, exec, s[4:5]
                                        ; implicit-def: $vgpr15
	s_and_saveexec_b64 s[4:5], s[24:25]
	s_cbranch_execz .LBB2197_65
.LBB2197_250:
	v_mov_b32_e32 v23, 0
	v_lshl_add_u64 v[16:17], s[52:53], 0, v[22:23]
	flat_load_dword v15, v[16:17]
	s_or_b64 exec, exec, s[4:5]
                                        ; implicit-def: $vgpr16
	s_and_saveexec_b64 s[4:5], s[26:27]
	s_cbranch_execz .LBB2197_66
.LBB2197_251:
	v_mov_b32_e32 v25, 0
	v_lshl_add_u64 v[16:17], s[52:53], 0, v[24:25]
	flat_load_dword v16, v[16:17]
	s_or_b64 exec, exec, s[4:5]
                                        ; implicit-def: $vgpr17
	s_and_saveexec_b64 s[4:5], s[28:29]
	s_cbranch_execz .LBB2197_67
.LBB2197_252:
	v_mov_b32_e32 v27, 0
	v_lshl_add_u64 v[18:19], s[52:53], 0, v[26:27]
	flat_load_dword v17, v[18:19]
	s_or_b64 exec, exec, s[4:5]
                                        ; implicit-def: $vgpr18
	s_and_saveexec_b64 s[4:5], s[30:31]
	s_cbranch_execz .LBB2197_68
.LBB2197_253:
	v_mov_b32_e32 v29, 0
	v_lshl_add_u64 v[18:19], s[52:53], 0, v[28:29]
	flat_load_dword v18, v[18:19]
	s_or_b64 exec, exec, s[4:5]
                                        ; implicit-def: $vgpr19
	s_and_saveexec_b64 s[4:5], s[34:35]
	s_cbranch_execz .LBB2197_69
.LBB2197_254:
	v_mov_b32_e32 v31, 0
	v_lshl_add_u64 v[20:21], s[52:53], 0, v[30:31]
	flat_load_dword v19, v[20:21]
	s_or_b64 exec, exec, s[4:5]
                                        ; implicit-def: $vgpr20
	s_and_saveexec_b64 s[4:5], s[36:37]
	s_cbranch_execz .LBB2197_70
.LBB2197_255:
	v_mov_b32_e32 v33, 0
	v_lshl_add_u64 v[20:21], s[52:53], 0, v[32:33]
	flat_load_dword v20, v[20:21]
	s_or_b64 exec, exec, s[4:5]
                                        ; implicit-def: $vgpr21
	s_and_saveexec_b64 s[4:5], s[38:39]
	s_cbranch_execz .LBB2197_71
.LBB2197_256:
	v_mov_b32_e32 v35, 0
	v_lshl_add_u64 v[22:23], s[52:53], 0, v[34:35]
	flat_load_dword v21, v[22:23]
	s_or_b64 exec, exec, s[4:5]
                                        ; implicit-def: $vgpr22
	s_and_saveexec_b64 s[4:5], s[40:41]
	s_cbranch_execz .LBB2197_72
.LBB2197_257:
	v_mov_b32_e32 v37, 0
	v_lshl_add_u64 v[22:23], s[52:53], 0, v[36:37]
	flat_load_dword v22, v[22:23]
	s_or_b64 exec, exec, s[4:5]
                                        ; implicit-def: $vgpr23
	s_and_saveexec_b64 s[4:5], s[42:43]
	s_cbranch_execz .LBB2197_73
.LBB2197_258:
	v_mov_b32_e32 v39, 0
	v_lshl_add_u64 v[24:25], s[52:53], 0, v[38:39]
	flat_load_dword v23, v[24:25]
	s_or_b64 exec, exec, s[4:5]
                                        ; implicit-def: $vgpr24
	s_and_saveexec_b64 s[4:5], s[44:45]
	s_cbranch_execz .LBB2197_74
.LBB2197_259:
	v_mov_b32_e32 v41, 0
	v_lshl_add_u64 v[24:25], s[52:53], 0, v[40:41]
	flat_load_dword v24, v[24:25]
	s_or_b64 exec, exec, s[4:5]
                                        ; implicit-def: $vgpr25
	s_and_saveexec_b64 s[4:5], s[46:47]
	s_cbranch_execz .LBB2197_75
.LBB2197_260:
	v_mov_b32_e32 v43, 0
	v_lshl_add_u64 v[26:27], s[52:53], 0, v[42:43]
	flat_load_dword v25, v[26:27]
	s_or_b64 exec, exec, s[4:5]
                                        ; implicit-def: $vgpr26
	s_and_saveexec_b64 s[4:5], s[48:49]
	s_cbranch_execnz .LBB2197_76
	s_branch .LBB2197_77
.LBB2197_261:
	v_add_u32_e32 v1, -1, v0
	v_lshrrev_b32_e32 v2, 5, v1
	v_add_lshl_u32 v1, v2, v1, 3
	ds_read_b32 v1, v1
	s_or_b64 exec, exec, s[50:51]
	s_and_saveexec_b64 s[50:51], s[2:3]
	s_cbranch_execz .LBB2197_185
.LBB2197_262:
	v_and_b32_e32 v3, 0xff, v11
	v_mov_b32_e32 v2, 0
	v_cmp_eq_u64_e64 s[2:3], 0, v[2:3]
	;;#ASMSTART
	;;#ASMEND
	s_waitcnt lgkmcnt(0)
	s_nop 0
	v_cndmask_b32_e64 v1, 0, v1, s[2:3]
	v_add_u32_e32 v10, v1, v10
	v_cndmask_b32_e64 v1, 0, v10, s[4:5]
	v_add_u32_e32 v58, v1, v12
	;; [unrolled: 2-line block ×23, first 2 shown]
	s_or_b64 exec, exec, s[50:51]
	s_and_saveexec_b64 s[2:3], vcc
	s_cbranch_execnz .LBB2197_186
	s_branch .LBB2197_187
.LBB2197_263:
                                        ; implicit-def: $sgpr60_sgpr61
	s_branch .LBB2197_50
.LBB2197_264:
                                        ; implicit-def: $sgpr4_sgpr5
	s_branch .LBB2197_126
	.section	.rodata,"a",@progbits
	.p2align	6, 0x0
	.amdhsa_kernel _ZN7rocprim17ROCPRIM_400000_NS6detail17trampoline_kernelINS0_14default_configENS1_27scan_by_key_config_selectorIiiEEZZNS1_16scan_by_key_implILNS1_25lookback_scan_determinismE0ELb0ES3_N6thrust23THRUST_200600_302600_NS10device_ptrIiEESB_SB_iNS9_4plusIvEENS9_8equal_toIvEEiEE10hipError_tPvRmT2_T3_T4_T5_mT6_T7_P12ihipStream_tbENKUlT_T0_E_clISt17integral_constantIbLb0EESW_EEDaSR_SS_EUlSR_E_NS1_11comp_targetILNS1_3genE5ELNS1_11target_archE942ELNS1_3gpuE9ELNS1_3repE0EEENS1_30default_config_static_selectorELNS0_4arch9wavefront6targetE1EEEvT1_
		.amdhsa_group_segment_fixed_size 25600
		.amdhsa_private_segment_fixed_size 0
		.amdhsa_kernarg_size 112
		.amdhsa_user_sgpr_count 2
		.amdhsa_user_sgpr_dispatch_ptr 0
		.amdhsa_user_sgpr_queue_ptr 0
		.amdhsa_user_sgpr_kernarg_segment_ptr 1
		.amdhsa_user_sgpr_dispatch_id 0
		.amdhsa_user_sgpr_kernarg_preload_length 0
		.amdhsa_user_sgpr_kernarg_preload_offset 0
		.amdhsa_user_sgpr_private_segment_size 0
		.amdhsa_uses_dynamic_stack 0
		.amdhsa_enable_private_segment 0
		.amdhsa_system_sgpr_workgroup_id_x 1
		.amdhsa_system_sgpr_workgroup_id_y 0
		.amdhsa_system_sgpr_workgroup_id_z 0
		.amdhsa_system_sgpr_workgroup_info 0
		.amdhsa_system_vgpr_workitem_id 0
		.amdhsa_next_free_vgpr 81
		.amdhsa_next_free_sgpr 82
		.amdhsa_accum_offset 84
		.amdhsa_reserve_vcc 1
		.amdhsa_float_round_mode_32 0
		.amdhsa_float_round_mode_16_64 0
		.amdhsa_float_denorm_mode_32 3
		.amdhsa_float_denorm_mode_16_64 3
		.amdhsa_dx10_clamp 1
		.amdhsa_ieee_mode 1
		.amdhsa_fp16_overflow 0
		.amdhsa_tg_split 0
		.amdhsa_exception_fp_ieee_invalid_op 0
		.amdhsa_exception_fp_denorm_src 0
		.amdhsa_exception_fp_ieee_div_zero 0
		.amdhsa_exception_fp_ieee_overflow 0
		.amdhsa_exception_fp_ieee_underflow 0
		.amdhsa_exception_fp_ieee_inexact 0
		.amdhsa_exception_int_div_zero 0
	.end_amdhsa_kernel
	.section	.text._ZN7rocprim17ROCPRIM_400000_NS6detail17trampoline_kernelINS0_14default_configENS1_27scan_by_key_config_selectorIiiEEZZNS1_16scan_by_key_implILNS1_25lookback_scan_determinismE0ELb0ES3_N6thrust23THRUST_200600_302600_NS10device_ptrIiEESB_SB_iNS9_4plusIvEENS9_8equal_toIvEEiEE10hipError_tPvRmT2_T3_T4_T5_mT6_T7_P12ihipStream_tbENKUlT_T0_E_clISt17integral_constantIbLb0EESW_EEDaSR_SS_EUlSR_E_NS1_11comp_targetILNS1_3genE5ELNS1_11target_archE942ELNS1_3gpuE9ELNS1_3repE0EEENS1_30default_config_static_selectorELNS0_4arch9wavefront6targetE1EEEvT1_,"axG",@progbits,_ZN7rocprim17ROCPRIM_400000_NS6detail17trampoline_kernelINS0_14default_configENS1_27scan_by_key_config_selectorIiiEEZZNS1_16scan_by_key_implILNS1_25lookback_scan_determinismE0ELb0ES3_N6thrust23THRUST_200600_302600_NS10device_ptrIiEESB_SB_iNS9_4plusIvEENS9_8equal_toIvEEiEE10hipError_tPvRmT2_T3_T4_T5_mT6_T7_P12ihipStream_tbENKUlT_T0_E_clISt17integral_constantIbLb0EESW_EEDaSR_SS_EUlSR_E_NS1_11comp_targetILNS1_3genE5ELNS1_11target_archE942ELNS1_3gpuE9ELNS1_3repE0EEENS1_30default_config_static_selectorELNS0_4arch9wavefront6targetE1EEEvT1_,comdat
.Lfunc_end2197:
	.size	_ZN7rocprim17ROCPRIM_400000_NS6detail17trampoline_kernelINS0_14default_configENS1_27scan_by_key_config_selectorIiiEEZZNS1_16scan_by_key_implILNS1_25lookback_scan_determinismE0ELb0ES3_N6thrust23THRUST_200600_302600_NS10device_ptrIiEESB_SB_iNS9_4plusIvEENS9_8equal_toIvEEiEE10hipError_tPvRmT2_T3_T4_T5_mT6_T7_P12ihipStream_tbENKUlT_T0_E_clISt17integral_constantIbLb0EESW_EEDaSR_SS_EUlSR_E_NS1_11comp_targetILNS1_3genE5ELNS1_11target_archE942ELNS1_3gpuE9ELNS1_3repE0EEENS1_30default_config_static_selectorELNS0_4arch9wavefront6targetE1EEEvT1_, .Lfunc_end2197-_ZN7rocprim17ROCPRIM_400000_NS6detail17trampoline_kernelINS0_14default_configENS1_27scan_by_key_config_selectorIiiEEZZNS1_16scan_by_key_implILNS1_25lookback_scan_determinismE0ELb0ES3_N6thrust23THRUST_200600_302600_NS10device_ptrIiEESB_SB_iNS9_4plusIvEENS9_8equal_toIvEEiEE10hipError_tPvRmT2_T3_T4_T5_mT6_T7_P12ihipStream_tbENKUlT_T0_E_clISt17integral_constantIbLb0EESW_EEDaSR_SS_EUlSR_E_NS1_11comp_targetILNS1_3genE5ELNS1_11target_archE942ELNS1_3gpuE9ELNS1_3repE0EEENS1_30default_config_static_selectorELNS0_4arch9wavefront6targetE1EEEvT1_
                                        ; -- End function
	.section	.AMDGPU.csdata,"",@progbits
; Kernel info:
; codeLenInByte = 15432
; NumSgprs: 88
; NumVgprs: 81
; NumAgprs: 0
; TotalNumVgprs: 81
; ScratchSize: 0
; MemoryBound: 0
; FloatMode: 240
; IeeeMode: 1
; LDSByteSize: 25600 bytes/workgroup (compile time only)
; SGPRBlocks: 10
; VGPRBlocks: 10
; NumSGPRsForWavesPerEU: 88
; NumVGPRsForWavesPerEU: 81
; AccumOffset: 84
; Occupancy: 2
; WaveLimiterHint : 1
; COMPUTE_PGM_RSRC2:SCRATCH_EN: 0
; COMPUTE_PGM_RSRC2:USER_SGPR: 2
; COMPUTE_PGM_RSRC2:TRAP_HANDLER: 0
; COMPUTE_PGM_RSRC2:TGID_X_EN: 1
; COMPUTE_PGM_RSRC2:TGID_Y_EN: 0
; COMPUTE_PGM_RSRC2:TGID_Z_EN: 0
; COMPUTE_PGM_RSRC2:TIDIG_COMP_CNT: 0
; COMPUTE_PGM_RSRC3_GFX90A:ACCUM_OFFSET: 20
; COMPUTE_PGM_RSRC3_GFX90A:TG_SPLIT: 0
	.section	.text._ZN7rocprim17ROCPRIM_400000_NS6detail17trampoline_kernelINS0_14default_configENS1_27scan_by_key_config_selectorIiiEEZZNS1_16scan_by_key_implILNS1_25lookback_scan_determinismE0ELb0ES3_N6thrust23THRUST_200600_302600_NS10device_ptrIiEESB_SB_iNS9_4plusIvEENS9_8equal_toIvEEiEE10hipError_tPvRmT2_T3_T4_T5_mT6_T7_P12ihipStream_tbENKUlT_T0_E_clISt17integral_constantIbLb0EESW_EEDaSR_SS_EUlSR_E_NS1_11comp_targetILNS1_3genE4ELNS1_11target_archE910ELNS1_3gpuE8ELNS1_3repE0EEENS1_30default_config_static_selectorELNS0_4arch9wavefront6targetE1EEEvT1_,"axG",@progbits,_ZN7rocprim17ROCPRIM_400000_NS6detail17trampoline_kernelINS0_14default_configENS1_27scan_by_key_config_selectorIiiEEZZNS1_16scan_by_key_implILNS1_25lookback_scan_determinismE0ELb0ES3_N6thrust23THRUST_200600_302600_NS10device_ptrIiEESB_SB_iNS9_4plusIvEENS9_8equal_toIvEEiEE10hipError_tPvRmT2_T3_T4_T5_mT6_T7_P12ihipStream_tbENKUlT_T0_E_clISt17integral_constantIbLb0EESW_EEDaSR_SS_EUlSR_E_NS1_11comp_targetILNS1_3genE4ELNS1_11target_archE910ELNS1_3gpuE8ELNS1_3repE0EEENS1_30default_config_static_selectorELNS0_4arch9wavefront6targetE1EEEvT1_,comdat
	.protected	_ZN7rocprim17ROCPRIM_400000_NS6detail17trampoline_kernelINS0_14default_configENS1_27scan_by_key_config_selectorIiiEEZZNS1_16scan_by_key_implILNS1_25lookback_scan_determinismE0ELb0ES3_N6thrust23THRUST_200600_302600_NS10device_ptrIiEESB_SB_iNS9_4plusIvEENS9_8equal_toIvEEiEE10hipError_tPvRmT2_T3_T4_T5_mT6_T7_P12ihipStream_tbENKUlT_T0_E_clISt17integral_constantIbLb0EESW_EEDaSR_SS_EUlSR_E_NS1_11comp_targetILNS1_3genE4ELNS1_11target_archE910ELNS1_3gpuE8ELNS1_3repE0EEENS1_30default_config_static_selectorELNS0_4arch9wavefront6targetE1EEEvT1_ ; -- Begin function _ZN7rocprim17ROCPRIM_400000_NS6detail17trampoline_kernelINS0_14default_configENS1_27scan_by_key_config_selectorIiiEEZZNS1_16scan_by_key_implILNS1_25lookback_scan_determinismE0ELb0ES3_N6thrust23THRUST_200600_302600_NS10device_ptrIiEESB_SB_iNS9_4plusIvEENS9_8equal_toIvEEiEE10hipError_tPvRmT2_T3_T4_T5_mT6_T7_P12ihipStream_tbENKUlT_T0_E_clISt17integral_constantIbLb0EESW_EEDaSR_SS_EUlSR_E_NS1_11comp_targetILNS1_3genE4ELNS1_11target_archE910ELNS1_3gpuE8ELNS1_3repE0EEENS1_30default_config_static_selectorELNS0_4arch9wavefront6targetE1EEEvT1_
	.globl	_ZN7rocprim17ROCPRIM_400000_NS6detail17trampoline_kernelINS0_14default_configENS1_27scan_by_key_config_selectorIiiEEZZNS1_16scan_by_key_implILNS1_25lookback_scan_determinismE0ELb0ES3_N6thrust23THRUST_200600_302600_NS10device_ptrIiEESB_SB_iNS9_4plusIvEENS9_8equal_toIvEEiEE10hipError_tPvRmT2_T3_T4_T5_mT6_T7_P12ihipStream_tbENKUlT_T0_E_clISt17integral_constantIbLb0EESW_EEDaSR_SS_EUlSR_E_NS1_11comp_targetILNS1_3genE4ELNS1_11target_archE910ELNS1_3gpuE8ELNS1_3repE0EEENS1_30default_config_static_selectorELNS0_4arch9wavefront6targetE1EEEvT1_
	.p2align	8
	.type	_ZN7rocprim17ROCPRIM_400000_NS6detail17trampoline_kernelINS0_14default_configENS1_27scan_by_key_config_selectorIiiEEZZNS1_16scan_by_key_implILNS1_25lookback_scan_determinismE0ELb0ES3_N6thrust23THRUST_200600_302600_NS10device_ptrIiEESB_SB_iNS9_4plusIvEENS9_8equal_toIvEEiEE10hipError_tPvRmT2_T3_T4_T5_mT6_T7_P12ihipStream_tbENKUlT_T0_E_clISt17integral_constantIbLb0EESW_EEDaSR_SS_EUlSR_E_NS1_11comp_targetILNS1_3genE4ELNS1_11target_archE910ELNS1_3gpuE8ELNS1_3repE0EEENS1_30default_config_static_selectorELNS0_4arch9wavefront6targetE1EEEvT1_,@function
_ZN7rocprim17ROCPRIM_400000_NS6detail17trampoline_kernelINS0_14default_configENS1_27scan_by_key_config_selectorIiiEEZZNS1_16scan_by_key_implILNS1_25lookback_scan_determinismE0ELb0ES3_N6thrust23THRUST_200600_302600_NS10device_ptrIiEESB_SB_iNS9_4plusIvEENS9_8equal_toIvEEiEE10hipError_tPvRmT2_T3_T4_T5_mT6_T7_P12ihipStream_tbENKUlT_T0_E_clISt17integral_constantIbLb0EESW_EEDaSR_SS_EUlSR_E_NS1_11comp_targetILNS1_3genE4ELNS1_11target_archE910ELNS1_3gpuE8ELNS1_3repE0EEENS1_30default_config_static_selectorELNS0_4arch9wavefront6targetE1EEEvT1_: ; @_ZN7rocprim17ROCPRIM_400000_NS6detail17trampoline_kernelINS0_14default_configENS1_27scan_by_key_config_selectorIiiEEZZNS1_16scan_by_key_implILNS1_25lookback_scan_determinismE0ELb0ES3_N6thrust23THRUST_200600_302600_NS10device_ptrIiEESB_SB_iNS9_4plusIvEENS9_8equal_toIvEEiEE10hipError_tPvRmT2_T3_T4_T5_mT6_T7_P12ihipStream_tbENKUlT_T0_E_clISt17integral_constantIbLb0EESW_EEDaSR_SS_EUlSR_E_NS1_11comp_targetILNS1_3genE4ELNS1_11target_archE910ELNS1_3gpuE8ELNS1_3repE0EEENS1_30default_config_static_selectorELNS0_4arch9wavefront6targetE1EEEvT1_
; %bb.0:
	.section	.rodata,"a",@progbits
	.p2align	6, 0x0
	.amdhsa_kernel _ZN7rocprim17ROCPRIM_400000_NS6detail17trampoline_kernelINS0_14default_configENS1_27scan_by_key_config_selectorIiiEEZZNS1_16scan_by_key_implILNS1_25lookback_scan_determinismE0ELb0ES3_N6thrust23THRUST_200600_302600_NS10device_ptrIiEESB_SB_iNS9_4plusIvEENS9_8equal_toIvEEiEE10hipError_tPvRmT2_T3_T4_T5_mT6_T7_P12ihipStream_tbENKUlT_T0_E_clISt17integral_constantIbLb0EESW_EEDaSR_SS_EUlSR_E_NS1_11comp_targetILNS1_3genE4ELNS1_11target_archE910ELNS1_3gpuE8ELNS1_3repE0EEENS1_30default_config_static_selectorELNS0_4arch9wavefront6targetE1EEEvT1_
		.amdhsa_group_segment_fixed_size 0
		.amdhsa_private_segment_fixed_size 0
		.amdhsa_kernarg_size 112
		.amdhsa_user_sgpr_count 2
		.amdhsa_user_sgpr_dispatch_ptr 0
		.amdhsa_user_sgpr_queue_ptr 0
		.amdhsa_user_sgpr_kernarg_segment_ptr 1
		.amdhsa_user_sgpr_dispatch_id 0
		.amdhsa_user_sgpr_kernarg_preload_length 0
		.amdhsa_user_sgpr_kernarg_preload_offset 0
		.amdhsa_user_sgpr_private_segment_size 0
		.amdhsa_uses_dynamic_stack 0
		.amdhsa_enable_private_segment 0
		.amdhsa_system_sgpr_workgroup_id_x 1
		.amdhsa_system_sgpr_workgroup_id_y 0
		.amdhsa_system_sgpr_workgroup_id_z 0
		.amdhsa_system_sgpr_workgroup_info 0
		.amdhsa_system_vgpr_workitem_id 0
		.amdhsa_next_free_vgpr 1
		.amdhsa_next_free_sgpr 0
		.amdhsa_accum_offset 4
		.amdhsa_reserve_vcc 0
		.amdhsa_float_round_mode_32 0
		.amdhsa_float_round_mode_16_64 0
		.amdhsa_float_denorm_mode_32 3
		.amdhsa_float_denorm_mode_16_64 3
		.amdhsa_dx10_clamp 1
		.amdhsa_ieee_mode 1
		.amdhsa_fp16_overflow 0
		.amdhsa_tg_split 0
		.amdhsa_exception_fp_ieee_invalid_op 0
		.amdhsa_exception_fp_denorm_src 0
		.amdhsa_exception_fp_ieee_div_zero 0
		.amdhsa_exception_fp_ieee_overflow 0
		.amdhsa_exception_fp_ieee_underflow 0
		.amdhsa_exception_fp_ieee_inexact 0
		.amdhsa_exception_int_div_zero 0
	.end_amdhsa_kernel
	.section	.text._ZN7rocprim17ROCPRIM_400000_NS6detail17trampoline_kernelINS0_14default_configENS1_27scan_by_key_config_selectorIiiEEZZNS1_16scan_by_key_implILNS1_25lookback_scan_determinismE0ELb0ES3_N6thrust23THRUST_200600_302600_NS10device_ptrIiEESB_SB_iNS9_4plusIvEENS9_8equal_toIvEEiEE10hipError_tPvRmT2_T3_T4_T5_mT6_T7_P12ihipStream_tbENKUlT_T0_E_clISt17integral_constantIbLb0EESW_EEDaSR_SS_EUlSR_E_NS1_11comp_targetILNS1_3genE4ELNS1_11target_archE910ELNS1_3gpuE8ELNS1_3repE0EEENS1_30default_config_static_selectorELNS0_4arch9wavefront6targetE1EEEvT1_,"axG",@progbits,_ZN7rocprim17ROCPRIM_400000_NS6detail17trampoline_kernelINS0_14default_configENS1_27scan_by_key_config_selectorIiiEEZZNS1_16scan_by_key_implILNS1_25lookback_scan_determinismE0ELb0ES3_N6thrust23THRUST_200600_302600_NS10device_ptrIiEESB_SB_iNS9_4plusIvEENS9_8equal_toIvEEiEE10hipError_tPvRmT2_T3_T4_T5_mT6_T7_P12ihipStream_tbENKUlT_T0_E_clISt17integral_constantIbLb0EESW_EEDaSR_SS_EUlSR_E_NS1_11comp_targetILNS1_3genE4ELNS1_11target_archE910ELNS1_3gpuE8ELNS1_3repE0EEENS1_30default_config_static_selectorELNS0_4arch9wavefront6targetE1EEEvT1_,comdat
.Lfunc_end2198:
	.size	_ZN7rocprim17ROCPRIM_400000_NS6detail17trampoline_kernelINS0_14default_configENS1_27scan_by_key_config_selectorIiiEEZZNS1_16scan_by_key_implILNS1_25lookback_scan_determinismE0ELb0ES3_N6thrust23THRUST_200600_302600_NS10device_ptrIiEESB_SB_iNS9_4plusIvEENS9_8equal_toIvEEiEE10hipError_tPvRmT2_T3_T4_T5_mT6_T7_P12ihipStream_tbENKUlT_T0_E_clISt17integral_constantIbLb0EESW_EEDaSR_SS_EUlSR_E_NS1_11comp_targetILNS1_3genE4ELNS1_11target_archE910ELNS1_3gpuE8ELNS1_3repE0EEENS1_30default_config_static_selectorELNS0_4arch9wavefront6targetE1EEEvT1_, .Lfunc_end2198-_ZN7rocprim17ROCPRIM_400000_NS6detail17trampoline_kernelINS0_14default_configENS1_27scan_by_key_config_selectorIiiEEZZNS1_16scan_by_key_implILNS1_25lookback_scan_determinismE0ELb0ES3_N6thrust23THRUST_200600_302600_NS10device_ptrIiEESB_SB_iNS9_4plusIvEENS9_8equal_toIvEEiEE10hipError_tPvRmT2_T3_T4_T5_mT6_T7_P12ihipStream_tbENKUlT_T0_E_clISt17integral_constantIbLb0EESW_EEDaSR_SS_EUlSR_E_NS1_11comp_targetILNS1_3genE4ELNS1_11target_archE910ELNS1_3gpuE8ELNS1_3repE0EEENS1_30default_config_static_selectorELNS0_4arch9wavefront6targetE1EEEvT1_
                                        ; -- End function
	.section	.AMDGPU.csdata,"",@progbits
; Kernel info:
; codeLenInByte = 0
; NumSgprs: 6
; NumVgprs: 0
; NumAgprs: 0
; TotalNumVgprs: 0
; ScratchSize: 0
; MemoryBound: 0
; FloatMode: 240
; IeeeMode: 1
; LDSByteSize: 0 bytes/workgroup (compile time only)
; SGPRBlocks: 0
; VGPRBlocks: 0
; NumSGPRsForWavesPerEU: 6
; NumVGPRsForWavesPerEU: 1
; AccumOffset: 4
; Occupancy: 8
; WaveLimiterHint : 0
; COMPUTE_PGM_RSRC2:SCRATCH_EN: 0
; COMPUTE_PGM_RSRC2:USER_SGPR: 2
; COMPUTE_PGM_RSRC2:TRAP_HANDLER: 0
; COMPUTE_PGM_RSRC2:TGID_X_EN: 1
; COMPUTE_PGM_RSRC2:TGID_Y_EN: 0
; COMPUTE_PGM_RSRC2:TGID_Z_EN: 0
; COMPUTE_PGM_RSRC2:TIDIG_COMP_CNT: 0
; COMPUTE_PGM_RSRC3_GFX90A:ACCUM_OFFSET: 0
; COMPUTE_PGM_RSRC3_GFX90A:TG_SPLIT: 0
	.section	.text._ZN7rocprim17ROCPRIM_400000_NS6detail17trampoline_kernelINS0_14default_configENS1_27scan_by_key_config_selectorIiiEEZZNS1_16scan_by_key_implILNS1_25lookback_scan_determinismE0ELb0ES3_N6thrust23THRUST_200600_302600_NS10device_ptrIiEESB_SB_iNS9_4plusIvEENS9_8equal_toIvEEiEE10hipError_tPvRmT2_T3_T4_T5_mT6_T7_P12ihipStream_tbENKUlT_T0_E_clISt17integral_constantIbLb0EESW_EEDaSR_SS_EUlSR_E_NS1_11comp_targetILNS1_3genE3ELNS1_11target_archE908ELNS1_3gpuE7ELNS1_3repE0EEENS1_30default_config_static_selectorELNS0_4arch9wavefront6targetE1EEEvT1_,"axG",@progbits,_ZN7rocprim17ROCPRIM_400000_NS6detail17trampoline_kernelINS0_14default_configENS1_27scan_by_key_config_selectorIiiEEZZNS1_16scan_by_key_implILNS1_25lookback_scan_determinismE0ELb0ES3_N6thrust23THRUST_200600_302600_NS10device_ptrIiEESB_SB_iNS9_4plusIvEENS9_8equal_toIvEEiEE10hipError_tPvRmT2_T3_T4_T5_mT6_T7_P12ihipStream_tbENKUlT_T0_E_clISt17integral_constantIbLb0EESW_EEDaSR_SS_EUlSR_E_NS1_11comp_targetILNS1_3genE3ELNS1_11target_archE908ELNS1_3gpuE7ELNS1_3repE0EEENS1_30default_config_static_selectorELNS0_4arch9wavefront6targetE1EEEvT1_,comdat
	.protected	_ZN7rocprim17ROCPRIM_400000_NS6detail17trampoline_kernelINS0_14default_configENS1_27scan_by_key_config_selectorIiiEEZZNS1_16scan_by_key_implILNS1_25lookback_scan_determinismE0ELb0ES3_N6thrust23THRUST_200600_302600_NS10device_ptrIiEESB_SB_iNS9_4plusIvEENS9_8equal_toIvEEiEE10hipError_tPvRmT2_T3_T4_T5_mT6_T7_P12ihipStream_tbENKUlT_T0_E_clISt17integral_constantIbLb0EESW_EEDaSR_SS_EUlSR_E_NS1_11comp_targetILNS1_3genE3ELNS1_11target_archE908ELNS1_3gpuE7ELNS1_3repE0EEENS1_30default_config_static_selectorELNS0_4arch9wavefront6targetE1EEEvT1_ ; -- Begin function _ZN7rocprim17ROCPRIM_400000_NS6detail17trampoline_kernelINS0_14default_configENS1_27scan_by_key_config_selectorIiiEEZZNS1_16scan_by_key_implILNS1_25lookback_scan_determinismE0ELb0ES3_N6thrust23THRUST_200600_302600_NS10device_ptrIiEESB_SB_iNS9_4plusIvEENS9_8equal_toIvEEiEE10hipError_tPvRmT2_T3_T4_T5_mT6_T7_P12ihipStream_tbENKUlT_T0_E_clISt17integral_constantIbLb0EESW_EEDaSR_SS_EUlSR_E_NS1_11comp_targetILNS1_3genE3ELNS1_11target_archE908ELNS1_3gpuE7ELNS1_3repE0EEENS1_30default_config_static_selectorELNS0_4arch9wavefront6targetE1EEEvT1_
	.globl	_ZN7rocprim17ROCPRIM_400000_NS6detail17trampoline_kernelINS0_14default_configENS1_27scan_by_key_config_selectorIiiEEZZNS1_16scan_by_key_implILNS1_25lookback_scan_determinismE0ELb0ES3_N6thrust23THRUST_200600_302600_NS10device_ptrIiEESB_SB_iNS9_4plusIvEENS9_8equal_toIvEEiEE10hipError_tPvRmT2_T3_T4_T5_mT6_T7_P12ihipStream_tbENKUlT_T0_E_clISt17integral_constantIbLb0EESW_EEDaSR_SS_EUlSR_E_NS1_11comp_targetILNS1_3genE3ELNS1_11target_archE908ELNS1_3gpuE7ELNS1_3repE0EEENS1_30default_config_static_selectorELNS0_4arch9wavefront6targetE1EEEvT1_
	.p2align	8
	.type	_ZN7rocprim17ROCPRIM_400000_NS6detail17trampoline_kernelINS0_14default_configENS1_27scan_by_key_config_selectorIiiEEZZNS1_16scan_by_key_implILNS1_25lookback_scan_determinismE0ELb0ES3_N6thrust23THRUST_200600_302600_NS10device_ptrIiEESB_SB_iNS9_4plusIvEENS9_8equal_toIvEEiEE10hipError_tPvRmT2_T3_T4_T5_mT6_T7_P12ihipStream_tbENKUlT_T0_E_clISt17integral_constantIbLb0EESW_EEDaSR_SS_EUlSR_E_NS1_11comp_targetILNS1_3genE3ELNS1_11target_archE908ELNS1_3gpuE7ELNS1_3repE0EEENS1_30default_config_static_selectorELNS0_4arch9wavefront6targetE1EEEvT1_,@function
_ZN7rocprim17ROCPRIM_400000_NS6detail17trampoline_kernelINS0_14default_configENS1_27scan_by_key_config_selectorIiiEEZZNS1_16scan_by_key_implILNS1_25lookback_scan_determinismE0ELb0ES3_N6thrust23THRUST_200600_302600_NS10device_ptrIiEESB_SB_iNS9_4plusIvEENS9_8equal_toIvEEiEE10hipError_tPvRmT2_T3_T4_T5_mT6_T7_P12ihipStream_tbENKUlT_T0_E_clISt17integral_constantIbLb0EESW_EEDaSR_SS_EUlSR_E_NS1_11comp_targetILNS1_3genE3ELNS1_11target_archE908ELNS1_3gpuE7ELNS1_3repE0EEENS1_30default_config_static_selectorELNS0_4arch9wavefront6targetE1EEEvT1_: ; @_ZN7rocprim17ROCPRIM_400000_NS6detail17trampoline_kernelINS0_14default_configENS1_27scan_by_key_config_selectorIiiEEZZNS1_16scan_by_key_implILNS1_25lookback_scan_determinismE0ELb0ES3_N6thrust23THRUST_200600_302600_NS10device_ptrIiEESB_SB_iNS9_4plusIvEENS9_8equal_toIvEEiEE10hipError_tPvRmT2_T3_T4_T5_mT6_T7_P12ihipStream_tbENKUlT_T0_E_clISt17integral_constantIbLb0EESW_EEDaSR_SS_EUlSR_E_NS1_11comp_targetILNS1_3genE3ELNS1_11target_archE908ELNS1_3gpuE7ELNS1_3repE0EEENS1_30default_config_static_selectorELNS0_4arch9wavefront6targetE1EEEvT1_
; %bb.0:
	.section	.rodata,"a",@progbits
	.p2align	6, 0x0
	.amdhsa_kernel _ZN7rocprim17ROCPRIM_400000_NS6detail17trampoline_kernelINS0_14default_configENS1_27scan_by_key_config_selectorIiiEEZZNS1_16scan_by_key_implILNS1_25lookback_scan_determinismE0ELb0ES3_N6thrust23THRUST_200600_302600_NS10device_ptrIiEESB_SB_iNS9_4plusIvEENS9_8equal_toIvEEiEE10hipError_tPvRmT2_T3_T4_T5_mT6_T7_P12ihipStream_tbENKUlT_T0_E_clISt17integral_constantIbLb0EESW_EEDaSR_SS_EUlSR_E_NS1_11comp_targetILNS1_3genE3ELNS1_11target_archE908ELNS1_3gpuE7ELNS1_3repE0EEENS1_30default_config_static_selectorELNS0_4arch9wavefront6targetE1EEEvT1_
		.amdhsa_group_segment_fixed_size 0
		.amdhsa_private_segment_fixed_size 0
		.amdhsa_kernarg_size 112
		.amdhsa_user_sgpr_count 2
		.amdhsa_user_sgpr_dispatch_ptr 0
		.amdhsa_user_sgpr_queue_ptr 0
		.amdhsa_user_sgpr_kernarg_segment_ptr 1
		.amdhsa_user_sgpr_dispatch_id 0
		.amdhsa_user_sgpr_kernarg_preload_length 0
		.amdhsa_user_sgpr_kernarg_preload_offset 0
		.amdhsa_user_sgpr_private_segment_size 0
		.amdhsa_uses_dynamic_stack 0
		.amdhsa_enable_private_segment 0
		.amdhsa_system_sgpr_workgroup_id_x 1
		.amdhsa_system_sgpr_workgroup_id_y 0
		.amdhsa_system_sgpr_workgroup_id_z 0
		.amdhsa_system_sgpr_workgroup_info 0
		.amdhsa_system_vgpr_workitem_id 0
		.amdhsa_next_free_vgpr 1
		.amdhsa_next_free_sgpr 0
		.amdhsa_accum_offset 4
		.amdhsa_reserve_vcc 0
		.amdhsa_float_round_mode_32 0
		.amdhsa_float_round_mode_16_64 0
		.amdhsa_float_denorm_mode_32 3
		.amdhsa_float_denorm_mode_16_64 3
		.amdhsa_dx10_clamp 1
		.amdhsa_ieee_mode 1
		.amdhsa_fp16_overflow 0
		.amdhsa_tg_split 0
		.amdhsa_exception_fp_ieee_invalid_op 0
		.amdhsa_exception_fp_denorm_src 0
		.amdhsa_exception_fp_ieee_div_zero 0
		.amdhsa_exception_fp_ieee_overflow 0
		.amdhsa_exception_fp_ieee_underflow 0
		.amdhsa_exception_fp_ieee_inexact 0
		.amdhsa_exception_int_div_zero 0
	.end_amdhsa_kernel
	.section	.text._ZN7rocprim17ROCPRIM_400000_NS6detail17trampoline_kernelINS0_14default_configENS1_27scan_by_key_config_selectorIiiEEZZNS1_16scan_by_key_implILNS1_25lookback_scan_determinismE0ELb0ES3_N6thrust23THRUST_200600_302600_NS10device_ptrIiEESB_SB_iNS9_4plusIvEENS9_8equal_toIvEEiEE10hipError_tPvRmT2_T3_T4_T5_mT6_T7_P12ihipStream_tbENKUlT_T0_E_clISt17integral_constantIbLb0EESW_EEDaSR_SS_EUlSR_E_NS1_11comp_targetILNS1_3genE3ELNS1_11target_archE908ELNS1_3gpuE7ELNS1_3repE0EEENS1_30default_config_static_selectorELNS0_4arch9wavefront6targetE1EEEvT1_,"axG",@progbits,_ZN7rocprim17ROCPRIM_400000_NS6detail17trampoline_kernelINS0_14default_configENS1_27scan_by_key_config_selectorIiiEEZZNS1_16scan_by_key_implILNS1_25lookback_scan_determinismE0ELb0ES3_N6thrust23THRUST_200600_302600_NS10device_ptrIiEESB_SB_iNS9_4plusIvEENS9_8equal_toIvEEiEE10hipError_tPvRmT2_T3_T4_T5_mT6_T7_P12ihipStream_tbENKUlT_T0_E_clISt17integral_constantIbLb0EESW_EEDaSR_SS_EUlSR_E_NS1_11comp_targetILNS1_3genE3ELNS1_11target_archE908ELNS1_3gpuE7ELNS1_3repE0EEENS1_30default_config_static_selectorELNS0_4arch9wavefront6targetE1EEEvT1_,comdat
.Lfunc_end2199:
	.size	_ZN7rocprim17ROCPRIM_400000_NS6detail17trampoline_kernelINS0_14default_configENS1_27scan_by_key_config_selectorIiiEEZZNS1_16scan_by_key_implILNS1_25lookback_scan_determinismE0ELb0ES3_N6thrust23THRUST_200600_302600_NS10device_ptrIiEESB_SB_iNS9_4plusIvEENS9_8equal_toIvEEiEE10hipError_tPvRmT2_T3_T4_T5_mT6_T7_P12ihipStream_tbENKUlT_T0_E_clISt17integral_constantIbLb0EESW_EEDaSR_SS_EUlSR_E_NS1_11comp_targetILNS1_3genE3ELNS1_11target_archE908ELNS1_3gpuE7ELNS1_3repE0EEENS1_30default_config_static_selectorELNS0_4arch9wavefront6targetE1EEEvT1_, .Lfunc_end2199-_ZN7rocprim17ROCPRIM_400000_NS6detail17trampoline_kernelINS0_14default_configENS1_27scan_by_key_config_selectorIiiEEZZNS1_16scan_by_key_implILNS1_25lookback_scan_determinismE0ELb0ES3_N6thrust23THRUST_200600_302600_NS10device_ptrIiEESB_SB_iNS9_4plusIvEENS9_8equal_toIvEEiEE10hipError_tPvRmT2_T3_T4_T5_mT6_T7_P12ihipStream_tbENKUlT_T0_E_clISt17integral_constantIbLb0EESW_EEDaSR_SS_EUlSR_E_NS1_11comp_targetILNS1_3genE3ELNS1_11target_archE908ELNS1_3gpuE7ELNS1_3repE0EEENS1_30default_config_static_selectorELNS0_4arch9wavefront6targetE1EEEvT1_
                                        ; -- End function
	.section	.AMDGPU.csdata,"",@progbits
; Kernel info:
; codeLenInByte = 0
; NumSgprs: 6
; NumVgprs: 0
; NumAgprs: 0
; TotalNumVgprs: 0
; ScratchSize: 0
; MemoryBound: 0
; FloatMode: 240
; IeeeMode: 1
; LDSByteSize: 0 bytes/workgroup (compile time only)
; SGPRBlocks: 0
; VGPRBlocks: 0
; NumSGPRsForWavesPerEU: 6
; NumVGPRsForWavesPerEU: 1
; AccumOffset: 4
; Occupancy: 8
; WaveLimiterHint : 0
; COMPUTE_PGM_RSRC2:SCRATCH_EN: 0
; COMPUTE_PGM_RSRC2:USER_SGPR: 2
; COMPUTE_PGM_RSRC2:TRAP_HANDLER: 0
; COMPUTE_PGM_RSRC2:TGID_X_EN: 1
; COMPUTE_PGM_RSRC2:TGID_Y_EN: 0
; COMPUTE_PGM_RSRC2:TGID_Z_EN: 0
; COMPUTE_PGM_RSRC2:TIDIG_COMP_CNT: 0
; COMPUTE_PGM_RSRC3_GFX90A:ACCUM_OFFSET: 0
; COMPUTE_PGM_RSRC3_GFX90A:TG_SPLIT: 0
	.section	.text._ZN7rocprim17ROCPRIM_400000_NS6detail17trampoline_kernelINS0_14default_configENS1_27scan_by_key_config_selectorIiiEEZZNS1_16scan_by_key_implILNS1_25lookback_scan_determinismE0ELb0ES3_N6thrust23THRUST_200600_302600_NS10device_ptrIiEESB_SB_iNS9_4plusIvEENS9_8equal_toIvEEiEE10hipError_tPvRmT2_T3_T4_T5_mT6_T7_P12ihipStream_tbENKUlT_T0_E_clISt17integral_constantIbLb0EESW_EEDaSR_SS_EUlSR_E_NS1_11comp_targetILNS1_3genE2ELNS1_11target_archE906ELNS1_3gpuE6ELNS1_3repE0EEENS1_30default_config_static_selectorELNS0_4arch9wavefront6targetE1EEEvT1_,"axG",@progbits,_ZN7rocprim17ROCPRIM_400000_NS6detail17trampoline_kernelINS0_14default_configENS1_27scan_by_key_config_selectorIiiEEZZNS1_16scan_by_key_implILNS1_25lookback_scan_determinismE0ELb0ES3_N6thrust23THRUST_200600_302600_NS10device_ptrIiEESB_SB_iNS9_4plusIvEENS9_8equal_toIvEEiEE10hipError_tPvRmT2_T3_T4_T5_mT6_T7_P12ihipStream_tbENKUlT_T0_E_clISt17integral_constantIbLb0EESW_EEDaSR_SS_EUlSR_E_NS1_11comp_targetILNS1_3genE2ELNS1_11target_archE906ELNS1_3gpuE6ELNS1_3repE0EEENS1_30default_config_static_selectorELNS0_4arch9wavefront6targetE1EEEvT1_,comdat
	.protected	_ZN7rocprim17ROCPRIM_400000_NS6detail17trampoline_kernelINS0_14default_configENS1_27scan_by_key_config_selectorIiiEEZZNS1_16scan_by_key_implILNS1_25lookback_scan_determinismE0ELb0ES3_N6thrust23THRUST_200600_302600_NS10device_ptrIiEESB_SB_iNS9_4plusIvEENS9_8equal_toIvEEiEE10hipError_tPvRmT2_T3_T4_T5_mT6_T7_P12ihipStream_tbENKUlT_T0_E_clISt17integral_constantIbLb0EESW_EEDaSR_SS_EUlSR_E_NS1_11comp_targetILNS1_3genE2ELNS1_11target_archE906ELNS1_3gpuE6ELNS1_3repE0EEENS1_30default_config_static_selectorELNS0_4arch9wavefront6targetE1EEEvT1_ ; -- Begin function _ZN7rocprim17ROCPRIM_400000_NS6detail17trampoline_kernelINS0_14default_configENS1_27scan_by_key_config_selectorIiiEEZZNS1_16scan_by_key_implILNS1_25lookback_scan_determinismE0ELb0ES3_N6thrust23THRUST_200600_302600_NS10device_ptrIiEESB_SB_iNS9_4plusIvEENS9_8equal_toIvEEiEE10hipError_tPvRmT2_T3_T4_T5_mT6_T7_P12ihipStream_tbENKUlT_T0_E_clISt17integral_constantIbLb0EESW_EEDaSR_SS_EUlSR_E_NS1_11comp_targetILNS1_3genE2ELNS1_11target_archE906ELNS1_3gpuE6ELNS1_3repE0EEENS1_30default_config_static_selectorELNS0_4arch9wavefront6targetE1EEEvT1_
	.globl	_ZN7rocprim17ROCPRIM_400000_NS6detail17trampoline_kernelINS0_14default_configENS1_27scan_by_key_config_selectorIiiEEZZNS1_16scan_by_key_implILNS1_25lookback_scan_determinismE0ELb0ES3_N6thrust23THRUST_200600_302600_NS10device_ptrIiEESB_SB_iNS9_4plusIvEENS9_8equal_toIvEEiEE10hipError_tPvRmT2_T3_T4_T5_mT6_T7_P12ihipStream_tbENKUlT_T0_E_clISt17integral_constantIbLb0EESW_EEDaSR_SS_EUlSR_E_NS1_11comp_targetILNS1_3genE2ELNS1_11target_archE906ELNS1_3gpuE6ELNS1_3repE0EEENS1_30default_config_static_selectorELNS0_4arch9wavefront6targetE1EEEvT1_
	.p2align	8
	.type	_ZN7rocprim17ROCPRIM_400000_NS6detail17trampoline_kernelINS0_14default_configENS1_27scan_by_key_config_selectorIiiEEZZNS1_16scan_by_key_implILNS1_25lookback_scan_determinismE0ELb0ES3_N6thrust23THRUST_200600_302600_NS10device_ptrIiEESB_SB_iNS9_4plusIvEENS9_8equal_toIvEEiEE10hipError_tPvRmT2_T3_T4_T5_mT6_T7_P12ihipStream_tbENKUlT_T0_E_clISt17integral_constantIbLb0EESW_EEDaSR_SS_EUlSR_E_NS1_11comp_targetILNS1_3genE2ELNS1_11target_archE906ELNS1_3gpuE6ELNS1_3repE0EEENS1_30default_config_static_selectorELNS0_4arch9wavefront6targetE1EEEvT1_,@function
_ZN7rocprim17ROCPRIM_400000_NS6detail17trampoline_kernelINS0_14default_configENS1_27scan_by_key_config_selectorIiiEEZZNS1_16scan_by_key_implILNS1_25lookback_scan_determinismE0ELb0ES3_N6thrust23THRUST_200600_302600_NS10device_ptrIiEESB_SB_iNS9_4plusIvEENS9_8equal_toIvEEiEE10hipError_tPvRmT2_T3_T4_T5_mT6_T7_P12ihipStream_tbENKUlT_T0_E_clISt17integral_constantIbLb0EESW_EEDaSR_SS_EUlSR_E_NS1_11comp_targetILNS1_3genE2ELNS1_11target_archE906ELNS1_3gpuE6ELNS1_3repE0EEENS1_30default_config_static_selectorELNS0_4arch9wavefront6targetE1EEEvT1_: ; @_ZN7rocprim17ROCPRIM_400000_NS6detail17trampoline_kernelINS0_14default_configENS1_27scan_by_key_config_selectorIiiEEZZNS1_16scan_by_key_implILNS1_25lookback_scan_determinismE0ELb0ES3_N6thrust23THRUST_200600_302600_NS10device_ptrIiEESB_SB_iNS9_4plusIvEENS9_8equal_toIvEEiEE10hipError_tPvRmT2_T3_T4_T5_mT6_T7_P12ihipStream_tbENKUlT_T0_E_clISt17integral_constantIbLb0EESW_EEDaSR_SS_EUlSR_E_NS1_11comp_targetILNS1_3genE2ELNS1_11target_archE906ELNS1_3gpuE6ELNS1_3repE0EEENS1_30default_config_static_selectorELNS0_4arch9wavefront6targetE1EEEvT1_
; %bb.0:
	.section	.rodata,"a",@progbits
	.p2align	6, 0x0
	.amdhsa_kernel _ZN7rocprim17ROCPRIM_400000_NS6detail17trampoline_kernelINS0_14default_configENS1_27scan_by_key_config_selectorIiiEEZZNS1_16scan_by_key_implILNS1_25lookback_scan_determinismE0ELb0ES3_N6thrust23THRUST_200600_302600_NS10device_ptrIiEESB_SB_iNS9_4plusIvEENS9_8equal_toIvEEiEE10hipError_tPvRmT2_T3_T4_T5_mT6_T7_P12ihipStream_tbENKUlT_T0_E_clISt17integral_constantIbLb0EESW_EEDaSR_SS_EUlSR_E_NS1_11comp_targetILNS1_3genE2ELNS1_11target_archE906ELNS1_3gpuE6ELNS1_3repE0EEENS1_30default_config_static_selectorELNS0_4arch9wavefront6targetE1EEEvT1_
		.amdhsa_group_segment_fixed_size 0
		.amdhsa_private_segment_fixed_size 0
		.amdhsa_kernarg_size 112
		.amdhsa_user_sgpr_count 2
		.amdhsa_user_sgpr_dispatch_ptr 0
		.amdhsa_user_sgpr_queue_ptr 0
		.amdhsa_user_sgpr_kernarg_segment_ptr 1
		.amdhsa_user_sgpr_dispatch_id 0
		.amdhsa_user_sgpr_kernarg_preload_length 0
		.amdhsa_user_sgpr_kernarg_preload_offset 0
		.amdhsa_user_sgpr_private_segment_size 0
		.amdhsa_uses_dynamic_stack 0
		.amdhsa_enable_private_segment 0
		.amdhsa_system_sgpr_workgroup_id_x 1
		.amdhsa_system_sgpr_workgroup_id_y 0
		.amdhsa_system_sgpr_workgroup_id_z 0
		.amdhsa_system_sgpr_workgroup_info 0
		.amdhsa_system_vgpr_workitem_id 0
		.amdhsa_next_free_vgpr 1
		.amdhsa_next_free_sgpr 0
		.amdhsa_accum_offset 4
		.amdhsa_reserve_vcc 0
		.amdhsa_float_round_mode_32 0
		.amdhsa_float_round_mode_16_64 0
		.amdhsa_float_denorm_mode_32 3
		.amdhsa_float_denorm_mode_16_64 3
		.amdhsa_dx10_clamp 1
		.amdhsa_ieee_mode 1
		.amdhsa_fp16_overflow 0
		.amdhsa_tg_split 0
		.amdhsa_exception_fp_ieee_invalid_op 0
		.amdhsa_exception_fp_denorm_src 0
		.amdhsa_exception_fp_ieee_div_zero 0
		.amdhsa_exception_fp_ieee_overflow 0
		.amdhsa_exception_fp_ieee_underflow 0
		.amdhsa_exception_fp_ieee_inexact 0
		.amdhsa_exception_int_div_zero 0
	.end_amdhsa_kernel
	.section	.text._ZN7rocprim17ROCPRIM_400000_NS6detail17trampoline_kernelINS0_14default_configENS1_27scan_by_key_config_selectorIiiEEZZNS1_16scan_by_key_implILNS1_25lookback_scan_determinismE0ELb0ES3_N6thrust23THRUST_200600_302600_NS10device_ptrIiEESB_SB_iNS9_4plusIvEENS9_8equal_toIvEEiEE10hipError_tPvRmT2_T3_T4_T5_mT6_T7_P12ihipStream_tbENKUlT_T0_E_clISt17integral_constantIbLb0EESW_EEDaSR_SS_EUlSR_E_NS1_11comp_targetILNS1_3genE2ELNS1_11target_archE906ELNS1_3gpuE6ELNS1_3repE0EEENS1_30default_config_static_selectorELNS0_4arch9wavefront6targetE1EEEvT1_,"axG",@progbits,_ZN7rocprim17ROCPRIM_400000_NS6detail17trampoline_kernelINS0_14default_configENS1_27scan_by_key_config_selectorIiiEEZZNS1_16scan_by_key_implILNS1_25lookback_scan_determinismE0ELb0ES3_N6thrust23THRUST_200600_302600_NS10device_ptrIiEESB_SB_iNS9_4plusIvEENS9_8equal_toIvEEiEE10hipError_tPvRmT2_T3_T4_T5_mT6_T7_P12ihipStream_tbENKUlT_T0_E_clISt17integral_constantIbLb0EESW_EEDaSR_SS_EUlSR_E_NS1_11comp_targetILNS1_3genE2ELNS1_11target_archE906ELNS1_3gpuE6ELNS1_3repE0EEENS1_30default_config_static_selectorELNS0_4arch9wavefront6targetE1EEEvT1_,comdat
.Lfunc_end2200:
	.size	_ZN7rocprim17ROCPRIM_400000_NS6detail17trampoline_kernelINS0_14default_configENS1_27scan_by_key_config_selectorIiiEEZZNS1_16scan_by_key_implILNS1_25lookback_scan_determinismE0ELb0ES3_N6thrust23THRUST_200600_302600_NS10device_ptrIiEESB_SB_iNS9_4plusIvEENS9_8equal_toIvEEiEE10hipError_tPvRmT2_T3_T4_T5_mT6_T7_P12ihipStream_tbENKUlT_T0_E_clISt17integral_constantIbLb0EESW_EEDaSR_SS_EUlSR_E_NS1_11comp_targetILNS1_3genE2ELNS1_11target_archE906ELNS1_3gpuE6ELNS1_3repE0EEENS1_30default_config_static_selectorELNS0_4arch9wavefront6targetE1EEEvT1_, .Lfunc_end2200-_ZN7rocprim17ROCPRIM_400000_NS6detail17trampoline_kernelINS0_14default_configENS1_27scan_by_key_config_selectorIiiEEZZNS1_16scan_by_key_implILNS1_25lookback_scan_determinismE0ELb0ES3_N6thrust23THRUST_200600_302600_NS10device_ptrIiEESB_SB_iNS9_4plusIvEENS9_8equal_toIvEEiEE10hipError_tPvRmT2_T3_T4_T5_mT6_T7_P12ihipStream_tbENKUlT_T0_E_clISt17integral_constantIbLb0EESW_EEDaSR_SS_EUlSR_E_NS1_11comp_targetILNS1_3genE2ELNS1_11target_archE906ELNS1_3gpuE6ELNS1_3repE0EEENS1_30default_config_static_selectorELNS0_4arch9wavefront6targetE1EEEvT1_
                                        ; -- End function
	.section	.AMDGPU.csdata,"",@progbits
; Kernel info:
; codeLenInByte = 0
; NumSgprs: 6
; NumVgprs: 0
; NumAgprs: 0
; TotalNumVgprs: 0
; ScratchSize: 0
; MemoryBound: 0
; FloatMode: 240
; IeeeMode: 1
; LDSByteSize: 0 bytes/workgroup (compile time only)
; SGPRBlocks: 0
; VGPRBlocks: 0
; NumSGPRsForWavesPerEU: 6
; NumVGPRsForWavesPerEU: 1
; AccumOffset: 4
; Occupancy: 8
; WaveLimiterHint : 0
; COMPUTE_PGM_RSRC2:SCRATCH_EN: 0
; COMPUTE_PGM_RSRC2:USER_SGPR: 2
; COMPUTE_PGM_RSRC2:TRAP_HANDLER: 0
; COMPUTE_PGM_RSRC2:TGID_X_EN: 1
; COMPUTE_PGM_RSRC2:TGID_Y_EN: 0
; COMPUTE_PGM_RSRC2:TGID_Z_EN: 0
; COMPUTE_PGM_RSRC2:TIDIG_COMP_CNT: 0
; COMPUTE_PGM_RSRC3_GFX90A:ACCUM_OFFSET: 0
; COMPUTE_PGM_RSRC3_GFX90A:TG_SPLIT: 0
	.section	.text._ZN7rocprim17ROCPRIM_400000_NS6detail17trampoline_kernelINS0_14default_configENS1_27scan_by_key_config_selectorIiiEEZZNS1_16scan_by_key_implILNS1_25lookback_scan_determinismE0ELb0ES3_N6thrust23THRUST_200600_302600_NS10device_ptrIiEESB_SB_iNS9_4plusIvEENS9_8equal_toIvEEiEE10hipError_tPvRmT2_T3_T4_T5_mT6_T7_P12ihipStream_tbENKUlT_T0_E_clISt17integral_constantIbLb0EESW_EEDaSR_SS_EUlSR_E_NS1_11comp_targetILNS1_3genE10ELNS1_11target_archE1200ELNS1_3gpuE4ELNS1_3repE0EEENS1_30default_config_static_selectorELNS0_4arch9wavefront6targetE1EEEvT1_,"axG",@progbits,_ZN7rocprim17ROCPRIM_400000_NS6detail17trampoline_kernelINS0_14default_configENS1_27scan_by_key_config_selectorIiiEEZZNS1_16scan_by_key_implILNS1_25lookback_scan_determinismE0ELb0ES3_N6thrust23THRUST_200600_302600_NS10device_ptrIiEESB_SB_iNS9_4plusIvEENS9_8equal_toIvEEiEE10hipError_tPvRmT2_T3_T4_T5_mT6_T7_P12ihipStream_tbENKUlT_T0_E_clISt17integral_constantIbLb0EESW_EEDaSR_SS_EUlSR_E_NS1_11comp_targetILNS1_3genE10ELNS1_11target_archE1200ELNS1_3gpuE4ELNS1_3repE0EEENS1_30default_config_static_selectorELNS0_4arch9wavefront6targetE1EEEvT1_,comdat
	.protected	_ZN7rocprim17ROCPRIM_400000_NS6detail17trampoline_kernelINS0_14default_configENS1_27scan_by_key_config_selectorIiiEEZZNS1_16scan_by_key_implILNS1_25lookback_scan_determinismE0ELb0ES3_N6thrust23THRUST_200600_302600_NS10device_ptrIiEESB_SB_iNS9_4plusIvEENS9_8equal_toIvEEiEE10hipError_tPvRmT2_T3_T4_T5_mT6_T7_P12ihipStream_tbENKUlT_T0_E_clISt17integral_constantIbLb0EESW_EEDaSR_SS_EUlSR_E_NS1_11comp_targetILNS1_3genE10ELNS1_11target_archE1200ELNS1_3gpuE4ELNS1_3repE0EEENS1_30default_config_static_selectorELNS0_4arch9wavefront6targetE1EEEvT1_ ; -- Begin function _ZN7rocprim17ROCPRIM_400000_NS6detail17trampoline_kernelINS0_14default_configENS1_27scan_by_key_config_selectorIiiEEZZNS1_16scan_by_key_implILNS1_25lookback_scan_determinismE0ELb0ES3_N6thrust23THRUST_200600_302600_NS10device_ptrIiEESB_SB_iNS9_4plusIvEENS9_8equal_toIvEEiEE10hipError_tPvRmT2_T3_T4_T5_mT6_T7_P12ihipStream_tbENKUlT_T0_E_clISt17integral_constantIbLb0EESW_EEDaSR_SS_EUlSR_E_NS1_11comp_targetILNS1_3genE10ELNS1_11target_archE1200ELNS1_3gpuE4ELNS1_3repE0EEENS1_30default_config_static_selectorELNS0_4arch9wavefront6targetE1EEEvT1_
	.globl	_ZN7rocprim17ROCPRIM_400000_NS6detail17trampoline_kernelINS0_14default_configENS1_27scan_by_key_config_selectorIiiEEZZNS1_16scan_by_key_implILNS1_25lookback_scan_determinismE0ELb0ES3_N6thrust23THRUST_200600_302600_NS10device_ptrIiEESB_SB_iNS9_4plusIvEENS9_8equal_toIvEEiEE10hipError_tPvRmT2_T3_T4_T5_mT6_T7_P12ihipStream_tbENKUlT_T0_E_clISt17integral_constantIbLb0EESW_EEDaSR_SS_EUlSR_E_NS1_11comp_targetILNS1_3genE10ELNS1_11target_archE1200ELNS1_3gpuE4ELNS1_3repE0EEENS1_30default_config_static_selectorELNS0_4arch9wavefront6targetE1EEEvT1_
	.p2align	8
	.type	_ZN7rocprim17ROCPRIM_400000_NS6detail17trampoline_kernelINS0_14default_configENS1_27scan_by_key_config_selectorIiiEEZZNS1_16scan_by_key_implILNS1_25lookback_scan_determinismE0ELb0ES3_N6thrust23THRUST_200600_302600_NS10device_ptrIiEESB_SB_iNS9_4plusIvEENS9_8equal_toIvEEiEE10hipError_tPvRmT2_T3_T4_T5_mT6_T7_P12ihipStream_tbENKUlT_T0_E_clISt17integral_constantIbLb0EESW_EEDaSR_SS_EUlSR_E_NS1_11comp_targetILNS1_3genE10ELNS1_11target_archE1200ELNS1_3gpuE4ELNS1_3repE0EEENS1_30default_config_static_selectorELNS0_4arch9wavefront6targetE1EEEvT1_,@function
_ZN7rocprim17ROCPRIM_400000_NS6detail17trampoline_kernelINS0_14default_configENS1_27scan_by_key_config_selectorIiiEEZZNS1_16scan_by_key_implILNS1_25lookback_scan_determinismE0ELb0ES3_N6thrust23THRUST_200600_302600_NS10device_ptrIiEESB_SB_iNS9_4plusIvEENS9_8equal_toIvEEiEE10hipError_tPvRmT2_T3_T4_T5_mT6_T7_P12ihipStream_tbENKUlT_T0_E_clISt17integral_constantIbLb0EESW_EEDaSR_SS_EUlSR_E_NS1_11comp_targetILNS1_3genE10ELNS1_11target_archE1200ELNS1_3gpuE4ELNS1_3repE0EEENS1_30default_config_static_selectorELNS0_4arch9wavefront6targetE1EEEvT1_: ; @_ZN7rocprim17ROCPRIM_400000_NS6detail17trampoline_kernelINS0_14default_configENS1_27scan_by_key_config_selectorIiiEEZZNS1_16scan_by_key_implILNS1_25lookback_scan_determinismE0ELb0ES3_N6thrust23THRUST_200600_302600_NS10device_ptrIiEESB_SB_iNS9_4plusIvEENS9_8equal_toIvEEiEE10hipError_tPvRmT2_T3_T4_T5_mT6_T7_P12ihipStream_tbENKUlT_T0_E_clISt17integral_constantIbLb0EESW_EEDaSR_SS_EUlSR_E_NS1_11comp_targetILNS1_3genE10ELNS1_11target_archE1200ELNS1_3gpuE4ELNS1_3repE0EEENS1_30default_config_static_selectorELNS0_4arch9wavefront6targetE1EEEvT1_
; %bb.0:
	.section	.rodata,"a",@progbits
	.p2align	6, 0x0
	.amdhsa_kernel _ZN7rocprim17ROCPRIM_400000_NS6detail17trampoline_kernelINS0_14default_configENS1_27scan_by_key_config_selectorIiiEEZZNS1_16scan_by_key_implILNS1_25lookback_scan_determinismE0ELb0ES3_N6thrust23THRUST_200600_302600_NS10device_ptrIiEESB_SB_iNS9_4plusIvEENS9_8equal_toIvEEiEE10hipError_tPvRmT2_T3_T4_T5_mT6_T7_P12ihipStream_tbENKUlT_T0_E_clISt17integral_constantIbLb0EESW_EEDaSR_SS_EUlSR_E_NS1_11comp_targetILNS1_3genE10ELNS1_11target_archE1200ELNS1_3gpuE4ELNS1_3repE0EEENS1_30default_config_static_selectorELNS0_4arch9wavefront6targetE1EEEvT1_
		.amdhsa_group_segment_fixed_size 0
		.amdhsa_private_segment_fixed_size 0
		.amdhsa_kernarg_size 112
		.amdhsa_user_sgpr_count 2
		.amdhsa_user_sgpr_dispatch_ptr 0
		.amdhsa_user_sgpr_queue_ptr 0
		.amdhsa_user_sgpr_kernarg_segment_ptr 1
		.amdhsa_user_sgpr_dispatch_id 0
		.amdhsa_user_sgpr_kernarg_preload_length 0
		.amdhsa_user_sgpr_kernarg_preload_offset 0
		.amdhsa_user_sgpr_private_segment_size 0
		.amdhsa_uses_dynamic_stack 0
		.amdhsa_enable_private_segment 0
		.amdhsa_system_sgpr_workgroup_id_x 1
		.amdhsa_system_sgpr_workgroup_id_y 0
		.amdhsa_system_sgpr_workgroup_id_z 0
		.amdhsa_system_sgpr_workgroup_info 0
		.amdhsa_system_vgpr_workitem_id 0
		.amdhsa_next_free_vgpr 1
		.amdhsa_next_free_sgpr 0
		.amdhsa_accum_offset 4
		.amdhsa_reserve_vcc 0
		.amdhsa_float_round_mode_32 0
		.amdhsa_float_round_mode_16_64 0
		.amdhsa_float_denorm_mode_32 3
		.amdhsa_float_denorm_mode_16_64 3
		.amdhsa_dx10_clamp 1
		.amdhsa_ieee_mode 1
		.amdhsa_fp16_overflow 0
		.amdhsa_tg_split 0
		.amdhsa_exception_fp_ieee_invalid_op 0
		.amdhsa_exception_fp_denorm_src 0
		.amdhsa_exception_fp_ieee_div_zero 0
		.amdhsa_exception_fp_ieee_overflow 0
		.amdhsa_exception_fp_ieee_underflow 0
		.amdhsa_exception_fp_ieee_inexact 0
		.amdhsa_exception_int_div_zero 0
	.end_amdhsa_kernel
	.section	.text._ZN7rocprim17ROCPRIM_400000_NS6detail17trampoline_kernelINS0_14default_configENS1_27scan_by_key_config_selectorIiiEEZZNS1_16scan_by_key_implILNS1_25lookback_scan_determinismE0ELb0ES3_N6thrust23THRUST_200600_302600_NS10device_ptrIiEESB_SB_iNS9_4plusIvEENS9_8equal_toIvEEiEE10hipError_tPvRmT2_T3_T4_T5_mT6_T7_P12ihipStream_tbENKUlT_T0_E_clISt17integral_constantIbLb0EESW_EEDaSR_SS_EUlSR_E_NS1_11comp_targetILNS1_3genE10ELNS1_11target_archE1200ELNS1_3gpuE4ELNS1_3repE0EEENS1_30default_config_static_selectorELNS0_4arch9wavefront6targetE1EEEvT1_,"axG",@progbits,_ZN7rocprim17ROCPRIM_400000_NS6detail17trampoline_kernelINS0_14default_configENS1_27scan_by_key_config_selectorIiiEEZZNS1_16scan_by_key_implILNS1_25lookback_scan_determinismE0ELb0ES3_N6thrust23THRUST_200600_302600_NS10device_ptrIiEESB_SB_iNS9_4plusIvEENS9_8equal_toIvEEiEE10hipError_tPvRmT2_T3_T4_T5_mT6_T7_P12ihipStream_tbENKUlT_T0_E_clISt17integral_constantIbLb0EESW_EEDaSR_SS_EUlSR_E_NS1_11comp_targetILNS1_3genE10ELNS1_11target_archE1200ELNS1_3gpuE4ELNS1_3repE0EEENS1_30default_config_static_selectorELNS0_4arch9wavefront6targetE1EEEvT1_,comdat
.Lfunc_end2201:
	.size	_ZN7rocprim17ROCPRIM_400000_NS6detail17trampoline_kernelINS0_14default_configENS1_27scan_by_key_config_selectorIiiEEZZNS1_16scan_by_key_implILNS1_25lookback_scan_determinismE0ELb0ES3_N6thrust23THRUST_200600_302600_NS10device_ptrIiEESB_SB_iNS9_4plusIvEENS9_8equal_toIvEEiEE10hipError_tPvRmT2_T3_T4_T5_mT6_T7_P12ihipStream_tbENKUlT_T0_E_clISt17integral_constantIbLb0EESW_EEDaSR_SS_EUlSR_E_NS1_11comp_targetILNS1_3genE10ELNS1_11target_archE1200ELNS1_3gpuE4ELNS1_3repE0EEENS1_30default_config_static_selectorELNS0_4arch9wavefront6targetE1EEEvT1_, .Lfunc_end2201-_ZN7rocprim17ROCPRIM_400000_NS6detail17trampoline_kernelINS0_14default_configENS1_27scan_by_key_config_selectorIiiEEZZNS1_16scan_by_key_implILNS1_25lookback_scan_determinismE0ELb0ES3_N6thrust23THRUST_200600_302600_NS10device_ptrIiEESB_SB_iNS9_4plusIvEENS9_8equal_toIvEEiEE10hipError_tPvRmT2_T3_T4_T5_mT6_T7_P12ihipStream_tbENKUlT_T0_E_clISt17integral_constantIbLb0EESW_EEDaSR_SS_EUlSR_E_NS1_11comp_targetILNS1_3genE10ELNS1_11target_archE1200ELNS1_3gpuE4ELNS1_3repE0EEENS1_30default_config_static_selectorELNS0_4arch9wavefront6targetE1EEEvT1_
                                        ; -- End function
	.section	.AMDGPU.csdata,"",@progbits
; Kernel info:
; codeLenInByte = 0
; NumSgprs: 6
; NumVgprs: 0
; NumAgprs: 0
; TotalNumVgprs: 0
; ScratchSize: 0
; MemoryBound: 0
; FloatMode: 240
; IeeeMode: 1
; LDSByteSize: 0 bytes/workgroup (compile time only)
; SGPRBlocks: 0
; VGPRBlocks: 0
; NumSGPRsForWavesPerEU: 6
; NumVGPRsForWavesPerEU: 1
; AccumOffset: 4
; Occupancy: 8
; WaveLimiterHint : 0
; COMPUTE_PGM_RSRC2:SCRATCH_EN: 0
; COMPUTE_PGM_RSRC2:USER_SGPR: 2
; COMPUTE_PGM_RSRC2:TRAP_HANDLER: 0
; COMPUTE_PGM_RSRC2:TGID_X_EN: 1
; COMPUTE_PGM_RSRC2:TGID_Y_EN: 0
; COMPUTE_PGM_RSRC2:TGID_Z_EN: 0
; COMPUTE_PGM_RSRC2:TIDIG_COMP_CNT: 0
; COMPUTE_PGM_RSRC3_GFX90A:ACCUM_OFFSET: 0
; COMPUTE_PGM_RSRC3_GFX90A:TG_SPLIT: 0
	.section	.text._ZN7rocprim17ROCPRIM_400000_NS6detail17trampoline_kernelINS0_14default_configENS1_27scan_by_key_config_selectorIiiEEZZNS1_16scan_by_key_implILNS1_25lookback_scan_determinismE0ELb0ES3_N6thrust23THRUST_200600_302600_NS10device_ptrIiEESB_SB_iNS9_4plusIvEENS9_8equal_toIvEEiEE10hipError_tPvRmT2_T3_T4_T5_mT6_T7_P12ihipStream_tbENKUlT_T0_E_clISt17integral_constantIbLb0EESW_EEDaSR_SS_EUlSR_E_NS1_11comp_targetILNS1_3genE9ELNS1_11target_archE1100ELNS1_3gpuE3ELNS1_3repE0EEENS1_30default_config_static_selectorELNS0_4arch9wavefront6targetE1EEEvT1_,"axG",@progbits,_ZN7rocprim17ROCPRIM_400000_NS6detail17trampoline_kernelINS0_14default_configENS1_27scan_by_key_config_selectorIiiEEZZNS1_16scan_by_key_implILNS1_25lookback_scan_determinismE0ELb0ES3_N6thrust23THRUST_200600_302600_NS10device_ptrIiEESB_SB_iNS9_4plusIvEENS9_8equal_toIvEEiEE10hipError_tPvRmT2_T3_T4_T5_mT6_T7_P12ihipStream_tbENKUlT_T0_E_clISt17integral_constantIbLb0EESW_EEDaSR_SS_EUlSR_E_NS1_11comp_targetILNS1_3genE9ELNS1_11target_archE1100ELNS1_3gpuE3ELNS1_3repE0EEENS1_30default_config_static_selectorELNS0_4arch9wavefront6targetE1EEEvT1_,comdat
	.protected	_ZN7rocprim17ROCPRIM_400000_NS6detail17trampoline_kernelINS0_14default_configENS1_27scan_by_key_config_selectorIiiEEZZNS1_16scan_by_key_implILNS1_25lookback_scan_determinismE0ELb0ES3_N6thrust23THRUST_200600_302600_NS10device_ptrIiEESB_SB_iNS9_4plusIvEENS9_8equal_toIvEEiEE10hipError_tPvRmT2_T3_T4_T5_mT6_T7_P12ihipStream_tbENKUlT_T0_E_clISt17integral_constantIbLb0EESW_EEDaSR_SS_EUlSR_E_NS1_11comp_targetILNS1_3genE9ELNS1_11target_archE1100ELNS1_3gpuE3ELNS1_3repE0EEENS1_30default_config_static_selectorELNS0_4arch9wavefront6targetE1EEEvT1_ ; -- Begin function _ZN7rocprim17ROCPRIM_400000_NS6detail17trampoline_kernelINS0_14default_configENS1_27scan_by_key_config_selectorIiiEEZZNS1_16scan_by_key_implILNS1_25lookback_scan_determinismE0ELb0ES3_N6thrust23THRUST_200600_302600_NS10device_ptrIiEESB_SB_iNS9_4plusIvEENS9_8equal_toIvEEiEE10hipError_tPvRmT2_T3_T4_T5_mT6_T7_P12ihipStream_tbENKUlT_T0_E_clISt17integral_constantIbLb0EESW_EEDaSR_SS_EUlSR_E_NS1_11comp_targetILNS1_3genE9ELNS1_11target_archE1100ELNS1_3gpuE3ELNS1_3repE0EEENS1_30default_config_static_selectorELNS0_4arch9wavefront6targetE1EEEvT1_
	.globl	_ZN7rocprim17ROCPRIM_400000_NS6detail17trampoline_kernelINS0_14default_configENS1_27scan_by_key_config_selectorIiiEEZZNS1_16scan_by_key_implILNS1_25lookback_scan_determinismE0ELb0ES3_N6thrust23THRUST_200600_302600_NS10device_ptrIiEESB_SB_iNS9_4plusIvEENS9_8equal_toIvEEiEE10hipError_tPvRmT2_T3_T4_T5_mT6_T7_P12ihipStream_tbENKUlT_T0_E_clISt17integral_constantIbLb0EESW_EEDaSR_SS_EUlSR_E_NS1_11comp_targetILNS1_3genE9ELNS1_11target_archE1100ELNS1_3gpuE3ELNS1_3repE0EEENS1_30default_config_static_selectorELNS0_4arch9wavefront6targetE1EEEvT1_
	.p2align	8
	.type	_ZN7rocprim17ROCPRIM_400000_NS6detail17trampoline_kernelINS0_14default_configENS1_27scan_by_key_config_selectorIiiEEZZNS1_16scan_by_key_implILNS1_25lookback_scan_determinismE0ELb0ES3_N6thrust23THRUST_200600_302600_NS10device_ptrIiEESB_SB_iNS9_4plusIvEENS9_8equal_toIvEEiEE10hipError_tPvRmT2_T3_T4_T5_mT6_T7_P12ihipStream_tbENKUlT_T0_E_clISt17integral_constantIbLb0EESW_EEDaSR_SS_EUlSR_E_NS1_11comp_targetILNS1_3genE9ELNS1_11target_archE1100ELNS1_3gpuE3ELNS1_3repE0EEENS1_30default_config_static_selectorELNS0_4arch9wavefront6targetE1EEEvT1_,@function
_ZN7rocprim17ROCPRIM_400000_NS6detail17trampoline_kernelINS0_14default_configENS1_27scan_by_key_config_selectorIiiEEZZNS1_16scan_by_key_implILNS1_25lookback_scan_determinismE0ELb0ES3_N6thrust23THRUST_200600_302600_NS10device_ptrIiEESB_SB_iNS9_4plusIvEENS9_8equal_toIvEEiEE10hipError_tPvRmT2_T3_T4_T5_mT6_T7_P12ihipStream_tbENKUlT_T0_E_clISt17integral_constantIbLb0EESW_EEDaSR_SS_EUlSR_E_NS1_11comp_targetILNS1_3genE9ELNS1_11target_archE1100ELNS1_3gpuE3ELNS1_3repE0EEENS1_30default_config_static_selectorELNS0_4arch9wavefront6targetE1EEEvT1_: ; @_ZN7rocprim17ROCPRIM_400000_NS6detail17trampoline_kernelINS0_14default_configENS1_27scan_by_key_config_selectorIiiEEZZNS1_16scan_by_key_implILNS1_25lookback_scan_determinismE0ELb0ES3_N6thrust23THRUST_200600_302600_NS10device_ptrIiEESB_SB_iNS9_4plusIvEENS9_8equal_toIvEEiEE10hipError_tPvRmT2_T3_T4_T5_mT6_T7_P12ihipStream_tbENKUlT_T0_E_clISt17integral_constantIbLb0EESW_EEDaSR_SS_EUlSR_E_NS1_11comp_targetILNS1_3genE9ELNS1_11target_archE1100ELNS1_3gpuE3ELNS1_3repE0EEENS1_30default_config_static_selectorELNS0_4arch9wavefront6targetE1EEEvT1_
; %bb.0:
	.section	.rodata,"a",@progbits
	.p2align	6, 0x0
	.amdhsa_kernel _ZN7rocprim17ROCPRIM_400000_NS6detail17trampoline_kernelINS0_14default_configENS1_27scan_by_key_config_selectorIiiEEZZNS1_16scan_by_key_implILNS1_25lookback_scan_determinismE0ELb0ES3_N6thrust23THRUST_200600_302600_NS10device_ptrIiEESB_SB_iNS9_4plusIvEENS9_8equal_toIvEEiEE10hipError_tPvRmT2_T3_T4_T5_mT6_T7_P12ihipStream_tbENKUlT_T0_E_clISt17integral_constantIbLb0EESW_EEDaSR_SS_EUlSR_E_NS1_11comp_targetILNS1_3genE9ELNS1_11target_archE1100ELNS1_3gpuE3ELNS1_3repE0EEENS1_30default_config_static_selectorELNS0_4arch9wavefront6targetE1EEEvT1_
		.amdhsa_group_segment_fixed_size 0
		.amdhsa_private_segment_fixed_size 0
		.amdhsa_kernarg_size 112
		.amdhsa_user_sgpr_count 2
		.amdhsa_user_sgpr_dispatch_ptr 0
		.amdhsa_user_sgpr_queue_ptr 0
		.amdhsa_user_sgpr_kernarg_segment_ptr 1
		.amdhsa_user_sgpr_dispatch_id 0
		.amdhsa_user_sgpr_kernarg_preload_length 0
		.amdhsa_user_sgpr_kernarg_preload_offset 0
		.amdhsa_user_sgpr_private_segment_size 0
		.amdhsa_uses_dynamic_stack 0
		.amdhsa_enable_private_segment 0
		.amdhsa_system_sgpr_workgroup_id_x 1
		.amdhsa_system_sgpr_workgroup_id_y 0
		.amdhsa_system_sgpr_workgroup_id_z 0
		.amdhsa_system_sgpr_workgroup_info 0
		.amdhsa_system_vgpr_workitem_id 0
		.amdhsa_next_free_vgpr 1
		.amdhsa_next_free_sgpr 0
		.amdhsa_accum_offset 4
		.amdhsa_reserve_vcc 0
		.amdhsa_float_round_mode_32 0
		.amdhsa_float_round_mode_16_64 0
		.amdhsa_float_denorm_mode_32 3
		.amdhsa_float_denorm_mode_16_64 3
		.amdhsa_dx10_clamp 1
		.amdhsa_ieee_mode 1
		.amdhsa_fp16_overflow 0
		.amdhsa_tg_split 0
		.amdhsa_exception_fp_ieee_invalid_op 0
		.amdhsa_exception_fp_denorm_src 0
		.amdhsa_exception_fp_ieee_div_zero 0
		.amdhsa_exception_fp_ieee_overflow 0
		.amdhsa_exception_fp_ieee_underflow 0
		.amdhsa_exception_fp_ieee_inexact 0
		.amdhsa_exception_int_div_zero 0
	.end_amdhsa_kernel
	.section	.text._ZN7rocprim17ROCPRIM_400000_NS6detail17trampoline_kernelINS0_14default_configENS1_27scan_by_key_config_selectorIiiEEZZNS1_16scan_by_key_implILNS1_25lookback_scan_determinismE0ELb0ES3_N6thrust23THRUST_200600_302600_NS10device_ptrIiEESB_SB_iNS9_4plusIvEENS9_8equal_toIvEEiEE10hipError_tPvRmT2_T3_T4_T5_mT6_T7_P12ihipStream_tbENKUlT_T0_E_clISt17integral_constantIbLb0EESW_EEDaSR_SS_EUlSR_E_NS1_11comp_targetILNS1_3genE9ELNS1_11target_archE1100ELNS1_3gpuE3ELNS1_3repE0EEENS1_30default_config_static_selectorELNS0_4arch9wavefront6targetE1EEEvT1_,"axG",@progbits,_ZN7rocprim17ROCPRIM_400000_NS6detail17trampoline_kernelINS0_14default_configENS1_27scan_by_key_config_selectorIiiEEZZNS1_16scan_by_key_implILNS1_25lookback_scan_determinismE0ELb0ES3_N6thrust23THRUST_200600_302600_NS10device_ptrIiEESB_SB_iNS9_4plusIvEENS9_8equal_toIvEEiEE10hipError_tPvRmT2_T3_T4_T5_mT6_T7_P12ihipStream_tbENKUlT_T0_E_clISt17integral_constantIbLb0EESW_EEDaSR_SS_EUlSR_E_NS1_11comp_targetILNS1_3genE9ELNS1_11target_archE1100ELNS1_3gpuE3ELNS1_3repE0EEENS1_30default_config_static_selectorELNS0_4arch9wavefront6targetE1EEEvT1_,comdat
.Lfunc_end2202:
	.size	_ZN7rocprim17ROCPRIM_400000_NS6detail17trampoline_kernelINS0_14default_configENS1_27scan_by_key_config_selectorIiiEEZZNS1_16scan_by_key_implILNS1_25lookback_scan_determinismE0ELb0ES3_N6thrust23THRUST_200600_302600_NS10device_ptrIiEESB_SB_iNS9_4plusIvEENS9_8equal_toIvEEiEE10hipError_tPvRmT2_T3_T4_T5_mT6_T7_P12ihipStream_tbENKUlT_T0_E_clISt17integral_constantIbLb0EESW_EEDaSR_SS_EUlSR_E_NS1_11comp_targetILNS1_3genE9ELNS1_11target_archE1100ELNS1_3gpuE3ELNS1_3repE0EEENS1_30default_config_static_selectorELNS0_4arch9wavefront6targetE1EEEvT1_, .Lfunc_end2202-_ZN7rocprim17ROCPRIM_400000_NS6detail17trampoline_kernelINS0_14default_configENS1_27scan_by_key_config_selectorIiiEEZZNS1_16scan_by_key_implILNS1_25lookback_scan_determinismE0ELb0ES3_N6thrust23THRUST_200600_302600_NS10device_ptrIiEESB_SB_iNS9_4plusIvEENS9_8equal_toIvEEiEE10hipError_tPvRmT2_T3_T4_T5_mT6_T7_P12ihipStream_tbENKUlT_T0_E_clISt17integral_constantIbLb0EESW_EEDaSR_SS_EUlSR_E_NS1_11comp_targetILNS1_3genE9ELNS1_11target_archE1100ELNS1_3gpuE3ELNS1_3repE0EEENS1_30default_config_static_selectorELNS0_4arch9wavefront6targetE1EEEvT1_
                                        ; -- End function
	.section	.AMDGPU.csdata,"",@progbits
; Kernel info:
; codeLenInByte = 0
; NumSgprs: 6
; NumVgprs: 0
; NumAgprs: 0
; TotalNumVgprs: 0
; ScratchSize: 0
; MemoryBound: 0
; FloatMode: 240
; IeeeMode: 1
; LDSByteSize: 0 bytes/workgroup (compile time only)
; SGPRBlocks: 0
; VGPRBlocks: 0
; NumSGPRsForWavesPerEU: 6
; NumVGPRsForWavesPerEU: 1
; AccumOffset: 4
; Occupancy: 8
; WaveLimiterHint : 0
; COMPUTE_PGM_RSRC2:SCRATCH_EN: 0
; COMPUTE_PGM_RSRC2:USER_SGPR: 2
; COMPUTE_PGM_RSRC2:TRAP_HANDLER: 0
; COMPUTE_PGM_RSRC2:TGID_X_EN: 1
; COMPUTE_PGM_RSRC2:TGID_Y_EN: 0
; COMPUTE_PGM_RSRC2:TGID_Z_EN: 0
; COMPUTE_PGM_RSRC2:TIDIG_COMP_CNT: 0
; COMPUTE_PGM_RSRC3_GFX90A:ACCUM_OFFSET: 0
; COMPUTE_PGM_RSRC3_GFX90A:TG_SPLIT: 0
	.section	.text._ZN7rocprim17ROCPRIM_400000_NS6detail17trampoline_kernelINS0_14default_configENS1_27scan_by_key_config_selectorIiiEEZZNS1_16scan_by_key_implILNS1_25lookback_scan_determinismE0ELb0ES3_N6thrust23THRUST_200600_302600_NS10device_ptrIiEESB_SB_iNS9_4plusIvEENS9_8equal_toIvEEiEE10hipError_tPvRmT2_T3_T4_T5_mT6_T7_P12ihipStream_tbENKUlT_T0_E_clISt17integral_constantIbLb0EESW_EEDaSR_SS_EUlSR_E_NS1_11comp_targetILNS1_3genE8ELNS1_11target_archE1030ELNS1_3gpuE2ELNS1_3repE0EEENS1_30default_config_static_selectorELNS0_4arch9wavefront6targetE1EEEvT1_,"axG",@progbits,_ZN7rocprim17ROCPRIM_400000_NS6detail17trampoline_kernelINS0_14default_configENS1_27scan_by_key_config_selectorIiiEEZZNS1_16scan_by_key_implILNS1_25lookback_scan_determinismE0ELb0ES3_N6thrust23THRUST_200600_302600_NS10device_ptrIiEESB_SB_iNS9_4plusIvEENS9_8equal_toIvEEiEE10hipError_tPvRmT2_T3_T4_T5_mT6_T7_P12ihipStream_tbENKUlT_T0_E_clISt17integral_constantIbLb0EESW_EEDaSR_SS_EUlSR_E_NS1_11comp_targetILNS1_3genE8ELNS1_11target_archE1030ELNS1_3gpuE2ELNS1_3repE0EEENS1_30default_config_static_selectorELNS0_4arch9wavefront6targetE1EEEvT1_,comdat
	.protected	_ZN7rocprim17ROCPRIM_400000_NS6detail17trampoline_kernelINS0_14default_configENS1_27scan_by_key_config_selectorIiiEEZZNS1_16scan_by_key_implILNS1_25lookback_scan_determinismE0ELb0ES3_N6thrust23THRUST_200600_302600_NS10device_ptrIiEESB_SB_iNS9_4plusIvEENS9_8equal_toIvEEiEE10hipError_tPvRmT2_T3_T4_T5_mT6_T7_P12ihipStream_tbENKUlT_T0_E_clISt17integral_constantIbLb0EESW_EEDaSR_SS_EUlSR_E_NS1_11comp_targetILNS1_3genE8ELNS1_11target_archE1030ELNS1_3gpuE2ELNS1_3repE0EEENS1_30default_config_static_selectorELNS0_4arch9wavefront6targetE1EEEvT1_ ; -- Begin function _ZN7rocprim17ROCPRIM_400000_NS6detail17trampoline_kernelINS0_14default_configENS1_27scan_by_key_config_selectorIiiEEZZNS1_16scan_by_key_implILNS1_25lookback_scan_determinismE0ELb0ES3_N6thrust23THRUST_200600_302600_NS10device_ptrIiEESB_SB_iNS9_4plusIvEENS9_8equal_toIvEEiEE10hipError_tPvRmT2_T3_T4_T5_mT6_T7_P12ihipStream_tbENKUlT_T0_E_clISt17integral_constantIbLb0EESW_EEDaSR_SS_EUlSR_E_NS1_11comp_targetILNS1_3genE8ELNS1_11target_archE1030ELNS1_3gpuE2ELNS1_3repE0EEENS1_30default_config_static_selectorELNS0_4arch9wavefront6targetE1EEEvT1_
	.globl	_ZN7rocprim17ROCPRIM_400000_NS6detail17trampoline_kernelINS0_14default_configENS1_27scan_by_key_config_selectorIiiEEZZNS1_16scan_by_key_implILNS1_25lookback_scan_determinismE0ELb0ES3_N6thrust23THRUST_200600_302600_NS10device_ptrIiEESB_SB_iNS9_4plusIvEENS9_8equal_toIvEEiEE10hipError_tPvRmT2_T3_T4_T5_mT6_T7_P12ihipStream_tbENKUlT_T0_E_clISt17integral_constantIbLb0EESW_EEDaSR_SS_EUlSR_E_NS1_11comp_targetILNS1_3genE8ELNS1_11target_archE1030ELNS1_3gpuE2ELNS1_3repE0EEENS1_30default_config_static_selectorELNS0_4arch9wavefront6targetE1EEEvT1_
	.p2align	8
	.type	_ZN7rocprim17ROCPRIM_400000_NS6detail17trampoline_kernelINS0_14default_configENS1_27scan_by_key_config_selectorIiiEEZZNS1_16scan_by_key_implILNS1_25lookback_scan_determinismE0ELb0ES3_N6thrust23THRUST_200600_302600_NS10device_ptrIiEESB_SB_iNS9_4plusIvEENS9_8equal_toIvEEiEE10hipError_tPvRmT2_T3_T4_T5_mT6_T7_P12ihipStream_tbENKUlT_T0_E_clISt17integral_constantIbLb0EESW_EEDaSR_SS_EUlSR_E_NS1_11comp_targetILNS1_3genE8ELNS1_11target_archE1030ELNS1_3gpuE2ELNS1_3repE0EEENS1_30default_config_static_selectorELNS0_4arch9wavefront6targetE1EEEvT1_,@function
_ZN7rocprim17ROCPRIM_400000_NS6detail17trampoline_kernelINS0_14default_configENS1_27scan_by_key_config_selectorIiiEEZZNS1_16scan_by_key_implILNS1_25lookback_scan_determinismE0ELb0ES3_N6thrust23THRUST_200600_302600_NS10device_ptrIiEESB_SB_iNS9_4plusIvEENS9_8equal_toIvEEiEE10hipError_tPvRmT2_T3_T4_T5_mT6_T7_P12ihipStream_tbENKUlT_T0_E_clISt17integral_constantIbLb0EESW_EEDaSR_SS_EUlSR_E_NS1_11comp_targetILNS1_3genE8ELNS1_11target_archE1030ELNS1_3gpuE2ELNS1_3repE0EEENS1_30default_config_static_selectorELNS0_4arch9wavefront6targetE1EEEvT1_: ; @_ZN7rocprim17ROCPRIM_400000_NS6detail17trampoline_kernelINS0_14default_configENS1_27scan_by_key_config_selectorIiiEEZZNS1_16scan_by_key_implILNS1_25lookback_scan_determinismE0ELb0ES3_N6thrust23THRUST_200600_302600_NS10device_ptrIiEESB_SB_iNS9_4plusIvEENS9_8equal_toIvEEiEE10hipError_tPvRmT2_T3_T4_T5_mT6_T7_P12ihipStream_tbENKUlT_T0_E_clISt17integral_constantIbLb0EESW_EEDaSR_SS_EUlSR_E_NS1_11comp_targetILNS1_3genE8ELNS1_11target_archE1030ELNS1_3gpuE2ELNS1_3repE0EEENS1_30default_config_static_selectorELNS0_4arch9wavefront6targetE1EEEvT1_
; %bb.0:
	.section	.rodata,"a",@progbits
	.p2align	6, 0x0
	.amdhsa_kernel _ZN7rocprim17ROCPRIM_400000_NS6detail17trampoline_kernelINS0_14default_configENS1_27scan_by_key_config_selectorIiiEEZZNS1_16scan_by_key_implILNS1_25lookback_scan_determinismE0ELb0ES3_N6thrust23THRUST_200600_302600_NS10device_ptrIiEESB_SB_iNS9_4plusIvEENS9_8equal_toIvEEiEE10hipError_tPvRmT2_T3_T4_T5_mT6_T7_P12ihipStream_tbENKUlT_T0_E_clISt17integral_constantIbLb0EESW_EEDaSR_SS_EUlSR_E_NS1_11comp_targetILNS1_3genE8ELNS1_11target_archE1030ELNS1_3gpuE2ELNS1_3repE0EEENS1_30default_config_static_selectorELNS0_4arch9wavefront6targetE1EEEvT1_
		.amdhsa_group_segment_fixed_size 0
		.amdhsa_private_segment_fixed_size 0
		.amdhsa_kernarg_size 112
		.amdhsa_user_sgpr_count 2
		.amdhsa_user_sgpr_dispatch_ptr 0
		.amdhsa_user_sgpr_queue_ptr 0
		.amdhsa_user_sgpr_kernarg_segment_ptr 1
		.amdhsa_user_sgpr_dispatch_id 0
		.amdhsa_user_sgpr_kernarg_preload_length 0
		.amdhsa_user_sgpr_kernarg_preload_offset 0
		.amdhsa_user_sgpr_private_segment_size 0
		.amdhsa_uses_dynamic_stack 0
		.amdhsa_enable_private_segment 0
		.amdhsa_system_sgpr_workgroup_id_x 1
		.amdhsa_system_sgpr_workgroup_id_y 0
		.amdhsa_system_sgpr_workgroup_id_z 0
		.amdhsa_system_sgpr_workgroup_info 0
		.amdhsa_system_vgpr_workitem_id 0
		.amdhsa_next_free_vgpr 1
		.amdhsa_next_free_sgpr 0
		.amdhsa_accum_offset 4
		.amdhsa_reserve_vcc 0
		.amdhsa_float_round_mode_32 0
		.amdhsa_float_round_mode_16_64 0
		.amdhsa_float_denorm_mode_32 3
		.amdhsa_float_denorm_mode_16_64 3
		.amdhsa_dx10_clamp 1
		.amdhsa_ieee_mode 1
		.amdhsa_fp16_overflow 0
		.amdhsa_tg_split 0
		.amdhsa_exception_fp_ieee_invalid_op 0
		.amdhsa_exception_fp_denorm_src 0
		.amdhsa_exception_fp_ieee_div_zero 0
		.amdhsa_exception_fp_ieee_overflow 0
		.amdhsa_exception_fp_ieee_underflow 0
		.amdhsa_exception_fp_ieee_inexact 0
		.amdhsa_exception_int_div_zero 0
	.end_amdhsa_kernel
	.section	.text._ZN7rocprim17ROCPRIM_400000_NS6detail17trampoline_kernelINS0_14default_configENS1_27scan_by_key_config_selectorIiiEEZZNS1_16scan_by_key_implILNS1_25lookback_scan_determinismE0ELb0ES3_N6thrust23THRUST_200600_302600_NS10device_ptrIiEESB_SB_iNS9_4plusIvEENS9_8equal_toIvEEiEE10hipError_tPvRmT2_T3_T4_T5_mT6_T7_P12ihipStream_tbENKUlT_T0_E_clISt17integral_constantIbLb0EESW_EEDaSR_SS_EUlSR_E_NS1_11comp_targetILNS1_3genE8ELNS1_11target_archE1030ELNS1_3gpuE2ELNS1_3repE0EEENS1_30default_config_static_selectorELNS0_4arch9wavefront6targetE1EEEvT1_,"axG",@progbits,_ZN7rocprim17ROCPRIM_400000_NS6detail17trampoline_kernelINS0_14default_configENS1_27scan_by_key_config_selectorIiiEEZZNS1_16scan_by_key_implILNS1_25lookback_scan_determinismE0ELb0ES3_N6thrust23THRUST_200600_302600_NS10device_ptrIiEESB_SB_iNS9_4plusIvEENS9_8equal_toIvEEiEE10hipError_tPvRmT2_T3_T4_T5_mT6_T7_P12ihipStream_tbENKUlT_T0_E_clISt17integral_constantIbLb0EESW_EEDaSR_SS_EUlSR_E_NS1_11comp_targetILNS1_3genE8ELNS1_11target_archE1030ELNS1_3gpuE2ELNS1_3repE0EEENS1_30default_config_static_selectorELNS0_4arch9wavefront6targetE1EEEvT1_,comdat
.Lfunc_end2203:
	.size	_ZN7rocprim17ROCPRIM_400000_NS6detail17trampoline_kernelINS0_14default_configENS1_27scan_by_key_config_selectorIiiEEZZNS1_16scan_by_key_implILNS1_25lookback_scan_determinismE0ELb0ES3_N6thrust23THRUST_200600_302600_NS10device_ptrIiEESB_SB_iNS9_4plusIvEENS9_8equal_toIvEEiEE10hipError_tPvRmT2_T3_T4_T5_mT6_T7_P12ihipStream_tbENKUlT_T0_E_clISt17integral_constantIbLb0EESW_EEDaSR_SS_EUlSR_E_NS1_11comp_targetILNS1_3genE8ELNS1_11target_archE1030ELNS1_3gpuE2ELNS1_3repE0EEENS1_30default_config_static_selectorELNS0_4arch9wavefront6targetE1EEEvT1_, .Lfunc_end2203-_ZN7rocprim17ROCPRIM_400000_NS6detail17trampoline_kernelINS0_14default_configENS1_27scan_by_key_config_selectorIiiEEZZNS1_16scan_by_key_implILNS1_25lookback_scan_determinismE0ELb0ES3_N6thrust23THRUST_200600_302600_NS10device_ptrIiEESB_SB_iNS9_4plusIvEENS9_8equal_toIvEEiEE10hipError_tPvRmT2_T3_T4_T5_mT6_T7_P12ihipStream_tbENKUlT_T0_E_clISt17integral_constantIbLb0EESW_EEDaSR_SS_EUlSR_E_NS1_11comp_targetILNS1_3genE8ELNS1_11target_archE1030ELNS1_3gpuE2ELNS1_3repE0EEENS1_30default_config_static_selectorELNS0_4arch9wavefront6targetE1EEEvT1_
                                        ; -- End function
	.section	.AMDGPU.csdata,"",@progbits
; Kernel info:
; codeLenInByte = 0
; NumSgprs: 6
; NumVgprs: 0
; NumAgprs: 0
; TotalNumVgprs: 0
; ScratchSize: 0
; MemoryBound: 0
; FloatMode: 240
; IeeeMode: 1
; LDSByteSize: 0 bytes/workgroup (compile time only)
; SGPRBlocks: 0
; VGPRBlocks: 0
; NumSGPRsForWavesPerEU: 6
; NumVGPRsForWavesPerEU: 1
; AccumOffset: 4
; Occupancy: 8
; WaveLimiterHint : 0
; COMPUTE_PGM_RSRC2:SCRATCH_EN: 0
; COMPUTE_PGM_RSRC2:USER_SGPR: 2
; COMPUTE_PGM_RSRC2:TRAP_HANDLER: 0
; COMPUTE_PGM_RSRC2:TGID_X_EN: 1
; COMPUTE_PGM_RSRC2:TGID_Y_EN: 0
; COMPUTE_PGM_RSRC2:TGID_Z_EN: 0
; COMPUTE_PGM_RSRC2:TIDIG_COMP_CNT: 0
; COMPUTE_PGM_RSRC3_GFX90A:ACCUM_OFFSET: 0
; COMPUTE_PGM_RSRC3_GFX90A:TG_SPLIT: 0
	.section	.text._ZN7rocprim17ROCPRIM_400000_NS6detail30init_device_scan_by_key_kernelINS1_19lookback_scan_stateINS0_5tupleIJibEEELb1ELb1EEEN6thrust23THRUST_200600_302600_NS10device_ptrIiEEjNS1_16block_id_wrapperIjLb1EEEEEvT_jjPNSD_10value_typeET0_PNSt15iterator_traitsISG_E10value_typeEmT1_T2_,"axG",@progbits,_ZN7rocprim17ROCPRIM_400000_NS6detail30init_device_scan_by_key_kernelINS1_19lookback_scan_stateINS0_5tupleIJibEEELb1ELb1EEEN6thrust23THRUST_200600_302600_NS10device_ptrIiEEjNS1_16block_id_wrapperIjLb1EEEEEvT_jjPNSD_10value_typeET0_PNSt15iterator_traitsISG_E10value_typeEmT1_T2_,comdat
	.protected	_ZN7rocprim17ROCPRIM_400000_NS6detail30init_device_scan_by_key_kernelINS1_19lookback_scan_stateINS0_5tupleIJibEEELb1ELb1EEEN6thrust23THRUST_200600_302600_NS10device_ptrIiEEjNS1_16block_id_wrapperIjLb1EEEEEvT_jjPNSD_10value_typeET0_PNSt15iterator_traitsISG_E10value_typeEmT1_T2_ ; -- Begin function _ZN7rocprim17ROCPRIM_400000_NS6detail30init_device_scan_by_key_kernelINS1_19lookback_scan_stateINS0_5tupleIJibEEELb1ELb1EEEN6thrust23THRUST_200600_302600_NS10device_ptrIiEEjNS1_16block_id_wrapperIjLb1EEEEEvT_jjPNSD_10value_typeET0_PNSt15iterator_traitsISG_E10value_typeEmT1_T2_
	.globl	_ZN7rocprim17ROCPRIM_400000_NS6detail30init_device_scan_by_key_kernelINS1_19lookback_scan_stateINS0_5tupleIJibEEELb1ELb1EEEN6thrust23THRUST_200600_302600_NS10device_ptrIiEEjNS1_16block_id_wrapperIjLb1EEEEEvT_jjPNSD_10value_typeET0_PNSt15iterator_traitsISG_E10value_typeEmT1_T2_
	.p2align	8
	.type	_ZN7rocprim17ROCPRIM_400000_NS6detail30init_device_scan_by_key_kernelINS1_19lookback_scan_stateINS0_5tupleIJibEEELb1ELb1EEEN6thrust23THRUST_200600_302600_NS10device_ptrIiEEjNS1_16block_id_wrapperIjLb1EEEEEvT_jjPNSD_10value_typeET0_PNSt15iterator_traitsISG_E10value_typeEmT1_T2_,@function
_ZN7rocprim17ROCPRIM_400000_NS6detail30init_device_scan_by_key_kernelINS1_19lookback_scan_stateINS0_5tupleIJibEEELb1ELb1EEEN6thrust23THRUST_200600_302600_NS10device_ptrIiEEjNS1_16block_id_wrapperIjLb1EEEEEvT_jjPNSD_10value_typeET0_PNSt15iterator_traitsISG_E10value_typeEmT1_T2_: ; @_ZN7rocprim17ROCPRIM_400000_NS6detail30init_device_scan_by_key_kernelINS1_19lookback_scan_stateINS0_5tupleIJibEEELb1ELb1EEEN6thrust23THRUST_200600_302600_NS10device_ptrIiEEjNS1_16block_id_wrapperIjLb1EEEEEvT_jjPNSD_10value_typeET0_PNSt15iterator_traitsISG_E10value_typeEmT1_T2_
; %bb.0:
	s_load_dword s3, s[0:1], 0x4c
	s_load_dwordx8 s[4:11], s[0:1], 0x0
	s_load_dword s18, s[0:1], 0x40
	s_waitcnt lgkmcnt(0)
	s_and_b32 s19, s3, 0xffff
	s_mul_i32 s2, s2, s19
	s_cmp_eq_u64 s[8:9], 0
	v_add_u32_e32 v4, s2, v0
	s_cbranch_scc1 .LBB2204_10
; %bb.1:
	s_cmp_lt_u32 s7, s6
	s_cselect_b32 s2, s7, 0
	s_mov_b32 s13, 0
	v_cmp_eq_u32_e32 vcc, s2, v4
	s_and_saveexec_b64 s[2:3], vcc
	s_cbranch_execz .LBB2204_9
; %bb.2:
	s_add_i32 s12, s7, 64
	s_lshl_b64 s[12:13], s[12:13], 4
	s_add_u32 s16, s4, s12
	s_addc_u32 s17, s5, s13
	v_mov_b64_e32 v[0:1], s[16:17]
	;;#ASMSTART
	global_load_dwordx4 v[0:3], v[0:1] off sc1	
s_waitcnt vmcnt(0)
	;;#ASMEND
	v_mov_b32_e32 v7, 0
	v_and_b32_e32 v6, 0xff, v2
	s_mov_b64 s[14:15], 0
	v_cmp_eq_u64_e32 vcc, 0, v[6:7]
	s_and_saveexec_b64 s[12:13], vcc
	s_cbranch_execz .LBB2204_8
; %bb.3:
	s_mov_b32 s7, 1
	v_mov_b64_e32 v[8:9], s[16:17]
.LBB2204_4:                             ; =>This Loop Header: Depth=1
                                        ;     Child Loop BB2204_5 Depth 2
	s_max_u32 s16, s7, 1
.LBB2204_5:                             ;   Parent Loop BB2204_4 Depth=1
                                        ; =>  This Inner Loop Header: Depth=2
	s_add_i32 s16, s16, -1
	s_cmp_eq_u32 s16, 0
	s_sleep 1
	s_cbranch_scc0 .LBB2204_5
; %bb.6:                                ;   in Loop: Header=BB2204_4 Depth=1
	s_cmp_lt_u32 s7, 32
	s_cselect_b64 s[16:17], -1, 0
	s_cmp_lg_u64 s[16:17], 0
	;;#ASMSTART
	global_load_dwordx4 v[0:3], v[8:9] off sc1	
s_waitcnt vmcnt(0)
	;;#ASMEND
	s_addc_u32 s7, s7, 0
	v_and_b32_e32 v6, 0xff, v2
	v_cmp_ne_u64_e32 vcc, 0, v[6:7]
	s_or_b64 s[14:15], vcc, s[14:15]
	s_andn2_b64 exec, exec, s[14:15]
	s_cbranch_execnz .LBB2204_4
; %bb.7:
	s_or_b64 exec, exec, s[14:15]
.LBB2204_8:
	s_or_b64 exec, exec, s[12:13]
	v_mov_b32_e32 v2, 0
	global_store_dword v2, v0, s[8:9]
	global_store_byte v2, v1, s[8:9] offset:4
.LBB2204_9:
	s_or_b64 exec, exec, s[2:3]
.LBB2204_10:
	v_cmp_eq_u32_e32 vcc, 0, v4
	s_and_saveexec_b64 s[2:3], vcc
	s_cbranch_execz .LBB2204_12
; %bb.11:
	s_load_dwordx2 s[8:9], s[0:1], 0x38
	v_mov_b32_e32 v0, 0
	s_waitcnt lgkmcnt(0)
	global_store_dword v0, v0, s[8:9]
.LBB2204_12:
	s_or_b64 exec, exec, s[2:3]
	v_cmp_gt_u32_e32 vcc, s6, v4
	s_and_saveexec_b64 s[2:3], vcc
	s_cbranch_execz .LBB2204_14
; %bb.13:
	v_add_u32_e32 v0, 64, v4
	v_mov_b32_e32 v1, 0
	v_lshl_add_u64 v[6:7], v[0:1], 4, s[4:5]
	v_mov_b32_e32 v0, v1
	v_mov_b32_e32 v2, v1
	;; [unrolled: 1-line block ×3, first 2 shown]
	global_store_dwordx4 v[6:7], v[0:3], off
.LBB2204_14:
	s_or_b64 exec, exec, s[2:3]
	v_cmp_gt_u32_e32 vcc, 64, v4
	v_mov_b32_e32 v5, 0
	s_and_saveexec_b64 s[2:3], vcc
	s_cbranch_execz .LBB2204_16
; %bb.15:
	v_lshl_add_u64 v[6:7], v[4:5], 4, s[4:5]
	v_mov_b32_e32 v2, 0xff
	v_mov_b32_e32 v0, v5
	;; [unrolled: 1-line block ×4, first 2 shown]
	global_store_dwordx4 v[6:7], v[0:3], off
.LBB2204_16:
	s_or_b64 exec, exec, s[2:3]
	s_load_dwordx2 s[2:3], s[0:1], 0x28
	s_waitcnt lgkmcnt(0)
	v_cmp_gt_u64_e32 vcc, s[2:3], v[4:5]
	s_and_saveexec_b64 s[4:5], vcc
	s_cbranch_execz .LBB2204_19
; %bb.17:
	s_load_dword s12, s[0:1], 0x30
	s_load_dwordx2 s[6:7], s[0:1], 0x20
	s_mov_b32 s5, 0
	s_mov_b32 s1, s5
	s_mul_i32 s0, s18, s19
	s_waitcnt lgkmcnt(0)
	s_add_i32 s4, s12, -1
	s_lshl_b64 s[4:5], s[4:5], 2
	s_add_u32 s4, s10, s4
	v_mad_u64_u32 v[0:1], s[8:9], s12, v4, 0
	s_addc_u32 s5, s11, s5
	v_lshl_add_u64 v[0:1], v[0:1], 2, s[4:5]
	s_mul_hi_u32 s5, s12, s0
	s_mul_i32 s4, s12, s0
	s_lshl_b64 s[4:5], s[4:5], 2
	v_lshl_add_u64 v[2:3], v[4:5], 2, s[6:7]
	s_lshl_b64 s[6:7], s[0:1], 2
	s_mov_b64 s[8:9], 0
.LBB2204_18:                            ; =>This Inner Loop Header: Depth=1
	global_load_dword v6, v[0:1], off
	v_lshl_add_u64 v[4:5], v[4:5], 0, s[0:1]
	v_cmp_le_u64_e32 vcc, s[2:3], v[4:5]
	v_lshl_add_u64 v[0:1], v[0:1], 0, s[4:5]
	s_or_b64 s[8:9], vcc, s[8:9]
	s_waitcnt vmcnt(0)
	global_store_dword v[2:3], v6, off
	v_lshl_add_u64 v[2:3], v[2:3], 0, s[6:7]
	s_andn2_b64 exec, exec, s[8:9]
	s_cbranch_execnz .LBB2204_18
.LBB2204_19:
	s_endpgm
	.section	.rodata,"a",@progbits
	.p2align	6, 0x0
	.amdhsa_kernel _ZN7rocprim17ROCPRIM_400000_NS6detail30init_device_scan_by_key_kernelINS1_19lookback_scan_stateINS0_5tupleIJibEEELb1ELb1EEEN6thrust23THRUST_200600_302600_NS10device_ptrIiEEjNS1_16block_id_wrapperIjLb1EEEEEvT_jjPNSD_10value_typeET0_PNSt15iterator_traitsISG_E10value_typeEmT1_T2_
		.amdhsa_group_segment_fixed_size 0
		.amdhsa_private_segment_fixed_size 0
		.amdhsa_kernarg_size 320
		.amdhsa_user_sgpr_count 2
		.amdhsa_user_sgpr_dispatch_ptr 0
		.amdhsa_user_sgpr_queue_ptr 0
		.amdhsa_user_sgpr_kernarg_segment_ptr 1
		.amdhsa_user_sgpr_dispatch_id 0
		.amdhsa_user_sgpr_kernarg_preload_length 0
		.amdhsa_user_sgpr_kernarg_preload_offset 0
		.amdhsa_user_sgpr_private_segment_size 0
		.amdhsa_uses_dynamic_stack 0
		.amdhsa_enable_private_segment 0
		.amdhsa_system_sgpr_workgroup_id_x 1
		.amdhsa_system_sgpr_workgroup_id_y 0
		.amdhsa_system_sgpr_workgroup_id_z 0
		.amdhsa_system_sgpr_workgroup_info 0
		.amdhsa_system_vgpr_workitem_id 0
		.amdhsa_next_free_vgpr 10
		.amdhsa_next_free_sgpr 20
		.amdhsa_accum_offset 12
		.amdhsa_reserve_vcc 1
		.amdhsa_float_round_mode_32 0
		.amdhsa_float_round_mode_16_64 0
		.amdhsa_float_denorm_mode_32 3
		.amdhsa_float_denorm_mode_16_64 3
		.amdhsa_dx10_clamp 1
		.amdhsa_ieee_mode 1
		.amdhsa_fp16_overflow 0
		.amdhsa_tg_split 0
		.amdhsa_exception_fp_ieee_invalid_op 0
		.amdhsa_exception_fp_denorm_src 0
		.amdhsa_exception_fp_ieee_div_zero 0
		.amdhsa_exception_fp_ieee_overflow 0
		.amdhsa_exception_fp_ieee_underflow 0
		.amdhsa_exception_fp_ieee_inexact 0
		.amdhsa_exception_int_div_zero 0
	.end_amdhsa_kernel
	.section	.text._ZN7rocprim17ROCPRIM_400000_NS6detail30init_device_scan_by_key_kernelINS1_19lookback_scan_stateINS0_5tupleIJibEEELb1ELb1EEEN6thrust23THRUST_200600_302600_NS10device_ptrIiEEjNS1_16block_id_wrapperIjLb1EEEEEvT_jjPNSD_10value_typeET0_PNSt15iterator_traitsISG_E10value_typeEmT1_T2_,"axG",@progbits,_ZN7rocprim17ROCPRIM_400000_NS6detail30init_device_scan_by_key_kernelINS1_19lookback_scan_stateINS0_5tupleIJibEEELb1ELb1EEEN6thrust23THRUST_200600_302600_NS10device_ptrIiEEjNS1_16block_id_wrapperIjLb1EEEEEvT_jjPNSD_10value_typeET0_PNSt15iterator_traitsISG_E10value_typeEmT1_T2_,comdat
.Lfunc_end2204:
	.size	_ZN7rocprim17ROCPRIM_400000_NS6detail30init_device_scan_by_key_kernelINS1_19lookback_scan_stateINS0_5tupleIJibEEELb1ELb1EEEN6thrust23THRUST_200600_302600_NS10device_ptrIiEEjNS1_16block_id_wrapperIjLb1EEEEEvT_jjPNSD_10value_typeET0_PNSt15iterator_traitsISG_E10value_typeEmT1_T2_, .Lfunc_end2204-_ZN7rocprim17ROCPRIM_400000_NS6detail30init_device_scan_by_key_kernelINS1_19lookback_scan_stateINS0_5tupleIJibEEELb1ELb1EEEN6thrust23THRUST_200600_302600_NS10device_ptrIiEEjNS1_16block_id_wrapperIjLb1EEEEEvT_jjPNSD_10value_typeET0_PNSt15iterator_traitsISG_E10value_typeEmT1_T2_
                                        ; -- End function
	.section	.AMDGPU.csdata,"",@progbits
; Kernel info:
; codeLenInByte = 584
; NumSgprs: 26
; NumVgprs: 10
; NumAgprs: 0
; TotalNumVgprs: 10
; ScratchSize: 0
; MemoryBound: 0
; FloatMode: 240
; IeeeMode: 1
; LDSByteSize: 0 bytes/workgroup (compile time only)
; SGPRBlocks: 3
; VGPRBlocks: 1
; NumSGPRsForWavesPerEU: 26
; NumVGPRsForWavesPerEU: 10
; AccumOffset: 12
; Occupancy: 8
; WaveLimiterHint : 0
; COMPUTE_PGM_RSRC2:SCRATCH_EN: 0
; COMPUTE_PGM_RSRC2:USER_SGPR: 2
; COMPUTE_PGM_RSRC2:TRAP_HANDLER: 0
; COMPUTE_PGM_RSRC2:TGID_X_EN: 1
; COMPUTE_PGM_RSRC2:TGID_Y_EN: 0
; COMPUTE_PGM_RSRC2:TGID_Z_EN: 0
; COMPUTE_PGM_RSRC2:TIDIG_COMP_CNT: 0
; COMPUTE_PGM_RSRC3_GFX90A:ACCUM_OFFSET: 2
; COMPUTE_PGM_RSRC3_GFX90A:TG_SPLIT: 0
	.section	.text._ZN7rocprim17ROCPRIM_400000_NS6detail17trampoline_kernelINS0_14default_configENS1_27scan_by_key_config_selectorIiiEEZZNS1_16scan_by_key_implILNS1_25lookback_scan_determinismE0ELb0ES3_N6thrust23THRUST_200600_302600_NS10device_ptrIiEESB_SB_iNS9_4plusIvEENS9_8equal_toIvEEiEE10hipError_tPvRmT2_T3_T4_T5_mT6_T7_P12ihipStream_tbENKUlT_T0_E_clISt17integral_constantIbLb1EESW_EEDaSR_SS_EUlSR_E_NS1_11comp_targetILNS1_3genE0ELNS1_11target_archE4294967295ELNS1_3gpuE0ELNS1_3repE0EEENS1_30default_config_static_selectorELNS0_4arch9wavefront6targetE1EEEvT1_,"axG",@progbits,_ZN7rocprim17ROCPRIM_400000_NS6detail17trampoline_kernelINS0_14default_configENS1_27scan_by_key_config_selectorIiiEEZZNS1_16scan_by_key_implILNS1_25lookback_scan_determinismE0ELb0ES3_N6thrust23THRUST_200600_302600_NS10device_ptrIiEESB_SB_iNS9_4plusIvEENS9_8equal_toIvEEiEE10hipError_tPvRmT2_T3_T4_T5_mT6_T7_P12ihipStream_tbENKUlT_T0_E_clISt17integral_constantIbLb1EESW_EEDaSR_SS_EUlSR_E_NS1_11comp_targetILNS1_3genE0ELNS1_11target_archE4294967295ELNS1_3gpuE0ELNS1_3repE0EEENS1_30default_config_static_selectorELNS0_4arch9wavefront6targetE1EEEvT1_,comdat
	.protected	_ZN7rocprim17ROCPRIM_400000_NS6detail17trampoline_kernelINS0_14default_configENS1_27scan_by_key_config_selectorIiiEEZZNS1_16scan_by_key_implILNS1_25lookback_scan_determinismE0ELb0ES3_N6thrust23THRUST_200600_302600_NS10device_ptrIiEESB_SB_iNS9_4plusIvEENS9_8equal_toIvEEiEE10hipError_tPvRmT2_T3_T4_T5_mT6_T7_P12ihipStream_tbENKUlT_T0_E_clISt17integral_constantIbLb1EESW_EEDaSR_SS_EUlSR_E_NS1_11comp_targetILNS1_3genE0ELNS1_11target_archE4294967295ELNS1_3gpuE0ELNS1_3repE0EEENS1_30default_config_static_selectorELNS0_4arch9wavefront6targetE1EEEvT1_ ; -- Begin function _ZN7rocprim17ROCPRIM_400000_NS6detail17trampoline_kernelINS0_14default_configENS1_27scan_by_key_config_selectorIiiEEZZNS1_16scan_by_key_implILNS1_25lookback_scan_determinismE0ELb0ES3_N6thrust23THRUST_200600_302600_NS10device_ptrIiEESB_SB_iNS9_4plusIvEENS9_8equal_toIvEEiEE10hipError_tPvRmT2_T3_T4_T5_mT6_T7_P12ihipStream_tbENKUlT_T0_E_clISt17integral_constantIbLb1EESW_EEDaSR_SS_EUlSR_E_NS1_11comp_targetILNS1_3genE0ELNS1_11target_archE4294967295ELNS1_3gpuE0ELNS1_3repE0EEENS1_30default_config_static_selectorELNS0_4arch9wavefront6targetE1EEEvT1_
	.globl	_ZN7rocprim17ROCPRIM_400000_NS6detail17trampoline_kernelINS0_14default_configENS1_27scan_by_key_config_selectorIiiEEZZNS1_16scan_by_key_implILNS1_25lookback_scan_determinismE0ELb0ES3_N6thrust23THRUST_200600_302600_NS10device_ptrIiEESB_SB_iNS9_4plusIvEENS9_8equal_toIvEEiEE10hipError_tPvRmT2_T3_T4_T5_mT6_T7_P12ihipStream_tbENKUlT_T0_E_clISt17integral_constantIbLb1EESW_EEDaSR_SS_EUlSR_E_NS1_11comp_targetILNS1_3genE0ELNS1_11target_archE4294967295ELNS1_3gpuE0ELNS1_3repE0EEENS1_30default_config_static_selectorELNS0_4arch9wavefront6targetE1EEEvT1_
	.p2align	8
	.type	_ZN7rocprim17ROCPRIM_400000_NS6detail17trampoline_kernelINS0_14default_configENS1_27scan_by_key_config_selectorIiiEEZZNS1_16scan_by_key_implILNS1_25lookback_scan_determinismE0ELb0ES3_N6thrust23THRUST_200600_302600_NS10device_ptrIiEESB_SB_iNS9_4plusIvEENS9_8equal_toIvEEiEE10hipError_tPvRmT2_T3_T4_T5_mT6_T7_P12ihipStream_tbENKUlT_T0_E_clISt17integral_constantIbLb1EESW_EEDaSR_SS_EUlSR_E_NS1_11comp_targetILNS1_3genE0ELNS1_11target_archE4294967295ELNS1_3gpuE0ELNS1_3repE0EEENS1_30default_config_static_selectorELNS0_4arch9wavefront6targetE1EEEvT1_,@function
_ZN7rocprim17ROCPRIM_400000_NS6detail17trampoline_kernelINS0_14default_configENS1_27scan_by_key_config_selectorIiiEEZZNS1_16scan_by_key_implILNS1_25lookback_scan_determinismE0ELb0ES3_N6thrust23THRUST_200600_302600_NS10device_ptrIiEESB_SB_iNS9_4plusIvEENS9_8equal_toIvEEiEE10hipError_tPvRmT2_T3_T4_T5_mT6_T7_P12ihipStream_tbENKUlT_T0_E_clISt17integral_constantIbLb1EESW_EEDaSR_SS_EUlSR_E_NS1_11comp_targetILNS1_3genE0ELNS1_11target_archE4294967295ELNS1_3gpuE0ELNS1_3repE0EEENS1_30default_config_static_selectorELNS0_4arch9wavefront6targetE1EEEvT1_: ; @_ZN7rocprim17ROCPRIM_400000_NS6detail17trampoline_kernelINS0_14default_configENS1_27scan_by_key_config_selectorIiiEEZZNS1_16scan_by_key_implILNS1_25lookback_scan_determinismE0ELb0ES3_N6thrust23THRUST_200600_302600_NS10device_ptrIiEESB_SB_iNS9_4plusIvEENS9_8equal_toIvEEiEE10hipError_tPvRmT2_T3_T4_T5_mT6_T7_P12ihipStream_tbENKUlT_T0_E_clISt17integral_constantIbLb1EESW_EEDaSR_SS_EUlSR_E_NS1_11comp_targetILNS1_3genE0ELNS1_11target_archE4294967295ELNS1_3gpuE0ELNS1_3repE0EEENS1_30default_config_static_selectorELNS0_4arch9wavefront6targetE1EEEvT1_
; %bb.0:
	.section	.rodata,"a",@progbits
	.p2align	6, 0x0
	.amdhsa_kernel _ZN7rocprim17ROCPRIM_400000_NS6detail17trampoline_kernelINS0_14default_configENS1_27scan_by_key_config_selectorIiiEEZZNS1_16scan_by_key_implILNS1_25lookback_scan_determinismE0ELb0ES3_N6thrust23THRUST_200600_302600_NS10device_ptrIiEESB_SB_iNS9_4plusIvEENS9_8equal_toIvEEiEE10hipError_tPvRmT2_T3_T4_T5_mT6_T7_P12ihipStream_tbENKUlT_T0_E_clISt17integral_constantIbLb1EESW_EEDaSR_SS_EUlSR_E_NS1_11comp_targetILNS1_3genE0ELNS1_11target_archE4294967295ELNS1_3gpuE0ELNS1_3repE0EEENS1_30default_config_static_selectorELNS0_4arch9wavefront6targetE1EEEvT1_
		.amdhsa_group_segment_fixed_size 0
		.amdhsa_private_segment_fixed_size 0
		.amdhsa_kernarg_size 112
		.amdhsa_user_sgpr_count 2
		.amdhsa_user_sgpr_dispatch_ptr 0
		.amdhsa_user_sgpr_queue_ptr 0
		.amdhsa_user_sgpr_kernarg_segment_ptr 1
		.amdhsa_user_sgpr_dispatch_id 0
		.amdhsa_user_sgpr_kernarg_preload_length 0
		.amdhsa_user_sgpr_kernarg_preload_offset 0
		.amdhsa_user_sgpr_private_segment_size 0
		.amdhsa_uses_dynamic_stack 0
		.amdhsa_enable_private_segment 0
		.amdhsa_system_sgpr_workgroup_id_x 1
		.amdhsa_system_sgpr_workgroup_id_y 0
		.amdhsa_system_sgpr_workgroup_id_z 0
		.amdhsa_system_sgpr_workgroup_info 0
		.amdhsa_system_vgpr_workitem_id 0
		.amdhsa_next_free_vgpr 1
		.amdhsa_next_free_sgpr 0
		.amdhsa_accum_offset 4
		.amdhsa_reserve_vcc 0
		.amdhsa_float_round_mode_32 0
		.amdhsa_float_round_mode_16_64 0
		.amdhsa_float_denorm_mode_32 3
		.amdhsa_float_denorm_mode_16_64 3
		.amdhsa_dx10_clamp 1
		.amdhsa_ieee_mode 1
		.amdhsa_fp16_overflow 0
		.amdhsa_tg_split 0
		.amdhsa_exception_fp_ieee_invalid_op 0
		.amdhsa_exception_fp_denorm_src 0
		.amdhsa_exception_fp_ieee_div_zero 0
		.amdhsa_exception_fp_ieee_overflow 0
		.amdhsa_exception_fp_ieee_underflow 0
		.amdhsa_exception_fp_ieee_inexact 0
		.amdhsa_exception_int_div_zero 0
	.end_amdhsa_kernel
	.section	.text._ZN7rocprim17ROCPRIM_400000_NS6detail17trampoline_kernelINS0_14default_configENS1_27scan_by_key_config_selectorIiiEEZZNS1_16scan_by_key_implILNS1_25lookback_scan_determinismE0ELb0ES3_N6thrust23THRUST_200600_302600_NS10device_ptrIiEESB_SB_iNS9_4plusIvEENS9_8equal_toIvEEiEE10hipError_tPvRmT2_T3_T4_T5_mT6_T7_P12ihipStream_tbENKUlT_T0_E_clISt17integral_constantIbLb1EESW_EEDaSR_SS_EUlSR_E_NS1_11comp_targetILNS1_3genE0ELNS1_11target_archE4294967295ELNS1_3gpuE0ELNS1_3repE0EEENS1_30default_config_static_selectorELNS0_4arch9wavefront6targetE1EEEvT1_,"axG",@progbits,_ZN7rocprim17ROCPRIM_400000_NS6detail17trampoline_kernelINS0_14default_configENS1_27scan_by_key_config_selectorIiiEEZZNS1_16scan_by_key_implILNS1_25lookback_scan_determinismE0ELb0ES3_N6thrust23THRUST_200600_302600_NS10device_ptrIiEESB_SB_iNS9_4plusIvEENS9_8equal_toIvEEiEE10hipError_tPvRmT2_T3_T4_T5_mT6_T7_P12ihipStream_tbENKUlT_T0_E_clISt17integral_constantIbLb1EESW_EEDaSR_SS_EUlSR_E_NS1_11comp_targetILNS1_3genE0ELNS1_11target_archE4294967295ELNS1_3gpuE0ELNS1_3repE0EEENS1_30default_config_static_selectorELNS0_4arch9wavefront6targetE1EEEvT1_,comdat
.Lfunc_end2205:
	.size	_ZN7rocprim17ROCPRIM_400000_NS6detail17trampoline_kernelINS0_14default_configENS1_27scan_by_key_config_selectorIiiEEZZNS1_16scan_by_key_implILNS1_25lookback_scan_determinismE0ELb0ES3_N6thrust23THRUST_200600_302600_NS10device_ptrIiEESB_SB_iNS9_4plusIvEENS9_8equal_toIvEEiEE10hipError_tPvRmT2_T3_T4_T5_mT6_T7_P12ihipStream_tbENKUlT_T0_E_clISt17integral_constantIbLb1EESW_EEDaSR_SS_EUlSR_E_NS1_11comp_targetILNS1_3genE0ELNS1_11target_archE4294967295ELNS1_3gpuE0ELNS1_3repE0EEENS1_30default_config_static_selectorELNS0_4arch9wavefront6targetE1EEEvT1_, .Lfunc_end2205-_ZN7rocprim17ROCPRIM_400000_NS6detail17trampoline_kernelINS0_14default_configENS1_27scan_by_key_config_selectorIiiEEZZNS1_16scan_by_key_implILNS1_25lookback_scan_determinismE0ELb0ES3_N6thrust23THRUST_200600_302600_NS10device_ptrIiEESB_SB_iNS9_4plusIvEENS9_8equal_toIvEEiEE10hipError_tPvRmT2_T3_T4_T5_mT6_T7_P12ihipStream_tbENKUlT_T0_E_clISt17integral_constantIbLb1EESW_EEDaSR_SS_EUlSR_E_NS1_11comp_targetILNS1_3genE0ELNS1_11target_archE4294967295ELNS1_3gpuE0ELNS1_3repE0EEENS1_30default_config_static_selectorELNS0_4arch9wavefront6targetE1EEEvT1_
                                        ; -- End function
	.section	.AMDGPU.csdata,"",@progbits
; Kernel info:
; codeLenInByte = 0
; NumSgprs: 6
; NumVgprs: 0
; NumAgprs: 0
; TotalNumVgprs: 0
; ScratchSize: 0
; MemoryBound: 0
; FloatMode: 240
; IeeeMode: 1
; LDSByteSize: 0 bytes/workgroup (compile time only)
; SGPRBlocks: 0
; VGPRBlocks: 0
; NumSGPRsForWavesPerEU: 6
; NumVGPRsForWavesPerEU: 1
; AccumOffset: 4
; Occupancy: 8
; WaveLimiterHint : 0
; COMPUTE_PGM_RSRC2:SCRATCH_EN: 0
; COMPUTE_PGM_RSRC2:USER_SGPR: 2
; COMPUTE_PGM_RSRC2:TRAP_HANDLER: 0
; COMPUTE_PGM_RSRC2:TGID_X_EN: 1
; COMPUTE_PGM_RSRC2:TGID_Y_EN: 0
; COMPUTE_PGM_RSRC2:TGID_Z_EN: 0
; COMPUTE_PGM_RSRC2:TIDIG_COMP_CNT: 0
; COMPUTE_PGM_RSRC3_GFX90A:ACCUM_OFFSET: 0
; COMPUTE_PGM_RSRC3_GFX90A:TG_SPLIT: 0
	.section	.text._ZN7rocprim17ROCPRIM_400000_NS6detail17trampoline_kernelINS0_14default_configENS1_27scan_by_key_config_selectorIiiEEZZNS1_16scan_by_key_implILNS1_25lookback_scan_determinismE0ELb0ES3_N6thrust23THRUST_200600_302600_NS10device_ptrIiEESB_SB_iNS9_4plusIvEENS9_8equal_toIvEEiEE10hipError_tPvRmT2_T3_T4_T5_mT6_T7_P12ihipStream_tbENKUlT_T0_E_clISt17integral_constantIbLb1EESW_EEDaSR_SS_EUlSR_E_NS1_11comp_targetILNS1_3genE10ELNS1_11target_archE1201ELNS1_3gpuE5ELNS1_3repE0EEENS1_30default_config_static_selectorELNS0_4arch9wavefront6targetE1EEEvT1_,"axG",@progbits,_ZN7rocprim17ROCPRIM_400000_NS6detail17trampoline_kernelINS0_14default_configENS1_27scan_by_key_config_selectorIiiEEZZNS1_16scan_by_key_implILNS1_25lookback_scan_determinismE0ELb0ES3_N6thrust23THRUST_200600_302600_NS10device_ptrIiEESB_SB_iNS9_4plusIvEENS9_8equal_toIvEEiEE10hipError_tPvRmT2_T3_T4_T5_mT6_T7_P12ihipStream_tbENKUlT_T0_E_clISt17integral_constantIbLb1EESW_EEDaSR_SS_EUlSR_E_NS1_11comp_targetILNS1_3genE10ELNS1_11target_archE1201ELNS1_3gpuE5ELNS1_3repE0EEENS1_30default_config_static_selectorELNS0_4arch9wavefront6targetE1EEEvT1_,comdat
	.protected	_ZN7rocprim17ROCPRIM_400000_NS6detail17trampoline_kernelINS0_14default_configENS1_27scan_by_key_config_selectorIiiEEZZNS1_16scan_by_key_implILNS1_25lookback_scan_determinismE0ELb0ES3_N6thrust23THRUST_200600_302600_NS10device_ptrIiEESB_SB_iNS9_4plusIvEENS9_8equal_toIvEEiEE10hipError_tPvRmT2_T3_T4_T5_mT6_T7_P12ihipStream_tbENKUlT_T0_E_clISt17integral_constantIbLb1EESW_EEDaSR_SS_EUlSR_E_NS1_11comp_targetILNS1_3genE10ELNS1_11target_archE1201ELNS1_3gpuE5ELNS1_3repE0EEENS1_30default_config_static_selectorELNS0_4arch9wavefront6targetE1EEEvT1_ ; -- Begin function _ZN7rocprim17ROCPRIM_400000_NS6detail17trampoline_kernelINS0_14default_configENS1_27scan_by_key_config_selectorIiiEEZZNS1_16scan_by_key_implILNS1_25lookback_scan_determinismE0ELb0ES3_N6thrust23THRUST_200600_302600_NS10device_ptrIiEESB_SB_iNS9_4plusIvEENS9_8equal_toIvEEiEE10hipError_tPvRmT2_T3_T4_T5_mT6_T7_P12ihipStream_tbENKUlT_T0_E_clISt17integral_constantIbLb1EESW_EEDaSR_SS_EUlSR_E_NS1_11comp_targetILNS1_3genE10ELNS1_11target_archE1201ELNS1_3gpuE5ELNS1_3repE0EEENS1_30default_config_static_selectorELNS0_4arch9wavefront6targetE1EEEvT1_
	.globl	_ZN7rocprim17ROCPRIM_400000_NS6detail17trampoline_kernelINS0_14default_configENS1_27scan_by_key_config_selectorIiiEEZZNS1_16scan_by_key_implILNS1_25lookback_scan_determinismE0ELb0ES3_N6thrust23THRUST_200600_302600_NS10device_ptrIiEESB_SB_iNS9_4plusIvEENS9_8equal_toIvEEiEE10hipError_tPvRmT2_T3_T4_T5_mT6_T7_P12ihipStream_tbENKUlT_T0_E_clISt17integral_constantIbLb1EESW_EEDaSR_SS_EUlSR_E_NS1_11comp_targetILNS1_3genE10ELNS1_11target_archE1201ELNS1_3gpuE5ELNS1_3repE0EEENS1_30default_config_static_selectorELNS0_4arch9wavefront6targetE1EEEvT1_
	.p2align	8
	.type	_ZN7rocprim17ROCPRIM_400000_NS6detail17trampoline_kernelINS0_14default_configENS1_27scan_by_key_config_selectorIiiEEZZNS1_16scan_by_key_implILNS1_25lookback_scan_determinismE0ELb0ES3_N6thrust23THRUST_200600_302600_NS10device_ptrIiEESB_SB_iNS9_4plusIvEENS9_8equal_toIvEEiEE10hipError_tPvRmT2_T3_T4_T5_mT6_T7_P12ihipStream_tbENKUlT_T0_E_clISt17integral_constantIbLb1EESW_EEDaSR_SS_EUlSR_E_NS1_11comp_targetILNS1_3genE10ELNS1_11target_archE1201ELNS1_3gpuE5ELNS1_3repE0EEENS1_30default_config_static_selectorELNS0_4arch9wavefront6targetE1EEEvT1_,@function
_ZN7rocprim17ROCPRIM_400000_NS6detail17trampoline_kernelINS0_14default_configENS1_27scan_by_key_config_selectorIiiEEZZNS1_16scan_by_key_implILNS1_25lookback_scan_determinismE0ELb0ES3_N6thrust23THRUST_200600_302600_NS10device_ptrIiEESB_SB_iNS9_4plusIvEENS9_8equal_toIvEEiEE10hipError_tPvRmT2_T3_T4_T5_mT6_T7_P12ihipStream_tbENKUlT_T0_E_clISt17integral_constantIbLb1EESW_EEDaSR_SS_EUlSR_E_NS1_11comp_targetILNS1_3genE10ELNS1_11target_archE1201ELNS1_3gpuE5ELNS1_3repE0EEENS1_30default_config_static_selectorELNS0_4arch9wavefront6targetE1EEEvT1_: ; @_ZN7rocprim17ROCPRIM_400000_NS6detail17trampoline_kernelINS0_14default_configENS1_27scan_by_key_config_selectorIiiEEZZNS1_16scan_by_key_implILNS1_25lookback_scan_determinismE0ELb0ES3_N6thrust23THRUST_200600_302600_NS10device_ptrIiEESB_SB_iNS9_4plusIvEENS9_8equal_toIvEEiEE10hipError_tPvRmT2_T3_T4_T5_mT6_T7_P12ihipStream_tbENKUlT_T0_E_clISt17integral_constantIbLb1EESW_EEDaSR_SS_EUlSR_E_NS1_11comp_targetILNS1_3genE10ELNS1_11target_archE1201ELNS1_3gpuE5ELNS1_3repE0EEENS1_30default_config_static_selectorELNS0_4arch9wavefront6targetE1EEEvT1_
; %bb.0:
	.section	.rodata,"a",@progbits
	.p2align	6, 0x0
	.amdhsa_kernel _ZN7rocprim17ROCPRIM_400000_NS6detail17trampoline_kernelINS0_14default_configENS1_27scan_by_key_config_selectorIiiEEZZNS1_16scan_by_key_implILNS1_25lookback_scan_determinismE0ELb0ES3_N6thrust23THRUST_200600_302600_NS10device_ptrIiEESB_SB_iNS9_4plusIvEENS9_8equal_toIvEEiEE10hipError_tPvRmT2_T3_T4_T5_mT6_T7_P12ihipStream_tbENKUlT_T0_E_clISt17integral_constantIbLb1EESW_EEDaSR_SS_EUlSR_E_NS1_11comp_targetILNS1_3genE10ELNS1_11target_archE1201ELNS1_3gpuE5ELNS1_3repE0EEENS1_30default_config_static_selectorELNS0_4arch9wavefront6targetE1EEEvT1_
		.amdhsa_group_segment_fixed_size 0
		.amdhsa_private_segment_fixed_size 0
		.amdhsa_kernarg_size 112
		.amdhsa_user_sgpr_count 2
		.amdhsa_user_sgpr_dispatch_ptr 0
		.amdhsa_user_sgpr_queue_ptr 0
		.amdhsa_user_sgpr_kernarg_segment_ptr 1
		.amdhsa_user_sgpr_dispatch_id 0
		.amdhsa_user_sgpr_kernarg_preload_length 0
		.amdhsa_user_sgpr_kernarg_preload_offset 0
		.amdhsa_user_sgpr_private_segment_size 0
		.amdhsa_uses_dynamic_stack 0
		.amdhsa_enable_private_segment 0
		.amdhsa_system_sgpr_workgroup_id_x 1
		.amdhsa_system_sgpr_workgroup_id_y 0
		.amdhsa_system_sgpr_workgroup_id_z 0
		.amdhsa_system_sgpr_workgroup_info 0
		.amdhsa_system_vgpr_workitem_id 0
		.amdhsa_next_free_vgpr 1
		.amdhsa_next_free_sgpr 0
		.amdhsa_accum_offset 4
		.amdhsa_reserve_vcc 0
		.amdhsa_float_round_mode_32 0
		.amdhsa_float_round_mode_16_64 0
		.amdhsa_float_denorm_mode_32 3
		.amdhsa_float_denorm_mode_16_64 3
		.amdhsa_dx10_clamp 1
		.amdhsa_ieee_mode 1
		.amdhsa_fp16_overflow 0
		.amdhsa_tg_split 0
		.amdhsa_exception_fp_ieee_invalid_op 0
		.amdhsa_exception_fp_denorm_src 0
		.amdhsa_exception_fp_ieee_div_zero 0
		.amdhsa_exception_fp_ieee_overflow 0
		.amdhsa_exception_fp_ieee_underflow 0
		.amdhsa_exception_fp_ieee_inexact 0
		.amdhsa_exception_int_div_zero 0
	.end_amdhsa_kernel
	.section	.text._ZN7rocprim17ROCPRIM_400000_NS6detail17trampoline_kernelINS0_14default_configENS1_27scan_by_key_config_selectorIiiEEZZNS1_16scan_by_key_implILNS1_25lookback_scan_determinismE0ELb0ES3_N6thrust23THRUST_200600_302600_NS10device_ptrIiEESB_SB_iNS9_4plusIvEENS9_8equal_toIvEEiEE10hipError_tPvRmT2_T3_T4_T5_mT6_T7_P12ihipStream_tbENKUlT_T0_E_clISt17integral_constantIbLb1EESW_EEDaSR_SS_EUlSR_E_NS1_11comp_targetILNS1_3genE10ELNS1_11target_archE1201ELNS1_3gpuE5ELNS1_3repE0EEENS1_30default_config_static_selectorELNS0_4arch9wavefront6targetE1EEEvT1_,"axG",@progbits,_ZN7rocprim17ROCPRIM_400000_NS6detail17trampoline_kernelINS0_14default_configENS1_27scan_by_key_config_selectorIiiEEZZNS1_16scan_by_key_implILNS1_25lookback_scan_determinismE0ELb0ES3_N6thrust23THRUST_200600_302600_NS10device_ptrIiEESB_SB_iNS9_4plusIvEENS9_8equal_toIvEEiEE10hipError_tPvRmT2_T3_T4_T5_mT6_T7_P12ihipStream_tbENKUlT_T0_E_clISt17integral_constantIbLb1EESW_EEDaSR_SS_EUlSR_E_NS1_11comp_targetILNS1_3genE10ELNS1_11target_archE1201ELNS1_3gpuE5ELNS1_3repE0EEENS1_30default_config_static_selectorELNS0_4arch9wavefront6targetE1EEEvT1_,comdat
.Lfunc_end2206:
	.size	_ZN7rocprim17ROCPRIM_400000_NS6detail17trampoline_kernelINS0_14default_configENS1_27scan_by_key_config_selectorIiiEEZZNS1_16scan_by_key_implILNS1_25lookback_scan_determinismE0ELb0ES3_N6thrust23THRUST_200600_302600_NS10device_ptrIiEESB_SB_iNS9_4plusIvEENS9_8equal_toIvEEiEE10hipError_tPvRmT2_T3_T4_T5_mT6_T7_P12ihipStream_tbENKUlT_T0_E_clISt17integral_constantIbLb1EESW_EEDaSR_SS_EUlSR_E_NS1_11comp_targetILNS1_3genE10ELNS1_11target_archE1201ELNS1_3gpuE5ELNS1_3repE0EEENS1_30default_config_static_selectorELNS0_4arch9wavefront6targetE1EEEvT1_, .Lfunc_end2206-_ZN7rocprim17ROCPRIM_400000_NS6detail17trampoline_kernelINS0_14default_configENS1_27scan_by_key_config_selectorIiiEEZZNS1_16scan_by_key_implILNS1_25lookback_scan_determinismE0ELb0ES3_N6thrust23THRUST_200600_302600_NS10device_ptrIiEESB_SB_iNS9_4plusIvEENS9_8equal_toIvEEiEE10hipError_tPvRmT2_T3_T4_T5_mT6_T7_P12ihipStream_tbENKUlT_T0_E_clISt17integral_constantIbLb1EESW_EEDaSR_SS_EUlSR_E_NS1_11comp_targetILNS1_3genE10ELNS1_11target_archE1201ELNS1_3gpuE5ELNS1_3repE0EEENS1_30default_config_static_selectorELNS0_4arch9wavefront6targetE1EEEvT1_
                                        ; -- End function
	.section	.AMDGPU.csdata,"",@progbits
; Kernel info:
; codeLenInByte = 0
; NumSgprs: 6
; NumVgprs: 0
; NumAgprs: 0
; TotalNumVgprs: 0
; ScratchSize: 0
; MemoryBound: 0
; FloatMode: 240
; IeeeMode: 1
; LDSByteSize: 0 bytes/workgroup (compile time only)
; SGPRBlocks: 0
; VGPRBlocks: 0
; NumSGPRsForWavesPerEU: 6
; NumVGPRsForWavesPerEU: 1
; AccumOffset: 4
; Occupancy: 8
; WaveLimiterHint : 0
; COMPUTE_PGM_RSRC2:SCRATCH_EN: 0
; COMPUTE_PGM_RSRC2:USER_SGPR: 2
; COMPUTE_PGM_RSRC2:TRAP_HANDLER: 0
; COMPUTE_PGM_RSRC2:TGID_X_EN: 1
; COMPUTE_PGM_RSRC2:TGID_Y_EN: 0
; COMPUTE_PGM_RSRC2:TGID_Z_EN: 0
; COMPUTE_PGM_RSRC2:TIDIG_COMP_CNT: 0
; COMPUTE_PGM_RSRC3_GFX90A:ACCUM_OFFSET: 0
; COMPUTE_PGM_RSRC3_GFX90A:TG_SPLIT: 0
	.section	.text._ZN7rocprim17ROCPRIM_400000_NS6detail17trampoline_kernelINS0_14default_configENS1_27scan_by_key_config_selectorIiiEEZZNS1_16scan_by_key_implILNS1_25lookback_scan_determinismE0ELb0ES3_N6thrust23THRUST_200600_302600_NS10device_ptrIiEESB_SB_iNS9_4plusIvEENS9_8equal_toIvEEiEE10hipError_tPvRmT2_T3_T4_T5_mT6_T7_P12ihipStream_tbENKUlT_T0_E_clISt17integral_constantIbLb1EESW_EEDaSR_SS_EUlSR_E_NS1_11comp_targetILNS1_3genE5ELNS1_11target_archE942ELNS1_3gpuE9ELNS1_3repE0EEENS1_30default_config_static_selectorELNS0_4arch9wavefront6targetE1EEEvT1_,"axG",@progbits,_ZN7rocprim17ROCPRIM_400000_NS6detail17trampoline_kernelINS0_14default_configENS1_27scan_by_key_config_selectorIiiEEZZNS1_16scan_by_key_implILNS1_25lookback_scan_determinismE0ELb0ES3_N6thrust23THRUST_200600_302600_NS10device_ptrIiEESB_SB_iNS9_4plusIvEENS9_8equal_toIvEEiEE10hipError_tPvRmT2_T3_T4_T5_mT6_T7_P12ihipStream_tbENKUlT_T0_E_clISt17integral_constantIbLb1EESW_EEDaSR_SS_EUlSR_E_NS1_11comp_targetILNS1_3genE5ELNS1_11target_archE942ELNS1_3gpuE9ELNS1_3repE0EEENS1_30default_config_static_selectorELNS0_4arch9wavefront6targetE1EEEvT1_,comdat
	.protected	_ZN7rocprim17ROCPRIM_400000_NS6detail17trampoline_kernelINS0_14default_configENS1_27scan_by_key_config_selectorIiiEEZZNS1_16scan_by_key_implILNS1_25lookback_scan_determinismE0ELb0ES3_N6thrust23THRUST_200600_302600_NS10device_ptrIiEESB_SB_iNS9_4plusIvEENS9_8equal_toIvEEiEE10hipError_tPvRmT2_T3_T4_T5_mT6_T7_P12ihipStream_tbENKUlT_T0_E_clISt17integral_constantIbLb1EESW_EEDaSR_SS_EUlSR_E_NS1_11comp_targetILNS1_3genE5ELNS1_11target_archE942ELNS1_3gpuE9ELNS1_3repE0EEENS1_30default_config_static_selectorELNS0_4arch9wavefront6targetE1EEEvT1_ ; -- Begin function _ZN7rocprim17ROCPRIM_400000_NS6detail17trampoline_kernelINS0_14default_configENS1_27scan_by_key_config_selectorIiiEEZZNS1_16scan_by_key_implILNS1_25lookback_scan_determinismE0ELb0ES3_N6thrust23THRUST_200600_302600_NS10device_ptrIiEESB_SB_iNS9_4plusIvEENS9_8equal_toIvEEiEE10hipError_tPvRmT2_T3_T4_T5_mT6_T7_P12ihipStream_tbENKUlT_T0_E_clISt17integral_constantIbLb1EESW_EEDaSR_SS_EUlSR_E_NS1_11comp_targetILNS1_3genE5ELNS1_11target_archE942ELNS1_3gpuE9ELNS1_3repE0EEENS1_30default_config_static_selectorELNS0_4arch9wavefront6targetE1EEEvT1_
	.globl	_ZN7rocprim17ROCPRIM_400000_NS6detail17trampoline_kernelINS0_14default_configENS1_27scan_by_key_config_selectorIiiEEZZNS1_16scan_by_key_implILNS1_25lookback_scan_determinismE0ELb0ES3_N6thrust23THRUST_200600_302600_NS10device_ptrIiEESB_SB_iNS9_4plusIvEENS9_8equal_toIvEEiEE10hipError_tPvRmT2_T3_T4_T5_mT6_T7_P12ihipStream_tbENKUlT_T0_E_clISt17integral_constantIbLb1EESW_EEDaSR_SS_EUlSR_E_NS1_11comp_targetILNS1_3genE5ELNS1_11target_archE942ELNS1_3gpuE9ELNS1_3repE0EEENS1_30default_config_static_selectorELNS0_4arch9wavefront6targetE1EEEvT1_
	.p2align	8
	.type	_ZN7rocprim17ROCPRIM_400000_NS6detail17trampoline_kernelINS0_14default_configENS1_27scan_by_key_config_selectorIiiEEZZNS1_16scan_by_key_implILNS1_25lookback_scan_determinismE0ELb0ES3_N6thrust23THRUST_200600_302600_NS10device_ptrIiEESB_SB_iNS9_4plusIvEENS9_8equal_toIvEEiEE10hipError_tPvRmT2_T3_T4_T5_mT6_T7_P12ihipStream_tbENKUlT_T0_E_clISt17integral_constantIbLb1EESW_EEDaSR_SS_EUlSR_E_NS1_11comp_targetILNS1_3genE5ELNS1_11target_archE942ELNS1_3gpuE9ELNS1_3repE0EEENS1_30default_config_static_selectorELNS0_4arch9wavefront6targetE1EEEvT1_,@function
_ZN7rocprim17ROCPRIM_400000_NS6detail17trampoline_kernelINS0_14default_configENS1_27scan_by_key_config_selectorIiiEEZZNS1_16scan_by_key_implILNS1_25lookback_scan_determinismE0ELb0ES3_N6thrust23THRUST_200600_302600_NS10device_ptrIiEESB_SB_iNS9_4plusIvEENS9_8equal_toIvEEiEE10hipError_tPvRmT2_T3_T4_T5_mT6_T7_P12ihipStream_tbENKUlT_T0_E_clISt17integral_constantIbLb1EESW_EEDaSR_SS_EUlSR_E_NS1_11comp_targetILNS1_3genE5ELNS1_11target_archE942ELNS1_3gpuE9ELNS1_3repE0EEENS1_30default_config_static_selectorELNS0_4arch9wavefront6targetE1EEEvT1_: ; @_ZN7rocprim17ROCPRIM_400000_NS6detail17trampoline_kernelINS0_14default_configENS1_27scan_by_key_config_selectorIiiEEZZNS1_16scan_by_key_implILNS1_25lookback_scan_determinismE0ELb0ES3_N6thrust23THRUST_200600_302600_NS10device_ptrIiEESB_SB_iNS9_4plusIvEENS9_8equal_toIvEEiEE10hipError_tPvRmT2_T3_T4_T5_mT6_T7_P12ihipStream_tbENKUlT_T0_E_clISt17integral_constantIbLb1EESW_EEDaSR_SS_EUlSR_E_NS1_11comp_targetILNS1_3genE5ELNS1_11target_archE942ELNS1_3gpuE9ELNS1_3repE0EEENS1_30default_config_static_selectorELNS0_4arch9wavefront6targetE1EEEvT1_
; %bb.0:
	s_load_dwordx4 s[72:75], s[0:1], 0x28
	s_load_dwordx2 s[76:77], s[0:1], 0x38
	v_cmp_ne_u32_e64 s[4:5], 0, v0
	v_cmp_eq_u32_e64 s[54:55], 0, v0
	s_and_saveexec_b64 s[2:3], s[54:55]
	s_cbranch_execz .LBB2207_4
; %bb.1:
	s_mov_b64 s[8:9], exec
	v_mbcnt_lo_u32_b32 v1, s8, 0
	v_mbcnt_hi_u32_b32 v1, s9, v1
	v_cmp_eq_u32_e32 vcc, 0, v1
                                        ; implicit-def: $vgpr2
	s_and_saveexec_b64 s[6:7], vcc
	s_cbranch_execz .LBB2207_3
; %bb.2:
	s_load_dwordx2 s[10:11], s[0:1], 0x68
	s_bcnt1_i32_b64 s8, s[8:9]
	v_mov_b32_e32 v2, 0
	v_mov_b32_e32 v3, s8
	s_waitcnt lgkmcnt(0)
	global_atomic_add v2, v2, v3, s[10:11] sc0
.LBB2207_3:
	s_or_b64 exec, exec, s[6:7]
	s_waitcnt vmcnt(0)
	v_readfirstlane_b32 s6, v2
	v_mov_b32_e32 v2, 0
	s_nop 0
	v_add_u32_e32 v1, s6, v1
	ds_write_b32 v2, v1
.LBB2207_4:
	s_or_b64 exec, exec, s[2:3]
	s_load_dwordx8 s[56:63], s[0:1], 0x0
	s_load_dword s2, s[0:1], 0x40
	s_load_dwordx8 s[64:71], s[0:1], 0x48
	v_mov_b32_e32 v1, 0
	s_waitcnt lgkmcnt(0)
	s_barrier
	ds_read_b32 v1, v1
	s_lshl_b64 s[58:59], s[58:59], 2
	s_add_u32 s3, s56, s58
	s_addc_u32 s6, s57, s59
	s_add_u32 s7, s60, s58
	s_mul_i32 s0, s77, s2
	s_mul_hi_u32 s1, s76, s2
	s_addc_u32 s8, s61, s59
	s_add_i32 s9, s1, s0
	s_waitcnt lgkmcnt(0)
	v_readfirstlane_b32 s75, v1
	s_cmp_lg_u64 s[68:69], 0
	s_mov_b32 s1, 0
	s_mul_i32 s0, s75, 0x1700
	s_cselect_b64 s[78:79], -1, 0
	s_lshl_b64 s[56:57], s[0:1], 2
	s_add_u32 s68, s3, s56
	s_addc_u32 s69, s6, s57
	s_add_u32 s60, s7, s56
	s_mul_i32 s2, s76, s2
	s_addc_u32 s61, s8, s57
	s_add_u32 s80, s2, s75
	s_addc_u32 s81, s9, 0
	s_add_u32 s0, s64, -1
	s_addc_u32 s1, s65, -1
	v_mov_b64_e32 v[2:3], s[0:1]
	v_cmp_ge_u64_e64 s[2:3], s[80:81], v[2:3]
	s_mov_b64 s[10:11], 0
	s_mov_b64 s[6:7], -1
	s_and_b64 vcc, exec, s[2:3]
	s_mul_i32 s33, s0, 0xffffe900
	s_barrier
	s_barrier
	s_cbranch_vccz .LBB2207_126
; %bb.5:
	v_mov_b64_e32 v[2:3], s[68:69]
	flat_load_dword v1, v[2:3]
	s_add_i32 s84, s33, s74
	v_cmp_gt_u32_e64 s[6:7], s84, v0
	s_waitcnt vmcnt(0) lgkmcnt(0)
	v_mov_b32_e32 v3, v1
	s_and_saveexec_b64 s[0:1], s[6:7]
	s_cbranch_execz .LBB2207_7
; %bb.6:
	v_lshlrev_b32_e32 v2, 2, v0
	v_mov_b32_e32 v3, 0
	v_lshl_add_u64 v[2:3], s[68:69], 0, v[2:3]
	flat_load_dword v3, v[2:3]
.LBB2207_7:
	s_or_b64 exec, exec, s[0:1]
	v_or_b32_e32 v2, 0x100, v0
	v_cmp_gt_u32_e64 s[8:9], s84, v2
	v_mov_b32_e32 v4, v1
	s_and_saveexec_b64 s[0:1], s[8:9]
	s_cbranch_execz .LBB2207_9
; %bb.8:
	v_lshlrev_b32_e32 v4, 2, v0
	v_mov_b32_e32 v5, 0
	v_lshl_add_u64 v[4:5], s[68:69], 0, v[4:5]
	flat_load_dword v4, v[4:5] offset:1024
.LBB2207_9:
	s_or_b64 exec, exec, s[0:1]
	v_or_b32_e32 v2, 0x200, v0
	v_cmp_gt_u32_e64 s[10:11], s84, v2
	v_mov_b32_e32 v5, v1
	s_and_saveexec_b64 s[0:1], s[10:11]
	s_cbranch_execz .LBB2207_11
; %bb.10:
	v_lshlrev_b32_e32 v6, 2, v0
	v_mov_b32_e32 v7, 0
	v_lshl_add_u64 v[6:7], s[68:69], 0, v[6:7]
	flat_load_dword v5, v[6:7] offset:2048
.LBB2207_11:
	;; [unrolled: 12-line block ×3, first 2 shown]
	s_or_b64 exec, exec, s[0:1]
	v_or_b32_e32 v10, 0x400, v0
	v_cmp_gt_u32_e64 s[14:15], s84, v10
	v_mov_b32_e32 v7, v1
	s_and_saveexec_b64 s[0:1], s[14:15]
	s_cbranch_execz .LBB2207_15
; %bb.14:
	v_lshlrev_b32_e32 v8, 2, v10
	v_mov_b32_e32 v9, 0
	v_lshl_add_u64 v[8:9], s[68:69], 0, v[8:9]
	flat_load_dword v7, v[8:9]
.LBB2207_15:
	s_or_b64 exec, exec, s[0:1]
	v_or_b32_e32 v11, 0x500, v0
	v_cmp_gt_u32_e64 s[16:17], s84, v11
	v_mov_b32_e32 v8, v1
	s_and_saveexec_b64 s[0:1], s[16:17]
	s_cbranch_execz .LBB2207_17
; %bb.16:
	v_lshlrev_b32_e32 v8, 2, v11
	v_mov_b32_e32 v9, 0
	v_lshl_add_u64 v[8:9], s[68:69], 0, v[8:9]
	flat_load_dword v8, v[8:9]
.LBB2207_17:
	;; [unrolled: 12-line block ×18, first 2 shown]
	s_or_b64 exec, exec, s[0:1]
	v_or_b32_e32 v28, 0x1600, v0
	v_cmp_gt_u32_e64 s[52:53], s84, v28
	s_and_saveexec_b64 s[0:1], s[52:53]
	s_cbranch_execz .LBB2207_51
; %bb.50:
	v_lshlrev_b32_e32 v44, 2, v28
	v_mov_b32_e32 v45, 0
	v_lshl_add_u64 v[44:45], s[68:69], 0, v[44:45]
	flat_load_dword v1, v[44:45]
.LBB2207_51:
	s_or_b64 exec, exec, s[0:1]
	v_lshlrev_b32_e32 v2, 2, v0
	s_movk_i32 s0, 0x58
	s_waitcnt vmcnt(0) lgkmcnt(0)
	ds_write2st64_b32 v2, v3, v4 offset1:4
	ds_write2st64_b32 v2, v5, v6 offset0:8 offset1:12
	ds_write2st64_b32 v2, v7, v8 offset0:16 offset1:20
	;; [unrolled: 1-line block ×10, first 2 shown]
	ds_write_b32 v2, v1 offset:22528
	v_mad_u32_u24 v1, v0, s0, v2
	s_waitcnt lgkmcnt(0)
	s_barrier
	ds_read2_b32 v[68:69], v1 offset1:1
	ds_read2_b32 v[66:67], v1 offset0:2 offset1:3
	ds_read2_b32 v[64:65], v1 offset0:4 offset1:5
	;; [unrolled: 1-line block ×10, first 2 shown]
	ds_read_b32 v72, v1 offset:88
	s_cmp_eq_u64 s[80:81], 0
	s_mov_b64 s[0:1], s[68:69]
	s_cbranch_scc1 .LBB2207_55
; %bb.52:
	s_andn2_b64 vcc, exec, s[78:79]
	s_cbranch_vccnz .LBB2207_271
; %bb.53:
	s_lshl_b64 s[0:1], s[80:81], 2
	s_add_u32 s0, s70, s0
	s_addc_u32 s1, s71, s1
	s_add_u32 s0, s0, -4
	s_addc_u32 s1, s1, -1
	s_cbranch_execnz .LBB2207_55
.LBB2207_54:
	s_add_u32 s0, s68, -4
	s_addc_u32 s1, s69, -1
.LBB2207_55:
	v_mov_b64_e32 v[30:31], s[0:1]
	flat_load_dword v70, v[30:31]
	s_movk_i32 s0, 0xffa8
	v_mad_i32_i24 v3, v0, s0, v1
	s_waitcnt lgkmcnt(0)
	ds_write_b32 v3, v72 offset:23552
	s_waitcnt lgkmcnt(0)
	s_barrier
	s_and_saveexec_b64 s[0:1], s[4:5]
	s_cbranch_execz .LBB2207_57
; %bb.56:
	v_mul_i32_i24_e32 v3, 0xffffffa8, v0
	v_add_u32_e32 v3, v1, v3
	s_waitcnt vmcnt(0)
	ds_read_b32 v70, v3 offset:23548
.LBB2207_57:
	s_or_b64 exec, exec, s[0:1]
	v_mov_b32_e32 v3, 0
	s_waitcnt lgkmcnt(0)
	s_barrier
	s_waitcnt lgkmcnt(0)
                                        ; implicit-def: $vgpr29
	s_and_saveexec_b64 s[0:1], s[6:7]
	s_cbranch_execnz .LBB2207_247
; %bb.58:
	s_or_b64 exec, exec, s[0:1]
                                        ; implicit-def: $vgpr30
	s_and_saveexec_b64 s[0:1], s[8:9]
	s_cbranch_execnz .LBB2207_248
.LBB2207_59:
	s_or_b64 exec, exec, s[0:1]
                                        ; implicit-def: $vgpr31
	s_and_saveexec_b64 s[0:1], s[10:11]
	s_cbranch_execnz .LBB2207_249
.LBB2207_60:
	s_or_b64 exec, exec, s[0:1]
                                        ; implicit-def: $vgpr3
	s_and_saveexec_b64 s[0:1], s[12:13]
	s_cbranch_execnz .LBB2207_250
.LBB2207_61:
	s_or_b64 exec, exec, s[0:1]
                                        ; implicit-def: $vgpr32
	s_and_saveexec_b64 s[0:1], s[14:15]
	s_cbranch_execnz .LBB2207_251
.LBB2207_62:
	s_or_b64 exec, exec, s[0:1]
                                        ; implicit-def: $vgpr10
	s_and_saveexec_b64 s[0:1], s[16:17]
	s_cbranch_execnz .LBB2207_252
.LBB2207_63:
	s_or_b64 exec, exec, s[0:1]
                                        ; implicit-def: $vgpr11
	s_and_saveexec_b64 s[0:1], s[18:19]
	s_cbranch_execnz .LBB2207_253
.LBB2207_64:
	s_or_b64 exec, exec, s[0:1]
                                        ; implicit-def: $vgpr12
	s_and_saveexec_b64 s[0:1], s[20:21]
	s_cbranch_execnz .LBB2207_254
.LBB2207_65:
	s_or_b64 exec, exec, s[0:1]
                                        ; implicit-def: $vgpr13
	s_and_saveexec_b64 s[0:1], s[22:23]
	s_cbranch_execnz .LBB2207_255
.LBB2207_66:
	s_or_b64 exec, exec, s[0:1]
                                        ; implicit-def: $vgpr14
	s_and_saveexec_b64 s[0:1], s[24:25]
	s_cbranch_execnz .LBB2207_256
.LBB2207_67:
	s_or_b64 exec, exec, s[0:1]
                                        ; implicit-def: $vgpr15
	s_and_saveexec_b64 s[0:1], s[26:27]
	s_cbranch_execnz .LBB2207_257
.LBB2207_68:
	s_or_b64 exec, exec, s[0:1]
                                        ; implicit-def: $vgpr16
	s_and_saveexec_b64 s[0:1], s[28:29]
	s_cbranch_execnz .LBB2207_258
.LBB2207_69:
	s_or_b64 exec, exec, s[0:1]
                                        ; implicit-def: $vgpr17
	s_and_saveexec_b64 s[0:1], s[30:31]
	s_cbranch_execnz .LBB2207_259
.LBB2207_70:
	s_or_b64 exec, exec, s[0:1]
                                        ; implicit-def: $vgpr18
	s_and_saveexec_b64 s[0:1], s[34:35]
	s_cbranch_execnz .LBB2207_260
.LBB2207_71:
	s_or_b64 exec, exec, s[0:1]
                                        ; implicit-def: $vgpr19
	s_and_saveexec_b64 s[0:1], s[36:37]
	s_cbranch_execnz .LBB2207_261
.LBB2207_72:
	s_or_b64 exec, exec, s[0:1]
                                        ; implicit-def: $vgpr20
	s_and_saveexec_b64 s[0:1], s[38:39]
	s_cbranch_execnz .LBB2207_262
.LBB2207_73:
	s_or_b64 exec, exec, s[0:1]
                                        ; implicit-def: $vgpr21
	s_and_saveexec_b64 s[0:1], s[40:41]
	s_cbranch_execnz .LBB2207_263
.LBB2207_74:
	s_or_b64 exec, exec, s[0:1]
                                        ; implicit-def: $vgpr22
	s_and_saveexec_b64 s[0:1], s[42:43]
	s_cbranch_execnz .LBB2207_264
.LBB2207_75:
	s_or_b64 exec, exec, s[0:1]
                                        ; implicit-def: $vgpr23
	s_and_saveexec_b64 s[0:1], s[44:45]
	s_cbranch_execnz .LBB2207_265
.LBB2207_76:
	s_or_b64 exec, exec, s[0:1]
                                        ; implicit-def: $vgpr24
	s_and_saveexec_b64 s[0:1], s[46:47]
	s_cbranch_execnz .LBB2207_266
.LBB2207_77:
	s_or_b64 exec, exec, s[0:1]
                                        ; implicit-def: $vgpr25
	s_and_saveexec_b64 s[0:1], s[48:49]
	s_cbranch_execnz .LBB2207_267
.LBB2207_78:
	s_or_b64 exec, exec, s[0:1]
                                        ; implicit-def: $vgpr26
	s_and_saveexec_b64 s[0:1], s[50:51]
	s_cbranch_execnz .LBB2207_268
.LBB2207_79:
	s_or_b64 exec, exec, s[0:1]
                                        ; implicit-def: $vgpr27
	s_and_saveexec_b64 s[0:1], s[52:53]
	s_cbranch_execz .LBB2207_81
.LBB2207_80:
	v_lshlrev_b32_e32 v34, 2, v28
	v_mov_b32_e32 v35, 0
	v_lshl_add_u64 v[34:35], s[60:61], 0, v[34:35]
	flat_load_dword v27, v[34:35]
.LBB2207_81:
	s_or_b64 exec, exec, s[0:1]
	v_mul_u32_u24_e32 v73, 23, v0
	s_waitcnt vmcnt(0) lgkmcnt(0)
	ds_write2st64_b32 v2, v29, v30 offset1:4
	ds_write2st64_b32 v2, v31, v3 offset0:8 offset1:12
	ds_write2st64_b32 v2, v32, v10 offset0:16 offset1:20
	;; [unrolled: 1-line block ×10, first 2 shown]
	ds_write_b32 v2, v27 offset:22528
	v_mov_b64_e32 v[10:11], 0
	v_cmp_gt_u32_e32 vcc, s84, v73
	s_mov_b64 s[10:11], 0
	s_mov_b64 s[6:7], 0
	v_mov_b64_e32 v[12:13], v[10:11]
	v_mov_b64_e32 v[14:15], v[10:11]
	;; [unrolled: 1-line block ×21, first 2 shown]
	s_waitcnt lgkmcnt(0)
	s_barrier
	s_waitcnt lgkmcnt(0)
                                        ; implicit-def: $sgpr0_sgpr1
                                        ; implicit-def: $vgpr3
	s_and_saveexec_b64 s[8:9], vcc
	s_cbranch_execz .LBB2207_125
; %bb.82:
	ds_read_b32 v10, v1
	v_add_u32_e32 v2, 1, v73
	v_cmp_ne_u32_e32 vcc, v70, v68
	v_mov_b64_e32 v[12:13], 0
	s_mov_b64 s[12:13], 0
	v_cndmask_b32_e64 v11, 0, 1, vcc
	v_cmp_gt_u32_e32 vcc, s84, v2
	s_mov_b64 s[0:1], 0
	v_mov_b64_e32 v[14:15], v[12:13]
	v_mov_b64_e32 v[16:17], v[12:13]
	;; [unrolled: 1-line block ×20, first 2 shown]
                                        ; implicit-def: $sgpr14_sgpr15
                                        ; implicit-def: $vgpr3
	s_and_saveexec_b64 s[10:11], vcc
	s_cbranch_execz .LBB2207_124
; %bb.83:
	ds_read2_b32 v[70:71], v1 offset0:1 offset1:2
	v_add_u32_e32 v2, 2, v73
	v_cmp_ne_u32_e32 vcc, v68, v69
	v_mov_b64_e32 v[14:15], 0
	s_mov_b64 s[16:17], 0
	v_cndmask_b32_e64 v13, 0, 1, vcc
	v_cmp_gt_u32_e32 vcc, s84, v2
	s_waitcnt lgkmcnt(0)
	v_mov_b32_e32 v12, v70
	v_mov_b64_e32 v[16:17], v[14:15]
	v_mov_b64_e32 v[18:19], v[14:15]
	;; [unrolled: 1-line block ×19, first 2 shown]
                                        ; implicit-def: $sgpr14_sgpr15
                                        ; implicit-def: $vgpr3
	s_and_saveexec_b64 s[12:13], vcc
	s_cbranch_execz .LBB2207_123
; %bb.84:
	v_add_u32_e32 v2, 3, v73
	v_cmp_ne_u32_e32 vcc, v69, v66
	v_mov_b64_e32 v[16:17], 0
	v_mov_b32_e32 v14, v71
	v_cndmask_b32_e64 v15, 0, 1, vcc
	v_cmp_gt_u32_e32 vcc, s84, v2
	v_mov_b64_e32 v[18:19], v[16:17]
	v_mov_b64_e32 v[20:21], v[16:17]
	;; [unrolled: 1-line block ×18, first 2 shown]
                                        ; implicit-def: $sgpr18_sgpr19
                                        ; implicit-def: $vgpr3
	s_and_saveexec_b64 s[14:15], vcc
	s_cbranch_execz .LBB2207_122
; %bb.85:
	ds_read2_b32 v[68:69], v1 offset0:3 offset1:4
	v_add_u32_e32 v2, 4, v73
	v_cmp_ne_u32_e32 vcc, v66, v67
	v_mov_b64_e32 v[18:19], 0
	s_mov_b64 s[20:21], 0
	v_cndmask_b32_e64 v17, 0, 1, vcc
	v_cmp_gt_u32_e32 vcc, s84, v2
	s_waitcnt lgkmcnt(0)
	v_mov_b32_e32 v16, v68
	v_mov_b64_e32 v[20:21], v[18:19]
	v_mov_b64_e32 v[22:23], v[18:19]
	;; [unrolled: 1-line block ×17, first 2 shown]
                                        ; implicit-def: $sgpr18_sgpr19
                                        ; implicit-def: $vgpr3
	s_and_saveexec_b64 s[16:17], vcc
	s_cbranch_execz .LBB2207_121
; %bb.86:
	v_add_u32_e32 v2, 5, v73
	v_cmp_ne_u32_e32 vcc, v67, v64
	v_mov_b64_e32 v[20:21], 0
	v_mov_b32_e32 v18, v69
	v_cndmask_b32_e64 v19, 0, 1, vcc
	v_cmp_gt_u32_e32 vcc, s84, v2
	v_mov_b64_e32 v[22:23], v[20:21]
	v_mov_b64_e32 v[24:25], v[20:21]
	;; [unrolled: 1-line block ×16, first 2 shown]
                                        ; implicit-def: $sgpr22_sgpr23
                                        ; implicit-def: $vgpr3
	s_and_saveexec_b64 s[18:19], vcc
	s_cbranch_execz .LBB2207_120
; %bb.87:
	ds_read2_b32 v[66:67], v1 offset0:5 offset1:6
	v_add_u32_e32 v2, 6, v73
	v_cmp_ne_u32_e32 vcc, v64, v65
	v_mov_b64_e32 v[22:23], 0
	s_mov_b64 s[24:25], 0
	v_cndmask_b32_e64 v21, 0, 1, vcc
	v_cmp_gt_u32_e32 vcc, s84, v2
	s_waitcnt lgkmcnt(0)
	v_mov_b32_e32 v20, v66
	v_mov_b64_e32 v[24:25], v[22:23]
	v_mov_b64_e32 v[26:27], v[22:23]
	;; [unrolled: 1-line block ×15, first 2 shown]
                                        ; implicit-def: $sgpr22_sgpr23
                                        ; implicit-def: $vgpr3
	s_and_saveexec_b64 s[20:21], vcc
	s_cbranch_execz .LBB2207_119
; %bb.88:
	v_add_u32_e32 v2, 7, v73
	v_cmp_ne_u32_e32 vcc, v65, v62
	v_mov_b64_e32 v[24:25], 0
	v_mov_b32_e32 v22, v67
	v_cndmask_b32_e64 v23, 0, 1, vcc
	v_cmp_gt_u32_e32 vcc, s84, v2
	v_mov_b64_e32 v[26:27], v[24:25]
	v_mov_b64_e32 v[28:29], v[24:25]
	;; [unrolled: 1-line block ×14, first 2 shown]
                                        ; implicit-def: $sgpr26_sgpr27
                                        ; implicit-def: $vgpr3
	s_and_saveexec_b64 s[22:23], vcc
	s_cbranch_execz .LBB2207_118
; %bb.89:
	ds_read2_b32 v[64:65], v1 offset0:7 offset1:8
	v_add_u32_e32 v2, 8, v73
	v_cmp_ne_u32_e32 vcc, v62, v63
	v_mov_b64_e32 v[26:27], 0
	s_mov_b64 s[28:29], 0
	v_cndmask_b32_e64 v25, 0, 1, vcc
	v_cmp_gt_u32_e32 vcc, s84, v2
	s_waitcnt lgkmcnt(0)
	v_mov_b32_e32 v24, v64
	v_mov_b64_e32 v[28:29], v[26:27]
	v_mov_b64_e32 v[30:31], v[26:27]
	;; [unrolled: 1-line block ×13, first 2 shown]
                                        ; implicit-def: $sgpr26_sgpr27
                                        ; implicit-def: $vgpr3
	s_and_saveexec_b64 s[24:25], vcc
	s_cbranch_execz .LBB2207_117
; %bb.90:
	v_add_u32_e32 v2, 9, v73
	v_cmp_ne_u32_e32 vcc, v63, v60
	v_mov_b64_e32 v[28:29], 0
	v_mov_b32_e32 v26, v65
	v_cndmask_b32_e64 v27, 0, 1, vcc
	v_cmp_gt_u32_e32 vcc, s84, v2
	v_mov_b64_e32 v[30:31], v[28:29]
	v_mov_b64_e32 v[32:33], v[28:29]
	;; [unrolled: 1-line block ×12, first 2 shown]
                                        ; implicit-def: $sgpr30_sgpr31
                                        ; implicit-def: $vgpr3
	s_and_saveexec_b64 s[26:27], vcc
	s_cbranch_execz .LBB2207_116
; %bb.91:
	ds_read2_b32 v[62:63], v1 offset0:9 offset1:10
	v_add_u32_e32 v2, 10, v73
	v_cmp_ne_u32_e32 vcc, v60, v61
	v_mov_b64_e32 v[30:31], 0
	s_mov_b64 s[34:35], 0
	v_cndmask_b32_e64 v29, 0, 1, vcc
	v_cmp_gt_u32_e32 vcc, s84, v2
	s_waitcnt lgkmcnt(0)
	v_mov_b32_e32 v28, v62
	v_mov_b64_e32 v[32:33], v[30:31]
	v_mov_b64_e32 v[34:35], v[30:31]
	;; [unrolled: 1-line block ×11, first 2 shown]
                                        ; implicit-def: $sgpr30_sgpr31
                                        ; implicit-def: $vgpr3
	s_and_saveexec_b64 s[28:29], vcc
	s_cbranch_execz .LBB2207_115
; %bb.92:
	v_add_u32_e32 v2, 11, v73
	v_cmp_ne_u32_e32 vcc, v61, v58
	v_mov_b64_e32 v[32:33], 0
	v_mov_b32_e32 v30, v63
	v_cndmask_b32_e64 v31, 0, 1, vcc
	v_cmp_gt_u32_e32 vcc, s84, v2
	v_mov_b64_e32 v[34:35], v[32:33]
	v_mov_b64_e32 v[36:37], v[32:33]
	;; [unrolled: 1-line block ×10, first 2 shown]
                                        ; implicit-def: $sgpr36_sgpr37
                                        ; implicit-def: $vgpr3
	s_and_saveexec_b64 s[30:31], vcc
	s_cbranch_execz .LBB2207_114
; %bb.93:
	ds_read2_b32 v[60:61], v1 offset0:11 offset1:12
	v_add_u32_e32 v2, 12, v73
	v_cmp_ne_u32_e32 vcc, v58, v59
	v_mov_b64_e32 v[34:35], 0
	s_mov_b64 s[38:39], 0
	v_cndmask_b32_e64 v33, 0, 1, vcc
	v_cmp_gt_u32_e32 vcc, s84, v2
	s_waitcnt lgkmcnt(0)
	v_mov_b32_e32 v32, v60
	v_mov_b64_e32 v[36:37], v[34:35]
	v_mov_b64_e32 v[38:39], v[34:35]
	;; [unrolled: 1-line block ×9, first 2 shown]
                                        ; implicit-def: $sgpr36_sgpr37
                                        ; implicit-def: $vgpr3
	s_and_saveexec_b64 s[34:35], vcc
	s_cbranch_execz .LBB2207_113
; %bb.94:
	v_add_u32_e32 v2, 13, v73
	v_cmp_ne_u32_e32 vcc, v59, v56
	v_mov_b64_e32 v[36:37], 0
	v_mov_b32_e32 v34, v61
	v_cndmask_b32_e64 v35, 0, 1, vcc
	v_cmp_gt_u32_e32 vcc, s84, v2
	v_mov_b64_e32 v[38:39], v[36:37]
	v_mov_b64_e32 v[40:41], v[36:37]
	;; [unrolled: 1-line block ×8, first 2 shown]
                                        ; implicit-def: $sgpr40_sgpr41
                                        ; implicit-def: $vgpr3
	s_and_saveexec_b64 s[36:37], vcc
	s_cbranch_execz .LBB2207_112
; %bb.95:
	ds_read2_b32 v[58:59], v1 offset0:13 offset1:14
	v_add_u32_e32 v2, 14, v73
	v_cmp_ne_u32_e32 vcc, v56, v57
	v_mov_b64_e32 v[38:39], 0
	s_mov_b64 s[42:43], 0
	v_cndmask_b32_e64 v37, 0, 1, vcc
	v_cmp_gt_u32_e32 vcc, s84, v2
	s_waitcnt lgkmcnt(0)
	v_mov_b32_e32 v36, v58
	v_mov_b64_e32 v[40:41], v[38:39]
	v_mov_b64_e32 v[42:43], v[38:39]
	;; [unrolled: 1-line block ×7, first 2 shown]
                                        ; implicit-def: $sgpr40_sgpr41
                                        ; implicit-def: $vgpr3
	s_and_saveexec_b64 s[38:39], vcc
	s_cbranch_execz .LBB2207_111
; %bb.96:
	v_add_u32_e32 v2, 15, v73
	v_cmp_ne_u32_e32 vcc, v57, v54
	v_mov_b64_e32 v[40:41], 0
	v_mov_b32_e32 v38, v59
	v_cndmask_b32_e64 v39, 0, 1, vcc
	v_cmp_gt_u32_e32 vcc, s84, v2
	v_mov_b64_e32 v[42:43], v[40:41]
	v_mov_b64_e32 v[44:45], v[40:41]
	;; [unrolled: 1-line block ×6, first 2 shown]
                                        ; implicit-def: $sgpr44_sgpr45
                                        ; implicit-def: $vgpr3
	s_and_saveexec_b64 s[40:41], vcc
	s_cbranch_execz .LBB2207_110
; %bb.97:
	ds_read2_b32 v[56:57], v1 offset0:15 offset1:16
	v_add_u32_e32 v2, 16, v73
	v_cmp_ne_u32_e32 vcc, v54, v55
	v_mov_b64_e32 v[42:43], 0
	s_mov_b64 s[46:47], 0
	v_cndmask_b32_e64 v41, 0, 1, vcc
	v_cmp_gt_u32_e32 vcc, s84, v2
	s_waitcnt lgkmcnt(0)
	v_mov_b32_e32 v40, v56
	v_mov_b64_e32 v[44:45], v[42:43]
	v_mov_b64_e32 v[46:47], v[42:43]
	;; [unrolled: 1-line block ×5, first 2 shown]
                                        ; implicit-def: $sgpr44_sgpr45
                                        ; implicit-def: $vgpr3
	s_and_saveexec_b64 s[42:43], vcc
	s_cbranch_execz .LBB2207_109
; %bb.98:
	v_add_u32_e32 v2, 17, v73
	v_cmp_ne_u32_e32 vcc, v55, v8
	v_mov_b64_e32 v[44:45], 0
	v_mov_b32_e32 v42, v57
	v_cndmask_b32_e64 v43, 0, 1, vcc
	v_cmp_gt_u32_e32 vcc, s84, v2
	v_mov_b64_e32 v[46:47], v[44:45]
	v_mov_b64_e32 v[48:49], v[44:45]
	;; [unrolled: 1-line block ×4, first 2 shown]
                                        ; implicit-def: $sgpr48_sgpr49
                                        ; implicit-def: $vgpr3
	s_and_saveexec_b64 s[44:45], vcc
	s_cbranch_execz .LBB2207_108
; %bb.99:
	ds_read2_b32 v[54:55], v1 offset0:17 offset1:18
	v_add_u32_e32 v2, 18, v73
	v_cmp_ne_u32_e32 vcc, v8, v9
	v_mov_b64_e32 v[46:47], 0
	s_mov_b64 s[50:51], 0
	v_cndmask_b32_e64 v45, 0, 1, vcc
	v_cmp_gt_u32_e32 vcc, s84, v2
	s_waitcnt lgkmcnt(0)
	v_mov_b32_e32 v44, v54
	v_mov_b64_e32 v[48:49], v[46:47]
	v_mov_b64_e32 v[50:51], v[46:47]
	;; [unrolled: 1-line block ×3, first 2 shown]
                                        ; implicit-def: $sgpr48_sgpr49
                                        ; implicit-def: $vgpr3
	s_and_saveexec_b64 s[46:47], vcc
	s_cbranch_execz .LBB2207_107
; %bb.100:
	v_add_u32_e32 v2, 19, v73
	v_cmp_ne_u32_e32 vcc, v9, v6
	v_mov_b64_e32 v[48:49], 0
	v_mov_b32_e32 v46, v55
	v_cndmask_b32_e64 v47, 0, 1, vcc
	v_cmp_gt_u32_e32 vcc, s84, v2
	v_mov_b64_e32 v[50:51], v[48:49]
	v_mov_b64_e32 v[52:53], v[48:49]
                                        ; implicit-def: $sgpr52_sgpr53
                                        ; implicit-def: $vgpr3
	s_and_saveexec_b64 s[48:49], vcc
	s_cbranch_execz .LBB2207_106
; %bb.101:
	ds_read2_b32 v[8:9], v1 offset0:19 offset1:20
	v_add_u32_e32 v2, 20, v73
	v_cmp_ne_u32_e32 vcc, v6, v7
	v_mov_b64_e32 v[50:51], 0
	s_mov_b64 s[52:53], 0
	v_cndmask_b32_e64 v49, 0, 1, vcc
	v_cmp_gt_u32_e32 vcc, s84, v2
	s_waitcnt lgkmcnt(0)
	v_mov_b32_e32 v48, v8
	v_mov_b64_e32 v[52:53], v[50:51]
                                        ; implicit-def: $sgpr64_sgpr65
                                        ; implicit-def: $vgpr3
	s_and_saveexec_b64 s[50:51], vcc
	s_cbranch_execz .LBB2207_105
; %bb.102:
	v_add_u32_e32 v2, 21, v73
	v_cmp_ne_u32_e32 vcc, v7, v4
	v_mov_b32_e32 v50, v9
	v_mov_b64_e32 v[52:53], 0
	v_cndmask_b32_e64 v51, 0, 1, vcc
	v_cmp_gt_u32_e32 vcc, s84, v2
                                        ; implicit-def: $sgpr64_sgpr65
                                        ; implicit-def: $vgpr3
	s_and_saveexec_b64 s[0:1], vcc
	s_xor_b64 s[82:83], exec, s[0:1]
	s_cbranch_execz .LBB2207_104
; %bb.103:
	ds_read2_b32 v[2:3], v1 offset0:21 offset1:22
	v_add_u32_e32 v1, 22, v73
	v_cmp_ne_u32_e64 s[0:1], v4, v5
	v_cmp_ne_u32_e32 vcc, v5, v72
	s_and_b64 s[64:65], vcc, exec
	v_cndmask_b32_e64 v53, 0, 1, s[0:1]
	v_cmp_gt_u32_e64 s[0:1], s84, v1
	s_waitcnt lgkmcnt(0)
	v_mov_b32_e32 v52, v2
	s_and_b64 s[52:53], s[0:1], exec
.LBB2207_104:
	s_or_b64 exec, exec, s[82:83]
	s_and_b64 s[64:65], s[64:65], exec
	s_and_b64 s[0:1], s[52:53], exec
.LBB2207_105:
	s_or_b64 exec, exec, s[50:51]
	s_and_b64 s[52:53], s[64:65], exec
	s_and_b64 s[50:51], s[0:1], exec
.LBB2207_106:
	s_or_b64 exec, exec, s[48:49]
	s_and_b64 s[48:49], s[52:53], exec
	s_and_b64 s[0:1], s[50:51], exec
.LBB2207_107:
	s_or_b64 exec, exec, s[46:47]
	s_and_b64 s[48:49], s[48:49], exec
	s_and_b64 s[46:47], s[0:1], exec
.LBB2207_108:
	s_or_b64 exec, exec, s[44:45]
	s_and_b64 s[44:45], s[48:49], exec
	s_and_b64 s[0:1], s[46:47], exec
.LBB2207_109:
	s_or_b64 exec, exec, s[42:43]
	s_and_b64 s[44:45], s[44:45], exec
	s_and_b64 s[42:43], s[0:1], exec
.LBB2207_110:
	s_or_b64 exec, exec, s[40:41]
	s_and_b64 s[40:41], s[44:45], exec
	s_and_b64 s[0:1], s[42:43], exec
.LBB2207_111:
	s_or_b64 exec, exec, s[38:39]
	s_and_b64 s[40:41], s[40:41], exec
	s_and_b64 s[38:39], s[0:1], exec
.LBB2207_112:
	s_or_b64 exec, exec, s[36:37]
	s_and_b64 s[36:37], s[40:41], exec
	s_and_b64 s[0:1], s[38:39], exec
.LBB2207_113:
	s_or_b64 exec, exec, s[34:35]
	s_and_b64 s[36:37], s[36:37], exec
	s_and_b64 s[34:35], s[0:1], exec
.LBB2207_114:
	s_or_b64 exec, exec, s[30:31]
	s_and_b64 s[30:31], s[36:37], exec
	s_and_b64 s[0:1], s[34:35], exec
.LBB2207_115:
	s_or_b64 exec, exec, s[28:29]
	s_and_b64 s[30:31], s[30:31], exec
	s_and_b64 s[28:29], s[0:1], exec
.LBB2207_116:
	s_or_b64 exec, exec, s[26:27]
	s_and_b64 s[26:27], s[30:31], exec
	s_and_b64 s[0:1], s[28:29], exec
.LBB2207_117:
	s_or_b64 exec, exec, s[24:25]
	s_and_b64 s[26:27], s[26:27], exec
	s_and_b64 s[24:25], s[0:1], exec
.LBB2207_118:
	s_or_b64 exec, exec, s[22:23]
	s_and_b64 s[22:23], s[26:27], exec
	s_and_b64 s[0:1], s[24:25], exec
.LBB2207_119:
	s_or_b64 exec, exec, s[20:21]
	s_and_b64 s[22:23], s[22:23], exec
	s_and_b64 s[20:21], s[0:1], exec
.LBB2207_120:
	s_or_b64 exec, exec, s[18:19]
	s_and_b64 s[18:19], s[22:23], exec
	s_and_b64 s[0:1], s[20:21], exec
.LBB2207_121:
	s_or_b64 exec, exec, s[16:17]
	s_and_b64 s[18:19], s[18:19], exec
	s_and_b64 s[16:17], s[0:1], exec
.LBB2207_122:
	s_or_b64 exec, exec, s[14:15]
	s_and_b64 s[14:15], s[18:19], exec
	s_and_b64 s[0:1], s[16:17], exec
.LBB2207_123:
	s_or_b64 exec, exec, s[12:13]
	s_and_b64 s[14:15], s[14:15], exec
	s_and_b64 s[12:13], s[0:1], exec
.LBB2207_124:
	s_or_b64 exec, exec, s[10:11]
	s_and_b64 s[0:1], s[14:15], exec
	s_and_b64 s[10:11], s[12:13], exec
.LBB2207_125:
	s_or_b64 exec, exec, s[8:9]
	s_mov_b64 s[8:9], 0
	s_and_b64 vcc, exec, s[6:7]
	v_lshlrev_b32_e32 v54, 2, v0
	s_cbranch_vccnz .LBB2207_127
	s_branch .LBB2207_135
.LBB2207_126:
                                        ; implicit-def: $sgpr0_sgpr1
                                        ; implicit-def: $vgpr3
                                        ; implicit-def: $vgpr10_vgpr11
                                        ; implicit-def: $vgpr12_vgpr13
                                        ; implicit-def: $vgpr14_vgpr15
                                        ; implicit-def: $vgpr16_vgpr17
                                        ; implicit-def: $vgpr18_vgpr19
                                        ; implicit-def: $vgpr20_vgpr21
                                        ; implicit-def: $vgpr22_vgpr23
                                        ; implicit-def: $vgpr24_vgpr25
                                        ; implicit-def: $vgpr26_vgpr27
                                        ; implicit-def: $vgpr28_vgpr29
                                        ; implicit-def: $vgpr30_vgpr31
                                        ; implicit-def: $vgpr32_vgpr33
                                        ; implicit-def: $vgpr34_vgpr35
                                        ; implicit-def: $vgpr36_vgpr37
                                        ; implicit-def: $vgpr38_vgpr39
                                        ; implicit-def: $vgpr40_vgpr41
                                        ; implicit-def: $vgpr42_vgpr43
                                        ; implicit-def: $vgpr44_vgpr45
                                        ; implicit-def: $vgpr46_vgpr47
                                        ; implicit-def: $vgpr48_vgpr49
                                        ; implicit-def: $vgpr50_vgpr51
                                        ; implicit-def: $vgpr52_vgpr53
                                        ; implicit-def: $sgpr8_sgpr9
	s_and_b64 vcc, exec, s[6:7]
	v_lshlrev_b32_e32 v54, 2, v0
	s_cbranch_vccz .LBB2207_135
.LBB2207_127:
	v_mov_b32_e32 v55, 0
	v_lshl_add_u64 v[2:3], s[68:69], 0, v[54:55]
	v_add_co_u32_e32 v4, vcc, 0x1000, v2
	s_movk_i32 s0, 0x58
	s_nop 0
	v_addc_co_u32_e32 v5, vcc, 0, v3, vcc
	flat_load_dword v8, v[2:3]
	flat_load_dword v9, v[2:3] offset:1024
	s_waitcnt lgkmcnt(0)
	flat_load_dword v10, v[2:3] offset:2048
	flat_load_dword v11, v[2:3] offset:3072
	flat_load_dword v12, v[4:5]
	flat_load_dword v13, v[4:5] offset:1024
	flat_load_dword v14, v[4:5] offset:2048
	;; [unrolled: 1-line block ×3, first 2 shown]
	v_add_co_u32_e32 v4, vcc, 0x2000, v2
	v_mad_u32_u24 v1, v0, s0, v54
	s_nop 0
	v_addc_co_u32_e32 v5, vcc, 0, v3, vcc
	v_add_co_u32_e32 v6, vcc, 0x3000, v2
	s_cmp_eq_u64 s[80:81], 0
	s_nop 0
	v_addc_co_u32_e32 v7, vcc, 0, v3, vcc
	flat_load_dword v16, v[4:5]
	flat_load_dword v17, v[4:5] offset:1024
	flat_load_dword v18, v[4:5] offset:2048
	flat_load_dword v19, v[4:5] offset:3072
	flat_load_dword v20, v[6:7]
	flat_load_dword v21, v[6:7] offset:1024
	flat_load_dword v22, v[6:7] offset:2048
	;; [unrolled: 1-line block ×3, first 2 shown]
	v_add_co_u32_e32 v4, vcc, 0x4000, v2
	s_nop 1
	v_addc_co_u32_e32 v5, vcc, 0, v3, vcc
	v_add_co_u32_e32 v2, vcc, 0x5000, v2
	s_nop 1
	v_addc_co_u32_e32 v3, vcc, 0, v3, vcc
	flat_load_dword v6, v[4:5]
	flat_load_dword v7, v[4:5] offset:1024
	flat_load_dword v24, v[4:5] offset:2048
	;; [unrolled: 1-line block ×3, first 2 shown]
	flat_load_dword v26, v[2:3]
	flat_load_dword v27, v[2:3] offset:1024
	flat_load_dword v28, v[2:3] offset:2048
	s_waitcnt vmcnt(0)
	ds_write2st64_b32 v54, v8, v9 offset1:4
	s_waitcnt lgkmcnt(0)
	ds_write2st64_b32 v54, v10, v11 offset0:8 offset1:12
	ds_write2st64_b32 v54, v12, v13 offset0:16 offset1:20
	ds_write2st64_b32 v54, v14, v15 offset0:24 offset1:28
	ds_write2st64_b32 v54, v16, v17 offset0:32 offset1:36
	ds_write2st64_b32 v54, v18, v19 offset0:40 offset1:44
	ds_write2st64_b32 v54, v20, v21 offset0:48 offset1:52
	ds_write2st64_b32 v54, v22, v23 offset0:56 offset1:60
	ds_write2st64_b32 v54, v6, v7 offset0:64 offset1:68
	ds_write2st64_b32 v54, v24, v25 offset0:72 offset1:76
	ds_write2st64_b32 v54, v26, v27 offset0:80 offset1:84
	ds_write_b32 v54, v28 offset:22528
	s_waitcnt lgkmcnt(0)
	s_barrier
	ds_read2_b32 v[2:3], v1 offset1:1
	ds_read2_b32 v[18:19], v1 offset0:2 offset1:3
	ds_read2_b32 v[22:23], v1 offset0:4 offset1:5
	;; [unrolled: 1-line block ×10, first 2 shown]
	ds_read_b32 v10, v1 offset:88
	s_cbranch_scc1 .LBB2207_132
; %bb.128:
	s_andn2_b64 vcc, exec, s[78:79]
	s_cbranch_vccnz .LBB2207_272
; %bb.129:
	s_lshl_b64 s[0:1], s[80:81], 2
	s_add_u32 s0, s70, s0
	s_addc_u32 s1, s71, s1
	s_add_u32 s0, s0, -4
	s_addc_u32 s1, s1, -1
	s_cbranch_execnz .LBB2207_131
.LBB2207_130:
	s_add_u32 s0, s68, -4
	s_addc_u32 s1, s69, -1
.LBB2207_131:
	s_mov_b64 s[68:69], s[0:1]
.LBB2207_132:
	v_mov_b64_e32 v[12:13], s[68:69]
	flat_load_dword v11, v[12:13]
	s_movk_i32 s0, 0xffa8
	v_mad_i32_i24 v12, v0, s0, v1
	s_waitcnt lgkmcnt(0)
	ds_write_b32 v12, v10 offset:23552
	s_waitcnt lgkmcnt(0)
	s_barrier
	s_and_saveexec_b64 s[0:1], s[4:5]
	s_cbranch_execz .LBB2207_134
; %bb.133:
	s_waitcnt vmcnt(0)
	v_mul_i32_i24_e32 v11, 0xffffffa8, v0
	v_add_u32_e32 v11, v1, v11
	ds_read_b32 v11, v11 offset:23548
.LBB2207_134:
	s_or_b64 exec, exec, s[0:1]
	v_mov_b32_e32 v55, 0
	v_lshl_add_u64 v[12:13], s[60:61], 0, v[54:55]
	s_movk_i32 s0, 0x1000
	v_add_co_u32_e32 v14, vcc, s0, v12
	s_movk_i32 s0, 0x2000
	s_nop 0
	v_addc_co_u32_e32 v15, vcc, 0, v13, vcc
	s_waitcnt lgkmcnt(0)
	s_barrier
	flat_load_dword v20, v[12:13]
	flat_load_dword v21, v[12:13] offset:1024
	flat_load_dword v24, v[12:13] offset:2048
	;; [unrolled: 1-line block ×3, first 2 shown]
	flat_load_dword v28, v[14:15]
	flat_load_dword v29, v[14:15] offset:1024
	flat_load_dword v32, v[14:15] offset:2048
	;; [unrolled: 1-line block ×3, first 2 shown]
	v_add_co_u32_e32 v14, vcc, s0, v12
	s_movk_i32 s0, 0x3000
	s_nop 0
	v_addc_co_u32_e32 v15, vcc, 0, v13, vcc
	v_add_co_u32_e32 v16, vcc, s0, v12
	s_movk_i32 s0, 0x4000
	s_nop 0
	v_addc_co_u32_e32 v17, vcc, 0, v13, vcc
	flat_load_dword v36, v[14:15]
	flat_load_dword v37, v[14:15] offset:1024
	flat_load_dword v40, v[14:15] offset:2048
	flat_load_dword v41, v[14:15] offset:3072
	flat_load_dword v44, v[16:17]
	flat_load_dword v45, v[16:17] offset:1024
	flat_load_dword v46, v[16:17] offset:2048
	;; [unrolled: 1-line block ×3, first 2 shown]
	v_add_co_u32_e32 v14, vcc, s0, v12
	s_movk_i32 s0, 0x5000
	s_nop 0
	v_addc_co_u32_e32 v15, vcc, 0, v13, vcc
	v_add_co_u32_e32 v12, vcc, s0, v12
	v_cmp_ne_u32_e64 s[0:1], v5, v10
	s_nop 0
	v_addc_co_u32_e32 v13, vcc, 0, v13, vcc
	flat_load_dword v16, v[14:15]
	flat_load_dword v17, v[14:15] offset:1024
	flat_load_dword v48, v[14:15] offset:2048
	;; [unrolled: 1-line block ×3, first 2 shown]
	flat_load_dword v50, v[12:13]
	flat_load_dword v51, v[12:13] offset:1024
	flat_load_dword v52, v[12:13] offset:2048
	s_waitcnt vmcnt(0)
	v_cmp_ne_u32_e32 vcc, v11, v2
	s_mov_b64 s[10:11], -1
                                        ; implicit-def: $sgpr8_sgpr9
	s_waitcnt lgkmcnt(0)
	ds_write2st64_b32 v54, v20, v21 offset1:4
	ds_write2st64_b32 v54, v24, v25 offset0:8 offset1:12
	ds_write2st64_b32 v54, v28, v29 offset0:16 offset1:20
	;; [unrolled: 1-line block ×10, first 2 shown]
	ds_write_b32 v54, v52 offset:22528
	v_cndmask_b32_e64 v11, 0, 1, vcc
	v_cmp_ne_u32_e32 vcc, v2, v3
	s_waitcnt lgkmcnt(0)
	s_barrier
	v_cndmask_b32_e64 v13, 0, 1, vcc
	v_cmp_ne_u32_e32 vcc, v3, v18
	ds_read2_b32 v[16:17], v1 offset1:1
	ds_read2_b32 v[20:21], v1 offset0:2 offset1:3
	ds_read2_b32 v[24:25], v1 offset0:4 offset1:5
	;; [unrolled: 1-line block ×10, first 2 shown]
	ds_read_b32 v3, v1 offset:88
	v_cndmask_b32_e64 v15, 0, 1, vcc
	v_cmp_ne_u32_e32 vcc, v18, v19
	s_waitcnt lgkmcnt(11)
	v_mov_b32_e32 v12, v17
	v_mov_b32_e32 v10, v16
	v_cndmask_b32_e64 v17, 0, 1, vcc
	v_cmp_ne_u32_e32 vcc, v19, v22
	s_waitcnt lgkmcnt(10)
	v_mov_b32_e32 v16, v21
	v_mov_b32_e32 v14, v20
	;; [unrolled: 5-line block ×5, first 2 shown]
	v_cndmask_b32_e64 v25, 0, 1, vcc
	v_cmp_ne_u32_e32 vcc, v27, v30
	s_waitcnt lgkmcnt(6)
	v_mov_b32_e32 v32, v37
	s_waitcnt lgkmcnt(2)
	v_mov_b32_e32 v48, v51
	v_cndmask_b32_e64 v27, 0, 1, vcc
	v_cmp_ne_u32_e32 vcc, v30, v31
	v_mov_b32_e32 v30, v36
	v_mov_b32_e32 v36, v41
	v_cndmask_b32_e64 v29, 0, 1, vcc
	v_cmp_ne_u32_e32 vcc, v31, v34
	s_waitcnt lgkmcnt(1)
	v_mov_b32_e32 v52, v57
	v_cndmask_b32_e64 v31, 0, 1, vcc
	v_cmp_ne_u32_e32 vcc, v34, v35
	v_mov_b32_e32 v34, v40
	v_mov_b32_e32 v40, v45
	v_cndmask_b32_e64 v33, 0, 1, vcc
	v_cmp_ne_u32_e32 vcc, v35, v38
	s_nop 1
	v_cndmask_b32_e64 v35, 0, 1, vcc
	v_cmp_ne_u32_e32 vcc, v38, v39
	v_mov_b32_e32 v38, v44
	v_mov_b32_e32 v44, v47
	v_cndmask_b32_e64 v37, 0, 1, vcc
	v_cmp_ne_u32_e32 vcc, v39, v42
	s_nop 1
	v_cndmask_b32_e64 v39, 0, 1, vcc
	v_cmp_ne_u32_e32 vcc, v42, v43
	v_mov_b32_e32 v42, v46
	v_mov_b32_e32 v46, v50
	v_cndmask_b32_e64 v41, 0, 1, vcc
	v_cmp_ne_u32_e32 vcc, v43, v8
	v_mov_b32_e32 v50, v56
	s_nop 0
	v_cndmask_b32_e64 v43, 0, 1, vcc
	v_cmp_ne_u32_e32 vcc, v8, v9
	s_nop 1
	v_cndmask_b32_e64 v45, 0, 1, vcc
	v_cmp_ne_u32_e32 vcc, v9, v6
	;; [unrolled: 3-line block ×5, first 2 shown]
	s_nop 1
	v_cndmask_b32_e64 v53, 0, 1, vcc
.LBB2207_135:
	v_mov_b64_e32 v[56:57], s[8:9]
	s_and_saveexec_b64 s[6:7], s[10:11]
	s_cbranch_execz .LBB2207_137
; %bb.136:
	v_cndmask_b32_e64 v57, 0, 1, s[0:1]
	s_waitcnt lgkmcnt(0)
	v_mov_b32_e32 v56, v3
.LBB2207_137:
	s_or_b64 exec, exec, s[6:7]
	s_mov_b32 s0, 0
	s_cmp_lg_u32 s75, 0
	v_or_b32_e32 v55, v57, v53
	v_lshrrev_b32_e32 v1, 5, v0
	v_cmp_gt_u32_e32 vcc, 64, v0
	s_waitcnt lgkmcnt(0)
	s_barrier
	s_cbranch_scc0 .LBB2207_176
; %bb.138:
	s_mov_b32 s1, 1
	v_cmp_gt_u64_e64 s[6:7], s[0:1], v[12:13]
	v_cmp_gt_u64_e64 s[8:9], s[0:1], v[14:15]
	v_cmp_gt_u64_e64 s[10:11], s[0:1], v[16:17]
	v_cndmask_b32_e64 v2, 0, v10, s[6:7]
	v_add_u32_e32 v2, v2, v12
	v_cndmask_b32_e64 v2, 0, v2, s[8:9]
	v_add_u32_e32 v2, v2, v14
	v_cndmask_b32_e64 v2, 0, v2, s[10:11]
	v_add_u32_e32 v2, v2, v16
	v_cmp_gt_u64_e64 s[12:13], s[0:1], v[18:19]
	v_cmp_gt_u64_e64 s[14:15], s[0:1], v[20:21]
	v_cmp_gt_u64_e64 s[16:17], s[0:1], v[22:23]
	v_cndmask_b32_e64 v2, 0, v2, s[12:13]
	v_add_u32_e32 v2, v2, v18
	v_cndmask_b32_e64 v2, 0, v2, s[14:15]
	v_add_u32_e32 v2, v2, v20
	v_cndmask_b32_e64 v2, 0, v2, s[16:17]
	v_add_u32_e32 v2, v2, v22
	;; [unrolled: 9-line block ×7, first 2 shown]
	v_cmp_gt_u64_e64 s[50:51], s[0:1], v[56:57]
	s_nop 1
	v_cndmask_b32_e64 v2, 0, v2, s[50:51]
	v_add_u32_e32 v62, v2, v56
	v_or3_b32 v2, v55, v51, v49
	v_or3_b32 v2, v2, v47, v45
	;; [unrolled: 1-line block ×10, first 2 shown]
	v_and_b32_e32 v2, 1, v2
	v_cmp_eq_u32_e64 s[0:1], 1, v2
	v_add_lshl_u32 v2, v1, v0, 3
	s_nop 0
	v_cndmask_b32_e64 v63, v11, 1, s[0:1]
	ds_write_b32 v2, v62
	ds_write_b8 v2, v63 offset:4
	s_waitcnt lgkmcnt(0)
	s_barrier
	s_and_saveexec_b64 s[52:53], vcc
	s_cbranch_execz .LBB2207_150
; %bb.139:
	v_lshrrev_b32_e32 v2, 3, v0
	v_add_lshl_u32 v4, v2, v54, 3
	ds_read2_b32 v[6:7], v4 offset0:2 offset1:4
	ds_read_b64 v[2:3], v4
	ds_read_u8 v8, v4 offset:12
	ds_read_u8 v9, v4 offset:20
	ds_read_b32 v58, v4 offset:24
	ds_read_u8 v59, v4 offset:28
	v_mov_b32_e32 v60, 0
	s_waitcnt lgkmcnt(3)
	v_cmp_eq_u16_sdwa s[0:1], v8, v60 src0_sel:BYTE_0 src1_sel:DWORD
	v_and_b32_e32 v5, 1, v3
	s_nop 0
	v_cndmask_b32_e64 v61, 0, v2, s[0:1]
	v_add_u32_e32 v6, v61, v6
	s_waitcnt lgkmcnt(2)
	v_cmp_eq_u16_sdwa s[0:1], v9, v60 src0_sel:BYTE_0 src1_sel:DWORD
	s_nop 1
	v_cndmask_b32_e64 v6, 0, v6, s[0:1]
	v_add_u32_e32 v6, v6, v7
	s_waitcnt lgkmcnt(0)
	v_cmp_eq_u16_e64 s[0:1], 0, v59
	s_nop 1
	v_cndmask_b32_e64 v6, 0, v6, s[0:1]
	v_add_u32_e32 v7, v6, v58
	v_or_b32_e32 v6, v59, v9
	v_or_b32_e32 v6, v6, v8
	v_and_b32_e32 v6, 1, v6
	v_cmp_eq_u32_e64 s[0:1], 1, v6
	v_mbcnt_lo_u32_b32 v8, -1, 0
	v_and_b32_e32 v6, 0xffffff00, v3
	v_cndmask_b32_e64 v9, v5, 1, s[0:1]
	v_mbcnt_hi_u32_b32 v8, -1, v8
	v_and_b32_e32 v59, 15, v8
	v_or_b32_sdwa v58, v6, v9 dst_sel:DWORD dst_unused:UNUSED_PAD src0_sel:DWORD src1_sel:WORD_0
	v_mov_b32_dpp v60, v7 row_shr:1 row_mask:0xf bank_mask:0xf
	v_cmp_ne_u32_e64 s[0:1], 0, v59
	v_mov_b32_dpp v61, v58 row_shr:1 row_mask:0xf bank_mask:0xf
	s_and_saveexec_b64 s[60:61], s[0:1]
; %bb.140:
	v_and_b32_e32 v58, 1, v9
	v_and_b32_e32 v61, 1, v61
	v_cmp_eq_u32_e64 s[0:1], 1, v58
	s_nop 1
	v_cndmask_b32_e64 v61, v61, 1, s[0:1]
	v_cmp_eq_u16_e64 s[0:1], 0, v9
	v_or_b32_sdwa v58, v6, v61 dst_sel:DWORD dst_unused:UNUSED_PAD src0_sel:DWORD src1_sel:WORD_0
	s_nop 0
	v_cndmask_b32_e64 v9, 0, v60, s[0:1]
	v_add_u32_e32 v7, v9, v7
	v_mov_b32_e32 v9, v61
; %bb.141:
	s_or_b64 exec, exec, s[60:61]
	v_mov_b32_dpp v60, v7 row_shr:2 row_mask:0xf bank_mask:0xf
	v_mov_b32_dpp v61, v58 row_shr:2 row_mask:0xf bank_mask:0xf
	v_cmp_lt_u32_e64 s[0:1], 1, v59
	s_and_saveexec_b64 s[60:61], s[0:1]
; %bb.142:
	v_and_b32_e32 v58, 1, v9
	v_and_b32_e32 v61, 1, v61
	v_cmp_eq_u32_e64 s[0:1], 1, v58
	s_nop 1
	v_cndmask_b32_e64 v61, v61, 1, s[0:1]
	v_cmp_eq_u16_e64 s[0:1], 0, v9
	v_or_b32_sdwa v58, v6, v61 dst_sel:DWORD dst_unused:UNUSED_PAD src0_sel:DWORD src1_sel:WORD_0
	s_nop 0
	v_cndmask_b32_e64 v9, 0, v60, s[0:1]
	v_add_u32_e32 v7, v9, v7
	v_mov_b32_e32 v9, v61
; %bb.143:
	s_or_b64 exec, exec, s[60:61]
	v_mov_b32_dpp v60, v7 row_shr:4 row_mask:0xf bank_mask:0xf
	v_mov_b32_dpp v61, v58 row_shr:4 row_mask:0xf bank_mask:0xf
	v_cmp_lt_u32_e64 s[0:1], 3, v59
	;; [unrolled: 18-line block ×3, first 2 shown]
	s_and_saveexec_b64 s[60:61], s[0:1]
; %bb.146:
	v_and_b32_e32 v58, 1, v9
	v_and_b32_e32 v59, 1, v61
	v_cmp_eq_u32_e64 s[0:1], 1, v58
	s_nop 1
	v_cndmask_b32_e64 v59, v59, 1, s[0:1]
	v_cmp_eq_u16_e64 s[0:1], 0, v9
	v_or_b32_sdwa v58, v6, v59 dst_sel:DWORD dst_unused:UNUSED_PAD src0_sel:DWORD src1_sel:WORD_0
	s_nop 0
	v_cndmask_b32_e64 v9, 0, v60, s[0:1]
	v_add_u32_e32 v7, v9, v7
	v_mov_b32_e32 v9, v59
; %bb.147:
	s_or_b64 exec, exec, s[60:61]
	v_and_b32_e32 v61, 16, v8
	v_mov_b32_dpp v59, v7 row_bcast:15 row_mask:0xf bank_mask:0xf
	v_mov_b32_dpp v60, v58 row_bcast:15 row_mask:0xf bank_mask:0xf
	v_cmp_ne_u32_e64 s[0:1], 0, v61
	s_and_saveexec_b64 s[60:61], s[0:1]
; %bb.148:
	v_and_b32_e32 v58, 1, v9
	v_and_b32_e32 v60, 1, v60
	v_cmp_eq_u32_e64 s[0:1], 1, v58
	s_nop 1
	v_cndmask_b32_e64 v60, v60, 1, s[0:1]
	v_cmp_eq_u16_e64 s[0:1], 0, v9
	v_or_b32_sdwa v58, v6, v60 dst_sel:DWORD dst_unused:UNUSED_PAD src0_sel:DWORD src1_sel:WORD_0
	s_nop 0
	v_cndmask_b32_e64 v9, 0, v59, s[0:1]
	v_add_u32_e32 v7, v9, v7
	v_mov_b32_e32 v9, v60
; %bb.149:
	s_or_b64 exec, exec, s[60:61]
	v_mov_b32_dpp v58, v58 row_bcast:31 row_mask:0xf bank_mask:0xf
	v_and_b32_e32 v60, 1, v9
	v_and_b32_e32 v58, 1, v58
	v_cmp_eq_u32_e64 s[0:1], 1, v60
	v_mov_b32_e32 v60, 0
	v_cmp_eq_u16_sdwa s[60:61], v9, v60 src0_sel:BYTE_0 src1_sel:DWORD
	v_cndmask_b32_e64 v58, v58, 1, s[0:1]
	v_cmp_lt_u32_e64 s[0:1], 31, v8
	v_mov_b32_dpp v59, v7 row_bcast:31 row_mask:0xf bank_mask:0xf
	s_movk_i32 s64, 0xff
	v_cndmask_b32_e64 v9, v9, v58, s[0:1]
	s_and_b64 s[0:1], s[0:1], s[60:61]
	v_cndmask_b32_e64 v58, 0, v59, s[0:1]
	v_add_u32_e32 v7, v58, v7
	v_add_u32_e32 v58, -1, v8
	v_and_b32_e32 v59, 64, v8
	v_cmp_lt_i32_e64 s[0:1], v58, v59
	v_and_or_b32 v6, v9, s64, v6
	s_nop 0
	v_cndmask_b32_e64 v8, v58, v8, s[0:1]
	v_lshlrev_b32_e32 v8, 2, v8
	ds_bpermute_b32 v7, v8, v7
	ds_bpermute_b32 v6, v8, v6
	v_cmp_eq_u16_sdwa s[0:1], v3, v60 src0_sel:BYTE_0 src1_sel:DWORD
	; wave barrier
	s_waitcnt lgkmcnt(1)
	s_nop 0
	v_cndmask_b32_e64 v3, 0, v7, s[0:1]
	v_add_u32_e32 v2, v3, v2
	s_waitcnt lgkmcnt(0)
	v_and_b32_e32 v3, 1, v6
	v_cmp_eq_u32_e64 s[0:1], 1, v5
	v_cndmask_b32_e64 v5, v2, v62, s[54:55]
	s_nop 0
	v_cndmask_b32_e64 v3, v3, 1, s[0:1]
	v_cndmask_b32_e64 v6, v3, v63, s[54:55]
	ds_write_b32 v4, v5
	ds_write_b8 v4, v6 offset:4
	; wave barrier
	ds_read_u8 v7, v4 offset:12
	ds_read2_b32 v[2:3], v4 offset0:2 offset1:4
	ds_read_u8 v8, v4 offset:20
	ds_read_b32 v9, v4 offset:24
	ds_read_u8 v58, v4 offset:28
	s_waitcnt lgkmcnt(4)
	v_cmp_eq_u16_e64 s[0:1], 0, v7
	s_nop 1
	v_cndmask_b32_e64 v5, 0, v5, s[0:1]
	s_waitcnt lgkmcnt(3)
	v_add_u32_e32 v2, v5, v2
	v_and_b32_e32 v5, 1, v7
	v_cmp_eq_u32_e64 s[0:1], 1, v5
	s_nop 1
	v_cndmask_b32_e64 v5, v6, 1, s[0:1]
	s_waitcnt lgkmcnt(2)
	v_cmp_eq_u16_e64 s[0:1], 0, v8
	ds_write_b8 v4, v5 offset:12
	s_nop 0
	v_cndmask_b32_e64 v6, 0, v2, s[0:1]
	v_add_u32_e32 v3, v6, v3
	v_and_b32_e32 v6, 1, v8
	v_cmp_eq_u32_e64 s[0:1], 1, v6
	s_nop 1
	v_cndmask_b32_e64 v5, v5, 1, s[0:1]
	s_waitcnt lgkmcnt(1)
	v_cmp_eq_u16_e64 s[0:1], 0, v58
	ds_write2_b32 v4, v2, v3 offset0:2 offset1:4
	ds_write_b8 v4, v5 offset:20
	v_cndmask_b32_e64 v2, 0, v3, s[0:1]
	v_and_b32_e32 v3, 1, v58
	v_add_u32_e32 v2, v2, v9
	v_cmp_eq_u32_e64 s[0:1], 1, v3
	s_nop 1
	v_cndmask_b32_e64 v3, v5, 1, s[0:1]
	ds_write_b32 v4, v2 offset:24
	ds_write_b8 v4, v3 offset:28
.LBB2207_150:
	s_or_b64 exec, exec, s[52:53]
	s_waitcnt lgkmcnt(0)
	s_barrier
	s_and_saveexec_b64 s[0:1], s[4:5]
	s_cbranch_execz .LBB2207_152
; %bb.151:
	v_add_u32_e32 v2, -1, v0
	v_lshrrev_b32_e32 v3, 5, v2
	v_add_lshl_u32 v2, v3, v2, 3
	ds_read_b32 v62, v2
	ds_read_u8 v63, v2 offset:4
.LBB2207_152:
	s_or_b64 exec, exec, s[0:1]
	s_and_saveexec_b64 s[60:61], vcc
	s_cbranch_execz .LBB2207_175
; %bb.153:
	v_mov_b32_e32 v5, 0
	ds_read_b64 v[2:3], v5 offset:2096
	v_mbcnt_lo_u32_b32 v4, -1, 0
	v_mbcnt_hi_u32_b32 v73, -1, v4
	s_mov_b32 s65, 0
	v_cmp_eq_u32_e64 s[52:53], 0, v73
	s_waitcnt lgkmcnt(0)
	v_readfirstlane_b32 s70, v3
	s_and_saveexec_b64 s[0:1], s[52:53]
	s_cbranch_execz .LBB2207_155
; %bb.154:
	s_add_i32 s64, s75, 64
	s_lshl_b64 s[68:69], s[64:65], 4
	s_add_u32 s68, s72, s68
	s_addc_u32 s69, s73, s69
	s_and_b32 s79, s70, 0xff000000
	s_mov_b32 s78, s65
	s_and_b32 s81, s70, 0xff0000
	s_mov_b32 s80, s65
	s_or_b64 s[78:79], s[80:81], s[78:79]
	s_and_b32 s81, s70, 0xff00
	s_or_b64 s[78:79], s[78:79], s[80:81]
	s_and_b32 s81, s70, 0xff
	s_or_b64 s[64:65], s[78:79], s[80:81]
	v_mov_b32_e32 v3, s65
	v_mov_b32_e32 v4, 1
	v_mov_b64_e32 v[6:7], s[68:69]
	;;#ASMSTART
	global_store_dwordx4 v[6:7], v[2:5] off sc1	
s_waitcnt vmcnt(0)
	;;#ASMEND
.LBB2207_155:
	s_or_b64 exec, exec, s[0:1]
	v_xad_u32 v58, v73, -1, s75
	v_add_u32_e32 v4, 64, v58
	v_lshl_add_u64 v[60:61], v[4:5], 4, s[72:73]
	;;#ASMSTART
	global_load_dwordx4 v[6:9], v[60:61] off sc1	
s_waitcnt vmcnt(0)
	;;#ASMEND
	s_nop 0
	v_and_b32_e32 v3, 0xff0000, v6
	v_and_b32_e32 v4, 0xff000000, v6
	;; [unrolled: 1-line block ×3, first 2 shown]
	v_or_b32_sdwa v3, v6, v3 dst_sel:DWORD dst_unused:UNUSED_PAD src0_sel:WORD_0 src1_sel:DWORD
	v_or3_b32 v7, 0, 0, v7
	v_or3_b32 v6, v3, v4, 0
	v_cmp_eq_u16_sdwa s[64:65], v8, v5 src0_sel:BYTE_0 src1_sel:DWORD
	s_and_saveexec_b64 s[0:1], s[64:65]
	s_cbranch_execz .LBB2207_161
; %bb.156:
	s_mov_b32 s68, 1
	s_mov_b64 s[64:65], 0
	v_mov_b32_e32 v3, 0
.LBB2207_157:                           ; =>This Loop Header: Depth=1
                                        ;     Child Loop BB2207_158 Depth 2
	s_max_u32 s69, s68, 1
.LBB2207_158:                           ;   Parent Loop BB2207_157 Depth=1
                                        ; =>  This Inner Loop Header: Depth=2
	s_add_i32 s69, s69, -1
	s_cmp_eq_u32 s69, 0
	s_sleep 1
	s_cbranch_scc0 .LBB2207_158
; %bb.159:                              ;   in Loop: Header=BB2207_157 Depth=1
	s_cmp_lt_u32 s68, 32
	s_cselect_b64 s[78:79], -1, 0
	s_cmp_lg_u64 s[78:79], 0
	s_addc_u32 s68, s68, 0
	;;#ASMSTART
	global_load_dwordx4 v[6:9], v[60:61] off sc1	
s_waitcnt vmcnt(0)
	;;#ASMEND
	s_nop 0
	v_cmp_ne_u16_sdwa s[78:79], v8, v3 src0_sel:BYTE_0 src1_sel:DWORD
	s_or_b64 s[64:65], s[78:79], s[64:65]
	s_andn2_b64 exec, exec, s[64:65]
	s_cbranch_execnz .LBB2207_157
; %bb.160:
	s_or_b64 exec, exec, s[64:65]
	v_and_b32_e32 v7, 0xff, v7
.LBB2207_161:
	s_or_b64 exec, exec, s[0:1]
	v_mov_b32_e32 v3, 2
	v_cmp_eq_u16_sdwa s[0:1], v8, v3 src0_sel:BYTE_0 src1_sel:DWORD
	v_lshlrev_b64 v[4:5], v73, -1
	v_and_b32_e32 v64, 63, v73
	v_and_b32_e32 v9, s1, v5
	v_or_b32_e32 v9, 0x80000000, v9
	v_and_b32_e32 v59, s0, v4
	v_ffbl_b32_e32 v9, v9
	v_add_u32_e32 v9, 32, v9
	v_ffbl_b32_e32 v59, v59
	v_cmp_ne_u32_e32 vcc, 63, v64
	v_min_u32_e32 v9, v59, v9
	s_mov_b32 s64, 0
	v_addc_co_u32_e32 v59, vcc, 0, v73, vcc
	v_lshlrev_b32_e32 v65, 2, v59
	ds_bpermute_b32 v59, v65, v7
	ds_bpermute_b32 v60, v65, v6
	v_and_b32_e32 v61, 1, v7
	s_mov_b32 s65, 1
	v_cmp_eq_u32_e32 vcc, 1, v61
	s_waitcnt lgkmcnt(1)
	v_and_b32_e32 v59, 1, v59
	v_cmp_lt_u32_e64 s[0:1], v64, v9
	v_cndmask_b32_e64 v59, v59, 1, vcc
	v_cmp_gt_u64_e32 vcc, s[64:65], v[6:7]
	s_and_b64 vcc, s[0:1], vcc
	v_and_b32_e32 v61, 0xffff, v59
	v_cndmask_b32_e64 v68, v7, v59, s[0:1]
	s_waitcnt lgkmcnt(0)
	v_cndmask_b32_e32 v59, 0, v60, vcc
	v_cmp_gt_u32_e32 vcc, 62, v64
	v_cndmask_b32_e64 v7, v7, v61, s[0:1]
	v_add_u32_e32 v6, v59, v6
	v_cndmask_b32_e64 v60, 0, 1, vcc
	v_lshlrev_b32_e32 v60, 1, v60
	v_add_lshl_u32 v66, v60, v73, 2
	ds_bpermute_b32 v60, v66, v7
	ds_bpermute_b32 v61, v66, v6
	v_and_b32_e32 v59, 1, v68
	v_cmp_eq_u32_e32 vcc, 1, v59
	v_mov_b32_e32 v59, 0
	s_waitcnt lgkmcnt(1)
	v_and_b32_e32 v60, 1, v60
	v_add_u32_e32 v67, 2, v64
	v_cndmask_b32_e64 v60, v60, 1, vcc
	v_cmp_eq_u16_sdwa vcc, v68, v59 src0_sel:BYTE_0 src1_sel:DWORD
	v_and_b32_e32 v69, 0xffff, v60
	v_add_u32_e32 v77, 32, v64
	s_waitcnt lgkmcnt(0)
	v_cndmask_b32_e32 v61, 0, v61, vcc
	v_cmp_gt_u32_e32 vcc, v67, v9
	s_nop 1
	v_cndmask_b32_e32 v60, v60, v68, vcc
	v_cndmask_b32_e64 v61, v61, 0, vcc
	v_cndmask_b32_e32 v7, v69, v7, vcc
	v_cmp_gt_u32_e32 vcc, 60, v64
	v_add_u32_e32 v6, v61, v6
	v_and_b32_e32 v71, 1, v60
	v_cndmask_b32_e64 v68, 0, 1, vcc
	v_lshlrev_b32_e32 v68, 2, v68
	v_add_lshl_u32 v68, v68, v73, 2
	ds_bpermute_b32 v70, v68, v7
	ds_bpermute_b32 v61, v68, v6
	v_cmp_eq_u32_e32 vcc, 1, v71
	v_add_u32_e32 v69, 4, v64
	s_waitcnt lgkmcnt(1)
	v_and_b32_e32 v70, 1, v70
	v_cndmask_b32_e64 v70, v70, 1, vcc
	v_cmp_eq_u16_sdwa vcc, v60, v59 src0_sel:BYTE_0 src1_sel:DWORD
	v_and_b32_e32 v71, 0xffff, v70
	s_waitcnt lgkmcnt(0)
	v_cndmask_b32_e32 v61, 0, v61, vcc
	v_cmp_gt_u32_e32 vcc, v69, v9
	s_nop 1
	v_cndmask_b32_e32 v60, v70, v60, vcc
	v_cndmask_b32_e64 v61, v61, 0, vcc
	v_cndmask_b32_e32 v7, v71, v7, vcc
	v_cmp_gt_u32_e32 vcc, 56, v64
	v_add_u32_e32 v6, v61, v6
	v_and_b32_e32 v74, 1, v60
	v_cndmask_b32_e64 v70, 0, 1, vcc
	v_lshlrev_b32_e32 v70, 3, v70
	v_add_lshl_u32 v70, v70, v73, 2
	ds_bpermute_b32 v72, v70, v7
	ds_bpermute_b32 v61, v70, v6
	v_cmp_eq_u32_e32 vcc, 1, v74
	v_add_u32_e32 v71, 8, v64
	s_waitcnt lgkmcnt(1)
	v_and_b32_e32 v72, 1, v72
	v_cndmask_b32_e64 v72, v72, 1, vcc
	v_cmp_eq_u16_sdwa vcc, v60, v59 src0_sel:BYTE_0 src1_sel:DWORD
	v_and_b32_e32 v74, 0xffff, v72
	;; [unrolled: 22-line block ×3, first 2 shown]
	s_waitcnt lgkmcnt(0)
	v_cndmask_b32_e32 v61, 0, v61, vcc
	v_cmp_gt_u32_e32 vcc, v74, v9
	s_nop 1
	v_cndmask_b32_e32 v60, v75, v60, vcc
	v_cndmask_b32_e64 v61, v61, 0, vcc
	v_cndmask_b32_e32 v7, v76, v7, vcc
	v_cmp_gt_u32_e32 vcc, 32, v64
	v_add_u32_e32 v6, v61, v6
	s_nop 0
	v_cndmask_b32_e64 v75, 0, 1, vcc
	v_lshlrev_b32_e32 v75, 5, v75
	v_add_lshl_u32 v76, v75, v73, 2
	ds_bpermute_b32 v7, v76, v7
	ds_bpermute_b32 v61, v76, v6
	v_and_b32_e32 v73, 1, v60
	v_cmp_eq_u32_e32 vcc, 1, v73
	s_waitcnt lgkmcnt(1)
	v_and_b32_e32 v7, 1, v7
	v_cndmask_b32_e64 v7, v7, 1, vcc
	v_cmp_eq_u16_sdwa vcc, v60, v59 src0_sel:BYTE_0 src1_sel:DWORD
	s_waitcnt lgkmcnt(0)
	s_nop 0
	v_cndmask_b32_e32 v61, 0, v61, vcc
	v_cmp_gt_u32_e32 vcc, v77, v9
	s_nop 1
	v_cndmask_b32_e64 v9, v61, 0, vcc
	v_cndmask_b32_e32 v7, v7, v60, vcc
	v_add_u32_e32 v6, v9, v6
	s_branch .LBB2207_163
.LBB2207_162:                           ;   in Loop: Header=BB2207_163 Depth=1
	s_or_b64 exec, exec, s[0:1]
	v_cmp_eq_u16_sdwa s[0:1], v8, v3 src0_sel:BYTE_0 src1_sel:DWORD
	ds_bpermute_b32 v61, v65, v7
	v_and_b32_e32 v78, 1, v7
	v_and_b32_e32 v9, s1, v5
	v_or_b32_e32 v9, 0x80000000, v9
	v_and_b32_e32 v60, s0, v4
	v_ffbl_b32_e32 v9, v9
	v_add_u32_e32 v9, 32, v9
	v_ffbl_b32_e32 v60, v60
	v_min_u32_e32 v9, v60, v9
	ds_bpermute_b32 v60, v65, v6
	s_waitcnt lgkmcnt(1)
	v_and_b32_e32 v61, 1, v61
	v_cmp_eq_u32_e32 vcc, 1, v78
	v_cmp_lt_u32_e64 s[0:1], v64, v9
	v_subrev_u32_e32 v58, 64, v58
	v_cndmask_b32_e64 v61, v61, 1, vcc
	v_cmp_gt_u64_e32 vcc, s[64:65], v[6:7]
	v_and_b32_e32 v78, 0xffff, v61
	v_cndmask_b32_e64 v61, v7, v61, s[0:1]
	v_cndmask_b32_e64 v7, v7, v78, s[0:1]
	s_and_b64 vcc, s[0:1], vcc
	ds_bpermute_b32 v78, v66, v7
	s_waitcnt lgkmcnt(1)
	v_cndmask_b32_e32 v60, 0, v60, vcc
	v_add_u32_e32 v6, v60, v6
	ds_bpermute_b32 v60, v66, v6
	v_and_b32_e32 v79, 1, v61
	s_waitcnt lgkmcnt(1)
	v_and_b32_e32 v78, 1, v78
	v_cmp_eq_u32_e32 vcc, 1, v79
	s_nop 1
	v_cndmask_b32_e64 v78, v78, 1, vcc
	v_cmp_eq_u16_sdwa vcc, v61, v59 src0_sel:BYTE_0 src1_sel:DWORD
	v_and_b32_e32 v79, 0xffff, v78
	s_waitcnt lgkmcnt(0)
	v_cndmask_b32_e32 v60, 0, v60, vcc
	v_cmp_gt_u32_e32 vcc, v67, v9
	s_nop 1
	v_cndmask_b32_e32 v7, v79, v7, vcc
	v_cndmask_b32_e32 v61, v78, v61, vcc
	ds_bpermute_b32 v78, v68, v7
	v_cndmask_b32_e64 v60, v60, 0, vcc
	v_add_u32_e32 v6, v60, v6
	ds_bpermute_b32 v60, v68, v6
	v_and_b32_e32 v79, 1, v61
	s_waitcnt lgkmcnt(1)
	v_and_b32_e32 v78, 1, v78
	v_cmp_eq_u32_e32 vcc, 1, v79
	s_nop 1
	v_cndmask_b32_e64 v78, v78, 1, vcc
	v_cmp_eq_u16_sdwa vcc, v61, v59 src0_sel:BYTE_0 src1_sel:DWORD
	v_and_b32_e32 v79, 0xffff, v78
	s_waitcnt lgkmcnt(0)
	v_cndmask_b32_e32 v60, 0, v60, vcc
	v_cmp_gt_u32_e32 vcc, v69, v9
	s_nop 1
	v_cndmask_b32_e32 v7, v79, v7, vcc
	v_cndmask_b32_e32 v61, v78, v61, vcc
	ds_bpermute_b32 v78, v70, v7
	v_cndmask_b32_e64 v60, v60, 0, vcc
	v_add_u32_e32 v6, v60, v6
	ds_bpermute_b32 v60, v70, v6
	v_and_b32_e32 v79, 1, v61
	s_waitcnt lgkmcnt(1)
	v_and_b32_e32 v78, 1, v78
	v_cmp_eq_u32_e32 vcc, 1, v79
	s_nop 1
	v_cndmask_b32_e64 v78, v78, 1, vcc
	v_cmp_eq_u16_sdwa vcc, v61, v59 src0_sel:BYTE_0 src1_sel:DWORD
	v_and_b32_e32 v79, 0xffff, v78
	s_waitcnt lgkmcnt(0)
	v_cndmask_b32_e32 v60, 0, v60, vcc
	v_cmp_gt_u32_e32 vcc, v71, v9
	s_nop 1
	v_cndmask_b32_e32 v7, v79, v7, vcc
	v_cndmask_b32_e32 v61, v78, v61, vcc
	ds_bpermute_b32 v78, v72, v7
	v_cndmask_b32_e64 v60, v60, 0, vcc
	v_add_u32_e32 v6, v60, v6
	ds_bpermute_b32 v60, v72, v6
	v_and_b32_e32 v79, 1, v61
	s_waitcnt lgkmcnt(1)
	v_and_b32_e32 v78, 1, v78
	v_cmp_eq_u32_e32 vcc, 1, v79
	s_nop 1
	v_cndmask_b32_e64 v78, v78, 1, vcc
	v_cmp_eq_u16_sdwa vcc, v61, v59 src0_sel:BYTE_0 src1_sel:DWORD
	v_and_b32_e32 v79, 0xffff, v78
	s_waitcnt lgkmcnt(0)
	v_cndmask_b32_e32 v60, 0, v60, vcc
	v_cmp_gt_u32_e32 vcc, v74, v9
	s_nop 1
	v_cndmask_b32_e64 v60, v60, 0, vcc
	v_cndmask_b32_e32 v7, v79, v7, vcc
	ds_bpermute_b32 v7, v76, v7
	v_add_u32_e32 v6, v60, v6
	ds_bpermute_b32 v60, v76, v6
	v_cndmask_b32_e32 v61, v78, v61, vcc
	v_and_b32_e32 v78, 1, v61
	v_cmp_eq_u32_e32 vcc, 1, v78
	s_waitcnt lgkmcnt(1)
	s_nop 0
	v_cndmask_b32_e64 v7, v7, 1, vcc
	v_cmp_eq_u16_sdwa vcc, v61, v59 src0_sel:BYTE_0 src1_sel:DWORD
	s_waitcnt lgkmcnt(0)
	s_nop 0
	v_cndmask_b32_e32 v60, 0, v60, vcc
	v_cmp_gt_u32_e32 vcc, v77, v9
	s_nop 1
	v_cndmask_b32_e64 v9, v60, 0, vcc
	v_cndmask_b32_e32 v7, v7, v61, vcc
	v_add_u32_e32 v6, v9, v6
	v_cmp_eq_u16_sdwa vcc, v73, v59 src0_sel:BYTE_0 src1_sel:DWORD
	v_and_b32_e32 v9, 1, v73
	v_and_b32_e32 v7, 1, v7
	v_cndmask_b32_e32 v6, 0, v6, vcc
	v_cmp_eq_u32_e32 vcc, 1, v9
	v_add_u32_e32 v6, v6, v75
	s_nop 0
	v_cndmask_b32_e64 v7, v7, 1, vcc
.LBB2207_163:                           ; =>This Loop Header: Depth=1
                                        ;     Child Loop BB2207_166 Depth 2
                                        ;       Child Loop BB2207_167 Depth 3
	v_cmp_ne_u16_sdwa s[0:1], v8, v3 src0_sel:BYTE_0 src1_sel:DWORD
	v_mov_b32_e32 v73, v7
	v_mov_b32_e32 v75, v6
	v_cndmask_b32_e64 v7, 0, 1, s[0:1]
	;;#ASMSTART
	;;#ASMEND
	s_nop 0
	v_cmp_ne_u32_e32 vcc, 0, v7
	s_cmp_lg_u64 vcc, exec
	s_cbranch_scc1 .LBB2207_170
; %bb.164:                              ;   in Loop: Header=BB2207_163 Depth=1
	v_lshl_add_u64 v[60:61], v[58:59], 4, s[72:73]
	;;#ASMSTART
	global_load_dwordx4 v[6:9], v[60:61] off sc1	
s_waitcnt vmcnt(0)
	;;#ASMEND
	s_nop 0
	v_and_b32_e32 v9, 0xff0000, v6
	v_and_b32_e32 v78, 0xff000000, v6
	;; [unrolled: 1-line block ×3, first 2 shown]
	v_or_b32_sdwa v6, v6, v9 dst_sel:DWORD dst_unused:UNUSED_PAD src0_sel:WORD_0 src1_sel:DWORD
	v_or3_b32 v7, 0, 0, v7
	v_or3_b32 v6, v6, v78, 0
	v_cmp_eq_u16_sdwa s[68:69], v8, v59 src0_sel:BYTE_0 src1_sel:DWORD
	s_and_saveexec_b64 s[0:1], s[68:69]
	s_cbranch_execz .LBB2207_162
; %bb.165:                              ;   in Loop: Header=BB2207_163 Depth=1
	s_mov_b32 s71, 1
	s_mov_b64 s[68:69], 0
.LBB2207_166:                           ;   Parent Loop BB2207_163 Depth=1
                                        ; =>  This Loop Header: Depth=2
                                        ;       Child Loop BB2207_167 Depth 3
	s_max_u32 s78, s71, 1
.LBB2207_167:                           ;   Parent Loop BB2207_163 Depth=1
                                        ;     Parent Loop BB2207_166 Depth=2
                                        ; =>    This Inner Loop Header: Depth=3
	s_add_i32 s78, s78, -1
	s_cmp_eq_u32 s78, 0
	s_sleep 1
	s_cbranch_scc0 .LBB2207_167
; %bb.168:                              ;   in Loop: Header=BB2207_166 Depth=2
	s_cmp_lt_u32 s71, 32
	s_cselect_b64 s[78:79], -1, 0
	s_cmp_lg_u64 s[78:79], 0
	s_addc_u32 s71, s71, 0
	;;#ASMSTART
	global_load_dwordx4 v[6:9], v[60:61] off sc1	
s_waitcnt vmcnt(0)
	;;#ASMEND
	s_nop 0
	v_cmp_ne_u16_sdwa s[78:79], v8, v59 src0_sel:BYTE_0 src1_sel:DWORD
	s_or_b64 s[68:69], s[78:79], s[68:69]
	s_andn2_b64 exec, exec, s[68:69]
	s_cbranch_execnz .LBB2207_166
; %bb.169:                              ;   in Loop: Header=BB2207_163 Depth=1
	s_or_b64 exec, exec, s[68:69]
	v_and_b32_e32 v7, 0xff, v7
	s_branch .LBB2207_162
.LBB2207_170:                           ;   in Loop: Header=BB2207_163 Depth=1
                                        ; implicit-def: $vgpr7
                                        ; implicit-def: $vgpr6
                                        ; implicit-def: $vgpr8
	s_cbranch_execz .LBB2207_163
; %bb.171:
	s_and_saveexec_b64 s[0:1], s[52:53]
	s_cbranch_execz .LBB2207_173
; %bb.172:
	s_and_b32 s52, s70, 0xff
	s_cmp_eq_u32 s52, 0
	s_cselect_b64 vcc, -1, 0
	s_bitcmp1_b32 s70, 0
	s_mov_b32 s53, 0
	s_cselect_b64 s[64:65], -1, 0
	s_add_i32 s52, s75, 64
	s_lshl_b64 s[52:53], s[52:53], 4
	v_cndmask_b32_e32 v3, 0, v75, vcc
	s_add_u32 s52, s72, s52
	v_add_u32_e32 v2, v3, v2
	v_and_b32_e32 v3, 1, v73
	s_addc_u32 s53, s73, s53
	v_mov_b32_e32 v5, 0
	v_cndmask_b32_e64 v3, v3, 1, s[64:65]
	v_mov_b32_e32 v4, 2
	v_mov_b64_e32 v[6:7], s[52:53]
	;;#ASMSTART
	global_store_dwordx4 v[6:7], v[2:5] off sc1	
s_waitcnt vmcnt(0)
	;;#ASMEND
.LBB2207_173:
	s_or_b64 exec, exec, s[0:1]
	s_and_b64 exec, exec, s[54:55]
	s_cbranch_execz .LBB2207_175
; %bb.174:
	v_mov_b32_e32 v2, 0
	ds_write_b32 v2, v75
	ds_write_b8 v2, v73 offset:4
.LBB2207_175:
	s_or_b64 exec, exec, s[60:61]
	s_mov_b32 s0, 0
	v_mov_b32_e32 v2, 0
	s_mov_b32 s1, 1
	s_waitcnt lgkmcnt(0)
	s_barrier
	ds_read_b32 v3, v2
	v_cmp_gt_u64_e32 vcc, s[0:1], v[10:11]
	v_and_b32_e32 v5, 1, v11
	v_and_b32_e32 v6, 1, v63
	v_cndmask_b32_e32 v4, 0, v62, vcc
	v_cmp_eq_u32_e32 vcc, 1, v5
	v_cndmask_b32_e64 v4, v4, 0, s[54:55]
	s_nop 0
	v_cndmask_b32_e64 v5, v6, 1, vcc
	v_cndmask_b32_e64 v5, v5, v11, s[54:55]
	v_cmp_eq_u16_sdwa vcc, v5, v2 src0_sel:BYTE_0 src1_sel:DWORD
	s_waitcnt lgkmcnt(0)
	s_nop 0
	v_cndmask_b32_e32 v2, 0, v3, vcc
	v_add3_u32 v80, v4, v10, v2
	v_cndmask_b32_e64 v2, 0, v80, s[6:7]
	v_add_u32_e32 v58, v2, v12
	v_cndmask_b32_e64 v2, 0, v58, s[8:9]
	v_add_u32_e32 v59, v2, v14
	;; [unrolled: 2-line block ×22, first 2 shown]
	s_branch .LBB2207_196
.LBB2207_176:
                                        ; implicit-def: $vgpr78
                                        ; implicit-def: $vgpr77
                                        ; implicit-def: $vgpr76
                                        ; implicit-def: $vgpr75
                                        ; implicit-def: $vgpr74
                                        ; implicit-def: $vgpr73
                                        ; implicit-def: $vgpr72
                                        ; implicit-def: $vgpr71
                                        ; implicit-def: $vgpr70
                                        ; implicit-def: $vgpr69
                                        ; implicit-def: $vgpr68
                                        ; implicit-def: $vgpr67
                                        ; implicit-def: $vgpr66
                                        ; implicit-def: $vgpr65
                                        ; implicit-def: $vgpr64
                                        ; implicit-def: $vgpr63
                                        ; implicit-def: $vgpr62
                                        ; implicit-def: $vgpr61
                                        ; implicit-def: $vgpr60
                                        ; implicit-def: $vgpr59
                                        ; implicit-def: $vgpr58
                                        ; implicit-def: $vgpr80
                                        ; implicit-def: $vgpr79
	s_cbranch_execz .LBB2207_196
; %bb.177:
	s_cmp_lg_u64 s[76:77], 0
	s_cselect_b32 s9, s67, 0
	s_cselect_b32 s8, s66, 0
	s_cmp_lg_u64 s[8:9], 0
	s_cselect_b64 s[6:7], -1, 0
	s_mov_b32 s0, 0
	s_and_b64 s[10:11], s[54:55], s[6:7]
	s_and_saveexec_b64 s[6:7], s[10:11]
	s_cbranch_execz .LBB2207_179
; %bb.178:
	v_mov_b32_e32 v2, 0
	global_load_dword v4, v2, s[8:9]
	global_load_ubyte v5, v2, s[8:9] offset:4
	s_mov_b32 s1, 1
	v_and_b32_e32 v3, 1, v11
	v_cmp_gt_u64_e32 vcc, s[0:1], v[10:11]
	s_waitcnt vmcnt(0)
	v_and_b32_e32 v5, 1, v5
	v_cndmask_b32_e32 v4, 0, v4, vcc
	v_cmp_eq_u64_e32 vcc, 0, v[2:3]
	v_add_u32_e32 v10, v4, v10
	s_nop 0
	v_cndmask_b32_e32 v11, 1, v5, vcc
.LBB2207_179:
	s_or_b64 exec, exec, s[6:7]
	s_mov_b32 s1, 1
	v_cmp_gt_u64_e32 vcc, s[0:1], v[12:13]
	v_cmp_gt_u64_e64 s[6:7], s[0:1], v[14:15]
	v_cmp_gt_u64_e64 s[8:9], s[0:1], v[16:17]
	v_cndmask_b32_e32 v2, 0, v10, vcc
	v_add_u32_e32 v58, v2, v12
	v_cndmask_b32_e64 v2, 0, v58, s[6:7]
	v_add_u32_e32 v59, v2, v14
	v_cndmask_b32_e64 v2, 0, v59, s[8:9]
	v_add_u32_e32 v60, v2, v16
	v_cmp_gt_u64_e64 s[10:11], s[0:1], v[18:19]
	v_cmp_gt_u64_e64 s[12:13], s[0:1], v[20:21]
	v_cmp_gt_u64_e64 s[14:15], s[0:1], v[22:23]
	v_cndmask_b32_e64 v2, 0, v60, s[10:11]
	v_add_u32_e32 v61, v2, v18
	v_cndmask_b32_e64 v2, 0, v61, s[12:13]
	v_add_u32_e32 v62, v2, v20
	v_cndmask_b32_e64 v2, 0, v62, s[14:15]
	v_add_u32_e32 v63, v2, v22
	v_cmp_gt_u64_e64 s[16:17], s[0:1], v[24:25]
	v_cmp_gt_u64_e64 s[18:19], s[0:1], v[26:27]
	v_cmp_gt_u64_e64 s[20:21], s[0:1], v[28:29]
	v_cndmask_b32_e64 v2, 0, v63, s[16:17]
	;; [unrolled: 9-line block ×6, first 2 shown]
	v_add_u32_e32 v76, v2, v48
	v_cndmask_b32_e64 v2, 0, v76, s[44:45]
	v_add_u32_e32 v77, v2, v50
	v_cndmask_b32_e64 v2, 0, v77, s[46:47]
	v_add_u32_e32 v78, v2, v52
	v_cmp_gt_u64_e64 s[48:49], s[0:1], v[56:57]
	v_add_lshl_u32 v1, v1, v0, 3
	s_nop 0
	v_cndmask_b32_e64 v2, 0, v78, s[48:49]
	v_add_u32_e32 v79, v2, v56
	v_or3_b32 v2, v55, v51, v49
	v_or3_b32 v2, v2, v47, v45
	;; [unrolled: 1-line block ×10, first 2 shown]
	v_and_b32_e32 v2, 1, v2
	v_cmp_eq_u32_e64 s[0:1], 1, v2
	s_nop 1
	v_cndmask_b32_e64 v4, v11, 1, s[0:1]
	v_cmp_gt_u32_e64 s[0:1], 64, v0
	ds_write_b32 v1, v79
	ds_write_b8 v1, v4 offset:4
	s_waitcnt lgkmcnt(0)
	s_barrier
	s_and_saveexec_b64 s[50:51], s[0:1]
	s_cbranch_execz .LBB2207_191
; %bb.180:
	v_lshrrev_b32_e32 v1, 3, v0
	v_add_lshl_u32 v1, v1, v54, 3
	ds_read2_b32 v[6:7], v1 offset0:2 offset1:4
	ds_read_b64 v[2:3], v1
	ds_read_u8 v8, v1 offset:12
	ds_read_u8 v9, v1 offset:20
	ds_read_b32 v13, v1 offset:24
	ds_read_u8 v15, v1 offset:28
	v_mov_b32_e32 v17, 0
	s_waitcnt lgkmcnt(3)
	v_cmp_eq_u16_sdwa s[0:1], v8, v17 src0_sel:BYTE_0 src1_sel:DWORD
	v_and_b32_e32 v5, 1, v3
	s_nop 0
	v_cndmask_b32_e64 v19, 0, v2, s[0:1]
	v_add_u32_e32 v6, v19, v6
	s_waitcnt lgkmcnt(2)
	v_cmp_eq_u16_sdwa s[0:1], v9, v17 src0_sel:BYTE_0 src1_sel:DWORD
	s_nop 1
	v_cndmask_b32_e64 v6, 0, v6, s[0:1]
	v_add_u32_e32 v6, v6, v7
	s_waitcnt lgkmcnt(0)
	v_cmp_eq_u16_e64 s[0:1], 0, v15
	s_nop 1
	v_cndmask_b32_e64 v6, 0, v6, s[0:1]
	v_add_u32_e32 v7, v6, v13
	v_or_b32_e32 v6, v15, v9
	v_or_b32_e32 v6, v6, v8
	v_and_b32_e32 v6, 1, v6
	v_cmp_eq_u32_e64 s[0:1], 1, v6
	v_mbcnt_lo_u32_b32 v8, -1, 0
	v_and_b32_e32 v6, 0xffffff00, v3
	v_cndmask_b32_e64 v9, v5, 1, s[0:1]
	v_mbcnt_hi_u32_b32 v8, -1, v8
	v_and_b32_e32 v15, 15, v8
	v_or_b32_sdwa v13, v6, v9 dst_sel:DWORD dst_unused:UNUSED_PAD src0_sel:DWORD src1_sel:WORD_0
	v_mov_b32_dpp v17, v7 row_shr:1 row_mask:0xf bank_mask:0xf
	v_cmp_ne_u32_e64 s[0:1], 0, v15
	v_mov_b32_dpp v19, v13 row_shr:1 row_mask:0xf bank_mask:0xf
	s_and_saveexec_b64 s[52:53], s[0:1]
; %bb.181:
	v_and_b32_e32 v13, 1, v9
	v_and_b32_e32 v19, 1, v19
	v_cmp_eq_u32_e64 s[0:1], 1, v13
	s_nop 1
	v_cndmask_b32_e64 v19, v19, 1, s[0:1]
	v_cmp_eq_u16_e64 s[0:1], 0, v9
	v_or_b32_sdwa v13, v6, v19 dst_sel:DWORD dst_unused:UNUSED_PAD src0_sel:DWORD src1_sel:WORD_0
	s_nop 0
	v_cndmask_b32_e64 v9, 0, v17, s[0:1]
	v_add_u32_e32 v7, v9, v7
	v_mov_b32_e32 v9, v19
; %bb.182:
	s_or_b64 exec, exec, s[52:53]
	v_mov_b32_dpp v17, v7 row_shr:2 row_mask:0xf bank_mask:0xf
	v_mov_b32_dpp v19, v13 row_shr:2 row_mask:0xf bank_mask:0xf
	v_cmp_lt_u32_e64 s[0:1], 1, v15
	s_and_saveexec_b64 s[52:53], s[0:1]
; %bb.183:
	v_and_b32_e32 v13, 1, v9
	v_and_b32_e32 v19, 1, v19
	v_cmp_eq_u32_e64 s[0:1], 1, v13
	s_nop 1
	v_cndmask_b32_e64 v19, v19, 1, s[0:1]
	v_cmp_eq_u16_e64 s[0:1], 0, v9
	v_or_b32_sdwa v13, v6, v19 dst_sel:DWORD dst_unused:UNUSED_PAD src0_sel:DWORD src1_sel:WORD_0
	s_nop 0
	v_cndmask_b32_e64 v9, 0, v17, s[0:1]
	v_add_u32_e32 v7, v9, v7
	v_mov_b32_e32 v9, v19
; %bb.184:
	s_or_b64 exec, exec, s[52:53]
	v_mov_b32_dpp v17, v7 row_shr:4 row_mask:0xf bank_mask:0xf
	v_mov_b32_dpp v19, v13 row_shr:4 row_mask:0xf bank_mask:0xf
	v_cmp_lt_u32_e64 s[0:1], 3, v15
	;; [unrolled: 18-line block ×3, first 2 shown]
	s_and_saveexec_b64 s[52:53], s[0:1]
; %bb.187:
	v_and_b32_e32 v13, 1, v9
	v_and_b32_e32 v15, 1, v19
	v_cmp_eq_u32_e64 s[0:1], 1, v13
	s_nop 1
	v_cndmask_b32_e64 v15, v15, 1, s[0:1]
	v_cmp_eq_u16_e64 s[0:1], 0, v9
	v_or_b32_sdwa v13, v6, v15 dst_sel:DWORD dst_unused:UNUSED_PAD src0_sel:DWORD src1_sel:WORD_0
	s_nop 0
	v_cndmask_b32_e64 v9, 0, v17, s[0:1]
	v_add_u32_e32 v7, v9, v7
	v_mov_b32_e32 v9, v15
; %bb.188:
	s_or_b64 exec, exec, s[52:53]
	v_and_b32_e32 v19, 16, v8
	v_mov_b32_dpp v15, v7 row_bcast:15 row_mask:0xf bank_mask:0xf
	v_mov_b32_dpp v17, v13 row_bcast:15 row_mask:0xf bank_mask:0xf
	v_cmp_ne_u32_e64 s[0:1], 0, v19
	s_and_saveexec_b64 s[52:53], s[0:1]
; %bb.189:
	v_and_b32_e32 v13, 1, v9
	v_and_b32_e32 v17, 1, v17
	v_cmp_eq_u32_e64 s[0:1], 1, v13
	s_nop 1
	v_cndmask_b32_e64 v17, v17, 1, s[0:1]
	v_cmp_eq_u16_e64 s[0:1], 0, v9
	v_or_b32_sdwa v13, v6, v17 dst_sel:DWORD dst_unused:UNUSED_PAD src0_sel:DWORD src1_sel:WORD_0
	s_nop 0
	v_cndmask_b32_e64 v9, 0, v15, s[0:1]
	v_add_u32_e32 v7, v9, v7
	v_mov_b32_e32 v9, v17
; %bb.190:
	s_or_b64 exec, exec, s[52:53]
	v_mov_b32_dpp v13, v13 row_bcast:31 row_mask:0xf bank_mask:0xf
	v_and_b32_e32 v17, 1, v9
	v_and_b32_e32 v13, 1, v13
	v_cmp_eq_u32_e64 s[0:1], 1, v17
	v_mov_b32_e32 v17, 0
	v_cmp_eq_u16_sdwa s[52:53], v9, v17 src0_sel:BYTE_0 src1_sel:DWORD
	v_cndmask_b32_e64 v13, v13, 1, s[0:1]
	v_cmp_lt_u32_e64 s[0:1], 31, v8
	v_mov_b32_dpp v15, v7 row_bcast:31 row_mask:0xf bank_mask:0xf
	s_movk_i32 s60, 0xff
	v_cndmask_b32_e64 v9, v9, v13, s[0:1]
	s_and_b64 s[0:1], s[0:1], s[52:53]
	v_cndmask_b32_e64 v13, 0, v15, s[0:1]
	v_add_u32_e32 v7, v13, v7
	v_add_u32_e32 v13, -1, v8
	v_and_b32_e32 v15, 64, v8
	v_cmp_lt_i32_e64 s[0:1], v13, v15
	v_and_or_b32 v6, v9, s60, v6
	s_nop 0
	v_cndmask_b32_e64 v8, v13, v8, s[0:1]
	v_lshlrev_b32_e32 v8, 2, v8
	ds_bpermute_b32 v7, v8, v7
	ds_bpermute_b32 v6, v8, v6
	v_cmp_eq_u16_sdwa s[0:1], v3, v17 src0_sel:BYTE_0 src1_sel:DWORD
	; wave barrier
	s_waitcnt lgkmcnt(1)
	s_nop 0
	v_cndmask_b32_e64 v3, 0, v7, s[0:1]
	v_add_u32_e32 v2, v3, v2
	s_waitcnt lgkmcnt(0)
	v_and_b32_e32 v3, 1, v6
	v_cmp_eq_u32_e64 s[0:1], 1, v5
	v_cndmask_b32_e64 v5, v2, v79, s[54:55]
	s_nop 0
	v_cndmask_b32_e64 v3, v3, 1, s[0:1]
	v_cndmask_b32_e64 v4, v3, v4, s[54:55]
	ds_write_b32 v1, v5
	ds_write_b8 v1, v4 offset:4
	; wave barrier
	ds_read_u8 v6, v1 offset:12
	ds_read2_b32 v[2:3], v1 offset0:2 offset1:4
	ds_read_u8 v7, v1 offset:20
	ds_read_b32 v8, v1 offset:24
	ds_read_u8 v9, v1 offset:28
	s_waitcnt lgkmcnt(4)
	v_cmp_eq_u16_e64 s[0:1], 0, v6
	s_nop 1
	v_cndmask_b32_e64 v5, 0, v5, s[0:1]
	s_waitcnt lgkmcnt(3)
	v_add_u32_e32 v2, v5, v2
	v_and_b32_e32 v5, 1, v6
	v_cmp_eq_u32_e64 s[0:1], 1, v5
	s_nop 1
	v_cndmask_b32_e64 v4, v4, 1, s[0:1]
	s_waitcnt lgkmcnt(2)
	v_cmp_eq_u16_e64 s[0:1], 0, v7
	ds_write_b8 v1, v4 offset:12
	s_nop 0
	v_cndmask_b32_e64 v5, 0, v2, s[0:1]
	v_add_u32_e32 v3, v5, v3
	v_and_b32_e32 v5, 1, v7
	v_cmp_eq_u32_e64 s[0:1], 1, v5
	s_nop 1
	v_cndmask_b32_e64 v4, v4, 1, s[0:1]
	s_waitcnt lgkmcnt(1)
	v_cmp_eq_u16_e64 s[0:1], 0, v9
	ds_write2_b32 v1, v2, v3 offset0:2 offset1:4
	ds_write_b8 v1, v4 offset:20
	v_cndmask_b32_e64 v2, 0, v3, s[0:1]
	v_and_b32_e32 v3, 1, v9
	v_add_u32_e32 v2, v2, v8
	v_cmp_eq_u32_e64 s[0:1], 1, v3
	s_nop 1
	v_cndmask_b32_e64 v3, v4, 1, s[0:1]
	ds_write_b32 v1, v2 offset:24
	ds_write_b8 v1, v3 offset:28
.LBB2207_191:
	s_or_b64 exec, exec, s[50:51]
	v_mov_b32_e32 v1, v79
	s_waitcnt lgkmcnt(0)
	s_barrier
	s_and_saveexec_b64 s[0:1], s[4:5]
	s_cbranch_execnz .LBB2207_269
; %bb.192:
	s_or_b64 exec, exec, s[0:1]
	s_and_saveexec_b64 s[50:51], s[4:5]
	s_cbranch_execnz .LBB2207_270
.LBB2207_193:
	s_or_b64 exec, exec, s[50:51]
	s_and_saveexec_b64 s[0:1], s[54:55]
	s_cbranch_execz .LBB2207_195
.LBB2207_194:
	v_mov_b32_e32 v5, 0
	ds_read_b32 v2, v5 offset:2096
	ds_read_u8 v3, v5 offset:2100
	s_add_u32 s4, s72, 0x400
	s_addc_u32 s5, s73, 0
	v_mov_b32_e32 v4, 2
	v_mov_b64_e32 v[6:7], s[4:5]
	s_waitcnt lgkmcnt(0)
	;;#ASMSTART
	global_store_dwordx4 v[6:7], v[2:5] off sc1	
s_waitcnt vmcnt(0)
	;;#ASMEND
.LBB2207_195:
	s_or_b64 exec, exec, s[0:1]
	v_mov_b32_e32 v80, v10
.LBB2207_196:
	s_add_u32 s0, s62, s58
	s_addc_u32 s1, s63, s59
	s_add_u32 s0, s0, s56
	s_addc_u32 s1, s1, s57
	s_and_b64 vcc, exec, s[2:3]
	s_cbranch_vccz .LBB2207_242
; %bb.197:
	s_movk_i32 s2, 0x5c
	v_mul_i32_i24_e32 v26, 0xffffffa8, v0
	s_waitcnt lgkmcnt(0)
	v_mul_u32_u24_e32 v1, 0x5c, v0
	v_mad_u32_u24 v2, v0, s2, v26
	s_barrier
	ds_write2_b32 v1, v80, v58 offset1:1
	ds_write2_b32 v1, v59, v60 offset0:2 offset1:3
	ds_write2_b32 v1, v61, v62 offset0:4 offset1:5
	;; [unrolled: 1-line block ×10, first 2 shown]
	ds_write_b32 v1, v79 offset:88
	s_waitcnt lgkmcnt(0)
	s_barrier
	ds_read2st64_b32 v[24:25], v2 offset0:4 offset1:8
	ds_read2st64_b32 v[22:23], v2 offset0:12 offset1:16
	;; [unrolled: 1-line block ×11, first 2 shown]
	s_add_i32 s33, s33, s74
	v_mov_b32_e32 v55, 0
	v_lshl_add_u64 v[4:5], s[0:1], 0, v[54:55]
	v_cmp_gt_u32_e32 vcc, s33, v0
	s_and_saveexec_b64 s[2:3], vcc
	s_cbranch_execz .LBB2207_199
; %bb.198:
	v_add_u32_e32 v1, v1, v26
	ds_read_b32 v1, v1
	s_waitcnt lgkmcnt(0)
	flat_store_dword v[4:5], v1
.LBB2207_199:
	s_or_b64 exec, exec, s[2:3]
	v_or_b32_e32 v1, 0x100, v0
	v_cmp_gt_u32_e32 vcc, s33, v1
	s_and_saveexec_b64 s[2:3], vcc
	s_cbranch_execz .LBB2207_201
; %bb.200:
	s_waitcnt lgkmcnt(0)
	flat_store_dword v[4:5], v24 offset:1024
.LBB2207_201:
	s_or_b64 exec, exec, s[2:3]
	v_or_b32_e32 v1, 0x200, v0
	v_cmp_gt_u32_e32 vcc, s33, v1
	s_and_saveexec_b64 s[2:3], vcc
	s_cbranch_execz .LBB2207_203
; %bb.202:
	s_waitcnt lgkmcnt(0)
	flat_store_dword v[4:5], v25 offset:2048
.LBB2207_203:
	;; [unrolled: 9-line block ×3, first 2 shown]
	s_or_b64 exec, exec, s[2:3]
	v_or_b32_e32 v1, 0x400, v0
	v_cmp_gt_u32_e32 vcc, s33, v1
	s_and_saveexec_b64 s[2:3], vcc
	s_cbranch_execz .LBB2207_207
; %bb.206:
	s_waitcnt lgkmcnt(0)
	v_add_co_u32_e32 v24, vcc, 0x1000, v4
	s_nop 1
	v_addc_co_u32_e32 v25, vcc, 0, v5, vcc
	flat_store_dword v[24:25], v23
.LBB2207_207:
	s_or_b64 exec, exec, s[2:3]
	v_or_b32_e32 v1, 0x500, v0
	v_cmp_gt_u32_e32 vcc, s33, v1
	s_and_saveexec_b64 s[2:3], vcc
	s_cbranch_execz .LBB2207_209
; %bb.208:
	s_waitcnt lgkmcnt(0)
	v_add_co_u32_e32 v22, vcc, 0x1000, v4
	s_nop 1
	v_addc_co_u32_e32 v23, vcc, 0, v5, vcc
	flat_store_dword v[22:23], v20 offset:1024
.LBB2207_209:
	s_or_b64 exec, exec, s[2:3]
	v_or_b32_e32 v1, 0x600, v0
	v_cmp_gt_u32_e32 vcc, s33, v1
	s_and_saveexec_b64 s[2:3], vcc
	s_cbranch_execz .LBB2207_211
; %bb.210:
	s_waitcnt lgkmcnt(0)
	v_add_co_u32_e32 v22, vcc, 0x1000, v4
	s_nop 1
	v_addc_co_u32_e32 v23, vcc, 0, v5, vcc
	flat_store_dword v[22:23], v21 offset:2048
.LBB2207_211:
	s_or_b64 exec, exec, s[2:3]
	v_or_b32_e32 v1, 0x700, v0
	v_cmp_gt_u32_e32 vcc, s33, v1
	s_and_saveexec_b64 s[2:3], vcc
	s_cbranch_execz .LBB2207_213
; %bb.212:
	s_waitcnt lgkmcnt(0)
	v_add_co_u32_e32 v20, vcc, 0x1000, v4
	s_nop 1
	v_addc_co_u32_e32 v21, vcc, 0, v5, vcc
	flat_store_dword v[20:21], v18 offset:3072
.LBB2207_213:
	s_or_b64 exec, exec, s[2:3]
	v_or_b32_e32 v1, 0x800, v0
	v_cmp_gt_u32_e32 vcc, s33, v1
	s_and_saveexec_b64 s[2:3], vcc
	s_cbranch_execz .LBB2207_215
; %bb.214:
	s_waitcnt lgkmcnt(0)
	v_add_co_u32_e32 v20, vcc, 0x2000, v4
	s_nop 1
	v_addc_co_u32_e32 v21, vcc, 0, v5, vcc
	flat_store_dword v[20:21], v19
.LBB2207_215:
	s_or_b64 exec, exec, s[2:3]
	v_or_b32_e32 v1, 0x900, v0
	v_cmp_gt_u32_e32 vcc, s33, v1
	s_and_saveexec_b64 s[2:3], vcc
	s_cbranch_execz .LBB2207_217
; %bb.216:
	s_waitcnt lgkmcnt(0)
	v_add_co_u32_e32 v18, vcc, 0x2000, v4
	s_nop 1
	v_addc_co_u32_e32 v19, vcc, 0, v5, vcc
	flat_store_dword v[18:19], v16 offset:1024
.LBB2207_217:
	s_or_b64 exec, exec, s[2:3]
	v_or_b32_e32 v1, 0xa00, v0
	v_cmp_gt_u32_e32 vcc, s33, v1
	s_and_saveexec_b64 s[2:3], vcc
	s_cbranch_execz .LBB2207_219
; %bb.218:
	s_waitcnt lgkmcnt(0)
	v_add_co_u32_e32 v18, vcc, 0x2000, v4
	s_nop 1
	v_addc_co_u32_e32 v19, vcc, 0, v5, vcc
	flat_store_dword v[18:19], v17 offset:2048
.LBB2207_219:
	s_or_b64 exec, exec, s[2:3]
	v_or_b32_e32 v1, 0xb00, v0
	v_cmp_gt_u32_e32 vcc, s33, v1
	s_and_saveexec_b64 s[2:3], vcc
	s_cbranch_execz .LBB2207_221
; %bb.220:
	s_waitcnt lgkmcnt(0)
	v_add_co_u32_e32 v16, vcc, 0x2000, v4
	s_nop 1
	v_addc_co_u32_e32 v17, vcc, 0, v5, vcc
	flat_store_dword v[16:17], v14 offset:3072
.LBB2207_221:
	;; [unrolled: 48-line block ×4, first 2 shown]
	s_or_b64 exec, exec, s[2:3]
	v_or_b32_e32 v1, 0x1400, v0
	v_cmp_gt_u32_e32 vcc, s33, v1
	s_and_saveexec_b64 s[2:3], vcc
	s_cbranch_execz .LBB2207_239
; %bb.238:
	s_waitcnt lgkmcnt(0)
	v_add_co_u32_e32 v8, vcc, 0x5000, v4
	s_nop 1
	v_addc_co_u32_e32 v9, vcc, 0, v5, vcc
	flat_store_dword v[8:9], v7
.LBB2207_239:
	s_or_b64 exec, exec, s[2:3]
	v_or_b32_e32 v1, 0x1500, v0
	v_cmp_gt_u32_e32 vcc, s33, v1
	s_and_saveexec_b64 s[2:3], vcc
	s_cbranch_execz .LBB2207_241
; %bb.240:
	v_add_co_u32_e32 v4, vcc, 0x5000, v4
	s_nop 1
	v_addc_co_u32_e32 v5, vcc, 0, v5, vcc
	s_waitcnt lgkmcnt(0)
	flat_store_dword v[4:5], v2 offset:1024
.LBB2207_241:
	s_or_b64 exec, exec, s[2:3]
	s_waitcnt lgkmcnt(0)
	v_or_b32_e32 v2, 0x1600, v0
	v_mov_b32_e32 v1, v55
	v_cmp_gt_u32_e64 s[2:3], s33, v2
	s_branch .LBB2207_244
.LBB2207_242:
	s_mov_b64 s[2:3], 0
                                        ; implicit-def: $vgpr3
	s_cbranch_execz .LBB2207_244
; %bb.243:
	s_waitcnt lgkmcnt(0)
	v_mul_u32_u24_e32 v1, 0x5c, v0
	s_barrier
	s_movk_i32 s4, 0x5c
	ds_write2_b32 v1, v80, v58 offset1:1
	ds_write2_b32 v1, v59, v60 offset0:2 offset1:3
	ds_write2_b32 v1, v61, v62 offset0:4 offset1:5
	;; [unrolled: 1-line block ×10, first 2 shown]
	ds_write_b32 v1, v79 offset:88
	v_mov_b32_e32 v1, 0
	v_mul_i32_i24_e32 v2, 0xffffffa8, v0
	v_mad_u32_u24 v2, v0, s4, v2
	v_mov_b32_e32 v55, v1
	s_waitcnt lgkmcnt(0)
	s_barrier
	ds_read2st64_b32 v[4:5], v2 offset1:4
	ds_read2st64_b32 v[6:7], v2 offset0:8 offset1:12
	ds_read2st64_b32 v[8:9], v2 offset0:16 offset1:20
	;; [unrolled: 1-line block ×10, first 2 shown]
	ds_read_b32 v3, v2 offset:22528
	v_lshl_add_u64 v[26:27], s[0:1], 0, v[54:55]
	s_movk_i32 s4, 0x1000
	s_waitcnt lgkmcnt(0)
	flat_store_dword v[26:27], v4
	flat_store_dword v[26:27], v5 offset:1024
	flat_store_dword v[26:27], v6 offset:2048
	;; [unrolled: 1-line block ×3, first 2 shown]
	v_add_co_u32_e32 v4, vcc, s4, v26
	s_movk_i32 s4, 0x2000
	s_nop 0
	v_addc_co_u32_e32 v5, vcc, 0, v27, vcc
	flat_store_dword v[4:5], v8
	flat_store_dword v[4:5], v9 offset:1024
	flat_store_dword v[4:5], v10 offset:2048
	;; [unrolled: 1-line block ×3, first 2 shown]
	v_add_co_u32_e32 v4, vcc, s4, v26
	s_movk_i32 s4, 0x3000
	s_nop 0
	v_addc_co_u32_e32 v5, vcc, 0, v27, vcc
	flat_store_dword v[4:5], v12
	flat_store_dword v[4:5], v13 offset:1024
	flat_store_dword v[4:5], v14 offset:2048
	;; [unrolled: 1-line block ×3, first 2 shown]
	v_add_co_u32_e32 v4, vcc, s4, v26
	s_or_b64 s[2:3], s[2:3], exec
	s_nop 0
	v_addc_co_u32_e32 v5, vcc, 0, v27, vcc
	flat_store_dword v[4:5], v16
	flat_store_dword v[4:5], v17 offset:1024
	flat_store_dword v[4:5], v18 offset:2048
	;; [unrolled: 1-line block ×3, first 2 shown]
	v_add_co_u32_e32 v4, vcc, 0x4000, v26
	s_nop 1
	v_addc_co_u32_e32 v5, vcc, 0, v27, vcc
	flat_store_dword v[4:5], v20
	flat_store_dword v[4:5], v21 offset:1024
	flat_store_dword v[4:5], v22 offset:2048
	;; [unrolled: 1-line block ×3, first 2 shown]
	v_add_co_u32_e32 v4, vcc, 0x5000, v26
	s_nop 1
	v_addc_co_u32_e32 v5, vcc, 0, v27, vcc
	flat_store_dword v[4:5], v24
	flat_store_dword v[4:5], v25 offset:1024
.LBB2207_244:
	s_and_saveexec_b64 s[4:5], s[2:3]
	s_cbranch_execnz .LBB2207_246
; %bb.245:
	s_endpgm
.LBB2207_246:
	s_waitcnt lgkmcnt(0)
	v_lshl_add_u64 v[0:1], v[0:1], 2, s[0:1]
	v_add_co_u32_e32 v0, vcc, 0x5000, v0
	s_nop 1
	v_addc_co_u32_e32 v1, vcc, 0, v1, vcc
	flat_store_dword v[0:1], v3 offset:2048
	s_endpgm
.LBB2207_247:
	v_lshl_add_u64 v[30:31], s[60:61], 0, v[2:3]
	flat_load_dword v29, v[30:31]
	s_or_b64 exec, exec, s[0:1]
                                        ; implicit-def: $vgpr30
	s_and_saveexec_b64 s[0:1], s[8:9]
	s_cbranch_execz .LBB2207_59
.LBB2207_248:
	v_mov_b32_e32 v3, 0
	v_lshl_add_u64 v[30:31], s[60:61], 0, v[2:3]
	flat_load_dword v30, v[30:31] offset:1024
	s_or_b64 exec, exec, s[0:1]
                                        ; implicit-def: $vgpr31
	s_and_saveexec_b64 s[0:1], s[10:11]
	s_cbranch_execz .LBB2207_60
.LBB2207_249:
	v_mov_b32_e32 v3, 0
	v_lshl_add_u64 v[32:33], s[60:61], 0, v[2:3]
	flat_load_dword v31, v[32:33] offset:2048
	s_or_b64 exec, exec, s[0:1]
                                        ; implicit-def: $vgpr3
	s_and_saveexec_b64 s[0:1], s[12:13]
	s_cbranch_execz .LBB2207_61
.LBB2207_250:
	v_mov_b32_e32 v3, 0
	v_lshl_add_u64 v[32:33], s[60:61], 0, v[2:3]
	flat_load_dword v3, v[32:33] offset:3072
	s_or_b64 exec, exec, s[0:1]
                                        ; implicit-def: $vgpr32
	s_and_saveexec_b64 s[0:1], s[14:15]
	s_cbranch_execz .LBB2207_62
.LBB2207_251:
	v_lshlrev_b32_e32 v32, 2, v10
	v_mov_b32_e32 v33, 0
	v_lshl_add_u64 v[32:33], s[60:61], 0, v[32:33]
	flat_load_dword v32, v[32:33]
	s_or_b64 exec, exec, s[0:1]
                                        ; implicit-def: $vgpr10
	s_and_saveexec_b64 s[0:1], s[16:17]
	s_cbranch_execz .LBB2207_63
.LBB2207_252:
	v_lshlrev_b32_e32 v10, 2, v11
	v_mov_b32_e32 v11, 0
	v_lshl_add_u64 v[10:11], s[60:61], 0, v[10:11]
	flat_load_dword v10, v[10:11]
	s_or_b64 exec, exec, s[0:1]
                                        ; implicit-def: $vgpr11
	s_and_saveexec_b64 s[0:1], s[18:19]
	s_cbranch_execz .LBB2207_64
.LBB2207_253:
	v_lshlrev_b32_e32 v34, 2, v12
	v_mov_b32_e32 v35, 0
	v_lshl_add_u64 v[34:35], s[60:61], 0, v[34:35]
	flat_load_dword v11, v[34:35]
	s_or_b64 exec, exec, s[0:1]
                                        ; implicit-def: $vgpr12
	s_and_saveexec_b64 s[0:1], s[20:21]
	s_cbranch_execz .LBB2207_65
.LBB2207_254:
	v_lshlrev_b32_e32 v12, 2, v13
	v_mov_b32_e32 v13, 0
	v_lshl_add_u64 v[12:13], s[60:61], 0, v[12:13]
	flat_load_dword v12, v[12:13]
	s_or_b64 exec, exec, s[0:1]
                                        ; implicit-def: $vgpr13
	s_and_saveexec_b64 s[0:1], s[22:23]
	s_cbranch_execz .LBB2207_66
.LBB2207_255:
	v_lshlrev_b32_e32 v34, 2, v14
	v_mov_b32_e32 v35, 0
	v_lshl_add_u64 v[34:35], s[60:61], 0, v[34:35]
	flat_load_dword v13, v[34:35]
	s_or_b64 exec, exec, s[0:1]
                                        ; implicit-def: $vgpr14
	s_and_saveexec_b64 s[0:1], s[24:25]
	s_cbranch_execz .LBB2207_67
.LBB2207_256:
	v_lshlrev_b32_e32 v14, 2, v15
	v_mov_b32_e32 v15, 0
	v_lshl_add_u64 v[14:15], s[60:61], 0, v[14:15]
	flat_load_dword v14, v[14:15]
	s_or_b64 exec, exec, s[0:1]
                                        ; implicit-def: $vgpr15
	s_and_saveexec_b64 s[0:1], s[26:27]
	s_cbranch_execz .LBB2207_68
.LBB2207_257:
	v_lshlrev_b32_e32 v34, 2, v16
	v_mov_b32_e32 v35, 0
	v_lshl_add_u64 v[34:35], s[60:61], 0, v[34:35]
	flat_load_dword v15, v[34:35]
	s_or_b64 exec, exec, s[0:1]
                                        ; implicit-def: $vgpr16
	s_and_saveexec_b64 s[0:1], s[28:29]
	s_cbranch_execz .LBB2207_69
.LBB2207_258:
	v_lshlrev_b32_e32 v16, 2, v17
	v_mov_b32_e32 v17, 0
	v_lshl_add_u64 v[16:17], s[60:61], 0, v[16:17]
	flat_load_dword v16, v[16:17]
	s_or_b64 exec, exec, s[0:1]
                                        ; implicit-def: $vgpr17
	s_and_saveexec_b64 s[0:1], s[30:31]
	s_cbranch_execz .LBB2207_70
.LBB2207_259:
	v_lshlrev_b32_e32 v34, 2, v18
	v_mov_b32_e32 v35, 0
	v_lshl_add_u64 v[34:35], s[60:61], 0, v[34:35]
	flat_load_dword v17, v[34:35]
	s_or_b64 exec, exec, s[0:1]
                                        ; implicit-def: $vgpr18
	s_and_saveexec_b64 s[0:1], s[34:35]
	s_cbranch_execz .LBB2207_71
.LBB2207_260:
	v_lshlrev_b32_e32 v18, 2, v19
	v_mov_b32_e32 v19, 0
	v_lshl_add_u64 v[18:19], s[60:61], 0, v[18:19]
	flat_load_dword v18, v[18:19]
	s_or_b64 exec, exec, s[0:1]
                                        ; implicit-def: $vgpr19
	s_and_saveexec_b64 s[0:1], s[36:37]
	s_cbranch_execz .LBB2207_72
.LBB2207_261:
	v_lshlrev_b32_e32 v34, 2, v20
	v_mov_b32_e32 v35, 0
	v_lshl_add_u64 v[34:35], s[60:61], 0, v[34:35]
	flat_load_dword v19, v[34:35]
	s_or_b64 exec, exec, s[0:1]
                                        ; implicit-def: $vgpr20
	s_and_saveexec_b64 s[0:1], s[38:39]
	s_cbranch_execz .LBB2207_73
.LBB2207_262:
	v_lshlrev_b32_e32 v20, 2, v21
	v_mov_b32_e32 v21, 0
	v_lshl_add_u64 v[20:21], s[60:61], 0, v[20:21]
	flat_load_dword v20, v[20:21]
	s_or_b64 exec, exec, s[0:1]
                                        ; implicit-def: $vgpr21
	s_and_saveexec_b64 s[0:1], s[40:41]
	s_cbranch_execz .LBB2207_74
.LBB2207_263:
	v_lshlrev_b32_e32 v34, 2, v22
	v_mov_b32_e32 v35, 0
	v_lshl_add_u64 v[34:35], s[60:61], 0, v[34:35]
	flat_load_dword v21, v[34:35]
	s_or_b64 exec, exec, s[0:1]
                                        ; implicit-def: $vgpr22
	s_and_saveexec_b64 s[0:1], s[42:43]
	s_cbranch_execz .LBB2207_75
.LBB2207_264:
	v_lshlrev_b32_e32 v22, 2, v23
	v_mov_b32_e32 v23, 0
	v_lshl_add_u64 v[22:23], s[60:61], 0, v[22:23]
	flat_load_dword v22, v[22:23]
	s_or_b64 exec, exec, s[0:1]
                                        ; implicit-def: $vgpr23
	s_and_saveexec_b64 s[0:1], s[44:45]
	s_cbranch_execz .LBB2207_76
.LBB2207_265:
	v_lshlrev_b32_e32 v34, 2, v24
	v_mov_b32_e32 v35, 0
	v_lshl_add_u64 v[34:35], s[60:61], 0, v[34:35]
	flat_load_dword v23, v[34:35]
	s_or_b64 exec, exec, s[0:1]
                                        ; implicit-def: $vgpr24
	s_and_saveexec_b64 s[0:1], s[46:47]
	s_cbranch_execz .LBB2207_77
.LBB2207_266:
	v_lshlrev_b32_e32 v24, 2, v25
	v_mov_b32_e32 v25, 0
	v_lshl_add_u64 v[24:25], s[60:61], 0, v[24:25]
	flat_load_dword v24, v[24:25]
	s_or_b64 exec, exec, s[0:1]
                                        ; implicit-def: $vgpr25
	s_and_saveexec_b64 s[0:1], s[48:49]
	s_cbranch_execz .LBB2207_78
.LBB2207_267:
	v_lshlrev_b32_e32 v34, 2, v26
	v_mov_b32_e32 v35, 0
	v_lshl_add_u64 v[34:35], s[60:61], 0, v[34:35]
	flat_load_dword v25, v[34:35]
	s_or_b64 exec, exec, s[0:1]
                                        ; implicit-def: $vgpr26
	s_and_saveexec_b64 s[0:1], s[50:51]
	s_cbranch_execz .LBB2207_79
.LBB2207_268:
	v_lshlrev_b32_e32 v26, 2, v27
	v_mov_b32_e32 v27, 0
	v_lshl_add_u64 v[26:27], s[60:61], 0, v[26:27]
	flat_load_dword v26, v[26:27]
	s_or_b64 exec, exec, s[0:1]
                                        ; implicit-def: $vgpr27
	s_and_saveexec_b64 s[0:1], s[52:53]
	s_cbranch_execnz .LBB2207_80
	s_branch .LBB2207_81
.LBB2207_269:
	v_add_u32_e32 v1, -1, v0
	v_lshrrev_b32_e32 v2, 5, v1
	v_add_lshl_u32 v1, v2, v1, 3
	ds_read_b32 v1, v1
	s_or_b64 exec, exec, s[0:1]
	s_and_saveexec_b64 s[50:51], s[4:5]
	s_cbranch_execz .LBB2207_193
.LBB2207_270:
	v_and_b32_e32 v3, 0xff, v11
	v_mov_b32_e32 v2, 0
	v_cmp_eq_u64_e64 s[0:1], 0, v[2:3]
	;;#ASMSTART
	;;#ASMEND
	s_waitcnt lgkmcnt(0)
	s_nop 0
	v_cndmask_b32_e64 v1, 0, v1, s[0:1]
	v_add_u32_e32 v10, v1, v10
	v_cndmask_b32_e32 v1, 0, v10, vcc
	v_add_u32_e32 v58, v1, v12
	v_cndmask_b32_e64 v1, 0, v58, s[6:7]
	v_add_u32_e32 v59, v1, v14
	v_cndmask_b32_e64 v1, 0, v59, s[8:9]
	;; [unrolled: 2-line block ×21, first 2 shown]
	v_add_u32_e32 v79, v1, v56
	s_or_b64 exec, exec, s[50:51]
	s_and_saveexec_b64 s[0:1], s[54:55]
	s_cbranch_execnz .LBB2207_194
	s_branch .LBB2207_195
.LBB2207_271:
                                        ; implicit-def: $sgpr0_sgpr1
	s_branch .LBB2207_54
.LBB2207_272:
                                        ; implicit-def: $sgpr0_sgpr1
	s_branch .LBB2207_130
	.section	.rodata,"a",@progbits
	.p2align	6, 0x0
	.amdhsa_kernel _ZN7rocprim17ROCPRIM_400000_NS6detail17trampoline_kernelINS0_14default_configENS1_27scan_by_key_config_selectorIiiEEZZNS1_16scan_by_key_implILNS1_25lookback_scan_determinismE0ELb0ES3_N6thrust23THRUST_200600_302600_NS10device_ptrIiEESB_SB_iNS9_4plusIvEENS9_8equal_toIvEEiEE10hipError_tPvRmT2_T3_T4_T5_mT6_T7_P12ihipStream_tbENKUlT_T0_E_clISt17integral_constantIbLb1EESW_EEDaSR_SS_EUlSR_E_NS1_11comp_targetILNS1_3genE5ELNS1_11target_archE942ELNS1_3gpuE9ELNS1_3repE0EEENS1_30default_config_static_selectorELNS0_4arch9wavefront6targetE1EEEvT1_
		.amdhsa_group_segment_fixed_size 25600
		.amdhsa_private_segment_fixed_size 0
		.amdhsa_kernarg_size 112
		.amdhsa_user_sgpr_count 2
		.amdhsa_user_sgpr_dispatch_ptr 0
		.amdhsa_user_sgpr_queue_ptr 0
		.amdhsa_user_sgpr_kernarg_segment_ptr 1
		.amdhsa_user_sgpr_dispatch_id 0
		.amdhsa_user_sgpr_kernarg_preload_length 0
		.amdhsa_user_sgpr_kernarg_preload_offset 0
		.amdhsa_user_sgpr_private_segment_size 0
		.amdhsa_uses_dynamic_stack 0
		.amdhsa_enable_private_segment 0
		.amdhsa_system_sgpr_workgroup_id_x 1
		.amdhsa_system_sgpr_workgroup_id_y 0
		.amdhsa_system_sgpr_workgroup_id_z 0
		.amdhsa_system_sgpr_workgroup_info 0
		.amdhsa_system_vgpr_workitem_id 0
		.amdhsa_next_free_vgpr 81
		.amdhsa_next_free_sgpr 85
		.amdhsa_accum_offset 84
		.amdhsa_reserve_vcc 1
		.amdhsa_float_round_mode_32 0
		.amdhsa_float_round_mode_16_64 0
		.amdhsa_float_denorm_mode_32 3
		.amdhsa_float_denorm_mode_16_64 3
		.amdhsa_dx10_clamp 1
		.amdhsa_ieee_mode 1
		.amdhsa_fp16_overflow 0
		.amdhsa_tg_split 0
		.amdhsa_exception_fp_ieee_invalid_op 0
		.amdhsa_exception_fp_denorm_src 0
		.amdhsa_exception_fp_ieee_div_zero 0
		.amdhsa_exception_fp_ieee_overflow 0
		.amdhsa_exception_fp_ieee_underflow 0
		.amdhsa_exception_fp_ieee_inexact 0
		.amdhsa_exception_int_div_zero 0
	.end_amdhsa_kernel
	.section	.text._ZN7rocprim17ROCPRIM_400000_NS6detail17trampoline_kernelINS0_14default_configENS1_27scan_by_key_config_selectorIiiEEZZNS1_16scan_by_key_implILNS1_25lookback_scan_determinismE0ELb0ES3_N6thrust23THRUST_200600_302600_NS10device_ptrIiEESB_SB_iNS9_4plusIvEENS9_8equal_toIvEEiEE10hipError_tPvRmT2_T3_T4_T5_mT6_T7_P12ihipStream_tbENKUlT_T0_E_clISt17integral_constantIbLb1EESW_EEDaSR_SS_EUlSR_E_NS1_11comp_targetILNS1_3genE5ELNS1_11target_archE942ELNS1_3gpuE9ELNS1_3repE0EEENS1_30default_config_static_selectorELNS0_4arch9wavefront6targetE1EEEvT1_,"axG",@progbits,_ZN7rocprim17ROCPRIM_400000_NS6detail17trampoline_kernelINS0_14default_configENS1_27scan_by_key_config_selectorIiiEEZZNS1_16scan_by_key_implILNS1_25lookback_scan_determinismE0ELb0ES3_N6thrust23THRUST_200600_302600_NS10device_ptrIiEESB_SB_iNS9_4plusIvEENS9_8equal_toIvEEiEE10hipError_tPvRmT2_T3_T4_T5_mT6_T7_P12ihipStream_tbENKUlT_T0_E_clISt17integral_constantIbLb1EESW_EEDaSR_SS_EUlSR_E_NS1_11comp_targetILNS1_3genE5ELNS1_11target_archE942ELNS1_3gpuE9ELNS1_3repE0EEENS1_30default_config_static_selectorELNS0_4arch9wavefront6targetE1EEEvT1_,comdat
.Lfunc_end2207:
	.size	_ZN7rocprim17ROCPRIM_400000_NS6detail17trampoline_kernelINS0_14default_configENS1_27scan_by_key_config_selectorIiiEEZZNS1_16scan_by_key_implILNS1_25lookback_scan_determinismE0ELb0ES3_N6thrust23THRUST_200600_302600_NS10device_ptrIiEESB_SB_iNS9_4plusIvEENS9_8equal_toIvEEiEE10hipError_tPvRmT2_T3_T4_T5_mT6_T7_P12ihipStream_tbENKUlT_T0_E_clISt17integral_constantIbLb1EESW_EEDaSR_SS_EUlSR_E_NS1_11comp_targetILNS1_3genE5ELNS1_11target_archE942ELNS1_3gpuE9ELNS1_3repE0EEENS1_30default_config_static_selectorELNS0_4arch9wavefront6targetE1EEEvT1_, .Lfunc_end2207-_ZN7rocprim17ROCPRIM_400000_NS6detail17trampoline_kernelINS0_14default_configENS1_27scan_by_key_config_selectorIiiEEZZNS1_16scan_by_key_implILNS1_25lookback_scan_determinismE0ELb0ES3_N6thrust23THRUST_200600_302600_NS10device_ptrIiEESB_SB_iNS9_4plusIvEENS9_8equal_toIvEEiEE10hipError_tPvRmT2_T3_T4_T5_mT6_T7_P12ihipStream_tbENKUlT_T0_E_clISt17integral_constantIbLb1EESW_EEDaSR_SS_EUlSR_E_NS1_11comp_targetILNS1_3genE5ELNS1_11target_archE942ELNS1_3gpuE9ELNS1_3repE0EEENS1_30default_config_static_selectorELNS0_4arch9wavefront6targetE1EEEvT1_
                                        ; -- End function
	.section	.AMDGPU.csdata,"",@progbits
; Kernel info:
; codeLenInByte = 15672
; NumSgprs: 91
; NumVgprs: 81
; NumAgprs: 0
; TotalNumVgprs: 81
; ScratchSize: 0
; MemoryBound: 0
; FloatMode: 240
; IeeeMode: 1
; LDSByteSize: 25600 bytes/workgroup (compile time only)
; SGPRBlocks: 11
; VGPRBlocks: 10
; NumSGPRsForWavesPerEU: 91
; NumVGPRsForWavesPerEU: 81
; AccumOffset: 84
; Occupancy: 2
; WaveLimiterHint : 1
; COMPUTE_PGM_RSRC2:SCRATCH_EN: 0
; COMPUTE_PGM_RSRC2:USER_SGPR: 2
; COMPUTE_PGM_RSRC2:TRAP_HANDLER: 0
; COMPUTE_PGM_RSRC2:TGID_X_EN: 1
; COMPUTE_PGM_RSRC2:TGID_Y_EN: 0
; COMPUTE_PGM_RSRC2:TGID_Z_EN: 0
; COMPUTE_PGM_RSRC2:TIDIG_COMP_CNT: 0
; COMPUTE_PGM_RSRC3_GFX90A:ACCUM_OFFSET: 20
; COMPUTE_PGM_RSRC3_GFX90A:TG_SPLIT: 0
	.section	.text._ZN7rocprim17ROCPRIM_400000_NS6detail17trampoline_kernelINS0_14default_configENS1_27scan_by_key_config_selectorIiiEEZZNS1_16scan_by_key_implILNS1_25lookback_scan_determinismE0ELb0ES3_N6thrust23THRUST_200600_302600_NS10device_ptrIiEESB_SB_iNS9_4plusIvEENS9_8equal_toIvEEiEE10hipError_tPvRmT2_T3_T4_T5_mT6_T7_P12ihipStream_tbENKUlT_T0_E_clISt17integral_constantIbLb1EESW_EEDaSR_SS_EUlSR_E_NS1_11comp_targetILNS1_3genE4ELNS1_11target_archE910ELNS1_3gpuE8ELNS1_3repE0EEENS1_30default_config_static_selectorELNS0_4arch9wavefront6targetE1EEEvT1_,"axG",@progbits,_ZN7rocprim17ROCPRIM_400000_NS6detail17trampoline_kernelINS0_14default_configENS1_27scan_by_key_config_selectorIiiEEZZNS1_16scan_by_key_implILNS1_25lookback_scan_determinismE0ELb0ES3_N6thrust23THRUST_200600_302600_NS10device_ptrIiEESB_SB_iNS9_4plusIvEENS9_8equal_toIvEEiEE10hipError_tPvRmT2_T3_T4_T5_mT6_T7_P12ihipStream_tbENKUlT_T0_E_clISt17integral_constantIbLb1EESW_EEDaSR_SS_EUlSR_E_NS1_11comp_targetILNS1_3genE4ELNS1_11target_archE910ELNS1_3gpuE8ELNS1_3repE0EEENS1_30default_config_static_selectorELNS0_4arch9wavefront6targetE1EEEvT1_,comdat
	.protected	_ZN7rocprim17ROCPRIM_400000_NS6detail17trampoline_kernelINS0_14default_configENS1_27scan_by_key_config_selectorIiiEEZZNS1_16scan_by_key_implILNS1_25lookback_scan_determinismE0ELb0ES3_N6thrust23THRUST_200600_302600_NS10device_ptrIiEESB_SB_iNS9_4plusIvEENS9_8equal_toIvEEiEE10hipError_tPvRmT2_T3_T4_T5_mT6_T7_P12ihipStream_tbENKUlT_T0_E_clISt17integral_constantIbLb1EESW_EEDaSR_SS_EUlSR_E_NS1_11comp_targetILNS1_3genE4ELNS1_11target_archE910ELNS1_3gpuE8ELNS1_3repE0EEENS1_30default_config_static_selectorELNS0_4arch9wavefront6targetE1EEEvT1_ ; -- Begin function _ZN7rocprim17ROCPRIM_400000_NS6detail17trampoline_kernelINS0_14default_configENS1_27scan_by_key_config_selectorIiiEEZZNS1_16scan_by_key_implILNS1_25lookback_scan_determinismE0ELb0ES3_N6thrust23THRUST_200600_302600_NS10device_ptrIiEESB_SB_iNS9_4plusIvEENS9_8equal_toIvEEiEE10hipError_tPvRmT2_T3_T4_T5_mT6_T7_P12ihipStream_tbENKUlT_T0_E_clISt17integral_constantIbLb1EESW_EEDaSR_SS_EUlSR_E_NS1_11comp_targetILNS1_3genE4ELNS1_11target_archE910ELNS1_3gpuE8ELNS1_3repE0EEENS1_30default_config_static_selectorELNS0_4arch9wavefront6targetE1EEEvT1_
	.globl	_ZN7rocprim17ROCPRIM_400000_NS6detail17trampoline_kernelINS0_14default_configENS1_27scan_by_key_config_selectorIiiEEZZNS1_16scan_by_key_implILNS1_25lookback_scan_determinismE0ELb0ES3_N6thrust23THRUST_200600_302600_NS10device_ptrIiEESB_SB_iNS9_4plusIvEENS9_8equal_toIvEEiEE10hipError_tPvRmT2_T3_T4_T5_mT6_T7_P12ihipStream_tbENKUlT_T0_E_clISt17integral_constantIbLb1EESW_EEDaSR_SS_EUlSR_E_NS1_11comp_targetILNS1_3genE4ELNS1_11target_archE910ELNS1_3gpuE8ELNS1_3repE0EEENS1_30default_config_static_selectorELNS0_4arch9wavefront6targetE1EEEvT1_
	.p2align	8
	.type	_ZN7rocprim17ROCPRIM_400000_NS6detail17trampoline_kernelINS0_14default_configENS1_27scan_by_key_config_selectorIiiEEZZNS1_16scan_by_key_implILNS1_25lookback_scan_determinismE0ELb0ES3_N6thrust23THRUST_200600_302600_NS10device_ptrIiEESB_SB_iNS9_4plusIvEENS9_8equal_toIvEEiEE10hipError_tPvRmT2_T3_T4_T5_mT6_T7_P12ihipStream_tbENKUlT_T0_E_clISt17integral_constantIbLb1EESW_EEDaSR_SS_EUlSR_E_NS1_11comp_targetILNS1_3genE4ELNS1_11target_archE910ELNS1_3gpuE8ELNS1_3repE0EEENS1_30default_config_static_selectorELNS0_4arch9wavefront6targetE1EEEvT1_,@function
_ZN7rocprim17ROCPRIM_400000_NS6detail17trampoline_kernelINS0_14default_configENS1_27scan_by_key_config_selectorIiiEEZZNS1_16scan_by_key_implILNS1_25lookback_scan_determinismE0ELb0ES3_N6thrust23THRUST_200600_302600_NS10device_ptrIiEESB_SB_iNS9_4plusIvEENS9_8equal_toIvEEiEE10hipError_tPvRmT2_T3_T4_T5_mT6_T7_P12ihipStream_tbENKUlT_T0_E_clISt17integral_constantIbLb1EESW_EEDaSR_SS_EUlSR_E_NS1_11comp_targetILNS1_3genE4ELNS1_11target_archE910ELNS1_3gpuE8ELNS1_3repE0EEENS1_30default_config_static_selectorELNS0_4arch9wavefront6targetE1EEEvT1_: ; @_ZN7rocprim17ROCPRIM_400000_NS6detail17trampoline_kernelINS0_14default_configENS1_27scan_by_key_config_selectorIiiEEZZNS1_16scan_by_key_implILNS1_25lookback_scan_determinismE0ELb0ES3_N6thrust23THRUST_200600_302600_NS10device_ptrIiEESB_SB_iNS9_4plusIvEENS9_8equal_toIvEEiEE10hipError_tPvRmT2_T3_T4_T5_mT6_T7_P12ihipStream_tbENKUlT_T0_E_clISt17integral_constantIbLb1EESW_EEDaSR_SS_EUlSR_E_NS1_11comp_targetILNS1_3genE4ELNS1_11target_archE910ELNS1_3gpuE8ELNS1_3repE0EEENS1_30default_config_static_selectorELNS0_4arch9wavefront6targetE1EEEvT1_
; %bb.0:
	.section	.rodata,"a",@progbits
	.p2align	6, 0x0
	.amdhsa_kernel _ZN7rocprim17ROCPRIM_400000_NS6detail17trampoline_kernelINS0_14default_configENS1_27scan_by_key_config_selectorIiiEEZZNS1_16scan_by_key_implILNS1_25lookback_scan_determinismE0ELb0ES3_N6thrust23THRUST_200600_302600_NS10device_ptrIiEESB_SB_iNS9_4plusIvEENS9_8equal_toIvEEiEE10hipError_tPvRmT2_T3_T4_T5_mT6_T7_P12ihipStream_tbENKUlT_T0_E_clISt17integral_constantIbLb1EESW_EEDaSR_SS_EUlSR_E_NS1_11comp_targetILNS1_3genE4ELNS1_11target_archE910ELNS1_3gpuE8ELNS1_3repE0EEENS1_30default_config_static_selectorELNS0_4arch9wavefront6targetE1EEEvT1_
		.amdhsa_group_segment_fixed_size 0
		.amdhsa_private_segment_fixed_size 0
		.amdhsa_kernarg_size 112
		.amdhsa_user_sgpr_count 2
		.amdhsa_user_sgpr_dispatch_ptr 0
		.amdhsa_user_sgpr_queue_ptr 0
		.amdhsa_user_sgpr_kernarg_segment_ptr 1
		.amdhsa_user_sgpr_dispatch_id 0
		.amdhsa_user_sgpr_kernarg_preload_length 0
		.amdhsa_user_sgpr_kernarg_preload_offset 0
		.amdhsa_user_sgpr_private_segment_size 0
		.amdhsa_uses_dynamic_stack 0
		.amdhsa_enable_private_segment 0
		.amdhsa_system_sgpr_workgroup_id_x 1
		.amdhsa_system_sgpr_workgroup_id_y 0
		.amdhsa_system_sgpr_workgroup_id_z 0
		.amdhsa_system_sgpr_workgroup_info 0
		.amdhsa_system_vgpr_workitem_id 0
		.amdhsa_next_free_vgpr 1
		.amdhsa_next_free_sgpr 0
		.amdhsa_accum_offset 4
		.amdhsa_reserve_vcc 0
		.amdhsa_float_round_mode_32 0
		.amdhsa_float_round_mode_16_64 0
		.amdhsa_float_denorm_mode_32 3
		.amdhsa_float_denorm_mode_16_64 3
		.amdhsa_dx10_clamp 1
		.amdhsa_ieee_mode 1
		.amdhsa_fp16_overflow 0
		.amdhsa_tg_split 0
		.amdhsa_exception_fp_ieee_invalid_op 0
		.amdhsa_exception_fp_denorm_src 0
		.amdhsa_exception_fp_ieee_div_zero 0
		.amdhsa_exception_fp_ieee_overflow 0
		.amdhsa_exception_fp_ieee_underflow 0
		.amdhsa_exception_fp_ieee_inexact 0
		.amdhsa_exception_int_div_zero 0
	.end_amdhsa_kernel
	.section	.text._ZN7rocprim17ROCPRIM_400000_NS6detail17trampoline_kernelINS0_14default_configENS1_27scan_by_key_config_selectorIiiEEZZNS1_16scan_by_key_implILNS1_25lookback_scan_determinismE0ELb0ES3_N6thrust23THRUST_200600_302600_NS10device_ptrIiEESB_SB_iNS9_4plusIvEENS9_8equal_toIvEEiEE10hipError_tPvRmT2_T3_T4_T5_mT6_T7_P12ihipStream_tbENKUlT_T0_E_clISt17integral_constantIbLb1EESW_EEDaSR_SS_EUlSR_E_NS1_11comp_targetILNS1_3genE4ELNS1_11target_archE910ELNS1_3gpuE8ELNS1_3repE0EEENS1_30default_config_static_selectorELNS0_4arch9wavefront6targetE1EEEvT1_,"axG",@progbits,_ZN7rocprim17ROCPRIM_400000_NS6detail17trampoline_kernelINS0_14default_configENS1_27scan_by_key_config_selectorIiiEEZZNS1_16scan_by_key_implILNS1_25lookback_scan_determinismE0ELb0ES3_N6thrust23THRUST_200600_302600_NS10device_ptrIiEESB_SB_iNS9_4plusIvEENS9_8equal_toIvEEiEE10hipError_tPvRmT2_T3_T4_T5_mT6_T7_P12ihipStream_tbENKUlT_T0_E_clISt17integral_constantIbLb1EESW_EEDaSR_SS_EUlSR_E_NS1_11comp_targetILNS1_3genE4ELNS1_11target_archE910ELNS1_3gpuE8ELNS1_3repE0EEENS1_30default_config_static_selectorELNS0_4arch9wavefront6targetE1EEEvT1_,comdat
.Lfunc_end2208:
	.size	_ZN7rocprim17ROCPRIM_400000_NS6detail17trampoline_kernelINS0_14default_configENS1_27scan_by_key_config_selectorIiiEEZZNS1_16scan_by_key_implILNS1_25lookback_scan_determinismE0ELb0ES3_N6thrust23THRUST_200600_302600_NS10device_ptrIiEESB_SB_iNS9_4plusIvEENS9_8equal_toIvEEiEE10hipError_tPvRmT2_T3_T4_T5_mT6_T7_P12ihipStream_tbENKUlT_T0_E_clISt17integral_constantIbLb1EESW_EEDaSR_SS_EUlSR_E_NS1_11comp_targetILNS1_3genE4ELNS1_11target_archE910ELNS1_3gpuE8ELNS1_3repE0EEENS1_30default_config_static_selectorELNS0_4arch9wavefront6targetE1EEEvT1_, .Lfunc_end2208-_ZN7rocprim17ROCPRIM_400000_NS6detail17trampoline_kernelINS0_14default_configENS1_27scan_by_key_config_selectorIiiEEZZNS1_16scan_by_key_implILNS1_25lookback_scan_determinismE0ELb0ES3_N6thrust23THRUST_200600_302600_NS10device_ptrIiEESB_SB_iNS9_4plusIvEENS9_8equal_toIvEEiEE10hipError_tPvRmT2_T3_T4_T5_mT6_T7_P12ihipStream_tbENKUlT_T0_E_clISt17integral_constantIbLb1EESW_EEDaSR_SS_EUlSR_E_NS1_11comp_targetILNS1_3genE4ELNS1_11target_archE910ELNS1_3gpuE8ELNS1_3repE0EEENS1_30default_config_static_selectorELNS0_4arch9wavefront6targetE1EEEvT1_
                                        ; -- End function
	.section	.AMDGPU.csdata,"",@progbits
; Kernel info:
; codeLenInByte = 0
; NumSgprs: 6
; NumVgprs: 0
; NumAgprs: 0
; TotalNumVgprs: 0
; ScratchSize: 0
; MemoryBound: 0
; FloatMode: 240
; IeeeMode: 1
; LDSByteSize: 0 bytes/workgroup (compile time only)
; SGPRBlocks: 0
; VGPRBlocks: 0
; NumSGPRsForWavesPerEU: 6
; NumVGPRsForWavesPerEU: 1
; AccumOffset: 4
; Occupancy: 8
; WaveLimiterHint : 0
; COMPUTE_PGM_RSRC2:SCRATCH_EN: 0
; COMPUTE_PGM_RSRC2:USER_SGPR: 2
; COMPUTE_PGM_RSRC2:TRAP_HANDLER: 0
; COMPUTE_PGM_RSRC2:TGID_X_EN: 1
; COMPUTE_PGM_RSRC2:TGID_Y_EN: 0
; COMPUTE_PGM_RSRC2:TGID_Z_EN: 0
; COMPUTE_PGM_RSRC2:TIDIG_COMP_CNT: 0
; COMPUTE_PGM_RSRC3_GFX90A:ACCUM_OFFSET: 0
; COMPUTE_PGM_RSRC3_GFX90A:TG_SPLIT: 0
	.section	.text._ZN7rocprim17ROCPRIM_400000_NS6detail17trampoline_kernelINS0_14default_configENS1_27scan_by_key_config_selectorIiiEEZZNS1_16scan_by_key_implILNS1_25lookback_scan_determinismE0ELb0ES3_N6thrust23THRUST_200600_302600_NS10device_ptrIiEESB_SB_iNS9_4plusIvEENS9_8equal_toIvEEiEE10hipError_tPvRmT2_T3_T4_T5_mT6_T7_P12ihipStream_tbENKUlT_T0_E_clISt17integral_constantIbLb1EESW_EEDaSR_SS_EUlSR_E_NS1_11comp_targetILNS1_3genE3ELNS1_11target_archE908ELNS1_3gpuE7ELNS1_3repE0EEENS1_30default_config_static_selectorELNS0_4arch9wavefront6targetE1EEEvT1_,"axG",@progbits,_ZN7rocprim17ROCPRIM_400000_NS6detail17trampoline_kernelINS0_14default_configENS1_27scan_by_key_config_selectorIiiEEZZNS1_16scan_by_key_implILNS1_25lookback_scan_determinismE0ELb0ES3_N6thrust23THRUST_200600_302600_NS10device_ptrIiEESB_SB_iNS9_4plusIvEENS9_8equal_toIvEEiEE10hipError_tPvRmT2_T3_T4_T5_mT6_T7_P12ihipStream_tbENKUlT_T0_E_clISt17integral_constantIbLb1EESW_EEDaSR_SS_EUlSR_E_NS1_11comp_targetILNS1_3genE3ELNS1_11target_archE908ELNS1_3gpuE7ELNS1_3repE0EEENS1_30default_config_static_selectorELNS0_4arch9wavefront6targetE1EEEvT1_,comdat
	.protected	_ZN7rocprim17ROCPRIM_400000_NS6detail17trampoline_kernelINS0_14default_configENS1_27scan_by_key_config_selectorIiiEEZZNS1_16scan_by_key_implILNS1_25lookback_scan_determinismE0ELb0ES3_N6thrust23THRUST_200600_302600_NS10device_ptrIiEESB_SB_iNS9_4plusIvEENS9_8equal_toIvEEiEE10hipError_tPvRmT2_T3_T4_T5_mT6_T7_P12ihipStream_tbENKUlT_T0_E_clISt17integral_constantIbLb1EESW_EEDaSR_SS_EUlSR_E_NS1_11comp_targetILNS1_3genE3ELNS1_11target_archE908ELNS1_3gpuE7ELNS1_3repE0EEENS1_30default_config_static_selectorELNS0_4arch9wavefront6targetE1EEEvT1_ ; -- Begin function _ZN7rocprim17ROCPRIM_400000_NS6detail17trampoline_kernelINS0_14default_configENS1_27scan_by_key_config_selectorIiiEEZZNS1_16scan_by_key_implILNS1_25lookback_scan_determinismE0ELb0ES3_N6thrust23THRUST_200600_302600_NS10device_ptrIiEESB_SB_iNS9_4plusIvEENS9_8equal_toIvEEiEE10hipError_tPvRmT2_T3_T4_T5_mT6_T7_P12ihipStream_tbENKUlT_T0_E_clISt17integral_constantIbLb1EESW_EEDaSR_SS_EUlSR_E_NS1_11comp_targetILNS1_3genE3ELNS1_11target_archE908ELNS1_3gpuE7ELNS1_3repE0EEENS1_30default_config_static_selectorELNS0_4arch9wavefront6targetE1EEEvT1_
	.globl	_ZN7rocprim17ROCPRIM_400000_NS6detail17trampoline_kernelINS0_14default_configENS1_27scan_by_key_config_selectorIiiEEZZNS1_16scan_by_key_implILNS1_25lookback_scan_determinismE0ELb0ES3_N6thrust23THRUST_200600_302600_NS10device_ptrIiEESB_SB_iNS9_4plusIvEENS9_8equal_toIvEEiEE10hipError_tPvRmT2_T3_T4_T5_mT6_T7_P12ihipStream_tbENKUlT_T0_E_clISt17integral_constantIbLb1EESW_EEDaSR_SS_EUlSR_E_NS1_11comp_targetILNS1_3genE3ELNS1_11target_archE908ELNS1_3gpuE7ELNS1_3repE0EEENS1_30default_config_static_selectorELNS0_4arch9wavefront6targetE1EEEvT1_
	.p2align	8
	.type	_ZN7rocprim17ROCPRIM_400000_NS6detail17trampoline_kernelINS0_14default_configENS1_27scan_by_key_config_selectorIiiEEZZNS1_16scan_by_key_implILNS1_25lookback_scan_determinismE0ELb0ES3_N6thrust23THRUST_200600_302600_NS10device_ptrIiEESB_SB_iNS9_4plusIvEENS9_8equal_toIvEEiEE10hipError_tPvRmT2_T3_T4_T5_mT6_T7_P12ihipStream_tbENKUlT_T0_E_clISt17integral_constantIbLb1EESW_EEDaSR_SS_EUlSR_E_NS1_11comp_targetILNS1_3genE3ELNS1_11target_archE908ELNS1_3gpuE7ELNS1_3repE0EEENS1_30default_config_static_selectorELNS0_4arch9wavefront6targetE1EEEvT1_,@function
_ZN7rocprim17ROCPRIM_400000_NS6detail17trampoline_kernelINS0_14default_configENS1_27scan_by_key_config_selectorIiiEEZZNS1_16scan_by_key_implILNS1_25lookback_scan_determinismE0ELb0ES3_N6thrust23THRUST_200600_302600_NS10device_ptrIiEESB_SB_iNS9_4plusIvEENS9_8equal_toIvEEiEE10hipError_tPvRmT2_T3_T4_T5_mT6_T7_P12ihipStream_tbENKUlT_T0_E_clISt17integral_constantIbLb1EESW_EEDaSR_SS_EUlSR_E_NS1_11comp_targetILNS1_3genE3ELNS1_11target_archE908ELNS1_3gpuE7ELNS1_3repE0EEENS1_30default_config_static_selectorELNS0_4arch9wavefront6targetE1EEEvT1_: ; @_ZN7rocprim17ROCPRIM_400000_NS6detail17trampoline_kernelINS0_14default_configENS1_27scan_by_key_config_selectorIiiEEZZNS1_16scan_by_key_implILNS1_25lookback_scan_determinismE0ELb0ES3_N6thrust23THRUST_200600_302600_NS10device_ptrIiEESB_SB_iNS9_4plusIvEENS9_8equal_toIvEEiEE10hipError_tPvRmT2_T3_T4_T5_mT6_T7_P12ihipStream_tbENKUlT_T0_E_clISt17integral_constantIbLb1EESW_EEDaSR_SS_EUlSR_E_NS1_11comp_targetILNS1_3genE3ELNS1_11target_archE908ELNS1_3gpuE7ELNS1_3repE0EEENS1_30default_config_static_selectorELNS0_4arch9wavefront6targetE1EEEvT1_
; %bb.0:
	.section	.rodata,"a",@progbits
	.p2align	6, 0x0
	.amdhsa_kernel _ZN7rocprim17ROCPRIM_400000_NS6detail17trampoline_kernelINS0_14default_configENS1_27scan_by_key_config_selectorIiiEEZZNS1_16scan_by_key_implILNS1_25lookback_scan_determinismE0ELb0ES3_N6thrust23THRUST_200600_302600_NS10device_ptrIiEESB_SB_iNS9_4plusIvEENS9_8equal_toIvEEiEE10hipError_tPvRmT2_T3_T4_T5_mT6_T7_P12ihipStream_tbENKUlT_T0_E_clISt17integral_constantIbLb1EESW_EEDaSR_SS_EUlSR_E_NS1_11comp_targetILNS1_3genE3ELNS1_11target_archE908ELNS1_3gpuE7ELNS1_3repE0EEENS1_30default_config_static_selectorELNS0_4arch9wavefront6targetE1EEEvT1_
		.amdhsa_group_segment_fixed_size 0
		.amdhsa_private_segment_fixed_size 0
		.amdhsa_kernarg_size 112
		.amdhsa_user_sgpr_count 2
		.amdhsa_user_sgpr_dispatch_ptr 0
		.amdhsa_user_sgpr_queue_ptr 0
		.amdhsa_user_sgpr_kernarg_segment_ptr 1
		.amdhsa_user_sgpr_dispatch_id 0
		.amdhsa_user_sgpr_kernarg_preload_length 0
		.amdhsa_user_sgpr_kernarg_preload_offset 0
		.amdhsa_user_sgpr_private_segment_size 0
		.amdhsa_uses_dynamic_stack 0
		.amdhsa_enable_private_segment 0
		.amdhsa_system_sgpr_workgroup_id_x 1
		.amdhsa_system_sgpr_workgroup_id_y 0
		.amdhsa_system_sgpr_workgroup_id_z 0
		.amdhsa_system_sgpr_workgroup_info 0
		.amdhsa_system_vgpr_workitem_id 0
		.amdhsa_next_free_vgpr 1
		.amdhsa_next_free_sgpr 0
		.amdhsa_accum_offset 4
		.amdhsa_reserve_vcc 0
		.amdhsa_float_round_mode_32 0
		.amdhsa_float_round_mode_16_64 0
		.amdhsa_float_denorm_mode_32 3
		.amdhsa_float_denorm_mode_16_64 3
		.amdhsa_dx10_clamp 1
		.amdhsa_ieee_mode 1
		.amdhsa_fp16_overflow 0
		.amdhsa_tg_split 0
		.amdhsa_exception_fp_ieee_invalid_op 0
		.amdhsa_exception_fp_denorm_src 0
		.amdhsa_exception_fp_ieee_div_zero 0
		.amdhsa_exception_fp_ieee_overflow 0
		.amdhsa_exception_fp_ieee_underflow 0
		.amdhsa_exception_fp_ieee_inexact 0
		.amdhsa_exception_int_div_zero 0
	.end_amdhsa_kernel
	.section	.text._ZN7rocprim17ROCPRIM_400000_NS6detail17trampoline_kernelINS0_14default_configENS1_27scan_by_key_config_selectorIiiEEZZNS1_16scan_by_key_implILNS1_25lookback_scan_determinismE0ELb0ES3_N6thrust23THRUST_200600_302600_NS10device_ptrIiEESB_SB_iNS9_4plusIvEENS9_8equal_toIvEEiEE10hipError_tPvRmT2_T3_T4_T5_mT6_T7_P12ihipStream_tbENKUlT_T0_E_clISt17integral_constantIbLb1EESW_EEDaSR_SS_EUlSR_E_NS1_11comp_targetILNS1_3genE3ELNS1_11target_archE908ELNS1_3gpuE7ELNS1_3repE0EEENS1_30default_config_static_selectorELNS0_4arch9wavefront6targetE1EEEvT1_,"axG",@progbits,_ZN7rocprim17ROCPRIM_400000_NS6detail17trampoline_kernelINS0_14default_configENS1_27scan_by_key_config_selectorIiiEEZZNS1_16scan_by_key_implILNS1_25lookback_scan_determinismE0ELb0ES3_N6thrust23THRUST_200600_302600_NS10device_ptrIiEESB_SB_iNS9_4plusIvEENS9_8equal_toIvEEiEE10hipError_tPvRmT2_T3_T4_T5_mT6_T7_P12ihipStream_tbENKUlT_T0_E_clISt17integral_constantIbLb1EESW_EEDaSR_SS_EUlSR_E_NS1_11comp_targetILNS1_3genE3ELNS1_11target_archE908ELNS1_3gpuE7ELNS1_3repE0EEENS1_30default_config_static_selectorELNS0_4arch9wavefront6targetE1EEEvT1_,comdat
.Lfunc_end2209:
	.size	_ZN7rocprim17ROCPRIM_400000_NS6detail17trampoline_kernelINS0_14default_configENS1_27scan_by_key_config_selectorIiiEEZZNS1_16scan_by_key_implILNS1_25lookback_scan_determinismE0ELb0ES3_N6thrust23THRUST_200600_302600_NS10device_ptrIiEESB_SB_iNS9_4plusIvEENS9_8equal_toIvEEiEE10hipError_tPvRmT2_T3_T4_T5_mT6_T7_P12ihipStream_tbENKUlT_T0_E_clISt17integral_constantIbLb1EESW_EEDaSR_SS_EUlSR_E_NS1_11comp_targetILNS1_3genE3ELNS1_11target_archE908ELNS1_3gpuE7ELNS1_3repE0EEENS1_30default_config_static_selectorELNS0_4arch9wavefront6targetE1EEEvT1_, .Lfunc_end2209-_ZN7rocprim17ROCPRIM_400000_NS6detail17trampoline_kernelINS0_14default_configENS1_27scan_by_key_config_selectorIiiEEZZNS1_16scan_by_key_implILNS1_25lookback_scan_determinismE0ELb0ES3_N6thrust23THRUST_200600_302600_NS10device_ptrIiEESB_SB_iNS9_4plusIvEENS9_8equal_toIvEEiEE10hipError_tPvRmT2_T3_T4_T5_mT6_T7_P12ihipStream_tbENKUlT_T0_E_clISt17integral_constantIbLb1EESW_EEDaSR_SS_EUlSR_E_NS1_11comp_targetILNS1_3genE3ELNS1_11target_archE908ELNS1_3gpuE7ELNS1_3repE0EEENS1_30default_config_static_selectorELNS0_4arch9wavefront6targetE1EEEvT1_
                                        ; -- End function
	.section	.AMDGPU.csdata,"",@progbits
; Kernel info:
; codeLenInByte = 0
; NumSgprs: 6
; NumVgprs: 0
; NumAgprs: 0
; TotalNumVgprs: 0
; ScratchSize: 0
; MemoryBound: 0
; FloatMode: 240
; IeeeMode: 1
; LDSByteSize: 0 bytes/workgroup (compile time only)
; SGPRBlocks: 0
; VGPRBlocks: 0
; NumSGPRsForWavesPerEU: 6
; NumVGPRsForWavesPerEU: 1
; AccumOffset: 4
; Occupancy: 8
; WaveLimiterHint : 0
; COMPUTE_PGM_RSRC2:SCRATCH_EN: 0
; COMPUTE_PGM_RSRC2:USER_SGPR: 2
; COMPUTE_PGM_RSRC2:TRAP_HANDLER: 0
; COMPUTE_PGM_RSRC2:TGID_X_EN: 1
; COMPUTE_PGM_RSRC2:TGID_Y_EN: 0
; COMPUTE_PGM_RSRC2:TGID_Z_EN: 0
; COMPUTE_PGM_RSRC2:TIDIG_COMP_CNT: 0
; COMPUTE_PGM_RSRC3_GFX90A:ACCUM_OFFSET: 0
; COMPUTE_PGM_RSRC3_GFX90A:TG_SPLIT: 0
	.section	.text._ZN7rocprim17ROCPRIM_400000_NS6detail17trampoline_kernelINS0_14default_configENS1_27scan_by_key_config_selectorIiiEEZZNS1_16scan_by_key_implILNS1_25lookback_scan_determinismE0ELb0ES3_N6thrust23THRUST_200600_302600_NS10device_ptrIiEESB_SB_iNS9_4plusIvEENS9_8equal_toIvEEiEE10hipError_tPvRmT2_T3_T4_T5_mT6_T7_P12ihipStream_tbENKUlT_T0_E_clISt17integral_constantIbLb1EESW_EEDaSR_SS_EUlSR_E_NS1_11comp_targetILNS1_3genE2ELNS1_11target_archE906ELNS1_3gpuE6ELNS1_3repE0EEENS1_30default_config_static_selectorELNS0_4arch9wavefront6targetE1EEEvT1_,"axG",@progbits,_ZN7rocprim17ROCPRIM_400000_NS6detail17trampoline_kernelINS0_14default_configENS1_27scan_by_key_config_selectorIiiEEZZNS1_16scan_by_key_implILNS1_25lookback_scan_determinismE0ELb0ES3_N6thrust23THRUST_200600_302600_NS10device_ptrIiEESB_SB_iNS9_4plusIvEENS9_8equal_toIvEEiEE10hipError_tPvRmT2_T3_T4_T5_mT6_T7_P12ihipStream_tbENKUlT_T0_E_clISt17integral_constantIbLb1EESW_EEDaSR_SS_EUlSR_E_NS1_11comp_targetILNS1_3genE2ELNS1_11target_archE906ELNS1_3gpuE6ELNS1_3repE0EEENS1_30default_config_static_selectorELNS0_4arch9wavefront6targetE1EEEvT1_,comdat
	.protected	_ZN7rocprim17ROCPRIM_400000_NS6detail17trampoline_kernelINS0_14default_configENS1_27scan_by_key_config_selectorIiiEEZZNS1_16scan_by_key_implILNS1_25lookback_scan_determinismE0ELb0ES3_N6thrust23THRUST_200600_302600_NS10device_ptrIiEESB_SB_iNS9_4plusIvEENS9_8equal_toIvEEiEE10hipError_tPvRmT2_T3_T4_T5_mT6_T7_P12ihipStream_tbENKUlT_T0_E_clISt17integral_constantIbLb1EESW_EEDaSR_SS_EUlSR_E_NS1_11comp_targetILNS1_3genE2ELNS1_11target_archE906ELNS1_3gpuE6ELNS1_3repE0EEENS1_30default_config_static_selectorELNS0_4arch9wavefront6targetE1EEEvT1_ ; -- Begin function _ZN7rocprim17ROCPRIM_400000_NS6detail17trampoline_kernelINS0_14default_configENS1_27scan_by_key_config_selectorIiiEEZZNS1_16scan_by_key_implILNS1_25lookback_scan_determinismE0ELb0ES3_N6thrust23THRUST_200600_302600_NS10device_ptrIiEESB_SB_iNS9_4plusIvEENS9_8equal_toIvEEiEE10hipError_tPvRmT2_T3_T4_T5_mT6_T7_P12ihipStream_tbENKUlT_T0_E_clISt17integral_constantIbLb1EESW_EEDaSR_SS_EUlSR_E_NS1_11comp_targetILNS1_3genE2ELNS1_11target_archE906ELNS1_3gpuE6ELNS1_3repE0EEENS1_30default_config_static_selectorELNS0_4arch9wavefront6targetE1EEEvT1_
	.globl	_ZN7rocprim17ROCPRIM_400000_NS6detail17trampoline_kernelINS0_14default_configENS1_27scan_by_key_config_selectorIiiEEZZNS1_16scan_by_key_implILNS1_25lookback_scan_determinismE0ELb0ES3_N6thrust23THRUST_200600_302600_NS10device_ptrIiEESB_SB_iNS9_4plusIvEENS9_8equal_toIvEEiEE10hipError_tPvRmT2_T3_T4_T5_mT6_T7_P12ihipStream_tbENKUlT_T0_E_clISt17integral_constantIbLb1EESW_EEDaSR_SS_EUlSR_E_NS1_11comp_targetILNS1_3genE2ELNS1_11target_archE906ELNS1_3gpuE6ELNS1_3repE0EEENS1_30default_config_static_selectorELNS0_4arch9wavefront6targetE1EEEvT1_
	.p2align	8
	.type	_ZN7rocprim17ROCPRIM_400000_NS6detail17trampoline_kernelINS0_14default_configENS1_27scan_by_key_config_selectorIiiEEZZNS1_16scan_by_key_implILNS1_25lookback_scan_determinismE0ELb0ES3_N6thrust23THRUST_200600_302600_NS10device_ptrIiEESB_SB_iNS9_4plusIvEENS9_8equal_toIvEEiEE10hipError_tPvRmT2_T3_T4_T5_mT6_T7_P12ihipStream_tbENKUlT_T0_E_clISt17integral_constantIbLb1EESW_EEDaSR_SS_EUlSR_E_NS1_11comp_targetILNS1_3genE2ELNS1_11target_archE906ELNS1_3gpuE6ELNS1_3repE0EEENS1_30default_config_static_selectorELNS0_4arch9wavefront6targetE1EEEvT1_,@function
_ZN7rocprim17ROCPRIM_400000_NS6detail17trampoline_kernelINS0_14default_configENS1_27scan_by_key_config_selectorIiiEEZZNS1_16scan_by_key_implILNS1_25lookback_scan_determinismE0ELb0ES3_N6thrust23THRUST_200600_302600_NS10device_ptrIiEESB_SB_iNS9_4plusIvEENS9_8equal_toIvEEiEE10hipError_tPvRmT2_T3_T4_T5_mT6_T7_P12ihipStream_tbENKUlT_T0_E_clISt17integral_constantIbLb1EESW_EEDaSR_SS_EUlSR_E_NS1_11comp_targetILNS1_3genE2ELNS1_11target_archE906ELNS1_3gpuE6ELNS1_3repE0EEENS1_30default_config_static_selectorELNS0_4arch9wavefront6targetE1EEEvT1_: ; @_ZN7rocprim17ROCPRIM_400000_NS6detail17trampoline_kernelINS0_14default_configENS1_27scan_by_key_config_selectorIiiEEZZNS1_16scan_by_key_implILNS1_25lookback_scan_determinismE0ELb0ES3_N6thrust23THRUST_200600_302600_NS10device_ptrIiEESB_SB_iNS9_4plusIvEENS9_8equal_toIvEEiEE10hipError_tPvRmT2_T3_T4_T5_mT6_T7_P12ihipStream_tbENKUlT_T0_E_clISt17integral_constantIbLb1EESW_EEDaSR_SS_EUlSR_E_NS1_11comp_targetILNS1_3genE2ELNS1_11target_archE906ELNS1_3gpuE6ELNS1_3repE0EEENS1_30default_config_static_selectorELNS0_4arch9wavefront6targetE1EEEvT1_
; %bb.0:
	.section	.rodata,"a",@progbits
	.p2align	6, 0x0
	.amdhsa_kernel _ZN7rocprim17ROCPRIM_400000_NS6detail17trampoline_kernelINS0_14default_configENS1_27scan_by_key_config_selectorIiiEEZZNS1_16scan_by_key_implILNS1_25lookback_scan_determinismE0ELb0ES3_N6thrust23THRUST_200600_302600_NS10device_ptrIiEESB_SB_iNS9_4plusIvEENS9_8equal_toIvEEiEE10hipError_tPvRmT2_T3_T4_T5_mT6_T7_P12ihipStream_tbENKUlT_T0_E_clISt17integral_constantIbLb1EESW_EEDaSR_SS_EUlSR_E_NS1_11comp_targetILNS1_3genE2ELNS1_11target_archE906ELNS1_3gpuE6ELNS1_3repE0EEENS1_30default_config_static_selectorELNS0_4arch9wavefront6targetE1EEEvT1_
		.amdhsa_group_segment_fixed_size 0
		.amdhsa_private_segment_fixed_size 0
		.amdhsa_kernarg_size 112
		.amdhsa_user_sgpr_count 2
		.amdhsa_user_sgpr_dispatch_ptr 0
		.amdhsa_user_sgpr_queue_ptr 0
		.amdhsa_user_sgpr_kernarg_segment_ptr 1
		.amdhsa_user_sgpr_dispatch_id 0
		.amdhsa_user_sgpr_kernarg_preload_length 0
		.amdhsa_user_sgpr_kernarg_preload_offset 0
		.amdhsa_user_sgpr_private_segment_size 0
		.amdhsa_uses_dynamic_stack 0
		.amdhsa_enable_private_segment 0
		.amdhsa_system_sgpr_workgroup_id_x 1
		.amdhsa_system_sgpr_workgroup_id_y 0
		.amdhsa_system_sgpr_workgroup_id_z 0
		.amdhsa_system_sgpr_workgroup_info 0
		.amdhsa_system_vgpr_workitem_id 0
		.amdhsa_next_free_vgpr 1
		.amdhsa_next_free_sgpr 0
		.amdhsa_accum_offset 4
		.amdhsa_reserve_vcc 0
		.amdhsa_float_round_mode_32 0
		.amdhsa_float_round_mode_16_64 0
		.amdhsa_float_denorm_mode_32 3
		.amdhsa_float_denorm_mode_16_64 3
		.amdhsa_dx10_clamp 1
		.amdhsa_ieee_mode 1
		.amdhsa_fp16_overflow 0
		.amdhsa_tg_split 0
		.amdhsa_exception_fp_ieee_invalid_op 0
		.amdhsa_exception_fp_denorm_src 0
		.amdhsa_exception_fp_ieee_div_zero 0
		.amdhsa_exception_fp_ieee_overflow 0
		.amdhsa_exception_fp_ieee_underflow 0
		.amdhsa_exception_fp_ieee_inexact 0
		.amdhsa_exception_int_div_zero 0
	.end_amdhsa_kernel
	.section	.text._ZN7rocprim17ROCPRIM_400000_NS6detail17trampoline_kernelINS0_14default_configENS1_27scan_by_key_config_selectorIiiEEZZNS1_16scan_by_key_implILNS1_25lookback_scan_determinismE0ELb0ES3_N6thrust23THRUST_200600_302600_NS10device_ptrIiEESB_SB_iNS9_4plusIvEENS9_8equal_toIvEEiEE10hipError_tPvRmT2_T3_T4_T5_mT6_T7_P12ihipStream_tbENKUlT_T0_E_clISt17integral_constantIbLb1EESW_EEDaSR_SS_EUlSR_E_NS1_11comp_targetILNS1_3genE2ELNS1_11target_archE906ELNS1_3gpuE6ELNS1_3repE0EEENS1_30default_config_static_selectorELNS0_4arch9wavefront6targetE1EEEvT1_,"axG",@progbits,_ZN7rocprim17ROCPRIM_400000_NS6detail17trampoline_kernelINS0_14default_configENS1_27scan_by_key_config_selectorIiiEEZZNS1_16scan_by_key_implILNS1_25lookback_scan_determinismE0ELb0ES3_N6thrust23THRUST_200600_302600_NS10device_ptrIiEESB_SB_iNS9_4plusIvEENS9_8equal_toIvEEiEE10hipError_tPvRmT2_T3_T4_T5_mT6_T7_P12ihipStream_tbENKUlT_T0_E_clISt17integral_constantIbLb1EESW_EEDaSR_SS_EUlSR_E_NS1_11comp_targetILNS1_3genE2ELNS1_11target_archE906ELNS1_3gpuE6ELNS1_3repE0EEENS1_30default_config_static_selectorELNS0_4arch9wavefront6targetE1EEEvT1_,comdat
.Lfunc_end2210:
	.size	_ZN7rocprim17ROCPRIM_400000_NS6detail17trampoline_kernelINS0_14default_configENS1_27scan_by_key_config_selectorIiiEEZZNS1_16scan_by_key_implILNS1_25lookback_scan_determinismE0ELb0ES3_N6thrust23THRUST_200600_302600_NS10device_ptrIiEESB_SB_iNS9_4plusIvEENS9_8equal_toIvEEiEE10hipError_tPvRmT2_T3_T4_T5_mT6_T7_P12ihipStream_tbENKUlT_T0_E_clISt17integral_constantIbLb1EESW_EEDaSR_SS_EUlSR_E_NS1_11comp_targetILNS1_3genE2ELNS1_11target_archE906ELNS1_3gpuE6ELNS1_3repE0EEENS1_30default_config_static_selectorELNS0_4arch9wavefront6targetE1EEEvT1_, .Lfunc_end2210-_ZN7rocprim17ROCPRIM_400000_NS6detail17trampoline_kernelINS0_14default_configENS1_27scan_by_key_config_selectorIiiEEZZNS1_16scan_by_key_implILNS1_25lookback_scan_determinismE0ELb0ES3_N6thrust23THRUST_200600_302600_NS10device_ptrIiEESB_SB_iNS9_4plusIvEENS9_8equal_toIvEEiEE10hipError_tPvRmT2_T3_T4_T5_mT6_T7_P12ihipStream_tbENKUlT_T0_E_clISt17integral_constantIbLb1EESW_EEDaSR_SS_EUlSR_E_NS1_11comp_targetILNS1_3genE2ELNS1_11target_archE906ELNS1_3gpuE6ELNS1_3repE0EEENS1_30default_config_static_selectorELNS0_4arch9wavefront6targetE1EEEvT1_
                                        ; -- End function
	.section	.AMDGPU.csdata,"",@progbits
; Kernel info:
; codeLenInByte = 0
; NumSgprs: 6
; NumVgprs: 0
; NumAgprs: 0
; TotalNumVgprs: 0
; ScratchSize: 0
; MemoryBound: 0
; FloatMode: 240
; IeeeMode: 1
; LDSByteSize: 0 bytes/workgroup (compile time only)
; SGPRBlocks: 0
; VGPRBlocks: 0
; NumSGPRsForWavesPerEU: 6
; NumVGPRsForWavesPerEU: 1
; AccumOffset: 4
; Occupancy: 8
; WaveLimiterHint : 0
; COMPUTE_PGM_RSRC2:SCRATCH_EN: 0
; COMPUTE_PGM_RSRC2:USER_SGPR: 2
; COMPUTE_PGM_RSRC2:TRAP_HANDLER: 0
; COMPUTE_PGM_RSRC2:TGID_X_EN: 1
; COMPUTE_PGM_RSRC2:TGID_Y_EN: 0
; COMPUTE_PGM_RSRC2:TGID_Z_EN: 0
; COMPUTE_PGM_RSRC2:TIDIG_COMP_CNT: 0
; COMPUTE_PGM_RSRC3_GFX90A:ACCUM_OFFSET: 0
; COMPUTE_PGM_RSRC3_GFX90A:TG_SPLIT: 0
	.section	.text._ZN7rocprim17ROCPRIM_400000_NS6detail17trampoline_kernelINS0_14default_configENS1_27scan_by_key_config_selectorIiiEEZZNS1_16scan_by_key_implILNS1_25lookback_scan_determinismE0ELb0ES3_N6thrust23THRUST_200600_302600_NS10device_ptrIiEESB_SB_iNS9_4plusIvEENS9_8equal_toIvEEiEE10hipError_tPvRmT2_T3_T4_T5_mT6_T7_P12ihipStream_tbENKUlT_T0_E_clISt17integral_constantIbLb1EESW_EEDaSR_SS_EUlSR_E_NS1_11comp_targetILNS1_3genE10ELNS1_11target_archE1200ELNS1_3gpuE4ELNS1_3repE0EEENS1_30default_config_static_selectorELNS0_4arch9wavefront6targetE1EEEvT1_,"axG",@progbits,_ZN7rocprim17ROCPRIM_400000_NS6detail17trampoline_kernelINS0_14default_configENS1_27scan_by_key_config_selectorIiiEEZZNS1_16scan_by_key_implILNS1_25lookback_scan_determinismE0ELb0ES3_N6thrust23THRUST_200600_302600_NS10device_ptrIiEESB_SB_iNS9_4plusIvEENS9_8equal_toIvEEiEE10hipError_tPvRmT2_T3_T4_T5_mT6_T7_P12ihipStream_tbENKUlT_T0_E_clISt17integral_constantIbLb1EESW_EEDaSR_SS_EUlSR_E_NS1_11comp_targetILNS1_3genE10ELNS1_11target_archE1200ELNS1_3gpuE4ELNS1_3repE0EEENS1_30default_config_static_selectorELNS0_4arch9wavefront6targetE1EEEvT1_,comdat
	.protected	_ZN7rocprim17ROCPRIM_400000_NS6detail17trampoline_kernelINS0_14default_configENS1_27scan_by_key_config_selectorIiiEEZZNS1_16scan_by_key_implILNS1_25lookback_scan_determinismE0ELb0ES3_N6thrust23THRUST_200600_302600_NS10device_ptrIiEESB_SB_iNS9_4plusIvEENS9_8equal_toIvEEiEE10hipError_tPvRmT2_T3_T4_T5_mT6_T7_P12ihipStream_tbENKUlT_T0_E_clISt17integral_constantIbLb1EESW_EEDaSR_SS_EUlSR_E_NS1_11comp_targetILNS1_3genE10ELNS1_11target_archE1200ELNS1_3gpuE4ELNS1_3repE0EEENS1_30default_config_static_selectorELNS0_4arch9wavefront6targetE1EEEvT1_ ; -- Begin function _ZN7rocprim17ROCPRIM_400000_NS6detail17trampoline_kernelINS0_14default_configENS1_27scan_by_key_config_selectorIiiEEZZNS1_16scan_by_key_implILNS1_25lookback_scan_determinismE0ELb0ES3_N6thrust23THRUST_200600_302600_NS10device_ptrIiEESB_SB_iNS9_4plusIvEENS9_8equal_toIvEEiEE10hipError_tPvRmT2_T3_T4_T5_mT6_T7_P12ihipStream_tbENKUlT_T0_E_clISt17integral_constantIbLb1EESW_EEDaSR_SS_EUlSR_E_NS1_11comp_targetILNS1_3genE10ELNS1_11target_archE1200ELNS1_3gpuE4ELNS1_3repE0EEENS1_30default_config_static_selectorELNS0_4arch9wavefront6targetE1EEEvT1_
	.globl	_ZN7rocprim17ROCPRIM_400000_NS6detail17trampoline_kernelINS0_14default_configENS1_27scan_by_key_config_selectorIiiEEZZNS1_16scan_by_key_implILNS1_25lookback_scan_determinismE0ELb0ES3_N6thrust23THRUST_200600_302600_NS10device_ptrIiEESB_SB_iNS9_4plusIvEENS9_8equal_toIvEEiEE10hipError_tPvRmT2_T3_T4_T5_mT6_T7_P12ihipStream_tbENKUlT_T0_E_clISt17integral_constantIbLb1EESW_EEDaSR_SS_EUlSR_E_NS1_11comp_targetILNS1_3genE10ELNS1_11target_archE1200ELNS1_3gpuE4ELNS1_3repE0EEENS1_30default_config_static_selectorELNS0_4arch9wavefront6targetE1EEEvT1_
	.p2align	8
	.type	_ZN7rocprim17ROCPRIM_400000_NS6detail17trampoline_kernelINS0_14default_configENS1_27scan_by_key_config_selectorIiiEEZZNS1_16scan_by_key_implILNS1_25lookback_scan_determinismE0ELb0ES3_N6thrust23THRUST_200600_302600_NS10device_ptrIiEESB_SB_iNS9_4plusIvEENS9_8equal_toIvEEiEE10hipError_tPvRmT2_T3_T4_T5_mT6_T7_P12ihipStream_tbENKUlT_T0_E_clISt17integral_constantIbLb1EESW_EEDaSR_SS_EUlSR_E_NS1_11comp_targetILNS1_3genE10ELNS1_11target_archE1200ELNS1_3gpuE4ELNS1_3repE0EEENS1_30default_config_static_selectorELNS0_4arch9wavefront6targetE1EEEvT1_,@function
_ZN7rocprim17ROCPRIM_400000_NS6detail17trampoline_kernelINS0_14default_configENS1_27scan_by_key_config_selectorIiiEEZZNS1_16scan_by_key_implILNS1_25lookback_scan_determinismE0ELb0ES3_N6thrust23THRUST_200600_302600_NS10device_ptrIiEESB_SB_iNS9_4plusIvEENS9_8equal_toIvEEiEE10hipError_tPvRmT2_T3_T4_T5_mT6_T7_P12ihipStream_tbENKUlT_T0_E_clISt17integral_constantIbLb1EESW_EEDaSR_SS_EUlSR_E_NS1_11comp_targetILNS1_3genE10ELNS1_11target_archE1200ELNS1_3gpuE4ELNS1_3repE0EEENS1_30default_config_static_selectorELNS0_4arch9wavefront6targetE1EEEvT1_: ; @_ZN7rocprim17ROCPRIM_400000_NS6detail17trampoline_kernelINS0_14default_configENS1_27scan_by_key_config_selectorIiiEEZZNS1_16scan_by_key_implILNS1_25lookback_scan_determinismE0ELb0ES3_N6thrust23THRUST_200600_302600_NS10device_ptrIiEESB_SB_iNS9_4plusIvEENS9_8equal_toIvEEiEE10hipError_tPvRmT2_T3_T4_T5_mT6_T7_P12ihipStream_tbENKUlT_T0_E_clISt17integral_constantIbLb1EESW_EEDaSR_SS_EUlSR_E_NS1_11comp_targetILNS1_3genE10ELNS1_11target_archE1200ELNS1_3gpuE4ELNS1_3repE0EEENS1_30default_config_static_selectorELNS0_4arch9wavefront6targetE1EEEvT1_
; %bb.0:
	.section	.rodata,"a",@progbits
	.p2align	6, 0x0
	.amdhsa_kernel _ZN7rocprim17ROCPRIM_400000_NS6detail17trampoline_kernelINS0_14default_configENS1_27scan_by_key_config_selectorIiiEEZZNS1_16scan_by_key_implILNS1_25lookback_scan_determinismE0ELb0ES3_N6thrust23THRUST_200600_302600_NS10device_ptrIiEESB_SB_iNS9_4plusIvEENS9_8equal_toIvEEiEE10hipError_tPvRmT2_T3_T4_T5_mT6_T7_P12ihipStream_tbENKUlT_T0_E_clISt17integral_constantIbLb1EESW_EEDaSR_SS_EUlSR_E_NS1_11comp_targetILNS1_3genE10ELNS1_11target_archE1200ELNS1_3gpuE4ELNS1_3repE0EEENS1_30default_config_static_selectorELNS0_4arch9wavefront6targetE1EEEvT1_
		.amdhsa_group_segment_fixed_size 0
		.amdhsa_private_segment_fixed_size 0
		.amdhsa_kernarg_size 112
		.amdhsa_user_sgpr_count 2
		.amdhsa_user_sgpr_dispatch_ptr 0
		.amdhsa_user_sgpr_queue_ptr 0
		.amdhsa_user_sgpr_kernarg_segment_ptr 1
		.amdhsa_user_sgpr_dispatch_id 0
		.amdhsa_user_sgpr_kernarg_preload_length 0
		.amdhsa_user_sgpr_kernarg_preload_offset 0
		.amdhsa_user_sgpr_private_segment_size 0
		.amdhsa_uses_dynamic_stack 0
		.amdhsa_enable_private_segment 0
		.amdhsa_system_sgpr_workgroup_id_x 1
		.amdhsa_system_sgpr_workgroup_id_y 0
		.amdhsa_system_sgpr_workgroup_id_z 0
		.amdhsa_system_sgpr_workgroup_info 0
		.amdhsa_system_vgpr_workitem_id 0
		.amdhsa_next_free_vgpr 1
		.amdhsa_next_free_sgpr 0
		.amdhsa_accum_offset 4
		.amdhsa_reserve_vcc 0
		.amdhsa_float_round_mode_32 0
		.amdhsa_float_round_mode_16_64 0
		.amdhsa_float_denorm_mode_32 3
		.amdhsa_float_denorm_mode_16_64 3
		.amdhsa_dx10_clamp 1
		.amdhsa_ieee_mode 1
		.amdhsa_fp16_overflow 0
		.amdhsa_tg_split 0
		.amdhsa_exception_fp_ieee_invalid_op 0
		.amdhsa_exception_fp_denorm_src 0
		.amdhsa_exception_fp_ieee_div_zero 0
		.amdhsa_exception_fp_ieee_overflow 0
		.amdhsa_exception_fp_ieee_underflow 0
		.amdhsa_exception_fp_ieee_inexact 0
		.amdhsa_exception_int_div_zero 0
	.end_amdhsa_kernel
	.section	.text._ZN7rocprim17ROCPRIM_400000_NS6detail17trampoline_kernelINS0_14default_configENS1_27scan_by_key_config_selectorIiiEEZZNS1_16scan_by_key_implILNS1_25lookback_scan_determinismE0ELb0ES3_N6thrust23THRUST_200600_302600_NS10device_ptrIiEESB_SB_iNS9_4plusIvEENS9_8equal_toIvEEiEE10hipError_tPvRmT2_T3_T4_T5_mT6_T7_P12ihipStream_tbENKUlT_T0_E_clISt17integral_constantIbLb1EESW_EEDaSR_SS_EUlSR_E_NS1_11comp_targetILNS1_3genE10ELNS1_11target_archE1200ELNS1_3gpuE4ELNS1_3repE0EEENS1_30default_config_static_selectorELNS0_4arch9wavefront6targetE1EEEvT1_,"axG",@progbits,_ZN7rocprim17ROCPRIM_400000_NS6detail17trampoline_kernelINS0_14default_configENS1_27scan_by_key_config_selectorIiiEEZZNS1_16scan_by_key_implILNS1_25lookback_scan_determinismE0ELb0ES3_N6thrust23THRUST_200600_302600_NS10device_ptrIiEESB_SB_iNS9_4plusIvEENS9_8equal_toIvEEiEE10hipError_tPvRmT2_T3_T4_T5_mT6_T7_P12ihipStream_tbENKUlT_T0_E_clISt17integral_constantIbLb1EESW_EEDaSR_SS_EUlSR_E_NS1_11comp_targetILNS1_3genE10ELNS1_11target_archE1200ELNS1_3gpuE4ELNS1_3repE0EEENS1_30default_config_static_selectorELNS0_4arch9wavefront6targetE1EEEvT1_,comdat
.Lfunc_end2211:
	.size	_ZN7rocprim17ROCPRIM_400000_NS6detail17trampoline_kernelINS0_14default_configENS1_27scan_by_key_config_selectorIiiEEZZNS1_16scan_by_key_implILNS1_25lookback_scan_determinismE0ELb0ES3_N6thrust23THRUST_200600_302600_NS10device_ptrIiEESB_SB_iNS9_4plusIvEENS9_8equal_toIvEEiEE10hipError_tPvRmT2_T3_T4_T5_mT6_T7_P12ihipStream_tbENKUlT_T0_E_clISt17integral_constantIbLb1EESW_EEDaSR_SS_EUlSR_E_NS1_11comp_targetILNS1_3genE10ELNS1_11target_archE1200ELNS1_3gpuE4ELNS1_3repE0EEENS1_30default_config_static_selectorELNS0_4arch9wavefront6targetE1EEEvT1_, .Lfunc_end2211-_ZN7rocprim17ROCPRIM_400000_NS6detail17trampoline_kernelINS0_14default_configENS1_27scan_by_key_config_selectorIiiEEZZNS1_16scan_by_key_implILNS1_25lookback_scan_determinismE0ELb0ES3_N6thrust23THRUST_200600_302600_NS10device_ptrIiEESB_SB_iNS9_4plusIvEENS9_8equal_toIvEEiEE10hipError_tPvRmT2_T3_T4_T5_mT6_T7_P12ihipStream_tbENKUlT_T0_E_clISt17integral_constantIbLb1EESW_EEDaSR_SS_EUlSR_E_NS1_11comp_targetILNS1_3genE10ELNS1_11target_archE1200ELNS1_3gpuE4ELNS1_3repE0EEENS1_30default_config_static_selectorELNS0_4arch9wavefront6targetE1EEEvT1_
                                        ; -- End function
	.section	.AMDGPU.csdata,"",@progbits
; Kernel info:
; codeLenInByte = 0
; NumSgprs: 6
; NumVgprs: 0
; NumAgprs: 0
; TotalNumVgprs: 0
; ScratchSize: 0
; MemoryBound: 0
; FloatMode: 240
; IeeeMode: 1
; LDSByteSize: 0 bytes/workgroup (compile time only)
; SGPRBlocks: 0
; VGPRBlocks: 0
; NumSGPRsForWavesPerEU: 6
; NumVGPRsForWavesPerEU: 1
; AccumOffset: 4
; Occupancy: 8
; WaveLimiterHint : 0
; COMPUTE_PGM_RSRC2:SCRATCH_EN: 0
; COMPUTE_PGM_RSRC2:USER_SGPR: 2
; COMPUTE_PGM_RSRC2:TRAP_HANDLER: 0
; COMPUTE_PGM_RSRC2:TGID_X_EN: 1
; COMPUTE_PGM_RSRC2:TGID_Y_EN: 0
; COMPUTE_PGM_RSRC2:TGID_Z_EN: 0
; COMPUTE_PGM_RSRC2:TIDIG_COMP_CNT: 0
; COMPUTE_PGM_RSRC3_GFX90A:ACCUM_OFFSET: 0
; COMPUTE_PGM_RSRC3_GFX90A:TG_SPLIT: 0
	.section	.text._ZN7rocprim17ROCPRIM_400000_NS6detail17trampoline_kernelINS0_14default_configENS1_27scan_by_key_config_selectorIiiEEZZNS1_16scan_by_key_implILNS1_25lookback_scan_determinismE0ELb0ES3_N6thrust23THRUST_200600_302600_NS10device_ptrIiEESB_SB_iNS9_4plusIvEENS9_8equal_toIvEEiEE10hipError_tPvRmT2_T3_T4_T5_mT6_T7_P12ihipStream_tbENKUlT_T0_E_clISt17integral_constantIbLb1EESW_EEDaSR_SS_EUlSR_E_NS1_11comp_targetILNS1_3genE9ELNS1_11target_archE1100ELNS1_3gpuE3ELNS1_3repE0EEENS1_30default_config_static_selectorELNS0_4arch9wavefront6targetE1EEEvT1_,"axG",@progbits,_ZN7rocprim17ROCPRIM_400000_NS6detail17trampoline_kernelINS0_14default_configENS1_27scan_by_key_config_selectorIiiEEZZNS1_16scan_by_key_implILNS1_25lookback_scan_determinismE0ELb0ES3_N6thrust23THRUST_200600_302600_NS10device_ptrIiEESB_SB_iNS9_4plusIvEENS9_8equal_toIvEEiEE10hipError_tPvRmT2_T3_T4_T5_mT6_T7_P12ihipStream_tbENKUlT_T0_E_clISt17integral_constantIbLb1EESW_EEDaSR_SS_EUlSR_E_NS1_11comp_targetILNS1_3genE9ELNS1_11target_archE1100ELNS1_3gpuE3ELNS1_3repE0EEENS1_30default_config_static_selectorELNS0_4arch9wavefront6targetE1EEEvT1_,comdat
	.protected	_ZN7rocprim17ROCPRIM_400000_NS6detail17trampoline_kernelINS0_14default_configENS1_27scan_by_key_config_selectorIiiEEZZNS1_16scan_by_key_implILNS1_25lookback_scan_determinismE0ELb0ES3_N6thrust23THRUST_200600_302600_NS10device_ptrIiEESB_SB_iNS9_4plusIvEENS9_8equal_toIvEEiEE10hipError_tPvRmT2_T3_T4_T5_mT6_T7_P12ihipStream_tbENKUlT_T0_E_clISt17integral_constantIbLb1EESW_EEDaSR_SS_EUlSR_E_NS1_11comp_targetILNS1_3genE9ELNS1_11target_archE1100ELNS1_3gpuE3ELNS1_3repE0EEENS1_30default_config_static_selectorELNS0_4arch9wavefront6targetE1EEEvT1_ ; -- Begin function _ZN7rocprim17ROCPRIM_400000_NS6detail17trampoline_kernelINS0_14default_configENS1_27scan_by_key_config_selectorIiiEEZZNS1_16scan_by_key_implILNS1_25lookback_scan_determinismE0ELb0ES3_N6thrust23THRUST_200600_302600_NS10device_ptrIiEESB_SB_iNS9_4plusIvEENS9_8equal_toIvEEiEE10hipError_tPvRmT2_T3_T4_T5_mT6_T7_P12ihipStream_tbENKUlT_T0_E_clISt17integral_constantIbLb1EESW_EEDaSR_SS_EUlSR_E_NS1_11comp_targetILNS1_3genE9ELNS1_11target_archE1100ELNS1_3gpuE3ELNS1_3repE0EEENS1_30default_config_static_selectorELNS0_4arch9wavefront6targetE1EEEvT1_
	.globl	_ZN7rocprim17ROCPRIM_400000_NS6detail17trampoline_kernelINS0_14default_configENS1_27scan_by_key_config_selectorIiiEEZZNS1_16scan_by_key_implILNS1_25lookback_scan_determinismE0ELb0ES3_N6thrust23THRUST_200600_302600_NS10device_ptrIiEESB_SB_iNS9_4plusIvEENS9_8equal_toIvEEiEE10hipError_tPvRmT2_T3_T4_T5_mT6_T7_P12ihipStream_tbENKUlT_T0_E_clISt17integral_constantIbLb1EESW_EEDaSR_SS_EUlSR_E_NS1_11comp_targetILNS1_3genE9ELNS1_11target_archE1100ELNS1_3gpuE3ELNS1_3repE0EEENS1_30default_config_static_selectorELNS0_4arch9wavefront6targetE1EEEvT1_
	.p2align	8
	.type	_ZN7rocprim17ROCPRIM_400000_NS6detail17trampoline_kernelINS0_14default_configENS1_27scan_by_key_config_selectorIiiEEZZNS1_16scan_by_key_implILNS1_25lookback_scan_determinismE0ELb0ES3_N6thrust23THRUST_200600_302600_NS10device_ptrIiEESB_SB_iNS9_4plusIvEENS9_8equal_toIvEEiEE10hipError_tPvRmT2_T3_T4_T5_mT6_T7_P12ihipStream_tbENKUlT_T0_E_clISt17integral_constantIbLb1EESW_EEDaSR_SS_EUlSR_E_NS1_11comp_targetILNS1_3genE9ELNS1_11target_archE1100ELNS1_3gpuE3ELNS1_3repE0EEENS1_30default_config_static_selectorELNS0_4arch9wavefront6targetE1EEEvT1_,@function
_ZN7rocprim17ROCPRIM_400000_NS6detail17trampoline_kernelINS0_14default_configENS1_27scan_by_key_config_selectorIiiEEZZNS1_16scan_by_key_implILNS1_25lookback_scan_determinismE0ELb0ES3_N6thrust23THRUST_200600_302600_NS10device_ptrIiEESB_SB_iNS9_4plusIvEENS9_8equal_toIvEEiEE10hipError_tPvRmT2_T3_T4_T5_mT6_T7_P12ihipStream_tbENKUlT_T0_E_clISt17integral_constantIbLb1EESW_EEDaSR_SS_EUlSR_E_NS1_11comp_targetILNS1_3genE9ELNS1_11target_archE1100ELNS1_3gpuE3ELNS1_3repE0EEENS1_30default_config_static_selectorELNS0_4arch9wavefront6targetE1EEEvT1_: ; @_ZN7rocprim17ROCPRIM_400000_NS6detail17trampoline_kernelINS0_14default_configENS1_27scan_by_key_config_selectorIiiEEZZNS1_16scan_by_key_implILNS1_25lookback_scan_determinismE0ELb0ES3_N6thrust23THRUST_200600_302600_NS10device_ptrIiEESB_SB_iNS9_4plusIvEENS9_8equal_toIvEEiEE10hipError_tPvRmT2_T3_T4_T5_mT6_T7_P12ihipStream_tbENKUlT_T0_E_clISt17integral_constantIbLb1EESW_EEDaSR_SS_EUlSR_E_NS1_11comp_targetILNS1_3genE9ELNS1_11target_archE1100ELNS1_3gpuE3ELNS1_3repE0EEENS1_30default_config_static_selectorELNS0_4arch9wavefront6targetE1EEEvT1_
; %bb.0:
	.section	.rodata,"a",@progbits
	.p2align	6, 0x0
	.amdhsa_kernel _ZN7rocprim17ROCPRIM_400000_NS6detail17trampoline_kernelINS0_14default_configENS1_27scan_by_key_config_selectorIiiEEZZNS1_16scan_by_key_implILNS1_25lookback_scan_determinismE0ELb0ES3_N6thrust23THRUST_200600_302600_NS10device_ptrIiEESB_SB_iNS9_4plusIvEENS9_8equal_toIvEEiEE10hipError_tPvRmT2_T3_T4_T5_mT6_T7_P12ihipStream_tbENKUlT_T0_E_clISt17integral_constantIbLb1EESW_EEDaSR_SS_EUlSR_E_NS1_11comp_targetILNS1_3genE9ELNS1_11target_archE1100ELNS1_3gpuE3ELNS1_3repE0EEENS1_30default_config_static_selectorELNS0_4arch9wavefront6targetE1EEEvT1_
		.amdhsa_group_segment_fixed_size 0
		.amdhsa_private_segment_fixed_size 0
		.amdhsa_kernarg_size 112
		.amdhsa_user_sgpr_count 2
		.amdhsa_user_sgpr_dispatch_ptr 0
		.amdhsa_user_sgpr_queue_ptr 0
		.amdhsa_user_sgpr_kernarg_segment_ptr 1
		.amdhsa_user_sgpr_dispatch_id 0
		.amdhsa_user_sgpr_kernarg_preload_length 0
		.amdhsa_user_sgpr_kernarg_preload_offset 0
		.amdhsa_user_sgpr_private_segment_size 0
		.amdhsa_uses_dynamic_stack 0
		.amdhsa_enable_private_segment 0
		.amdhsa_system_sgpr_workgroup_id_x 1
		.amdhsa_system_sgpr_workgroup_id_y 0
		.amdhsa_system_sgpr_workgroup_id_z 0
		.amdhsa_system_sgpr_workgroup_info 0
		.amdhsa_system_vgpr_workitem_id 0
		.amdhsa_next_free_vgpr 1
		.amdhsa_next_free_sgpr 0
		.amdhsa_accum_offset 4
		.amdhsa_reserve_vcc 0
		.amdhsa_float_round_mode_32 0
		.amdhsa_float_round_mode_16_64 0
		.amdhsa_float_denorm_mode_32 3
		.amdhsa_float_denorm_mode_16_64 3
		.amdhsa_dx10_clamp 1
		.amdhsa_ieee_mode 1
		.amdhsa_fp16_overflow 0
		.amdhsa_tg_split 0
		.amdhsa_exception_fp_ieee_invalid_op 0
		.amdhsa_exception_fp_denorm_src 0
		.amdhsa_exception_fp_ieee_div_zero 0
		.amdhsa_exception_fp_ieee_overflow 0
		.amdhsa_exception_fp_ieee_underflow 0
		.amdhsa_exception_fp_ieee_inexact 0
		.amdhsa_exception_int_div_zero 0
	.end_amdhsa_kernel
	.section	.text._ZN7rocprim17ROCPRIM_400000_NS6detail17trampoline_kernelINS0_14default_configENS1_27scan_by_key_config_selectorIiiEEZZNS1_16scan_by_key_implILNS1_25lookback_scan_determinismE0ELb0ES3_N6thrust23THRUST_200600_302600_NS10device_ptrIiEESB_SB_iNS9_4plusIvEENS9_8equal_toIvEEiEE10hipError_tPvRmT2_T3_T4_T5_mT6_T7_P12ihipStream_tbENKUlT_T0_E_clISt17integral_constantIbLb1EESW_EEDaSR_SS_EUlSR_E_NS1_11comp_targetILNS1_3genE9ELNS1_11target_archE1100ELNS1_3gpuE3ELNS1_3repE0EEENS1_30default_config_static_selectorELNS0_4arch9wavefront6targetE1EEEvT1_,"axG",@progbits,_ZN7rocprim17ROCPRIM_400000_NS6detail17trampoline_kernelINS0_14default_configENS1_27scan_by_key_config_selectorIiiEEZZNS1_16scan_by_key_implILNS1_25lookback_scan_determinismE0ELb0ES3_N6thrust23THRUST_200600_302600_NS10device_ptrIiEESB_SB_iNS9_4plusIvEENS9_8equal_toIvEEiEE10hipError_tPvRmT2_T3_T4_T5_mT6_T7_P12ihipStream_tbENKUlT_T0_E_clISt17integral_constantIbLb1EESW_EEDaSR_SS_EUlSR_E_NS1_11comp_targetILNS1_3genE9ELNS1_11target_archE1100ELNS1_3gpuE3ELNS1_3repE0EEENS1_30default_config_static_selectorELNS0_4arch9wavefront6targetE1EEEvT1_,comdat
.Lfunc_end2212:
	.size	_ZN7rocprim17ROCPRIM_400000_NS6detail17trampoline_kernelINS0_14default_configENS1_27scan_by_key_config_selectorIiiEEZZNS1_16scan_by_key_implILNS1_25lookback_scan_determinismE0ELb0ES3_N6thrust23THRUST_200600_302600_NS10device_ptrIiEESB_SB_iNS9_4plusIvEENS9_8equal_toIvEEiEE10hipError_tPvRmT2_T3_T4_T5_mT6_T7_P12ihipStream_tbENKUlT_T0_E_clISt17integral_constantIbLb1EESW_EEDaSR_SS_EUlSR_E_NS1_11comp_targetILNS1_3genE9ELNS1_11target_archE1100ELNS1_3gpuE3ELNS1_3repE0EEENS1_30default_config_static_selectorELNS0_4arch9wavefront6targetE1EEEvT1_, .Lfunc_end2212-_ZN7rocprim17ROCPRIM_400000_NS6detail17trampoline_kernelINS0_14default_configENS1_27scan_by_key_config_selectorIiiEEZZNS1_16scan_by_key_implILNS1_25lookback_scan_determinismE0ELb0ES3_N6thrust23THRUST_200600_302600_NS10device_ptrIiEESB_SB_iNS9_4plusIvEENS9_8equal_toIvEEiEE10hipError_tPvRmT2_T3_T4_T5_mT6_T7_P12ihipStream_tbENKUlT_T0_E_clISt17integral_constantIbLb1EESW_EEDaSR_SS_EUlSR_E_NS1_11comp_targetILNS1_3genE9ELNS1_11target_archE1100ELNS1_3gpuE3ELNS1_3repE0EEENS1_30default_config_static_selectorELNS0_4arch9wavefront6targetE1EEEvT1_
                                        ; -- End function
	.section	.AMDGPU.csdata,"",@progbits
; Kernel info:
; codeLenInByte = 0
; NumSgprs: 6
; NumVgprs: 0
; NumAgprs: 0
; TotalNumVgprs: 0
; ScratchSize: 0
; MemoryBound: 0
; FloatMode: 240
; IeeeMode: 1
; LDSByteSize: 0 bytes/workgroup (compile time only)
; SGPRBlocks: 0
; VGPRBlocks: 0
; NumSGPRsForWavesPerEU: 6
; NumVGPRsForWavesPerEU: 1
; AccumOffset: 4
; Occupancy: 8
; WaveLimiterHint : 0
; COMPUTE_PGM_RSRC2:SCRATCH_EN: 0
; COMPUTE_PGM_RSRC2:USER_SGPR: 2
; COMPUTE_PGM_RSRC2:TRAP_HANDLER: 0
; COMPUTE_PGM_RSRC2:TGID_X_EN: 1
; COMPUTE_PGM_RSRC2:TGID_Y_EN: 0
; COMPUTE_PGM_RSRC2:TGID_Z_EN: 0
; COMPUTE_PGM_RSRC2:TIDIG_COMP_CNT: 0
; COMPUTE_PGM_RSRC3_GFX90A:ACCUM_OFFSET: 0
; COMPUTE_PGM_RSRC3_GFX90A:TG_SPLIT: 0
	.section	.text._ZN7rocprim17ROCPRIM_400000_NS6detail17trampoline_kernelINS0_14default_configENS1_27scan_by_key_config_selectorIiiEEZZNS1_16scan_by_key_implILNS1_25lookback_scan_determinismE0ELb0ES3_N6thrust23THRUST_200600_302600_NS10device_ptrIiEESB_SB_iNS9_4plusIvEENS9_8equal_toIvEEiEE10hipError_tPvRmT2_T3_T4_T5_mT6_T7_P12ihipStream_tbENKUlT_T0_E_clISt17integral_constantIbLb1EESW_EEDaSR_SS_EUlSR_E_NS1_11comp_targetILNS1_3genE8ELNS1_11target_archE1030ELNS1_3gpuE2ELNS1_3repE0EEENS1_30default_config_static_selectorELNS0_4arch9wavefront6targetE1EEEvT1_,"axG",@progbits,_ZN7rocprim17ROCPRIM_400000_NS6detail17trampoline_kernelINS0_14default_configENS1_27scan_by_key_config_selectorIiiEEZZNS1_16scan_by_key_implILNS1_25lookback_scan_determinismE0ELb0ES3_N6thrust23THRUST_200600_302600_NS10device_ptrIiEESB_SB_iNS9_4plusIvEENS9_8equal_toIvEEiEE10hipError_tPvRmT2_T3_T4_T5_mT6_T7_P12ihipStream_tbENKUlT_T0_E_clISt17integral_constantIbLb1EESW_EEDaSR_SS_EUlSR_E_NS1_11comp_targetILNS1_3genE8ELNS1_11target_archE1030ELNS1_3gpuE2ELNS1_3repE0EEENS1_30default_config_static_selectorELNS0_4arch9wavefront6targetE1EEEvT1_,comdat
	.protected	_ZN7rocprim17ROCPRIM_400000_NS6detail17trampoline_kernelINS0_14default_configENS1_27scan_by_key_config_selectorIiiEEZZNS1_16scan_by_key_implILNS1_25lookback_scan_determinismE0ELb0ES3_N6thrust23THRUST_200600_302600_NS10device_ptrIiEESB_SB_iNS9_4plusIvEENS9_8equal_toIvEEiEE10hipError_tPvRmT2_T3_T4_T5_mT6_T7_P12ihipStream_tbENKUlT_T0_E_clISt17integral_constantIbLb1EESW_EEDaSR_SS_EUlSR_E_NS1_11comp_targetILNS1_3genE8ELNS1_11target_archE1030ELNS1_3gpuE2ELNS1_3repE0EEENS1_30default_config_static_selectorELNS0_4arch9wavefront6targetE1EEEvT1_ ; -- Begin function _ZN7rocprim17ROCPRIM_400000_NS6detail17trampoline_kernelINS0_14default_configENS1_27scan_by_key_config_selectorIiiEEZZNS1_16scan_by_key_implILNS1_25lookback_scan_determinismE0ELb0ES3_N6thrust23THRUST_200600_302600_NS10device_ptrIiEESB_SB_iNS9_4plusIvEENS9_8equal_toIvEEiEE10hipError_tPvRmT2_T3_T4_T5_mT6_T7_P12ihipStream_tbENKUlT_T0_E_clISt17integral_constantIbLb1EESW_EEDaSR_SS_EUlSR_E_NS1_11comp_targetILNS1_3genE8ELNS1_11target_archE1030ELNS1_3gpuE2ELNS1_3repE0EEENS1_30default_config_static_selectorELNS0_4arch9wavefront6targetE1EEEvT1_
	.globl	_ZN7rocprim17ROCPRIM_400000_NS6detail17trampoline_kernelINS0_14default_configENS1_27scan_by_key_config_selectorIiiEEZZNS1_16scan_by_key_implILNS1_25lookback_scan_determinismE0ELb0ES3_N6thrust23THRUST_200600_302600_NS10device_ptrIiEESB_SB_iNS9_4plusIvEENS9_8equal_toIvEEiEE10hipError_tPvRmT2_T3_T4_T5_mT6_T7_P12ihipStream_tbENKUlT_T0_E_clISt17integral_constantIbLb1EESW_EEDaSR_SS_EUlSR_E_NS1_11comp_targetILNS1_3genE8ELNS1_11target_archE1030ELNS1_3gpuE2ELNS1_3repE0EEENS1_30default_config_static_selectorELNS0_4arch9wavefront6targetE1EEEvT1_
	.p2align	8
	.type	_ZN7rocprim17ROCPRIM_400000_NS6detail17trampoline_kernelINS0_14default_configENS1_27scan_by_key_config_selectorIiiEEZZNS1_16scan_by_key_implILNS1_25lookback_scan_determinismE0ELb0ES3_N6thrust23THRUST_200600_302600_NS10device_ptrIiEESB_SB_iNS9_4plusIvEENS9_8equal_toIvEEiEE10hipError_tPvRmT2_T3_T4_T5_mT6_T7_P12ihipStream_tbENKUlT_T0_E_clISt17integral_constantIbLb1EESW_EEDaSR_SS_EUlSR_E_NS1_11comp_targetILNS1_3genE8ELNS1_11target_archE1030ELNS1_3gpuE2ELNS1_3repE0EEENS1_30default_config_static_selectorELNS0_4arch9wavefront6targetE1EEEvT1_,@function
_ZN7rocprim17ROCPRIM_400000_NS6detail17trampoline_kernelINS0_14default_configENS1_27scan_by_key_config_selectorIiiEEZZNS1_16scan_by_key_implILNS1_25lookback_scan_determinismE0ELb0ES3_N6thrust23THRUST_200600_302600_NS10device_ptrIiEESB_SB_iNS9_4plusIvEENS9_8equal_toIvEEiEE10hipError_tPvRmT2_T3_T4_T5_mT6_T7_P12ihipStream_tbENKUlT_T0_E_clISt17integral_constantIbLb1EESW_EEDaSR_SS_EUlSR_E_NS1_11comp_targetILNS1_3genE8ELNS1_11target_archE1030ELNS1_3gpuE2ELNS1_3repE0EEENS1_30default_config_static_selectorELNS0_4arch9wavefront6targetE1EEEvT1_: ; @_ZN7rocprim17ROCPRIM_400000_NS6detail17trampoline_kernelINS0_14default_configENS1_27scan_by_key_config_selectorIiiEEZZNS1_16scan_by_key_implILNS1_25lookback_scan_determinismE0ELb0ES3_N6thrust23THRUST_200600_302600_NS10device_ptrIiEESB_SB_iNS9_4plusIvEENS9_8equal_toIvEEiEE10hipError_tPvRmT2_T3_T4_T5_mT6_T7_P12ihipStream_tbENKUlT_T0_E_clISt17integral_constantIbLb1EESW_EEDaSR_SS_EUlSR_E_NS1_11comp_targetILNS1_3genE8ELNS1_11target_archE1030ELNS1_3gpuE2ELNS1_3repE0EEENS1_30default_config_static_selectorELNS0_4arch9wavefront6targetE1EEEvT1_
; %bb.0:
	.section	.rodata,"a",@progbits
	.p2align	6, 0x0
	.amdhsa_kernel _ZN7rocprim17ROCPRIM_400000_NS6detail17trampoline_kernelINS0_14default_configENS1_27scan_by_key_config_selectorIiiEEZZNS1_16scan_by_key_implILNS1_25lookback_scan_determinismE0ELb0ES3_N6thrust23THRUST_200600_302600_NS10device_ptrIiEESB_SB_iNS9_4plusIvEENS9_8equal_toIvEEiEE10hipError_tPvRmT2_T3_T4_T5_mT6_T7_P12ihipStream_tbENKUlT_T0_E_clISt17integral_constantIbLb1EESW_EEDaSR_SS_EUlSR_E_NS1_11comp_targetILNS1_3genE8ELNS1_11target_archE1030ELNS1_3gpuE2ELNS1_3repE0EEENS1_30default_config_static_selectorELNS0_4arch9wavefront6targetE1EEEvT1_
		.amdhsa_group_segment_fixed_size 0
		.amdhsa_private_segment_fixed_size 0
		.amdhsa_kernarg_size 112
		.amdhsa_user_sgpr_count 2
		.amdhsa_user_sgpr_dispatch_ptr 0
		.amdhsa_user_sgpr_queue_ptr 0
		.amdhsa_user_sgpr_kernarg_segment_ptr 1
		.amdhsa_user_sgpr_dispatch_id 0
		.amdhsa_user_sgpr_kernarg_preload_length 0
		.amdhsa_user_sgpr_kernarg_preload_offset 0
		.amdhsa_user_sgpr_private_segment_size 0
		.amdhsa_uses_dynamic_stack 0
		.amdhsa_enable_private_segment 0
		.amdhsa_system_sgpr_workgroup_id_x 1
		.amdhsa_system_sgpr_workgroup_id_y 0
		.amdhsa_system_sgpr_workgroup_id_z 0
		.amdhsa_system_sgpr_workgroup_info 0
		.amdhsa_system_vgpr_workitem_id 0
		.amdhsa_next_free_vgpr 1
		.amdhsa_next_free_sgpr 0
		.amdhsa_accum_offset 4
		.amdhsa_reserve_vcc 0
		.amdhsa_float_round_mode_32 0
		.amdhsa_float_round_mode_16_64 0
		.amdhsa_float_denorm_mode_32 3
		.amdhsa_float_denorm_mode_16_64 3
		.amdhsa_dx10_clamp 1
		.amdhsa_ieee_mode 1
		.amdhsa_fp16_overflow 0
		.amdhsa_tg_split 0
		.amdhsa_exception_fp_ieee_invalid_op 0
		.amdhsa_exception_fp_denorm_src 0
		.amdhsa_exception_fp_ieee_div_zero 0
		.amdhsa_exception_fp_ieee_overflow 0
		.amdhsa_exception_fp_ieee_underflow 0
		.amdhsa_exception_fp_ieee_inexact 0
		.amdhsa_exception_int_div_zero 0
	.end_amdhsa_kernel
	.section	.text._ZN7rocprim17ROCPRIM_400000_NS6detail17trampoline_kernelINS0_14default_configENS1_27scan_by_key_config_selectorIiiEEZZNS1_16scan_by_key_implILNS1_25lookback_scan_determinismE0ELb0ES3_N6thrust23THRUST_200600_302600_NS10device_ptrIiEESB_SB_iNS9_4plusIvEENS9_8equal_toIvEEiEE10hipError_tPvRmT2_T3_T4_T5_mT6_T7_P12ihipStream_tbENKUlT_T0_E_clISt17integral_constantIbLb1EESW_EEDaSR_SS_EUlSR_E_NS1_11comp_targetILNS1_3genE8ELNS1_11target_archE1030ELNS1_3gpuE2ELNS1_3repE0EEENS1_30default_config_static_selectorELNS0_4arch9wavefront6targetE1EEEvT1_,"axG",@progbits,_ZN7rocprim17ROCPRIM_400000_NS6detail17trampoline_kernelINS0_14default_configENS1_27scan_by_key_config_selectorIiiEEZZNS1_16scan_by_key_implILNS1_25lookback_scan_determinismE0ELb0ES3_N6thrust23THRUST_200600_302600_NS10device_ptrIiEESB_SB_iNS9_4plusIvEENS9_8equal_toIvEEiEE10hipError_tPvRmT2_T3_T4_T5_mT6_T7_P12ihipStream_tbENKUlT_T0_E_clISt17integral_constantIbLb1EESW_EEDaSR_SS_EUlSR_E_NS1_11comp_targetILNS1_3genE8ELNS1_11target_archE1030ELNS1_3gpuE2ELNS1_3repE0EEENS1_30default_config_static_selectorELNS0_4arch9wavefront6targetE1EEEvT1_,comdat
.Lfunc_end2213:
	.size	_ZN7rocprim17ROCPRIM_400000_NS6detail17trampoline_kernelINS0_14default_configENS1_27scan_by_key_config_selectorIiiEEZZNS1_16scan_by_key_implILNS1_25lookback_scan_determinismE0ELb0ES3_N6thrust23THRUST_200600_302600_NS10device_ptrIiEESB_SB_iNS9_4plusIvEENS9_8equal_toIvEEiEE10hipError_tPvRmT2_T3_T4_T5_mT6_T7_P12ihipStream_tbENKUlT_T0_E_clISt17integral_constantIbLb1EESW_EEDaSR_SS_EUlSR_E_NS1_11comp_targetILNS1_3genE8ELNS1_11target_archE1030ELNS1_3gpuE2ELNS1_3repE0EEENS1_30default_config_static_selectorELNS0_4arch9wavefront6targetE1EEEvT1_, .Lfunc_end2213-_ZN7rocprim17ROCPRIM_400000_NS6detail17trampoline_kernelINS0_14default_configENS1_27scan_by_key_config_selectorIiiEEZZNS1_16scan_by_key_implILNS1_25lookback_scan_determinismE0ELb0ES3_N6thrust23THRUST_200600_302600_NS10device_ptrIiEESB_SB_iNS9_4plusIvEENS9_8equal_toIvEEiEE10hipError_tPvRmT2_T3_T4_T5_mT6_T7_P12ihipStream_tbENKUlT_T0_E_clISt17integral_constantIbLb1EESW_EEDaSR_SS_EUlSR_E_NS1_11comp_targetILNS1_3genE8ELNS1_11target_archE1030ELNS1_3gpuE2ELNS1_3repE0EEENS1_30default_config_static_selectorELNS0_4arch9wavefront6targetE1EEEvT1_
                                        ; -- End function
	.section	.AMDGPU.csdata,"",@progbits
; Kernel info:
; codeLenInByte = 0
; NumSgprs: 6
; NumVgprs: 0
; NumAgprs: 0
; TotalNumVgprs: 0
; ScratchSize: 0
; MemoryBound: 0
; FloatMode: 240
; IeeeMode: 1
; LDSByteSize: 0 bytes/workgroup (compile time only)
; SGPRBlocks: 0
; VGPRBlocks: 0
; NumSGPRsForWavesPerEU: 6
; NumVGPRsForWavesPerEU: 1
; AccumOffset: 4
; Occupancy: 8
; WaveLimiterHint : 0
; COMPUTE_PGM_RSRC2:SCRATCH_EN: 0
; COMPUTE_PGM_RSRC2:USER_SGPR: 2
; COMPUTE_PGM_RSRC2:TRAP_HANDLER: 0
; COMPUTE_PGM_RSRC2:TGID_X_EN: 1
; COMPUTE_PGM_RSRC2:TGID_Y_EN: 0
; COMPUTE_PGM_RSRC2:TGID_Z_EN: 0
; COMPUTE_PGM_RSRC2:TIDIG_COMP_CNT: 0
; COMPUTE_PGM_RSRC3_GFX90A:ACCUM_OFFSET: 0
; COMPUTE_PGM_RSRC3_GFX90A:TG_SPLIT: 0
	.section	.text._ZN7rocprim17ROCPRIM_400000_NS6detail30init_device_scan_by_key_kernelINS1_19lookback_scan_stateINS0_5tupleIJibEEELb1ELb1EEEN6thrust23THRUST_200600_302600_NS10device_ptrIiEEjNS1_16block_id_wrapperIjLb0EEEEEvT_jjPNSD_10value_typeET0_PNSt15iterator_traitsISG_E10value_typeEmT1_T2_,"axG",@progbits,_ZN7rocprim17ROCPRIM_400000_NS6detail30init_device_scan_by_key_kernelINS1_19lookback_scan_stateINS0_5tupleIJibEEELb1ELb1EEEN6thrust23THRUST_200600_302600_NS10device_ptrIiEEjNS1_16block_id_wrapperIjLb0EEEEEvT_jjPNSD_10value_typeET0_PNSt15iterator_traitsISG_E10value_typeEmT1_T2_,comdat
	.protected	_ZN7rocprim17ROCPRIM_400000_NS6detail30init_device_scan_by_key_kernelINS1_19lookback_scan_stateINS0_5tupleIJibEEELb1ELb1EEEN6thrust23THRUST_200600_302600_NS10device_ptrIiEEjNS1_16block_id_wrapperIjLb0EEEEEvT_jjPNSD_10value_typeET0_PNSt15iterator_traitsISG_E10value_typeEmT1_T2_ ; -- Begin function _ZN7rocprim17ROCPRIM_400000_NS6detail30init_device_scan_by_key_kernelINS1_19lookback_scan_stateINS0_5tupleIJibEEELb1ELb1EEEN6thrust23THRUST_200600_302600_NS10device_ptrIiEEjNS1_16block_id_wrapperIjLb0EEEEEvT_jjPNSD_10value_typeET0_PNSt15iterator_traitsISG_E10value_typeEmT1_T2_
	.globl	_ZN7rocprim17ROCPRIM_400000_NS6detail30init_device_scan_by_key_kernelINS1_19lookback_scan_stateINS0_5tupleIJibEEELb1ELb1EEEN6thrust23THRUST_200600_302600_NS10device_ptrIiEEjNS1_16block_id_wrapperIjLb0EEEEEvT_jjPNSD_10value_typeET0_PNSt15iterator_traitsISG_E10value_typeEmT1_T2_
	.p2align	8
	.type	_ZN7rocprim17ROCPRIM_400000_NS6detail30init_device_scan_by_key_kernelINS1_19lookback_scan_stateINS0_5tupleIJibEEELb1ELb1EEEN6thrust23THRUST_200600_302600_NS10device_ptrIiEEjNS1_16block_id_wrapperIjLb0EEEEEvT_jjPNSD_10value_typeET0_PNSt15iterator_traitsISG_E10value_typeEmT1_T2_,@function
_ZN7rocprim17ROCPRIM_400000_NS6detail30init_device_scan_by_key_kernelINS1_19lookback_scan_stateINS0_5tupleIJibEEELb1ELb1EEEN6thrust23THRUST_200600_302600_NS10device_ptrIiEEjNS1_16block_id_wrapperIjLb0EEEEEvT_jjPNSD_10value_typeET0_PNSt15iterator_traitsISG_E10value_typeEmT1_T2_: ; @_ZN7rocprim17ROCPRIM_400000_NS6detail30init_device_scan_by_key_kernelINS1_19lookback_scan_stateINS0_5tupleIJibEEELb1ELb1EEEN6thrust23THRUST_200600_302600_NS10device_ptrIiEEjNS1_16block_id_wrapperIjLb0EEEEEvT_jjPNSD_10value_typeET0_PNSt15iterator_traitsISG_E10value_typeEmT1_T2_
; %bb.0:
	s_load_dword s3, s[0:1], 0x44
	s_load_dwordx8 s[4:11], s[0:1], 0x0
	s_load_dword s18, s[0:1], 0x38
	s_waitcnt lgkmcnt(0)
	s_and_b32 s19, s3, 0xffff
	s_mul_i32 s2, s2, s19
	s_cmp_eq_u64 s[8:9], 0
	v_add_u32_e32 v4, s2, v0
	s_cbranch_scc1 .LBB2214_10
; %bb.1:
	s_cmp_lt_u32 s7, s6
	s_cselect_b32 s2, s7, 0
	s_mov_b32 s13, 0
	v_cmp_eq_u32_e32 vcc, s2, v4
	s_and_saveexec_b64 s[2:3], vcc
	s_cbranch_execz .LBB2214_9
; %bb.2:
	s_add_i32 s12, s7, 64
	s_lshl_b64 s[12:13], s[12:13], 4
	s_add_u32 s16, s4, s12
	s_addc_u32 s17, s5, s13
	v_mov_b64_e32 v[0:1], s[16:17]
	;;#ASMSTART
	global_load_dwordx4 v[0:3], v[0:1] off sc1	
s_waitcnt vmcnt(0)
	;;#ASMEND
	v_mov_b32_e32 v7, 0
	v_and_b32_e32 v6, 0xff, v2
	s_mov_b64 s[14:15], 0
	v_cmp_eq_u64_e32 vcc, 0, v[6:7]
	s_and_saveexec_b64 s[12:13], vcc
	s_cbranch_execz .LBB2214_8
; %bb.3:
	s_mov_b32 s7, 1
	v_mov_b64_e32 v[8:9], s[16:17]
.LBB2214_4:                             ; =>This Loop Header: Depth=1
                                        ;     Child Loop BB2214_5 Depth 2
	s_max_u32 s16, s7, 1
.LBB2214_5:                             ;   Parent Loop BB2214_4 Depth=1
                                        ; =>  This Inner Loop Header: Depth=2
	s_add_i32 s16, s16, -1
	s_cmp_eq_u32 s16, 0
	s_sleep 1
	s_cbranch_scc0 .LBB2214_5
; %bb.6:                                ;   in Loop: Header=BB2214_4 Depth=1
	s_cmp_lt_u32 s7, 32
	s_cselect_b64 s[16:17], -1, 0
	s_cmp_lg_u64 s[16:17], 0
	;;#ASMSTART
	global_load_dwordx4 v[0:3], v[8:9] off sc1	
s_waitcnt vmcnt(0)
	;;#ASMEND
	s_addc_u32 s7, s7, 0
	v_and_b32_e32 v6, 0xff, v2
	v_cmp_ne_u64_e32 vcc, 0, v[6:7]
	s_or_b64 s[14:15], vcc, s[14:15]
	s_andn2_b64 exec, exec, s[14:15]
	s_cbranch_execnz .LBB2214_4
; %bb.7:
	s_or_b64 exec, exec, s[14:15]
.LBB2214_8:
	s_or_b64 exec, exec, s[12:13]
	v_mov_b32_e32 v2, 0
	global_store_dword v2, v0, s[8:9]
	global_store_byte v2, v1, s[8:9] offset:4
.LBB2214_9:
	s_or_b64 exec, exec, s[2:3]
.LBB2214_10:
	v_cmp_gt_u32_e32 vcc, s6, v4
	s_and_saveexec_b64 s[2:3], vcc
	s_cbranch_execz .LBB2214_12
; %bb.11:
	v_add_u32_e32 v0, 64, v4
	v_mov_b32_e32 v1, 0
	v_lshl_add_u64 v[6:7], v[0:1], 4, s[4:5]
	v_mov_b32_e32 v0, v1
	v_mov_b32_e32 v2, v1
	;; [unrolled: 1-line block ×3, first 2 shown]
	global_store_dwordx4 v[6:7], v[0:3], off
.LBB2214_12:
	s_or_b64 exec, exec, s[2:3]
	v_cmp_gt_u32_e32 vcc, 64, v4
	v_mov_b32_e32 v5, 0
	s_and_saveexec_b64 s[2:3], vcc
	s_cbranch_execz .LBB2214_14
; %bb.13:
	v_lshl_add_u64 v[6:7], v[4:5], 4, s[4:5]
	v_mov_b32_e32 v2, 0xff
	v_mov_b32_e32 v0, v5
	;; [unrolled: 1-line block ×4, first 2 shown]
	global_store_dwordx4 v[6:7], v[0:3], off
.LBB2214_14:
	s_or_b64 exec, exec, s[2:3]
	s_load_dwordx2 s[2:3], s[0:1], 0x28
	s_waitcnt lgkmcnt(0)
	v_cmp_gt_u64_e32 vcc, s[2:3], v[4:5]
	s_and_saveexec_b64 s[4:5], vcc
	s_cbranch_execz .LBB2214_17
; %bb.15:
	s_load_dword s12, s[0:1], 0x30
	s_load_dwordx2 s[6:7], s[0:1], 0x20
	s_mov_b32 s5, 0
	s_mov_b32 s1, s5
	s_mul_i32 s0, s18, s19
	s_waitcnt lgkmcnt(0)
	s_add_i32 s4, s12, -1
	s_lshl_b64 s[4:5], s[4:5], 2
	s_add_u32 s4, s10, s4
	v_mad_u64_u32 v[0:1], s[8:9], s12, v4, 0
	s_addc_u32 s5, s11, s5
	v_lshl_add_u64 v[0:1], v[0:1], 2, s[4:5]
	s_mul_hi_u32 s5, s12, s0
	s_mul_i32 s4, s12, s0
	s_lshl_b64 s[4:5], s[4:5], 2
	v_lshl_add_u64 v[2:3], v[4:5], 2, s[6:7]
	s_lshl_b64 s[6:7], s[0:1], 2
	s_mov_b64 s[8:9], 0
.LBB2214_16:                            ; =>This Inner Loop Header: Depth=1
	global_load_dword v6, v[0:1], off
	v_lshl_add_u64 v[4:5], v[4:5], 0, s[0:1]
	v_cmp_le_u64_e32 vcc, s[2:3], v[4:5]
	v_lshl_add_u64 v[0:1], v[0:1], 0, s[4:5]
	s_or_b64 s[8:9], vcc, s[8:9]
	s_waitcnt vmcnt(0)
	global_store_dword v[2:3], v6, off
	v_lshl_add_u64 v[2:3], v[2:3], 0, s[6:7]
	s_andn2_b64 exec, exec, s[8:9]
	s_cbranch_execnz .LBB2214_16
.LBB2214_17:
	s_endpgm
	.section	.rodata,"a",@progbits
	.p2align	6, 0x0
	.amdhsa_kernel _ZN7rocprim17ROCPRIM_400000_NS6detail30init_device_scan_by_key_kernelINS1_19lookback_scan_stateINS0_5tupleIJibEEELb1ELb1EEEN6thrust23THRUST_200600_302600_NS10device_ptrIiEEjNS1_16block_id_wrapperIjLb0EEEEEvT_jjPNSD_10value_typeET0_PNSt15iterator_traitsISG_E10value_typeEmT1_T2_
		.amdhsa_group_segment_fixed_size 0
		.amdhsa_private_segment_fixed_size 0
		.amdhsa_kernarg_size 312
		.amdhsa_user_sgpr_count 2
		.amdhsa_user_sgpr_dispatch_ptr 0
		.amdhsa_user_sgpr_queue_ptr 0
		.amdhsa_user_sgpr_kernarg_segment_ptr 1
		.amdhsa_user_sgpr_dispatch_id 0
		.amdhsa_user_sgpr_kernarg_preload_length 0
		.amdhsa_user_sgpr_kernarg_preload_offset 0
		.amdhsa_user_sgpr_private_segment_size 0
		.amdhsa_uses_dynamic_stack 0
		.amdhsa_enable_private_segment 0
		.amdhsa_system_sgpr_workgroup_id_x 1
		.amdhsa_system_sgpr_workgroup_id_y 0
		.amdhsa_system_sgpr_workgroup_id_z 0
		.amdhsa_system_sgpr_workgroup_info 0
		.amdhsa_system_vgpr_workitem_id 0
		.amdhsa_next_free_vgpr 10
		.amdhsa_next_free_sgpr 20
		.amdhsa_accum_offset 12
		.amdhsa_reserve_vcc 1
		.amdhsa_float_round_mode_32 0
		.amdhsa_float_round_mode_16_64 0
		.amdhsa_float_denorm_mode_32 3
		.amdhsa_float_denorm_mode_16_64 3
		.amdhsa_dx10_clamp 1
		.amdhsa_ieee_mode 1
		.amdhsa_fp16_overflow 0
		.amdhsa_tg_split 0
		.amdhsa_exception_fp_ieee_invalid_op 0
		.amdhsa_exception_fp_denorm_src 0
		.amdhsa_exception_fp_ieee_div_zero 0
		.amdhsa_exception_fp_ieee_overflow 0
		.amdhsa_exception_fp_ieee_underflow 0
		.amdhsa_exception_fp_ieee_inexact 0
		.amdhsa_exception_int_div_zero 0
	.end_amdhsa_kernel
	.section	.text._ZN7rocprim17ROCPRIM_400000_NS6detail30init_device_scan_by_key_kernelINS1_19lookback_scan_stateINS0_5tupleIJibEEELb1ELb1EEEN6thrust23THRUST_200600_302600_NS10device_ptrIiEEjNS1_16block_id_wrapperIjLb0EEEEEvT_jjPNSD_10value_typeET0_PNSt15iterator_traitsISG_E10value_typeEmT1_T2_,"axG",@progbits,_ZN7rocprim17ROCPRIM_400000_NS6detail30init_device_scan_by_key_kernelINS1_19lookback_scan_stateINS0_5tupleIJibEEELb1ELb1EEEN6thrust23THRUST_200600_302600_NS10device_ptrIiEEjNS1_16block_id_wrapperIjLb0EEEEEvT_jjPNSD_10value_typeET0_PNSt15iterator_traitsISG_E10value_typeEmT1_T2_,comdat
.Lfunc_end2214:
	.size	_ZN7rocprim17ROCPRIM_400000_NS6detail30init_device_scan_by_key_kernelINS1_19lookback_scan_stateINS0_5tupleIJibEEELb1ELb1EEEN6thrust23THRUST_200600_302600_NS10device_ptrIiEEjNS1_16block_id_wrapperIjLb0EEEEEvT_jjPNSD_10value_typeET0_PNSt15iterator_traitsISG_E10value_typeEmT1_T2_, .Lfunc_end2214-_ZN7rocprim17ROCPRIM_400000_NS6detail30init_device_scan_by_key_kernelINS1_19lookback_scan_stateINS0_5tupleIJibEEELb1ELb1EEEN6thrust23THRUST_200600_302600_NS10device_ptrIiEEjNS1_16block_id_wrapperIjLb0EEEEEvT_jjPNSD_10value_typeET0_PNSt15iterator_traitsISG_E10value_typeEmT1_T2_
                                        ; -- End function
	.section	.AMDGPU.csdata,"",@progbits
; Kernel info:
; codeLenInByte = 544
; NumSgprs: 26
; NumVgprs: 10
; NumAgprs: 0
; TotalNumVgprs: 10
; ScratchSize: 0
; MemoryBound: 0
; FloatMode: 240
; IeeeMode: 1
; LDSByteSize: 0 bytes/workgroup (compile time only)
; SGPRBlocks: 3
; VGPRBlocks: 1
; NumSGPRsForWavesPerEU: 26
; NumVGPRsForWavesPerEU: 10
; AccumOffset: 12
; Occupancy: 8
; WaveLimiterHint : 0
; COMPUTE_PGM_RSRC2:SCRATCH_EN: 0
; COMPUTE_PGM_RSRC2:USER_SGPR: 2
; COMPUTE_PGM_RSRC2:TRAP_HANDLER: 0
; COMPUTE_PGM_RSRC2:TGID_X_EN: 1
; COMPUTE_PGM_RSRC2:TGID_Y_EN: 0
; COMPUTE_PGM_RSRC2:TGID_Z_EN: 0
; COMPUTE_PGM_RSRC2:TIDIG_COMP_CNT: 0
; COMPUTE_PGM_RSRC3_GFX90A:ACCUM_OFFSET: 2
; COMPUTE_PGM_RSRC3_GFX90A:TG_SPLIT: 0
	.section	.text._ZN7rocprim17ROCPRIM_400000_NS6detail17trampoline_kernelINS0_14default_configENS1_27scan_by_key_config_selectorIiiEEZZNS1_16scan_by_key_implILNS1_25lookback_scan_determinismE0ELb0ES3_N6thrust23THRUST_200600_302600_NS10device_ptrIiEESB_SB_iNS9_4plusIvEENS9_8equal_toIvEEiEE10hipError_tPvRmT2_T3_T4_T5_mT6_T7_P12ihipStream_tbENKUlT_T0_E_clISt17integral_constantIbLb1EESV_IbLb0EEEEDaSR_SS_EUlSR_E_NS1_11comp_targetILNS1_3genE0ELNS1_11target_archE4294967295ELNS1_3gpuE0ELNS1_3repE0EEENS1_30default_config_static_selectorELNS0_4arch9wavefront6targetE1EEEvT1_,"axG",@progbits,_ZN7rocprim17ROCPRIM_400000_NS6detail17trampoline_kernelINS0_14default_configENS1_27scan_by_key_config_selectorIiiEEZZNS1_16scan_by_key_implILNS1_25lookback_scan_determinismE0ELb0ES3_N6thrust23THRUST_200600_302600_NS10device_ptrIiEESB_SB_iNS9_4plusIvEENS9_8equal_toIvEEiEE10hipError_tPvRmT2_T3_T4_T5_mT6_T7_P12ihipStream_tbENKUlT_T0_E_clISt17integral_constantIbLb1EESV_IbLb0EEEEDaSR_SS_EUlSR_E_NS1_11comp_targetILNS1_3genE0ELNS1_11target_archE4294967295ELNS1_3gpuE0ELNS1_3repE0EEENS1_30default_config_static_selectorELNS0_4arch9wavefront6targetE1EEEvT1_,comdat
	.protected	_ZN7rocprim17ROCPRIM_400000_NS6detail17trampoline_kernelINS0_14default_configENS1_27scan_by_key_config_selectorIiiEEZZNS1_16scan_by_key_implILNS1_25lookback_scan_determinismE0ELb0ES3_N6thrust23THRUST_200600_302600_NS10device_ptrIiEESB_SB_iNS9_4plusIvEENS9_8equal_toIvEEiEE10hipError_tPvRmT2_T3_T4_T5_mT6_T7_P12ihipStream_tbENKUlT_T0_E_clISt17integral_constantIbLb1EESV_IbLb0EEEEDaSR_SS_EUlSR_E_NS1_11comp_targetILNS1_3genE0ELNS1_11target_archE4294967295ELNS1_3gpuE0ELNS1_3repE0EEENS1_30default_config_static_selectorELNS0_4arch9wavefront6targetE1EEEvT1_ ; -- Begin function _ZN7rocprim17ROCPRIM_400000_NS6detail17trampoline_kernelINS0_14default_configENS1_27scan_by_key_config_selectorIiiEEZZNS1_16scan_by_key_implILNS1_25lookback_scan_determinismE0ELb0ES3_N6thrust23THRUST_200600_302600_NS10device_ptrIiEESB_SB_iNS9_4plusIvEENS9_8equal_toIvEEiEE10hipError_tPvRmT2_T3_T4_T5_mT6_T7_P12ihipStream_tbENKUlT_T0_E_clISt17integral_constantIbLb1EESV_IbLb0EEEEDaSR_SS_EUlSR_E_NS1_11comp_targetILNS1_3genE0ELNS1_11target_archE4294967295ELNS1_3gpuE0ELNS1_3repE0EEENS1_30default_config_static_selectorELNS0_4arch9wavefront6targetE1EEEvT1_
	.globl	_ZN7rocprim17ROCPRIM_400000_NS6detail17trampoline_kernelINS0_14default_configENS1_27scan_by_key_config_selectorIiiEEZZNS1_16scan_by_key_implILNS1_25lookback_scan_determinismE0ELb0ES3_N6thrust23THRUST_200600_302600_NS10device_ptrIiEESB_SB_iNS9_4plusIvEENS9_8equal_toIvEEiEE10hipError_tPvRmT2_T3_T4_T5_mT6_T7_P12ihipStream_tbENKUlT_T0_E_clISt17integral_constantIbLb1EESV_IbLb0EEEEDaSR_SS_EUlSR_E_NS1_11comp_targetILNS1_3genE0ELNS1_11target_archE4294967295ELNS1_3gpuE0ELNS1_3repE0EEENS1_30default_config_static_selectorELNS0_4arch9wavefront6targetE1EEEvT1_
	.p2align	8
	.type	_ZN7rocprim17ROCPRIM_400000_NS6detail17trampoline_kernelINS0_14default_configENS1_27scan_by_key_config_selectorIiiEEZZNS1_16scan_by_key_implILNS1_25lookback_scan_determinismE0ELb0ES3_N6thrust23THRUST_200600_302600_NS10device_ptrIiEESB_SB_iNS9_4plusIvEENS9_8equal_toIvEEiEE10hipError_tPvRmT2_T3_T4_T5_mT6_T7_P12ihipStream_tbENKUlT_T0_E_clISt17integral_constantIbLb1EESV_IbLb0EEEEDaSR_SS_EUlSR_E_NS1_11comp_targetILNS1_3genE0ELNS1_11target_archE4294967295ELNS1_3gpuE0ELNS1_3repE0EEENS1_30default_config_static_selectorELNS0_4arch9wavefront6targetE1EEEvT1_,@function
_ZN7rocprim17ROCPRIM_400000_NS6detail17trampoline_kernelINS0_14default_configENS1_27scan_by_key_config_selectorIiiEEZZNS1_16scan_by_key_implILNS1_25lookback_scan_determinismE0ELb0ES3_N6thrust23THRUST_200600_302600_NS10device_ptrIiEESB_SB_iNS9_4plusIvEENS9_8equal_toIvEEiEE10hipError_tPvRmT2_T3_T4_T5_mT6_T7_P12ihipStream_tbENKUlT_T0_E_clISt17integral_constantIbLb1EESV_IbLb0EEEEDaSR_SS_EUlSR_E_NS1_11comp_targetILNS1_3genE0ELNS1_11target_archE4294967295ELNS1_3gpuE0ELNS1_3repE0EEENS1_30default_config_static_selectorELNS0_4arch9wavefront6targetE1EEEvT1_: ; @_ZN7rocprim17ROCPRIM_400000_NS6detail17trampoline_kernelINS0_14default_configENS1_27scan_by_key_config_selectorIiiEEZZNS1_16scan_by_key_implILNS1_25lookback_scan_determinismE0ELb0ES3_N6thrust23THRUST_200600_302600_NS10device_ptrIiEESB_SB_iNS9_4plusIvEENS9_8equal_toIvEEiEE10hipError_tPvRmT2_T3_T4_T5_mT6_T7_P12ihipStream_tbENKUlT_T0_E_clISt17integral_constantIbLb1EESV_IbLb0EEEEDaSR_SS_EUlSR_E_NS1_11comp_targetILNS1_3genE0ELNS1_11target_archE4294967295ELNS1_3gpuE0ELNS1_3repE0EEENS1_30default_config_static_selectorELNS0_4arch9wavefront6targetE1EEEvT1_
; %bb.0:
	.section	.rodata,"a",@progbits
	.p2align	6, 0x0
	.amdhsa_kernel _ZN7rocprim17ROCPRIM_400000_NS6detail17trampoline_kernelINS0_14default_configENS1_27scan_by_key_config_selectorIiiEEZZNS1_16scan_by_key_implILNS1_25lookback_scan_determinismE0ELb0ES3_N6thrust23THRUST_200600_302600_NS10device_ptrIiEESB_SB_iNS9_4plusIvEENS9_8equal_toIvEEiEE10hipError_tPvRmT2_T3_T4_T5_mT6_T7_P12ihipStream_tbENKUlT_T0_E_clISt17integral_constantIbLb1EESV_IbLb0EEEEDaSR_SS_EUlSR_E_NS1_11comp_targetILNS1_3genE0ELNS1_11target_archE4294967295ELNS1_3gpuE0ELNS1_3repE0EEENS1_30default_config_static_selectorELNS0_4arch9wavefront6targetE1EEEvT1_
		.amdhsa_group_segment_fixed_size 0
		.amdhsa_private_segment_fixed_size 0
		.amdhsa_kernarg_size 112
		.amdhsa_user_sgpr_count 2
		.amdhsa_user_sgpr_dispatch_ptr 0
		.amdhsa_user_sgpr_queue_ptr 0
		.amdhsa_user_sgpr_kernarg_segment_ptr 1
		.amdhsa_user_sgpr_dispatch_id 0
		.amdhsa_user_sgpr_kernarg_preload_length 0
		.amdhsa_user_sgpr_kernarg_preload_offset 0
		.amdhsa_user_sgpr_private_segment_size 0
		.amdhsa_uses_dynamic_stack 0
		.amdhsa_enable_private_segment 0
		.amdhsa_system_sgpr_workgroup_id_x 1
		.amdhsa_system_sgpr_workgroup_id_y 0
		.amdhsa_system_sgpr_workgroup_id_z 0
		.amdhsa_system_sgpr_workgroup_info 0
		.amdhsa_system_vgpr_workitem_id 0
		.amdhsa_next_free_vgpr 1
		.amdhsa_next_free_sgpr 0
		.amdhsa_accum_offset 4
		.amdhsa_reserve_vcc 0
		.amdhsa_float_round_mode_32 0
		.amdhsa_float_round_mode_16_64 0
		.amdhsa_float_denorm_mode_32 3
		.amdhsa_float_denorm_mode_16_64 3
		.amdhsa_dx10_clamp 1
		.amdhsa_ieee_mode 1
		.amdhsa_fp16_overflow 0
		.amdhsa_tg_split 0
		.amdhsa_exception_fp_ieee_invalid_op 0
		.amdhsa_exception_fp_denorm_src 0
		.amdhsa_exception_fp_ieee_div_zero 0
		.amdhsa_exception_fp_ieee_overflow 0
		.amdhsa_exception_fp_ieee_underflow 0
		.amdhsa_exception_fp_ieee_inexact 0
		.amdhsa_exception_int_div_zero 0
	.end_amdhsa_kernel
	.section	.text._ZN7rocprim17ROCPRIM_400000_NS6detail17trampoline_kernelINS0_14default_configENS1_27scan_by_key_config_selectorIiiEEZZNS1_16scan_by_key_implILNS1_25lookback_scan_determinismE0ELb0ES3_N6thrust23THRUST_200600_302600_NS10device_ptrIiEESB_SB_iNS9_4plusIvEENS9_8equal_toIvEEiEE10hipError_tPvRmT2_T3_T4_T5_mT6_T7_P12ihipStream_tbENKUlT_T0_E_clISt17integral_constantIbLb1EESV_IbLb0EEEEDaSR_SS_EUlSR_E_NS1_11comp_targetILNS1_3genE0ELNS1_11target_archE4294967295ELNS1_3gpuE0ELNS1_3repE0EEENS1_30default_config_static_selectorELNS0_4arch9wavefront6targetE1EEEvT1_,"axG",@progbits,_ZN7rocprim17ROCPRIM_400000_NS6detail17trampoline_kernelINS0_14default_configENS1_27scan_by_key_config_selectorIiiEEZZNS1_16scan_by_key_implILNS1_25lookback_scan_determinismE0ELb0ES3_N6thrust23THRUST_200600_302600_NS10device_ptrIiEESB_SB_iNS9_4plusIvEENS9_8equal_toIvEEiEE10hipError_tPvRmT2_T3_T4_T5_mT6_T7_P12ihipStream_tbENKUlT_T0_E_clISt17integral_constantIbLb1EESV_IbLb0EEEEDaSR_SS_EUlSR_E_NS1_11comp_targetILNS1_3genE0ELNS1_11target_archE4294967295ELNS1_3gpuE0ELNS1_3repE0EEENS1_30default_config_static_selectorELNS0_4arch9wavefront6targetE1EEEvT1_,comdat
.Lfunc_end2215:
	.size	_ZN7rocprim17ROCPRIM_400000_NS6detail17trampoline_kernelINS0_14default_configENS1_27scan_by_key_config_selectorIiiEEZZNS1_16scan_by_key_implILNS1_25lookback_scan_determinismE0ELb0ES3_N6thrust23THRUST_200600_302600_NS10device_ptrIiEESB_SB_iNS9_4plusIvEENS9_8equal_toIvEEiEE10hipError_tPvRmT2_T3_T4_T5_mT6_T7_P12ihipStream_tbENKUlT_T0_E_clISt17integral_constantIbLb1EESV_IbLb0EEEEDaSR_SS_EUlSR_E_NS1_11comp_targetILNS1_3genE0ELNS1_11target_archE4294967295ELNS1_3gpuE0ELNS1_3repE0EEENS1_30default_config_static_selectorELNS0_4arch9wavefront6targetE1EEEvT1_, .Lfunc_end2215-_ZN7rocprim17ROCPRIM_400000_NS6detail17trampoline_kernelINS0_14default_configENS1_27scan_by_key_config_selectorIiiEEZZNS1_16scan_by_key_implILNS1_25lookback_scan_determinismE0ELb0ES3_N6thrust23THRUST_200600_302600_NS10device_ptrIiEESB_SB_iNS9_4plusIvEENS9_8equal_toIvEEiEE10hipError_tPvRmT2_T3_T4_T5_mT6_T7_P12ihipStream_tbENKUlT_T0_E_clISt17integral_constantIbLb1EESV_IbLb0EEEEDaSR_SS_EUlSR_E_NS1_11comp_targetILNS1_3genE0ELNS1_11target_archE4294967295ELNS1_3gpuE0ELNS1_3repE0EEENS1_30default_config_static_selectorELNS0_4arch9wavefront6targetE1EEEvT1_
                                        ; -- End function
	.section	.AMDGPU.csdata,"",@progbits
; Kernel info:
; codeLenInByte = 0
; NumSgprs: 6
; NumVgprs: 0
; NumAgprs: 0
; TotalNumVgprs: 0
; ScratchSize: 0
; MemoryBound: 0
; FloatMode: 240
; IeeeMode: 1
; LDSByteSize: 0 bytes/workgroup (compile time only)
; SGPRBlocks: 0
; VGPRBlocks: 0
; NumSGPRsForWavesPerEU: 6
; NumVGPRsForWavesPerEU: 1
; AccumOffset: 4
; Occupancy: 8
; WaveLimiterHint : 0
; COMPUTE_PGM_RSRC2:SCRATCH_EN: 0
; COMPUTE_PGM_RSRC2:USER_SGPR: 2
; COMPUTE_PGM_RSRC2:TRAP_HANDLER: 0
; COMPUTE_PGM_RSRC2:TGID_X_EN: 1
; COMPUTE_PGM_RSRC2:TGID_Y_EN: 0
; COMPUTE_PGM_RSRC2:TGID_Z_EN: 0
; COMPUTE_PGM_RSRC2:TIDIG_COMP_CNT: 0
; COMPUTE_PGM_RSRC3_GFX90A:ACCUM_OFFSET: 0
; COMPUTE_PGM_RSRC3_GFX90A:TG_SPLIT: 0
	.section	.text._ZN7rocprim17ROCPRIM_400000_NS6detail17trampoline_kernelINS0_14default_configENS1_27scan_by_key_config_selectorIiiEEZZNS1_16scan_by_key_implILNS1_25lookback_scan_determinismE0ELb0ES3_N6thrust23THRUST_200600_302600_NS10device_ptrIiEESB_SB_iNS9_4plusIvEENS9_8equal_toIvEEiEE10hipError_tPvRmT2_T3_T4_T5_mT6_T7_P12ihipStream_tbENKUlT_T0_E_clISt17integral_constantIbLb1EESV_IbLb0EEEEDaSR_SS_EUlSR_E_NS1_11comp_targetILNS1_3genE10ELNS1_11target_archE1201ELNS1_3gpuE5ELNS1_3repE0EEENS1_30default_config_static_selectorELNS0_4arch9wavefront6targetE1EEEvT1_,"axG",@progbits,_ZN7rocprim17ROCPRIM_400000_NS6detail17trampoline_kernelINS0_14default_configENS1_27scan_by_key_config_selectorIiiEEZZNS1_16scan_by_key_implILNS1_25lookback_scan_determinismE0ELb0ES3_N6thrust23THRUST_200600_302600_NS10device_ptrIiEESB_SB_iNS9_4plusIvEENS9_8equal_toIvEEiEE10hipError_tPvRmT2_T3_T4_T5_mT6_T7_P12ihipStream_tbENKUlT_T0_E_clISt17integral_constantIbLb1EESV_IbLb0EEEEDaSR_SS_EUlSR_E_NS1_11comp_targetILNS1_3genE10ELNS1_11target_archE1201ELNS1_3gpuE5ELNS1_3repE0EEENS1_30default_config_static_selectorELNS0_4arch9wavefront6targetE1EEEvT1_,comdat
	.protected	_ZN7rocprim17ROCPRIM_400000_NS6detail17trampoline_kernelINS0_14default_configENS1_27scan_by_key_config_selectorIiiEEZZNS1_16scan_by_key_implILNS1_25lookback_scan_determinismE0ELb0ES3_N6thrust23THRUST_200600_302600_NS10device_ptrIiEESB_SB_iNS9_4plusIvEENS9_8equal_toIvEEiEE10hipError_tPvRmT2_T3_T4_T5_mT6_T7_P12ihipStream_tbENKUlT_T0_E_clISt17integral_constantIbLb1EESV_IbLb0EEEEDaSR_SS_EUlSR_E_NS1_11comp_targetILNS1_3genE10ELNS1_11target_archE1201ELNS1_3gpuE5ELNS1_3repE0EEENS1_30default_config_static_selectorELNS0_4arch9wavefront6targetE1EEEvT1_ ; -- Begin function _ZN7rocprim17ROCPRIM_400000_NS6detail17trampoline_kernelINS0_14default_configENS1_27scan_by_key_config_selectorIiiEEZZNS1_16scan_by_key_implILNS1_25lookback_scan_determinismE0ELb0ES3_N6thrust23THRUST_200600_302600_NS10device_ptrIiEESB_SB_iNS9_4plusIvEENS9_8equal_toIvEEiEE10hipError_tPvRmT2_T3_T4_T5_mT6_T7_P12ihipStream_tbENKUlT_T0_E_clISt17integral_constantIbLb1EESV_IbLb0EEEEDaSR_SS_EUlSR_E_NS1_11comp_targetILNS1_3genE10ELNS1_11target_archE1201ELNS1_3gpuE5ELNS1_3repE0EEENS1_30default_config_static_selectorELNS0_4arch9wavefront6targetE1EEEvT1_
	.globl	_ZN7rocprim17ROCPRIM_400000_NS6detail17trampoline_kernelINS0_14default_configENS1_27scan_by_key_config_selectorIiiEEZZNS1_16scan_by_key_implILNS1_25lookback_scan_determinismE0ELb0ES3_N6thrust23THRUST_200600_302600_NS10device_ptrIiEESB_SB_iNS9_4plusIvEENS9_8equal_toIvEEiEE10hipError_tPvRmT2_T3_T4_T5_mT6_T7_P12ihipStream_tbENKUlT_T0_E_clISt17integral_constantIbLb1EESV_IbLb0EEEEDaSR_SS_EUlSR_E_NS1_11comp_targetILNS1_3genE10ELNS1_11target_archE1201ELNS1_3gpuE5ELNS1_3repE0EEENS1_30default_config_static_selectorELNS0_4arch9wavefront6targetE1EEEvT1_
	.p2align	8
	.type	_ZN7rocprim17ROCPRIM_400000_NS6detail17trampoline_kernelINS0_14default_configENS1_27scan_by_key_config_selectorIiiEEZZNS1_16scan_by_key_implILNS1_25lookback_scan_determinismE0ELb0ES3_N6thrust23THRUST_200600_302600_NS10device_ptrIiEESB_SB_iNS9_4plusIvEENS9_8equal_toIvEEiEE10hipError_tPvRmT2_T3_T4_T5_mT6_T7_P12ihipStream_tbENKUlT_T0_E_clISt17integral_constantIbLb1EESV_IbLb0EEEEDaSR_SS_EUlSR_E_NS1_11comp_targetILNS1_3genE10ELNS1_11target_archE1201ELNS1_3gpuE5ELNS1_3repE0EEENS1_30default_config_static_selectorELNS0_4arch9wavefront6targetE1EEEvT1_,@function
_ZN7rocprim17ROCPRIM_400000_NS6detail17trampoline_kernelINS0_14default_configENS1_27scan_by_key_config_selectorIiiEEZZNS1_16scan_by_key_implILNS1_25lookback_scan_determinismE0ELb0ES3_N6thrust23THRUST_200600_302600_NS10device_ptrIiEESB_SB_iNS9_4plusIvEENS9_8equal_toIvEEiEE10hipError_tPvRmT2_T3_T4_T5_mT6_T7_P12ihipStream_tbENKUlT_T0_E_clISt17integral_constantIbLb1EESV_IbLb0EEEEDaSR_SS_EUlSR_E_NS1_11comp_targetILNS1_3genE10ELNS1_11target_archE1201ELNS1_3gpuE5ELNS1_3repE0EEENS1_30default_config_static_selectorELNS0_4arch9wavefront6targetE1EEEvT1_: ; @_ZN7rocprim17ROCPRIM_400000_NS6detail17trampoline_kernelINS0_14default_configENS1_27scan_by_key_config_selectorIiiEEZZNS1_16scan_by_key_implILNS1_25lookback_scan_determinismE0ELb0ES3_N6thrust23THRUST_200600_302600_NS10device_ptrIiEESB_SB_iNS9_4plusIvEENS9_8equal_toIvEEiEE10hipError_tPvRmT2_T3_T4_T5_mT6_T7_P12ihipStream_tbENKUlT_T0_E_clISt17integral_constantIbLb1EESV_IbLb0EEEEDaSR_SS_EUlSR_E_NS1_11comp_targetILNS1_3genE10ELNS1_11target_archE1201ELNS1_3gpuE5ELNS1_3repE0EEENS1_30default_config_static_selectorELNS0_4arch9wavefront6targetE1EEEvT1_
; %bb.0:
	.section	.rodata,"a",@progbits
	.p2align	6, 0x0
	.amdhsa_kernel _ZN7rocprim17ROCPRIM_400000_NS6detail17trampoline_kernelINS0_14default_configENS1_27scan_by_key_config_selectorIiiEEZZNS1_16scan_by_key_implILNS1_25lookback_scan_determinismE0ELb0ES3_N6thrust23THRUST_200600_302600_NS10device_ptrIiEESB_SB_iNS9_4plusIvEENS9_8equal_toIvEEiEE10hipError_tPvRmT2_T3_T4_T5_mT6_T7_P12ihipStream_tbENKUlT_T0_E_clISt17integral_constantIbLb1EESV_IbLb0EEEEDaSR_SS_EUlSR_E_NS1_11comp_targetILNS1_3genE10ELNS1_11target_archE1201ELNS1_3gpuE5ELNS1_3repE0EEENS1_30default_config_static_selectorELNS0_4arch9wavefront6targetE1EEEvT1_
		.amdhsa_group_segment_fixed_size 0
		.amdhsa_private_segment_fixed_size 0
		.amdhsa_kernarg_size 112
		.amdhsa_user_sgpr_count 2
		.amdhsa_user_sgpr_dispatch_ptr 0
		.amdhsa_user_sgpr_queue_ptr 0
		.amdhsa_user_sgpr_kernarg_segment_ptr 1
		.amdhsa_user_sgpr_dispatch_id 0
		.amdhsa_user_sgpr_kernarg_preload_length 0
		.amdhsa_user_sgpr_kernarg_preload_offset 0
		.amdhsa_user_sgpr_private_segment_size 0
		.amdhsa_uses_dynamic_stack 0
		.amdhsa_enable_private_segment 0
		.amdhsa_system_sgpr_workgroup_id_x 1
		.amdhsa_system_sgpr_workgroup_id_y 0
		.amdhsa_system_sgpr_workgroup_id_z 0
		.amdhsa_system_sgpr_workgroup_info 0
		.amdhsa_system_vgpr_workitem_id 0
		.amdhsa_next_free_vgpr 1
		.amdhsa_next_free_sgpr 0
		.amdhsa_accum_offset 4
		.amdhsa_reserve_vcc 0
		.amdhsa_float_round_mode_32 0
		.amdhsa_float_round_mode_16_64 0
		.amdhsa_float_denorm_mode_32 3
		.amdhsa_float_denorm_mode_16_64 3
		.amdhsa_dx10_clamp 1
		.amdhsa_ieee_mode 1
		.amdhsa_fp16_overflow 0
		.amdhsa_tg_split 0
		.amdhsa_exception_fp_ieee_invalid_op 0
		.amdhsa_exception_fp_denorm_src 0
		.amdhsa_exception_fp_ieee_div_zero 0
		.amdhsa_exception_fp_ieee_overflow 0
		.amdhsa_exception_fp_ieee_underflow 0
		.amdhsa_exception_fp_ieee_inexact 0
		.amdhsa_exception_int_div_zero 0
	.end_amdhsa_kernel
	.section	.text._ZN7rocprim17ROCPRIM_400000_NS6detail17trampoline_kernelINS0_14default_configENS1_27scan_by_key_config_selectorIiiEEZZNS1_16scan_by_key_implILNS1_25lookback_scan_determinismE0ELb0ES3_N6thrust23THRUST_200600_302600_NS10device_ptrIiEESB_SB_iNS9_4plusIvEENS9_8equal_toIvEEiEE10hipError_tPvRmT2_T3_T4_T5_mT6_T7_P12ihipStream_tbENKUlT_T0_E_clISt17integral_constantIbLb1EESV_IbLb0EEEEDaSR_SS_EUlSR_E_NS1_11comp_targetILNS1_3genE10ELNS1_11target_archE1201ELNS1_3gpuE5ELNS1_3repE0EEENS1_30default_config_static_selectorELNS0_4arch9wavefront6targetE1EEEvT1_,"axG",@progbits,_ZN7rocprim17ROCPRIM_400000_NS6detail17trampoline_kernelINS0_14default_configENS1_27scan_by_key_config_selectorIiiEEZZNS1_16scan_by_key_implILNS1_25lookback_scan_determinismE0ELb0ES3_N6thrust23THRUST_200600_302600_NS10device_ptrIiEESB_SB_iNS9_4plusIvEENS9_8equal_toIvEEiEE10hipError_tPvRmT2_T3_T4_T5_mT6_T7_P12ihipStream_tbENKUlT_T0_E_clISt17integral_constantIbLb1EESV_IbLb0EEEEDaSR_SS_EUlSR_E_NS1_11comp_targetILNS1_3genE10ELNS1_11target_archE1201ELNS1_3gpuE5ELNS1_3repE0EEENS1_30default_config_static_selectorELNS0_4arch9wavefront6targetE1EEEvT1_,comdat
.Lfunc_end2216:
	.size	_ZN7rocprim17ROCPRIM_400000_NS6detail17trampoline_kernelINS0_14default_configENS1_27scan_by_key_config_selectorIiiEEZZNS1_16scan_by_key_implILNS1_25lookback_scan_determinismE0ELb0ES3_N6thrust23THRUST_200600_302600_NS10device_ptrIiEESB_SB_iNS9_4plusIvEENS9_8equal_toIvEEiEE10hipError_tPvRmT2_T3_T4_T5_mT6_T7_P12ihipStream_tbENKUlT_T0_E_clISt17integral_constantIbLb1EESV_IbLb0EEEEDaSR_SS_EUlSR_E_NS1_11comp_targetILNS1_3genE10ELNS1_11target_archE1201ELNS1_3gpuE5ELNS1_3repE0EEENS1_30default_config_static_selectorELNS0_4arch9wavefront6targetE1EEEvT1_, .Lfunc_end2216-_ZN7rocprim17ROCPRIM_400000_NS6detail17trampoline_kernelINS0_14default_configENS1_27scan_by_key_config_selectorIiiEEZZNS1_16scan_by_key_implILNS1_25lookback_scan_determinismE0ELb0ES3_N6thrust23THRUST_200600_302600_NS10device_ptrIiEESB_SB_iNS9_4plusIvEENS9_8equal_toIvEEiEE10hipError_tPvRmT2_T3_T4_T5_mT6_T7_P12ihipStream_tbENKUlT_T0_E_clISt17integral_constantIbLb1EESV_IbLb0EEEEDaSR_SS_EUlSR_E_NS1_11comp_targetILNS1_3genE10ELNS1_11target_archE1201ELNS1_3gpuE5ELNS1_3repE0EEENS1_30default_config_static_selectorELNS0_4arch9wavefront6targetE1EEEvT1_
                                        ; -- End function
	.section	.AMDGPU.csdata,"",@progbits
; Kernel info:
; codeLenInByte = 0
; NumSgprs: 6
; NumVgprs: 0
; NumAgprs: 0
; TotalNumVgprs: 0
; ScratchSize: 0
; MemoryBound: 0
; FloatMode: 240
; IeeeMode: 1
; LDSByteSize: 0 bytes/workgroup (compile time only)
; SGPRBlocks: 0
; VGPRBlocks: 0
; NumSGPRsForWavesPerEU: 6
; NumVGPRsForWavesPerEU: 1
; AccumOffset: 4
; Occupancy: 8
; WaveLimiterHint : 0
; COMPUTE_PGM_RSRC2:SCRATCH_EN: 0
; COMPUTE_PGM_RSRC2:USER_SGPR: 2
; COMPUTE_PGM_RSRC2:TRAP_HANDLER: 0
; COMPUTE_PGM_RSRC2:TGID_X_EN: 1
; COMPUTE_PGM_RSRC2:TGID_Y_EN: 0
; COMPUTE_PGM_RSRC2:TGID_Z_EN: 0
; COMPUTE_PGM_RSRC2:TIDIG_COMP_CNT: 0
; COMPUTE_PGM_RSRC3_GFX90A:ACCUM_OFFSET: 0
; COMPUTE_PGM_RSRC3_GFX90A:TG_SPLIT: 0
	.section	.text._ZN7rocprim17ROCPRIM_400000_NS6detail17trampoline_kernelINS0_14default_configENS1_27scan_by_key_config_selectorIiiEEZZNS1_16scan_by_key_implILNS1_25lookback_scan_determinismE0ELb0ES3_N6thrust23THRUST_200600_302600_NS10device_ptrIiEESB_SB_iNS9_4plusIvEENS9_8equal_toIvEEiEE10hipError_tPvRmT2_T3_T4_T5_mT6_T7_P12ihipStream_tbENKUlT_T0_E_clISt17integral_constantIbLb1EESV_IbLb0EEEEDaSR_SS_EUlSR_E_NS1_11comp_targetILNS1_3genE5ELNS1_11target_archE942ELNS1_3gpuE9ELNS1_3repE0EEENS1_30default_config_static_selectorELNS0_4arch9wavefront6targetE1EEEvT1_,"axG",@progbits,_ZN7rocprim17ROCPRIM_400000_NS6detail17trampoline_kernelINS0_14default_configENS1_27scan_by_key_config_selectorIiiEEZZNS1_16scan_by_key_implILNS1_25lookback_scan_determinismE0ELb0ES3_N6thrust23THRUST_200600_302600_NS10device_ptrIiEESB_SB_iNS9_4plusIvEENS9_8equal_toIvEEiEE10hipError_tPvRmT2_T3_T4_T5_mT6_T7_P12ihipStream_tbENKUlT_T0_E_clISt17integral_constantIbLb1EESV_IbLb0EEEEDaSR_SS_EUlSR_E_NS1_11comp_targetILNS1_3genE5ELNS1_11target_archE942ELNS1_3gpuE9ELNS1_3repE0EEENS1_30default_config_static_selectorELNS0_4arch9wavefront6targetE1EEEvT1_,comdat
	.protected	_ZN7rocprim17ROCPRIM_400000_NS6detail17trampoline_kernelINS0_14default_configENS1_27scan_by_key_config_selectorIiiEEZZNS1_16scan_by_key_implILNS1_25lookback_scan_determinismE0ELb0ES3_N6thrust23THRUST_200600_302600_NS10device_ptrIiEESB_SB_iNS9_4plusIvEENS9_8equal_toIvEEiEE10hipError_tPvRmT2_T3_T4_T5_mT6_T7_P12ihipStream_tbENKUlT_T0_E_clISt17integral_constantIbLb1EESV_IbLb0EEEEDaSR_SS_EUlSR_E_NS1_11comp_targetILNS1_3genE5ELNS1_11target_archE942ELNS1_3gpuE9ELNS1_3repE0EEENS1_30default_config_static_selectorELNS0_4arch9wavefront6targetE1EEEvT1_ ; -- Begin function _ZN7rocprim17ROCPRIM_400000_NS6detail17trampoline_kernelINS0_14default_configENS1_27scan_by_key_config_selectorIiiEEZZNS1_16scan_by_key_implILNS1_25lookback_scan_determinismE0ELb0ES3_N6thrust23THRUST_200600_302600_NS10device_ptrIiEESB_SB_iNS9_4plusIvEENS9_8equal_toIvEEiEE10hipError_tPvRmT2_T3_T4_T5_mT6_T7_P12ihipStream_tbENKUlT_T0_E_clISt17integral_constantIbLb1EESV_IbLb0EEEEDaSR_SS_EUlSR_E_NS1_11comp_targetILNS1_3genE5ELNS1_11target_archE942ELNS1_3gpuE9ELNS1_3repE0EEENS1_30default_config_static_selectorELNS0_4arch9wavefront6targetE1EEEvT1_
	.globl	_ZN7rocprim17ROCPRIM_400000_NS6detail17trampoline_kernelINS0_14default_configENS1_27scan_by_key_config_selectorIiiEEZZNS1_16scan_by_key_implILNS1_25lookback_scan_determinismE0ELb0ES3_N6thrust23THRUST_200600_302600_NS10device_ptrIiEESB_SB_iNS9_4plusIvEENS9_8equal_toIvEEiEE10hipError_tPvRmT2_T3_T4_T5_mT6_T7_P12ihipStream_tbENKUlT_T0_E_clISt17integral_constantIbLb1EESV_IbLb0EEEEDaSR_SS_EUlSR_E_NS1_11comp_targetILNS1_3genE5ELNS1_11target_archE942ELNS1_3gpuE9ELNS1_3repE0EEENS1_30default_config_static_selectorELNS0_4arch9wavefront6targetE1EEEvT1_
	.p2align	8
	.type	_ZN7rocprim17ROCPRIM_400000_NS6detail17trampoline_kernelINS0_14default_configENS1_27scan_by_key_config_selectorIiiEEZZNS1_16scan_by_key_implILNS1_25lookback_scan_determinismE0ELb0ES3_N6thrust23THRUST_200600_302600_NS10device_ptrIiEESB_SB_iNS9_4plusIvEENS9_8equal_toIvEEiEE10hipError_tPvRmT2_T3_T4_T5_mT6_T7_P12ihipStream_tbENKUlT_T0_E_clISt17integral_constantIbLb1EESV_IbLb0EEEEDaSR_SS_EUlSR_E_NS1_11comp_targetILNS1_3genE5ELNS1_11target_archE942ELNS1_3gpuE9ELNS1_3repE0EEENS1_30default_config_static_selectorELNS0_4arch9wavefront6targetE1EEEvT1_,@function
_ZN7rocprim17ROCPRIM_400000_NS6detail17trampoline_kernelINS0_14default_configENS1_27scan_by_key_config_selectorIiiEEZZNS1_16scan_by_key_implILNS1_25lookback_scan_determinismE0ELb0ES3_N6thrust23THRUST_200600_302600_NS10device_ptrIiEESB_SB_iNS9_4plusIvEENS9_8equal_toIvEEiEE10hipError_tPvRmT2_T3_T4_T5_mT6_T7_P12ihipStream_tbENKUlT_T0_E_clISt17integral_constantIbLb1EESV_IbLb0EEEEDaSR_SS_EUlSR_E_NS1_11comp_targetILNS1_3genE5ELNS1_11target_archE942ELNS1_3gpuE9ELNS1_3repE0EEENS1_30default_config_static_selectorELNS0_4arch9wavefront6targetE1EEEvT1_: ; @_ZN7rocprim17ROCPRIM_400000_NS6detail17trampoline_kernelINS0_14default_configENS1_27scan_by_key_config_selectorIiiEEZZNS1_16scan_by_key_implILNS1_25lookback_scan_determinismE0ELb0ES3_N6thrust23THRUST_200600_302600_NS10device_ptrIiEESB_SB_iNS9_4plusIvEENS9_8equal_toIvEEiEE10hipError_tPvRmT2_T3_T4_T5_mT6_T7_P12ihipStream_tbENKUlT_T0_E_clISt17integral_constantIbLb1EESV_IbLb0EEEEDaSR_SS_EUlSR_E_NS1_11comp_targetILNS1_3genE5ELNS1_11target_archE942ELNS1_3gpuE9ELNS1_3repE0EEENS1_30default_config_static_selectorELNS0_4arch9wavefront6targetE1EEEvT1_
; %bb.0:
	s_load_dwordx8 s[52:59], s[0:1], 0x0
	s_load_dwordx4 s[68:71], s[0:1], 0x28
	s_load_dwordx2 s[74:75], s[0:1], 0x38
	s_load_dword s3, s[0:1], 0x40
	s_load_dwordx8 s[60:67], s[0:1], 0x48
	s_waitcnt lgkmcnt(0)
	s_lshl_b64 s[72:73], s[54:55], 2
	s_add_u32 s4, s52, s72
	s_addc_u32 s5, s53, s73
	s_add_u32 s6, s56, s72
	s_mul_i32 s0, s75, s3
	s_mul_hi_u32 s1, s74, s3
	s_addc_u32 s7, s57, s73
	s_add_i32 s8, s1, s0
	s_cmp_lg_u64 s[64:65], 0
	s_mul_i32 s0, s2, 0x1700
	s_mov_b32 s1, 0
	s_cselect_b64 s[64:65], -1, 0
	s_lshl_b64 s[56:57], s[0:1], 2
	s_add_u32 s54, s4, s56
	s_addc_u32 s55, s5, s57
	s_add_u32 s52, s6, s56
	s_mul_i32 s3, s74, s3
	s_addc_u32 s53, s7, s57
	s_add_u32 s76, s3, s2
	s_addc_u32 s77, s8, 0
	s_add_u32 s4, s60, -1
	s_addc_u32 s5, s61, -1
	v_mov_b64_e32 v[2:3], s[4:5]
	v_cmp_ge_u64_e64 s[0:1], s[76:77], v[2:3]
	s_mov_b64 s[10:11], 0
	s_mov_b64 s[6:7], -1
	s_and_b64 vcc, exec, s[0:1]
	s_mul_i32 s33, s4, 0xffffe900
	s_barrier
	s_cbranch_vccz .LBB2217_122
; %bb.1:
	v_mov_b64_e32 v[2:3], s[54:55]
	flat_load_dword v1, v[2:3]
	s_add_i32 s3, s33, s70
	v_cmp_gt_u32_e64 s[50:51], s3, v0
	s_waitcnt vmcnt(0) lgkmcnt(0)
	v_mov_b32_e32 v3, v1
	s_and_saveexec_b64 s[4:5], s[50:51]
	s_cbranch_execz .LBB2217_3
; %bb.2:
	v_lshlrev_b32_e32 v2, 2, v0
	v_mov_b32_e32 v3, 0
	v_lshl_add_u64 v[2:3], s[54:55], 0, v[2:3]
	flat_load_dword v3, v[2:3]
.LBB2217_3:
	s_or_b64 exec, exec, s[4:5]
	v_or_b32_e32 v2, 0x100, v0
	v_cmp_gt_u32_e64 s[4:5], s3, v2
	v_mov_b32_e32 v4, v1
	s_and_saveexec_b64 s[6:7], s[4:5]
	s_cbranch_execz .LBB2217_5
; %bb.4:
	v_lshlrev_b32_e32 v4, 2, v0
	v_mov_b32_e32 v5, 0
	v_lshl_add_u64 v[4:5], s[54:55], 0, v[4:5]
	flat_load_dword v4, v[4:5] offset:1024
.LBB2217_5:
	s_or_b64 exec, exec, s[6:7]
	v_or_b32_e32 v2, 0x200, v0
	v_cmp_gt_u32_e64 s[6:7], s3, v2
	v_mov_b32_e32 v5, v1
	s_and_saveexec_b64 s[8:9], s[6:7]
	s_cbranch_execz .LBB2217_7
; %bb.6:
	v_lshlrev_b32_e32 v6, 2, v0
	v_mov_b32_e32 v7, 0
	v_lshl_add_u64 v[6:7], s[54:55], 0, v[6:7]
	flat_load_dword v5, v[6:7] offset:2048
.LBB2217_7:
	;; [unrolled: 12-line block ×3, first 2 shown]
	s_or_b64 exec, exec, s[10:11]
	v_or_b32_e32 v10, 0x400, v0
	v_cmp_gt_u32_e64 s[10:11], s3, v10
	v_mov_b32_e32 v7, v1
	s_and_saveexec_b64 s[12:13], s[10:11]
	s_cbranch_execz .LBB2217_11
; %bb.10:
	v_lshlrev_b32_e32 v8, 2, v10
	v_mov_b32_e32 v9, 0
	v_lshl_add_u64 v[8:9], s[54:55], 0, v[8:9]
	flat_load_dword v7, v[8:9]
.LBB2217_11:
	s_or_b64 exec, exec, s[12:13]
	v_or_b32_e32 v11, 0x500, v0
	v_cmp_gt_u32_e64 s[12:13], s3, v11
	v_mov_b32_e32 v8, v1
	s_and_saveexec_b64 s[14:15], s[12:13]
	s_cbranch_execz .LBB2217_13
; %bb.12:
	v_lshlrev_b32_e32 v8, 2, v11
	v_mov_b32_e32 v9, 0
	v_lshl_add_u64 v[8:9], s[54:55], 0, v[8:9]
	flat_load_dword v8, v[8:9]
.LBB2217_13:
	;; [unrolled: 12-line block ×18, first 2 shown]
	s_or_b64 exec, exec, s[48:49]
	v_or_b32_e32 v28, 0x1600, v0
	v_cmp_gt_u32_e64 s[48:49], s3, v28
	s_and_saveexec_b64 s[60:61], s[48:49]
	s_cbranch_execz .LBB2217_47
; %bb.46:
	v_lshlrev_b32_e32 v44, 2, v28
	v_mov_b32_e32 v45, 0
	v_lshl_add_u64 v[44:45], s[54:55], 0, v[44:45]
	flat_load_dword v1, v[44:45]
.LBB2217_47:
	s_or_b64 exec, exec, s[60:61]
	v_lshlrev_b32_e32 v2, 2, v0
	s_movk_i32 s60, 0x58
	s_waitcnt vmcnt(0) lgkmcnt(0)
	ds_write2st64_b32 v2, v3, v4 offset1:4
	ds_write2st64_b32 v2, v5, v6 offset0:8 offset1:12
	ds_write2st64_b32 v2, v7, v8 offset0:16 offset1:20
	;; [unrolled: 1-line block ×10, first 2 shown]
	ds_write_b32 v2, v1 offset:22528
	v_mad_u32_u24 v1, v0, s60, v2
	s_waitcnt lgkmcnt(0)
	s_barrier
	ds_read2_b32 v[68:69], v1 offset1:1
	ds_read2_b32 v[66:67], v1 offset0:2 offset1:3
	ds_read2_b32 v[64:65], v1 offset0:4 offset1:5
	ds_read2_b32 v[62:63], v1 offset0:6 offset1:7
	ds_read2_b32 v[60:61], v1 offset0:8 offset1:9
	ds_read2_b32 v[58:59], v1 offset0:10 offset1:11
	ds_read2_b32 v[56:57], v1 offset0:12 offset1:13
	ds_read2_b32 v[54:55], v1 offset0:14 offset1:15
	ds_read2_b32 v[8:9], v1 offset0:16 offset1:17
	ds_read2_b32 v[6:7], v1 offset0:18 offset1:19
	ds_read2_b32 v[4:5], v1 offset0:20 offset1:21
	ds_read_b32 v72, v1 offset:88
	s_cmp_eq_u64 s[76:77], 0
	s_mov_b64 s[60:61], s[54:55]
	s_cbranch_scc1 .LBB2217_51
; %bb.48:
	s_andn2_b64 vcc, exec, s[64:65]
	s_cbranch_vccnz .LBB2217_267
; %bb.49:
	s_lshl_b64 s[60:61], s[76:77], 2
	s_add_u32 s60, s66, s60
	s_addc_u32 s61, s67, s61
	s_add_u32 s60, s60, -4
	s_addc_u32 s61, s61, -1
	s_cbranch_execnz .LBB2217_51
.LBB2217_50:
	s_add_u32 s60, s54, -4
	s_addc_u32 s61, s55, -1
.LBB2217_51:
	v_mov_b64_e32 v[30:31], s[60:61]
	flat_load_dword v70, v[30:31]
	s_movk_i32 s60, 0xffa8
	v_mad_i32_i24 v3, v0, s60, v1
	v_cmp_ne_u32_e32 vcc, 0, v0
	s_waitcnt lgkmcnt(0)
	ds_write_b32 v3, v72 offset:23552
	s_waitcnt lgkmcnt(0)
	s_barrier
	s_and_saveexec_b64 s[60:61], vcc
	s_cbranch_execz .LBB2217_53
; %bb.52:
	v_mul_i32_i24_e32 v3, 0xffffffa8, v0
	v_add_u32_e32 v3, v1, v3
	s_waitcnt vmcnt(0)
	ds_read_b32 v70, v3 offset:23548
.LBB2217_53:
	s_or_b64 exec, exec, s[60:61]
	v_mov_b32_e32 v3, 0
	s_waitcnt lgkmcnt(0)
	s_barrier
	s_waitcnt lgkmcnt(0)
                                        ; implicit-def: $vgpr29
	s_and_saveexec_b64 s[60:61], s[50:51]
	s_cbranch_execnz .LBB2217_243
; %bb.54:
	s_or_b64 exec, exec, s[60:61]
                                        ; implicit-def: $vgpr30
	s_and_saveexec_b64 s[50:51], s[4:5]
	s_cbranch_execnz .LBB2217_244
.LBB2217_55:
	s_or_b64 exec, exec, s[50:51]
                                        ; implicit-def: $vgpr31
	s_and_saveexec_b64 s[4:5], s[6:7]
	s_cbranch_execnz .LBB2217_245
.LBB2217_56:
	s_or_b64 exec, exec, s[4:5]
                                        ; implicit-def: $vgpr3
	s_and_saveexec_b64 s[4:5], s[8:9]
	s_cbranch_execnz .LBB2217_246
.LBB2217_57:
	s_or_b64 exec, exec, s[4:5]
                                        ; implicit-def: $vgpr32
	s_and_saveexec_b64 s[4:5], s[10:11]
	s_cbranch_execnz .LBB2217_247
.LBB2217_58:
	s_or_b64 exec, exec, s[4:5]
                                        ; implicit-def: $vgpr10
	s_and_saveexec_b64 s[4:5], s[12:13]
	s_cbranch_execnz .LBB2217_248
.LBB2217_59:
	s_or_b64 exec, exec, s[4:5]
                                        ; implicit-def: $vgpr11
	s_and_saveexec_b64 s[4:5], s[14:15]
	s_cbranch_execnz .LBB2217_249
.LBB2217_60:
	s_or_b64 exec, exec, s[4:5]
                                        ; implicit-def: $vgpr12
	s_and_saveexec_b64 s[4:5], s[16:17]
	s_cbranch_execnz .LBB2217_250
.LBB2217_61:
	s_or_b64 exec, exec, s[4:5]
                                        ; implicit-def: $vgpr13
	s_and_saveexec_b64 s[4:5], s[18:19]
	s_cbranch_execnz .LBB2217_251
.LBB2217_62:
	s_or_b64 exec, exec, s[4:5]
                                        ; implicit-def: $vgpr14
	s_and_saveexec_b64 s[4:5], s[20:21]
	s_cbranch_execnz .LBB2217_252
.LBB2217_63:
	s_or_b64 exec, exec, s[4:5]
                                        ; implicit-def: $vgpr15
	s_and_saveexec_b64 s[4:5], s[22:23]
	s_cbranch_execnz .LBB2217_253
.LBB2217_64:
	s_or_b64 exec, exec, s[4:5]
                                        ; implicit-def: $vgpr16
	s_and_saveexec_b64 s[4:5], s[24:25]
	s_cbranch_execnz .LBB2217_254
.LBB2217_65:
	s_or_b64 exec, exec, s[4:5]
                                        ; implicit-def: $vgpr17
	s_and_saveexec_b64 s[4:5], s[26:27]
	s_cbranch_execnz .LBB2217_255
.LBB2217_66:
	s_or_b64 exec, exec, s[4:5]
                                        ; implicit-def: $vgpr18
	s_and_saveexec_b64 s[4:5], s[28:29]
	s_cbranch_execnz .LBB2217_256
.LBB2217_67:
	s_or_b64 exec, exec, s[4:5]
                                        ; implicit-def: $vgpr19
	s_and_saveexec_b64 s[4:5], s[30:31]
	s_cbranch_execnz .LBB2217_257
.LBB2217_68:
	s_or_b64 exec, exec, s[4:5]
                                        ; implicit-def: $vgpr20
	s_and_saveexec_b64 s[4:5], s[34:35]
	s_cbranch_execnz .LBB2217_258
.LBB2217_69:
	s_or_b64 exec, exec, s[4:5]
                                        ; implicit-def: $vgpr21
	s_and_saveexec_b64 s[4:5], s[36:37]
	s_cbranch_execnz .LBB2217_259
.LBB2217_70:
	s_or_b64 exec, exec, s[4:5]
                                        ; implicit-def: $vgpr22
	s_and_saveexec_b64 s[4:5], s[38:39]
	s_cbranch_execnz .LBB2217_260
.LBB2217_71:
	s_or_b64 exec, exec, s[4:5]
                                        ; implicit-def: $vgpr23
	s_and_saveexec_b64 s[4:5], s[40:41]
	s_cbranch_execnz .LBB2217_261
.LBB2217_72:
	s_or_b64 exec, exec, s[4:5]
                                        ; implicit-def: $vgpr24
	s_and_saveexec_b64 s[4:5], s[42:43]
	s_cbranch_execnz .LBB2217_262
.LBB2217_73:
	s_or_b64 exec, exec, s[4:5]
                                        ; implicit-def: $vgpr25
	s_and_saveexec_b64 s[4:5], s[44:45]
	s_cbranch_execnz .LBB2217_263
.LBB2217_74:
	s_or_b64 exec, exec, s[4:5]
                                        ; implicit-def: $vgpr26
	s_and_saveexec_b64 s[4:5], s[46:47]
	s_cbranch_execnz .LBB2217_264
.LBB2217_75:
	s_or_b64 exec, exec, s[4:5]
                                        ; implicit-def: $vgpr27
	s_and_saveexec_b64 s[4:5], s[48:49]
	s_cbranch_execz .LBB2217_77
.LBB2217_76:
	v_lshlrev_b32_e32 v34, 2, v28
	v_mov_b32_e32 v35, 0
	v_lshl_add_u64 v[34:35], s[52:53], 0, v[34:35]
	flat_load_dword v27, v[34:35]
.LBB2217_77:
	s_or_b64 exec, exec, s[4:5]
	v_mul_u32_u24_e32 v73, 23, v0
	s_waitcnt vmcnt(0) lgkmcnt(0)
	ds_write2st64_b32 v2, v29, v30 offset1:4
	ds_write2st64_b32 v2, v31, v3 offset0:8 offset1:12
	ds_write2st64_b32 v2, v32, v10 offset0:16 offset1:20
	;; [unrolled: 1-line block ×10, first 2 shown]
	ds_write_b32 v2, v27 offset:22528
	v_mov_b64_e32 v[10:11], 0
	v_cmp_gt_u32_e32 vcc, s3, v73
	s_mov_b64 s[10:11], 0
	s_mov_b64 s[6:7], 0
	v_mov_b64_e32 v[12:13], v[10:11]
	v_mov_b64_e32 v[14:15], v[10:11]
	;; [unrolled: 1-line block ×21, first 2 shown]
	s_waitcnt lgkmcnt(0)
	s_barrier
	s_waitcnt lgkmcnt(0)
                                        ; implicit-def: $sgpr4_sgpr5
                                        ; implicit-def: $vgpr3
	s_and_saveexec_b64 s[8:9], vcc
	s_cbranch_execz .LBB2217_121
; %bb.78:
	ds_read_b32 v10, v1
	v_add_u32_e32 v2, 1, v73
	v_cmp_ne_u32_e32 vcc, v70, v68
	v_mov_b64_e32 v[12:13], 0
	s_mov_b64 s[12:13], 0
	v_cndmask_b32_e64 v11, 0, 1, vcc
	v_cmp_gt_u32_e32 vcc, s3, v2
	s_mov_b64 s[4:5], 0
	v_mov_b64_e32 v[14:15], v[12:13]
	v_mov_b64_e32 v[16:17], v[12:13]
	;; [unrolled: 1-line block ×20, first 2 shown]
                                        ; implicit-def: $sgpr14_sgpr15
                                        ; implicit-def: $vgpr3
	s_and_saveexec_b64 s[10:11], vcc
	s_cbranch_execz .LBB2217_120
; %bb.79:
	ds_read2_b32 v[70:71], v1 offset0:1 offset1:2
	v_add_u32_e32 v2, 2, v73
	v_cmp_ne_u32_e32 vcc, v68, v69
	v_mov_b64_e32 v[14:15], 0
	s_mov_b64 s[16:17], 0
	v_cndmask_b32_e64 v13, 0, 1, vcc
	v_cmp_gt_u32_e32 vcc, s3, v2
	s_waitcnt lgkmcnt(0)
	v_mov_b32_e32 v12, v70
	v_mov_b64_e32 v[16:17], v[14:15]
	v_mov_b64_e32 v[18:19], v[14:15]
	v_mov_b64_e32 v[20:21], v[14:15]
	v_mov_b64_e32 v[22:23], v[14:15]
	v_mov_b64_e32 v[24:25], v[14:15]
	v_mov_b64_e32 v[26:27], v[14:15]
	v_mov_b64_e32 v[28:29], v[14:15]
	v_mov_b64_e32 v[30:31], v[14:15]
	v_mov_b64_e32 v[32:33], v[14:15]
	v_mov_b64_e32 v[34:35], v[14:15]
	v_mov_b64_e32 v[36:37], v[14:15]
	v_mov_b64_e32 v[38:39], v[14:15]
	v_mov_b64_e32 v[40:41], v[14:15]
	v_mov_b64_e32 v[42:43], v[14:15]
	v_mov_b64_e32 v[44:45], v[14:15]
	v_mov_b64_e32 v[46:47], v[14:15]
	v_mov_b64_e32 v[48:49], v[14:15]
	v_mov_b64_e32 v[50:51], v[14:15]
	v_mov_b64_e32 v[52:53], v[14:15]
                                        ; implicit-def: $sgpr14_sgpr15
                                        ; implicit-def: $vgpr3
	s_and_saveexec_b64 s[12:13], vcc
	s_cbranch_execz .LBB2217_119
; %bb.80:
	v_add_u32_e32 v2, 3, v73
	v_cmp_ne_u32_e32 vcc, v69, v66
	v_mov_b64_e32 v[16:17], 0
	v_mov_b32_e32 v14, v71
	v_cndmask_b32_e64 v15, 0, 1, vcc
	v_cmp_gt_u32_e32 vcc, s3, v2
	v_mov_b64_e32 v[18:19], v[16:17]
	v_mov_b64_e32 v[20:21], v[16:17]
	;; [unrolled: 1-line block ×18, first 2 shown]
                                        ; implicit-def: $sgpr18_sgpr19
                                        ; implicit-def: $vgpr3
	s_and_saveexec_b64 s[14:15], vcc
	s_cbranch_execz .LBB2217_118
; %bb.81:
	ds_read2_b32 v[68:69], v1 offset0:3 offset1:4
	v_add_u32_e32 v2, 4, v73
	v_cmp_ne_u32_e32 vcc, v66, v67
	v_mov_b64_e32 v[18:19], 0
	s_mov_b64 s[20:21], 0
	v_cndmask_b32_e64 v17, 0, 1, vcc
	v_cmp_gt_u32_e32 vcc, s3, v2
	s_waitcnt lgkmcnt(0)
	v_mov_b32_e32 v16, v68
	v_mov_b64_e32 v[20:21], v[18:19]
	v_mov_b64_e32 v[22:23], v[18:19]
	;; [unrolled: 1-line block ×17, first 2 shown]
                                        ; implicit-def: $sgpr18_sgpr19
                                        ; implicit-def: $vgpr3
	s_and_saveexec_b64 s[16:17], vcc
	s_cbranch_execz .LBB2217_117
; %bb.82:
	v_add_u32_e32 v2, 5, v73
	v_cmp_ne_u32_e32 vcc, v67, v64
	v_mov_b64_e32 v[20:21], 0
	v_mov_b32_e32 v18, v69
	v_cndmask_b32_e64 v19, 0, 1, vcc
	v_cmp_gt_u32_e32 vcc, s3, v2
	v_mov_b64_e32 v[22:23], v[20:21]
	v_mov_b64_e32 v[24:25], v[20:21]
	;; [unrolled: 1-line block ×16, first 2 shown]
                                        ; implicit-def: $sgpr22_sgpr23
                                        ; implicit-def: $vgpr3
	s_and_saveexec_b64 s[18:19], vcc
	s_cbranch_execz .LBB2217_116
; %bb.83:
	ds_read2_b32 v[66:67], v1 offset0:5 offset1:6
	v_add_u32_e32 v2, 6, v73
	v_cmp_ne_u32_e32 vcc, v64, v65
	v_mov_b64_e32 v[22:23], 0
	s_mov_b64 s[24:25], 0
	v_cndmask_b32_e64 v21, 0, 1, vcc
	v_cmp_gt_u32_e32 vcc, s3, v2
	s_waitcnt lgkmcnt(0)
	v_mov_b32_e32 v20, v66
	v_mov_b64_e32 v[24:25], v[22:23]
	v_mov_b64_e32 v[26:27], v[22:23]
	;; [unrolled: 1-line block ×15, first 2 shown]
                                        ; implicit-def: $sgpr22_sgpr23
                                        ; implicit-def: $vgpr3
	s_and_saveexec_b64 s[20:21], vcc
	s_cbranch_execz .LBB2217_115
; %bb.84:
	v_add_u32_e32 v2, 7, v73
	v_cmp_ne_u32_e32 vcc, v65, v62
	v_mov_b64_e32 v[24:25], 0
	v_mov_b32_e32 v22, v67
	v_cndmask_b32_e64 v23, 0, 1, vcc
	v_cmp_gt_u32_e32 vcc, s3, v2
	v_mov_b64_e32 v[26:27], v[24:25]
	v_mov_b64_e32 v[28:29], v[24:25]
	;; [unrolled: 1-line block ×14, first 2 shown]
                                        ; implicit-def: $sgpr26_sgpr27
                                        ; implicit-def: $vgpr3
	s_and_saveexec_b64 s[22:23], vcc
	s_cbranch_execz .LBB2217_114
; %bb.85:
	ds_read2_b32 v[64:65], v1 offset0:7 offset1:8
	v_add_u32_e32 v2, 8, v73
	v_cmp_ne_u32_e32 vcc, v62, v63
	v_mov_b64_e32 v[26:27], 0
	s_mov_b64 s[28:29], 0
	v_cndmask_b32_e64 v25, 0, 1, vcc
	v_cmp_gt_u32_e32 vcc, s3, v2
	s_waitcnt lgkmcnt(0)
	v_mov_b32_e32 v24, v64
	v_mov_b64_e32 v[28:29], v[26:27]
	v_mov_b64_e32 v[30:31], v[26:27]
	;; [unrolled: 1-line block ×13, first 2 shown]
                                        ; implicit-def: $sgpr26_sgpr27
                                        ; implicit-def: $vgpr3
	s_and_saveexec_b64 s[24:25], vcc
	s_cbranch_execz .LBB2217_113
; %bb.86:
	v_add_u32_e32 v2, 9, v73
	v_cmp_ne_u32_e32 vcc, v63, v60
	v_mov_b64_e32 v[28:29], 0
	v_mov_b32_e32 v26, v65
	v_cndmask_b32_e64 v27, 0, 1, vcc
	v_cmp_gt_u32_e32 vcc, s3, v2
	v_mov_b64_e32 v[30:31], v[28:29]
	v_mov_b64_e32 v[32:33], v[28:29]
	v_mov_b64_e32 v[34:35], v[28:29]
	v_mov_b64_e32 v[36:37], v[28:29]
	v_mov_b64_e32 v[38:39], v[28:29]
	v_mov_b64_e32 v[40:41], v[28:29]
	v_mov_b64_e32 v[42:43], v[28:29]
	v_mov_b64_e32 v[44:45], v[28:29]
	v_mov_b64_e32 v[46:47], v[28:29]
	v_mov_b64_e32 v[48:49], v[28:29]
	v_mov_b64_e32 v[50:51], v[28:29]
	v_mov_b64_e32 v[52:53], v[28:29]
                                        ; implicit-def: $sgpr30_sgpr31
                                        ; implicit-def: $vgpr3
	s_and_saveexec_b64 s[26:27], vcc
	s_cbranch_execz .LBB2217_112
; %bb.87:
	ds_read2_b32 v[62:63], v1 offset0:9 offset1:10
	v_add_u32_e32 v2, 10, v73
	v_cmp_ne_u32_e32 vcc, v60, v61
	v_mov_b64_e32 v[30:31], 0
	s_mov_b64 s[34:35], 0
	v_cndmask_b32_e64 v29, 0, 1, vcc
	v_cmp_gt_u32_e32 vcc, s3, v2
	s_waitcnt lgkmcnt(0)
	v_mov_b32_e32 v28, v62
	v_mov_b64_e32 v[32:33], v[30:31]
	v_mov_b64_e32 v[34:35], v[30:31]
	;; [unrolled: 1-line block ×11, first 2 shown]
                                        ; implicit-def: $sgpr30_sgpr31
                                        ; implicit-def: $vgpr3
	s_and_saveexec_b64 s[28:29], vcc
	s_cbranch_execz .LBB2217_111
; %bb.88:
	v_add_u32_e32 v2, 11, v73
	v_cmp_ne_u32_e32 vcc, v61, v58
	v_mov_b64_e32 v[32:33], 0
	v_mov_b32_e32 v30, v63
	v_cndmask_b32_e64 v31, 0, 1, vcc
	v_cmp_gt_u32_e32 vcc, s3, v2
	v_mov_b64_e32 v[34:35], v[32:33]
	v_mov_b64_e32 v[36:37], v[32:33]
	;; [unrolled: 1-line block ×10, first 2 shown]
                                        ; implicit-def: $sgpr36_sgpr37
                                        ; implicit-def: $vgpr3
	s_and_saveexec_b64 s[30:31], vcc
	s_cbranch_execz .LBB2217_110
; %bb.89:
	ds_read2_b32 v[60:61], v1 offset0:11 offset1:12
	v_add_u32_e32 v2, 12, v73
	v_cmp_ne_u32_e32 vcc, v58, v59
	v_mov_b64_e32 v[34:35], 0
	s_mov_b64 s[38:39], 0
	v_cndmask_b32_e64 v33, 0, 1, vcc
	v_cmp_gt_u32_e32 vcc, s3, v2
	s_waitcnt lgkmcnt(0)
	v_mov_b32_e32 v32, v60
	v_mov_b64_e32 v[36:37], v[34:35]
	v_mov_b64_e32 v[38:39], v[34:35]
	;; [unrolled: 1-line block ×9, first 2 shown]
                                        ; implicit-def: $sgpr36_sgpr37
                                        ; implicit-def: $vgpr3
	s_and_saveexec_b64 s[34:35], vcc
	s_cbranch_execz .LBB2217_109
; %bb.90:
	v_add_u32_e32 v2, 13, v73
	v_cmp_ne_u32_e32 vcc, v59, v56
	v_mov_b64_e32 v[36:37], 0
	v_mov_b32_e32 v34, v61
	v_cndmask_b32_e64 v35, 0, 1, vcc
	v_cmp_gt_u32_e32 vcc, s3, v2
	v_mov_b64_e32 v[38:39], v[36:37]
	v_mov_b64_e32 v[40:41], v[36:37]
	;; [unrolled: 1-line block ×8, first 2 shown]
                                        ; implicit-def: $sgpr40_sgpr41
                                        ; implicit-def: $vgpr3
	s_and_saveexec_b64 s[36:37], vcc
	s_cbranch_execz .LBB2217_108
; %bb.91:
	ds_read2_b32 v[58:59], v1 offset0:13 offset1:14
	v_add_u32_e32 v2, 14, v73
	v_cmp_ne_u32_e32 vcc, v56, v57
	v_mov_b64_e32 v[38:39], 0
	s_mov_b64 s[42:43], 0
	v_cndmask_b32_e64 v37, 0, 1, vcc
	v_cmp_gt_u32_e32 vcc, s3, v2
	s_waitcnt lgkmcnt(0)
	v_mov_b32_e32 v36, v58
	v_mov_b64_e32 v[40:41], v[38:39]
	v_mov_b64_e32 v[42:43], v[38:39]
	;; [unrolled: 1-line block ×7, first 2 shown]
                                        ; implicit-def: $sgpr40_sgpr41
                                        ; implicit-def: $vgpr3
	s_and_saveexec_b64 s[38:39], vcc
	s_cbranch_execz .LBB2217_107
; %bb.92:
	v_add_u32_e32 v2, 15, v73
	v_cmp_ne_u32_e32 vcc, v57, v54
	v_mov_b64_e32 v[40:41], 0
	v_mov_b32_e32 v38, v59
	v_cndmask_b32_e64 v39, 0, 1, vcc
	v_cmp_gt_u32_e32 vcc, s3, v2
	v_mov_b64_e32 v[42:43], v[40:41]
	v_mov_b64_e32 v[44:45], v[40:41]
	;; [unrolled: 1-line block ×6, first 2 shown]
                                        ; implicit-def: $sgpr44_sgpr45
                                        ; implicit-def: $vgpr3
	s_and_saveexec_b64 s[40:41], vcc
	s_cbranch_execz .LBB2217_106
; %bb.93:
	ds_read2_b32 v[56:57], v1 offset0:15 offset1:16
	v_add_u32_e32 v2, 16, v73
	v_cmp_ne_u32_e32 vcc, v54, v55
	v_mov_b64_e32 v[42:43], 0
	s_mov_b64 s[46:47], 0
	v_cndmask_b32_e64 v41, 0, 1, vcc
	v_cmp_gt_u32_e32 vcc, s3, v2
	s_waitcnt lgkmcnt(0)
	v_mov_b32_e32 v40, v56
	v_mov_b64_e32 v[44:45], v[42:43]
	v_mov_b64_e32 v[46:47], v[42:43]
	;; [unrolled: 1-line block ×5, first 2 shown]
                                        ; implicit-def: $sgpr44_sgpr45
                                        ; implicit-def: $vgpr3
	s_and_saveexec_b64 s[42:43], vcc
	s_cbranch_execz .LBB2217_105
; %bb.94:
	v_add_u32_e32 v2, 17, v73
	v_cmp_ne_u32_e32 vcc, v55, v8
	v_mov_b64_e32 v[44:45], 0
	v_mov_b32_e32 v42, v57
	v_cndmask_b32_e64 v43, 0, 1, vcc
	v_cmp_gt_u32_e32 vcc, s3, v2
	v_mov_b64_e32 v[46:47], v[44:45]
	v_mov_b64_e32 v[48:49], v[44:45]
	;; [unrolled: 1-line block ×4, first 2 shown]
                                        ; implicit-def: $sgpr48_sgpr49
                                        ; implicit-def: $vgpr3
	s_and_saveexec_b64 s[44:45], vcc
	s_cbranch_execz .LBB2217_104
; %bb.95:
	ds_read2_b32 v[54:55], v1 offset0:17 offset1:18
	v_add_u32_e32 v2, 18, v73
	v_cmp_ne_u32_e32 vcc, v8, v9
	v_mov_b64_e32 v[46:47], 0
	s_mov_b64 s[50:51], 0
	v_cndmask_b32_e64 v45, 0, 1, vcc
	v_cmp_gt_u32_e32 vcc, s3, v2
	s_waitcnt lgkmcnt(0)
	v_mov_b32_e32 v44, v54
	v_mov_b64_e32 v[48:49], v[46:47]
	v_mov_b64_e32 v[50:51], v[46:47]
	;; [unrolled: 1-line block ×3, first 2 shown]
                                        ; implicit-def: $sgpr48_sgpr49
                                        ; implicit-def: $vgpr3
	s_and_saveexec_b64 s[46:47], vcc
	s_cbranch_execz .LBB2217_103
; %bb.96:
	v_add_u32_e32 v2, 19, v73
	v_cmp_ne_u32_e32 vcc, v9, v6
	v_mov_b64_e32 v[48:49], 0
	v_mov_b32_e32 v46, v55
	v_cndmask_b32_e64 v47, 0, 1, vcc
	v_cmp_gt_u32_e32 vcc, s3, v2
	v_mov_b64_e32 v[50:51], v[48:49]
	v_mov_b64_e32 v[52:53], v[48:49]
                                        ; implicit-def: $sgpr60_sgpr61
                                        ; implicit-def: $vgpr3
	s_and_saveexec_b64 s[48:49], vcc
	s_cbranch_execz .LBB2217_102
; %bb.97:
	ds_read2_b32 v[8:9], v1 offset0:19 offset1:20
	v_add_u32_e32 v2, 20, v73
	v_cmp_ne_u32_e32 vcc, v6, v7
	v_mov_b64_e32 v[50:51], 0
	s_mov_b64 s[60:61], 0
	v_cndmask_b32_e64 v49, 0, 1, vcc
	v_cmp_gt_u32_e32 vcc, s3, v2
	s_waitcnt lgkmcnt(0)
	v_mov_b32_e32 v48, v8
	v_mov_b64_e32 v[52:53], v[50:51]
                                        ; implicit-def: $sgpr78_sgpr79
                                        ; implicit-def: $vgpr3
	s_and_saveexec_b64 s[50:51], vcc
	s_cbranch_execz .LBB2217_101
; %bb.98:
	v_add_u32_e32 v2, 21, v73
	v_cmp_ne_u32_e32 vcc, v7, v4
	v_mov_b32_e32 v50, v9
	v_mov_b64_e32 v[52:53], 0
	v_cndmask_b32_e64 v51, 0, 1, vcc
	v_cmp_gt_u32_e32 vcc, s3, v2
                                        ; implicit-def: $sgpr78_sgpr79
                                        ; implicit-def: $vgpr3
	s_and_saveexec_b64 s[4:5], vcc
	s_xor_b64 s[80:81], exec, s[4:5]
	s_cbranch_execz .LBB2217_100
; %bb.99:
	ds_read2_b32 v[2:3], v1 offset0:21 offset1:22
	v_add_u32_e32 v1, 22, v73
	v_cmp_ne_u32_e64 s[4:5], v4, v5
	v_cmp_ne_u32_e32 vcc, v5, v72
	s_and_b64 s[78:79], vcc, exec
	v_cndmask_b32_e64 v53, 0, 1, s[4:5]
	v_cmp_gt_u32_e64 s[4:5], s3, v1
	s_waitcnt lgkmcnt(0)
	v_mov_b32_e32 v52, v2
	s_and_b64 s[60:61], s[4:5], exec
.LBB2217_100:
	s_or_b64 exec, exec, s[80:81]
	s_and_b64 s[78:79], s[78:79], exec
	s_and_b64 s[4:5], s[60:61], exec
.LBB2217_101:
	s_or_b64 exec, exec, s[50:51]
	s_and_b64 s[60:61], s[78:79], exec
	s_and_b64 s[50:51], s[4:5], exec
.LBB2217_102:
	s_or_b64 exec, exec, s[48:49]
	s_and_b64 s[48:49], s[60:61], exec
	s_and_b64 s[4:5], s[50:51], exec
.LBB2217_103:
	s_or_b64 exec, exec, s[46:47]
	s_and_b64 s[48:49], s[48:49], exec
	s_and_b64 s[46:47], s[4:5], exec
.LBB2217_104:
	s_or_b64 exec, exec, s[44:45]
	s_and_b64 s[44:45], s[48:49], exec
	s_and_b64 s[4:5], s[46:47], exec
.LBB2217_105:
	s_or_b64 exec, exec, s[42:43]
	s_and_b64 s[44:45], s[44:45], exec
	s_and_b64 s[42:43], s[4:5], exec
.LBB2217_106:
	s_or_b64 exec, exec, s[40:41]
	s_and_b64 s[40:41], s[44:45], exec
	s_and_b64 s[4:5], s[42:43], exec
.LBB2217_107:
	s_or_b64 exec, exec, s[38:39]
	s_and_b64 s[40:41], s[40:41], exec
	s_and_b64 s[38:39], s[4:5], exec
.LBB2217_108:
	s_or_b64 exec, exec, s[36:37]
	s_and_b64 s[36:37], s[40:41], exec
	s_and_b64 s[4:5], s[38:39], exec
.LBB2217_109:
	s_or_b64 exec, exec, s[34:35]
	s_and_b64 s[36:37], s[36:37], exec
	s_and_b64 s[34:35], s[4:5], exec
.LBB2217_110:
	s_or_b64 exec, exec, s[30:31]
	s_and_b64 s[30:31], s[36:37], exec
	s_and_b64 s[4:5], s[34:35], exec
.LBB2217_111:
	s_or_b64 exec, exec, s[28:29]
	s_and_b64 s[30:31], s[30:31], exec
	s_and_b64 s[28:29], s[4:5], exec
.LBB2217_112:
	s_or_b64 exec, exec, s[26:27]
	s_and_b64 s[26:27], s[30:31], exec
	s_and_b64 s[4:5], s[28:29], exec
.LBB2217_113:
	s_or_b64 exec, exec, s[24:25]
	s_and_b64 s[26:27], s[26:27], exec
	s_and_b64 s[24:25], s[4:5], exec
.LBB2217_114:
	s_or_b64 exec, exec, s[22:23]
	s_and_b64 s[22:23], s[26:27], exec
	s_and_b64 s[4:5], s[24:25], exec
.LBB2217_115:
	s_or_b64 exec, exec, s[20:21]
	s_and_b64 s[22:23], s[22:23], exec
	s_and_b64 s[20:21], s[4:5], exec
.LBB2217_116:
	s_or_b64 exec, exec, s[18:19]
	s_and_b64 s[18:19], s[22:23], exec
	s_and_b64 s[4:5], s[20:21], exec
.LBB2217_117:
	s_or_b64 exec, exec, s[16:17]
	s_and_b64 s[18:19], s[18:19], exec
	s_and_b64 s[16:17], s[4:5], exec
.LBB2217_118:
	s_or_b64 exec, exec, s[14:15]
	s_and_b64 s[14:15], s[18:19], exec
	s_and_b64 s[4:5], s[16:17], exec
.LBB2217_119:
	s_or_b64 exec, exec, s[12:13]
	s_and_b64 s[14:15], s[14:15], exec
	s_and_b64 s[12:13], s[4:5], exec
.LBB2217_120:
	s_or_b64 exec, exec, s[10:11]
	s_and_b64 s[4:5], s[14:15], exec
	s_and_b64 s[10:11], s[12:13], exec
.LBB2217_121:
	s_or_b64 exec, exec, s[8:9]
	s_mov_b64 s[8:9], 0
	s_and_b64 vcc, exec, s[6:7]
	v_lshlrev_b32_e32 v54, 2, v0
	s_cbranch_vccnz .LBB2217_123
	s_branch .LBB2217_131
.LBB2217_122:
                                        ; implicit-def: $sgpr4_sgpr5
                                        ; implicit-def: $vgpr3
                                        ; implicit-def: $vgpr10_vgpr11
                                        ; implicit-def: $vgpr12_vgpr13
                                        ; implicit-def: $vgpr14_vgpr15
                                        ; implicit-def: $vgpr16_vgpr17
                                        ; implicit-def: $vgpr18_vgpr19
                                        ; implicit-def: $vgpr20_vgpr21
                                        ; implicit-def: $vgpr22_vgpr23
                                        ; implicit-def: $vgpr24_vgpr25
                                        ; implicit-def: $vgpr26_vgpr27
                                        ; implicit-def: $vgpr28_vgpr29
                                        ; implicit-def: $vgpr30_vgpr31
                                        ; implicit-def: $vgpr32_vgpr33
                                        ; implicit-def: $vgpr34_vgpr35
                                        ; implicit-def: $vgpr36_vgpr37
                                        ; implicit-def: $vgpr38_vgpr39
                                        ; implicit-def: $vgpr40_vgpr41
                                        ; implicit-def: $vgpr42_vgpr43
                                        ; implicit-def: $vgpr44_vgpr45
                                        ; implicit-def: $vgpr46_vgpr47
                                        ; implicit-def: $vgpr48_vgpr49
                                        ; implicit-def: $vgpr50_vgpr51
                                        ; implicit-def: $vgpr52_vgpr53
                                        ; implicit-def: $sgpr8_sgpr9
	s_and_b64 vcc, exec, s[6:7]
	v_lshlrev_b32_e32 v54, 2, v0
	s_cbranch_vccz .LBB2217_131
.LBB2217_123:
	v_mov_b32_e32 v55, 0
	v_lshl_add_u64 v[2:3], s[54:55], 0, v[54:55]
	v_add_co_u32_e32 v4, vcc, 0x1000, v2
	s_movk_i32 s3, 0x58
	s_nop 0
	v_addc_co_u32_e32 v5, vcc, 0, v3, vcc
	flat_load_dword v8, v[2:3]
	flat_load_dword v9, v[2:3] offset:1024
	s_waitcnt lgkmcnt(0)
	flat_load_dword v10, v[2:3] offset:2048
	flat_load_dword v11, v[2:3] offset:3072
	flat_load_dword v12, v[4:5]
	flat_load_dword v13, v[4:5] offset:1024
	flat_load_dword v14, v[4:5] offset:2048
	;; [unrolled: 1-line block ×3, first 2 shown]
	v_add_co_u32_e32 v4, vcc, 0x2000, v2
	v_mad_u32_u24 v1, v0, s3, v54
	s_nop 0
	v_addc_co_u32_e32 v5, vcc, 0, v3, vcc
	v_add_co_u32_e32 v6, vcc, 0x3000, v2
	s_cmp_eq_u64 s[76:77], 0
	s_nop 0
	v_addc_co_u32_e32 v7, vcc, 0, v3, vcc
	flat_load_dword v16, v[4:5]
	flat_load_dword v17, v[4:5] offset:1024
	flat_load_dword v18, v[4:5] offset:2048
	;; [unrolled: 1-line block ×3, first 2 shown]
	flat_load_dword v20, v[6:7]
	flat_load_dword v21, v[6:7] offset:1024
	flat_load_dword v22, v[6:7] offset:2048
	;; [unrolled: 1-line block ×3, first 2 shown]
	v_add_co_u32_e32 v4, vcc, 0x4000, v2
	s_nop 1
	v_addc_co_u32_e32 v5, vcc, 0, v3, vcc
	v_add_co_u32_e32 v2, vcc, 0x5000, v2
	s_nop 1
	v_addc_co_u32_e32 v3, vcc, 0, v3, vcc
	flat_load_dword v6, v[4:5]
	flat_load_dword v7, v[4:5] offset:1024
	flat_load_dword v24, v[4:5] offset:2048
	;; [unrolled: 1-line block ×3, first 2 shown]
	flat_load_dword v26, v[2:3]
	flat_load_dword v27, v[2:3] offset:1024
	flat_load_dword v28, v[2:3] offset:2048
	s_waitcnt vmcnt(0)
	ds_write2st64_b32 v54, v8, v9 offset1:4
	s_waitcnt lgkmcnt(0)
	ds_write2st64_b32 v54, v10, v11 offset0:8 offset1:12
	ds_write2st64_b32 v54, v12, v13 offset0:16 offset1:20
	;; [unrolled: 1-line block ×10, first 2 shown]
	ds_write_b32 v54, v28 offset:22528
	s_waitcnt lgkmcnt(0)
	s_barrier
	ds_read2_b32 v[2:3], v1 offset1:1
	ds_read2_b32 v[18:19], v1 offset0:2 offset1:3
	ds_read2_b32 v[22:23], v1 offset0:4 offset1:5
	;; [unrolled: 1-line block ×10, first 2 shown]
	ds_read_b32 v10, v1 offset:88
	s_cbranch_scc1 .LBB2217_128
; %bb.124:
	s_andn2_b64 vcc, exec, s[64:65]
	s_cbranch_vccnz .LBB2217_268
; %bb.125:
	s_lshl_b64 s[4:5], s[76:77], 2
	s_add_u32 s3, s66, s4
	s_addc_u32 s5, s67, s5
	s_add_u32 s4, s3, -4
	s_addc_u32 s5, s5, -1
	s_cbranch_execnz .LBB2217_127
.LBB2217_126:
	s_add_u32 s4, s54, -4
	s_addc_u32 s5, s55, -1
.LBB2217_127:
	s_mov_b64 s[54:55], s[4:5]
.LBB2217_128:
	v_mov_b64_e32 v[12:13], s[54:55]
	flat_load_dword v11, v[12:13]
	s_movk_i32 s3, 0xffa8
	v_mad_i32_i24 v12, v0, s3, v1
	v_cmp_ne_u32_e32 vcc, 0, v0
	s_waitcnt lgkmcnt(0)
	ds_write_b32 v12, v10 offset:23552
	s_waitcnt lgkmcnt(0)
	s_barrier
	s_and_saveexec_b64 s[4:5], vcc
	s_cbranch_execz .LBB2217_130
; %bb.129:
	s_waitcnt vmcnt(0)
	v_mul_i32_i24_e32 v11, 0xffffffa8, v0
	v_add_u32_e32 v11, v1, v11
	ds_read_b32 v11, v11 offset:23548
.LBB2217_130:
	s_or_b64 exec, exec, s[4:5]
	v_mov_b32_e32 v55, 0
	v_lshl_add_u64 v[12:13], s[52:53], 0, v[54:55]
	s_movk_i32 s3, 0x1000
	v_add_co_u32_e32 v14, vcc, s3, v12
	s_movk_i32 s3, 0x2000
	s_nop 0
	v_addc_co_u32_e32 v15, vcc, 0, v13, vcc
	s_waitcnt lgkmcnt(0)
	s_barrier
	flat_load_dword v20, v[12:13]
	flat_load_dword v21, v[12:13] offset:1024
	flat_load_dword v24, v[12:13] offset:2048
	;; [unrolled: 1-line block ×3, first 2 shown]
	flat_load_dword v28, v[14:15]
	flat_load_dword v29, v[14:15] offset:1024
	flat_load_dword v32, v[14:15] offset:2048
	;; [unrolled: 1-line block ×3, first 2 shown]
	v_add_co_u32_e32 v14, vcc, s3, v12
	s_movk_i32 s3, 0x3000
	s_nop 0
	v_addc_co_u32_e32 v15, vcc, 0, v13, vcc
	v_add_co_u32_e32 v16, vcc, s3, v12
	s_movk_i32 s3, 0x4000
	s_nop 0
	v_addc_co_u32_e32 v17, vcc, 0, v13, vcc
	flat_load_dword v36, v[14:15]
	flat_load_dword v37, v[14:15] offset:1024
	flat_load_dword v40, v[14:15] offset:2048
	;; [unrolled: 1-line block ×3, first 2 shown]
	flat_load_dword v44, v[16:17]
	flat_load_dword v45, v[16:17] offset:1024
	flat_load_dword v46, v[16:17] offset:2048
	;; [unrolled: 1-line block ×3, first 2 shown]
	v_add_co_u32_e32 v14, vcc, s3, v12
	s_movk_i32 s3, 0x5000
	s_nop 0
	v_addc_co_u32_e32 v15, vcc, 0, v13, vcc
	v_add_co_u32_e32 v12, vcc, s3, v12
	v_cmp_ne_u32_e64 s[4:5], v5, v10
	s_nop 0
	v_addc_co_u32_e32 v13, vcc, 0, v13, vcc
	flat_load_dword v16, v[14:15]
	flat_load_dword v17, v[14:15] offset:1024
	flat_load_dword v48, v[14:15] offset:2048
	;; [unrolled: 1-line block ×3, first 2 shown]
	flat_load_dword v50, v[12:13]
	flat_load_dword v51, v[12:13] offset:1024
	flat_load_dword v52, v[12:13] offset:2048
	s_waitcnt vmcnt(0)
	v_cmp_ne_u32_e32 vcc, v11, v2
	s_mov_b64 s[10:11], -1
                                        ; implicit-def: $sgpr8_sgpr9
	s_waitcnt lgkmcnt(0)
	ds_write2st64_b32 v54, v20, v21 offset1:4
	ds_write2st64_b32 v54, v24, v25 offset0:8 offset1:12
	ds_write2st64_b32 v54, v28, v29 offset0:16 offset1:20
	;; [unrolled: 1-line block ×10, first 2 shown]
	ds_write_b32 v54, v52 offset:22528
	v_cndmask_b32_e64 v11, 0, 1, vcc
	v_cmp_ne_u32_e32 vcc, v2, v3
	s_waitcnt lgkmcnt(0)
	s_barrier
	v_cndmask_b32_e64 v13, 0, 1, vcc
	v_cmp_ne_u32_e32 vcc, v3, v18
	ds_read2_b32 v[16:17], v1 offset1:1
	ds_read2_b32 v[20:21], v1 offset0:2 offset1:3
	ds_read2_b32 v[24:25], v1 offset0:4 offset1:5
	;; [unrolled: 1-line block ×10, first 2 shown]
	ds_read_b32 v3, v1 offset:88
	v_cndmask_b32_e64 v15, 0, 1, vcc
	v_cmp_ne_u32_e32 vcc, v18, v19
	s_waitcnt lgkmcnt(11)
	v_mov_b32_e32 v12, v17
	v_mov_b32_e32 v10, v16
	v_cndmask_b32_e64 v17, 0, 1, vcc
	v_cmp_ne_u32_e32 vcc, v19, v22
	s_waitcnt lgkmcnt(10)
	v_mov_b32_e32 v16, v21
	v_mov_b32_e32 v14, v20
	;; [unrolled: 5-line block ×5, first 2 shown]
	v_cndmask_b32_e64 v25, 0, 1, vcc
	v_cmp_ne_u32_e32 vcc, v27, v30
	s_waitcnt lgkmcnt(6)
	v_mov_b32_e32 v32, v37
	s_waitcnt lgkmcnt(2)
	v_mov_b32_e32 v48, v51
	v_cndmask_b32_e64 v27, 0, 1, vcc
	v_cmp_ne_u32_e32 vcc, v30, v31
	v_mov_b32_e32 v30, v36
	v_mov_b32_e32 v36, v41
	v_cndmask_b32_e64 v29, 0, 1, vcc
	v_cmp_ne_u32_e32 vcc, v31, v34
	s_waitcnt lgkmcnt(1)
	v_mov_b32_e32 v52, v57
	v_cndmask_b32_e64 v31, 0, 1, vcc
	v_cmp_ne_u32_e32 vcc, v34, v35
	v_mov_b32_e32 v34, v40
	v_mov_b32_e32 v40, v45
	v_cndmask_b32_e64 v33, 0, 1, vcc
	v_cmp_ne_u32_e32 vcc, v35, v38
	s_nop 1
	v_cndmask_b32_e64 v35, 0, 1, vcc
	v_cmp_ne_u32_e32 vcc, v38, v39
	v_mov_b32_e32 v38, v44
	v_mov_b32_e32 v44, v47
	v_cndmask_b32_e64 v37, 0, 1, vcc
	v_cmp_ne_u32_e32 vcc, v39, v42
	s_nop 1
	v_cndmask_b32_e64 v39, 0, 1, vcc
	v_cmp_ne_u32_e32 vcc, v42, v43
	v_mov_b32_e32 v42, v46
	v_mov_b32_e32 v46, v50
	v_cndmask_b32_e64 v41, 0, 1, vcc
	v_cmp_ne_u32_e32 vcc, v43, v8
	v_mov_b32_e32 v50, v56
	s_nop 0
	v_cndmask_b32_e64 v43, 0, 1, vcc
	v_cmp_ne_u32_e32 vcc, v8, v9
	s_nop 1
	v_cndmask_b32_e64 v45, 0, 1, vcc
	v_cmp_ne_u32_e32 vcc, v9, v6
	;; [unrolled: 3-line block ×5, first 2 shown]
	s_nop 1
	v_cndmask_b32_e64 v53, 0, 1, vcc
.LBB2217_131:
	v_mov_b64_e32 v[56:57], s[8:9]
	s_and_saveexec_b64 s[6:7], s[10:11]
	s_cbranch_execz .LBB2217_133
; %bb.132:
	v_cndmask_b32_e64 v57, 0, 1, s[4:5]
	s_waitcnt lgkmcnt(0)
	v_mov_b32_e32 v56, v3
.LBB2217_133:
	s_or_b64 exec, exec, s[6:7]
	s_mov_b32 s46, 0
	s_cmp_lg_u32 s2, 0
	v_or_b32_e32 v55, v57, v53
	v_lshrrev_b32_e32 v1, 5, v0
	v_cmp_gt_u32_e32 vcc, 64, v0
	s_waitcnt lgkmcnt(0)
	s_barrier
	s_cbranch_scc0 .LBB2217_172
; %bb.134:
	s_mov_b32 s47, 1
	v_cmp_gt_u64_e64 s[52:53], s[46:47], v[12:13]
	v_cmp_gt_u64_e64 s[4:5], s[46:47], v[14:15]
	v_cmp_gt_u64_e64 s[6:7], s[46:47], v[16:17]
	v_cndmask_b32_e64 v2, 0, v10, s[52:53]
	v_add_u32_e32 v2, v2, v12
	v_cndmask_b32_e64 v2, 0, v2, s[4:5]
	v_add_u32_e32 v2, v2, v14
	v_cndmask_b32_e64 v2, 0, v2, s[6:7]
	v_add_u32_e32 v2, v2, v16
	v_cmp_gt_u64_e64 s[8:9], s[46:47], v[18:19]
	v_cmp_gt_u64_e64 s[10:11], s[46:47], v[20:21]
	v_cmp_gt_u64_e64 s[12:13], s[46:47], v[22:23]
	v_cndmask_b32_e64 v2, 0, v2, s[8:9]
	v_add_u32_e32 v2, v2, v18
	v_cndmask_b32_e64 v2, 0, v2, s[10:11]
	v_add_u32_e32 v2, v2, v20
	v_cndmask_b32_e64 v2, 0, v2, s[12:13]
	v_add_u32_e32 v2, v2, v22
	;; [unrolled: 9-line block ×7, first 2 shown]
	v_cmp_gt_u64_e64 s[46:47], s[46:47], v[56:57]
	s_nop 1
	v_cndmask_b32_e64 v2, 0, v2, s[46:47]
	v_add_u32_e32 v62, v2, v56
	v_or3_b32 v2, v55, v51, v49
	v_or3_b32 v2, v2, v47, v45
	;; [unrolled: 1-line block ×10, first 2 shown]
	v_and_b32_e32 v2, 1, v2
	v_cmp_eq_u32_e64 s[48:49], 1, v2
	v_add_lshl_u32 v2, v1, v0, 3
	s_nop 0
	v_cndmask_b32_e64 v63, v11, 1, s[48:49]
	ds_write_b32 v2, v62
	ds_write_b8 v2, v63 offset:4
	s_waitcnt lgkmcnt(0)
	s_barrier
	s_and_saveexec_b64 s[50:51], vcc
	s_cbranch_execz .LBB2217_146
; %bb.135:
	v_lshrrev_b32_e32 v2, 3, v0
	v_add_lshl_u32 v4, v2, v54, 3
	ds_read2_b32 v[6:7], v4 offset0:2 offset1:4
	ds_read_b64 v[2:3], v4
	ds_read_u8 v8, v4 offset:12
	ds_read_u8 v9, v4 offset:20
	ds_read_b32 v58, v4 offset:24
	ds_read_u8 v59, v4 offset:28
	v_mov_b32_e32 v60, 0
	s_waitcnt lgkmcnt(3)
	v_cmp_eq_u16_sdwa s[48:49], v8, v60 src0_sel:BYTE_0 src1_sel:DWORD
	v_and_b32_e32 v5, 1, v3
	s_nop 0
	v_cndmask_b32_e64 v61, 0, v2, s[48:49]
	v_add_u32_e32 v6, v61, v6
	s_waitcnt lgkmcnt(2)
	v_cmp_eq_u16_sdwa s[48:49], v9, v60 src0_sel:BYTE_0 src1_sel:DWORD
	s_nop 1
	v_cndmask_b32_e64 v6, 0, v6, s[48:49]
	v_add_u32_e32 v6, v6, v7
	s_waitcnt lgkmcnt(0)
	v_cmp_eq_u16_e64 s[48:49], 0, v59
	s_nop 1
	v_cndmask_b32_e64 v6, 0, v6, s[48:49]
	v_add_u32_e32 v7, v6, v58
	v_or_b32_e32 v6, v59, v9
	v_or_b32_e32 v6, v6, v8
	v_and_b32_e32 v6, 1, v6
	v_cmp_eq_u32_e64 s[48:49], 1, v6
	v_mbcnt_lo_u32_b32 v8, -1, 0
	v_and_b32_e32 v6, 0xffffff00, v3
	v_cndmask_b32_e64 v9, v5, 1, s[48:49]
	v_mbcnt_hi_u32_b32 v8, -1, v8
	v_and_b32_e32 v59, 15, v8
	v_or_b32_sdwa v58, v6, v9 dst_sel:DWORD dst_unused:UNUSED_PAD src0_sel:DWORD src1_sel:WORD_0
	v_mov_b32_dpp v60, v7 row_shr:1 row_mask:0xf bank_mask:0xf
	v_cmp_ne_u32_e64 s[48:49], 0, v59
	v_mov_b32_dpp v61, v58 row_shr:1 row_mask:0xf bank_mask:0xf
	s_and_saveexec_b64 s[54:55], s[48:49]
; %bb.136:
	v_and_b32_e32 v58, 1, v9
	v_and_b32_e32 v61, 1, v61
	v_cmp_eq_u32_e64 s[48:49], 1, v58
	s_nop 1
	v_cndmask_b32_e64 v61, v61, 1, s[48:49]
	v_cmp_eq_u16_e64 s[48:49], 0, v9
	v_or_b32_sdwa v58, v6, v61 dst_sel:DWORD dst_unused:UNUSED_PAD src0_sel:DWORD src1_sel:WORD_0
	s_nop 0
	v_cndmask_b32_e64 v9, 0, v60, s[48:49]
	v_add_u32_e32 v7, v9, v7
	v_mov_b32_e32 v9, v61
; %bb.137:
	s_or_b64 exec, exec, s[54:55]
	v_mov_b32_dpp v60, v7 row_shr:2 row_mask:0xf bank_mask:0xf
	v_mov_b32_dpp v61, v58 row_shr:2 row_mask:0xf bank_mask:0xf
	v_cmp_lt_u32_e64 s[48:49], 1, v59
	s_and_saveexec_b64 s[54:55], s[48:49]
; %bb.138:
	v_and_b32_e32 v58, 1, v9
	v_and_b32_e32 v61, 1, v61
	v_cmp_eq_u32_e64 s[48:49], 1, v58
	s_nop 1
	v_cndmask_b32_e64 v61, v61, 1, s[48:49]
	v_cmp_eq_u16_e64 s[48:49], 0, v9
	v_or_b32_sdwa v58, v6, v61 dst_sel:DWORD dst_unused:UNUSED_PAD src0_sel:DWORD src1_sel:WORD_0
	s_nop 0
	v_cndmask_b32_e64 v9, 0, v60, s[48:49]
	v_add_u32_e32 v7, v9, v7
	v_mov_b32_e32 v9, v61
; %bb.139:
	s_or_b64 exec, exec, s[54:55]
	v_mov_b32_dpp v60, v7 row_shr:4 row_mask:0xf bank_mask:0xf
	v_mov_b32_dpp v61, v58 row_shr:4 row_mask:0xf bank_mask:0xf
	v_cmp_lt_u32_e64 s[48:49], 3, v59
	;; [unrolled: 18-line block ×3, first 2 shown]
	s_and_saveexec_b64 s[54:55], s[48:49]
; %bb.142:
	v_and_b32_e32 v58, 1, v9
	v_and_b32_e32 v59, 1, v61
	v_cmp_eq_u32_e64 s[48:49], 1, v58
	s_nop 1
	v_cndmask_b32_e64 v59, v59, 1, s[48:49]
	v_cmp_eq_u16_e64 s[48:49], 0, v9
	v_or_b32_sdwa v58, v6, v59 dst_sel:DWORD dst_unused:UNUSED_PAD src0_sel:DWORD src1_sel:WORD_0
	s_nop 0
	v_cndmask_b32_e64 v9, 0, v60, s[48:49]
	v_add_u32_e32 v7, v9, v7
	v_mov_b32_e32 v9, v59
; %bb.143:
	s_or_b64 exec, exec, s[54:55]
	v_and_b32_e32 v61, 16, v8
	v_mov_b32_dpp v59, v7 row_bcast:15 row_mask:0xf bank_mask:0xf
	v_mov_b32_dpp v60, v58 row_bcast:15 row_mask:0xf bank_mask:0xf
	v_cmp_ne_u32_e64 s[48:49], 0, v61
	s_and_saveexec_b64 s[54:55], s[48:49]
; %bb.144:
	v_and_b32_e32 v58, 1, v9
	v_and_b32_e32 v60, 1, v60
	v_cmp_eq_u32_e64 s[48:49], 1, v58
	s_nop 1
	v_cndmask_b32_e64 v60, v60, 1, s[48:49]
	v_cmp_eq_u16_e64 s[48:49], 0, v9
	v_or_b32_sdwa v58, v6, v60 dst_sel:DWORD dst_unused:UNUSED_PAD src0_sel:DWORD src1_sel:WORD_0
	s_nop 0
	v_cndmask_b32_e64 v9, 0, v59, s[48:49]
	v_add_u32_e32 v7, v9, v7
	v_mov_b32_e32 v9, v60
; %bb.145:
	s_or_b64 exec, exec, s[54:55]
	v_mov_b32_dpp v58, v58 row_bcast:31 row_mask:0xf bank_mask:0xf
	v_and_b32_e32 v60, 1, v9
	v_and_b32_e32 v58, 1, v58
	v_cmp_eq_u32_e64 s[48:49], 1, v60
	v_mov_b32_e32 v60, 0
	v_cmp_eq_u16_sdwa s[54:55], v9, v60 src0_sel:BYTE_0 src1_sel:DWORD
	v_cndmask_b32_e64 v58, v58, 1, s[48:49]
	v_cmp_lt_u32_e64 s[48:49], 31, v8
	v_mov_b32_dpp v59, v7 row_bcast:31 row_mask:0xf bank_mask:0xf
	s_movk_i32 s3, 0xff
	v_cndmask_b32_e64 v9, v9, v58, s[48:49]
	s_and_b64 s[48:49], s[48:49], s[54:55]
	v_cndmask_b32_e64 v58, 0, v59, s[48:49]
	v_add_u32_e32 v7, v58, v7
	v_add_u32_e32 v58, -1, v8
	v_and_b32_e32 v59, 64, v8
	v_cmp_lt_i32_e64 s[48:49], v58, v59
	v_and_or_b32 v6, v9, s3, v6
	s_nop 0
	v_cndmask_b32_e64 v8, v58, v8, s[48:49]
	v_lshlrev_b32_e32 v8, 2, v8
	ds_bpermute_b32 v7, v8, v7
	ds_bpermute_b32 v6, v8, v6
	v_cmp_eq_u16_sdwa s[48:49], v3, v60 src0_sel:BYTE_0 src1_sel:DWORD
	; wave barrier
	s_waitcnt lgkmcnt(1)
	s_nop 0
	v_cndmask_b32_e64 v3, 0, v7, s[48:49]
	v_add_u32_e32 v2, v3, v2
	s_waitcnt lgkmcnt(0)
	v_and_b32_e32 v3, 1, v6
	v_cmp_eq_u32_e64 s[48:49], 1, v5
	s_nop 1
	v_cndmask_b32_e64 v3, v3, 1, s[48:49]
	v_cmp_eq_u32_e64 s[48:49], 0, v0
	s_nop 1
	v_cndmask_b32_e64 v5, v2, v62, s[48:49]
	v_cndmask_b32_e64 v6, v3, v63, s[48:49]
	ds_write_b32 v4, v5
	ds_write_b8 v4, v6 offset:4
	; wave barrier
	ds_read_u8 v7, v4 offset:12
	ds_read2_b32 v[2:3], v4 offset0:2 offset1:4
	ds_read_u8 v8, v4 offset:20
	ds_read_b32 v9, v4 offset:24
	ds_read_u8 v58, v4 offset:28
	s_waitcnt lgkmcnt(4)
	v_cmp_eq_u16_e64 s[48:49], 0, v7
	s_nop 1
	v_cndmask_b32_e64 v5, 0, v5, s[48:49]
	s_waitcnt lgkmcnt(3)
	v_add_u32_e32 v2, v5, v2
	v_and_b32_e32 v5, 1, v7
	v_cmp_eq_u32_e64 s[48:49], 1, v5
	s_nop 1
	v_cndmask_b32_e64 v5, v6, 1, s[48:49]
	s_waitcnt lgkmcnt(2)
	v_cmp_eq_u16_e64 s[48:49], 0, v8
	ds_write_b8 v4, v5 offset:12
	s_nop 0
	v_cndmask_b32_e64 v6, 0, v2, s[48:49]
	v_add_u32_e32 v3, v6, v3
	v_and_b32_e32 v6, 1, v8
	v_cmp_eq_u32_e64 s[48:49], 1, v6
	s_nop 1
	v_cndmask_b32_e64 v5, v5, 1, s[48:49]
	s_waitcnt lgkmcnt(1)
	v_cmp_eq_u16_e64 s[48:49], 0, v58
	ds_write2_b32 v4, v2, v3 offset0:2 offset1:4
	ds_write_b8 v4, v5 offset:20
	v_cndmask_b32_e64 v2, 0, v3, s[48:49]
	v_and_b32_e32 v3, 1, v58
	v_add_u32_e32 v2, v2, v9
	v_cmp_eq_u32_e64 s[48:49], 1, v3
	s_nop 1
	v_cndmask_b32_e64 v3, v5, 1, s[48:49]
	ds_write_b32 v4, v2 offset:24
	ds_write_b8 v4, v3 offset:28
.LBB2217_146:
	s_or_b64 exec, exec, s[50:51]
	v_cmp_eq_u32_e64 s[48:49], 0, v0
	v_cmp_ne_u32_e64 s[50:51], 0, v0
	s_waitcnt lgkmcnt(0)
	s_barrier
	s_and_saveexec_b64 s[54:55], s[50:51]
	s_cbranch_execz .LBB2217_148
; %bb.147:
	v_add_u32_e32 v2, -1, v0
	v_lshrrev_b32_e32 v3, 5, v2
	v_add_lshl_u32 v2, v3, v2, 3
	ds_read_b32 v62, v2
	ds_read_u8 v63, v2 offset:4
.LBB2217_148:
	s_or_b64 exec, exec, s[54:55]
	s_and_saveexec_b64 s[60:61], vcc
	s_cbranch_execz .LBB2217_171
; %bb.149:
	v_mov_b32_e32 v5, 0
	ds_read_b64 v[2:3], v5 offset:2096
	v_mbcnt_lo_u32_b32 v4, -1, 0
	v_mbcnt_hi_u32_b32 v73, -1, v4
	s_mov_b32 s65, 0
	v_cmp_eq_u32_e64 s[50:51], 0, v73
	s_waitcnt lgkmcnt(0)
	v_readfirstlane_b32 s3, v3
	s_and_saveexec_b64 s[54:55], s[50:51]
	s_cbranch_execz .LBB2217_151
; %bb.150:
	s_add_i32 s64, s2, 64
	s_lshl_b64 s[66:67], s[64:65], 4
	s_add_u32 s66, s68, s66
	s_addc_u32 s67, s69, s67
	s_and_b32 s77, s3, 0xff000000
	s_mov_b32 s76, s65
	s_and_b32 s79, s3, 0xff0000
	s_mov_b32 s78, s65
	s_or_b64 s[76:77], s[78:79], s[76:77]
	s_and_b32 s79, s3, 0xff00
	s_or_b64 s[76:77], s[76:77], s[78:79]
	s_and_b32 s79, s3, 0xff
	s_or_b64 s[64:65], s[76:77], s[78:79]
	v_mov_b32_e32 v3, s65
	v_mov_b32_e32 v4, 1
	v_mov_b64_e32 v[6:7], s[66:67]
	;;#ASMSTART
	global_store_dwordx4 v[6:7], v[2:5] off sc1	
s_waitcnt vmcnt(0)
	;;#ASMEND
.LBB2217_151:
	s_or_b64 exec, exec, s[54:55]
	v_xad_u32 v58, v73, -1, s2
	v_add_u32_e32 v4, 64, v58
	v_lshl_add_u64 v[60:61], v[4:5], 4, s[68:69]
	;;#ASMSTART
	global_load_dwordx4 v[6:9], v[60:61] off sc1	
s_waitcnt vmcnt(0)
	;;#ASMEND
	s_nop 0
	v_and_b32_e32 v3, 0xff0000, v6
	v_and_b32_e32 v4, 0xff000000, v6
	;; [unrolled: 1-line block ×3, first 2 shown]
	v_or_b32_sdwa v3, v6, v3 dst_sel:DWORD dst_unused:UNUSED_PAD src0_sel:WORD_0 src1_sel:DWORD
	v_or3_b32 v7, 0, 0, v7
	v_or3_b32 v6, v3, v4, 0
	v_cmp_eq_u16_sdwa s[64:65], v8, v5 src0_sel:BYTE_0 src1_sel:DWORD
	s_and_saveexec_b64 s[54:55], s[64:65]
	s_cbranch_execz .LBB2217_157
; %bb.152:
	s_mov_b32 s66, 1
	s_mov_b64 s[64:65], 0
	v_mov_b32_e32 v3, 0
.LBB2217_153:                           ; =>This Loop Header: Depth=1
                                        ;     Child Loop BB2217_154 Depth 2
	s_max_u32 s67, s66, 1
.LBB2217_154:                           ;   Parent Loop BB2217_153 Depth=1
                                        ; =>  This Inner Loop Header: Depth=2
	s_add_i32 s67, s67, -1
	s_cmp_eq_u32 s67, 0
	s_sleep 1
	s_cbranch_scc0 .LBB2217_154
; %bb.155:                              ;   in Loop: Header=BB2217_153 Depth=1
	s_cmp_lt_u32 s66, 32
	s_cselect_b64 s[76:77], -1, 0
	s_cmp_lg_u64 s[76:77], 0
	s_addc_u32 s66, s66, 0
	;;#ASMSTART
	global_load_dwordx4 v[6:9], v[60:61] off sc1	
s_waitcnt vmcnt(0)
	;;#ASMEND
	s_nop 0
	v_cmp_ne_u16_sdwa s[76:77], v8, v3 src0_sel:BYTE_0 src1_sel:DWORD
	s_or_b64 s[64:65], s[76:77], s[64:65]
	s_andn2_b64 exec, exec, s[64:65]
	s_cbranch_execnz .LBB2217_153
; %bb.156:
	s_or_b64 exec, exec, s[64:65]
	v_and_b32_e32 v7, 0xff, v7
.LBB2217_157:
	s_or_b64 exec, exec, s[54:55]
	v_mov_b32_e32 v3, 2
	v_cmp_eq_u16_sdwa s[54:55], v8, v3 src0_sel:BYTE_0 src1_sel:DWORD
	v_lshlrev_b64 v[4:5], v73, -1
	v_and_b32_e32 v64, 63, v73
	v_and_b32_e32 v9, s55, v5
	v_or_b32_e32 v9, 0x80000000, v9
	v_and_b32_e32 v59, s54, v4
	v_ffbl_b32_e32 v9, v9
	v_add_u32_e32 v9, 32, v9
	v_ffbl_b32_e32 v59, v59
	v_cmp_ne_u32_e32 vcc, 63, v64
	v_min_u32_e32 v9, v59, v9
	s_mov_b32 s64, 0
	v_addc_co_u32_e32 v59, vcc, 0, v73, vcc
	v_lshlrev_b32_e32 v65, 2, v59
	ds_bpermute_b32 v59, v65, v7
	ds_bpermute_b32 v60, v65, v6
	v_and_b32_e32 v61, 1, v7
	s_mov_b32 s65, 1
	v_cmp_eq_u32_e32 vcc, 1, v61
	s_waitcnt lgkmcnt(1)
	v_and_b32_e32 v59, 1, v59
	v_cmp_lt_u32_e64 s[54:55], v64, v9
	v_cndmask_b32_e64 v59, v59, 1, vcc
	v_cmp_gt_u64_e32 vcc, s[64:65], v[6:7]
	s_and_b64 vcc, s[54:55], vcc
	v_and_b32_e32 v61, 0xffff, v59
	v_cndmask_b32_e64 v68, v7, v59, s[54:55]
	s_waitcnt lgkmcnt(0)
	v_cndmask_b32_e32 v59, 0, v60, vcc
	v_cmp_gt_u32_e32 vcc, 62, v64
	v_cndmask_b32_e64 v7, v7, v61, s[54:55]
	v_add_u32_e32 v6, v59, v6
	v_cndmask_b32_e64 v60, 0, 1, vcc
	v_lshlrev_b32_e32 v60, 1, v60
	v_add_lshl_u32 v66, v60, v73, 2
	ds_bpermute_b32 v60, v66, v7
	ds_bpermute_b32 v61, v66, v6
	v_and_b32_e32 v59, 1, v68
	v_cmp_eq_u32_e32 vcc, 1, v59
	v_mov_b32_e32 v59, 0
	s_waitcnt lgkmcnt(1)
	v_and_b32_e32 v60, 1, v60
	v_add_u32_e32 v67, 2, v64
	v_cndmask_b32_e64 v60, v60, 1, vcc
	v_cmp_eq_u16_sdwa vcc, v68, v59 src0_sel:BYTE_0 src1_sel:DWORD
	v_and_b32_e32 v69, 0xffff, v60
	v_add_u32_e32 v77, 32, v64
	s_waitcnt lgkmcnt(0)
	v_cndmask_b32_e32 v61, 0, v61, vcc
	v_cmp_gt_u32_e32 vcc, v67, v9
	s_nop 1
	v_cndmask_b32_e32 v60, v60, v68, vcc
	v_cndmask_b32_e64 v61, v61, 0, vcc
	v_cndmask_b32_e32 v7, v69, v7, vcc
	v_cmp_gt_u32_e32 vcc, 60, v64
	v_add_u32_e32 v6, v61, v6
	v_and_b32_e32 v71, 1, v60
	v_cndmask_b32_e64 v68, 0, 1, vcc
	v_lshlrev_b32_e32 v68, 2, v68
	v_add_lshl_u32 v68, v68, v73, 2
	ds_bpermute_b32 v70, v68, v7
	ds_bpermute_b32 v61, v68, v6
	v_cmp_eq_u32_e32 vcc, 1, v71
	v_add_u32_e32 v69, 4, v64
	s_waitcnt lgkmcnt(1)
	v_and_b32_e32 v70, 1, v70
	v_cndmask_b32_e64 v70, v70, 1, vcc
	v_cmp_eq_u16_sdwa vcc, v60, v59 src0_sel:BYTE_0 src1_sel:DWORD
	v_and_b32_e32 v71, 0xffff, v70
	s_waitcnt lgkmcnt(0)
	v_cndmask_b32_e32 v61, 0, v61, vcc
	v_cmp_gt_u32_e32 vcc, v69, v9
	s_nop 1
	v_cndmask_b32_e32 v60, v70, v60, vcc
	v_cndmask_b32_e64 v61, v61, 0, vcc
	v_cndmask_b32_e32 v7, v71, v7, vcc
	v_cmp_gt_u32_e32 vcc, 56, v64
	v_add_u32_e32 v6, v61, v6
	v_and_b32_e32 v74, 1, v60
	v_cndmask_b32_e64 v70, 0, 1, vcc
	v_lshlrev_b32_e32 v70, 3, v70
	v_add_lshl_u32 v70, v70, v73, 2
	ds_bpermute_b32 v72, v70, v7
	ds_bpermute_b32 v61, v70, v6
	v_cmp_eq_u32_e32 vcc, 1, v74
	v_add_u32_e32 v71, 8, v64
	s_waitcnt lgkmcnt(1)
	v_and_b32_e32 v72, 1, v72
	v_cndmask_b32_e64 v72, v72, 1, vcc
	v_cmp_eq_u16_sdwa vcc, v60, v59 src0_sel:BYTE_0 src1_sel:DWORD
	v_and_b32_e32 v74, 0xffff, v72
	;; [unrolled: 22-line block ×3, first 2 shown]
	s_waitcnt lgkmcnt(0)
	v_cndmask_b32_e32 v61, 0, v61, vcc
	v_cmp_gt_u32_e32 vcc, v74, v9
	s_nop 1
	v_cndmask_b32_e32 v60, v75, v60, vcc
	v_cndmask_b32_e64 v61, v61, 0, vcc
	v_cndmask_b32_e32 v7, v76, v7, vcc
	v_cmp_gt_u32_e32 vcc, 32, v64
	v_add_u32_e32 v6, v61, v6
	s_nop 0
	v_cndmask_b32_e64 v75, 0, 1, vcc
	v_lshlrev_b32_e32 v75, 5, v75
	v_add_lshl_u32 v76, v75, v73, 2
	ds_bpermute_b32 v7, v76, v7
	ds_bpermute_b32 v61, v76, v6
	v_and_b32_e32 v73, 1, v60
	v_cmp_eq_u32_e32 vcc, 1, v73
	s_waitcnt lgkmcnt(1)
	v_and_b32_e32 v7, 1, v7
	v_cndmask_b32_e64 v7, v7, 1, vcc
	v_cmp_eq_u16_sdwa vcc, v60, v59 src0_sel:BYTE_0 src1_sel:DWORD
	s_waitcnt lgkmcnt(0)
	s_nop 0
	v_cndmask_b32_e32 v61, 0, v61, vcc
	v_cmp_gt_u32_e32 vcc, v77, v9
	s_nop 1
	v_cndmask_b32_e64 v9, v61, 0, vcc
	v_cndmask_b32_e32 v7, v7, v60, vcc
	v_add_u32_e32 v6, v9, v6
	s_branch .LBB2217_159
.LBB2217_158:                           ;   in Loop: Header=BB2217_159 Depth=1
	s_or_b64 exec, exec, s[54:55]
	v_cmp_eq_u16_sdwa s[54:55], v8, v3 src0_sel:BYTE_0 src1_sel:DWORD
	ds_bpermute_b32 v61, v65, v7
	v_and_b32_e32 v78, 1, v7
	v_and_b32_e32 v9, s55, v5
	v_or_b32_e32 v9, 0x80000000, v9
	v_and_b32_e32 v60, s54, v4
	v_ffbl_b32_e32 v9, v9
	v_add_u32_e32 v9, 32, v9
	v_ffbl_b32_e32 v60, v60
	v_min_u32_e32 v9, v60, v9
	ds_bpermute_b32 v60, v65, v6
	s_waitcnt lgkmcnt(1)
	v_and_b32_e32 v61, 1, v61
	v_cmp_eq_u32_e32 vcc, 1, v78
	v_cmp_lt_u32_e64 s[54:55], v64, v9
	v_subrev_u32_e32 v58, 64, v58
	v_cndmask_b32_e64 v61, v61, 1, vcc
	v_cmp_gt_u64_e32 vcc, s[64:65], v[6:7]
	v_and_b32_e32 v78, 0xffff, v61
	v_cndmask_b32_e64 v61, v7, v61, s[54:55]
	v_cndmask_b32_e64 v7, v7, v78, s[54:55]
	s_and_b64 vcc, s[54:55], vcc
	ds_bpermute_b32 v78, v66, v7
	s_waitcnt lgkmcnt(1)
	v_cndmask_b32_e32 v60, 0, v60, vcc
	v_add_u32_e32 v6, v60, v6
	ds_bpermute_b32 v60, v66, v6
	v_and_b32_e32 v79, 1, v61
	s_waitcnt lgkmcnt(1)
	v_and_b32_e32 v78, 1, v78
	v_cmp_eq_u32_e32 vcc, 1, v79
	s_nop 1
	v_cndmask_b32_e64 v78, v78, 1, vcc
	v_cmp_eq_u16_sdwa vcc, v61, v59 src0_sel:BYTE_0 src1_sel:DWORD
	v_and_b32_e32 v79, 0xffff, v78
	s_waitcnt lgkmcnt(0)
	v_cndmask_b32_e32 v60, 0, v60, vcc
	v_cmp_gt_u32_e32 vcc, v67, v9
	s_nop 1
	v_cndmask_b32_e32 v7, v79, v7, vcc
	v_cndmask_b32_e32 v61, v78, v61, vcc
	ds_bpermute_b32 v78, v68, v7
	v_cndmask_b32_e64 v60, v60, 0, vcc
	v_add_u32_e32 v6, v60, v6
	ds_bpermute_b32 v60, v68, v6
	v_and_b32_e32 v79, 1, v61
	s_waitcnt lgkmcnt(1)
	v_and_b32_e32 v78, 1, v78
	v_cmp_eq_u32_e32 vcc, 1, v79
	s_nop 1
	v_cndmask_b32_e64 v78, v78, 1, vcc
	v_cmp_eq_u16_sdwa vcc, v61, v59 src0_sel:BYTE_0 src1_sel:DWORD
	v_and_b32_e32 v79, 0xffff, v78
	s_waitcnt lgkmcnt(0)
	v_cndmask_b32_e32 v60, 0, v60, vcc
	v_cmp_gt_u32_e32 vcc, v69, v9
	s_nop 1
	v_cndmask_b32_e32 v7, v79, v7, vcc
	v_cndmask_b32_e32 v61, v78, v61, vcc
	ds_bpermute_b32 v78, v70, v7
	v_cndmask_b32_e64 v60, v60, 0, vcc
	;; [unrolled: 18-line block ×3, first 2 shown]
	v_add_u32_e32 v6, v60, v6
	ds_bpermute_b32 v60, v72, v6
	v_and_b32_e32 v79, 1, v61
	s_waitcnt lgkmcnt(1)
	v_and_b32_e32 v78, 1, v78
	v_cmp_eq_u32_e32 vcc, 1, v79
	s_nop 1
	v_cndmask_b32_e64 v78, v78, 1, vcc
	v_cmp_eq_u16_sdwa vcc, v61, v59 src0_sel:BYTE_0 src1_sel:DWORD
	v_and_b32_e32 v79, 0xffff, v78
	s_waitcnt lgkmcnt(0)
	v_cndmask_b32_e32 v60, 0, v60, vcc
	v_cmp_gt_u32_e32 vcc, v74, v9
	s_nop 1
	v_cndmask_b32_e64 v60, v60, 0, vcc
	v_cndmask_b32_e32 v7, v79, v7, vcc
	ds_bpermute_b32 v7, v76, v7
	v_add_u32_e32 v6, v60, v6
	ds_bpermute_b32 v60, v76, v6
	v_cndmask_b32_e32 v61, v78, v61, vcc
	v_and_b32_e32 v78, 1, v61
	v_cmp_eq_u32_e32 vcc, 1, v78
	s_waitcnt lgkmcnt(1)
	s_nop 0
	v_cndmask_b32_e64 v7, v7, 1, vcc
	v_cmp_eq_u16_sdwa vcc, v61, v59 src0_sel:BYTE_0 src1_sel:DWORD
	s_waitcnt lgkmcnt(0)
	s_nop 0
	v_cndmask_b32_e32 v60, 0, v60, vcc
	v_cmp_gt_u32_e32 vcc, v77, v9
	s_nop 1
	v_cndmask_b32_e64 v9, v60, 0, vcc
	v_cndmask_b32_e32 v7, v7, v61, vcc
	v_add_u32_e32 v6, v9, v6
	v_cmp_eq_u16_sdwa vcc, v73, v59 src0_sel:BYTE_0 src1_sel:DWORD
	v_and_b32_e32 v9, 1, v73
	v_and_b32_e32 v7, 1, v7
	v_cndmask_b32_e32 v6, 0, v6, vcc
	v_cmp_eq_u32_e32 vcc, 1, v9
	v_add_u32_e32 v6, v6, v75
	s_nop 0
	v_cndmask_b32_e64 v7, v7, 1, vcc
.LBB2217_159:                           ; =>This Loop Header: Depth=1
                                        ;     Child Loop BB2217_162 Depth 2
                                        ;       Child Loop BB2217_163 Depth 3
	v_cmp_ne_u16_sdwa s[54:55], v8, v3 src0_sel:BYTE_0 src1_sel:DWORD
	v_mov_b32_e32 v73, v7
	v_mov_b32_e32 v75, v6
	v_cndmask_b32_e64 v7, 0, 1, s[54:55]
	;;#ASMSTART
	;;#ASMEND
	s_nop 0
	v_cmp_ne_u32_e32 vcc, 0, v7
	s_cmp_lg_u64 vcc, exec
	s_cbranch_scc1 .LBB2217_166
; %bb.160:                              ;   in Loop: Header=BB2217_159 Depth=1
	v_lshl_add_u64 v[60:61], v[58:59], 4, s[68:69]
	;;#ASMSTART
	global_load_dwordx4 v[6:9], v[60:61] off sc1	
s_waitcnt vmcnt(0)
	;;#ASMEND
	s_nop 0
	v_and_b32_e32 v9, 0xff0000, v6
	v_and_b32_e32 v78, 0xff000000, v6
	;; [unrolled: 1-line block ×3, first 2 shown]
	v_or_b32_sdwa v6, v6, v9 dst_sel:DWORD dst_unused:UNUSED_PAD src0_sel:WORD_0 src1_sel:DWORD
	v_or3_b32 v7, 0, 0, v7
	v_or3_b32 v6, v6, v78, 0
	v_cmp_eq_u16_sdwa s[66:67], v8, v59 src0_sel:BYTE_0 src1_sel:DWORD
	s_and_saveexec_b64 s[54:55], s[66:67]
	s_cbranch_execz .LBB2217_158
; %bb.161:                              ;   in Loop: Header=BB2217_159 Depth=1
	s_mov_b32 s71, 1
	s_mov_b64 s[66:67], 0
.LBB2217_162:                           ;   Parent Loop BB2217_159 Depth=1
                                        ; =>  This Loop Header: Depth=2
                                        ;       Child Loop BB2217_163 Depth 3
	s_max_u32 s76, s71, 1
.LBB2217_163:                           ;   Parent Loop BB2217_159 Depth=1
                                        ;     Parent Loop BB2217_162 Depth=2
                                        ; =>    This Inner Loop Header: Depth=3
	s_add_i32 s76, s76, -1
	s_cmp_eq_u32 s76, 0
	s_sleep 1
	s_cbranch_scc0 .LBB2217_163
; %bb.164:                              ;   in Loop: Header=BB2217_162 Depth=2
	s_cmp_lt_u32 s71, 32
	s_cselect_b64 s[76:77], -1, 0
	s_cmp_lg_u64 s[76:77], 0
	s_addc_u32 s71, s71, 0
	;;#ASMSTART
	global_load_dwordx4 v[6:9], v[60:61] off sc1	
s_waitcnt vmcnt(0)
	;;#ASMEND
	s_nop 0
	v_cmp_ne_u16_sdwa s[76:77], v8, v59 src0_sel:BYTE_0 src1_sel:DWORD
	s_or_b64 s[66:67], s[76:77], s[66:67]
	s_andn2_b64 exec, exec, s[66:67]
	s_cbranch_execnz .LBB2217_162
; %bb.165:                              ;   in Loop: Header=BB2217_159 Depth=1
	s_or_b64 exec, exec, s[66:67]
	v_and_b32_e32 v7, 0xff, v7
	s_branch .LBB2217_158
.LBB2217_166:                           ;   in Loop: Header=BB2217_159 Depth=1
                                        ; implicit-def: $vgpr7
                                        ; implicit-def: $vgpr6
                                        ; implicit-def: $vgpr8
	s_cbranch_execz .LBB2217_159
; %bb.167:
	s_and_saveexec_b64 s[54:55], s[50:51]
	s_cbranch_execz .LBB2217_169
; %bb.168:
	s_and_b32 s50, s3, 0xff
	s_cmp_eq_u32 s50, 0
	s_cselect_b64 vcc, -1, 0
	s_bitcmp1_b32 s3, 0
	s_mov_b32 s51, 0
	s_cselect_b64 s[64:65], -1, 0
	s_add_i32 s50, s2, 64
	s_lshl_b64 s[2:3], s[50:51], 4
	v_cndmask_b32_e32 v3, 0, v75, vcc
	s_add_u32 s2, s68, s2
	v_add_u32_e32 v2, v3, v2
	v_and_b32_e32 v3, 1, v73
	s_addc_u32 s3, s69, s3
	v_mov_b32_e32 v5, 0
	v_cndmask_b32_e64 v3, v3, 1, s[64:65]
	v_mov_b32_e32 v4, 2
	v_mov_b64_e32 v[6:7], s[2:3]
	;;#ASMSTART
	global_store_dwordx4 v[6:7], v[2:5] off sc1	
s_waitcnt vmcnt(0)
	;;#ASMEND
.LBB2217_169:
	s_or_b64 exec, exec, s[54:55]
	s_and_b64 exec, exec, s[48:49]
	s_cbranch_execz .LBB2217_171
; %bb.170:
	v_mov_b32_e32 v2, 0
	ds_write_b32 v2, v75
	ds_write_b8 v2, v73 offset:4
.LBB2217_171:
	s_or_b64 exec, exec, s[60:61]
	s_mov_b32 s2, 0
	v_mov_b32_e32 v2, 0
	s_mov_b32 s3, 1
	s_waitcnt lgkmcnt(0)
	s_barrier
	ds_read_b32 v3, v2
	v_cmp_gt_u64_e32 vcc, s[2:3], v[10:11]
	v_and_b32_e32 v5, 1, v11
	v_and_b32_e32 v6, 1, v63
	v_cndmask_b32_e32 v4, 0, v62, vcc
	v_cmp_eq_u32_e32 vcc, 1, v5
	v_cndmask_b32_e64 v4, v4, 0, s[48:49]
	s_nop 0
	v_cndmask_b32_e64 v5, v6, 1, vcc
	v_cndmask_b32_e64 v5, v5, v11, s[48:49]
	v_cmp_eq_u16_sdwa vcc, v5, v2 src0_sel:BYTE_0 src1_sel:DWORD
	s_waitcnt lgkmcnt(0)
	s_nop 0
	v_cndmask_b32_e32 v2, 0, v3, vcc
	v_add3_u32 v80, v4, v10, v2
	v_cndmask_b32_e64 v2, 0, v80, s[52:53]
	v_add_u32_e32 v58, v2, v12
	v_cndmask_b32_e64 v2, 0, v58, s[4:5]
	v_add_u32_e32 v59, v2, v14
	;; [unrolled: 2-line block ×22, first 2 shown]
	s_branch .LBB2217_192
.LBB2217_172:
                                        ; implicit-def: $vgpr78
                                        ; implicit-def: $vgpr77
                                        ; implicit-def: $vgpr76
                                        ; implicit-def: $vgpr75
                                        ; implicit-def: $vgpr74
                                        ; implicit-def: $vgpr73
                                        ; implicit-def: $vgpr72
                                        ; implicit-def: $vgpr71
                                        ; implicit-def: $vgpr70
                                        ; implicit-def: $vgpr69
                                        ; implicit-def: $vgpr68
                                        ; implicit-def: $vgpr67
                                        ; implicit-def: $vgpr66
                                        ; implicit-def: $vgpr65
                                        ; implicit-def: $vgpr64
                                        ; implicit-def: $vgpr63
                                        ; implicit-def: $vgpr62
                                        ; implicit-def: $vgpr61
                                        ; implicit-def: $vgpr60
                                        ; implicit-def: $vgpr59
                                        ; implicit-def: $vgpr58
                                        ; implicit-def: $vgpr80
                                        ; implicit-def: $vgpr79
	s_cbranch_execz .LBB2217_192
; %bb.173:
	s_cmp_lg_u64 s[74:75], 0
	s_cselect_b32 s5, s63, 0
	s_cselect_b32 s4, s62, 0
	s_cmp_lg_u64 s[4:5], 0
	s_cselect_b64 s[6:7], -1, 0
	v_cmp_eq_u32_e32 vcc, 0, v0
	s_mov_b32 s48, 0
	v_cmp_ne_u32_e64 s[2:3], 0, v0
	s_and_b64 s[8:9], vcc, s[6:7]
	s_and_saveexec_b64 s[6:7], s[8:9]
	s_cbranch_execz .LBB2217_175
; %bb.174:
	v_mov_b32_e32 v2, 0
	global_load_dword v4, v2, s[4:5]
	global_load_ubyte v5, v2, s[4:5] offset:4
	s_mov_b32 s49, 1
	v_and_b32_e32 v3, 1, v11
	v_cmp_gt_u64_e64 s[4:5], s[48:49], v[10:11]
	s_waitcnt vmcnt(0)
	v_and_b32_e32 v5, 1, v5
	v_cndmask_b32_e64 v4, 0, v4, s[4:5]
	v_cmp_eq_u64_e64 s[4:5], 0, v[2:3]
	v_add_u32_e32 v10, v4, v10
	s_nop 0
	v_cndmask_b32_e64 v11, 1, v5, s[4:5]
.LBB2217_175:
	s_or_b64 exec, exec, s[6:7]
	s_mov_b32 s49, 1
	v_cmp_gt_u64_e64 s[4:5], s[48:49], v[12:13]
	v_cmp_gt_u64_e64 s[6:7], s[48:49], v[14:15]
	v_cmp_gt_u64_e64 s[8:9], s[48:49], v[16:17]
	v_cndmask_b32_e64 v2, 0, v10, s[4:5]
	v_add_u32_e32 v58, v2, v12
	v_cndmask_b32_e64 v2, 0, v58, s[6:7]
	v_add_u32_e32 v59, v2, v14
	v_cndmask_b32_e64 v2, 0, v59, s[8:9]
	v_add_u32_e32 v60, v2, v16
	v_cmp_gt_u64_e64 s[10:11], s[48:49], v[18:19]
	v_cmp_gt_u64_e64 s[12:13], s[48:49], v[20:21]
	v_cmp_gt_u64_e64 s[14:15], s[48:49], v[22:23]
	v_cndmask_b32_e64 v2, 0, v60, s[10:11]
	v_add_u32_e32 v61, v2, v18
	v_cndmask_b32_e64 v2, 0, v61, s[12:13]
	v_add_u32_e32 v62, v2, v20
	v_cndmask_b32_e64 v2, 0, v62, s[14:15]
	v_add_u32_e32 v63, v2, v22
	;; [unrolled: 9-line block ×7, first 2 shown]
	v_cmp_gt_u64_e64 s[48:49], s[48:49], v[56:57]
	v_add_lshl_u32 v1, v1, v0, 3
	s_nop 0
	v_cndmask_b32_e64 v2, 0, v78, s[48:49]
	v_add_u32_e32 v79, v2, v56
	v_or3_b32 v2, v55, v51, v49
	v_or3_b32 v2, v2, v47, v45
	;; [unrolled: 1-line block ×10, first 2 shown]
	v_and_b32_e32 v2, 1, v2
	v_cmp_eq_u32_e64 s[50:51], 1, v2
	s_nop 1
	v_cndmask_b32_e64 v4, v11, 1, s[50:51]
	v_cmp_gt_u32_e64 s[50:51], 64, v0
	ds_write_b32 v1, v79
	ds_write_b8 v1, v4 offset:4
	s_waitcnt lgkmcnt(0)
	s_barrier
	s_and_saveexec_b64 s[52:53], s[50:51]
	s_cbranch_execz .LBB2217_187
; %bb.176:
	v_lshrrev_b32_e32 v1, 3, v0
	v_add_lshl_u32 v1, v1, v54, 3
	ds_read2_b32 v[6:7], v1 offset0:2 offset1:4
	ds_read_b64 v[2:3], v1
	ds_read_u8 v8, v1 offset:12
	ds_read_u8 v9, v1 offset:20
	ds_read_b32 v13, v1 offset:24
	ds_read_u8 v15, v1 offset:28
	v_mov_b32_e32 v17, 0
	s_waitcnt lgkmcnt(3)
	v_cmp_eq_u16_sdwa s[50:51], v8, v17 src0_sel:BYTE_0 src1_sel:DWORD
	v_and_b32_e32 v5, 1, v3
	s_nop 0
	v_cndmask_b32_e64 v19, 0, v2, s[50:51]
	v_add_u32_e32 v6, v19, v6
	s_waitcnt lgkmcnt(2)
	v_cmp_eq_u16_sdwa s[50:51], v9, v17 src0_sel:BYTE_0 src1_sel:DWORD
	s_nop 1
	v_cndmask_b32_e64 v6, 0, v6, s[50:51]
	v_add_u32_e32 v6, v6, v7
	s_waitcnt lgkmcnt(0)
	v_cmp_eq_u16_e64 s[50:51], 0, v15
	s_nop 1
	v_cndmask_b32_e64 v6, 0, v6, s[50:51]
	v_add_u32_e32 v7, v6, v13
	v_or_b32_e32 v6, v15, v9
	v_or_b32_e32 v6, v6, v8
	v_and_b32_e32 v6, 1, v6
	v_cmp_eq_u32_e64 s[50:51], 1, v6
	v_mbcnt_lo_u32_b32 v8, -1, 0
	v_and_b32_e32 v6, 0xffffff00, v3
	v_cndmask_b32_e64 v9, v5, 1, s[50:51]
	v_mbcnt_hi_u32_b32 v8, -1, v8
	v_and_b32_e32 v15, 15, v8
	v_or_b32_sdwa v13, v6, v9 dst_sel:DWORD dst_unused:UNUSED_PAD src0_sel:DWORD src1_sel:WORD_0
	v_mov_b32_dpp v17, v7 row_shr:1 row_mask:0xf bank_mask:0xf
	v_cmp_ne_u32_e64 s[50:51], 0, v15
	v_mov_b32_dpp v19, v13 row_shr:1 row_mask:0xf bank_mask:0xf
	s_and_saveexec_b64 s[54:55], s[50:51]
; %bb.177:
	v_and_b32_e32 v13, 1, v9
	v_and_b32_e32 v19, 1, v19
	v_cmp_eq_u32_e64 s[50:51], 1, v13
	s_nop 1
	v_cndmask_b32_e64 v19, v19, 1, s[50:51]
	v_cmp_eq_u16_e64 s[50:51], 0, v9
	v_or_b32_sdwa v13, v6, v19 dst_sel:DWORD dst_unused:UNUSED_PAD src0_sel:DWORD src1_sel:WORD_0
	s_nop 0
	v_cndmask_b32_e64 v9, 0, v17, s[50:51]
	v_add_u32_e32 v7, v9, v7
	v_mov_b32_e32 v9, v19
; %bb.178:
	s_or_b64 exec, exec, s[54:55]
	v_mov_b32_dpp v17, v7 row_shr:2 row_mask:0xf bank_mask:0xf
	v_mov_b32_dpp v19, v13 row_shr:2 row_mask:0xf bank_mask:0xf
	v_cmp_lt_u32_e64 s[50:51], 1, v15
	s_and_saveexec_b64 s[54:55], s[50:51]
; %bb.179:
	v_and_b32_e32 v13, 1, v9
	v_and_b32_e32 v19, 1, v19
	v_cmp_eq_u32_e64 s[50:51], 1, v13
	s_nop 1
	v_cndmask_b32_e64 v19, v19, 1, s[50:51]
	v_cmp_eq_u16_e64 s[50:51], 0, v9
	v_or_b32_sdwa v13, v6, v19 dst_sel:DWORD dst_unused:UNUSED_PAD src0_sel:DWORD src1_sel:WORD_0
	s_nop 0
	v_cndmask_b32_e64 v9, 0, v17, s[50:51]
	v_add_u32_e32 v7, v9, v7
	v_mov_b32_e32 v9, v19
; %bb.180:
	s_or_b64 exec, exec, s[54:55]
	v_mov_b32_dpp v17, v7 row_shr:4 row_mask:0xf bank_mask:0xf
	v_mov_b32_dpp v19, v13 row_shr:4 row_mask:0xf bank_mask:0xf
	v_cmp_lt_u32_e64 s[50:51], 3, v15
	;; [unrolled: 18-line block ×3, first 2 shown]
	s_and_saveexec_b64 s[54:55], s[50:51]
; %bb.183:
	v_and_b32_e32 v13, 1, v9
	v_and_b32_e32 v15, 1, v19
	v_cmp_eq_u32_e64 s[50:51], 1, v13
	s_nop 1
	v_cndmask_b32_e64 v15, v15, 1, s[50:51]
	v_cmp_eq_u16_e64 s[50:51], 0, v9
	v_or_b32_sdwa v13, v6, v15 dst_sel:DWORD dst_unused:UNUSED_PAD src0_sel:DWORD src1_sel:WORD_0
	s_nop 0
	v_cndmask_b32_e64 v9, 0, v17, s[50:51]
	v_add_u32_e32 v7, v9, v7
	v_mov_b32_e32 v9, v15
; %bb.184:
	s_or_b64 exec, exec, s[54:55]
	v_and_b32_e32 v19, 16, v8
	v_mov_b32_dpp v15, v7 row_bcast:15 row_mask:0xf bank_mask:0xf
	v_mov_b32_dpp v17, v13 row_bcast:15 row_mask:0xf bank_mask:0xf
	v_cmp_ne_u32_e64 s[50:51], 0, v19
	s_and_saveexec_b64 s[54:55], s[50:51]
; %bb.185:
	v_and_b32_e32 v13, 1, v9
	v_and_b32_e32 v17, 1, v17
	v_cmp_eq_u32_e64 s[50:51], 1, v13
	s_nop 1
	v_cndmask_b32_e64 v17, v17, 1, s[50:51]
	v_cmp_eq_u16_e64 s[50:51], 0, v9
	v_or_b32_sdwa v13, v6, v17 dst_sel:DWORD dst_unused:UNUSED_PAD src0_sel:DWORD src1_sel:WORD_0
	s_nop 0
	v_cndmask_b32_e64 v9, 0, v15, s[50:51]
	v_add_u32_e32 v7, v9, v7
	v_mov_b32_e32 v9, v17
; %bb.186:
	s_or_b64 exec, exec, s[54:55]
	v_mov_b32_dpp v13, v13 row_bcast:31 row_mask:0xf bank_mask:0xf
	v_and_b32_e32 v17, 1, v9
	v_and_b32_e32 v13, 1, v13
	v_cmp_eq_u32_e64 s[50:51], 1, v17
	v_mov_b32_e32 v17, 0
	v_cmp_eq_u16_sdwa s[54:55], v9, v17 src0_sel:BYTE_0 src1_sel:DWORD
	v_cndmask_b32_e64 v13, v13, 1, s[50:51]
	v_cmp_lt_u32_e64 s[50:51], 31, v8
	v_mov_b32_dpp v15, v7 row_bcast:31 row_mask:0xf bank_mask:0xf
	s_movk_i32 s60, 0xff
	v_cndmask_b32_e64 v9, v9, v13, s[50:51]
	s_and_b64 s[50:51], s[50:51], s[54:55]
	v_cndmask_b32_e64 v13, 0, v15, s[50:51]
	v_add_u32_e32 v7, v13, v7
	v_add_u32_e32 v13, -1, v8
	v_and_b32_e32 v15, 64, v8
	v_cmp_lt_i32_e64 s[50:51], v13, v15
	v_and_or_b32 v6, v9, s60, v6
	s_nop 0
	v_cndmask_b32_e64 v8, v13, v8, s[50:51]
	v_lshlrev_b32_e32 v8, 2, v8
	ds_bpermute_b32 v7, v8, v7
	ds_bpermute_b32 v6, v8, v6
	v_cmp_eq_u16_sdwa s[50:51], v3, v17 src0_sel:BYTE_0 src1_sel:DWORD
	; wave barrier
	s_waitcnt lgkmcnt(1)
	s_nop 0
	v_cndmask_b32_e64 v3, 0, v7, s[50:51]
	v_add_u32_e32 v2, v3, v2
	s_waitcnt lgkmcnt(0)
	v_and_b32_e32 v3, 1, v6
	v_cmp_eq_u32_e64 s[50:51], 1, v5
	v_cndmask_b32_e32 v5, v2, v79, vcc
	s_nop 0
	v_cndmask_b32_e64 v3, v3, 1, s[50:51]
	v_cndmask_b32_e32 v4, v3, v4, vcc
	ds_write_b32 v1, v5
	ds_write_b8 v1, v4 offset:4
	; wave barrier
	ds_read_u8 v6, v1 offset:12
	ds_read2_b32 v[2:3], v1 offset0:2 offset1:4
	ds_read_u8 v7, v1 offset:20
	ds_read_b32 v8, v1 offset:24
	ds_read_u8 v9, v1 offset:28
	s_waitcnt lgkmcnt(4)
	v_cmp_eq_u16_e64 s[50:51], 0, v6
	s_nop 1
	v_cndmask_b32_e64 v5, 0, v5, s[50:51]
	s_waitcnt lgkmcnt(3)
	v_add_u32_e32 v2, v5, v2
	v_and_b32_e32 v5, 1, v6
	v_cmp_eq_u32_e64 s[50:51], 1, v5
	s_nop 1
	v_cndmask_b32_e64 v4, v4, 1, s[50:51]
	s_waitcnt lgkmcnt(2)
	v_cmp_eq_u16_e64 s[50:51], 0, v7
	ds_write_b8 v1, v4 offset:12
	s_nop 0
	v_cndmask_b32_e64 v5, 0, v2, s[50:51]
	v_add_u32_e32 v3, v5, v3
	v_and_b32_e32 v5, 1, v7
	v_cmp_eq_u32_e64 s[50:51], 1, v5
	s_nop 1
	v_cndmask_b32_e64 v4, v4, 1, s[50:51]
	s_waitcnt lgkmcnt(1)
	v_cmp_eq_u16_e64 s[50:51], 0, v9
	ds_write2_b32 v1, v2, v3 offset0:2 offset1:4
	ds_write_b8 v1, v4 offset:20
	v_cndmask_b32_e64 v2, 0, v3, s[50:51]
	v_and_b32_e32 v3, 1, v9
	v_add_u32_e32 v2, v2, v8
	v_cmp_eq_u32_e64 s[50:51], 1, v3
	s_nop 1
	v_cndmask_b32_e64 v3, v4, 1, s[50:51]
	ds_write_b32 v1, v2 offset:24
	ds_write_b8 v1, v3 offset:28
.LBB2217_187:
	s_or_b64 exec, exec, s[52:53]
	v_mov_b32_e32 v1, v79
	s_waitcnt lgkmcnt(0)
	s_barrier
	s_and_saveexec_b64 s[50:51], s[2:3]
	s_cbranch_execnz .LBB2217_265
; %bb.188:
	s_or_b64 exec, exec, s[50:51]
	s_and_saveexec_b64 s[50:51], s[2:3]
	s_cbranch_execnz .LBB2217_266
.LBB2217_189:
	s_or_b64 exec, exec, s[50:51]
	s_and_saveexec_b64 s[2:3], vcc
	s_cbranch_execz .LBB2217_191
.LBB2217_190:
	v_mov_b32_e32 v5, 0
	ds_read_b32 v2, v5 offset:2096
	ds_read_u8 v3, v5 offset:2100
	s_add_u32 s4, s68, 0x400
	s_addc_u32 s5, s69, 0
	v_mov_b32_e32 v4, 2
	v_mov_b64_e32 v[6:7], s[4:5]
	s_waitcnt lgkmcnt(0)
	;;#ASMSTART
	global_store_dwordx4 v[6:7], v[2:5] off sc1	
s_waitcnt vmcnt(0)
	;;#ASMEND
.LBB2217_191:
	s_or_b64 exec, exec, s[2:3]
	v_mov_b32_e32 v80, v10
.LBB2217_192:
	s_add_u32 s2, s58, s72
	s_addc_u32 s3, s59, s73
	s_add_u32 s2, s2, s56
	s_addc_u32 s3, s3, s57
	s_and_b64 vcc, exec, s[0:1]
	s_cbranch_vccz .LBB2217_238
; %bb.193:
	s_movk_i32 s0, 0x5c
	v_mul_i32_i24_e32 v26, 0xffffffa8, v0
	s_waitcnt lgkmcnt(0)
	v_mul_u32_u24_e32 v1, 0x5c, v0
	v_mad_u32_u24 v2, v0, s0, v26
	s_barrier
	ds_write2_b32 v1, v80, v58 offset1:1
	ds_write2_b32 v1, v59, v60 offset0:2 offset1:3
	ds_write2_b32 v1, v61, v62 offset0:4 offset1:5
	ds_write2_b32 v1, v63, v64 offset0:6 offset1:7
	ds_write2_b32 v1, v65, v66 offset0:8 offset1:9
	ds_write2_b32 v1, v67, v68 offset0:10 offset1:11
	ds_write2_b32 v1, v69, v70 offset0:12 offset1:13
	ds_write2_b32 v1, v71, v72 offset0:14 offset1:15
	ds_write2_b32 v1, v73, v74 offset0:16 offset1:17
	ds_write2_b32 v1, v75, v76 offset0:18 offset1:19
	ds_write2_b32 v1, v77, v78 offset0:20 offset1:21
	ds_write_b32 v1, v79 offset:88
	s_waitcnt lgkmcnt(0)
	s_barrier
	ds_read2st64_b32 v[24:25], v2 offset0:4 offset1:8
	ds_read2st64_b32 v[22:23], v2 offset0:12 offset1:16
	;; [unrolled: 1-line block ×11, first 2 shown]
	s_add_i32 s33, s33, s70
	v_mov_b32_e32 v55, 0
	v_lshl_add_u64 v[4:5], s[2:3], 0, v[54:55]
	v_cmp_gt_u32_e32 vcc, s33, v0
	s_and_saveexec_b64 s[0:1], vcc
	s_cbranch_execz .LBB2217_195
; %bb.194:
	v_add_u32_e32 v1, v1, v26
	ds_read_b32 v1, v1
	s_waitcnt lgkmcnt(0)
	flat_store_dword v[4:5], v1
.LBB2217_195:
	s_or_b64 exec, exec, s[0:1]
	v_or_b32_e32 v1, 0x100, v0
	v_cmp_gt_u32_e32 vcc, s33, v1
	s_and_saveexec_b64 s[0:1], vcc
	s_cbranch_execz .LBB2217_197
; %bb.196:
	s_waitcnt lgkmcnt(0)
	flat_store_dword v[4:5], v24 offset:1024
.LBB2217_197:
	s_or_b64 exec, exec, s[0:1]
	v_or_b32_e32 v1, 0x200, v0
	v_cmp_gt_u32_e32 vcc, s33, v1
	s_and_saveexec_b64 s[0:1], vcc
	s_cbranch_execz .LBB2217_199
; %bb.198:
	s_waitcnt lgkmcnt(0)
	flat_store_dword v[4:5], v25 offset:2048
.LBB2217_199:
	;; [unrolled: 9-line block ×3, first 2 shown]
	s_or_b64 exec, exec, s[0:1]
	v_or_b32_e32 v1, 0x400, v0
	v_cmp_gt_u32_e32 vcc, s33, v1
	s_and_saveexec_b64 s[0:1], vcc
	s_cbranch_execz .LBB2217_203
; %bb.202:
	s_waitcnt lgkmcnt(0)
	v_add_co_u32_e32 v24, vcc, 0x1000, v4
	s_nop 1
	v_addc_co_u32_e32 v25, vcc, 0, v5, vcc
	flat_store_dword v[24:25], v23
.LBB2217_203:
	s_or_b64 exec, exec, s[0:1]
	v_or_b32_e32 v1, 0x500, v0
	v_cmp_gt_u32_e32 vcc, s33, v1
	s_and_saveexec_b64 s[0:1], vcc
	s_cbranch_execz .LBB2217_205
; %bb.204:
	s_waitcnt lgkmcnt(0)
	v_add_co_u32_e32 v22, vcc, 0x1000, v4
	s_nop 1
	v_addc_co_u32_e32 v23, vcc, 0, v5, vcc
	flat_store_dword v[22:23], v20 offset:1024
.LBB2217_205:
	s_or_b64 exec, exec, s[0:1]
	v_or_b32_e32 v1, 0x600, v0
	v_cmp_gt_u32_e32 vcc, s33, v1
	s_and_saveexec_b64 s[0:1], vcc
	s_cbranch_execz .LBB2217_207
; %bb.206:
	s_waitcnt lgkmcnt(0)
	v_add_co_u32_e32 v22, vcc, 0x1000, v4
	s_nop 1
	v_addc_co_u32_e32 v23, vcc, 0, v5, vcc
	flat_store_dword v[22:23], v21 offset:2048
.LBB2217_207:
	s_or_b64 exec, exec, s[0:1]
	v_or_b32_e32 v1, 0x700, v0
	v_cmp_gt_u32_e32 vcc, s33, v1
	s_and_saveexec_b64 s[0:1], vcc
	s_cbranch_execz .LBB2217_209
; %bb.208:
	s_waitcnt lgkmcnt(0)
	v_add_co_u32_e32 v20, vcc, 0x1000, v4
	s_nop 1
	v_addc_co_u32_e32 v21, vcc, 0, v5, vcc
	flat_store_dword v[20:21], v18 offset:3072
.LBB2217_209:
	s_or_b64 exec, exec, s[0:1]
	v_or_b32_e32 v1, 0x800, v0
	v_cmp_gt_u32_e32 vcc, s33, v1
	s_and_saveexec_b64 s[0:1], vcc
	s_cbranch_execz .LBB2217_211
; %bb.210:
	s_waitcnt lgkmcnt(0)
	v_add_co_u32_e32 v20, vcc, 0x2000, v4
	s_nop 1
	v_addc_co_u32_e32 v21, vcc, 0, v5, vcc
	flat_store_dword v[20:21], v19
.LBB2217_211:
	s_or_b64 exec, exec, s[0:1]
	v_or_b32_e32 v1, 0x900, v0
	v_cmp_gt_u32_e32 vcc, s33, v1
	s_and_saveexec_b64 s[0:1], vcc
	s_cbranch_execz .LBB2217_213
; %bb.212:
	s_waitcnt lgkmcnt(0)
	v_add_co_u32_e32 v18, vcc, 0x2000, v4
	s_nop 1
	v_addc_co_u32_e32 v19, vcc, 0, v5, vcc
	flat_store_dword v[18:19], v16 offset:1024
.LBB2217_213:
	s_or_b64 exec, exec, s[0:1]
	v_or_b32_e32 v1, 0xa00, v0
	v_cmp_gt_u32_e32 vcc, s33, v1
	s_and_saveexec_b64 s[0:1], vcc
	s_cbranch_execz .LBB2217_215
; %bb.214:
	s_waitcnt lgkmcnt(0)
	v_add_co_u32_e32 v18, vcc, 0x2000, v4
	s_nop 1
	v_addc_co_u32_e32 v19, vcc, 0, v5, vcc
	flat_store_dword v[18:19], v17 offset:2048
.LBB2217_215:
	s_or_b64 exec, exec, s[0:1]
	v_or_b32_e32 v1, 0xb00, v0
	v_cmp_gt_u32_e32 vcc, s33, v1
	s_and_saveexec_b64 s[0:1], vcc
	s_cbranch_execz .LBB2217_217
; %bb.216:
	s_waitcnt lgkmcnt(0)
	v_add_co_u32_e32 v16, vcc, 0x2000, v4
	s_nop 1
	v_addc_co_u32_e32 v17, vcc, 0, v5, vcc
	flat_store_dword v[16:17], v14 offset:3072
.LBB2217_217:
	;; [unrolled: 48-line block ×4, first 2 shown]
	s_or_b64 exec, exec, s[0:1]
	v_or_b32_e32 v1, 0x1400, v0
	v_cmp_gt_u32_e32 vcc, s33, v1
	s_and_saveexec_b64 s[0:1], vcc
	s_cbranch_execz .LBB2217_235
; %bb.234:
	s_waitcnt lgkmcnt(0)
	v_add_co_u32_e32 v8, vcc, 0x5000, v4
	s_nop 1
	v_addc_co_u32_e32 v9, vcc, 0, v5, vcc
	flat_store_dword v[8:9], v7
.LBB2217_235:
	s_or_b64 exec, exec, s[0:1]
	v_or_b32_e32 v1, 0x1500, v0
	v_cmp_gt_u32_e32 vcc, s33, v1
	s_and_saveexec_b64 s[0:1], vcc
	s_cbranch_execz .LBB2217_237
; %bb.236:
	v_add_co_u32_e32 v4, vcc, 0x5000, v4
	s_nop 1
	v_addc_co_u32_e32 v5, vcc, 0, v5, vcc
	s_waitcnt lgkmcnt(0)
	flat_store_dword v[4:5], v2 offset:1024
.LBB2217_237:
	s_or_b64 exec, exec, s[0:1]
	s_waitcnt lgkmcnt(0)
	v_or_b32_e32 v2, 0x1600, v0
	v_mov_b32_e32 v1, v55
	v_cmp_gt_u32_e64 s[0:1], s33, v2
	s_branch .LBB2217_240
.LBB2217_238:
	s_mov_b64 s[0:1], 0
                                        ; implicit-def: $vgpr3
	s_cbranch_execz .LBB2217_240
; %bb.239:
	s_waitcnt lgkmcnt(0)
	v_mul_u32_u24_e32 v1, 0x5c, v0
	s_barrier
	s_movk_i32 s4, 0x5c
	ds_write2_b32 v1, v80, v58 offset1:1
	ds_write2_b32 v1, v59, v60 offset0:2 offset1:3
	ds_write2_b32 v1, v61, v62 offset0:4 offset1:5
	;; [unrolled: 1-line block ×10, first 2 shown]
	ds_write_b32 v1, v79 offset:88
	v_mov_b32_e32 v1, 0
	v_mul_i32_i24_e32 v2, 0xffffffa8, v0
	v_mad_u32_u24 v2, v0, s4, v2
	v_mov_b32_e32 v55, v1
	s_waitcnt lgkmcnt(0)
	s_barrier
	ds_read2st64_b32 v[4:5], v2 offset1:4
	ds_read2st64_b32 v[6:7], v2 offset0:8 offset1:12
	ds_read2st64_b32 v[8:9], v2 offset0:16 offset1:20
	ds_read2st64_b32 v[10:11], v2 offset0:24 offset1:28
	ds_read2st64_b32 v[12:13], v2 offset0:32 offset1:36
	ds_read2st64_b32 v[14:15], v2 offset0:40 offset1:44
	ds_read2st64_b32 v[16:17], v2 offset0:48 offset1:52
	ds_read2st64_b32 v[18:19], v2 offset0:56 offset1:60
	ds_read2st64_b32 v[20:21], v2 offset0:64 offset1:68
	ds_read2st64_b32 v[22:23], v2 offset0:72 offset1:76
	ds_read2st64_b32 v[24:25], v2 offset0:80 offset1:84
	ds_read_b32 v3, v2 offset:22528
	v_lshl_add_u64 v[26:27], s[2:3], 0, v[54:55]
	s_movk_i32 s4, 0x1000
	s_waitcnt lgkmcnt(0)
	flat_store_dword v[26:27], v4
	flat_store_dword v[26:27], v5 offset:1024
	flat_store_dword v[26:27], v6 offset:2048
	;; [unrolled: 1-line block ×3, first 2 shown]
	v_add_co_u32_e32 v4, vcc, s4, v26
	s_movk_i32 s4, 0x2000
	s_nop 0
	v_addc_co_u32_e32 v5, vcc, 0, v27, vcc
	flat_store_dword v[4:5], v8
	flat_store_dword v[4:5], v9 offset:1024
	flat_store_dword v[4:5], v10 offset:2048
	;; [unrolled: 1-line block ×3, first 2 shown]
	v_add_co_u32_e32 v4, vcc, s4, v26
	s_movk_i32 s4, 0x3000
	s_nop 0
	v_addc_co_u32_e32 v5, vcc, 0, v27, vcc
	flat_store_dword v[4:5], v12
	flat_store_dword v[4:5], v13 offset:1024
	flat_store_dword v[4:5], v14 offset:2048
	;; [unrolled: 1-line block ×3, first 2 shown]
	v_add_co_u32_e32 v4, vcc, s4, v26
	s_or_b64 s[0:1], s[0:1], exec
	s_nop 0
	v_addc_co_u32_e32 v5, vcc, 0, v27, vcc
	flat_store_dword v[4:5], v16
	flat_store_dword v[4:5], v17 offset:1024
	flat_store_dword v[4:5], v18 offset:2048
	;; [unrolled: 1-line block ×3, first 2 shown]
	v_add_co_u32_e32 v4, vcc, 0x4000, v26
	s_nop 1
	v_addc_co_u32_e32 v5, vcc, 0, v27, vcc
	flat_store_dword v[4:5], v20
	flat_store_dword v[4:5], v21 offset:1024
	flat_store_dword v[4:5], v22 offset:2048
	;; [unrolled: 1-line block ×3, first 2 shown]
	v_add_co_u32_e32 v4, vcc, 0x5000, v26
	s_nop 1
	v_addc_co_u32_e32 v5, vcc, 0, v27, vcc
	flat_store_dword v[4:5], v24
	flat_store_dword v[4:5], v25 offset:1024
.LBB2217_240:
	s_and_saveexec_b64 s[4:5], s[0:1]
	s_cbranch_execnz .LBB2217_242
; %bb.241:
	s_endpgm
.LBB2217_242:
	s_waitcnt lgkmcnt(0)
	v_lshl_add_u64 v[0:1], v[0:1], 2, s[2:3]
	v_add_co_u32_e32 v0, vcc, 0x5000, v0
	s_nop 1
	v_addc_co_u32_e32 v1, vcc, 0, v1, vcc
	flat_store_dword v[0:1], v3 offset:2048
	s_endpgm
.LBB2217_243:
	v_lshl_add_u64 v[30:31], s[52:53], 0, v[2:3]
	flat_load_dword v29, v[30:31]
	s_or_b64 exec, exec, s[60:61]
                                        ; implicit-def: $vgpr30
	s_and_saveexec_b64 s[50:51], s[4:5]
	s_cbranch_execz .LBB2217_55
.LBB2217_244:
	v_mov_b32_e32 v3, 0
	v_lshl_add_u64 v[30:31], s[52:53], 0, v[2:3]
	flat_load_dword v30, v[30:31] offset:1024
	s_or_b64 exec, exec, s[50:51]
                                        ; implicit-def: $vgpr31
	s_and_saveexec_b64 s[4:5], s[6:7]
	s_cbranch_execz .LBB2217_56
.LBB2217_245:
	v_mov_b32_e32 v3, 0
	v_lshl_add_u64 v[32:33], s[52:53], 0, v[2:3]
	flat_load_dword v31, v[32:33] offset:2048
	s_or_b64 exec, exec, s[4:5]
                                        ; implicit-def: $vgpr3
	s_and_saveexec_b64 s[4:5], s[8:9]
	s_cbranch_execz .LBB2217_57
.LBB2217_246:
	v_mov_b32_e32 v3, 0
	v_lshl_add_u64 v[32:33], s[52:53], 0, v[2:3]
	flat_load_dword v3, v[32:33] offset:3072
	s_or_b64 exec, exec, s[4:5]
                                        ; implicit-def: $vgpr32
	s_and_saveexec_b64 s[4:5], s[10:11]
	s_cbranch_execz .LBB2217_58
.LBB2217_247:
	v_lshlrev_b32_e32 v32, 2, v10
	v_mov_b32_e32 v33, 0
	v_lshl_add_u64 v[32:33], s[52:53], 0, v[32:33]
	flat_load_dword v32, v[32:33]
	s_or_b64 exec, exec, s[4:5]
                                        ; implicit-def: $vgpr10
	s_and_saveexec_b64 s[4:5], s[12:13]
	s_cbranch_execz .LBB2217_59
.LBB2217_248:
	v_lshlrev_b32_e32 v10, 2, v11
	v_mov_b32_e32 v11, 0
	v_lshl_add_u64 v[10:11], s[52:53], 0, v[10:11]
	flat_load_dword v10, v[10:11]
	s_or_b64 exec, exec, s[4:5]
                                        ; implicit-def: $vgpr11
	s_and_saveexec_b64 s[4:5], s[14:15]
	s_cbranch_execz .LBB2217_60
.LBB2217_249:
	v_lshlrev_b32_e32 v34, 2, v12
	v_mov_b32_e32 v35, 0
	v_lshl_add_u64 v[34:35], s[52:53], 0, v[34:35]
	flat_load_dword v11, v[34:35]
	s_or_b64 exec, exec, s[4:5]
                                        ; implicit-def: $vgpr12
	s_and_saveexec_b64 s[4:5], s[16:17]
	s_cbranch_execz .LBB2217_61
.LBB2217_250:
	v_lshlrev_b32_e32 v12, 2, v13
	v_mov_b32_e32 v13, 0
	v_lshl_add_u64 v[12:13], s[52:53], 0, v[12:13]
	flat_load_dword v12, v[12:13]
	s_or_b64 exec, exec, s[4:5]
                                        ; implicit-def: $vgpr13
	s_and_saveexec_b64 s[4:5], s[18:19]
	s_cbranch_execz .LBB2217_62
.LBB2217_251:
	v_lshlrev_b32_e32 v34, 2, v14
	v_mov_b32_e32 v35, 0
	v_lshl_add_u64 v[34:35], s[52:53], 0, v[34:35]
	flat_load_dword v13, v[34:35]
	s_or_b64 exec, exec, s[4:5]
                                        ; implicit-def: $vgpr14
	s_and_saveexec_b64 s[4:5], s[20:21]
	s_cbranch_execz .LBB2217_63
.LBB2217_252:
	v_lshlrev_b32_e32 v14, 2, v15
	v_mov_b32_e32 v15, 0
	v_lshl_add_u64 v[14:15], s[52:53], 0, v[14:15]
	flat_load_dword v14, v[14:15]
	s_or_b64 exec, exec, s[4:5]
                                        ; implicit-def: $vgpr15
	s_and_saveexec_b64 s[4:5], s[22:23]
	s_cbranch_execz .LBB2217_64
.LBB2217_253:
	v_lshlrev_b32_e32 v34, 2, v16
	v_mov_b32_e32 v35, 0
	v_lshl_add_u64 v[34:35], s[52:53], 0, v[34:35]
	flat_load_dword v15, v[34:35]
	s_or_b64 exec, exec, s[4:5]
                                        ; implicit-def: $vgpr16
	s_and_saveexec_b64 s[4:5], s[24:25]
	s_cbranch_execz .LBB2217_65
.LBB2217_254:
	v_lshlrev_b32_e32 v16, 2, v17
	v_mov_b32_e32 v17, 0
	v_lshl_add_u64 v[16:17], s[52:53], 0, v[16:17]
	flat_load_dword v16, v[16:17]
	s_or_b64 exec, exec, s[4:5]
                                        ; implicit-def: $vgpr17
	s_and_saveexec_b64 s[4:5], s[26:27]
	s_cbranch_execz .LBB2217_66
.LBB2217_255:
	v_lshlrev_b32_e32 v34, 2, v18
	v_mov_b32_e32 v35, 0
	v_lshl_add_u64 v[34:35], s[52:53], 0, v[34:35]
	flat_load_dword v17, v[34:35]
	s_or_b64 exec, exec, s[4:5]
                                        ; implicit-def: $vgpr18
	s_and_saveexec_b64 s[4:5], s[28:29]
	s_cbranch_execz .LBB2217_67
.LBB2217_256:
	v_lshlrev_b32_e32 v18, 2, v19
	v_mov_b32_e32 v19, 0
	v_lshl_add_u64 v[18:19], s[52:53], 0, v[18:19]
	flat_load_dword v18, v[18:19]
	s_or_b64 exec, exec, s[4:5]
                                        ; implicit-def: $vgpr19
	s_and_saveexec_b64 s[4:5], s[30:31]
	s_cbranch_execz .LBB2217_68
.LBB2217_257:
	v_lshlrev_b32_e32 v34, 2, v20
	v_mov_b32_e32 v35, 0
	v_lshl_add_u64 v[34:35], s[52:53], 0, v[34:35]
	flat_load_dword v19, v[34:35]
	s_or_b64 exec, exec, s[4:5]
                                        ; implicit-def: $vgpr20
	s_and_saveexec_b64 s[4:5], s[34:35]
	s_cbranch_execz .LBB2217_69
.LBB2217_258:
	v_lshlrev_b32_e32 v20, 2, v21
	v_mov_b32_e32 v21, 0
	v_lshl_add_u64 v[20:21], s[52:53], 0, v[20:21]
	flat_load_dword v20, v[20:21]
	s_or_b64 exec, exec, s[4:5]
                                        ; implicit-def: $vgpr21
	s_and_saveexec_b64 s[4:5], s[36:37]
	s_cbranch_execz .LBB2217_70
.LBB2217_259:
	v_lshlrev_b32_e32 v34, 2, v22
	v_mov_b32_e32 v35, 0
	v_lshl_add_u64 v[34:35], s[52:53], 0, v[34:35]
	flat_load_dword v21, v[34:35]
	s_or_b64 exec, exec, s[4:5]
                                        ; implicit-def: $vgpr22
	s_and_saveexec_b64 s[4:5], s[38:39]
	s_cbranch_execz .LBB2217_71
.LBB2217_260:
	v_lshlrev_b32_e32 v22, 2, v23
	v_mov_b32_e32 v23, 0
	v_lshl_add_u64 v[22:23], s[52:53], 0, v[22:23]
	flat_load_dword v22, v[22:23]
	s_or_b64 exec, exec, s[4:5]
                                        ; implicit-def: $vgpr23
	s_and_saveexec_b64 s[4:5], s[40:41]
	s_cbranch_execz .LBB2217_72
.LBB2217_261:
	v_lshlrev_b32_e32 v34, 2, v24
	v_mov_b32_e32 v35, 0
	v_lshl_add_u64 v[34:35], s[52:53], 0, v[34:35]
	flat_load_dword v23, v[34:35]
	s_or_b64 exec, exec, s[4:5]
                                        ; implicit-def: $vgpr24
	s_and_saveexec_b64 s[4:5], s[42:43]
	s_cbranch_execz .LBB2217_73
.LBB2217_262:
	v_lshlrev_b32_e32 v24, 2, v25
	v_mov_b32_e32 v25, 0
	v_lshl_add_u64 v[24:25], s[52:53], 0, v[24:25]
	flat_load_dword v24, v[24:25]
	s_or_b64 exec, exec, s[4:5]
                                        ; implicit-def: $vgpr25
	s_and_saveexec_b64 s[4:5], s[44:45]
	s_cbranch_execz .LBB2217_74
.LBB2217_263:
	v_lshlrev_b32_e32 v34, 2, v26
	v_mov_b32_e32 v35, 0
	v_lshl_add_u64 v[34:35], s[52:53], 0, v[34:35]
	flat_load_dword v25, v[34:35]
	s_or_b64 exec, exec, s[4:5]
                                        ; implicit-def: $vgpr26
	s_and_saveexec_b64 s[4:5], s[46:47]
	s_cbranch_execz .LBB2217_75
.LBB2217_264:
	v_lshlrev_b32_e32 v26, 2, v27
	v_mov_b32_e32 v27, 0
	v_lshl_add_u64 v[26:27], s[52:53], 0, v[26:27]
	flat_load_dword v26, v[26:27]
	s_or_b64 exec, exec, s[4:5]
                                        ; implicit-def: $vgpr27
	s_and_saveexec_b64 s[4:5], s[48:49]
	s_cbranch_execnz .LBB2217_76
	s_branch .LBB2217_77
.LBB2217_265:
	v_add_u32_e32 v1, -1, v0
	v_lshrrev_b32_e32 v2, 5, v1
	v_add_lshl_u32 v1, v2, v1, 3
	ds_read_b32 v1, v1
	s_or_b64 exec, exec, s[50:51]
	s_and_saveexec_b64 s[50:51], s[2:3]
	s_cbranch_execz .LBB2217_189
.LBB2217_266:
	v_and_b32_e32 v3, 0xff, v11
	v_mov_b32_e32 v2, 0
	v_cmp_eq_u64_e64 s[2:3], 0, v[2:3]
	;;#ASMSTART
	;;#ASMEND
	s_waitcnt lgkmcnt(0)
	s_nop 0
	v_cndmask_b32_e64 v1, 0, v1, s[2:3]
	v_add_u32_e32 v10, v1, v10
	v_cndmask_b32_e64 v1, 0, v10, s[4:5]
	v_add_u32_e32 v58, v1, v12
	;; [unrolled: 2-line block ×23, first 2 shown]
	s_or_b64 exec, exec, s[50:51]
	s_and_saveexec_b64 s[2:3], vcc
	s_cbranch_execnz .LBB2217_190
	s_branch .LBB2217_191
.LBB2217_267:
                                        ; implicit-def: $sgpr60_sgpr61
	s_branch .LBB2217_50
.LBB2217_268:
                                        ; implicit-def: $sgpr4_sgpr5
	s_branch .LBB2217_126
	.section	.rodata,"a",@progbits
	.p2align	6, 0x0
	.amdhsa_kernel _ZN7rocprim17ROCPRIM_400000_NS6detail17trampoline_kernelINS0_14default_configENS1_27scan_by_key_config_selectorIiiEEZZNS1_16scan_by_key_implILNS1_25lookback_scan_determinismE0ELb0ES3_N6thrust23THRUST_200600_302600_NS10device_ptrIiEESB_SB_iNS9_4plusIvEENS9_8equal_toIvEEiEE10hipError_tPvRmT2_T3_T4_T5_mT6_T7_P12ihipStream_tbENKUlT_T0_E_clISt17integral_constantIbLb1EESV_IbLb0EEEEDaSR_SS_EUlSR_E_NS1_11comp_targetILNS1_3genE5ELNS1_11target_archE942ELNS1_3gpuE9ELNS1_3repE0EEENS1_30default_config_static_selectorELNS0_4arch9wavefront6targetE1EEEvT1_
		.amdhsa_group_segment_fixed_size 25600
		.amdhsa_private_segment_fixed_size 0
		.amdhsa_kernarg_size 112
		.amdhsa_user_sgpr_count 2
		.amdhsa_user_sgpr_dispatch_ptr 0
		.amdhsa_user_sgpr_queue_ptr 0
		.amdhsa_user_sgpr_kernarg_segment_ptr 1
		.amdhsa_user_sgpr_dispatch_id 0
		.amdhsa_user_sgpr_kernarg_preload_length 0
		.amdhsa_user_sgpr_kernarg_preload_offset 0
		.amdhsa_user_sgpr_private_segment_size 0
		.amdhsa_uses_dynamic_stack 0
		.amdhsa_enable_private_segment 0
		.amdhsa_system_sgpr_workgroup_id_x 1
		.amdhsa_system_sgpr_workgroup_id_y 0
		.amdhsa_system_sgpr_workgroup_id_z 0
		.amdhsa_system_sgpr_workgroup_info 0
		.amdhsa_system_vgpr_workitem_id 0
		.amdhsa_next_free_vgpr 81
		.amdhsa_next_free_sgpr 82
		.amdhsa_accum_offset 84
		.amdhsa_reserve_vcc 1
		.amdhsa_float_round_mode_32 0
		.amdhsa_float_round_mode_16_64 0
		.amdhsa_float_denorm_mode_32 3
		.amdhsa_float_denorm_mode_16_64 3
		.amdhsa_dx10_clamp 1
		.amdhsa_ieee_mode 1
		.amdhsa_fp16_overflow 0
		.amdhsa_tg_split 0
		.amdhsa_exception_fp_ieee_invalid_op 0
		.amdhsa_exception_fp_denorm_src 0
		.amdhsa_exception_fp_ieee_div_zero 0
		.amdhsa_exception_fp_ieee_overflow 0
		.amdhsa_exception_fp_ieee_underflow 0
		.amdhsa_exception_fp_ieee_inexact 0
		.amdhsa_exception_int_div_zero 0
	.end_amdhsa_kernel
	.section	.text._ZN7rocprim17ROCPRIM_400000_NS6detail17trampoline_kernelINS0_14default_configENS1_27scan_by_key_config_selectorIiiEEZZNS1_16scan_by_key_implILNS1_25lookback_scan_determinismE0ELb0ES3_N6thrust23THRUST_200600_302600_NS10device_ptrIiEESB_SB_iNS9_4plusIvEENS9_8equal_toIvEEiEE10hipError_tPvRmT2_T3_T4_T5_mT6_T7_P12ihipStream_tbENKUlT_T0_E_clISt17integral_constantIbLb1EESV_IbLb0EEEEDaSR_SS_EUlSR_E_NS1_11comp_targetILNS1_3genE5ELNS1_11target_archE942ELNS1_3gpuE9ELNS1_3repE0EEENS1_30default_config_static_selectorELNS0_4arch9wavefront6targetE1EEEvT1_,"axG",@progbits,_ZN7rocprim17ROCPRIM_400000_NS6detail17trampoline_kernelINS0_14default_configENS1_27scan_by_key_config_selectorIiiEEZZNS1_16scan_by_key_implILNS1_25lookback_scan_determinismE0ELb0ES3_N6thrust23THRUST_200600_302600_NS10device_ptrIiEESB_SB_iNS9_4plusIvEENS9_8equal_toIvEEiEE10hipError_tPvRmT2_T3_T4_T5_mT6_T7_P12ihipStream_tbENKUlT_T0_E_clISt17integral_constantIbLb1EESV_IbLb0EEEEDaSR_SS_EUlSR_E_NS1_11comp_targetILNS1_3genE5ELNS1_11target_archE942ELNS1_3gpuE9ELNS1_3repE0EEENS1_30default_config_static_selectorELNS0_4arch9wavefront6targetE1EEEvT1_,comdat
.Lfunc_end2217:
	.size	_ZN7rocprim17ROCPRIM_400000_NS6detail17trampoline_kernelINS0_14default_configENS1_27scan_by_key_config_selectorIiiEEZZNS1_16scan_by_key_implILNS1_25lookback_scan_determinismE0ELb0ES3_N6thrust23THRUST_200600_302600_NS10device_ptrIiEESB_SB_iNS9_4plusIvEENS9_8equal_toIvEEiEE10hipError_tPvRmT2_T3_T4_T5_mT6_T7_P12ihipStream_tbENKUlT_T0_E_clISt17integral_constantIbLb1EESV_IbLb0EEEEDaSR_SS_EUlSR_E_NS1_11comp_targetILNS1_3genE5ELNS1_11target_archE942ELNS1_3gpuE9ELNS1_3repE0EEENS1_30default_config_static_selectorELNS0_4arch9wavefront6targetE1EEEvT1_, .Lfunc_end2217-_ZN7rocprim17ROCPRIM_400000_NS6detail17trampoline_kernelINS0_14default_configENS1_27scan_by_key_config_selectorIiiEEZZNS1_16scan_by_key_implILNS1_25lookback_scan_determinismE0ELb0ES3_N6thrust23THRUST_200600_302600_NS10device_ptrIiEESB_SB_iNS9_4plusIvEENS9_8equal_toIvEEiEE10hipError_tPvRmT2_T3_T4_T5_mT6_T7_P12ihipStream_tbENKUlT_T0_E_clISt17integral_constantIbLb1EESV_IbLb0EEEEDaSR_SS_EUlSR_E_NS1_11comp_targetILNS1_3genE5ELNS1_11target_archE942ELNS1_3gpuE9ELNS1_3repE0EEENS1_30default_config_static_selectorELNS0_4arch9wavefront6targetE1EEEvT1_
                                        ; -- End function
	.section	.AMDGPU.csdata,"",@progbits
; Kernel info:
; codeLenInByte = 15588
; NumSgprs: 88
; NumVgprs: 81
; NumAgprs: 0
; TotalNumVgprs: 81
; ScratchSize: 0
; MemoryBound: 0
; FloatMode: 240
; IeeeMode: 1
; LDSByteSize: 25600 bytes/workgroup (compile time only)
; SGPRBlocks: 10
; VGPRBlocks: 10
; NumSGPRsForWavesPerEU: 88
; NumVGPRsForWavesPerEU: 81
; AccumOffset: 84
; Occupancy: 2
; WaveLimiterHint : 1
; COMPUTE_PGM_RSRC2:SCRATCH_EN: 0
; COMPUTE_PGM_RSRC2:USER_SGPR: 2
; COMPUTE_PGM_RSRC2:TRAP_HANDLER: 0
; COMPUTE_PGM_RSRC2:TGID_X_EN: 1
; COMPUTE_PGM_RSRC2:TGID_Y_EN: 0
; COMPUTE_PGM_RSRC2:TGID_Z_EN: 0
; COMPUTE_PGM_RSRC2:TIDIG_COMP_CNT: 0
; COMPUTE_PGM_RSRC3_GFX90A:ACCUM_OFFSET: 20
; COMPUTE_PGM_RSRC3_GFX90A:TG_SPLIT: 0
	.section	.text._ZN7rocprim17ROCPRIM_400000_NS6detail17trampoline_kernelINS0_14default_configENS1_27scan_by_key_config_selectorIiiEEZZNS1_16scan_by_key_implILNS1_25lookback_scan_determinismE0ELb0ES3_N6thrust23THRUST_200600_302600_NS10device_ptrIiEESB_SB_iNS9_4plusIvEENS9_8equal_toIvEEiEE10hipError_tPvRmT2_T3_T4_T5_mT6_T7_P12ihipStream_tbENKUlT_T0_E_clISt17integral_constantIbLb1EESV_IbLb0EEEEDaSR_SS_EUlSR_E_NS1_11comp_targetILNS1_3genE4ELNS1_11target_archE910ELNS1_3gpuE8ELNS1_3repE0EEENS1_30default_config_static_selectorELNS0_4arch9wavefront6targetE1EEEvT1_,"axG",@progbits,_ZN7rocprim17ROCPRIM_400000_NS6detail17trampoline_kernelINS0_14default_configENS1_27scan_by_key_config_selectorIiiEEZZNS1_16scan_by_key_implILNS1_25lookback_scan_determinismE0ELb0ES3_N6thrust23THRUST_200600_302600_NS10device_ptrIiEESB_SB_iNS9_4plusIvEENS9_8equal_toIvEEiEE10hipError_tPvRmT2_T3_T4_T5_mT6_T7_P12ihipStream_tbENKUlT_T0_E_clISt17integral_constantIbLb1EESV_IbLb0EEEEDaSR_SS_EUlSR_E_NS1_11comp_targetILNS1_3genE4ELNS1_11target_archE910ELNS1_3gpuE8ELNS1_3repE0EEENS1_30default_config_static_selectorELNS0_4arch9wavefront6targetE1EEEvT1_,comdat
	.protected	_ZN7rocprim17ROCPRIM_400000_NS6detail17trampoline_kernelINS0_14default_configENS1_27scan_by_key_config_selectorIiiEEZZNS1_16scan_by_key_implILNS1_25lookback_scan_determinismE0ELb0ES3_N6thrust23THRUST_200600_302600_NS10device_ptrIiEESB_SB_iNS9_4plusIvEENS9_8equal_toIvEEiEE10hipError_tPvRmT2_T3_T4_T5_mT6_T7_P12ihipStream_tbENKUlT_T0_E_clISt17integral_constantIbLb1EESV_IbLb0EEEEDaSR_SS_EUlSR_E_NS1_11comp_targetILNS1_3genE4ELNS1_11target_archE910ELNS1_3gpuE8ELNS1_3repE0EEENS1_30default_config_static_selectorELNS0_4arch9wavefront6targetE1EEEvT1_ ; -- Begin function _ZN7rocprim17ROCPRIM_400000_NS6detail17trampoline_kernelINS0_14default_configENS1_27scan_by_key_config_selectorIiiEEZZNS1_16scan_by_key_implILNS1_25lookback_scan_determinismE0ELb0ES3_N6thrust23THRUST_200600_302600_NS10device_ptrIiEESB_SB_iNS9_4plusIvEENS9_8equal_toIvEEiEE10hipError_tPvRmT2_T3_T4_T5_mT6_T7_P12ihipStream_tbENKUlT_T0_E_clISt17integral_constantIbLb1EESV_IbLb0EEEEDaSR_SS_EUlSR_E_NS1_11comp_targetILNS1_3genE4ELNS1_11target_archE910ELNS1_3gpuE8ELNS1_3repE0EEENS1_30default_config_static_selectorELNS0_4arch9wavefront6targetE1EEEvT1_
	.globl	_ZN7rocprim17ROCPRIM_400000_NS6detail17trampoline_kernelINS0_14default_configENS1_27scan_by_key_config_selectorIiiEEZZNS1_16scan_by_key_implILNS1_25lookback_scan_determinismE0ELb0ES3_N6thrust23THRUST_200600_302600_NS10device_ptrIiEESB_SB_iNS9_4plusIvEENS9_8equal_toIvEEiEE10hipError_tPvRmT2_T3_T4_T5_mT6_T7_P12ihipStream_tbENKUlT_T0_E_clISt17integral_constantIbLb1EESV_IbLb0EEEEDaSR_SS_EUlSR_E_NS1_11comp_targetILNS1_3genE4ELNS1_11target_archE910ELNS1_3gpuE8ELNS1_3repE0EEENS1_30default_config_static_selectorELNS0_4arch9wavefront6targetE1EEEvT1_
	.p2align	8
	.type	_ZN7rocprim17ROCPRIM_400000_NS6detail17trampoline_kernelINS0_14default_configENS1_27scan_by_key_config_selectorIiiEEZZNS1_16scan_by_key_implILNS1_25lookback_scan_determinismE0ELb0ES3_N6thrust23THRUST_200600_302600_NS10device_ptrIiEESB_SB_iNS9_4plusIvEENS9_8equal_toIvEEiEE10hipError_tPvRmT2_T3_T4_T5_mT6_T7_P12ihipStream_tbENKUlT_T0_E_clISt17integral_constantIbLb1EESV_IbLb0EEEEDaSR_SS_EUlSR_E_NS1_11comp_targetILNS1_3genE4ELNS1_11target_archE910ELNS1_3gpuE8ELNS1_3repE0EEENS1_30default_config_static_selectorELNS0_4arch9wavefront6targetE1EEEvT1_,@function
_ZN7rocprim17ROCPRIM_400000_NS6detail17trampoline_kernelINS0_14default_configENS1_27scan_by_key_config_selectorIiiEEZZNS1_16scan_by_key_implILNS1_25lookback_scan_determinismE0ELb0ES3_N6thrust23THRUST_200600_302600_NS10device_ptrIiEESB_SB_iNS9_4plusIvEENS9_8equal_toIvEEiEE10hipError_tPvRmT2_T3_T4_T5_mT6_T7_P12ihipStream_tbENKUlT_T0_E_clISt17integral_constantIbLb1EESV_IbLb0EEEEDaSR_SS_EUlSR_E_NS1_11comp_targetILNS1_3genE4ELNS1_11target_archE910ELNS1_3gpuE8ELNS1_3repE0EEENS1_30default_config_static_selectorELNS0_4arch9wavefront6targetE1EEEvT1_: ; @_ZN7rocprim17ROCPRIM_400000_NS6detail17trampoline_kernelINS0_14default_configENS1_27scan_by_key_config_selectorIiiEEZZNS1_16scan_by_key_implILNS1_25lookback_scan_determinismE0ELb0ES3_N6thrust23THRUST_200600_302600_NS10device_ptrIiEESB_SB_iNS9_4plusIvEENS9_8equal_toIvEEiEE10hipError_tPvRmT2_T3_T4_T5_mT6_T7_P12ihipStream_tbENKUlT_T0_E_clISt17integral_constantIbLb1EESV_IbLb0EEEEDaSR_SS_EUlSR_E_NS1_11comp_targetILNS1_3genE4ELNS1_11target_archE910ELNS1_3gpuE8ELNS1_3repE0EEENS1_30default_config_static_selectorELNS0_4arch9wavefront6targetE1EEEvT1_
; %bb.0:
	.section	.rodata,"a",@progbits
	.p2align	6, 0x0
	.amdhsa_kernel _ZN7rocprim17ROCPRIM_400000_NS6detail17trampoline_kernelINS0_14default_configENS1_27scan_by_key_config_selectorIiiEEZZNS1_16scan_by_key_implILNS1_25lookback_scan_determinismE0ELb0ES3_N6thrust23THRUST_200600_302600_NS10device_ptrIiEESB_SB_iNS9_4plusIvEENS9_8equal_toIvEEiEE10hipError_tPvRmT2_T3_T4_T5_mT6_T7_P12ihipStream_tbENKUlT_T0_E_clISt17integral_constantIbLb1EESV_IbLb0EEEEDaSR_SS_EUlSR_E_NS1_11comp_targetILNS1_3genE4ELNS1_11target_archE910ELNS1_3gpuE8ELNS1_3repE0EEENS1_30default_config_static_selectorELNS0_4arch9wavefront6targetE1EEEvT1_
		.amdhsa_group_segment_fixed_size 0
		.amdhsa_private_segment_fixed_size 0
		.amdhsa_kernarg_size 112
		.amdhsa_user_sgpr_count 2
		.amdhsa_user_sgpr_dispatch_ptr 0
		.amdhsa_user_sgpr_queue_ptr 0
		.amdhsa_user_sgpr_kernarg_segment_ptr 1
		.amdhsa_user_sgpr_dispatch_id 0
		.amdhsa_user_sgpr_kernarg_preload_length 0
		.amdhsa_user_sgpr_kernarg_preload_offset 0
		.amdhsa_user_sgpr_private_segment_size 0
		.amdhsa_uses_dynamic_stack 0
		.amdhsa_enable_private_segment 0
		.amdhsa_system_sgpr_workgroup_id_x 1
		.amdhsa_system_sgpr_workgroup_id_y 0
		.amdhsa_system_sgpr_workgroup_id_z 0
		.amdhsa_system_sgpr_workgroup_info 0
		.amdhsa_system_vgpr_workitem_id 0
		.amdhsa_next_free_vgpr 1
		.amdhsa_next_free_sgpr 0
		.amdhsa_accum_offset 4
		.amdhsa_reserve_vcc 0
		.amdhsa_float_round_mode_32 0
		.amdhsa_float_round_mode_16_64 0
		.amdhsa_float_denorm_mode_32 3
		.amdhsa_float_denorm_mode_16_64 3
		.amdhsa_dx10_clamp 1
		.amdhsa_ieee_mode 1
		.amdhsa_fp16_overflow 0
		.amdhsa_tg_split 0
		.amdhsa_exception_fp_ieee_invalid_op 0
		.amdhsa_exception_fp_denorm_src 0
		.amdhsa_exception_fp_ieee_div_zero 0
		.amdhsa_exception_fp_ieee_overflow 0
		.amdhsa_exception_fp_ieee_underflow 0
		.amdhsa_exception_fp_ieee_inexact 0
		.amdhsa_exception_int_div_zero 0
	.end_amdhsa_kernel
	.section	.text._ZN7rocprim17ROCPRIM_400000_NS6detail17trampoline_kernelINS0_14default_configENS1_27scan_by_key_config_selectorIiiEEZZNS1_16scan_by_key_implILNS1_25lookback_scan_determinismE0ELb0ES3_N6thrust23THRUST_200600_302600_NS10device_ptrIiEESB_SB_iNS9_4plusIvEENS9_8equal_toIvEEiEE10hipError_tPvRmT2_T3_T4_T5_mT6_T7_P12ihipStream_tbENKUlT_T0_E_clISt17integral_constantIbLb1EESV_IbLb0EEEEDaSR_SS_EUlSR_E_NS1_11comp_targetILNS1_3genE4ELNS1_11target_archE910ELNS1_3gpuE8ELNS1_3repE0EEENS1_30default_config_static_selectorELNS0_4arch9wavefront6targetE1EEEvT1_,"axG",@progbits,_ZN7rocprim17ROCPRIM_400000_NS6detail17trampoline_kernelINS0_14default_configENS1_27scan_by_key_config_selectorIiiEEZZNS1_16scan_by_key_implILNS1_25lookback_scan_determinismE0ELb0ES3_N6thrust23THRUST_200600_302600_NS10device_ptrIiEESB_SB_iNS9_4plusIvEENS9_8equal_toIvEEiEE10hipError_tPvRmT2_T3_T4_T5_mT6_T7_P12ihipStream_tbENKUlT_T0_E_clISt17integral_constantIbLb1EESV_IbLb0EEEEDaSR_SS_EUlSR_E_NS1_11comp_targetILNS1_3genE4ELNS1_11target_archE910ELNS1_3gpuE8ELNS1_3repE0EEENS1_30default_config_static_selectorELNS0_4arch9wavefront6targetE1EEEvT1_,comdat
.Lfunc_end2218:
	.size	_ZN7rocprim17ROCPRIM_400000_NS6detail17trampoline_kernelINS0_14default_configENS1_27scan_by_key_config_selectorIiiEEZZNS1_16scan_by_key_implILNS1_25lookback_scan_determinismE0ELb0ES3_N6thrust23THRUST_200600_302600_NS10device_ptrIiEESB_SB_iNS9_4plusIvEENS9_8equal_toIvEEiEE10hipError_tPvRmT2_T3_T4_T5_mT6_T7_P12ihipStream_tbENKUlT_T0_E_clISt17integral_constantIbLb1EESV_IbLb0EEEEDaSR_SS_EUlSR_E_NS1_11comp_targetILNS1_3genE4ELNS1_11target_archE910ELNS1_3gpuE8ELNS1_3repE0EEENS1_30default_config_static_selectorELNS0_4arch9wavefront6targetE1EEEvT1_, .Lfunc_end2218-_ZN7rocprim17ROCPRIM_400000_NS6detail17trampoline_kernelINS0_14default_configENS1_27scan_by_key_config_selectorIiiEEZZNS1_16scan_by_key_implILNS1_25lookback_scan_determinismE0ELb0ES3_N6thrust23THRUST_200600_302600_NS10device_ptrIiEESB_SB_iNS9_4plusIvEENS9_8equal_toIvEEiEE10hipError_tPvRmT2_T3_T4_T5_mT6_T7_P12ihipStream_tbENKUlT_T0_E_clISt17integral_constantIbLb1EESV_IbLb0EEEEDaSR_SS_EUlSR_E_NS1_11comp_targetILNS1_3genE4ELNS1_11target_archE910ELNS1_3gpuE8ELNS1_3repE0EEENS1_30default_config_static_selectorELNS0_4arch9wavefront6targetE1EEEvT1_
                                        ; -- End function
	.section	.AMDGPU.csdata,"",@progbits
; Kernel info:
; codeLenInByte = 0
; NumSgprs: 6
; NumVgprs: 0
; NumAgprs: 0
; TotalNumVgprs: 0
; ScratchSize: 0
; MemoryBound: 0
; FloatMode: 240
; IeeeMode: 1
; LDSByteSize: 0 bytes/workgroup (compile time only)
; SGPRBlocks: 0
; VGPRBlocks: 0
; NumSGPRsForWavesPerEU: 6
; NumVGPRsForWavesPerEU: 1
; AccumOffset: 4
; Occupancy: 8
; WaveLimiterHint : 0
; COMPUTE_PGM_RSRC2:SCRATCH_EN: 0
; COMPUTE_PGM_RSRC2:USER_SGPR: 2
; COMPUTE_PGM_RSRC2:TRAP_HANDLER: 0
; COMPUTE_PGM_RSRC2:TGID_X_EN: 1
; COMPUTE_PGM_RSRC2:TGID_Y_EN: 0
; COMPUTE_PGM_RSRC2:TGID_Z_EN: 0
; COMPUTE_PGM_RSRC2:TIDIG_COMP_CNT: 0
; COMPUTE_PGM_RSRC3_GFX90A:ACCUM_OFFSET: 0
; COMPUTE_PGM_RSRC3_GFX90A:TG_SPLIT: 0
	.section	.text._ZN7rocprim17ROCPRIM_400000_NS6detail17trampoline_kernelINS0_14default_configENS1_27scan_by_key_config_selectorIiiEEZZNS1_16scan_by_key_implILNS1_25lookback_scan_determinismE0ELb0ES3_N6thrust23THRUST_200600_302600_NS10device_ptrIiEESB_SB_iNS9_4plusIvEENS9_8equal_toIvEEiEE10hipError_tPvRmT2_T3_T4_T5_mT6_T7_P12ihipStream_tbENKUlT_T0_E_clISt17integral_constantIbLb1EESV_IbLb0EEEEDaSR_SS_EUlSR_E_NS1_11comp_targetILNS1_3genE3ELNS1_11target_archE908ELNS1_3gpuE7ELNS1_3repE0EEENS1_30default_config_static_selectorELNS0_4arch9wavefront6targetE1EEEvT1_,"axG",@progbits,_ZN7rocprim17ROCPRIM_400000_NS6detail17trampoline_kernelINS0_14default_configENS1_27scan_by_key_config_selectorIiiEEZZNS1_16scan_by_key_implILNS1_25lookback_scan_determinismE0ELb0ES3_N6thrust23THRUST_200600_302600_NS10device_ptrIiEESB_SB_iNS9_4plusIvEENS9_8equal_toIvEEiEE10hipError_tPvRmT2_T3_T4_T5_mT6_T7_P12ihipStream_tbENKUlT_T0_E_clISt17integral_constantIbLb1EESV_IbLb0EEEEDaSR_SS_EUlSR_E_NS1_11comp_targetILNS1_3genE3ELNS1_11target_archE908ELNS1_3gpuE7ELNS1_3repE0EEENS1_30default_config_static_selectorELNS0_4arch9wavefront6targetE1EEEvT1_,comdat
	.protected	_ZN7rocprim17ROCPRIM_400000_NS6detail17trampoline_kernelINS0_14default_configENS1_27scan_by_key_config_selectorIiiEEZZNS1_16scan_by_key_implILNS1_25lookback_scan_determinismE0ELb0ES3_N6thrust23THRUST_200600_302600_NS10device_ptrIiEESB_SB_iNS9_4plusIvEENS9_8equal_toIvEEiEE10hipError_tPvRmT2_T3_T4_T5_mT6_T7_P12ihipStream_tbENKUlT_T0_E_clISt17integral_constantIbLb1EESV_IbLb0EEEEDaSR_SS_EUlSR_E_NS1_11comp_targetILNS1_3genE3ELNS1_11target_archE908ELNS1_3gpuE7ELNS1_3repE0EEENS1_30default_config_static_selectorELNS0_4arch9wavefront6targetE1EEEvT1_ ; -- Begin function _ZN7rocprim17ROCPRIM_400000_NS6detail17trampoline_kernelINS0_14default_configENS1_27scan_by_key_config_selectorIiiEEZZNS1_16scan_by_key_implILNS1_25lookback_scan_determinismE0ELb0ES3_N6thrust23THRUST_200600_302600_NS10device_ptrIiEESB_SB_iNS9_4plusIvEENS9_8equal_toIvEEiEE10hipError_tPvRmT2_T3_T4_T5_mT6_T7_P12ihipStream_tbENKUlT_T0_E_clISt17integral_constantIbLb1EESV_IbLb0EEEEDaSR_SS_EUlSR_E_NS1_11comp_targetILNS1_3genE3ELNS1_11target_archE908ELNS1_3gpuE7ELNS1_3repE0EEENS1_30default_config_static_selectorELNS0_4arch9wavefront6targetE1EEEvT1_
	.globl	_ZN7rocprim17ROCPRIM_400000_NS6detail17trampoline_kernelINS0_14default_configENS1_27scan_by_key_config_selectorIiiEEZZNS1_16scan_by_key_implILNS1_25lookback_scan_determinismE0ELb0ES3_N6thrust23THRUST_200600_302600_NS10device_ptrIiEESB_SB_iNS9_4plusIvEENS9_8equal_toIvEEiEE10hipError_tPvRmT2_T3_T4_T5_mT6_T7_P12ihipStream_tbENKUlT_T0_E_clISt17integral_constantIbLb1EESV_IbLb0EEEEDaSR_SS_EUlSR_E_NS1_11comp_targetILNS1_3genE3ELNS1_11target_archE908ELNS1_3gpuE7ELNS1_3repE0EEENS1_30default_config_static_selectorELNS0_4arch9wavefront6targetE1EEEvT1_
	.p2align	8
	.type	_ZN7rocprim17ROCPRIM_400000_NS6detail17trampoline_kernelINS0_14default_configENS1_27scan_by_key_config_selectorIiiEEZZNS1_16scan_by_key_implILNS1_25lookback_scan_determinismE0ELb0ES3_N6thrust23THRUST_200600_302600_NS10device_ptrIiEESB_SB_iNS9_4plusIvEENS9_8equal_toIvEEiEE10hipError_tPvRmT2_T3_T4_T5_mT6_T7_P12ihipStream_tbENKUlT_T0_E_clISt17integral_constantIbLb1EESV_IbLb0EEEEDaSR_SS_EUlSR_E_NS1_11comp_targetILNS1_3genE3ELNS1_11target_archE908ELNS1_3gpuE7ELNS1_3repE0EEENS1_30default_config_static_selectorELNS0_4arch9wavefront6targetE1EEEvT1_,@function
_ZN7rocprim17ROCPRIM_400000_NS6detail17trampoline_kernelINS0_14default_configENS1_27scan_by_key_config_selectorIiiEEZZNS1_16scan_by_key_implILNS1_25lookback_scan_determinismE0ELb0ES3_N6thrust23THRUST_200600_302600_NS10device_ptrIiEESB_SB_iNS9_4plusIvEENS9_8equal_toIvEEiEE10hipError_tPvRmT2_T3_T4_T5_mT6_T7_P12ihipStream_tbENKUlT_T0_E_clISt17integral_constantIbLb1EESV_IbLb0EEEEDaSR_SS_EUlSR_E_NS1_11comp_targetILNS1_3genE3ELNS1_11target_archE908ELNS1_3gpuE7ELNS1_3repE0EEENS1_30default_config_static_selectorELNS0_4arch9wavefront6targetE1EEEvT1_: ; @_ZN7rocprim17ROCPRIM_400000_NS6detail17trampoline_kernelINS0_14default_configENS1_27scan_by_key_config_selectorIiiEEZZNS1_16scan_by_key_implILNS1_25lookback_scan_determinismE0ELb0ES3_N6thrust23THRUST_200600_302600_NS10device_ptrIiEESB_SB_iNS9_4plusIvEENS9_8equal_toIvEEiEE10hipError_tPvRmT2_T3_T4_T5_mT6_T7_P12ihipStream_tbENKUlT_T0_E_clISt17integral_constantIbLb1EESV_IbLb0EEEEDaSR_SS_EUlSR_E_NS1_11comp_targetILNS1_3genE3ELNS1_11target_archE908ELNS1_3gpuE7ELNS1_3repE0EEENS1_30default_config_static_selectorELNS0_4arch9wavefront6targetE1EEEvT1_
; %bb.0:
	.section	.rodata,"a",@progbits
	.p2align	6, 0x0
	.amdhsa_kernel _ZN7rocprim17ROCPRIM_400000_NS6detail17trampoline_kernelINS0_14default_configENS1_27scan_by_key_config_selectorIiiEEZZNS1_16scan_by_key_implILNS1_25lookback_scan_determinismE0ELb0ES3_N6thrust23THRUST_200600_302600_NS10device_ptrIiEESB_SB_iNS9_4plusIvEENS9_8equal_toIvEEiEE10hipError_tPvRmT2_T3_T4_T5_mT6_T7_P12ihipStream_tbENKUlT_T0_E_clISt17integral_constantIbLb1EESV_IbLb0EEEEDaSR_SS_EUlSR_E_NS1_11comp_targetILNS1_3genE3ELNS1_11target_archE908ELNS1_3gpuE7ELNS1_3repE0EEENS1_30default_config_static_selectorELNS0_4arch9wavefront6targetE1EEEvT1_
		.amdhsa_group_segment_fixed_size 0
		.amdhsa_private_segment_fixed_size 0
		.amdhsa_kernarg_size 112
		.amdhsa_user_sgpr_count 2
		.amdhsa_user_sgpr_dispatch_ptr 0
		.amdhsa_user_sgpr_queue_ptr 0
		.amdhsa_user_sgpr_kernarg_segment_ptr 1
		.amdhsa_user_sgpr_dispatch_id 0
		.amdhsa_user_sgpr_kernarg_preload_length 0
		.amdhsa_user_sgpr_kernarg_preload_offset 0
		.amdhsa_user_sgpr_private_segment_size 0
		.amdhsa_uses_dynamic_stack 0
		.amdhsa_enable_private_segment 0
		.amdhsa_system_sgpr_workgroup_id_x 1
		.amdhsa_system_sgpr_workgroup_id_y 0
		.amdhsa_system_sgpr_workgroup_id_z 0
		.amdhsa_system_sgpr_workgroup_info 0
		.amdhsa_system_vgpr_workitem_id 0
		.amdhsa_next_free_vgpr 1
		.amdhsa_next_free_sgpr 0
		.amdhsa_accum_offset 4
		.amdhsa_reserve_vcc 0
		.amdhsa_float_round_mode_32 0
		.amdhsa_float_round_mode_16_64 0
		.amdhsa_float_denorm_mode_32 3
		.amdhsa_float_denorm_mode_16_64 3
		.amdhsa_dx10_clamp 1
		.amdhsa_ieee_mode 1
		.amdhsa_fp16_overflow 0
		.amdhsa_tg_split 0
		.amdhsa_exception_fp_ieee_invalid_op 0
		.amdhsa_exception_fp_denorm_src 0
		.amdhsa_exception_fp_ieee_div_zero 0
		.amdhsa_exception_fp_ieee_overflow 0
		.amdhsa_exception_fp_ieee_underflow 0
		.amdhsa_exception_fp_ieee_inexact 0
		.amdhsa_exception_int_div_zero 0
	.end_amdhsa_kernel
	.section	.text._ZN7rocprim17ROCPRIM_400000_NS6detail17trampoline_kernelINS0_14default_configENS1_27scan_by_key_config_selectorIiiEEZZNS1_16scan_by_key_implILNS1_25lookback_scan_determinismE0ELb0ES3_N6thrust23THRUST_200600_302600_NS10device_ptrIiEESB_SB_iNS9_4plusIvEENS9_8equal_toIvEEiEE10hipError_tPvRmT2_T3_T4_T5_mT6_T7_P12ihipStream_tbENKUlT_T0_E_clISt17integral_constantIbLb1EESV_IbLb0EEEEDaSR_SS_EUlSR_E_NS1_11comp_targetILNS1_3genE3ELNS1_11target_archE908ELNS1_3gpuE7ELNS1_3repE0EEENS1_30default_config_static_selectorELNS0_4arch9wavefront6targetE1EEEvT1_,"axG",@progbits,_ZN7rocprim17ROCPRIM_400000_NS6detail17trampoline_kernelINS0_14default_configENS1_27scan_by_key_config_selectorIiiEEZZNS1_16scan_by_key_implILNS1_25lookback_scan_determinismE0ELb0ES3_N6thrust23THRUST_200600_302600_NS10device_ptrIiEESB_SB_iNS9_4plusIvEENS9_8equal_toIvEEiEE10hipError_tPvRmT2_T3_T4_T5_mT6_T7_P12ihipStream_tbENKUlT_T0_E_clISt17integral_constantIbLb1EESV_IbLb0EEEEDaSR_SS_EUlSR_E_NS1_11comp_targetILNS1_3genE3ELNS1_11target_archE908ELNS1_3gpuE7ELNS1_3repE0EEENS1_30default_config_static_selectorELNS0_4arch9wavefront6targetE1EEEvT1_,comdat
.Lfunc_end2219:
	.size	_ZN7rocprim17ROCPRIM_400000_NS6detail17trampoline_kernelINS0_14default_configENS1_27scan_by_key_config_selectorIiiEEZZNS1_16scan_by_key_implILNS1_25lookback_scan_determinismE0ELb0ES3_N6thrust23THRUST_200600_302600_NS10device_ptrIiEESB_SB_iNS9_4plusIvEENS9_8equal_toIvEEiEE10hipError_tPvRmT2_T3_T4_T5_mT6_T7_P12ihipStream_tbENKUlT_T0_E_clISt17integral_constantIbLb1EESV_IbLb0EEEEDaSR_SS_EUlSR_E_NS1_11comp_targetILNS1_3genE3ELNS1_11target_archE908ELNS1_3gpuE7ELNS1_3repE0EEENS1_30default_config_static_selectorELNS0_4arch9wavefront6targetE1EEEvT1_, .Lfunc_end2219-_ZN7rocprim17ROCPRIM_400000_NS6detail17trampoline_kernelINS0_14default_configENS1_27scan_by_key_config_selectorIiiEEZZNS1_16scan_by_key_implILNS1_25lookback_scan_determinismE0ELb0ES3_N6thrust23THRUST_200600_302600_NS10device_ptrIiEESB_SB_iNS9_4plusIvEENS9_8equal_toIvEEiEE10hipError_tPvRmT2_T3_T4_T5_mT6_T7_P12ihipStream_tbENKUlT_T0_E_clISt17integral_constantIbLb1EESV_IbLb0EEEEDaSR_SS_EUlSR_E_NS1_11comp_targetILNS1_3genE3ELNS1_11target_archE908ELNS1_3gpuE7ELNS1_3repE0EEENS1_30default_config_static_selectorELNS0_4arch9wavefront6targetE1EEEvT1_
                                        ; -- End function
	.section	.AMDGPU.csdata,"",@progbits
; Kernel info:
; codeLenInByte = 0
; NumSgprs: 6
; NumVgprs: 0
; NumAgprs: 0
; TotalNumVgprs: 0
; ScratchSize: 0
; MemoryBound: 0
; FloatMode: 240
; IeeeMode: 1
; LDSByteSize: 0 bytes/workgroup (compile time only)
; SGPRBlocks: 0
; VGPRBlocks: 0
; NumSGPRsForWavesPerEU: 6
; NumVGPRsForWavesPerEU: 1
; AccumOffset: 4
; Occupancy: 8
; WaveLimiterHint : 0
; COMPUTE_PGM_RSRC2:SCRATCH_EN: 0
; COMPUTE_PGM_RSRC2:USER_SGPR: 2
; COMPUTE_PGM_RSRC2:TRAP_HANDLER: 0
; COMPUTE_PGM_RSRC2:TGID_X_EN: 1
; COMPUTE_PGM_RSRC2:TGID_Y_EN: 0
; COMPUTE_PGM_RSRC2:TGID_Z_EN: 0
; COMPUTE_PGM_RSRC2:TIDIG_COMP_CNT: 0
; COMPUTE_PGM_RSRC3_GFX90A:ACCUM_OFFSET: 0
; COMPUTE_PGM_RSRC3_GFX90A:TG_SPLIT: 0
	.section	.text._ZN7rocprim17ROCPRIM_400000_NS6detail17trampoline_kernelINS0_14default_configENS1_27scan_by_key_config_selectorIiiEEZZNS1_16scan_by_key_implILNS1_25lookback_scan_determinismE0ELb0ES3_N6thrust23THRUST_200600_302600_NS10device_ptrIiEESB_SB_iNS9_4plusIvEENS9_8equal_toIvEEiEE10hipError_tPvRmT2_T3_T4_T5_mT6_T7_P12ihipStream_tbENKUlT_T0_E_clISt17integral_constantIbLb1EESV_IbLb0EEEEDaSR_SS_EUlSR_E_NS1_11comp_targetILNS1_3genE2ELNS1_11target_archE906ELNS1_3gpuE6ELNS1_3repE0EEENS1_30default_config_static_selectorELNS0_4arch9wavefront6targetE1EEEvT1_,"axG",@progbits,_ZN7rocprim17ROCPRIM_400000_NS6detail17trampoline_kernelINS0_14default_configENS1_27scan_by_key_config_selectorIiiEEZZNS1_16scan_by_key_implILNS1_25lookback_scan_determinismE0ELb0ES3_N6thrust23THRUST_200600_302600_NS10device_ptrIiEESB_SB_iNS9_4plusIvEENS9_8equal_toIvEEiEE10hipError_tPvRmT2_T3_T4_T5_mT6_T7_P12ihipStream_tbENKUlT_T0_E_clISt17integral_constantIbLb1EESV_IbLb0EEEEDaSR_SS_EUlSR_E_NS1_11comp_targetILNS1_3genE2ELNS1_11target_archE906ELNS1_3gpuE6ELNS1_3repE0EEENS1_30default_config_static_selectorELNS0_4arch9wavefront6targetE1EEEvT1_,comdat
	.protected	_ZN7rocprim17ROCPRIM_400000_NS6detail17trampoline_kernelINS0_14default_configENS1_27scan_by_key_config_selectorIiiEEZZNS1_16scan_by_key_implILNS1_25lookback_scan_determinismE0ELb0ES3_N6thrust23THRUST_200600_302600_NS10device_ptrIiEESB_SB_iNS9_4plusIvEENS9_8equal_toIvEEiEE10hipError_tPvRmT2_T3_T4_T5_mT6_T7_P12ihipStream_tbENKUlT_T0_E_clISt17integral_constantIbLb1EESV_IbLb0EEEEDaSR_SS_EUlSR_E_NS1_11comp_targetILNS1_3genE2ELNS1_11target_archE906ELNS1_3gpuE6ELNS1_3repE0EEENS1_30default_config_static_selectorELNS0_4arch9wavefront6targetE1EEEvT1_ ; -- Begin function _ZN7rocprim17ROCPRIM_400000_NS6detail17trampoline_kernelINS0_14default_configENS1_27scan_by_key_config_selectorIiiEEZZNS1_16scan_by_key_implILNS1_25lookback_scan_determinismE0ELb0ES3_N6thrust23THRUST_200600_302600_NS10device_ptrIiEESB_SB_iNS9_4plusIvEENS9_8equal_toIvEEiEE10hipError_tPvRmT2_T3_T4_T5_mT6_T7_P12ihipStream_tbENKUlT_T0_E_clISt17integral_constantIbLb1EESV_IbLb0EEEEDaSR_SS_EUlSR_E_NS1_11comp_targetILNS1_3genE2ELNS1_11target_archE906ELNS1_3gpuE6ELNS1_3repE0EEENS1_30default_config_static_selectorELNS0_4arch9wavefront6targetE1EEEvT1_
	.globl	_ZN7rocprim17ROCPRIM_400000_NS6detail17trampoline_kernelINS0_14default_configENS1_27scan_by_key_config_selectorIiiEEZZNS1_16scan_by_key_implILNS1_25lookback_scan_determinismE0ELb0ES3_N6thrust23THRUST_200600_302600_NS10device_ptrIiEESB_SB_iNS9_4plusIvEENS9_8equal_toIvEEiEE10hipError_tPvRmT2_T3_T4_T5_mT6_T7_P12ihipStream_tbENKUlT_T0_E_clISt17integral_constantIbLb1EESV_IbLb0EEEEDaSR_SS_EUlSR_E_NS1_11comp_targetILNS1_3genE2ELNS1_11target_archE906ELNS1_3gpuE6ELNS1_3repE0EEENS1_30default_config_static_selectorELNS0_4arch9wavefront6targetE1EEEvT1_
	.p2align	8
	.type	_ZN7rocprim17ROCPRIM_400000_NS6detail17trampoline_kernelINS0_14default_configENS1_27scan_by_key_config_selectorIiiEEZZNS1_16scan_by_key_implILNS1_25lookback_scan_determinismE0ELb0ES3_N6thrust23THRUST_200600_302600_NS10device_ptrIiEESB_SB_iNS9_4plusIvEENS9_8equal_toIvEEiEE10hipError_tPvRmT2_T3_T4_T5_mT6_T7_P12ihipStream_tbENKUlT_T0_E_clISt17integral_constantIbLb1EESV_IbLb0EEEEDaSR_SS_EUlSR_E_NS1_11comp_targetILNS1_3genE2ELNS1_11target_archE906ELNS1_3gpuE6ELNS1_3repE0EEENS1_30default_config_static_selectorELNS0_4arch9wavefront6targetE1EEEvT1_,@function
_ZN7rocprim17ROCPRIM_400000_NS6detail17trampoline_kernelINS0_14default_configENS1_27scan_by_key_config_selectorIiiEEZZNS1_16scan_by_key_implILNS1_25lookback_scan_determinismE0ELb0ES3_N6thrust23THRUST_200600_302600_NS10device_ptrIiEESB_SB_iNS9_4plusIvEENS9_8equal_toIvEEiEE10hipError_tPvRmT2_T3_T4_T5_mT6_T7_P12ihipStream_tbENKUlT_T0_E_clISt17integral_constantIbLb1EESV_IbLb0EEEEDaSR_SS_EUlSR_E_NS1_11comp_targetILNS1_3genE2ELNS1_11target_archE906ELNS1_3gpuE6ELNS1_3repE0EEENS1_30default_config_static_selectorELNS0_4arch9wavefront6targetE1EEEvT1_: ; @_ZN7rocprim17ROCPRIM_400000_NS6detail17trampoline_kernelINS0_14default_configENS1_27scan_by_key_config_selectorIiiEEZZNS1_16scan_by_key_implILNS1_25lookback_scan_determinismE0ELb0ES3_N6thrust23THRUST_200600_302600_NS10device_ptrIiEESB_SB_iNS9_4plusIvEENS9_8equal_toIvEEiEE10hipError_tPvRmT2_T3_T4_T5_mT6_T7_P12ihipStream_tbENKUlT_T0_E_clISt17integral_constantIbLb1EESV_IbLb0EEEEDaSR_SS_EUlSR_E_NS1_11comp_targetILNS1_3genE2ELNS1_11target_archE906ELNS1_3gpuE6ELNS1_3repE0EEENS1_30default_config_static_selectorELNS0_4arch9wavefront6targetE1EEEvT1_
; %bb.0:
	.section	.rodata,"a",@progbits
	.p2align	6, 0x0
	.amdhsa_kernel _ZN7rocprim17ROCPRIM_400000_NS6detail17trampoline_kernelINS0_14default_configENS1_27scan_by_key_config_selectorIiiEEZZNS1_16scan_by_key_implILNS1_25lookback_scan_determinismE0ELb0ES3_N6thrust23THRUST_200600_302600_NS10device_ptrIiEESB_SB_iNS9_4plusIvEENS9_8equal_toIvEEiEE10hipError_tPvRmT2_T3_T4_T5_mT6_T7_P12ihipStream_tbENKUlT_T0_E_clISt17integral_constantIbLb1EESV_IbLb0EEEEDaSR_SS_EUlSR_E_NS1_11comp_targetILNS1_3genE2ELNS1_11target_archE906ELNS1_3gpuE6ELNS1_3repE0EEENS1_30default_config_static_selectorELNS0_4arch9wavefront6targetE1EEEvT1_
		.amdhsa_group_segment_fixed_size 0
		.amdhsa_private_segment_fixed_size 0
		.amdhsa_kernarg_size 112
		.amdhsa_user_sgpr_count 2
		.amdhsa_user_sgpr_dispatch_ptr 0
		.amdhsa_user_sgpr_queue_ptr 0
		.amdhsa_user_sgpr_kernarg_segment_ptr 1
		.amdhsa_user_sgpr_dispatch_id 0
		.amdhsa_user_sgpr_kernarg_preload_length 0
		.amdhsa_user_sgpr_kernarg_preload_offset 0
		.amdhsa_user_sgpr_private_segment_size 0
		.amdhsa_uses_dynamic_stack 0
		.amdhsa_enable_private_segment 0
		.amdhsa_system_sgpr_workgroup_id_x 1
		.amdhsa_system_sgpr_workgroup_id_y 0
		.amdhsa_system_sgpr_workgroup_id_z 0
		.amdhsa_system_sgpr_workgroup_info 0
		.amdhsa_system_vgpr_workitem_id 0
		.amdhsa_next_free_vgpr 1
		.amdhsa_next_free_sgpr 0
		.amdhsa_accum_offset 4
		.amdhsa_reserve_vcc 0
		.amdhsa_float_round_mode_32 0
		.amdhsa_float_round_mode_16_64 0
		.amdhsa_float_denorm_mode_32 3
		.amdhsa_float_denorm_mode_16_64 3
		.amdhsa_dx10_clamp 1
		.amdhsa_ieee_mode 1
		.amdhsa_fp16_overflow 0
		.amdhsa_tg_split 0
		.amdhsa_exception_fp_ieee_invalid_op 0
		.amdhsa_exception_fp_denorm_src 0
		.amdhsa_exception_fp_ieee_div_zero 0
		.amdhsa_exception_fp_ieee_overflow 0
		.amdhsa_exception_fp_ieee_underflow 0
		.amdhsa_exception_fp_ieee_inexact 0
		.amdhsa_exception_int_div_zero 0
	.end_amdhsa_kernel
	.section	.text._ZN7rocprim17ROCPRIM_400000_NS6detail17trampoline_kernelINS0_14default_configENS1_27scan_by_key_config_selectorIiiEEZZNS1_16scan_by_key_implILNS1_25lookback_scan_determinismE0ELb0ES3_N6thrust23THRUST_200600_302600_NS10device_ptrIiEESB_SB_iNS9_4plusIvEENS9_8equal_toIvEEiEE10hipError_tPvRmT2_T3_T4_T5_mT6_T7_P12ihipStream_tbENKUlT_T0_E_clISt17integral_constantIbLb1EESV_IbLb0EEEEDaSR_SS_EUlSR_E_NS1_11comp_targetILNS1_3genE2ELNS1_11target_archE906ELNS1_3gpuE6ELNS1_3repE0EEENS1_30default_config_static_selectorELNS0_4arch9wavefront6targetE1EEEvT1_,"axG",@progbits,_ZN7rocprim17ROCPRIM_400000_NS6detail17trampoline_kernelINS0_14default_configENS1_27scan_by_key_config_selectorIiiEEZZNS1_16scan_by_key_implILNS1_25lookback_scan_determinismE0ELb0ES3_N6thrust23THRUST_200600_302600_NS10device_ptrIiEESB_SB_iNS9_4plusIvEENS9_8equal_toIvEEiEE10hipError_tPvRmT2_T3_T4_T5_mT6_T7_P12ihipStream_tbENKUlT_T0_E_clISt17integral_constantIbLb1EESV_IbLb0EEEEDaSR_SS_EUlSR_E_NS1_11comp_targetILNS1_3genE2ELNS1_11target_archE906ELNS1_3gpuE6ELNS1_3repE0EEENS1_30default_config_static_selectorELNS0_4arch9wavefront6targetE1EEEvT1_,comdat
.Lfunc_end2220:
	.size	_ZN7rocprim17ROCPRIM_400000_NS6detail17trampoline_kernelINS0_14default_configENS1_27scan_by_key_config_selectorIiiEEZZNS1_16scan_by_key_implILNS1_25lookback_scan_determinismE0ELb0ES3_N6thrust23THRUST_200600_302600_NS10device_ptrIiEESB_SB_iNS9_4plusIvEENS9_8equal_toIvEEiEE10hipError_tPvRmT2_T3_T4_T5_mT6_T7_P12ihipStream_tbENKUlT_T0_E_clISt17integral_constantIbLb1EESV_IbLb0EEEEDaSR_SS_EUlSR_E_NS1_11comp_targetILNS1_3genE2ELNS1_11target_archE906ELNS1_3gpuE6ELNS1_3repE0EEENS1_30default_config_static_selectorELNS0_4arch9wavefront6targetE1EEEvT1_, .Lfunc_end2220-_ZN7rocprim17ROCPRIM_400000_NS6detail17trampoline_kernelINS0_14default_configENS1_27scan_by_key_config_selectorIiiEEZZNS1_16scan_by_key_implILNS1_25lookback_scan_determinismE0ELb0ES3_N6thrust23THRUST_200600_302600_NS10device_ptrIiEESB_SB_iNS9_4plusIvEENS9_8equal_toIvEEiEE10hipError_tPvRmT2_T3_T4_T5_mT6_T7_P12ihipStream_tbENKUlT_T0_E_clISt17integral_constantIbLb1EESV_IbLb0EEEEDaSR_SS_EUlSR_E_NS1_11comp_targetILNS1_3genE2ELNS1_11target_archE906ELNS1_3gpuE6ELNS1_3repE0EEENS1_30default_config_static_selectorELNS0_4arch9wavefront6targetE1EEEvT1_
                                        ; -- End function
	.section	.AMDGPU.csdata,"",@progbits
; Kernel info:
; codeLenInByte = 0
; NumSgprs: 6
; NumVgprs: 0
; NumAgprs: 0
; TotalNumVgprs: 0
; ScratchSize: 0
; MemoryBound: 0
; FloatMode: 240
; IeeeMode: 1
; LDSByteSize: 0 bytes/workgroup (compile time only)
; SGPRBlocks: 0
; VGPRBlocks: 0
; NumSGPRsForWavesPerEU: 6
; NumVGPRsForWavesPerEU: 1
; AccumOffset: 4
; Occupancy: 8
; WaveLimiterHint : 0
; COMPUTE_PGM_RSRC2:SCRATCH_EN: 0
; COMPUTE_PGM_RSRC2:USER_SGPR: 2
; COMPUTE_PGM_RSRC2:TRAP_HANDLER: 0
; COMPUTE_PGM_RSRC2:TGID_X_EN: 1
; COMPUTE_PGM_RSRC2:TGID_Y_EN: 0
; COMPUTE_PGM_RSRC2:TGID_Z_EN: 0
; COMPUTE_PGM_RSRC2:TIDIG_COMP_CNT: 0
; COMPUTE_PGM_RSRC3_GFX90A:ACCUM_OFFSET: 0
; COMPUTE_PGM_RSRC3_GFX90A:TG_SPLIT: 0
	.section	.text._ZN7rocprim17ROCPRIM_400000_NS6detail17trampoline_kernelINS0_14default_configENS1_27scan_by_key_config_selectorIiiEEZZNS1_16scan_by_key_implILNS1_25lookback_scan_determinismE0ELb0ES3_N6thrust23THRUST_200600_302600_NS10device_ptrIiEESB_SB_iNS9_4plusIvEENS9_8equal_toIvEEiEE10hipError_tPvRmT2_T3_T4_T5_mT6_T7_P12ihipStream_tbENKUlT_T0_E_clISt17integral_constantIbLb1EESV_IbLb0EEEEDaSR_SS_EUlSR_E_NS1_11comp_targetILNS1_3genE10ELNS1_11target_archE1200ELNS1_3gpuE4ELNS1_3repE0EEENS1_30default_config_static_selectorELNS0_4arch9wavefront6targetE1EEEvT1_,"axG",@progbits,_ZN7rocprim17ROCPRIM_400000_NS6detail17trampoline_kernelINS0_14default_configENS1_27scan_by_key_config_selectorIiiEEZZNS1_16scan_by_key_implILNS1_25lookback_scan_determinismE0ELb0ES3_N6thrust23THRUST_200600_302600_NS10device_ptrIiEESB_SB_iNS9_4plusIvEENS9_8equal_toIvEEiEE10hipError_tPvRmT2_T3_T4_T5_mT6_T7_P12ihipStream_tbENKUlT_T0_E_clISt17integral_constantIbLb1EESV_IbLb0EEEEDaSR_SS_EUlSR_E_NS1_11comp_targetILNS1_3genE10ELNS1_11target_archE1200ELNS1_3gpuE4ELNS1_3repE0EEENS1_30default_config_static_selectorELNS0_4arch9wavefront6targetE1EEEvT1_,comdat
	.protected	_ZN7rocprim17ROCPRIM_400000_NS6detail17trampoline_kernelINS0_14default_configENS1_27scan_by_key_config_selectorIiiEEZZNS1_16scan_by_key_implILNS1_25lookback_scan_determinismE0ELb0ES3_N6thrust23THRUST_200600_302600_NS10device_ptrIiEESB_SB_iNS9_4plusIvEENS9_8equal_toIvEEiEE10hipError_tPvRmT2_T3_T4_T5_mT6_T7_P12ihipStream_tbENKUlT_T0_E_clISt17integral_constantIbLb1EESV_IbLb0EEEEDaSR_SS_EUlSR_E_NS1_11comp_targetILNS1_3genE10ELNS1_11target_archE1200ELNS1_3gpuE4ELNS1_3repE0EEENS1_30default_config_static_selectorELNS0_4arch9wavefront6targetE1EEEvT1_ ; -- Begin function _ZN7rocprim17ROCPRIM_400000_NS6detail17trampoline_kernelINS0_14default_configENS1_27scan_by_key_config_selectorIiiEEZZNS1_16scan_by_key_implILNS1_25lookback_scan_determinismE0ELb0ES3_N6thrust23THRUST_200600_302600_NS10device_ptrIiEESB_SB_iNS9_4plusIvEENS9_8equal_toIvEEiEE10hipError_tPvRmT2_T3_T4_T5_mT6_T7_P12ihipStream_tbENKUlT_T0_E_clISt17integral_constantIbLb1EESV_IbLb0EEEEDaSR_SS_EUlSR_E_NS1_11comp_targetILNS1_3genE10ELNS1_11target_archE1200ELNS1_3gpuE4ELNS1_3repE0EEENS1_30default_config_static_selectorELNS0_4arch9wavefront6targetE1EEEvT1_
	.globl	_ZN7rocprim17ROCPRIM_400000_NS6detail17trampoline_kernelINS0_14default_configENS1_27scan_by_key_config_selectorIiiEEZZNS1_16scan_by_key_implILNS1_25lookback_scan_determinismE0ELb0ES3_N6thrust23THRUST_200600_302600_NS10device_ptrIiEESB_SB_iNS9_4plusIvEENS9_8equal_toIvEEiEE10hipError_tPvRmT2_T3_T4_T5_mT6_T7_P12ihipStream_tbENKUlT_T0_E_clISt17integral_constantIbLb1EESV_IbLb0EEEEDaSR_SS_EUlSR_E_NS1_11comp_targetILNS1_3genE10ELNS1_11target_archE1200ELNS1_3gpuE4ELNS1_3repE0EEENS1_30default_config_static_selectorELNS0_4arch9wavefront6targetE1EEEvT1_
	.p2align	8
	.type	_ZN7rocprim17ROCPRIM_400000_NS6detail17trampoline_kernelINS0_14default_configENS1_27scan_by_key_config_selectorIiiEEZZNS1_16scan_by_key_implILNS1_25lookback_scan_determinismE0ELb0ES3_N6thrust23THRUST_200600_302600_NS10device_ptrIiEESB_SB_iNS9_4plusIvEENS9_8equal_toIvEEiEE10hipError_tPvRmT2_T3_T4_T5_mT6_T7_P12ihipStream_tbENKUlT_T0_E_clISt17integral_constantIbLb1EESV_IbLb0EEEEDaSR_SS_EUlSR_E_NS1_11comp_targetILNS1_3genE10ELNS1_11target_archE1200ELNS1_3gpuE4ELNS1_3repE0EEENS1_30default_config_static_selectorELNS0_4arch9wavefront6targetE1EEEvT1_,@function
_ZN7rocprim17ROCPRIM_400000_NS6detail17trampoline_kernelINS0_14default_configENS1_27scan_by_key_config_selectorIiiEEZZNS1_16scan_by_key_implILNS1_25lookback_scan_determinismE0ELb0ES3_N6thrust23THRUST_200600_302600_NS10device_ptrIiEESB_SB_iNS9_4plusIvEENS9_8equal_toIvEEiEE10hipError_tPvRmT2_T3_T4_T5_mT6_T7_P12ihipStream_tbENKUlT_T0_E_clISt17integral_constantIbLb1EESV_IbLb0EEEEDaSR_SS_EUlSR_E_NS1_11comp_targetILNS1_3genE10ELNS1_11target_archE1200ELNS1_3gpuE4ELNS1_3repE0EEENS1_30default_config_static_selectorELNS0_4arch9wavefront6targetE1EEEvT1_: ; @_ZN7rocprim17ROCPRIM_400000_NS6detail17trampoline_kernelINS0_14default_configENS1_27scan_by_key_config_selectorIiiEEZZNS1_16scan_by_key_implILNS1_25lookback_scan_determinismE0ELb0ES3_N6thrust23THRUST_200600_302600_NS10device_ptrIiEESB_SB_iNS9_4plusIvEENS9_8equal_toIvEEiEE10hipError_tPvRmT2_T3_T4_T5_mT6_T7_P12ihipStream_tbENKUlT_T0_E_clISt17integral_constantIbLb1EESV_IbLb0EEEEDaSR_SS_EUlSR_E_NS1_11comp_targetILNS1_3genE10ELNS1_11target_archE1200ELNS1_3gpuE4ELNS1_3repE0EEENS1_30default_config_static_selectorELNS0_4arch9wavefront6targetE1EEEvT1_
; %bb.0:
	.section	.rodata,"a",@progbits
	.p2align	6, 0x0
	.amdhsa_kernel _ZN7rocprim17ROCPRIM_400000_NS6detail17trampoline_kernelINS0_14default_configENS1_27scan_by_key_config_selectorIiiEEZZNS1_16scan_by_key_implILNS1_25lookback_scan_determinismE0ELb0ES3_N6thrust23THRUST_200600_302600_NS10device_ptrIiEESB_SB_iNS9_4plusIvEENS9_8equal_toIvEEiEE10hipError_tPvRmT2_T3_T4_T5_mT6_T7_P12ihipStream_tbENKUlT_T0_E_clISt17integral_constantIbLb1EESV_IbLb0EEEEDaSR_SS_EUlSR_E_NS1_11comp_targetILNS1_3genE10ELNS1_11target_archE1200ELNS1_3gpuE4ELNS1_3repE0EEENS1_30default_config_static_selectorELNS0_4arch9wavefront6targetE1EEEvT1_
		.amdhsa_group_segment_fixed_size 0
		.amdhsa_private_segment_fixed_size 0
		.amdhsa_kernarg_size 112
		.amdhsa_user_sgpr_count 2
		.amdhsa_user_sgpr_dispatch_ptr 0
		.amdhsa_user_sgpr_queue_ptr 0
		.amdhsa_user_sgpr_kernarg_segment_ptr 1
		.amdhsa_user_sgpr_dispatch_id 0
		.amdhsa_user_sgpr_kernarg_preload_length 0
		.amdhsa_user_sgpr_kernarg_preload_offset 0
		.amdhsa_user_sgpr_private_segment_size 0
		.amdhsa_uses_dynamic_stack 0
		.amdhsa_enable_private_segment 0
		.amdhsa_system_sgpr_workgroup_id_x 1
		.amdhsa_system_sgpr_workgroup_id_y 0
		.amdhsa_system_sgpr_workgroup_id_z 0
		.amdhsa_system_sgpr_workgroup_info 0
		.amdhsa_system_vgpr_workitem_id 0
		.amdhsa_next_free_vgpr 1
		.amdhsa_next_free_sgpr 0
		.amdhsa_accum_offset 4
		.amdhsa_reserve_vcc 0
		.amdhsa_float_round_mode_32 0
		.amdhsa_float_round_mode_16_64 0
		.amdhsa_float_denorm_mode_32 3
		.amdhsa_float_denorm_mode_16_64 3
		.amdhsa_dx10_clamp 1
		.amdhsa_ieee_mode 1
		.amdhsa_fp16_overflow 0
		.amdhsa_tg_split 0
		.amdhsa_exception_fp_ieee_invalid_op 0
		.amdhsa_exception_fp_denorm_src 0
		.amdhsa_exception_fp_ieee_div_zero 0
		.amdhsa_exception_fp_ieee_overflow 0
		.amdhsa_exception_fp_ieee_underflow 0
		.amdhsa_exception_fp_ieee_inexact 0
		.amdhsa_exception_int_div_zero 0
	.end_amdhsa_kernel
	.section	.text._ZN7rocprim17ROCPRIM_400000_NS6detail17trampoline_kernelINS0_14default_configENS1_27scan_by_key_config_selectorIiiEEZZNS1_16scan_by_key_implILNS1_25lookback_scan_determinismE0ELb0ES3_N6thrust23THRUST_200600_302600_NS10device_ptrIiEESB_SB_iNS9_4plusIvEENS9_8equal_toIvEEiEE10hipError_tPvRmT2_T3_T4_T5_mT6_T7_P12ihipStream_tbENKUlT_T0_E_clISt17integral_constantIbLb1EESV_IbLb0EEEEDaSR_SS_EUlSR_E_NS1_11comp_targetILNS1_3genE10ELNS1_11target_archE1200ELNS1_3gpuE4ELNS1_3repE0EEENS1_30default_config_static_selectorELNS0_4arch9wavefront6targetE1EEEvT1_,"axG",@progbits,_ZN7rocprim17ROCPRIM_400000_NS6detail17trampoline_kernelINS0_14default_configENS1_27scan_by_key_config_selectorIiiEEZZNS1_16scan_by_key_implILNS1_25lookback_scan_determinismE0ELb0ES3_N6thrust23THRUST_200600_302600_NS10device_ptrIiEESB_SB_iNS9_4plusIvEENS9_8equal_toIvEEiEE10hipError_tPvRmT2_T3_T4_T5_mT6_T7_P12ihipStream_tbENKUlT_T0_E_clISt17integral_constantIbLb1EESV_IbLb0EEEEDaSR_SS_EUlSR_E_NS1_11comp_targetILNS1_3genE10ELNS1_11target_archE1200ELNS1_3gpuE4ELNS1_3repE0EEENS1_30default_config_static_selectorELNS0_4arch9wavefront6targetE1EEEvT1_,comdat
.Lfunc_end2221:
	.size	_ZN7rocprim17ROCPRIM_400000_NS6detail17trampoline_kernelINS0_14default_configENS1_27scan_by_key_config_selectorIiiEEZZNS1_16scan_by_key_implILNS1_25lookback_scan_determinismE0ELb0ES3_N6thrust23THRUST_200600_302600_NS10device_ptrIiEESB_SB_iNS9_4plusIvEENS9_8equal_toIvEEiEE10hipError_tPvRmT2_T3_T4_T5_mT6_T7_P12ihipStream_tbENKUlT_T0_E_clISt17integral_constantIbLb1EESV_IbLb0EEEEDaSR_SS_EUlSR_E_NS1_11comp_targetILNS1_3genE10ELNS1_11target_archE1200ELNS1_3gpuE4ELNS1_3repE0EEENS1_30default_config_static_selectorELNS0_4arch9wavefront6targetE1EEEvT1_, .Lfunc_end2221-_ZN7rocprim17ROCPRIM_400000_NS6detail17trampoline_kernelINS0_14default_configENS1_27scan_by_key_config_selectorIiiEEZZNS1_16scan_by_key_implILNS1_25lookback_scan_determinismE0ELb0ES3_N6thrust23THRUST_200600_302600_NS10device_ptrIiEESB_SB_iNS9_4plusIvEENS9_8equal_toIvEEiEE10hipError_tPvRmT2_T3_T4_T5_mT6_T7_P12ihipStream_tbENKUlT_T0_E_clISt17integral_constantIbLb1EESV_IbLb0EEEEDaSR_SS_EUlSR_E_NS1_11comp_targetILNS1_3genE10ELNS1_11target_archE1200ELNS1_3gpuE4ELNS1_3repE0EEENS1_30default_config_static_selectorELNS0_4arch9wavefront6targetE1EEEvT1_
                                        ; -- End function
	.section	.AMDGPU.csdata,"",@progbits
; Kernel info:
; codeLenInByte = 0
; NumSgprs: 6
; NumVgprs: 0
; NumAgprs: 0
; TotalNumVgprs: 0
; ScratchSize: 0
; MemoryBound: 0
; FloatMode: 240
; IeeeMode: 1
; LDSByteSize: 0 bytes/workgroup (compile time only)
; SGPRBlocks: 0
; VGPRBlocks: 0
; NumSGPRsForWavesPerEU: 6
; NumVGPRsForWavesPerEU: 1
; AccumOffset: 4
; Occupancy: 8
; WaveLimiterHint : 0
; COMPUTE_PGM_RSRC2:SCRATCH_EN: 0
; COMPUTE_PGM_RSRC2:USER_SGPR: 2
; COMPUTE_PGM_RSRC2:TRAP_HANDLER: 0
; COMPUTE_PGM_RSRC2:TGID_X_EN: 1
; COMPUTE_PGM_RSRC2:TGID_Y_EN: 0
; COMPUTE_PGM_RSRC2:TGID_Z_EN: 0
; COMPUTE_PGM_RSRC2:TIDIG_COMP_CNT: 0
; COMPUTE_PGM_RSRC3_GFX90A:ACCUM_OFFSET: 0
; COMPUTE_PGM_RSRC3_GFX90A:TG_SPLIT: 0
	.section	.text._ZN7rocprim17ROCPRIM_400000_NS6detail17trampoline_kernelINS0_14default_configENS1_27scan_by_key_config_selectorIiiEEZZNS1_16scan_by_key_implILNS1_25lookback_scan_determinismE0ELb0ES3_N6thrust23THRUST_200600_302600_NS10device_ptrIiEESB_SB_iNS9_4plusIvEENS9_8equal_toIvEEiEE10hipError_tPvRmT2_T3_T4_T5_mT6_T7_P12ihipStream_tbENKUlT_T0_E_clISt17integral_constantIbLb1EESV_IbLb0EEEEDaSR_SS_EUlSR_E_NS1_11comp_targetILNS1_3genE9ELNS1_11target_archE1100ELNS1_3gpuE3ELNS1_3repE0EEENS1_30default_config_static_selectorELNS0_4arch9wavefront6targetE1EEEvT1_,"axG",@progbits,_ZN7rocprim17ROCPRIM_400000_NS6detail17trampoline_kernelINS0_14default_configENS1_27scan_by_key_config_selectorIiiEEZZNS1_16scan_by_key_implILNS1_25lookback_scan_determinismE0ELb0ES3_N6thrust23THRUST_200600_302600_NS10device_ptrIiEESB_SB_iNS9_4plusIvEENS9_8equal_toIvEEiEE10hipError_tPvRmT2_T3_T4_T5_mT6_T7_P12ihipStream_tbENKUlT_T0_E_clISt17integral_constantIbLb1EESV_IbLb0EEEEDaSR_SS_EUlSR_E_NS1_11comp_targetILNS1_3genE9ELNS1_11target_archE1100ELNS1_3gpuE3ELNS1_3repE0EEENS1_30default_config_static_selectorELNS0_4arch9wavefront6targetE1EEEvT1_,comdat
	.protected	_ZN7rocprim17ROCPRIM_400000_NS6detail17trampoline_kernelINS0_14default_configENS1_27scan_by_key_config_selectorIiiEEZZNS1_16scan_by_key_implILNS1_25lookback_scan_determinismE0ELb0ES3_N6thrust23THRUST_200600_302600_NS10device_ptrIiEESB_SB_iNS9_4plusIvEENS9_8equal_toIvEEiEE10hipError_tPvRmT2_T3_T4_T5_mT6_T7_P12ihipStream_tbENKUlT_T0_E_clISt17integral_constantIbLb1EESV_IbLb0EEEEDaSR_SS_EUlSR_E_NS1_11comp_targetILNS1_3genE9ELNS1_11target_archE1100ELNS1_3gpuE3ELNS1_3repE0EEENS1_30default_config_static_selectorELNS0_4arch9wavefront6targetE1EEEvT1_ ; -- Begin function _ZN7rocprim17ROCPRIM_400000_NS6detail17trampoline_kernelINS0_14default_configENS1_27scan_by_key_config_selectorIiiEEZZNS1_16scan_by_key_implILNS1_25lookback_scan_determinismE0ELb0ES3_N6thrust23THRUST_200600_302600_NS10device_ptrIiEESB_SB_iNS9_4plusIvEENS9_8equal_toIvEEiEE10hipError_tPvRmT2_T3_T4_T5_mT6_T7_P12ihipStream_tbENKUlT_T0_E_clISt17integral_constantIbLb1EESV_IbLb0EEEEDaSR_SS_EUlSR_E_NS1_11comp_targetILNS1_3genE9ELNS1_11target_archE1100ELNS1_3gpuE3ELNS1_3repE0EEENS1_30default_config_static_selectorELNS0_4arch9wavefront6targetE1EEEvT1_
	.globl	_ZN7rocprim17ROCPRIM_400000_NS6detail17trampoline_kernelINS0_14default_configENS1_27scan_by_key_config_selectorIiiEEZZNS1_16scan_by_key_implILNS1_25lookback_scan_determinismE0ELb0ES3_N6thrust23THRUST_200600_302600_NS10device_ptrIiEESB_SB_iNS9_4plusIvEENS9_8equal_toIvEEiEE10hipError_tPvRmT2_T3_T4_T5_mT6_T7_P12ihipStream_tbENKUlT_T0_E_clISt17integral_constantIbLb1EESV_IbLb0EEEEDaSR_SS_EUlSR_E_NS1_11comp_targetILNS1_3genE9ELNS1_11target_archE1100ELNS1_3gpuE3ELNS1_3repE0EEENS1_30default_config_static_selectorELNS0_4arch9wavefront6targetE1EEEvT1_
	.p2align	8
	.type	_ZN7rocprim17ROCPRIM_400000_NS6detail17trampoline_kernelINS0_14default_configENS1_27scan_by_key_config_selectorIiiEEZZNS1_16scan_by_key_implILNS1_25lookback_scan_determinismE0ELb0ES3_N6thrust23THRUST_200600_302600_NS10device_ptrIiEESB_SB_iNS9_4plusIvEENS9_8equal_toIvEEiEE10hipError_tPvRmT2_T3_T4_T5_mT6_T7_P12ihipStream_tbENKUlT_T0_E_clISt17integral_constantIbLb1EESV_IbLb0EEEEDaSR_SS_EUlSR_E_NS1_11comp_targetILNS1_3genE9ELNS1_11target_archE1100ELNS1_3gpuE3ELNS1_3repE0EEENS1_30default_config_static_selectorELNS0_4arch9wavefront6targetE1EEEvT1_,@function
_ZN7rocprim17ROCPRIM_400000_NS6detail17trampoline_kernelINS0_14default_configENS1_27scan_by_key_config_selectorIiiEEZZNS1_16scan_by_key_implILNS1_25lookback_scan_determinismE0ELb0ES3_N6thrust23THRUST_200600_302600_NS10device_ptrIiEESB_SB_iNS9_4plusIvEENS9_8equal_toIvEEiEE10hipError_tPvRmT2_T3_T4_T5_mT6_T7_P12ihipStream_tbENKUlT_T0_E_clISt17integral_constantIbLb1EESV_IbLb0EEEEDaSR_SS_EUlSR_E_NS1_11comp_targetILNS1_3genE9ELNS1_11target_archE1100ELNS1_3gpuE3ELNS1_3repE0EEENS1_30default_config_static_selectorELNS0_4arch9wavefront6targetE1EEEvT1_: ; @_ZN7rocprim17ROCPRIM_400000_NS6detail17trampoline_kernelINS0_14default_configENS1_27scan_by_key_config_selectorIiiEEZZNS1_16scan_by_key_implILNS1_25lookback_scan_determinismE0ELb0ES3_N6thrust23THRUST_200600_302600_NS10device_ptrIiEESB_SB_iNS9_4plusIvEENS9_8equal_toIvEEiEE10hipError_tPvRmT2_T3_T4_T5_mT6_T7_P12ihipStream_tbENKUlT_T0_E_clISt17integral_constantIbLb1EESV_IbLb0EEEEDaSR_SS_EUlSR_E_NS1_11comp_targetILNS1_3genE9ELNS1_11target_archE1100ELNS1_3gpuE3ELNS1_3repE0EEENS1_30default_config_static_selectorELNS0_4arch9wavefront6targetE1EEEvT1_
; %bb.0:
	.section	.rodata,"a",@progbits
	.p2align	6, 0x0
	.amdhsa_kernel _ZN7rocprim17ROCPRIM_400000_NS6detail17trampoline_kernelINS0_14default_configENS1_27scan_by_key_config_selectorIiiEEZZNS1_16scan_by_key_implILNS1_25lookback_scan_determinismE0ELb0ES3_N6thrust23THRUST_200600_302600_NS10device_ptrIiEESB_SB_iNS9_4plusIvEENS9_8equal_toIvEEiEE10hipError_tPvRmT2_T3_T4_T5_mT6_T7_P12ihipStream_tbENKUlT_T0_E_clISt17integral_constantIbLb1EESV_IbLb0EEEEDaSR_SS_EUlSR_E_NS1_11comp_targetILNS1_3genE9ELNS1_11target_archE1100ELNS1_3gpuE3ELNS1_3repE0EEENS1_30default_config_static_selectorELNS0_4arch9wavefront6targetE1EEEvT1_
		.amdhsa_group_segment_fixed_size 0
		.amdhsa_private_segment_fixed_size 0
		.amdhsa_kernarg_size 112
		.amdhsa_user_sgpr_count 2
		.amdhsa_user_sgpr_dispatch_ptr 0
		.amdhsa_user_sgpr_queue_ptr 0
		.amdhsa_user_sgpr_kernarg_segment_ptr 1
		.amdhsa_user_sgpr_dispatch_id 0
		.amdhsa_user_sgpr_kernarg_preload_length 0
		.amdhsa_user_sgpr_kernarg_preload_offset 0
		.amdhsa_user_sgpr_private_segment_size 0
		.amdhsa_uses_dynamic_stack 0
		.amdhsa_enable_private_segment 0
		.amdhsa_system_sgpr_workgroup_id_x 1
		.amdhsa_system_sgpr_workgroup_id_y 0
		.amdhsa_system_sgpr_workgroup_id_z 0
		.amdhsa_system_sgpr_workgroup_info 0
		.amdhsa_system_vgpr_workitem_id 0
		.amdhsa_next_free_vgpr 1
		.amdhsa_next_free_sgpr 0
		.amdhsa_accum_offset 4
		.amdhsa_reserve_vcc 0
		.amdhsa_float_round_mode_32 0
		.amdhsa_float_round_mode_16_64 0
		.amdhsa_float_denorm_mode_32 3
		.amdhsa_float_denorm_mode_16_64 3
		.amdhsa_dx10_clamp 1
		.amdhsa_ieee_mode 1
		.amdhsa_fp16_overflow 0
		.amdhsa_tg_split 0
		.amdhsa_exception_fp_ieee_invalid_op 0
		.amdhsa_exception_fp_denorm_src 0
		.amdhsa_exception_fp_ieee_div_zero 0
		.amdhsa_exception_fp_ieee_overflow 0
		.amdhsa_exception_fp_ieee_underflow 0
		.amdhsa_exception_fp_ieee_inexact 0
		.amdhsa_exception_int_div_zero 0
	.end_amdhsa_kernel
	.section	.text._ZN7rocprim17ROCPRIM_400000_NS6detail17trampoline_kernelINS0_14default_configENS1_27scan_by_key_config_selectorIiiEEZZNS1_16scan_by_key_implILNS1_25lookback_scan_determinismE0ELb0ES3_N6thrust23THRUST_200600_302600_NS10device_ptrIiEESB_SB_iNS9_4plusIvEENS9_8equal_toIvEEiEE10hipError_tPvRmT2_T3_T4_T5_mT6_T7_P12ihipStream_tbENKUlT_T0_E_clISt17integral_constantIbLb1EESV_IbLb0EEEEDaSR_SS_EUlSR_E_NS1_11comp_targetILNS1_3genE9ELNS1_11target_archE1100ELNS1_3gpuE3ELNS1_3repE0EEENS1_30default_config_static_selectorELNS0_4arch9wavefront6targetE1EEEvT1_,"axG",@progbits,_ZN7rocprim17ROCPRIM_400000_NS6detail17trampoline_kernelINS0_14default_configENS1_27scan_by_key_config_selectorIiiEEZZNS1_16scan_by_key_implILNS1_25lookback_scan_determinismE0ELb0ES3_N6thrust23THRUST_200600_302600_NS10device_ptrIiEESB_SB_iNS9_4plusIvEENS9_8equal_toIvEEiEE10hipError_tPvRmT2_T3_T4_T5_mT6_T7_P12ihipStream_tbENKUlT_T0_E_clISt17integral_constantIbLb1EESV_IbLb0EEEEDaSR_SS_EUlSR_E_NS1_11comp_targetILNS1_3genE9ELNS1_11target_archE1100ELNS1_3gpuE3ELNS1_3repE0EEENS1_30default_config_static_selectorELNS0_4arch9wavefront6targetE1EEEvT1_,comdat
.Lfunc_end2222:
	.size	_ZN7rocprim17ROCPRIM_400000_NS6detail17trampoline_kernelINS0_14default_configENS1_27scan_by_key_config_selectorIiiEEZZNS1_16scan_by_key_implILNS1_25lookback_scan_determinismE0ELb0ES3_N6thrust23THRUST_200600_302600_NS10device_ptrIiEESB_SB_iNS9_4plusIvEENS9_8equal_toIvEEiEE10hipError_tPvRmT2_T3_T4_T5_mT6_T7_P12ihipStream_tbENKUlT_T0_E_clISt17integral_constantIbLb1EESV_IbLb0EEEEDaSR_SS_EUlSR_E_NS1_11comp_targetILNS1_3genE9ELNS1_11target_archE1100ELNS1_3gpuE3ELNS1_3repE0EEENS1_30default_config_static_selectorELNS0_4arch9wavefront6targetE1EEEvT1_, .Lfunc_end2222-_ZN7rocprim17ROCPRIM_400000_NS6detail17trampoline_kernelINS0_14default_configENS1_27scan_by_key_config_selectorIiiEEZZNS1_16scan_by_key_implILNS1_25lookback_scan_determinismE0ELb0ES3_N6thrust23THRUST_200600_302600_NS10device_ptrIiEESB_SB_iNS9_4plusIvEENS9_8equal_toIvEEiEE10hipError_tPvRmT2_T3_T4_T5_mT6_T7_P12ihipStream_tbENKUlT_T0_E_clISt17integral_constantIbLb1EESV_IbLb0EEEEDaSR_SS_EUlSR_E_NS1_11comp_targetILNS1_3genE9ELNS1_11target_archE1100ELNS1_3gpuE3ELNS1_3repE0EEENS1_30default_config_static_selectorELNS0_4arch9wavefront6targetE1EEEvT1_
                                        ; -- End function
	.section	.AMDGPU.csdata,"",@progbits
; Kernel info:
; codeLenInByte = 0
; NumSgprs: 6
; NumVgprs: 0
; NumAgprs: 0
; TotalNumVgprs: 0
; ScratchSize: 0
; MemoryBound: 0
; FloatMode: 240
; IeeeMode: 1
; LDSByteSize: 0 bytes/workgroup (compile time only)
; SGPRBlocks: 0
; VGPRBlocks: 0
; NumSGPRsForWavesPerEU: 6
; NumVGPRsForWavesPerEU: 1
; AccumOffset: 4
; Occupancy: 8
; WaveLimiterHint : 0
; COMPUTE_PGM_RSRC2:SCRATCH_EN: 0
; COMPUTE_PGM_RSRC2:USER_SGPR: 2
; COMPUTE_PGM_RSRC2:TRAP_HANDLER: 0
; COMPUTE_PGM_RSRC2:TGID_X_EN: 1
; COMPUTE_PGM_RSRC2:TGID_Y_EN: 0
; COMPUTE_PGM_RSRC2:TGID_Z_EN: 0
; COMPUTE_PGM_RSRC2:TIDIG_COMP_CNT: 0
; COMPUTE_PGM_RSRC3_GFX90A:ACCUM_OFFSET: 0
; COMPUTE_PGM_RSRC3_GFX90A:TG_SPLIT: 0
	.section	.text._ZN7rocprim17ROCPRIM_400000_NS6detail17trampoline_kernelINS0_14default_configENS1_27scan_by_key_config_selectorIiiEEZZNS1_16scan_by_key_implILNS1_25lookback_scan_determinismE0ELb0ES3_N6thrust23THRUST_200600_302600_NS10device_ptrIiEESB_SB_iNS9_4plusIvEENS9_8equal_toIvEEiEE10hipError_tPvRmT2_T3_T4_T5_mT6_T7_P12ihipStream_tbENKUlT_T0_E_clISt17integral_constantIbLb1EESV_IbLb0EEEEDaSR_SS_EUlSR_E_NS1_11comp_targetILNS1_3genE8ELNS1_11target_archE1030ELNS1_3gpuE2ELNS1_3repE0EEENS1_30default_config_static_selectorELNS0_4arch9wavefront6targetE1EEEvT1_,"axG",@progbits,_ZN7rocprim17ROCPRIM_400000_NS6detail17trampoline_kernelINS0_14default_configENS1_27scan_by_key_config_selectorIiiEEZZNS1_16scan_by_key_implILNS1_25lookback_scan_determinismE0ELb0ES3_N6thrust23THRUST_200600_302600_NS10device_ptrIiEESB_SB_iNS9_4plusIvEENS9_8equal_toIvEEiEE10hipError_tPvRmT2_T3_T4_T5_mT6_T7_P12ihipStream_tbENKUlT_T0_E_clISt17integral_constantIbLb1EESV_IbLb0EEEEDaSR_SS_EUlSR_E_NS1_11comp_targetILNS1_3genE8ELNS1_11target_archE1030ELNS1_3gpuE2ELNS1_3repE0EEENS1_30default_config_static_selectorELNS0_4arch9wavefront6targetE1EEEvT1_,comdat
	.protected	_ZN7rocprim17ROCPRIM_400000_NS6detail17trampoline_kernelINS0_14default_configENS1_27scan_by_key_config_selectorIiiEEZZNS1_16scan_by_key_implILNS1_25lookback_scan_determinismE0ELb0ES3_N6thrust23THRUST_200600_302600_NS10device_ptrIiEESB_SB_iNS9_4plusIvEENS9_8equal_toIvEEiEE10hipError_tPvRmT2_T3_T4_T5_mT6_T7_P12ihipStream_tbENKUlT_T0_E_clISt17integral_constantIbLb1EESV_IbLb0EEEEDaSR_SS_EUlSR_E_NS1_11comp_targetILNS1_3genE8ELNS1_11target_archE1030ELNS1_3gpuE2ELNS1_3repE0EEENS1_30default_config_static_selectorELNS0_4arch9wavefront6targetE1EEEvT1_ ; -- Begin function _ZN7rocprim17ROCPRIM_400000_NS6detail17trampoline_kernelINS0_14default_configENS1_27scan_by_key_config_selectorIiiEEZZNS1_16scan_by_key_implILNS1_25lookback_scan_determinismE0ELb0ES3_N6thrust23THRUST_200600_302600_NS10device_ptrIiEESB_SB_iNS9_4plusIvEENS9_8equal_toIvEEiEE10hipError_tPvRmT2_T3_T4_T5_mT6_T7_P12ihipStream_tbENKUlT_T0_E_clISt17integral_constantIbLb1EESV_IbLb0EEEEDaSR_SS_EUlSR_E_NS1_11comp_targetILNS1_3genE8ELNS1_11target_archE1030ELNS1_3gpuE2ELNS1_3repE0EEENS1_30default_config_static_selectorELNS0_4arch9wavefront6targetE1EEEvT1_
	.globl	_ZN7rocprim17ROCPRIM_400000_NS6detail17trampoline_kernelINS0_14default_configENS1_27scan_by_key_config_selectorIiiEEZZNS1_16scan_by_key_implILNS1_25lookback_scan_determinismE0ELb0ES3_N6thrust23THRUST_200600_302600_NS10device_ptrIiEESB_SB_iNS9_4plusIvEENS9_8equal_toIvEEiEE10hipError_tPvRmT2_T3_T4_T5_mT6_T7_P12ihipStream_tbENKUlT_T0_E_clISt17integral_constantIbLb1EESV_IbLb0EEEEDaSR_SS_EUlSR_E_NS1_11comp_targetILNS1_3genE8ELNS1_11target_archE1030ELNS1_3gpuE2ELNS1_3repE0EEENS1_30default_config_static_selectorELNS0_4arch9wavefront6targetE1EEEvT1_
	.p2align	8
	.type	_ZN7rocprim17ROCPRIM_400000_NS6detail17trampoline_kernelINS0_14default_configENS1_27scan_by_key_config_selectorIiiEEZZNS1_16scan_by_key_implILNS1_25lookback_scan_determinismE0ELb0ES3_N6thrust23THRUST_200600_302600_NS10device_ptrIiEESB_SB_iNS9_4plusIvEENS9_8equal_toIvEEiEE10hipError_tPvRmT2_T3_T4_T5_mT6_T7_P12ihipStream_tbENKUlT_T0_E_clISt17integral_constantIbLb1EESV_IbLb0EEEEDaSR_SS_EUlSR_E_NS1_11comp_targetILNS1_3genE8ELNS1_11target_archE1030ELNS1_3gpuE2ELNS1_3repE0EEENS1_30default_config_static_selectorELNS0_4arch9wavefront6targetE1EEEvT1_,@function
_ZN7rocprim17ROCPRIM_400000_NS6detail17trampoline_kernelINS0_14default_configENS1_27scan_by_key_config_selectorIiiEEZZNS1_16scan_by_key_implILNS1_25lookback_scan_determinismE0ELb0ES3_N6thrust23THRUST_200600_302600_NS10device_ptrIiEESB_SB_iNS9_4plusIvEENS9_8equal_toIvEEiEE10hipError_tPvRmT2_T3_T4_T5_mT6_T7_P12ihipStream_tbENKUlT_T0_E_clISt17integral_constantIbLb1EESV_IbLb0EEEEDaSR_SS_EUlSR_E_NS1_11comp_targetILNS1_3genE8ELNS1_11target_archE1030ELNS1_3gpuE2ELNS1_3repE0EEENS1_30default_config_static_selectorELNS0_4arch9wavefront6targetE1EEEvT1_: ; @_ZN7rocprim17ROCPRIM_400000_NS6detail17trampoline_kernelINS0_14default_configENS1_27scan_by_key_config_selectorIiiEEZZNS1_16scan_by_key_implILNS1_25lookback_scan_determinismE0ELb0ES3_N6thrust23THRUST_200600_302600_NS10device_ptrIiEESB_SB_iNS9_4plusIvEENS9_8equal_toIvEEiEE10hipError_tPvRmT2_T3_T4_T5_mT6_T7_P12ihipStream_tbENKUlT_T0_E_clISt17integral_constantIbLb1EESV_IbLb0EEEEDaSR_SS_EUlSR_E_NS1_11comp_targetILNS1_3genE8ELNS1_11target_archE1030ELNS1_3gpuE2ELNS1_3repE0EEENS1_30default_config_static_selectorELNS0_4arch9wavefront6targetE1EEEvT1_
; %bb.0:
	.section	.rodata,"a",@progbits
	.p2align	6, 0x0
	.amdhsa_kernel _ZN7rocprim17ROCPRIM_400000_NS6detail17trampoline_kernelINS0_14default_configENS1_27scan_by_key_config_selectorIiiEEZZNS1_16scan_by_key_implILNS1_25lookback_scan_determinismE0ELb0ES3_N6thrust23THRUST_200600_302600_NS10device_ptrIiEESB_SB_iNS9_4plusIvEENS9_8equal_toIvEEiEE10hipError_tPvRmT2_T3_T4_T5_mT6_T7_P12ihipStream_tbENKUlT_T0_E_clISt17integral_constantIbLb1EESV_IbLb0EEEEDaSR_SS_EUlSR_E_NS1_11comp_targetILNS1_3genE8ELNS1_11target_archE1030ELNS1_3gpuE2ELNS1_3repE0EEENS1_30default_config_static_selectorELNS0_4arch9wavefront6targetE1EEEvT1_
		.amdhsa_group_segment_fixed_size 0
		.amdhsa_private_segment_fixed_size 0
		.amdhsa_kernarg_size 112
		.amdhsa_user_sgpr_count 2
		.amdhsa_user_sgpr_dispatch_ptr 0
		.amdhsa_user_sgpr_queue_ptr 0
		.amdhsa_user_sgpr_kernarg_segment_ptr 1
		.amdhsa_user_sgpr_dispatch_id 0
		.amdhsa_user_sgpr_kernarg_preload_length 0
		.amdhsa_user_sgpr_kernarg_preload_offset 0
		.amdhsa_user_sgpr_private_segment_size 0
		.amdhsa_uses_dynamic_stack 0
		.amdhsa_enable_private_segment 0
		.amdhsa_system_sgpr_workgroup_id_x 1
		.amdhsa_system_sgpr_workgroup_id_y 0
		.amdhsa_system_sgpr_workgroup_id_z 0
		.amdhsa_system_sgpr_workgroup_info 0
		.amdhsa_system_vgpr_workitem_id 0
		.amdhsa_next_free_vgpr 1
		.amdhsa_next_free_sgpr 0
		.amdhsa_accum_offset 4
		.amdhsa_reserve_vcc 0
		.amdhsa_float_round_mode_32 0
		.amdhsa_float_round_mode_16_64 0
		.amdhsa_float_denorm_mode_32 3
		.amdhsa_float_denorm_mode_16_64 3
		.amdhsa_dx10_clamp 1
		.amdhsa_ieee_mode 1
		.amdhsa_fp16_overflow 0
		.amdhsa_tg_split 0
		.amdhsa_exception_fp_ieee_invalid_op 0
		.amdhsa_exception_fp_denorm_src 0
		.amdhsa_exception_fp_ieee_div_zero 0
		.amdhsa_exception_fp_ieee_overflow 0
		.amdhsa_exception_fp_ieee_underflow 0
		.amdhsa_exception_fp_ieee_inexact 0
		.amdhsa_exception_int_div_zero 0
	.end_amdhsa_kernel
	.section	.text._ZN7rocprim17ROCPRIM_400000_NS6detail17trampoline_kernelINS0_14default_configENS1_27scan_by_key_config_selectorIiiEEZZNS1_16scan_by_key_implILNS1_25lookback_scan_determinismE0ELb0ES3_N6thrust23THRUST_200600_302600_NS10device_ptrIiEESB_SB_iNS9_4plusIvEENS9_8equal_toIvEEiEE10hipError_tPvRmT2_T3_T4_T5_mT6_T7_P12ihipStream_tbENKUlT_T0_E_clISt17integral_constantIbLb1EESV_IbLb0EEEEDaSR_SS_EUlSR_E_NS1_11comp_targetILNS1_3genE8ELNS1_11target_archE1030ELNS1_3gpuE2ELNS1_3repE0EEENS1_30default_config_static_selectorELNS0_4arch9wavefront6targetE1EEEvT1_,"axG",@progbits,_ZN7rocprim17ROCPRIM_400000_NS6detail17trampoline_kernelINS0_14default_configENS1_27scan_by_key_config_selectorIiiEEZZNS1_16scan_by_key_implILNS1_25lookback_scan_determinismE0ELb0ES3_N6thrust23THRUST_200600_302600_NS10device_ptrIiEESB_SB_iNS9_4plusIvEENS9_8equal_toIvEEiEE10hipError_tPvRmT2_T3_T4_T5_mT6_T7_P12ihipStream_tbENKUlT_T0_E_clISt17integral_constantIbLb1EESV_IbLb0EEEEDaSR_SS_EUlSR_E_NS1_11comp_targetILNS1_3genE8ELNS1_11target_archE1030ELNS1_3gpuE2ELNS1_3repE0EEENS1_30default_config_static_selectorELNS0_4arch9wavefront6targetE1EEEvT1_,comdat
.Lfunc_end2223:
	.size	_ZN7rocprim17ROCPRIM_400000_NS6detail17trampoline_kernelINS0_14default_configENS1_27scan_by_key_config_selectorIiiEEZZNS1_16scan_by_key_implILNS1_25lookback_scan_determinismE0ELb0ES3_N6thrust23THRUST_200600_302600_NS10device_ptrIiEESB_SB_iNS9_4plusIvEENS9_8equal_toIvEEiEE10hipError_tPvRmT2_T3_T4_T5_mT6_T7_P12ihipStream_tbENKUlT_T0_E_clISt17integral_constantIbLb1EESV_IbLb0EEEEDaSR_SS_EUlSR_E_NS1_11comp_targetILNS1_3genE8ELNS1_11target_archE1030ELNS1_3gpuE2ELNS1_3repE0EEENS1_30default_config_static_selectorELNS0_4arch9wavefront6targetE1EEEvT1_, .Lfunc_end2223-_ZN7rocprim17ROCPRIM_400000_NS6detail17trampoline_kernelINS0_14default_configENS1_27scan_by_key_config_selectorIiiEEZZNS1_16scan_by_key_implILNS1_25lookback_scan_determinismE0ELb0ES3_N6thrust23THRUST_200600_302600_NS10device_ptrIiEESB_SB_iNS9_4plusIvEENS9_8equal_toIvEEiEE10hipError_tPvRmT2_T3_T4_T5_mT6_T7_P12ihipStream_tbENKUlT_T0_E_clISt17integral_constantIbLb1EESV_IbLb0EEEEDaSR_SS_EUlSR_E_NS1_11comp_targetILNS1_3genE8ELNS1_11target_archE1030ELNS1_3gpuE2ELNS1_3repE0EEENS1_30default_config_static_selectorELNS0_4arch9wavefront6targetE1EEEvT1_
                                        ; -- End function
	.section	.AMDGPU.csdata,"",@progbits
; Kernel info:
; codeLenInByte = 0
; NumSgprs: 6
; NumVgprs: 0
; NumAgprs: 0
; TotalNumVgprs: 0
; ScratchSize: 0
; MemoryBound: 0
; FloatMode: 240
; IeeeMode: 1
; LDSByteSize: 0 bytes/workgroup (compile time only)
; SGPRBlocks: 0
; VGPRBlocks: 0
; NumSGPRsForWavesPerEU: 6
; NumVGPRsForWavesPerEU: 1
; AccumOffset: 4
; Occupancy: 8
; WaveLimiterHint : 0
; COMPUTE_PGM_RSRC2:SCRATCH_EN: 0
; COMPUTE_PGM_RSRC2:USER_SGPR: 2
; COMPUTE_PGM_RSRC2:TRAP_HANDLER: 0
; COMPUTE_PGM_RSRC2:TGID_X_EN: 1
; COMPUTE_PGM_RSRC2:TGID_Y_EN: 0
; COMPUTE_PGM_RSRC2:TGID_Z_EN: 0
; COMPUTE_PGM_RSRC2:TIDIG_COMP_CNT: 0
; COMPUTE_PGM_RSRC3_GFX90A:ACCUM_OFFSET: 0
; COMPUTE_PGM_RSRC3_GFX90A:TG_SPLIT: 0
	.section	.text._ZN7rocprim17ROCPRIM_400000_NS6detail30init_device_scan_by_key_kernelINS1_19lookback_scan_stateINS0_5tupleIJibEEELb0ELb1EEEN6thrust23THRUST_200600_302600_NS10device_ptrIiEEjNS1_16block_id_wrapperIjLb1EEEEEvT_jjPNSD_10value_typeET0_PNSt15iterator_traitsISG_E10value_typeEmT1_T2_,"axG",@progbits,_ZN7rocprim17ROCPRIM_400000_NS6detail30init_device_scan_by_key_kernelINS1_19lookback_scan_stateINS0_5tupleIJibEEELb0ELb1EEEN6thrust23THRUST_200600_302600_NS10device_ptrIiEEjNS1_16block_id_wrapperIjLb1EEEEEvT_jjPNSD_10value_typeET0_PNSt15iterator_traitsISG_E10value_typeEmT1_T2_,comdat
	.protected	_ZN7rocprim17ROCPRIM_400000_NS6detail30init_device_scan_by_key_kernelINS1_19lookback_scan_stateINS0_5tupleIJibEEELb0ELb1EEEN6thrust23THRUST_200600_302600_NS10device_ptrIiEEjNS1_16block_id_wrapperIjLb1EEEEEvT_jjPNSD_10value_typeET0_PNSt15iterator_traitsISG_E10value_typeEmT1_T2_ ; -- Begin function _ZN7rocprim17ROCPRIM_400000_NS6detail30init_device_scan_by_key_kernelINS1_19lookback_scan_stateINS0_5tupleIJibEEELb0ELb1EEEN6thrust23THRUST_200600_302600_NS10device_ptrIiEEjNS1_16block_id_wrapperIjLb1EEEEEvT_jjPNSD_10value_typeET0_PNSt15iterator_traitsISG_E10value_typeEmT1_T2_
	.globl	_ZN7rocprim17ROCPRIM_400000_NS6detail30init_device_scan_by_key_kernelINS1_19lookback_scan_stateINS0_5tupleIJibEEELb0ELb1EEEN6thrust23THRUST_200600_302600_NS10device_ptrIiEEjNS1_16block_id_wrapperIjLb1EEEEEvT_jjPNSD_10value_typeET0_PNSt15iterator_traitsISG_E10value_typeEmT1_T2_
	.p2align	8
	.type	_ZN7rocprim17ROCPRIM_400000_NS6detail30init_device_scan_by_key_kernelINS1_19lookback_scan_stateINS0_5tupleIJibEEELb0ELb1EEEN6thrust23THRUST_200600_302600_NS10device_ptrIiEEjNS1_16block_id_wrapperIjLb1EEEEEvT_jjPNSD_10value_typeET0_PNSt15iterator_traitsISG_E10value_typeEmT1_T2_,@function
_ZN7rocprim17ROCPRIM_400000_NS6detail30init_device_scan_by_key_kernelINS1_19lookback_scan_stateINS0_5tupleIJibEEELb0ELb1EEEN6thrust23THRUST_200600_302600_NS10device_ptrIiEEjNS1_16block_id_wrapperIjLb1EEEEEvT_jjPNSD_10value_typeET0_PNSt15iterator_traitsISG_E10value_typeEmT1_T2_: ; @_ZN7rocprim17ROCPRIM_400000_NS6detail30init_device_scan_by_key_kernelINS1_19lookback_scan_stateINS0_5tupleIJibEEELb0ELb1EEEN6thrust23THRUST_200600_302600_NS10device_ptrIiEEjNS1_16block_id_wrapperIjLb1EEEEEvT_jjPNSD_10value_typeET0_PNSt15iterator_traitsISG_E10value_typeEmT1_T2_
; %bb.0:
	s_load_dword s3, s[0:1], 0x4c
	s_load_dwordx8 s[4:11], s[0:1], 0x0
	s_load_dword s18, s[0:1], 0x40
	s_waitcnt lgkmcnt(0)
	s_and_b32 s19, s3, 0xffff
	s_mul_i32 s2, s2, s19
	s_cmp_eq_u64 s[8:9], 0
	v_add_u32_e32 v4, s2, v0
	s_cbranch_scc1 .LBB2224_8
; %bb.1:
	s_cmp_lt_u32 s7, s6
	s_cselect_b32 s2, s7, 0
	s_mov_b32 s13, 0
	v_cmp_eq_u32_e32 vcc, s2, v4
	s_and_saveexec_b64 s[2:3], vcc
	s_cbranch_execz .LBB2224_7
; %bb.2:
	s_add_i32 s12, s7, 64
	s_lshl_b64 s[12:13], s[12:13], 4
	s_add_u32 s16, s4, s12
	s_addc_u32 s17, s5, s13
	v_mov_b64_e32 v[0:1], s[16:17]
	;;#ASMSTART
	global_load_dwordx4 v[0:3], v[0:1] off sc1	
s_waitcnt vmcnt(0)
	;;#ASMEND
	v_mov_b32_e32 v7, 0
	v_and_b32_e32 v6, 0xff, v2
	s_mov_b64 s[14:15], 0
	v_cmp_eq_u64_e32 vcc, 0, v[6:7]
	s_and_saveexec_b64 s[12:13], vcc
	s_cbranch_execz .LBB2224_6
; %bb.3:
	v_mov_b64_e32 v[8:9], s[16:17]
.LBB2224_4:                             ; =>This Inner Loop Header: Depth=1
	;;#ASMSTART
	global_load_dwordx4 v[0:3], v[8:9] off sc1	
s_waitcnt vmcnt(0)
	;;#ASMEND
	s_nop 0
	v_and_b32_e32 v6, 0xff, v2
	v_cmp_ne_u64_e32 vcc, 0, v[6:7]
	s_or_b64 s[14:15], vcc, s[14:15]
	s_andn2_b64 exec, exec, s[14:15]
	s_cbranch_execnz .LBB2224_4
; %bb.5:
	s_or_b64 exec, exec, s[14:15]
.LBB2224_6:
	s_or_b64 exec, exec, s[12:13]
	v_mov_b32_e32 v2, 0
	global_store_dword v2, v0, s[8:9]
	global_store_byte v2, v1, s[8:9] offset:4
.LBB2224_7:
	s_or_b64 exec, exec, s[2:3]
.LBB2224_8:
	v_cmp_eq_u32_e32 vcc, 0, v4
	s_and_saveexec_b64 s[2:3], vcc
	s_cbranch_execz .LBB2224_10
; %bb.9:
	s_load_dwordx2 s[8:9], s[0:1], 0x38
	v_mov_b32_e32 v0, 0
	s_waitcnt lgkmcnt(0)
	global_store_dword v0, v0, s[8:9]
.LBB2224_10:
	s_or_b64 exec, exec, s[2:3]
	v_cmp_gt_u32_e32 vcc, s6, v4
	s_and_saveexec_b64 s[2:3], vcc
	s_cbranch_execz .LBB2224_12
; %bb.11:
	v_add_u32_e32 v0, 64, v4
	v_mov_b32_e32 v1, 0
	v_lshl_add_u64 v[6:7], v[0:1], 4, s[4:5]
	v_mov_b32_e32 v0, v1
	v_mov_b32_e32 v2, v1
	;; [unrolled: 1-line block ×3, first 2 shown]
	global_store_dwordx4 v[6:7], v[0:3], off
.LBB2224_12:
	s_or_b64 exec, exec, s[2:3]
	v_cmp_gt_u32_e32 vcc, 64, v4
	v_mov_b32_e32 v5, 0
	s_and_saveexec_b64 s[2:3], vcc
	s_cbranch_execz .LBB2224_14
; %bb.13:
	v_lshl_add_u64 v[6:7], v[4:5], 4, s[4:5]
	v_mov_b32_e32 v2, 0xff
	v_mov_b32_e32 v0, v5
	;; [unrolled: 1-line block ×4, first 2 shown]
	global_store_dwordx4 v[6:7], v[0:3], off
.LBB2224_14:
	s_or_b64 exec, exec, s[2:3]
	s_load_dwordx2 s[2:3], s[0:1], 0x28
	s_waitcnt lgkmcnt(0)
	v_cmp_gt_u64_e32 vcc, s[2:3], v[4:5]
	s_and_saveexec_b64 s[4:5], vcc
	s_cbranch_execz .LBB2224_17
; %bb.15:
	s_load_dword s12, s[0:1], 0x30
	s_load_dwordx2 s[6:7], s[0:1], 0x20
	s_mov_b32 s5, 0
	s_mov_b32 s1, s5
	s_mul_i32 s0, s18, s19
	s_waitcnt lgkmcnt(0)
	s_add_i32 s4, s12, -1
	s_lshl_b64 s[4:5], s[4:5], 2
	s_add_u32 s4, s10, s4
	v_mad_u64_u32 v[0:1], s[8:9], s12, v4, 0
	s_addc_u32 s5, s11, s5
	v_lshl_add_u64 v[0:1], v[0:1], 2, s[4:5]
	s_mul_hi_u32 s5, s12, s0
	s_mul_i32 s4, s12, s0
	s_lshl_b64 s[4:5], s[4:5], 2
	v_lshl_add_u64 v[2:3], v[4:5], 2, s[6:7]
	s_lshl_b64 s[6:7], s[0:1], 2
	s_mov_b64 s[8:9], 0
.LBB2224_16:                            ; =>This Inner Loop Header: Depth=1
	global_load_dword v6, v[0:1], off
	v_lshl_add_u64 v[4:5], v[4:5], 0, s[0:1]
	v_cmp_le_u64_e32 vcc, s[2:3], v[4:5]
	v_lshl_add_u64 v[0:1], v[0:1], 0, s[4:5]
	s_or_b64 s[8:9], vcc, s[8:9]
	s_waitcnt vmcnt(0)
	global_store_dword v[2:3], v6, off
	v_lshl_add_u64 v[2:3], v[2:3], 0, s[6:7]
	s_andn2_b64 exec, exec, s[8:9]
	s_cbranch_execnz .LBB2224_16
.LBB2224_17:
	s_endpgm
	.section	.rodata,"a",@progbits
	.p2align	6, 0x0
	.amdhsa_kernel _ZN7rocprim17ROCPRIM_400000_NS6detail30init_device_scan_by_key_kernelINS1_19lookback_scan_stateINS0_5tupleIJibEEELb0ELb1EEEN6thrust23THRUST_200600_302600_NS10device_ptrIiEEjNS1_16block_id_wrapperIjLb1EEEEEvT_jjPNSD_10value_typeET0_PNSt15iterator_traitsISG_E10value_typeEmT1_T2_
		.amdhsa_group_segment_fixed_size 0
		.amdhsa_private_segment_fixed_size 0
		.amdhsa_kernarg_size 320
		.amdhsa_user_sgpr_count 2
		.amdhsa_user_sgpr_dispatch_ptr 0
		.amdhsa_user_sgpr_queue_ptr 0
		.amdhsa_user_sgpr_kernarg_segment_ptr 1
		.amdhsa_user_sgpr_dispatch_id 0
		.amdhsa_user_sgpr_kernarg_preload_length 0
		.amdhsa_user_sgpr_kernarg_preload_offset 0
		.amdhsa_user_sgpr_private_segment_size 0
		.amdhsa_uses_dynamic_stack 0
		.amdhsa_enable_private_segment 0
		.amdhsa_system_sgpr_workgroup_id_x 1
		.amdhsa_system_sgpr_workgroup_id_y 0
		.amdhsa_system_sgpr_workgroup_id_z 0
		.amdhsa_system_sgpr_workgroup_info 0
		.amdhsa_system_vgpr_workitem_id 0
		.amdhsa_next_free_vgpr 10
		.amdhsa_next_free_sgpr 20
		.amdhsa_accum_offset 12
		.amdhsa_reserve_vcc 1
		.amdhsa_float_round_mode_32 0
		.amdhsa_float_round_mode_16_64 0
		.amdhsa_float_denorm_mode_32 3
		.amdhsa_float_denorm_mode_16_64 3
		.amdhsa_dx10_clamp 1
		.amdhsa_ieee_mode 1
		.amdhsa_fp16_overflow 0
		.amdhsa_tg_split 0
		.amdhsa_exception_fp_ieee_invalid_op 0
		.amdhsa_exception_fp_denorm_src 0
		.amdhsa_exception_fp_ieee_div_zero 0
		.amdhsa_exception_fp_ieee_overflow 0
		.amdhsa_exception_fp_ieee_underflow 0
		.amdhsa_exception_fp_ieee_inexact 0
		.amdhsa_exception_int_div_zero 0
	.end_amdhsa_kernel
	.section	.text._ZN7rocprim17ROCPRIM_400000_NS6detail30init_device_scan_by_key_kernelINS1_19lookback_scan_stateINS0_5tupleIJibEEELb0ELb1EEEN6thrust23THRUST_200600_302600_NS10device_ptrIiEEjNS1_16block_id_wrapperIjLb1EEEEEvT_jjPNSD_10value_typeET0_PNSt15iterator_traitsISG_E10value_typeEmT1_T2_,"axG",@progbits,_ZN7rocprim17ROCPRIM_400000_NS6detail30init_device_scan_by_key_kernelINS1_19lookback_scan_stateINS0_5tupleIJibEEELb0ELb1EEEN6thrust23THRUST_200600_302600_NS10device_ptrIiEEjNS1_16block_id_wrapperIjLb1EEEEEvT_jjPNSD_10value_typeET0_PNSt15iterator_traitsISG_E10value_typeEmT1_T2_,comdat
.Lfunc_end2224:
	.size	_ZN7rocprim17ROCPRIM_400000_NS6detail30init_device_scan_by_key_kernelINS1_19lookback_scan_stateINS0_5tupleIJibEEELb0ELb1EEEN6thrust23THRUST_200600_302600_NS10device_ptrIiEEjNS1_16block_id_wrapperIjLb1EEEEEvT_jjPNSD_10value_typeET0_PNSt15iterator_traitsISG_E10value_typeEmT1_T2_, .Lfunc_end2224-_ZN7rocprim17ROCPRIM_400000_NS6detail30init_device_scan_by_key_kernelINS1_19lookback_scan_stateINS0_5tupleIJibEEELb0ELb1EEEN6thrust23THRUST_200600_302600_NS10device_ptrIiEEjNS1_16block_id_wrapperIjLb1EEEEEvT_jjPNSD_10value_typeET0_PNSt15iterator_traitsISG_E10value_typeEmT1_T2_
                                        ; -- End function
	.section	.AMDGPU.csdata,"",@progbits
; Kernel info:
; codeLenInByte = 548
; NumSgprs: 26
; NumVgprs: 10
; NumAgprs: 0
; TotalNumVgprs: 10
; ScratchSize: 0
; MemoryBound: 0
; FloatMode: 240
; IeeeMode: 1
; LDSByteSize: 0 bytes/workgroup (compile time only)
; SGPRBlocks: 3
; VGPRBlocks: 1
; NumSGPRsForWavesPerEU: 26
; NumVGPRsForWavesPerEU: 10
; AccumOffset: 12
; Occupancy: 8
; WaveLimiterHint : 0
; COMPUTE_PGM_RSRC2:SCRATCH_EN: 0
; COMPUTE_PGM_RSRC2:USER_SGPR: 2
; COMPUTE_PGM_RSRC2:TRAP_HANDLER: 0
; COMPUTE_PGM_RSRC2:TGID_X_EN: 1
; COMPUTE_PGM_RSRC2:TGID_Y_EN: 0
; COMPUTE_PGM_RSRC2:TGID_Z_EN: 0
; COMPUTE_PGM_RSRC2:TIDIG_COMP_CNT: 0
; COMPUTE_PGM_RSRC3_GFX90A:ACCUM_OFFSET: 2
; COMPUTE_PGM_RSRC3_GFX90A:TG_SPLIT: 0
	.section	.text._ZN7rocprim17ROCPRIM_400000_NS6detail17trampoline_kernelINS0_14default_configENS1_27scan_by_key_config_selectorIiiEEZZNS1_16scan_by_key_implILNS1_25lookback_scan_determinismE0ELb0ES3_N6thrust23THRUST_200600_302600_NS10device_ptrIiEESB_SB_iNS9_4plusIvEENS9_8equal_toIvEEiEE10hipError_tPvRmT2_T3_T4_T5_mT6_T7_P12ihipStream_tbENKUlT_T0_E_clISt17integral_constantIbLb0EESV_IbLb1EEEEDaSR_SS_EUlSR_E_NS1_11comp_targetILNS1_3genE0ELNS1_11target_archE4294967295ELNS1_3gpuE0ELNS1_3repE0EEENS1_30default_config_static_selectorELNS0_4arch9wavefront6targetE1EEEvT1_,"axG",@progbits,_ZN7rocprim17ROCPRIM_400000_NS6detail17trampoline_kernelINS0_14default_configENS1_27scan_by_key_config_selectorIiiEEZZNS1_16scan_by_key_implILNS1_25lookback_scan_determinismE0ELb0ES3_N6thrust23THRUST_200600_302600_NS10device_ptrIiEESB_SB_iNS9_4plusIvEENS9_8equal_toIvEEiEE10hipError_tPvRmT2_T3_T4_T5_mT6_T7_P12ihipStream_tbENKUlT_T0_E_clISt17integral_constantIbLb0EESV_IbLb1EEEEDaSR_SS_EUlSR_E_NS1_11comp_targetILNS1_3genE0ELNS1_11target_archE4294967295ELNS1_3gpuE0ELNS1_3repE0EEENS1_30default_config_static_selectorELNS0_4arch9wavefront6targetE1EEEvT1_,comdat
	.protected	_ZN7rocprim17ROCPRIM_400000_NS6detail17trampoline_kernelINS0_14default_configENS1_27scan_by_key_config_selectorIiiEEZZNS1_16scan_by_key_implILNS1_25lookback_scan_determinismE0ELb0ES3_N6thrust23THRUST_200600_302600_NS10device_ptrIiEESB_SB_iNS9_4plusIvEENS9_8equal_toIvEEiEE10hipError_tPvRmT2_T3_T4_T5_mT6_T7_P12ihipStream_tbENKUlT_T0_E_clISt17integral_constantIbLb0EESV_IbLb1EEEEDaSR_SS_EUlSR_E_NS1_11comp_targetILNS1_3genE0ELNS1_11target_archE4294967295ELNS1_3gpuE0ELNS1_3repE0EEENS1_30default_config_static_selectorELNS0_4arch9wavefront6targetE1EEEvT1_ ; -- Begin function _ZN7rocprim17ROCPRIM_400000_NS6detail17trampoline_kernelINS0_14default_configENS1_27scan_by_key_config_selectorIiiEEZZNS1_16scan_by_key_implILNS1_25lookback_scan_determinismE0ELb0ES3_N6thrust23THRUST_200600_302600_NS10device_ptrIiEESB_SB_iNS9_4plusIvEENS9_8equal_toIvEEiEE10hipError_tPvRmT2_T3_T4_T5_mT6_T7_P12ihipStream_tbENKUlT_T0_E_clISt17integral_constantIbLb0EESV_IbLb1EEEEDaSR_SS_EUlSR_E_NS1_11comp_targetILNS1_3genE0ELNS1_11target_archE4294967295ELNS1_3gpuE0ELNS1_3repE0EEENS1_30default_config_static_selectorELNS0_4arch9wavefront6targetE1EEEvT1_
	.globl	_ZN7rocprim17ROCPRIM_400000_NS6detail17trampoline_kernelINS0_14default_configENS1_27scan_by_key_config_selectorIiiEEZZNS1_16scan_by_key_implILNS1_25lookback_scan_determinismE0ELb0ES3_N6thrust23THRUST_200600_302600_NS10device_ptrIiEESB_SB_iNS9_4plusIvEENS9_8equal_toIvEEiEE10hipError_tPvRmT2_T3_T4_T5_mT6_T7_P12ihipStream_tbENKUlT_T0_E_clISt17integral_constantIbLb0EESV_IbLb1EEEEDaSR_SS_EUlSR_E_NS1_11comp_targetILNS1_3genE0ELNS1_11target_archE4294967295ELNS1_3gpuE0ELNS1_3repE0EEENS1_30default_config_static_selectorELNS0_4arch9wavefront6targetE1EEEvT1_
	.p2align	8
	.type	_ZN7rocprim17ROCPRIM_400000_NS6detail17trampoline_kernelINS0_14default_configENS1_27scan_by_key_config_selectorIiiEEZZNS1_16scan_by_key_implILNS1_25lookback_scan_determinismE0ELb0ES3_N6thrust23THRUST_200600_302600_NS10device_ptrIiEESB_SB_iNS9_4plusIvEENS9_8equal_toIvEEiEE10hipError_tPvRmT2_T3_T4_T5_mT6_T7_P12ihipStream_tbENKUlT_T0_E_clISt17integral_constantIbLb0EESV_IbLb1EEEEDaSR_SS_EUlSR_E_NS1_11comp_targetILNS1_3genE0ELNS1_11target_archE4294967295ELNS1_3gpuE0ELNS1_3repE0EEENS1_30default_config_static_selectorELNS0_4arch9wavefront6targetE1EEEvT1_,@function
_ZN7rocprim17ROCPRIM_400000_NS6detail17trampoline_kernelINS0_14default_configENS1_27scan_by_key_config_selectorIiiEEZZNS1_16scan_by_key_implILNS1_25lookback_scan_determinismE0ELb0ES3_N6thrust23THRUST_200600_302600_NS10device_ptrIiEESB_SB_iNS9_4plusIvEENS9_8equal_toIvEEiEE10hipError_tPvRmT2_T3_T4_T5_mT6_T7_P12ihipStream_tbENKUlT_T0_E_clISt17integral_constantIbLb0EESV_IbLb1EEEEDaSR_SS_EUlSR_E_NS1_11comp_targetILNS1_3genE0ELNS1_11target_archE4294967295ELNS1_3gpuE0ELNS1_3repE0EEENS1_30default_config_static_selectorELNS0_4arch9wavefront6targetE1EEEvT1_: ; @_ZN7rocprim17ROCPRIM_400000_NS6detail17trampoline_kernelINS0_14default_configENS1_27scan_by_key_config_selectorIiiEEZZNS1_16scan_by_key_implILNS1_25lookback_scan_determinismE0ELb0ES3_N6thrust23THRUST_200600_302600_NS10device_ptrIiEESB_SB_iNS9_4plusIvEENS9_8equal_toIvEEiEE10hipError_tPvRmT2_T3_T4_T5_mT6_T7_P12ihipStream_tbENKUlT_T0_E_clISt17integral_constantIbLb0EESV_IbLb1EEEEDaSR_SS_EUlSR_E_NS1_11comp_targetILNS1_3genE0ELNS1_11target_archE4294967295ELNS1_3gpuE0ELNS1_3repE0EEENS1_30default_config_static_selectorELNS0_4arch9wavefront6targetE1EEEvT1_
; %bb.0:
	.section	.rodata,"a",@progbits
	.p2align	6, 0x0
	.amdhsa_kernel _ZN7rocprim17ROCPRIM_400000_NS6detail17trampoline_kernelINS0_14default_configENS1_27scan_by_key_config_selectorIiiEEZZNS1_16scan_by_key_implILNS1_25lookback_scan_determinismE0ELb0ES3_N6thrust23THRUST_200600_302600_NS10device_ptrIiEESB_SB_iNS9_4plusIvEENS9_8equal_toIvEEiEE10hipError_tPvRmT2_T3_T4_T5_mT6_T7_P12ihipStream_tbENKUlT_T0_E_clISt17integral_constantIbLb0EESV_IbLb1EEEEDaSR_SS_EUlSR_E_NS1_11comp_targetILNS1_3genE0ELNS1_11target_archE4294967295ELNS1_3gpuE0ELNS1_3repE0EEENS1_30default_config_static_selectorELNS0_4arch9wavefront6targetE1EEEvT1_
		.amdhsa_group_segment_fixed_size 0
		.amdhsa_private_segment_fixed_size 0
		.amdhsa_kernarg_size 112
		.amdhsa_user_sgpr_count 2
		.amdhsa_user_sgpr_dispatch_ptr 0
		.amdhsa_user_sgpr_queue_ptr 0
		.amdhsa_user_sgpr_kernarg_segment_ptr 1
		.amdhsa_user_sgpr_dispatch_id 0
		.amdhsa_user_sgpr_kernarg_preload_length 0
		.amdhsa_user_sgpr_kernarg_preload_offset 0
		.amdhsa_user_sgpr_private_segment_size 0
		.amdhsa_uses_dynamic_stack 0
		.amdhsa_enable_private_segment 0
		.amdhsa_system_sgpr_workgroup_id_x 1
		.amdhsa_system_sgpr_workgroup_id_y 0
		.amdhsa_system_sgpr_workgroup_id_z 0
		.amdhsa_system_sgpr_workgroup_info 0
		.amdhsa_system_vgpr_workitem_id 0
		.amdhsa_next_free_vgpr 1
		.amdhsa_next_free_sgpr 0
		.amdhsa_accum_offset 4
		.amdhsa_reserve_vcc 0
		.amdhsa_float_round_mode_32 0
		.amdhsa_float_round_mode_16_64 0
		.amdhsa_float_denorm_mode_32 3
		.amdhsa_float_denorm_mode_16_64 3
		.amdhsa_dx10_clamp 1
		.amdhsa_ieee_mode 1
		.amdhsa_fp16_overflow 0
		.amdhsa_tg_split 0
		.amdhsa_exception_fp_ieee_invalid_op 0
		.amdhsa_exception_fp_denorm_src 0
		.amdhsa_exception_fp_ieee_div_zero 0
		.amdhsa_exception_fp_ieee_overflow 0
		.amdhsa_exception_fp_ieee_underflow 0
		.amdhsa_exception_fp_ieee_inexact 0
		.amdhsa_exception_int_div_zero 0
	.end_amdhsa_kernel
	.section	.text._ZN7rocprim17ROCPRIM_400000_NS6detail17trampoline_kernelINS0_14default_configENS1_27scan_by_key_config_selectorIiiEEZZNS1_16scan_by_key_implILNS1_25lookback_scan_determinismE0ELb0ES3_N6thrust23THRUST_200600_302600_NS10device_ptrIiEESB_SB_iNS9_4plusIvEENS9_8equal_toIvEEiEE10hipError_tPvRmT2_T3_T4_T5_mT6_T7_P12ihipStream_tbENKUlT_T0_E_clISt17integral_constantIbLb0EESV_IbLb1EEEEDaSR_SS_EUlSR_E_NS1_11comp_targetILNS1_3genE0ELNS1_11target_archE4294967295ELNS1_3gpuE0ELNS1_3repE0EEENS1_30default_config_static_selectorELNS0_4arch9wavefront6targetE1EEEvT1_,"axG",@progbits,_ZN7rocprim17ROCPRIM_400000_NS6detail17trampoline_kernelINS0_14default_configENS1_27scan_by_key_config_selectorIiiEEZZNS1_16scan_by_key_implILNS1_25lookback_scan_determinismE0ELb0ES3_N6thrust23THRUST_200600_302600_NS10device_ptrIiEESB_SB_iNS9_4plusIvEENS9_8equal_toIvEEiEE10hipError_tPvRmT2_T3_T4_T5_mT6_T7_P12ihipStream_tbENKUlT_T0_E_clISt17integral_constantIbLb0EESV_IbLb1EEEEDaSR_SS_EUlSR_E_NS1_11comp_targetILNS1_3genE0ELNS1_11target_archE4294967295ELNS1_3gpuE0ELNS1_3repE0EEENS1_30default_config_static_selectorELNS0_4arch9wavefront6targetE1EEEvT1_,comdat
.Lfunc_end2225:
	.size	_ZN7rocprim17ROCPRIM_400000_NS6detail17trampoline_kernelINS0_14default_configENS1_27scan_by_key_config_selectorIiiEEZZNS1_16scan_by_key_implILNS1_25lookback_scan_determinismE0ELb0ES3_N6thrust23THRUST_200600_302600_NS10device_ptrIiEESB_SB_iNS9_4plusIvEENS9_8equal_toIvEEiEE10hipError_tPvRmT2_T3_T4_T5_mT6_T7_P12ihipStream_tbENKUlT_T0_E_clISt17integral_constantIbLb0EESV_IbLb1EEEEDaSR_SS_EUlSR_E_NS1_11comp_targetILNS1_3genE0ELNS1_11target_archE4294967295ELNS1_3gpuE0ELNS1_3repE0EEENS1_30default_config_static_selectorELNS0_4arch9wavefront6targetE1EEEvT1_, .Lfunc_end2225-_ZN7rocprim17ROCPRIM_400000_NS6detail17trampoline_kernelINS0_14default_configENS1_27scan_by_key_config_selectorIiiEEZZNS1_16scan_by_key_implILNS1_25lookback_scan_determinismE0ELb0ES3_N6thrust23THRUST_200600_302600_NS10device_ptrIiEESB_SB_iNS9_4plusIvEENS9_8equal_toIvEEiEE10hipError_tPvRmT2_T3_T4_T5_mT6_T7_P12ihipStream_tbENKUlT_T0_E_clISt17integral_constantIbLb0EESV_IbLb1EEEEDaSR_SS_EUlSR_E_NS1_11comp_targetILNS1_3genE0ELNS1_11target_archE4294967295ELNS1_3gpuE0ELNS1_3repE0EEENS1_30default_config_static_selectorELNS0_4arch9wavefront6targetE1EEEvT1_
                                        ; -- End function
	.section	.AMDGPU.csdata,"",@progbits
; Kernel info:
; codeLenInByte = 0
; NumSgprs: 6
; NumVgprs: 0
; NumAgprs: 0
; TotalNumVgprs: 0
; ScratchSize: 0
; MemoryBound: 0
; FloatMode: 240
; IeeeMode: 1
; LDSByteSize: 0 bytes/workgroup (compile time only)
; SGPRBlocks: 0
; VGPRBlocks: 0
; NumSGPRsForWavesPerEU: 6
; NumVGPRsForWavesPerEU: 1
; AccumOffset: 4
; Occupancy: 8
; WaveLimiterHint : 0
; COMPUTE_PGM_RSRC2:SCRATCH_EN: 0
; COMPUTE_PGM_RSRC2:USER_SGPR: 2
; COMPUTE_PGM_RSRC2:TRAP_HANDLER: 0
; COMPUTE_PGM_RSRC2:TGID_X_EN: 1
; COMPUTE_PGM_RSRC2:TGID_Y_EN: 0
; COMPUTE_PGM_RSRC2:TGID_Z_EN: 0
; COMPUTE_PGM_RSRC2:TIDIG_COMP_CNT: 0
; COMPUTE_PGM_RSRC3_GFX90A:ACCUM_OFFSET: 0
; COMPUTE_PGM_RSRC3_GFX90A:TG_SPLIT: 0
	.section	.text._ZN7rocprim17ROCPRIM_400000_NS6detail17trampoline_kernelINS0_14default_configENS1_27scan_by_key_config_selectorIiiEEZZNS1_16scan_by_key_implILNS1_25lookback_scan_determinismE0ELb0ES3_N6thrust23THRUST_200600_302600_NS10device_ptrIiEESB_SB_iNS9_4plusIvEENS9_8equal_toIvEEiEE10hipError_tPvRmT2_T3_T4_T5_mT6_T7_P12ihipStream_tbENKUlT_T0_E_clISt17integral_constantIbLb0EESV_IbLb1EEEEDaSR_SS_EUlSR_E_NS1_11comp_targetILNS1_3genE10ELNS1_11target_archE1201ELNS1_3gpuE5ELNS1_3repE0EEENS1_30default_config_static_selectorELNS0_4arch9wavefront6targetE1EEEvT1_,"axG",@progbits,_ZN7rocprim17ROCPRIM_400000_NS6detail17trampoline_kernelINS0_14default_configENS1_27scan_by_key_config_selectorIiiEEZZNS1_16scan_by_key_implILNS1_25lookback_scan_determinismE0ELb0ES3_N6thrust23THRUST_200600_302600_NS10device_ptrIiEESB_SB_iNS9_4plusIvEENS9_8equal_toIvEEiEE10hipError_tPvRmT2_T3_T4_T5_mT6_T7_P12ihipStream_tbENKUlT_T0_E_clISt17integral_constantIbLb0EESV_IbLb1EEEEDaSR_SS_EUlSR_E_NS1_11comp_targetILNS1_3genE10ELNS1_11target_archE1201ELNS1_3gpuE5ELNS1_3repE0EEENS1_30default_config_static_selectorELNS0_4arch9wavefront6targetE1EEEvT1_,comdat
	.protected	_ZN7rocprim17ROCPRIM_400000_NS6detail17trampoline_kernelINS0_14default_configENS1_27scan_by_key_config_selectorIiiEEZZNS1_16scan_by_key_implILNS1_25lookback_scan_determinismE0ELb0ES3_N6thrust23THRUST_200600_302600_NS10device_ptrIiEESB_SB_iNS9_4plusIvEENS9_8equal_toIvEEiEE10hipError_tPvRmT2_T3_T4_T5_mT6_T7_P12ihipStream_tbENKUlT_T0_E_clISt17integral_constantIbLb0EESV_IbLb1EEEEDaSR_SS_EUlSR_E_NS1_11comp_targetILNS1_3genE10ELNS1_11target_archE1201ELNS1_3gpuE5ELNS1_3repE0EEENS1_30default_config_static_selectorELNS0_4arch9wavefront6targetE1EEEvT1_ ; -- Begin function _ZN7rocprim17ROCPRIM_400000_NS6detail17trampoline_kernelINS0_14default_configENS1_27scan_by_key_config_selectorIiiEEZZNS1_16scan_by_key_implILNS1_25lookback_scan_determinismE0ELb0ES3_N6thrust23THRUST_200600_302600_NS10device_ptrIiEESB_SB_iNS9_4plusIvEENS9_8equal_toIvEEiEE10hipError_tPvRmT2_T3_T4_T5_mT6_T7_P12ihipStream_tbENKUlT_T0_E_clISt17integral_constantIbLb0EESV_IbLb1EEEEDaSR_SS_EUlSR_E_NS1_11comp_targetILNS1_3genE10ELNS1_11target_archE1201ELNS1_3gpuE5ELNS1_3repE0EEENS1_30default_config_static_selectorELNS0_4arch9wavefront6targetE1EEEvT1_
	.globl	_ZN7rocprim17ROCPRIM_400000_NS6detail17trampoline_kernelINS0_14default_configENS1_27scan_by_key_config_selectorIiiEEZZNS1_16scan_by_key_implILNS1_25lookback_scan_determinismE0ELb0ES3_N6thrust23THRUST_200600_302600_NS10device_ptrIiEESB_SB_iNS9_4plusIvEENS9_8equal_toIvEEiEE10hipError_tPvRmT2_T3_T4_T5_mT6_T7_P12ihipStream_tbENKUlT_T0_E_clISt17integral_constantIbLb0EESV_IbLb1EEEEDaSR_SS_EUlSR_E_NS1_11comp_targetILNS1_3genE10ELNS1_11target_archE1201ELNS1_3gpuE5ELNS1_3repE0EEENS1_30default_config_static_selectorELNS0_4arch9wavefront6targetE1EEEvT1_
	.p2align	8
	.type	_ZN7rocprim17ROCPRIM_400000_NS6detail17trampoline_kernelINS0_14default_configENS1_27scan_by_key_config_selectorIiiEEZZNS1_16scan_by_key_implILNS1_25lookback_scan_determinismE0ELb0ES3_N6thrust23THRUST_200600_302600_NS10device_ptrIiEESB_SB_iNS9_4plusIvEENS9_8equal_toIvEEiEE10hipError_tPvRmT2_T3_T4_T5_mT6_T7_P12ihipStream_tbENKUlT_T0_E_clISt17integral_constantIbLb0EESV_IbLb1EEEEDaSR_SS_EUlSR_E_NS1_11comp_targetILNS1_3genE10ELNS1_11target_archE1201ELNS1_3gpuE5ELNS1_3repE0EEENS1_30default_config_static_selectorELNS0_4arch9wavefront6targetE1EEEvT1_,@function
_ZN7rocprim17ROCPRIM_400000_NS6detail17trampoline_kernelINS0_14default_configENS1_27scan_by_key_config_selectorIiiEEZZNS1_16scan_by_key_implILNS1_25lookback_scan_determinismE0ELb0ES3_N6thrust23THRUST_200600_302600_NS10device_ptrIiEESB_SB_iNS9_4plusIvEENS9_8equal_toIvEEiEE10hipError_tPvRmT2_T3_T4_T5_mT6_T7_P12ihipStream_tbENKUlT_T0_E_clISt17integral_constantIbLb0EESV_IbLb1EEEEDaSR_SS_EUlSR_E_NS1_11comp_targetILNS1_3genE10ELNS1_11target_archE1201ELNS1_3gpuE5ELNS1_3repE0EEENS1_30default_config_static_selectorELNS0_4arch9wavefront6targetE1EEEvT1_: ; @_ZN7rocprim17ROCPRIM_400000_NS6detail17trampoline_kernelINS0_14default_configENS1_27scan_by_key_config_selectorIiiEEZZNS1_16scan_by_key_implILNS1_25lookback_scan_determinismE0ELb0ES3_N6thrust23THRUST_200600_302600_NS10device_ptrIiEESB_SB_iNS9_4plusIvEENS9_8equal_toIvEEiEE10hipError_tPvRmT2_T3_T4_T5_mT6_T7_P12ihipStream_tbENKUlT_T0_E_clISt17integral_constantIbLb0EESV_IbLb1EEEEDaSR_SS_EUlSR_E_NS1_11comp_targetILNS1_3genE10ELNS1_11target_archE1201ELNS1_3gpuE5ELNS1_3repE0EEENS1_30default_config_static_selectorELNS0_4arch9wavefront6targetE1EEEvT1_
; %bb.0:
	.section	.rodata,"a",@progbits
	.p2align	6, 0x0
	.amdhsa_kernel _ZN7rocprim17ROCPRIM_400000_NS6detail17trampoline_kernelINS0_14default_configENS1_27scan_by_key_config_selectorIiiEEZZNS1_16scan_by_key_implILNS1_25lookback_scan_determinismE0ELb0ES3_N6thrust23THRUST_200600_302600_NS10device_ptrIiEESB_SB_iNS9_4plusIvEENS9_8equal_toIvEEiEE10hipError_tPvRmT2_T3_T4_T5_mT6_T7_P12ihipStream_tbENKUlT_T0_E_clISt17integral_constantIbLb0EESV_IbLb1EEEEDaSR_SS_EUlSR_E_NS1_11comp_targetILNS1_3genE10ELNS1_11target_archE1201ELNS1_3gpuE5ELNS1_3repE0EEENS1_30default_config_static_selectorELNS0_4arch9wavefront6targetE1EEEvT1_
		.amdhsa_group_segment_fixed_size 0
		.amdhsa_private_segment_fixed_size 0
		.amdhsa_kernarg_size 112
		.amdhsa_user_sgpr_count 2
		.amdhsa_user_sgpr_dispatch_ptr 0
		.amdhsa_user_sgpr_queue_ptr 0
		.amdhsa_user_sgpr_kernarg_segment_ptr 1
		.amdhsa_user_sgpr_dispatch_id 0
		.amdhsa_user_sgpr_kernarg_preload_length 0
		.amdhsa_user_sgpr_kernarg_preload_offset 0
		.amdhsa_user_sgpr_private_segment_size 0
		.amdhsa_uses_dynamic_stack 0
		.amdhsa_enable_private_segment 0
		.amdhsa_system_sgpr_workgroup_id_x 1
		.amdhsa_system_sgpr_workgroup_id_y 0
		.amdhsa_system_sgpr_workgroup_id_z 0
		.amdhsa_system_sgpr_workgroup_info 0
		.amdhsa_system_vgpr_workitem_id 0
		.amdhsa_next_free_vgpr 1
		.amdhsa_next_free_sgpr 0
		.amdhsa_accum_offset 4
		.amdhsa_reserve_vcc 0
		.amdhsa_float_round_mode_32 0
		.amdhsa_float_round_mode_16_64 0
		.amdhsa_float_denorm_mode_32 3
		.amdhsa_float_denorm_mode_16_64 3
		.amdhsa_dx10_clamp 1
		.amdhsa_ieee_mode 1
		.amdhsa_fp16_overflow 0
		.amdhsa_tg_split 0
		.amdhsa_exception_fp_ieee_invalid_op 0
		.amdhsa_exception_fp_denorm_src 0
		.amdhsa_exception_fp_ieee_div_zero 0
		.amdhsa_exception_fp_ieee_overflow 0
		.amdhsa_exception_fp_ieee_underflow 0
		.amdhsa_exception_fp_ieee_inexact 0
		.amdhsa_exception_int_div_zero 0
	.end_amdhsa_kernel
	.section	.text._ZN7rocprim17ROCPRIM_400000_NS6detail17trampoline_kernelINS0_14default_configENS1_27scan_by_key_config_selectorIiiEEZZNS1_16scan_by_key_implILNS1_25lookback_scan_determinismE0ELb0ES3_N6thrust23THRUST_200600_302600_NS10device_ptrIiEESB_SB_iNS9_4plusIvEENS9_8equal_toIvEEiEE10hipError_tPvRmT2_T3_T4_T5_mT6_T7_P12ihipStream_tbENKUlT_T0_E_clISt17integral_constantIbLb0EESV_IbLb1EEEEDaSR_SS_EUlSR_E_NS1_11comp_targetILNS1_3genE10ELNS1_11target_archE1201ELNS1_3gpuE5ELNS1_3repE0EEENS1_30default_config_static_selectorELNS0_4arch9wavefront6targetE1EEEvT1_,"axG",@progbits,_ZN7rocprim17ROCPRIM_400000_NS6detail17trampoline_kernelINS0_14default_configENS1_27scan_by_key_config_selectorIiiEEZZNS1_16scan_by_key_implILNS1_25lookback_scan_determinismE0ELb0ES3_N6thrust23THRUST_200600_302600_NS10device_ptrIiEESB_SB_iNS9_4plusIvEENS9_8equal_toIvEEiEE10hipError_tPvRmT2_T3_T4_T5_mT6_T7_P12ihipStream_tbENKUlT_T0_E_clISt17integral_constantIbLb0EESV_IbLb1EEEEDaSR_SS_EUlSR_E_NS1_11comp_targetILNS1_3genE10ELNS1_11target_archE1201ELNS1_3gpuE5ELNS1_3repE0EEENS1_30default_config_static_selectorELNS0_4arch9wavefront6targetE1EEEvT1_,comdat
.Lfunc_end2226:
	.size	_ZN7rocprim17ROCPRIM_400000_NS6detail17trampoline_kernelINS0_14default_configENS1_27scan_by_key_config_selectorIiiEEZZNS1_16scan_by_key_implILNS1_25lookback_scan_determinismE0ELb0ES3_N6thrust23THRUST_200600_302600_NS10device_ptrIiEESB_SB_iNS9_4plusIvEENS9_8equal_toIvEEiEE10hipError_tPvRmT2_T3_T4_T5_mT6_T7_P12ihipStream_tbENKUlT_T0_E_clISt17integral_constantIbLb0EESV_IbLb1EEEEDaSR_SS_EUlSR_E_NS1_11comp_targetILNS1_3genE10ELNS1_11target_archE1201ELNS1_3gpuE5ELNS1_3repE0EEENS1_30default_config_static_selectorELNS0_4arch9wavefront6targetE1EEEvT1_, .Lfunc_end2226-_ZN7rocprim17ROCPRIM_400000_NS6detail17trampoline_kernelINS0_14default_configENS1_27scan_by_key_config_selectorIiiEEZZNS1_16scan_by_key_implILNS1_25lookback_scan_determinismE0ELb0ES3_N6thrust23THRUST_200600_302600_NS10device_ptrIiEESB_SB_iNS9_4plusIvEENS9_8equal_toIvEEiEE10hipError_tPvRmT2_T3_T4_T5_mT6_T7_P12ihipStream_tbENKUlT_T0_E_clISt17integral_constantIbLb0EESV_IbLb1EEEEDaSR_SS_EUlSR_E_NS1_11comp_targetILNS1_3genE10ELNS1_11target_archE1201ELNS1_3gpuE5ELNS1_3repE0EEENS1_30default_config_static_selectorELNS0_4arch9wavefront6targetE1EEEvT1_
                                        ; -- End function
	.section	.AMDGPU.csdata,"",@progbits
; Kernel info:
; codeLenInByte = 0
; NumSgprs: 6
; NumVgprs: 0
; NumAgprs: 0
; TotalNumVgprs: 0
; ScratchSize: 0
; MemoryBound: 0
; FloatMode: 240
; IeeeMode: 1
; LDSByteSize: 0 bytes/workgroup (compile time only)
; SGPRBlocks: 0
; VGPRBlocks: 0
; NumSGPRsForWavesPerEU: 6
; NumVGPRsForWavesPerEU: 1
; AccumOffset: 4
; Occupancy: 8
; WaveLimiterHint : 0
; COMPUTE_PGM_RSRC2:SCRATCH_EN: 0
; COMPUTE_PGM_RSRC2:USER_SGPR: 2
; COMPUTE_PGM_RSRC2:TRAP_HANDLER: 0
; COMPUTE_PGM_RSRC2:TGID_X_EN: 1
; COMPUTE_PGM_RSRC2:TGID_Y_EN: 0
; COMPUTE_PGM_RSRC2:TGID_Z_EN: 0
; COMPUTE_PGM_RSRC2:TIDIG_COMP_CNT: 0
; COMPUTE_PGM_RSRC3_GFX90A:ACCUM_OFFSET: 0
; COMPUTE_PGM_RSRC3_GFX90A:TG_SPLIT: 0
	.section	.text._ZN7rocprim17ROCPRIM_400000_NS6detail17trampoline_kernelINS0_14default_configENS1_27scan_by_key_config_selectorIiiEEZZNS1_16scan_by_key_implILNS1_25lookback_scan_determinismE0ELb0ES3_N6thrust23THRUST_200600_302600_NS10device_ptrIiEESB_SB_iNS9_4plusIvEENS9_8equal_toIvEEiEE10hipError_tPvRmT2_T3_T4_T5_mT6_T7_P12ihipStream_tbENKUlT_T0_E_clISt17integral_constantIbLb0EESV_IbLb1EEEEDaSR_SS_EUlSR_E_NS1_11comp_targetILNS1_3genE5ELNS1_11target_archE942ELNS1_3gpuE9ELNS1_3repE0EEENS1_30default_config_static_selectorELNS0_4arch9wavefront6targetE1EEEvT1_,"axG",@progbits,_ZN7rocprim17ROCPRIM_400000_NS6detail17trampoline_kernelINS0_14default_configENS1_27scan_by_key_config_selectorIiiEEZZNS1_16scan_by_key_implILNS1_25lookback_scan_determinismE0ELb0ES3_N6thrust23THRUST_200600_302600_NS10device_ptrIiEESB_SB_iNS9_4plusIvEENS9_8equal_toIvEEiEE10hipError_tPvRmT2_T3_T4_T5_mT6_T7_P12ihipStream_tbENKUlT_T0_E_clISt17integral_constantIbLb0EESV_IbLb1EEEEDaSR_SS_EUlSR_E_NS1_11comp_targetILNS1_3genE5ELNS1_11target_archE942ELNS1_3gpuE9ELNS1_3repE0EEENS1_30default_config_static_selectorELNS0_4arch9wavefront6targetE1EEEvT1_,comdat
	.protected	_ZN7rocprim17ROCPRIM_400000_NS6detail17trampoline_kernelINS0_14default_configENS1_27scan_by_key_config_selectorIiiEEZZNS1_16scan_by_key_implILNS1_25lookback_scan_determinismE0ELb0ES3_N6thrust23THRUST_200600_302600_NS10device_ptrIiEESB_SB_iNS9_4plusIvEENS9_8equal_toIvEEiEE10hipError_tPvRmT2_T3_T4_T5_mT6_T7_P12ihipStream_tbENKUlT_T0_E_clISt17integral_constantIbLb0EESV_IbLb1EEEEDaSR_SS_EUlSR_E_NS1_11comp_targetILNS1_3genE5ELNS1_11target_archE942ELNS1_3gpuE9ELNS1_3repE0EEENS1_30default_config_static_selectorELNS0_4arch9wavefront6targetE1EEEvT1_ ; -- Begin function _ZN7rocprim17ROCPRIM_400000_NS6detail17trampoline_kernelINS0_14default_configENS1_27scan_by_key_config_selectorIiiEEZZNS1_16scan_by_key_implILNS1_25lookback_scan_determinismE0ELb0ES3_N6thrust23THRUST_200600_302600_NS10device_ptrIiEESB_SB_iNS9_4plusIvEENS9_8equal_toIvEEiEE10hipError_tPvRmT2_T3_T4_T5_mT6_T7_P12ihipStream_tbENKUlT_T0_E_clISt17integral_constantIbLb0EESV_IbLb1EEEEDaSR_SS_EUlSR_E_NS1_11comp_targetILNS1_3genE5ELNS1_11target_archE942ELNS1_3gpuE9ELNS1_3repE0EEENS1_30default_config_static_selectorELNS0_4arch9wavefront6targetE1EEEvT1_
	.globl	_ZN7rocprim17ROCPRIM_400000_NS6detail17trampoline_kernelINS0_14default_configENS1_27scan_by_key_config_selectorIiiEEZZNS1_16scan_by_key_implILNS1_25lookback_scan_determinismE0ELb0ES3_N6thrust23THRUST_200600_302600_NS10device_ptrIiEESB_SB_iNS9_4plusIvEENS9_8equal_toIvEEiEE10hipError_tPvRmT2_T3_T4_T5_mT6_T7_P12ihipStream_tbENKUlT_T0_E_clISt17integral_constantIbLb0EESV_IbLb1EEEEDaSR_SS_EUlSR_E_NS1_11comp_targetILNS1_3genE5ELNS1_11target_archE942ELNS1_3gpuE9ELNS1_3repE0EEENS1_30default_config_static_selectorELNS0_4arch9wavefront6targetE1EEEvT1_
	.p2align	8
	.type	_ZN7rocprim17ROCPRIM_400000_NS6detail17trampoline_kernelINS0_14default_configENS1_27scan_by_key_config_selectorIiiEEZZNS1_16scan_by_key_implILNS1_25lookback_scan_determinismE0ELb0ES3_N6thrust23THRUST_200600_302600_NS10device_ptrIiEESB_SB_iNS9_4plusIvEENS9_8equal_toIvEEiEE10hipError_tPvRmT2_T3_T4_T5_mT6_T7_P12ihipStream_tbENKUlT_T0_E_clISt17integral_constantIbLb0EESV_IbLb1EEEEDaSR_SS_EUlSR_E_NS1_11comp_targetILNS1_3genE5ELNS1_11target_archE942ELNS1_3gpuE9ELNS1_3repE0EEENS1_30default_config_static_selectorELNS0_4arch9wavefront6targetE1EEEvT1_,@function
_ZN7rocprim17ROCPRIM_400000_NS6detail17trampoline_kernelINS0_14default_configENS1_27scan_by_key_config_selectorIiiEEZZNS1_16scan_by_key_implILNS1_25lookback_scan_determinismE0ELb0ES3_N6thrust23THRUST_200600_302600_NS10device_ptrIiEESB_SB_iNS9_4plusIvEENS9_8equal_toIvEEiEE10hipError_tPvRmT2_T3_T4_T5_mT6_T7_P12ihipStream_tbENKUlT_T0_E_clISt17integral_constantIbLb0EESV_IbLb1EEEEDaSR_SS_EUlSR_E_NS1_11comp_targetILNS1_3genE5ELNS1_11target_archE942ELNS1_3gpuE9ELNS1_3repE0EEENS1_30default_config_static_selectorELNS0_4arch9wavefront6targetE1EEEvT1_: ; @_ZN7rocprim17ROCPRIM_400000_NS6detail17trampoline_kernelINS0_14default_configENS1_27scan_by_key_config_selectorIiiEEZZNS1_16scan_by_key_implILNS1_25lookback_scan_determinismE0ELb0ES3_N6thrust23THRUST_200600_302600_NS10device_ptrIiEESB_SB_iNS9_4plusIvEENS9_8equal_toIvEEiEE10hipError_tPvRmT2_T3_T4_T5_mT6_T7_P12ihipStream_tbENKUlT_T0_E_clISt17integral_constantIbLb0EESV_IbLb1EEEEDaSR_SS_EUlSR_E_NS1_11comp_targetILNS1_3genE5ELNS1_11target_archE942ELNS1_3gpuE9ELNS1_3repE0EEENS1_30default_config_static_selectorELNS0_4arch9wavefront6targetE1EEEvT1_
; %bb.0:
	s_load_dwordx4 s[72:75], s[0:1], 0x28
	s_load_dwordx2 s[76:77], s[0:1], 0x38
	v_cmp_ne_u32_e64 s[4:5], 0, v0
	v_cmp_eq_u32_e64 s[54:55], 0, v0
	s_and_saveexec_b64 s[2:3], s[54:55]
	s_cbranch_execz .LBB2227_4
; %bb.1:
	s_mov_b64 s[8:9], exec
	v_mbcnt_lo_u32_b32 v1, s8, 0
	v_mbcnt_hi_u32_b32 v1, s9, v1
	v_cmp_eq_u32_e32 vcc, 0, v1
                                        ; implicit-def: $vgpr2
	s_and_saveexec_b64 s[6:7], vcc
	s_cbranch_execz .LBB2227_3
; %bb.2:
	s_load_dwordx2 s[10:11], s[0:1], 0x68
	s_bcnt1_i32_b64 s8, s[8:9]
	v_mov_b32_e32 v2, 0
	v_mov_b32_e32 v3, s8
	s_waitcnt lgkmcnt(0)
	global_atomic_add v2, v2, v3, s[10:11] sc0
.LBB2227_3:
	s_or_b64 exec, exec, s[6:7]
	s_waitcnt vmcnt(0)
	v_readfirstlane_b32 s6, v2
	v_mov_b32_e32 v2, 0
	s_nop 0
	v_add_u32_e32 v1, s6, v1
	ds_write_b32 v2, v1
.LBB2227_4:
	s_or_b64 exec, exec, s[2:3]
	s_load_dwordx8 s[56:63], s[0:1], 0x0
	s_load_dword s2, s[0:1], 0x40
	s_load_dwordx8 s[64:71], s[0:1], 0x48
	v_mov_b32_e32 v1, 0
	s_waitcnt lgkmcnt(0)
	s_barrier
	ds_read_b32 v1, v1
	s_lshl_b64 s[58:59], s[58:59], 2
	s_add_u32 s3, s56, s58
	s_addc_u32 s6, s57, s59
	s_add_u32 s7, s60, s58
	s_mul_i32 s0, s77, s2
	s_mul_hi_u32 s1, s76, s2
	s_addc_u32 s8, s61, s59
	s_add_i32 s9, s1, s0
	s_waitcnt lgkmcnt(0)
	v_readfirstlane_b32 s75, v1
	s_cmp_lg_u64 s[68:69], 0
	s_mov_b32 s1, 0
	s_mul_i32 s0, s75, 0x1700
	s_cselect_b64 s[78:79], -1, 0
	s_lshl_b64 s[56:57], s[0:1], 2
	s_add_u32 s68, s3, s56
	s_addc_u32 s69, s6, s57
	s_add_u32 s60, s7, s56
	s_mul_i32 s2, s76, s2
	s_addc_u32 s61, s8, s57
	s_add_u32 s80, s2, s75
	s_addc_u32 s81, s9, 0
	s_add_u32 s0, s64, -1
	s_addc_u32 s1, s65, -1
	v_mov_b64_e32 v[2:3], s[0:1]
	v_cmp_ge_u64_e64 s[2:3], s[80:81], v[2:3]
	s_mov_b64 s[10:11], 0
	s_mov_b64 s[6:7], -1
	s_and_b64 vcc, exec, s[2:3]
	s_mul_i32 s33, s0, 0xffffe900
	s_barrier
	s_barrier
	s_cbranch_vccz .LBB2227_126
; %bb.5:
	v_mov_b64_e32 v[2:3], s[68:69]
	flat_load_dword v1, v[2:3]
	s_add_i32 s84, s33, s74
	v_cmp_gt_u32_e64 s[6:7], s84, v0
	s_waitcnt vmcnt(0) lgkmcnt(0)
	v_mov_b32_e32 v4, v1
	s_and_saveexec_b64 s[0:1], s[6:7]
	s_cbranch_execz .LBB2227_7
; %bb.6:
	v_lshlrev_b32_e32 v2, 2, v0
	v_mov_b32_e32 v3, 0
	v_lshl_add_u64 v[2:3], s[68:69], 0, v[2:3]
	flat_load_dword v4, v[2:3]
.LBB2227_7:
	s_or_b64 exec, exec, s[0:1]
	v_or_b32_e32 v2, 0x100, v0
	v_cmp_gt_u32_e64 s[8:9], s84, v2
	v_mov_b32_e32 v5, v1
	s_and_saveexec_b64 s[0:1], s[8:9]
	s_cbranch_execz .LBB2227_9
; %bb.8:
	v_lshlrev_b32_e32 v2, 2, v0
	v_mov_b32_e32 v3, 0
	v_lshl_add_u64 v[2:3], s[68:69], 0, v[2:3]
	flat_load_dword v5, v[2:3] offset:1024
.LBB2227_9:
	s_or_b64 exec, exec, s[0:1]
	v_or_b32_e32 v2, 0x200, v0
	v_cmp_gt_u32_e64 s[10:11], s84, v2
	v_mov_b32_e32 v6, v1
	s_and_saveexec_b64 s[0:1], s[10:11]
	s_cbranch_execz .LBB2227_11
; %bb.10:
	v_lshlrev_b32_e32 v2, 2, v0
	v_mov_b32_e32 v3, 0
	v_lshl_add_u64 v[2:3], s[68:69], 0, v[2:3]
	flat_load_dword v6, v[2:3] offset:2048
.LBB2227_11:
	;; [unrolled: 12-line block ×3, first 2 shown]
	s_or_b64 exec, exec, s[0:1]
	v_or_b32_e32 v2, 0x400, v0
	v_cmp_gt_u32_e64 s[14:15], s84, v2
	v_lshlrev_b32_e32 v2, 2, v2
	v_mov_b32_e32 v3, v1
	s_and_saveexec_b64 s[0:1], s[14:15]
	s_cbranch_execz .LBB2227_15
; %bb.14:
	v_mov_b32_e32 v3, 0
	v_lshl_add_u64 v[8:9], s[68:69], 0, v[2:3]
	flat_load_dword v3, v[8:9]
.LBB2227_15:
	s_or_b64 exec, exec, s[0:1]
	v_or_b32_e32 v8, 0x500, v0
	v_cmp_gt_u32_e64 s[16:17], s84, v8
	v_lshlrev_b32_e32 v10, 2, v8
	v_mov_b32_e32 v8, v1
	s_and_saveexec_b64 s[0:1], s[16:17]
	s_cbranch_execz .LBB2227_17
; %bb.16:
	v_mov_b32_e32 v11, 0
	v_lshl_add_u64 v[8:9], s[68:69], 0, v[10:11]
	flat_load_dword v8, v[8:9]
.LBB2227_17:
	;; [unrolled: 12-line block ×18, first 2 shown]
	s_or_b64 exec, exec, s[0:1]
	v_or_b32_e32 v41, 0x1600, v0
	v_cmp_gt_u32_e64 s[52:53], s84, v41
	v_lshlrev_b32_e32 v46, 2, v41
	s_and_saveexec_b64 s[0:1], s[52:53]
	s_cbranch_execz .LBB2227_51
; %bb.50:
	v_mov_b32_e32 v47, 0
	v_lshl_add_u64 v[44:45], s[68:69], 0, v[46:47]
	flat_load_dword v1, v[44:45]
.LBB2227_51:
	s_or_b64 exec, exec, s[0:1]
	v_lshlrev_b32_e32 v44, 2, v0
	s_movk_i32 s0, 0x58
	s_waitcnt vmcnt(0) lgkmcnt(0)
	ds_write2st64_b32 v44, v4, v5 offset1:4
	ds_write2st64_b32 v44, v6, v7 offset0:8 offset1:12
	ds_write2st64_b32 v44, v3, v8 offset0:16 offset1:20
	;; [unrolled: 1-line block ×10, first 2 shown]
	ds_write_b32 v44, v1 offset:22528
	v_mad_u32_u24 v1, v0, s0, v44
	s_waitcnt lgkmcnt(0)
	s_barrier
	ds_read2_b32 v[68:69], v1 offset1:1
	ds_read2_b32 v[66:67], v1 offset0:2 offset1:3
	ds_read2_b32 v[64:65], v1 offset0:4 offset1:5
	;; [unrolled: 1-line block ×10, first 2 shown]
	ds_read_b32 v72, v1 offset:88
	s_cmp_eq_u64 s[80:81], 0
	s_mov_b64 s[0:1], s[68:69]
	s_cbranch_scc1 .LBB2227_55
; %bb.52:
	s_andn2_b64 vcc, exec, s[78:79]
	s_cbranch_vccnz .LBB2227_267
; %bb.53:
	s_lshl_b64 s[0:1], s[80:81], 2
	s_add_u32 s0, s70, s0
	s_addc_u32 s1, s71, s1
	s_add_u32 s0, s0, -4
	s_addc_u32 s1, s1, -1
	s_cbranch_execnz .LBB2227_55
.LBB2227_54:
	s_add_u32 s0, s68, -4
	s_addc_u32 s1, s69, -1
.LBB2227_55:
	v_mov_b64_e32 v[48:49], s[0:1]
	flat_load_dword v70, v[48:49]
	s_movk_i32 s0, 0xffa8
	v_mad_i32_i24 v3, v0, s0, v1
	s_waitcnt lgkmcnt(0)
	ds_write_b32 v3, v72 offset:23552
	s_waitcnt lgkmcnt(0)
	s_barrier
	s_and_saveexec_b64 s[0:1], s[4:5]
	s_cbranch_execz .LBB2227_57
; %bb.56:
	v_mul_i32_i24_e32 v3, 0xffffffa8, v0
	v_add_u32_e32 v3, v1, v3
	s_waitcnt vmcnt(0)
	ds_read_b32 v70, v3 offset:23548
.LBB2227_57:
	s_or_b64 exec, exec, s[0:1]
	v_mov_b32_e32 v45, 0
	s_waitcnt lgkmcnt(0)
	s_barrier
	s_waitcnt lgkmcnt(0)
                                        ; implicit-def: $vgpr48
	s_and_saveexec_b64 s[0:1], s[6:7]
	s_cbranch_execnz .LBB2227_243
; %bb.58:
	s_or_b64 exec, exec, s[0:1]
                                        ; implicit-def: $vgpr49
	s_and_saveexec_b64 s[0:1], s[8:9]
	s_cbranch_execnz .LBB2227_244
.LBB2227_59:
	s_or_b64 exec, exec, s[0:1]
                                        ; implicit-def: $vgpr50
	s_and_saveexec_b64 s[0:1], s[10:11]
	s_cbranch_execnz .LBB2227_245
.LBB2227_60:
	s_or_b64 exec, exec, s[0:1]
                                        ; implicit-def: $vgpr45
	s_and_saveexec_b64 s[0:1], s[12:13]
	s_cbranch_execnz .LBB2227_246
.LBB2227_61:
	s_or_b64 exec, exec, s[0:1]
                                        ; implicit-def: $vgpr3
	s_and_saveexec_b64 s[0:1], s[14:15]
	s_cbranch_execnz .LBB2227_247
.LBB2227_62:
	s_or_b64 exec, exec, s[0:1]
                                        ; implicit-def: $vgpr2
	s_and_saveexec_b64 s[0:1], s[16:17]
	s_cbranch_execnz .LBB2227_248
.LBB2227_63:
	s_or_b64 exec, exec, s[0:1]
                                        ; implicit-def: $vgpr10
	s_and_saveexec_b64 s[0:1], s[18:19]
	s_cbranch_execnz .LBB2227_249
.LBB2227_64:
	s_or_b64 exec, exec, s[0:1]
                                        ; implicit-def: $vgpr11
	s_and_saveexec_b64 s[0:1], s[20:21]
	s_cbranch_execnz .LBB2227_250
.LBB2227_65:
	s_or_b64 exec, exec, s[0:1]
                                        ; implicit-def: $vgpr12
	s_and_saveexec_b64 s[0:1], s[22:23]
	s_cbranch_execnz .LBB2227_251
.LBB2227_66:
	s_or_b64 exec, exec, s[0:1]
                                        ; implicit-def: $vgpr13
	s_and_saveexec_b64 s[0:1], s[24:25]
	s_cbranch_execnz .LBB2227_252
.LBB2227_67:
	s_or_b64 exec, exec, s[0:1]
                                        ; implicit-def: $vgpr14
	s_and_saveexec_b64 s[0:1], s[26:27]
	s_cbranch_execnz .LBB2227_253
.LBB2227_68:
	s_or_b64 exec, exec, s[0:1]
                                        ; implicit-def: $vgpr15
	s_and_saveexec_b64 s[0:1], s[28:29]
	s_cbranch_execnz .LBB2227_254
.LBB2227_69:
	s_or_b64 exec, exec, s[0:1]
                                        ; implicit-def: $vgpr16
	s_and_saveexec_b64 s[0:1], s[30:31]
	s_cbranch_execnz .LBB2227_255
.LBB2227_70:
	s_or_b64 exec, exec, s[0:1]
                                        ; implicit-def: $vgpr17
	s_and_saveexec_b64 s[0:1], s[34:35]
	s_cbranch_execnz .LBB2227_256
.LBB2227_71:
	s_or_b64 exec, exec, s[0:1]
                                        ; implicit-def: $vgpr18
	s_and_saveexec_b64 s[0:1], s[36:37]
	s_cbranch_execnz .LBB2227_257
.LBB2227_72:
	s_or_b64 exec, exec, s[0:1]
                                        ; implicit-def: $vgpr19
	s_and_saveexec_b64 s[0:1], s[38:39]
	s_cbranch_execnz .LBB2227_258
.LBB2227_73:
	s_or_b64 exec, exec, s[0:1]
                                        ; implicit-def: $vgpr20
	s_and_saveexec_b64 s[0:1], s[40:41]
	s_cbranch_execnz .LBB2227_259
.LBB2227_74:
	s_or_b64 exec, exec, s[0:1]
                                        ; implicit-def: $vgpr21
	s_and_saveexec_b64 s[0:1], s[42:43]
	s_cbranch_execnz .LBB2227_260
.LBB2227_75:
	s_or_b64 exec, exec, s[0:1]
                                        ; implicit-def: $vgpr22
	s_and_saveexec_b64 s[0:1], s[44:45]
	s_cbranch_execnz .LBB2227_261
.LBB2227_76:
	s_or_b64 exec, exec, s[0:1]
                                        ; implicit-def: $vgpr23
	s_and_saveexec_b64 s[0:1], s[46:47]
	s_cbranch_execnz .LBB2227_262
.LBB2227_77:
	s_or_b64 exec, exec, s[0:1]
                                        ; implicit-def: $vgpr24
	s_and_saveexec_b64 s[0:1], s[48:49]
	s_cbranch_execnz .LBB2227_263
.LBB2227_78:
	s_or_b64 exec, exec, s[0:1]
                                        ; implicit-def: $vgpr25
	s_and_saveexec_b64 s[0:1], s[50:51]
	s_cbranch_execnz .LBB2227_264
.LBB2227_79:
	s_or_b64 exec, exec, s[0:1]
                                        ; implicit-def: $vgpr26
	s_and_saveexec_b64 s[0:1], s[52:53]
	s_cbranch_execz .LBB2227_81
.LBB2227_80:
	v_mov_b32_e32 v47, 0
	v_lshl_add_u64 v[26:27], s[60:61], 0, v[46:47]
	flat_load_dword v26, v[26:27]
.LBB2227_81:
	s_or_b64 exec, exec, s[0:1]
	v_mul_u32_u24_e32 v73, 23, v0
	s_waitcnt vmcnt(0) lgkmcnt(0)
	ds_write2st64_b32 v44, v48, v49 offset1:4
	ds_write2st64_b32 v44, v50, v45 offset0:8 offset1:12
	ds_write2st64_b32 v44, v3, v2 offset0:16 offset1:20
	;; [unrolled: 1-line block ×10, first 2 shown]
	ds_write_b32 v44, v26 offset:22528
	v_mov_b64_e32 v[10:11], 0
	v_cmp_gt_u32_e32 vcc, s84, v73
	s_mov_b64 s[10:11], 0
	s_mov_b64 s[6:7], 0
	v_mov_b64_e32 v[12:13], v[10:11]
	v_mov_b64_e32 v[14:15], v[10:11]
	;; [unrolled: 1-line block ×21, first 2 shown]
	s_waitcnt lgkmcnt(0)
	s_barrier
	s_waitcnt lgkmcnt(0)
                                        ; implicit-def: $sgpr0_sgpr1
                                        ; implicit-def: $vgpr3
	s_and_saveexec_b64 s[8:9], vcc
	s_cbranch_execz .LBB2227_125
; %bb.82:
	ds_read_b32 v10, v1
	v_add_u32_e32 v2, 1, v73
	v_cmp_ne_u32_e32 vcc, v70, v68
	v_mov_b64_e32 v[12:13], 0
	s_mov_b64 s[12:13], 0
	v_cndmask_b32_e64 v11, 0, 1, vcc
	v_cmp_gt_u32_e32 vcc, s84, v2
	s_mov_b64 s[0:1], 0
	v_mov_b64_e32 v[14:15], v[12:13]
	v_mov_b64_e32 v[16:17], v[12:13]
	;; [unrolled: 1-line block ×20, first 2 shown]
                                        ; implicit-def: $sgpr14_sgpr15
                                        ; implicit-def: $vgpr3
	s_and_saveexec_b64 s[10:11], vcc
	s_cbranch_execz .LBB2227_124
; %bb.83:
	ds_read2_b32 v[70:71], v1 offset0:1 offset1:2
	v_add_u32_e32 v2, 2, v73
	v_cmp_ne_u32_e32 vcc, v68, v69
	v_mov_b64_e32 v[14:15], 0
	s_mov_b64 s[16:17], 0
	v_cndmask_b32_e64 v13, 0, 1, vcc
	v_cmp_gt_u32_e32 vcc, s84, v2
	s_waitcnt lgkmcnt(0)
	v_mov_b32_e32 v12, v70
	v_mov_b64_e32 v[16:17], v[14:15]
	v_mov_b64_e32 v[18:19], v[14:15]
	v_mov_b64_e32 v[20:21], v[14:15]
	v_mov_b64_e32 v[22:23], v[14:15]
	v_mov_b64_e32 v[24:25], v[14:15]
	v_mov_b64_e32 v[26:27], v[14:15]
	v_mov_b64_e32 v[28:29], v[14:15]
	v_mov_b64_e32 v[30:31], v[14:15]
	v_mov_b64_e32 v[32:33], v[14:15]
	v_mov_b64_e32 v[34:35], v[14:15]
	v_mov_b64_e32 v[36:37], v[14:15]
	v_mov_b64_e32 v[38:39], v[14:15]
	v_mov_b64_e32 v[40:41], v[14:15]
	v_mov_b64_e32 v[42:43], v[14:15]
	v_mov_b64_e32 v[44:45], v[14:15]
	v_mov_b64_e32 v[46:47], v[14:15]
	v_mov_b64_e32 v[48:49], v[14:15]
	v_mov_b64_e32 v[50:51], v[14:15]
	v_mov_b64_e32 v[52:53], v[14:15]
                                        ; implicit-def: $sgpr14_sgpr15
                                        ; implicit-def: $vgpr3
	s_and_saveexec_b64 s[12:13], vcc
	s_cbranch_execz .LBB2227_123
; %bb.84:
	v_add_u32_e32 v2, 3, v73
	v_cmp_ne_u32_e32 vcc, v69, v66
	v_mov_b64_e32 v[16:17], 0
	v_mov_b32_e32 v14, v71
	v_cndmask_b32_e64 v15, 0, 1, vcc
	v_cmp_gt_u32_e32 vcc, s84, v2
	v_mov_b64_e32 v[18:19], v[16:17]
	v_mov_b64_e32 v[20:21], v[16:17]
	;; [unrolled: 1-line block ×18, first 2 shown]
                                        ; implicit-def: $sgpr18_sgpr19
                                        ; implicit-def: $vgpr3
	s_and_saveexec_b64 s[14:15], vcc
	s_cbranch_execz .LBB2227_122
; %bb.85:
	ds_read2_b32 v[68:69], v1 offset0:3 offset1:4
	v_add_u32_e32 v2, 4, v73
	v_cmp_ne_u32_e32 vcc, v66, v67
	v_mov_b64_e32 v[18:19], 0
	s_mov_b64 s[20:21], 0
	v_cndmask_b32_e64 v17, 0, 1, vcc
	v_cmp_gt_u32_e32 vcc, s84, v2
	s_waitcnt lgkmcnt(0)
	v_mov_b32_e32 v16, v68
	v_mov_b64_e32 v[20:21], v[18:19]
	v_mov_b64_e32 v[22:23], v[18:19]
	;; [unrolled: 1-line block ×17, first 2 shown]
                                        ; implicit-def: $sgpr18_sgpr19
                                        ; implicit-def: $vgpr3
	s_and_saveexec_b64 s[16:17], vcc
	s_cbranch_execz .LBB2227_121
; %bb.86:
	v_add_u32_e32 v2, 5, v73
	v_cmp_ne_u32_e32 vcc, v67, v64
	v_mov_b64_e32 v[20:21], 0
	v_mov_b32_e32 v18, v69
	v_cndmask_b32_e64 v19, 0, 1, vcc
	v_cmp_gt_u32_e32 vcc, s84, v2
	v_mov_b64_e32 v[22:23], v[20:21]
	v_mov_b64_e32 v[24:25], v[20:21]
	;; [unrolled: 1-line block ×16, first 2 shown]
                                        ; implicit-def: $sgpr22_sgpr23
                                        ; implicit-def: $vgpr3
	s_and_saveexec_b64 s[18:19], vcc
	s_cbranch_execz .LBB2227_120
; %bb.87:
	ds_read2_b32 v[66:67], v1 offset0:5 offset1:6
	v_add_u32_e32 v2, 6, v73
	v_cmp_ne_u32_e32 vcc, v64, v65
	v_mov_b64_e32 v[22:23], 0
	s_mov_b64 s[24:25], 0
	v_cndmask_b32_e64 v21, 0, 1, vcc
	v_cmp_gt_u32_e32 vcc, s84, v2
	s_waitcnt lgkmcnt(0)
	v_mov_b32_e32 v20, v66
	v_mov_b64_e32 v[24:25], v[22:23]
	v_mov_b64_e32 v[26:27], v[22:23]
	v_mov_b64_e32 v[28:29], v[22:23]
	v_mov_b64_e32 v[30:31], v[22:23]
	v_mov_b64_e32 v[32:33], v[22:23]
	v_mov_b64_e32 v[34:35], v[22:23]
	v_mov_b64_e32 v[36:37], v[22:23]
	v_mov_b64_e32 v[38:39], v[22:23]
	v_mov_b64_e32 v[40:41], v[22:23]
	v_mov_b64_e32 v[42:43], v[22:23]
	v_mov_b64_e32 v[44:45], v[22:23]
	v_mov_b64_e32 v[46:47], v[22:23]
	v_mov_b64_e32 v[48:49], v[22:23]
	v_mov_b64_e32 v[50:51], v[22:23]
	v_mov_b64_e32 v[52:53], v[22:23]
                                        ; implicit-def: $sgpr22_sgpr23
                                        ; implicit-def: $vgpr3
	s_and_saveexec_b64 s[20:21], vcc
	s_cbranch_execz .LBB2227_119
; %bb.88:
	v_add_u32_e32 v2, 7, v73
	v_cmp_ne_u32_e32 vcc, v65, v62
	v_mov_b64_e32 v[24:25], 0
	v_mov_b32_e32 v22, v67
	v_cndmask_b32_e64 v23, 0, 1, vcc
	v_cmp_gt_u32_e32 vcc, s84, v2
	v_mov_b64_e32 v[26:27], v[24:25]
	v_mov_b64_e32 v[28:29], v[24:25]
	;; [unrolled: 1-line block ×14, first 2 shown]
                                        ; implicit-def: $sgpr26_sgpr27
                                        ; implicit-def: $vgpr3
	s_and_saveexec_b64 s[22:23], vcc
	s_cbranch_execz .LBB2227_118
; %bb.89:
	ds_read2_b32 v[64:65], v1 offset0:7 offset1:8
	v_add_u32_e32 v2, 8, v73
	v_cmp_ne_u32_e32 vcc, v62, v63
	v_mov_b64_e32 v[26:27], 0
	s_mov_b64 s[28:29], 0
	v_cndmask_b32_e64 v25, 0, 1, vcc
	v_cmp_gt_u32_e32 vcc, s84, v2
	s_waitcnt lgkmcnt(0)
	v_mov_b32_e32 v24, v64
	v_mov_b64_e32 v[28:29], v[26:27]
	v_mov_b64_e32 v[30:31], v[26:27]
	;; [unrolled: 1-line block ×13, first 2 shown]
                                        ; implicit-def: $sgpr26_sgpr27
                                        ; implicit-def: $vgpr3
	s_and_saveexec_b64 s[24:25], vcc
	s_cbranch_execz .LBB2227_117
; %bb.90:
	v_add_u32_e32 v2, 9, v73
	v_cmp_ne_u32_e32 vcc, v63, v60
	v_mov_b64_e32 v[28:29], 0
	v_mov_b32_e32 v26, v65
	v_cndmask_b32_e64 v27, 0, 1, vcc
	v_cmp_gt_u32_e32 vcc, s84, v2
	v_mov_b64_e32 v[30:31], v[28:29]
	v_mov_b64_e32 v[32:33], v[28:29]
	;; [unrolled: 1-line block ×12, first 2 shown]
                                        ; implicit-def: $sgpr30_sgpr31
                                        ; implicit-def: $vgpr3
	s_and_saveexec_b64 s[26:27], vcc
	s_cbranch_execz .LBB2227_116
; %bb.91:
	ds_read2_b32 v[62:63], v1 offset0:9 offset1:10
	v_add_u32_e32 v2, 10, v73
	v_cmp_ne_u32_e32 vcc, v60, v61
	v_mov_b64_e32 v[30:31], 0
	s_mov_b64 s[34:35], 0
	v_cndmask_b32_e64 v29, 0, 1, vcc
	v_cmp_gt_u32_e32 vcc, s84, v2
	s_waitcnt lgkmcnt(0)
	v_mov_b32_e32 v28, v62
	v_mov_b64_e32 v[32:33], v[30:31]
	v_mov_b64_e32 v[34:35], v[30:31]
	;; [unrolled: 1-line block ×11, first 2 shown]
                                        ; implicit-def: $sgpr30_sgpr31
                                        ; implicit-def: $vgpr3
	s_and_saveexec_b64 s[28:29], vcc
	s_cbranch_execz .LBB2227_115
; %bb.92:
	v_add_u32_e32 v2, 11, v73
	v_cmp_ne_u32_e32 vcc, v61, v58
	v_mov_b64_e32 v[32:33], 0
	v_mov_b32_e32 v30, v63
	v_cndmask_b32_e64 v31, 0, 1, vcc
	v_cmp_gt_u32_e32 vcc, s84, v2
	v_mov_b64_e32 v[34:35], v[32:33]
	v_mov_b64_e32 v[36:37], v[32:33]
	;; [unrolled: 1-line block ×10, first 2 shown]
                                        ; implicit-def: $sgpr36_sgpr37
                                        ; implicit-def: $vgpr3
	s_and_saveexec_b64 s[30:31], vcc
	s_cbranch_execz .LBB2227_114
; %bb.93:
	ds_read2_b32 v[60:61], v1 offset0:11 offset1:12
	v_add_u32_e32 v2, 12, v73
	v_cmp_ne_u32_e32 vcc, v58, v59
	v_mov_b64_e32 v[34:35], 0
	s_mov_b64 s[38:39], 0
	v_cndmask_b32_e64 v33, 0, 1, vcc
	v_cmp_gt_u32_e32 vcc, s84, v2
	s_waitcnt lgkmcnt(0)
	v_mov_b32_e32 v32, v60
	v_mov_b64_e32 v[36:37], v[34:35]
	v_mov_b64_e32 v[38:39], v[34:35]
	;; [unrolled: 1-line block ×9, first 2 shown]
                                        ; implicit-def: $sgpr36_sgpr37
                                        ; implicit-def: $vgpr3
	s_and_saveexec_b64 s[34:35], vcc
	s_cbranch_execz .LBB2227_113
; %bb.94:
	v_add_u32_e32 v2, 13, v73
	v_cmp_ne_u32_e32 vcc, v59, v56
	v_mov_b64_e32 v[36:37], 0
	v_mov_b32_e32 v34, v61
	v_cndmask_b32_e64 v35, 0, 1, vcc
	v_cmp_gt_u32_e32 vcc, s84, v2
	v_mov_b64_e32 v[38:39], v[36:37]
	v_mov_b64_e32 v[40:41], v[36:37]
	;; [unrolled: 1-line block ×8, first 2 shown]
                                        ; implicit-def: $sgpr40_sgpr41
                                        ; implicit-def: $vgpr3
	s_and_saveexec_b64 s[36:37], vcc
	s_cbranch_execz .LBB2227_112
; %bb.95:
	ds_read2_b32 v[58:59], v1 offset0:13 offset1:14
	v_add_u32_e32 v2, 14, v73
	v_cmp_ne_u32_e32 vcc, v56, v57
	v_mov_b64_e32 v[38:39], 0
	s_mov_b64 s[42:43], 0
	v_cndmask_b32_e64 v37, 0, 1, vcc
	v_cmp_gt_u32_e32 vcc, s84, v2
	s_waitcnt lgkmcnt(0)
	v_mov_b32_e32 v36, v58
	v_mov_b64_e32 v[40:41], v[38:39]
	v_mov_b64_e32 v[42:43], v[38:39]
	;; [unrolled: 1-line block ×7, first 2 shown]
                                        ; implicit-def: $sgpr40_sgpr41
                                        ; implicit-def: $vgpr3
	s_and_saveexec_b64 s[38:39], vcc
	s_cbranch_execz .LBB2227_111
; %bb.96:
	v_add_u32_e32 v2, 15, v73
	v_cmp_ne_u32_e32 vcc, v57, v54
	v_mov_b64_e32 v[40:41], 0
	v_mov_b32_e32 v38, v59
	v_cndmask_b32_e64 v39, 0, 1, vcc
	v_cmp_gt_u32_e32 vcc, s84, v2
	v_mov_b64_e32 v[42:43], v[40:41]
	v_mov_b64_e32 v[44:45], v[40:41]
	;; [unrolled: 1-line block ×6, first 2 shown]
                                        ; implicit-def: $sgpr44_sgpr45
                                        ; implicit-def: $vgpr3
	s_and_saveexec_b64 s[40:41], vcc
	s_cbranch_execz .LBB2227_110
; %bb.97:
	ds_read2_b32 v[56:57], v1 offset0:15 offset1:16
	v_add_u32_e32 v2, 16, v73
	v_cmp_ne_u32_e32 vcc, v54, v55
	v_mov_b64_e32 v[42:43], 0
	s_mov_b64 s[46:47], 0
	v_cndmask_b32_e64 v41, 0, 1, vcc
	v_cmp_gt_u32_e32 vcc, s84, v2
	s_waitcnt lgkmcnt(0)
	v_mov_b32_e32 v40, v56
	v_mov_b64_e32 v[44:45], v[42:43]
	v_mov_b64_e32 v[46:47], v[42:43]
	;; [unrolled: 1-line block ×5, first 2 shown]
                                        ; implicit-def: $sgpr44_sgpr45
                                        ; implicit-def: $vgpr3
	s_and_saveexec_b64 s[42:43], vcc
	s_cbranch_execz .LBB2227_109
; %bb.98:
	v_add_u32_e32 v2, 17, v73
	v_cmp_ne_u32_e32 vcc, v55, v8
	v_mov_b64_e32 v[44:45], 0
	v_mov_b32_e32 v42, v57
	v_cndmask_b32_e64 v43, 0, 1, vcc
	v_cmp_gt_u32_e32 vcc, s84, v2
	v_mov_b64_e32 v[46:47], v[44:45]
	v_mov_b64_e32 v[48:49], v[44:45]
	v_mov_b64_e32 v[50:51], v[44:45]
	v_mov_b64_e32 v[52:53], v[44:45]
                                        ; implicit-def: $sgpr48_sgpr49
                                        ; implicit-def: $vgpr3
	s_and_saveexec_b64 s[44:45], vcc
	s_cbranch_execz .LBB2227_108
; %bb.99:
	ds_read2_b32 v[54:55], v1 offset0:17 offset1:18
	v_add_u32_e32 v2, 18, v73
	v_cmp_ne_u32_e32 vcc, v8, v9
	v_mov_b64_e32 v[46:47], 0
	s_mov_b64 s[50:51], 0
	v_cndmask_b32_e64 v45, 0, 1, vcc
	v_cmp_gt_u32_e32 vcc, s84, v2
	s_waitcnt lgkmcnt(0)
	v_mov_b32_e32 v44, v54
	v_mov_b64_e32 v[48:49], v[46:47]
	v_mov_b64_e32 v[50:51], v[46:47]
	;; [unrolled: 1-line block ×3, first 2 shown]
                                        ; implicit-def: $sgpr48_sgpr49
                                        ; implicit-def: $vgpr3
	s_and_saveexec_b64 s[46:47], vcc
	s_cbranch_execz .LBB2227_107
; %bb.100:
	v_add_u32_e32 v2, 19, v73
	v_cmp_ne_u32_e32 vcc, v9, v6
	v_mov_b64_e32 v[48:49], 0
	v_mov_b32_e32 v46, v55
	v_cndmask_b32_e64 v47, 0, 1, vcc
	v_cmp_gt_u32_e32 vcc, s84, v2
	v_mov_b64_e32 v[50:51], v[48:49]
	v_mov_b64_e32 v[52:53], v[48:49]
                                        ; implicit-def: $sgpr52_sgpr53
                                        ; implicit-def: $vgpr3
	s_and_saveexec_b64 s[48:49], vcc
	s_cbranch_execz .LBB2227_106
; %bb.101:
	ds_read2_b32 v[8:9], v1 offset0:19 offset1:20
	v_add_u32_e32 v2, 20, v73
	v_cmp_ne_u32_e32 vcc, v6, v7
	v_mov_b64_e32 v[50:51], 0
	s_mov_b64 s[52:53], 0
	v_cndmask_b32_e64 v49, 0, 1, vcc
	v_cmp_gt_u32_e32 vcc, s84, v2
	s_waitcnt lgkmcnt(0)
	v_mov_b32_e32 v48, v8
	v_mov_b64_e32 v[52:53], v[50:51]
                                        ; implicit-def: $sgpr64_sgpr65
                                        ; implicit-def: $vgpr3
	s_and_saveexec_b64 s[50:51], vcc
	s_cbranch_execz .LBB2227_105
; %bb.102:
	v_add_u32_e32 v2, 21, v73
	v_cmp_ne_u32_e32 vcc, v7, v4
	v_mov_b32_e32 v50, v9
	v_mov_b64_e32 v[52:53], 0
	v_cndmask_b32_e64 v51, 0, 1, vcc
	v_cmp_gt_u32_e32 vcc, s84, v2
                                        ; implicit-def: $sgpr64_sgpr65
                                        ; implicit-def: $vgpr3
	s_and_saveexec_b64 s[0:1], vcc
	s_xor_b64 s[82:83], exec, s[0:1]
	s_cbranch_execz .LBB2227_104
; %bb.103:
	ds_read2_b32 v[2:3], v1 offset0:21 offset1:22
	v_add_u32_e32 v1, 22, v73
	v_cmp_ne_u32_e64 s[0:1], v4, v5
	v_cmp_ne_u32_e32 vcc, v5, v72
	s_and_b64 s[64:65], vcc, exec
	v_cndmask_b32_e64 v53, 0, 1, s[0:1]
	v_cmp_gt_u32_e64 s[0:1], s84, v1
	s_waitcnt lgkmcnt(0)
	v_mov_b32_e32 v52, v2
	s_and_b64 s[52:53], s[0:1], exec
.LBB2227_104:
	s_or_b64 exec, exec, s[82:83]
	s_and_b64 s[64:65], s[64:65], exec
	s_and_b64 s[0:1], s[52:53], exec
.LBB2227_105:
	s_or_b64 exec, exec, s[50:51]
	s_and_b64 s[52:53], s[64:65], exec
	s_and_b64 s[50:51], s[0:1], exec
.LBB2227_106:
	s_or_b64 exec, exec, s[48:49]
	s_and_b64 s[48:49], s[52:53], exec
	s_and_b64 s[0:1], s[50:51], exec
.LBB2227_107:
	s_or_b64 exec, exec, s[46:47]
	s_and_b64 s[48:49], s[48:49], exec
	s_and_b64 s[46:47], s[0:1], exec
.LBB2227_108:
	s_or_b64 exec, exec, s[44:45]
	s_and_b64 s[44:45], s[48:49], exec
	s_and_b64 s[0:1], s[46:47], exec
.LBB2227_109:
	s_or_b64 exec, exec, s[42:43]
	s_and_b64 s[44:45], s[44:45], exec
	s_and_b64 s[42:43], s[0:1], exec
.LBB2227_110:
	s_or_b64 exec, exec, s[40:41]
	s_and_b64 s[40:41], s[44:45], exec
	s_and_b64 s[0:1], s[42:43], exec
.LBB2227_111:
	s_or_b64 exec, exec, s[38:39]
	s_and_b64 s[40:41], s[40:41], exec
	s_and_b64 s[38:39], s[0:1], exec
.LBB2227_112:
	s_or_b64 exec, exec, s[36:37]
	s_and_b64 s[36:37], s[40:41], exec
	s_and_b64 s[0:1], s[38:39], exec
.LBB2227_113:
	s_or_b64 exec, exec, s[34:35]
	s_and_b64 s[36:37], s[36:37], exec
	s_and_b64 s[34:35], s[0:1], exec
.LBB2227_114:
	s_or_b64 exec, exec, s[30:31]
	s_and_b64 s[30:31], s[36:37], exec
	s_and_b64 s[0:1], s[34:35], exec
.LBB2227_115:
	s_or_b64 exec, exec, s[28:29]
	s_and_b64 s[30:31], s[30:31], exec
	s_and_b64 s[28:29], s[0:1], exec
.LBB2227_116:
	s_or_b64 exec, exec, s[26:27]
	s_and_b64 s[26:27], s[30:31], exec
	s_and_b64 s[0:1], s[28:29], exec
.LBB2227_117:
	s_or_b64 exec, exec, s[24:25]
	s_and_b64 s[26:27], s[26:27], exec
	s_and_b64 s[24:25], s[0:1], exec
.LBB2227_118:
	s_or_b64 exec, exec, s[22:23]
	s_and_b64 s[22:23], s[26:27], exec
	s_and_b64 s[0:1], s[24:25], exec
.LBB2227_119:
	s_or_b64 exec, exec, s[20:21]
	s_and_b64 s[22:23], s[22:23], exec
	s_and_b64 s[20:21], s[0:1], exec
.LBB2227_120:
	s_or_b64 exec, exec, s[18:19]
	s_and_b64 s[18:19], s[22:23], exec
	s_and_b64 s[0:1], s[20:21], exec
.LBB2227_121:
	s_or_b64 exec, exec, s[16:17]
	s_and_b64 s[18:19], s[18:19], exec
	s_and_b64 s[16:17], s[0:1], exec
.LBB2227_122:
	s_or_b64 exec, exec, s[14:15]
	s_and_b64 s[14:15], s[18:19], exec
	s_and_b64 s[0:1], s[16:17], exec
.LBB2227_123:
	s_or_b64 exec, exec, s[12:13]
	s_and_b64 s[14:15], s[14:15], exec
	s_and_b64 s[12:13], s[0:1], exec
.LBB2227_124:
	s_or_b64 exec, exec, s[10:11]
	s_and_b64 s[0:1], s[14:15], exec
	s_and_b64 s[10:11], s[12:13], exec
.LBB2227_125:
	s_or_b64 exec, exec, s[8:9]
	s_mov_b64 s[8:9], 0
	s_and_b64 vcc, exec, s[6:7]
	v_lshlrev_b32_e32 v54, 2, v0
	s_cbranch_vccnz .LBB2227_127
	s_branch .LBB2227_135
.LBB2227_126:
                                        ; implicit-def: $sgpr0_sgpr1
                                        ; implicit-def: $vgpr3
                                        ; implicit-def: $vgpr10_vgpr11
                                        ; implicit-def: $vgpr12_vgpr13
                                        ; implicit-def: $vgpr14_vgpr15
                                        ; implicit-def: $vgpr16_vgpr17
                                        ; implicit-def: $vgpr18_vgpr19
                                        ; implicit-def: $vgpr20_vgpr21
                                        ; implicit-def: $vgpr22_vgpr23
                                        ; implicit-def: $vgpr24_vgpr25
                                        ; implicit-def: $vgpr26_vgpr27
                                        ; implicit-def: $vgpr28_vgpr29
                                        ; implicit-def: $vgpr30_vgpr31
                                        ; implicit-def: $vgpr32_vgpr33
                                        ; implicit-def: $vgpr34_vgpr35
                                        ; implicit-def: $vgpr36_vgpr37
                                        ; implicit-def: $vgpr38_vgpr39
                                        ; implicit-def: $vgpr40_vgpr41
                                        ; implicit-def: $vgpr42_vgpr43
                                        ; implicit-def: $vgpr44_vgpr45
                                        ; implicit-def: $vgpr46_vgpr47
                                        ; implicit-def: $vgpr48_vgpr49
                                        ; implicit-def: $vgpr50_vgpr51
                                        ; implicit-def: $vgpr52_vgpr53
                                        ; implicit-def: $sgpr8_sgpr9
	s_and_b64 vcc, exec, s[6:7]
	v_lshlrev_b32_e32 v54, 2, v0
	s_cbranch_vccz .LBB2227_135
.LBB2227_127:
	v_mov_b32_e32 v55, 0
	v_lshl_add_u64 v[2:3], s[68:69], 0, v[54:55]
	v_add_co_u32_e32 v4, vcc, 0x1000, v2
	s_movk_i32 s0, 0x58
	s_nop 0
	v_addc_co_u32_e32 v5, vcc, 0, v3, vcc
	flat_load_dword v8, v[2:3]
	flat_load_dword v9, v[2:3] offset:1024
	s_waitcnt lgkmcnt(0)
	flat_load_dword v10, v[2:3] offset:2048
	flat_load_dword v11, v[2:3] offset:3072
	flat_load_dword v12, v[4:5]
	flat_load_dword v13, v[4:5] offset:1024
	flat_load_dword v14, v[4:5] offset:2048
	;; [unrolled: 1-line block ×3, first 2 shown]
	v_add_co_u32_e32 v4, vcc, 0x2000, v2
	v_mad_u32_u24 v1, v0, s0, v54
	s_nop 0
	v_addc_co_u32_e32 v5, vcc, 0, v3, vcc
	v_add_co_u32_e32 v6, vcc, 0x3000, v2
	s_cmp_eq_u64 s[80:81], 0
	s_nop 0
	v_addc_co_u32_e32 v7, vcc, 0, v3, vcc
	flat_load_dword v16, v[4:5]
	flat_load_dword v17, v[4:5] offset:1024
	flat_load_dword v18, v[4:5] offset:2048
	flat_load_dword v19, v[4:5] offset:3072
	flat_load_dword v20, v[6:7]
	flat_load_dword v21, v[6:7] offset:1024
	flat_load_dword v22, v[6:7] offset:2048
	;; [unrolled: 1-line block ×3, first 2 shown]
	v_add_co_u32_e32 v4, vcc, 0x4000, v2
	s_nop 1
	v_addc_co_u32_e32 v5, vcc, 0, v3, vcc
	v_add_co_u32_e32 v2, vcc, 0x5000, v2
	s_nop 1
	v_addc_co_u32_e32 v3, vcc, 0, v3, vcc
	flat_load_dword v6, v[4:5]
	flat_load_dword v7, v[4:5] offset:1024
	flat_load_dword v24, v[4:5] offset:2048
	;; [unrolled: 1-line block ×3, first 2 shown]
	flat_load_dword v26, v[2:3]
	flat_load_dword v27, v[2:3] offset:1024
	flat_load_dword v28, v[2:3] offset:2048
	s_waitcnt vmcnt(0)
	ds_write2st64_b32 v54, v8, v9 offset1:4
	s_waitcnt lgkmcnt(0)
	ds_write2st64_b32 v54, v10, v11 offset0:8 offset1:12
	ds_write2st64_b32 v54, v12, v13 offset0:16 offset1:20
	ds_write2st64_b32 v54, v14, v15 offset0:24 offset1:28
	ds_write2st64_b32 v54, v16, v17 offset0:32 offset1:36
	ds_write2st64_b32 v54, v18, v19 offset0:40 offset1:44
	ds_write2st64_b32 v54, v20, v21 offset0:48 offset1:52
	ds_write2st64_b32 v54, v22, v23 offset0:56 offset1:60
	ds_write2st64_b32 v54, v6, v7 offset0:64 offset1:68
	ds_write2st64_b32 v54, v24, v25 offset0:72 offset1:76
	ds_write2st64_b32 v54, v26, v27 offset0:80 offset1:84
	ds_write_b32 v54, v28 offset:22528
	s_waitcnt lgkmcnt(0)
	s_barrier
	ds_read2_b32 v[2:3], v1 offset1:1
	ds_read2_b32 v[18:19], v1 offset0:2 offset1:3
	ds_read2_b32 v[22:23], v1 offset0:4 offset1:5
	;; [unrolled: 1-line block ×10, first 2 shown]
	ds_read_b32 v10, v1 offset:88
	s_cbranch_scc1 .LBB2227_132
; %bb.128:
	s_andn2_b64 vcc, exec, s[78:79]
	s_cbranch_vccnz .LBB2227_268
; %bb.129:
	s_lshl_b64 s[0:1], s[80:81], 2
	s_add_u32 s0, s70, s0
	s_addc_u32 s1, s71, s1
	s_add_u32 s0, s0, -4
	s_addc_u32 s1, s1, -1
	s_cbranch_execnz .LBB2227_131
.LBB2227_130:
	s_add_u32 s0, s68, -4
	s_addc_u32 s1, s69, -1
.LBB2227_131:
	s_mov_b64 s[68:69], s[0:1]
.LBB2227_132:
	v_mov_b64_e32 v[12:13], s[68:69]
	flat_load_dword v11, v[12:13]
	s_movk_i32 s0, 0xffa8
	v_mad_i32_i24 v12, v0, s0, v1
	s_waitcnt lgkmcnt(0)
	ds_write_b32 v12, v10 offset:23552
	s_waitcnt lgkmcnt(0)
	s_barrier
	s_and_saveexec_b64 s[0:1], s[4:5]
	s_cbranch_execz .LBB2227_134
; %bb.133:
	s_waitcnt vmcnt(0)
	v_mul_i32_i24_e32 v11, 0xffffffa8, v0
	v_add_u32_e32 v11, v1, v11
	ds_read_b32 v11, v11 offset:23548
.LBB2227_134:
	s_or_b64 exec, exec, s[0:1]
	v_mov_b32_e32 v55, 0
	v_lshl_add_u64 v[12:13], s[60:61], 0, v[54:55]
	s_movk_i32 s0, 0x1000
	v_add_co_u32_e32 v14, vcc, s0, v12
	s_movk_i32 s0, 0x2000
	s_nop 0
	v_addc_co_u32_e32 v15, vcc, 0, v13, vcc
	s_waitcnt lgkmcnt(0)
	s_barrier
	flat_load_dword v20, v[12:13]
	flat_load_dword v21, v[12:13] offset:1024
	flat_load_dword v24, v[12:13] offset:2048
	;; [unrolled: 1-line block ×3, first 2 shown]
	flat_load_dword v28, v[14:15]
	flat_load_dword v29, v[14:15] offset:1024
	flat_load_dword v32, v[14:15] offset:2048
	;; [unrolled: 1-line block ×3, first 2 shown]
	v_add_co_u32_e32 v14, vcc, s0, v12
	s_movk_i32 s0, 0x3000
	s_nop 0
	v_addc_co_u32_e32 v15, vcc, 0, v13, vcc
	v_add_co_u32_e32 v16, vcc, s0, v12
	s_movk_i32 s0, 0x4000
	s_nop 0
	v_addc_co_u32_e32 v17, vcc, 0, v13, vcc
	flat_load_dword v36, v[14:15]
	flat_load_dword v37, v[14:15] offset:1024
	flat_load_dword v40, v[14:15] offset:2048
	;; [unrolled: 1-line block ×3, first 2 shown]
	flat_load_dword v44, v[16:17]
	flat_load_dword v45, v[16:17] offset:1024
	flat_load_dword v46, v[16:17] offset:2048
	;; [unrolled: 1-line block ×3, first 2 shown]
	v_add_co_u32_e32 v14, vcc, s0, v12
	s_movk_i32 s0, 0x5000
	s_nop 0
	v_addc_co_u32_e32 v15, vcc, 0, v13, vcc
	v_add_co_u32_e32 v12, vcc, s0, v12
	v_cmp_ne_u32_e64 s[0:1], v5, v10
	s_nop 0
	v_addc_co_u32_e32 v13, vcc, 0, v13, vcc
	flat_load_dword v16, v[14:15]
	flat_load_dword v17, v[14:15] offset:1024
	flat_load_dword v48, v[14:15] offset:2048
	;; [unrolled: 1-line block ×3, first 2 shown]
	flat_load_dword v50, v[12:13]
	flat_load_dword v51, v[12:13] offset:1024
	flat_load_dword v52, v[12:13] offset:2048
	s_waitcnt vmcnt(0)
	v_cmp_ne_u32_e32 vcc, v11, v2
	s_mov_b64 s[10:11], -1
                                        ; implicit-def: $sgpr8_sgpr9
	s_waitcnt lgkmcnt(0)
	ds_write2st64_b32 v54, v20, v21 offset1:4
	ds_write2st64_b32 v54, v24, v25 offset0:8 offset1:12
	ds_write2st64_b32 v54, v28, v29 offset0:16 offset1:20
	ds_write2st64_b32 v54, v32, v33 offset0:24 offset1:28
	ds_write2st64_b32 v54, v36, v37 offset0:32 offset1:36
	ds_write2st64_b32 v54, v40, v41 offset0:40 offset1:44
	ds_write2st64_b32 v54, v44, v45 offset0:48 offset1:52
	ds_write2st64_b32 v54, v46, v47 offset0:56 offset1:60
	ds_write2st64_b32 v54, v16, v17 offset0:64 offset1:68
	ds_write2st64_b32 v54, v48, v49 offset0:72 offset1:76
	ds_write2st64_b32 v54, v50, v51 offset0:80 offset1:84
	ds_write_b32 v54, v52 offset:22528
	v_cndmask_b32_e64 v11, 0, 1, vcc
	v_cmp_ne_u32_e32 vcc, v2, v3
	s_waitcnt lgkmcnt(0)
	s_barrier
	v_cndmask_b32_e64 v13, 0, 1, vcc
	v_cmp_ne_u32_e32 vcc, v3, v18
	ds_read2_b32 v[16:17], v1 offset1:1
	ds_read2_b32 v[20:21], v1 offset0:2 offset1:3
	ds_read2_b32 v[24:25], v1 offset0:4 offset1:5
	;; [unrolled: 1-line block ×10, first 2 shown]
	ds_read_b32 v3, v1 offset:88
	v_cndmask_b32_e64 v15, 0, 1, vcc
	v_cmp_ne_u32_e32 vcc, v18, v19
	s_waitcnt lgkmcnt(11)
	v_mov_b32_e32 v12, v17
	v_mov_b32_e32 v10, v16
	v_cndmask_b32_e64 v17, 0, 1, vcc
	v_cmp_ne_u32_e32 vcc, v19, v22
	s_waitcnt lgkmcnt(10)
	v_mov_b32_e32 v16, v21
	v_mov_b32_e32 v14, v20
	;; [unrolled: 5-line block ×5, first 2 shown]
	v_cndmask_b32_e64 v25, 0, 1, vcc
	v_cmp_ne_u32_e32 vcc, v27, v30
	s_waitcnt lgkmcnt(6)
	v_mov_b32_e32 v32, v37
	s_waitcnt lgkmcnt(2)
	v_mov_b32_e32 v48, v51
	v_cndmask_b32_e64 v27, 0, 1, vcc
	v_cmp_ne_u32_e32 vcc, v30, v31
	v_mov_b32_e32 v30, v36
	v_mov_b32_e32 v36, v41
	v_cndmask_b32_e64 v29, 0, 1, vcc
	v_cmp_ne_u32_e32 vcc, v31, v34
	s_waitcnt lgkmcnt(1)
	v_mov_b32_e32 v52, v57
	v_cndmask_b32_e64 v31, 0, 1, vcc
	v_cmp_ne_u32_e32 vcc, v34, v35
	v_mov_b32_e32 v34, v40
	v_mov_b32_e32 v40, v45
	v_cndmask_b32_e64 v33, 0, 1, vcc
	v_cmp_ne_u32_e32 vcc, v35, v38
	s_nop 1
	v_cndmask_b32_e64 v35, 0, 1, vcc
	v_cmp_ne_u32_e32 vcc, v38, v39
	v_mov_b32_e32 v38, v44
	v_mov_b32_e32 v44, v47
	v_cndmask_b32_e64 v37, 0, 1, vcc
	v_cmp_ne_u32_e32 vcc, v39, v42
	s_nop 1
	v_cndmask_b32_e64 v39, 0, 1, vcc
	v_cmp_ne_u32_e32 vcc, v42, v43
	v_mov_b32_e32 v42, v46
	v_mov_b32_e32 v46, v50
	v_cndmask_b32_e64 v41, 0, 1, vcc
	v_cmp_ne_u32_e32 vcc, v43, v8
	v_mov_b32_e32 v50, v56
	s_nop 0
	v_cndmask_b32_e64 v43, 0, 1, vcc
	v_cmp_ne_u32_e32 vcc, v8, v9
	s_nop 1
	v_cndmask_b32_e64 v45, 0, 1, vcc
	v_cmp_ne_u32_e32 vcc, v9, v6
	;; [unrolled: 3-line block ×5, first 2 shown]
	s_nop 1
	v_cndmask_b32_e64 v53, 0, 1, vcc
.LBB2227_135:
	v_mov_b64_e32 v[56:57], s[8:9]
	s_and_saveexec_b64 s[6:7], s[10:11]
	s_cbranch_execz .LBB2227_137
; %bb.136:
	v_cndmask_b32_e64 v57, 0, 1, s[0:1]
	s_waitcnt lgkmcnt(0)
	v_mov_b32_e32 v56, v3
.LBB2227_137:
	s_or_b64 exec, exec, s[6:7]
	s_mov_b32 s0, 0
	s_cmp_lg_u32 s75, 0
	v_or_b32_e32 v55, v57, v53
	v_lshrrev_b32_e32 v1, 5, v0
	v_cmp_gt_u32_e32 vcc, 64, v0
	s_waitcnt lgkmcnt(0)
	s_barrier
	s_cbranch_scc0 .LBB2227_172
; %bb.138:
	s_mov_b32 s1, 1
	v_cmp_gt_u64_e64 s[6:7], s[0:1], v[12:13]
	v_cmp_gt_u64_e64 s[8:9], s[0:1], v[14:15]
	v_cmp_gt_u64_e64 s[10:11], s[0:1], v[16:17]
	v_cndmask_b32_e64 v2, 0, v10, s[6:7]
	v_add_u32_e32 v2, v2, v12
	v_cndmask_b32_e64 v2, 0, v2, s[8:9]
	v_add_u32_e32 v2, v2, v14
	v_cndmask_b32_e64 v2, 0, v2, s[10:11]
	v_add_u32_e32 v2, v2, v16
	v_cmp_gt_u64_e64 s[12:13], s[0:1], v[18:19]
	v_cmp_gt_u64_e64 s[14:15], s[0:1], v[20:21]
	v_cmp_gt_u64_e64 s[16:17], s[0:1], v[22:23]
	v_cndmask_b32_e64 v2, 0, v2, s[12:13]
	v_add_u32_e32 v2, v2, v18
	v_cndmask_b32_e64 v2, 0, v2, s[14:15]
	v_add_u32_e32 v2, v2, v20
	v_cndmask_b32_e64 v2, 0, v2, s[16:17]
	v_add_u32_e32 v2, v2, v22
	v_cmp_gt_u64_e64 s[18:19], s[0:1], v[24:25]
	v_cmp_gt_u64_e64 s[20:21], s[0:1], v[26:27]
	v_cmp_gt_u64_e64 s[22:23], s[0:1], v[28:29]
	v_cndmask_b32_e64 v2, 0, v2, s[18:19]
	v_add_u32_e32 v2, v2, v24
	v_cndmask_b32_e64 v2, 0, v2, s[20:21]
	v_add_u32_e32 v2, v2, v26
	v_cndmask_b32_e64 v2, 0, v2, s[22:23]
	v_add_u32_e32 v2, v2, v28
	v_cmp_gt_u64_e64 s[24:25], s[0:1], v[30:31]
	v_cmp_gt_u64_e64 s[26:27], s[0:1], v[32:33]
	v_cmp_gt_u64_e64 s[28:29], s[0:1], v[34:35]
	v_cndmask_b32_e64 v2, 0, v2, s[24:25]
	v_add_u32_e32 v2, v2, v30
	v_cndmask_b32_e64 v2, 0, v2, s[26:27]
	v_add_u32_e32 v2, v2, v32
	v_cndmask_b32_e64 v2, 0, v2, s[28:29]
	v_add_u32_e32 v2, v2, v34
	v_cmp_gt_u64_e64 s[30:31], s[0:1], v[36:37]
	v_cmp_gt_u64_e64 s[34:35], s[0:1], v[38:39]
	v_cmp_gt_u64_e64 s[36:37], s[0:1], v[40:41]
	v_cndmask_b32_e64 v2, 0, v2, s[30:31]
	v_add_u32_e32 v2, v2, v36
	v_cndmask_b32_e64 v2, 0, v2, s[34:35]
	v_add_u32_e32 v2, v2, v38
	v_cndmask_b32_e64 v2, 0, v2, s[36:37]
	v_add_u32_e32 v2, v2, v40
	v_cmp_gt_u64_e64 s[38:39], s[0:1], v[42:43]
	v_cmp_gt_u64_e64 s[40:41], s[0:1], v[44:45]
	v_cmp_gt_u64_e64 s[42:43], s[0:1], v[46:47]
	v_cndmask_b32_e64 v2, 0, v2, s[38:39]
	v_add_u32_e32 v2, v2, v42
	v_cndmask_b32_e64 v2, 0, v2, s[40:41]
	v_add_u32_e32 v2, v2, v44
	v_cndmask_b32_e64 v2, 0, v2, s[42:43]
	v_add_u32_e32 v2, v2, v46
	v_cmp_gt_u64_e64 s[44:45], s[0:1], v[48:49]
	v_cmp_gt_u64_e64 s[46:47], s[0:1], v[50:51]
	v_cmp_gt_u64_e64 s[48:49], s[0:1], v[52:53]
	v_cndmask_b32_e64 v2, 0, v2, s[44:45]
	v_add_u32_e32 v2, v2, v48
	v_cndmask_b32_e64 v2, 0, v2, s[46:47]
	v_add_u32_e32 v2, v2, v50
	v_cndmask_b32_e64 v2, 0, v2, s[48:49]
	v_add_u32_e32 v2, v2, v52
	v_cmp_gt_u64_e64 s[50:51], s[0:1], v[56:57]
	s_nop 1
	v_cndmask_b32_e64 v2, 0, v2, s[50:51]
	v_add_u32_e32 v62, v2, v56
	v_or3_b32 v2, v55, v51, v49
	v_or3_b32 v2, v2, v47, v45
	;; [unrolled: 1-line block ×10, first 2 shown]
	v_and_b32_e32 v2, 1, v2
	v_cmp_eq_u32_e64 s[0:1], 1, v2
	v_add_lshl_u32 v2, v1, v0, 3
	s_nop 0
	v_cndmask_b32_e64 v63, v11, 1, s[0:1]
	ds_write_b32 v2, v62
	ds_write_b8 v2, v63 offset:4
	s_waitcnt lgkmcnt(0)
	s_barrier
	s_and_saveexec_b64 s[52:53], vcc
	s_cbranch_execz .LBB2227_150
; %bb.139:
	v_lshrrev_b32_e32 v2, 3, v0
	v_add_lshl_u32 v4, v2, v54, 3
	ds_read2_b32 v[6:7], v4 offset0:2 offset1:4
	ds_read_b64 v[2:3], v4
	ds_read_u8 v8, v4 offset:12
	ds_read_u8 v9, v4 offset:20
	ds_read_b32 v58, v4 offset:24
	ds_read_u8 v59, v4 offset:28
	v_mov_b32_e32 v60, 0
	s_waitcnt lgkmcnt(3)
	v_cmp_eq_u16_sdwa s[0:1], v8, v60 src0_sel:BYTE_0 src1_sel:DWORD
	v_and_b32_e32 v5, 1, v3
	s_nop 0
	v_cndmask_b32_e64 v61, 0, v2, s[0:1]
	v_add_u32_e32 v6, v61, v6
	s_waitcnt lgkmcnt(2)
	v_cmp_eq_u16_sdwa s[0:1], v9, v60 src0_sel:BYTE_0 src1_sel:DWORD
	s_nop 1
	v_cndmask_b32_e64 v6, 0, v6, s[0:1]
	v_add_u32_e32 v6, v6, v7
	s_waitcnt lgkmcnt(0)
	v_cmp_eq_u16_e64 s[0:1], 0, v59
	s_nop 1
	v_cndmask_b32_e64 v6, 0, v6, s[0:1]
	v_add_u32_e32 v7, v6, v58
	v_or_b32_e32 v6, v59, v9
	v_or_b32_e32 v6, v6, v8
	v_and_b32_e32 v6, 1, v6
	v_cmp_eq_u32_e64 s[0:1], 1, v6
	v_mbcnt_lo_u32_b32 v8, -1, 0
	v_and_b32_e32 v6, 0xffffff00, v3
	v_cndmask_b32_e64 v9, v5, 1, s[0:1]
	v_mbcnt_hi_u32_b32 v8, -1, v8
	v_and_b32_e32 v59, 15, v8
	v_or_b32_sdwa v58, v6, v9 dst_sel:DWORD dst_unused:UNUSED_PAD src0_sel:DWORD src1_sel:WORD_0
	v_mov_b32_dpp v60, v7 row_shr:1 row_mask:0xf bank_mask:0xf
	v_cmp_ne_u32_e64 s[0:1], 0, v59
	v_mov_b32_dpp v61, v58 row_shr:1 row_mask:0xf bank_mask:0xf
	s_and_saveexec_b64 s[60:61], s[0:1]
; %bb.140:
	v_and_b32_e32 v58, 1, v9
	v_and_b32_e32 v61, 1, v61
	v_cmp_eq_u32_e64 s[0:1], 1, v58
	s_nop 1
	v_cndmask_b32_e64 v61, v61, 1, s[0:1]
	v_cmp_eq_u16_e64 s[0:1], 0, v9
	v_or_b32_sdwa v58, v6, v61 dst_sel:DWORD dst_unused:UNUSED_PAD src0_sel:DWORD src1_sel:WORD_0
	s_nop 0
	v_cndmask_b32_e64 v9, 0, v60, s[0:1]
	v_add_u32_e32 v7, v9, v7
	v_mov_b32_e32 v9, v61
; %bb.141:
	s_or_b64 exec, exec, s[60:61]
	v_mov_b32_dpp v60, v7 row_shr:2 row_mask:0xf bank_mask:0xf
	v_mov_b32_dpp v61, v58 row_shr:2 row_mask:0xf bank_mask:0xf
	v_cmp_lt_u32_e64 s[0:1], 1, v59
	s_and_saveexec_b64 s[60:61], s[0:1]
; %bb.142:
	v_and_b32_e32 v58, 1, v9
	v_and_b32_e32 v61, 1, v61
	v_cmp_eq_u32_e64 s[0:1], 1, v58
	s_nop 1
	v_cndmask_b32_e64 v61, v61, 1, s[0:1]
	v_cmp_eq_u16_e64 s[0:1], 0, v9
	v_or_b32_sdwa v58, v6, v61 dst_sel:DWORD dst_unused:UNUSED_PAD src0_sel:DWORD src1_sel:WORD_0
	s_nop 0
	v_cndmask_b32_e64 v9, 0, v60, s[0:1]
	v_add_u32_e32 v7, v9, v7
	v_mov_b32_e32 v9, v61
; %bb.143:
	s_or_b64 exec, exec, s[60:61]
	v_mov_b32_dpp v60, v7 row_shr:4 row_mask:0xf bank_mask:0xf
	v_mov_b32_dpp v61, v58 row_shr:4 row_mask:0xf bank_mask:0xf
	v_cmp_lt_u32_e64 s[0:1], 3, v59
	;; [unrolled: 18-line block ×3, first 2 shown]
	s_and_saveexec_b64 s[60:61], s[0:1]
; %bb.146:
	v_and_b32_e32 v58, 1, v9
	v_and_b32_e32 v59, 1, v61
	v_cmp_eq_u32_e64 s[0:1], 1, v58
	s_nop 1
	v_cndmask_b32_e64 v59, v59, 1, s[0:1]
	v_cmp_eq_u16_e64 s[0:1], 0, v9
	v_or_b32_sdwa v58, v6, v59 dst_sel:DWORD dst_unused:UNUSED_PAD src0_sel:DWORD src1_sel:WORD_0
	s_nop 0
	v_cndmask_b32_e64 v9, 0, v60, s[0:1]
	v_add_u32_e32 v7, v9, v7
	v_mov_b32_e32 v9, v59
; %bb.147:
	s_or_b64 exec, exec, s[60:61]
	v_and_b32_e32 v61, 16, v8
	v_mov_b32_dpp v59, v7 row_bcast:15 row_mask:0xf bank_mask:0xf
	v_mov_b32_dpp v60, v58 row_bcast:15 row_mask:0xf bank_mask:0xf
	v_cmp_ne_u32_e64 s[0:1], 0, v61
	s_and_saveexec_b64 s[60:61], s[0:1]
; %bb.148:
	v_and_b32_e32 v58, 1, v9
	v_and_b32_e32 v60, 1, v60
	v_cmp_eq_u32_e64 s[0:1], 1, v58
	s_nop 1
	v_cndmask_b32_e64 v60, v60, 1, s[0:1]
	v_cmp_eq_u16_e64 s[0:1], 0, v9
	v_or_b32_sdwa v58, v6, v60 dst_sel:DWORD dst_unused:UNUSED_PAD src0_sel:DWORD src1_sel:WORD_0
	s_nop 0
	v_cndmask_b32_e64 v9, 0, v59, s[0:1]
	v_add_u32_e32 v7, v9, v7
	v_mov_b32_e32 v9, v60
; %bb.149:
	s_or_b64 exec, exec, s[60:61]
	v_mov_b32_dpp v58, v58 row_bcast:31 row_mask:0xf bank_mask:0xf
	v_and_b32_e32 v60, 1, v9
	v_and_b32_e32 v58, 1, v58
	v_cmp_eq_u32_e64 s[0:1], 1, v60
	v_mov_b32_e32 v60, 0
	v_cmp_eq_u16_sdwa s[60:61], v9, v60 src0_sel:BYTE_0 src1_sel:DWORD
	v_cndmask_b32_e64 v58, v58, 1, s[0:1]
	v_cmp_lt_u32_e64 s[0:1], 31, v8
	v_mov_b32_dpp v59, v7 row_bcast:31 row_mask:0xf bank_mask:0xf
	s_movk_i32 s64, 0xff
	v_cndmask_b32_e64 v9, v9, v58, s[0:1]
	s_and_b64 s[0:1], s[0:1], s[60:61]
	v_cndmask_b32_e64 v58, 0, v59, s[0:1]
	v_add_u32_e32 v7, v58, v7
	v_add_u32_e32 v58, -1, v8
	v_and_b32_e32 v59, 64, v8
	v_cmp_lt_i32_e64 s[0:1], v58, v59
	v_and_or_b32 v6, v9, s64, v6
	s_nop 0
	v_cndmask_b32_e64 v8, v58, v8, s[0:1]
	v_lshlrev_b32_e32 v8, 2, v8
	ds_bpermute_b32 v7, v8, v7
	ds_bpermute_b32 v6, v8, v6
	v_cmp_eq_u16_sdwa s[0:1], v3, v60 src0_sel:BYTE_0 src1_sel:DWORD
	; wave barrier
	s_waitcnt lgkmcnt(1)
	s_nop 0
	v_cndmask_b32_e64 v3, 0, v7, s[0:1]
	v_add_u32_e32 v2, v3, v2
	s_waitcnt lgkmcnt(0)
	v_and_b32_e32 v3, 1, v6
	v_cmp_eq_u32_e64 s[0:1], 1, v5
	v_cndmask_b32_e64 v5, v2, v62, s[54:55]
	s_nop 0
	v_cndmask_b32_e64 v3, v3, 1, s[0:1]
	v_cndmask_b32_e64 v6, v3, v63, s[54:55]
	ds_write_b32 v4, v5
	ds_write_b8 v4, v6 offset:4
	; wave barrier
	ds_read_u8 v7, v4 offset:12
	ds_read2_b32 v[2:3], v4 offset0:2 offset1:4
	ds_read_u8 v8, v4 offset:20
	ds_read_b32 v9, v4 offset:24
	ds_read_u8 v58, v4 offset:28
	s_waitcnt lgkmcnt(4)
	v_cmp_eq_u16_e64 s[0:1], 0, v7
	s_nop 1
	v_cndmask_b32_e64 v5, 0, v5, s[0:1]
	s_waitcnt lgkmcnt(3)
	v_add_u32_e32 v2, v5, v2
	v_and_b32_e32 v5, 1, v7
	v_cmp_eq_u32_e64 s[0:1], 1, v5
	s_nop 1
	v_cndmask_b32_e64 v5, v6, 1, s[0:1]
	s_waitcnt lgkmcnt(2)
	v_cmp_eq_u16_e64 s[0:1], 0, v8
	ds_write_b8 v4, v5 offset:12
	s_nop 0
	v_cndmask_b32_e64 v6, 0, v2, s[0:1]
	v_add_u32_e32 v3, v6, v3
	v_and_b32_e32 v6, 1, v8
	v_cmp_eq_u32_e64 s[0:1], 1, v6
	s_nop 1
	v_cndmask_b32_e64 v5, v5, 1, s[0:1]
	s_waitcnt lgkmcnt(1)
	v_cmp_eq_u16_e64 s[0:1], 0, v58
	ds_write2_b32 v4, v2, v3 offset0:2 offset1:4
	ds_write_b8 v4, v5 offset:20
	v_cndmask_b32_e64 v2, 0, v3, s[0:1]
	v_and_b32_e32 v3, 1, v58
	v_add_u32_e32 v2, v2, v9
	v_cmp_eq_u32_e64 s[0:1], 1, v3
	s_nop 1
	v_cndmask_b32_e64 v3, v5, 1, s[0:1]
	ds_write_b32 v4, v2 offset:24
	ds_write_b8 v4, v3 offset:28
.LBB2227_150:
	s_or_b64 exec, exec, s[52:53]
	s_waitcnt lgkmcnt(0)
	s_barrier
	s_and_saveexec_b64 s[0:1], s[4:5]
	s_cbranch_execz .LBB2227_152
; %bb.151:
	v_add_u32_e32 v2, -1, v0
	v_lshrrev_b32_e32 v3, 5, v2
	v_add_lshl_u32 v2, v3, v2, 3
	ds_read_b32 v62, v2
	ds_read_u8 v63, v2 offset:4
.LBB2227_152:
	s_or_b64 exec, exec, s[0:1]
	s_and_saveexec_b64 s[60:61], vcc
	s_cbranch_execz .LBB2227_171
; %bb.153:
	v_mov_b32_e32 v5, 0
	ds_read_b64 v[2:3], v5 offset:2096
	v_mbcnt_lo_u32_b32 v4, -1, 0
	v_mbcnt_hi_u32_b32 v73, -1, v4
	s_mov_b32 s65, 0
	v_cmp_eq_u32_e64 s[52:53], 0, v73
	s_waitcnt lgkmcnt(0)
	v_readfirstlane_b32 s70, v3
	s_and_saveexec_b64 s[0:1], s[52:53]
	s_cbranch_execz .LBB2227_155
; %bb.154:
	s_add_i32 s64, s75, 64
	s_lshl_b64 s[68:69], s[64:65], 4
	s_add_u32 s68, s72, s68
	s_addc_u32 s69, s73, s69
	s_and_b32 s79, s70, 0xff000000
	s_mov_b32 s78, s65
	s_and_b32 s81, s70, 0xff0000
	s_mov_b32 s80, s65
	s_or_b64 s[78:79], s[80:81], s[78:79]
	s_and_b32 s81, s70, 0xff00
	s_or_b64 s[78:79], s[78:79], s[80:81]
	s_and_b32 s81, s70, 0xff
	s_or_b64 s[64:65], s[78:79], s[80:81]
	v_mov_b32_e32 v3, s65
	v_mov_b32_e32 v4, 1
	v_mov_b64_e32 v[6:7], s[68:69]
	;;#ASMSTART
	global_store_dwordx4 v[6:7], v[2:5] off sc1	
s_waitcnt vmcnt(0)
	;;#ASMEND
.LBB2227_155:
	s_or_b64 exec, exec, s[0:1]
	v_xad_u32 v58, v73, -1, s75
	v_add_u32_e32 v4, 64, v58
	v_lshl_add_u64 v[60:61], v[4:5], 4, s[72:73]
	;;#ASMSTART
	global_load_dwordx4 v[6:9], v[60:61] off sc1	
s_waitcnt vmcnt(0)
	;;#ASMEND
	s_nop 0
	v_and_b32_e32 v3, 0xff0000, v6
	v_and_b32_e32 v4, 0xff000000, v6
	;; [unrolled: 1-line block ×3, first 2 shown]
	v_or_b32_sdwa v3, v6, v3 dst_sel:DWORD dst_unused:UNUSED_PAD src0_sel:WORD_0 src1_sel:DWORD
	v_or3_b32 v7, 0, 0, v7
	v_or3_b32 v6, v3, v4, 0
	v_cmp_eq_u16_sdwa s[64:65], v8, v5 src0_sel:BYTE_0 src1_sel:DWORD
	s_and_saveexec_b64 s[0:1], s[64:65]
	s_cbranch_execz .LBB2227_159
; %bb.156:
	s_mov_b64 s[64:65], 0
	v_mov_b32_e32 v3, 0
.LBB2227_157:                           ; =>This Inner Loop Header: Depth=1
	;;#ASMSTART
	global_load_dwordx4 v[6:9], v[60:61] off sc1	
s_waitcnt vmcnt(0)
	;;#ASMEND
	s_nop 0
	v_cmp_ne_u16_sdwa s[68:69], v8, v3 src0_sel:BYTE_0 src1_sel:DWORD
	s_or_b64 s[64:65], s[68:69], s[64:65]
	s_andn2_b64 exec, exec, s[64:65]
	s_cbranch_execnz .LBB2227_157
; %bb.158:
	s_or_b64 exec, exec, s[64:65]
	v_and_b32_e32 v7, 0xff, v7
.LBB2227_159:
	s_or_b64 exec, exec, s[0:1]
	v_mov_b32_e32 v3, 2
	v_cmp_eq_u16_sdwa s[0:1], v8, v3 src0_sel:BYTE_0 src1_sel:DWORD
	v_lshlrev_b64 v[4:5], v73, -1
	v_and_b32_e32 v64, 63, v73
	v_and_b32_e32 v9, s1, v5
	v_or_b32_e32 v9, 0x80000000, v9
	v_and_b32_e32 v59, s0, v4
	v_ffbl_b32_e32 v9, v9
	v_add_u32_e32 v9, 32, v9
	v_ffbl_b32_e32 v59, v59
	v_cmp_ne_u32_e32 vcc, 63, v64
	v_min_u32_e32 v9, v59, v9
	s_mov_b32 s64, 0
	v_addc_co_u32_e32 v59, vcc, 0, v73, vcc
	v_lshlrev_b32_e32 v65, 2, v59
	ds_bpermute_b32 v59, v65, v7
	ds_bpermute_b32 v60, v65, v6
	v_and_b32_e32 v61, 1, v7
	s_mov_b32 s65, 1
	v_cmp_eq_u32_e32 vcc, 1, v61
	s_waitcnt lgkmcnt(1)
	v_and_b32_e32 v59, 1, v59
	v_cmp_lt_u32_e64 s[0:1], v64, v9
	v_cndmask_b32_e64 v59, v59, 1, vcc
	v_cmp_gt_u64_e32 vcc, s[64:65], v[6:7]
	s_and_b64 vcc, s[0:1], vcc
	v_and_b32_e32 v61, 0xffff, v59
	v_cndmask_b32_e64 v68, v7, v59, s[0:1]
	s_waitcnt lgkmcnt(0)
	v_cndmask_b32_e32 v59, 0, v60, vcc
	v_cmp_gt_u32_e32 vcc, 62, v64
	v_cndmask_b32_e64 v7, v7, v61, s[0:1]
	v_add_u32_e32 v6, v59, v6
	v_cndmask_b32_e64 v60, 0, 1, vcc
	v_lshlrev_b32_e32 v60, 1, v60
	v_add_lshl_u32 v66, v60, v73, 2
	ds_bpermute_b32 v60, v66, v7
	ds_bpermute_b32 v61, v66, v6
	v_and_b32_e32 v59, 1, v68
	v_cmp_eq_u32_e32 vcc, 1, v59
	v_mov_b32_e32 v59, 0
	s_waitcnt lgkmcnt(1)
	v_and_b32_e32 v60, 1, v60
	v_add_u32_e32 v67, 2, v64
	v_cndmask_b32_e64 v60, v60, 1, vcc
	v_cmp_eq_u16_sdwa vcc, v68, v59 src0_sel:BYTE_0 src1_sel:DWORD
	v_and_b32_e32 v69, 0xffff, v60
	v_add_u32_e32 v77, 32, v64
	s_waitcnt lgkmcnt(0)
	v_cndmask_b32_e32 v61, 0, v61, vcc
	v_cmp_gt_u32_e32 vcc, v67, v9
	s_nop 1
	v_cndmask_b32_e32 v60, v60, v68, vcc
	v_cndmask_b32_e64 v61, v61, 0, vcc
	v_cndmask_b32_e32 v7, v69, v7, vcc
	v_cmp_gt_u32_e32 vcc, 60, v64
	v_add_u32_e32 v6, v61, v6
	v_and_b32_e32 v71, 1, v60
	v_cndmask_b32_e64 v68, 0, 1, vcc
	v_lshlrev_b32_e32 v68, 2, v68
	v_add_lshl_u32 v68, v68, v73, 2
	ds_bpermute_b32 v70, v68, v7
	ds_bpermute_b32 v61, v68, v6
	v_cmp_eq_u32_e32 vcc, 1, v71
	v_add_u32_e32 v69, 4, v64
	s_waitcnt lgkmcnt(1)
	v_and_b32_e32 v70, 1, v70
	v_cndmask_b32_e64 v70, v70, 1, vcc
	v_cmp_eq_u16_sdwa vcc, v60, v59 src0_sel:BYTE_0 src1_sel:DWORD
	v_and_b32_e32 v71, 0xffff, v70
	s_waitcnt lgkmcnt(0)
	v_cndmask_b32_e32 v61, 0, v61, vcc
	v_cmp_gt_u32_e32 vcc, v69, v9
	s_nop 1
	v_cndmask_b32_e32 v60, v70, v60, vcc
	v_cndmask_b32_e64 v61, v61, 0, vcc
	v_cndmask_b32_e32 v7, v71, v7, vcc
	v_cmp_gt_u32_e32 vcc, 56, v64
	v_add_u32_e32 v6, v61, v6
	v_and_b32_e32 v74, 1, v60
	v_cndmask_b32_e64 v70, 0, 1, vcc
	v_lshlrev_b32_e32 v70, 3, v70
	v_add_lshl_u32 v70, v70, v73, 2
	ds_bpermute_b32 v72, v70, v7
	ds_bpermute_b32 v61, v70, v6
	v_cmp_eq_u32_e32 vcc, 1, v74
	v_add_u32_e32 v71, 8, v64
	s_waitcnt lgkmcnt(1)
	v_and_b32_e32 v72, 1, v72
	v_cndmask_b32_e64 v72, v72, 1, vcc
	v_cmp_eq_u16_sdwa vcc, v60, v59 src0_sel:BYTE_0 src1_sel:DWORD
	v_and_b32_e32 v74, 0xffff, v72
	;; [unrolled: 22-line block ×3, first 2 shown]
	s_waitcnt lgkmcnt(0)
	v_cndmask_b32_e32 v61, 0, v61, vcc
	v_cmp_gt_u32_e32 vcc, v74, v9
	s_nop 1
	v_cndmask_b32_e32 v60, v75, v60, vcc
	v_cndmask_b32_e64 v61, v61, 0, vcc
	v_cndmask_b32_e32 v7, v76, v7, vcc
	v_cmp_gt_u32_e32 vcc, 32, v64
	v_add_u32_e32 v6, v61, v6
	s_nop 0
	v_cndmask_b32_e64 v75, 0, 1, vcc
	v_lshlrev_b32_e32 v75, 5, v75
	v_add_lshl_u32 v76, v75, v73, 2
	ds_bpermute_b32 v7, v76, v7
	ds_bpermute_b32 v61, v76, v6
	v_and_b32_e32 v73, 1, v60
	v_cmp_eq_u32_e32 vcc, 1, v73
	s_waitcnt lgkmcnt(1)
	v_and_b32_e32 v7, 1, v7
	v_cndmask_b32_e64 v7, v7, 1, vcc
	v_cmp_eq_u16_sdwa vcc, v60, v59 src0_sel:BYTE_0 src1_sel:DWORD
	s_waitcnt lgkmcnt(0)
	s_nop 0
	v_cndmask_b32_e32 v61, 0, v61, vcc
	v_cmp_gt_u32_e32 vcc, v77, v9
	s_nop 1
	v_cndmask_b32_e64 v9, v61, 0, vcc
	v_cndmask_b32_e32 v7, v7, v60, vcc
	v_add_u32_e32 v6, v9, v6
	s_branch .LBB2227_161
.LBB2227_160:                           ;   in Loop: Header=BB2227_161 Depth=1
	s_or_b64 exec, exec, s[0:1]
	v_cmp_eq_u16_sdwa s[0:1], v8, v3 src0_sel:BYTE_0 src1_sel:DWORD
	ds_bpermute_b32 v61, v65, v7
	v_and_b32_e32 v78, 1, v7
	v_and_b32_e32 v9, s1, v5
	v_or_b32_e32 v9, 0x80000000, v9
	v_and_b32_e32 v60, s0, v4
	v_ffbl_b32_e32 v9, v9
	v_add_u32_e32 v9, 32, v9
	v_ffbl_b32_e32 v60, v60
	v_min_u32_e32 v9, v60, v9
	ds_bpermute_b32 v60, v65, v6
	s_waitcnt lgkmcnt(1)
	v_and_b32_e32 v61, 1, v61
	v_cmp_eq_u32_e32 vcc, 1, v78
	v_cmp_lt_u32_e64 s[0:1], v64, v9
	v_subrev_u32_e32 v58, 64, v58
	v_cndmask_b32_e64 v61, v61, 1, vcc
	v_cmp_gt_u64_e32 vcc, s[64:65], v[6:7]
	v_and_b32_e32 v78, 0xffff, v61
	v_cndmask_b32_e64 v61, v7, v61, s[0:1]
	v_cndmask_b32_e64 v7, v7, v78, s[0:1]
	s_and_b64 vcc, s[0:1], vcc
	ds_bpermute_b32 v78, v66, v7
	s_waitcnt lgkmcnt(1)
	v_cndmask_b32_e32 v60, 0, v60, vcc
	v_add_u32_e32 v6, v60, v6
	ds_bpermute_b32 v60, v66, v6
	v_and_b32_e32 v79, 1, v61
	s_waitcnt lgkmcnt(1)
	v_and_b32_e32 v78, 1, v78
	v_cmp_eq_u32_e32 vcc, 1, v79
	s_nop 1
	v_cndmask_b32_e64 v78, v78, 1, vcc
	v_cmp_eq_u16_sdwa vcc, v61, v59 src0_sel:BYTE_0 src1_sel:DWORD
	v_and_b32_e32 v79, 0xffff, v78
	s_waitcnt lgkmcnt(0)
	v_cndmask_b32_e32 v60, 0, v60, vcc
	v_cmp_gt_u32_e32 vcc, v67, v9
	s_nop 1
	v_cndmask_b32_e32 v7, v79, v7, vcc
	v_cndmask_b32_e32 v61, v78, v61, vcc
	ds_bpermute_b32 v78, v68, v7
	v_cndmask_b32_e64 v60, v60, 0, vcc
	v_add_u32_e32 v6, v60, v6
	ds_bpermute_b32 v60, v68, v6
	v_and_b32_e32 v79, 1, v61
	s_waitcnt lgkmcnt(1)
	v_and_b32_e32 v78, 1, v78
	v_cmp_eq_u32_e32 vcc, 1, v79
	s_nop 1
	v_cndmask_b32_e64 v78, v78, 1, vcc
	v_cmp_eq_u16_sdwa vcc, v61, v59 src0_sel:BYTE_0 src1_sel:DWORD
	v_and_b32_e32 v79, 0xffff, v78
	s_waitcnt lgkmcnt(0)
	v_cndmask_b32_e32 v60, 0, v60, vcc
	v_cmp_gt_u32_e32 vcc, v69, v9
	s_nop 1
	v_cndmask_b32_e32 v7, v79, v7, vcc
	v_cndmask_b32_e32 v61, v78, v61, vcc
	ds_bpermute_b32 v78, v70, v7
	v_cndmask_b32_e64 v60, v60, 0, vcc
	v_add_u32_e32 v6, v60, v6
	ds_bpermute_b32 v60, v70, v6
	v_and_b32_e32 v79, 1, v61
	s_waitcnt lgkmcnt(1)
	v_and_b32_e32 v78, 1, v78
	v_cmp_eq_u32_e32 vcc, 1, v79
	s_nop 1
	v_cndmask_b32_e64 v78, v78, 1, vcc
	v_cmp_eq_u16_sdwa vcc, v61, v59 src0_sel:BYTE_0 src1_sel:DWORD
	v_and_b32_e32 v79, 0xffff, v78
	s_waitcnt lgkmcnt(0)
	v_cndmask_b32_e32 v60, 0, v60, vcc
	v_cmp_gt_u32_e32 vcc, v71, v9
	s_nop 1
	v_cndmask_b32_e32 v7, v79, v7, vcc
	v_cndmask_b32_e32 v61, v78, v61, vcc
	ds_bpermute_b32 v78, v72, v7
	v_cndmask_b32_e64 v60, v60, 0, vcc
	v_add_u32_e32 v6, v60, v6
	ds_bpermute_b32 v60, v72, v6
	v_and_b32_e32 v79, 1, v61
	s_waitcnt lgkmcnt(1)
	v_and_b32_e32 v78, 1, v78
	v_cmp_eq_u32_e32 vcc, 1, v79
	s_nop 1
	v_cndmask_b32_e64 v78, v78, 1, vcc
	v_cmp_eq_u16_sdwa vcc, v61, v59 src0_sel:BYTE_0 src1_sel:DWORD
	v_and_b32_e32 v79, 0xffff, v78
	s_waitcnt lgkmcnt(0)
	v_cndmask_b32_e32 v60, 0, v60, vcc
	v_cmp_gt_u32_e32 vcc, v74, v9
	s_nop 1
	v_cndmask_b32_e64 v60, v60, 0, vcc
	v_cndmask_b32_e32 v7, v79, v7, vcc
	ds_bpermute_b32 v7, v76, v7
	v_add_u32_e32 v6, v60, v6
	ds_bpermute_b32 v60, v76, v6
	v_cndmask_b32_e32 v61, v78, v61, vcc
	v_and_b32_e32 v78, 1, v61
	v_cmp_eq_u32_e32 vcc, 1, v78
	s_waitcnt lgkmcnt(1)
	s_nop 0
	v_cndmask_b32_e64 v7, v7, 1, vcc
	v_cmp_eq_u16_sdwa vcc, v61, v59 src0_sel:BYTE_0 src1_sel:DWORD
	s_waitcnt lgkmcnt(0)
	s_nop 0
	v_cndmask_b32_e32 v60, 0, v60, vcc
	v_cmp_gt_u32_e32 vcc, v77, v9
	s_nop 1
	v_cndmask_b32_e64 v9, v60, 0, vcc
	v_cndmask_b32_e32 v7, v7, v61, vcc
	v_add_u32_e32 v6, v9, v6
	v_cmp_eq_u16_sdwa vcc, v73, v59 src0_sel:BYTE_0 src1_sel:DWORD
	v_and_b32_e32 v9, 1, v73
	v_and_b32_e32 v7, 1, v7
	v_cndmask_b32_e32 v6, 0, v6, vcc
	v_cmp_eq_u32_e32 vcc, 1, v9
	v_add_u32_e32 v6, v6, v75
	s_nop 0
	v_cndmask_b32_e64 v7, v7, 1, vcc
.LBB2227_161:                           ; =>This Loop Header: Depth=1
                                        ;     Child Loop BB2227_164 Depth 2
	v_cmp_ne_u16_sdwa s[0:1], v8, v3 src0_sel:BYTE_0 src1_sel:DWORD
	v_mov_b32_e32 v73, v7
	v_mov_b32_e32 v75, v6
	v_cndmask_b32_e64 v7, 0, 1, s[0:1]
	;;#ASMSTART
	;;#ASMEND
	s_nop 0
	v_cmp_ne_u32_e32 vcc, 0, v7
	s_cmp_lg_u64 vcc, exec
	s_cbranch_scc1 .LBB2227_166
; %bb.162:                              ;   in Loop: Header=BB2227_161 Depth=1
	v_lshl_add_u64 v[60:61], v[58:59], 4, s[72:73]
	;;#ASMSTART
	global_load_dwordx4 v[6:9], v[60:61] off sc1	
s_waitcnt vmcnt(0)
	;;#ASMEND
	s_nop 0
	v_and_b32_e32 v9, 0xff0000, v6
	v_and_b32_e32 v78, 0xff000000, v6
	;; [unrolled: 1-line block ×3, first 2 shown]
	v_or_b32_sdwa v6, v6, v9 dst_sel:DWORD dst_unused:UNUSED_PAD src0_sel:WORD_0 src1_sel:DWORD
	v_or3_b32 v7, 0, 0, v7
	v_or3_b32 v6, v6, v78, 0
	v_cmp_eq_u16_sdwa s[68:69], v8, v59 src0_sel:BYTE_0 src1_sel:DWORD
	s_and_saveexec_b64 s[0:1], s[68:69]
	s_cbranch_execz .LBB2227_160
; %bb.163:                              ;   in Loop: Header=BB2227_161 Depth=1
	s_mov_b64 s[68:69], 0
.LBB2227_164:                           ;   Parent Loop BB2227_161 Depth=1
                                        ; =>  This Inner Loop Header: Depth=2
	;;#ASMSTART
	global_load_dwordx4 v[6:9], v[60:61] off sc1	
s_waitcnt vmcnt(0)
	;;#ASMEND
	s_nop 0
	v_cmp_ne_u16_sdwa s[78:79], v8, v59 src0_sel:BYTE_0 src1_sel:DWORD
	s_or_b64 s[68:69], s[78:79], s[68:69]
	s_andn2_b64 exec, exec, s[68:69]
	s_cbranch_execnz .LBB2227_164
; %bb.165:                              ;   in Loop: Header=BB2227_161 Depth=1
	s_or_b64 exec, exec, s[68:69]
	v_and_b32_e32 v7, 0xff, v7
	s_branch .LBB2227_160
.LBB2227_166:                           ;   in Loop: Header=BB2227_161 Depth=1
                                        ; implicit-def: $vgpr7
                                        ; implicit-def: $vgpr6
                                        ; implicit-def: $vgpr8
	s_cbranch_execz .LBB2227_161
; %bb.167:
	s_and_saveexec_b64 s[0:1], s[52:53]
	s_cbranch_execz .LBB2227_169
; %bb.168:
	s_and_b32 s52, s70, 0xff
	s_cmp_eq_u32 s52, 0
	s_cselect_b64 vcc, -1, 0
	s_bitcmp1_b32 s70, 0
	s_mov_b32 s53, 0
	s_cselect_b64 s[64:65], -1, 0
	s_add_i32 s52, s75, 64
	s_lshl_b64 s[52:53], s[52:53], 4
	v_cndmask_b32_e32 v3, 0, v75, vcc
	s_add_u32 s52, s72, s52
	v_add_u32_e32 v2, v3, v2
	v_and_b32_e32 v3, 1, v73
	s_addc_u32 s53, s73, s53
	v_mov_b32_e32 v5, 0
	v_cndmask_b32_e64 v3, v3, 1, s[64:65]
	v_mov_b32_e32 v4, 2
	v_mov_b64_e32 v[6:7], s[52:53]
	;;#ASMSTART
	global_store_dwordx4 v[6:7], v[2:5] off sc1	
s_waitcnt vmcnt(0)
	;;#ASMEND
.LBB2227_169:
	s_or_b64 exec, exec, s[0:1]
	s_and_b64 exec, exec, s[54:55]
	s_cbranch_execz .LBB2227_171
; %bb.170:
	v_mov_b32_e32 v2, 0
	ds_write_b32 v2, v75
	ds_write_b8 v2, v73 offset:4
.LBB2227_171:
	s_or_b64 exec, exec, s[60:61]
	s_mov_b32 s0, 0
	v_mov_b32_e32 v2, 0
	s_mov_b32 s1, 1
	s_waitcnt lgkmcnt(0)
	s_barrier
	ds_read_b32 v3, v2
	v_cmp_gt_u64_e32 vcc, s[0:1], v[10:11]
	v_and_b32_e32 v5, 1, v11
	v_and_b32_e32 v6, 1, v63
	v_cndmask_b32_e32 v4, 0, v62, vcc
	v_cmp_eq_u32_e32 vcc, 1, v5
	v_cndmask_b32_e64 v4, v4, 0, s[54:55]
	s_nop 0
	v_cndmask_b32_e64 v5, v6, 1, vcc
	v_cndmask_b32_e64 v5, v5, v11, s[54:55]
	v_cmp_eq_u16_sdwa vcc, v5, v2 src0_sel:BYTE_0 src1_sel:DWORD
	s_waitcnt lgkmcnt(0)
	s_nop 0
	v_cndmask_b32_e32 v2, 0, v3, vcc
	v_add3_u32 v80, v4, v10, v2
	v_cndmask_b32_e64 v2, 0, v80, s[6:7]
	v_add_u32_e32 v58, v2, v12
	v_cndmask_b32_e64 v2, 0, v58, s[8:9]
	v_add_u32_e32 v59, v2, v14
	v_cndmask_b32_e64 v2, 0, v59, s[10:11]
	v_add_u32_e32 v60, v2, v16
	v_cndmask_b32_e64 v2, 0, v60, s[12:13]
	v_add_u32_e32 v61, v2, v18
	v_cndmask_b32_e64 v2, 0, v61, s[14:15]
	v_add_u32_e32 v62, v2, v20
	v_cndmask_b32_e64 v2, 0, v62, s[16:17]
	v_add_u32_e32 v63, v2, v22
	v_cndmask_b32_e64 v2, 0, v63, s[18:19]
	v_add_u32_e32 v64, v2, v24
	v_cndmask_b32_e64 v2, 0, v64, s[20:21]
	v_add_u32_e32 v65, v2, v26
	v_cndmask_b32_e64 v2, 0, v65, s[22:23]
	v_add_u32_e32 v66, v2, v28
	v_cndmask_b32_e64 v2, 0, v66, s[24:25]
	v_add_u32_e32 v67, v2, v30
	v_cndmask_b32_e64 v2, 0, v67, s[26:27]
	v_add_u32_e32 v68, v2, v32
	v_cndmask_b32_e64 v2, 0, v68, s[28:29]
	v_add_u32_e32 v69, v2, v34
	v_cndmask_b32_e64 v2, 0, v69, s[30:31]
	v_add_u32_e32 v70, v2, v36
	v_cndmask_b32_e64 v2, 0, v70, s[34:35]
	v_add_u32_e32 v71, v2, v38
	v_cndmask_b32_e64 v2, 0, v71, s[36:37]
	v_add_u32_e32 v72, v2, v40
	v_cndmask_b32_e64 v2, 0, v72, s[38:39]
	v_add_u32_e32 v73, v2, v42
	v_cndmask_b32_e64 v2, 0, v73, s[40:41]
	v_add_u32_e32 v74, v2, v44
	v_cndmask_b32_e64 v2, 0, v74, s[42:43]
	v_add_u32_e32 v75, v2, v46
	v_cndmask_b32_e64 v2, 0, v75, s[44:45]
	v_add_u32_e32 v76, v2, v48
	v_cndmask_b32_e64 v2, 0, v76, s[46:47]
	v_add_u32_e32 v77, v2, v50
	v_cndmask_b32_e64 v2, 0, v77, s[48:49]
	v_add_u32_e32 v78, v2, v52
	v_cndmask_b32_e64 v2, 0, v78, s[50:51]
	v_add_u32_e32 v79, v2, v56
	s_branch .LBB2227_192
.LBB2227_172:
                                        ; implicit-def: $vgpr78
                                        ; implicit-def: $vgpr77
                                        ; implicit-def: $vgpr76
                                        ; implicit-def: $vgpr75
                                        ; implicit-def: $vgpr74
                                        ; implicit-def: $vgpr73
                                        ; implicit-def: $vgpr72
                                        ; implicit-def: $vgpr71
                                        ; implicit-def: $vgpr70
                                        ; implicit-def: $vgpr69
                                        ; implicit-def: $vgpr68
                                        ; implicit-def: $vgpr67
                                        ; implicit-def: $vgpr66
                                        ; implicit-def: $vgpr65
                                        ; implicit-def: $vgpr64
                                        ; implicit-def: $vgpr63
                                        ; implicit-def: $vgpr62
                                        ; implicit-def: $vgpr61
                                        ; implicit-def: $vgpr60
                                        ; implicit-def: $vgpr59
                                        ; implicit-def: $vgpr58
                                        ; implicit-def: $vgpr80
                                        ; implicit-def: $vgpr79
	s_cbranch_execz .LBB2227_192
; %bb.173:
	s_cmp_lg_u64 s[76:77], 0
	s_cselect_b32 s9, s67, 0
	s_cselect_b32 s8, s66, 0
	s_cmp_lg_u64 s[8:9], 0
	s_cselect_b64 s[6:7], -1, 0
	s_mov_b32 s0, 0
	s_and_b64 s[10:11], s[54:55], s[6:7]
	s_and_saveexec_b64 s[6:7], s[10:11]
	s_cbranch_execz .LBB2227_175
; %bb.174:
	v_mov_b32_e32 v2, 0
	global_load_dword v4, v2, s[8:9]
	global_load_ubyte v5, v2, s[8:9] offset:4
	s_mov_b32 s1, 1
	v_and_b32_e32 v3, 1, v11
	v_cmp_gt_u64_e32 vcc, s[0:1], v[10:11]
	s_waitcnt vmcnt(0)
	v_and_b32_e32 v5, 1, v5
	v_cndmask_b32_e32 v4, 0, v4, vcc
	v_cmp_eq_u64_e32 vcc, 0, v[2:3]
	v_add_u32_e32 v10, v4, v10
	s_nop 0
	v_cndmask_b32_e32 v11, 1, v5, vcc
.LBB2227_175:
	s_or_b64 exec, exec, s[6:7]
	s_mov_b32 s1, 1
	v_cmp_gt_u64_e32 vcc, s[0:1], v[12:13]
	v_cmp_gt_u64_e64 s[6:7], s[0:1], v[14:15]
	v_cmp_gt_u64_e64 s[8:9], s[0:1], v[16:17]
	v_cndmask_b32_e32 v2, 0, v10, vcc
	v_add_u32_e32 v58, v2, v12
	v_cndmask_b32_e64 v2, 0, v58, s[6:7]
	v_add_u32_e32 v59, v2, v14
	v_cndmask_b32_e64 v2, 0, v59, s[8:9]
	v_add_u32_e32 v60, v2, v16
	v_cmp_gt_u64_e64 s[10:11], s[0:1], v[18:19]
	v_cmp_gt_u64_e64 s[12:13], s[0:1], v[20:21]
	v_cmp_gt_u64_e64 s[14:15], s[0:1], v[22:23]
	v_cndmask_b32_e64 v2, 0, v60, s[10:11]
	v_add_u32_e32 v61, v2, v18
	v_cndmask_b32_e64 v2, 0, v61, s[12:13]
	v_add_u32_e32 v62, v2, v20
	v_cndmask_b32_e64 v2, 0, v62, s[14:15]
	v_add_u32_e32 v63, v2, v22
	v_cmp_gt_u64_e64 s[16:17], s[0:1], v[24:25]
	v_cmp_gt_u64_e64 s[18:19], s[0:1], v[26:27]
	v_cmp_gt_u64_e64 s[20:21], s[0:1], v[28:29]
	v_cndmask_b32_e64 v2, 0, v63, s[16:17]
	v_add_u32_e32 v64, v2, v24
	v_cndmask_b32_e64 v2, 0, v64, s[18:19]
	v_add_u32_e32 v65, v2, v26
	v_cndmask_b32_e64 v2, 0, v65, s[20:21]
	v_add_u32_e32 v66, v2, v28
	v_cmp_gt_u64_e64 s[22:23], s[0:1], v[30:31]
	v_cmp_gt_u64_e64 s[24:25], s[0:1], v[32:33]
	v_cmp_gt_u64_e64 s[26:27], s[0:1], v[34:35]
	v_cndmask_b32_e64 v2, 0, v66, s[22:23]
	v_add_u32_e32 v67, v2, v30
	v_cndmask_b32_e64 v2, 0, v67, s[24:25]
	v_add_u32_e32 v68, v2, v32
	v_cndmask_b32_e64 v2, 0, v68, s[26:27]
	v_add_u32_e32 v69, v2, v34
	v_cmp_gt_u64_e64 s[28:29], s[0:1], v[36:37]
	v_cmp_gt_u64_e64 s[30:31], s[0:1], v[38:39]
	v_cmp_gt_u64_e64 s[34:35], s[0:1], v[40:41]
	v_cndmask_b32_e64 v2, 0, v69, s[28:29]
	v_add_u32_e32 v70, v2, v36
	v_cndmask_b32_e64 v2, 0, v70, s[30:31]
	v_add_u32_e32 v71, v2, v38
	v_cndmask_b32_e64 v2, 0, v71, s[34:35]
	v_add_u32_e32 v72, v2, v40
	v_cmp_gt_u64_e64 s[36:37], s[0:1], v[42:43]
	v_cmp_gt_u64_e64 s[38:39], s[0:1], v[44:45]
	v_cmp_gt_u64_e64 s[40:41], s[0:1], v[46:47]
	v_cndmask_b32_e64 v2, 0, v72, s[36:37]
	v_add_u32_e32 v73, v2, v42
	v_cndmask_b32_e64 v2, 0, v73, s[38:39]
	v_add_u32_e32 v74, v2, v44
	v_cndmask_b32_e64 v2, 0, v74, s[40:41]
	v_add_u32_e32 v75, v2, v46
	v_cmp_gt_u64_e64 s[42:43], s[0:1], v[48:49]
	v_cmp_gt_u64_e64 s[44:45], s[0:1], v[50:51]
	v_cmp_gt_u64_e64 s[46:47], s[0:1], v[52:53]
	v_cndmask_b32_e64 v2, 0, v75, s[42:43]
	v_add_u32_e32 v76, v2, v48
	v_cndmask_b32_e64 v2, 0, v76, s[44:45]
	v_add_u32_e32 v77, v2, v50
	v_cndmask_b32_e64 v2, 0, v77, s[46:47]
	v_add_u32_e32 v78, v2, v52
	v_cmp_gt_u64_e64 s[48:49], s[0:1], v[56:57]
	v_add_lshl_u32 v1, v1, v0, 3
	s_nop 0
	v_cndmask_b32_e64 v2, 0, v78, s[48:49]
	v_add_u32_e32 v79, v2, v56
	v_or3_b32 v2, v55, v51, v49
	v_or3_b32 v2, v2, v47, v45
	;; [unrolled: 1-line block ×10, first 2 shown]
	v_and_b32_e32 v2, 1, v2
	v_cmp_eq_u32_e64 s[0:1], 1, v2
	s_nop 1
	v_cndmask_b32_e64 v4, v11, 1, s[0:1]
	v_cmp_gt_u32_e64 s[0:1], 64, v0
	ds_write_b32 v1, v79
	ds_write_b8 v1, v4 offset:4
	s_waitcnt lgkmcnt(0)
	s_barrier
	s_and_saveexec_b64 s[50:51], s[0:1]
	s_cbranch_execz .LBB2227_187
; %bb.176:
	v_lshrrev_b32_e32 v1, 3, v0
	v_add_lshl_u32 v1, v1, v54, 3
	ds_read2_b32 v[6:7], v1 offset0:2 offset1:4
	ds_read_b64 v[2:3], v1
	ds_read_u8 v8, v1 offset:12
	ds_read_u8 v9, v1 offset:20
	ds_read_b32 v13, v1 offset:24
	ds_read_u8 v15, v1 offset:28
	v_mov_b32_e32 v17, 0
	s_waitcnt lgkmcnt(3)
	v_cmp_eq_u16_sdwa s[0:1], v8, v17 src0_sel:BYTE_0 src1_sel:DWORD
	v_and_b32_e32 v5, 1, v3
	s_nop 0
	v_cndmask_b32_e64 v19, 0, v2, s[0:1]
	v_add_u32_e32 v6, v19, v6
	s_waitcnt lgkmcnt(2)
	v_cmp_eq_u16_sdwa s[0:1], v9, v17 src0_sel:BYTE_0 src1_sel:DWORD
	s_nop 1
	v_cndmask_b32_e64 v6, 0, v6, s[0:1]
	v_add_u32_e32 v6, v6, v7
	s_waitcnt lgkmcnt(0)
	v_cmp_eq_u16_e64 s[0:1], 0, v15
	s_nop 1
	v_cndmask_b32_e64 v6, 0, v6, s[0:1]
	v_add_u32_e32 v7, v6, v13
	v_or_b32_e32 v6, v15, v9
	v_or_b32_e32 v6, v6, v8
	v_and_b32_e32 v6, 1, v6
	v_cmp_eq_u32_e64 s[0:1], 1, v6
	v_mbcnt_lo_u32_b32 v8, -1, 0
	v_and_b32_e32 v6, 0xffffff00, v3
	v_cndmask_b32_e64 v9, v5, 1, s[0:1]
	v_mbcnt_hi_u32_b32 v8, -1, v8
	v_and_b32_e32 v15, 15, v8
	v_or_b32_sdwa v13, v6, v9 dst_sel:DWORD dst_unused:UNUSED_PAD src0_sel:DWORD src1_sel:WORD_0
	v_mov_b32_dpp v17, v7 row_shr:1 row_mask:0xf bank_mask:0xf
	v_cmp_ne_u32_e64 s[0:1], 0, v15
	v_mov_b32_dpp v19, v13 row_shr:1 row_mask:0xf bank_mask:0xf
	s_and_saveexec_b64 s[52:53], s[0:1]
; %bb.177:
	v_and_b32_e32 v13, 1, v9
	v_and_b32_e32 v19, 1, v19
	v_cmp_eq_u32_e64 s[0:1], 1, v13
	s_nop 1
	v_cndmask_b32_e64 v19, v19, 1, s[0:1]
	v_cmp_eq_u16_e64 s[0:1], 0, v9
	v_or_b32_sdwa v13, v6, v19 dst_sel:DWORD dst_unused:UNUSED_PAD src0_sel:DWORD src1_sel:WORD_0
	s_nop 0
	v_cndmask_b32_e64 v9, 0, v17, s[0:1]
	v_add_u32_e32 v7, v9, v7
	v_mov_b32_e32 v9, v19
; %bb.178:
	s_or_b64 exec, exec, s[52:53]
	v_mov_b32_dpp v17, v7 row_shr:2 row_mask:0xf bank_mask:0xf
	v_mov_b32_dpp v19, v13 row_shr:2 row_mask:0xf bank_mask:0xf
	v_cmp_lt_u32_e64 s[0:1], 1, v15
	s_and_saveexec_b64 s[52:53], s[0:1]
; %bb.179:
	v_and_b32_e32 v13, 1, v9
	v_and_b32_e32 v19, 1, v19
	v_cmp_eq_u32_e64 s[0:1], 1, v13
	s_nop 1
	v_cndmask_b32_e64 v19, v19, 1, s[0:1]
	v_cmp_eq_u16_e64 s[0:1], 0, v9
	v_or_b32_sdwa v13, v6, v19 dst_sel:DWORD dst_unused:UNUSED_PAD src0_sel:DWORD src1_sel:WORD_0
	s_nop 0
	v_cndmask_b32_e64 v9, 0, v17, s[0:1]
	v_add_u32_e32 v7, v9, v7
	v_mov_b32_e32 v9, v19
; %bb.180:
	s_or_b64 exec, exec, s[52:53]
	v_mov_b32_dpp v17, v7 row_shr:4 row_mask:0xf bank_mask:0xf
	v_mov_b32_dpp v19, v13 row_shr:4 row_mask:0xf bank_mask:0xf
	v_cmp_lt_u32_e64 s[0:1], 3, v15
	;; [unrolled: 18-line block ×3, first 2 shown]
	s_and_saveexec_b64 s[52:53], s[0:1]
; %bb.183:
	v_and_b32_e32 v13, 1, v9
	v_and_b32_e32 v15, 1, v19
	v_cmp_eq_u32_e64 s[0:1], 1, v13
	s_nop 1
	v_cndmask_b32_e64 v15, v15, 1, s[0:1]
	v_cmp_eq_u16_e64 s[0:1], 0, v9
	v_or_b32_sdwa v13, v6, v15 dst_sel:DWORD dst_unused:UNUSED_PAD src0_sel:DWORD src1_sel:WORD_0
	s_nop 0
	v_cndmask_b32_e64 v9, 0, v17, s[0:1]
	v_add_u32_e32 v7, v9, v7
	v_mov_b32_e32 v9, v15
; %bb.184:
	s_or_b64 exec, exec, s[52:53]
	v_and_b32_e32 v19, 16, v8
	v_mov_b32_dpp v15, v7 row_bcast:15 row_mask:0xf bank_mask:0xf
	v_mov_b32_dpp v17, v13 row_bcast:15 row_mask:0xf bank_mask:0xf
	v_cmp_ne_u32_e64 s[0:1], 0, v19
	s_and_saveexec_b64 s[52:53], s[0:1]
; %bb.185:
	v_and_b32_e32 v13, 1, v9
	v_and_b32_e32 v17, 1, v17
	v_cmp_eq_u32_e64 s[0:1], 1, v13
	s_nop 1
	v_cndmask_b32_e64 v17, v17, 1, s[0:1]
	v_cmp_eq_u16_e64 s[0:1], 0, v9
	v_or_b32_sdwa v13, v6, v17 dst_sel:DWORD dst_unused:UNUSED_PAD src0_sel:DWORD src1_sel:WORD_0
	s_nop 0
	v_cndmask_b32_e64 v9, 0, v15, s[0:1]
	v_add_u32_e32 v7, v9, v7
	v_mov_b32_e32 v9, v17
; %bb.186:
	s_or_b64 exec, exec, s[52:53]
	v_mov_b32_dpp v13, v13 row_bcast:31 row_mask:0xf bank_mask:0xf
	v_and_b32_e32 v17, 1, v9
	v_and_b32_e32 v13, 1, v13
	v_cmp_eq_u32_e64 s[0:1], 1, v17
	v_mov_b32_e32 v17, 0
	v_cmp_eq_u16_sdwa s[52:53], v9, v17 src0_sel:BYTE_0 src1_sel:DWORD
	v_cndmask_b32_e64 v13, v13, 1, s[0:1]
	v_cmp_lt_u32_e64 s[0:1], 31, v8
	v_mov_b32_dpp v15, v7 row_bcast:31 row_mask:0xf bank_mask:0xf
	s_movk_i32 s60, 0xff
	v_cndmask_b32_e64 v9, v9, v13, s[0:1]
	s_and_b64 s[0:1], s[0:1], s[52:53]
	v_cndmask_b32_e64 v13, 0, v15, s[0:1]
	v_add_u32_e32 v7, v13, v7
	v_add_u32_e32 v13, -1, v8
	v_and_b32_e32 v15, 64, v8
	v_cmp_lt_i32_e64 s[0:1], v13, v15
	v_and_or_b32 v6, v9, s60, v6
	s_nop 0
	v_cndmask_b32_e64 v8, v13, v8, s[0:1]
	v_lshlrev_b32_e32 v8, 2, v8
	ds_bpermute_b32 v7, v8, v7
	ds_bpermute_b32 v6, v8, v6
	v_cmp_eq_u16_sdwa s[0:1], v3, v17 src0_sel:BYTE_0 src1_sel:DWORD
	; wave barrier
	s_waitcnt lgkmcnt(1)
	s_nop 0
	v_cndmask_b32_e64 v3, 0, v7, s[0:1]
	v_add_u32_e32 v2, v3, v2
	s_waitcnt lgkmcnt(0)
	v_and_b32_e32 v3, 1, v6
	v_cmp_eq_u32_e64 s[0:1], 1, v5
	v_cndmask_b32_e64 v5, v2, v79, s[54:55]
	s_nop 0
	v_cndmask_b32_e64 v3, v3, 1, s[0:1]
	v_cndmask_b32_e64 v4, v3, v4, s[54:55]
	ds_write_b32 v1, v5
	ds_write_b8 v1, v4 offset:4
	; wave barrier
	ds_read_u8 v6, v1 offset:12
	ds_read2_b32 v[2:3], v1 offset0:2 offset1:4
	ds_read_u8 v7, v1 offset:20
	ds_read_b32 v8, v1 offset:24
	ds_read_u8 v9, v1 offset:28
	s_waitcnt lgkmcnt(4)
	v_cmp_eq_u16_e64 s[0:1], 0, v6
	s_nop 1
	v_cndmask_b32_e64 v5, 0, v5, s[0:1]
	s_waitcnt lgkmcnt(3)
	v_add_u32_e32 v2, v5, v2
	v_and_b32_e32 v5, 1, v6
	v_cmp_eq_u32_e64 s[0:1], 1, v5
	s_nop 1
	v_cndmask_b32_e64 v4, v4, 1, s[0:1]
	s_waitcnt lgkmcnt(2)
	v_cmp_eq_u16_e64 s[0:1], 0, v7
	ds_write_b8 v1, v4 offset:12
	s_nop 0
	v_cndmask_b32_e64 v5, 0, v2, s[0:1]
	v_add_u32_e32 v3, v5, v3
	v_and_b32_e32 v5, 1, v7
	v_cmp_eq_u32_e64 s[0:1], 1, v5
	s_nop 1
	v_cndmask_b32_e64 v4, v4, 1, s[0:1]
	s_waitcnt lgkmcnt(1)
	v_cmp_eq_u16_e64 s[0:1], 0, v9
	ds_write2_b32 v1, v2, v3 offset0:2 offset1:4
	ds_write_b8 v1, v4 offset:20
	v_cndmask_b32_e64 v2, 0, v3, s[0:1]
	v_and_b32_e32 v3, 1, v9
	v_add_u32_e32 v2, v2, v8
	v_cmp_eq_u32_e64 s[0:1], 1, v3
	s_nop 1
	v_cndmask_b32_e64 v3, v4, 1, s[0:1]
	ds_write_b32 v1, v2 offset:24
	ds_write_b8 v1, v3 offset:28
.LBB2227_187:
	s_or_b64 exec, exec, s[50:51]
	v_mov_b32_e32 v1, v79
	s_waitcnt lgkmcnt(0)
	s_barrier
	s_and_saveexec_b64 s[0:1], s[4:5]
	s_cbranch_execnz .LBB2227_265
; %bb.188:
	s_or_b64 exec, exec, s[0:1]
	s_and_saveexec_b64 s[50:51], s[4:5]
	s_cbranch_execnz .LBB2227_266
.LBB2227_189:
	s_or_b64 exec, exec, s[50:51]
	s_and_saveexec_b64 s[0:1], s[54:55]
	s_cbranch_execz .LBB2227_191
.LBB2227_190:
	v_mov_b32_e32 v5, 0
	ds_read_b32 v2, v5 offset:2096
	ds_read_u8 v3, v5 offset:2100
	s_add_u32 s4, s72, 0x400
	s_addc_u32 s5, s73, 0
	v_mov_b32_e32 v4, 2
	v_mov_b64_e32 v[6:7], s[4:5]
	s_waitcnt lgkmcnt(0)
	;;#ASMSTART
	global_store_dwordx4 v[6:7], v[2:5] off sc1	
s_waitcnt vmcnt(0)
	;;#ASMEND
.LBB2227_191:
	s_or_b64 exec, exec, s[0:1]
	v_mov_b32_e32 v80, v10
.LBB2227_192:
	s_add_u32 s0, s62, s58
	s_addc_u32 s1, s63, s59
	s_add_u32 s0, s0, s56
	s_addc_u32 s1, s1, s57
	s_and_b64 vcc, exec, s[2:3]
	s_cbranch_vccz .LBB2227_238
; %bb.193:
	s_movk_i32 s2, 0x5c
	v_mul_i32_i24_e32 v26, 0xffffffa8, v0
	s_waitcnt lgkmcnt(0)
	v_mul_u32_u24_e32 v1, 0x5c, v0
	v_mad_u32_u24 v2, v0, s2, v26
	s_barrier
	ds_write2_b32 v1, v80, v58 offset1:1
	ds_write2_b32 v1, v59, v60 offset0:2 offset1:3
	ds_write2_b32 v1, v61, v62 offset0:4 offset1:5
	;; [unrolled: 1-line block ×10, first 2 shown]
	ds_write_b32 v1, v79 offset:88
	s_waitcnt lgkmcnt(0)
	s_barrier
	ds_read2st64_b32 v[24:25], v2 offset0:4 offset1:8
	ds_read2st64_b32 v[22:23], v2 offset0:12 offset1:16
	;; [unrolled: 1-line block ×11, first 2 shown]
	s_add_i32 s33, s33, s74
	v_mov_b32_e32 v55, 0
	v_lshl_add_u64 v[4:5], s[0:1], 0, v[54:55]
	v_cmp_gt_u32_e32 vcc, s33, v0
	s_and_saveexec_b64 s[2:3], vcc
	s_cbranch_execz .LBB2227_195
; %bb.194:
	v_add_u32_e32 v1, v1, v26
	ds_read_b32 v1, v1
	s_waitcnt lgkmcnt(0)
	flat_store_dword v[4:5], v1
.LBB2227_195:
	s_or_b64 exec, exec, s[2:3]
	v_or_b32_e32 v1, 0x100, v0
	v_cmp_gt_u32_e32 vcc, s33, v1
	s_and_saveexec_b64 s[2:3], vcc
	s_cbranch_execz .LBB2227_197
; %bb.196:
	s_waitcnt lgkmcnt(0)
	flat_store_dword v[4:5], v24 offset:1024
.LBB2227_197:
	s_or_b64 exec, exec, s[2:3]
	v_or_b32_e32 v1, 0x200, v0
	v_cmp_gt_u32_e32 vcc, s33, v1
	s_and_saveexec_b64 s[2:3], vcc
	s_cbranch_execz .LBB2227_199
; %bb.198:
	s_waitcnt lgkmcnt(0)
	flat_store_dword v[4:5], v25 offset:2048
.LBB2227_199:
	;; [unrolled: 9-line block ×3, first 2 shown]
	s_or_b64 exec, exec, s[2:3]
	v_or_b32_e32 v1, 0x400, v0
	v_cmp_gt_u32_e32 vcc, s33, v1
	s_and_saveexec_b64 s[2:3], vcc
	s_cbranch_execz .LBB2227_203
; %bb.202:
	s_waitcnt lgkmcnt(0)
	v_add_co_u32_e32 v24, vcc, 0x1000, v4
	s_nop 1
	v_addc_co_u32_e32 v25, vcc, 0, v5, vcc
	flat_store_dword v[24:25], v23
.LBB2227_203:
	s_or_b64 exec, exec, s[2:3]
	v_or_b32_e32 v1, 0x500, v0
	v_cmp_gt_u32_e32 vcc, s33, v1
	s_and_saveexec_b64 s[2:3], vcc
	s_cbranch_execz .LBB2227_205
; %bb.204:
	s_waitcnt lgkmcnt(0)
	v_add_co_u32_e32 v22, vcc, 0x1000, v4
	s_nop 1
	v_addc_co_u32_e32 v23, vcc, 0, v5, vcc
	flat_store_dword v[22:23], v20 offset:1024
.LBB2227_205:
	s_or_b64 exec, exec, s[2:3]
	v_or_b32_e32 v1, 0x600, v0
	v_cmp_gt_u32_e32 vcc, s33, v1
	s_and_saveexec_b64 s[2:3], vcc
	s_cbranch_execz .LBB2227_207
; %bb.206:
	s_waitcnt lgkmcnt(0)
	v_add_co_u32_e32 v22, vcc, 0x1000, v4
	s_nop 1
	v_addc_co_u32_e32 v23, vcc, 0, v5, vcc
	flat_store_dword v[22:23], v21 offset:2048
.LBB2227_207:
	s_or_b64 exec, exec, s[2:3]
	v_or_b32_e32 v1, 0x700, v0
	v_cmp_gt_u32_e32 vcc, s33, v1
	s_and_saveexec_b64 s[2:3], vcc
	s_cbranch_execz .LBB2227_209
; %bb.208:
	s_waitcnt lgkmcnt(0)
	v_add_co_u32_e32 v20, vcc, 0x1000, v4
	s_nop 1
	v_addc_co_u32_e32 v21, vcc, 0, v5, vcc
	flat_store_dword v[20:21], v18 offset:3072
.LBB2227_209:
	s_or_b64 exec, exec, s[2:3]
	v_or_b32_e32 v1, 0x800, v0
	v_cmp_gt_u32_e32 vcc, s33, v1
	s_and_saveexec_b64 s[2:3], vcc
	s_cbranch_execz .LBB2227_211
; %bb.210:
	s_waitcnt lgkmcnt(0)
	v_add_co_u32_e32 v20, vcc, 0x2000, v4
	s_nop 1
	v_addc_co_u32_e32 v21, vcc, 0, v5, vcc
	flat_store_dword v[20:21], v19
.LBB2227_211:
	s_or_b64 exec, exec, s[2:3]
	v_or_b32_e32 v1, 0x900, v0
	v_cmp_gt_u32_e32 vcc, s33, v1
	s_and_saveexec_b64 s[2:3], vcc
	s_cbranch_execz .LBB2227_213
; %bb.212:
	s_waitcnt lgkmcnt(0)
	v_add_co_u32_e32 v18, vcc, 0x2000, v4
	s_nop 1
	v_addc_co_u32_e32 v19, vcc, 0, v5, vcc
	flat_store_dword v[18:19], v16 offset:1024
.LBB2227_213:
	s_or_b64 exec, exec, s[2:3]
	v_or_b32_e32 v1, 0xa00, v0
	v_cmp_gt_u32_e32 vcc, s33, v1
	s_and_saveexec_b64 s[2:3], vcc
	s_cbranch_execz .LBB2227_215
; %bb.214:
	s_waitcnt lgkmcnt(0)
	v_add_co_u32_e32 v18, vcc, 0x2000, v4
	s_nop 1
	v_addc_co_u32_e32 v19, vcc, 0, v5, vcc
	flat_store_dword v[18:19], v17 offset:2048
.LBB2227_215:
	s_or_b64 exec, exec, s[2:3]
	v_or_b32_e32 v1, 0xb00, v0
	v_cmp_gt_u32_e32 vcc, s33, v1
	s_and_saveexec_b64 s[2:3], vcc
	s_cbranch_execz .LBB2227_217
; %bb.216:
	s_waitcnt lgkmcnt(0)
	v_add_co_u32_e32 v16, vcc, 0x2000, v4
	s_nop 1
	v_addc_co_u32_e32 v17, vcc, 0, v5, vcc
	flat_store_dword v[16:17], v14 offset:3072
.LBB2227_217:
	;; [unrolled: 48-line block ×4, first 2 shown]
	s_or_b64 exec, exec, s[2:3]
	v_or_b32_e32 v1, 0x1400, v0
	v_cmp_gt_u32_e32 vcc, s33, v1
	s_and_saveexec_b64 s[2:3], vcc
	s_cbranch_execz .LBB2227_235
; %bb.234:
	s_waitcnt lgkmcnt(0)
	v_add_co_u32_e32 v8, vcc, 0x5000, v4
	s_nop 1
	v_addc_co_u32_e32 v9, vcc, 0, v5, vcc
	flat_store_dword v[8:9], v7
.LBB2227_235:
	s_or_b64 exec, exec, s[2:3]
	v_or_b32_e32 v1, 0x1500, v0
	v_cmp_gt_u32_e32 vcc, s33, v1
	s_and_saveexec_b64 s[2:3], vcc
	s_cbranch_execz .LBB2227_237
; %bb.236:
	v_add_co_u32_e32 v4, vcc, 0x5000, v4
	s_nop 1
	v_addc_co_u32_e32 v5, vcc, 0, v5, vcc
	s_waitcnt lgkmcnt(0)
	flat_store_dword v[4:5], v2 offset:1024
.LBB2227_237:
	s_or_b64 exec, exec, s[2:3]
	s_waitcnt lgkmcnt(0)
	v_or_b32_e32 v2, 0x1600, v0
	v_mov_b32_e32 v1, v55
	v_cmp_gt_u32_e64 s[2:3], s33, v2
	s_branch .LBB2227_240
.LBB2227_238:
	s_mov_b64 s[2:3], 0
                                        ; implicit-def: $vgpr3
	s_cbranch_execz .LBB2227_240
; %bb.239:
	s_waitcnt lgkmcnt(0)
	v_mul_u32_u24_e32 v1, 0x5c, v0
	s_barrier
	s_movk_i32 s4, 0x5c
	ds_write2_b32 v1, v80, v58 offset1:1
	ds_write2_b32 v1, v59, v60 offset0:2 offset1:3
	ds_write2_b32 v1, v61, v62 offset0:4 offset1:5
	;; [unrolled: 1-line block ×10, first 2 shown]
	ds_write_b32 v1, v79 offset:88
	v_mov_b32_e32 v1, 0
	v_mul_i32_i24_e32 v2, 0xffffffa8, v0
	v_mad_u32_u24 v2, v0, s4, v2
	v_mov_b32_e32 v55, v1
	s_waitcnt lgkmcnt(0)
	s_barrier
	ds_read2st64_b32 v[4:5], v2 offset1:4
	ds_read2st64_b32 v[6:7], v2 offset0:8 offset1:12
	ds_read2st64_b32 v[8:9], v2 offset0:16 offset1:20
	;; [unrolled: 1-line block ×10, first 2 shown]
	ds_read_b32 v3, v2 offset:22528
	v_lshl_add_u64 v[26:27], s[0:1], 0, v[54:55]
	s_movk_i32 s4, 0x1000
	s_waitcnt lgkmcnt(0)
	flat_store_dword v[26:27], v4
	flat_store_dword v[26:27], v5 offset:1024
	flat_store_dword v[26:27], v6 offset:2048
	;; [unrolled: 1-line block ×3, first 2 shown]
	v_add_co_u32_e32 v4, vcc, s4, v26
	s_movk_i32 s4, 0x2000
	s_nop 0
	v_addc_co_u32_e32 v5, vcc, 0, v27, vcc
	flat_store_dword v[4:5], v8
	flat_store_dword v[4:5], v9 offset:1024
	flat_store_dword v[4:5], v10 offset:2048
	;; [unrolled: 1-line block ×3, first 2 shown]
	v_add_co_u32_e32 v4, vcc, s4, v26
	s_movk_i32 s4, 0x3000
	s_nop 0
	v_addc_co_u32_e32 v5, vcc, 0, v27, vcc
	flat_store_dword v[4:5], v12
	flat_store_dword v[4:5], v13 offset:1024
	flat_store_dword v[4:5], v14 offset:2048
	;; [unrolled: 1-line block ×3, first 2 shown]
	v_add_co_u32_e32 v4, vcc, s4, v26
	s_or_b64 s[2:3], s[2:3], exec
	s_nop 0
	v_addc_co_u32_e32 v5, vcc, 0, v27, vcc
	flat_store_dword v[4:5], v16
	flat_store_dword v[4:5], v17 offset:1024
	flat_store_dword v[4:5], v18 offset:2048
	;; [unrolled: 1-line block ×3, first 2 shown]
	v_add_co_u32_e32 v4, vcc, 0x4000, v26
	s_nop 1
	v_addc_co_u32_e32 v5, vcc, 0, v27, vcc
	flat_store_dword v[4:5], v20
	flat_store_dword v[4:5], v21 offset:1024
	flat_store_dword v[4:5], v22 offset:2048
	;; [unrolled: 1-line block ×3, first 2 shown]
	v_add_co_u32_e32 v4, vcc, 0x5000, v26
	s_nop 1
	v_addc_co_u32_e32 v5, vcc, 0, v27, vcc
	flat_store_dword v[4:5], v24
	flat_store_dword v[4:5], v25 offset:1024
.LBB2227_240:
	s_and_saveexec_b64 s[4:5], s[2:3]
	s_cbranch_execnz .LBB2227_242
; %bb.241:
	s_endpgm
.LBB2227_242:
	s_waitcnt lgkmcnt(0)
	v_lshl_add_u64 v[0:1], v[0:1], 2, s[0:1]
	v_add_co_u32_e32 v0, vcc, 0x5000, v0
	s_nop 1
	v_addc_co_u32_e32 v1, vcc, 0, v1, vcc
	flat_store_dword v[0:1], v3 offset:2048
	s_endpgm
.LBB2227_243:
	v_lshl_add_u64 v[48:49], s[60:61], 0, v[44:45]
	flat_load_dword v48, v[48:49]
	s_or_b64 exec, exec, s[0:1]
                                        ; implicit-def: $vgpr49
	s_and_saveexec_b64 s[0:1], s[8:9]
	s_cbranch_execz .LBB2227_59
.LBB2227_244:
	v_mov_b32_e32 v45, 0
	v_lshl_add_u64 v[50:51], s[60:61], 0, v[44:45]
	flat_load_dword v49, v[50:51] offset:1024
	s_or_b64 exec, exec, s[0:1]
                                        ; implicit-def: $vgpr50
	s_and_saveexec_b64 s[0:1], s[10:11]
	s_cbranch_execz .LBB2227_60
.LBB2227_245:
	v_mov_b32_e32 v45, 0
	v_lshl_add_u64 v[50:51], s[60:61], 0, v[44:45]
	flat_load_dword v50, v[50:51] offset:2048
	s_or_b64 exec, exec, s[0:1]
                                        ; implicit-def: $vgpr45
	s_and_saveexec_b64 s[0:1], s[12:13]
	s_cbranch_execz .LBB2227_61
.LBB2227_246:
	v_mov_b32_e32 v45, 0
	v_lshl_add_u64 v[52:53], s[60:61], 0, v[44:45]
	flat_load_dword v45, v[52:53] offset:3072
	s_or_b64 exec, exec, s[0:1]
                                        ; implicit-def: $vgpr3
	s_and_saveexec_b64 s[0:1], s[14:15]
	s_cbranch_execz .LBB2227_62
.LBB2227_247:
	v_mov_b32_e32 v3, 0
	v_lshl_add_u64 v[2:3], s[60:61], 0, v[2:3]
	flat_load_dword v3, v[2:3]
	s_or_b64 exec, exec, s[0:1]
                                        ; implicit-def: $vgpr2
	s_and_saveexec_b64 s[0:1], s[16:17]
	s_cbranch_execz .LBB2227_63
.LBB2227_248:
	v_mov_b32_e32 v11, 0
	v_lshl_add_u64 v[10:11], s[60:61], 0, v[10:11]
	flat_load_dword v2, v[10:11]
	s_or_b64 exec, exec, s[0:1]
                                        ; implicit-def: $vgpr10
	s_and_saveexec_b64 s[0:1], s[18:19]
	s_cbranch_execz .LBB2227_64
.LBB2227_249:
	v_mov_b32_e32 v13, 0
	v_lshl_add_u64 v[10:11], s[60:61], 0, v[12:13]
	flat_load_dword v10, v[10:11]
	s_or_b64 exec, exec, s[0:1]
                                        ; implicit-def: $vgpr11
	s_and_saveexec_b64 s[0:1], s[20:21]
	s_cbranch_execz .LBB2227_65
.LBB2227_250:
	v_mov_b32_e32 v15, 0
	v_lshl_add_u64 v[12:13], s[60:61], 0, v[14:15]
	flat_load_dword v11, v[12:13]
	s_or_b64 exec, exec, s[0:1]
                                        ; implicit-def: $vgpr12
	s_and_saveexec_b64 s[0:1], s[22:23]
	s_cbranch_execz .LBB2227_66
.LBB2227_251:
	v_mov_b32_e32 v17, 0
	v_lshl_add_u64 v[12:13], s[60:61], 0, v[16:17]
	flat_load_dword v12, v[12:13]
	s_or_b64 exec, exec, s[0:1]
                                        ; implicit-def: $vgpr13
	s_and_saveexec_b64 s[0:1], s[24:25]
	s_cbranch_execz .LBB2227_67
.LBB2227_252:
	v_mov_b32_e32 v19, 0
	v_lshl_add_u64 v[14:15], s[60:61], 0, v[18:19]
	flat_load_dword v13, v[14:15]
	s_or_b64 exec, exec, s[0:1]
                                        ; implicit-def: $vgpr14
	s_and_saveexec_b64 s[0:1], s[26:27]
	s_cbranch_execz .LBB2227_68
.LBB2227_253:
	v_mov_b32_e32 v21, 0
	v_lshl_add_u64 v[14:15], s[60:61], 0, v[20:21]
	flat_load_dword v14, v[14:15]
	s_or_b64 exec, exec, s[0:1]
                                        ; implicit-def: $vgpr15
	s_and_saveexec_b64 s[0:1], s[28:29]
	s_cbranch_execz .LBB2227_69
.LBB2227_254:
	v_mov_b32_e32 v23, 0
	v_lshl_add_u64 v[16:17], s[60:61], 0, v[22:23]
	flat_load_dword v15, v[16:17]
	s_or_b64 exec, exec, s[0:1]
                                        ; implicit-def: $vgpr16
	s_and_saveexec_b64 s[0:1], s[30:31]
	s_cbranch_execz .LBB2227_70
.LBB2227_255:
	v_mov_b32_e32 v25, 0
	v_lshl_add_u64 v[16:17], s[60:61], 0, v[24:25]
	flat_load_dword v16, v[16:17]
	s_or_b64 exec, exec, s[0:1]
                                        ; implicit-def: $vgpr17
	s_and_saveexec_b64 s[0:1], s[34:35]
	s_cbranch_execz .LBB2227_71
.LBB2227_256:
	v_mov_b32_e32 v27, 0
	v_lshl_add_u64 v[18:19], s[60:61], 0, v[26:27]
	flat_load_dword v17, v[18:19]
	s_or_b64 exec, exec, s[0:1]
                                        ; implicit-def: $vgpr18
	s_and_saveexec_b64 s[0:1], s[36:37]
	s_cbranch_execz .LBB2227_72
.LBB2227_257:
	v_mov_b32_e32 v29, 0
	v_lshl_add_u64 v[18:19], s[60:61], 0, v[28:29]
	flat_load_dword v18, v[18:19]
	s_or_b64 exec, exec, s[0:1]
                                        ; implicit-def: $vgpr19
	s_and_saveexec_b64 s[0:1], s[38:39]
	s_cbranch_execz .LBB2227_73
.LBB2227_258:
	v_mov_b32_e32 v31, 0
	v_lshl_add_u64 v[20:21], s[60:61], 0, v[30:31]
	flat_load_dword v19, v[20:21]
	s_or_b64 exec, exec, s[0:1]
                                        ; implicit-def: $vgpr20
	s_and_saveexec_b64 s[0:1], s[40:41]
	s_cbranch_execz .LBB2227_74
.LBB2227_259:
	v_mov_b32_e32 v33, 0
	v_lshl_add_u64 v[20:21], s[60:61], 0, v[32:33]
	flat_load_dword v20, v[20:21]
	s_or_b64 exec, exec, s[0:1]
                                        ; implicit-def: $vgpr21
	s_and_saveexec_b64 s[0:1], s[42:43]
	s_cbranch_execz .LBB2227_75
.LBB2227_260:
	v_mov_b32_e32 v35, 0
	v_lshl_add_u64 v[22:23], s[60:61], 0, v[34:35]
	flat_load_dword v21, v[22:23]
	s_or_b64 exec, exec, s[0:1]
                                        ; implicit-def: $vgpr22
	s_and_saveexec_b64 s[0:1], s[44:45]
	s_cbranch_execz .LBB2227_76
.LBB2227_261:
	v_mov_b32_e32 v37, 0
	v_lshl_add_u64 v[22:23], s[60:61], 0, v[36:37]
	flat_load_dword v22, v[22:23]
	s_or_b64 exec, exec, s[0:1]
                                        ; implicit-def: $vgpr23
	s_and_saveexec_b64 s[0:1], s[46:47]
	s_cbranch_execz .LBB2227_77
.LBB2227_262:
	v_mov_b32_e32 v39, 0
	v_lshl_add_u64 v[24:25], s[60:61], 0, v[38:39]
	flat_load_dword v23, v[24:25]
	s_or_b64 exec, exec, s[0:1]
                                        ; implicit-def: $vgpr24
	s_and_saveexec_b64 s[0:1], s[48:49]
	s_cbranch_execz .LBB2227_78
.LBB2227_263:
	v_mov_b32_e32 v41, 0
	v_lshl_add_u64 v[24:25], s[60:61], 0, v[40:41]
	flat_load_dword v24, v[24:25]
	s_or_b64 exec, exec, s[0:1]
                                        ; implicit-def: $vgpr25
	s_and_saveexec_b64 s[0:1], s[50:51]
	s_cbranch_execz .LBB2227_79
.LBB2227_264:
	v_mov_b32_e32 v43, 0
	v_lshl_add_u64 v[26:27], s[60:61], 0, v[42:43]
	flat_load_dword v25, v[26:27]
	s_or_b64 exec, exec, s[0:1]
                                        ; implicit-def: $vgpr26
	s_and_saveexec_b64 s[0:1], s[52:53]
	s_cbranch_execnz .LBB2227_80
	s_branch .LBB2227_81
.LBB2227_265:
	v_add_u32_e32 v1, -1, v0
	v_lshrrev_b32_e32 v2, 5, v1
	v_add_lshl_u32 v1, v2, v1, 3
	ds_read_b32 v1, v1
	s_or_b64 exec, exec, s[0:1]
	s_and_saveexec_b64 s[50:51], s[4:5]
	s_cbranch_execz .LBB2227_189
.LBB2227_266:
	v_and_b32_e32 v3, 0xff, v11
	v_mov_b32_e32 v2, 0
	v_cmp_eq_u64_e64 s[0:1], 0, v[2:3]
	;;#ASMSTART
	;;#ASMEND
	s_waitcnt lgkmcnt(0)
	s_nop 0
	v_cndmask_b32_e64 v1, 0, v1, s[0:1]
	v_add_u32_e32 v10, v1, v10
	v_cndmask_b32_e32 v1, 0, v10, vcc
	v_add_u32_e32 v58, v1, v12
	v_cndmask_b32_e64 v1, 0, v58, s[6:7]
	v_add_u32_e32 v59, v1, v14
	v_cndmask_b32_e64 v1, 0, v59, s[8:9]
	;; [unrolled: 2-line block ×21, first 2 shown]
	v_add_u32_e32 v79, v1, v56
	s_or_b64 exec, exec, s[50:51]
	s_and_saveexec_b64 s[0:1], s[54:55]
	s_cbranch_execnz .LBB2227_190
	s_branch .LBB2227_191
.LBB2227_267:
                                        ; implicit-def: $sgpr0_sgpr1
	s_branch .LBB2227_54
.LBB2227_268:
                                        ; implicit-def: $sgpr0_sgpr1
	s_branch .LBB2227_130
	.section	.rodata,"a",@progbits
	.p2align	6, 0x0
	.amdhsa_kernel _ZN7rocprim17ROCPRIM_400000_NS6detail17trampoline_kernelINS0_14default_configENS1_27scan_by_key_config_selectorIiiEEZZNS1_16scan_by_key_implILNS1_25lookback_scan_determinismE0ELb0ES3_N6thrust23THRUST_200600_302600_NS10device_ptrIiEESB_SB_iNS9_4plusIvEENS9_8equal_toIvEEiEE10hipError_tPvRmT2_T3_T4_T5_mT6_T7_P12ihipStream_tbENKUlT_T0_E_clISt17integral_constantIbLb0EESV_IbLb1EEEEDaSR_SS_EUlSR_E_NS1_11comp_targetILNS1_3genE5ELNS1_11target_archE942ELNS1_3gpuE9ELNS1_3repE0EEENS1_30default_config_static_selectorELNS0_4arch9wavefront6targetE1EEEvT1_
		.amdhsa_group_segment_fixed_size 25600
		.amdhsa_private_segment_fixed_size 0
		.amdhsa_kernarg_size 112
		.amdhsa_user_sgpr_count 2
		.amdhsa_user_sgpr_dispatch_ptr 0
		.amdhsa_user_sgpr_queue_ptr 0
		.amdhsa_user_sgpr_kernarg_segment_ptr 1
		.amdhsa_user_sgpr_dispatch_id 0
		.amdhsa_user_sgpr_kernarg_preload_length 0
		.amdhsa_user_sgpr_kernarg_preload_offset 0
		.amdhsa_user_sgpr_private_segment_size 0
		.amdhsa_uses_dynamic_stack 0
		.amdhsa_enable_private_segment 0
		.amdhsa_system_sgpr_workgroup_id_x 1
		.amdhsa_system_sgpr_workgroup_id_y 0
		.amdhsa_system_sgpr_workgroup_id_z 0
		.amdhsa_system_sgpr_workgroup_info 0
		.amdhsa_system_vgpr_workitem_id 0
		.amdhsa_next_free_vgpr 81
		.amdhsa_next_free_sgpr 85
		.amdhsa_accum_offset 84
		.amdhsa_reserve_vcc 1
		.amdhsa_float_round_mode_32 0
		.amdhsa_float_round_mode_16_64 0
		.amdhsa_float_denorm_mode_32 3
		.amdhsa_float_denorm_mode_16_64 3
		.amdhsa_dx10_clamp 1
		.amdhsa_ieee_mode 1
		.amdhsa_fp16_overflow 0
		.amdhsa_tg_split 0
		.amdhsa_exception_fp_ieee_invalid_op 0
		.amdhsa_exception_fp_denorm_src 0
		.amdhsa_exception_fp_ieee_div_zero 0
		.amdhsa_exception_fp_ieee_overflow 0
		.amdhsa_exception_fp_ieee_underflow 0
		.amdhsa_exception_fp_ieee_inexact 0
		.amdhsa_exception_int_div_zero 0
	.end_amdhsa_kernel
	.section	.text._ZN7rocprim17ROCPRIM_400000_NS6detail17trampoline_kernelINS0_14default_configENS1_27scan_by_key_config_selectorIiiEEZZNS1_16scan_by_key_implILNS1_25lookback_scan_determinismE0ELb0ES3_N6thrust23THRUST_200600_302600_NS10device_ptrIiEESB_SB_iNS9_4plusIvEENS9_8equal_toIvEEiEE10hipError_tPvRmT2_T3_T4_T5_mT6_T7_P12ihipStream_tbENKUlT_T0_E_clISt17integral_constantIbLb0EESV_IbLb1EEEEDaSR_SS_EUlSR_E_NS1_11comp_targetILNS1_3genE5ELNS1_11target_archE942ELNS1_3gpuE9ELNS1_3repE0EEENS1_30default_config_static_selectorELNS0_4arch9wavefront6targetE1EEEvT1_,"axG",@progbits,_ZN7rocprim17ROCPRIM_400000_NS6detail17trampoline_kernelINS0_14default_configENS1_27scan_by_key_config_selectorIiiEEZZNS1_16scan_by_key_implILNS1_25lookback_scan_determinismE0ELb0ES3_N6thrust23THRUST_200600_302600_NS10device_ptrIiEESB_SB_iNS9_4plusIvEENS9_8equal_toIvEEiEE10hipError_tPvRmT2_T3_T4_T5_mT6_T7_P12ihipStream_tbENKUlT_T0_E_clISt17integral_constantIbLb0EESV_IbLb1EEEEDaSR_SS_EUlSR_E_NS1_11comp_targetILNS1_3genE5ELNS1_11target_archE942ELNS1_3gpuE9ELNS1_3repE0EEENS1_30default_config_static_selectorELNS0_4arch9wavefront6targetE1EEEvT1_,comdat
.Lfunc_end2227:
	.size	_ZN7rocprim17ROCPRIM_400000_NS6detail17trampoline_kernelINS0_14default_configENS1_27scan_by_key_config_selectorIiiEEZZNS1_16scan_by_key_implILNS1_25lookback_scan_determinismE0ELb0ES3_N6thrust23THRUST_200600_302600_NS10device_ptrIiEESB_SB_iNS9_4plusIvEENS9_8equal_toIvEEiEE10hipError_tPvRmT2_T3_T4_T5_mT6_T7_P12ihipStream_tbENKUlT_T0_E_clISt17integral_constantIbLb0EESV_IbLb1EEEEDaSR_SS_EUlSR_E_NS1_11comp_targetILNS1_3genE5ELNS1_11target_archE942ELNS1_3gpuE9ELNS1_3repE0EEENS1_30default_config_static_selectorELNS0_4arch9wavefront6targetE1EEEvT1_, .Lfunc_end2227-_ZN7rocprim17ROCPRIM_400000_NS6detail17trampoline_kernelINS0_14default_configENS1_27scan_by_key_config_selectorIiiEEZZNS1_16scan_by_key_implILNS1_25lookback_scan_determinismE0ELb0ES3_N6thrust23THRUST_200600_302600_NS10device_ptrIiEESB_SB_iNS9_4plusIvEENS9_8equal_toIvEEiEE10hipError_tPvRmT2_T3_T4_T5_mT6_T7_P12ihipStream_tbENKUlT_T0_E_clISt17integral_constantIbLb0EESV_IbLb1EEEEDaSR_SS_EUlSR_E_NS1_11comp_targetILNS1_3genE5ELNS1_11target_archE942ELNS1_3gpuE9ELNS1_3repE0EEENS1_30default_config_static_selectorELNS0_4arch9wavefront6targetE1EEEvT1_
                                        ; -- End function
	.section	.AMDGPU.csdata,"",@progbits
; Kernel info:
; codeLenInByte = 15516
; NumSgprs: 91
; NumVgprs: 81
; NumAgprs: 0
; TotalNumVgprs: 81
; ScratchSize: 0
; MemoryBound: 0
; FloatMode: 240
; IeeeMode: 1
; LDSByteSize: 25600 bytes/workgroup (compile time only)
; SGPRBlocks: 11
; VGPRBlocks: 10
; NumSGPRsForWavesPerEU: 91
; NumVGPRsForWavesPerEU: 81
; AccumOffset: 84
; Occupancy: 2
; WaveLimiterHint : 1
; COMPUTE_PGM_RSRC2:SCRATCH_EN: 0
; COMPUTE_PGM_RSRC2:USER_SGPR: 2
; COMPUTE_PGM_RSRC2:TRAP_HANDLER: 0
; COMPUTE_PGM_RSRC2:TGID_X_EN: 1
; COMPUTE_PGM_RSRC2:TGID_Y_EN: 0
; COMPUTE_PGM_RSRC2:TGID_Z_EN: 0
; COMPUTE_PGM_RSRC2:TIDIG_COMP_CNT: 0
; COMPUTE_PGM_RSRC3_GFX90A:ACCUM_OFFSET: 20
; COMPUTE_PGM_RSRC3_GFX90A:TG_SPLIT: 0
	.section	.text._ZN7rocprim17ROCPRIM_400000_NS6detail17trampoline_kernelINS0_14default_configENS1_27scan_by_key_config_selectorIiiEEZZNS1_16scan_by_key_implILNS1_25lookback_scan_determinismE0ELb0ES3_N6thrust23THRUST_200600_302600_NS10device_ptrIiEESB_SB_iNS9_4plusIvEENS9_8equal_toIvEEiEE10hipError_tPvRmT2_T3_T4_T5_mT6_T7_P12ihipStream_tbENKUlT_T0_E_clISt17integral_constantIbLb0EESV_IbLb1EEEEDaSR_SS_EUlSR_E_NS1_11comp_targetILNS1_3genE4ELNS1_11target_archE910ELNS1_3gpuE8ELNS1_3repE0EEENS1_30default_config_static_selectorELNS0_4arch9wavefront6targetE1EEEvT1_,"axG",@progbits,_ZN7rocprim17ROCPRIM_400000_NS6detail17trampoline_kernelINS0_14default_configENS1_27scan_by_key_config_selectorIiiEEZZNS1_16scan_by_key_implILNS1_25lookback_scan_determinismE0ELb0ES3_N6thrust23THRUST_200600_302600_NS10device_ptrIiEESB_SB_iNS9_4plusIvEENS9_8equal_toIvEEiEE10hipError_tPvRmT2_T3_T4_T5_mT6_T7_P12ihipStream_tbENKUlT_T0_E_clISt17integral_constantIbLb0EESV_IbLb1EEEEDaSR_SS_EUlSR_E_NS1_11comp_targetILNS1_3genE4ELNS1_11target_archE910ELNS1_3gpuE8ELNS1_3repE0EEENS1_30default_config_static_selectorELNS0_4arch9wavefront6targetE1EEEvT1_,comdat
	.protected	_ZN7rocprim17ROCPRIM_400000_NS6detail17trampoline_kernelINS0_14default_configENS1_27scan_by_key_config_selectorIiiEEZZNS1_16scan_by_key_implILNS1_25lookback_scan_determinismE0ELb0ES3_N6thrust23THRUST_200600_302600_NS10device_ptrIiEESB_SB_iNS9_4plusIvEENS9_8equal_toIvEEiEE10hipError_tPvRmT2_T3_T4_T5_mT6_T7_P12ihipStream_tbENKUlT_T0_E_clISt17integral_constantIbLb0EESV_IbLb1EEEEDaSR_SS_EUlSR_E_NS1_11comp_targetILNS1_3genE4ELNS1_11target_archE910ELNS1_3gpuE8ELNS1_3repE0EEENS1_30default_config_static_selectorELNS0_4arch9wavefront6targetE1EEEvT1_ ; -- Begin function _ZN7rocprim17ROCPRIM_400000_NS6detail17trampoline_kernelINS0_14default_configENS1_27scan_by_key_config_selectorIiiEEZZNS1_16scan_by_key_implILNS1_25lookback_scan_determinismE0ELb0ES3_N6thrust23THRUST_200600_302600_NS10device_ptrIiEESB_SB_iNS9_4plusIvEENS9_8equal_toIvEEiEE10hipError_tPvRmT2_T3_T4_T5_mT6_T7_P12ihipStream_tbENKUlT_T0_E_clISt17integral_constantIbLb0EESV_IbLb1EEEEDaSR_SS_EUlSR_E_NS1_11comp_targetILNS1_3genE4ELNS1_11target_archE910ELNS1_3gpuE8ELNS1_3repE0EEENS1_30default_config_static_selectorELNS0_4arch9wavefront6targetE1EEEvT1_
	.globl	_ZN7rocprim17ROCPRIM_400000_NS6detail17trampoline_kernelINS0_14default_configENS1_27scan_by_key_config_selectorIiiEEZZNS1_16scan_by_key_implILNS1_25lookback_scan_determinismE0ELb0ES3_N6thrust23THRUST_200600_302600_NS10device_ptrIiEESB_SB_iNS9_4plusIvEENS9_8equal_toIvEEiEE10hipError_tPvRmT2_T3_T4_T5_mT6_T7_P12ihipStream_tbENKUlT_T0_E_clISt17integral_constantIbLb0EESV_IbLb1EEEEDaSR_SS_EUlSR_E_NS1_11comp_targetILNS1_3genE4ELNS1_11target_archE910ELNS1_3gpuE8ELNS1_3repE0EEENS1_30default_config_static_selectorELNS0_4arch9wavefront6targetE1EEEvT1_
	.p2align	8
	.type	_ZN7rocprim17ROCPRIM_400000_NS6detail17trampoline_kernelINS0_14default_configENS1_27scan_by_key_config_selectorIiiEEZZNS1_16scan_by_key_implILNS1_25lookback_scan_determinismE0ELb0ES3_N6thrust23THRUST_200600_302600_NS10device_ptrIiEESB_SB_iNS9_4plusIvEENS9_8equal_toIvEEiEE10hipError_tPvRmT2_T3_T4_T5_mT6_T7_P12ihipStream_tbENKUlT_T0_E_clISt17integral_constantIbLb0EESV_IbLb1EEEEDaSR_SS_EUlSR_E_NS1_11comp_targetILNS1_3genE4ELNS1_11target_archE910ELNS1_3gpuE8ELNS1_3repE0EEENS1_30default_config_static_selectorELNS0_4arch9wavefront6targetE1EEEvT1_,@function
_ZN7rocprim17ROCPRIM_400000_NS6detail17trampoline_kernelINS0_14default_configENS1_27scan_by_key_config_selectorIiiEEZZNS1_16scan_by_key_implILNS1_25lookback_scan_determinismE0ELb0ES3_N6thrust23THRUST_200600_302600_NS10device_ptrIiEESB_SB_iNS9_4plusIvEENS9_8equal_toIvEEiEE10hipError_tPvRmT2_T3_T4_T5_mT6_T7_P12ihipStream_tbENKUlT_T0_E_clISt17integral_constantIbLb0EESV_IbLb1EEEEDaSR_SS_EUlSR_E_NS1_11comp_targetILNS1_3genE4ELNS1_11target_archE910ELNS1_3gpuE8ELNS1_3repE0EEENS1_30default_config_static_selectorELNS0_4arch9wavefront6targetE1EEEvT1_: ; @_ZN7rocprim17ROCPRIM_400000_NS6detail17trampoline_kernelINS0_14default_configENS1_27scan_by_key_config_selectorIiiEEZZNS1_16scan_by_key_implILNS1_25lookback_scan_determinismE0ELb0ES3_N6thrust23THRUST_200600_302600_NS10device_ptrIiEESB_SB_iNS9_4plusIvEENS9_8equal_toIvEEiEE10hipError_tPvRmT2_T3_T4_T5_mT6_T7_P12ihipStream_tbENKUlT_T0_E_clISt17integral_constantIbLb0EESV_IbLb1EEEEDaSR_SS_EUlSR_E_NS1_11comp_targetILNS1_3genE4ELNS1_11target_archE910ELNS1_3gpuE8ELNS1_3repE0EEENS1_30default_config_static_selectorELNS0_4arch9wavefront6targetE1EEEvT1_
; %bb.0:
	.section	.rodata,"a",@progbits
	.p2align	6, 0x0
	.amdhsa_kernel _ZN7rocprim17ROCPRIM_400000_NS6detail17trampoline_kernelINS0_14default_configENS1_27scan_by_key_config_selectorIiiEEZZNS1_16scan_by_key_implILNS1_25lookback_scan_determinismE0ELb0ES3_N6thrust23THRUST_200600_302600_NS10device_ptrIiEESB_SB_iNS9_4plusIvEENS9_8equal_toIvEEiEE10hipError_tPvRmT2_T3_T4_T5_mT6_T7_P12ihipStream_tbENKUlT_T0_E_clISt17integral_constantIbLb0EESV_IbLb1EEEEDaSR_SS_EUlSR_E_NS1_11comp_targetILNS1_3genE4ELNS1_11target_archE910ELNS1_3gpuE8ELNS1_3repE0EEENS1_30default_config_static_selectorELNS0_4arch9wavefront6targetE1EEEvT1_
		.amdhsa_group_segment_fixed_size 0
		.amdhsa_private_segment_fixed_size 0
		.amdhsa_kernarg_size 112
		.amdhsa_user_sgpr_count 2
		.amdhsa_user_sgpr_dispatch_ptr 0
		.amdhsa_user_sgpr_queue_ptr 0
		.amdhsa_user_sgpr_kernarg_segment_ptr 1
		.amdhsa_user_sgpr_dispatch_id 0
		.amdhsa_user_sgpr_kernarg_preload_length 0
		.amdhsa_user_sgpr_kernarg_preload_offset 0
		.amdhsa_user_sgpr_private_segment_size 0
		.amdhsa_uses_dynamic_stack 0
		.amdhsa_enable_private_segment 0
		.amdhsa_system_sgpr_workgroup_id_x 1
		.amdhsa_system_sgpr_workgroup_id_y 0
		.amdhsa_system_sgpr_workgroup_id_z 0
		.amdhsa_system_sgpr_workgroup_info 0
		.amdhsa_system_vgpr_workitem_id 0
		.amdhsa_next_free_vgpr 1
		.amdhsa_next_free_sgpr 0
		.amdhsa_accum_offset 4
		.amdhsa_reserve_vcc 0
		.amdhsa_float_round_mode_32 0
		.amdhsa_float_round_mode_16_64 0
		.amdhsa_float_denorm_mode_32 3
		.amdhsa_float_denorm_mode_16_64 3
		.amdhsa_dx10_clamp 1
		.amdhsa_ieee_mode 1
		.amdhsa_fp16_overflow 0
		.amdhsa_tg_split 0
		.amdhsa_exception_fp_ieee_invalid_op 0
		.amdhsa_exception_fp_denorm_src 0
		.amdhsa_exception_fp_ieee_div_zero 0
		.amdhsa_exception_fp_ieee_overflow 0
		.amdhsa_exception_fp_ieee_underflow 0
		.amdhsa_exception_fp_ieee_inexact 0
		.amdhsa_exception_int_div_zero 0
	.end_amdhsa_kernel
	.section	.text._ZN7rocprim17ROCPRIM_400000_NS6detail17trampoline_kernelINS0_14default_configENS1_27scan_by_key_config_selectorIiiEEZZNS1_16scan_by_key_implILNS1_25lookback_scan_determinismE0ELb0ES3_N6thrust23THRUST_200600_302600_NS10device_ptrIiEESB_SB_iNS9_4plusIvEENS9_8equal_toIvEEiEE10hipError_tPvRmT2_T3_T4_T5_mT6_T7_P12ihipStream_tbENKUlT_T0_E_clISt17integral_constantIbLb0EESV_IbLb1EEEEDaSR_SS_EUlSR_E_NS1_11comp_targetILNS1_3genE4ELNS1_11target_archE910ELNS1_3gpuE8ELNS1_3repE0EEENS1_30default_config_static_selectorELNS0_4arch9wavefront6targetE1EEEvT1_,"axG",@progbits,_ZN7rocprim17ROCPRIM_400000_NS6detail17trampoline_kernelINS0_14default_configENS1_27scan_by_key_config_selectorIiiEEZZNS1_16scan_by_key_implILNS1_25lookback_scan_determinismE0ELb0ES3_N6thrust23THRUST_200600_302600_NS10device_ptrIiEESB_SB_iNS9_4plusIvEENS9_8equal_toIvEEiEE10hipError_tPvRmT2_T3_T4_T5_mT6_T7_P12ihipStream_tbENKUlT_T0_E_clISt17integral_constantIbLb0EESV_IbLb1EEEEDaSR_SS_EUlSR_E_NS1_11comp_targetILNS1_3genE4ELNS1_11target_archE910ELNS1_3gpuE8ELNS1_3repE0EEENS1_30default_config_static_selectorELNS0_4arch9wavefront6targetE1EEEvT1_,comdat
.Lfunc_end2228:
	.size	_ZN7rocprim17ROCPRIM_400000_NS6detail17trampoline_kernelINS0_14default_configENS1_27scan_by_key_config_selectorIiiEEZZNS1_16scan_by_key_implILNS1_25lookback_scan_determinismE0ELb0ES3_N6thrust23THRUST_200600_302600_NS10device_ptrIiEESB_SB_iNS9_4plusIvEENS9_8equal_toIvEEiEE10hipError_tPvRmT2_T3_T4_T5_mT6_T7_P12ihipStream_tbENKUlT_T0_E_clISt17integral_constantIbLb0EESV_IbLb1EEEEDaSR_SS_EUlSR_E_NS1_11comp_targetILNS1_3genE4ELNS1_11target_archE910ELNS1_3gpuE8ELNS1_3repE0EEENS1_30default_config_static_selectorELNS0_4arch9wavefront6targetE1EEEvT1_, .Lfunc_end2228-_ZN7rocprim17ROCPRIM_400000_NS6detail17trampoline_kernelINS0_14default_configENS1_27scan_by_key_config_selectorIiiEEZZNS1_16scan_by_key_implILNS1_25lookback_scan_determinismE0ELb0ES3_N6thrust23THRUST_200600_302600_NS10device_ptrIiEESB_SB_iNS9_4plusIvEENS9_8equal_toIvEEiEE10hipError_tPvRmT2_T3_T4_T5_mT6_T7_P12ihipStream_tbENKUlT_T0_E_clISt17integral_constantIbLb0EESV_IbLb1EEEEDaSR_SS_EUlSR_E_NS1_11comp_targetILNS1_3genE4ELNS1_11target_archE910ELNS1_3gpuE8ELNS1_3repE0EEENS1_30default_config_static_selectorELNS0_4arch9wavefront6targetE1EEEvT1_
                                        ; -- End function
	.section	.AMDGPU.csdata,"",@progbits
; Kernel info:
; codeLenInByte = 0
; NumSgprs: 6
; NumVgprs: 0
; NumAgprs: 0
; TotalNumVgprs: 0
; ScratchSize: 0
; MemoryBound: 0
; FloatMode: 240
; IeeeMode: 1
; LDSByteSize: 0 bytes/workgroup (compile time only)
; SGPRBlocks: 0
; VGPRBlocks: 0
; NumSGPRsForWavesPerEU: 6
; NumVGPRsForWavesPerEU: 1
; AccumOffset: 4
; Occupancy: 8
; WaveLimiterHint : 0
; COMPUTE_PGM_RSRC2:SCRATCH_EN: 0
; COMPUTE_PGM_RSRC2:USER_SGPR: 2
; COMPUTE_PGM_RSRC2:TRAP_HANDLER: 0
; COMPUTE_PGM_RSRC2:TGID_X_EN: 1
; COMPUTE_PGM_RSRC2:TGID_Y_EN: 0
; COMPUTE_PGM_RSRC2:TGID_Z_EN: 0
; COMPUTE_PGM_RSRC2:TIDIG_COMP_CNT: 0
; COMPUTE_PGM_RSRC3_GFX90A:ACCUM_OFFSET: 0
; COMPUTE_PGM_RSRC3_GFX90A:TG_SPLIT: 0
	.section	.text._ZN7rocprim17ROCPRIM_400000_NS6detail17trampoline_kernelINS0_14default_configENS1_27scan_by_key_config_selectorIiiEEZZNS1_16scan_by_key_implILNS1_25lookback_scan_determinismE0ELb0ES3_N6thrust23THRUST_200600_302600_NS10device_ptrIiEESB_SB_iNS9_4plusIvEENS9_8equal_toIvEEiEE10hipError_tPvRmT2_T3_T4_T5_mT6_T7_P12ihipStream_tbENKUlT_T0_E_clISt17integral_constantIbLb0EESV_IbLb1EEEEDaSR_SS_EUlSR_E_NS1_11comp_targetILNS1_3genE3ELNS1_11target_archE908ELNS1_3gpuE7ELNS1_3repE0EEENS1_30default_config_static_selectorELNS0_4arch9wavefront6targetE1EEEvT1_,"axG",@progbits,_ZN7rocprim17ROCPRIM_400000_NS6detail17trampoline_kernelINS0_14default_configENS1_27scan_by_key_config_selectorIiiEEZZNS1_16scan_by_key_implILNS1_25lookback_scan_determinismE0ELb0ES3_N6thrust23THRUST_200600_302600_NS10device_ptrIiEESB_SB_iNS9_4plusIvEENS9_8equal_toIvEEiEE10hipError_tPvRmT2_T3_T4_T5_mT6_T7_P12ihipStream_tbENKUlT_T0_E_clISt17integral_constantIbLb0EESV_IbLb1EEEEDaSR_SS_EUlSR_E_NS1_11comp_targetILNS1_3genE3ELNS1_11target_archE908ELNS1_3gpuE7ELNS1_3repE0EEENS1_30default_config_static_selectorELNS0_4arch9wavefront6targetE1EEEvT1_,comdat
	.protected	_ZN7rocprim17ROCPRIM_400000_NS6detail17trampoline_kernelINS0_14default_configENS1_27scan_by_key_config_selectorIiiEEZZNS1_16scan_by_key_implILNS1_25lookback_scan_determinismE0ELb0ES3_N6thrust23THRUST_200600_302600_NS10device_ptrIiEESB_SB_iNS9_4plusIvEENS9_8equal_toIvEEiEE10hipError_tPvRmT2_T3_T4_T5_mT6_T7_P12ihipStream_tbENKUlT_T0_E_clISt17integral_constantIbLb0EESV_IbLb1EEEEDaSR_SS_EUlSR_E_NS1_11comp_targetILNS1_3genE3ELNS1_11target_archE908ELNS1_3gpuE7ELNS1_3repE0EEENS1_30default_config_static_selectorELNS0_4arch9wavefront6targetE1EEEvT1_ ; -- Begin function _ZN7rocprim17ROCPRIM_400000_NS6detail17trampoline_kernelINS0_14default_configENS1_27scan_by_key_config_selectorIiiEEZZNS1_16scan_by_key_implILNS1_25lookback_scan_determinismE0ELb0ES3_N6thrust23THRUST_200600_302600_NS10device_ptrIiEESB_SB_iNS9_4plusIvEENS9_8equal_toIvEEiEE10hipError_tPvRmT2_T3_T4_T5_mT6_T7_P12ihipStream_tbENKUlT_T0_E_clISt17integral_constantIbLb0EESV_IbLb1EEEEDaSR_SS_EUlSR_E_NS1_11comp_targetILNS1_3genE3ELNS1_11target_archE908ELNS1_3gpuE7ELNS1_3repE0EEENS1_30default_config_static_selectorELNS0_4arch9wavefront6targetE1EEEvT1_
	.globl	_ZN7rocprim17ROCPRIM_400000_NS6detail17trampoline_kernelINS0_14default_configENS1_27scan_by_key_config_selectorIiiEEZZNS1_16scan_by_key_implILNS1_25lookback_scan_determinismE0ELb0ES3_N6thrust23THRUST_200600_302600_NS10device_ptrIiEESB_SB_iNS9_4plusIvEENS9_8equal_toIvEEiEE10hipError_tPvRmT2_T3_T4_T5_mT6_T7_P12ihipStream_tbENKUlT_T0_E_clISt17integral_constantIbLb0EESV_IbLb1EEEEDaSR_SS_EUlSR_E_NS1_11comp_targetILNS1_3genE3ELNS1_11target_archE908ELNS1_3gpuE7ELNS1_3repE0EEENS1_30default_config_static_selectorELNS0_4arch9wavefront6targetE1EEEvT1_
	.p2align	8
	.type	_ZN7rocprim17ROCPRIM_400000_NS6detail17trampoline_kernelINS0_14default_configENS1_27scan_by_key_config_selectorIiiEEZZNS1_16scan_by_key_implILNS1_25lookback_scan_determinismE0ELb0ES3_N6thrust23THRUST_200600_302600_NS10device_ptrIiEESB_SB_iNS9_4plusIvEENS9_8equal_toIvEEiEE10hipError_tPvRmT2_T3_T4_T5_mT6_T7_P12ihipStream_tbENKUlT_T0_E_clISt17integral_constantIbLb0EESV_IbLb1EEEEDaSR_SS_EUlSR_E_NS1_11comp_targetILNS1_3genE3ELNS1_11target_archE908ELNS1_3gpuE7ELNS1_3repE0EEENS1_30default_config_static_selectorELNS0_4arch9wavefront6targetE1EEEvT1_,@function
_ZN7rocprim17ROCPRIM_400000_NS6detail17trampoline_kernelINS0_14default_configENS1_27scan_by_key_config_selectorIiiEEZZNS1_16scan_by_key_implILNS1_25lookback_scan_determinismE0ELb0ES3_N6thrust23THRUST_200600_302600_NS10device_ptrIiEESB_SB_iNS9_4plusIvEENS9_8equal_toIvEEiEE10hipError_tPvRmT2_T3_T4_T5_mT6_T7_P12ihipStream_tbENKUlT_T0_E_clISt17integral_constantIbLb0EESV_IbLb1EEEEDaSR_SS_EUlSR_E_NS1_11comp_targetILNS1_3genE3ELNS1_11target_archE908ELNS1_3gpuE7ELNS1_3repE0EEENS1_30default_config_static_selectorELNS0_4arch9wavefront6targetE1EEEvT1_: ; @_ZN7rocprim17ROCPRIM_400000_NS6detail17trampoline_kernelINS0_14default_configENS1_27scan_by_key_config_selectorIiiEEZZNS1_16scan_by_key_implILNS1_25lookback_scan_determinismE0ELb0ES3_N6thrust23THRUST_200600_302600_NS10device_ptrIiEESB_SB_iNS9_4plusIvEENS9_8equal_toIvEEiEE10hipError_tPvRmT2_T3_T4_T5_mT6_T7_P12ihipStream_tbENKUlT_T0_E_clISt17integral_constantIbLb0EESV_IbLb1EEEEDaSR_SS_EUlSR_E_NS1_11comp_targetILNS1_3genE3ELNS1_11target_archE908ELNS1_3gpuE7ELNS1_3repE0EEENS1_30default_config_static_selectorELNS0_4arch9wavefront6targetE1EEEvT1_
; %bb.0:
	.section	.rodata,"a",@progbits
	.p2align	6, 0x0
	.amdhsa_kernel _ZN7rocprim17ROCPRIM_400000_NS6detail17trampoline_kernelINS0_14default_configENS1_27scan_by_key_config_selectorIiiEEZZNS1_16scan_by_key_implILNS1_25lookback_scan_determinismE0ELb0ES3_N6thrust23THRUST_200600_302600_NS10device_ptrIiEESB_SB_iNS9_4plusIvEENS9_8equal_toIvEEiEE10hipError_tPvRmT2_T3_T4_T5_mT6_T7_P12ihipStream_tbENKUlT_T0_E_clISt17integral_constantIbLb0EESV_IbLb1EEEEDaSR_SS_EUlSR_E_NS1_11comp_targetILNS1_3genE3ELNS1_11target_archE908ELNS1_3gpuE7ELNS1_3repE0EEENS1_30default_config_static_selectorELNS0_4arch9wavefront6targetE1EEEvT1_
		.amdhsa_group_segment_fixed_size 0
		.amdhsa_private_segment_fixed_size 0
		.amdhsa_kernarg_size 112
		.amdhsa_user_sgpr_count 2
		.amdhsa_user_sgpr_dispatch_ptr 0
		.amdhsa_user_sgpr_queue_ptr 0
		.amdhsa_user_sgpr_kernarg_segment_ptr 1
		.amdhsa_user_sgpr_dispatch_id 0
		.amdhsa_user_sgpr_kernarg_preload_length 0
		.amdhsa_user_sgpr_kernarg_preload_offset 0
		.amdhsa_user_sgpr_private_segment_size 0
		.amdhsa_uses_dynamic_stack 0
		.amdhsa_enable_private_segment 0
		.amdhsa_system_sgpr_workgroup_id_x 1
		.amdhsa_system_sgpr_workgroup_id_y 0
		.amdhsa_system_sgpr_workgroup_id_z 0
		.amdhsa_system_sgpr_workgroup_info 0
		.amdhsa_system_vgpr_workitem_id 0
		.amdhsa_next_free_vgpr 1
		.amdhsa_next_free_sgpr 0
		.amdhsa_accum_offset 4
		.amdhsa_reserve_vcc 0
		.amdhsa_float_round_mode_32 0
		.amdhsa_float_round_mode_16_64 0
		.amdhsa_float_denorm_mode_32 3
		.amdhsa_float_denorm_mode_16_64 3
		.amdhsa_dx10_clamp 1
		.amdhsa_ieee_mode 1
		.amdhsa_fp16_overflow 0
		.amdhsa_tg_split 0
		.amdhsa_exception_fp_ieee_invalid_op 0
		.amdhsa_exception_fp_denorm_src 0
		.amdhsa_exception_fp_ieee_div_zero 0
		.amdhsa_exception_fp_ieee_overflow 0
		.amdhsa_exception_fp_ieee_underflow 0
		.amdhsa_exception_fp_ieee_inexact 0
		.amdhsa_exception_int_div_zero 0
	.end_amdhsa_kernel
	.section	.text._ZN7rocprim17ROCPRIM_400000_NS6detail17trampoline_kernelINS0_14default_configENS1_27scan_by_key_config_selectorIiiEEZZNS1_16scan_by_key_implILNS1_25lookback_scan_determinismE0ELb0ES3_N6thrust23THRUST_200600_302600_NS10device_ptrIiEESB_SB_iNS9_4plusIvEENS9_8equal_toIvEEiEE10hipError_tPvRmT2_T3_T4_T5_mT6_T7_P12ihipStream_tbENKUlT_T0_E_clISt17integral_constantIbLb0EESV_IbLb1EEEEDaSR_SS_EUlSR_E_NS1_11comp_targetILNS1_3genE3ELNS1_11target_archE908ELNS1_3gpuE7ELNS1_3repE0EEENS1_30default_config_static_selectorELNS0_4arch9wavefront6targetE1EEEvT1_,"axG",@progbits,_ZN7rocprim17ROCPRIM_400000_NS6detail17trampoline_kernelINS0_14default_configENS1_27scan_by_key_config_selectorIiiEEZZNS1_16scan_by_key_implILNS1_25lookback_scan_determinismE0ELb0ES3_N6thrust23THRUST_200600_302600_NS10device_ptrIiEESB_SB_iNS9_4plusIvEENS9_8equal_toIvEEiEE10hipError_tPvRmT2_T3_T4_T5_mT6_T7_P12ihipStream_tbENKUlT_T0_E_clISt17integral_constantIbLb0EESV_IbLb1EEEEDaSR_SS_EUlSR_E_NS1_11comp_targetILNS1_3genE3ELNS1_11target_archE908ELNS1_3gpuE7ELNS1_3repE0EEENS1_30default_config_static_selectorELNS0_4arch9wavefront6targetE1EEEvT1_,comdat
.Lfunc_end2229:
	.size	_ZN7rocprim17ROCPRIM_400000_NS6detail17trampoline_kernelINS0_14default_configENS1_27scan_by_key_config_selectorIiiEEZZNS1_16scan_by_key_implILNS1_25lookback_scan_determinismE0ELb0ES3_N6thrust23THRUST_200600_302600_NS10device_ptrIiEESB_SB_iNS9_4plusIvEENS9_8equal_toIvEEiEE10hipError_tPvRmT2_T3_T4_T5_mT6_T7_P12ihipStream_tbENKUlT_T0_E_clISt17integral_constantIbLb0EESV_IbLb1EEEEDaSR_SS_EUlSR_E_NS1_11comp_targetILNS1_3genE3ELNS1_11target_archE908ELNS1_3gpuE7ELNS1_3repE0EEENS1_30default_config_static_selectorELNS0_4arch9wavefront6targetE1EEEvT1_, .Lfunc_end2229-_ZN7rocprim17ROCPRIM_400000_NS6detail17trampoline_kernelINS0_14default_configENS1_27scan_by_key_config_selectorIiiEEZZNS1_16scan_by_key_implILNS1_25lookback_scan_determinismE0ELb0ES3_N6thrust23THRUST_200600_302600_NS10device_ptrIiEESB_SB_iNS9_4plusIvEENS9_8equal_toIvEEiEE10hipError_tPvRmT2_T3_T4_T5_mT6_T7_P12ihipStream_tbENKUlT_T0_E_clISt17integral_constantIbLb0EESV_IbLb1EEEEDaSR_SS_EUlSR_E_NS1_11comp_targetILNS1_3genE3ELNS1_11target_archE908ELNS1_3gpuE7ELNS1_3repE0EEENS1_30default_config_static_selectorELNS0_4arch9wavefront6targetE1EEEvT1_
                                        ; -- End function
	.section	.AMDGPU.csdata,"",@progbits
; Kernel info:
; codeLenInByte = 0
; NumSgprs: 6
; NumVgprs: 0
; NumAgprs: 0
; TotalNumVgprs: 0
; ScratchSize: 0
; MemoryBound: 0
; FloatMode: 240
; IeeeMode: 1
; LDSByteSize: 0 bytes/workgroup (compile time only)
; SGPRBlocks: 0
; VGPRBlocks: 0
; NumSGPRsForWavesPerEU: 6
; NumVGPRsForWavesPerEU: 1
; AccumOffset: 4
; Occupancy: 8
; WaveLimiterHint : 0
; COMPUTE_PGM_RSRC2:SCRATCH_EN: 0
; COMPUTE_PGM_RSRC2:USER_SGPR: 2
; COMPUTE_PGM_RSRC2:TRAP_HANDLER: 0
; COMPUTE_PGM_RSRC2:TGID_X_EN: 1
; COMPUTE_PGM_RSRC2:TGID_Y_EN: 0
; COMPUTE_PGM_RSRC2:TGID_Z_EN: 0
; COMPUTE_PGM_RSRC2:TIDIG_COMP_CNT: 0
; COMPUTE_PGM_RSRC3_GFX90A:ACCUM_OFFSET: 0
; COMPUTE_PGM_RSRC3_GFX90A:TG_SPLIT: 0
	.section	.text._ZN7rocprim17ROCPRIM_400000_NS6detail17trampoline_kernelINS0_14default_configENS1_27scan_by_key_config_selectorIiiEEZZNS1_16scan_by_key_implILNS1_25lookback_scan_determinismE0ELb0ES3_N6thrust23THRUST_200600_302600_NS10device_ptrIiEESB_SB_iNS9_4plusIvEENS9_8equal_toIvEEiEE10hipError_tPvRmT2_T3_T4_T5_mT6_T7_P12ihipStream_tbENKUlT_T0_E_clISt17integral_constantIbLb0EESV_IbLb1EEEEDaSR_SS_EUlSR_E_NS1_11comp_targetILNS1_3genE2ELNS1_11target_archE906ELNS1_3gpuE6ELNS1_3repE0EEENS1_30default_config_static_selectorELNS0_4arch9wavefront6targetE1EEEvT1_,"axG",@progbits,_ZN7rocprim17ROCPRIM_400000_NS6detail17trampoline_kernelINS0_14default_configENS1_27scan_by_key_config_selectorIiiEEZZNS1_16scan_by_key_implILNS1_25lookback_scan_determinismE0ELb0ES3_N6thrust23THRUST_200600_302600_NS10device_ptrIiEESB_SB_iNS9_4plusIvEENS9_8equal_toIvEEiEE10hipError_tPvRmT2_T3_T4_T5_mT6_T7_P12ihipStream_tbENKUlT_T0_E_clISt17integral_constantIbLb0EESV_IbLb1EEEEDaSR_SS_EUlSR_E_NS1_11comp_targetILNS1_3genE2ELNS1_11target_archE906ELNS1_3gpuE6ELNS1_3repE0EEENS1_30default_config_static_selectorELNS0_4arch9wavefront6targetE1EEEvT1_,comdat
	.protected	_ZN7rocprim17ROCPRIM_400000_NS6detail17trampoline_kernelINS0_14default_configENS1_27scan_by_key_config_selectorIiiEEZZNS1_16scan_by_key_implILNS1_25lookback_scan_determinismE0ELb0ES3_N6thrust23THRUST_200600_302600_NS10device_ptrIiEESB_SB_iNS9_4plusIvEENS9_8equal_toIvEEiEE10hipError_tPvRmT2_T3_T4_T5_mT6_T7_P12ihipStream_tbENKUlT_T0_E_clISt17integral_constantIbLb0EESV_IbLb1EEEEDaSR_SS_EUlSR_E_NS1_11comp_targetILNS1_3genE2ELNS1_11target_archE906ELNS1_3gpuE6ELNS1_3repE0EEENS1_30default_config_static_selectorELNS0_4arch9wavefront6targetE1EEEvT1_ ; -- Begin function _ZN7rocprim17ROCPRIM_400000_NS6detail17trampoline_kernelINS0_14default_configENS1_27scan_by_key_config_selectorIiiEEZZNS1_16scan_by_key_implILNS1_25lookback_scan_determinismE0ELb0ES3_N6thrust23THRUST_200600_302600_NS10device_ptrIiEESB_SB_iNS9_4plusIvEENS9_8equal_toIvEEiEE10hipError_tPvRmT2_T3_T4_T5_mT6_T7_P12ihipStream_tbENKUlT_T0_E_clISt17integral_constantIbLb0EESV_IbLb1EEEEDaSR_SS_EUlSR_E_NS1_11comp_targetILNS1_3genE2ELNS1_11target_archE906ELNS1_3gpuE6ELNS1_3repE0EEENS1_30default_config_static_selectorELNS0_4arch9wavefront6targetE1EEEvT1_
	.globl	_ZN7rocprim17ROCPRIM_400000_NS6detail17trampoline_kernelINS0_14default_configENS1_27scan_by_key_config_selectorIiiEEZZNS1_16scan_by_key_implILNS1_25lookback_scan_determinismE0ELb0ES3_N6thrust23THRUST_200600_302600_NS10device_ptrIiEESB_SB_iNS9_4plusIvEENS9_8equal_toIvEEiEE10hipError_tPvRmT2_T3_T4_T5_mT6_T7_P12ihipStream_tbENKUlT_T0_E_clISt17integral_constantIbLb0EESV_IbLb1EEEEDaSR_SS_EUlSR_E_NS1_11comp_targetILNS1_3genE2ELNS1_11target_archE906ELNS1_3gpuE6ELNS1_3repE0EEENS1_30default_config_static_selectorELNS0_4arch9wavefront6targetE1EEEvT1_
	.p2align	8
	.type	_ZN7rocprim17ROCPRIM_400000_NS6detail17trampoline_kernelINS0_14default_configENS1_27scan_by_key_config_selectorIiiEEZZNS1_16scan_by_key_implILNS1_25lookback_scan_determinismE0ELb0ES3_N6thrust23THRUST_200600_302600_NS10device_ptrIiEESB_SB_iNS9_4plusIvEENS9_8equal_toIvEEiEE10hipError_tPvRmT2_T3_T4_T5_mT6_T7_P12ihipStream_tbENKUlT_T0_E_clISt17integral_constantIbLb0EESV_IbLb1EEEEDaSR_SS_EUlSR_E_NS1_11comp_targetILNS1_3genE2ELNS1_11target_archE906ELNS1_3gpuE6ELNS1_3repE0EEENS1_30default_config_static_selectorELNS0_4arch9wavefront6targetE1EEEvT1_,@function
_ZN7rocprim17ROCPRIM_400000_NS6detail17trampoline_kernelINS0_14default_configENS1_27scan_by_key_config_selectorIiiEEZZNS1_16scan_by_key_implILNS1_25lookback_scan_determinismE0ELb0ES3_N6thrust23THRUST_200600_302600_NS10device_ptrIiEESB_SB_iNS9_4plusIvEENS9_8equal_toIvEEiEE10hipError_tPvRmT2_T3_T4_T5_mT6_T7_P12ihipStream_tbENKUlT_T0_E_clISt17integral_constantIbLb0EESV_IbLb1EEEEDaSR_SS_EUlSR_E_NS1_11comp_targetILNS1_3genE2ELNS1_11target_archE906ELNS1_3gpuE6ELNS1_3repE0EEENS1_30default_config_static_selectorELNS0_4arch9wavefront6targetE1EEEvT1_: ; @_ZN7rocprim17ROCPRIM_400000_NS6detail17trampoline_kernelINS0_14default_configENS1_27scan_by_key_config_selectorIiiEEZZNS1_16scan_by_key_implILNS1_25lookback_scan_determinismE0ELb0ES3_N6thrust23THRUST_200600_302600_NS10device_ptrIiEESB_SB_iNS9_4plusIvEENS9_8equal_toIvEEiEE10hipError_tPvRmT2_T3_T4_T5_mT6_T7_P12ihipStream_tbENKUlT_T0_E_clISt17integral_constantIbLb0EESV_IbLb1EEEEDaSR_SS_EUlSR_E_NS1_11comp_targetILNS1_3genE2ELNS1_11target_archE906ELNS1_3gpuE6ELNS1_3repE0EEENS1_30default_config_static_selectorELNS0_4arch9wavefront6targetE1EEEvT1_
; %bb.0:
	.section	.rodata,"a",@progbits
	.p2align	6, 0x0
	.amdhsa_kernel _ZN7rocprim17ROCPRIM_400000_NS6detail17trampoline_kernelINS0_14default_configENS1_27scan_by_key_config_selectorIiiEEZZNS1_16scan_by_key_implILNS1_25lookback_scan_determinismE0ELb0ES3_N6thrust23THRUST_200600_302600_NS10device_ptrIiEESB_SB_iNS9_4plusIvEENS9_8equal_toIvEEiEE10hipError_tPvRmT2_T3_T4_T5_mT6_T7_P12ihipStream_tbENKUlT_T0_E_clISt17integral_constantIbLb0EESV_IbLb1EEEEDaSR_SS_EUlSR_E_NS1_11comp_targetILNS1_3genE2ELNS1_11target_archE906ELNS1_3gpuE6ELNS1_3repE0EEENS1_30default_config_static_selectorELNS0_4arch9wavefront6targetE1EEEvT1_
		.amdhsa_group_segment_fixed_size 0
		.amdhsa_private_segment_fixed_size 0
		.amdhsa_kernarg_size 112
		.amdhsa_user_sgpr_count 2
		.amdhsa_user_sgpr_dispatch_ptr 0
		.amdhsa_user_sgpr_queue_ptr 0
		.amdhsa_user_sgpr_kernarg_segment_ptr 1
		.amdhsa_user_sgpr_dispatch_id 0
		.amdhsa_user_sgpr_kernarg_preload_length 0
		.amdhsa_user_sgpr_kernarg_preload_offset 0
		.amdhsa_user_sgpr_private_segment_size 0
		.amdhsa_uses_dynamic_stack 0
		.amdhsa_enable_private_segment 0
		.amdhsa_system_sgpr_workgroup_id_x 1
		.amdhsa_system_sgpr_workgroup_id_y 0
		.amdhsa_system_sgpr_workgroup_id_z 0
		.amdhsa_system_sgpr_workgroup_info 0
		.amdhsa_system_vgpr_workitem_id 0
		.amdhsa_next_free_vgpr 1
		.amdhsa_next_free_sgpr 0
		.amdhsa_accum_offset 4
		.amdhsa_reserve_vcc 0
		.amdhsa_float_round_mode_32 0
		.amdhsa_float_round_mode_16_64 0
		.amdhsa_float_denorm_mode_32 3
		.amdhsa_float_denorm_mode_16_64 3
		.amdhsa_dx10_clamp 1
		.amdhsa_ieee_mode 1
		.amdhsa_fp16_overflow 0
		.amdhsa_tg_split 0
		.amdhsa_exception_fp_ieee_invalid_op 0
		.amdhsa_exception_fp_denorm_src 0
		.amdhsa_exception_fp_ieee_div_zero 0
		.amdhsa_exception_fp_ieee_overflow 0
		.amdhsa_exception_fp_ieee_underflow 0
		.amdhsa_exception_fp_ieee_inexact 0
		.amdhsa_exception_int_div_zero 0
	.end_amdhsa_kernel
	.section	.text._ZN7rocprim17ROCPRIM_400000_NS6detail17trampoline_kernelINS0_14default_configENS1_27scan_by_key_config_selectorIiiEEZZNS1_16scan_by_key_implILNS1_25lookback_scan_determinismE0ELb0ES3_N6thrust23THRUST_200600_302600_NS10device_ptrIiEESB_SB_iNS9_4plusIvEENS9_8equal_toIvEEiEE10hipError_tPvRmT2_T3_T4_T5_mT6_T7_P12ihipStream_tbENKUlT_T0_E_clISt17integral_constantIbLb0EESV_IbLb1EEEEDaSR_SS_EUlSR_E_NS1_11comp_targetILNS1_3genE2ELNS1_11target_archE906ELNS1_3gpuE6ELNS1_3repE0EEENS1_30default_config_static_selectorELNS0_4arch9wavefront6targetE1EEEvT1_,"axG",@progbits,_ZN7rocprim17ROCPRIM_400000_NS6detail17trampoline_kernelINS0_14default_configENS1_27scan_by_key_config_selectorIiiEEZZNS1_16scan_by_key_implILNS1_25lookback_scan_determinismE0ELb0ES3_N6thrust23THRUST_200600_302600_NS10device_ptrIiEESB_SB_iNS9_4plusIvEENS9_8equal_toIvEEiEE10hipError_tPvRmT2_T3_T4_T5_mT6_T7_P12ihipStream_tbENKUlT_T0_E_clISt17integral_constantIbLb0EESV_IbLb1EEEEDaSR_SS_EUlSR_E_NS1_11comp_targetILNS1_3genE2ELNS1_11target_archE906ELNS1_3gpuE6ELNS1_3repE0EEENS1_30default_config_static_selectorELNS0_4arch9wavefront6targetE1EEEvT1_,comdat
.Lfunc_end2230:
	.size	_ZN7rocprim17ROCPRIM_400000_NS6detail17trampoline_kernelINS0_14default_configENS1_27scan_by_key_config_selectorIiiEEZZNS1_16scan_by_key_implILNS1_25lookback_scan_determinismE0ELb0ES3_N6thrust23THRUST_200600_302600_NS10device_ptrIiEESB_SB_iNS9_4plusIvEENS9_8equal_toIvEEiEE10hipError_tPvRmT2_T3_T4_T5_mT6_T7_P12ihipStream_tbENKUlT_T0_E_clISt17integral_constantIbLb0EESV_IbLb1EEEEDaSR_SS_EUlSR_E_NS1_11comp_targetILNS1_3genE2ELNS1_11target_archE906ELNS1_3gpuE6ELNS1_3repE0EEENS1_30default_config_static_selectorELNS0_4arch9wavefront6targetE1EEEvT1_, .Lfunc_end2230-_ZN7rocprim17ROCPRIM_400000_NS6detail17trampoline_kernelINS0_14default_configENS1_27scan_by_key_config_selectorIiiEEZZNS1_16scan_by_key_implILNS1_25lookback_scan_determinismE0ELb0ES3_N6thrust23THRUST_200600_302600_NS10device_ptrIiEESB_SB_iNS9_4plusIvEENS9_8equal_toIvEEiEE10hipError_tPvRmT2_T3_T4_T5_mT6_T7_P12ihipStream_tbENKUlT_T0_E_clISt17integral_constantIbLb0EESV_IbLb1EEEEDaSR_SS_EUlSR_E_NS1_11comp_targetILNS1_3genE2ELNS1_11target_archE906ELNS1_3gpuE6ELNS1_3repE0EEENS1_30default_config_static_selectorELNS0_4arch9wavefront6targetE1EEEvT1_
                                        ; -- End function
	.section	.AMDGPU.csdata,"",@progbits
; Kernel info:
; codeLenInByte = 0
; NumSgprs: 6
; NumVgprs: 0
; NumAgprs: 0
; TotalNumVgprs: 0
; ScratchSize: 0
; MemoryBound: 0
; FloatMode: 240
; IeeeMode: 1
; LDSByteSize: 0 bytes/workgroup (compile time only)
; SGPRBlocks: 0
; VGPRBlocks: 0
; NumSGPRsForWavesPerEU: 6
; NumVGPRsForWavesPerEU: 1
; AccumOffset: 4
; Occupancy: 8
; WaveLimiterHint : 0
; COMPUTE_PGM_RSRC2:SCRATCH_EN: 0
; COMPUTE_PGM_RSRC2:USER_SGPR: 2
; COMPUTE_PGM_RSRC2:TRAP_HANDLER: 0
; COMPUTE_PGM_RSRC2:TGID_X_EN: 1
; COMPUTE_PGM_RSRC2:TGID_Y_EN: 0
; COMPUTE_PGM_RSRC2:TGID_Z_EN: 0
; COMPUTE_PGM_RSRC2:TIDIG_COMP_CNT: 0
; COMPUTE_PGM_RSRC3_GFX90A:ACCUM_OFFSET: 0
; COMPUTE_PGM_RSRC3_GFX90A:TG_SPLIT: 0
	.section	.text._ZN7rocprim17ROCPRIM_400000_NS6detail17trampoline_kernelINS0_14default_configENS1_27scan_by_key_config_selectorIiiEEZZNS1_16scan_by_key_implILNS1_25lookback_scan_determinismE0ELb0ES3_N6thrust23THRUST_200600_302600_NS10device_ptrIiEESB_SB_iNS9_4plusIvEENS9_8equal_toIvEEiEE10hipError_tPvRmT2_T3_T4_T5_mT6_T7_P12ihipStream_tbENKUlT_T0_E_clISt17integral_constantIbLb0EESV_IbLb1EEEEDaSR_SS_EUlSR_E_NS1_11comp_targetILNS1_3genE10ELNS1_11target_archE1200ELNS1_3gpuE4ELNS1_3repE0EEENS1_30default_config_static_selectorELNS0_4arch9wavefront6targetE1EEEvT1_,"axG",@progbits,_ZN7rocprim17ROCPRIM_400000_NS6detail17trampoline_kernelINS0_14default_configENS1_27scan_by_key_config_selectorIiiEEZZNS1_16scan_by_key_implILNS1_25lookback_scan_determinismE0ELb0ES3_N6thrust23THRUST_200600_302600_NS10device_ptrIiEESB_SB_iNS9_4plusIvEENS9_8equal_toIvEEiEE10hipError_tPvRmT2_T3_T4_T5_mT6_T7_P12ihipStream_tbENKUlT_T0_E_clISt17integral_constantIbLb0EESV_IbLb1EEEEDaSR_SS_EUlSR_E_NS1_11comp_targetILNS1_3genE10ELNS1_11target_archE1200ELNS1_3gpuE4ELNS1_3repE0EEENS1_30default_config_static_selectorELNS0_4arch9wavefront6targetE1EEEvT1_,comdat
	.protected	_ZN7rocprim17ROCPRIM_400000_NS6detail17trampoline_kernelINS0_14default_configENS1_27scan_by_key_config_selectorIiiEEZZNS1_16scan_by_key_implILNS1_25lookback_scan_determinismE0ELb0ES3_N6thrust23THRUST_200600_302600_NS10device_ptrIiEESB_SB_iNS9_4plusIvEENS9_8equal_toIvEEiEE10hipError_tPvRmT2_T3_T4_T5_mT6_T7_P12ihipStream_tbENKUlT_T0_E_clISt17integral_constantIbLb0EESV_IbLb1EEEEDaSR_SS_EUlSR_E_NS1_11comp_targetILNS1_3genE10ELNS1_11target_archE1200ELNS1_3gpuE4ELNS1_3repE0EEENS1_30default_config_static_selectorELNS0_4arch9wavefront6targetE1EEEvT1_ ; -- Begin function _ZN7rocprim17ROCPRIM_400000_NS6detail17trampoline_kernelINS0_14default_configENS1_27scan_by_key_config_selectorIiiEEZZNS1_16scan_by_key_implILNS1_25lookback_scan_determinismE0ELb0ES3_N6thrust23THRUST_200600_302600_NS10device_ptrIiEESB_SB_iNS9_4plusIvEENS9_8equal_toIvEEiEE10hipError_tPvRmT2_T3_T4_T5_mT6_T7_P12ihipStream_tbENKUlT_T0_E_clISt17integral_constantIbLb0EESV_IbLb1EEEEDaSR_SS_EUlSR_E_NS1_11comp_targetILNS1_3genE10ELNS1_11target_archE1200ELNS1_3gpuE4ELNS1_3repE0EEENS1_30default_config_static_selectorELNS0_4arch9wavefront6targetE1EEEvT1_
	.globl	_ZN7rocprim17ROCPRIM_400000_NS6detail17trampoline_kernelINS0_14default_configENS1_27scan_by_key_config_selectorIiiEEZZNS1_16scan_by_key_implILNS1_25lookback_scan_determinismE0ELb0ES3_N6thrust23THRUST_200600_302600_NS10device_ptrIiEESB_SB_iNS9_4plusIvEENS9_8equal_toIvEEiEE10hipError_tPvRmT2_T3_T4_T5_mT6_T7_P12ihipStream_tbENKUlT_T0_E_clISt17integral_constantIbLb0EESV_IbLb1EEEEDaSR_SS_EUlSR_E_NS1_11comp_targetILNS1_3genE10ELNS1_11target_archE1200ELNS1_3gpuE4ELNS1_3repE0EEENS1_30default_config_static_selectorELNS0_4arch9wavefront6targetE1EEEvT1_
	.p2align	8
	.type	_ZN7rocprim17ROCPRIM_400000_NS6detail17trampoline_kernelINS0_14default_configENS1_27scan_by_key_config_selectorIiiEEZZNS1_16scan_by_key_implILNS1_25lookback_scan_determinismE0ELb0ES3_N6thrust23THRUST_200600_302600_NS10device_ptrIiEESB_SB_iNS9_4plusIvEENS9_8equal_toIvEEiEE10hipError_tPvRmT2_T3_T4_T5_mT6_T7_P12ihipStream_tbENKUlT_T0_E_clISt17integral_constantIbLb0EESV_IbLb1EEEEDaSR_SS_EUlSR_E_NS1_11comp_targetILNS1_3genE10ELNS1_11target_archE1200ELNS1_3gpuE4ELNS1_3repE0EEENS1_30default_config_static_selectorELNS0_4arch9wavefront6targetE1EEEvT1_,@function
_ZN7rocprim17ROCPRIM_400000_NS6detail17trampoline_kernelINS0_14default_configENS1_27scan_by_key_config_selectorIiiEEZZNS1_16scan_by_key_implILNS1_25lookback_scan_determinismE0ELb0ES3_N6thrust23THRUST_200600_302600_NS10device_ptrIiEESB_SB_iNS9_4plusIvEENS9_8equal_toIvEEiEE10hipError_tPvRmT2_T3_T4_T5_mT6_T7_P12ihipStream_tbENKUlT_T0_E_clISt17integral_constantIbLb0EESV_IbLb1EEEEDaSR_SS_EUlSR_E_NS1_11comp_targetILNS1_3genE10ELNS1_11target_archE1200ELNS1_3gpuE4ELNS1_3repE0EEENS1_30default_config_static_selectorELNS0_4arch9wavefront6targetE1EEEvT1_: ; @_ZN7rocprim17ROCPRIM_400000_NS6detail17trampoline_kernelINS0_14default_configENS1_27scan_by_key_config_selectorIiiEEZZNS1_16scan_by_key_implILNS1_25lookback_scan_determinismE0ELb0ES3_N6thrust23THRUST_200600_302600_NS10device_ptrIiEESB_SB_iNS9_4plusIvEENS9_8equal_toIvEEiEE10hipError_tPvRmT2_T3_T4_T5_mT6_T7_P12ihipStream_tbENKUlT_T0_E_clISt17integral_constantIbLb0EESV_IbLb1EEEEDaSR_SS_EUlSR_E_NS1_11comp_targetILNS1_3genE10ELNS1_11target_archE1200ELNS1_3gpuE4ELNS1_3repE0EEENS1_30default_config_static_selectorELNS0_4arch9wavefront6targetE1EEEvT1_
; %bb.0:
	.section	.rodata,"a",@progbits
	.p2align	6, 0x0
	.amdhsa_kernel _ZN7rocprim17ROCPRIM_400000_NS6detail17trampoline_kernelINS0_14default_configENS1_27scan_by_key_config_selectorIiiEEZZNS1_16scan_by_key_implILNS1_25lookback_scan_determinismE0ELb0ES3_N6thrust23THRUST_200600_302600_NS10device_ptrIiEESB_SB_iNS9_4plusIvEENS9_8equal_toIvEEiEE10hipError_tPvRmT2_T3_T4_T5_mT6_T7_P12ihipStream_tbENKUlT_T0_E_clISt17integral_constantIbLb0EESV_IbLb1EEEEDaSR_SS_EUlSR_E_NS1_11comp_targetILNS1_3genE10ELNS1_11target_archE1200ELNS1_3gpuE4ELNS1_3repE0EEENS1_30default_config_static_selectorELNS0_4arch9wavefront6targetE1EEEvT1_
		.amdhsa_group_segment_fixed_size 0
		.amdhsa_private_segment_fixed_size 0
		.amdhsa_kernarg_size 112
		.amdhsa_user_sgpr_count 2
		.amdhsa_user_sgpr_dispatch_ptr 0
		.amdhsa_user_sgpr_queue_ptr 0
		.amdhsa_user_sgpr_kernarg_segment_ptr 1
		.amdhsa_user_sgpr_dispatch_id 0
		.amdhsa_user_sgpr_kernarg_preload_length 0
		.amdhsa_user_sgpr_kernarg_preload_offset 0
		.amdhsa_user_sgpr_private_segment_size 0
		.amdhsa_uses_dynamic_stack 0
		.amdhsa_enable_private_segment 0
		.amdhsa_system_sgpr_workgroup_id_x 1
		.amdhsa_system_sgpr_workgroup_id_y 0
		.amdhsa_system_sgpr_workgroup_id_z 0
		.amdhsa_system_sgpr_workgroup_info 0
		.amdhsa_system_vgpr_workitem_id 0
		.amdhsa_next_free_vgpr 1
		.amdhsa_next_free_sgpr 0
		.amdhsa_accum_offset 4
		.amdhsa_reserve_vcc 0
		.amdhsa_float_round_mode_32 0
		.amdhsa_float_round_mode_16_64 0
		.amdhsa_float_denorm_mode_32 3
		.amdhsa_float_denorm_mode_16_64 3
		.amdhsa_dx10_clamp 1
		.amdhsa_ieee_mode 1
		.amdhsa_fp16_overflow 0
		.amdhsa_tg_split 0
		.amdhsa_exception_fp_ieee_invalid_op 0
		.amdhsa_exception_fp_denorm_src 0
		.amdhsa_exception_fp_ieee_div_zero 0
		.amdhsa_exception_fp_ieee_overflow 0
		.amdhsa_exception_fp_ieee_underflow 0
		.amdhsa_exception_fp_ieee_inexact 0
		.amdhsa_exception_int_div_zero 0
	.end_amdhsa_kernel
	.section	.text._ZN7rocprim17ROCPRIM_400000_NS6detail17trampoline_kernelINS0_14default_configENS1_27scan_by_key_config_selectorIiiEEZZNS1_16scan_by_key_implILNS1_25lookback_scan_determinismE0ELb0ES3_N6thrust23THRUST_200600_302600_NS10device_ptrIiEESB_SB_iNS9_4plusIvEENS9_8equal_toIvEEiEE10hipError_tPvRmT2_T3_T4_T5_mT6_T7_P12ihipStream_tbENKUlT_T0_E_clISt17integral_constantIbLb0EESV_IbLb1EEEEDaSR_SS_EUlSR_E_NS1_11comp_targetILNS1_3genE10ELNS1_11target_archE1200ELNS1_3gpuE4ELNS1_3repE0EEENS1_30default_config_static_selectorELNS0_4arch9wavefront6targetE1EEEvT1_,"axG",@progbits,_ZN7rocprim17ROCPRIM_400000_NS6detail17trampoline_kernelINS0_14default_configENS1_27scan_by_key_config_selectorIiiEEZZNS1_16scan_by_key_implILNS1_25lookback_scan_determinismE0ELb0ES3_N6thrust23THRUST_200600_302600_NS10device_ptrIiEESB_SB_iNS9_4plusIvEENS9_8equal_toIvEEiEE10hipError_tPvRmT2_T3_T4_T5_mT6_T7_P12ihipStream_tbENKUlT_T0_E_clISt17integral_constantIbLb0EESV_IbLb1EEEEDaSR_SS_EUlSR_E_NS1_11comp_targetILNS1_3genE10ELNS1_11target_archE1200ELNS1_3gpuE4ELNS1_3repE0EEENS1_30default_config_static_selectorELNS0_4arch9wavefront6targetE1EEEvT1_,comdat
.Lfunc_end2231:
	.size	_ZN7rocprim17ROCPRIM_400000_NS6detail17trampoline_kernelINS0_14default_configENS1_27scan_by_key_config_selectorIiiEEZZNS1_16scan_by_key_implILNS1_25lookback_scan_determinismE0ELb0ES3_N6thrust23THRUST_200600_302600_NS10device_ptrIiEESB_SB_iNS9_4plusIvEENS9_8equal_toIvEEiEE10hipError_tPvRmT2_T3_T4_T5_mT6_T7_P12ihipStream_tbENKUlT_T0_E_clISt17integral_constantIbLb0EESV_IbLb1EEEEDaSR_SS_EUlSR_E_NS1_11comp_targetILNS1_3genE10ELNS1_11target_archE1200ELNS1_3gpuE4ELNS1_3repE0EEENS1_30default_config_static_selectorELNS0_4arch9wavefront6targetE1EEEvT1_, .Lfunc_end2231-_ZN7rocprim17ROCPRIM_400000_NS6detail17trampoline_kernelINS0_14default_configENS1_27scan_by_key_config_selectorIiiEEZZNS1_16scan_by_key_implILNS1_25lookback_scan_determinismE0ELb0ES3_N6thrust23THRUST_200600_302600_NS10device_ptrIiEESB_SB_iNS9_4plusIvEENS9_8equal_toIvEEiEE10hipError_tPvRmT2_T3_T4_T5_mT6_T7_P12ihipStream_tbENKUlT_T0_E_clISt17integral_constantIbLb0EESV_IbLb1EEEEDaSR_SS_EUlSR_E_NS1_11comp_targetILNS1_3genE10ELNS1_11target_archE1200ELNS1_3gpuE4ELNS1_3repE0EEENS1_30default_config_static_selectorELNS0_4arch9wavefront6targetE1EEEvT1_
                                        ; -- End function
	.section	.AMDGPU.csdata,"",@progbits
; Kernel info:
; codeLenInByte = 0
; NumSgprs: 6
; NumVgprs: 0
; NumAgprs: 0
; TotalNumVgprs: 0
; ScratchSize: 0
; MemoryBound: 0
; FloatMode: 240
; IeeeMode: 1
; LDSByteSize: 0 bytes/workgroup (compile time only)
; SGPRBlocks: 0
; VGPRBlocks: 0
; NumSGPRsForWavesPerEU: 6
; NumVGPRsForWavesPerEU: 1
; AccumOffset: 4
; Occupancy: 8
; WaveLimiterHint : 0
; COMPUTE_PGM_RSRC2:SCRATCH_EN: 0
; COMPUTE_PGM_RSRC2:USER_SGPR: 2
; COMPUTE_PGM_RSRC2:TRAP_HANDLER: 0
; COMPUTE_PGM_RSRC2:TGID_X_EN: 1
; COMPUTE_PGM_RSRC2:TGID_Y_EN: 0
; COMPUTE_PGM_RSRC2:TGID_Z_EN: 0
; COMPUTE_PGM_RSRC2:TIDIG_COMP_CNT: 0
; COMPUTE_PGM_RSRC3_GFX90A:ACCUM_OFFSET: 0
; COMPUTE_PGM_RSRC3_GFX90A:TG_SPLIT: 0
	.section	.text._ZN7rocprim17ROCPRIM_400000_NS6detail17trampoline_kernelINS0_14default_configENS1_27scan_by_key_config_selectorIiiEEZZNS1_16scan_by_key_implILNS1_25lookback_scan_determinismE0ELb0ES3_N6thrust23THRUST_200600_302600_NS10device_ptrIiEESB_SB_iNS9_4plusIvEENS9_8equal_toIvEEiEE10hipError_tPvRmT2_T3_T4_T5_mT6_T7_P12ihipStream_tbENKUlT_T0_E_clISt17integral_constantIbLb0EESV_IbLb1EEEEDaSR_SS_EUlSR_E_NS1_11comp_targetILNS1_3genE9ELNS1_11target_archE1100ELNS1_3gpuE3ELNS1_3repE0EEENS1_30default_config_static_selectorELNS0_4arch9wavefront6targetE1EEEvT1_,"axG",@progbits,_ZN7rocprim17ROCPRIM_400000_NS6detail17trampoline_kernelINS0_14default_configENS1_27scan_by_key_config_selectorIiiEEZZNS1_16scan_by_key_implILNS1_25lookback_scan_determinismE0ELb0ES3_N6thrust23THRUST_200600_302600_NS10device_ptrIiEESB_SB_iNS9_4plusIvEENS9_8equal_toIvEEiEE10hipError_tPvRmT2_T3_T4_T5_mT6_T7_P12ihipStream_tbENKUlT_T0_E_clISt17integral_constantIbLb0EESV_IbLb1EEEEDaSR_SS_EUlSR_E_NS1_11comp_targetILNS1_3genE9ELNS1_11target_archE1100ELNS1_3gpuE3ELNS1_3repE0EEENS1_30default_config_static_selectorELNS0_4arch9wavefront6targetE1EEEvT1_,comdat
	.protected	_ZN7rocprim17ROCPRIM_400000_NS6detail17trampoline_kernelINS0_14default_configENS1_27scan_by_key_config_selectorIiiEEZZNS1_16scan_by_key_implILNS1_25lookback_scan_determinismE0ELb0ES3_N6thrust23THRUST_200600_302600_NS10device_ptrIiEESB_SB_iNS9_4plusIvEENS9_8equal_toIvEEiEE10hipError_tPvRmT2_T3_T4_T5_mT6_T7_P12ihipStream_tbENKUlT_T0_E_clISt17integral_constantIbLb0EESV_IbLb1EEEEDaSR_SS_EUlSR_E_NS1_11comp_targetILNS1_3genE9ELNS1_11target_archE1100ELNS1_3gpuE3ELNS1_3repE0EEENS1_30default_config_static_selectorELNS0_4arch9wavefront6targetE1EEEvT1_ ; -- Begin function _ZN7rocprim17ROCPRIM_400000_NS6detail17trampoline_kernelINS0_14default_configENS1_27scan_by_key_config_selectorIiiEEZZNS1_16scan_by_key_implILNS1_25lookback_scan_determinismE0ELb0ES3_N6thrust23THRUST_200600_302600_NS10device_ptrIiEESB_SB_iNS9_4plusIvEENS9_8equal_toIvEEiEE10hipError_tPvRmT2_T3_T4_T5_mT6_T7_P12ihipStream_tbENKUlT_T0_E_clISt17integral_constantIbLb0EESV_IbLb1EEEEDaSR_SS_EUlSR_E_NS1_11comp_targetILNS1_3genE9ELNS1_11target_archE1100ELNS1_3gpuE3ELNS1_3repE0EEENS1_30default_config_static_selectorELNS0_4arch9wavefront6targetE1EEEvT1_
	.globl	_ZN7rocprim17ROCPRIM_400000_NS6detail17trampoline_kernelINS0_14default_configENS1_27scan_by_key_config_selectorIiiEEZZNS1_16scan_by_key_implILNS1_25lookback_scan_determinismE0ELb0ES3_N6thrust23THRUST_200600_302600_NS10device_ptrIiEESB_SB_iNS9_4plusIvEENS9_8equal_toIvEEiEE10hipError_tPvRmT2_T3_T4_T5_mT6_T7_P12ihipStream_tbENKUlT_T0_E_clISt17integral_constantIbLb0EESV_IbLb1EEEEDaSR_SS_EUlSR_E_NS1_11comp_targetILNS1_3genE9ELNS1_11target_archE1100ELNS1_3gpuE3ELNS1_3repE0EEENS1_30default_config_static_selectorELNS0_4arch9wavefront6targetE1EEEvT1_
	.p2align	8
	.type	_ZN7rocprim17ROCPRIM_400000_NS6detail17trampoline_kernelINS0_14default_configENS1_27scan_by_key_config_selectorIiiEEZZNS1_16scan_by_key_implILNS1_25lookback_scan_determinismE0ELb0ES3_N6thrust23THRUST_200600_302600_NS10device_ptrIiEESB_SB_iNS9_4plusIvEENS9_8equal_toIvEEiEE10hipError_tPvRmT2_T3_T4_T5_mT6_T7_P12ihipStream_tbENKUlT_T0_E_clISt17integral_constantIbLb0EESV_IbLb1EEEEDaSR_SS_EUlSR_E_NS1_11comp_targetILNS1_3genE9ELNS1_11target_archE1100ELNS1_3gpuE3ELNS1_3repE0EEENS1_30default_config_static_selectorELNS0_4arch9wavefront6targetE1EEEvT1_,@function
_ZN7rocprim17ROCPRIM_400000_NS6detail17trampoline_kernelINS0_14default_configENS1_27scan_by_key_config_selectorIiiEEZZNS1_16scan_by_key_implILNS1_25lookback_scan_determinismE0ELb0ES3_N6thrust23THRUST_200600_302600_NS10device_ptrIiEESB_SB_iNS9_4plusIvEENS9_8equal_toIvEEiEE10hipError_tPvRmT2_T3_T4_T5_mT6_T7_P12ihipStream_tbENKUlT_T0_E_clISt17integral_constantIbLb0EESV_IbLb1EEEEDaSR_SS_EUlSR_E_NS1_11comp_targetILNS1_3genE9ELNS1_11target_archE1100ELNS1_3gpuE3ELNS1_3repE0EEENS1_30default_config_static_selectorELNS0_4arch9wavefront6targetE1EEEvT1_: ; @_ZN7rocprim17ROCPRIM_400000_NS6detail17trampoline_kernelINS0_14default_configENS1_27scan_by_key_config_selectorIiiEEZZNS1_16scan_by_key_implILNS1_25lookback_scan_determinismE0ELb0ES3_N6thrust23THRUST_200600_302600_NS10device_ptrIiEESB_SB_iNS9_4plusIvEENS9_8equal_toIvEEiEE10hipError_tPvRmT2_T3_T4_T5_mT6_T7_P12ihipStream_tbENKUlT_T0_E_clISt17integral_constantIbLb0EESV_IbLb1EEEEDaSR_SS_EUlSR_E_NS1_11comp_targetILNS1_3genE9ELNS1_11target_archE1100ELNS1_3gpuE3ELNS1_3repE0EEENS1_30default_config_static_selectorELNS0_4arch9wavefront6targetE1EEEvT1_
; %bb.0:
	.section	.rodata,"a",@progbits
	.p2align	6, 0x0
	.amdhsa_kernel _ZN7rocprim17ROCPRIM_400000_NS6detail17trampoline_kernelINS0_14default_configENS1_27scan_by_key_config_selectorIiiEEZZNS1_16scan_by_key_implILNS1_25lookback_scan_determinismE0ELb0ES3_N6thrust23THRUST_200600_302600_NS10device_ptrIiEESB_SB_iNS9_4plusIvEENS9_8equal_toIvEEiEE10hipError_tPvRmT2_T3_T4_T5_mT6_T7_P12ihipStream_tbENKUlT_T0_E_clISt17integral_constantIbLb0EESV_IbLb1EEEEDaSR_SS_EUlSR_E_NS1_11comp_targetILNS1_3genE9ELNS1_11target_archE1100ELNS1_3gpuE3ELNS1_3repE0EEENS1_30default_config_static_selectorELNS0_4arch9wavefront6targetE1EEEvT1_
		.amdhsa_group_segment_fixed_size 0
		.amdhsa_private_segment_fixed_size 0
		.amdhsa_kernarg_size 112
		.amdhsa_user_sgpr_count 2
		.amdhsa_user_sgpr_dispatch_ptr 0
		.amdhsa_user_sgpr_queue_ptr 0
		.amdhsa_user_sgpr_kernarg_segment_ptr 1
		.amdhsa_user_sgpr_dispatch_id 0
		.amdhsa_user_sgpr_kernarg_preload_length 0
		.amdhsa_user_sgpr_kernarg_preload_offset 0
		.amdhsa_user_sgpr_private_segment_size 0
		.amdhsa_uses_dynamic_stack 0
		.amdhsa_enable_private_segment 0
		.amdhsa_system_sgpr_workgroup_id_x 1
		.amdhsa_system_sgpr_workgroup_id_y 0
		.amdhsa_system_sgpr_workgroup_id_z 0
		.amdhsa_system_sgpr_workgroup_info 0
		.amdhsa_system_vgpr_workitem_id 0
		.amdhsa_next_free_vgpr 1
		.amdhsa_next_free_sgpr 0
		.amdhsa_accum_offset 4
		.amdhsa_reserve_vcc 0
		.amdhsa_float_round_mode_32 0
		.amdhsa_float_round_mode_16_64 0
		.amdhsa_float_denorm_mode_32 3
		.amdhsa_float_denorm_mode_16_64 3
		.amdhsa_dx10_clamp 1
		.amdhsa_ieee_mode 1
		.amdhsa_fp16_overflow 0
		.amdhsa_tg_split 0
		.amdhsa_exception_fp_ieee_invalid_op 0
		.amdhsa_exception_fp_denorm_src 0
		.amdhsa_exception_fp_ieee_div_zero 0
		.amdhsa_exception_fp_ieee_overflow 0
		.amdhsa_exception_fp_ieee_underflow 0
		.amdhsa_exception_fp_ieee_inexact 0
		.amdhsa_exception_int_div_zero 0
	.end_amdhsa_kernel
	.section	.text._ZN7rocprim17ROCPRIM_400000_NS6detail17trampoline_kernelINS0_14default_configENS1_27scan_by_key_config_selectorIiiEEZZNS1_16scan_by_key_implILNS1_25lookback_scan_determinismE0ELb0ES3_N6thrust23THRUST_200600_302600_NS10device_ptrIiEESB_SB_iNS9_4plusIvEENS9_8equal_toIvEEiEE10hipError_tPvRmT2_T3_T4_T5_mT6_T7_P12ihipStream_tbENKUlT_T0_E_clISt17integral_constantIbLb0EESV_IbLb1EEEEDaSR_SS_EUlSR_E_NS1_11comp_targetILNS1_3genE9ELNS1_11target_archE1100ELNS1_3gpuE3ELNS1_3repE0EEENS1_30default_config_static_selectorELNS0_4arch9wavefront6targetE1EEEvT1_,"axG",@progbits,_ZN7rocprim17ROCPRIM_400000_NS6detail17trampoline_kernelINS0_14default_configENS1_27scan_by_key_config_selectorIiiEEZZNS1_16scan_by_key_implILNS1_25lookback_scan_determinismE0ELb0ES3_N6thrust23THRUST_200600_302600_NS10device_ptrIiEESB_SB_iNS9_4plusIvEENS9_8equal_toIvEEiEE10hipError_tPvRmT2_T3_T4_T5_mT6_T7_P12ihipStream_tbENKUlT_T0_E_clISt17integral_constantIbLb0EESV_IbLb1EEEEDaSR_SS_EUlSR_E_NS1_11comp_targetILNS1_3genE9ELNS1_11target_archE1100ELNS1_3gpuE3ELNS1_3repE0EEENS1_30default_config_static_selectorELNS0_4arch9wavefront6targetE1EEEvT1_,comdat
.Lfunc_end2232:
	.size	_ZN7rocprim17ROCPRIM_400000_NS6detail17trampoline_kernelINS0_14default_configENS1_27scan_by_key_config_selectorIiiEEZZNS1_16scan_by_key_implILNS1_25lookback_scan_determinismE0ELb0ES3_N6thrust23THRUST_200600_302600_NS10device_ptrIiEESB_SB_iNS9_4plusIvEENS9_8equal_toIvEEiEE10hipError_tPvRmT2_T3_T4_T5_mT6_T7_P12ihipStream_tbENKUlT_T0_E_clISt17integral_constantIbLb0EESV_IbLb1EEEEDaSR_SS_EUlSR_E_NS1_11comp_targetILNS1_3genE9ELNS1_11target_archE1100ELNS1_3gpuE3ELNS1_3repE0EEENS1_30default_config_static_selectorELNS0_4arch9wavefront6targetE1EEEvT1_, .Lfunc_end2232-_ZN7rocprim17ROCPRIM_400000_NS6detail17trampoline_kernelINS0_14default_configENS1_27scan_by_key_config_selectorIiiEEZZNS1_16scan_by_key_implILNS1_25lookback_scan_determinismE0ELb0ES3_N6thrust23THRUST_200600_302600_NS10device_ptrIiEESB_SB_iNS9_4plusIvEENS9_8equal_toIvEEiEE10hipError_tPvRmT2_T3_T4_T5_mT6_T7_P12ihipStream_tbENKUlT_T0_E_clISt17integral_constantIbLb0EESV_IbLb1EEEEDaSR_SS_EUlSR_E_NS1_11comp_targetILNS1_3genE9ELNS1_11target_archE1100ELNS1_3gpuE3ELNS1_3repE0EEENS1_30default_config_static_selectorELNS0_4arch9wavefront6targetE1EEEvT1_
                                        ; -- End function
	.section	.AMDGPU.csdata,"",@progbits
; Kernel info:
; codeLenInByte = 0
; NumSgprs: 6
; NumVgprs: 0
; NumAgprs: 0
; TotalNumVgprs: 0
; ScratchSize: 0
; MemoryBound: 0
; FloatMode: 240
; IeeeMode: 1
; LDSByteSize: 0 bytes/workgroup (compile time only)
; SGPRBlocks: 0
; VGPRBlocks: 0
; NumSGPRsForWavesPerEU: 6
; NumVGPRsForWavesPerEU: 1
; AccumOffset: 4
; Occupancy: 8
; WaveLimiterHint : 0
; COMPUTE_PGM_RSRC2:SCRATCH_EN: 0
; COMPUTE_PGM_RSRC2:USER_SGPR: 2
; COMPUTE_PGM_RSRC2:TRAP_HANDLER: 0
; COMPUTE_PGM_RSRC2:TGID_X_EN: 1
; COMPUTE_PGM_RSRC2:TGID_Y_EN: 0
; COMPUTE_PGM_RSRC2:TGID_Z_EN: 0
; COMPUTE_PGM_RSRC2:TIDIG_COMP_CNT: 0
; COMPUTE_PGM_RSRC3_GFX90A:ACCUM_OFFSET: 0
; COMPUTE_PGM_RSRC3_GFX90A:TG_SPLIT: 0
	.section	.text._ZN7rocprim17ROCPRIM_400000_NS6detail17trampoline_kernelINS0_14default_configENS1_27scan_by_key_config_selectorIiiEEZZNS1_16scan_by_key_implILNS1_25lookback_scan_determinismE0ELb0ES3_N6thrust23THRUST_200600_302600_NS10device_ptrIiEESB_SB_iNS9_4plusIvEENS9_8equal_toIvEEiEE10hipError_tPvRmT2_T3_T4_T5_mT6_T7_P12ihipStream_tbENKUlT_T0_E_clISt17integral_constantIbLb0EESV_IbLb1EEEEDaSR_SS_EUlSR_E_NS1_11comp_targetILNS1_3genE8ELNS1_11target_archE1030ELNS1_3gpuE2ELNS1_3repE0EEENS1_30default_config_static_selectorELNS0_4arch9wavefront6targetE1EEEvT1_,"axG",@progbits,_ZN7rocprim17ROCPRIM_400000_NS6detail17trampoline_kernelINS0_14default_configENS1_27scan_by_key_config_selectorIiiEEZZNS1_16scan_by_key_implILNS1_25lookback_scan_determinismE0ELb0ES3_N6thrust23THRUST_200600_302600_NS10device_ptrIiEESB_SB_iNS9_4plusIvEENS9_8equal_toIvEEiEE10hipError_tPvRmT2_T3_T4_T5_mT6_T7_P12ihipStream_tbENKUlT_T0_E_clISt17integral_constantIbLb0EESV_IbLb1EEEEDaSR_SS_EUlSR_E_NS1_11comp_targetILNS1_3genE8ELNS1_11target_archE1030ELNS1_3gpuE2ELNS1_3repE0EEENS1_30default_config_static_selectorELNS0_4arch9wavefront6targetE1EEEvT1_,comdat
	.protected	_ZN7rocprim17ROCPRIM_400000_NS6detail17trampoline_kernelINS0_14default_configENS1_27scan_by_key_config_selectorIiiEEZZNS1_16scan_by_key_implILNS1_25lookback_scan_determinismE0ELb0ES3_N6thrust23THRUST_200600_302600_NS10device_ptrIiEESB_SB_iNS9_4plusIvEENS9_8equal_toIvEEiEE10hipError_tPvRmT2_T3_T4_T5_mT6_T7_P12ihipStream_tbENKUlT_T0_E_clISt17integral_constantIbLb0EESV_IbLb1EEEEDaSR_SS_EUlSR_E_NS1_11comp_targetILNS1_3genE8ELNS1_11target_archE1030ELNS1_3gpuE2ELNS1_3repE0EEENS1_30default_config_static_selectorELNS0_4arch9wavefront6targetE1EEEvT1_ ; -- Begin function _ZN7rocprim17ROCPRIM_400000_NS6detail17trampoline_kernelINS0_14default_configENS1_27scan_by_key_config_selectorIiiEEZZNS1_16scan_by_key_implILNS1_25lookback_scan_determinismE0ELb0ES3_N6thrust23THRUST_200600_302600_NS10device_ptrIiEESB_SB_iNS9_4plusIvEENS9_8equal_toIvEEiEE10hipError_tPvRmT2_T3_T4_T5_mT6_T7_P12ihipStream_tbENKUlT_T0_E_clISt17integral_constantIbLb0EESV_IbLb1EEEEDaSR_SS_EUlSR_E_NS1_11comp_targetILNS1_3genE8ELNS1_11target_archE1030ELNS1_3gpuE2ELNS1_3repE0EEENS1_30default_config_static_selectorELNS0_4arch9wavefront6targetE1EEEvT1_
	.globl	_ZN7rocprim17ROCPRIM_400000_NS6detail17trampoline_kernelINS0_14default_configENS1_27scan_by_key_config_selectorIiiEEZZNS1_16scan_by_key_implILNS1_25lookback_scan_determinismE0ELb0ES3_N6thrust23THRUST_200600_302600_NS10device_ptrIiEESB_SB_iNS9_4plusIvEENS9_8equal_toIvEEiEE10hipError_tPvRmT2_T3_T4_T5_mT6_T7_P12ihipStream_tbENKUlT_T0_E_clISt17integral_constantIbLb0EESV_IbLb1EEEEDaSR_SS_EUlSR_E_NS1_11comp_targetILNS1_3genE8ELNS1_11target_archE1030ELNS1_3gpuE2ELNS1_3repE0EEENS1_30default_config_static_selectorELNS0_4arch9wavefront6targetE1EEEvT1_
	.p2align	8
	.type	_ZN7rocprim17ROCPRIM_400000_NS6detail17trampoline_kernelINS0_14default_configENS1_27scan_by_key_config_selectorIiiEEZZNS1_16scan_by_key_implILNS1_25lookback_scan_determinismE0ELb0ES3_N6thrust23THRUST_200600_302600_NS10device_ptrIiEESB_SB_iNS9_4plusIvEENS9_8equal_toIvEEiEE10hipError_tPvRmT2_T3_T4_T5_mT6_T7_P12ihipStream_tbENKUlT_T0_E_clISt17integral_constantIbLb0EESV_IbLb1EEEEDaSR_SS_EUlSR_E_NS1_11comp_targetILNS1_3genE8ELNS1_11target_archE1030ELNS1_3gpuE2ELNS1_3repE0EEENS1_30default_config_static_selectorELNS0_4arch9wavefront6targetE1EEEvT1_,@function
_ZN7rocprim17ROCPRIM_400000_NS6detail17trampoline_kernelINS0_14default_configENS1_27scan_by_key_config_selectorIiiEEZZNS1_16scan_by_key_implILNS1_25lookback_scan_determinismE0ELb0ES3_N6thrust23THRUST_200600_302600_NS10device_ptrIiEESB_SB_iNS9_4plusIvEENS9_8equal_toIvEEiEE10hipError_tPvRmT2_T3_T4_T5_mT6_T7_P12ihipStream_tbENKUlT_T0_E_clISt17integral_constantIbLb0EESV_IbLb1EEEEDaSR_SS_EUlSR_E_NS1_11comp_targetILNS1_3genE8ELNS1_11target_archE1030ELNS1_3gpuE2ELNS1_3repE0EEENS1_30default_config_static_selectorELNS0_4arch9wavefront6targetE1EEEvT1_: ; @_ZN7rocprim17ROCPRIM_400000_NS6detail17trampoline_kernelINS0_14default_configENS1_27scan_by_key_config_selectorIiiEEZZNS1_16scan_by_key_implILNS1_25lookback_scan_determinismE0ELb0ES3_N6thrust23THRUST_200600_302600_NS10device_ptrIiEESB_SB_iNS9_4plusIvEENS9_8equal_toIvEEiEE10hipError_tPvRmT2_T3_T4_T5_mT6_T7_P12ihipStream_tbENKUlT_T0_E_clISt17integral_constantIbLb0EESV_IbLb1EEEEDaSR_SS_EUlSR_E_NS1_11comp_targetILNS1_3genE8ELNS1_11target_archE1030ELNS1_3gpuE2ELNS1_3repE0EEENS1_30default_config_static_selectorELNS0_4arch9wavefront6targetE1EEEvT1_
; %bb.0:
	.section	.rodata,"a",@progbits
	.p2align	6, 0x0
	.amdhsa_kernel _ZN7rocprim17ROCPRIM_400000_NS6detail17trampoline_kernelINS0_14default_configENS1_27scan_by_key_config_selectorIiiEEZZNS1_16scan_by_key_implILNS1_25lookback_scan_determinismE0ELb0ES3_N6thrust23THRUST_200600_302600_NS10device_ptrIiEESB_SB_iNS9_4plusIvEENS9_8equal_toIvEEiEE10hipError_tPvRmT2_T3_T4_T5_mT6_T7_P12ihipStream_tbENKUlT_T0_E_clISt17integral_constantIbLb0EESV_IbLb1EEEEDaSR_SS_EUlSR_E_NS1_11comp_targetILNS1_3genE8ELNS1_11target_archE1030ELNS1_3gpuE2ELNS1_3repE0EEENS1_30default_config_static_selectorELNS0_4arch9wavefront6targetE1EEEvT1_
		.amdhsa_group_segment_fixed_size 0
		.amdhsa_private_segment_fixed_size 0
		.amdhsa_kernarg_size 112
		.amdhsa_user_sgpr_count 2
		.amdhsa_user_sgpr_dispatch_ptr 0
		.amdhsa_user_sgpr_queue_ptr 0
		.amdhsa_user_sgpr_kernarg_segment_ptr 1
		.amdhsa_user_sgpr_dispatch_id 0
		.amdhsa_user_sgpr_kernarg_preload_length 0
		.amdhsa_user_sgpr_kernarg_preload_offset 0
		.amdhsa_user_sgpr_private_segment_size 0
		.amdhsa_uses_dynamic_stack 0
		.amdhsa_enable_private_segment 0
		.amdhsa_system_sgpr_workgroup_id_x 1
		.amdhsa_system_sgpr_workgroup_id_y 0
		.amdhsa_system_sgpr_workgroup_id_z 0
		.amdhsa_system_sgpr_workgroup_info 0
		.amdhsa_system_vgpr_workitem_id 0
		.amdhsa_next_free_vgpr 1
		.amdhsa_next_free_sgpr 0
		.amdhsa_accum_offset 4
		.amdhsa_reserve_vcc 0
		.amdhsa_float_round_mode_32 0
		.amdhsa_float_round_mode_16_64 0
		.amdhsa_float_denorm_mode_32 3
		.amdhsa_float_denorm_mode_16_64 3
		.amdhsa_dx10_clamp 1
		.amdhsa_ieee_mode 1
		.amdhsa_fp16_overflow 0
		.amdhsa_tg_split 0
		.amdhsa_exception_fp_ieee_invalid_op 0
		.amdhsa_exception_fp_denorm_src 0
		.amdhsa_exception_fp_ieee_div_zero 0
		.amdhsa_exception_fp_ieee_overflow 0
		.amdhsa_exception_fp_ieee_underflow 0
		.amdhsa_exception_fp_ieee_inexact 0
		.amdhsa_exception_int_div_zero 0
	.end_amdhsa_kernel
	.section	.text._ZN7rocprim17ROCPRIM_400000_NS6detail17trampoline_kernelINS0_14default_configENS1_27scan_by_key_config_selectorIiiEEZZNS1_16scan_by_key_implILNS1_25lookback_scan_determinismE0ELb0ES3_N6thrust23THRUST_200600_302600_NS10device_ptrIiEESB_SB_iNS9_4plusIvEENS9_8equal_toIvEEiEE10hipError_tPvRmT2_T3_T4_T5_mT6_T7_P12ihipStream_tbENKUlT_T0_E_clISt17integral_constantIbLb0EESV_IbLb1EEEEDaSR_SS_EUlSR_E_NS1_11comp_targetILNS1_3genE8ELNS1_11target_archE1030ELNS1_3gpuE2ELNS1_3repE0EEENS1_30default_config_static_selectorELNS0_4arch9wavefront6targetE1EEEvT1_,"axG",@progbits,_ZN7rocprim17ROCPRIM_400000_NS6detail17trampoline_kernelINS0_14default_configENS1_27scan_by_key_config_selectorIiiEEZZNS1_16scan_by_key_implILNS1_25lookback_scan_determinismE0ELb0ES3_N6thrust23THRUST_200600_302600_NS10device_ptrIiEESB_SB_iNS9_4plusIvEENS9_8equal_toIvEEiEE10hipError_tPvRmT2_T3_T4_T5_mT6_T7_P12ihipStream_tbENKUlT_T0_E_clISt17integral_constantIbLb0EESV_IbLb1EEEEDaSR_SS_EUlSR_E_NS1_11comp_targetILNS1_3genE8ELNS1_11target_archE1030ELNS1_3gpuE2ELNS1_3repE0EEENS1_30default_config_static_selectorELNS0_4arch9wavefront6targetE1EEEvT1_,comdat
.Lfunc_end2233:
	.size	_ZN7rocprim17ROCPRIM_400000_NS6detail17trampoline_kernelINS0_14default_configENS1_27scan_by_key_config_selectorIiiEEZZNS1_16scan_by_key_implILNS1_25lookback_scan_determinismE0ELb0ES3_N6thrust23THRUST_200600_302600_NS10device_ptrIiEESB_SB_iNS9_4plusIvEENS9_8equal_toIvEEiEE10hipError_tPvRmT2_T3_T4_T5_mT6_T7_P12ihipStream_tbENKUlT_T0_E_clISt17integral_constantIbLb0EESV_IbLb1EEEEDaSR_SS_EUlSR_E_NS1_11comp_targetILNS1_3genE8ELNS1_11target_archE1030ELNS1_3gpuE2ELNS1_3repE0EEENS1_30default_config_static_selectorELNS0_4arch9wavefront6targetE1EEEvT1_, .Lfunc_end2233-_ZN7rocprim17ROCPRIM_400000_NS6detail17trampoline_kernelINS0_14default_configENS1_27scan_by_key_config_selectorIiiEEZZNS1_16scan_by_key_implILNS1_25lookback_scan_determinismE0ELb0ES3_N6thrust23THRUST_200600_302600_NS10device_ptrIiEESB_SB_iNS9_4plusIvEENS9_8equal_toIvEEiEE10hipError_tPvRmT2_T3_T4_T5_mT6_T7_P12ihipStream_tbENKUlT_T0_E_clISt17integral_constantIbLb0EESV_IbLb1EEEEDaSR_SS_EUlSR_E_NS1_11comp_targetILNS1_3genE8ELNS1_11target_archE1030ELNS1_3gpuE2ELNS1_3repE0EEENS1_30default_config_static_selectorELNS0_4arch9wavefront6targetE1EEEvT1_
                                        ; -- End function
	.section	.AMDGPU.csdata,"",@progbits
; Kernel info:
; codeLenInByte = 0
; NumSgprs: 6
; NumVgprs: 0
; NumAgprs: 0
; TotalNumVgprs: 0
; ScratchSize: 0
; MemoryBound: 0
; FloatMode: 240
; IeeeMode: 1
; LDSByteSize: 0 bytes/workgroup (compile time only)
; SGPRBlocks: 0
; VGPRBlocks: 0
; NumSGPRsForWavesPerEU: 6
; NumVGPRsForWavesPerEU: 1
; AccumOffset: 4
; Occupancy: 8
; WaveLimiterHint : 0
; COMPUTE_PGM_RSRC2:SCRATCH_EN: 0
; COMPUTE_PGM_RSRC2:USER_SGPR: 2
; COMPUTE_PGM_RSRC2:TRAP_HANDLER: 0
; COMPUTE_PGM_RSRC2:TGID_X_EN: 1
; COMPUTE_PGM_RSRC2:TGID_Y_EN: 0
; COMPUTE_PGM_RSRC2:TGID_Z_EN: 0
; COMPUTE_PGM_RSRC2:TIDIG_COMP_CNT: 0
; COMPUTE_PGM_RSRC3_GFX90A:ACCUM_OFFSET: 0
; COMPUTE_PGM_RSRC3_GFX90A:TG_SPLIT: 0
	.section	.text._ZN7rocprim17ROCPRIM_400000_NS6detail17trampoline_kernelINS0_14default_configENS1_27scan_by_key_config_selectorIiiEEZZNS1_16scan_by_key_implILNS1_25lookback_scan_determinismE0ELb1ES3_N6thrust23THRUST_200600_302600_NS10device_ptrIiEESB_SB_iNS9_4plusIvEENS9_8equal_toIvEEiEE10hipError_tPvRmT2_T3_T4_T5_mT6_T7_P12ihipStream_tbENKUlT_T0_E_clISt17integral_constantIbLb0EESW_EEDaSR_SS_EUlSR_E_NS1_11comp_targetILNS1_3genE0ELNS1_11target_archE4294967295ELNS1_3gpuE0ELNS1_3repE0EEENS1_30default_config_static_selectorELNS0_4arch9wavefront6targetE1EEEvT1_,"axG",@progbits,_ZN7rocprim17ROCPRIM_400000_NS6detail17trampoline_kernelINS0_14default_configENS1_27scan_by_key_config_selectorIiiEEZZNS1_16scan_by_key_implILNS1_25lookback_scan_determinismE0ELb1ES3_N6thrust23THRUST_200600_302600_NS10device_ptrIiEESB_SB_iNS9_4plusIvEENS9_8equal_toIvEEiEE10hipError_tPvRmT2_T3_T4_T5_mT6_T7_P12ihipStream_tbENKUlT_T0_E_clISt17integral_constantIbLb0EESW_EEDaSR_SS_EUlSR_E_NS1_11comp_targetILNS1_3genE0ELNS1_11target_archE4294967295ELNS1_3gpuE0ELNS1_3repE0EEENS1_30default_config_static_selectorELNS0_4arch9wavefront6targetE1EEEvT1_,comdat
	.protected	_ZN7rocprim17ROCPRIM_400000_NS6detail17trampoline_kernelINS0_14default_configENS1_27scan_by_key_config_selectorIiiEEZZNS1_16scan_by_key_implILNS1_25lookback_scan_determinismE0ELb1ES3_N6thrust23THRUST_200600_302600_NS10device_ptrIiEESB_SB_iNS9_4plusIvEENS9_8equal_toIvEEiEE10hipError_tPvRmT2_T3_T4_T5_mT6_T7_P12ihipStream_tbENKUlT_T0_E_clISt17integral_constantIbLb0EESW_EEDaSR_SS_EUlSR_E_NS1_11comp_targetILNS1_3genE0ELNS1_11target_archE4294967295ELNS1_3gpuE0ELNS1_3repE0EEENS1_30default_config_static_selectorELNS0_4arch9wavefront6targetE1EEEvT1_ ; -- Begin function _ZN7rocprim17ROCPRIM_400000_NS6detail17trampoline_kernelINS0_14default_configENS1_27scan_by_key_config_selectorIiiEEZZNS1_16scan_by_key_implILNS1_25lookback_scan_determinismE0ELb1ES3_N6thrust23THRUST_200600_302600_NS10device_ptrIiEESB_SB_iNS9_4plusIvEENS9_8equal_toIvEEiEE10hipError_tPvRmT2_T3_T4_T5_mT6_T7_P12ihipStream_tbENKUlT_T0_E_clISt17integral_constantIbLb0EESW_EEDaSR_SS_EUlSR_E_NS1_11comp_targetILNS1_3genE0ELNS1_11target_archE4294967295ELNS1_3gpuE0ELNS1_3repE0EEENS1_30default_config_static_selectorELNS0_4arch9wavefront6targetE1EEEvT1_
	.globl	_ZN7rocprim17ROCPRIM_400000_NS6detail17trampoline_kernelINS0_14default_configENS1_27scan_by_key_config_selectorIiiEEZZNS1_16scan_by_key_implILNS1_25lookback_scan_determinismE0ELb1ES3_N6thrust23THRUST_200600_302600_NS10device_ptrIiEESB_SB_iNS9_4plusIvEENS9_8equal_toIvEEiEE10hipError_tPvRmT2_T3_T4_T5_mT6_T7_P12ihipStream_tbENKUlT_T0_E_clISt17integral_constantIbLb0EESW_EEDaSR_SS_EUlSR_E_NS1_11comp_targetILNS1_3genE0ELNS1_11target_archE4294967295ELNS1_3gpuE0ELNS1_3repE0EEENS1_30default_config_static_selectorELNS0_4arch9wavefront6targetE1EEEvT1_
	.p2align	8
	.type	_ZN7rocprim17ROCPRIM_400000_NS6detail17trampoline_kernelINS0_14default_configENS1_27scan_by_key_config_selectorIiiEEZZNS1_16scan_by_key_implILNS1_25lookback_scan_determinismE0ELb1ES3_N6thrust23THRUST_200600_302600_NS10device_ptrIiEESB_SB_iNS9_4plusIvEENS9_8equal_toIvEEiEE10hipError_tPvRmT2_T3_T4_T5_mT6_T7_P12ihipStream_tbENKUlT_T0_E_clISt17integral_constantIbLb0EESW_EEDaSR_SS_EUlSR_E_NS1_11comp_targetILNS1_3genE0ELNS1_11target_archE4294967295ELNS1_3gpuE0ELNS1_3repE0EEENS1_30default_config_static_selectorELNS0_4arch9wavefront6targetE1EEEvT1_,@function
_ZN7rocprim17ROCPRIM_400000_NS6detail17trampoline_kernelINS0_14default_configENS1_27scan_by_key_config_selectorIiiEEZZNS1_16scan_by_key_implILNS1_25lookback_scan_determinismE0ELb1ES3_N6thrust23THRUST_200600_302600_NS10device_ptrIiEESB_SB_iNS9_4plusIvEENS9_8equal_toIvEEiEE10hipError_tPvRmT2_T3_T4_T5_mT6_T7_P12ihipStream_tbENKUlT_T0_E_clISt17integral_constantIbLb0EESW_EEDaSR_SS_EUlSR_E_NS1_11comp_targetILNS1_3genE0ELNS1_11target_archE4294967295ELNS1_3gpuE0ELNS1_3repE0EEENS1_30default_config_static_selectorELNS0_4arch9wavefront6targetE1EEEvT1_: ; @_ZN7rocprim17ROCPRIM_400000_NS6detail17trampoline_kernelINS0_14default_configENS1_27scan_by_key_config_selectorIiiEEZZNS1_16scan_by_key_implILNS1_25lookback_scan_determinismE0ELb1ES3_N6thrust23THRUST_200600_302600_NS10device_ptrIiEESB_SB_iNS9_4plusIvEENS9_8equal_toIvEEiEE10hipError_tPvRmT2_T3_T4_T5_mT6_T7_P12ihipStream_tbENKUlT_T0_E_clISt17integral_constantIbLb0EESW_EEDaSR_SS_EUlSR_E_NS1_11comp_targetILNS1_3genE0ELNS1_11target_archE4294967295ELNS1_3gpuE0ELNS1_3repE0EEENS1_30default_config_static_selectorELNS0_4arch9wavefront6targetE1EEEvT1_
; %bb.0:
	.section	.rodata,"a",@progbits
	.p2align	6, 0x0
	.amdhsa_kernel _ZN7rocprim17ROCPRIM_400000_NS6detail17trampoline_kernelINS0_14default_configENS1_27scan_by_key_config_selectorIiiEEZZNS1_16scan_by_key_implILNS1_25lookback_scan_determinismE0ELb1ES3_N6thrust23THRUST_200600_302600_NS10device_ptrIiEESB_SB_iNS9_4plusIvEENS9_8equal_toIvEEiEE10hipError_tPvRmT2_T3_T4_T5_mT6_T7_P12ihipStream_tbENKUlT_T0_E_clISt17integral_constantIbLb0EESW_EEDaSR_SS_EUlSR_E_NS1_11comp_targetILNS1_3genE0ELNS1_11target_archE4294967295ELNS1_3gpuE0ELNS1_3repE0EEENS1_30default_config_static_selectorELNS0_4arch9wavefront6targetE1EEEvT1_
		.amdhsa_group_segment_fixed_size 0
		.amdhsa_private_segment_fixed_size 0
		.amdhsa_kernarg_size 112
		.amdhsa_user_sgpr_count 2
		.amdhsa_user_sgpr_dispatch_ptr 0
		.amdhsa_user_sgpr_queue_ptr 0
		.amdhsa_user_sgpr_kernarg_segment_ptr 1
		.amdhsa_user_sgpr_dispatch_id 0
		.amdhsa_user_sgpr_kernarg_preload_length 0
		.amdhsa_user_sgpr_kernarg_preload_offset 0
		.amdhsa_user_sgpr_private_segment_size 0
		.amdhsa_uses_dynamic_stack 0
		.amdhsa_enable_private_segment 0
		.amdhsa_system_sgpr_workgroup_id_x 1
		.amdhsa_system_sgpr_workgroup_id_y 0
		.amdhsa_system_sgpr_workgroup_id_z 0
		.amdhsa_system_sgpr_workgroup_info 0
		.amdhsa_system_vgpr_workitem_id 0
		.amdhsa_next_free_vgpr 1
		.amdhsa_next_free_sgpr 0
		.amdhsa_accum_offset 4
		.amdhsa_reserve_vcc 0
		.amdhsa_float_round_mode_32 0
		.amdhsa_float_round_mode_16_64 0
		.amdhsa_float_denorm_mode_32 3
		.amdhsa_float_denorm_mode_16_64 3
		.amdhsa_dx10_clamp 1
		.amdhsa_ieee_mode 1
		.amdhsa_fp16_overflow 0
		.amdhsa_tg_split 0
		.amdhsa_exception_fp_ieee_invalid_op 0
		.amdhsa_exception_fp_denorm_src 0
		.amdhsa_exception_fp_ieee_div_zero 0
		.amdhsa_exception_fp_ieee_overflow 0
		.amdhsa_exception_fp_ieee_underflow 0
		.amdhsa_exception_fp_ieee_inexact 0
		.amdhsa_exception_int_div_zero 0
	.end_amdhsa_kernel
	.section	.text._ZN7rocprim17ROCPRIM_400000_NS6detail17trampoline_kernelINS0_14default_configENS1_27scan_by_key_config_selectorIiiEEZZNS1_16scan_by_key_implILNS1_25lookback_scan_determinismE0ELb1ES3_N6thrust23THRUST_200600_302600_NS10device_ptrIiEESB_SB_iNS9_4plusIvEENS9_8equal_toIvEEiEE10hipError_tPvRmT2_T3_T4_T5_mT6_T7_P12ihipStream_tbENKUlT_T0_E_clISt17integral_constantIbLb0EESW_EEDaSR_SS_EUlSR_E_NS1_11comp_targetILNS1_3genE0ELNS1_11target_archE4294967295ELNS1_3gpuE0ELNS1_3repE0EEENS1_30default_config_static_selectorELNS0_4arch9wavefront6targetE1EEEvT1_,"axG",@progbits,_ZN7rocprim17ROCPRIM_400000_NS6detail17trampoline_kernelINS0_14default_configENS1_27scan_by_key_config_selectorIiiEEZZNS1_16scan_by_key_implILNS1_25lookback_scan_determinismE0ELb1ES3_N6thrust23THRUST_200600_302600_NS10device_ptrIiEESB_SB_iNS9_4plusIvEENS9_8equal_toIvEEiEE10hipError_tPvRmT2_T3_T4_T5_mT6_T7_P12ihipStream_tbENKUlT_T0_E_clISt17integral_constantIbLb0EESW_EEDaSR_SS_EUlSR_E_NS1_11comp_targetILNS1_3genE0ELNS1_11target_archE4294967295ELNS1_3gpuE0ELNS1_3repE0EEENS1_30default_config_static_selectorELNS0_4arch9wavefront6targetE1EEEvT1_,comdat
.Lfunc_end2234:
	.size	_ZN7rocprim17ROCPRIM_400000_NS6detail17trampoline_kernelINS0_14default_configENS1_27scan_by_key_config_selectorIiiEEZZNS1_16scan_by_key_implILNS1_25lookback_scan_determinismE0ELb1ES3_N6thrust23THRUST_200600_302600_NS10device_ptrIiEESB_SB_iNS9_4plusIvEENS9_8equal_toIvEEiEE10hipError_tPvRmT2_T3_T4_T5_mT6_T7_P12ihipStream_tbENKUlT_T0_E_clISt17integral_constantIbLb0EESW_EEDaSR_SS_EUlSR_E_NS1_11comp_targetILNS1_3genE0ELNS1_11target_archE4294967295ELNS1_3gpuE0ELNS1_3repE0EEENS1_30default_config_static_selectorELNS0_4arch9wavefront6targetE1EEEvT1_, .Lfunc_end2234-_ZN7rocprim17ROCPRIM_400000_NS6detail17trampoline_kernelINS0_14default_configENS1_27scan_by_key_config_selectorIiiEEZZNS1_16scan_by_key_implILNS1_25lookback_scan_determinismE0ELb1ES3_N6thrust23THRUST_200600_302600_NS10device_ptrIiEESB_SB_iNS9_4plusIvEENS9_8equal_toIvEEiEE10hipError_tPvRmT2_T3_T4_T5_mT6_T7_P12ihipStream_tbENKUlT_T0_E_clISt17integral_constantIbLb0EESW_EEDaSR_SS_EUlSR_E_NS1_11comp_targetILNS1_3genE0ELNS1_11target_archE4294967295ELNS1_3gpuE0ELNS1_3repE0EEENS1_30default_config_static_selectorELNS0_4arch9wavefront6targetE1EEEvT1_
                                        ; -- End function
	.section	.AMDGPU.csdata,"",@progbits
; Kernel info:
; codeLenInByte = 0
; NumSgprs: 6
; NumVgprs: 0
; NumAgprs: 0
; TotalNumVgprs: 0
; ScratchSize: 0
; MemoryBound: 0
; FloatMode: 240
; IeeeMode: 1
; LDSByteSize: 0 bytes/workgroup (compile time only)
; SGPRBlocks: 0
; VGPRBlocks: 0
; NumSGPRsForWavesPerEU: 6
; NumVGPRsForWavesPerEU: 1
; AccumOffset: 4
; Occupancy: 8
; WaveLimiterHint : 0
; COMPUTE_PGM_RSRC2:SCRATCH_EN: 0
; COMPUTE_PGM_RSRC2:USER_SGPR: 2
; COMPUTE_PGM_RSRC2:TRAP_HANDLER: 0
; COMPUTE_PGM_RSRC2:TGID_X_EN: 1
; COMPUTE_PGM_RSRC2:TGID_Y_EN: 0
; COMPUTE_PGM_RSRC2:TGID_Z_EN: 0
; COMPUTE_PGM_RSRC2:TIDIG_COMP_CNT: 0
; COMPUTE_PGM_RSRC3_GFX90A:ACCUM_OFFSET: 0
; COMPUTE_PGM_RSRC3_GFX90A:TG_SPLIT: 0
	.section	.text._ZN7rocprim17ROCPRIM_400000_NS6detail17trampoline_kernelINS0_14default_configENS1_27scan_by_key_config_selectorIiiEEZZNS1_16scan_by_key_implILNS1_25lookback_scan_determinismE0ELb1ES3_N6thrust23THRUST_200600_302600_NS10device_ptrIiEESB_SB_iNS9_4plusIvEENS9_8equal_toIvEEiEE10hipError_tPvRmT2_T3_T4_T5_mT6_T7_P12ihipStream_tbENKUlT_T0_E_clISt17integral_constantIbLb0EESW_EEDaSR_SS_EUlSR_E_NS1_11comp_targetILNS1_3genE10ELNS1_11target_archE1201ELNS1_3gpuE5ELNS1_3repE0EEENS1_30default_config_static_selectorELNS0_4arch9wavefront6targetE1EEEvT1_,"axG",@progbits,_ZN7rocprim17ROCPRIM_400000_NS6detail17trampoline_kernelINS0_14default_configENS1_27scan_by_key_config_selectorIiiEEZZNS1_16scan_by_key_implILNS1_25lookback_scan_determinismE0ELb1ES3_N6thrust23THRUST_200600_302600_NS10device_ptrIiEESB_SB_iNS9_4plusIvEENS9_8equal_toIvEEiEE10hipError_tPvRmT2_T3_T4_T5_mT6_T7_P12ihipStream_tbENKUlT_T0_E_clISt17integral_constantIbLb0EESW_EEDaSR_SS_EUlSR_E_NS1_11comp_targetILNS1_3genE10ELNS1_11target_archE1201ELNS1_3gpuE5ELNS1_3repE0EEENS1_30default_config_static_selectorELNS0_4arch9wavefront6targetE1EEEvT1_,comdat
	.protected	_ZN7rocprim17ROCPRIM_400000_NS6detail17trampoline_kernelINS0_14default_configENS1_27scan_by_key_config_selectorIiiEEZZNS1_16scan_by_key_implILNS1_25lookback_scan_determinismE0ELb1ES3_N6thrust23THRUST_200600_302600_NS10device_ptrIiEESB_SB_iNS9_4plusIvEENS9_8equal_toIvEEiEE10hipError_tPvRmT2_T3_T4_T5_mT6_T7_P12ihipStream_tbENKUlT_T0_E_clISt17integral_constantIbLb0EESW_EEDaSR_SS_EUlSR_E_NS1_11comp_targetILNS1_3genE10ELNS1_11target_archE1201ELNS1_3gpuE5ELNS1_3repE0EEENS1_30default_config_static_selectorELNS0_4arch9wavefront6targetE1EEEvT1_ ; -- Begin function _ZN7rocprim17ROCPRIM_400000_NS6detail17trampoline_kernelINS0_14default_configENS1_27scan_by_key_config_selectorIiiEEZZNS1_16scan_by_key_implILNS1_25lookback_scan_determinismE0ELb1ES3_N6thrust23THRUST_200600_302600_NS10device_ptrIiEESB_SB_iNS9_4plusIvEENS9_8equal_toIvEEiEE10hipError_tPvRmT2_T3_T4_T5_mT6_T7_P12ihipStream_tbENKUlT_T0_E_clISt17integral_constantIbLb0EESW_EEDaSR_SS_EUlSR_E_NS1_11comp_targetILNS1_3genE10ELNS1_11target_archE1201ELNS1_3gpuE5ELNS1_3repE0EEENS1_30default_config_static_selectorELNS0_4arch9wavefront6targetE1EEEvT1_
	.globl	_ZN7rocprim17ROCPRIM_400000_NS6detail17trampoline_kernelINS0_14default_configENS1_27scan_by_key_config_selectorIiiEEZZNS1_16scan_by_key_implILNS1_25lookback_scan_determinismE0ELb1ES3_N6thrust23THRUST_200600_302600_NS10device_ptrIiEESB_SB_iNS9_4plusIvEENS9_8equal_toIvEEiEE10hipError_tPvRmT2_T3_T4_T5_mT6_T7_P12ihipStream_tbENKUlT_T0_E_clISt17integral_constantIbLb0EESW_EEDaSR_SS_EUlSR_E_NS1_11comp_targetILNS1_3genE10ELNS1_11target_archE1201ELNS1_3gpuE5ELNS1_3repE0EEENS1_30default_config_static_selectorELNS0_4arch9wavefront6targetE1EEEvT1_
	.p2align	8
	.type	_ZN7rocprim17ROCPRIM_400000_NS6detail17trampoline_kernelINS0_14default_configENS1_27scan_by_key_config_selectorIiiEEZZNS1_16scan_by_key_implILNS1_25lookback_scan_determinismE0ELb1ES3_N6thrust23THRUST_200600_302600_NS10device_ptrIiEESB_SB_iNS9_4plusIvEENS9_8equal_toIvEEiEE10hipError_tPvRmT2_T3_T4_T5_mT6_T7_P12ihipStream_tbENKUlT_T0_E_clISt17integral_constantIbLb0EESW_EEDaSR_SS_EUlSR_E_NS1_11comp_targetILNS1_3genE10ELNS1_11target_archE1201ELNS1_3gpuE5ELNS1_3repE0EEENS1_30default_config_static_selectorELNS0_4arch9wavefront6targetE1EEEvT1_,@function
_ZN7rocprim17ROCPRIM_400000_NS6detail17trampoline_kernelINS0_14default_configENS1_27scan_by_key_config_selectorIiiEEZZNS1_16scan_by_key_implILNS1_25lookback_scan_determinismE0ELb1ES3_N6thrust23THRUST_200600_302600_NS10device_ptrIiEESB_SB_iNS9_4plusIvEENS9_8equal_toIvEEiEE10hipError_tPvRmT2_T3_T4_T5_mT6_T7_P12ihipStream_tbENKUlT_T0_E_clISt17integral_constantIbLb0EESW_EEDaSR_SS_EUlSR_E_NS1_11comp_targetILNS1_3genE10ELNS1_11target_archE1201ELNS1_3gpuE5ELNS1_3repE0EEENS1_30default_config_static_selectorELNS0_4arch9wavefront6targetE1EEEvT1_: ; @_ZN7rocprim17ROCPRIM_400000_NS6detail17trampoline_kernelINS0_14default_configENS1_27scan_by_key_config_selectorIiiEEZZNS1_16scan_by_key_implILNS1_25lookback_scan_determinismE0ELb1ES3_N6thrust23THRUST_200600_302600_NS10device_ptrIiEESB_SB_iNS9_4plusIvEENS9_8equal_toIvEEiEE10hipError_tPvRmT2_T3_T4_T5_mT6_T7_P12ihipStream_tbENKUlT_T0_E_clISt17integral_constantIbLb0EESW_EEDaSR_SS_EUlSR_E_NS1_11comp_targetILNS1_3genE10ELNS1_11target_archE1201ELNS1_3gpuE5ELNS1_3repE0EEENS1_30default_config_static_selectorELNS0_4arch9wavefront6targetE1EEEvT1_
; %bb.0:
	.section	.rodata,"a",@progbits
	.p2align	6, 0x0
	.amdhsa_kernel _ZN7rocprim17ROCPRIM_400000_NS6detail17trampoline_kernelINS0_14default_configENS1_27scan_by_key_config_selectorIiiEEZZNS1_16scan_by_key_implILNS1_25lookback_scan_determinismE0ELb1ES3_N6thrust23THRUST_200600_302600_NS10device_ptrIiEESB_SB_iNS9_4plusIvEENS9_8equal_toIvEEiEE10hipError_tPvRmT2_T3_T4_T5_mT6_T7_P12ihipStream_tbENKUlT_T0_E_clISt17integral_constantIbLb0EESW_EEDaSR_SS_EUlSR_E_NS1_11comp_targetILNS1_3genE10ELNS1_11target_archE1201ELNS1_3gpuE5ELNS1_3repE0EEENS1_30default_config_static_selectorELNS0_4arch9wavefront6targetE1EEEvT1_
		.amdhsa_group_segment_fixed_size 0
		.amdhsa_private_segment_fixed_size 0
		.amdhsa_kernarg_size 112
		.amdhsa_user_sgpr_count 2
		.amdhsa_user_sgpr_dispatch_ptr 0
		.amdhsa_user_sgpr_queue_ptr 0
		.amdhsa_user_sgpr_kernarg_segment_ptr 1
		.amdhsa_user_sgpr_dispatch_id 0
		.amdhsa_user_sgpr_kernarg_preload_length 0
		.amdhsa_user_sgpr_kernarg_preload_offset 0
		.amdhsa_user_sgpr_private_segment_size 0
		.amdhsa_uses_dynamic_stack 0
		.amdhsa_enable_private_segment 0
		.amdhsa_system_sgpr_workgroup_id_x 1
		.amdhsa_system_sgpr_workgroup_id_y 0
		.amdhsa_system_sgpr_workgroup_id_z 0
		.amdhsa_system_sgpr_workgroup_info 0
		.amdhsa_system_vgpr_workitem_id 0
		.amdhsa_next_free_vgpr 1
		.amdhsa_next_free_sgpr 0
		.amdhsa_accum_offset 4
		.amdhsa_reserve_vcc 0
		.amdhsa_float_round_mode_32 0
		.amdhsa_float_round_mode_16_64 0
		.amdhsa_float_denorm_mode_32 3
		.amdhsa_float_denorm_mode_16_64 3
		.amdhsa_dx10_clamp 1
		.amdhsa_ieee_mode 1
		.amdhsa_fp16_overflow 0
		.amdhsa_tg_split 0
		.amdhsa_exception_fp_ieee_invalid_op 0
		.amdhsa_exception_fp_denorm_src 0
		.amdhsa_exception_fp_ieee_div_zero 0
		.amdhsa_exception_fp_ieee_overflow 0
		.amdhsa_exception_fp_ieee_underflow 0
		.amdhsa_exception_fp_ieee_inexact 0
		.amdhsa_exception_int_div_zero 0
	.end_amdhsa_kernel
	.section	.text._ZN7rocprim17ROCPRIM_400000_NS6detail17trampoline_kernelINS0_14default_configENS1_27scan_by_key_config_selectorIiiEEZZNS1_16scan_by_key_implILNS1_25lookback_scan_determinismE0ELb1ES3_N6thrust23THRUST_200600_302600_NS10device_ptrIiEESB_SB_iNS9_4plusIvEENS9_8equal_toIvEEiEE10hipError_tPvRmT2_T3_T4_T5_mT6_T7_P12ihipStream_tbENKUlT_T0_E_clISt17integral_constantIbLb0EESW_EEDaSR_SS_EUlSR_E_NS1_11comp_targetILNS1_3genE10ELNS1_11target_archE1201ELNS1_3gpuE5ELNS1_3repE0EEENS1_30default_config_static_selectorELNS0_4arch9wavefront6targetE1EEEvT1_,"axG",@progbits,_ZN7rocprim17ROCPRIM_400000_NS6detail17trampoline_kernelINS0_14default_configENS1_27scan_by_key_config_selectorIiiEEZZNS1_16scan_by_key_implILNS1_25lookback_scan_determinismE0ELb1ES3_N6thrust23THRUST_200600_302600_NS10device_ptrIiEESB_SB_iNS9_4plusIvEENS9_8equal_toIvEEiEE10hipError_tPvRmT2_T3_T4_T5_mT6_T7_P12ihipStream_tbENKUlT_T0_E_clISt17integral_constantIbLb0EESW_EEDaSR_SS_EUlSR_E_NS1_11comp_targetILNS1_3genE10ELNS1_11target_archE1201ELNS1_3gpuE5ELNS1_3repE0EEENS1_30default_config_static_selectorELNS0_4arch9wavefront6targetE1EEEvT1_,comdat
.Lfunc_end2235:
	.size	_ZN7rocprim17ROCPRIM_400000_NS6detail17trampoline_kernelINS0_14default_configENS1_27scan_by_key_config_selectorIiiEEZZNS1_16scan_by_key_implILNS1_25lookback_scan_determinismE0ELb1ES3_N6thrust23THRUST_200600_302600_NS10device_ptrIiEESB_SB_iNS9_4plusIvEENS9_8equal_toIvEEiEE10hipError_tPvRmT2_T3_T4_T5_mT6_T7_P12ihipStream_tbENKUlT_T0_E_clISt17integral_constantIbLb0EESW_EEDaSR_SS_EUlSR_E_NS1_11comp_targetILNS1_3genE10ELNS1_11target_archE1201ELNS1_3gpuE5ELNS1_3repE0EEENS1_30default_config_static_selectorELNS0_4arch9wavefront6targetE1EEEvT1_, .Lfunc_end2235-_ZN7rocprim17ROCPRIM_400000_NS6detail17trampoline_kernelINS0_14default_configENS1_27scan_by_key_config_selectorIiiEEZZNS1_16scan_by_key_implILNS1_25lookback_scan_determinismE0ELb1ES3_N6thrust23THRUST_200600_302600_NS10device_ptrIiEESB_SB_iNS9_4plusIvEENS9_8equal_toIvEEiEE10hipError_tPvRmT2_T3_T4_T5_mT6_T7_P12ihipStream_tbENKUlT_T0_E_clISt17integral_constantIbLb0EESW_EEDaSR_SS_EUlSR_E_NS1_11comp_targetILNS1_3genE10ELNS1_11target_archE1201ELNS1_3gpuE5ELNS1_3repE0EEENS1_30default_config_static_selectorELNS0_4arch9wavefront6targetE1EEEvT1_
                                        ; -- End function
	.section	.AMDGPU.csdata,"",@progbits
; Kernel info:
; codeLenInByte = 0
; NumSgprs: 6
; NumVgprs: 0
; NumAgprs: 0
; TotalNumVgprs: 0
; ScratchSize: 0
; MemoryBound: 0
; FloatMode: 240
; IeeeMode: 1
; LDSByteSize: 0 bytes/workgroup (compile time only)
; SGPRBlocks: 0
; VGPRBlocks: 0
; NumSGPRsForWavesPerEU: 6
; NumVGPRsForWavesPerEU: 1
; AccumOffset: 4
; Occupancy: 8
; WaveLimiterHint : 0
; COMPUTE_PGM_RSRC2:SCRATCH_EN: 0
; COMPUTE_PGM_RSRC2:USER_SGPR: 2
; COMPUTE_PGM_RSRC2:TRAP_HANDLER: 0
; COMPUTE_PGM_RSRC2:TGID_X_EN: 1
; COMPUTE_PGM_RSRC2:TGID_Y_EN: 0
; COMPUTE_PGM_RSRC2:TGID_Z_EN: 0
; COMPUTE_PGM_RSRC2:TIDIG_COMP_CNT: 0
; COMPUTE_PGM_RSRC3_GFX90A:ACCUM_OFFSET: 0
; COMPUTE_PGM_RSRC3_GFX90A:TG_SPLIT: 0
	.section	.text._ZN7rocprim17ROCPRIM_400000_NS6detail17trampoline_kernelINS0_14default_configENS1_27scan_by_key_config_selectorIiiEEZZNS1_16scan_by_key_implILNS1_25lookback_scan_determinismE0ELb1ES3_N6thrust23THRUST_200600_302600_NS10device_ptrIiEESB_SB_iNS9_4plusIvEENS9_8equal_toIvEEiEE10hipError_tPvRmT2_T3_T4_T5_mT6_T7_P12ihipStream_tbENKUlT_T0_E_clISt17integral_constantIbLb0EESW_EEDaSR_SS_EUlSR_E_NS1_11comp_targetILNS1_3genE5ELNS1_11target_archE942ELNS1_3gpuE9ELNS1_3repE0EEENS1_30default_config_static_selectorELNS0_4arch9wavefront6targetE1EEEvT1_,"axG",@progbits,_ZN7rocprim17ROCPRIM_400000_NS6detail17trampoline_kernelINS0_14default_configENS1_27scan_by_key_config_selectorIiiEEZZNS1_16scan_by_key_implILNS1_25lookback_scan_determinismE0ELb1ES3_N6thrust23THRUST_200600_302600_NS10device_ptrIiEESB_SB_iNS9_4plusIvEENS9_8equal_toIvEEiEE10hipError_tPvRmT2_T3_T4_T5_mT6_T7_P12ihipStream_tbENKUlT_T0_E_clISt17integral_constantIbLb0EESW_EEDaSR_SS_EUlSR_E_NS1_11comp_targetILNS1_3genE5ELNS1_11target_archE942ELNS1_3gpuE9ELNS1_3repE0EEENS1_30default_config_static_selectorELNS0_4arch9wavefront6targetE1EEEvT1_,comdat
	.protected	_ZN7rocprim17ROCPRIM_400000_NS6detail17trampoline_kernelINS0_14default_configENS1_27scan_by_key_config_selectorIiiEEZZNS1_16scan_by_key_implILNS1_25lookback_scan_determinismE0ELb1ES3_N6thrust23THRUST_200600_302600_NS10device_ptrIiEESB_SB_iNS9_4plusIvEENS9_8equal_toIvEEiEE10hipError_tPvRmT2_T3_T4_T5_mT6_T7_P12ihipStream_tbENKUlT_T0_E_clISt17integral_constantIbLb0EESW_EEDaSR_SS_EUlSR_E_NS1_11comp_targetILNS1_3genE5ELNS1_11target_archE942ELNS1_3gpuE9ELNS1_3repE0EEENS1_30default_config_static_selectorELNS0_4arch9wavefront6targetE1EEEvT1_ ; -- Begin function _ZN7rocprim17ROCPRIM_400000_NS6detail17trampoline_kernelINS0_14default_configENS1_27scan_by_key_config_selectorIiiEEZZNS1_16scan_by_key_implILNS1_25lookback_scan_determinismE0ELb1ES3_N6thrust23THRUST_200600_302600_NS10device_ptrIiEESB_SB_iNS9_4plusIvEENS9_8equal_toIvEEiEE10hipError_tPvRmT2_T3_T4_T5_mT6_T7_P12ihipStream_tbENKUlT_T0_E_clISt17integral_constantIbLb0EESW_EEDaSR_SS_EUlSR_E_NS1_11comp_targetILNS1_3genE5ELNS1_11target_archE942ELNS1_3gpuE9ELNS1_3repE0EEENS1_30default_config_static_selectorELNS0_4arch9wavefront6targetE1EEEvT1_
	.globl	_ZN7rocprim17ROCPRIM_400000_NS6detail17trampoline_kernelINS0_14default_configENS1_27scan_by_key_config_selectorIiiEEZZNS1_16scan_by_key_implILNS1_25lookback_scan_determinismE0ELb1ES3_N6thrust23THRUST_200600_302600_NS10device_ptrIiEESB_SB_iNS9_4plusIvEENS9_8equal_toIvEEiEE10hipError_tPvRmT2_T3_T4_T5_mT6_T7_P12ihipStream_tbENKUlT_T0_E_clISt17integral_constantIbLb0EESW_EEDaSR_SS_EUlSR_E_NS1_11comp_targetILNS1_3genE5ELNS1_11target_archE942ELNS1_3gpuE9ELNS1_3repE0EEENS1_30default_config_static_selectorELNS0_4arch9wavefront6targetE1EEEvT1_
	.p2align	8
	.type	_ZN7rocprim17ROCPRIM_400000_NS6detail17trampoline_kernelINS0_14default_configENS1_27scan_by_key_config_selectorIiiEEZZNS1_16scan_by_key_implILNS1_25lookback_scan_determinismE0ELb1ES3_N6thrust23THRUST_200600_302600_NS10device_ptrIiEESB_SB_iNS9_4plusIvEENS9_8equal_toIvEEiEE10hipError_tPvRmT2_T3_T4_T5_mT6_T7_P12ihipStream_tbENKUlT_T0_E_clISt17integral_constantIbLb0EESW_EEDaSR_SS_EUlSR_E_NS1_11comp_targetILNS1_3genE5ELNS1_11target_archE942ELNS1_3gpuE9ELNS1_3repE0EEENS1_30default_config_static_selectorELNS0_4arch9wavefront6targetE1EEEvT1_,@function
_ZN7rocprim17ROCPRIM_400000_NS6detail17trampoline_kernelINS0_14default_configENS1_27scan_by_key_config_selectorIiiEEZZNS1_16scan_by_key_implILNS1_25lookback_scan_determinismE0ELb1ES3_N6thrust23THRUST_200600_302600_NS10device_ptrIiEESB_SB_iNS9_4plusIvEENS9_8equal_toIvEEiEE10hipError_tPvRmT2_T3_T4_T5_mT6_T7_P12ihipStream_tbENKUlT_T0_E_clISt17integral_constantIbLb0EESW_EEDaSR_SS_EUlSR_E_NS1_11comp_targetILNS1_3genE5ELNS1_11target_archE942ELNS1_3gpuE9ELNS1_3repE0EEENS1_30default_config_static_selectorELNS0_4arch9wavefront6targetE1EEEvT1_: ; @_ZN7rocprim17ROCPRIM_400000_NS6detail17trampoline_kernelINS0_14default_configENS1_27scan_by_key_config_selectorIiiEEZZNS1_16scan_by_key_implILNS1_25lookback_scan_determinismE0ELb1ES3_N6thrust23THRUST_200600_302600_NS10device_ptrIiEESB_SB_iNS9_4plusIvEENS9_8equal_toIvEEiEE10hipError_tPvRmT2_T3_T4_T5_mT6_T7_P12ihipStream_tbENKUlT_T0_E_clISt17integral_constantIbLb0EESW_EEDaSR_SS_EUlSR_E_NS1_11comp_targetILNS1_3genE5ELNS1_11target_archE942ELNS1_3gpuE9ELNS1_3repE0EEENS1_30default_config_static_selectorELNS0_4arch9wavefront6targetE1EEEvT1_
; %bb.0:
	s_load_dwordx8 s[48:55], s[0:1], 0x0
	s_load_dword s76, s[0:1], 0x20
	s_load_dwordx4 s[56:59], s[0:1], 0x28
	s_load_dwordx2 s[68:69], s[0:1], 0x38
	s_load_dword s3, s[0:1], 0x40
	s_load_dwordx4 s[60:63], s[0:1], 0x48
	s_waitcnt lgkmcnt(0)
	s_lshl_b64 s[64:65], s[50:51], 2
	s_add_u32 s4, s48, s64
	s_addc_u32 s5, s49, s65
	s_add_u32 s6, s52, s64
	s_mul_i32 s0, s69, s3
	s_mul_hi_u32 s1, s68, s3
	s_addc_u32 s7, s53, s65
	s_add_i32 s8, s1, s0
	s_mul_i32 s0, s2, 0x1700
	s_mov_b32 s1, 0
	s_lshl_b64 s[66:67], s[0:1], 2
	s_add_u32 s70, s4, s66
	s_addc_u32 s71, s5, s67
	s_add_u32 s52, s6, s66
	s_mul_i32 s3, s68, s3
	s_addc_u32 s53, s7, s67
	s_add_u32 s0, s3, s2
	s_addc_u32 s1, s8, 0
	s_add_u32 s6, s60, -1
	s_addc_u32 s7, s61, -1
	v_mov_b64_e32 v[2:3], s[6:7]
	v_cmp_ge_u64_e64 s[0:1], s[0:1], v[2:3]
	s_mov_b64 s[4:5], -1
	s_and_b64 vcc, exec, s[0:1]
	s_mul_i32 s33, s6, 0xffffe900
	s_barrier
	s_cbranch_vccz .LBB2236_71
; %bb.1:
	v_mov_b64_e32 v[2:3], s[70:71]
	flat_load_dword v1, v[2:3]
	s_add_i32 s3, s33, s58
	v_cmp_gt_u32_e32 vcc, s3, v0
	s_waitcnt vmcnt(0) lgkmcnt(0)
	v_mov_b32_e32 v4, v1
	s_and_saveexec_b64 s[4:5], vcc
	s_cbranch_execz .LBB2236_3
; %bb.2:
	v_lshlrev_b32_e32 v2, 2, v0
	v_mov_b32_e32 v3, 0
	v_lshl_add_u64 v[2:3], s[70:71], 0, v[2:3]
	flat_load_dword v4, v[2:3]
.LBB2236_3:
	s_or_b64 exec, exec, s[4:5]
	v_or_b32_e32 v2, 0x100, v0
	v_cmp_gt_u32_e64 s[48:49], s3, v2
	v_mov_b32_e32 v5, v1
	s_and_saveexec_b64 s[4:5], s[48:49]
	s_cbranch_execz .LBB2236_5
; %bb.4:
	v_lshlrev_b32_e32 v2, 2, v0
	v_mov_b32_e32 v3, 0
	v_lshl_add_u64 v[2:3], s[70:71], 0, v[2:3]
	flat_load_dword v5, v[2:3] offset:1024
.LBB2236_5:
	s_or_b64 exec, exec, s[4:5]
	v_or_b32_e32 v2, 0x200, v0
	v_cmp_gt_u32_e64 s[4:5], s3, v2
	v_mov_b32_e32 v6, v1
	s_and_saveexec_b64 s[6:7], s[4:5]
	s_cbranch_execz .LBB2236_7
; %bb.6:
	v_lshlrev_b32_e32 v2, 2, v0
	v_mov_b32_e32 v3, 0
	v_lshl_add_u64 v[2:3], s[70:71], 0, v[2:3]
	flat_load_dword v6, v[2:3] offset:2048
.LBB2236_7:
	;; [unrolled: 12-line block ×3, first 2 shown]
	s_or_b64 exec, exec, s[8:9]
	v_or_b32_e32 v2, 0x400, v0
	v_cmp_gt_u32_e64 s[8:9], s3, v2
	v_lshlrev_b32_e32 v2, 2, v2
	v_mov_b32_e32 v3, v1
	s_and_saveexec_b64 s[10:11], s[8:9]
	s_cbranch_execz .LBB2236_11
; %bb.10:
	v_mov_b32_e32 v3, 0
	v_lshl_add_u64 v[8:9], s[70:71], 0, v[2:3]
	flat_load_dword v3, v[8:9]
.LBB2236_11:
	s_or_b64 exec, exec, s[10:11]
	v_or_b32_e32 v8, 0x500, v0
	v_cmp_gt_u32_e64 s[10:11], s3, v8
	v_lshlrev_b32_e32 v10, 2, v8
	v_mov_b32_e32 v8, v1
	s_and_saveexec_b64 s[12:13], s[10:11]
	s_cbranch_execz .LBB2236_13
; %bb.12:
	v_mov_b32_e32 v11, 0
	v_lshl_add_u64 v[8:9], s[70:71], 0, v[10:11]
	flat_load_dword v8, v[8:9]
.LBB2236_13:
	;; [unrolled: 12-line block ×18, first 2 shown]
	s_or_b64 exec, exec, s[46:47]
	v_or_b32_e32 v41, 0x1600, v0
	v_cmp_gt_u32_e64 s[46:47], s3, v41
	v_lshlrev_b32_e32 v44, 2, v41
	s_and_saveexec_b64 s[50:51], s[46:47]
	s_cbranch_execz .LBB2236_47
; %bb.46:
	v_mov_b32_e32 v45, 0
	v_lshl_add_u64 v[46:47], s[70:71], 0, v[44:45]
	flat_load_dword v1, v[46:47]
.LBB2236_47:
	s_or_b64 exec, exec, s[50:51]
	v_lshlrev_b32_e32 v46, 2, v0
	s_waitcnt vmcnt(0) lgkmcnt(0)
	ds_write2st64_b32 v46, v4, v5 offset1:4
	ds_write2st64_b32 v46, v6, v7 offset0:8 offset1:12
	ds_write2st64_b32 v46, v3, v8 offset0:16 offset1:20
	;; [unrolled: 1-line block ×10, first 2 shown]
	ds_write_b32 v46, v1 offset:22528
	v_mov_b64_e32 v[4:5], s[70:71]
	s_waitcnt lgkmcnt(0)
	s_barrier
	flat_load_dword v1, v[4:5]
	s_movk_i32 s50, 0x58
	v_mad_u32_u24 v70, v0, s50, v46
	s_movk_i32 s50, 0xffa8
	v_mad_i32_i24 v3, v0, s50, v70
	s_movk_i32 s50, 0xff
	v_cmp_ne_u32_e64 s[50:51], s50, v0
	ds_read_b32 v72, v70
	ds_read2_b32 v[68:69], v70 offset0:1 offset1:2
	ds_read2_b32 v[66:67], v70 offset0:3 offset1:4
	;; [unrolled: 1-line block ×11, first 2 shown]
	s_waitcnt lgkmcnt(0)
	ds_write_b32 v3, v72 offset:24576
	s_waitcnt lgkmcnt(0)
	s_barrier
	s_and_saveexec_b64 s[60:61], s[50:51]
	s_cbranch_execz .LBB2236_49
; %bb.48:
	s_waitcnt vmcnt(0)
	ds_read_b32 v1, v46 offset:24580
.LBB2236_49:
	s_or_b64 exec, exec, s[60:61]
	v_mov_b32_e32 v47, 0
	s_waitcnt lgkmcnt(0)
	s_barrier
	s_waitcnt lgkmcnt(0)
                                        ; implicit-def: $vgpr48
	s_and_saveexec_b64 s[50:51], vcc
	s_cbranch_execz .LBB2236_72
; %bb.50:
	v_lshl_add_u64 v[48:49], s[52:53], 0, v[46:47]
	flat_load_dword v48, v[48:49]
	s_or_b64 exec, exec, s[50:51]
                                        ; implicit-def: $vgpr49
	s_and_saveexec_b64 s[50:51], s[48:49]
	s_cbranch_execnz .LBB2236_73
.LBB2236_51:
	s_or_b64 exec, exec, s[50:51]
                                        ; implicit-def: $vgpr50
	s_and_saveexec_b64 s[48:49], s[4:5]
	s_cbranch_execz .LBB2236_74
.LBB2236_52:
	v_mov_b32_e32 v47, 0
	v_lshl_add_u64 v[50:51], s[52:53], 0, v[46:47]
	flat_load_dword v50, v[50:51] offset:2048
	s_or_b64 exec, exec, s[48:49]
                                        ; implicit-def: $vgpr47
	s_and_saveexec_b64 s[4:5], s[6:7]
	s_cbranch_execnz .LBB2236_75
.LBB2236_53:
	s_or_b64 exec, exec, s[4:5]
                                        ; implicit-def: $vgpr3
	s_and_saveexec_b64 s[4:5], s[8:9]
	s_cbranch_execz .LBB2236_76
.LBB2236_54:
	v_mov_b32_e32 v3, 0
	v_lshl_add_u64 v[2:3], s[52:53], 0, v[2:3]
	flat_load_dword v3, v[2:3]
	s_or_b64 exec, exec, s[4:5]
                                        ; implicit-def: $vgpr2
	s_and_saveexec_b64 s[4:5], s[10:11]
	s_cbranch_execnz .LBB2236_77
.LBB2236_55:
	s_or_b64 exec, exec, s[4:5]
                                        ; implicit-def: $vgpr10
	s_and_saveexec_b64 s[4:5], s[12:13]
	s_cbranch_execz .LBB2236_78
.LBB2236_56:
	v_mov_b32_e32 v13, 0
	v_lshl_add_u64 v[10:11], s[52:53], 0, v[12:13]
	flat_load_dword v10, v[10:11]
	s_or_b64 exec, exec, s[4:5]
                                        ; implicit-def: $vgpr11
	s_and_saveexec_b64 s[4:5], s[14:15]
	s_cbranch_execnz .LBB2236_79
.LBB2236_57:
	s_or_b64 exec, exec, s[4:5]
                                        ; implicit-def: $vgpr12
	s_and_saveexec_b64 s[4:5], s[16:17]
	s_cbranch_execz .LBB2236_80
.LBB2236_58:
	v_mov_b32_e32 v17, 0
	v_lshl_add_u64 v[12:13], s[52:53], 0, v[16:17]
	flat_load_dword v12, v[12:13]
	s_or_b64 exec, exec, s[4:5]
                                        ; implicit-def: $vgpr13
	s_and_saveexec_b64 s[4:5], s[18:19]
	s_cbranch_execnz .LBB2236_81
.LBB2236_59:
	s_or_b64 exec, exec, s[4:5]
                                        ; implicit-def: $vgpr14
	s_and_saveexec_b64 s[4:5], s[20:21]
	s_cbranch_execz .LBB2236_82
.LBB2236_60:
	v_mov_b32_e32 v21, 0
	v_lshl_add_u64 v[14:15], s[52:53], 0, v[20:21]
	flat_load_dword v14, v[14:15]
	s_or_b64 exec, exec, s[4:5]
                                        ; implicit-def: $vgpr15
	s_and_saveexec_b64 s[4:5], s[22:23]
	s_cbranch_execnz .LBB2236_83
.LBB2236_61:
	s_or_b64 exec, exec, s[4:5]
                                        ; implicit-def: $vgpr16
	s_and_saveexec_b64 s[4:5], s[24:25]
	s_cbranch_execz .LBB2236_84
.LBB2236_62:
	v_mov_b32_e32 v25, 0
	v_lshl_add_u64 v[16:17], s[52:53], 0, v[24:25]
	flat_load_dword v16, v[16:17]
	s_or_b64 exec, exec, s[4:5]
                                        ; implicit-def: $vgpr17
	s_and_saveexec_b64 s[4:5], s[26:27]
	s_cbranch_execnz .LBB2236_85
.LBB2236_63:
	s_or_b64 exec, exec, s[4:5]
                                        ; implicit-def: $vgpr18
	s_and_saveexec_b64 s[4:5], s[28:29]
	s_cbranch_execz .LBB2236_86
.LBB2236_64:
	v_mov_b32_e32 v29, 0
	v_lshl_add_u64 v[18:19], s[52:53], 0, v[28:29]
	flat_load_dword v18, v[18:19]
	s_or_b64 exec, exec, s[4:5]
                                        ; implicit-def: $vgpr19
	s_and_saveexec_b64 s[4:5], s[30:31]
	s_cbranch_execnz .LBB2236_87
.LBB2236_65:
	s_or_b64 exec, exec, s[4:5]
                                        ; implicit-def: $vgpr20
	s_and_saveexec_b64 s[4:5], s[34:35]
	s_cbranch_execz .LBB2236_88
.LBB2236_66:
	v_mov_b32_e32 v33, 0
	v_lshl_add_u64 v[20:21], s[52:53], 0, v[32:33]
	flat_load_dword v20, v[20:21]
	s_or_b64 exec, exec, s[4:5]
                                        ; implicit-def: $vgpr21
	s_and_saveexec_b64 s[4:5], s[36:37]
	s_cbranch_execnz .LBB2236_89
.LBB2236_67:
	s_or_b64 exec, exec, s[4:5]
                                        ; implicit-def: $vgpr22
	s_and_saveexec_b64 s[4:5], s[38:39]
	s_cbranch_execz .LBB2236_90
.LBB2236_68:
	v_mov_b32_e32 v37, 0
	v_lshl_add_u64 v[22:23], s[52:53], 0, v[36:37]
	flat_load_dword v22, v[22:23]
	s_or_b64 exec, exec, s[4:5]
                                        ; implicit-def: $vgpr23
	s_and_saveexec_b64 s[4:5], s[40:41]
	s_cbranch_execnz .LBB2236_91
.LBB2236_69:
	s_or_b64 exec, exec, s[4:5]
                                        ; implicit-def: $vgpr24
	s_and_saveexec_b64 s[4:5], s[42:43]
	s_cbranch_execz .LBB2236_92
.LBB2236_70:
	v_mov_b32_e32 v41, 0
	v_lshl_add_u64 v[24:25], s[52:53], 0, v[40:41]
	flat_load_dword v24, v[24:25]
	s_or_b64 exec, exec, s[4:5]
                                        ; implicit-def: $vgpr25
	s_and_saveexec_b64 s[4:5], s[44:45]
	s_cbranch_execz .LBB2236_94
	s_branch .LBB2236_93
.LBB2236_71:
	s_mov_b64 s[10:11], 0
                                        ; implicit-def: $sgpr8_sgpr9
                                        ; implicit-def: $vgpr2
                                        ; implicit-def: $vgpr10_vgpr11
                                        ; implicit-def: $vgpr12_vgpr13
                                        ; implicit-def: $vgpr14_vgpr15
                                        ; implicit-def: $vgpr16_vgpr17
                                        ; implicit-def: $vgpr18_vgpr19
                                        ; implicit-def: $vgpr20_vgpr21
                                        ; implicit-def: $vgpr22_vgpr23
                                        ; implicit-def: $vgpr24_vgpr25
                                        ; implicit-def: $vgpr26_vgpr27
                                        ; implicit-def: $vgpr28_vgpr29
                                        ; implicit-def: $vgpr30_vgpr31
                                        ; implicit-def: $vgpr32_vgpr33
                                        ; implicit-def: $vgpr34_vgpr35
                                        ; implicit-def: $vgpr36_vgpr37
                                        ; implicit-def: $vgpr38_vgpr39
                                        ; implicit-def: $vgpr40_vgpr41
                                        ; implicit-def: $vgpr42_vgpr43
                                        ; implicit-def: $vgpr44_vgpr45
                                        ; implicit-def: $vgpr46_vgpr47
                                        ; implicit-def: $vgpr48_vgpr49
                                        ; implicit-def: $vgpr50_vgpr51
                                        ; implicit-def: $vgpr52_vgpr53
                                        ; implicit-def: $sgpr6_sgpr7
	s_and_b64 vcc, exec, s[4:5]
	v_lshlrev_b32_e32 v54, 2, v0
	s_cbranch_vccz .LBB2236_148
	s_branch .LBB2236_143
.LBB2236_72:
	s_or_b64 exec, exec, s[50:51]
                                        ; implicit-def: $vgpr49
	s_and_saveexec_b64 s[50:51], s[48:49]
	s_cbranch_execz .LBB2236_51
.LBB2236_73:
	v_mov_b32_e32 v47, 0
	v_lshl_add_u64 v[50:51], s[52:53], 0, v[46:47]
	flat_load_dword v49, v[50:51] offset:1024
	s_or_b64 exec, exec, s[50:51]
                                        ; implicit-def: $vgpr50
	s_and_saveexec_b64 s[48:49], s[4:5]
	s_cbranch_execnz .LBB2236_52
.LBB2236_74:
	s_or_b64 exec, exec, s[48:49]
                                        ; implicit-def: $vgpr47
	s_and_saveexec_b64 s[4:5], s[6:7]
	s_cbranch_execz .LBB2236_53
.LBB2236_75:
	v_mov_b32_e32 v47, 0
	v_lshl_add_u64 v[52:53], s[52:53], 0, v[46:47]
	flat_load_dword v47, v[52:53] offset:3072
	s_or_b64 exec, exec, s[4:5]
                                        ; implicit-def: $vgpr3
	s_and_saveexec_b64 s[4:5], s[8:9]
	s_cbranch_execnz .LBB2236_54
.LBB2236_76:
	s_or_b64 exec, exec, s[4:5]
                                        ; implicit-def: $vgpr2
	s_and_saveexec_b64 s[4:5], s[10:11]
	s_cbranch_execz .LBB2236_55
.LBB2236_77:
	v_mov_b32_e32 v11, 0
	v_lshl_add_u64 v[10:11], s[52:53], 0, v[10:11]
	flat_load_dword v2, v[10:11]
	s_or_b64 exec, exec, s[4:5]
                                        ; implicit-def: $vgpr10
	s_and_saveexec_b64 s[4:5], s[12:13]
	s_cbranch_execnz .LBB2236_56
.LBB2236_78:
	s_or_b64 exec, exec, s[4:5]
                                        ; implicit-def: $vgpr11
	s_and_saveexec_b64 s[4:5], s[14:15]
	s_cbranch_execz .LBB2236_57
.LBB2236_79:
	v_mov_b32_e32 v15, 0
	v_lshl_add_u64 v[12:13], s[52:53], 0, v[14:15]
	flat_load_dword v11, v[12:13]
	s_or_b64 exec, exec, s[4:5]
                                        ; implicit-def: $vgpr12
	s_and_saveexec_b64 s[4:5], s[16:17]
	s_cbranch_execnz .LBB2236_58
.LBB2236_80:
	s_or_b64 exec, exec, s[4:5]
                                        ; implicit-def: $vgpr13
	s_and_saveexec_b64 s[4:5], s[18:19]
	s_cbranch_execz .LBB2236_59
.LBB2236_81:
	v_mov_b32_e32 v19, 0
	v_lshl_add_u64 v[14:15], s[52:53], 0, v[18:19]
	flat_load_dword v13, v[14:15]
	s_or_b64 exec, exec, s[4:5]
                                        ; implicit-def: $vgpr14
	s_and_saveexec_b64 s[4:5], s[20:21]
	s_cbranch_execnz .LBB2236_60
.LBB2236_82:
	s_or_b64 exec, exec, s[4:5]
                                        ; implicit-def: $vgpr15
	s_and_saveexec_b64 s[4:5], s[22:23]
	s_cbranch_execz .LBB2236_61
.LBB2236_83:
	v_mov_b32_e32 v23, 0
	v_lshl_add_u64 v[16:17], s[52:53], 0, v[22:23]
	flat_load_dword v15, v[16:17]
	s_or_b64 exec, exec, s[4:5]
                                        ; implicit-def: $vgpr16
	s_and_saveexec_b64 s[4:5], s[24:25]
	s_cbranch_execnz .LBB2236_62
.LBB2236_84:
	s_or_b64 exec, exec, s[4:5]
                                        ; implicit-def: $vgpr17
	s_and_saveexec_b64 s[4:5], s[26:27]
	s_cbranch_execz .LBB2236_63
.LBB2236_85:
	v_mov_b32_e32 v27, 0
	v_lshl_add_u64 v[18:19], s[52:53], 0, v[26:27]
	flat_load_dword v17, v[18:19]
	s_or_b64 exec, exec, s[4:5]
                                        ; implicit-def: $vgpr18
	s_and_saveexec_b64 s[4:5], s[28:29]
	s_cbranch_execnz .LBB2236_64
.LBB2236_86:
	s_or_b64 exec, exec, s[4:5]
                                        ; implicit-def: $vgpr19
	s_and_saveexec_b64 s[4:5], s[30:31]
	s_cbranch_execz .LBB2236_65
.LBB2236_87:
	v_mov_b32_e32 v31, 0
	v_lshl_add_u64 v[20:21], s[52:53], 0, v[30:31]
	flat_load_dword v19, v[20:21]
	s_or_b64 exec, exec, s[4:5]
                                        ; implicit-def: $vgpr20
	s_and_saveexec_b64 s[4:5], s[34:35]
	s_cbranch_execnz .LBB2236_66
.LBB2236_88:
	s_or_b64 exec, exec, s[4:5]
                                        ; implicit-def: $vgpr21
	s_and_saveexec_b64 s[4:5], s[36:37]
	s_cbranch_execz .LBB2236_67
.LBB2236_89:
	v_mov_b32_e32 v35, 0
	v_lshl_add_u64 v[22:23], s[52:53], 0, v[34:35]
	flat_load_dword v21, v[22:23]
	s_or_b64 exec, exec, s[4:5]
                                        ; implicit-def: $vgpr22
	s_and_saveexec_b64 s[4:5], s[38:39]
	s_cbranch_execnz .LBB2236_68
.LBB2236_90:
	s_or_b64 exec, exec, s[4:5]
                                        ; implicit-def: $vgpr23
	s_and_saveexec_b64 s[4:5], s[40:41]
	s_cbranch_execz .LBB2236_69
.LBB2236_91:
	v_mov_b32_e32 v39, 0
	v_lshl_add_u64 v[24:25], s[52:53], 0, v[38:39]
	flat_load_dword v23, v[24:25]
	s_or_b64 exec, exec, s[4:5]
                                        ; implicit-def: $vgpr24
	s_and_saveexec_b64 s[4:5], s[42:43]
	s_cbranch_execnz .LBB2236_70
.LBB2236_92:
	s_or_b64 exec, exec, s[4:5]
                                        ; implicit-def: $vgpr25
	s_and_saveexec_b64 s[4:5], s[44:45]
	s_cbranch_execz .LBB2236_94
.LBB2236_93:
	v_mov_b32_e32 v43, 0
	v_lshl_add_u64 v[26:27], s[52:53], 0, v[42:43]
	flat_load_dword v25, v[26:27]
.LBB2236_94:
	s_or_b64 exec, exec, s[4:5]
	v_mul_u32_u24_e32 v71, 23, v0
                                        ; implicit-def: $vgpr26
	s_and_saveexec_b64 s[4:5], s[46:47]
	s_cbranch_execz .LBB2236_96
; %bb.95:
	v_mov_b32_e32 v45, 0
	v_lshl_add_u64 v[26:27], s[52:53], 0, v[44:45]
	flat_load_dword v26, v[26:27]
.LBB2236_96:
	s_or_b64 exec, exec, s[4:5]
	s_waitcnt vmcnt(0) lgkmcnt(0)
	ds_write2st64_b32 v46, v48, v49 offset1:4
	ds_write2st64_b32 v46, v50, v47 offset0:8 offset1:12
	ds_write2st64_b32 v46, v3, v2 offset0:16 offset1:20
	;; [unrolled: 1-line block ×10, first 2 shown]
	ds_write_b32 v46, v26 offset:22528
	v_mov_b64_e32 v[10:11], 0
	v_cmp_gt_u32_e32 vcc, s3, v71
	s_mov_b64 s[10:11], 0
	s_mov_b64 s[4:5], 0
	v_mov_b64_e32 v[12:13], v[10:11]
	v_mov_b64_e32 v[14:15], v[10:11]
	v_mov_b64_e32 v[16:17], v[10:11]
	v_mov_b64_e32 v[18:19], v[10:11]
	v_mov_b64_e32 v[20:21], v[10:11]
	v_mov_b64_e32 v[22:23], v[10:11]
	v_mov_b64_e32 v[24:25], v[10:11]
	v_mov_b64_e32 v[26:27], v[10:11]
	v_mov_b64_e32 v[28:29], v[10:11]
	v_mov_b64_e32 v[30:31], v[10:11]
	v_mov_b64_e32 v[32:33], v[10:11]
	v_mov_b64_e32 v[34:35], v[10:11]
	v_mov_b64_e32 v[36:37], v[10:11]
	v_mov_b64_e32 v[38:39], v[10:11]
	v_mov_b64_e32 v[40:41], v[10:11]
	v_mov_b64_e32 v[42:43], v[10:11]
	v_mov_b64_e32 v[44:45], v[10:11]
	v_mov_b64_e32 v[46:47], v[10:11]
	v_mov_b64_e32 v[48:49], v[10:11]
	v_mov_b64_e32 v[50:51], v[10:11]
	v_mov_b64_e32 v[52:53], v[10:11]
	s_waitcnt lgkmcnt(0)
	s_barrier
	s_waitcnt lgkmcnt(0)
                                        ; implicit-def: $sgpr8_sgpr9
                                        ; implicit-def: $vgpr2
	s_and_saveexec_b64 s[6:7], vcc
	s_cbranch_execz .LBB2236_142
; %bb.97:
	ds_read_b32 v2, v70
	v_mov_b32_e32 v10, s76
	v_cmp_eq_u32_e32 vcc, v72, v68
	v_add_u32_e32 v3, 1, v71
	v_mov_b64_e32 v[12:13], 0
	s_waitcnt lgkmcnt(0)
	v_cndmask_b32_e32 v10, v10, v2, vcc
	v_cmp_ne_u32_e32 vcc, v72, v68
	s_mov_b64 s[12:13], 0
	v_mov_b64_e32 v[14:15], v[12:13]
	v_cndmask_b32_e64 v11, 0, 1, vcc
	v_cmp_gt_u32_e32 vcc, s3, v3
	v_mov_b64_e32 v[16:17], v[12:13]
	v_mov_b64_e32 v[18:19], v[12:13]
	;; [unrolled: 1-line block ×19, first 2 shown]
                                        ; implicit-def: $sgpr14_sgpr15
                                        ; implicit-def: $vgpr2
	s_and_saveexec_b64 s[8:9], vcc
	s_cbranch_execz .LBB2236_141
; %bb.98:
	ds_read2_b32 v[2:3], v70 offset0:1 offset1:2
	v_mov_b32_e32 v12, s76
	v_cmp_eq_u32_e32 vcc, v68, v69
	v_add_u32_e32 v14, 2, v71
	s_mov_b64 s[14:15], 0
	s_waitcnt lgkmcnt(0)
	v_cndmask_b32_e32 v12, v12, v2, vcc
	v_cmp_ne_u32_e32 vcc, v68, v69
                                        ; implicit-def: $sgpr16_sgpr17
                                        ; implicit-def: $vgpr2
	s_nop 1
	v_cndmask_b32_e64 v13, 0, 1, vcc
	v_cmp_gt_u32_e32 vcc, s3, v14
	v_mov_b64_e32 v[14:15], 0
	v_mov_b64_e32 v[16:17], v[14:15]
	;; [unrolled: 1-line block ×20, first 2 shown]
	s_and_saveexec_b64 s[10:11], vcc
	s_cbranch_execz .LBB2236_140
; %bb.99:
	v_mov_b32_e32 v14, s76
	v_cmp_eq_u32_e32 vcc, v69, v66
	v_add_u32_e32 v2, 3, v71
	v_mov_b64_e32 v[16:17], 0
	v_cndmask_b32_e32 v14, v14, v3, vcc
	v_cmp_ne_u32_e32 vcc, v69, v66
	s_mov_b64 s[16:17], 0
	v_mov_b64_e32 v[18:19], v[16:17]
	v_cndmask_b32_e64 v15, 0, 1, vcc
	v_cmp_gt_u32_e32 vcc, s3, v2
	v_mov_b64_e32 v[20:21], v[16:17]
	v_mov_b64_e32 v[22:23], v[16:17]
	;; [unrolled: 1-line block ×17, first 2 shown]
                                        ; implicit-def: $sgpr18_sgpr19
                                        ; implicit-def: $vgpr2
	s_and_saveexec_b64 s[12:13], vcc
	s_cbranch_execz .LBB2236_139
; %bb.100:
	ds_read2_b32 v[2:3], v70 offset0:3 offset1:4
	v_mov_b32_e32 v16, s76
	v_cmp_eq_u32_e32 vcc, v66, v67
	v_add_u32_e32 v18, 4, v71
	s_mov_b64 s[18:19], 0
	s_waitcnt lgkmcnt(0)
	v_cndmask_b32_e32 v16, v16, v2, vcc
	v_cmp_ne_u32_e32 vcc, v66, v67
                                        ; implicit-def: $sgpr20_sgpr21
                                        ; implicit-def: $vgpr2
	s_nop 1
	v_cndmask_b32_e64 v17, 0, 1, vcc
	v_cmp_gt_u32_e32 vcc, s3, v18
	v_mov_b64_e32 v[18:19], 0
	v_mov_b64_e32 v[20:21], v[18:19]
	;; [unrolled: 1-line block ×18, first 2 shown]
	s_and_saveexec_b64 s[14:15], vcc
	s_cbranch_execz .LBB2236_138
; %bb.101:
	v_mov_b32_e32 v18, s76
	v_cmp_eq_u32_e32 vcc, v67, v64
	v_add_u32_e32 v2, 5, v71
	v_mov_b64_e32 v[20:21], 0
	v_cndmask_b32_e32 v18, v18, v3, vcc
	v_cmp_ne_u32_e32 vcc, v67, v64
	s_mov_b64 s[20:21], 0
	v_mov_b64_e32 v[22:23], v[20:21]
	v_cndmask_b32_e64 v19, 0, 1, vcc
	v_cmp_gt_u32_e32 vcc, s3, v2
	v_mov_b64_e32 v[24:25], v[20:21]
	v_mov_b64_e32 v[26:27], v[20:21]
	v_mov_b64_e32 v[28:29], v[20:21]
	v_mov_b64_e32 v[30:31], v[20:21]
	v_mov_b64_e32 v[32:33], v[20:21]
	v_mov_b64_e32 v[34:35], v[20:21]
	v_mov_b64_e32 v[36:37], v[20:21]
	v_mov_b64_e32 v[38:39], v[20:21]
	v_mov_b64_e32 v[40:41], v[20:21]
	v_mov_b64_e32 v[42:43], v[20:21]
	v_mov_b64_e32 v[44:45], v[20:21]
	v_mov_b64_e32 v[46:47], v[20:21]
	v_mov_b64_e32 v[48:49], v[20:21]
	v_mov_b64_e32 v[50:51], v[20:21]
	v_mov_b64_e32 v[52:53], v[20:21]
                                        ; implicit-def: $sgpr22_sgpr23
                                        ; implicit-def: $vgpr2
	s_and_saveexec_b64 s[16:17], vcc
	s_cbranch_execz .LBB2236_137
; %bb.102:
	ds_read2_b32 v[2:3], v70 offset0:5 offset1:6
	v_mov_b32_e32 v20, s76
	v_cmp_eq_u32_e32 vcc, v64, v65
	v_add_u32_e32 v22, 6, v71
	s_mov_b64 s[22:23], 0
	s_waitcnt lgkmcnt(0)
	v_cndmask_b32_e32 v20, v20, v2, vcc
	v_cmp_ne_u32_e32 vcc, v64, v65
                                        ; implicit-def: $sgpr24_sgpr25
                                        ; implicit-def: $vgpr2
	s_nop 1
	v_cndmask_b32_e64 v21, 0, 1, vcc
	v_cmp_gt_u32_e32 vcc, s3, v22
	v_mov_b64_e32 v[22:23], 0
	v_mov_b64_e32 v[24:25], v[22:23]
	;; [unrolled: 1-line block ×16, first 2 shown]
	s_and_saveexec_b64 s[18:19], vcc
	s_cbranch_execz .LBB2236_136
; %bb.103:
	v_mov_b32_e32 v22, s76
	v_cmp_eq_u32_e32 vcc, v65, v62
	v_add_u32_e32 v2, 7, v71
	v_mov_b64_e32 v[24:25], 0
	v_cndmask_b32_e32 v22, v22, v3, vcc
	v_cmp_ne_u32_e32 vcc, v65, v62
	s_mov_b64 s[24:25], 0
	v_mov_b64_e32 v[26:27], v[24:25]
	v_cndmask_b32_e64 v23, 0, 1, vcc
	v_cmp_gt_u32_e32 vcc, s3, v2
	v_mov_b64_e32 v[28:29], v[24:25]
	v_mov_b64_e32 v[30:31], v[24:25]
	;; [unrolled: 1-line block ×13, first 2 shown]
                                        ; implicit-def: $sgpr26_sgpr27
                                        ; implicit-def: $vgpr2
	s_and_saveexec_b64 s[20:21], vcc
	s_cbranch_execz .LBB2236_135
; %bb.104:
	ds_read2_b32 v[2:3], v70 offset0:7 offset1:8
	v_mov_b32_e32 v24, s76
	v_cmp_eq_u32_e32 vcc, v62, v63
	v_add_u32_e32 v26, 8, v71
	s_mov_b64 s[26:27], 0
	s_waitcnt lgkmcnt(0)
	v_cndmask_b32_e32 v24, v24, v2, vcc
	v_cmp_ne_u32_e32 vcc, v62, v63
                                        ; implicit-def: $sgpr28_sgpr29
                                        ; implicit-def: $vgpr2
	s_nop 1
	v_cndmask_b32_e64 v25, 0, 1, vcc
	v_cmp_gt_u32_e32 vcc, s3, v26
	v_mov_b64_e32 v[26:27], 0
	v_mov_b64_e32 v[28:29], v[26:27]
	;; [unrolled: 1-line block ×14, first 2 shown]
	s_and_saveexec_b64 s[22:23], vcc
	s_cbranch_execz .LBB2236_134
; %bb.105:
	v_mov_b32_e32 v26, s76
	v_cmp_eq_u32_e32 vcc, v63, v60
	v_add_u32_e32 v2, 9, v71
	v_mov_b64_e32 v[28:29], 0
	v_cndmask_b32_e32 v26, v26, v3, vcc
	v_cmp_ne_u32_e32 vcc, v63, v60
	s_mov_b64 s[28:29], 0
	v_mov_b64_e32 v[30:31], v[28:29]
	v_cndmask_b32_e64 v27, 0, 1, vcc
	v_cmp_gt_u32_e32 vcc, s3, v2
	v_mov_b64_e32 v[32:33], v[28:29]
	v_mov_b64_e32 v[34:35], v[28:29]
	;; [unrolled: 1-line block ×11, first 2 shown]
                                        ; implicit-def: $sgpr30_sgpr31
                                        ; implicit-def: $vgpr2
	s_and_saveexec_b64 s[24:25], vcc
	s_cbranch_execz .LBB2236_133
; %bb.106:
	ds_read2_b32 v[2:3], v70 offset0:9 offset1:10
	v_mov_b32_e32 v28, s76
	v_cmp_eq_u32_e32 vcc, v60, v61
	v_add_u32_e32 v30, 10, v71
	s_mov_b64 s[30:31], 0
	s_waitcnt lgkmcnt(0)
	v_cndmask_b32_e32 v28, v28, v2, vcc
	v_cmp_ne_u32_e32 vcc, v60, v61
                                        ; implicit-def: $sgpr34_sgpr35
                                        ; implicit-def: $vgpr2
	s_nop 1
	v_cndmask_b32_e64 v29, 0, 1, vcc
	v_cmp_gt_u32_e32 vcc, s3, v30
	v_mov_b64_e32 v[30:31], 0
	v_mov_b64_e32 v[32:33], v[30:31]
	;; [unrolled: 1-line block ×12, first 2 shown]
	s_and_saveexec_b64 s[26:27], vcc
	s_cbranch_execz .LBB2236_132
; %bb.107:
	v_mov_b32_e32 v30, s76
	v_cmp_eq_u32_e32 vcc, v61, v58
	v_add_u32_e32 v2, 11, v71
	v_mov_b64_e32 v[32:33], 0
	v_cndmask_b32_e32 v30, v30, v3, vcc
	v_cmp_ne_u32_e32 vcc, v61, v58
	s_mov_b64 s[34:35], 0
	v_mov_b64_e32 v[34:35], v[32:33]
	v_cndmask_b32_e64 v31, 0, 1, vcc
	v_cmp_gt_u32_e32 vcc, s3, v2
	v_mov_b64_e32 v[36:37], v[32:33]
	v_mov_b64_e32 v[38:39], v[32:33]
	;; [unrolled: 1-line block ×9, first 2 shown]
                                        ; implicit-def: $sgpr36_sgpr37
                                        ; implicit-def: $vgpr2
	s_and_saveexec_b64 s[28:29], vcc
	s_cbranch_execz .LBB2236_131
; %bb.108:
	ds_read2_b32 v[2:3], v70 offset0:11 offset1:12
	v_mov_b32_e32 v32, s76
	v_cmp_eq_u32_e32 vcc, v58, v59
	v_add_u32_e32 v34, 12, v71
	s_mov_b64 s[36:37], 0
	s_waitcnt lgkmcnt(0)
	v_cndmask_b32_e32 v32, v32, v2, vcc
	v_cmp_ne_u32_e32 vcc, v58, v59
                                        ; implicit-def: $sgpr38_sgpr39
                                        ; implicit-def: $vgpr2
	s_nop 1
	v_cndmask_b32_e64 v33, 0, 1, vcc
	v_cmp_gt_u32_e32 vcc, s3, v34
	v_mov_b64_e32 v[34:35], 0
	v_mov_b64_e32 v[36:37], v[34:35]
	;; [unrolled: 1-line block ×10, first 2 shown]
	s_and_saveexec_b64 s[30:31], vcc
	s_cbranch_execz .LBB2236_130
; %bb.109:
	v_mov_b32_e32 v34, s76
	v_cmp_eq_u32_e32 vcc, v59, v56
	v_add_u32_e32 v2, 13, v71
	v_mov_b64_e32 v[36:37], 0
	v_cndmask_b32_e32 v34, v34, v3, vcc
	v_cmp_ne_u32_e32 vcc, v59, v56
	s_mov_b64 s[38:39], 0
	v_mov_b64_e32 v[38:39], v[36:37]
	v_cndmask_b32_e64 v35, 0, 1, vcc
	v_cmp_gt_u32_e32 vcc, s3, v2
	v_mov_b64_e32 v[40:41], v[36:37]
	v_mov_b64_e32 v[42:43], v[36:37]
	;; [unrolled: 1-line block ×7, first 2 shown]
                                        ; implicit-def: $sgpr40_sgpr41
                                        ; implicit-def: $vgpr2
	s_and_saveexec_b64 s[34:35], vcc
	s_cbranch_execz .LBB2236_129
; %bb.110:
	ds_read2_b32 v[2:3], v70 offset0:13 offset1:14
	v_mov_b32_e32 v36, s76
	v_cmp_eq_u32_e32 vcc, v56, v57
	v_add_u32_e32 v38, 14, v71
	s_mov_b64 s[40:41], 0
	s_waitcnt lgkmcnt(0)
	v_cndmask_b32_e32 v36, v36, v2, vcc
	v_cmp_ne_u32_e32 vcc, v56, v57
                                        ; implicit-def: $sgpr42_sgpr43
                                        ; implicit-def: $vgpr2
	s_nop 1
	v_cndmask_b32_e64 v37, 0, 1, vcc
	v_cmp_gt_u32_e32 vcc, s3, v38
	v_mov_b64_e32 v[38:39], 0
	v_mov_b64_e32 v[40:41], v[38:39]
	;; [unrolled: 1-line block ×8, first 2 shown]
	s_and_saveexec_b64 s[36:37], vcc
	s_cbranch_execz .LBB2236_128
; %bb.111:
	v_mov_b32_e32 v38, s76
	v_cmp_eq_u32_e32 vcc, v57, v54
	v_add_u32_e32 v2, 15, v71
	v_mov_b64_e32 v[40:41], 0
	v_cndmask_b32_e32 v38, v38, v3, vcc
	v_cmp_ne_u32_e32 vcc, v57, v54
	s_mov_b64 s[42:43], 0
	v_mov_b64_e32 v[42:43], v[40:41]
	v_cndmask_b32_e64 v39, 0, 1, vcc
	v_cmp_gt_u32_e32 vcc, s3, v2
	v_mov_b64_e32 v[44:45], v[40:41]
	v_mov_b64_e32 v[46:47], v[40:41]
	;; [unrolled: 1-line block ×5, first 2 shown]
                                        ; implicit-def: $sgpr44_sgpr45
                                        ; implicit-def: $vgpr2
	s_and_saveexec_b64 s[38:39], vcc
	s_cbranch_execz .LBB2236_127
; %bb.112:
	ds_read2_b32 v[2:3], v70 offset0:15 offset1:16
	v_mov_b32_e32 v40, s76
	v_cmp_eq_u32_e32 vcc, v54, v55
	v_add_u32_e32 v42, 16, v71
	s_mov_b64 s[44:45], 0
	s_waitcnt lgkmcnt(0)
	v_cndmask_b32_e32 v40, v40, v2, vcc
	v_cmp_ne_u32_e32 vcc, v54, v55
                                        ; implicit-def: $sgpr46_sgpr47
                                        ; implicit-def: $vgpr2
	s_nop 1
	v_cndmask_b32_e64 v41, 0, 1, vcc
	v_cmp_gt_u32_e32 vcc, s3, v42
	v_mov_b64_e32 v[42:43], 0
	v_mov_b64_e32 v[44:45], v[42:43]
	v_mov_b64_e32 v[46:47], v[42:43]
	v_mov_b64_e32 v[48:49], v[42:43]
	v_mov_b64_e32 v[50:51], v[42:43]
	v_mov_b64_e32 v[52:53], v[42:43]
	s_and_saveexec_b64 s[40:41], vcc
	s_cbranch_execz .LBB2236_126
; %bb.113:
	v_mov_b32_e32 v42, s76
	v_cmp_eq_u32_e32 vcc, v55, v8
	v_add_u32_e32 v2, 17, v71
	v_mov_b64_e32 v[44:45], 0
	v_cndmask_b32_e32 v42, v42, v3, vcc
	v_cmp_ne_u32_e32 vcc, v55, v8
	s_mov_b64 s[46:47], 0
	v_mov_b64_e32 v[46:47], v[44:45]
	v_cndmask_b32_e64 v43, 0, 1, vcc
	v_cmp_gt_u32_e32 vcc, s3, v2
	v_mov_b64_e32 v[48:49], v[44:45]
	v_mov_b64_e32 v[50:51], v[44:45]
	v_mov_b64_e32 v[52:53], v[44:45]
                                        ; implicit-def: $sgpr48_sgpr49
                                        ; implicit-def: $vgpr2
	s_and_saveexec_b64 s[42:43], vcc
	s_cbranch_execz .LBB2236_125
; %bb.114:
	ds_read2_b32 v[2:3], v70 offset0:17 offset1:18
	v_mov_b32_e32 v44, s76
	v_cmp_eq_u32_e32 vcc, v8, v9
	v_add_u32_e32 v46, 18, v71
	s_mov_b64 s[48:49], 0
	s_waitcnt lgkmcnt(0)
	v_cndmask_b32_e32 v44, v44, v2, vcc
	v_cmp_ne_u32_e32 vcc, v8, v9
                                        ; implicit-def: $sgpr50_sgpr51
                                        ; implicit-def: $vgpr2
	s_nop 1
	v_cndmask_b32_e64 v45, 0, 1, vcc
	v_cmp_gt_u32_e32 vcc, s3, v46
	v_mov_b64_e32 v[46:47], 0
	v_mov_b64_e32 v[48:49], v[46:47]
	;; [unrolled: 1-line block ×4, first 2 shown]
	s_and_saveexec_b64 s[44:45], vcc
	s_cbranch_execz .LBB2236_124
; %bb.115:
	v_mov_b32_e32 v8, s76
	v_cmp_eq_u32_e32 vcc, v9, v6
	v_add_u32_e32 v2, 19, v71
	v_mov_b64_e32 v[48:49], 0
	v_cndmask_b32_e32 v46, v8, v3, vcc
	v_cmp_ne_u32_e32 vcc, v9, v6
	s_mov_b64 s[50:51], 0
	v_mov_b64_e32 v[50:51], v[48:49]
	v_cndmask_b32_e64 v47, 0, 1, vcc
	v_cmp_gt_u32_e32 vcc, s3, v2
	v_mov_b64_e32 v[52:53], v[48:49]
                                        ; implicit-def: $sgpr60_sgpr61
                                        ; implicit-def: $vgpr2
	s_and_saveexec_b64 s[46:47], vcc
	s_cbranch_execz .LBB2236_123
; %bb.116:
	ds_read2_b32 v[2:3], v70 offset0:19 offset1:20
	v_mov_b32_e32 v9, s76
	v_cmp_eq_u32_e32 vcc, v6, v7
	v_add_u32_e32 v8, 20, v71
	v_mov_b64_e32 v[50:51], 0
	s_waitcnt lgkmcnt(0)
	v_cndmask_b32_e32 v48, v9, v2, vcc
	v_cmp_ne_u32_e32 vcc, v6, v7
	s_mov_b64 s[60:61], 0
	v_mov_b64_e32 v[52:53], v[50:51]
	v_cndmask_b32_e64 v49, 0, 1, vcc
	v_cmp_gt_u32_e32 vcc, s3, v8
                                        ; implicit-def: $sgpr72_sgpr73
                                        ; implicit-def: $vgpr2
	s_and_saveexec_b64 s[48:49], vcc
	s_cbranch_execz .LBB2236_122
; %bb.117:
	v_mov_b32_e32 v6, s76
	v_cmp_eq_u32_e32 vcc, v7, v4
	v_add_u32_e32 v2, 21, v71
	v_mov_b64_e32 v[52:53], 0
	v_cndmask_b32_e32 v50, v6, v3, vcc
	v_cmp_ne_u32_e32 vcc, v7, v4
                                        ; implicit-def: $sgpr72_sgpr73
	s_nop 1
	v_cndmask_b32_e64 v51, 0, 1, vcc
	v_cmp_gt_u32_e32 vcc, s3, v2
                                        ; implicit-def: $vgpr2
	s_and_saveexec_b64 s[50:51], vcc
	s_cbranch_execz .LBB2236_121
; %bb.118:
	ds_read2_b32 v[2:3], v70 offset0:21 offset1:22
	v_mov_b32_e32 v7, s76
	v_cmp_eq_u32_e32 vcc, v4, v5
	v_add_u32_e32 v6, 22, v71
                                        ; implicit-def: $sgpr72_sgpr73
	s_waitcnt lgkmcnt(0)
	v_cndmask_b32_e32 v52, v7, v2, vcc
	v_cmp_ne_u32_e32 vcc, v4, v5
                                        ; implicit-def: $vgpr2
	s_nop 1
	v_cndmask_b32_e64 v53, 0, 1, vcc
	v_cmp_gt_u32_e32 vcc, s3, v6
	s_and_saveexec_b64 s[74:75], vcc
	s_xor_b64 s[74:75], exec, s[74:75]
; %bb.119:
	v_mov_b32_e32 v2, s76
	v_cmp_ne_u32_e32 vcc, v5, v1
	s_mov_b64 s[60:61], exec
	s_and_b64 s[72:73], vcc, exec
	v_cndmask_b32_e32 v2, v3, v2, vcc
; %bb.120:
	s_or_b64 exec, exec, s[74:75]
	s_and_b64 s[72:73], s[72:73], exec
	s_and_b64 s[60:61], s[60:61], exec
.LBB2236_121:
	s_or_b64 exec, exec, s[50:51]
	s_and_b64 s[72:73], s[72:73], exec
	s_and_b64 s[50:51], s[60:61], exec
.LBB2236_122:
	s_or_b64 exec, exec, s[48:49]
	s_and_b64 s[60:61], s[72:73], exec
	s_and_b64 s[48:49], s[50:51], exec
.LBB2236_123:
	s_or_b64 exec, exec, s[46:47]
	s_and_b64 s[50:51], s[60:61], exec
	s_and_b64 s[46:47], s[48:49], exec
.LBB2236_124:
	s_or_b64 exec, exec, s[44:45]
	s_and_b64 s[48:49], s[50:51], exec
	s_and_b64 s[44:45], s[46:47], exec
.LBB2236_125:
	s_or_b64 exec, exec, s[42:43]
	s_and_b64 s[46:47], s[48:49], exec
	s_and_b64 s[42:43], s[44:45], exec
.LBB2236_126:
	s_or_b64 exec, exec, s[40:41]
	s_and_b64 s[44:45], s[46:47], exec
	s_and_b64 s[40:41], s[42:43], exec
.LBB2236_127:
	s_or_b64 exec, exec, s[38:39]
	s_and_b64 s[42:43], s[44:45], exec
	s_and_b64 s[38:39], s[40:41], exec
.LBB2236_128:
	s_or_b64 exec, exec, s[36:37]
	s_and_b64 s[40:41], s[42:43], exec
	s_and_b64 s[36:37], s[38:39], exec
.LBB2236_129:
	s_or_b64 exec, exec, s[34:35]
	s_and_b64 s[38:39], s[40:41], exec
	s_and_b64 s[34:35], s[36:37], exec
.LBB2236_130:
	s_or_b64 exec, exec, s[30:31]
	s_and_b64 s[36:37], s[38:39], exec
	s_and_b64 s[30:31], s[34:35], exec
.LBB2236_131:
	s_or_b64 exec, exec, s[28:29]
	s_and_b64 s[34:35], s[36:37], exec
	s_and_b64 s[28:29], s[30:31], exec
.LBB2236_132:
	s_or_b64 exec, exec, s[26:27]
	s_and_b64 s[30:31], s[34:35], exec
	s_and_b64 s[26:27], s[28:29], exec
.LBB2236_133:
	s_or_b64 exec, exec, s[24:25]
	s_and_b64 s[28:29], s[30:31], exec
	s_and_b64 s[24:25], s[26:27], exec
.LBB2236_134:
	s_or_b64 exec, exec, s[22:23]
	s_and_b64 s[26:27], s[28:29], exec
	s_and_b64 s[22:23], s[24:25], exec
.LBB2236_135:
	s_or_b64 exec, exec, s[20:21]
	s_and_b64 s[24:25], s[26:27], exec
	s_and_b64 s[20:21], s[22:23], exec
.LBB2236_136:
	s_or_b64 exec, exec, s[18:19]
	s_and_b64 s[22:23], s[24:25], exec
	s_and_b64 s[18:19], s[20:21], exec
.LBB2236_137:
	s_or_b64 exec, exec, s[16:17]
	s_and_b64 s[20:21], s[22:23], exec
	s_and_b64 s[16:17], s[18:19], exec
.LBB2236_138:
	s_or_b64 exec, exec, s[14:15]
	s_and_b64 s[18:19], s[20:21], exec
	s_and_b64 s[14:15], s[16:17], exec
.LBB2236_139:
	s_or_b64 exec, exec, s[12:13]
	s_and_b64 s[16:17], s[18:19], exec
	s_and_b64 s[12:13], s[14:15], exec
.LBB2236_140:
	s_or_b64 exec, exec, s[10:11]
	s_and_b64 s[14:15], s[16:17], exec
	s_and_b64 s[10:11], s[12:13], exec
.LBB2236_141:
	s_or_b64 exec, exec, s[8:9]
	s_and_b64 s[8:9], s[14:15], exec
	s_and_b64 s[10:11], s[10:11], exec
.LBB2236_142:
	s_or_b64 exec, exec, s[6:7]
	s_mov_b64 s[6:7], 0
	s_and_b64 vcc, exec, s[4:5]
	v_lshlrev_b32_e32 v54, 2, v0
	s_cbranch_vccz .LBB2236_148
.LBB2236_143:
	v_mov_b32_e32 v55, 0
	v_lshl_add_u64 v[2:3], s[70:71], 0, v[54:55]
	v_add_co_u32_e32 v4, vcc, 0x1000, v2
	s_movk_i32 s6, 0x58
	s_nop 0
	v_addc_co_u32_e32 v5, vcc, 0, v3, vcc
	flat_load_dword v1, v[2:3]
	flat_load_dword v8, v[2:3] offset:1024
	flat_load_dword v9, v[2:3] offset:2048
	;; [unrolled: 1-line block ×3, first 2 shown]
	flat_load_dword v11, v[4:5]
	flat_load_dword v12, v[4:5] offset:1024
	flat_load_dword v13, v[4:5] offset:2048
	;; [unrolled: 1-line block ×3, first 2 shown]
	v_add_co_u32_e32 v4, vcc, 0x2000, v2
	s_movk_i32 s10, 0x1000
	s_nop 0
	v_addc_co_u32_e32 v5, vcc, 0, v3, vcc
	v_add_co_u32_e32 v6, vcc, 0x3000, v2
	s_mov_b32 s4, 0
	s_nop 0
	v_addc_co_u32_e32 v7, vcc, 0, v3, vcc
	flat_load_dword v15, v[4:5]
	flat_load_dword v16, v[4:5] offset:1024
	flat_load_dword v17, v[4:5] offset:2048
	flat_load_dword v18, v[4:5] offset:3072
	flat_load_dword v19, v[6:7]
	flat_load_dword v20, v[6:7] offset:1024
	flat_load_dword v21, v[6:7] offset:2048
	;; [unrolled: 1-line block ×3, first 2 shown]
	v_add_co_u32_e32 v4, vcc, 0x4000, v2
	s_movk_i32 s9, 0x2000
	s_nop 0
	v_addc_co_u32_e32 v5, vcc, 0, v3, vcc
	v_add_co_u32_e32 v2, vcc, 0x5000, v2
	s_movk_i32 s8, 0x3000
	s_nop 0
	v_addc_co_u32_e32 v3, vcc, 0, v3, vcc
	flat_load_dword v6, v[4:5]
	flat_load_dword v7, v[4:5] offset:1024
	flat_load_dword v23, v[4:5] offset:2048
	;; [unrolled: 1-line block ×3, first 2 shown]
	flat_load_dword v25, v[2:3]
	flat_load_dword v26, v[2:3] offset:1024
	flat_load_dword v27, v[2:3] offset:2048
	v_mov_b32_e32 v2, s70
	v_mov_b32_e32 v3, s71
	v_add_co_u32_e32 v2, vcc, 0x5000, v2
	s_movk_i32 s5, 0x4000
	s_nop 0
	v_addc_co_u32_e32 v3, vcc, 0, v3, vcc
	s_movk_i32 s3, 0x5000
	s_waitcnt vmcnt(0) lgkmcnt(0)
	ds_write2st64_b32 v54, v1, v8 offset1:4
	ds_write2st64_b32 v54, v9, v10 offset0:8 offset1:12
	ds_write2st64_b32 v54, v11, v12 offset0:16 offset1:20
	;; [unrolled: 1-line block ×10, first 2 shown]
	ds_write_b32 v54, v27 offset:22528
	s_waitcnt lgkmcnt(0)
	s_barrier
	flat_load_dword v1, v[2:3] offset:3072
	v_mad_u32_u24 v12, v0, s6, v54
	s_movk_i32 s6, 0xffa8
	v_mad_i32_i24 v11, v0, s6, v12
	s_movk_i32 s6, 0xff
	v_cmp_ne_u32_e32 vcc, s6, v0
	ds_read_b32 v10, v12
	ds_read2_b32 v[14:15], v12 offset0:1 offset1:2
	ds_read2_b32 v[18:19], v12 offset0:3 offset1:4
	;; [unrolled: 1-line block ×11, first 2 shown]
	s_waitcnt lgkmcnt(0)
	ds_write_b32 v11, v10 offset:24576
	s_waitcnt lgkmcnt(0)
	s_barrier
	s_and_saveexec_b64 s[6:7], vcc
	s_cbranch_execz .LBB2236_145
; %bb.144:
	s_waitcnt vmcnt(0)
	ds_read_b32 v1, v54 offset:24580
.LBB2236_145:
	s_or_b64 exec, exec, s[6:7]
	v_lshl_add_u64 v[16:17], s[52:53], 0, v[54:55]
	v_add_co_u32_e32 v20, vcc, s10, v16
	s_waitcnt lgkmcnt(0)
	s_nop 0
	v_addc_co_u32_e32 v21, vcc, 0, v17, vcc
	s_barrier
	flat_load_dword v11, v[16:17]
	flat_load_dword v13, v[16:17] offset:1024
	flat_load_dword v28, v[16:17] offset:2048
	;; [unrolled: 1-line block ×3, first 2 shown]
	flat_load_dword v32, v[20:21]
	flat_load_dword v33, v[20:21] offset:1024
	flat_load_dword v36, v[20:21] offset:2048
	;; [unrolled: 1-line block ×3, first 2 shown]
	v_add_co_u32_e32 v20, vcc, s9, v16
	s_nop 1
	v_addc_co_u32_e32 v21, vcc, 0, v17, vcc
	v_add_co_u32_e32 v24, vcc, s8, v16
	s_nop 1
	v_addc_co_u32_e32 v25, vcc, 0, v17, vcc
	flat_load_dword v40, v[20:21]
	flat_load_dword v41, v[20:21] offset:1024
	flat_load_dword v42, v[20:21] offset:2048
	;; [unrolled: 1-line block ×3, first 2 shown]
	flat_load_dword v44, v[24:25]
	flat_load_dword v45, v[24:25] offset:1024
	flat_load_dword v46, v[24:25] offset:2048
	;; [unrolled: 1-line block ×3, first 2 shown]
	v_add_co_u32_e32 v20, vcc, s5, v16
	s_mov_b32 s5, 1
	s_nop 0
	v_addc_co_u32_e32 v21, vcc, 0, v17, vcc
	v_add_co_u32_e32 v16, vcc, s3, v16
	s_nop 1
	v_addc_co_u32_e32 v17, vcc, 0, v17, vcc
	flat_load_dword v24, v[20:21]
	flat_load_dword v25, v[20:21] offset:1024
	flat_load_dword v48, v[20:21] offset:2048
	;; [unrolled: 1-line block ×3, first 2 shown]
	flat_load_dword v50, v[16:17]
	flat_load_dword v51, v[16:17] offset:1024
	flat_load_dword v52, v[16:17] offset:2048
	v_cmp_eq_u32_e32 vcc, v10, v14
	s_waitcnt vmcnt(0) lgkmcnt(0)
	ds_write2st64_b32 v54, v11, v13 offset1:4
	ds_write2st64_b32 v54, v28, v29 offset0:8 offset1:12
	ds_write2st64_b32 v54, v32, v33 offset0:16 offset1:20
	;; [unrolled: 1-line block ×10, first 2 shown]
	ds_write_b32 v54, v52 offset:22528
	s_waitcnt lgkmcnt(0)
	s_barrier
	ds_read2_b32 v[16:17], v12 offset0:1 offset1:2
	ds_read2_b32 v[20:21], v12 offset0:3 offset1:4
	;; [unrolled: 1-line block ×11, first 2 shown]
	v_mov_b64_e32 v[10:11], s[4:5]
	v_mov_b32_e32 v13, s76
	s_and_saveexec_b64 s[4:5], vcc
	s_cbranch_execz .LBB2236_147
; %bb.146:
	ds_read_b32 v13, v12
	v_mov_b64_e32 v[10:11], 0
.LBB2236_147:
	s_or_b64 exec, exec, s[4:5]
	v_mov_b32_e32 v55, s76
	v_cmp_eq_u32_e32 vcc, v14, v15
	s_waitcnt lgkmcnt(0)
	v_or_b32_e32 v10, v10, v13
	v_cmp_ne_u32_e64 s[8:9], v3, v1
	v_cndmask_b32_e32 v12, v55, v16, vcc
	v_cmp_ne_u32_e32 vcc, v14, v15
	s_mov_b64 s[10:11], -1
                                        ; implicit-def: $sgpr6_sgpr7
	s_nop 0
	v_cndmask_b32_e64 v13, 0, 1, vcc
	v_cmp_eq_u32_e32 vcc, v15, v18
	s_nop 1
	v_cndmask_b32_e32 v14, v55, v17, vcc
	v_cmp_ne_u32_e32 vcc, v15, v18
	s_nop 1
	v_cndmask_b32_e64 v15, 0, 1, vcc
	v_cmp_eq_u32_e32 vcc, v18, v19
	s_nop 1
	v_cndmask_b32_e32 v16, v55, v20, vcc
	v_cmp_ne_u32_e32 vcc, v18, v19
	;; [unrolled: 6-line block ×20, first 2 shown]
	v_cndmask_b32_e64 v2, v57, v55, s[8:9]
	s_nop 0
	v_cndmask_b32_e64 v53, 0, 1, vcc
.LBB2236_148:
	v_mov_b64_e32 v[56:57], s[6:7]
	s_and_saveexec_b64 s[4:5], s[10:11]
; %bb.149:
	v_cndmask_b32_e64 v3, 0, 1, s[8:9]
	v_mov_b64_e32 v[56:57], v[2:3]
; %bb.150:
	s_or_b64 exec, exec, s[4:5]
	s_mov_b32 s46, 0
	s_cmp_lg_u32 s2, 0
	v_or_b32_e32 v55, v57, v53
	v_lshrrev_b32_e32 v1, 5, v0
	v_cmp_gt_u32_e32 vcc, 64, v0
	s_barrier
	s_cbranch_scc0 .LBB2236_185
; %bb.151:
	s_mov_b32 s47, 1
	v_cmp_gt_u64_e64 s[50:51], s[46:47], v[12:13]
	v_cmp_gt_u64_e64 s[4:5], s[46:47], v[14:15]
	v_cmp_gt_u64_e64 s[6:7], s[46:47], v[16:17]
	v_cndmask_b32_e64 v2, 0, v10, s[50:51]
	v_add_u32_e32 v2, v2, v12
	v_cndmask_b32_e64 v2, 0, v2, s[4:5]
	v_add_u32_e32 v2, v2, v14
	v_cndmask_b32_e64 v2, 0, v2, s[6:7]
	v_add_u32_e32 v2, v2, v16
	v_cmp_gt_u64_e64 s[8:9], s[46:47], v[18:19]
	v_cmp_gt_u64_e64 s[10:11], s[46:47], v[20:21]
	v_cmp_gt_u64_e64 s[12:13], s[46:47], v[22:23]
	v_cndmask_b32_e64 v2, 0, v2, s[8:9]
	v_add_u32_e32 v2, v2, v18
	v_cndmask_b32_e64 v2, 0, v2, s[10:11]
	v_add_u32_e32 v2, v2, v20
	v_cndmask_b32_e64 v2, 0, v2, s[12:13]
	v_add_u32_e32 v2, v2, v22
	;; [unrolled: 9-line block ×7, first 2 shown]
	v_cmp_gt_u64_e64 s[46:47], s[46:47], v[56:57]
	s_nop 1
	v_cndmask_b32_e64 v2, 0, v2, s[46:47]
	v_add_u32_e32 v62, v2, v56
	v_or3_b32 v2, v55, v51, v49
	v_or3_b32 v2, v2, v47, v45
	;; [unrolled: 1-line block ×10, first 2 shown]
	v_and_b32_e32 v2, 1, v2
	v_cmp_eq_u32_e64 s[46:47], 1, v2
	v_add_lshl_u32 v2, v1, v0, 3
	s_nop 0
	v_cndmask_b32_e64 v63, v11, 1, s[46:47]
	ds_write_b32 v2, v62
	ds_write_b8 v2, v63 offset:4
	s_waitcnt lgkmcnt(0)
	s_barrier
	s_and_saveexec_b64 s[48:49], vcc
	s_cbranch_execz .LBB2236_163
; %bb.152:
	v_lshrrev_b32_e32 v2, 3, v0
	v_add_lshl_u32 v4, v2, v54, 3
	ds_read2_b32 v[6:7], v4 offset0:2 offset1:4
	ds_read_b64 v[2:3], v4
	ds_read_u8 v8, v4 offset:12
	ds_read_u8 v9, v4 offset:20
	ds_read_b32 v58, v4 offset:24
	ds_read_u8 v59, v4 offset:28
	v_mov_b32_e32 v60, 0
	s_waitcnt lgkmcnt(3)
	v_cmp_eq_u16_sdwa s[46:47], v8, v60 src0_sel:BYTE_0 src1_sel:DWORD
	v_and_b32_e32 v5, 1, v3
	s_nop 0
	v_cndmask_b32_e64 v61, 0, v2, s[46:47]
	v_add_u32_e32 v6, v61, v6
	s_waitcnt lgkmcnt(2)
	v_cmp_eq_u16_sdwa s[46:47], v9, v60 src0_sel:BYTE_0 src1_sel:DWORD
	s_nop 1
	v_cndmask_b32_e64 v6, 0, v6, s[46:47]
	v_add_u32_e32 v6, v6, v7
	s_waitcnt lgkmcnt(0)
	v_cmp_eq_u16_e64 s[46:47], 0, v59
	s_nop 1
	v_cndmask_b32_e64 v6, 0, v6, s[46:47]
	v_add_u32_e32 v7, v6, v58
	v_or_b32_e32 v6, v59, v9
	v_or_b32_e32 v6, v6, v8
	v_and_b32_e32 v6, 1, v6
	v_cmp_eq_u32_e64 s[46:47], 1, v6
	v_mbcnt_lo_u32_b32 v8, -1, 0
	v_and_b32_e32 v6, 0xffffff00, v3
	v_cndmask_b32_e64 v9, v5, 1, s[46:47]
	v_mbcnt_hi_u32_b32 v8, -1, v8
	v_and_b32_e32 v59, 15, v8
	v_or_b32_sdwa v58, v6, v9 dst_sel:DWORD dst_unused:UNUSED_PAD src0_sel:DWORD src1_sel:WORD_0
	v_mov_b32_dpp v60, v7 row_shr:1 row_mask:0xf bank_mask:0xf
	v_cmp_ne_u32_e64 s[46:47], 0, v59
	v_mov_b32_dpp v61, v58 row_shr:1 row_mask:0xf bank_mask:0xf
	s_and_saveexec_b64 s[52:53], s[46:47]
; %bb.153:
	v_and_b32_e32 v58, 1, v9
	v_and_b32_e32 v61, 1, v61
	v_cmp_eq_u32_e64 s[46:47], 1, v58
	s_nop 1
	v_cndmask_b32_e64 v61, v61, 1, s[46:47]
	v_cmp_eq_u16_e64 s[46:47], 0, v9
	v_or_b32_sdwa v58, v6, v61 dst_sel:DWORD dst_unused:UNUSED_PAD src0_sel:DWORD src1_sel:WORD_0
	s_nop 0
	v_cndmask_b32_e64 v9, 0, v60, s[46:47]
	v_add_u32_e32 v7, v9, v7
	v_mov_b32_e32 v9, v61
; %bb.154:
	s_or_b64 exec, exec, s[52:53]
	v_mov_b32_dpp v60, v7 row_shr:2 row_mask:0xf bank_mask:0xf
	v_mov_b32_dpp v61, v58 row_shr:2 row_mask:0xf bank_mask:0xf
	v_cmp_lt_u32_e64 s[46:47], 1, v59
	s_and_saveexec_b64 s[52:53], s[46:47]
; %bb.155:
	v_and_b32_e32 v58, 1, v9
	v_and_b32_e32 v61, 1, v61
	v_cmp_eq_u32_e64 s[46:47], 1, v58
	s_nop 1
	v_cndmask_b32_e64 v61, v61, 1, s[46:47]
	v_cmp_eq_u16_e64 s[46:47], 0, v9
	v_or_b32_sdwa v58, v6, v61 dst_sel:DWORD dst_unused:UNUSED_PAD src0_sel:DWORD src1_sel:WORD_0
	s_nop 0
	v_cndmask_b32_e64 v9, 0, v60, s[46:47]
	v_add_u32_e32 v7, v9, v7
	v_mov_b32_e32 v9, v61
; %bb.156:
	s_or_b64 exec, exec, s[52:53]
	v_mov_b32_dpp v60, v7 row_shr:4 row_mask:0xf bank_mask:0xf
	v_mov_b32_dpp v61, v58 row_shr:4 row_mask:0xf bank_mask:0xf
	v_cmp_lt_u32_e64 s[46:47], 3, v59
	;; [unrolled: 18-line block ×3, first 2 shown]
	s_and_saveexec_b64 s[52:53], s[46:47]
; %bb.159:
	v_and_b32_e32 v58, 1, v9
	v_and_b32_e32 v59, 1, v61
	v_cmp_eq_u32_e64 s[46:47], 1, v58
	s_nop 1
	v_cndmask_b32_e64 v59, v59, 1, s[46:47]
	v_cmp_eq_u16_e64 s[46:47], 0, v9
	v_or_b32_sdwa v58, v6, v59 dst_sel:DWORD dst_unused:UNUSED_PAD src0_sel:DWORD src1_sel:WORD_0
	s_nop 0
	v_cndmask_b32_e64 v9, 0, v60, s[46:47]
	v_add_u32_e32 v7, v9, v7
	v_mov_b32_e32 v9, v59
; %bb.160:
	s_or_b64 exec, exec, s[52:53]
	v_and_b32_e32 v61, 16, v8
	v_mov_b32_dpp v59, v7 row_bcast:15 row_mask:0xf bank_mask:0xf
	v_mov_b32_dpp v60, v58 row_bcast:15 row_mask:0xf bank_mask:0xf
	v_cmp_ne_u32_e64 s[46:47], 0, v61
	s_and_saveexec_b64 s[52:53], s[46:47]
; %bb.161:
	v_and_b32_e32 v58, 1, v9
	v_and_b32_e32 v60, 1, v60
	v_cmp_eq_u32_e64 s[46:47], 1, v58
	s_nop 1
	v_cndmask_b32_e64 v60, v60, 1, s[46:47]
	v_cmp_eq_u16_e64 s[46:47], 0, v9
	v_or_b32_sdwa v58, v6, v60 dst_sel:DWORD dst_unused:UNUSED_PAD src0_sel:DWORD src1_sel:WORD_0
	s_nop 0
	v_cndmask_b32_e64 v9, 0, v59, s[46:47]
	v_add_u32_e32 v7, v9, v7
	v_mov_b32_e32 v9, v60
; %bb.162:
	s_or_b64 exec, exec, s[52:53]
	v_mov_b32_dpp v58, v58 row_bcast:31 row_mask:0xf bank_mask:0xf
	v_and_b32_e32 v60, 1, v9
	v_and_b32_e32 v58, 1, v58
	v_cmp_eq_u32_e64 s[46:47], 1, v60
	v_mov_b32_e32 v60, 0
	v_cmp_eq_u16_sdwa s[52:53], v9, v60 src0_sel:BYTE_0 src1_sel:DWORD
	v_cndmask_b32_e64 v58, v58, 1, s[46:47]
	v_cmp_lt_u32_e64 s[46:47], 31, v8
	v_mov_b32_dpp v59, v7 row_bcast:31 row_mask:0xf bank_mask:0xf
	s_movk_i32 s3, 0xff
	v_cndmask_b32_e64 v9, v9, v58, s[46:47]
	s_and_b64 s[46:47], s[46:47], s[52:53]
	v_cndmask_b32_e64 v58, 0, v59, s[46:47]
	v_add_u32_e32 v7, v58, v7
	v_add_u32_e32 v58, -1, v8
	v_and_b32_e32 v59, 64, v8
	v_cmp_lt_i32_e64 s[46:47], v58, v59
	v_and_or_b32 v6, v9, s3, v6
	s_nop 0
	v_cndmask_b32_e64 v8, v58, v8, s[46:47]
	v_lshlrev_b32_e32 v8, 2, v8
	ds_bpermute_b32 v7, v8, v7
	ds_bpermute_b32 v6, v8, v6
	v_cmp_eq_u16_sdwa s[46:47], v3, v60 src0_sel:BYTE_0 src1_sel:DWORD
	; wave barrier
	s_waitcnt lgkmcnt(1)
	s_nop 0
	v_cndmask_b32_e64 v3, 0, v7, s[46:47]
	v_add_u32_e32 v2, v3, v2
	s_waitcnt lgkmcnt(0)
	v_and_b32_e32 v3, 1, v6
	v_cmp_eq_u32_e64 s[46:47], 1, v5
	s_nop 1
	v_cndmask_b32_e64 v3, v3, 1, s[46:47]
	v_cmp_eq_u32_e64 s[46:47], 0, v0
	s_nop 1
	v_cndmask_b32_e64 v5, v2, v62, s[46:47]
	v_cndmask_b32_e64 v6, v3, v63, s[46:47]
	ds_write_b32 v4, v5
	ds_write_b8 v4, v6 offset:4
	; wave barrier
	ds_read_u8 v7, v4 offset:12
	ds_read2_b32 v[2:3], v4 offset0:2 offset1:4
	ds_read_u8 v8, v4 offset:20
	ds_read_b32 v9, v4 offset:24
	ds_read_u8 v58, v4 offset:28
	s_waitcnt lgkmcnt(4)
	v_cmp_eq_u16_e64 s[46:47], 0, v7
	s_nop 1
	v_cndmask_b32_e64 v5, 0, v5, s[46:47]
	s_waitcnt lgkmcnt(3)
	v_add_u32_e32 v2, v5, v2
	v_and_b32_e32 v5, 1, v7
	v_cmp_eq_u32_e64 s[46:47], 1, v5
	s_nop 1
	v_cndmask_b32_e64 v5, v6, 1, s[46:47]
	s_waitcnt lgkmcnt(2)
	v_cmp_eq_u16_e64 s[46:47], 0, v8
	ds_write_b8 v4, v5 offset:12
	s_nop 0
	v_cndmask_b32_e64 v6, 0, v2, s[46:47]
	v_add_u32_e32 v3, v6, v3
	v_and_b32_e32 v6, 1, v8
	v_cmp_eq_u32_e64 s[46:47], 1, v6
	s_nop 1
	v_cndmask_b32_e64 v5, v5, 1, s[46:47]
	s_waitcnt lgkmcnt(1)
	v_cmp_eq_u16_e64 s[46:47], 0, v58
	ds_write2_b32 v4, v2, v3 offset0:2 offset1:4
	ds_write_b8 v4, v5 offset:20
	v_cndmask_b32_e64 v2, 0, v3, s[46:47]
	v_and_b32_e32 v3, 1, v58
	v_add_u32_e32 v2, v2, v9
	v_cmp_eq_u32_e64 s[46:47], 1, v3
	s_nop 1
	v_cndmask_b32_e64 v3, v5, 1, s[46:47]
	ds_write_b32 v4, v2 offset:24
	ds_write_b8 v4, v3 offset:28
.LBB2236_163:
	s_or_b64 exec, exec, s[48:49]
	v_cmp_eq_u32_e64 s[46:47], 0, v0
	v_cmp_ne_u32_e64 s[48:49], 0, v0
	s_waitcnt lgkmcnt(0)
	s_barrier
	s_and_saveexec_b64 s[52:53], s[48:49]
	s_cbranch_execz .LBB2236_165
; %bb.164:
	v_add_u32_e32 v2, -1, v0
	v_lshrrev_b32_e32 v3, 5, v2
	v_add_lshl_u32 v2, v3, v2, 3
	ds_read_b32 v62, v2
	ds_read_u8 v63, v2 offset:4
.LBB2236_165:
	s_or_b64 exec, exec, s[52:53]
	s_and_saveexec_b64 s[60:61], vcc
	s_cbranch_execz .LBB2236_184
; %bb.166:
	v_mov_b32_e32 v5, 0
	ds_read_b64 v[2:3], v5 offset:2096
	v_mbcnt_lo_u32_b32 v4, -1, 0
	v_mbcnt_hi_u32_b32 v73, -1, v4
	s_mov_b32 s71, 0
	v_cmp_eq_u32_e64 s[48:49], 0, v73
	s_waitcnt lgkmcnt(0)
	v_readfirstlane_b32 s3, v3
	s_and_saveexec_b64 s[52:53], s[48:49]
	s_cbranch_execz .LBB2236_168
; %bb.167:
	s_add_i32 s70, s2, 64
	s_lshl_b64 s[72:73], s[70:71], 4
	s_add_u32 s72, s56, s72
	s_addc_u32 s73, s57, s73
	s_and_b32 s75, s3, 0xff000000
	s_mov_b32 s74, s71
	s_and_b32 s79, s3, 0xff0000
	s_mov_b32 s78, s71
	s_or_b64 s[74:75], s[78:79], s[74:75]
	s_and_b32 s79, s3, 0xff00
	s_or_b64 s[74:75], s[74:75], s[78:79]
	s_and_b32 s79, s3, 0xff
	s_or_b64 s[70:71], s[74:75], s[78:79]
	v_mov_b32_e32 v3, s71
	v_mov_b32_e32 v4, 1
	v_mov_b64_e32 v[6:7], s[72:73]
	;;#ASMSTART
	global_store_dwordx4 v[6:7], v[2:5] off sc1	
s_waitcnt vmcnt(0)
	;;#ASMEND
.LBB2236_168:
	s_or_b64 exec, exec, s[52:53]
	v_xad_u32 v58, v73, -1, s2
	v_add_u32_e32 v4, 64, v58
	v_lshl_add_u64 v[60:61], v[4:5], 4, s[56:57]
	;;#ASMSTART
	global_load_dwordx4 v[6:9], v[60:61] off sc1	
s_waitcnt vmcnt(0)
	;;#ASMEND
	s_nop 0
	v_and_b32_e32 v3, 0xff0000, v6
	v_and_b32_e32 v4, 0xff000000, v6
	;; [unrolled: 1-line block ×3, first 2 shown]
	v_or_b32_sdwa v3, v6, v3 dst_sel:DWORD dst_unused:UNUSED_PAD src0_sel:WORD_0 src1_sel:DWORD
	v_or3_b32 v7, 0, 0, v7
	v_or3_b32 v6, v3, v4, 0
	v_cmp_eq_u16_sdwa s[70:71], v8, v5 src0_sel:BYTE_0 src1_sel:DWORD
	s_and_saveexec_b64 s[52:53], s[70:71]
	s_cbranch_execz .LBB2236_172
; %bb.169:
	s_mov_b64 s[70:71], 0
	v_mov_b32_e32 v3, 0
.LBB2236_170:                           ; =>This Inner Loop Header: Depth=1
	;;#ASMSTART
	global_load_dwordx4 v[6:9], v[60:61] off sc1	
s_waitcnt vmcnt(0)
	;;#ASMEND
	s_nop 0
	v_cmp_ne_u16_sdwa s[72:73], v8, v3 src0_sel:BYTE_0 src1_sel:DWORD
	s_or_b64 s[70:71], s[72:73], s[70:71]
	s_andn2_b64 exec, exec, s[70:71]
	s_cbranch_execnz .LBB2236_170
; %bb.171:
	s_or_b64 exec, exec, s[70:71]
	v_and_b32_e32 v7, 0xff, v7
.LBB2236_172:
	s_or_b64 exec, exec, s[52:53]
	v_mov_b32_e32 v3, 2
	v_cmp_eq_u16_sdwa s[52:53], v8, v3 src0_sel:BYTE_0 src1_sel:DWORD
	v_lshlrev_b64 v[4:5], v73, -1
	v_and_b32_e32 v64, 63, v73
	v_and_b32_e32 v9, s53, v5
	v_or_b32_e32 v9, 0x80000000, v9
	v_and_b32_e32 v59, s52, v4
	v_ffbl_b32_e32 v9, v9
	v_add_u32_e32 v9, 32, v9
	v_ffbl_b32_e32 v59, v59
	v_cmp_ne_u32_e32 vcc, 63, v64
	v_min_u32_e32 v9, v59, v9
	s_mov_b32 s70, 0
	v_addc_co_u32_e32 v59, vcc, 0, v73, vcc
	v_lshlrev_b32_e32 v65, 2, v59
	ds_bpermute_b32 v59, v65, v7
	ds_bpermute_b32 v60, v65, v6
	v_and_b32_e32 v61, 1, v7
	s_mov_b32 s71, 1
	v_cmp_eq_u32_e32 vcc, 1, v61
	s_waitcnt lgkmcnt(1)
	v_and_b32_e32 v59, 1, v59
	v_cmp_lt_u32_e64 s[52:53], v64, v9
	v_cndmask_b32_e64 v59, v59, 1, vcc
	v_cmp_gt_u64_e32 vcc, s[70:71], v[6:7]
	s_and_b64 vcc, s[52:53], vcc
	v_and_b32_e32 v61, 0xffff, v59
	v_cndmask_b32_e64 v68, v7, v59, s[52:53]
	s_waitcnt lgkmcnt(0)
	v_cndmask_b32_e32 v59, 0, v60, vcc
	v_cmp_gt_u32_e32 vcc, 62, v64
	v_cndmask_b32_e64 v7, v7, v61, s[52:53]
	v_add_u32_e32 v6, v59, v6
	v_cndmask_b32_e64 v60, 0, 1, vcc
	v_lshlrev_b32_e32 v60, 1, v60
	v_add_lshl_u32 v66, v60, v73, 2
	ds_bpermute_b32 v60, v66, v7
	ds_bpermute_b32 v61, v66, v6
	v_and_b32_e32 v59, 1, v68
	v_cmp_eq_u32_e32 vcc, 1, v59
	v_mov_b32_e32 v59, 0
	s_waitcnt lgkmcnt(1)
	v_and_b32_e32 v60, 1, v60
	v_add_u32_e32 v67, 2, v64
	v_cndmask_b32_e64 v60, v60, 1, vcc
	v_cmp_eq_u16_sdwa vcc, v68, v59 src0_sel:BYTE_0 src1_sel:DWORD
	v_and_b32_e32 v69, 0xffff, v60
	v_add_u32_e32 v77, 32, v64
	s_waitcnt lgkmcnt(0)
	v_cndmask_b32_e32 v61, 0, v61, vcc
	v_cmp_gt_u32_e32 vcc, v67, v9
	s_nop 1
	v_cndmask_b32_e32 v60, v60, v68, vcc
	v_cndmask_b32_e64 v61, v61, 0, vcc
	v_cndmask_b32_e32 v7, v69, v7, vcc
	v_cmp_gt_u32_e32 vcc, 60, v64
	v_add_u32_e32 v6, v61, v6
	v_and_b32_e32 v71, 1, v60
	v_cndmask_b32_e64 v68, 0, 1, vcc
	v_lshlrev_b32_e32 v68, 2, v68
	v_add_lshl_u32 v68, v68, v73, 2
	ds_bpermute_b32 v70, v68, v7
	ds_bpermute_b32 v61, v68, v6
	v_cmp_eq_u32_e32 vcc, 1, v71
	v_add_u32_e32 v69, 4, v64
	s_waitcnt lgkmcnt(1)
	v_and_b32_e32 v70, 1, v70
	v_cndmask_b32_e64 v70, v70, 1, vcc
	v_cmp_eq_u16_sdwa vcc, v60, v59 src0_sel:BYTE_0 src1_sel:DWORD
	v_and_b32_e32 v71, 0xffff, v70
	s_waitcnt lgkmcnt(0)
	v_cndmask_b32_e32 v61, 0, v61, vcc
	v_cmp_gt_u32_e32 vcc, v69, v9
	s_nop 1
	v_cndmask_b32_e32 v60, v70, v60, vcc
	v_cndmask_b32_e64 v61, v61, 0, vcc
	v_cndmask_b32_e32 v7, v71, v7, vcc
	v_cmp_gt_u32_e32 vcc, 56, v64
	v_add_u32_e32 v6, v61, v6
	v_and_b32_e32 v74, 1, v60
	v_cndmask_b32_e64 v70, 0, 1, vcc
	v_lshlrev_b32_e32 v70, 3, v70
	v_add_lshl_u32 v70, v70, v73, 2
	ds_bpermute_b32 v72, v70, v7
	ds_bpermute_b32 v61, v70, v6
	v_cmp_eq_u32_e32 vcc, 1, v74
	v_add_u32_e32 v71, 8, v64
	s_waitcnt lgkmcnt(1)
	v_and_b32_e32 v72, 1, v72
	v_cndmask_b32_e64 v72, v72, 1, vcc
	v_cmp_eq_u16_sdwa vcc, v60, v59 src0_sel:BYTE_0 src1_sel:DWORD
	v_and_b32_e32 v74, 0xffff, v72
	;; [unrolled: 22-line block ×3, first 2 shown]
	s_waitcnt lgkmcnt(0)
	v_cndmask_b32_e32 v61, 0, v61, vcc
	v_cmp_gt_u32_e32 vcc, v74, v9
	s_nop 1
	v_cndmask_b32_e32 v60, v75, v60, vcc
	v_cndmask_b32_e64 v61, v61, 0, vcc
	v_cndmask_b32_e32 v7, v76, v7, vcc
	v_cmp_gt_u32_e32 vcc, 32, v64
	v_add_u32_e32 v6, v61, v6
	s_nop 0
	v_cndmask_b32_e64 v75, 0, 1, vcc
	v_lshlrev_b32_e32 v75, 5, v75
	v_add_lshl_u32 v76, v75, v73, 2
	ds_bpermute_b32 v7, v76, v7
	ds_bpermute_b32 v61, v76, v6
	v_and_b32_e32 v73, 1, v60
	v_cmp_eq_u32_e32 vcc, 1, v73
	s_waitcnt lgkmcnt(1)
	v_and_b32_e32 v7, 1, v7
	v_cndmask_b32_e64 v7, v7, 1, vcc
	v_cmp_eq_u16_sdwa vcc, v60, v59 src0_sel:BYTE_0 src1_sel:DWORD
	s_waitcnt lgkmcnt(0)
	s_nop 0
	v_cndmask_b32_e32 v61, 0, v61, vcc
	v_cmp_gt_u32_e32 vcc, v77, v9
	s_nop 1
	v_cndmask_b32_e64 v9, v61, 0, vcc
	v_cndmask_b32_e32 v7, v7, v60, vcc
	v_add_u32_e32 v6, v9, v6
	s_branch .LBB2236_174
.LBB2236_173:                           ;   in Loop: Header=BB2236_174 Depth=1
	s_or_b64 exec, exec, s[52:53]
	v_cmp_eq_u16_sdwa s[52:53], v8, v3 src0_sel:BYTE_0 src1_sel:DWORD
	ds_bpermute_b32 v61, v65, v7
	v_and_b32_e32 v78, 1, v7
	v_and_b32_e32 v9, s53, v5
	v_or_b32_e32 v9, 0x80000000, v9
	v_and_b32_e32 v60, s52, v4
	v_ffbl_b32_e32 v9, v9
	v_add_u32_e32 v9, 32, v9
	v_ffbl_b32_e32 v60, v60
	v_min_u32_e32 v9, v60, v9
	ds_bpermute_b32 v60, v65, v6
	s_waitcnt lgkmcnt(1)
	v_and_b32_e32 v61, 1, v61
	v_cmp_eq_u32_e32 vcc, 1, v78
	v_cmp_lt_u32_e64 s[52:53], v64, v9
	v_subrev_u32_e32 v58, 64, v58
	v_cndmask_b32_e64 v61, v61, 1, vcc
	v_cmp_gt_u64_e32 vcc, s[70:71], v[6:7]
	v_and_b32_e32 v78, 0xffff, v61
	v_cndmask_b32_e64 v61, v7, v61, s[52:53]
	v_cndmask_b32_e64 v7, v7, v78, s[52:53]
	s_and_b64 vcc, s[52:53], vcc
	ds_bpermute_b32 v78, v66, v7
	s_waitcnt lgkmcnt(1)
	v_cndmask_b32_e32 v60, 0, v60, vcc
	v_add_u32_e32 v6, v60, v6
	ds_bpermute_b32 v60, v66, v6
	v_and_b32_e32 v79, 1, v61
	s_waitcnt lgkmcnt(1)
	v_and_b32_e32 v78, 1, v78
	v_cmp_eq_u32_e32 vcc, 1, v79
	s_nop 1
	v_cndmask_b32_e64 v78, v78, 1, vcc
	v_cmp_eq_u16_sdwa vcc, v61, v59 src0_sel:BYTE_0 src1_sel:DWORD
	v_and_b32_e32 v79, 0xffff, v78
	s_waitcnt lgkmcnt(0)
	v_cndmask_b32_e32 v60, 0, v60, vcc
	v_cmp_gt_u32_e32 vcc, v67, v9
	s_nop 1
	v_cndmask_b32_e32 v7, v79, v7, vcc
	v_cndmask_b32_e32 v61, v78, v61, vcc
	ds_bpermute_b32 v78, v68, v7
	v_cndmask_b32_e64 v60, v60, 0, vcc
	v_add_u32_e32 v6, v60, v6
	ds_bpermute_b32 v60, v68, v6
	v_and_b32_e32 v79, 1, v61
	s_waitcnt lgkmcnt(1)
	v_and_b32_e32 v78, 1, v78
	v_cmp_eq_u32_e32 vcc, 1, v79
	s_nop 1
	v_cndmask_b32_e64 v78, v78, 1, vcc
	v_cmp_eq_u16_sdwa vcc, v61, v59 src0_sel:BYTE_0 src1_sel:DWORD
	v_and_b32_e32 v79, 0xffff, v78
	s_waitcnt lgkmcnt(0)
	v_cndmask_b32_e32 v60, 0, v60, vcc
	v_cmp_gt_u32_e32 vcc, v69, v9
	s_nop 1
	v_cndmask_b32_e32 v7, v79, v7, vcc
	v_cndmask_b32_e32 v61, v78, v61, vcc
	ds_bpermute_b32 v78, v70, v7
	v_cndmask_b32_e64 v60, v60, 0, vcc
	;; [unrolled: 18-line block ×3, first 2 shown]
	v_add_u32_e32 v6, v60, v6
	ds_bpermute_b32 v60, v72, v6
	v_and_b32_e32 v79, 1, v61
	s_waitcnt lgkmcnt(1)
	v_and_b32_e32 v78, 1, v78
	v_cmp_eq_u32_e32 vcc, 1, v79
	s_nop 1
	v_cndmask_b32_e64 v78, v78, 1, vcc
	v_cmp_eq_u16_sdwa vcc, v61, v59 src0_sel:BYTE_0 src1_sel:DWORD
	v_and_b32_e32 v79, 0xffff, v78
	s_waitcnt lgkmcnt(0)
	v_cndmask_b32_e32 v60, 0, v60, vcc
	v_cmp_gt_u32_e32 vcc, v74, v9
	s_nop 1
	v_cndmask_b32_e64 v60, v60, 0, vcc
	v_cndmask_b32_e32 v7, v79, v7, vcc
	ds_bpermute_b32 v7, v76, v7
	v_add_u32_e32 v6, v60, v6
	ds_bpermute_b32 v60, v76, v6
	v_cndmask_b32_e32 v61, v78, v61, vcc
	v_and_b32_e32 v78, 1, v61
	v_cmp_eq_u32_e32 vcc, 1, v78
	s_waitcnt lgkmcnt(1)
	s_nop 0
	v_cndmask_b32_e64 v7, v7, 1, vcc
	v_cmp_eq_u16_sdwa vcc, v61, v59 src0_sel:BYTE_0 src1_sel:DWORD
	s_waitcnt lgkmcnt(0)
	s_nop 0
	v_cndmask_b32_e32 v60, 0, v60, vcc
	v_cmp_gt_u32_e32 vcc, v77, v9
	s_nop 1
	v_cndmask_b32_e64 v9, v60, 0, vcc
	v_cndmask_b32_e32 v7, v7, v61, vcc
	v_add_u32_e32 v6, v9, v6
	v_cmp_eq_u16_sdwa vcc, v73, v59 src0_sel:BYTE_0 src1_sel:DWORD
	v_and_b32_e32 v9, 1, v73
	v_and_b32_e32 v7, 1, v7
	v_cndmask_b32_e32 v6, 0, v6, vcc
	v_cmp_eq_u32_e32 vcc, 1, v9
	v_add_u32_e32 v6, v6, v75
	s_nop 0
	v_cndmask_b32_e64 v7, v7, 1, vcc
.LBB2236_174:                           ; =>This Loop Header: Depth=1
                                        ;     Child Loop BB2236_177 Depth 2
	v_cmp_ne_u16_sdwa s[52:53], v8, v3 src0_sel:BYTE_0 src1_sel:DWORD
	v_mov_b32_e32 v73, v7
	v_mov_b32_e32 v75, v6
	v_cndmask_b32_e64 v7, 0, 1, s[52:53]
	;;#ASMSTART
	;;#ASMEND
	s_nop 0
	v_cmp_ne_u32_e32 vcc, 0, v7
	s_cmp_lg_u64 vcc, exec
	s_cbranch_scc1 .LBB2236_179
; %bb.175:                              ;   in Loop: Header=BB2236_174 Depth=1
	v_lshl_add_u64 v[60:61], v[58:59], 4, s[56:57]
	;;#ASMSTART
	global_load_dwordx4 v[6:9], v[60:61] off sc1	
s_waitcnt vmcnt(0)
	;;#ASMEND
	s_nop 0
	v_and_b32_e32 v9, 0xff0000, v6
	v_and_b32_e32 v78, 0xff000000, v6
	;; [unrolled: 1-line block ×3, first 2 shown]
	v_or_b32_sdwa v6, v6, v9 dst_sel:DWORD dst_unused:UNUSED_PAD src0_sel:WORD_0 src1_sel:DWORD
	v_or3_b32 v7, 0, 0, v7
	v_or3_b32 v6, v6, v78, 0
	v_cmp_eq_u16_sdwa s[72:73], v8, v59 src0_sel:BYTE_0 src1_sel:DWORD
	s_and_saveexec_b64 s[52:53], s[72:73]
	s_cbranch_execz .LBB2236_173
; %bb.176:                              ;   in Loop: Header=BB2236_174 Depth=1
	s_mov_b64 s[72:73], 0
.LBB2236_177:                           ;   Parent Loop BB2236_174 Depth=1
                                        ; =>  This Inner Loop Header: Depth=2
	;;#ASMSTART
	global_load_dwordx4 v[6:9], v[60:61] off sc1	
s_waitcnt vmcnt(0)
	;;#ASMEND
	s_nop 0
	v_cmp_ne_u16_sdwa s[74:75], v8, v59 src0_sel:BYTE_0 src1_sel:DWORD
	s_or_b64 s[72:73], s[74:75], s[72:73]
	s_andn2_b64 exec, exec, s[72:73]
	s_cbranch_execnz .LBB2236_177
; %bb.178:                              ;   in Loop: Header=BB2236_174 Depth=1
	s_or_b64 exec, exec, s[72:73]
	v_and_b32_e32 v7, 0xff, v7
	s_branch .LBB2236_173
.LBB2236_179:                           ;   in Loop: Header=BB2236_174 Depth=1
                                        ; implicit-def: $vgpr7
                                        ; implicit-def: $vgpr6
                                        ; implicit-def: $vgpr8
	s_cbranch_execz .LBB2236_174
; %bb.180:
	s_and_saveexec_b64 s[52:53], s[48:49]
	s_cbranch_execz .LBB2236_182
; %bb.181:
	s_and_b32 s48, s3, 0xff
	s_cmp_eq_u32 s48, 0
	s_cselect_b64 vcc, -1, 0
	s_bitcmp1_b32 s3, 0
	s_mov_b32 s49, 0
	s_cselect_b64 s[70:71], -1, 0
	s_add_i32 s48, s2, 64
	s_lshl_b64 s[2:3], s[48:49], 4
	v_cndmask_b32_e32 v3, 0, v75, vcc
	s_add_u32 s2, s56, s2
	v_add_u32_e32 v2, v3, v2
	v_and_b32_e32 v3, 1, v73
	s_addc_u32 s3, s57, s3
	v_mov_b32_e32 v5, 0
	v_cndmask_b32_e64 v3, v3, 1, s[70:71]
	v_mov_b32_e32 v4, 2
	v_mov_b64_e32 v[6:7], s[2:3]
	;;#ASMSTART
	global_store_dwordx4 v[6:7], v[2:5] off sc1	
s_waitcnt vmcnt(0)
	;;#ASMEND
.LBB2236_182:
	s_or_b64 exec, exec, s[52:53]
	s_and_b64 exec, exec, s[46:47]
	s_cbranch_execz .LBB2236_184
; %bb.183:
	v_mov_b32_e32 v2, 0
	ds_write_b32 v2, v75
	ds_write_b8 v2, v73 offset:4
.LBB2236_184:
	s_or_b64 exec, exec, s[60:61]
	v_mov_b32_e32 v2, 0
	s_waitcnt lgkmcnt(0)
	s_barrier
	ds_read_b32 v3, v2
	v_cmp_eq_u16_sdwa vcc, v63, v2 src0_sel:BYTE_0 src1_sel:DWORD
	s_waitcnt lgkmcnt(0)
	s_nop 0
	v_cndmask_b32_e32 v4, 0, v3, vcc
	v_add_u32_e32 v4, v4, v62
	v_cndmask_b32_e64 v58, v4, v3, s[46:47]
	v_and_b32_e32 v3, 0xff, v11
	v_cmp_eq_u64_e32 vcc, 0, v[2:3]
	s_nop 1
	v_cndmask_b32_e32 v2, 0, v58, vcc
	v_add_u32_e32 v59, v2, v10
	v_cndmask_b32_e64 v2, 0, v59, s[50:51]
	v_add_u32_e32 v60, v2, v12
	v_cndmask_b32_e64 v2, 0, v60, s[4:5]
	;; [unrolled: 2-line block ×21, first 2 shown]
	v_add_u32_e32 v80, v2, v52
	s_branch .LBB2236_205
.LBB2236_185:
                                        ; implicit-def: $vgpr79
                                        ; implicit-def: $vgpr78
                                        ; implicit-def: $vgpr77
                                        ; implicit-def: $vgpr76
                                        ; implicit-def: $vgpr75
                                        ; implicit-def: $vgpr74
                                        ; implicit-def: $vgpr73
                                        ; implicit-def: $vgpr72
                                        ; implicit-def: $vgpr71
                                        ; implicit-def: $vgpr70
                                        ; implicit-def: $vgpr69
                                        ; implicit-def: $vgpr68
                                        ; implicit-def: $vgpr67
                                        ; implicit-def: $vgpr66
                                        ; implicit-def: $vgpr65
                                        ; implicit-def: $vgpr64
                                        ; implicit-def: $vgpr63
                                        ; implicit-def: $vgpr62
                                        ; implicit-def: $vgpr61
                                        ; implicit-def: $vgpr60
                                        ; implicit-def: $vgpr59
                                        ; implicit-def: $vgpr58
                                        ; implicit-def: $vgpr80
	s_cbranch_execz .LBB2236_205
; %bb.186:
	s_cmp_lg_u64 s[68:69], 0
	s_cselect_b32 s3, s63, 0
	s_cselect_b32 s2, s62, 0
	s_mov_b32 s44, 0
	s_cmp_eq_u64 s[2:3], 0
	v_mov_b32_e32 v4, s76
	s_cbranch_scc1 .LBB2236_188
; %bb.187:
	v_mov_b32_e32 v2, 0
	global_load_dword v4, v2, s[2:3]
.LBB2236_188:
	s_mov_b32 s45, 1
	v_cmp_gt_u64_e32 vcc, s[44:45], v[12:13]
	v_cmp_gt_u64_e64 s[2:3], s[44:45], v[14:15]
	v_cmp_gt_u64_e64 s[4:5], s[44:45], v[16:17]
	v_cndmask_b32_e32 v2, 0, v10, vcc
	v_add_u32_e32 v2, v2, v12
	v_cndmask_b32_e64 v2, 0, v2, s[2:3]
	v_add_u32_e32 v2, v2, v14
	v_cndmask_b32_e64 v2, 0, v2, s[4:5]
	v_add_u32_e32 v2, v2, v16
	v_cmp_gt_u64_e64 s[6:7], s[44:45], v[18:19]
	v_cmp_gt_u64_e64 s[8:9], s[44:45], v[20:21]
	v_cmp_gt_u64_e64 s[10:11], s[44:45], v[22:23]
	v_cndmask_b32_e64 v2, 0, v2, s[6:7]
	v_add_u32_e32 v2, v2, v18
	v_cndmask_b32_e64 v2, 0, v2, s[8:9]
	v_add_u32_e32 v2, v2, v20
	v_cndmask_b32_e64 v2, 0, v2, s[10:11]
	v_add_u32_e32 v2, v2, v22
	v_cmp_gt_u64_e64 s[12:13], s[44:45], v[24:25]
	v_cmp_gt_u64_e64 s[14:15], s[44:45], v[26:27]
	v_cmp_gt_u64_e64 s[16:17], s[44:45], v[28:29]
	v_cndmask_b32_e64 v2, 0, v2, s[12:13]
	;; [unrolled: 9-line block ×6, first 2 shown]
	v_add_u32_e32 v2, v2, v48
	v_cndmask_b32_e64 v2, 0, v2, s[40:41]
	v_add_u32_e32 v2, v2, v50
	v_cndmask_b32_e64 v2, 0, v2, s[42:43]
	v_add_u32_e32 v2, v2, v52
	v_cmp_gt_u64_e64 s[44:45], s[44:45], v[56:57]
	v_add_lshl_u32 v1, v1, v0, 3
	s_nop 0
	v_cndmask_b32_e64 v2, 0, v2, s[44:45]
	v_add_u32_e32 v5, v2, v56
	v_or3_b32 v2, v55, v51, v49
	v_or3_b32 v2, v2, v47, v45
	v_or3_b32 v2, v2, v43, v41
	v_or3_b32 v2, v2, v39, v37
	v_or3_b32 v2, v2, v35, v33
	v_or3_b32 v2, v2, v31, v29
	v_or3_b32 v2, v2, v27, v25
	v_or3_b32 v2, v2, v23, v21
	v_or3_b32 v2, v2, v19, v17
	v_or3_b32 v2, v2, v15, v13
	v_and_b32_e32 v2, 1, v2
	v_cmp_eq_u32_e64 s[44:45], 1, v2
	s_nop 1
	v_cndmask_b32_e64 v6, v11, 1, s[44:45]
	v_cmp_gt_u32_e64 s[44:45], 64, v0
	ds_write_b32 v1, v5
	ds_write_b8 v1, v6 offset:4
	s_waitcnt lgkmcnt(0)
	s_barrier
	s_and_saveexec_b64 s[46:47], s[44:45]
	s_cbranch_execz .LBB2236_200
; %bb.189:
	v_lshrrev_b32_e32 v1, 3, v0
	v_add_lshl_u32 v1, v1, v54, 3
	ds_read2_b32 v[8:9], v1 offset0:2 offset1:4
	ds_read_b64 v[2:3], v1
	ds_read_u8 v13, v1 offset:12
	ds_read_u8 v15, v1 offset:20
	ds_read_b32 v17, v1 offset:24
	ds_read_u8 v19, v1 offset:28
	v_mov_b32_e32 v21, 0
	s_waitcnt lgkmcnt(3)
	v_cmp_eq_u16_sdwa s[44:45], v13, v21 src0_sel:BYTE_0 src1_sel:DWORD
	v_and_b32_e32 v7, 1, v3
	s_nop 0
	v_cndmask_b32_e64 v23, 0, v2, s[44:45]
	v_add_u32_e32 v8, v23, v8
	s_waitcnt lgkmcnt(2)
	v_cmp_eq_u16_sdwa s[44:45], v15, v21 src0_sel:BYTE_0 src1_sel:DWORD
	s_nop 1
	v_cndmask_b32_e64 v8, 0, v8, s[44:45]
	v_add_u32_e32 v8, v8, v9
	s_waitcnt lgkmcnt(0)
	v_cmp_eq_u16_e64 s[44:45], 0, v19
	s_nop 1
	v_cndmask_b32_e64 v8, 0, v8, s[44:45]
	v_add_u32_e32 v9, v8, v17
	v_or_b32_e32 v8, v19, v15
	v_or_b32_e32 v8, v8, v13
	v_and_b32_e32 v8, 1, v8
	v_cmp_eq_u32_e64 s[44:45], 1, v8
	v_mbcnt_lo_u32_b32 v13, -1, 0
	v_and_b32_e32 v8, 0xffffff00, v3
	v_cndmask_b32_e64 v15, v7, 1, s[44:45]
	v_mbcnt_hi_u32_b32 v13, -1, v13
	v_and_b32_e32 v19, 15, v13
	v_or_b32_sdwa v17, v8, v15 dst_sel:DWORD dst_unused:UNUSED_PAD src0_sel:DWORD src1_sel:WORD_0
	v_mov_b32_dpp v21, v9 row_shr:1 row_mask:0xf bank_mask:0xf
	v_cmp_ne_u32_e64 s[44:45], 0, v19
	v_mov_b32_dpp v23, v17 row_shr:1 row_mask:0xf bank_mask:0xf
	s_and_saveexec_b64 s[48:49], s[44:45]
; %bb.190:
	v_and_b32_e32 v17, 1, v15
	v_and_b32_e32 v23, 1, v23
	v_cmp_eq_u32_e64 s[44:45], 1, v17
	s_nop 1
	v_cndmask_b32_e64 v23, v23, 1, s[44:45]
	v_cmp_eq_u16_e64 s[44:45], 0, v15
	v_or_b32_sdwa v17, v8, v23 dst_sel:DWORD dst_unused:UNUSED_PAD src0_sel:DWORD src1_sel:WORD_0
	s_nop 0
	v_cndmask_b32_e64 v15, 0, v21, s[44:45]
	v_add_u32_e32 v9, v15, v9
	v_mov_b32_e32 v15, v23
; %bb.191:
	s_or_b64 exec, exec, s[48:49]
	v_mov_b32_dpp v21, v9 row_shr:2 row_mask:0xf bank_mask:0xf
	v_mov_b32_dpp v23, v17 row_shr:2 row_mask:0xf bank_mask:0xf
	v_cmp_lt_u32_e64 s[44:45], 1, v19
	s_and_saveexec_b64 s[48:49], s[44:45]
; %bb.192:
	v_and_b32_e32 v17, 1, v15
	v_and_b32_e32 v23, 1, v23
	v_cmp_eq_u32_e64 s[44:45], 1, v17
	s_nop 1
	v_cndmask_b32_e64 v23, v23, 1, s[44:45]
	v_cmp_eq_u16_e64 s[44:45], 0, v15
	v_or_b32_sdwa v17, v8, v23 dst_sel:DWORD dst_unused:UNUSED_PAD src0_sel:DWORD src1_sel:WORD_0
	s_nop 0
	v_cndmask_b32_e64 v15, 0, v21, s[44:45]
	v_add_u32_e32 v9, v15, v9
	v_mov_b32_e32 v15, v23
; %bb.193:
	s_or_b64 exec, exec, s[48:49]
	v_mov_b32_dpp v21, v9 row_shr:4 row_mask:0xf bank_mask:0xf
	v_mov_b32_dpp v23, v17 row_shr:4 row_mask:0xf bank_mask:0xf
	v_cmp_lt_u32_e64 s[44:45], 3, v19
	;; [unrolled: 18-line block ×3, first 2 shown]
	s_and_saveexec_b64 s[48:49], s[44:45]
; %bb.196:
	v_and_b32_e32 v17, 1, v15
	v_and_b32_e32 v19, 1, v23
	v_cmp_eq_u32_e64 s[44:45], 1, v17
	s_nop 1
	v_cndmask_b32_e64 v19, v19, 1, s[44:45]
	v_cmp_eq_u16_e64 s[44:45], 0, v15
	v_or_b32_sdwa v17, v8, v19 dst_sel:DWORD dst_unused:UNUSED_PAD src0_sel:DWORD src1_sel:WORD_0
	s_nop 0
	v_cndmask_b32_e64 v15, 0, v21, s[44:45]
	v_add_u32_e32 v9, v15, v9
	v_mov_b32_e32 v15, v19
; %bb.197:
	s_or_b64 exec, exec, s[48:49]
	v_and_b32_e32 v23, 16, v13
	v_mov_b32_dpp v19, v9 row_bcast:15 row_mask:0xf bank_mask:0xf
	v_mov_b32_dpp v21, v17 row_bcast:15 row_mask:0xf bank_mask:0xf
	v_cmp_ne_u32_e64 s[44:45], 0, v23
	s_and_saveexec_b64 s[48:49], s[44:45]
; %bb.198:
	v_and_b32_e32 v17, 1, v15
	v_and_b32_e32 v21, 1, v21
	v_cmp_eq_u32_e64 s[44:45], 1, v17
	s_nop 1
	v_cndmask_b32_e64 v21, v21, 1, s[44:45]
	v_cmp_eq_u16_e64 s[44:45], 0, v15
	v_or_b32_sdwa v17, v8, v21 dst_sel:DWORD dst_unused:UNUSED_PAD src0_sel:DWORD src1_sel:WORD_0
	s_nop 0
	v_cndmask_b32_e64 v15, 0, v19, s[44:45]
	v_add_u32_e32 v9, v15, v9
	v_mov_b32_e32 v15, v21
; %bb.199:
	s_or_b64 exec, exec, s[48:49]
	v_mov_b32_dpp v17, v17 row_bcast:31 row_mask:0xf bank_mask:0xf
	v_and_b32_e32 v21, 1, v15
	v_and_b32_e32 v17, 1, v17
	v_cmp_eq_u32_e64 s[44:45], 1, v21
	v_mov_b32_e32 v21, 0
	v_cmp_eq_u16_sdwa s[48:49], v15, v21 src0_sel:BYTE_0 src1_sel:DWORD
	v_cndmask_b32_e64 v17, v17, 1, s[44:45]
	v_cmp_lt_u32_e64 s[44:45], 31, v13
	v_mov_b32_dpp v19, v9 row_bcast:31 row_mask:0xf bank_mask:0xf
	s_movk_i32 s50, 0xff
	v_cndmask_b32_e64 v15, v15, v17, s[44:45]
	s_and_b64 s[44:45], s[44:45], s[48:49]
	v_cndmask_b32_e64 v17, 0, v19, s[44:45]
	v_add_u32_e32 v9, v17, v9
	v_add_u32_e32 v17, -1, v13
	v_and_b32_e32 v19, 64, v13
	v_cmp_lt_i32_e64 s[44:45], v17, v19
	v_and_or_b32 v8, v15, s50, v8
	s_nop 0
	v_cndmask_b32_e64 v13, v17, v13, s[44:45]
	v_lshlrev_b32_e32 v13, 2, v13
	ds_bpermute_b32 v9, v13, v9
	ds_bpermute_b32 v8, v13, v8
	v_cmp_eq_u16_sdwa s[44:45], v3, v21 src0_sel:BYTE_0 src1_sel:DWORD
	; wave barrier
	s_waitcnt lgkmcnt(1)
	s_nop 0
	v_cndmask_b32_e64 v3, 0, v9, s[44:45]
	v_add_u32_e32 v2, v3, v2
	s_waitcnt lgkmcnt(0)
	v_and_b32_e32 v3, 1, v8
	v_cmp_eq_u32_e64 s[44:45], 1, v7
	s_nop 1
	v_cndmask_b32_e64 v3, v3, 1, s[44:45]
	v_cmp_eq_u32_e64 s[44:45], 0, v0
	s_nop 1
	v_cndmask_b32_e64 v5, v2, v5, s[44:45]
	v_cndmask_b32_e64 v6, v3, v6, s[44:45]
	ds_write_b32 v1, v5
	ds_write_b8 v1, v6 offset:4
	; wave barrier
	ds_read_u8 v7, v1 offset:12
	ds_read2_b32 v[2:3], v1 offset0:2 offset1:4
	ds_read_u8 v8, v1 offset:20
	ds_read_b32 v9, v1 offset:24
	ds_read_u8 v13, v1 offset:28
	s_waitcnt lgkmcnt(4)
	v_cmp_eq_u16_e64 s[44:45], 0, v7
	s_nop 1
	v_cndmask_b32_e64 v5, 0, v5, s[44:45]
	s_waitcnt lgkmcnt(3)
	v_add_u32_e32 v2, v5, v2
	v_and_b32_e32 v5, 1, v7
	v_cmp_eq_u32_e64 s[44:45], 1, v5
	s_nop 1
	v_cndmask_b32_e64 v5, v6, 1, s[44:45]
	s_waitcnt lgkmcnt(2)
	v_cmp_eq_u16_e64 s[44:45], 0, v8
	ds_write_b8 v1, v5 offset:12
	s_nop 0
	v_cndmask_b32_e64 v6, 0, v2, s[44:45]
	v_add_u32_e32 v3, v6, v3
	v_and_b32_e32 v6, 1, v8
	v_cmp_eq_u32_e64 s[44:45], 1, v6
	s_nop 1
	v_cndmask_b32_e64 v5, v5, 1, s[44:45]
	s_waitcnt lgkmcnt(1)
	v_cmp_eq_u16_e64 s[44:45], 0, v13
	ds_write2_b32 v1, v2, v3 offset0:2 offset1:4
	ds_write_b8 v1, v5 offset:20
	v_cndmask_b32_e64 v2, 0, v3, s[44:45]
	v_and_b32_e32 v3, 1, v13
	v_add_u32_e32 v2, v2, v9
	v_cmp_eq_u32_e64 s[44:45], 1, v3
	s_nop 1
	v_cndmask_b32_e64 v3, v5, 1, s[44:45]
	ds_write_b32 v1, v2 offset:24
	ds_write_b8 v1, v3 offset:28
.LBB2236_200:
	s_or_b64 exec, exec, s[46:47]
	v_cmp_eq_u32_e64 s[44:45], 0, v0
	v_cmp_ne_u32_e64 s[46:47], 0, v0
	s_waitcnt vmcnt(0)
	v_mov_b32_e32 v58, v4
	s_waitcnt lgkmcnt(0)
	s_barrier
	s_and_saveexec_b64 s[48:49], s[46:47]
	s_cbranch_execz .LBB2236_202
; %bb.201:
	v_add_u32_e32 v1, -1, v0
	v_lshrrev_b32_e32 v2, 5, v1
	v_add_lshl_u32 v1, v2, v1, 3
	ds_read_u8 v2, v1 offset:4
	ds_read_b32 v1, v1
	s_waitcnt lgkmcnt(1)
	v_cmp_eq_u16_e64 s[46:47], 0, v2
	s_nop 1
	v_cndmask_b32_e64 v2, 0, v4, s[46:47]
	s_waitcnt lgkmcnt(0)
	v_add_u32_e32 v58, v2, v1
.LBB2236_202:
	s_or_b64 exec, exec, s[48:49]
	v_and_b32_e32 v3, 0xff, v11
	v_mov_b32_e32 v2, 0
	v_cmp_eq_u64_e64 s[46:47], 0, v[2:3]
	s_nop 1
	v_cndmask_b32_e64 v1, 0, v58, s[46:47]
	v_add_u32_e32 v59, v1, v10
	v_cndmask_b32_e32 v1, 0, v59, vcc
	v_add_u32_e32 v60, v1, v12
	v_cndmask_b32_e64 v1, 0, v60, s[2:3]
	v_add_u32_e32 v61, v1, v14
	v_cndmask_b32_e64 v1, 0, v61, s[4:5]
	;; [unrolled: 2-line block ×20, first 2 shown]
	s_and_saveexec_b64 s[2:3], s[44:45]
	s_cbranch_execz .LBB2236_204
; %bb.203:
	ds_read_u8 v3, v2 offset:2100
	ds_read_b32 v5, v2 offset:2096
	s_add_u32 s4, s56, 0x400
	s_addc_u32 s5, s57, 0
	v_mov_b32_e32 v6, 2
	s_waitcnt lgkmcnt(1)
	v_cmp_eq_u16_e32 vcc, 0, v3
	v_mov_b32_e32 v7, v2
	s_nop 0
	v_cndmask_b32_e32 v4, 0, v4, vcc
	s_waitcnt lgkmcnt(0)
	v_add_u32_e32 v4, v4, v5
	v_and_b32_e32 v5, 0xffff, v3
	v_mov_b64_e32 v[2:3], s[4:5]
	;;#ASMSTART
	global_store_dwordx4 v[2:3], v[4:7] off sc1	
s_waitcnt vmcnt(0)
	;;#ASMEND
.LBB2236_204:
	s_or_b64 exec, exec, s[2:3]
	v_add_u32_e32 v80, v1, v52
.LBB2236_205:
	s_add_u32 s2, s54, s64
	s_addc_u32 s3, s55, s65
	s_add_u32 s2, s2, s66
	s_addc_u32 s3, s3, s67
	s_and_b64 vcc, exec, s[0:1]
	s_cbranch_vccz .LBB2236_251
; %bb.206:
	s_movk_i32 s0, 0x5c
	v_mul_i32_i24_e32 v26, 0xffffffa8, v0
	v_mul_u32_u24_e32 v1, 0x5c, v0
	v_mad_u32_u24 v2, v0, s0, v26
	s_barrier
	ds_write2_b32 v1, v58, v59 offset1:1
	ds_write2_b32 v1, v60, v61 offset0:2 offset1:3
	ds_write2_b32 v1, v62, v63 offset0:4 offset1:5
	;; [unrolled: 1-line block ×10, first 2 shown]
	ds_write_b32 v1, v80 offset:88
	s_waitcnt lgkmcnt(0)
	s_barrier
	ds_read2st64_b32 v[24:25], v2 offset0:4 offset1:8
	ds_read2st64_b32 v[22:23], v2 offset0:12 offset1:16
	;; [unrolled: 1-line block ×11, first 2 shown]
	s_add_i32 s33, s33, s58
	v_mov_b32_e32 v55, 0
	v_lshl_add_u64 v[4:5], s[2:3], 0, v[54:55]
	v_cmp_gt_u32_e32 vcc, s33, v0
	s_and_saveexec_b64 s[0:1], vcc
	s_cbranch_execz .LBB2236_208
; %bb.207:
	v_add_u32_e32 v1, v1, v26
	ds_read_b32 v1, v1
	s_waitcnt lgkmcnt(0)
	flat_store_dword v[4:5], v1
.LBB2236_208:
	s_or_b64 exec, exec, s[0:1]
	v_or_b32_e32 v1, 0x100, v0
	v_cmp_gt_u32_e32 vcc, s33, v1
	s_and_saveexec_b64 s[0:1], vcc
	s_cbranch_execz .LBB2236_210
; %bb.209:
	s_waitcnt lgkmcnt(0)
	flat_store_dword v[4:5], v24 offset:1024
.LBB2236_210:
	s_or_b64 exec, exec, s[0:1]
	v_or_b32_e32 v1, 0x200, v0
	v_cmp_gt_u32_e32 vcc, s33, v1
	s_and_saveexec_b64 s[0:1], vcc
	s_cbranch_execz .LBB2236_212
; %bb.211:
	s_waitcnt lgkmcnt(0)
	flat_store_dword v[4:5], v25 offset:2048
.LBB2236_212:
	;; [unrolled: 9-line block ×3, first 2 shown]
	s_or_b64 exec, exec, s[0:1]
	v_or_b32_e32 v1, 0x400, v0
	v_cmp_gt_u32_e32 vcc, s33, v1
	s_and_saveexec_b64 s[0:1], vcc
	s_cbranch_execz .LBB2236_216
; %bb.215:
	s_waitcnt lgkmcnt(0)
	v_add_co_u32_e32 v24, vcc, 0x1000, v4
	s_nop 1
	v_addc_co_u32_e32 v25, vcc, 0, v5, vcc
	flat_store_dword v[24:25], v23
.LBB2236_216:
	s_or_b64 exec, exec, s[0:1]
	v_or_b32_e32 v1, 0x500, v0
	v_cmp_gt_u32_e32 vcc, s33, v1
	s_and_saveexec_b64 s[0:1], vcc
	s_cbranch_execz .LBB2236_218
; %bb.217:
	s_waitcnt lgkmcnt(0)
	v_add_co_u32_e32 v22, vcc, 0x1000, v4
	s_nop 1
	v_addc_co_u32_e32 v23, vcc, 0, v5, vcc
	flat_store_dword v[22:23], v20 offset:1024
.LBB2236_218:
	s_or_b64 exec, exec, s[0:1]
	v_or_b32_e32 v1, 0x600, v0
	v_cmp_gt_u32_e32 vcc, s33, v1
	s_and_saveexec_b64 s[0:1], vcc
	s_cbranch_execz .LBB2236_220
; %bb.219:
	s_waitcnt lgkmcnt(0)
	v_add_co_u32_e32 v22, vcc, 0x1000, v4
	s_nop 1
	v_addc_co_u32_e32 v23, vcc, 0, v5, vcc
	flat_store_dword v[22:23], v21 offset:2048
.LBB2236_220:
	s_or_b64 exec, exec, s[0:1]
	v_or_b32_e32 v1, 0x700, v0
	v_cmp_gt_u32_e32 vcc, s33, v1
	s_and_saveexec_b64 s[0:1], vcc
	s_cbranch_execz .LBB2236_222
; %bb.221:
	s_waitcnt lgkmcnt(0)
	v_add_co_u32_e32 v20, vcc, 0x1000, v4
	s_nop 1
	v_addc_co_u32_e32 v21, vcc, 0, v5, vcc
	flat_store_dword v[20:21], v18 offset:3072
.LBB2236_222:
	s_or_b64 exec, exec, s[0:1]
	v_or_b32_e32 v1, 0x800, v0
	v_cmp_gt_u32_e32 vcc, s33, v1
	s_and_saveexec_b64 s[0:1], vcc
	s_cbranch_execz .LBB2236_224
; %bb.223:
	s_waitcnt lgkmcnt(0)
	v_add_co_u32_e32 v20, vcc, 0x2000, v4
	s_nop 1
	v_addc_co_u32_e32 v21, vcc, 0, v5, vcc
	flat_store_dword v[20:21], v19
.LBB2236_224:
	s_or_b64 exec, exec, s[0:1]
	v_or_b32_e32 v1, 0x900, v0
	v_cmp_gt_u32_e32 vcc, s33, v1
	s_and_saveexec_b64 s[0:1], vcc
	s_cbranch_execz .LBB2236_226
; %bb.225:
	s_waitcnt lgkmcnt(0)
	v_add_co_u32_e32 v18, vcc, 0x2000, v4
	s_nop 1
	v_addc_co_u32_e32 v19, vcc, 0, v5, vcc
	flat_store_dword v[18:19], v16 offset:1024
.LBB2236_226:
	s_or_b64 exec, exec, s[0:1]
	v_or_b32_e32 v1, 0xa00, v0
	v_cmp_gt_u32_e32 vcc, s33, v1
	s_and_saveexec_b64 s[0:1], vcc
	s_cbranch_execz .LBB2236_228
; %bb.227:
	s_waitcnt lgkmcnt(0)
	v_add_co_u32_e32 v18, vcc, 0x2000, v4
	s_nop 1
	v_addc_co_u32_e32 v19, vcc, 0, v5, vcc
	flat_store_dword v[18:19], v17 offset:2048
.LBB2236_228:
	s_or_b64 exec, exec, s[0:1]
	v_or_b32_e32 v1, 0xb00, v0
	v_cmp_gt_u32_e32 vcc, s33, v1
	s_and_saveexec_b64 s[0:1], vcc
	s_cbranch_execz .LBB2236_230
; %bb.229:
	s_waitcnt lgkmcnt(0)
	v_add_co_u32_e32 v16, vcc, 0x2000, v4
	s_nop 1
	v_addc_co_u32_e32 v17, vcc, 0, v5, vcc
	flat_store_dword v[16:17], v14 offset:3072
.LBB2236_230:
	s_or_b64 exec, exec, s[0:1]
	v_or_b32_e32 v1, 0xc00, v0
	v_cmp_gt_u32_e32 vcc, s33, v1
	s_and_saveexec_b64 s[0:1], vcc
	s_cbranch_execz .LBB2236_232
; %bb.231:
	s_waitcnt lgkmcnt(0)
	v_add_co_u32_e32 v16, vcc, 0x3000, v4
	s_nop 1
	v_addc_co_u32_e32 v17, vcc, 0, v5, vcc
	flat_store_dword v[16:17], v15
.LBB2236_232:
	s_or_b64 exec, exec, s[0:1]
	v_or_b32_e32 v1, 0xd00, v0
	v_cmp_gt_u32_e32 vcc, s33, v1
	s_and_saveexec_b64 s[0:1], vcc
	s_cbranch_execz .LBB2236_234
; %bb.233:
	s_waitcnt lgkmcnt(0)
	v_add_co_u32_e32 v14, vcc, 0x3000, v4
	s_nop 1
	v_addc_co_u32_e32 v15, vcc, 0, v5, vcc
	flat_store_dword v[14:15], v12 offset:1024
.LBB2236_234:
	s_or_b64 exec, exec, s[0:1]
	v_or_b32_e32 v1, 0xe00, v0
	v_cmp_gt_u32_e32 vcc, s33, v1
	s_and_saveexec_b64 s[0:1], vcc
	s_cbranch_execz .LBB2236_236
; %bb.235:
	s_waitcnt lgkmcnt(0)
	v_add_co_u32_e32 v14, vcc, 0x3000, v4
	s_nop 1
	v_addc_co_u32_e32 v15, vcc, 0, v5, vcc
	flat_store_dword v[14:15], v13 offset:2048
.LBB2236_236:
	s_or_b64 exec, exec, s[0:1]
	v_or_b32_e32 v1, 0xf00, v0
	v_cmp_gt_u32_e32 vcc, s33, v1
	s_and_saveexec_b64 s[0:1], vcc
	s_cbranch_execz .LBB2236_238
; %bb.237:
	s_waitcnt lgkmcnt(0)
	v_add_co_u32_e32 v12, vcc, 0x3000, v4
	s_nop 1
	v_addc_co_u32_e32 v13, vcc, 0, v5, vcc
	flat_store_dword v[12:13], v10 offset:3072
.LBB2236_238:
	s_or_b64 exec, exec, s[0:1]
	v_or_b32_e32 v1, 0x1000, v0
	v_cmp_gt_u32_e32 vcc, s33, v1
	s_and_saveexec_b64 s[0:1], vcc
	s_cbranch_execz .LBB2236_240
; %bb.239:
	s_waitcnt lgkmcnt(0)
	v_add_co_u32_e32 v12, vcc, 0x4000, v4
	s_nop 1
	v_addc_co_u32_e32 v13, vcc, 0, v5, vcc
	flat_store_dword v[12:13], v11
.LBB2236_240:
	s_or_b64 exec, exec, s[0:1]
	v_or_b32_e32 v1, 0x1100, v0
	v_cmp_gt_u32_e32 vcc, s33, v1
	s_and_saveexec_b64 s[0:1], vcc
	s_cbranch_execz .LBB2236_242
; %bb.241:
	s_waitcnt lgkmcnt(0)
	v_add_co_u32_e32 v10, vcc, 0x4000, v4
	s_nop 1
	v_addc_co_u32_e32 v11, vcc, 0, v5, vcc
	flat_store_dword v[10:11], v8 offset:1024
.LBB2236_242:
	s_or_b64 exec, exec, s[0:1]
	v_or_b32_e32 v1, 0x1200, v0
	v_cmp_gt_u32_e32 vcc, s33, v1
	s_and_saveexec_b64 s[0:1], vcc
	s_cbranch_execz .LBB2236_244
; %bb.243:
	s_waitcnt lgkmcnt(0)
	v_add_co_u32_e32 v10, vcc, 0x4000, v4
	s_nop 1
	v_addc_co_u32_e32 v11, vcc, 0, v5, vcc
	flat_store_dword v[10:11], v9 offset:2048
.LBB2236_244:
	s_or_b64 exec, exec, s[0:1]
	v_or_b32_e32 v1, 0x1300, v0
	v_cmp_gt_u32_e32 vcc, s33, v1
	s_and_saveexec_b64 s[0:1], vcc
	s_cbranch_execz .LBB2236_246
; %bb.245:
	s_waitcnt lgkmcnt(0)
	v_add_co_u32_e32 v8, vcc, 0x4000, v4
	s_nop 1
	v_addc_co_u32_e32 v9, vcc, 0, v5, vcc
	flat_store_dword v[8:9], v6 offset:3072
.LBB2236_246:
	s_or_b64 exec, exec, s[0:1]
	v_or_b32_e32 v1, 0x1400, v0
	v_cmp_gt_u32_e32 vcc, s33, v1
	s_and_saveexec_b64 s[0:1], vcc
	s_cbranch_execz .LBB2236_248
; %bb.247:
	s_waitcnt lgkmcnt(0)
	v_add_co_u32_e32 v8, vcc, 0x5000, v4
	s_nop 1
	v_addc_co_u32_e32 v9, vcc, 0, v5, vcc
	flat_store_dword v[8:9], v7
.LBB2236_248:
	s_or_b64 exec, exec, s[0:1]
	v_or_b32_e32 v1, 0x1500, v0
	v_cmp_gt_u32_e32 vcc, s33, v1
	s_and_saveexec_b64 s[0:1], vcc
	s_cbranch_execz .LBB2236_250
; %bb.249:
	v_add_co_u32_e32 v4, vcc, 0x5000, v4
	s_nop 1
	v_addc_co_u32_e32 v5, vcc, 0, v5, vcc
	s_waitcnt lgkmcnt(0)
	flat_store_dword v[4:5], v2 offset:1024
.LBB2236_250:
	s_or_b64 exec, exec, s[0:1]
	s_waitcnt lgkmcnt(0)
	v_or_b32_e32 v2, 0x1600, v0
	v_mov_b32_e32 v1, v55
	v_cmp_gt_u32_e64 s[0:1], s33, v2
	s_branch .LBB2236_253
.LBB2236_251:
	s_mov_b64 s[0:1], 0
                                        ; implicit-def: $vgpr3
	s_cbranch_execz .LBB2236_253
; %bb.252:
	v_mul_u32_u24_e32 v1, 0x5c, v0
	s_barrier
	s_movk_i32 s4, 0x5c
	ds_write2_b32 v1, v58, v59 offset1:1
	ds_write2_b32 v1, v60, v61 offset0:2 offset1:3
	ds_write2_b32 v1, v62, v63 offset0:4 offset1:5
	;; [unrolled: 1-line block ×10, first 2 shown]
	ds_write_b32 v1, v80 offset:88
	v_mov_b32_e32 v1, 0
	v_mul_i32_i24_e32 v2, 0xffffffa8, v0
	v_mad_u32_u24 v2, v0, s4, v2
	v_mov_b32_e32 v55, v1
	s_waitcnt lgkmcnt(0)
	s_barrier
	ds_read2st64_b32 v[4:5], v2 offset1:4
	ds_read2st64_b32 v[6:7], v2 offset0:8 offset1:12
	ds_read2st64_b32 v[8:9], v2 offset0:16 offset1:20
	;; [unrolled: 1-line block ×10, first 2 shown]
	ds_read_b32 v3, v2 offset:22528
	v_lshl_add_u64 v[26:27], s[2:3], 0, v[54:55]
	s_movk_i32 s4, 0x1000
	s_waitcnt lgkmcnt(0)
	flat_store_dword v[26:27], v4
	flat_store_dword v[26:27], v5 offset:1024
	flat_store_dword v[26:27], v6 offset:2048
	;; [unrolled: 1-line block ×3, first 2 shown]
	v_add_co_u32_e32 v4, vcc, s4, v26
	s_movk_i32 s4, 0x2000
	s_nop 0
	v_addc_co_u32_e32 v5, vcc, 0, v27, vcc
	flat_store_dword v[4:5], v8
	flat_store_dword v[4:5], v9 offset:1024
	flat_store_dword v[4:5], v10 offset:2048
	;; [unrolled: 1-line block ×3, first 2 shown]
	v_add_co_u32_e32 v4, vcc, s4, v26
	s_movk_i32 s4, 0x3000
	s_nop 0
	v_addc_co_u32_e32 v5, vcc, 0, v27, vcc
	flat_store_dword v[4:5], v12
	flat_store_dword v[4:5], v13 offset:1024
	flat_store_dword v[4:5], v14 offset:2048
	;; [unrolled: 1-line block ×3, first 2 shown]
	v_add_co_u32_e32 v4, vcc, s4, v26
	s_or_b64 s[0:1], s[0:1], exec
	s_nop 0
	v_addc_co_u32_e32 v5, vcc, 0, v27, vcc
	flat_store_dword v[4:5], v16
	flat_store_dword v[4:5], v17 offset:1024
	flat_store_dword v[4:5], v18 offset:2048
	;; [unrolled: 1-line block ×3, first 2 shown]
	v_add_co_u32_e32 v4, vcc, 0x4000, v26
	s_nop 1
	v_addc_co_u32_e32 v5, vcc, 0, v27, vcc
	flat_store_dword v[4:5], v20
	flat_store_dword v[4:5], v21 offset:1024
	flat_store_dword v[4:5], v22 offset:2048
	;; [unrolled: 1-line block ×3, first 2 shown]
	v_add_co_u32_e32 v4, vcc, 0x5000, v26
	s_nop 1
	v_addc_co_u32_e32 v5, vcc, 0, v27, vcc
	flat_store_dword v[4:5], v24
	flat_store_dword v[4:5], v25 offset:1024
.LBB2236_253:
	s_and_saveexec_b64 s[4:5], s[0:1]
	s_cbranch_execz .LBB2236_255
; %bb.254:
	v_lshl_add_u64 v[0:1], v[0:1], 2, s[2:3]
	v_add_co_u32_e32 v0, vcc, 0x5000, v0
	s_nop 1
	v_addc_co_u32_e32 v1, vcc, 0, v1, vcc
	flat_store_dword v[0:1], v3 offset:2048
	s_endpgm
.LBB2236_255:
	s_endpgm
	.section	.rodata,"a",@progbits
	.p2align	6, 0x0
	.amdhsa_kernel _ZN7rocprim17ROCPRIM_400000_NS6detail17trampoline_kernelINS0_14default_configENS1_27scan_by_key_config_selectorIiiEEZZNS1_16scan_by_key_implILNS1_25lookback_scan_determinismE0ELb1ES3_N6thrust23THRUST_200600_302600_NS10device_ptrIiEESB_SB_iNS9_4plusIvEENS9_8equal_toIvEEiEE10hipError_tPvRmT2_T3_T4_T5_mT6_T7_P12ihipStream_tbENKUlT_T0_E_clISt17integral_constantIbLb0EESW_EEDaSR_SS_EUlSR_E_NS1_11comp_targetILNS1_3genE5ELNS1_11target_archE942ELNS1_3gpuE9ELNS1_3repE0EEENS1_30default_config_static_selectorELNS0_4arch9wavefront6targetE1EEEvT1_
		.amdhsa_group_segment_fixed_size 25600
		.amdhsa_private_segment_fixed_size 0
		.amdhsa_kernarg_size 112
		.amdhsa_user_sgpr_count 2
		.amdhsa_user_sgpr_dispatch_ptr 0
		.amdhsa_user_sgpr_queue_ptr 0
		.amdhsa_user_sgpr_kernarg_segment_ptr 1
		.amdhsa_user_sgpr_dispatch_id 0
		.amdhsa_user_sgpr_kernarg_preload_length 0
		.amdhsa_user_sgpr_kernarg_preload_offset 0
		.amdhsa_user_sgpr_private_segment_size 0
		.amdhsa_uses_dynamic_stack 0
		.amdhsa_enable_private_segment 0
		.amdhsa_system_sgpr_workgroup_id_x 1
		.amdhsa_system_sgpr_workgroup_id_y 0
		.amdhsa_system_sgpr_workgroup_id_z 0
		.amdhsa_system_sgpr_workgroup_info 0
		.amdhsa_system_vgpr_workitem_id 0
		.amdhsa_next_free_vgpr 81
		.amdhsa_next_free_sgpr 80
		.amdhsa_accum_offset 84
		.amdhsa_reserve_vcc 1
		.amdhsa_float_round_mode_32 0
		.amdhsa_float_round_mode_16_64 0
		.amdhsa_float_denorm_mode_32 3
		.amdhsa_float_denorm_mode_16_64 3
		.amdhsa_dx10_clamp 1
		.amdhsa_ieee_mode 1
		.amdhsa_fp16_overflow 0
		.amdhsa_tg_split 0
		.amdhsa_exception_fp_ieee_invalid_op 0
		.amdhsa_exception_fp_denorm_src 0
		.amdhsa_exception_fp_ieee_div_zero 0
		.amdhsa_exception_fp_ieee_overflow 0
		.amdhsa_exception_fp_ieee_underflow 0
		.amdhsa_exception_fp_ieee_inexact 0
		.amdhsa_exception_int_div_zero 0
	.end_amdhsa_kernel
	.section	.text._ZN7rocprim17ROCPRIM_400000_NS6detail17trampoline_kernelINS0_14default_configENS1_27scan_by_key_config_selectorIiiEEZZNS1_16scan_by_key_implILNS1_25lookback_scan_determinismE0ELb1ES3_N6thrust23THRUST_200600_302600_NS10device_ptrIiEESB_SB_iNS9_4plusIvEENS9_8equal_toIvEEiEE10hipError_tPvRmT2_T3_T4_T5_mT6_T7_P12ihipStream_tbENKUlT_T0_E_clISt17integral_constantIbLb0EESW_EEDaSR_SS_EUlSR_E_NS1_11comp_targetILNS1_3genE5ELNS1_11target_archE942ELNS1_3gpuE9ELNS1_3repE0EEENS1_30default_config_static_selectorELNS0_4arch9wavefront6targetE1EEEvT1_,"axG",@progbits,_ZN7rocprim17ROCPRIM_400000_NS6detail17trampoline_kernelINS0_14default_configENS1_27scan_by_key_config_selectorIiiEEZZNS1_16scan_by_key_implILNS1_25lookback_scan_determinismE0ELb1ES3_N6thrust23THRUST_200600_302600_NS10device_ptrIiEESB_SB_iNS9_4plusIvEENS9_8equal_toIvEEiEE10hipError_tPvRmT2_T3_T4_T5_mT6_T7_P12ihipStream_tbENKUlT_T0_E_clISt17integral_constantIbLb0EESW_EEDaSR_SS_EUlSR_E_NS1_11comp_targetILNS1_3genE5ELNS1_11target_archE942ELNS1_3gpuE9ELNS1_3repE0EEENS1_30default_config_static_selectorELNS0_4arch9wavefront6targetE1EEEvT1_,comdat
.Lfunc_end2236:
	.size	_ZN7rocprim17ROCPRIM_400000_NS6detail17trampoline_kernelINS0_14default_configENS1_27scan_by_key_config_selectorIiiEEZZNS1_16scan_by_key_implILNS1_25lookback_scan_determinismE0ELb1ES3_N6thrust23THRUST_200600_302600_NS10device_ptrIiEESB_SB_iNS9_4plusIvEENS9_8equal_toIvEEiEE10hipError_tPvRmT2_T3_T4_T5_mT6_T7_P12ihipStream_tbENKUlT_T0_E_clISt17integral_constantIbLb0EESW_EEDaSR_SS_EUlSR_E_NS1_11comp_targetILNS1_3genE5ELNS1_11target_archE942ELNS1_3gpuE9ELNS1_3repE0EEENS1_30default_config_static_selectorELNS0_4arch9wavefront6targetE1EEEvT1_, .Lfunc_end2236-_ZN7rocprim17ROCPRIM_400000_NS6detail17trampoline_kernelINS0_14default_configENS1_27scan_by_key_config_selectorIiiEEZZNS1_16scan_by_key_implILNS1_25lookback_scan_determinismE0ELb1ES3_N6thrust23THRUST_200600_302600_NS10device_ptrIiEESB_SB_iNS9_4plusIvEENS9_8equal_toIvEEiEE10hipError_tPvRmT2_T3_T4_T5_mT6_T7_P12ihipStream_tbENKUlT_T0_E_clISt17integral_constantIbLb0EESW_EEDaSR_SS_EUlSR_E_NS1_11comp_targetILNS1_3genE5ELNS1_11target_archE942ELNS1_3gpuE9ELNS1_3repE0EEENS1_30default_config_static_selectorELNS0_4arch9wavefront6targetE1EEEvT1_
                                        ; -- End function
	.section	.AMDGPU.csdata,"",@progbits
; Kernel info:
; codeLenInByte = 15680
; NumSgprs: 86
; NumVgprs: 81
; NumAgprs: 0
; TotalNumVgprs: 81
; ScratchSize: 0
; MemoryBound: 0
; FloatMode: 240
; IeeeMode: 1
; LDSByteSize: 25600 bytes/workgroup (compile time only)
; SGPRBlocks: 10
; VGPRBlocks: 10
; NumSGPRsForWavesPerEU: 86
; NumVGPRsForWavesPerEU: 81
; AccumOffset: 84
; Occupancy: 2
; WaveLimiterHint : 1
; COMPUTE_PGM_RSRC2:SCRATCH_EN: 0
; COMPUTE_PGM_RSRC2:USER_SGPR: 2
; COMPUTE_PGM_RSRC2:TRAP_HANDLER: 0
; COMPUTE_PGM_RSRC2:TGID_X_EN: 1
; COMPUTE_PGM_RSRC2:TGID_Y_EN: 0
; COMPUTE_PGM_RSRC2:TGID_Z_EN: 0
; COMPUTE_PGM_RSRC2:TIDIG_COMP_CNT: 0
; COMPUTE_PGM_RSRC3_GFX90A:ACCUM_OFFSET: 20
; COMPUTE_PGM_RSRC3_GFX90A:TG_SPLIT: 0
	.section	.text._ZN7rocprim17ROCPRIM_400000_NS6detail17trampoline_kernelINS0_14default_configENS1_27scan_by_key_config_selectorIiiEEZZNS1_16scan_by_key_implILNS1_25lookback_scan_determinismE0ELb1ES3_N6thrust23THRUST_200600_302600_NS10device_ptrIiEESB_SB_iNS9_4plusIvEENS9_8equal_toIvEEiEE10hipError_tPvRmT2_T3_T4_T5_mT6_T7_P12ihipStream_tbENKUlT_T0_E_clISt17integral_constantIbLb0EESW_EEDaSR_SS_EUlSR_E_NS1_11comp_targetILNS1_3genE4ELNS1_11target_archE910ELNS1_3gpuE8ELNS1_3repE0EEENS1_30default_config_static_selectorELNS0_4arch9wavefront6targetE1EEEvT1_,"axG",@progbits,_ZN7rocprim17ROCPRIM_400000_NS6detail17trampoline_kernelINS0_14default_configENS1_27scan_by_key_config_selectorIiiEEZZNS1_16scan_by_key_implILNS1_25lookback_scan_determinismE0ELb1ES3_N6thrust23THRUST_200600_302600_NS10device_ptrIiEESB_SB_iNS9_4plusIvEENS9_8equal_toIvEEiEE10hipError_tPvRmT2_T3_T4_T5_mT6_T7_P12ihipStream_tbENKUlT_T0_E_clISt17integral_constantIbLb0EESW_EEDaSR_SS_EUlSR_E_NS1_11comp_targetILNS1_3genE4ELNS1_11target_archE910ELNS1_3gpuE8ELNS1_3repE0EEENS1_30default_config_static_selectorELNS0_4arch9wavefront6targetE1EEEvT1_,comdat
	.protected	_ZN7rocprim17ROCPRIM_400000_NS6detail17trampoline_kernelINS0_14default_configENS1_27scan_by_key_config_selectorIiiEEZZNS1_16scan_by_key_implILNS1_25lookback_scan_determinismE0ELb1ES3_N6thrust23THRUST_200600_302600_NS10device_ptrIiEESB_SB_iNS9_4plusIvEENS9_8equal_toIvEEiEE10hipError_tPvRmT2_T3_T4_T5_mT6_T7_P12ihipStream_tbENKUlT_T0_E_clISt17integral_constantIbLb0EESW_EEDaSR_SS_EUlSR_E_NS1_11comp_targetILNS1_3genE4ELNS1_11target_archE910ELNS1_3gpuE8ELNS1_3repE0EEENS1_30default_config_static_selectorELNS0_4arch9wavefront6targetE1EEEvT1_ ; -- Begin function _ZN7rocprim17ROCPRIM_400000_NS6detail17trampoline_kernelINS0_14default_configENS1_27scan_by_key_config_selectorIiiEEZZNS1_16scan_by_key_implILNS1_25lookback_scan_determinismE0ELb1ES3_N6thrust23THRUST_200600_302600_NS10device_ptrIiEESB_SB_iNS9_4plusIvEENS9_8equal_toIvEEiEE10hipError_tPvRmT2_T3_T4_T5_mT6_T7_P12ihipStream_tbENKUlT_T0_E_clISt17integral_constantIbLb0EESW_EEDaSR_SS_EUlSR_E_NS1_11comp_targetILNS1_3genE4ELNS1_11target_archE910ELNS1_3gpuE8ELNS1_3repE0EEENS1_30default_config_static_selectorELNS0_4arch9wavefront6targetE1EEEvT1_
	.globl	_ZN7rocprim17ROCPRIM_400000_NS6detail17trampoline_kernelINS0_14default_configENS1_27scan_by_key_config_selectorIiiEEZZNS1_16scan_by_key_implILNS1_25lookback_scan_determinismE0ELb1ES3_N6thrust23THRUST_200600_302600_NS10device_ptrIiEESB_SB_iNS9_4plusIvEENS9_8equal_toIvEEiEE10hipError_tPvRmT2_T3_T4_T5_mT6_T7_P12ihipStream_tbENKUlT_T0_E_clISt17integral_constantIbLb0EESW_EEDaSR_SS_EUlSR_E_NS1_11comp_targetILNS1_3genE4ELNS1_11target_archE910ELNS1_3gpuE8ELNS1_3repE0EEENS1_30default_config_static_selectorELNS0_4arch9wavefront6targetE1EEEvT1_
	.p2align	8
	.type	_ZN7rocprim17ROCPRIM_400000_NS6detail17trampoline_kernelINS0_14default_configENS1_27scan_by_key_config_selectorIiiEEZZNS1_16scan_by_key_implILNS1_25lookback_scan_determinismE0ELb1ES3_N6thrust23THRUST_200600_302600_NS10device_ptrIiEESB_SB_iNS9_4plusIvEENS9_8equal_toIvEEiEE10hipError_tPvRmT2_T3_T4_T5_mT6_T7_P12ihipStream_tbENKUlT_T0_E_clISt17integral_constantIbLb0EESW_EEDaSR_SS_EUlSR_E_NS1_11comp_targetILNS1_3genE4ELNS1_11target_archE910ELNS1_3gpuE8ELNS1_3repE0EEENS1_30default_config_static_selectorELNS0_4arch9wavefront6targetE1EEEvT1_,@function
_ZN7rocprim17ROCPRIM_400000_NS6detail17trampoline_kernelINS0_14default_configENS1_27scan_by_key_config_selectorIiiEEZZNS1_16scan_by_key_implILNS1_25lookback_scan_determinismE0ELb1ES3_N6thrust23THRUST_200600_302600_NS10device_ptrIiEESB_SB_iNS9_4plusIvEENS9_8equal_toIvEEiEE10hipError_tPvRmT2_T3_T4_T5_mT6_T7_P12ihipStream_tbENKUlT_T0_E_clISt17integral_constantIbLb0EESW_EEDaSR_SS_EUlSR_E_NS1_11comp_targetILNS1_3genE4ELNS1_11target_archE910ELNS1_3gpuE8ELNS1_3repE0EEENS1_30default_config_static_selectorELNS0_4arch9wavefront6targetE1EEEvT1_: ; @_ZN7rocprim17ROCPRIM_400000_NS6detail17trampoline_kernelINS0_14default_configENS1_27scan_by_key_config_selectorIiiEEZZNS1_16scan_by_key_implILNS1_25lookback_scan_determinismE0ELb1ES3_N6thrust23THRUST_200600_302600_NS10device_ptrIiEESB_SB_iNS9_4plusIvEENS9_8equal_toIvEEiEE10hipError_tPvRmT2_T3_T4_T5_mT6_T7_P12ihipStream_tbENKUlT_T0_E_clISt17integral_constantIbLb0EESW_EEDaSR_SS_EUlSR_E_NS1_11comp_targetILNS1_3genE4ELNS1_11target_archE910ELNS1_3gpuE8ELNS1_3repE0EEENS1_30default_config_static_selectorELNS0_4arch9wavefront6targetE1EEEvT1_
; %bb.0:
	.section	.rodata,"a",@progbits
	.p2align	6, 0x0
	.amdhsa_kernel _ZN7rocprim17ROCPRIM_400000_NS6detail17trampoline_kernelINS0_14default_configENS1_27scan_by_key_config_selectorIiiEEZZNS1_16scan_by_key_implILNS1_25lookback_scan_determinismE0ELb1ES3_N6thrust23THRUST_200600_302600_NS10device_ptrIiEESB_SB_iNS9_4plusIvEENS9_8equal_toIvEEiEE10hipError_tPvRmT2_T3_T4_T5_mT6_T7_P12ihipStream_tbENKUlT_T0_E_clISt17integral_constantIbLb0EESW_EEDaSR_SS_EUlSR_E_NS1_11comp_targetILNS1_3genE4ELNS1_11target_archE910ELNS1_3gpuE8ELNS1_3repE0EEENS1_30default_config_static_selectorELNS0_4arch9wavefront6targetE1EEEvT1_
		.amdhsa_group_segment_fixed_size 0
		.amdhsa_private_segment_fixed_size 0
		.amdhsa_kernarg_size 112
		.amdhsa_user_sgpr_count 2
		.amdhsa_user_sgpr_dispatch_ptr 0
		.amdhsa_user_sgpr_queue_ptr 0
		.amdhsa_user_sgpr_kernarg_segment_ptr 1
		.amdhsa_user_sgpr_dispatch_id 0
		.amdhsa_user_sgpr_kernarg_preload_length 0
		.amdhsa_user_sgpr_kernarg_preload_offset 0
		.amdhsa_user_sgpr_private_segment_size 0
		.amdhsa_uses_dynamic_stack 0
		.amdhsa_enable_private_segment 0
		.amdhsa_system_sgpr_workgroup_id_x 1
		.amdhsa_system_sgpr_workgroup_id_y 0
		.amdhsa_system_sgpr_workgroup_id_z 0
		.amdhsa_system_sgpr_workgroup_info 0
		.amdhsa_system_vgpr_workitem_id 0
		.amdhsa_next_free_vgpr 1
		.amdhsa_next_free_sgpr 0
		.amdhsa_accum_offset 4
		.amdhsa_reserve_vcc 0
		.amdhsa_float_round_mode_32 0
		.amdhsa_float_round_mode_16_64 0
		.amdhsa_float_denorm_mode_32 3
		.amdhsa_float_denorm_mode_16_64 3
		.amdhsa_dx10_clamp 1
		.amdhsa_ieee_mode 1
		.amdhsa_fp16_overflow 0
		.amdhsa_tg_split 0
		.amdhsa_exception_fp_ieee_invalid_op 0
		.amdhsa_exception_fp_denorm_src 0
		.amdhsa_exception_fp_ieee_div_zero 0
		.amdhsa_exception_fp_ieee_overflow 0
		.amdhsa_exception_fp_ieee_underflow 0
		.amdhsa_exception_fp_ieee_inexact 0
		.amdhsa_exception_int_div_zero 0
	.end_amdhsa_kernel
	.section	.text._ZN7rocprim17ROCPRIM_400000_NS6detail17trampoline_kernelINS0_14default_configENS1_27scan_by_key_config_selectorIiiEEZZNS1_16scan_by_key_implILNS1_25lookback_scan_determinismE0ELb1ES3_N6thrust23THRUST_200600_302600_NS10device_ptrIiEESB_SB_iNS9_4plusIvEENS9_8equal_toIvEEiEE10hipError_tPvRmT2_T3_T4_T5_mT6_T7_P12ihipStream_tbENKUlT_T0_E_clISt17integral_constantIbLb0EESW_EEDaSR_SS_EUlSR_E_NS1_11comp_targetILNS1_3genE4ELNS1_11target_archE910ELNS1_3gpuE8ELNS1_3repE0EEENS1_30default_config_static_selectorELNS0_4arch9wavefront6targetE1EEEvT1_,"axG",@progbits,_ZN7rocprim17ROCPRIM_400000_NS6detail17trampoline_kernelINS0_14default_configENS1_27scan_by_key_config_selectorIiiEEZZNS1_16scan_by_key_implILNS1_25lookback_scan_determinismE0ELb1ES3_N6thrust23THRUST_200600_302600_NS10device_ptrIiEESB_SB_iNS9_4plusIvEENS9_8equal_toIvEEiEE10hipError_tPvRmT2_T3_T4_T5_mT6_T7_P12ihipStream_tbENKUlT_T0_E_clISt17integral_constantIbLb0EESW_EEDaSR_SS_EUlSR_E_NS1_11comp_targetILNS1_3genE4ELNS1_11target_archE910ELNS1_3gpuE8ELNS1_3repE0EEENS1_30default_config_static_selectorELNS0_4arch9wavefront6targetE1EEEvT1_,comdat
.Lfunc_end2237:
	.size	_ZN7rocprim17ROCPRIM_400000_NS6detail17trampoline_kernelINS0_14default_configENS1_27scan_by_key_config_selectorIiiEEZZNS1_16scan_by_key_implILNS1_25lookback_scan_determinismE0ELb1ES3_N6thrust23THRUST_200600_302600_NS10device_ptrIiEESB_SB_iNS9_4plusIvEENS9_8equal_toIvEEiEE10hipError_tPvRmT2_T3_T4_T5_mT6_T7_P12ihipStream_tbENKUlT_T0_E_clISt17integral_constantIbLb0EESW_EEDaSR_SS_EUlSR_E_NS1_11comp_targetILNS1_3genE4ELNS1_11target_archE910ELNS1_3gpuE8ELNS1_3repE0EEENS1_30default_config_static_selectorELNS0_4arch9wavefront6targetE1EEEvT1_, .Lfunc_end2237-_ZN7rocprim17ROCPRIM_400000_NS6detail17trampoline_kernelINS0_14default_configENS1_27scan_by_key_config_selectorIiiEEZZNS1_16scan_by_key_implILNS1_25lookback_scan_determinismE0ELb1ES3_N6thrust23THRUST_200600_302600_NS10device_ptrIiEESB_SB_iNS9_4plusIvEENS9_8equal_toIvEEiEE10hipError_tPvRmT2_T3_T4_T5_mT6_T7_P12ihipStream_tbENKUlT_T0_E_clISt17integral_constantIbLb0EESW_EEDaSR_SS_EUlSR_E_NS1_11comp_targetILNS1_3genE4ELNS1_11target_archE910ELNS1_3gpuE8ELNS1_3repE0EEENS1_30default_config_static_selectorELNS0_4arch9wavefront6targetE1EEEvT1_
                                        ; -- End function
	.section	.AMDGPU.csdata,"",@progbits
; Kernel info:
; codeLenInByte = 0
; NumSgprs: 6
; NumVgprs: 0
; NumAgprs: 0
; TotalNumVgprs: 0
; ScratchSize: 0
; MemoryBound: 0
; FloatMode: 240
; IeeeMode: 1
; LDSByteSize: 0 bytes/workgroup (compile time only)
; SGPRBlocks: 0
; VGPRBlocks: 0
; NumSGPRsForWavesPerEU: 6
; NumVGPRsForWavesPerEU: 1
; AccumOffset: 4
; Occupancy: 8
; WaveLimiterHint : 0
; COMPUTE_PGM_RSRC2:SCRATCH_EN: 0
; COMPUTE_PGM_RSRC2:USER_SGPR: 2
; COMPUTE_PGM_RSRC2:TRAP_HANDLER: 0
; COMPUTE_PGM_RSRC2:TGID_X_EN: 1
; COMPUTE_PGM_RSRC2:TGID_Y_EN: 0
; COMPUTE_PGM_RSRC2:TGID_Z_EN: 0
; COMPUTE_PGM_RSRC2:TIDIG_COMP_CNT: 0
; COMPUTE_PGM_RSRC3_GFX90A:ACCUM_OFFSET: 0
; COMPUTE_PGM_RSRC3_GFX90A:TG_SPLIT: 0
	.section	.text._ZN7rocprim17ROCPRIM_400000_NS6detail17trampoline_kernelINS0_14default_configENS1_27scan_by_key_config_selectorIiiEEZZNS1_16scan_by_key_implILNS1_25lookback_scan_determinismE0ELb1ES3_N6thrust23THRUST_200600_302600_NS10device_ptrIiEESB_SB_iNS9_4plusIvEENS9_8equal_toIvEEiEE10hipError_tPvRmT2_T3_T4_T5_mT6_T7_P12ihipStream_tbENKUlT_T0_E_clISt17integral_constantIbLb0EESW_EEDaSR_SS_EUlSR_E_NS1_11comp_targetILNS1_3genE3ELNS1_11target_archE908ELNS1_3gpuE7ELNS1_3repE0EEENS1_30default_config_static_selectorELNS0_4arch9wavefront6targetE1EEEvT1_,"axG",@progbits,_ZN7rocprim17ROCPRIM_400000_NS6detail17trampoline_kernelINS0_14default_configENS1_27scan_by_key_config_selectorIiiEEZZNS1_16scan_by_key_implILNS1_25lookback_scan_determinismE0ELb1ES3_N6thrust23THRUST_200600_302600_NS10device_ptrIiEESB_SB_iNS9_4plusIvEENS9_8equal_toIvEEiEE10hipError_tPvRmT2_T3_T4_T5_mT6_T7_P12ihipStream_tbENKUlT_T0_E_clISt17integral_constantIbLb0EESW_EEDaSR_SS_EUlSR_E_NS1_11comp_targetILNS1_3genE3ELNS1_11target_archE908ELNS1_3gpuE7ELNS1_3repE0EEENS1_30default_config_static_selectorELNS0_4arch9wavefront6targetE1EEEvT1_,comdat
	.protected	_ZN7rocprim17ROCPRIM_400000_NS6detail17trampoline_kernelINS0_14default_configENS1_27scan_by_key_config_selectorIiiEEZZNS1_16scan_by_key_implILNS1_25lookback_scan_determinismE0ELb1ES3_N6thrust23THRUST_200600_302600_NS10device_ptrIiEESB_SB_iNS9_4plusIvEENS9_8equal_toIvEEiEE10hipError_tPvRmT2_T3_T4_T5_mT6_T7_P12ihipStream_tbENKUlT_T0_E_clISt17integral_constantIbLb0EESW_EEDaSR_SS_EUlSR_E_NS1_11comp_targetILNS1_3genE3ELNS1_11target_archE908ELNS1_3gpuE7ELNS1_3repE0EEENS1_30default_config_static_selectorELNS0_4arch9wavefront6targetE1EEEvT1_ ; -- Begin function _ZN7rocprim17ROCPRIM_400000_NS6detail17trampoline_kernelINS0_14default_configENS1_27scan_by_key_config_selectorIiiEEZZNS1_16scan_by_key_implILNS1_25lookback_scan_determinismE0ELb1ES3_N6thrust23THRUST_200600_302600_NS10device_ptrIiEESB_SB_iNS9_4plusIvEENS9_8equal_toIvEEiEE10hipError_tPvRmT2_T3_T4_T5_mT6_T7_P12ihipStream_tbENKUlT_T0_E_clISt17integral_constantIbLb0EESW_EEDaSR_SS_EUlSR_E_NS1_11comp_targetILNS1_3genE3ELNS1_11target_archE908ELNS1_3gpuE7ELNS1_3repE0EEENS1_30default_config_static_selectorELNS0_4arch9wavefront6targetE1EEEvT1_
	.globl	_ZN7rocprim17ROCPRIM_400000_NS6detail17trampoline_kernelINS0_14default_configENS1_27scan_by_key_config_selectorIiiEEZZNS1_16scan_by_key_implILNS1_25lookback_scan_determinismE0ELb1ES3_N6thrust23THRUST_200600_302600_NS10device_ptrIiEESB_SB_iNS9_4plusIvEENS9_8equal_toIvEEiEE10hipError_tPvRmT2_T3_T4_T5_mT6_T7_P12ihipStream_tbENKUlT_T0_E_clISt17integral_constantIbLb0EESW_EEDaSR_SS_EUlSR_E_NS1_11comp_targetILNS1_3genE3ELNS1_11target_archE908ELNS1_3gpuE7ELNS1_3repE0EEENS1_30default_config_static_selectorELNS0_4arch9wavefront6targetE1EEEvT1_
	.p2align	8
	.type	_ZN7rocprim17ROCPRIM_400000_NS6detail17trampoline_kernelINS0_14default_configENS1_27scan_by_key_config_selectorIiiEEZZNS1_16scan_by_key_implILNS1_25lookback_scan_determinismE0ELb1ES3_N6thrust23THRUST_200600_302600_NS10device_ptrIiEESB_SB_iNS9_4plusIvEENS9_8equal_toIvEEiEE10hipError_tPvRmT2_T3_T4_T5_mT6_T7_P12ihipStream_tbENKUlT_T0_E_clISt17integral_constantIbLb0EESW_EEDaSR_SS_EUlSR_E_NS1_11comp_targetILNS1_3genE3ELNS1_11target_archE908ELNS1_3gpuE7ELNS1_3repE0EEENS1_30default_config_static_selectorELNS0_4arch9wavefront6targetE1EEEvT1_,@function
_ZN7rocprim17ROCPRIM_400000_NS6detail17trampoline_kernelINS0_14default_configENS1_27scan_by_key_config_selectorIiiEEZZNS1_16scan_by_key_implILNS1_25lookback_scan_determinismE0ELb1ES3_N6thrust23THRUST_200600_302600_NS10device_ptrIiEESB_SB_iNS9_4plusIvEENS9_8equal_toIvEEiEE10hipError_tPvRmT2_T3_T4_T5_mT6_T7_P12ihipStream_tbENKUlT_T0_E_clISt17integral_constantIbLb0EESW_EEDaSR_SS_EUlSR_E_NS1_11comp_targetILNS1_3genE3ELNS1_11target_archE908ELNS1_3gpuE7ELNS1_3repE0EEENS1_30default_config_static_selectorELNS0_4arch9wavefront6targetE1EEEvT1_: ; @_ZN7rocprim17ROCPRIM_400000_NS6detail17trampoline_kernelINS0_14default_configENS1_27scan_by_key_config_selectorIiiEEZZNS1_16scan_by_key_implILNS1_25lookback_scan_determinismE0ELb1ES3_N6thrust23THRUST_200600_302600_NS10device_ptrIiEESB_SB_iNS9_4plusIvEENS9_8equal_toIvEEiEE10hipError_tPvRmT2_T3_T4_T5_mT6_T7_P12ihipStream_tbENKUlT_T0_E_clISt17integral_constantIbLb0EESW_EEDaSR_SS_EUlSR_E_NS1_11comp_targetILNS1_3genE3ELNS1_11target_archE908ELNS1_3gpuE7ELNS1_3repE0EEENS1_30default_config_static_selectorELNS0_4arch9wavefront6targetE1EEEvT1_
; %bb.0:
	.section	.rodata,"a",@progbits
	.p2align	6, 0x0
	.amdhsa_kernel _ZN7rocprim17ROCPRIM_400000_NS6detail17trampoline_kernelINS0_14default_configENS1_27scan_by_key_config_selectorIiiEEZZNS1_16scan_by_key_implILNS1_25lookback_scan_determinismE0ELb1ES3_N6thrust23THRUST_200600_302600_NS10device_ptrIiEESB_SB_iNS9_4plusIvEENS9_8equal_toIvEEiEE10hipError_tPvRmT2_T3_T4_T5_mT6_T7_P12ihipStream_tbENKUlT_T0_E_clISt17integral_constantIbLb0EESW_EEDaSR_SS_EUlSR_E_NS1_11comp_targetILNS1_3genE3ELNS1_11target_archE908ELNS1_3gpuE7ELNS1_3repE0EEENS1_30default_config_static_selectorELNS0_4arch9wavefront6targetE1EEEvT1_
		.amdhsa_group_segment_fixed_size 0
		.amdhsa_private_segment_fixed_size 0
		.amdhsa_kernarg_size 112
		.amdhsa_user_sgpr_count 2
		.amdhsa_user_sgpr_dispatch_ptr 0
		.amdhsa_user_sgpr_queue_ptr 0
		.amdhsa_user_sgpr_kernarg_segment_ptr 1
		.amdhsa_user_sgpr_dispatch_id 0
		.amdhsa_user_sgpr_kernarg_preload_length 0
		.amdhsa_user_sgpr_kernarg_preload_offset 0
		.amdhsa_user_sgpr_private_segment_size 0
		.amdhsa_uses_dynamic_stack 0
		.amdhsa_enable_private_segment 0
		.amdhsa_system_sgpr_workgroup_id_x 1
		.amdhsa_system_sgpr_workgroup_id_y 0
		.amdhsa_system_sgpr_workgroup_id_z 0
		.amdhsa_system_sgpr_workgroup_info 0
		.amdhsa_system_vgpr_workitem_id 0
		.amdhsa_next_free_vgpr 1
		.amdhsa_next_free_sgpr 0
		.amdhsa_accum_offset 4
		.amdhsa_reserve_vcc 0
		.amdhsa_float_round_mode_32 0
		.amdhsa_float_round_mode_16_64 0
		.amdhsa_float_denorm_mode_32 3
		.amdhsa_float_denorm_mode_16_64 3
		.amdhsa_dx10_clamp 1
		.amdhsa_ieee_mode 1
		.amdhsa_fp16_overflow 0
		.amdhsa_tg_split 0
		.amdhsa_exception_fp_ieee_invalid_op 0
		.amdhsa_exception_fp_denorm_src 0
		.amdhsa_exception_fp_ieee_div_zero 0
		.amdhsa_exception_fp_ieee_overflow 0
		.amdhsa_exception_fp_ieee_underflow 0
		.amdhsa_exception_fp_ieee_inexact 0
		.amdhsa_exception_int_div_zero 0
	.end_amdhsa_kernel
	.section	.text._ZN7rocprim17ROCPRIM_400000_NS6detail17trampoline_kernelINS0_14default_configENS1_27scan_by_key_config_selectorIiiEEZZNS1_16scan_by_key_implILNS1_25lookback_scan_determinismE0ELb1ES3_N6thrust23THRUST_200600_302600_NS10device_ptrIiEESB_SB_iNS9_4plusIvEENS9_8equal_toIvEEiEE10hipError_tPvRmT2_T3_T4_T5_mT6_T7_P12ihipStream_tbENKUlT_T0_E_clISt17integral_constantIbLb0EESW_EEDaSR_SS_EUlSR_E_NS1_11comp_targetILNS1_3genE3ELNS1_11target_archE908ELNS1_3gpuE7ELNS1_3repE0EEENS1_30default_config_static_selectorELNS0_4arch9wavefront6targetE1EEEvT1_,"axG",@progbits,_ZN7rocprim17ROCPRIM_400000_NS6detail17trampoline_kernelINS0_14default_configENS1_27scan_by_key_config_selectorIiiEEZZNS1_16scan_by_key_implILNS1_25lookback_scan_determinismE0ELb1ES3_N6thrust23THRUST_200600_302600_NS10device_ptrIiEESB_SB_iNS9_4plusIvEENS9_8equal_toIvEEiEE10hipError_tPvRmT2_T3_T4_T5_mT6_T7_P12ihipStream_tbENKUlT_T0_E_clISt17integral_constantIbLb0EESW_EEDaSR_SS_EUlSR_E_NS1_11comp_targetILNS1_3genE3ELNS1_11target_archE908ELNS1_3gpuE7ELNS1_3repE0EEENS1_30default_config_static_selectorELNS0_4arch9wavefront6targetE1EEEvT1_,comdat
.Lfunc_end2238:
	.size	_ZN7rocprim17ROCPRIM_400000_NS6detail17trampoline_kernelINS0_14default_configENS1_27scan_by_key_config_selectorIiiEEZZNS1_16scan_by_key_implILNS1_25lookback_scan_determinismE0ELb1ES3_N6thrust23THRUST_200600_302600_NS10device_ptrIiEESB_SB_iNS9_4plusIvEENS9_8equal_toIvEEiEE10hipError_tPvRmT2_T3_T4_T5_mT6_T7_P12ihipStream_tbENKUlT_T0_E_clISt17integral_constantIbLb0EESW_EEDaSR_SS_EUlSR_E_NS1_11comp_targetILNS1_3genE3ELNS1_11target_archE908ELNS1_3gpuE7ELNS1_3repE0EEENS1_30default_config_static_selectorELNS0_4arch9wavefront6targetE1EEEvT1_, .Lfunc_end2238-_ZN7rocprim17ROCPRIM_400000_NS6detail17trampoline_kernelINS0_14default_configENS1_27scan_by_key_config_selectorIiiEEZZNS1_16scan_by_key_implILNS1_25lookback_scan_determinismE0ELb1ES3_N6thrust23THRUST_200600_302600_NS10device_ptrIiEESB_SB_iNS9_4plusIvEENS9_8equal_toIvEEiEE10hipError_tPvRmT2_T3_T4_T5_mT6_T7_P12ihipStream_tbENKUlT_T0_E_clISt17integral_constantIbLb0EESW_EEDaSR_SS_EUlSR_E_NS1_11comp_targetILNS1_3genE3ELNS1_11target_archE908ELNS1_3gpuE7ELNS1_3repE0EEENS1_30default_config_static_selectorELNS0_4arch9wavefront6targetE1EEEvT1_
                                        ; -- End function
	.section	.AMDGPU.csdata,"",@progbits
; Kernel info:
; codeLenInByte = 0
; NumSgprs: 6
; NumVgprs: 0
; NumAgprs: 0
; TotalNumVgprs: 0
; ScratchSize: 0
; MemoryBound: 0
; FloatMode: 240
; IeeeMode: 1
; LDSByteSize: 0 bytes/workgroup (compile time only)
; SGPRBlocks: 0
; VGPRBlocks: 0
; NumSGPRsForWavesPerEU: 6
; NumVGPRsForWavesPerEU: 1
; AccumOffset: 4
; Occupancy: 8
; WaveLimiterHint : 0
; COMPUTE_PGM_RSRC2:SCRATCH_EN: 0
; COMPUTE_PGM_RSRC2:USER_SGPR: 2
; COMPUTE_PGM_RSRC2:TRAP_HANDLER: 0
; COMPUTE_PGM_RSRC2:TGID_X_EN: 1
; COMPUTE_PGM_RSRC2:TGID_Y_EN: 0
; COMPUTE_PGM_RSRC2:TGID_Z_EN: 0
; COMPUTE_PGM_RSRC2:TIDIG_COMP_CNT: 0
; COMPUTE_PGM_RSRC3_GFX90A:ACCUM_OFFSET: 0
; COMPUTE_PGM_RSRC3_GFX90A:TG_SPLIT: 0
	.section	.text._ZN7rocprim17ROCPRIM_400000_NS6detail17trampoline_kernelINS0_14default_configENS1_27scan_by_key_config_selectorIiiEEZZNS1_16scan_by_key_implILNS1_25lookback_scan_determinismE0ELb1ES3_N6thrust23THRUST_200600_302600_NS10device_ptrIiEESB_SB_iNS9_4plusIvEENS9_8equal_toIvEEiEE10hipError_tPvRmT2_T3_T4_T5_mT6_T7_P12ihipStream_tbENKUlT_T0_E_clISt17integral_constantIbLb0EESW_EEDaSR_SS_EUlSR_E_NS1_11comp_targetILNS1_3genE2ELNS1_11target_archE906ELNS1_3gpuE6ELNS1_3repE0EEENS1_30default_config_static_selectorELNS0_4arch9wavefront6targetE1EEEvT1_,"axG",@progbits,_ZN7rocprim17ROCPRIM_400000_NS6detail17trampoline_kernelINS0_14default_configENS1_27scan_by_key_config_selectorIiiEEZZNS1_16scan_by_key_implILNS1_25lookback_scan_determinismE0ELb1ES3_N6thrust23THRUST_200600_302600_NS10device_ptrIiEESB_SB_iNS9_4plusIvEENS9_8equal_toIvEEiEE10hipError_tPvRmT2_T3_T4_T5_mT6_T7_P12ihipStream_tbENKUlT_T0_E_clISt17integral_constantIbLb0EESW_EEDaSR_SS_EUlSR_E_NS1_11comp_targetILNS1_3genE2ELNS1_11target_archE906ELNS1_3gpuE6ELNS1_3repE0EEENS1_30default_config_static_selectorELNS0_4arch9wavefront6targetE1EEEvT1_,comdat
	.protected	_ZN7rocprim17ROCPRIM_400000_NS6detail17trampoline_kernelINS0_14default_configENS1_27scan_by_key_config_selectorIiiEEZZNS1_16scan_by_key_implILNS1_25lookback_scan_determinismE0ELb1ES3_N6thrust23THRUST_200600_302600_NS10device_ptrIiEESB_SB_iNS9_4plusIvEENS9_8equal_toIvEEiEE10hipError_tPvRmT2_T3_T4_T5_mT6_T7_P12ihipStream_tbENKUlT_T0_E_clISt17integral_constantIbLb0EESW_EEDaSR_SS_EUlSR_E_NS1_11comp_targetILNS1_3genE2ELNS1_11target_archE906ELNS1_3gpuE6ELNS1_3repE0EEENS1_30default_config_static_selectorELNS0_4arch9wavefront6targetE1EEEvT1_ ; -- Begin function _ZN7rocprim17ROCPRIM_400000_NS6detail17trampoline_kernelINS0_14default_configENS1_27scan_by_key_config_selectorIiiEEZZNS1_16scan_by_key_implILNS1_25lookback_scan_determinismE0ELb1ES3_N6thrust23THRUST_200600_302600_NS10device_ptrIiEESB_SB_iNS9_4plusIvEENS9_8equal_toIvEEiEE10hipError_tPvRmT2_T3_T4_T5_mT6_T7_P12ihipStream_tbENKUlT_T0_E_clISt17integral_constantIbLb0EESW_EEDaSR_SS_EUlSR_E_NS1_11comp_targetILNS1_3genE2ELNS1_11target_archE906ELNS1_3gpuE6ELNS1_3repE0EEENS1_30default_config_static_selectorELNS0_4arch9wavefront6targetE1EEEvT1_
	.globl	_ZN7rocprim17ROCPRIM_400000_NS6detail17trampoline_kernelINS0_14default_configENS1_27scan_by_key_config_selectorIiiEEZZNS1_16scan_by_key_implILNS1_25lookback_scan_determinismE0ELb1ES3_N6thrust23THRUST_200600_302600_NS10device_ptrIiEESB_SB_iNS9_4plusIvEENS9_8equal_toIvEEiEE10hipError_tPvRmT2_T3_T4_T5_mT6_T7_P12ihipStream_tbENKUlT_T0_E_clISt17integral_constantIbLb0EESW_EEDaSR_SS_EUlSR_E_NS1_11comp_targetILNS1_3genE2ELNS1_11target_archE906ELNS1_3gpuE6ELNS1_3repE0EEENS1_30default_config_static_selectorELNS0_4arch9wavefront6targetE1EEEvT1_
	.p2align	8
	.type	_ZN7rocprim17ROCPRIM_400000_NS6detail17trampoline_kernelINS0_14default_configENS1_27scan_by_key_config_selectorIiiEEZZNS1_16scan_by_key_implILNS1_25lookback_scan_determinismE0ELb1ES3_N6thrust23THRUST_200600_302600_NS10device_ptrIiEESB_SB_iNS9_4plusIvEENS9_8equal_toIvEEiEE10hipError_tPvRmT2_T3_T4_T5_mT6_T7_P12ihipStream_tbENKUlT_T0_E_clISt17integral_constantIbLb0EESW_EEDaSR_SS_EUlSR_E_NS1_11comp_targetILNS1_3genE2ELNS1_11target_archE906ELNS1_3gpuE6ELNS1_3repE0EEENS1_30default_config_static_selectorELNS0_4arch9wavefront6targetE1EEEvT1_,@function
_ZN7rocprim17ROCPRIM_400000_NS6detail17trampoline_kernelINS0_14default_configENS1_27scan_by_key_config_selectorIiiEEZZNS1_16scan_by_key_implILNS1_25lookback_scan_determinismE0ELb1ES3_N6thrust23THRUST_200600_302600_NS10device_ptrIiEESB_SB_iNS9_4plusIvEENS9_8equal_toIvEEiEE10hipError_tPvRmT2_T3_T4_T5_mT6_T7_P12ihipStream_tbENKUlT_T0_E_clISt17integral_constantIbLb0EESW_EEDaSR_SS_EUlSR_E_NS1_11comp_targetILNS1_3genE2ELNS1_11target_archE906ELNS1_3gpuE6ELNS1_3repE0EEENS1_30default_config_static_selectorELNS0_4arch9wavefront6targetE1EEEvT1_: ; @_ZN7rocprim17ROCPRIM_400000_NS6detail17trampoline_kernelINS0_14default_configENS1_27scan_by_key_config_selectorIiiEEZZNS1_16scan_by_key_implILNS1_25lookback_scan_determinismE0ELb1ES3_N6thrust23THRUST_200600_302600_NS10device_ptrIiEESB_SB_iNS9_4plusIvEENS9_8equal_toIvEEiEE10hipError_tPvRmT2_T3_T4_T5_mT6_T7_P12ihipStream_tbENKUlT_T0_E_clISt17integral_constantIbLb0EESW_EEDaSR_SS_EUlSR_E_NS1_11comp_targetILNS1_3genE2ELNS1_11target_archE906ELNS1_3gpuE6ELNS1_3repE0EEENS1_30default_config_static_selectorELNS0_4arch9wavefront6targetE1EEEvT1_
; %bb.0:
	.section	.rodata,"a",@progbits
	.p2align	6, 0x0
	.amdhsa_kernel _ZN7rocprim17ROCPRIM_400000_NS6detail17trampoline_kernelINS0_14default_configENS1_27scan_by_key_config_selectorIiiEEZZNS1_16scan_by_key_implILNS1_25lookback_scan_determinismE0ELb1ES3_N6thrust23THRUST_200600_302600_NS10device_ptrIiEESB_SB_iNS9_4plusIvEENS9_8equal_toIvEEiEE10hipError_tPvRmT2_T3_T4_T5_mT6_T7_P12ihipStream_tbENKUlT_T0_E_clISt17integral_constantIbLb0EESW_EEDaSR_SS_EUlSR_E_NS1_11comp_targetILNS1_3genE2ELNS1_11target_archE906ELNS1_3gpuE6ELNS1_3repE0EEENS1_30default_config_static_selectorELNS0_4arch9wavefront6targetE1EEEvT1_
		.amdhsa_group_segment_fixed_size 0
		.amdhsa_private_segment_fixed_size 0
		.amdhsa_kernarg_size 112
		.amdhsa_user_sgpr_count 2
		.amdhsa_user_sgpr_dispatch_ptr 0
		.amdhsa_user_sgpr_queue_ptr 0
		.amdhsa_user_sgpr_kernarg_segment_ptr 1
		.amdhsa_user_sgpr_dispatch_id 0
		.amdhsa_user_sgpr_kernarg_preload_length 0
		.amdhsa_user_sgpr_kernarg_preload_offset 0
		.amdhsa_user_sgpr_private_segment_size 0
		.amdhsa_uses_dynamic_stack 0
		.amdhsa_enable_private_segment 0
		.amdhsa_system_sgpr_workgroup_id_x 1
		.amdhsa_system_sgpr_workgroup_id_y 0
		.amdhsa_system_sgpr_workgroup_id_z 0
		.amdhsa_system_sgpr_workgroup_info 0
		.amdhsa_system_vgpr_workitem_id 0
		.amdhsa_next_free_vgpr 1
		.amdhsa_next_free_sgpr 0
		.amdhsa_accum_offset 4
		.amdhsa_reserve_vcc 0
		.amdhsa_float_round_mode_32 0
		.amdhsa_float_round_mode_16_64 0
		.amdhsa_float_denorm_mode_32 3
		.amdhsa_float_denorm_mode_16_64 3
		.amdhsa_dx10_clamp 1
		.amdhsa_ieee_mode 1
		.amdhsa_fp16_overflow 0
		.amdhsa_tg_split 0
		.amdhsa_exception_fp_ieee_invalid_op 0
		.amdhsa_exception_fp_denorm_src 0
		.amdhsa_exception_fp_ieee_div_zero 0
		.amdhsa_exception_fp_ieee_overflow 0
		.amdhsa_exception_fp_ieee_underflow 0
		.amdhsa_exception_fp_ieee_inexact 0
		.amdhsa_exception_int_div_zero 0
	.end_amdhsa_kernel
	.section	.text._ZN7rocprim17ROCPRIM_400000_NS6detail17trampoline_kernelINS0_14default_configENS1_27scan_by_key_config_selectorIiiEEZZNS1_16scan_by_key_implILNS1_25lookback_scan_determinismE0ELb1ES3_N6thrust23THRUST_200600_302600_NS10device_ptrIiEESB_SB_iNS9_4plusIvEENS9_8equal_toIvEEiEE10hipError_tPvRmT2_T3_T4_T5_mT6_T7_P12ihipStream_tbENKUlT_T0_E_clISt17integral_constantIbLb0EESW_EEDaSR_SS_EUlSR_E_NS1_11comp_targetILNS1_3genE2ELNS1_11target_archE906ELNS1_3gpuE6ELNS1_3repE0EEENS1_30default_config_static_selectorELNS0_4arch9wavefront6targetE1EEEvT1_,"axG",@progbits,_ZN7rocprim17ROCPRIM_400000_NS6detail17trampoline_kernelINS0_14default_configENS1_27scan_by_key_config_selectorIiiEEZZNS1_16scan_by_key_implILNS1_25lookback_scan_determinismE0ELb1ES3_N6thrust23THRUST_200600_302600_NS10device_ptrIiEESB_SB_iNS9_4plusIvEENS9_8equal_toIvEEiEE10hipError_tPvRmT2_T3_T4_T5_mT6_T7_P12ihipStream_tbENKUlT_T0_E_clISt17integral_constantIbLb0EESW_EEDaSR_SS_EUlSR_E_NS1_11comp_targetILNS1_3genE2ELNS1_11target_archE906ELNS1_3gpuE6ELNS1_3repE0EEENS1_30default_config_static_selectorELNS0_4arch9wavefront6targetE1EEEvT1_,comdat
.Lfunc_end2239:
	.size	_ZN7rocprim17ROCPRIM_400000_NS6detail17trampoline_kernelINS0_14default_configENS1_27scan_by_key_config_selectorIiiEEZZNS1_16scan_by_key_implILNS1_25lookback_scan_determinismE0ELb1ES3_N6thrust23THRUST_200600_302600_NS10device_ptrIiEESB_SB_iNS9_4plusIvEENS9_8equal_toIvEEiEE10hipError_tPvRmT2_T3_T4_T5_mT6_T7_P12ihipStream_tbENKUlT_T0_E_clISt17integral_constantIbLb0EESW_EEDaSR_SS_EUlSR_E_NS1_11comp_targetILNS1_3genE2ELNS1_11target_archE906ELNS1_3gpuE6ELNS1_3repE0EEENS1_30default_config_static_selectorELNS0_4arch9wavefront6targetE1EEEvT1_, .Lfunc_end2239-_ZN7rocprim17ROCPRIM_400000_NS6detail17trampoline_kernelINS0_14default_configENS1_27scan_by_key_config_selectorIiiEEZZNS1_16scan_by_key_implILNS1_25lookback_scan_determinismE0ELb1ES3_N6thrust23THRUST_200600_302600_NS10device_ptrIiEESB_SB_iNS9_4plusIvEENS9_8equal_toIvEEiEE10hipError_tPvRmT2_T3_T4_T5_mT6_T7_P12ihipStream_tbENKUlT_T0_E_clISt17integral_constantIbLb0EESW_EEDaSR_SS_EUlSR_E_NS1_11comp_targetILNS1_3genE2ELNS1_11target_archE906ELNS1_3gpuE6ELNS1_3repE0EEENS1_30default_config_static_selectorELNS0_4arch9wavefront6targetE1EEEvT1_
                                        ; -- End function
	.section	.AMDGPU.csdata,"",@progbits
; Kernel info:
; codeLenInByte = 0
; NumSgprs: 6
; NumVgprs: 0
; NumAgprs: 0
; TotalNumVgprs: 0
; ScratchSize: 0
; MemoryBound: 0
; FloatMode: 240
; IeeeMode: 1
; LDSByteSize: 0 bytes/workgroup (compile time only)
; SGPRBlocks: 0
; VGPRBlocks: 0
; NumSGPRsForWavesPerEU: 6
; NumVGPRsForWavesPerEU: 1
; AccumOffset: 4
; Occupancy: 8
; WaveLimiterHint : 0
; COMPUTE_PGM_RSRC2:SCRATCH_EN: 0
; COMPUTE_PGM_RSRC2:USER_SGPR: 2
; COMPUTE_PGM_RSRC2:TRAP_HANDLER: 0
; COMPUTE_PGM_RSRC2:TGID_X_EN: 1
; COMPUTE_PGM_RSRC2:TGID_Y_EN: 0
; COMPUTE_PGM_RSRC2:TGID_Z_EN: 0
; COMPUTE_PGM_RSRC2:TIDIG_COMP_CNT: 0
; COMPUTE_PGM_RSRC3_GFX90A:ACCUM_OFFSET: 0
; COMPUTE_PGM_RSRC3_GFX90A:TG_SPLIT: 0
	.section	.text._ZN7rocprim17ROCPRIM_400000_NS6detail17trampoline_kernelINS0_14default_configENS1_27scan_by_key_config_selectorIiiEEZZNS1_16scan_by_key_implILNS1_25lookback_scan_determinismE0ELb1ES3_N6thrust23THRUST_200600_302600_NS10device_ptrIiEESB_SB_iNS9_4plusIvEENS9_8equal_toIvEEiEE10hipError_tPvRmT2_T3_T4_T5_mT6_T7_P12ihipStream_tbENKUlT_T0_E_clISt17integral_constantIbLb0EESW_EEDaSR_SS_EUlSR_E_NS1_11comp_targetILNS1_3genE10ELNS1_11target_archE1200ELNS1_3gpuE4ELNS1_3repE0EEENS1_30default_config_static_selectorELNS0_4arch9wavefront6targetE1EEEvT1_,"axG",@progbits,_ZN7rocprim17ROCPRIM_400000_NS6detail17trampoline_kernelINS0_14default_configENS1_27scan_by_key_config_selectorIiiEEZZNS1_16scan_by_key_implILNS1_25lookback_scan_determinismE0ELb1ES3_N6thrust23THRUST_200600_302600_NS10device_ptrIiEESB_SB_iNS9_4plusIvEENS9_8equal_toIvEEiEE10hipError_tPvRmT2_T3_T4_T5_mT6_T7_P12ihipStream_tbENKUlT_T0_E_clISt17integral_constantIbLb0EESW_EEDaSR_SS_EUlSR_E_NS1_11comp_targetILNS1_3genE10ELNS1_11target_archE1200ELNS1_3gpuE4ELNS1_3repE0EEENS1_30default_config_static_selectorELNS0_4arch9wavefront6targetE1EEEvT1_,comdat
	.protected	_ZN7rocprim17ROCPRIM_400000_NS6detail17trampoline_kernelINS0_14default_configENS1_27scan_by_key_config_selectorIiiEEZZNS1_16scan_by_key_implILNS1_25lookback_scan_determinismE0ELb1ES3_N6thrust23THRUST_200600_302600_NS10device_ptrIiEESB_SB_iNS9_4plusIvEENS9_8equal_toIvEEiEE10hipError_tPvRmT2_T3_T4_T5_mT6_T7_P12ihipStream_tbENKUlT_T0_E_clISt17integral_constantIbLb0EESW_EEDaSR_SS_EUlSR_E_NS1_11comp_targetILNS1_3genE10ELNS1_11target_archE1200ELNS1_3gpuE4ELNS1_3repE0EEENS1_30default_config_static_selectorELNS0_4arch9wavefront6targetE1EEEvT1_ ; -- Begin function _ZN7rocprim17ROCPRIM_400000_NS6detail17trampoline_kernelINS0_14default_configENS1_27scan_by_key_config_selectorIiiEEZZNS1_16scan_by_key_implILNS1_25lookback_scan_determinismE0ELb1ES3_N6thrust23THRUST_200600_302600_NS10device_ptrIiEESB_SB_iNS9_4plusIvEENS9_8equal_toIvEEiEE10hipError_tPvRmT2_T3_T4_T5_mT6_T7_P12ihipStream_tbENKUlT_T0_E_clISt17integral_constantIbLb0EESW_EEDaSR_SS_EUlSR_E_NS1_11comp_targetILNS1_3genE10ELNS1_11target_archE1200ELNS1_3gpuE4ELNS1_3repE0EEENS1_30default_config_static_selectorELNS0_4arch9wavefront6targetE1EEEvT1_
	.globl	_ZN7rocprim17ROCPRIM_400000_NS6detail17trampoline_kernelINS0_14default_configENS1_27scan_by_key_config_selectorIiiEEZZNS1_16scan_by_key_implILNS1_25lookback_scan_determinismE0ELb1ES3_N6thrust23THRUST_200600_302600_NS10device_ptrIiEESB_SB_iNS9_4plusIvEENS9_8equal_toIvEEiEE10hipError_tPvRmT2_T3_T4_T5_mT6_T7_P12ihipStream_tbENKUlT_T0_E_clISt17integral_constantIbLb0EESW_EEDaSR_SS_EUlSR_E_NS1_11comp_targetILNS1_3genE10ELNS1_11target_archE1200ELNS1_3gpuE4ELNS1_3repE0EEENS1_30default_config_static_selectorELNS0_4arch9wavefront6targetE1EEEvT1_
	.p2align	8
	.type	_ZN7rocprim17ROCPRIM_400000_NS6detail17trampoline_kernelINS0_14default_configENS1_27scan_by_key_config_selectorIiiEEZZNS1_16scan_by_key_implILNS1_25lookback_scan_determinismE0ELb1ES3_N6thrust23THRUST_200600_302600_NS10device_ptrIiEESB_SB_iNS9_4plusIvEENS9_8equal_toIvEEiEE10hipError_tPvRmT2_T3_T4_T5_mT6_T7_P12ihipStream_tbENKUlT_T0_E_clISt17integral_constantIbLb0EESW_EEDaSR_SS_EUlSR_E_NS1_11comp_targetILNS1_3genE10ELNS1_11target_archE1200ELNS1_3gpuE4ELNS1_3repE0EEENS1_30default_config_static_selectorELNS0_4arch9wavefront6targetE1EEEvT1_,@function
_ZN7rocprim17ROCPRIM_400000_NS6detail17trampoline_kernelINS0_14default_configENS1_27scan_by_key_config_selectorIiiEEZZNS1_16scan_by_key_implILNS1_25lookback_scan_determinismE0ELb1ES3_N6thrust23THRUST_200600_302600_NS10device_ptrIiEESB_SB_iNS9_4plusIvEENS9_8equal_toIvEEiEE10hipError_tPvRmT2_T3_T4_T5_mT6_T7_P12ihipStream_tbENKUlT_T0_E_clISt17integral_constantIbLb0EESW_EEDaSR_SS_EUlSR_E_NS1_11comp_targetILNS1_3genE10ELNS1_11target_archE1200ELNS1_3gpuE4ELNS1_3repE0EEENS1_30default_config_static_selectorELNS0_4arch9wavefront6targetE1EEEvT1_: ; @_ZN7rocprim17ROCPRIM_400000_NS6detail17trampoline_kernelINS0_14default_configENS1_27scan_by_key_config_selectorIiiEEZZNS1_16scan_by_key_implILNS1_25lookback_scan_determinismE0ELb1ES3_N6thrust23THRUST_200600_302600_NS10device_ptrIiEESB_SB_iNS9_4plusIvEENS9_8equal_toIvEEiEE10hipError_tPvRmT2_T3_T4_T5_mT6_T7_P12ihipStream_tbENKUlT_T0_E_clISt17integral_constantIbLb0EESW_EEDaSR_SS_EUlSR_E_NS1_11comp_targetILNS1_3genE10ELNS1_11target_archE1200ELNS1_3gpuE4ELNS1_3repE0EEENS1_30default_config_static_selectorELNS0_4arch9wavefront6targetE1EEEvT1_
; %bb.0:
	.section	.rodata,"a",@progbits
	.p2align	6, 0x0
	.amdhsa_kernel _ZN7rocprim17ROCPRIM_400000_NS6detail17trampoline_kernelINS0_14default_configENS1_27scan_by_key_config_selectorIiiEEZZNS1_16scan_by_key_implILNS1_25lookback_scan_determinismE0ELb1ES3_N6thrust23THRUST_200600_302600_NS10device_ptrIiEESB_SB_iNS9_4plusIvEENS9_8equal_toIvEEiEE10hipError_tPvRmT2_T3_T4_T5_mT6_T7_P12ihipStream_tbENKUlT_T0_E_clISt17integral_constantIbLb0EESW_EEDaSR_SS_EUlSR_E_NS1_11comp_targetILNS1_3genE10ELNS1_11target_archE1200ELNS1_3gpuE4ELNS1_3repE0EEENS1_30default_config_static_selectorELNS0_4arch9wavefront6targetE1EEEvT1_
		.amdhsa_group_segment_fixed_size 0
		.amdhsa_private_segment_fixed_size 0
		.amdhsa_kernarg_size 112
		.amdhsa_user_sgpr_count 2
		.amdhsa_user_sgpr_dispatch_ptr 0
		.amdhsa_user_sgpr_queue_ptr 0
		.amdhsa_user_sgpr_kernarg_segment_ptr 1
		.amdhsa_user_sgpr_dispatch_id 0
		.amdhsa_user_sgpr_kernarg_preload_length 0
		.amdhsa_user_sgpr_kernarg_preload_offset 0
		.amdhsa_user_sgpr_private_segment_size 0
		.amdhsa_uses_dynamic_stack 0
		.amdhsa_enable_private_segment 0
		.amdhsa_system_sgpr_workgroup_id_x 1
		.amdhsa_system_sgpr_workgroup_id_y 0
		.amdhsa_system_sgpr_workgroup_id_z 0
		.amdhsa_system_sgpr_workgroup_info 0
		.amdhsa_system_vgpr_workitem_id 0
		.amdhsa_next_free_vgpr 1
		.amdhsa_next_free_sgpr 0
		.amdhsa_accum_offset 4
		.amdhsa_reserve_vcc 0
		.amdhsa_float_round_mode_32 0
		.amdhsa_float_round_mode_16_64 0
		.amdhsa_float_denorm_mode_32 3
		.amdhsa_float_denorm_mode_16_64 3
		.amdhsa_dx10_clamp 1
		.amdhsa_ieee_mode 1
		.amdhsa_fp16_overflow 0
		.amdhsa_tg_split 0
		.amdhsa_exception_fp_ieee_invalid_op 0
		.amdhsa_exception_fp_denorm_src 0
		.amdhsa_exception_fp_ieee_div_zero 0
		.amdhsa_exception_fp_ieee_overflow 0
		.amdhsa_exception_fp_ieee_underflow 0
		.amdhsa_exception_fp_ieee_inexact 0
		.amdhsa_exception_int_div_zero 0
	.end_amdhsa_kernel
	.section	.text._ZN7rocprim17ROCPRIM_400000_NS6detail17trampoline_kernelINS0_14default_configENS1_27scan_by_key_config_selectorIiiEEZZNS1_16scan_by_key_implILNS1_25lookback_scan_determinismE0ELb1ES3_N6thrust23THRUST_200600_302600_NS10device_ptrIiEESB_SB_iNS9_4plusIvEENS9_8equal_toIvEEiEE10hipError_tPvRmT2_T3_T4_T5_mT6_T7_P12ihipStream_tbENKUlT_T0_E_clISt17integral_constantIbLb0EESW_EEDaSR_SS_EUlSR_E_NS1_11comp_targetILNS1_3genE10ELNS1_11target_archE1200ELNS1_3gpuE4ELNS1_3repE0EEENS1_30default_config_static_selectorELNS0_4arch9wavefront6targetE1EEEvT1_,"axG",@progbits,_ZN7rocprim17ROCPRIM_400000_NS6detail17trampoline_kernelINS0_14default_configENS1_27scan_by_key_config_selectorIiiEEZZNS1_16scan_by_key_implILNS1_25lookback_scan_determinismE0ELb1ES3_N6thrust23THRUST_200600_302600_NS10device_ptrIiEESB_SB_iNS9_4plusIvEENS9_8equal_toIvEEiEE10hipError_tPvRmT2_T3_T4_T5_mT6_T7_P12ihipStream_tbENKUlT_T0_E_clISt17integral_constantIbLb0EESW_EEDaSR_SS_EUlSR_E_NS1_11comp_targetILNS1_3genE10ELNS1_11target_archE1200ELNS1_3gpuE4ELNS1_3repE0EEENS1_30default_config_static_selectorELNS0_4arch9wavefront6targetE1EEEvT1_,comdat
.Lfunc_end2240:
	.size	_ZN7rocprim17ROCPRIM_400000_NS6detail17trampoline_kernelINS0_14default_configENS1_27scan_by_key_config_selectorIiiEEZZNS1_16scan_by_key_implILNS1_25lookback_scan_determinismE0ELb1ES3_N6thrust23THRUST_200600_302600_NS10device_ptrIiEESB_SB_iNS9_4plusIvEENS9_8equal_toIvEEiEE10hipError_tPvRmT2_T3_T4_T5_mT6_T7_P12ihipStream_tbENKUlT_T0_E_clISt17integral_constantIbLb0EESW_EEDaSR_SS_EUlSR_E_NS1_11comp_targetILNS1_3genE10ELNS1_11target_archE1200ELNS1_3gpuE4ELNS1_3repE0EEENS1_30default_config_static_selectorELNS0_4arch9wavefront6targetE1EEEvT1_, .Lfunc_end2240-_ZN7rocprim17ROCPRIM_400000_NS6detail17trampoline_kernelINS0_14default_configENS1_27scan_by_key_config_selectorIiiEEZZNS1_16scan_by_key_implILNS1_25lookback_scan_determinismE0ELb1ES3_N6thrust23THRUST_200600_302600_NS10device_ptrIiEESB_SB_iNS9_4plusIvEENS9_8equal_toIvEEiEE10hipError_tPvRmT2_T3_T4_T5_mT6_T7_P12ihipStream_tbENKUlT_T0_E_clISt17integral_constantIbLb0EESW_EEDaSR_SS_EUlSR_E_NS1_11comp_targetILNS1_3genE10ELNS1_11target_archE1200ELNS1_3gpuE4ELNS1_3repE0EEENS1_30default_config_static_selectorELNS0_4arch9wavefront6targetE1EEEvT1_
                                        ; -- End function
	.section	.AMDGPU.csdata,"",@progbits
; Kernel info:
; codeLenInByte = 0
; NumSgprs: 6
; NumVgprs: 0
; NumAgprs: 0
; TotalNumVgprs: 0
; ScratchSize: 0
; MemoryBound: 0
; FloatMode: 240
; IeeeMode: 1
; LDSByteSize: 0 bytes/workgroup (compile time only)
; SGPRBlocks: 0
; VGPRBlocks: 0
; NumSGPRsForWavesPerEU: 6
; NumVGPRsForWavesPerEU: 1
; AccumOffset: 4
; Occupancy: 8
; WaveLimiterHint : 0
; COMPUTE_PGM_RSRC2:SCRATCH_EN: 0
; COMPUTE_PGM_RSRC2:USER_SGPR: 2
; COMPUTE_PGM_RSRC2:TRAP_HANDLER: 0
; COMPUTE_PGM_RSRC2:TGID_X_EN: 1
; COMPUTE_PGM_RSRC2:TGID_Y_EN: 0
; COMPUTE_PGM_RSRC2:TGID_Z_EN: 0
; COMPUTE_PGM_RSRC2:TIDIG_COMP_CNT: 0
; COMPUTE_PGM_RSRC3_GFX90A:ACCUM_OFFSET: 0
; COMPUTE_PGM_RSRC3_GFX90A:TG_SPLIT: 0
	.section	.text._ZN7rocprim17ROCPRIM_400000_NS6detail17trampoline_kernelINS0_14default_configENS1_27scan_by_key_config_selectorIiiEEZZNS1_16scan_by_key_implILNS1_25lookback_scan_determinismE0ELb1ES3_N6thrust23THRUST_200600_302600_NS10device_ptrIiEESB_SB_iNS9_4plusIvEENS9_8equal_toIvEEiEE10hipError_tPvRmT2_T3_T4_T5_mT6_T7_P12ihipStream_tbENKUlT_T0_E_clISt17integral_constantIbLb0EESW_EEDaSR_SS_EUlSR_E_NS1_11comp_targetILNS1_3genE9ELNS1_11target_archE1100ELNS1_3gpuE3ELNS1_3repE0EEENS1_30default_config_static_selectorELNS0_4arch9wavefront6targetE1EEEvT1_,"axG",@progbits,_ZN7rocprim17ROCPRIM_400000_NS6detail17trampoline_kernelINS0_14default_configENS1_27scan_by_key_config_selectorIiiEEZZNS1_16scan_by_key_implILNS1_25lookback_scan_determinismE0ELb1ES3_N6thrust23THRUST_200600_302600_NS10device_ptrIiEESB_SB_iNS9_4plusIvEENS9_8equal_toIvEEiEE10hipError_tPvRmT2_T3_T4_T5_mT6_T7_P12ihipStream_tbENKUlT_T0_E_clISt17integral_constantIbLb0EESW_EEDaSR_SS_EUlSR_E_NS1_11comp_targetILNS1_3genE9ELNS1_11target_archE1100ELNS1_3gpuE3ELNS1_3repE0EEENS1_30default_config_static_selectorELNS0_4arch9wavefront6targetE1EEEvT1_,comdat
	.protected	_ZN7rocprim17ROCPRIM_400000_NS6detail17trampoline_kernelINS0_14default_configENS1_27scan_by_key_config_selectorIiiEEZZNS1_16scan_by_key_implILNS1_25lookback_scan_determinismE0ELb1ES3_N6thrust23THRUST_200600_302600_NS10device_ptrIiEESB_SB_iNS9_4plusIvEENS9_8equal_toIvEEiEE10hipError_tPvRmT2_T3_T4_T5_mT6_T7_P12ihipStream_tbENKUlT_T0_E_clISt17integral_constantIbLb0EESW_EEDaSR_SS_EUlSR_E_NS1_11comp_targetILNS1_3genE9ELNS1_11target_archE1100ELNS1_3gpuE3ELNS1_3repE0EEENS1_30default_config_static_selectorELNS0_4arch9wavefront6targetE1EEEvT1_ ; -- Begin function _ZN7rocprim17ROCPRIM_400000_NS6detail17trampoline_kernelINS0_14default_configENS1_27scan_by_key_config_selectorIiiEEZZNS1_16scan_by_key_implILNS1_25lookback_scan_determinismE0ELb1ES3_N6thrust23THRUST_200600_302600_NS10device_ptrIiEESB_SB_iNS9_4plusIvEENS9_8equal_toIvEEiEE10hipError_tPvRmT2_T3_T4_T5_mT6_T7_P12ihipStream_tbENKUlT_T0_E_clISt17integral_constantIbLb0EESW_EEDaSR_SS_EUlSR_E_NS1_11comp_targetILNS1_3genE9ELNS1_11target_archE1100ELNS1_3gpuE3ELNS1_3repE0EEENS1_30default_config_static_selectorELNS0_4arch9wavefront6targetE1EEEvT1_
	.globl	_ZN7rocprim17ROCPRIM_400000_NS6detail17trampoline_kernelINS0_14default_configENS1_27scan_by_key_config_selectorIiiEEZZNS1_16scan_by_key_implILNS1_25lookback_scan_determinismE0ELb1ES3_N6thrust23THRUST_200600_302600_NS10device_ptrIiEESB_SB_iNS9_4plusIvEENS9_8equal_toIvEEiEE10hipError_tPvRmT2_T3_T4_T5_mT6_T7_P12ihipStream_tbENKUlT_T0_E_clISt17integral_constantIbLb0EESW_EEDaSR_SS_EUlSR_E_NS1_11comp_targetILNS1_3genE9ELNS1_11target_archE1100ELNS1_3gpuE3ELNS1_3repE0EEENS1_30default_config_static_selectorELNS0_4arch9wavefront6targetE1EEEvT1_
	.p2align	8
	.type	_ZN7rocprim17ROCPRIM_400000_NS6detail17trampoline_kernelINS0_14default_configENS1_27scan_by_key_config_selectorIiiEEZZNS1_16scan_by_key_implILNS1_25lookback_scan_determinismE0ELb1ES3_N6thrust23THRUST_200600_302600_NS10device_ptrIiEESB_SB_iNS9_4plusIvEENS9_8equal_toIvEEiEE10hipError_tPvRmT2_T3_T4_T5_mT6_T7_P12ihipStream_tbENKUlT_T0_E_clISt17integral_constantIbLb0EESW_EEDaSR_SS_EUlSR_E_NS1_11comp_targetILNS1_3genE9ELNS1_11target_archE1100ELNS1_3gpuE3ELNS1_3repE0EEENS1_30default_config_static_selectorELNS0_4arch9wavefront6targetE1EEEvT1_,@function
_ZN7rocprim17ROCPRIM_400000_NS6detail17trampoline_kernelINS0_14default_configENS1_27scan_by_key_config_selectorIiiEEZZNS1_16scan_by_key_implILNS1_25lookback_scan_determinismE0ELb1ES3_N6thrust23THRUST_200600_302600_NS10device_ptrIiEESB_SB_iNS9_4plusIvEENS9_8equal_toIvEEiEE10hipError_tPvRmT2_T3_T4_T5_mT6_T7_P12ihipStream_tbENKUlT_T0_E_clISt17integral_constantIbLb0EESW_EEDaSR_SS_EUlSR_E_NS1_11comp_targetILNS1_3genE9ELNS1_11target_archE1100ELNS1_3gpuE3ELNS1_3repE0EEENS1_30default_config_static_selectorELNS0_4arch9wavefront6targetE1EEEvT1_: ; @_ZN7rocprim17ROCPRIM_400000_NS6detail17trampoline_kernelINS0_14default_configENS1_27scan_by_key_config_selectorIiiEEZZNS1_16scan_by_key_implILNS1_25lookback_scan_determinismE0ELb1ES3_N6thrust23THRUST_200600_302600_NS10device_ptrIiEESB_SB_iNS9_4plusIvEENS9_8equal_toIvEEiEE10hipError_tPvRmT2_T3_T4_T5_mT6_T7_P12ihipStream_tbENKUlT_T0_E_clISt17integral_constantIbLb0EESW_EEDaSR_SS_EUlSR_E_NS1_11comp_targetILNS1_3genE9ELNS1_11target_archE1100ELNS1_3gpuE3ELNS1_3repE0EEENS1_30default_config_static_selectorELNS0_4arch9wavefront6targetE1EEEvT1_
; %bb.0:
	.section	.rodata,"a",@progbits
	.p2align	6, 0x0
	.amdhsa_kernel _ZN7rocprim17ROCPRIM_400000_NS6detail17trampoline_kernelINS0_14default_configENS1_27scan_by_key_config_selectorIiiEEZZNS1_16scan_by_key_implILNS1_25lookback_scan_determinismE0ELb1ES3_N6thrust23THRUST_200600_302600_NS10device_ptrIiEESB_SB_iNS9_4plusIvEENS9_8equal_toIvEEiEE10hipError_tPvRmT2_T3_T4_T5_mT6_T7_P12ihipStream_tbENKUlT_T0_E_clISt17integral_constantIbLb0EESW_EEDaSR_SS_EUlSR_E_NS1_11comp_targetILNS1_3genE9ELNS1_11target_archE1100ELNS1_3gpuE3ELNS1_3repE0EEENS1_30default_config_static_selectorELNS0_4arch9wavefront6targetE1EEEvT1_
		.amdhsa_group_segment_fixed_size 0
		.amdhsa_private_segment_fixed_size 0
		.amdhsa_kernarg_size 112
		.amdhsa_user_sgpr_count 2
		.amdhsa_user_sgpr_dispatch_ptr 0
		.amdhsa_user_sgpr_queue_ptr 0
		.amdhsa_user_sgpr_kernarg_segment_ptr 1
		.amdhsa_user_sgpr_dispatch_id 0
		.amdhsa_user_sgpr_kernarg_preload_length 0
		.amdhsa_user_sgpr_kernarg_preload_offset 0
		.amdhsa_user_sgpr_private_segment_size 0
		.amdhsa_uses_dynamic_stack 0
		.amdhsa_enable_private_segment 0
		.amdhsa_system_sgpr_workgroup_id_x 1
		.amdhsa_system_sgpr_workgroup_id_y 0
		.amdhsa_system_sgpr_workgroup_id_z 0
		.amdhsa_system_sgpr_workgroup_info 0
		.amdhsa_system_vgpr_workitem_id 0
		.amdhsa_next_free_vgpr 1
		.amdhsa_next_free_sgpr 0
		.amdhsa_accum_offset 4
		.amdhsa_reserve_vcc 0
		.amdhsa_float_round_mode_32 0
		.amdhsa_float_round_mode_16_64 0
		.amdhsa_float_denorm_mode_32 3
		.amdhsa_float_denorm_mode_16_64 3
		.amdhsa_dx10_clamp 1
		.amdhsa_ieee_mode 1
		.amdhsa_fp16_overflow 0
		.amdhsa_tg_split 0
		.amdhsa_exception_fp_ieee_invalid_op 0
		.amdhsa_exception_fp_denorm_src 0
		.amdhsa_exception_fp_ieee_div_zero 0
		.amdhsa_exception_fp_ieee_overflow 0
		.amdhsa_exception_fp_ieee_underflow 0
		.amdhsa_exception_fp_ieee_inexact 0
		.amdhsa_exception_int_div_zero 0
	.end_amdhsa_kernel
	.section	.text._ZN7rocprim17ROCPRIM_400000_NS6detail17trampoline_kernelINS0_14default_configENS1_27scan_by_key_config_selectorIiiEEZZNS1_16scan_by_key_implILNS1_25lookback_scan_determinismE0ELb1ES3_N6thrust23THRUST_200600_302600_NS10device_ptrIiEESB_SB_iNS9_4plusIvEENS9_8equal_toIvEEiEE10hipError_tPvRmT2_T3_T4_T5_mT6_T7_P12ihipStream_tbENKUlT_T0_E_clISt17integral_constantIbLb0EESW_EEDaSR_SS_EUlSR_E_NS1_11comp_targetILNS1_3genE9ELNS1_11target_archE1100ELNS1_3gpuE3ELNS1_3repE0EEENS1_30default_config_static_selectorELNS0_4arch9wavefront6targetE1EEEvT1_,"axG",@progbits,_ZN7rocprim17ROCPRIM_400000_NS6detail17trampoline_kernelINS0_14default_configENS1_27scan_by_key_config_selectorIiiEEZZNS1_16scan_by_key_implILNS1_25lookback_scan_determinismE0ELb1ES3_N6thrust23THRUST_200600_302600_NS10device_ptrIiEESB_SB_iNS9_4plusIvEENS9_8equal_toIvEEiEE10hipError_tPvRmT2_T3_T4_T5_mT6_T7_P12ihipStream_tbENKUlT_T0_E_clISt17integral_constantIbLb0EESW_EEDaSR_SS_EUlSR_E_NS1_11comp_targetILNS1_3genE9ELNS1_11target_archE1100ELNS1_3gpuE3ELNS1_3repE0EEENS1_30default_config_static_selectorELNS0_4arch9wavefront6targetE1EEEvT1_,comdat
.Lfunc_end2241:
	.size	_ZN7rocprim17ROCPRIM_400000_NS6detail17trampoline_kernelINS0_14default_configENS1_27scan_by_key_config_selectorIiiEEZZNS1_16scan_by_key_implILNS1_25lookback_scan_determinismE0ELb1ES3_N6thrust23THRUST_200600_302600_NS10device_ptrIiEESB_SB_iNS9_4plusIvEENS9_8equal_toIvEEiEE10hipError_tPvRmT2_T3_T4_T5_mT6_T7_P12ihipStream_tbENKUlT_T0_E_clISt17integral_constantIbLb0EESW_EEDaSR_SS_EUlSR_E_NS1_11comp_targetILNS1_3genE9ELNS1_11target_archE1100ELNS1_3gpuE3ELNS1_3repE0EEENS1_30default_config_static_selectorELNS0_4arch9wavefront6targetE1EEEvT1_, .Lfunc_end2241-_ZN7rocprim17ROCPRIM_400000_NS6detail17trampoline_kernelINS0_14default_configENS1_27scan_by_key_config_selectorIiiEEZZNS1_16scan_by_key_implILNS1_25lookback_scan_determinismE0ELb1ES3_N6thrust23THRUST_200600_302600_NS10device_ptrIiEESB_SB_iNS9_4plusIvEENS9_8equal_toIvEEiEE10hipError_tPvRmT2_T3_T4_T5_mT6_T7_P12ihipStream_tbENKUlT_T0_E_clISt17integral_constantIbLb0EESW_EEDaSR_SS_EUlSR_E_NS1_11comp_targetILNS1_3genE9ELNS1_11target_archE1100ELNS1_3gpuE3ELNS1_3repE0EEENS1_30default_config_static_selectorELNS0_4arch9wavefront6targetE1EEEvT1_
                                        ; -- End function
	.section	.AMDGPU.csdata,"",@progbits
; Kernel info:
; codeLenInByte = 0
; NumSgprs: 6
; NumVgprs: 0
; NumAgprs: 0
; TotalNumVgprs: 0
; ScratchSize: 0
; MemoryBound: 0
; FloatMode: 240
; IeeeMode: 1
; LDSByteSize: 0 bytes/workgroup (compile time only)
; SGPRBlocks: 0
; VGPRBlocks: 0
; NumSGPRsForWavesPerEU: 6
; NumVGPRsForWavesPerEU: 1
; AccumOffset: 4
; Occupancy: 8
; WaveLimiterHint : 0
; COMPUTE_PGM_RSRC2:SCRATCH_EN: 0
; COMPUTE_PGM_RSRC2:USER_SGPR: 2
; COMPUTE_PGM_RSRC2:TRAP_HANDLER: 0
; COMPUTE_PGM_RSRC2:TGID_X_EN: 1
; COMPUTE_PGM_RSRC2:TGID_Y_EN: 0
; COMPUTE_PGM_RSRC2:TGID_Z_EN: 0
; COMPUTE_PGM_RSRC2:TIDIG_COMP_CNT: 0
; COMPUTE_PGM_RSRC3_GFX90A:ACCUM_OFFSET: 0
; COMPUTE_PGM_RSRC3_GFX90A:TG_SPLIT: 0
	.section	.text._ZN7rocprim17ROCPRIM_400000_NS6detail17trampoline_kernelINS0_14default_configENS1_27scan_by_key_config_selectorIiiEEZZNS1_16scan_by_key_implILNS1_25lookback_scan_determinismE0ELb1ES3_N6thrust23THRUST_200600_302600_NS10device_ptrIiEESB_SB_iNS9_4plusIvEENS9_8equal_toIvEEiEE10hipError_tPvRmT2_T3_T4_T5_mT6_T7_P12ihipStream_tbENKUlT_T0_E_clISt17integral_constantIbLb0EESW_EEDaSR_SS_EUlSR_E_NS1_11comp_targetILNS1_3genE8ELNS1_11target_archE1030ELNS1_3gpuE2ELNS1_3repE0EEENS1_30default_config_static_selectorELNS0_4arch9wavefront6targetE1EEEvT1_,"axG",@progbits,_ZN7rocprim17ROCPRIM_400000_NS6detail17trampoline_kernelINS0_14default_configENS1_27scan_by_key_config_selectorIiiEEZZNS1_16scan_by_key_implILNS1_25lookback_scan_determinismE0ELb1ES3_N6thrust23THRUST_200600_302600_NS10device_ptrIiEESB_SB_iNS9_4plusIvEENS9_8equal_toIvEEiEE10hipError_tPvRmT2_T3_T4_T5_mT6_T7_P12ihipStream_tbENKUlT_T0_E_clISt17integral_constantIbLb0EESW_EEDaSR_SS_EUlSR_E_NS1_11comp_targetILNS1_3genE8ELNS1_11target_archE1030ELNS1_3gpuE2ELNS1_3repE0EEENS1_30default_config_static_selectorELNS0_4arch9wavefront6targetE1EEEvT1_,comdat
	.protected	_ZN7rocprim17ROCPRIM_400000_NS6detail17trampoline_kernelINS0_14default_configENS1_27scan_by_key_config_selectorIiiEEZZNS1_16scan_by_key_implILNS1_25lookback_scan_determinismE0ELb1ES3_N6thrust23THRUST_200600_302600_NS10device_ptrIiEESB_SB_iNS9_4plusIvEENS9_8equal_toIvEEiEE10hipError_tPvRmT2_T3_T4_T5_mT6_T7_P12ihipStream_tbENKUlT_T0_E_clISt17integral_constantIbLb0EESW_EEDaSR_SS_EUlSR_E_NS1_11comp_targetILNS1_3genE8ELNS1_11target_archE1030ELNS1_3gpuE2ELNS1_3repE0EEENS1_30default_config_static_selectorELNS0_4arch9wavefront6targetE1EEEvT1_ ; -- Begin function _ZN7rocprim17ROCPRIM_400000_NS6detail17trampoline_kernelINS0_14default_configENS1_27scan_by_key_config_selectorIiiEEZZNS1_16scan_by_key_implILNS1_25lookback_scan_determinismE0ELb1ES3_N6thrust23THRUST_200600_302600_NS10device_ptrIiEESB_SB_iNS9_4plusIvEENS9_8equal_toIvEEiEE10hipError_tPvRmT2_T3_T4_T5_mT6_T7_P12ihipStream_tbENKUlT_T0_E_clISt17integral_constantIbLb0EESW_EEDaSR_SS_EUlSR_E_NS1_11comp_targetILNS1_3genE8ELNS1_11target_archE1030ELNS1_3gpuE2ELNS1_3repE0EEENS1_30default_config_static_selectorELNS0_4arch9wavefront6targetE1EEEvT1_
	.globl	_ZN7rocprim17ROCPRIM_400000_NS6detail17trampoline_kernelINS0_14default_configENS1_27scan_by_key_config_selectorIiiEEZZNS1_16scan_by_key_implILNS1_25lookback_scan_determinismE0ELb1ES3_N6thrust23THRUST_200600_302600_NS10device_ptrIiEESB_SB_iNS9_4plusIvEENS9_8equal_toIvEEiEE10hipError_tPvRmT2_T3_T4_T5_mT6_T7_P12ihipStream_tbENKUlT_T0_E_clISt17integral_constantIbLb0EESW_EEDaSR_SS_EUlSR_E_NS1_11comp_targetILNS1_3genE8ELNS1_11target_archE1030ELNS1_3gpuE2ELNS1_3repE0EEENS1_30default_config_static_selectorELNS0_4arch9wavefront6targetE1EEEvT1_
	.p2align	8
	.type	_ZN7rocprim17ROCPRIM_400000_NS6detail17trampoline_kernelINS0_14default_configENS1_27scan_by_key_config_selectorIiiEEZZNS1_16scan_by_key_implILNS1_25lookback_scan_determinismE0ELb1ES3_N6thrust23THRUST_200600_302600_NS10device_ptrIiEESB_SB_iNS9_4plusIvEENS9_8equal_toIvEEiEE10hipError_tPvRmT2_T3_T4_T5_mT6_T7_P12ihipStream_tbENKUlT_T0_E_clISt17integral_constantIbLb0EESW_EEDaSR_SS_EUlSR_E_NS1_11comp_targetILNS1_3genE8ELNS1_11target_archE1030ELNS1_3gpuE2ELNS1_3repE0EEENS1_30default_config_static_selectorELNS0_4arch9wavefront6targetE1EEEvT1_,@function
_ZN7rocprim17ROCPRIM_400000_NS6detail17trampoline_kernelINS0_14default_configENS1_27scan_by_key_config_selectorIiiEEZZNS1_16scan_by_key_implILNS1_25lookback_scan_determinismE0ELb1ES3_N6thrust23THRUST_200600_302600_NS10device_ptrIiEESB_SB_iNS9_4plusIvEENS9_8equal_toIvEEiEE10hipError_tPvRmT2_T3_T4_T5_mT6_T7_P12ihipStream_tbENKUlT_T0_E_clISt17integral_constantIbLb0EESW_EEDaSR_SS_EUlSR_E_NS1_11comp_targetILNS1_3genE8ELNS1_11target_archE1030ELNS1_3gpuE2ELNS1_3repE0EEENS1_30default_config_static_selectorELNS0_4arch9wavefront6targetE1EEEvT1_: ; @_ZN7rocprim17ROCPRIM_400000_NS6detail17trampoline_kernelINS0_14default_configENS1_27scan_by_key_config_selectorIiiEEZZNS1_16scan_by_key_implILNS1_25lookback_scan_determinismE0ELb1ES3_N6thrust23THRUST_200600_302600_NS10device_ptrIiEESB_SB_iNS9_4plusIvEENS9_8equal_toIvEEiEE10hipError_tPvRmT2_T3_T4_T5_mT6_T7_P12ihipStream_tbENKUlT_T0_E_clISt17integral_constantIbLb0EESW_EEDaSR_SS_EUlSR_E_NS1_11comp_targetILNS1_3genE8ELNS1_11target_archE1030ELNS1_3gpuE2ELNS1_3repE0EEENS1_30default_config_static_selectorELNS0_4arch9wavefront6targetE1EEEvT1_
; %bb.0:
	.section	.rodata,"a",@progbits
	.p2align	6, 0x0
	.amdhsa_kernel _ZN7rocprim17ROCPRIM_400000_NS6detail17trampoline_kernelINS0_14default_configENS1_27scan_by_key_config_selectorIiiEEZZNS1_16scan_by_key_implILNS1_25lookback_scan_determinismE0ELb1ES3_N6thrust23THRUST_200600_302600_NS10device_ptrIiEESB_SB_iNS9_4plusIvEENS9_8equal_toIvEEiEE10hipError_tPvRmT2_T3_T4_T5_mT6_T7_P12ihipStream_tbENKUlT_T0_E_clISt17integral_constantIbLb0EESW_EEDaSR_SS_EUlSR_E_NS1_11comp_targetILNS1_3genE8ELNS1_11target_archE1030ELNS1_3gpuE2ELNS1_3repE0EEENS1_30default_config_static_selectorELNS0_4arch9wavefront6targetE1EEEvT1_
		.amdhsa_group_segment_fixed_size 0
		.amdhsa_private_segment_fixed_size 0
		.amdhsa_kernarg_size 112
		.amdhsa_user_sgpr_count 2
		.amdhsa_user_sgpr_dispatch_ptr 0
		.amdhsa_user_sgpr_queue_ptr 0
		.amdhsa_user_sgpr_kernarg_segment_ptr 1
		.amdhsa_user_sgpr_dispatch_id 0
		.amdhsa_user_sgpr_kernarg_preload_length 0
		.amdhsa_user_sgpr_kernarg_preload_offset 0
		.amdhsa_user_sgpr_private_segment_size 0
		.amdhsa_uses_dynamic_stack 0
		.amdhsa_enable_private_segment 0
		.amdhsa_system_sgpr_workgroup_id_x 1
		.amdhsa_system_sgpr_workgroup_id_y 0
		.amdhsa_system_sgpr_workgroup_id_z 0
		.amdhsa_system_sgpr_workgroup_info 0
		.amdhsa_system_vgpr_workitem_id 0
		.amdhsa_next_free_vgpr 1
		.amdhsa_next_free_sgpr 0
		.amdhsa_accum_offset 4
		.amdhsa_reserve_vcc 0
		.amdhsa_float_round_mode_32 0
		.amdhsa_float_round_mode_16_64 0
		.amdhsa_float_denorm_mode_32 3
		.amdhsa_float_denorm_mode_16_64 3
		.amdhsa_dx10_clamp 1
		.amdhsa_ieee_mode 1
		.amdhsa_fp16_overflow 0
		.amdhsa_tg_split 0
		.amdhsa_exception_fp_ieee_invalid_op 0
		.amdhsa_exception_fp_denorm_src 0
		.amdhsa_exception_fp_ieee_div_zero 0
		.amdhsa_exception_fp_ieee_overflow 0
		.amdhsa_exception_fp_ieee_underflow 0
		.amdhsa_exception_fp_ieee_inexact 0
		.amdhsa_exception_int_div_zero 0
	.end_amdhsa_kernel
	.section	.text._ZN7rocprim17ROCPRIM_400000_NS6detail17trampoline_kernelINS0_14default_configENS1_27scan_by_key_config_selectorIiiEEZZNS1_16scan_by_key_implILNS1_25lookback_scan_determinismE0ELb1ES3_N6thrust23THRUST_200600_302600_NS10device_ptrIiEESB_SB_iNS9_4plusIvEENS9_8equal_toIvEEiEE10hipError_tPvRmT2_T3_T4_T5_mT6_T7_P12ihipStream_tbENKUlT_T0_E_clISt17integral_constantIbLb0EESW_EEDaSR_SS_EUlSR_E_NS1_11comp_targetILNS1_3genE8ELNS1_11target_archE1030ELNS1_3gpuE2ELNS1_3repE0EEENS1_30default_config_static_selectorELNS0_4arch9wavefront6targetE1EEEvT1_,"axG",@progbits,_ZN7rocprim17ROCPRIM_400000_NS6detail17trampoline_kernelINS0_14default_configENS1_27scan_by_key_config_selectorIiiEEZZNS1_16scan_by_key_implILNS1_25lookback_scan_determinismE0ELb1ES3_N6thrust23THRUST_200600_302600_NS10device_ptrIiEESB_SB_iNS9_4plusIvEENS9_8equal_toIvEEiEE10hipError_tPvRmT2_T3_T4_T5_mT6_T7_P12ihipStream_tbENKUlT_T0_E_clISt17integral_constantIbLb0EESW_EEDaSR_SS_EUlSR_E_NS1_11comp_targetILNS1_3genE8ELNS1_11target_archE1030ELNS1_3gpuE2ELNS1_3repE0EEENS1_30default_config_static_selectorELNS0_4arch9wavefront6targetE1EEEvT1_,comdat
.Lfunc_end2242:
	.size	_ZN7rocprim17ROCPRIM_400000_NS6detail17trampoline_kernelINS0_14default_configENS1_27scan_by_key_config_selectorIiiEEZZNS1_16scan_by_key_implILNS1_25lookback_scan_determinismE0ELb1ES3_N6thrust23THRUST_200600_302600_NS10device_ptrIiEESB_SB_iNS9_4plusIvEENS9_8equal_toIvEEiEE10hipError_tPvRmT2_T3_T4_T5_mT6_T7_P12ihipStream_tbENKUlT_T0_E_clISt17integral_constantIbLb0EESW_EEDaSR_SS_EUlSR_E_NS1_11comp_targetILNS1_3genE8ELNS1_11target_archE1030ELNS1_3gpuE2ELNS1_3repE0EEENS1_30default_config_static_selectorELNS0_4arch9wavefront6targetE1EEEvT1_, .Lfunc_end2242-_ZN7rocprim17ROCPRIM_400000_NS6detail17trampoline_kernelINS0_14default_configENS1_27scan_by_key_config_selectorIiiEEZZNS1_16scan_by_key_implILNS1_25lookback_scan_determinismE0ELb1ES3_N6thrust23THRUST_200600_302600_NS10device_ptrIiEESB_SB_iNS9_4plusIvEENS9_8equal_toIvEEiEE10hipError_tPvRmT2_T3_T4_T5_mT6_T7_P12ihipStream_tbENKUlT_T0_E_clISt17integral_constantIbLb0EESW_EEDaSR_SS_EUlSR_E_NS1_11comp_targetILNS1_3genE8ELNS1_11target_archE1030ELNS1_3gpuE2ELNS1_3repE0EEENS1_30default_config_static_selectorELNS0_4arch9wavefront6targetE1EEEvT1_
                                        ; -- End function
	.section	.AMDGPU.csdata,"",@progbits
; Kernel info:
; codeLenInByte = 0
; NumSgprs: 6
; NumVgprs: 0
; NumAgprs: 0
; TotalNumVgprs: 0
; ScratchSize: 0
; MemoryBound: 0
; FloatMode: 240
; IeeeMode: 1
; LDSByteSize: 0 bytes/workgroup (compile time only)
; SGPRBlocks: 0
; VGPRBlocks: 0
; NumSGPRsForWavesPerEU: 6
; NumVGPRsForWavesPerEU: 1
; AccumOffset: 4
; Occupancy: 8
; WaveLimiterHint : 0
; COMPUTE_PGM_RSRC2:SCRATCH_EN: 0
; COMPUTE_PGM_RSRC2:USER_SGPR: 2
; COMPUTE_PGM_RSRC2:TRAP_HANDLER: 0
; COMPUTE_PGM_RSRC2:TGID_X_EN: 1
; COMPUTE_PGM_RSRC2:TGID_Y_EN: 0
; COMPUTE_PGM_RSRC2:TGID_Z_EN: 0
; COMPUTE_PGM_RSRC2:TIDIG_COMP_CNT: 0
; COMPUTE_PGM_RSRC3_GFX90A:ACCUM_OFFSET: 0
; COMPUTE_PGM_RSRC3_GFX90A:TG_SPLIT: 0
	.section	.text._ZN7rocprim17ROCPRIM_400000_NS6detail17trampoline_kernelINS0_14default_configENS1_27scan_by_key_config_selectorIiiEEZZNS1_16scan_by_key_implILNS1_25lookback_scan_determinismE0ELb1ES3_N6thrust23THRUST_200600_302600_NS10device_ptrIiEESB_SB_iNS9_4plusIvEENS9_8equal_toIvEEiEE10hipError_tPvRmT2_T3_T4_T5_mT6_T7_P12ihipStream_tbENKUlT_T0_E_clISt17integral_constantIbLb1EESW_EEDaSR_SS_EUlSR_E_NS1_11comp_targetILNS1_3genE0ELNS1_11target_archE4294967295ELNS1_3gpuE0ELNS1_3repE0EEENS1_30default_config_static_selectorELNS0_4arch9wavefront6targetE1EEEvT1_,"axG",@progbits,_ZN7rocprim17ROCPRIM_400000_NS6detail17trampoline_kernelINS0_14default_configENS1_27scan_by_key_config_selectorIiiEEZZNS1_16scan_by_key_implILNS1_25lookback_scan_determinismE0ELb1ES3_N6thrust23THRUST_200600_302600_NS10device_ptrIiEESB_SB_iNS9_4plusIvEENS9_8equal_toIvEEiEE10hipError_tPvRmT2_T3_T4_T5_mT6_T7_P12ihipStream_tbENKUlT_T0_E_clISt17integral_constantIbLb1EESW_EEDaSR_SS_EUlSR_E_NS1_11comp_targetILNS1_3genE0ELNS1_11target_archE4294967295ELNS1_3gpuE0ELNS1_3repE0EEENS1_30default_config_static_selectorELNS0_4arch9wavefront6targetE1EEEvT1_,comdat
	.protected	_ZN7rocprim17ROCPRIM_400000_NS6detail17trampoline_kernelINS0_14default_configENS1_27scan_by_key_config_selectorIiiEEZZNS1_16scan_by_key_implILNS1_25lookback_scan_determinismE0ELb1ES3_N6thrust23THRUST_200600_302600_NS10device_ptrIiEESB_SB_iNS9_4plusIvEENS9_8equal_toIvEEiEE10hipError_tPvRmT2_T3_T4_T5_mT6_T7_P12ihipStream_tbENKUlT_T0_E_clISt17integral_constantIbLb1EESW_EEDaSR_SS_EUlSR_E_NS1_11comp_targetILNS1_3genE0ELNS1_11target_archE4294967295ELNS1_3gpuE0ELNS1_3repE0EEENS1_30default_config_static_selectorELNS0_4arch9wavefront6targetE1EEEvT1_ ; -- Begin function _ZN7rocprim17ROCPRIM_400000_NS6detail17trampoline_kernelINS0_14default_configENS1_27scan_by_key_config_selectorIiiEEZZNS1_16scan_by_key_implILNS1_25lookback_scan_determinismE0ELb1ES3_N6thrust23THRUST_200600_302600_NS10device_ptrIiEESB_SB_iNS9_4plusIvEENS9_8equal_toIvEEiEE10hipError_tPvRmT2_T3_T4_T5_mT6_T7_P12ihipStream_tbENKUlT_T0_E_clISt17integral_constantIbLb1EESW_EEDaSR_SS_EUlSR_E_NS1_11comp_targetILNS1_3genE0ELNS1_11target_archE4294967295ELNS1_3gpuE0ELNS1_3repE0EEENS1_30default_config_static_selectorELNS0_4arch9wavefront6targetE1EEEvT1_
	.globl	_ZN7rocprim17ROCPRIM_400000_NS6detail17trampoline_kernelINS0_14default_configENS1_27scan_by_key_config_selectorIiiEEZZNS1_16scan_by_key_implILNS1_25lookback_scan_determinismE0ELb1ES3_N6thrust23THRUST_200600_302600_NS10device_ptrIiEESB_SB_iNS9_4plusIvEENS9_8equal_toIvEEiEE10hipError_tPvRmT2_T3_T4_T5_mT6_T7_P12ihipStream_tbENKUlT_T0_E_clISt17integral_constantIbLb1EESW_EEDaSR_SS_EUlSR_E_NS1_11comp_targetILNS1_3genE0ELNS1_11target_archE4294967295ELNS1_3gpuE0ELNS1_3repE0EEENS1_30default_config_static_selectorELNS0_4arch9wavefront6targetE1EEEvT1_
	.p2align	8
	.type	_ZN7rocprim17ROCPRIM_400000_NS6detail17trampoline_kernelINS0_14default_configENS1_27scan_by_key_config_selectorIiiEEZZNS1_16scan_by_key_implILNS1_25lookback_scan_determinismE0ELb1ES3_N6thrust23THRUST_200600_302600_NS10device_ptrIiEESB_SB_iNS9_4plusIvEENS9_8equal_toIvEEiEE10hipError_tPvRmT2_T3_T4_T5_mT6_T7_P12ihipStream_tbENKUlT_T0_E_clISt17integral_constantIbLb1EESW_EEDaSR_SS_EUlSR_E_NS1_11comp_targetILNS1_3genE0ELNS1_11target_archE4294967295ELNS1_3gpuE0ELNS1_3repE0EEENS1_30default_config_static_selectorELNS0_4arch9wavefront6targetE1EEEvT1_,@function
_ZN7rocprim17ROCPRIM_400000_NS6detail17trampoline_kernelINS0_14default_configENS1_27scan_by_key_config_selectorIiiEEZZNS1_16scan_by_key_implILNS1_25lookback_scan_determinismE0ELb1ES3_N6thrust23THRUST_200600_302600_NS10device_ptrIiEESB_SB_iNS9_4plusIvEENS9_8equal_toIvEEiEE10hipError_tPvRmT2_T3_T4_T5_mT6_T7_P12ihipStream_tbENKUlT_T0_E_clISt17integral_constantIbLb1EESW_EEDaSR_SS_EUlSR_E_NS1_11comp_targetILNS1_3genE0ELNS1_11target_archE4294967295ELNS1_3gpuE0ELNS1_3repE0EEENS1_30default_config_static_selectorELNS0_4arch9wavefront6targetE1EEEvT1_: ; @_ZN7rocprim17ROCPRIM_400000_NS6detail17trampoline_kernelINS0_14default_configENS1_27scan_by_key_config_selectorIiiEEZZNS1_16scan_by_key_implILNS1_25lookback_scan_determinismE0ELb1ES3_N6thrust23THRUST_200600_302600_NS10device_ptrIiEESB_SB_iNS9_4plusIvEENS9_8equal_toIvEEiEE10hipError_tPvRmT2_T3_T4_T5_mT6_T7_P12ihipStream_tbENKUlT_T0_E_clISt17integral_constantIbLb1EESW_EEDaSR_SS_EUlSR_E_NS1_11comp_targetILNS1_3genE0ELNS1_11target_archE4294967295ELNS1_3gpuE0ELNS1_3repE0EEENS1_30default_config_static_selectorELNS0_4arch9wavefront6targetE1EEEvT1_
; %bb.0:
	.section	.rodata,"a",@progbits
	.p2align	6, 0x0
	.amdhsa_kernel _ZN7rocprim17ROCPRIM_400000_NS6detail17trampoline_kernelINS0_14default_configENS1_27scan_by_key_config_selectorIiiEEZZNS1_16scan_by_key_implILNS1_25lookback_scan_determinismE0ELb1ES3_N6thrust23THRUST_200600_302600_NS10device_ptrIiEESB_SB_iNS9_4plusIvEENS9_8equal_toIvEEiEE10hipError_tPvRmT2_T3_T4_T5_mT6_T7_P12ihipStream_tbENKUlT_T0_E_clISt17integral_constantIbLb1EESW_EEDaSR_SS_EUlSR_E_NS1_11comp_targetILNS1_3genE0ELNS1_11target_archE4294967295ELNS1_3gpuE0ELNS1_3repE0EEENS1_30default_config_static_selectorELNS0_4arch9wavefront6targetE1EEEvT1_
		.amdhsa_group_segment_fixed_size 0
		.amdhsa_private_segment_fixed_size 0
		.amdhsa_kernarg_size 112
		.amdhsa_user_sgpr_count 2
		.amdhsa_user_sgpr_dispatch_ptr 0
		.amdhsa_user_sgpr_queue_ptr 0
		.amdhsa_user_sgpr_kernarg_segment_ptr 1
		.amdhsa_user_sgpr_dispatch_id 0
		.amdhsa_user_sgpr_kernarg_preload_length 0
		.amdhsa_user_sgpr_kernarg_preload_offset 0
		.amdhsa_user_sgpr_private_segment_size 0
		.amdhsa_uses_dynamic_stack 0
		.amdhsa_enable_private_segment 0
		.amdhsa_system_sgpr_workgroup_id_x 1
		.amdhsa_system_sgpr_workgroup_id_y 0
		.amdhsa_system_sgpr_workgroup_id_z 0
		.amdhsa_system_sgpr_workgroup_info 0
		.amdhsa_system_vgpr_workitem_id 0
		.amdhsa_next_free_vgpr 1
		.amdhsa_next_free_sgpr 0
		.amdhsa_accum_offset 4
		.amdhsa_reserve_vcc 0
		.amdhsa_float_round_mode_32 0
		.amdhsa_float_round_mode_16_64 0
		.amdhsa_float_denorm_mode_32 3
		.amdhsa_float_denorm_mode_16_64 3
		.amdhsa_dx10_clamp 1
		.amdhsa_ieee_mode 1
		.amdhsa_fp16_overflow 0
		.amdhsa_tg_split 0
		.amdhsa_exception_fp_ieee_invalid_op 0
		.amdhsa_exception_fp_denorm_src 0
		.amdhsa_exception_fp_ieee_div_zero 0
		.amdhsa_exception_fp_ieee_overflow 0
		.amdhsa_exception_fp_ieee_underflow 0
		.amdhsa_exception_fp_ieee_inexact 0
		.amdhsa_exception_int_div_zero 0
	.end_amdhsa_kernel
	.section	.text._ZN7rocprim17ROCPRIM_400000_NS6detail17trampoline_kernelINS0_14default_configENS1_27scan_by_key_config_selectorIiiEEZZNS1_16scan_by_key_implILNS1_25lookback_scan_determinismE0ELb1ES3_N6thrust23THRUST_200600_302600_NS10device_ptrIiEESB_SB_iNS9_4plusIvEENS9_8equal_toIvEEiEE10hipError_tPvRmT2_T3_T4_T5_mT6_T7_P12ihipStream_tbENKUlT_T0_E_clISt17integral_constantIbLb1EESW_EEDaSR_SS_EUlSR_E_NS1_11comp_targetILNS1_3genE0ELNS1_11target_archE4294967295ELNS1_3gpuE0ELNS1_3repE0EEENS1_30default_config_static_selectorELNS0_4arch9wavefront6targetE1EEEvT1_,"axG",@progbits,_ZN7rocprim17ROCPRIM_400000_NS6detail17trampoline_kernelINS0_14default_configENS1_27scan_by_key_config_selectorIiiEEZZNS1_16scan_by_key_implILNS1_25lookback_scan_determinismE0ELb1ES3_N6thrust23THRUST_200600_302600_NS10device_ptrIiEESB_SB_iNS9_4plusIvEENS9_8equal_toIvEEiEE10hipError_tPvRmT2_T3_T4_T5_mT6_T7_P12ihipStream_tbENKUlT_T0_E_clISt17integral_constantIbLb1EESW_EEDaSR_SS_EUlSR_E_NS1_11comp_targetILNS1_3genE0ELNS1_11target_archE4294967295ELNS1_3gpuE0ELNS1_3repE0EEENS1_30default_config_static_selectorELNS0_4arch9wavefront6targetE1EEEvT1_,comdat
.Lfunc_end2243:
	.size	_ZN7rocprim17ROCPRIM_400000_NS6detail17trampoline_kernelINS0_14default_configENS1_27scan_by_key_config_selectorIiiEEZZNS1_16scan_by_key_implILNS1_25lookback_scan_determinismE0ELb1ES3_N6thrust23THRUST_200600_302600_NS10device_ptrIiEESB_SB_iNS9_4plusIvEENS9_8equal_toIvEEiEE10hipError_tPvRmT2_T3_T4_T5_mT6_T7_P12ihipStream_tbENKUlT_T0_E_clISt17integral_constantIbLb1EESW_EEDaSR_SS_EUlSR_E_NS1_11comp_targetILNS1_3genE0ELNS1_11target_archE4294967295ELNS1_3gpuE0ELNS1_3repE0EEENS1_30default_config_static_selectorELNS0_4arch9wavefront6targetE1EEEvT1_, .Lfunc_end2243-_ZN7rocprim17ROCPRIM_400000_NS6detail17trampoline_kernelINS0_14default_configENS1_27scan_by_key_config_selectorIiiEEZZNS1_16scan_by_key_implILNS1_25lookback_scan_determinismE0ELb1ES3_N6thrust23THRUST_200600_302600_NS10device_ptrIiEESB_SB_iNS9_4plusIvEENS9_8equal_toIvEEiEE10hipError_tPvRmT2_T3_T4_T5_mT6_T7_P12ihipStream_tbENKUlT_T0_E_clISt17integral_constantIbLb1EESW_EEDaSR_SS_EUlSR_E_NS1_11comp_targetILNS1_3genE0ELNS1_11target_archE4294967295ELNS1_3gpuE0ELNS1_3repE0EEENS1_30default_config_static_selectorELNS0_4arch9wavefront6targetE1EEEvT1_
                                        ; -- End function
	.section	.AMDGPU.csdata,"",@progbits
; Kernel info:
; codeLenInByte = 0
; NumSgprs: 6
; NumVgprs: 0
; NumAgprs: 0
; TotalNumVgprs: 0
; ScratchSize: 0
; MemoryBound: 0
; FloatMode: 240
; IeeeMode: 1
; LDSByteSize: 0 bytes/workgroup (compile time only)
; SGPRBlocks: 0
; VGPRBlocks: 0
; NumSGPRsForWavesPerEU: 6
; NumVGPRsForWavesPerEU: 1
; AccumOffset: 4
; Occupancy: 8
; WaveLimiterHint : 0
; COMPUTE_PGM_RSRC2:SCRATCH_EN: 0
; COMPUTE_PGM_RSRC2:USER_SGPR: 2
; COMPUTE_PGM_RSRC2:TRAP_HANDLER: 0
; COMPUTE_PGM_RSRC2:TGID_X_EN: 1
; COMPUTE_PGM_RSRC2:TGID_Y_EN: 0
; COMPUTE_PGM_RSRC2:TGID_Z_EN: 0
; COMPUTE_PGM_RSRC2:TIDIG_COMP_CNT: 0
; COMPUTE_PGM_RSRC3_GFX90A:ACCUM_OFFSET: 0
; COMPUTE_PGM_RSRC3_GFX90A:TG_SPLIT: 0
	.section	.text._ZN7rocprim17ROCPRIM_400000_NS6detail17trampoline_kernelINS0_14default_configENS1_27scan_by_key_config_selectorIiiEEZZNS1_16scan_by_key_implILNS1_25lookback_scan_determinismE0ELb1ES3_N6thrust23THRUST_200600_302600_NS10device_ptrIiEESB_SB_iNS9_4plusIvEENS9_8equal_toIvEEiEE10hipError_tPvRmT2_T3_T4_T5_mT6_T7_P12ihipStream_tbENKUlT_T0_E_clISt17integral_constantIbLb1EESW_EEDaSR_SS_EUlSR_E_NS1_11comp_targetILNS1_3genE10ELNS1_11target_archE1201ELNS1_3gpuE5ELNS1_3repE0EEENS1_30default_config_static_selectorELNS0_4arch9wavefront6targetE1EEEvT1_,"axG",@progbits,_ZN7rocprim17ROCPRIM_400000_NS6detail17trampoline_kernelINS0_14default_configENS1_27scan_by_key_config_selectorIiiEEZZNS1_16scan_by_key_implILNS1_25lookback_scan_determinismE0ELb1ES3_N6thrust23THRUST_200600_302600_NS10device_ptrIiEESB_SB_iNS9_4plusIvEENS9_8equal_toIvEEiEE10hipError_tPvRmT2_T3_T4_T5_mT6_T7_P12ihipStream_tbENKUlT_T0_E_clISt17integral_constantIbLb1EESW_EEDaSR_SS_EUlSR_E_NS1_11comp_targetILNS1_3genE10ELNS1_11target_archE1201ELNS1_3gpuE5ELNS1_3repE0EEENS1_30default_config_static_selectorELNS0_4arch9wavefront6targetE1EEEvT1_,comdat
	.protected	_ZN7rocprim17ROCPRIM_400000_NS6detail17trampoline_kernelINS0_14default_configENS1_27scan_by_key_config_selectorIiiEEZZNS1_16scan_by_key_implILNS1_25lookback_scan_determinismE0ELb1ES3_N6thrust23THRUST_200600_302600_NS10device_ptrIiEESB_SB_iNS9_4plusIvEENS9_8equal_toIvEEiEE10hipError_tPvRmT2_T3_T4_T5_mT6_T7_P12ihipStream_tbENKUlT_T0_E_clISt17integral_constantIbLb1EESW_EEDaSR_SS_EUlSR_E_NS1_11comp_targetILNS1_3genE10ELNS1_11target_archE1201ELNS1_3gpuE5ELNS1_3repE0EEENS1_30default_config_static_selectorELNS0_4arch9wavefront6targetE1EEEvT1_ ; -- Begin function _ZN7rocprim17ROCPRIM_400000_NS6detail17trampoline_kernelINS0_14default_configENS1_27scan_by_key_config_selectorIiiEEZZNS1_16scan_by_key_implILNS1_25lookback_scan_determinismE0ELb1ES3_N6thrust23THRUST_200600_302600_NS10device_ptrIiEESB_SB_iNS9_4plusIvEENS9_8equal_toIvEEiEE10hipError_tPvRmT2_T3_T4_T5_mT6_T7_P12ihipStream_tbENKUlT_T0_E_clISt17integral_constantIbLb1EESW_EEDaSR_SS_EUlSR_E_NS1_11comp_targetILNS1_3genE10ELNS1_11target_archE1201ELNS1_3gpuE5ELNS1_3repE0EEENS1_30default_config_static_selectorELNS0_4arch9wavefront6targetE1EEEvT1_
	.globl	_ZN7rocprim17ROCPRIM_400000_NS6detail17trampoline_kernelINS0_14default_configENS1_27scan_by_key_config_selectorIiiEEZZNS1_16scan_by_key_implILNS1_25lookback_scan_determinismE0ELb1ES3_N6thrust23THRUST_200600_302600_NS10device_ptrIiEESB_SB_iNS9_4plusIvEENS9_8equal_toIvEEiEE10hipError_tPvRmT2_T3_T4_T5_mT6_T7_P12ihipStream_tbENKUlT_T0_E_clISt17integral_constantIbLb1EESW_EEDaSR_SS_EUlSR_E_NS1_11comp_targetILNS1_3genE10ELNS1_11target_archE1201ELNS1_3gpuE5ELNS1_3repE0EEENS1_30default_config_static_selectorELNS0_4arch9wavefront6targetE1EEEvT1_
	.p2align	8
	.type	_ZN7rocprim17ROCPRIM_400000_NS6detail17trampoline_kernelINS0_14default_configENS1_27scan_by_key_config_selectorIiiEEZZNS1_16scan_by_key_implILNS1_25lookback_scan_determinismE0ELb1ES3_N6thrust23THRUST_200600_302600_NS10device_ptrIiEESB_SB_iNS9_4plusIvEENS9_8equal_toIvEEiEE10hipError_tPvRmT2_T3_T4_T5_mT6_T7_P12ihipStream_tbENKUlT_T0_E_clISt17integral_constantIbLb1EESW_EEDaSR_SS_EUlSR_E_NS1_11comp_targetILNS1_3genE10ELNS1_11target_archE1201ELNS1_3gpuE5ELNS1_3repE0EEENS1_30default_config_static_selectorELNS0_4arch9wavefront6targetE1EEEvT1_,@function
_ZN7rocprim17ROCPRIM_400000_NS6detail17trampoline_kernelINS0_14default_configENS1_27scan_by_key_config_selectorIiiEEZZNS1_16scan_by_key_implILNS1_25lookback_scan_determinismE0ELb1ES3_N6thrust23THRUST_200600_302600_NS10device_ptrIiEESB_SB_iNS9_4plusIvEENS9_8equal_toIvEEiEE10hipError_tPvRmT2_T3_T4_T5_mT6_T7_P12ihipStream_tbENKUlT_T0_E_clISt17integral_constantIbLb1EESW_EEDaSR_SS_EUlSR_E_NS1_11comp_targetILNS1_3genE10ELNS1_11target_archE1201ELNS1_3gpuE5ELNS1_3repE0EEENS1_30default_config_static_selectorELNS0_4arch9wavefront6targetE1EEEvT1_: ; @_ZN7rocprim17ROCPRIM_400000_NS6detail17trampoline_kernelINS0_14default_configENS1_27scan_by_key_config_selectorIiiEEZZNS1_16scan_by_key_implILNS1_25lookback_scan_determinismE0ELb1ES3_N6thrust23THRUST_200600_302600_NS10device_ptrIiEESB_SB_iNS9_4plusIvEENS9_8equal_toIvEEiEE10hipError_tPvRmT2_T3_T4_T5_mT6_T7_P12ihipStream_tbENKUlT_T0_E_clISt17integral_constantIbLb1EESW_EEDaSR_SS_EUlSR_E_NS1_11comp_targetILNS1_3genE10ELNS1_11target_archE1201ELNS1_3gpuE5ELNS1_3repE0EEENS1_30default_config_static_selectorELNS0_4arch9wavefront6targetE1EEEvT1_
; %bb.0:
	.section	.rodata,"a",@progbits
	.p2align	6, 0x0
	.amdhsa_kernel _ZN7rocprim17ROCPRIM_400000_NS6detail17trampoline_kernelINS0_14default_configENS1_27scan_by_key_config_selectorIiiEEZZNS1_16scan_by_key_implILNS1_25lookback_scan_determinismE0ELb1ES3_N6thrust23THRUST_200600_302600_NS10device_ptrIiEESB_SB_iNS9_4plusIvEENS9_8equal_toIvEEiEE10hipError_tPvRmT2_T3_T4_T5_mT6_T7_P12ihipStream_tbENKUlT_T0_E_clISt17integral_constantIbLb1EESW_EEDaSR_SS_EUlSR_E_NS1_11comp_targetILNS1_3genE10ELNS1_11target_archE1201ELNS1_3gpuE5ELNS1_3repE0EEENS1_30default_config_static_selectorELNS0_4arch9wavefront6targetE1EEEvT1_
		.amdhsa_group_segment_fixed_size 0
		.amdhsa_private_segment_fixed_size 0
		.amdhsa_kernarg_size 112
		.amdhsa_user_sgpr_count 2
		.amdhsa_user_sgpr_dispatch_ptr 0
		.amdhsa_user_sgpr_queue_ptr 0
		.amdhsa_user_sgpr_kernarg_segment_ptr 1
		.amdhsa_user_sgpr_dispatch_id 0
		.amdhsa_user_sgpr_kernarg_preload_length 0
		.amdhsa_user_sgpr_kernarg_preload_offset 0
		.amdhsa_user_sgpr_private_segment_size 0
		.amdhsa_uses_dynamic_stack 0
		.amdhsa_enable_private_segment 0
		.amdhsa_system_sgpr_workgroup_id_x 1
		.amdhsa_system_sgpr_workgroup_id_y 0
		.amdhsa_system_sgpr_workgroup_id_z 0
		.amdhsa_system_sgpr_workgroup_info 0
		.amdhsa_system_vgpr_workitem_id 0
		.amdhsa_next_free_vgpr 1
		.amdhsa_next_free_sgpr 0
		.amdhsa_accum_offset 4
		.amdhsa_reserve_vcc 0
		.amdhsa_float_round_mode_32 0
		.amdhsa_float_round_mode_16_64 0
		.amdhsa_float_denorm_mode_32 3
		.amdhsa_float_denorm_mode_16_64 3
		.amdhsa_dx10_clamp 1
		.amdhsa_ieee_mode 1
		.amdhsa_fp16_overflow 0
		.amdhsa_tg_split 0
		.amdhsa_exception_fp_ieee_invalid_op 0
		.amdhsa_exception_fp_denorm_src 0
		.amdhsa_exception_fp_ieee_div_zero 0
		.amdhsa_exception_fp_ieee_overflow 0
		.amdhsa_exception_fp_ieee_underflow 0
		.amdhsa_exception_fp_ieee_inexact 0
		.amdhsa_exception_int_div_zero 0
	.end_amdhsa_kernel
	.section	.text._ZN7rocprim17ROCPRIM_400000_NS6detail17trampoline_kernelINS0_14default_configENS1_27scan_by_key_config_selectorIiiEEZZNS1_16scan_by_key_implILNS1_25lookback_scan_determinismE0ELb1ES3_N6thrust23THRUST_200600_302600_NS10device_ptrIiEESB_SB_iNS9_4plusIvEENS9_8equal_toIvEEiEE10hipError_tPvRmT2_T3_T4_T5_mT6_T7_P12ihipStream_tbENKUlT_T0_E_clISt17integral_constantIbLb1EESW_EEDaSR_SS_EUlSR_E_NS1_11comp_targetILNS1_3genE10ELNS1_11target_archE1201ELNS1_3gpuE5ELNS1_3repE0EEENS1_30default_config_static_selectorELNS0_4arch9wavefront6targetE1EEEvT1_,"axG",@progbits,_ZN7rocprim17ROCPRIM_400000_NS6detail17trampoline_kernelINS0_14default_configENS1_27scan_by_key_config_selectorIiiEEZZNS1_16scan_by_key_implILNS1_25lookback_scan_determinismE0ELb1ES3_N6thrust23THRUST_200600_302600_NS10device_ptrIiEESB_SB_iNS9_4plusIvEENS9_8equal_toIvEEiEE10hipError_tPvRmT2_T3_T4_T5_mT6_T7_P12ihipStream_tbENKUlT_T0_E_clISt17integral_constantIbLb1EESW_EEDaSR_SS_EUlSR_E_NS1_11comp_targetILNS1_3genE10ELNS1_11target_archE1201ELNS1_3gpuE5ELNS1_3repE0EEENS1_30default_config_static_selectorELNS0_4arch9wavefront6targetE1EEEvT1_,comdat
.Lfunc_end2244:
	.size	_ZN7rocprim17ROCPRIM_400000_NS6detail17trampoline_kernelINS0_14default_configENS1_27scan_by_key_config_selectorIiiEEZZNS1_16scan_by_key_implILNS1_25lookback_scan_determinismE0ELb1ES3_N6thrust23THRUST_200600_302600_NS10device_ptrIiEESB_SB_iNS9_4plusIvEENS9_8equal_toIvEEiEE10hipError_tPvRmT2_T3_T4_T5_mT6_T7_P12ihipStream_tbENKUlT_T0_E_clISt17integral_constantIbLb1EESW_EEDaSR_SS_EUlSR_E_NS1_11comp_targetILNS1_3genE10ELNS1_11target_archE1201ELNS1_3gpuE5ELNS1_3repE0EEENS1_30default_config_static_selectorELNS0_4arch9wavefront6targetE1EEEvT1_, .Lfunc_end2244-_ZN7rocprim17ROCPRIM_400000_NS6detail17trampoline_kernelINS0_14default_configENS1_27scan_by_key_config_selectorIiiEEZZNS1_16scan_by_key_implILNS1_25lookback_scan_determinismE0ELb1ES3_N6thrust23THRUST_200600_302600_NS10device_ptrIiEESB_SB_iNS9_4plusIvEENS9_8equal_toIvEEiEE10hipError_tPvRmT2_T3_T4_T5_mT6_T7_P12ihipStream_tbENKUlT_T0_E_clISt17integral_constantIbLb1EESW_EEDaSR_SS_EUlSR_E_NS1_11comp_targetILNS1_3genE10ELNS1_11target_archE1201ELNS1_3gpuE5ELNS1_3repE0EEENS1_30default_config_static_selectorELNS0_4arch9wavefront6targetE1EEEvT1_
                                        ; -- End function
	.section	.AMDGPU.csdata,"",@progbits
; Kernel info:
; codeLenInByte = 0
; NumSgprs: 6
; NumVgprs: 0
; NumAgprs: 0
; TotalNumVgprs: 0
; ScratchSize: 0
; MemoryBound: 0
; FloatMode: 240
; IeeeMode: 1
; LDSByteSize: 0 bytes/workgroup (compile time only)
; SGPRBlocks: 0
; VGPRBlocks: 0
; NumSGPRsForWavesPerEU: 6
; NumVGPRsForWavesPerEU: 1
; AccumOffset: 4
; Occupancy: 8
; WaveLimiterHint : 0
; COMPUTE_PGM_RSRC2:SCRATCH_EN: 0
; COMPUTE_PGM_RSRC2:USER_SGPR: 2
; COMPUTE_PGM_RSRC2:TRAP_HANDLER: 0
; COMPUTE_PGM_RSRC2:TGID_X_EN: 1
; COMPUTE_PGM_RSRC2:TGID_Y_EN: 0
; COMPUTE_PGM_RSRC2:TGID_Z_EN: 0
; COMPUTE_PGM_RSRC2:TIDIG_COMP_CNT: 0
; COMPUTE_PGM_RSRC3_GFX90A:ACCUM_OFFSET: 0
; COMPUTE_PGM_RSRC3_GFX90A:TG_SPLIT: 0
	.section	.text._ZN7rocprim17ROCPRIM_400000_NS6detail17trampoline_kernelINS0_14default_configENS1_27scan_by_key_config_selectorIiiEEZZNS1_16scan_by_key_implILNS1_25lookback_scan_determinismE0ELb1ES3_N6thrust23THRUST_200600_302600_NS10device_ptrIiEESB_SB_iNS9_4plusIvEENS9_8equal_toIvEEiEE10hipError_tPvRmT2_T3_T4_T5_mT6_T7_P12ihipStream_tbENKUlT_T0_E_clISt17integral_constantIbLb1EESW_EEDaSR_SS_EUlSR_E_NS1_11comp_targetILNS1_3genE5ELNS1_11target_archE942ELNS1_3gpuE9ELNS1_3repE0EEENS1_30default_config_static_selectorELNS0_4arch9wavefront6targetE1EEEvT1_,"axG",@progbits,_ZN7rocprim17ROCPRIM_400000_NS6detail17trampoline_kernelINS0_14default_configENS1_27scan_by_key_config_selectorIiiEEZZNS1_16scan_by_key_implILNS1_25lookback_scan_determinismE0ELb1ES3_N6thrust23THRUST_200600_302600_NS10device_ptrIiEESB_SB_iNS9_4plusIvEENS9_8equal_toIvEEiEE10hipError_tPvRmT2_T3_T4_T5_mT6_T7_P12ihipStream_tbENKUlT_T0_E_clISt17integral_constantIbLb1EESW_EEDaSR_SS_EUlSR_E_NS1_11comp_targetILNS1_3genE5ELNS1_11target_archE942ELNS1_3gpuE9ELNS1_3repE0EEENS1_30default_config_static_selectorELNS0_4arch9wavefront6targetE1EEEvT1_,comdat
	.protected	_ZN7rocprim17ROCPRIM_400000_NS6detail17trampoline_kernelINS0_14default_configENS1_27scan_by_key_config_selectorIiiEEZZNS1_16scan_by_key_implILNS1_25lookback_scan_determinismE0ELb1ES3_N6thrust23THRUST_200600_302600_NS10device_ptrIiEESB_SB_iNS9_4plusIvEENS9_8equal_toIvEEiEE10hipError_tPvRmT2_T3_T4_T5_mT6_T7_P12ihipStream_tbENKUlT_T0_E_clISt17integral_constantIbLb1EESW_EEDaSR_SS_EUlSR_E_NS1_11comp_targetILNS1_3genE5ELNS1_11target_archE942ELNS1_3gpuE9ELNS1_3repE0EEENS1_30default_config_static_selectorELNS0_4arch9wavefront6targetE1EEEvT1_ ; -- Begin function _ZN7rocprim17ROCPRIM_400000_NS6detail17trampoline_kernelINS0_14default_configENS1_27scan_by_key_config_selectorIiiEEZZNS1_16scan_by_key_implILNS1_25lookback_scan_determinismE0ELb1ES3_N6thrust23THRUST_200600_302600_NS10device_ptrIiEESB_SB_iNS9_4plusIvEENS9_8equal_toIvEEiEE10hipError_tPvRmT2_T3_T4_T5_mT6_T7_P12ihipStream_tbENKUlT_T0_E_clISt17integral_constantIbLb1EESW_EEDaSR_SS_EUlSR_E_NS1_11comp_targetILNS1_3genE5ELNS1_11target_archE942ELNS1_3gpuE9ELNS1_3repE0EEENS1_30default_config_static_selectorELNS0_4arch9wavefront6targetE1EEEvT1_
	.globl	_ZN7rocprim17ROCPRIM_400000_NS6detail17trampoline_kernelINS0_14default_configENS1_27scan_by_key_config_selectorIiiEEZZNS1_16scan_by_key_implILNS1_25lookback_scan_determinismE0ELb1ES3_N6thrust23THRUST_200600_302600_NS10device_ptrIiEESB_SB_iNS9_4plusIvEENS9_8equal_toIvEEiEE10hipError_tPvRmT2_T3_T4_T5_mT6_T7_P12ihipStream_tbENKUlT_T0_E_clISt17integral_constantIbLb1EESW_EEDaSR_SS_EUlSR_E_NS1_11comp_targetILNS1_3genE5ELNS1_11target_archE942ELNS1_3gpuE9ELNS1_3repE0EEENS1_30default_config_static_selectorELNS0_4arch9wavefront6targetE1EEEvT1_
	.p2align	8
	.type	_ZN7rocprim17ROCPRIM_400000_NS6detail17trampoline_kernelINS0_14default_configENS1_27scan_by_key_config_selectorIiiEEZZNS1_16scan_by_key_implILNS1_25lookback_scan_determinismE0ELb1ES3_N6thrust23THRUST_200600_302600_NS10device_ptrIiEESB_SB_iNS9_4plusIvEENS9_8equal_toIvEEiEE10hipError_tPvRmT2_T3_T4_T5_mT6_T7_P12ihipStream_tbENKUlT_T0_E_clISt17integral_constantIbLb1EESW_EEDaSR_SS_EUlSR_E_NS1_11comp_targetILNS1_3genE5ELNS1_11target_archE942ELNS1_3gpuE9ELNS1_3repE0EEENS1_30default_config_static_selectorELNS0_4arch9wavefront6targetE1EEEvT1_,@function
_ZN7rocprim17ROCPRIM_400000_NS6detail17trampoline_kernelINS0_14default_configENS1_27scan_by_key_config_selectorIiiEEZZNS1_16scan_by_key_implILNS1_25lookback_scan_determinismE0ELb1ES3_N6thrust23THRUST_200600_302600_NS10device_ptrIiEESB_SB_iNS9_4plusIvEENS9_8equal_toIvEEiEE10hipError_tPvRmT2_T3_T4_T5_mT6_T7_P12ihipStream_tbENKUlT_T0_E_clISt17integral_constantIbLb1EESW_EEDaSR_SS_EUlSR_E_NS1_11comp_targetILNS1_3genE5ELNS1_11target_archE942ELNS1_3gpuE9ELNS1_3repE0EEENS1_30default_config_static_selectorELNS0_4arch9wavefront6targetE1EEEvT1_: ; @_ZN7rocprim17ROCPRIM_400000_NS6detail17trampoline_kernelINS0_14default_configENS1_27scan_by_key_config_selectorIiiEEZZNS1_16scan_by_key_implILNS1_25lookback_scan_determinismE0ELb1ES3_N6thrust23THRUST_200600_302600_NS10device_ptrIiEESB_SB_iNS9_4plusIvEENS9_8equal_toIvEEiEE10hipError_tPvRmT2_T3_T4_T5_mT6_T7_P12ihipStream_tbENKUlT_T0_E_clISt17integral_constantIbLb1EESW_EEDaSR_SS_EUlSR_E_NS1_11comp_targetILNS1_3genE5ELNS1_11target_archE942ELNS1_3gpuE9ELNS1_3repE0EEENS1_30default_config_static_selectorELNS0_4arch9wavefront6targetE1EEEvT1_
; %bb.0:
	s_load_dword s74, s[0:1], 0x20
	s_load_dwordx4 s[64:67], s[0:1], 0x28
	s_load_dwordx2 s[72:73], s[0:1], 0x38
	v_cmp_ne_u32_e64 s[4:5], 0, v0
	v_cmp_eq_u32_e64 s[52:53], 0, v0
	s_and_saveexec_b64 s[2:3], s[52:53]
	s_cbranch_execz .LBB2245_4
; %bb.1:
	s_mov_b64 s[8:9], exec
	v_mbcnt_lo_u32_b32 v1, s8, 0
	v_mbcnt_hi_u32_b32 v1, s9, v1
	v_cmp_eq_u32_e32 vcc, 0, v1
                                        ; implicit-def: $vgpr2
	s_and_saveexec_b64 s[6:7], vcc
	s_cbranch_execz .LBB2245_3
; %bb.2:
	s_load_dwordx2 s[10:11], s[0:1], 0x68
	s_bcnt1_i32_b64 s8, s[8:9]
	v_mov_b32_e32 v2, 0
	v_mov_b32_e32 v3, s8
	s_waitcnt lgkmcnt(0)
	global_atomic_add v2, v2, v3, s[10:11] sc0
.LBB2245_3:
	s_or_b64 exec, exec, s[6:7]
	s_waitcnt vmcnt(0)
	v_readfirstlane_b32 s6, v2
	v_mov_b32_e32 v2, 0
	s_nop 0
	v_add_u32_e32 v1, s6, v1
	ds_write_b32 v2, v1
.LBB2245_4:
	s_or_b64 exec, exec, s[2:3]
	s_load_dwordx8 s[56:63], s[0:1], 0x0
	s_load_dword s2, s[0:1], 0x40
	s_load_dwordx4 s[68:71], s[0:1], 0x48
	v_mov_b32_e32 v7, 0
	s_waitcnt lgkmcnt(0)
	s_lshl_b64 s[54:55], s[58:59], 2
	s_barrier
	ds_read_b32 v6, v7
	s_add_u32 s0, s56, s54
	s_addc_u32 s1, s57, s55
	s_add_u32 s6, s60, s54
	s_mul_i32 s3, s73, s2
	s_mul_hi_u32 s8, s72, s2
	s_addc_u32 s7, s61, s55
	s_add_i32 s3, s8, s3
	s_movk_i32 s8, 0x1700
	s_waitcnt lgkmcnt(0)
	v_mul_lo_u32 v2, v6, s8
	v_mov_b32_e32 v3, v7
	v_lshlrev_b64 v[10:11], 2, v[2:3]
	s_mul_i32 s2, s72, s2
	v_lshl_add_u64 v[2:3], s[6:7], 0, v[10:11]
	s_add_u32 s6, s68, -1
	v_readfirstlane_b32 s67, v6
	v_lshl_add_u64 v[6:7], s[2:3], 0, v[6:7]
	s_addc_u32 s7, s69, -1
	v_cmp_le_u64_e64 s[2:3], s[6:7], v[6:7]
	v_lshl_add_u64 v[4:5], s[0:1], 0, v[10:11]
	s_mov_b64 s[0:1], -1
	s_and_b64 vcc, exec, s[2:3]
	s_mul_i32 s33, s6, 0xffffe900
	s_barrier
	s_barrier
	s_cbranch_vccz .LBB2245_75
; %bb.5:
	flat_load_dword v1, v[4:5]
	s_add_i32 s60, s33, s66
	v_cmp_gt_u32_e32 vcc, s60, v0
	s_waitcnt vmcnt(0) lgkmcnt(0)
	v_mov_b32_e32 v7, v1
	s_and_saveexec_b64 s[0:1], vcc
	s_cbranch_execz .LBB2245_7
; %bb.6:
	v_lshlrev_b32_e32 v6, 2, v0
	v_mov_b32_e32 v7, 0
	v_lshl_add_u64 v[6:7], v[4:5], 0, v[6:7]
	flat_load_dword v7, v[6:7]
.LBB2245_7:
	s_or_b64 exec, exec, s[0:1]
	v_or_b32_e32 v6, 0x100, v0
	v_cmp_gt_u32_e64 s[6:7], s60, v6
	v_mov_b32_e32 v8, v1
	s_and_saveexec_b64 s[0:1], s[6:7]
	s_cbranch_execz .LBB2245_9
; %bb.8:
	v_lshlrev_b32_e32 v8, 2, v0
	v_mov_b32_e32 v9, 0
	v_lshl_add_u64 v[8:9], v[4:5], 0, v[8:9]
	flat_load_dword v8, v[8:9] offset:1024
.LBB2245_9:
	s_or_b64 exec, exec, s[0:1]
	v_or_b32_e32 v6, 0x200, v0
	v_cmp_gt_u32_e64 s[8:9], s60, v6
	v_mov_b32_e32 v9, v1
	s_and_saveexec_b64 s[0:1], s[8:9]
	s_cbranch_execz .LBB2245_11
; %bb.10:
	v_lshlrev_b32_e32 v12, 2, v0
	v_mov_b32_e32 v13, 0
	v_lshl_add_u64 v[12:13], v[4:5], 0, v[12:13]
	flat_load_dword v9, v[12:13] offset:2048
.LBB2245_11:
	;; [unrolled: 12-line block ×3, first 2 shown]
	s_or_b64 exec, exec, s[0:1]
	v_or_b32_e32 v12, 0x400, v0
	v_cmp_gt_u32_e64 s[12:13], s60, v12
	v_mov_b32_e32 v32, v1
	s_and_saveexec_b64 s[0:1], s[12:13]
	s_cbranch_execz .LBB2245_15
; %bb.14:
	v_lshlrev_b32_e32 v14, 2, v12
	v_mov_b32_e32 v15, 0
	v_lshl_add_u64 v[14:15], v[4:5], 0, v[14:15]
	flat_load_dword v32, v[14:15]
.LBB2245_15:
	s_or_b64 exec, exec, s[0:1]
	v_or_b32_e32 v13, 0x500, v0
	v_cmp_gt_u32_e64 s[14:15], s60, v13
	v_mov_b32_e32 v33, v1
	s_and_saveexec_b64 s[0:1], s[14:15]
	s_cbranch_execz .LBB2245_17
; %bb.16:
	v_lshlrev_b32_e32 v14, 2, v13
	v_mov_b32_e32 v15, 0
	v_lshl_add_u64 v[14:15], v[4:5], 0, v[14:15]
	flat_load_dword v33, v[14:15]
.LBB2245_17:
	s_or_b64 exec, exec, s[0:1]
	v_or_b32_e32 v14, 0x600, v0
	v_cmp_gt_u32_e64 s[16:17], s60, v14
	v_mov_b32_e32 v34, v1
	s_and_saveexec_b64 s[0:1], s[16:17]
	s_cbranch_execz .LBB2245_19
; %bb.18:
	v_lshlrev_b32_e32 v16, 2, v14
	v_mov_b32_e32 v17, 0
	v_lshl_add_u64 v[16:17], v[4:5], 0, v[16:17]
	flat_load_dword v34, v[16:17]
.LBB2245_19:
	s_or_b64 exec, exec, s[0:1]
	v_or_b32_e32 v15, 0x700, v0
	v_cmp_gt_u32_e64 s[18:19], s60, v15
	v_mov_b32_e32 v35, v1
	s_and_saveexec_b64 s[0:1], s[18:19]
	s_cbranch_execz .LBB2245_21
; %bb.20:
	v_lshlrev_b32_e32 v16, 2, v15
	v_mov_b32_e32 v17, 0
	v_lshl_add_u64 v[16:17], v[4:5], 0, v[16:17]
	flat_load_dword v35, v[16:17]
.LBB2245_21:
	s_or_b64 exec, exec, s[0:1]
	v_or_b32_e32 v16, 0x800, v0
	v_cmp_gt_u32_e64 s[20:21], s60, v16
	v_mov_b32_e32 v36, v1
	s_and_saveexec_b64 s[0:1], s[20:21]
	s_cbranch_execz .LBB2245_23
; %bb.22:
	v_lshlrev_b32_e32 v18, 2, v16
	v_mov_b32_e32 v19, 0
	v_lshl_add_u64 v[18:19], v[4:5], 0, v[18:19]
	flat_load_dword v36, v[18:19]
.LBB2245_23:
	s_or_b64 exec, exec, s[0:1]
	v_or_b32_e32 v17, 0x900, v0
	v_cmp_gt_u32_e64 s[22:23], s60, v17
	v_mov_b32_e32 v37, v1
	s_and_saveexec_b64 s[0:1], s[22:23]
	s_cbranch_execz .LBB2245_25
; %bb.24:
	v_lshlrev_b32_e32 v18, 2, v17
	v_mov_b32_e32 v19, 0
	v_lshl_add_u64 v[18:19], v[4:5], 0, v[18:19]
	flat_load_dword v37, v[18:19]
.LBB2245_25:
	s_or_b64 exec, exec, s[0:1]
	v_or_b32_e32 v18, 0xa00, v0
	v_cmp_gt_u32_e64 s[24:25], s60, v18
	v_mov_b32_e32 v38, v1
	s_and_saveexec_b64 s[0:1], s[24:25]
	s_cbranch_execz .LBB2245_27
; %bb.26:
	v_lshlrev_b32_e32 v20, 2, v18
	v_mov_b32_e32 v21, 0
	v_lshl_add_u64 v[20:21], v[4:5], 0, v[20:21]
	flat_load_dword v38, v[20:21]
.LBB2245_27:
	s_or_b64 exec, exec, s[0:1]
	v_or_b32_e32 v19, 0xb00, v0
	v_cmp_gt_u32_e64 s[26:27], s60, v19
	v_mov_b32_e32 v39, v1
	s_and_saveexec_b64 s[0:1], s[26:27]
	s_cbranch_execz .LBB2245_29
; %bb.28:
	v_lshlrev_b32_e32 v20, 2, v19
	v_mov_b32_e32 v21, 0
	v_lshl_add_u64 v[20:21], v[4:5], 0, v[20:21]
	flat_load_dword v39, v[20:21]
.LBB2245_29:
	s_or_b64 exec, exec, s[0:1]
	v_or_b32_e32 v20, 0xc00, v0
	v_cmp_gt_u32_e64 s[28:29], s60, v20
	v_mov_b32_e32 v40, v1
	s_and_saveexec_b64 s[0:1], s[28:29]
	s_cbranch_execz .LBB2245_31
; %bb.30:
	v_lshlrev_b32_e32 v22, 2, v20
	v_mov_b32_e32 v23, 0
	v_lshl_add_u64 v[22:23], v[4:5], 0, v[22:23]
	flat_load_dword v40, v[22:23]
.LBB2245_31:
	s_or_b64 exec, exec, s[0:1]
	v_or_b32_e32 v21, 0xd00, v0
	v_cmp_gt_u32_e64 s[30:31], s60, v21
	v_mov_b32_e32 v41, v1
	s_and_saveexec_b64 s[0:1], s[30:31]
	s_cbranch_execz .LBB2245_33
; %bb.32:
	v_lshlrev_b32_e32 v22, 2, v21
	v_mov_b32_e32 v23, 0
	v_lshl_add_u64 v[22:23], v[4:5], 0, v[22:23]
	flat_load_dword v41, v[22:23]
.LBB2245_33:
	s_or_b64 exec, exec, s[0:1]
	v_or_b32_e32 v22, 0xe00, v0
	v_cmp_gt_u32_e64 s[34:35], s60, v22
	v_mov_b32_e32 v42, v1
	s_and_saveexec_b64 s[0:1], s[34:35]
	s_cbranch_execz .LBB2245_35
; %bb.34:
	v_lshlrev_b32_e32 v24, 2, v22
	v_mov_b32_e32 v25, 0
	v_lshl_add_u64 v[24:25], v[4:5], 0, v[24:25]
	flat_load_dword v42, v[24:25]
.LBB2245_35:
	s_or_b64 exec, exec, s[0:1]
	v_or_b32_e32 v23, 0xf00, v0
	v_cmp_gt_u32_e64 s[36:37], s60, v23
	v_mov_b32_e32 v43, v1
	s_and_saveexec_b64 s[0:1], s[36:37]
	s_cbranch_execz .LBB2245_37
; %bb.36:
	v_lshlrev_b32_e32 v24, 2, v23
	v_mov_b32_e32 v25, 0
	v_lshl_add_u64 v[24:25], v[4:5], 0, v[24:25]
	flat_load_dword v43, v[24:25]
.LBB2245_37:
	s_or_b64 exec, exec, s[0:1]
	v_or_b32_e32 v24, 0x1000, v0
	v_cmp_gt_u32_e64 s[38:39], s60, v24
	v_mov_b32_e32 v44, v1
	s_and_saveexec_b64 s[0:1], s[38:39]
	s_cbranch_execz .LBB2245_39
; %bb.38:
	v_lshlrev_b32_e32 v26, 2, v24
	v_mov_b32_e32 v27, 0
	v_lshl_add_u64 v[26:27], v[4:5], 0, v[26:27]
	flat_load_dword v44, v[26:27]
.LBB2245_39:
	s_or_b64 exec, exec, s[0:1]
	v_or_b32_e32 v25, 0x1100, v0
	v_cmp_gt_u32_e64 s[40:41], s60, v25
	v_mov_b32_e32 v45, v1
	s_and_saveexec_b64 s[0:1], s[40:41]
	s_cbranch_execz .LBB2245_41
; %bb.40:
	v_lshlrev_b32_e32 v26, 2, v25
	v_mov_b32_e32 v27, 0
	v_lshl_add_u64 v[26:27], v[4:5], 0, v[26:27]
	flat_load_dword v45, v[26:27]
.LBB2245_41:
	s_or_b64 exec, exec, s[0:1]
	v_or_b32_e32 v26, 0x1200, v0
	v_cmp_gt_u32_e64 s[42:43], s60, v26
	v_mov_b32_e32 v46, v1
	s_and_saveexec_b64 s[0:1], s[42:43]
	s_cbranch_execz .LBB2245_43
; %bb.42:
	v_lshlrev_b32_e32 v28, 2, v26
	v_mov_b32_e32 v29, 0
	v_lshl_add_u64 v[28:29], v[4:5], 0, v[28:29]
	flat_load_dword v46, v[28:29]
.LBB2245_43:
	s_or_b64 exec, exec, s[0:1]
	v_or_b32_e32 v27, 0x1300, v0
	v_cmp_gt_u32_e64 s[44:45], s60, v27
	v_mov_b32_e32 v47, v1
	s_and_saveexec_b64 s[0:1], s[44:45]
	s_cbranch_execz .LBB2245_45
; %bb.44:
	v_lshlrev_b32_e32 v28, 2, v27
	v_mov_b32_e32 v29, 0
	v_lshl_add_u64 v[28:29], v[4:5], 0, v[28:29]
	flat_load_dword v47, v[28:29]
.LBB2245_45:
	s_or_b64 exec, exec, s[0:1]
	v_or_b32_e32 v28, 0x1400, v0
	v_cmp_gt_u32_e64 s[46:47], s60, v28
	v_mov_b32_e32 v48, v1
	s_and_saveexec_b64 s[0:1], s[46:47]
	s_cbranch_execz .LBB2245_47
; %bb.46:
	v_lshlrev_b32_e32 v48, 2, v28
	v_mov_b32_e32 v49, 0
	v_lshl_add_u64 v[48:49], v[4:5], 0, v[48:49]
	flat_load_dword v48, v[48:49]
.LBB2245_47:
	s_or_b64 exec, exec, s[0:1]
	v_or_b32_e32 v29, 0x1500, v0
	v_cmp_gt_u32_e64 s[48:49], s60, v29
	v_mov_b32_e32 v49, v1
	s_and_saveexec_b64 s[0:1], s[48:49]
	s_cbranch_execz .LBB2245_49
; %bb.48:
	v_lshlrev_b32_e32 v50, 2, v29
	v_mov_b32_e32 v51, 0
	v_lshl_add_u64 v[50:51], v[4:5], 0, v[50:51]
	flat_load_dword v49, v[50:51]
.LBB2245_49:
	s_or_b64 exec, exec, s[0:1]
	v_or_b32_e32 v30, 0x1600, v0
	v_cmp_gt_u32_e64 s[50:51], s60, v30
	s_and_saveexec_b64 s[0:1], s[50:51]
	s_cbranch_execz .LBB2245_51
; %bb.50:
	v_lshlrev_b32_e32 v50, 2, v30
	v_mov_b32_e32 v51, 0
	v_lshl_add_u64 v[50:51], v[4:5], 0, v[50:51]
	flat_load_dword v1, v[50:51]
.LBB2245_51:
	s_or_b64 exec, exec, s[0:1]
	v_lshlrev_b32_e32 v6, 2, v0
	s_waitcnt vmcnt(0) lgkmcnt(0)
	ds_write2st64_b32 v6, v7, v8 offset1:4
	ds_write2st64_b32 v6, v9, v31 offset0:8 offset1:12
	ds_write2st64_b32 v6, v32, v33 offset0:16 offset1:20
	;; [unrolled: 1-line block ×10, first 2 shown]
	ds_write_b32 v6, v1 offset:22528
	s_waitcnt lgkmcnt(0)
	s_barrier
	flat_load_dword v1, v[4:5]
	s_movk_i32 s0, 0x58
	v_mad_u32_u24 v76, v0, s0, v6
	s_movk_i32 s0, 0xffa8
	v_mad_i32_i24 v7, v0, s0, v76
	s_movk_i32 s0, 0xff
	v_cmp_ne_u32_e64 s[0:1], s0, v0
	ds_read_b32 v78, v76
	ds_read2_b32 v[74:75], v76 offset0:1 offset1:2
	ds_read2_b32 v[72:73], v76 offset0:3 offset1:4
	;; [unrolled: 1-line block ×11, first 2 shown]
	s_waitcnt lgkmcnt(0)
	ds_write_b32 v7, v78 offset:24576
	s_waitcnt lgkmcnt(0)
	s_barrier
	s_and_saveexec_b64 s[56:57], s[0:1]
	s_cbranch_execz .LBB2245_53
; %bb.52:
	s_waitcnt vmcnt(0)
	ds_read_b32 v1, v6 offset:24580
.LBB2245_53:
	s_or_b64 exec, exec, s[56:57]
	v_mov_b32_e32 v7, 0
	s_waitcnt lgkmcnt(0)
	s_barrier
	s_waitcnt lgkmcnt(0)
                                        ; implicit-def: $vgpr31
	s_and_saveexec_b64 s[0:1], vcc
	s_cbranch_execz .LBB2245_76
; %bb.54:
	v_lshl_add_u64 v[32:33], v[2:3], 0, v[6:7]
	flat_load_dword v31, v[32:33]
	s_or_b64 exec, exec, s[0:1]
                                        ; implicit-def: $vgpr32
	s_and_saveexec_b64 s[0:1], s[6:7]
	s_cbranch_execnz .LBB2245_77
.LBB2245_55:
	s_or_b64 exec, exec, s[0:1]
                                        ; implicit-def: $vgpr33
	s_and_saveexec_b64 s[0:1], s[8:9]
	s_cbranch_execz .LBB2245_78
.LBB2245_56:
	v_mov_b32_e32 v7, 0
	v_lshl_add_u64 v[34:35], v[2:3], 0, v[6:7]
	flat_load_dword v33, v[34:35] offset:2048
	s_or_b64 exec, exec, s[0:1]
                                        ; implicit-def: $vgpr7
	s_and_saveexec_b64 s[0:1], s[10:11]
	s_cbranch_execnz .LBB2245_79
.LBB2245_57:
	s_or_b64 exec, exec, s[0:1]
                                        ; implicit-def: $vgpr34
	s_and_saveexec_b64 s[0:1], s[12:13]
	s_cbranch_execz .LBB2245_80
.LBB2245_58:
	v_lshlrev_b32_e32 v34, 2, v12
	v_mov_b32_e32 v35, 0
	v_lshl_add_u64 v[34:35], v[2:3], 0, v[34:35]
	flat_load_dword v34, v[34:35]
	s_or_b64 exec, exec, s[0:1]
                                        ; implicit-def: $vgpr12
	s_and_saveexec_b64 s[0:1], s[14:15]
	s_cbranch_execnz .LBB2245_81
.LBB2245_59:
	s_or_b64 exec, exec, s[0:1]
                                        ; implicit-def: $vgpr13
	s_and_saveexec_b64 s[0:1], s[16:17]
	s_cbranch_execz .LBB2245_82
.LBB2245_60:
	v_lshlrev_b32_e32 v36, 2, v14
	v_mov_b32_e32 v37, 0
	v_lshl_add_u64 v[36:37], v[2:3], 0, v[36:37]
	flat_load_dword v13, v[36:37]
	s_or_b64 exec, exec, s[0:1]
                                        ; implicit-def: $vgpr14
	s_and_saveexec_b64 s[0:1], s[18:19]
	s_cbranch_execnz .LBB2245_83
.LBB2245_61:
	s_or_b64 exec, exec, s[0:1]
                                        ; implicit-def: $vgpr15
	s_and_saveexec_b64 s[0:1], s[20:21]
	s_cbranch_execz .LBB2245_84
.LBB2245_62:
	v_lshlrev_b32_e32 v36, 2, v16
	v_mov_b32_e32 v37, 0
	v_lshl_add_u64 v[36:37], v[2:3], 0, v[36:37]
	flat_load_dword v15, v[36:37]
	s_or_b64 exec, exec, s[0:1]
                                        ; implicit-def: $vgpr16
	s_and_saveexec_b64 s[0:1], s[22:23]
	s_cbranch_execnz .LBB2245_85
.LBB2245_63:
	s_or_b64 exec, exec, s[0:1]
                                        ; implicit-def: $vgpr17
	s_and_saveexec_b64 s[0:1], s[24:25]
	s_cbranch_execz .LBB2245_86
.LBB2245_64:
	v_lshlrev_b32_e32 v36, 2, v18
	v_mov_b32_e32 v37, 0
	v_lshl_add_u64 v[36:37], v[2:3], 0, v[36:37]
	flat_load_dword v17, v[36:37]
	s_or_b64 exec, exec, s[0:1]
                                        ; implicit-def: $vgpr18
	s_and_saveexec_b64 s[0:1], s[26:27]
	s_cbranch_execnz .LBB2245_87
.LBB2245_65:
	s_or_b64 exec, exec, s[0:1]
                                        ; implicit-def: $vgpr19
	s_and_saveexec_b64 s[0:1], s[28:29]
	s_cbranch_execz .LBB2245_88
.LBB2245_66:
	v_lshlrev_b32_e32 v36, 2, v20
	v_mov_b32_e32 v37, 0
	v_lshl_add_u64 v[36:37], v[2:3], 0, v[36:37]
	flat_load_dword v19, v[36:37]
	s_or_b64 exec, exec, s[0:1]
                                        ; implicit-def: $vgpr20
	s_and_saveexec_b64 s[0:1], s[30:31]
	s_cbranch_execnz .LBB2245_89
.LBB2245_67:
	s_or_b64 exec, exec, s[0:1]
                                        ; implicit-def: $vgpr21
	s_and_saveexec_b64 s[0:1], s[34:35]
	s_cbranch_execz .LBB2245_90
.LBB2245_68:
	v_lshlrev_b32_e32 v36, 2, v22
	v_mov_b32_e32 v37, 0
	v_lshl_add_u64 v[36:37], v[2:3], 0, v[36:37]
	flat_load_dword v21, v[36:37]
	s_or_b64 exec, exec, s[0:1]
                                        ; implicit-def: $vgpr22
	s_and_saveexec_b64 s[0:1], s[36:37]
	s_cbranch_execnz .LBB2245_91
.LBB2245_69:
	s_or_b64 exec, exec, s[0:1]
                                        ; implicit-def: $vgpr23
	s_and_saveexec_b64 s[0:1], s[38:39]
	s_cbranch_execz .LBB2245_92
.LBB2245_70:
	v_lshlrev_b32_e32 v36, 2, v24
	v_mov_b32_e32 v37, 0
	v_lshl_add_u64 v[36:37], v[2:3], 0, v[36:37]
	flat_load_dword v23, v[36:37]
	s_or_b64 exec, exec, s[0:1]
                                        ; implicit-def: $vgpr24
	s_and_saveexec_b64 s[0:1], s[40:41]
	s_cbranch_execnz .LBB2245_93
.LBB2245_71:
	s_or_b64 exec, exec, s[0:1]
                                        ; implicit-def: $vgpr25
	s_and_saveexec_b64 s[0:1], s[42:43]
	s_cbranch_execz .LBB2245_94
.LBB2245_72:
	v_lshlrev_b32_e32 v36, 2, v26
	v_mov_b32_e32 v37, 0
	v_lshl_add_u64 v[36:37], v[2:3], 0, v[36:37]
	flat_load_dword v25, v[36:37]
	s_or_b64 exec, exec, s[0:1]
                                        ; implicit-def: $vgpr26
	s_and_saveexec_b64 s[0:1], s[44:45]
	s_cbranch_execnz .LBB2245_95
.LBB2245_73:
	s_or_b64 exec, exec, s[0:1]
                                        ; implicit-def: $vgpr27
	s_and_saveexec_b64 s[0:1], s[46:47]
	s_cbranch_execz .LBB2245_96
.LBB2245_74:
	v_lshlrev_b32_e32 v36, 2, v28
	v_mov_b32_e32 v37, 0
	v_lshl_add_u64 v[36:37], v[2:3], 0, v[36:37]
	flat_load_dword v27, v[36:37]
	s_or_b64 exec, exec, s[0:1]
                                        ; implicit-def: $vgpr28
	s_and_saveexec_b64 s[0:1], s[48:49]
	s_cbranch_execz .LBB2245_98
	s_branch .LBB2245_97
.LBB2245_75:
	s_mov_b64 s[10:11], 0
                                        ; implicit-def: $sgpr8_sgpr9
                                        ; implicit-def: $vgpr6
                                        ; implicit-def: $vgpr12_vgpr13
                                        ; implicit-def: $vgpr14_vgpr15
                                        ; implicit-def: $vgpr16_vgpr17
                                        ; implicit-def: $vgpr18_vgpr19
                                        ; implicit-def: $vgpr20_vgpr21
                                        ; implicit-def: $vgpr22_vgpr23
                                        ; implicit-def: $vgpr24_vgpr25
                                        ; implicit-def: $vgpr26_vgpr27
                                        ; implicit-def: $vgpr28_vgpr29
                                        ; implicit-def: $vgpr30_vgpr31
                                        ; implicit-def: $vgpr32_vgpr33
                                        ; implicit-def: $vgpr34_vgpr35
                                        ; implicit-def: $vgpr36_vgpr37
                                        ; implicit-def: $vgpr38_vgpr39
                                        ; implicit-def: $vgpr40_vgpr41
                                        ; implicit-def: $vgpr42_vgpr43
                                        ; implicit-def: $vgpr44_vgpr45
                                        ; implicit-def: $vgpr46_vgpr47
                                        ; implicit-def: $vgpr48_vgpr49
                                        ; implicit-def: $vgpr50_vgpr51
                                        ; implicit-def: $vgpr52_vgpr53
                                        ; implicit-def: $vgpr54_vgpr55
                                        ; implicit-def: $sgpr6_sgpr7
	s_and_b64 vcc, exec, s[0:1]
	v_lshlrev_b32_e32 v56, 2, v0
	s_cbranch_vccz .LBB2245_152
	s_branch .LBB2245_147
.LBB2245_76:
	s_or_b64 exec, exec, s[0:1]
                                        ; implicit-def: $vgpr32
	s_and_saveexec_b64 s[0:1], s[6:7]
	s_cbranch_execz .LBB2245_55
.LBB2245_77:
	v_mov_b32_e32 v7, 0
	v_lshl_add_u64 v[32:33], v[2:3], 0, v[6:7]
	flat_load_dword v32, v[32:33] offset:1024
	s_or_b64 exec, exec, s[0:1]
                                        ; implicit-def: $vgpr33
	s_and_saveexec_b64 s[0:1], s[8:9]
	s_cbranch_execnz .LBB2245_56
.LBB2245_78:
	s_or_b64 exec, exec, s[0:1]
                                        ; implicit-def: $vgpr7
	s_and_saveexec_b64 s[0:1], s[10:11]
	s_cbranch_execz .LBB2245_57
.LBB2245_79:
	v_mov_b32_e32 v7, 0
	v_lshl_add_u64 v[34:35], v[2:3], 0, v[6:7]
	flat_load_dword v7, v[34:35] offset:3072
	s_or_b64 exec, exec, s[0:1]
                                        ; implicit-def: $vgpr34
	s_and_saveexec_b64 s[0:1], s[12:13]
	s_cbranch_execnz .LBB2245_58
.LBB2245_80:
	s_or_b64 exec, exec, s[0:1]
                                        ; implicit-def: $vgpr12
	s_and_saveexec_b64 s[0:1], s[14:15]
	s_cbranch_execz .LBB2245_59
.LBB2245_81:
	v_lshlrev_b32_e32 v12, 2, v13
	v_mov_b32_e32 v13, 0
	v_lshl_add_u64 v[12:13], v[2:3], 0, v[12:13]
	flat_load_dword v12, v[12:13]
	s_or_b64 exec, exec, s[0:1]
                                        ; implicit-def: $vgpr13
	s_and_saveexec_b64 s[0:1], s[16:17]
	s_cbranch_execnz .LBB2245_60
.LBB2245_82:
	s_or_b64 exec, exec, s[0:1]
                                        ; implicit-def: $vgpr14
	s_and_saveexec_b64 s[0:1], s[18:19]
	s_cbranch_execz .LBB2245_61
.LBB2245_83:
	v_lshlrev_b32_e32 v14, 2, v15
	v_mov_b32_e32 v15, 0
	v_lshl_add_u64 v[14:15], v[2:3], 0, v[14:15]
	flat_load_dword v14, v[14:15]
	s_or_b64 exec, exec, s[0:1]
                                        ; implicit-def: $vgpr15
	s_and_saveexec_b64 s[0:1], s[20:21]
	s_cbranch_execnz .LBB2245_62
.LBB2245_84:
	s_or_b64 exec, exec, s[0:1]
                                        ; implicit-def: $vgpr16
	s_and_saveexec_b64 s[0:1], s[22:23]
	s_cbranch_execz .LBB2245_63
.LBB2245_85:
	v_lshlrev_b32_e32 v16, 2, v17
	v_mov_b32_e32 v17, 0
	v_lshl_add_u64 v[16:17], v[2:3], 0, v[16:17]
	flat_load_dword v16, v[16:17]
	s_or_b64 exec, exec, s[0:1]
                                        ; implicit-def: $vgpr17
	s_and_saveexec_b64 s[0:1], s[24:25]
	s_cbranch_execnz .LBB2245_64
.LBB2245_86:
	s_or_b64 exec, exec, s[0:1]
                                        ; implicit-def: $vgpr18
	s_and_saveexec_b64 s[0:1], s[26:27]
	s_cbranch_execz .LBB2245_65
.LBB2245_87:
	v_lshlrev_b32_e32 v18, 2, v19
	v_mov_b32_e32 v19, 0
	v_lshl_add_u64 v[18:19], v[2:3], 0, v[18:19]
	flat_load_dword v18, v[18:19]
	s_or_b64 exec, exec, s[0:1]
                                        ; implicit-def: $vgpr19
	s_and_saveexec_b64 s[0:1], s[28:29]
	s_cbranch_execnz .LBB2245_66
.LBB2245_88:
	s_or_b64 exec, exec, s[0:1]
                                        ; implicit-def: $vgpr20
	s_and_saveexec_b64 s[0:1], s[30:31]
	s_cbranch_execz .LBB2245_67
.LBB2245_89:
	v_lshlrev_b32_e32 v20, 2, v21
	v_mov_b32_e32 v21, 0
	v_lshl_add_u64 v[20:21], v[2:3], 0, v[20:21]
	flat_load_dword v20, v[20:21]
	s_or_b64 exec, exec, s[0:1]
                                        ; implicit-def: $vgpr21
	s_and_saveexec_b64 s[0:1], s[34:35]
	s_cbranch_execnz .LBB2245_68
.LBB2245_90:
	s_or_b64 exec, exec, s[0:1]
                                        ; implicit-def: $vgpr22
	s_and_saveexec_b64 s[0:1], s[36:37]
	s_cbranch_execz .LBB2245_69
.LBB2245_91:
	v_lshlrev_b32_e32 v22, 2, v23
	v_mov_b32_e32 v23, 0
	v_lshl_add_u64 v[22:23], v[2:3], 0, v[22:23]
	flat_load_dword v22, v[22:23]
	s_or_b64 exec, exec, s[0:1]
                                        ; implicit-def: $vgpr23
	s_and_saveexec_b64 s[0:1], s[38:39]
	s_cbranch_execnz .LBB2245_70
.LBB2245_92:
	s_or_b64 exec, exec, s[0:1]
                                        ; implicit-def: $vgpr24
	s_and_saveexec_b64 s[0:1], s[40:41]
	s_cbranch_execz .LBB2245_71
.LBB2245_93:
	v_lshlrev_b32_e32 v24, 2, v25
	v_mov_b32_e32 v25, 0
	v_lshl_add_u64 v[24:25], v[2:3], 0, v[24:25]
	flat_load_dword v24, v[24:25]
	s_or_b64 exec, exec, s[0:1]
                                        ; implicit-def: $vgpr25
	s_and_saveexec_b64 s[0:1], s[42:43]
	s_cbranch_execnz .LBB2245_72
.LBB2245_94:
	s_or_b64 exec, exec, s[0:1]
                                        ; implicit-def: $vgpr26
	s_and_saveexec_b64 s[0:1], s[44:45]
	s_cbranch_execz .LBB2245_73
.LBB2245_95:
	v_lshlrev_b32_e32 v26, 2, v27
	v_mov_b32_e32 v27, 0
	v_lshl_add_u64 v[26:27], v[2:3], 0, v[26:27]
	flat_load_dword v26, v[26:27]
	s_or_b64 exec, exec, s[0:1]
                                        ; implicit-def: $vgpr27
	s_and_saveexec_b64 s[0:1], s[46:47]
	s_cbranch_execnz .LBB2245_74
.LBB2245_96:
	s_or_b64 exec, exec, s[0:1]
                                        ; implicit-def: $vgpr28
	s_and_saveexec_b64 s[0:1], s[48:49]
	s_cbranch_execz .LBB2245_98
.LBB2245_97:
	v_lshlrev_b32_e32 v28, 2, v29
	v_mov_b32_e32 v29, 0
	v_lshl_add_u64 v[28:29], v[2:3], 0, v[28:29]
	flat_load_dword v28, v[28:29]
.LBB2245_98:
	s_or_b64 exec, exec, s[0:1]
	v_mul_u32_u24_e32 v77, 23, v0
                                        ; implicit-def: $vgpr29
	s_and_saveexec_b64 s[0:1], s[50:51]
	s_cbranch_execz .LBB2245_100
; %bb.99:
	v_lshlrev_b32_e32 v36, 2, v30
	v_mov_b32_e32 v37, 0
	v_lshl_add_u64 v[36:37], v[2:3], 0, v[36:37]
	flat_load_dword v29, v[36:37]
.LBB2245_100:
	s_or_b64 exec, exec, s[0:1]
	s_waitcnt vmcnt(0) lgkmcnt(0)
	ds_write2st64_b32 v6, v31, v32 offset1:4
	ds_write2st64_b32 v6, v33, v7 offset0:8 offset1:12
	ds_write2st64_b32 v6, v34, v12 offset0:16 offset1:20
	;; [unrolled: 1-line block ×10, first 2 shown]
	ds_write_b32 v6, v29 offset:22528
	v_mov_b64_e32 v[12:13], 0
	v_cmp_gt_u32_e32 vcc, s60, v77
	s_mov_b64 s[10:11], 0
	s_mov_b64 s[0:1], 0
	v_mov_b64_e32 v[14:15], v[12:13]
	v_mov_b64_e32 v[16:17], v[12:13]
	;; [unrolled: 1-line block ×21, first 2 shown]
	s_waitcnt lgkmcnt(0)
	s_barrier
	s_waitcnt lgkmcnt(0)
                                        ; implicit-def: $sgpr8_sgpr9
                                        ; implicit-def: $vgpr6
	s_and_saveexec_b64 s[6:7], vcc
	s_cbranch_execz .LBB2245_146
; %bb.101:
	ds_read_b32 v6, v76
	v_mov_b32_e32 v12, s74
	v_cmp_eq_u32_e32 vcc, v78, v74
	v_add_u32_e32 v7, 1, v77
	v_mov_b64_e32 v[14:15], 0
	s_waitcnt lgkmcnt(0)
	v_cndmask_b32_e32 v12, v12, v6, vcc
	v_cmp_ne_u32_e32 vcc, v78, v74
	s_mov_b64 s[12:13], 0
	v_mov_b64_e32 v[16:17], v[14:15]
	v_cndmask_b32_e64 v13, 0, 1, vcc
	v_cmp_gt_u32_e32 vcc, s60, v7
	v_mov_b64_e32 v[18:19], v[14:15]
	v_mov_b64_e32 v[20:21], v[14:15]
	;; [unrolled: 1-line block ×19, first 2 shown]
                                        ; implicit-def: $sgpr14_sgpr15
                                        ; implicit-def: $vgpr6
	s_and_saveexec_b64 s[8:9], vcc
	s_cbranch_execz .LBB2245_145
; %bb.102:
	ds_read2_b32 v[6:7], v76 offset0:1 offset1:2
	v_mov_b32_e32 v14, s74
	v_cmp_eq_u32_e32 vcc, v74, v75
	v_add_u32_e32 v16, 2, v77
	s_mov_b64 s[14:15], 0
	s_waitcnt lgkmcnt(0)
	v_cndmask_b32_e32 v14, v14, v6, vcc
	v_cmp_ne_u32_e32 vcc, v74, v75
                                        ; implicit-def: $sgpr16_sgpr17
                                        ; implicit-def: $vgpr6
	s_nop 1
	v_cndmask_b32_e64 v15, 0, 1, vcc
	v_cmp_gt_u32_e32 vcc, s60, v16
	v_mov_b64_e32 v[16:17], 0
	v_mov_b64_e32 v[18:19], v[16:17]
	;; [unrolled: 1-line block ×20, first 2 shown]
	s_and_saveexec_b64 s[10:11], vcc
	s_cbranch_execz .LBB2245_144
; %bb.103:
	v_mov_b32_e32 v16, s74
	v_cmp_eq_u32_e32 vcc, v75, v72
	v_add_u32_e32 v6, 3, v77
	v_mov_b64_e32 v[18:19], 0
	v_cndmask_b32_e32 v16, v16, v7, vcc
	v_cmp_ne_u32_e32 vcc, v75, v72
	s_mov_b64 s[16:17], 0
	v_mov_b64_e32 v[20:21], v[18:19]
	v_cndmask_b32_e64 v17, 0, 1, vcc
	v_cmp_gt_u32_e32 vcc, s60, v6
	v_mov_b64_e32 v[22:23], v[18:19]
	v_mov_b64_e32 v[24:25], v[18:19]
	;; [unrolled: 1-line block ×17, first 2 shown]
                                        ; implicit-def: $sgpr18_sgpr19
                                        ; implicit-def: $vgpr6
	s_and_saveexec_b64 s[12:13], vcc
	s_cbranch_execz .LBB2245_143
; %bb.104:
	ds_read2_b32 v[6:7], v76 offset0:3 offset1:4
	v_mov_b32_e32 v18, s74
	v_cmp_eq_u32_e32 vcc, v72, v73
	v_add_u32_e32 v20, 4, v77
	s_mov_b64 s[18:19], 0
	s_waitcnt lgkmcnt(0)
	v_cndmask_b32_e32 v18, v18, v6, vcc
	v_cmp_ne_u32_e32 vcc, v72, v73
                                        ; implicit-def: $sgpr20_sgpr21
                                        ; implicit-def: $vgpr6
	s_nop 1
	v_cndmask_b32_e64 v19, 0, 1, vcc
	v_cmp_gt_u32_e32 vcc, s60, v20
	v_mov_b64_e32 v[20:21], 0
	v_mov_b64_e32 v[22:23], v[20:21]
	;; [unrolled: 1-line block ×18, first 2 shown]
	s_and_saveexec_b64 s[14:15], vcc
	s_cbranch_execz .LBB2245_142
; %bb.105:
	v_mov_b32_e32 v20, s74
	v_cmp_eq_u32_e32 vcc, v73, v70
	v_add_u32_e32 v6, 5, v77
	v_mov_b64_e32 v[22:23], 0
	v_cndmask_b32_e32 v20, v20, v7, vcc
	v_cmp_ne_u32_e32 vcc, v73, v70
	s_mov_b64 s[20:21], 0
	v_mov_b64_e32 v[24:25], v[22:23]
	v_cndmask_b32_e64 v21, 0, 1, vcc
	v_cmp_gt_u32_e32 vcc, s60, v6
	v_mov_b64_e32 v[26:27], v[22:23]
	v_mov_b64_e32 v[28:29], v[22:23]
	v_mov_b64_e32 v[30:31], v[22:23]
	v_mov_b64_e32 v[32:33], v[22:23]
	v_mov_b64_e32 v[34:35], v[22:23]
	v_mov_b64_e32 v[36:37], v[22:23]
	v_mov_b64_e32 v[38:39], v[22:23]
	v_mov_b64_e32 v[40:41], v[22:23]
	v_mov_b64_e32 v[42:43], v[22:23]
	v_mov_b64_e32 v[44:45], v[22:23]
	v_mov_b64_e32 v[46:47], v[22:23]
	v_mov_b64_e32 v[48:49], v[22:23]
	v_mov_b64_e32 v[50:51], v[22:23]
	v_mov_b64_e32 v[52:53], v[22:23]
	v_mov_b64_e32 v[54:55], v[22:23]
                                        ; implicit-def: $sgpr22_sgpr23
                                        ; implicit-def: $vgpr6
	s_and_saveexec_b64 s[16:17], vcc
	s_cbranch_execz .LBB2245_141
; %bb.106:
	ds_read2_b32 v[6:7], v76 offset0:5 offset1:6
	v_mov_b32_e32 v22, s74
	v_cmp_eq_u32_e32 vcc, v70, v71
	v_add_u32_e32 v24, 6, v77
	s_mov_b64 s[22:23], 0
	s_waitcnt lgkmcnt(0)
	v_cndmask_b32_e32 v22, v22, v6, vcc
	v_cmp_ne_u32_e32 vcc, v70, v71
                                        ; implicit-def: $sgpr24_sgpr25
                                        ; implicit-def: $vgpr6
	s_nop 1
	v_cndmask_b32_e64 v23, 0, 1, vcc
	v_cmp_gt_u32_e32 vcc, s60, v24
	v_mov_b64_e32 v[24:25], 0
	v_mov_b64_e32 v[26:27], v[24:25]
	;; [unrolled: 1-line block ×16, first 2 shown]
	s_and_saveexec_b64 s[18:19], vcc
	s_cbranch_execz .LBB2245_140
; %bb.107:
	v_mov_b32_e32 v24, s74
	v_cmp_eq_u32_e32 vcc, v71, v68
	v_add_u32_e32 v6, 7, v77
	v_mov_b64_e32 v[26:27], 0
	v_cndmask_b32_e32 v24, v24, v7, vcc
	v_cmp_ne_u32_e32 vcc, v71, v68
	s_mov_b64 s[24:25], 0
	v_mov_b64_e32 v[28:29], v[26:27]
	v_cndmask_b32_e64 v25, 0, 1, vcc
	v_cmp_gt_u32_e32 vcc, s60, v6
	v_mov_b64_e32 v[30:31], v[26:27]
	v_mov_b64_e32 v[32:33], v[26:27]
	;; [unrolled: 1-line block ×13, first 2 shown]
                                        ; implicit-def: $sgpr26_sgpr27
                                        ; implicit-def: $vgpr6
	s_and_saveexec_b64 s[20:21], vcc
	s_cbranch_execz .LBB2245_139
; %bb.108:
	ds_read2_b32 v[6:7], v76 offset0:7 offset1:8
	v_mov_b32_e32 v26, s74
	v_cmp_eq_u32_e32 vcc, v68, v69
	v_add_u32_e32 v28, 8, v77
	s_mov_b64 s[26:27], 0
	s_waitcnt lgkmcnt(0)
	v_cndmask_b32_e32 v26, v26, v6, vcc
	v_cmp_ne_u32_e32 vcc, v68, v69
                                        ; implicit-def: $sgpr28_sgpr29
                                        ; implicit-def: $vgpr6
	s_nop 1
	v_cndmask_b32_e64 v27, 0, 1, vcc
	v_cmp_gt_u32_e32 vcc, s60, v28
	v_mov_b64_e32 v[28:29], 0
	v_mov_b64_e32 v[30:31], v[28:29]
	;; [unrolled: 1-line block ×14, first 2 shown]
	s_and_saveexec_b64 s[22:23], vcc
	s_cbranch_execz .LBB2245_138
; %bb.109:
	v_mov_b32_e32 v28, s74
	v_cmp_eq_u32_e32 vcc, v69, v66
	v_add_u32_e32 v6, 9, v77
	v_mov_b64_e32 v[30:31], 0
	v_cndmask_b32_e32 v28, v28, v7, vcc
	v_cmp_ne_u32_e32 vcc, v69, v66
	s_mov_b64 s[28:29], 0
	v_mov_b64_e32 v[32:33], v[30:31]
	v_cndmask_b32_e64 v29, 0, 1, vcc
	v_cmp_gt_u32_e32 vcc, s60, v6
	v_mov_b64_e32 v[34:35], v[30:31]
	v_mov_b64_e32 v[36:37], v[30:31]
	;; [unrolled: 1-line block ×11, first 2 shown]
                                        ; implicit-def: $sgpr30_sgpr31
                                        ; implicit-def: $vgpr6
	s_and_saveexec_b64 s[24:25], vcc
	s_cbranch_execz .LBB2245_137
; %bb.110:
	ds_read2_b32 v[6:7], v76 offset0:9 offset1:10
	v_mov_b32_e32 v30, s74
	v_cmp_eq_u32_e32 vcc, v66, v67
	v_add_u32_e32 v32, 10, v77
	s_mov_b64 s[30:31], 0
	s_waitcnt lgkmcnt(0)
	v_cndmask_b32_e32 v30, v30, v6, vcc
	v_cmp_ne_u32_e32 vcc, v66, v67
                                        ; implicit-def: $sgpr34_sgpr35
                                        ; implicit-def: $vgpr6
	s_nop 1
	v_cndmask_b32_e64 v31, 0, 1, vcc
	v_cmp_gt_u32_e32 vcc, s60, v32
	v_mov_b64_e32 v[32:33], 0
	v_mov_b64_e32 v[34:35], v[32:33]
	;; [unrolled: 1-line block ×12, first 2 shown]
	s_and_saveexec_b64 s[26:27], vcc
	s_cbranch_execz .LBB2245_136
; %bb.111:
	v_mov_b32_e32 v32, s74
	v_cmp_eq_u32_e32 vcc, v67, v64
	v_add_u32_e32 v6, 11, v77
	v_mov_b64_e32 v[34:35], 0
	v_cndmask_b32_e32 v32, v32, v7, vcc
	v_cmp_ne_u32_e32 vcc, v67, v64
	s_mov_b64 s[34:35], 0
	v_mov_b64_e32 v[36:37], v[34:35]
	v_cndmask_b32_e64 v33, 0, 1, vcc
	v_cmp_gt_u32_e32 vcc, s60, v6
	v_mov_b64_e32 v[38:39], v[34:35]
	v_mov_b64_e32 v[40:41], v[34:35]
	;; [unrolled: 1-line block ×9, first 2 shown]
                                        ; implicit-def: $sgpr36_sgpr37
                                        ; implicit-def: $vgpr6
	s_and_saveexec_b64 s[28:29], vcc
	s_cbranch_execz .LBB2245_135
; %bb.112:
	ds_read2_b32 v[6:7], v76 offset0:11 offset1:12
	v_mov_b32_e32 v34, s74
	v_cmp_eq_u32_e32 vcc, v64, v65
	v_add_u32_e32 v36, 12, v77
	s_mov_b64 s[36:37], 0
	s_waitcnt lgkmcnt(0)
	v_cndmask_b32_e32 v34, v34, v6, vcc
	v_cmp_ne_u32_e32 vcc, v64, v65
                                        ; implicit-def: $sgpr38_sgpr39
                                        ; implicit-def: $vgpr6
	s_nop 1
	v_cndmask_b32_e64 v35, 0, 1, vcc
	v_cmp_gt_u32_e32 vcc, s60, v36
	v_mov_b64_e32 v[36:37], 0
	v_mov_b64_e32 v[38:39], v[36:37]
	;; [unrolled: 1-line block ×10, first 2 shown]
	s_and_saveexec_b64 s[30:31], vcc
	s_cbranch_execz .LBB2245_134
; %bb.113:
	v_mov_b32_e32 v36, s74
	v_cmp_eq_u32_e32 vcc, v65, v62
	v_add_u32_e32 v6, 13, v77
	v_mov_b64_e32 v[38:39], 0
	v_cndmask_b32_e32 v36, v36, v7, vcc
	v_cmp_ne_u32_e32 vcc, v65, v62
	s_mov_b64 s[38:39], 0
	v_mov_b64_e32 v[40:41], v[38:39]
	v_cndmask_b32_e64 v37, 0, 1, vcc
	v_cmp_gt_u32_e32 vcc, s60, v6
	v_mov_b64_e32 v[42:43], v[38:39]
	v_mov_b64_e32 v[44:45], v[38:39]
	;; [unrolled: 1-line block ×7, first 2 shown]
                                        ; implicit-def: $sgpr40_sgpr41
                                        ; implicit-def: $vgpr6
	s_and_saveexec_b64 s[34:35], vcc
	s_cbranch_execz .LBB2245_133
; %bb.114:
	ds_read2_b32 v[6:7], v76 offset0:13 offset1:14
	v_mov_b32_e32 v38, s74
	v_cmp_eq_u32_e32 vcc, v62, v63
	v_add_u32_e32 v40, 14, v77
	s_mov_b64 s[40:41], 0
	s_waitcnt lgkmcnt(0)
	v_cndmask_b32_e32 v38, v38, v6, vcc
	v_cmp_ne_u32_e32 vcc, v62, v63
                                        ; implicit-def: $sgpr42_sgpr43
                                        ; implicit-def: $vgpr6
	s_nop 1
	v_cndmask_b32_e64 v39, 0, 1, vcc
	v_cmp_gt_u32_e32 vcc, s60, v40
	v_mov_b64_e32 v[40:41], 0
	v_mov_b64_e32 v[42:43], v[40:41]
	v_mov_b64_e32 v[44:45], v[40:41]
	v_mov_b64_e32 v[46:47], v[40:41]
	v_mov_b64_e32 v[48:49], v[40:41]
	v_mov_b64_e32 v[50:51], v[40:41]
	v_mov_b64_e32 v[52:53], v[40:41]
	v_mov_b64_e32 v[54:55], v[40:41]
	s_and_saveexec_b64 s[36:37], vcc
	s_cbranch_execz .LBB2245_132
; %bb.115:
	v_mov_b32_e32 v40, s74
	v_cmp_eq_u32_e32 vcc, v63, v60
	v_add_u32_e32 v6, 15, v77
	v_mov_b64_e32 v[42:43], 0
	v_cndmask_b32_e32 v40, v40, v7, vcc
	v_cmp_ne_u32_e32 vcc, v63, v60
	s_mov_b64 s[42:43], 0
	v_mov_b64_e32 v[44:45], v[42:43]
	v_cndmask_b32_e64 v41, 0, 1, vcc
	v_cmp_gt_u32_e32 vcc, s60, v6
	v_mov_b64_e32 v[46:47], v[42:43]
	v_mov_b64_e32 v[48:49], v[42:43]
	;; [unrolled: 1-line block ×5, first 2 shown]
                                        ; implicit-def: $sgpr44_sgpr45
                                        ; implicit-def: $vgpr6
	s_and_saveexec_b64 s[38:39], vcc
	s_cbranch_execz .LBB2245_131
; %bb.116:
	ds_read2_b32 v[6:7], v76 offset0:15 offset1:16
	v_mov_b32_e32 v42, s74
	v_cmp_eq_u32_e32 vcc, v60, v61
	v_add_u32_e32 v44, 16, v77
	s_mov_b64 s[44:45], 0
	s_waitcnt lgkmcnt(0)
	v_cndmask_b32_e32 v42, v42, v6, vcc
	v_cmp_ne_u32_e32 vcc, v60, v61
                                        ; implicit-def: $sgpr46_sgpr47
                                        ; implicit-def: $vgpr6
	s_nop 1
	v_cndmask_b32_e64 v43, 0, 1, vcc
	v_cmp_gt_u32_e32 vcc, s60, v44
	v_mov_b64_e32 v[44:45], 0
	v_mov_b64_e32 v[46:47], v[44:45]
	v_mov_b64_e32 v[48:49], v[44:45]
	v_mov_b64_e32 v[50:51], v[44:45]
	v_mov_b64_e32 v[52:53], v[44:45]
	v_mov_b64_e32 v[54:55], v[44:45]
	s_and_saveexec_b64 s[40:41], vcc
	s_cbranch_execz .LBB2245_130
; %bb.117:
	v_mov_b32_e32 v44, s74
	v_cmp_eq_u32_e32 vcc, v61, v58
	v_add_u32_e32 v6, 17, v77
	v_mov_b64_e32 v[46:47], 0
	v_cndmask_b32_e32 v44, v44, v7, vcc
	v_cmp_ne_u32_e32 vcc, v61, v58
	s_mov_b64 s[46:47], 0
	v_mov_b64_e32 v[48:49], v[46:47]
	v_cndmask_b32_e64 v45, 0, 1, vcc
	v_cmp_gt_u32_e32 vcc, s60, v6
	v_mov_b64_e32 v[50:51], v[46:47]
	v_mov_b64_e32 v[52:53], v[46:47]
	;; [unrolled: 1-line block ×3, first 2 shown]
                                        ; implicit-def: $sgpr48_sgpr49
                                        ; implicit-def: $vgpr6
	s_and_saveexec_b64 s[42:43], vcc
	s_cbranch_execz .LBB2245_129
; %bb.118:
	ds_read2_b32 v[6:7], v76 offset0:17 offset1:18
	v_mov_b32_e32 v46, s74
	v_cmp_eq_u32_e32 vcc, v58, v59
	v_add_u32_e32 v48, 18, v77
	s_mov_b64 s[48:49], 0
	s_waitcnt lgkmcnt(0)
	v_cndmask_b32_e32 v46, v46, v6, vcc
	v_cmp_ne_u32_e32 vcc, v58, v59
                                        ; implicit-def: $sgpr50_sgpr51
                                        ; implicit-def: $vgpr6
	s_nop 1
	v_cndmask_b32_e64 v47, 0, 1, vcc
	v_cmp_gt_u32_e32 vcc, s60, v48
	v_mov_b64_e32 v[48:49], 0
	v_mov_b64_e32 v[50:51], v[48:49]
	;; [unrolled: 1-line block ×4, first 2 shown]
	s_and_saveexec_b64 s[44:45], vcc
	s_cbranch_execz .LBB2245_128
; %bb.119:
	v_mov_b32_e32 v48, s74
	v_cmp_eq_u32_e32 vcc, v59, v56
	v_add_u32_e32 v6, 19, v77
	v_mov_b64_e32 v[50:51], 0
	v_cndmask_b32_e32 v48, v48, v7, vcc
	v_cmp_ne_u32_e32 vcc, v59, v56
	s_mov_b64 s[50:51], 0
	v_mov_b64_e32 v[52:53], v[50:51]
	v_cndmask_b32_e64 v49, 0, 1, vcc
	v_cmp_gt_u32_e32 vcc, s60, v6
	v_mov_b64_e32 v[54:55], v[50:51]
                                        ; implicit-def: $sgpr56_sgpr57
                                        ; implicit-def: $vgpr6
	s_and_saveexec_b64 s[46:47], vcc
	s_cbranch_execz .LBB2245_127
; %bb.120:
	ds_read2_b32 v[6:7], v76 offset0:19 offset1:20
	v_mov_b32_e32 v50, s74
	v_cmp_eq_u32_e32 vcc, v56, v57
	v_add_u32_e32 v52, 20, v77
	s_mov_b64 s[56:57], 0
	s_waitcnt lgkmcnt(0)
	v_cndmask_b32_e32 v50, v50, v6, vcc
	v_cmp_ne_u32_e32 vcc, v56, v57
                                        ; implicit-def: $sgpr58_sgpr59
                                        ; implicit-def: $vgpr6
	s_nop 1
	v_cndmask_b32_e64 v51, 0, 1, vcc
	v_cmp_gt_u32_e32 vcc, s60, v52
	v_mov_b64_e32 v[52:53], 0
	v_mov_b64_e32 v[54:55], v[52:53]
	s_and_saveexec_b64 s[48:49], vcc
	s_cbranch_execz .LBB2245_126
; %bb.121:
	v_mov_b32_e32 v52, s74
	v_cmp_eq_u32_e32 vcc, v57, v8
	v_add_u32_e32 v6, 21, v77
	v_mov_b64_e32 v[54:55], 0
	v_cndmask_b32_e32 v52, v52, v7, vcc
	v_cmp_ne_u32_e32 vcc, v57, v8
                                        ; implicit-def: $sgpr58_sgpr59
	s_nop 1
	v_cndmask_b32_e64 v53, 0, 1, vcc
	v_cmp_gt_u32_e32 vcc, s60, v6
                                        ; implicit-def: $vgpr6
	s_and_saveexec_b64 s[50:51], vcc
	s_cbranch_execz .LBB2245_125
; %bb.122:
	ds_read2_b32 v[6:7], v76 offset0:21 offset1:22
	v_mov_b32_e32 v54, s74
	v_cmp_eq_u32_e32 vcc, v8, v9
	v_add_u32_e32 v56, 22, v77
                                        ; implicit-def: $sgpr58_sgpr59
	s_waitcnt lgkmcnt(0)
	v_cndmask_b32_e32 v54, v54, v6, vcc
	v_cmp_ne_u32_e32 vcc, v8, v9
                                        ; implicit-def: $vgpr6
	s_nop 1
	v_cndmask_b32_e64 v55, 0, 1, vcc
	v_cmp_gt_u32_e32 vcc, s60, v56
	s_and_saveexec_b64 s[60:61], vcc
	s_xor_b64 s[60:61], exec, s[60:61]
; %bb.123:
	v_mov_b32_e32 v6, s74
	v_cmp_ne_u32_e32 vcc, v9, v1
	s_mov_b64 s[56:57], exec
	s_and_b64 s[58:59], vcc, exec
	v_cndmask_b32_e32 v6, v7, v6, vcc
; %bb.124:
	s_or_b64 exec, exec, s[60:61]
	s_and_b64 s[58:59], s[58:59], exec
	s_and_b64 s[56:57], s[56:57], exec
.LBB2245_125:
	s_or_b64 exec, exec, s[50:51]
	s_and_b64 s[58:59], s[58:59], exec
	s_and_b64 s[50:51], s[56:57], exec
.LBB2245_126:
	s_or_b64 exec, exec, s[48:49]
	s_and_b64 s[56:57], s[58:59], exec
	s_and_b64 s[48:49], s[50:51], exec
.LBB2245_127:
	s_or_b64 exec, exec, s[46:47]
	s_and_b64 s[50:51], s[56:57], exec
	s_and_b64 s[46:47], s[48:49], exec
.LBB2245_128:
	s_or_b64 exec, exec, s[44:45]
	s_and_b64 s[48:49], s[50:51], exec
	s_and_b64 s[44:45], s[46:47], exec
.LBB2245_129:
	s_or_b64 exec, exec, s[42:43]
	s_and_b64 s[46:47], s[48:49], exec
	s_and_b64 s[42:43], s[44:45], exec
.LBB2245_130:
	s_or_b64 exec, exec, s[40:41]
	s_and_b64 s[44:45], s[46:47], exec
	s_and_b64 s[40:41], s[42:43], exec
.LBB2245_131:
	s_or_b64 exec, exec, s[38:39]
	s_and_b64 s[42:43], s[44:45], exec
	s_and_b64 s[38:39], s[40:41], exec
.LBB2245_132:
	s_or_b64 exec, exec, s[36:37]
	s_and_b64 s[40:41], s[42:43], exec
	s_and_b64 s[36:37], s[38:39], exec
.LBB2245_133:
	s_or_b64 exec, exec, s[34:35]
	s_and_b64 s[38:39], s[40:41], exec
	s_and_b64 s[34:35], s[36:37], exec
.LBB2245_134:
	s_or_b64 exec, exec, s[30:31]
	s_and_b64 s[36:37], s[38:39], exec
	s_and_b64 s[30:31], s[34:35], exec
.LBB2245_135:
	s_or_b64 exec, exec, s[28:29]
	s_and_b64 s[34:35], s[36:37], exec
	s_and_b64 s[28:29], s[30:31], exec
.LBB2245_136:
	s_or_b64 exec, exec, s[26:27]
	s_and_b64 s[30:31], s[34:35], exec
	s_and_b64 s[26:27], s[28:29], exec
.LBB2245_137:
	s_or_b64 exec, exec, s[24:25]
	s_and_b64 s[28:29], s[30:31], exec
	s_and_b64 s[24:25], s[26:27], exec
.LBB2245_138:
	s_or_b64 exec, exec, s[22:23]
	s_and_b64 s[26:27], s[28:29], exec
	s_and_b64 s[22:23], s[24:25], exec
.LBB2245_139:
	s_or_b64 exec, exec, s[20:21]
	s_and_b64 s[24:25], s[26:27], exec
	s_and_b64 s[20:21], s[22:23], exec
.LBB2245_140:
	s_or_b64 exec, exec, s[18:19]
	s_and_b64 s[22:23], s[24:25], exec
	s_and_b64 s[18:19], s[20:21], exec
.LBB2245_141:
	s_or_b64 exec, exec, s[16:17]
	s_and_b64 s[20:21], s[22:23], exec
	s_and_b64 s[16:17], s[18:19], exec
.LBB2245_142:
	s_or_b64 exec, exec, s[14:15]
	s_and_b64 s[18:19], s[20:21], exec
	s_and_b64 s[14:15], s[16:17], exec
.LBB2245_143:
	s_or_b64 exec, exec, s[12:13]
	s_and_b64 s[16:17], s[18:19], exec
	s_and_b64 s[12:13], s[14:15], exec
.LBB2245_144:
	s_or_b64 exec, exec, s[10:11]
	s_and_b64 s[14:15], s[16:17], exec
	s_and_b64 s[10:11], s[12:13], exec
.LBB2245_145:
	s_or_b64 exec, exec, s[8:9]
	s_and_b64 s[8:9], s[14:15], exec
	s_and_b64 s[10:11], s[10:11], exec
.LBB2245_146:
	s_or_b64 exec, exec, s[6:7]
	s_mov_b64 s[6:7], 0
	s_and_b64 vcc, exec, s[0:1]
	v_lshlrev_b32_e32 v56, 2, v0
	s_cbranch_vccz .LBB2245_152
.LBB2245_147:
	v_mov_b32_e32 v57, 0
	v_lshl_add_u64 v[6:7], v[4:5], 0, v[56:57]
	v_add_co_u32_e32 v8, vcc, 0x1000, v6
	s_movk_i32 s6, 0x58
	s_nop 0
	v_addc_co_u32_e32 v9, vcc, 0, v7, vcc
	flat_load_dword v1, v[6:7]
	flat_load_dword v14, v[6:7] offset:1024
	flat_load_dword v15, v[6:7] offset:2048
	;; [unrolled: 1-line block ×3, first 2 shown]
	flat_load_dword v17, v[8:9]
	flat_load_dword v18, v[8:9] offset:1024
	flat_load_dword v19, v[8:9] offset:2048
	;; [unrolled: 1-line block ×3, first 2 shown]
	v_add_co_u32_e32 v8, vcc, 0x2000, v6
	s_movk_i32 s11, 0x1000
	s_nop 0
	v_addc_co_u32_e32 v9, vcc, 0, v7, vcc
	v_add_co_u32_e32 v12, vcc, 0x3000, v6
	s_mov_b32 s0, 0
	s_nop 0
	v_addc_co_u32_e32 v13, vcc, 0, v7, vcc
	flat_load_dword v21, v[8:9]
	flat_load_dword v22, v[8:9] offset:1024
	flat_load_dword v23, v[8:9] offset:2048
	;; [unrolled: 1-line block ×3, first 2 shown]
	flat_load_dword v25, v[12:13]
	flat_load_dword v26, v[12:13] offset:1024
	flat_load_dword v27, v[12:13] offset:2048
	;; [unrolled: 1-line block ×3, first 2 shown]
	v_add_co_u32_e32 v8, vcc, 0x4000, v6
	s_movk_i32 s10, 0x2000
	s_nop 0
	v_addc_co_u32_e32 v9, vcc, 0, v7, vcc
	v_add_co_u32_e32 v6, vcc, 0x5000, v6
	s_movk_i32 s9, 0x3000
	s_nop 0
	v_addc_co_u32_e32 v7, vcc, 0, v7, vcc
	flat_load_dword v12, v[8:9]
	flat_load_dword v13, v[8:9] offset:1024
	flat_load_dword v29, v[8:9] offset:2048
	;; [unrolled: 1-line block ×3, first 2 shown]
	flat_load_dword v31, v[6:7]
	flat_load_dword v32, v[6:7] offset:1024
	flat_load_dword v33, v[6:7] offset:2048
	v_add_co_u32_e32 v4, vcc, 0x5000, v4
	s_movk_i32 s8, 0x4000
	s_nop 0
	v_addc_co_u32_e32 v5, vcc, 0, v5, vcc
	s_movk_i32 s1, 0x5000
	s_waitcnt vmcnt(0) lgkmcnt(0)
	ds_write2st64_b32 v56, v1, v14 offset1:4
	ds_write2st64_b32 v56, v15, v16 offset0:8 offset1:12
	ds_write2st64_b32 v56, v17, v18 offset0:16 offset1:20
	ds_write2st64_b32 v56, v19, v20 offset0:24 offset1:28
	ds_write2st64_b32 v56, v21, v22 offset0:32 offset1:36
	ds_write2st64_b32 v56, v23, v24 offset0:40 offset1:44
	ds_write2st64_b32 v56, v25, v26 offset0:48 offset1:52
	ds_write2st64_b32 v56, v27, v28 offset0:56 offset1:60
	ds_write2st64_b32 v56, v12, v13 offset0:64 offset1:68
	ds_write2st64_b32 v56, v29, v30 offset0:72 offset1:76
	ds_write2st64_b32 v56, v31, v32 offset0:80 offset1:84
	ds_write_b32 v56, v33 offset:22528
	s_waitcnt lgkmcnt(0)
	s_barrier
	flat_load_dword v1, v[4:5] offset:3072
	v_mad_u32_u24 v14, v0, s6, v56
	s_movk_i32 s6, 0xffa8
	v_mad_i32_i24 v13, v0, s6, v14
	s_movk_i32 s6, 0xff
	v_cmp_ne_u32_e32 vcc, s6, v0
	ds_read_b32 v12, v14
	ds_read2_b32 v[16:17], v14 offset0:1 offset1:2
	ds_read2_b32 v[20:21], v14 offset0:3 offset1:4
	;; [unrolled: 1-line block ×11, first 2 shown]
	s_waitcnt lgkmcnt(0)
	ds_write_b32 v13, v12 offset:24576
	s_waitcnt lgkmcnt(0)
	s_barrier
	s_and_saveexec_b64 s[6:7], vcc
	s_cbranch_execz .LBB2245_149
; %bb.148:
	s_waitcnt vmcnt(0)
	ds_read_b32 v1, v56 offset:24580
.LBB2245_149:
	s_or_b64 exec, exec, s[6:7]
	v_lshl_add_u64 v[2:3], v[2:3], 0, v[56:57]
	v_add_co_u32_e32 v18, vcc, s11, v2
	s_waitcnt lgkmcnt(0)
	s_nop 0
	v_addc_co_u32_e32 v19, vcc, 0, v3, vcc
	s_barrier
	flat_load_dword v13, v[2:3]
	flat_load_dword v15, v[2:3] offset:1024
	flat_load_dword v26, v[2:3] offset:2048
	;; [unrolled: 1-line block ×3, first 2 shown]
	flat_load_dword v30, v[18:19]
	flat_load_dword v31, v[18:19] offset:1024
	flat_load_dword v34, v[18:19] offset:2048
	;; [unrolled: 1-line block ×3, first 2 shown]
	v_add_co_u32_e32 v18, vcc, s10, v2
	s_nop 1
	v_addc_co_u32_e32 v19, vcc, 0, v3, vcc
	v_add_co_u32_e32 v22, vcc, s9, v2
	s_nop 1
	v_addc_co_u32_e32 v23, vcc, 0, v3, vcc
	flat_load_dword v38, v[18:19]
	flat_load_dword v39, v[18:19] offset:1024
	flat_load_dword v42, v[18:19] offset:2048
	flat_load_dword v43, v[18:19] offset:3072
	flat_load_dword v46, v[22:23]
	flat_load_dword v47, v[22:23] offset:1024
	flat_load_dword v48, v[22:23] offset:2048
	;; [unrolled: 1-line block ×3, first 2 shown]
	v_add_co_u32_e32 v18, vcc, s8, v2
	s_nop 1
	v_addc_co_u32_e32 v19, vcc, 0, v3, vcc
	v_add_co_u32_e32 v2, vcc, s1, v2
	s_mov_b32 s1, 1
	s_nop 0
	v_addc_co_u32_e32 v3, vcc, 0, v3, vcc
	flat_load_dword v22, v[18:19]
	flat_load_dword v23, v[18:19] offset:1024
	flat_load_dword v50, v[18:19] offset:2048
	;; [unrolled: 1-line block ×3, first 2 shown]
	flat_load_dword v52, v[2:3]
	flat_load_dword v53, v[2:3] offset:1024
	flat_load_dword v54, v[2:3] offset:2048
	v_cmp_eq_u32_e32 vcc, v12, v16
	s_waitcnt vmcnt(0) lgkmcnt(0)
	ds_write2st64_b32 v56, v13, v15 offset1:4
	ds_write2st64_b32 v56, v26, v27 offset0:8 offset1:12
	ds_write2st64_b32 v56, v30, v31 offset0:16 offset1:20
	;; [unrolled: 1-line block ×10, first 2 shown]
	ds_write_b32 v56, v54 offset:22528
	s_waitcnt lgkmcnt(0)
	s_barrier
	ds_read2_b32 v[18:19], v14 offset0:1 offset1:2
	ds_read2_b32 v[22:23], v14 offset0:3 offset1:4
	;; [unrolled: 1-line block ×11, first 2 shown]
	v_mov_b64_e32 v[12:13], s[0:1]
	v_mov_b32_e32 v15, s74
	s_and_saveexec_b64 s[0:1], vcc
	s_cbranch_execz .LBB2245_151
; %bb.150:
	ds_read_b32 v15, v14
	v_mov_b64_e32 v[12:13], 0
.LBB2245_151:
	s_or_b64 exec, exec, s[0:1]
	v_mov_b32_e32 v57, s74
	v_cmp_eq_u32_e32 vcc, v16, v17
	s_waitcnt lgkmcnt(0)
	v_or_b32_e32 v12, v12, v15
	v_cmp_ne_u32_e64 s[8:9], v5, v1
	v_cndmask_b32_e32 v14, v57, v18, vcc
	v_cmp_ne_u32_e32 vcc, v16, v17
	s_mov_b64 s[10:11], -1
                                        ; implicit-def: $sgpr6_sgpr7
	s_nop 0
	v_cndmask_b32_e64 v15, 0, 1, vcc
	v_cmp_eq_u32_e32 vcc, v17, v20
	s_nop 1
	v_cndmask_b32_e32 v16, v57, v19, vcc
	v_cmp_ne_u32_e32 vcc, v17, v20
	s_nop 1
	v_cndmask_b32_e64 v17, 0, 1, vcc
	v_cmp_eq_u32_e32 vcc, v20, v21
	s_nop 1
	v_cndmask_b32_e32 v18, v57, v22, vcc
	v_cmp_ne_u32_e32 vcc, v20, v21
	;; [unrolled: 6-line block ×18, first 2 shown]
	v_cndmask_b32_e64 v6, v3, v57, s[8:9]
	s_nop 0
	v_cndmask_b32_e64 v51, 0, 1, vcc
	v_cmp_eq_u32_e32 vcc, v7, v4
	s_nop 1
	v_cndmask_b32_e32 v52, v57, v53, vcc
	v_cmp_ne_u32_e32 vcc, v7, v4
	s_nop 1
	v_cndmask_b32_e64 v53, 0, 1, vcc
	v_cmp_eq_u32_e32 vcc, v4, v5
	s_nop 1
	v_cndmask_b32_e32 v54, v57, v2, vcc
	v_cmp_ne_u32_e32 vcc, v4, v5
	s_nop 1
	v_cndmask_b32_e64 v55, 0, 1, vcc
.LBB2245_152:
	v_mov_b64_e32 v[58:59], s[6:7]
	s_and_saveexec_b64 s[0:1], s[10:11]
; %bb.153:
	v_cndmask_b32_e64 v7, 0, 1, s[8:9]
	v_mov_b64_e32 v[58:59], v[6:7]
; %bb.154:
	s_or_b64 exec, exec, s[0:1]
	s_mov_b32 s0, 0
	s_cmp_lg_u32 s67, 0
	v_or_b32_e32 v57, v59, v55
	v_lshrrev_b32_e32 v1, 5, v0
	v_cmp_gt_u32_e32 vcc, 64, v0
	s_barrier
	s_cbranch_scc0 .LBB2245_193
; %bb.155:
	s_mov_b32 s1, 1
	v_cmp_gt_u64_e64 s[6:7], s[0:1], v[14:15]
	v_cmp_gt_u64_e64 s[8:9], s[0:1], v[16:17]
	v_cmp_gt_u64_e64 s[10:11], s[0:1], v[18:19]
	v_cndmask_b32_e64 v2, 0, v12, s[6:7]
	v_add_u32_e32 v2, v2, v14
	v_cndmask_b32_e64 v2, 0, v2, s[8:9]
	v_add_u32_e32 v2, v2, v16
	v_cndmask_b32_e64 v2, 0, v2, s[10:11]
	v_add_u32_e32 v2, v2, v18
	v_cmp_gt_u64_e64 s[12:13], s[0:1], v[20:21]
	v_cmp_gt_u64_e64 s[14:15], s[0:1], v[22:23]
	v_cmp_gt_u64_e64 s[16:17], s[0:1], v[24:25]
	v_cndmask_b32_e64 v2, 0, v2, s[12:13]
	v_add_u32_e32 v2, v2, v20
	v_cndmask_b32_e64 v2, 0, v2, s[14:15]
	v_add_u32_e32 v2, v2, v22
	v_cndmask_b32_e64 v2, 0, v2, s[16:17]
	v_add_u32_e32 v2, v2, v24
	;; [unrolled: 9-line block ×7, first 2 shown]
	v_cmp_gt_u64_e64 s[0:1], s[0:1], v[58:59]
	s_nop 1
	v_cndmask_b32_e64 v2, 0, v2, s[0:1]
	v_add_u32_e32 v64, v2, v58
	v_or3_b32 v2, v57, v53, v51
	v_or3_b32 v2, v2, v49, v47
	;; [unrolled: 1-line block ×10, first 2 shown]
	v_and_b32_e32 v2, 1, v2
	v_cmp_eq_u32_e64 s[0:1], 1, v2
	v_add_lshl_u32 v2, v1, v0, 3
	s_nop 0
	v_cndmask_b32_e64 v65, v13, 1, s[0:1]
	ds_write_b32 v2, v64
	ds_write_b8 v2, v65 offset:4
	s_waitcnt lgkmcnt(0)
	s_barrier
	s_and_saveexec_b64 s[50:51], vcc
	s_cbranch_execz .LBB2245_167
; %bb.156:
	v_lshrrev_b32_e32 v2, 3, v0
	v_add_lshl_u32 v4, v2, v56, 3
	ds_read2_b32 v[6:7], v4 offset0:2 offset1:4
	ds_read_b64 v[2:3], v4
	ds_read_u8 v8, v4 offset:12
	ds_read_u8 v9, v4 offset:20
	ds_read_b32 v60, v4 offset:24
	ds_read_u8 v61, v4 offset:28
	v_mov_b32_e32 v62, 0
	s_waitcnt lgkmcnt(3)
	v_cmp_eq_u16_sdwa s[0:1], v8, v62 src0_sel:BYTE_0 src1_sel:DWORD
	v_and_b32_e32 v5, 1, v3
	s_nop 0
	v_cndmask_b32_e64 v63, 0, v2, s[0:1]
	v_add_u32_e32 v6, v63, v6
	s_waitcnt lgkmcnt(2)
	v_cmp_eq_u16_sdwa s[0:1], v9, v62 src0_sel:BYTE_0 src1_sel:DWORD
	s_nop 1
	v_cndmask_b32_e64 v6, 0, v6, s[0:1]
	v_add_u32_e32 v6, v6, v7
	s_waitcnt lgkmcnt(0)
	v_cmp_eq_u16_e64 s[0:1], 0, v61
	s_nop 1
	v_cndmask_b32_e64 v6, 0, v6, s[0:1]
	v_add_u32_e32 v7, v6, v60
	v_or_b32_e32 v6, v61, v9
	v_or_b32_e32 v6, v6, v8
	v_and_b32_e32 v6, 1, v6
	v_cmp_eq_u32_e64 s[0:1], 1, v6
	v_mbcnt_lo_u32_b32 v8, -1, 0
	v_and_b32_e32 v6, 0xffffff00, v3
	v_cndmask_b32_e64 v9, v5, 1, s[0:1]
	v_mbcnt_hi_u32_b32 v8, -1, v8
	v_and_b32_e32 v61, 15, v8
	v_or_b32_sdwa v60, v6, v9 dst_sel:DWORD dst_unused:UNUSED_PAD src0_sel:DWORD src1_sel:WORD_0
	v_mov_b32_dpp v62, v7 row_shr:1 row_mask:0xf bank_mask:0xf
	v_cmp_ne_u32_e64 s[0:1], 0, v61
	v_mov_b32_dpp v63, v60 row_shr:1 row_mask:0xf bank_mask:0xf
	s_and_saveexec_b64 s[56:57], s[0:1]
; %bb.157:
	v_and_b32_e32 v60, 1, v9
	v_and_b32_e32 v63, 1, v63
	v_cmp_eq_u32_e64 s[0:1], 1, v60
	s_nop 1
	v_cndmask_b32_e64 v63, v63, 1, s[0:1]
	v_cmp_eq_u16_e64 s[0:1], 0, v9
	v_or_b32_sdwa v60, v6, v63 dst_sel:DWORD dst_unused:UNUSED_PAD src0_sel:DWORD src1_sel:WORD_0
	s_nop 0
	v_cndmask_b32_e64 v9, 0, v62, s[0:1]
	v_add_u32_e32 v7, v9, v7
	v_mov_b32_e32 v9, v63
; %bb.158:
	s_or_b64 exec, exec, s[56:57]
	v_mov_b32_dpp v62, v7 row_shr:2 row_mask:0xf bank_mask:0xf
	v_mov_b32_dpp v63, v60 row_shr:2 row_mask:0xf bank_mask:0xf
	v_cmp_lt_u32_e64 s[0:1], 1, v61
	s_and_saveexec_b64 s[56:57], s[0:1]
; %bb.159:
	v_and_b32_e32 v60, 1, v9
	v_and_b32_e32 v63, 1, v63
	v_cmp_eq_u32_e64 s[0:1], 1, v60
	s_nop 1
	v_cndmask_b32_e64 v63, v63, 1, s[0:1]
	v_cmp_eq_u16_e64 s[0:1], 0, v9
	v_or_b32_sdwa v60, v6, v63 dst_sel:DWORD dst_unused:UNUSED_PAD src0_sel:DWORD src1_sel:WORD_0
	s_nop 0
	v_cndmask_b32_e64 v9, 0, v62, s[0:1]
	v_add_u32_e32 v7, v9, v7
	v_mov_b32_e32 v9, v63
; %bb.160:
	s_or_b64 exec, exec, s[56:57]
	v_mov_b32_dpp v62, v7 row_shr:4 row_mask:0xf bank_mask:0xf
	v_mov_b32_dpp v63, v60 row_shr:4 row_mask:0xf bank_mask:0xf
	v_cmp_lt_u32_e64 s[0:1], 3, v61
	;; [unrolled: 18-line block ×3, first 2 shown]
	s_and_saveexec_b64 s[56:57], s[0:1]
; %bb.163:
	v_and_b32_e32 v60, 1, v9
	v_and_b32_e32 v61, 1, v63
	v_cmp_eq_u32_e64 s[0:1], 1, v60
	s_nop 1
	v_cndmask_b32_e64 v61, v61, 1, s[0:1]
	v_cmp_eq_u16_e64 s[0:1], 0, v9
	v_or_b32_sdwa v60, v6, v61 dst_sel:DWORD dst_unused:UNUSED_PAD src0_sel:DWORD src1_sel:WORD_0
	s_nop 0
	v_cndmask_b32_e64 v9, 0, v62, s[0:1]
	v_add_u32_e32 v7, v9, v7
	v_mov_b32_e32 v9, v61
; %bb.164:
	s_or_b64 exec, exec, s[56:57]
	v_and_b32_e32 v63, 16, v8
	v_mov_b32_dpp v61, v7 row_bcast:15 row_mask:0xf bank_mask:0xf
	v_mov_b32_dpp v62, v60 row_bcast:15 row_mask:0xf bank_mask:0xf
	v_cmp_ne_u32_e64 s[0:1], 0, v63
	s_and_saveexec_b64 s[56:57], s[0:1]
; %bb.165:
	v_and_b32_e32 v60, 1, v9
	v_and_b32_e32 v62, 1, v62
	v_cmp_eq_u32_e64 s[0:1], 1, v60
	s_nop 1
	v_cndmask_b32_e64 v62, v62, 1, s[0:1]
	v_cmp_eq_u16_e64 s[0:1], 0, v9
	v_or_b32_sdwa v60, v6, v62 dst_sel:DWORD dst_unused:UNUSED_PAD src0_sel:DWORD src1_sel:WORD_0
	s_nop 0
	v_cndmask_b32_e64 v9, 0, v61, s[0:1]
	v_add_u32_e32 v7, v9, v7
	v_mov_b32_e32 v9, v62
; %bb.166:
	s_or_b64 exec, exec, s[56:57]
	v_mov_b32_dpp v60, v60 row_bcast:31 row_mask:0xf bank_mask:0xf
	v_and_b32_e32 v62, 1, v9
	v_and_b32_e32 v60, 1, v60
	v_cmp_eq_u32_e64 s[0:1], 1, v62
	v_mov_b32_e32 v62, 0
	v_cmp_eq_u16_sdwa s[56:57], v9, v62 src0_sel:BYTE_0 src1_sel:DWORD
	v_cndmask_b32_e64 v60, v60, 1, s[0:1]
	v_cmp_lt_u32_e64 s[0:1], 31, v8
	v_mov_b32_dpp v61, v7 row_bcast:31 row_mask:0xf bank_mask:0xf
	s_movk_i32 s58, 0xff
	v_cndmask_b32_e64 v9, v9, v60, s[0:1]
	s_and_b64 s[0:1], s[0:1], s[56:57]
	v_cndmask_b32_e64 v60, 0, v61, s[0:1]
	v_add_u32_e32 v7, v60, v7
	v_add_u32_e32 v60, -1, v8
	v_and_b32_e32 v61, 64, v8
	v_cmp_lt_i32_e64 s[0:1], v60, v61
	v_and_or_b32 v6, v9, s58, v6
	s_nop 0
	v_cndmask_b32_e64 v8, v60, v8, s[0:1]
	v_lshlrev_b32_e32 v8, 2, v8
	ds_bpermute_b32 v7, v8, v7
	ds_bpermute_b32 v6, v8, v6
	v_cmp_eq_u16_sdwa s[0:1], v3, v62 src0_sel:BYTE_0 src1_sel:DWORD
	; wave barrier
	s_waitcnt lgkmcnt(1)
	s_nop 0
	v_cndmask_b32_e64 v3, 0, v7, s[0:1]
	v_add_u32_e32 v2, v3, v2
	s_waitcnt lgkmcnt(0)
	v_and_b32_e32 v3, 1, v6
	v_cmp_eq_u32_e64 s[0:1], 1, v5
	v_cndmask_b32_e64 v5, v2, v64, s[52:53]
	s_nop 0
	v_cndmask_b32_e64 v3, v3, 1, s[0:1]
	v_cndmask_b32_e64 v6, v3, v65, s[52:53]
	ds_write_b32 v4, v5
	ds_write_b8 v4, v6 offset:4
	; wave barrier
	ds_read_u8 v7, v4 offset:12
	ds_read2_b32 v[2:3], v4 offset0:2 offset1:4
	ds_read_u8 v8, v4 offset:20
	ds_read_b32 v9, v4 offset:24
	ds_read_u8 v60, v4 offset:28
	s_waitcnt lgkmcnt(4)
	v_cmp_eq_u16_e64 s[0:1], 0, v7
	s_nop 1
	v_cndmask_b32_e64 v5, 0, v5, s[0:1]
	s_waitcnt lgkmcnt(3)
	v_add_u32_e32 v2, v5, v2
	v_and_b32_e32 v5, 1, v7
	v_cmp_eq_u32_e64 s[0:1], 1, v5
	s_nop 1
	v_cndmask_b32_e64 v5, v6, 1, s[0:1]
	s_waitcnt lgkmcnt(2)
	v_cmp_eq_u16_e64 s[0:1], 0, v8
	ds_write_b8 v4, v5 offset:12
	s_nop 0
	v_cndmask_b32_e64 v6, 0, v2, s[0:1]
	v_add_u32_e32 v3, v6, v3
	v_and_b32_e32 v6, 1, v8
	v_cmp_eq_u32_e64 s[0:1], 1, v6
	s_nop 1
	v_cndmask_b32_e64 v5, v5, 1, s[0:1]
	s_waitcnt lgkmcnt(1)
	v_cmp_eq_u16_e64 s[0:1], 0, v60
	ds_write2_b32 v4, v2, v3 offset0:2 offset1:4
	ds_write_b8 v4, v5 offset:20
	v_cndmask_b32_e64 v2, 0, v3, s[0:1]
	v_and_b32_e32 v3, 1, v60
	v_add_u32_e32 v2, v2, v9
	v_cmp_eq_u32_e64 s[0:1], 1, v3
	s_nop 1
	v_cndmask_b32_e64 v3, v5, 1, s[0:1]
	ds_write_b32 v4, v2 offset:24
	ds_write_b8 v4, v3 offset:28
.LBB2245_167:
	s_or_b64 exec, exec, s[50:51]
	s_waitcnt lgkmcnt(0)
	s_barrier
	s_and_saveexec_b64 s[0:1], s[4:5]
	s_cbranch_execz .LBB2245_169
; %bb.168:
	v_add_u32_e32 v2, -1, v0
	v_lshrrev_b32_e32 v3, 5, v2
	v_add_lshl_u32 v2, v3, v2, 3
	ds_read_b32 v64, v2
	ds_read_u8 v65, v2 offset:4
.LBB2245_169:
	s_or_b64 exec, exec, s[0:1]
	s_and_saveexec_b64 s[56:57], vcc
	s_cbranch_execz .LBB2245_192
; %bb.170:
	v_mov_b32_e32 v5, 0
	ds_read_b64 v[2:3], v5 offset:2096
	v_mbcnt_lo_u32_b32 v4, -1, 0
	v_mbcnt_hi_u32_b32 v75, -1, v4
	s_mov_b32 s59, 0
	v_cmp_eq_u32_e64 s[50:51], 0, v75
	s_waitcnt lgkmcnt(0)
	v_readfirstlane_b32 s68, v3
	s_and_saveexec_b64 s[0:1], s[50:51]
	s_cbranch_execz .LBB2245_172
; %bb.171:
	s_add_i32 s58, s67, 64
	s_lshl_b64 s[60:61], s[58:59], 4
	s_add_u32 s60, s64, s60
	s_addc_u32 s61, s65, s61
	s_and_b32 s77, s68, 0xff000000
	s_mov_b32 s76, s59
	s_and_b32 s79, s68, 0xff0000
	s_mov_b32 s78, s59
	s_or_b64 s[76:77], s[78:79], s[76:77]
	s_and_b32 s79, s68, 0xff00
	s_or_b64 s[76:77], s[76:77], s[78:79]
	s_and_b32 s79, s68, 0xff
	s_or_b64 s[58:59], s[76:77], s[78:79]
	v_mov_b32_e32 v3, s59
	v_mov_b32_e32 v4, 1
	v_mov_b64_e32 v[6:7], s[60:61]
	;;#ASMSTART
	global_store_dwordx4 v[6:7], v[2:5] off sc1	
s_waitcnt vmcnt(0)
	;;#ASMEND
.LBB2245_172:
	s_or_b64 exec, exec, s[0:1]
	v_xad_u32 v60, v75, -1, s67
	v_add_u32_e32 v4, 64, v60
	v_lshl_add_u64 v[62:63], v[4:5], 4, s[64:65]
	;;#ASMSTART
	global_load_dwordx4 v[6:9], v[62:63] off sc1	
s_waitcnt vmcnt(0)
	;;#ASMEND
	s_nop 0
	v_and_b32_e32 v3, 0xff0000, v6
	v_and_b32_e32 v4, 0xff000000, v6
	;; [unrolled: 1-line block ×3, first 2 shown]
	v_or_b32_sdwa v3, v6, v3 dst_sel:DWORD dst_unused:UNUSED_PAD src0_sel:WORD_0 src1_sel:DWORD
	v_or3_b32 v7, 0, 0, v7
	v_or3_b32 v6, v3, v4, 0
	v_cmp_eq_u16_sdwa s[58:59], v8, v5 src0_sel:BYTE_0 src1_sel:DWORD
	s_and_saveexec_b64 s[0:1], s[58:59]
	s_cbranch_execz .LBB2245_178
; %bb.173:
	s_mov_b32 s60, 1
	s_mov_b64 s[58:59], 0
	v_mov_b32_e32 v3, 0
.LBB2245_174:                           ; =>This Loop Header: Depth=1
                                        ;     Child Loop BB2245_175 Depth 2
	s_max_u32 s61, s60, 1
.LBB2245_175:                           ;   Parent Loop BB2245_174 Depth=1
                                        ; =>  This Inner Loop Header: Depth=2
	s_add_i32 s61, s61, -1
	s_cmp_eq_u32 s61, 0
	s_sleep 1
	s_cbranch_scc0 .LBB2245_175
; %bb.176:                              ;   in Loop: Header=BB2245_174 Depth=1
	s_cmp_lt_u32 s60, 32
	s_cselect_b64 s[76:77], -1, 0
	s_cmp_lg_u64 s[76:77], 0
	s_addc_u32 s60, s60, 0
	;;#ASMSTART
	global_load_dwordx4 v[6:9], v[62:63] off sc1	
s_waitcnt vmcnt(0)
	;;#ASMEND
	s_nop 0
	v_cmp_ne_u16_sdwa s[76:77], v8, v3 src0_sel:BYTE_0 src1_sel:DWORD
	s_or_b64 s[58:59], s[76:77], s[58:59]
	s_andn2_b64 exec, exec, s[58:59]
	s_cbranch_execnz .LBB2245_174
; %bb.177:
	s_or_b64 exec, exec, s[58:59]
	v_and_b32_e32 v7, 0xff, v7
.LBB2245_178:
	s_or_b64 exec, exec, s[0:1]
	v_mov_b32_e32 v3, 2
	v_cmp_eq_u16_sdwa s[0:1], v8, v3 src0_sel:BYTE_0 src1_sel:DWORD
	v_lshlrev_b64 v[4:5], v75, -1
	v_and_b32_e32 v66, 63, v75
	v_and_b32_e32 v9, s1, v5
	v_or_b32_e32 v9, 0x80000000, v9
	v_and_b32_e32 v61, s0, v4
	v_ffbl_b32_e32 v9, v9
	v_add_u32_e32 v9, 32, v9
	v_ffbl_b32_e32 v61, v61
	v_cmp_ne_u32_e32 vcc, 63, v66
	v_min_u32_e32 v9, v61, v9
	s_mov_b32 s58, 0
	v_addc_co_u32_e32 v61, vcc, 0, v75, vcc
	v_lshlrev_b32_e32 v67, 2, v61
	ds_bpermute_b32 v61, v67, v7
	ds_bpermute_b32 v62, v67, v6
	v_and_b32_e32 v63, 1, v7
	s_mov_b32 s59, 1
	v_cmp_eq_u32_e32 vcc, 1, v63
	s_waitcnt lgkmcnt(1)
	v_and_b32_e32 v61, 1, v61
	v_cmp_lt_u32_e64 s[0:1], v66, v9
	v_cndmask_b32_e64 v61, v61, 1, vcc
	v_cmp_gt_u64_e32 vcc, s[58:59], v[6:7]
	s_and_b64 vcc, s[0:1], vcc
	v_and_b32_e32 v63, 0xffff, v61
	v_cndmask_b32_e64 v70, v7, v61, s[0:1]
	s_waitcnt lgkmcnt(0)
	v_cndmask_b32_e32 v61, 0, v62, vcc
	v_cmp_gt_u32_e32 vcc, 62, v66
	v_cndmask_b32_e64 v7, v7, v63, s[0:1]
	v_add_u32_e32 v6, v61, v6
	v_cndmask_b32_e64 v62, 0, 1, vcc
	v_lshlrev_b32_e32 v62, 1, v62
	v_add_lshl_u32 v68, v62, v75, 2
	ds_bpermute_b32 v62, v68, v7
	ds_bpermute_b32 v63, v68, v6
	v_and_b32_e32 v61, 1, v70
	v_cmp_eq_u32_e32 vcc, 1, v61
	v_mov_b32_e32 v61, 0
	s_waitcnt lgkmcnt(1)
	v_and_b32_e32 v62, 1, v62
	v_add_u32_e32 v69, 2, v66
	v_cndmask_b32_e64 v62, v62, 1, vcc
	v_cmp_eq_u16_sdwa vcc, v70, v61 src0_sel:BYTE_0 src1_sel:DWORD
	v_and_b32_e32 v71, 0xffff, v62
	v_add_u32_e32 v79, 32, v66
	s_waitcnt lgkmcnt(0)
	v_cndmask_b32_e32 v63, 0, v63, vcc
	v_cmp_gt_u32_e32 vcc, v69, v9
	s_nop 1
	v_cndmask_b32_e32 v62, v62, v70, vcc
	v_cndmask_b32_e64 v63, v63, 0, vcc
	v_cndmask_b32_e32 v7, v71, v7, vcc
	v_cmp_gt_u32_e32 vcc, 60, v66
	v_add_u32_e32 v6, v63, v6
	v_and_b32_e32 v73, 1, v62
	v_cndmask_b32_e64 v70, 0, 1, vcc
	v_lshlrev_b32_e32 v70, 2, v70
	v_add_lshl_u32 v70, v70, v75, 2
	ds_bpermute_b32 v72, v70, v7
	ds_bpermute_b32 v63, v70, v6
	v_cmp_eq_u32_e32 vcc, 1, v73
	v_add_u32_e32 v71, 4, v66
	s_waitcnt lgkmcnt(1)
	v_and_b32_e32 v72, 1, v72
	v_cndmask_b32_e64 v72, v72, 1, vcc
	v_cmp_eq_u16_sdwa vcc, v62, v61 src0_sel:BYTE_0 src1_sel:DWORD
	v_and_b32_e32 v73, 0xffff, v72
	s_waitcnt lgkmcnt(0)
	v_cndmask_b32_e32 v63, 0, v63, vcc
	v_cmp_gt_u32_e32 vcc, v71, v9
	s_nop 1
	v_cndmask_b32_e32 v62, v72, v62, vcc
	v_cndmask_b32_e64 v63, v63, 0, vcc
	v_cndmask_b32_e32 v7, v73, v7, vcc
	v_cmp_gt_u32_e32 vcc, 56, v66
	v_add_u32_e32 v6, v63, v6
	v_and_b32_e32 v76, 1, v62
	v_cndmask_b32_e64 v72, 0, 1, vcc
	v_lshlrev_b32_e32 v72, 3, v72
	v_add_lshl_u32 v72, v72, v75, 2
	ds_bpermute_b32 v74, v72, v7
	ds_bpermute_b32 v63, v72, v6
	v_cmp_eq_u32_e32 vcc, 1, v76
	v_add_u32_e32 v73, 8, v66
	s_waitcnt lgkmcnt(1)
	v_and_b32_e32 v74, 1, v74
	v_cndmask_b32_e64 v74, v74, 1, vcc
	v_cmp_eq_u16_sdwa vcc, v62, v61 src0_sel:BYTE_0 src1_sel:DWORD
	v_and_b32_e32 v76, 0xffff, v74
	;; [unrolled: 22-line block ×3, first 2 shown]
	s_waitcnt lgkmcnt(0)
	v_cndmask_b32_e32 v63, 0, v63, vcc
	v_cmp_gt_u32_e32 vcc, v76, v9
	s_nop 1
	v_cndmask_b32_e32 v62, v77, v62, vcc
	v_cndmask_b32_e64 v63, v63, 0, vcc
	v_cndmask_b32_e32 v7, v78, v7, vcc
	v_cmp_gt_u32_e32 vcc, 32, v66
	v_add_u32_e32 v6, v63, v6
	s_nop 0
	v_cndmask_b32_e64 v77, 0, 1, vcc
	v_lshlrev_b32_e32 v77, 5, v77
	v_add_lshl_u32 v78, v77, v75, 2
	ds_bpermute_b32 v7, v78, v7
	ds_bpermute_b32 v63, v78, v6
	v_and_b32_e32 v75, 1, v62
	v_cmp_eq_u32_e32 vcc, 1, v75
	s_waitcnt lgkmcnt(1)
	v_and_b32_e32 v7, 1, v7
	v_cndmask_b32_e64 v7, v7, 1, vcc
	v_cmp_eq_u16_sdwa vcc, v62, v61 src0_sel:BYTE_0 src1_sel:DWORD
	s_waitcnt lgkmcnt(0)
	s_nop 0
	v_cndmask_b32_e32 v63, 0, v63, vcc
	v_cmp_gt_u32_e32 vcc, v79, v9
	s_nop 1
	v_cndmask_b32_e64 v9, v63, 0, vcc
	v_cndmask_b32_e32 v7, v7, v62, vcc
	v_add_u32_e32 v6, v9, v6
	s_branch .LBB2245_180
.LBB2245_179:                           ;   in Loop: Header=BB2245_180 Depth=1
	s_or_b64 exec, exec, s[0:1]
	v_cmp_eq_u16_sdwa s[0:1], v8, v3 src0_sel:BYTE_0 src1_sel:DWORD
	ds_bpermute_b32 v63, v67, v7
	v_and_b32_e32 v80, 1, v7
	v_and_b32_e32 v9, s1, v5
	v_or_b32_e32 v9, 0x80000000, v9
	v_and_b32_e32 v62, s0, v4
	v_ffbl_b32_e32 v9, v9
	v_add_u32_e32 v9, 32, v9
	v_ffbl_b32_e32 v62, v62
	v_min_u32_e32 v9, v62, v9
	ds_bpermute_b32 v62, v67, v6
	s_waitcnt lgkmcnt(1)
	v_and_b32_e32 v63, 1, v63
	v_cmp_eq_u32_e32 vcc, 1, v80
	v_cmp_lt_u32_e64 s[0:1], v66, v9
	v_subrev_u32_e32 v60, 64, v60
	v_cndmask_b32_e64 v63, v63, 1, vcc
	v_cmp_gt_u64_e32 vcc, s[58:59], v[6:7]
	v_and_b32_e32 v80, 0xffff, v63
	v_cndmask_b32_e64 v63, v7, v63, s[0:1]
	v_cndmask_b32_e64 v7, v7, v80, s[0:1]
	s_and_b64 vcc, s[0:1], vcc
	ds_bpermute_b32 v80, v68, v7
	s_waitcnt lgkmcnt(1)
	v_cndmask_b32_e32 v62, 0, v62, vcc
	v_add_u32_e32 v6, v62, v6
	ds_bpermute_b32 v62, v68, v6
	v_and_b32_e32 v81, 1, v63
	s_waitcnt lgkmcnt(1)
	v_and_b32_e32 v80, 1, v80
	v_cmp_eq_u32_e32 vcc, 1, v81
	s_nop 1
	v_cndmask_b32_e64 v80, v80, 1, vcc
	v_cmp_eq_u16_sdwa vcc, v63, v61 src0_sel:BYTE_0 src1_sel:DWORD
	v_and_b32_e32 v81, 0xffff, v80
	s_waitcnt lgkmcnt(0)
	v_cndmask_b32_e32 v62, 0, v62, vcc
	v_cmp_gt_u32_e32 vcc, v69, v9
	s_nop 1
	v_cndmask_b32_e32 v7, v81, v7, vcc
	v_cndmask_b32_e32 v63, v80, v63, vcc
	ds_bpermute_b32 v80, v70, v7
	v_cndmask_b32_e64 v62, v62, 0, vcc
	v_add_u32_e32 v6, v62, v6
	ds_bpermute_b32 v62, v70, v6
	v_and_b32_e32 v81, 1, v63
	s_waitcnt lgkmcnt(1)
	v_and_b32_e32 v80, 1, v80
	v_cmp_eq_u32_e32 vcc, 1, v81
	s_nop 1
	v_cndmask_b32_e64 v80, v80, 1, vcc
	v_cmp_eq_u16_sdwa vcc, v63, v61 src0_sel:BYTE_0 src1_sel:DWORD
	v_and_b32_e32 v81, 0xffff, v80
	s_waitcnt lgkmcnt(0)
	v_cndmask_b32_e32 v62, 0, v62, vcc
	v_cmp_gt_u32_e32 vcc, v71, v9
	s_nop 1
	v_cndmask_b32_e32 v7, v81, v7, vcc
	v_cndmask_b32_e32 v63, v80, v63, vcc
	ds_bpermute_b32 v80, v72, v7
	v_cndmask_b32_e64 v62, v62, 0, vcc
	;; [unrolled: 18-line block ×3, first 2 shown]
	v_add_u32_e32 v6, v62, v6
	ds_bpermute_b32 v62, v74, v6
	v_and_b32_e32 v81, 1, v63
	s_waitcnt lgkmcnt(1)
	v_and_b32_e32 v80, 1, v80
	v_cmp_eq_u32_e32 vcc, 1, v81
	s_nop 1
	v_cndmask_b32_e64 v80, v80, 1, vcc
	v_cmp_eq_u16_sdwa vcc, v63, v61 src0_sel:BYTE_0 src1_sel:DWORD
	v_and_b32_e32 v81, 0xffff, v80
	s_waitcnt lgkmcnt(0)
	v_cndmask_b32_e32 v62, 0, v62, vcc
	v_cmp_gt_u32_e32 vcc, v76, v9
	s_nop 1
	v_cndmask_b32_e64 v62, v62, 0, vcc
	v_cndmask_b32_e32 v7, v81, v7, vcc
	ds_bpermute_b32 v7, v78, v7
	v_add_u32_e32 v6, v62, v6
	ds_bpermute_b32 v62, v78, v6
	v_cndmask_b32_e32 v63, v80, v63, vcc
	v_and_b32_e32 v80, 1, v63
	v_cmp_eq_u32_e32 vcc, 1, v80
	s_waitcnt lgkmcnt(1)
	s_nop 0
	v_cndmask_b32_e64 v7, v7, 1, vcc
	v_cmp_eq_u16_sdwa vcc, v63, v61 src0_sel:BYTE_0 src1_sel:DWORD
	s_waitcnt lgkmcnt(0)
	s_nop 0
	v_cndmask_b32_e32 v62, 0, v62, vcc
	v_cmp_gt_u32_e32 vcc, v79, v9
	s_nop 1
	v_cndmask_b32_e64 v9, v62, 0, vcc
	v_cndmask_b32_e32 v7, v7, v63, vcc
	v_add_u32_e32 v6, v9, v6
	v_cmp_eq_u16_sdwa vcc, v75, v61 src0_sel:BYTE_0 src1_sel:DWORD
	v_and_b32_e32 v9, 1, v75
	v_and_b32_e32 v7, 1, v7
	v_cndmask_b32_e32 v6, 0, v6, vcc
	v_cmp_eq_u32_e32 vcc, 1, v9
	v_add_u32_e32 v6, v6, v77
	s_nop 0
	v_cndmask_b32_e64 v7, v7, 1, vcc
.LBB2245_180:                           ; =>This Loop Header: Depth=1
                                        ;     Child Loop BB2245_183 Depth 2
                                        ;       Child Loop BB2245_184 Depth 3
	v_cmp_ne_u16_sdwa s[0:1], v8, v3 src0_sel:BYTE_0 src1_sel:DWORD
	v_mov_b32_e32 v75, v7
	v_mov_b32_e32 v77, v6
	v_cndmask_b32_e64 v7, 0, 1, s[0:1]
	;;#ASMSTART
	;;#ASMEND
	s_nop 0
	v_cmp_ne_u32_e32 vcc, 0, v7
	s_cmp_lg_u64 vcc, exec
	s_cbranch_scc1 .LBB2245_187
; %bb.181:                              ;   in Loop: Header=BB2245_180 Depth=1
	v_lshl_add_u64 v[62:63], v[60:61], 4, s[64:65]
	;;#ASMSTART
	global_load_dwordx4 v[6:9], v[62:63] off sc1	
s_waitcnt vmcnt(0)
	;;#ASMEND
	s_nop 0
	v_and_b32_e32 v9, 0xff0000, v6
	v_and_b32_e32 v80, 0xff000000, v6
	;; [unrolled: 1-line block ×3, first 2 shown]
	v_or_b32_sdwa v6, v6, v9 dst_sel:DWORD dst_unused:UNUSED_PAD src0_sel:WORD_0 src1_sel:DWORD
	v_or3_b32 v7, 0, 0, v7
	v_or3_b32 v6, v6, v80, 0
	v_cmp_eq_u16_sdwa s[60:61], v8, v61 src0_sel:BYTE_0 src1_sel:DWORD
	s_and_saveexec_b64 s[0:1], s[60:61]
	s_cbranch_execz .LBB2245_179
; %bb.182:                              ;   in Loop: Header=BB2245_180 Depth=1
	s_mov_b32 s69, 1
	s_mov_b64 s[60:61], 0
.LBB2245_183:                           ;   Parent Loop BB2245_180 Depth=1
                                        ; =>  This Loop Header: Depth=2
                                        ;       Child Loop BB2245_184 Depth 3
	s_max_u32 s75, s69, 1
.LBB2245_184:                           ;   Parent Loop BB2245_180 Depth=1
                                        ;     Parent Loop BB2245_183 Depth=2
                                        ; =>    This Inner Loop Header: Depth=3
	s_add_i32 s75, s75, -1
	s_cmp_eq_u32 s75, 0
	s_sleep 1
	s_cbranch_scc0 .LBB2245_184
; %bb.185:                              ;   in Loop: Header=BB2245_183 Depth=2
	s_cmp_lt_u32 s69, 32
	s_cselect_b64 s[76:77], -1, 0
	s_cmp_lg_u64 s[76:77], 0
	s_addc_u32 s69, s69, 0
	;;#ASMSTART
	global_load_dwordx4 v[6:9], v[62:63] off sc1	
s_waitcnt vmcnt(0)
	;;#ASMEND
	s_nop 0
	v_cmp_ne_u16_sdwa s[76:77], v8, v61 src0_sel:BYTE_0 src1_sel:DWORD
	s_or_b64 s[60:61], s[76:77], s[60:61]
	s_andn2_b64 exec, exec, s[60:61]
	s_cbranch_execnz .LBB2245_183
; %bb.186:                              ;   in Loop: Header=BB2245_180 Depth=1
	s_or_b64 exec, exec, s[60:61]
	v_and_b32_e32 v7, 0xff, v7
	s_branch .LBB2245_179
.LBB2245_187:                           ;   in Loop: Header=BB2245_180 Depth=1
                                        ; implicit-def: $vgpr7
                                        ; implicit-def: $vgpr6
                                        ; implicit-def: $vgpr8
	s_cbranch_execz .LBB2245_180
; %bb.188:
	s_and_saveexec_b64 s[0:1], s[50:51]
	s_cbranch_execz .LBB2245_190
; %bb.189:
	s_and_b32 s50, s68, 0xff
	s_cmp_eq_u32 s50, 0
	s_cselect_b64 vcc, -1, 0
	s_bitcmp1_b32 s68, 0
	s_mov_b32 s51, 0
	s_cselect_b64 s[58:59], -1, 0
	s_add_i32 s50, s67, 64
	s_lshl_b64 s[50:51], s[50:51], 4
	v_cndmask_b32_e32 v3, 0, v77, vcc
	s_add_u32 s50, s64, s50
	v_add_u32_e32 v2, v3, v2
	v_and_b32_e32 v3, 1, v75
	s_addc_u32 s51, s65, s51
	v_mov_b32_e32 v5, 0
	v_cndmask_b32_e64 v3, v3, 1, s[58:59]
	v_mov_b32_e32 v4, 2
	v_mov_b64_e32 v[6:7], s[50:51]
	;;#ASMSTART
	global_store_dwordx4 v[6:7], v[2:5] off sc1	
s_waitcnt vmcnt(0)
	;;#ASMEND
.LBB2245_190:
	s_or_b64 exec, exec, s[0:1]
	s_and_b64 exec, exec, s[52:53]
	s_cbranch_execz .LBB2245_192
; %bb.191:
	v_mov_b32_e32 v2, 0
	ds_write_b32 v2, v77
	ds_write_b8 v2, v75 offset:4
.LBB2245_192:
	s_or_b64 exec, exec, s[56:57]
	v_mov_b32_e32 v2, 0
	s_waitcnt lgkmcnt(0)
	s_barrier
	ds_read_b32 v3, v2
	v_cmp_eq_u16_sdwa vcc, v65, v2 src0_sel:BYTE_0 src1_sel:DWORD
	s_waitcnt lgkmcnt(0)
	s_nop 0
	v_cndmask_b32_e32 v4, 0, v3, vcc
	v_add_u32_e32 v4, v4, v64
	v_cndmask_b32_e64 v60, v4, v3, s[52:53]
	v_and_b32_e32 v3, 0xff, v13
	v_cmp_eq_u64_e32 vcc, 0, v[2:3]
	s_nop 1
	v_cndmask_b32_e32 v2, 0, v60, vcc
	v_add_u32_e32 v61, v2, v12
	v_cndmask_b32_e64 v2, 0, v61, s[6:7]
	v_add_u32_e32 v62, v2, v14
	v_cndmask_b32_e64 v2, 0, v62, s[8:9]
	v_add_u32_e32 v63, v2, v16
	v_cndmask_b32_e64 v2, 0, v63, s[10:11]
	v_add_u32_e32 v64, v2, v18
	v_cndmask_b32_e64 v2, 0, v64, s[12:13]
	v_add_u32_e32 v65, v2, v20
	v_cndmask_b32_e64 v2, 0, v65, s[14:15]
	v_add_u32_e32 v66, v2, v22
	v_cndmask_b32_e64 v2, 0, v66, s[16:17]
	v_add_u32_e32 v67, v2, v24
	v_cndmask_b32_e64 v2, 0, v67, s[18:19]
	v_add_u32_e32 v68, v2, v26
	v_cndmask_b32_e64 v2, 0, v68, s[20:21]
	v_add_u32_e32 v69, v2, v28
	v_cndmask_b32_e64 v2, 0, v69, s[22:23]
	v_add_u32_e32 v70, v2, v30
	v_cndmask_b32_e64 v2, 0, v70, s[24:25]
	v_add_u32_e32 v71, v2, v32
	v_cndmask_b32_e64 v2, 0, v71, s[26:27]
	v_add_u32_e32 v72, v2, v34
	v_cndmask_b32_e64 v2, 0, v72, s[28:29]
	v_add_u32_e32 v73, v2, v36
	v_cndmask_b32_e64 v2, 0, v73, s[30:31]
	v_add_u32_e32 v74, v2, v38
	v_cndmask_b32_e64 v2, 0, v74, s[34:35]
	v_add_u32_e32 v75, v2, v40
	v_cndmask_b32_e64 v2, 0, v75, s[36:37]
	v_add_u32_e32 v76, v2, v42
	v_cndmask_b32_e64 v2, 0, v76, s[38:39]
	v_add_u32_e32 v77, v2, v44
	v_cndmask_b32_e64 v2, 0, v77, s[40:41]
	v_add_u32_e32 v78, v2, v46
	v_cndmask_b32_e64 v2, 0, v78, s[42:43]
	v_add_u32_e32 v79, v2, v48
	v_cndmask_b32_e64 v2, 0, v79, s[44:45]
	v_add_u32_e32 v80, v2, v50
	v_cndmask_b32_e64 v2, 0, v80, s[46:47]
	v_add_u32_e32 v81, v2, v52
	v_cndmask_b32_e64 v2, 0, v81, s[48:49]
	v_add_u32_e32 v82, v2, v54
	s_branch .LBB2245_213
.LBB2245_193:
                                        ; implicit-def: $vgpr81
                                        ; implicit-def: $vgpr80
                                        ; implicit-def: $vgpr79
                                        ; implicit-def: $vgpr78
                                        ; implicit-def: $vgpr77
                                        ; implicit-def: $vgpr76
                                        ; implicit-def: $vgpr75
                                        ; implicit-def: $vgpr74
                                        ; implicit-def: $vgpr73
                                        ; implicit-def: $vgpr72
                                        ; implicit-def: $vgpr71
                                        ; implicit-def: $vgpr70
                                        ; implicit-def: $vgpr69
                                        ; implicit-def: $vgpr68
                                        ; implicit-def: $vgpr67
                                        ; implicit-def: $vgpr66
                                        ; implicit-def: $vgpr65
                                        ; implicit-def: $vgpr64
                                        ; implicit-def: $vgpr63
                                        ; implicit-def: $vgpr62
                                        ; implicit-def: $vgpr61
                                        ; implicit-def: $vgpr60
                                        ; implicit-def: $vgpr82
	s_cbranch_execz .LBB2245_213
; %bb.194:
	s_cmp_lg_u64 s[72:73], 0
	s_cselect_b32 s7, s71, 0
	s_cselect_b32 s6, s70, 0
	s_mov_b32 s0, 0
	s_cmp_eq_u64 s[6:7], 0
	v_mov_b32_e32 v4, s74
	s_cbranch_scc1 .LBB2245_196
; %bb.195:
	v_mov_b32_e32 v2, 0
	global_load_dword v4, v2, s[6:7]
.LBB2245_196:
	s_mov_b32 s1, 1
	v_cmp_gt_u64_e32 vcc, s[0:1], v[14:15]
	v_cmp_gt_u64_e64 s[6:7], s[0:1], v[16:17]
	v_cmp_gt_u64_e64 s[8:9], s[0:1], v[18:19]
	v_cndmask_b32_e32 v2, 0, v12, vcc
	v_add_u32_e32 v2, v2, v14
	v_cndmask_b32_e64 v2, 0, v2, s[6:7]
	v_add_u32_e32 v2, v2, v16
	v_cndmask_b32_e64 v2, 0, v2, s[8:9]
	v_add_u32_e32 v2, v2, v18
	v_cmp_gt_u64_e64 s[10:11], s[0:1], v[20:21]
	v_cmp_gt_u64_e64 s[12:13], s[0:1], v[22:23]
	v_cmp_gt_u64_e64 s[14:15], s[0:1], v[24:25]
	v_cndmask_b32_e64 v2, 0, v2, s[10:11]
	v_add_u32_e32 v2, v2, v20
	v_cndmask_b32_e64 v2, 0, v2, s[12:13]
	v_add_u32_e32 v2, v2, v22
	v_cndmask_b32_e64 v2, 0, v2, s[14:15]
	v_add_u32_e32 v2, v2, v24
	v_cmp_gt_u64_e64 s[16:17], s[0:1], v[26:27]
	v_cmp_gt_u64_e64 s[18:19], s[0:1], v[28:29]
	v_cmp_gt_u64_e64 s[20:21], s[0:1], v[30:31]
	v_cndmask_b32_e64 v2, 0, v2, s[16:17]
	;; [unrolled: 9-line block ×6, first 2 shown]
	v_add_u32_e32 v2, v2, v50
	v_cndmask_b32_e64 v2, 0, v2, s[44:45]
	v_add_u32_e32 v2, v2, v52
	v_cndmask_b32_e64 v2, 0, v2, s[46:47]
	v_add_u32_e32 v2, v2, v54
	v_cmp_gt_u64_e64 s[0:1], s[0:1], v[58:59]
	v_add_lshl_u32 v1, v1, v0, 3
	s_nop 0
	v_cndmask_b32_e64 v2, 0, v2, s[0:1]
	v_add_u32_e32 v5, v2, v58
	v_or3_b32 v2, v57, v53, v51
	v_or3_b32 v2, v2, v49, v47
	;; [unrolled: 1-line block ×10, first 2 shown]
	v_and_b32_e32 v2, 1, v2
	v_cmp_eq_u32_e64 s[0:1], 1, v2
	s_nop 1
	v_cndmask_b32_e64 v6, v13, 1, s[0:1]
	v_cmp_gt_u32_e64 s[0:1], 64, v0
	ds_write_b32 v1, v5
	ds_write_b8 v1, v6 offset:4
	s_waitcnt lgkmcnt(0)
	s_barrier
	s_and_saveexec_b64 s[48:49], s[0:1]
	s_cbranch_execz .LBB2245_208
; %bb.197:
	v_lshrrev_b32_e32 v1, 3, v0
	v_add_lshl_u32 v1, v1, v56, 3
	ds_read2_b32 v[8:9], v1 offset0:2 offset1:4
	ds_read_b64 v[2:3], v1
	ds_read_u8 v15, v1 offset:12
	ds_read_u8 v17, v1 offset:20
	ds_read_b32 v19, v1 offset:24
	ds_read_u8 v21, v1 offset:28
	v_mov_b32_e32 v23, 0
	s_waitcnt lgkmcnt(3)
	v_cmp_eq_u16_sdwa s[0:1], v15, v23 src0_sel:BYTE_0 src1_sel:DWORD
	v_and_b32_e32 v7, 1, v3
	s_nop 0
	v_cndmask_b32_e64 v25, 0, v2, s[0:1]
	v_add_u32_e32 v8, v25, v8
	s_waitcnt lgkmcnt(2)
	v_cmp_eq_u16_sdwa s[0:1], v17, v23 src0_sel:BYTE_0 src1_sel:DWORD
	s_nop 1
	v_cndmask_b32_e64 v8, 0, v8, s[0:1]
	v_add_u32_e32 v8, v8, v9
	s_waitcnt lgkmcnt(0)
	v_cmp_eq_u16_e64 s[0:1], 0, v21
	s_nop 1
	v_cndmask_b32_e64 v8, 0, v8, s[0:1]
	v_add_u32_e32 v9, v8, v19
	v_or_b32_e32 v8, v21, v17
	v_or_b32_e32 v8, v8, v15
	v_and_b32_e32 v8, 1, v8
	v_cmp_eq_u32_e64 s[0:1], 1, v8
	v_mbcnt_lo_u32_b32 v15, -1, 0
	v_and_b32_e32 v8, 0xffffff00, v3
	v_cndmask_b32_e64 v17, v7, 1, s[0:1]
	v_mbcnt_hi_u32_b32 v15, -1, v15
	v_and_b32_e32 v21, 15, v15
	v_or_b32_sdwa v19, v8, v17 dst_sel:DWORD dst_unused:UNUSED_PAD src0_sel:DWORD src1_sel:WORD_0
	v_mov_b32_dpp v23, v9 row_shr:1 row_mask:0xf bank_mask:0xf
	v_cmp_ne_u32_e64 s[0:1], 0, v21
	v_mov_b32_dpp v25, v19 row_shr:1 row_mask:0xf bank_mask:0xf
	s_and_saveexec_b64 s[50:51], s[0:1]
; %bb.198:
	v_and_b32_e32 v19, 1, v17
	v_and_b32_e32 v25, 1, v25
	v_cmp_eq_u32_e64 s[0:1], 1, v19
	s_nop 1
	v_cndmask_b32_e64 v25, v25, 1, s[0:1]
	v_cmp_eq_u16_e64 s[0:1], 0, v17
	v_or_b32_sdwa v19, v8, v25 dst_sel:DWORD dst_unused:UNUSED_PAD src0_sel:DWORD src1_sel:WORD_0
	s_nop 0
	v_cndmask_b32_e64 v17, 0, v23, s[0:1]
	v_add_u32_e32 v9, v17, v9
	v_mov_b32_e32 v17, v25
; %bb.199:
	s_or_b64 exec, exec, s[50:51]
	v_mov_b32_dpp v23, v9 row_shr:2 row_mask:0xf bank_mask:0xf
	v_mov_b32_dpp v25, v19 row_shr:2 row_mask:0xf bank_mask:0xf
	v_cmp_lt_u32_e64 s[0:1], 1, v21
	s_and_saveexec_b64 s[50:51], s[0:1]
; %bb.200:
	v_and_b32_e32 v19, 1, v17
	v_and_b32_e32 v25, 1, v25
	v_cmp_eq_u32_e64 s[0:1], 1, v19
	s_nop 1
	v_cndmask_b32_e64 v25, v25, 1, s[0:1]
	v_cmp_eq_u16_e64 s[0:1], 0, v17
	v_or_b32_sdwa v19, v8, v25 dst_sel:DWORD dst_unused:UNUSED_PAD src0_sel:DWORD src1_sel:WORD_0
	s_nop 0
	v_cndmask_b32_e64 v17, 0, v23, s[0:1]
	v_add_u32_e32 v9, v17, v9
	v_mov_b32_e32 v17, v25
; %bb.201:
	s_or_b64 exec, exec, s[50:51]
	v_mov_b32_dpp v23, v9 row_shr:4 row_mask:0xf bank_mask:0xf
	v_mov_b32_dpp v25, v19 row_shr:4 row_mask:0xf bank_mask:0xf
	v_cmp_lt_u32_e64 s[0:1], 3, v21
	;; [unrolled: 18-line block ×3, first 2 shown]
	s_and_saveexec_b64 s[50:51], s[0:1]
; %bb.204:
	v_and_b32_e32 v19, 1, v17
	v_and_b32_e32 v21, 1, v25
	v_cmp_eq_u32_e64 s[0:1], 1, v19
	s_nop 1
	v_cndmask_b32_e64 v21, v21, 1, s[0:1]
	v_cmp_eq_u16_e64 s[0:1], 0, v17
	v_or_b32_sdwa v19, v8, v21 dst_sel:DWORD dst_unused:UNUSED_PAD src0_sel:DWORD src1_sel:WORD_0
	s_nop 0
	v_cndmask_b32_e64 v17, 0, v23, s[0:1]
	v_add_u32_e32 v9, v17, v9
	v_mov_b32_e32 v17, v21
; %bb.205:
	s_or_b64 exec, exec, s[50:51]
	v_and_b32_e32 v25, 16, v15
	v_mov_b32_dpp v21, v9 row_bcast:15 row_mask:0xf bank_mask:0xf
	v_mov_b32_dpp v23, v19 row_bcast:15 row_mask:0xf bank_mask:0xf
	v_cmp_ne_u32_e64 s[0:1], 0, v25
	s_and_saveexec_b64 s[50:51], s[0:1]
; %bb.206:
	v_and_b32_e32 v19, 1, v17
	v_and_b32_e32 v23, 1, v23
	v_cmp_eq_u32_e64 s[0:1], 1, v19
	s_nop 1
	v_cndmask_b32_e64 v23, v23, 1, s[0:1]
	v_cmp_eq_u16_e64 s[0:1], 0, v17
	v_or_b32_sdwa v19, v8, v23 dst_sel:DWORD dst_unused:UNUSED_PAD src0_sel:DWORD src1_sel:WORD_0
	s_nop 0
	v_cndmask_b32_e64 v17, 0, v21, s[0:1]
	v_add_u32_e32 v9, v17, v9
	v_mov_b32_e32 v17, v23
; %bb.207:
	s_or_b64 exec, exec, s[50:51]
	v_mov_b32_dpp v19, v19 row_bcast:31 row_mask:0xf bank_mask:0xf
	v_and_b32_e32 v23, 1, v17
	v_and_b32_e32 v19, 1, v19
	v_cmp_eq_u32_e64 s[0:1], 1, v23
	v_mov_b32_e32 v23, 0
	v_cmp_eq_u16_sdwa s[50:51], v17, v23 src0_sel:BYTE_0 src1_sel:DWORD
	v_cndmask_b32_e64 v19, v19, 1, s[0:1]
	v_cmp_lt_u32_e64 s[0:1], 31, v15
	v_mov_b32_dpp v21, v9 row_bcast:31 row_mask:0xf bank_mask:0xf
	s_movk_i32 s56, 0xff
	v_cndmask_b32_e64 v17, v17, v19, s[0:1]
	s_and_b64 s[0:1], s[0:1], s[50:51]
	v_cndmask_b32_e64 v19, 0, v21, s[0:1]
	v_add_u32_e32 v9, v19, v9
	v_add_u32_e32 v19, -1, v15
	v_and_b32_e32 v21, 64, v15
	v_cmp_lt_i32_e64 s[0:1], v19, v21
	v_and_or_b32 v8, v17, s56, v8
	s_nop 0
	v_cndmask_b32_e64 v15, v19, v15, s[0:1]
	v_lshlrev_b32_e32 v15, 2, v15
	ds_bpermute_b32 v9, v15, v9
	ds_bpermute_b32 v8, v15, v8
	v_cmp_eq_u16_sdwa s[0:1], v3, v23 src0_sel:BYTE_0 src1_sel:DWORD
	; wave barrier
	s_waitcnt lgkmcnt(1)
	s_nop 0
	v_cndmask_b32_e64 v3, 0, v9, s[0:1]
	v_add_u32_e32 v2, v3, v2
	s_waitcnt lgkmcnt(0)
	v_and_b32_e32 v3, 1, v8
	v_cmp_eq_u32_e64 s[0:1], 1, v7
	v_cndmask_b32_e64 v5, v2, v5, s[52:53]
	s_nop 0
	v_cndmask_b32_e64 v3, v3, 1, s[0:1]
	v_cndmask_b32_e64 v6, v3, v6, s[52:53]
	ds_write_b32 v1, v5
	ds_write_b8 v1, v6 offset:4
	; wave barrier
	ds_read_u8 v7, v1 offset:12
	ds_read2_b32 v[2:3], v1 offset0:2 offset1:4
	ds_read_u8 v8, v1 offset:20
	ds_read_b32 v9, v1 offset:24
	ds_read_u8 v15, v1 offset:28
	s_waitcnt lgkmcnt(4)
	v_cmp_eq_u16_e64 s[0:1], 0, v7
	s_nop 1
	v_cndmask_b32_e64 v5, 0, v5, s[0:1]
	s_waitcnt lgkmcnt(3)
	v_add_u32_e32 v2, v5, v2
	v_and_b32_e32 v5, 1, v7
	v_cmp_eq_u32_e64 s[0:1], 1, v5
	s_nop 1
	v_cndmask_b32_e64 v5, v6, 1, s[0:1]
	s_waitcnt lgkmcnt(2)
	v_cmp_eq_u16_e64 s[0:1], 0, v8
	ds_write_b8 v1, v5 offset:12
	s_nop 0
	v_cndmask_b32_e64 v6, 0, v2, s[0:1]
	v_add_u32_e32 v3, v6, v3
	v_and_b32_e32 v6, 1, v8
	v_cmp_eq_u32_e64 s[0:1], 1, v6
	s_nop 1
	v_cndmask_b32_e64 v5, v5, 1, s[0:1]
	s_waitcnt lgkmcnt(1)
	v_cmp_eq_u16_e64 s[0:1], 0, v15
	ds_write2_b32 v1, v2, v3 offset0:2 offset1:4
	ds_write_b8 v1, v5 offset:20
	v_cndmask_b32_e64 v2, 0, v3, s[0:1]
	v_and_b32_e32 v3, 1, v15
	v_add_u32_e32 v2, v2, v9
	v_cmp_eq_u32_e64 s[0:1], 1, v3
	s_nop 1
	v_cndmask_b32_e64 v3, v5, 1, s[0:1]
	ds_write_b32 v1, v2 offset:24
	ds_write_b8 v1, v3 offset:28
.LBB2245_208:
	s_or_b64 exec, exec, s[48:49]
	s_waitcnt vmcnt(0)
	v_mov_b32_e32 v60, v4
	s_waitcnt lgkmcnt(0)
	s_barrier
	s_and_saveexec_b64 s[48:49], s[4:5]
	s_cbranch_execz .LBB2245_210
; %bb.209:
	v_add_u32_e32 v1, -1, v0
	v_lshrrev_b32_e32 v2, 5, v1
	v_add_lshl_u32 v1, v2, v1, 3
	ds_read_u8 v2, v1 offset:4
	ds_read_b32 v1, v1
	s_waitcnt lgkmcnt(1)
	v_cmp_eq_u16_e64 s[0:1], 0, v2
	s_nop 1
	v_cndmask_b32_e64 v2, 0, v4, s[0:1]
	s_waitcnt lgkmcnt(0)
	v_add_u32_e32 v60, v2, v1
.LBB2245_210:
	s_or_b64 exec, exec, s[48:49]
	v_and_b32_e32 v3, 0xff, v13
	v_mov_b32_e32 v2, 0
	v_cmp_eq_u64_e64 s[0:1], 0, v[2:3]
	s_nop 1
	v_cndmask_b32_e64 v1, 0, v60, s[0:1]
	v_add_u32_e32 v61, v1, v12
	v_cndmask_b32_e32 v1, 0, v61, vcc
	v_add_u32_e32 v62, v1, v14
	v_cndmask_b32_e64 v1, 0, v62, s[6:7]
	v_add_u32_e32 v63, v1, v16
	v_cndmask_b32_e64 v1, 0, v63, s[8:9]
	;; [unrolled: 2-line block ×20, first 2 shown]
	s_and_saveexec_b64 s[0:1], s[52:53]
	s_cbranch_execz .LBB2245_212
; %bb.211:
	ds_read_u8 v3, v2 offset:2100
	ds_read_b32 v5, v2 offset:2096
	s_add_u32 s4, s64, 0x400
	s_addc_u32 s5, s65, 0
	v_mov_b32_e32 v6, 2
	s_waitcnt lgkmcnt(1)
	v_cmp_eq_u16_e32 vcc, 0, v3
	v_mov_b32_e32 v7, v2
	s_nop 0
	v_cndmask_b32_e32 v4, 0, v4, vcc
	s_waitcnt lgkmcnt(0)
	v_add_u32_e32 v4, v4, v5
	v_and_b32_e32 v5, 0xffff, v3
	v_mov_b64_e32 v[2:3], s[4:5]
	;;#ASMSTART
	global_store_dwordx4 v[2:3], v[4:7] off sc1	
s_waitcnt vmcnt(0)
	;;#ASMEND
.LBB2245_212:
	s_or_b64 exec, exec, s[0:1]
	v_add_u32_e32 v82, v1, v54
.LBB2245_213:
	s_add_u32 s0, s62, s54
	s_addc_u32 s1, s63, s55
	v_lshl_add_u64 v[2:3], s[0:1], 0, v[10:11]
	s_and_b64 vcc, exec, s[2:3]
	s_cbranch_vccz .LBB2245_259
; %bb.214:
	s_movk_i32 s0, 0x5c
	v_mul_i32_i24_e32 v28, 0xffffffa8, v0
	v_mul_u32_u24_e32 v1, 0x5c, v0
	v_mad_u32_u24 v4, v0, s0, v28
	s_barrier
	ds_write2_b32 v1, v60, v61 offset1:1
	ds_write2_b32 v1, v62, v63 offset0:2 offset1:3
	ds_write2_b32 v1, v64, v65 offset0:4 offset1:5
	;; [unrolled: 1-line block ×10, first 2 shown]
	ds_write_b32 v1, v82 offset:88
	s_waitcnt lgkmcnt(0)
	s_barrier
	ds_read2st64_b32 v[26:27], v4 offset0:4 offset1:8
	ds_read2st64_b32 v[24:25], v4 offset0:12 offset1:16
	;; [unrolled: 1-line block ×11, first 2 shown]
	s_add_i32 s33, s33, s66
	v_mov_b32_e32 v57, 0
	v_lshl_add_u64 v[6:7], v[2:3], 0, v[56:57]
	v_cmp_gt_u32_e32 vcc, s33, v0
	s_and_saveexec_b64 s[0:1], vcc
	s_cbranch_execz .LBB2245_216
; %bb.215:
	v_add_u32_e32 v1, v1, v28
	ds_read_b32 v1, v1
	s_waitcnt lgkmcnt(0)
	flat_store_dword v[6:7], v1
.LBB2245_216:
	s_or_b64 exec, exec, s[0:1]
	v_or_b32_e32 v1, 0x100, v0
	v_cmp_gt_u32_e32 vcc, s33, v1
	s_and_saveexec_b64 s[0:1], vcc
	s_cbranch_execz .LBB2245_218
; %bb.217:
	s_waitcnt lgkmcnt(0)
	flat_store_dword v[6:7], v26 offset:1024
.LBB2245_218:
	s_or_b64 exec, exec, s[0:1]
	v_or_b32_e32 v1, 0x200, v0
	v_cmp_gt_u32_e32 vcc, s33, v1
	s_and_saveexec_b64 s[0:1], vcc
	s_cbranch_execz .LBB2245_220
; %bb.219:
	s_waitcnt lgkmcnt(0)
	flat_store_dword v[6:7], v27 offset:2048
.LBB2245_220:
	;; [unrolled: 9-line block ×3, first 2 shown]
	s_or_b64 exec, exec, s[0:1]
	v_or_b32_e32 v1, 0x400, v0
	v_cmp_gt_u32_e32 vcc, s33, v1
	s_and_saveexec_b64 s[0:1], vcc
	s_cbranch_execz .LBB2245_224
; %bb.223:
	s_waitcnt lgkmcnt(0)
	v_add_co_u32_e32 v26, vcc, 0x1000, v6
	s_nop 1
	v_addc_co_u32_e32 v27, vcc, 0, v7, vcc
	flat_store_dword v[26:27], v25
.LBB2245_224:
	s_or_b64 exec, exec, s[0:1]
	v_or_b32_e32 v1, 0x500, v0
	v_cmp_gt_u32_e32 vcc, s33, v1
	s_and_saveexec_b64 s[0:1], vcc
	s_cbranch_execz .LBB2245_226
; %bb.225:
	s_waitcnt lgkmcnt(0)
	v_add_co_u32_e32 v24, vcc, 0x1000, v6
	s_nop 1
	v_addc_co_u32_e32 v25, vcc, 0, v7, vcc
	flat_store_dword v[24:25], v22 offset:1024
.LBB2245_226:
	s_or_b64 exec, exec, s[0:1]
	v_or_b32_e32 v1, 0x600, v0
	v_cmp_gt_u32_e32 vcc, s33, v1
	s_and_saveexec_b64 s[0:1], vcc
	s_cbranch_execz .LBB2245_228
; %bb.227:
	s_waitcnt lgkmcnt(0)
	v_add_co_u32_e32 v24, vcc, 0x1000, v6
	s_nop 1
	v_addc_co_u32_e32 v25, vcc, 0, v7, vcc
	flat_store_dword v[24:25], v23 offset:2048
.LBB2245_228:
	s_or_b64 exec, exec, s[0:1]
	v_or_b32_e32 v1, 0x700, v0
	v_cmp_gt_u32_e32 vcc, s33, v1
	s_and_saveexec_b64 s[0:1], vcc
	s_cbranch_execz .LBB2245_230
; %bb.229:
	s_waitcnt lgkmcnt(0)
	v_add_co_u32_e32 v22, vcc, 0x1000, v6
	s_nop 1
	v_addc_co_u32_e32 v23, vcc, 0, v7, vcc
	flat_store_dword v[22:23], v20 offset:3072
.LBB2245_230:
	s_or_b64 exec, exec, s[0:1]
	v_or_b32_e32 v1, 0x800, v0
	v_cmp_gt_u32_e32 vcc, s33, v1
	s_and_saveexec_b64 s[0:1], vcc
	s_cbranch_execz .LBB2245_232
; %bb.231:
	s_waitcnt lgkmcnt(0)
	v_add_co_u32_e32 v22, vcc, 0x2000, v6
	s_nop 1
	v_addc_co_u32_e32 v23, vcc, 0, v7, vcc
	flat_store_dword v[22:23], v21
.LBB2245_232:
	s_or_b64 exec, exec, s[0:1]
	v_or_b32_e32 v1, 0x900, v0
	v_cmp_gt_u32_e32 vcc, s33, v1
	s_and_saveexec_b64 s[0:1], vcc
	s_cbranch_execz .LBB2245_234
; %bb.233:
	s_waitcnt lgkmcnt(0)
	v_add_co_u32_e32 v20, vcc, 0x2000, v6
	s_nop 1
	v_addc_co_u32_e32 v21, vcc, 0, v7, vcc
	flat_store_dword v[20:21], v18 offset:1024
.LBB2245_234:
	s_or_b64 exec, exec, s[0:1]
	v_or_b32_e32 v1, 0xa00, v0
	v_cmp_gt_u32_e32 vcc, s33, v1
	s_and_saveexec_b64 s[0:1], vcc
	s_cbranch_execz .LBB2245_236
; %bb.235:
	s_waitcnt lgkmcnt(0)
	v_add_co_u32_e32 v20, vcc, 0x2000, v6
	s_nop 1
	v_addc_co_u32_e32 v21, vcc, 0, v7, vcc
	flat_store_dword v[20:21], v19 offset:2048
.LBB2245_236:
	s_or_b64 exec, exec, s[0:1]
	v_or_b32_e32 v1, 0xb00, v0
	v_cmp_gt_u32_e32 vcc, s33, v1
	s_and_saveexec_b64 s[0:1], vcc
	s_cbranch_execz .LBB2245_238
; %bb.237:
	s_waitcnt lgkmcnt(0)
	v_add_co_u32_e32 v18, vcc, 0x2000, v6
	s_nop 1
	v_addc_co_u32_e32 v19, vcc, 0, v7, vcc
	flat_store_dword v[18:19], v16 offset:3072
.LBB2245_238:
	;; [unrolled: 48-line block ×4, first 2 shown]
	s_or_b64 exec, exec, s[0:1]
	v_or_b32_e32 v1, 0x1400, v0
	v_cmp_gt_u32_e32 vcc, s33, v1
	s_and_saveexec_b64 s[0:1], vcc
	s_cbranch_execz .LBB2245_256
; %bb.255:
	s_waitcnt lgkmcnt(0)
	v_add_co_u32_e32 v10, vcc, 0x5000, v6
	s_nop 1
	v_addc_co_u32_e32 v11, vcc, 0, v7, vcc
	flat_store_dword v[10:11], v9
.LBB2245_256:
	s_or_b64 exec, exec, s[0:1]
	v_or_b32_e32 v1, 0x1500, v0
	v_cmp_gt_u32_e32 vcc, s33, v1
	s_and_saveexec_b64 s[0:1], vcc
	s_cbranch_execz .LBB2245_258
; %bb.257:
	v_add_co_u32_e32 v6, vcc, 0x5000, v6
	s_nop 1
	v_addc_co_u32_e32 v7, vcc, 0, v7, vcc
	s_waitcnt lgkmcnt(0)
	flat_store_dword v[6:7], v4 offset:1024
.LBB2245_258:
	s_or_b64 exec, exec, s[0:1]
	s_waitcnt lgkmcnt(0)
	v_or_b32_e32 v4, 0x1600, v0
	v_mov_b32_e32 v1, v57
	v_cmp_gt_u32_e64 s[0:1], s33, v4
	s_branch .LBB2245_261
.LBB2245_259:
	s_mov_b64 s[0:1], 0
                                        ; implicit-def: $vgpr5
	s_cbranch_execz .LBB2245_261
; %bb.260:
	v_mul_u32_u24_e32 v1, 0x5c, v0
	s_barrier
	s_movk_i32 s2, 0x5c
	ds_write2_b32 v1, v60, v61 offset1:1
	ds_write2_b32 v1, v62, v63 offset0:2 offset1:3
	ds_write2_b32 v1, v64, v65 offset0:4 offset1:5
	;; [unrolled: 1-line block ×10, first 2 shown]
	ds_write_b32 v1, v82 offset:88
	v_mov_b32_e32 v1, 0
	v_mul_i32_i24_e32 v4, 0xffffffa8, v0
	v_mad_u32_u24 v4, v0, s2, v4
	v_mov_b32_e32 v57, v1
	s_waitcnt lgkmcnt(0)
	s_barrier
	ds_read2st64_b32 v[6:7], v4 offset1:4
	ds_read2st64_b32 v[8:9], v4 offset0:8 offset1:12
	ds_read2st64_b32 v[10:11], v4 offset0:16 offset1:20
	ds_read2st64_b32 v[12:13], v4 offset0:24 offset1:28
	ds_read2st64_b32 v[14:15], v4 offset0:32 offset1:36
	ds_read2st64_b32 v[16:17], v4 offset0:40 offset1:44
	ds_read2st64_b32 v[18:19], v4 offset0:48 offset1:52
	ds_read2st64_b32 v[20:21], v4 offset0:56 offset1:60
	ds_read2st64_b32 v[22:23], v4 offset0:64 offset1:68
	ds_read2st64_b32 v[24:25], v4 offset0:72 offset1:76
	ds_read2st64_b32 v[26:27], v4 offset0:80 offset1:84
	ds_read_b32 v5, v4 offset:22528
	v_lshl_add_u64 v[28:29], v[2:3], 0, v[56:57]
	s_movk_i32 s2, 0x1000
	s_waitcnt lgkmcnt(0)
	flat_store_dword v[28:29], v6
	flat_store_dword v[28:29], v7 offset:1024
	flat_store_dword v[28:29], v8 offset:2048
	;; [unrolled: 1-line block ×3, first 2 shown]
	v_add_co_u32_e32 v6, vcc, s2, v28
	s_movk_i32 s2, 0x2000
	s_nop 0
	v_addc_co_u32_e32 v7, vcc, 0, v29, vcc
	flat_store_dword v[6:7], v10
	flat_store_dword v[6:7], v11 offset:1024
	flat_store_dword v[6:7], v12 offset:2048
	;; [unrolled: 1-line block ×3, first 2 shown]
	v_add_co_u32_e32 v6, vcc, s2, v28
	s_movk_i32 s2, 0x3000
	s_nop 0
	v_addc_co_u32_e32 v7, vcc, 0, v29, vcc
	flat_store_dword v[6:7], v14
	flat_store_dword v[6:7], v15 offset:1024
	flat_store_dword v[6:7], v16 offset:2048
	;; [unrolled: 1-line block ×3, first 2 shown]
	v_add_co_u32_e32 v6, vcc, s2, v28
	s_or_b64 s[0:1], s[0:1], exec
	s_nop 0
	v_addc_co_u32_e32 v7, vcc, 0, v29, vcc
	flat_store_dword v[6:7], v18
	flat_store_dword v[6:7], v19 offset:1024
	flat_store_dword v[6:7], v20 offset:2048
	;; [unrolled: 1-line block ×3, first 2 shown]
	v_add_co_u32_e32 v6, vcc, 0x4000, v28
	s_nop 1
	v_addc_co_u32_e32 v7, vcc, 0, v29, vcc
	flat_store_dword v[6:7], v22
	flat_store_dword v[6:7], v23 offset:1024
	flat_store_dword v[6:7], v24 offset:2048
	;; [unrolled: 1-line block ×3, first 2 shown]
	v_add_co_u32_e32 v6, vcc, 0x5000, v28
	s_nop 1
	v_addc_co_u32_e32 v7, vcc, 0, v29, vcc
	flat_store_dword v[6:7], v26
	flat_store_dword v[6:7], v27 offset:1024
.LBB2245_261:
	s_and_saveexec_b64 s[2:3], s[0:1]
	s_cbranch_execz .LBB2245_263
; %bb.262:
	v_lshl_add_u64 v[0:1], v[0:1], 2, v[2:3]
	v_add_co_u32_e32 v0, vcc, 0x5000, v0
	s_nop 1
	v_addc_co_u32_e32 v1, vcc, 0, v1, vcc
	flat_store_dword v[0:1], v5 offset:2048
	s_endpgm
.LBB2245_263:
	s_endpgm
	.section	.rodata,"a",@progbits
	.p2align	6, 0x0
	.amdhsa_kernel _ZN7rocprim17ROCPRIM_400000_NS6detail17trampoline_kernelINS0_14default_configENS1_27scan_by_key_config_selectorIiiEEZZNS1_16scan_by_key_implILNS1_25lookback_scan_determinismE0ELb1ES3_N6thrust23THRUST_200600_302600_NS10device_ptrIiEESB_SB_iNS9_4plusIvEENS9_8equal_toIvEEiEE10hipError_tPvRmT2_T3_T4_T5_mT6_T7_P12ihipStream_tbENKUlT_T0_E_clISt17integral_constantIbLb1EESW_EEDaSR_SS_EUlSR_E_NS1_11comp_targetILNS1_3genE5ELNS1_11target_archE942ELNS1_3gpuE9ELNS1_3repE0EEENS1_30default_config_static_selectorELNS0_4arch9wavefront6targetE1EEEvT1_
		.amdhsa_group_segment_fixed_size 25600
		.amdhsa_private_segment_fixed_size 0
		.amdhsa_kernarg_size 112
		.amdhsa_user_sgpr_count 2
		.amdhsa_user_sgpr_dispatch_ptr 0
		.amdhsa_user_sgpr_queue_ptr 0
		.amdhsa_user_sgpr_kernarg_segment_ptr 1
		.amdhsa_user_sgpr_dispatch_id 0
		.amdhsa_user_sgpr_kernarg_preload_length 0
		.amdhsa_user_sgpr_kernarg_preload_offset 0
		.amdhsa_user_sgpr_private_segment_size 0
		.amdhsa_uses_dynamic_stack 0
		.amdhsa_enable_private_segment 0
		.amdhsa_system_sgpr_workgroup_id_x 1
		.amdhsa_system_sgpr_workgroup_id_y 0
		.amdhsa_system_sgpr_workgroup_id_z 0
		.amdhsa_system_sgpr_workgroup_info 0
		.amdhsa_system_vgpr_workitem_id 0
		.amdhsa_next_free_vgpr 83
		.amdhsa_next_free_sgpr 80
		.amdhsa_accum_offset 84
		.amdhsa_reserve_vcc 1
		.amdhsa_float_round_mode_32 0
		.amdhsa_float_round_mode_16_64 0
		.amdhsa_float_denorm_mode_32 3
		.amdhsa_float_denorm_mode_16_64 3
		.amdhsa_dx10_clamp 1
		.amdhsa_ieee_mode 1
		.amdhsa_fp16_overflow 0
		.amdhsa_tg_split 0
		.amdhsa_exception_fp_ieee_invalid_op 0
		.amdhsa_exception_fp_denorm_src 0
		.amdhsa_exception_fp_ieee_div_zero 0
		.amdhsa_exception_fp_ieee_overflow 0
		.amdhsa_exception_fp_ieee_underflow 0
		.amdhsa_exception_fp_ieee_inexact 0
		.amdhsa_exception_int_div_zero 0
	.end_amdhsa_kernel
	.section	.text._ZN7rocprim17ROCPRIM_400000_NS6detail17trampoline_kernelINS0_14default_configENS1_27scan_by_key_config_selectorIiiEEZZNS1_16scan_by_key_implILNS1_25lookback_scan_determinismE0ELb1ES3_N6thrust23THRUST_200600_302600_NS10device_ptrIiEESB_SB_iNS9_4plusIvEENS9_8equal_toIvEEiEE10hipError_tPvRmT2_T3_T4_T5_mT6_T7_P12ihipStream_tbENKUlT_T0_E_clISt17integral_constantIbLb1EESW_EEDaSR_SS_EUlSR_E_NS1_11comp_targetILNS1_3genE5ELNS1_11target_archE942ELNS1_3gpuE9ELNS1_3repE0EEENS1_30default_config_static_selectorELNS0_4arch9wavefront6targetE1EEEvT1_,"axG",@progbits,_ZN7rocprim17ROCPRIM_400000_NS6detail17trampoline_kernelINS0_14default_configENS1_27scan_by_key_config_selectorIiiEEZZNS1_16scan_by_key_implILNS1_25lookback_scan_determinismE0ELb1ES3_N6thrust23THRUST_200600_302600_NS10device_ptrIiEESB_SB_iNS9_4plusIvEENS9_8equal_toIvEEiEE10hipError_tPvRmT2_T3_T4_T5_mT6_T7_P12ihipStream_tbENKUlT_T0_E_clISt17integral_constantIbLb1EESW_EEDaSR_SS_EUlSR_E_NS1_11comp_targetILNS1_3genE5ELNS1_11target_archE942ELNS1_3gpuE9ELNS1_3repE0EEENS1_30default_config_static_selectorELNS0_4arch9wavefront6targetE1EEEvT1_,comdat
.Lfunc_end2245:
	.size	_ZN7rocprim17ROCPRIM_400000_NS6detail17trampoline_kernelINS0_14default_configENS1_27scan_by_key_config_selectorIiiEEZZNS1_16scan_by_key_implILNS1_25lookback_scan_determinismE0ELb1ES3_N6thrust23THRUST_200600_302600_NS10device_ptrIiEESB_SB_iNS9_4plusIvEENS9_8equal_toIvEEiEE10hipError_tPvRmT2_T3_T4_T5_mT6_T7_P12ihipStream_tbENKUlT_T0_E_clISt17integral_constantIbLb1EESW_EEDaSR_SS_EUlSR_E_NS1_11comp_targetILNS1_3genE5ELNS1_11target_archE942ELNS1_3gpuE9ELNS1_3repE0EEENS1_30default_config_static_selectorELNS0_4arch9wavefront6targetE1EEEvT1_, .Lfunc_end2245-_ZN7rocprim17ROCPRIM_400000_NS6detail17trampoline_kernelINS0_14default_configENS1_27scan_by_key_config_selectorIiiEEZZNS1_16scan_by_key_implILNS1_25lookback_scan_determinismE0ELb1ES3_N6thrust23THRUST_200600_302600_NS10device_ptrIiEESB_SB_iNS9_4plusIvEENS9_8equal_toIvEEiEE10hipError_tPvRmT2_T3_T4_T5_mT6_T7_P12ihipStream_tbENKUlT_T0_E_clISt17integral_constantIbLb1EESW_EEDaSR_SS_EUlSR_E_NS1_11comp_targetILNS1_3genE5ELNS1_11target_archE942ELNS1_3gpuE9ELNS1_3repE0EEENS1_30default_config_static_selectorELNS0_4arch9wavefront6targetE1EEEvT1_
                                        ; -- End function
	.section	.AMDGPU.csdata,"",@progbits
; Kernel info:
; codeLenInByte = 15924
; NumSgprs: 86
; NumVgprs: 83
; NumAgprs: 0
; TotalNumVgprs: 83
; ScratchSize: 0
; MemoryBound: 0
; FloatMode: 240
; IeeeMode: 1
; LDSByteSize: 25600 bytes/workgroup (compile time only)
; SGPRBlocks: 10
; VGPRBlocks: 10
; NumSGPRsForWavesPerEU: 86
; NumVGPRsForWavesPerEU: 83
; AccumOffset: 84
; Occupancy: 2
; WaveLimiterHint : 1
; COMPUTE_PGM_RSRC2:SCRATCH_EN: 0
; COMPUTE_PGM_RSRC2:USER_SGPR: 2
; COMPUTE_PGM_RSRC2:TRAP_HANDLER: 0
; COMPUTE_PGM_RSRC2:TGID_X_EN: 1
; COMPUTE_PGM_RSRC2:TGID_Y_EN: 0
; COMPUTE_PGM_RSRC2:TGID_Z_EN: 0
; COMPUTE_PGM_RSRC2:TIDIG_COMP_CNT: 0
; COMPUTE_PGM_RSRC3_GFX90A:ACCUM_OFFSET: 20
; COMPUTE_PGM_RSRC3_GFX90A:TG_SPLIT: 0
	.section	.text._ZN7rocprim17ROCPRIM_400000_NS6detail17trampoline_kernelINS0_14default_configENS1_27scan_by_key_config_selectorIiiEEZZNS1_16scan_by_key_implILNS1_25lookback_scan_determinismE0ELb1ES3_N6thrust23THRUST_200600_302600_NS10device_ptrIiEESB_SB_iNS9_4plusIvEENS9_8equal_toIvEEiEE10hipError_tPvRmT2_T3_T4_T5_mT6_T7_P12ihipStream_tbENKUlT_T0_E_clISt17integral_constantIbLb1EESW_EEDaSR_SS_EUlSR_E_NS1_11comp_targetILNS1_3genE4ELNS1_11target_archE910ELNS1_3gpuE8ELNS1_3repE0EEENS1_30default_config_static_selectorELNS0_4arch9wavefront6targetE1EEEvT1_,"axG",@progbits,_ZN7rocprim17ROCPRIM_400000_NS6detail17trampoline_kernelINS0_14default_configENS1_27scan_by_key_config_selectorIiiEEZZNS1_16scan_by_key_implILNS1_25lookback_scan_determinismE0ELb1ES3_N6thrust23THRUST_200600_302600_NS10device_ptrIiEESB_SB_iNS9_4plusIvEENS9_8equal_toIvEEiEE10hipError_tPvRmT2_T3_T4_T5_mT6_T7_P12ihipStream_tbENKUlT_T0_E_clISt17integral_constantIbLb1EESW_EEDaSR_SS_EUlSR_E_NS1_11comp_targetILNS1_3genE4ELNS1_11target_archE910ELNS1_3gpuE8ELNS1_3repE0EEENS1_30default_config_static_selectorELNS0_4arch9wavefront6targetE1EEEvT1_,comdat
	.protected	_ZN7rocprim17ROCPRIM_400000_NS6detail17trampoline_kernelINS0_14default_configENS1_27scan_by_key_config_selectorIiiEEZZNS1_16scan_by_key_implILNS1_25lookback_scan_determinismE0ELb1ES3_N6thrust23THRUST_200600_302600_NS10device_ptrIiEESB_SB_iNS9_4plusIvEENS9_8equal_toIvEEiEE10hipError_tPvRmT2_T3_T4_T5_mT6_T7_P12ihipStream_tbENKUlT_T0_E_clISt17integral_constantIbLb1EESW_EEDaSR_SS_EUlSR_E_NS1_11comp_targetILNS1_3genE4ELNS1_11target_archE910ELNS1_3gpuE8ELNS1_3repE0EEENS1_30default_config_static_selectorELNS0_4arch9wavefront6targetE1EEEvT1_ ; -- Begin function _ZN7rocprim17ROCPRIM_400000_NS6detail17trampoline_kernelINS0_14default_configENS1_27scan_by_key_config_selectorIiiEEZZNS1_16scan_by_key_implILNS1_25lookback_scan_determinismE0ELb1ES3_N6thrust23THRUST_200600_302600_NS10device_ptrIiEESB_SB_iNS9_4plusIvEENS9_8equal_toIvEEiEE10hipError_tPvRmT2_T3_T4_T5_mT6_T7_P12ihipStream_tbENKUlT_T0_E_clISt17integral_constantIbLb1EESW_EEDaSR_SS_EUlSR_E_NS1_11comp_targetILNS1_3genE4ELNS1_11target_archE910ELNS1_3gpuE8ELNS1_3repE0EEENS1_30default_config_static_selectorELNS0_4arch9wavefront6targetE1EEEvT1_
	.globl	_ZN7rocprim17ROCPRIM_400000_NS6detail17trampoline_kernelINS0_14default_configENS1_27scan_by_key_config_selectorIiiEEZZNS1_16scan_by_key_implILNS1_25lookback_scan_determinismE0ELb1ES3_N6thrust23THRUST_200600_302600_NS10device_ptrIiEESB_SB_iNS9_4plusIvEENS9_8equal_toIvEEiEE10hipError_tPvRmT2_T3_T4_T5_mT6_T7_P12ihipStream_tbENKUlT_T0_E_clISt17integral_constantIbLb1EESW_EEDaSR_SS_EUlSR_E_NS1_11comp_targetILNS1_3genE4ELNS1_11target_archE910ELNS1_3gpuE8ELNS1_3repE0EEENS1_30default_config_static_selectorELNS0_4arch9wavefront6targetE1EEEvT1_
	.p2align	8
	.type	_ZN7rocprim17ROCPRIM_400000_NS6detail17trampoline_kernelINS0_14default_configENS1_27scan_by_key_config_selectorIiiEEZZNS1_16scan_by_key_implILNS1_25lookback_scan_determinismE0ELb1ES3_N6thrust23THRUST_200600_302600_NS10device_ptrIiEESB_SB_iNS9_4plusIvEENS9_8equal_toIvEEiEE10hipError_tPvRmT2_T3_T4_T5_mT6_T7_P12ihipStream_tbENKUlT_T0_E_clISt17integral_constantIbLb1EESW_EEDaSR_SS_EUlSR_E_NS1_11comp_targetILNS1_3genE4ELNS1_11target_archE910ELNS1_3gpuE8ELNS1_3repE0EEENS1_30default_config_static_selectorELNS0_4arch9wavefront6targetE1EEEvT1_,@function
_ZN7rocprim17ROCPRIM_400000_NS6detail17trampoline_kernelINS0_14default_configENS1_27scan_by_key_config_selectorIiiEEZZNS1_16scan_by_key_implILNS1_25lookback_scan_determinismE0ELb1ES3_N6thrust23THRUST_200600_302600_NS10device_ptrIiEESB_SB_iNS9_4plusIvEENS9_8equal_toIvEEiEE10hipError_tPvRmT2_T3_T4_T5_mT6_T7_P12ihipStream_tbENKUlT_T0_E_clISt17integral_constantIbLb1EESW_EEDaSR_SS_EUlSR_E_NS1_11comp_targetILNS1_3genE4ELNS1_11target_archE910ELNS1_3gpuE8ELNS1_3repE0EEENS1_30default_config_static_selectorELNS0_4arch9wavefront6targetE1EEEvT1_: ; @_ZN7rocprim17ROCPRIM_400000_NS6detail17trampoline_kernelINS0_14default_configENS1_27scan_by_key_config_selectorIiiEEZZNS1_16scan_by_key_implILNS1_25lookback_scan_determinismE0ELb1ES3_N6thrust23THRUST_200600_302600_NS10device_ptrIiEESB_SB_iNS9_4plusIvEENS9_8equal_toIvEEiEE10hipError_tPvRmT2_T3_T4_T5_mT6_T7_P12ihipStream_tbENKUlT_T0_E_clISt17integral_constantIbLb1EESW_EEDaSR_SS_EUlSR_E_NS1_11comp_targetILNS1_3genE4ELNS1_11target_archE910ELNS1_3gpuE8ELNS1_3repE0EEENS1_30default_config_static_selectorELNS0_4arch9wavefront6targetE1EEEvT1_
; %bb.0:
	.section	.rodata,"a",@progbits
	.p2align	6, 0x0
	.amdhsa_kernel _ZN7rocprim17ROCPRIM_400000_NS6detail17trampoline_kernelINS0_14default_configENS1_27scan_by_key_config_selectorIiiEEZZNS1_16scan_by_key_implILNS1_25lookback_scan_determinismE0ELb1ES3_N6thrust23THRUST_200600_302600_NS10device_ptrIiEESB_SB_iNS9_4plusIvEENS9_8equal_toIvEEiEE10hipError_tPvRmT2_T3_T4_T5_mT6_T7_P12ihipStream_tbENKUlT_T0_E_clISt17integral_constantIbLb1EESW_EEDaSR_SS_EUlSR_E_NS1_11comp_targetILNS1_3genE4ELNS1_11target_archE910ELNS1_3gpuE8ELNS1_3repE0EEENS1_30default_config_static_selectorELNS0_4arch9wavefront6targetE1EEEvT1_
		.amdhsa_group_segment_fixed_size 0
		.amdhsa_private_segment_fixed_size 0
		.amdhsa_kernarg_size 112
		.amdhsa_user_sgpr_count 2
		.amdhsa_user_sgpr_dispatch_ptr 0
		.amdhsa_user_sgpr_queue_ptr 0
		.amdhsa_user_sgpr_kernarg_segment_ptr 1
		.amdhsa_user_sgpr_dispatch_id 0
		.amdhsa_user_sgpr_kernarg_preload_length 0
		.amdhsa_user_sgpr_kernarg_preload_offset 0
		.amdhsa_user_sgpr_private_segment_size 0
		.amdhsa_uses_dynamic_stack 0
		.amdhsa_enable_private_segment 0
		.amdhsa_system_sgpr_workgroup_id_x 1
		.amdhsa_system_sgpr_workgroup_id_y 0
		.amdhsa_system_sgpr_workgroup_id_z 0
		.amdhsa_system_sgpr_workgroup_info 0
		.amdhsa_system_vgpr_workitem_id 0
		.amdhsa_next_free_vgpr 1
		.amdhsa_next_free_sgpr 0
		.amdhsa_accum_offset 4
		.amdhsa_reserve_vcc 0
		.amdhsa_float_round_mode_32 0
		.amdhsa_float_round_mode_16_64 0
		.amdhsa_float_denorm_mode_32 3
		.amdhsa_float_denorm_mode_16_64 3
		.amdhsa_dx10_clamp 1
		.amdhsa_ieee_mode 1
		.amdhsa_fp16_overflow 0
		.amdhsa_tg_split 0
		.amdhsa_exception_fp_ieee_invalid_op 0
		.amdhsa_exception_fp_denorm_src 0
		.amdhsa_exception_fp_ieee_div_zero 0
		.amdhsa_exception_fp_ieee_overflow 0
		.amdhsa_exception_fp_ieee_underflow 0
		.amdhsa_exception_fp_ieee_inexact 0
		.amdhsa_exception_int_div_zero 0
	.end_amdhsa_kernel
	.section	.text._ZN7rocprim17ROCPRIM_400000_NS6detail17trampoline_kernelINS0_14default_configENS1_27scan_by_key_config_selectorIiiEEZZNS1_16scan_by_key_implILNS1_25lookback_scan_determinismE0ELb1ES3_N6thrust23THRUST_200600_302600_NS10device_ptrIiEESB_SB_iNS9_4plusIvEENS9_8equal_toIvEEiEE10hipError_tPvRmT2_T3_T4_T5_mT6_T7_P12ihipStream_tbENKUlT_T0_E_clISt17integral_constantIbLb1EESW_EEDaSR_SS_EUlSR_E_NS1_11comp_targetILNS1_3genE4ELNS1_11target_archE910ELNS1_3gpuE8ELNS1_3repE0EEENS1_30default_config_static_selectorELNS0_4arch9wavefront6targetE1EEEvT1_,"axG",@progbits,_ZN7rocprim17ROCPRIM_400000_NS6detail17trampoline_kernelINS0_14default_configENS1_27scan_by_key_config_selectorIiiEEZZNS1_16scan_by_key_implILNS1_25lookback_scan_determinismE0ELb1ES3_N6thrust23THRUST_200600_302600_NS10device_ptrIiEESB_SB_iNS9_4plusIvEENS9_8equal_toIvEEiEE10hipError_tPvRmT2_T3_T4_T5_mT6_T7_P12ihipStream_tbENKUlT_T0_E_clISt17integral_constantIbLb1EESW_EEDaSR_SS_EUlSR_E_NS1_11comp_targetILNS1_3genE4ELNS1_11target_archE910ELNS1_3gpuE8ELNS1_3repE0EEENS1_30default_config_static_selectorELNS0_4arch9wavefront6targetE1EEEvT1_,comdat
.Lfunc_end2246:
	.size	_ZN7rocprim17ROCPRIM_400000_NS6detail17trampoline_kernelINS0_14default_configENS1_27scan_by_key_config_selectorIiiEEZZNS1_16scan_by_key_implILNS1_25lookback_scan_determinismE0ELb1ES3_N6thrust23THRUST_200600_302600_NS10device_ptrIiEESB_SB_iNS9_4plusIvEENS9_8equal_toIvEEiEE10hipError_tPvRmT2_T3_T4_T5_mT6_T7_P12ihipStream_tbENKUlT_T0_E_clISt17integral_constantIbLb1EESW_EEDaSR_SS_EUlSR_E_NS1_11comp_targetILNS1_3genE4ELNS1_11target_archE910ELNS1_3gpuE8ELNS1_3repE0EEENS1_30default_config_static_selectorELNS0_4arch9wavefront6targetE1EEEvT1_, .Lfunc_end2246-_ZN7rocprim17ROCPRIM_400000_NS6detail17trampoline_kernelINS0_14default_configENS1_27scan_by_key_config_selectorIiiEEZZNS1_16scan_by_key_implILNS1_25lookback_scan_determinismE0ELb1ES3_N6thrust23THRUST_200600_302600_NS10device_ptrIiEESB_SB_iNS9_4plusIvEENS9_8equal_toIvEEiEE10hipError_tPvRmT2_T3_T4_T5_mT6_T7_P12ihipStream_tbENKUlT_T0_E_clISt17integral_constantIbLb1EESW_EEDaSR_SS_EUlSR_E_NS1_11comp_targetILNS1_3genE4ELNS1_11target_archE910ELNS1_3gpuE8ELNS1_3repE0EEENS1_30default_config_static_selectorELNS0_4arch9wavefront6targetE1EEEvT1_
                                        ; -- End function
	.section	.AMDGPU.csdata,"",@progbits
; Kernel info:
; codeLenInByte = 0
; NumSgprs: 6
; NumVgprs: 0
; NumAgprs: 0
; TotalNumVgprs: 0
; ScratchSize: 0
; MemoryBound: 0
; FloatMode: 240
; IeeeMode: 1
; LDSByteSize: 0 bytes/workgroup (compile time only)
; SGPRBlocks: 0
; VGPRBlocks: 0
; NumSGPRsForWavesPerEU: 6
; NumVGPRsForWavesPerEU: 1
; AccumOffset: 4
; Occupancy: 8
; WaveLimiterHint : 0
; COMPUTE_PGM_RSRC2:SCRATCH_EN: 0
; COMPUTE_PGM_RSRC2:USER_SGPR: 2
; COMPUTE_PGM_RSRC2:TRAP_HANDLER: 0
; COMPUTE_PGM_RSRC2:TGID_X_EN: 1
; COMPUTE_PGM_RSRC2:TGID_Y_EN: 0
; COMPUTE_PGM_RSRC2:TGID_Z_EN: 0
; COMPUTE_PGM_RSRC2:TIDIG_COMP_CNT: 0
; COMPUTE_PGM_RSRC3_GFX90A:ACCUM_OFFSET: 0
; COMPUTE_PGM_RSRC3_GFX90A:TG_SPLIT: 0
	.section	.text._ZN7rocprim17ROCPRIM_400000_NS6detail17trampoline_kernelINS0_14default_configENS1_27scan_by_key_config_selectorIiiEEZZNS1_16scan_by_key_implILNS1_25lookback_scan_determinismE0ELb1ES3_N6thrust23THRUST_200600_302600_NS10device_ptrIiEESB_SB_iNS9_4plusIvEENS9_8equal_toIvEEiEE10hipError_tPvRmT2_T3_T4_T5_mT6_T7_P12ihipStream_tbENKUlT_T0_E_clISt17integral_constantIbLb1EESW_EEDaSR_SS_EUlSR_E_NS1_11comp_targetILNS1_3genE3ELNS1_11target_archE908ELNS1_3gpuE7ELNS1_3repE0EEENS1_30default_config_static_selectorELNS0_4arch9wavefront6targetE1EEEvT1_,"axG",@progbits,_ZN7rocprim17ROCPRIM_400000_NS6detail17trampoline_kernelINS0_14default_configENS1_27scan_by_key_config_selectorIiiEEZZNS1_16scan_by_key_implILNS1_25lookback_scan_determinismE0ELb1ES3_N6thrust23THRUST_200600_302600_NS10device_ptrIiEESB_SB_iNS9_4plusIvEENS9_8equal_toIvEEiEE10hipError_tPvRmT2_T3_T4_T5_mT6_T7_P12ihipStream_tbENKUlT_T0_E_clISt17integral_constantIbLb1EESW_EEDaSR_SS_EUlSR_E_NS1_11comp_targetILNS1_3genE3ELNS1_11target_archE908ELNS1_3gpuE7ELNS1_3repE0EEENS1_30default_config_static_selectorELNS0_4arch9wavefront6targetE1EEEvT1_,comdat
	.protected	_ZN7rocprim17ROCPRIM_400000_NS6detail17trampoline_kernelINS0_14default_configENS1_27scan_by_key_config_selectorIiiEEZZNS1_16scan_by_key_implILNS1_25lookback_scan_determinismE0ELb1ES3_N6thrust23THRUST_200600_302600_NS10device_ptrIiEESB_SB_iNS9_4plusIvEENS9_8equal_toIvEEiEE10hipError_tPvRmT2_T3_T4_T5_mT6_T7_P12ihipStream_tbENKUlT_T0_E_clISt17integral_constantIbLb1EESW_EEDaSR_SS_EUlSR_E_NS1_11comp_targetILNS1_3genE3ELNS1_11target_archE908ELNS1_3gpuE7ELNS1_3repE0EEENS1_30default_config_static_selectorELNS0_4arch9wavefront6targetE1EEEvT1_ ; -- Begin function _ZN7rocprim17ROCPRIM_400000_NS6detail17trampoline_kernelINS0_14default_configENS1_27scan_by_key_config_selectorIiiEEZZNS1_16scan_by_key_implILNS1_25lookback_scan_determinismE0ELb1ES3_N6thrust23THRUST_200600_302600_NS10device_ptrIiEESB_SB_iNS9_4plusIvEENS9_8equal_toIvEEiEE10hipError_tPvRmT2_T3_T4_T5_mT6_T7_P12ihipStream_tbENKUlT_T0_E_clISt17integral_constantIbLb1EESW_EEDaSR_SS_EUlSR_E_NS1_11comp_targetILNS1_3genE3ELNS1_11target_archE908ELNS1_3gpuE7ELNS1_3repE0EEENS1_30default_config_static_selectorELNS0_4arch9wavefront6targetE1EEEvT1_
	.globl	_ZN7rocprim17ROCPRIM_400000_NS6detail17trampoline_kernelINS0_14default_configENS1_27scan_by_key_config_selectorIiiEEZZNS1_16scan_by_key_implILNS1_25lookback_scan_determinismE0ELb1ES3_N6thrust23THRUST_200600_302600_NS10device_ptrIiEESB_SB_iNS9_4plusIvEENS9_8equal_toIvEEiEE10hipError_tPvRmT2_T3_T4_T5_mT6_T7_P12ihipStream_tbENKUlT_T0_E_clISt17integral_constantIbLb1EESW_EEDaSR_SS_EUlSR_E_NS1_11comp_targetILNS1_3genE3ELNS1_11target_archE908ELNS1_3gpuE7ELNS1_3repE0EEENS1_30default_config_static_selectorELNS0_4arch9wavefront6targetE1EEEvT1_
	.p2align	8
	.type	_ZN7rocprim17ROCPRIM_400000_NS6detail17trampoline_kernelINS0_14default_configENS1_27scan_by_key_config_selectorIiiEEZZNS1_16scan_by_key_implILNS1_25lookback_scan_determinismE0ELb1ES3_N6thrust23THRUST_200600_302600_NS10device_ptrIiEESB_SB_iNS9_4plusIvEENS9_8equal_toIvEEiEE10hipError_tPvRmT2_T3_T4_T5_mT6_T7_P12ihipStream_tbENKUlT_T0_E_clISt17integral_constantIbLb1EESW_EEDaSR_SS_EUlSR_E_NS1_11comp_targetILNS1_3genE3ELNS1_11target_archE908ELNS1_3gpuE7ELNS1_3repE0EEENS1_30default_config_static_selectorELNS0_4arch9wavefront6targetE1EEEvT1_,@function
_ZN7rocprim17ROCPRIM_400000_NS6detail17trampoline_kernelINS0_14default_configENS1_27scan_by_key_config_selectorIiiEEZZNS1_16scan_by_key_implILNS1_25lookback_scan_determinismE0ELb1ES3_N6thrust23THRUST_200600_302600_NS10device_ptrIiEESB_SB_iNS9_4plusIvEENS9_8equal_toIvEEiEE10hipError_tPvRmT2_T3_T4_T5_mT6_T7_P12ihipStream_tbENKUlT_T0_E_clISt17integral_constantIbLb1EESW_EEDaSR_SS_EUlSR_E_NS1_11comp_targetILNS1_3genE3ELNS1_11target_archE908ELNS1_3gpuE7ELNS1_3repE0EEENS1_30default_config_static_selectorELNS0_4arch9wavefront6targetE1EEEvT1_: ; @_ZN7rocprim17ROCPRIM_400000_NS6detail17trampoline_kernelINS0_14default_configENS1_27scan_by_key_config_selectorIiiEEZZNS1_16scan_by_key_implILNS1_25lookback_scan_determinismE0ELb1ES3_N6thrust23THRUST_200600_302600_NS10device_ptrIiEESB_SB_iNS9_4plusIvEENS9_8equal_toIvEEiEE10hipError_tPvRmT2_T3_T4_T5_mT6_T7_P12ihipStream_tbENKUlT_T0_E_clISt17integral_constantIbLb1EESW_EEDaSR_SS_EUlSR_E_NS1_11comp_targetILNS1_3genE3ELNS1_11target_archE908ELNS1_3gpuE7ELNS1_3repE0EEENS1_30default_config_static_selectorELNS0_4arch9wavefront6targetE1EEEvT1_
; %bb.0:
	.section	.rodata,"a",@progbits
	.p2align	6, 0x0
	.amdhsa_kernel _ZN7rocprim17ROCPRIM_400000_NS6detail17trampoline_kernelINS0_14default_configENS1_27scan_by_key_config_selectorIiiEEZZNS1_16scan_by_key_implILNS1_25lookback_scan_determinismE0ELb1ES3_N6thrust23THRUST_200600_302600_NS10device_ptrIiEESB_SB_iNS9_4plusIvEENS9_8equal_toIvEEiEE10hipError_tPvRmT2_T3_T4_T5_mT6_T7_P12ihipStream_tbENKUlT_T0_E_clISt17integral_constantIbLb1EESW_EEDaSR_SS_EUlSR_E_NS1_11comp_targetILNS1_3genE3ELNS1_11target_archE908ELNS1_3gpuE7ELNS1_3repE0EEENS1_30default_config_static_selectorELNS0_4arch9wavefront6targetE1EEEvT1_
		.amdhsa_group_segment_fixed_size 0
		.amdhsa_private_segment_fixed_size 0
		.amdhsa_kernarg_size 112
		.amdhsa_user_sgpr_count 2
		.amdhsa_user_sgpr_dispatch_ptr 0
		.amdhsa_user_sgpr_queue_ptr 0
		.amdhsa_user_sgpr_kernarg_segment_ptr 1
		.amdhsa_user_sgpr_dispatch_id 0
		.amdhsa_user_sgpr_kernarg_preload_length 0
		.amdhsa_user_sgpr_kernarg_preload_offset 0
		.amdhsa_user_sgpr_private_segment_size 0
		.amdhsa_uses_dynamic_stack 0
		.amdhsa_enable_private_segment 0
		.amdhsa_system_sgpr_workgroup_id_x 1
		.amdhsa_system_sgpr_workgroup_id_y 0
		.amdhsa_system_sgpr_workgroup_id_z 0
		.amdhsa_system_sgpr_workgroup_info 0
		.amdhsa_system_vgpr_workitem_id 0
		.amdhsa_next_free_vgpr 1
		.amdhsa_next_free_sgpr 0
		.amdhsa_accum_offset 4
		.amdhsa_reserve_vcc 0
		.amdhsa_float_round_mode_32 0
		.amdhsa_float_round_mode_16_64 0
		.amdhsa_float_denorm_mode_32 3
		.amdhsa_float_denorm_mode_16_64 3
		.amdhsa_dx10_clamp 1
		.amdhsa_ieee_mode 1
		.amdhsa_fp16_overflow 0
		.amdhsa_tg_split 0
		.amdhsa_exception_fp_ieee_invalid_op 0
		.amdhsa_exception_fp_denorm_src 0
		.amdhsa_exception_fp_ieee_div_zero 0
		.amdhsa_exception_fp_ieee_overflow 0
		.amdhsa_exception_fp_ieee_underflow 0
		.amdhsa_exception_fp_ieee_inexact 0
		.amdhsa_exception_int_div_zero 0
	.end_amdhsa_kernel
	.section	.text._ZN7rocprim17ROCPRIM_400000_NS6detail17trampoline_kernelINS0_14default_configENS1_27scan_by_key_config_selectorIiiEEZZNS1_16scan_by_key_implILNS1_25lookback_scan_determinismE0ELb1ES3_N6thrust23THRUST_200600_302600_NS10device_ptrIiEESB_SB_iNS9_4plusIvEENS9_8equal_toIvEEiEE10hipError_tPvRmT2_T3_T4_T5_mT6_T7_P12ihipStream_tbENKUlT_T0_E_clISt17integral_constantIbLb1EESW_EEDaSR_SS_EUlSR_E_NS1_11comp_targetILNS1_3genE3ELNS1_11target_archE908ELNS1_3gpuE7ELNS1_3repE0EEENS1_30default_config_static_selectorELNS0_4arch9wavefront6targetE1EEEvT1_,"axG",@progbits,_ZN7rocprim17ROCPRIM_400000_NS6detail17trampoline_kernelINS0_14default_configENS1_27scan_by_key_config_selectorIiiEEZZNS1_16scan_by_key_implILNS1_25lookback_scan_determinismE0ELb1ES3_N6thrust23THRUST_200600_302600_NS10device_ptrIiEESB_SB_iNS9_4plusIvEENS9_8equal_toIvEEiEE10hipError_tPvRmT2_T3_T4_T5_mT6_T7_P12ihipStream_tbENKUlT_T0_E_clISt17integral_constantIbLb1EESW_EEDaSR_SS_EUlSR_E_NS1_11comp_targetILNS1_3genE3ELNS1_11target_archE908ELNS1_3gpuE7ELNS1_3repE0EEENS1_30default_config_static_selectorELNS0_4arch9wavefront6targetE1EEEvT1_,comdat
.Lfunc_end2247:
	.size	_ZN7rocprim17ROCPRIM_400000_NS6detail17trampoline_kernelINS0_14default_configENS1_27scan_by_key_config_selectorIiiEEZZNS1_16scan_by_key_implILNS1_25lookback_scan_determinismE0ELb1ES3_N6thrust23THRUST_200600_302600_NS10device_ptrIiEESB_SB_iNS9_4plusIvEENS9_8equal_toIvEEiEE10hipError_tPvRmT2_T3_T4_T5_mT6_T7_P12ihipStream_tbENKUlT_T0_E_clISt17integral_constantIbLb1EESW_EEDaSR_SS_EUlSR_E_NS1_11comp_targetILNS1_3genE3ELNS1_11target_archE908ELNS1_3gpuE7ELNS1_3repE0EEENS1_30default_config_static_selectorELNS0_4arch9wavefront6targetE1EEEvT1_, .Lfunc_end2247-_ZN7rocprim17ROCPRIM_400000_NS6detail17trampoline_kernelINS0_14default_configENS1_27scan_by_key_config_selectorIiiEEZZNS1_16scan_by_key_implILNS1_25lookback_scan_determinismE0ELb1ES3_N6thrust23THRUST_200600_302600_NS10device_ptrIiEESB_SB_iNS9_4plusIvEENS9_8equal_toIvEEiEE10hipError_tPvRmT2_T3_T4_T5_mT6_T7_P12ihipStream_tbENKUlT_T0_E_clISt17integral_constantIbLb1EESW_EEDaSR_SS_EUlSR_E_NS1_11comp_targetILNS1_3genE3ELNS1_11target_archE908ELNS1_3gpuE7ELNS1_3repE0EEENS1_30default_config_static_selectorELNS0_4arch9wavefront6targetE1EEEvT1_
                                        ; -- End function
	.section	.AMDGPU.csdata,"",@progbits
; Kernel info:
; codeLenInByte = 0
; NumSgprs: 6
; NumVgprs: 0
; NumAgprs: 0
; TotalNumVgprs: 0
; ScratchSize: 0
; MemoryBound: 0
; FloatMode: 240
; IeeeMode: 1
; LDSByteSize: 0 bytes/workgroup (compile time only)
; SGPRBlocks: 0
; VGPRBlocks: 0
; NumSGPRsForWavesPerEU: 6
; NumVGPRsForWavesPerEU: 1
; AccumOffset: 4
; Occupancy: 8
; WaveLimiterHint : 0
; COMPUTE_PGM_RSRC2:SCRATCH_EN: 0
; COMPUTE_PGM_RSRC2:USER_SGPR: 2
; COMPUTE_PGM_RSRC2:TRAP_HANDLER: 0
; COMPUTE_PGM_RSRC2:TGID_X_EN: 1
; COMPUTE_PGM_RSRC2:TGID_Y_EN: 0
; COMPUTE_PGM_RSRC2:TGID_Z_EN: 0
; COMPUTE_PGM_RSRC2:TIDIG_COMP_CNT: 0
; COMPUTE_PGM_RSRC3_GFX90A:ACCUM_OFFSET: 0
; COMPUTE_PGM_RSRC3_GFX90A:TG_SPLIT: 0
	.section	.text._ZN7rocprim17ROCPRIM_400000_NS6detail17trampoline_kernelINS0_14default_configENS1_27scan_by_key_config_selectorIiiEEZZNS1_16scan_by_key_implILNS1_25lookback_scan_determinismE0ELb1ES3_N6thrust23THRUST_200600_302600_NS10device_ptrIiEESB_SB_iNS9_4plusIvEENS9_8equal_toIvEEiEE10hipError_tPvRmT2_T3_T4_T5_mT6_T7_P12ihipStream_tbENKUlT_T0_E_clISt17integral_constantIbLb1EESW_EEDaSR_SS_EUlSR_E_NS1_11comp_targetILNS1_3genE2ELNS1_11target_archE906ELNS1_3gpuE6ELNS1_3repE0EEENS1_30default_config_static_selectorELNS0_4arch9wavefront6targetE1EEEvT1_,"axG",@progbits,_ZN7rocprim17ROCPRIM_400000_NS6detail17trampoline_kernelINS0_14default_configENS1_27scan_by_key_config_selectorIiiEEZZNS1_16scan_by_key_implILNS1_25lookback_scan_determinismE0ELb1ES3_N6thrust23THRUST_200600_302600_NS10device_ptrIiEESB_SB_iNS9_4plusIvEENS9_8equal_toIvEEiEE10hipError_tPvRmT2_T3_T4_T5_mT6_T7_P12ihipStream_tbENKUlT_T0_E_clISt17integral_constantIbLb1EESW_EEDaSR_SS_EUlSR_E_NS1_11comp_targetILNS1_3genE2ELNS1_11target_archE906ELNS1_3gpuE6ELNS1_3repE0EEENS1_30default_config_static_selectorELNS0_4arch9wavefront6targetE1EEEvT1_,comdat
	.protected	_ZN7rocprim17ROCPRIM_400000_NS6detail17trampoline_kernelINS0_14default_configENS1_27scan_by_key_config_selectorIiiEEZZNS1_16scan_by_key_implILNS1_25lookback_scan_determinismE0ELb1ES3_N6thrust23THRUST_200600_302600_NS10device_ptrIiEESB_SB_iNS9_4plusIvEENS9_8equal_toIvEEiEE10hipError_tPvRmT2_T3_T4_T5_mT6_T7_P12ihipStream_tbENKUlT_T0_E_clISt17integral_constantIbLb1EESW_EEDaSR_SS_EUlSR_E_NS1_11comp_targetILNS1_3genE2ELNS1_11target_archE906ELNS1_3gpuE6ELNS1_3repE0EEENS1_30default_config_static_selectorELNS0_4arch9wavefront6targetE1EEEvT1_ ; -- Begin function _ZN7rocprim17ROCPRIM_400000_NS6detail17trampoline_kernelINS0_14default_configENS1_27scan_by_key_config_selectorIiiEEZZNS1_16scan_by_key_implILNS1_25lookback_scan_determinismE0ELb1ES3_N6thrust23THRUST_200600_302600_NS10device_ptrIiEESB_SB_iNS9_4plusIvEENS9_8equal_toIvEEiEE10hipError_tPvRmT2_T3_T4_T5_mT6_T7_P12ihipStream_tbENKUlT_T0_E_clISt17integral_constantIbLb1EESW_EEDaSR_SS_EUlSR_E_NS1_11comp_targetILNS1_3genE2ELNS1_11target_archE906ELNS1_3gpuE6ELNS1_3repE0EEENS1_30default_config_static_selectorELNS0_4arch9wavefront6targetE1EEEvT1_
	.globl	_ZN7rocprim17ROCPRIM_400000_NS6detail17trampoline_kernelINS0_14default_configENS1_27scan_by_key_config_selectorIiiEEZZNS1_16scan_by_key_implILNS1_25lookback_scan_determinismE0ELb1ES3_N6thrust23THRUST_200600_302600_NS10device_ptrIiEESB_SB_iNS9_4plusIvEENS9_8equal_toIvEEiEE10hipError_tPvRmT2_T3_T4_T5_mT6_T7_P12ihipStream_tbENKUlT_T0_E_clISt17integral_constantIbLb1EESW_EEDaSR_SS_EUlSR_E_NS1_11comp_targetILNS1_3genE2ELNS1_11target_archE906ELNS1_3gpuE6ELNS1_3repE0EEENS1_30default_config_static_selectorELNS0_4arch9wavefront6targetE1EEEvT1_
	.p2align	8
	.type	_ZN7rocprim17ROCPRIM_400000_NS6detail17trampoline_kernelINS0_14default_configENS1_27scan_by_key_config_selectorIiiEEZZNS1_16scan_by_key_implILNS1_25lookback_scan_determinismE0ELb1ES3_N6thrust23THRUST_200600_302600_NS10device_ptrIiEESB_SB_iNS9_4plusIvEENS9_8equal_toIvEEiEE10hipError_tPvRmT2_T3_T4_T5_mT6_T7_P12ihipStream_tbENKUlT_T0_E_clISt17integral_constantIbLb1EESW_EEDaSR_SS_EUlSR_E_NS1_11comp_targetILNS1_3genE2ELNS1_11target_archE906ELNS1_3gpuE6ELNS1_3repE0EEENS1_30default_config_static_selectorELNS0_4arch9wavefront6targetE1EEEvT1_,@function
_ZN7rocprim17ROCPRIM_400000_NS6detail17trampoline_kernelINS0_14default_configENS1_27scan_by_key_config_selectorIiiEEZZNS1_16scan_by_key_implILNS1_25lookback_scan_determinismE0ELb1ES3_N6thrust23THRUST_200600_302600_NS10device_ptrIiEESB_SB_iNS9_4plusIvEENS9_8equal_toIvEEiEE10hipError_tPvRmT2_T3_T4_T5_mT6_T7_P12ihipStream_tbENKUlT_T0_E_clISt17integral_constantIbLb1EESW_EEDaSR_SS_EUlSR_E_NS1_11comp_targetILNS1_3genE2ELNS1_11target_archE906ELNS1_3gpuE6ELNS1_3repE0EEENS1_30default_config_static_selectorELNS0_4arch9wavefront6targetE1EEEvT1_: ; @_ZN7rocprim17ROCPRIM_400000_NS6detail17trampoline_kernelINS0_14default_configENS1_27scan_by_key_config_selectorIiiEEZZNS1_16scan_by_key_implILNS1_25lookback_scan_determinismE0ELb1ES3_N6thrust23THRUST_200600_302600_NS10device_ptrIiEESB_SB_iNS9_4plusIvEENS9_8equal_toIvEEiEE10hipError_tPvRmT2_T3_T4_T5_mT6_T7_P12ihipStream_tbENKUlT_T0_E_clISt17integral_constantIbLb1EESW_EEDaSR_SS_EUlSR_E_NS1_11comp_targetILNS1_3genE2ELNS1_11target_archE906ELNS1_3gpuE6ELNS1_3repE0EEENS1_30default_config_static_selectorELNS0_4arch9wavefront6targetE1EEEvT1_
; %bb.0:
	.section	.rodata,"a",@progbits
	.p2align	6, 0x0
	.amdhsa_kernel _ZN7rocprim17ROCPRIM_400000_NS6detail17trampoline_kernelINS0_14default_configENS1_27scan_by_key_config_selectorIiiEEZZNS1_16scan_by_key_implILNS1_25lookback_scan_determinismE0ELb1ES3_N6thrust23THRUST_200600_302600_NS10device_ptrIiEESB_SB_iNS9_4plusIvEENS9_8equal_toIvEEiEE10hipError_tPvRmT2_T3_T4_T5_mT6_T7_P12ihipStream_tbENKUlT_T0_E_clISt17integral_constantIbLb1EESW_EEDaSR_SS_EUlSR_E_NS1_11comp_targetILNS1_3genE2ELNS1_11target_archE906ELNS1_3gpuE6ELNS1_3repE0EEENS1_30default_config_static_selectorELNS0_4arch9wavefront6targetE1EEEvT1_
		.amdhsa_group_segment_fixed_size 0
		.amdhsa_private_segment_fixed_size 0
		.amdhsa_kernarg_size 112
		.amdhsa_user_sgpr_count 2
		.amdhsa_user_sgpr_dispatch_ptr 0
		.amdhsa_user_sgpr_queue_ptr 0
		.amdhsa_user_sgpr_kernarg_segment_ptr 1
		.amdhsa_user_sgpr_dispatch_id 0
		.amdhsa_user_sgpr_kernarg_preload_length 0
		.amdhsa_user_sgpr_kernarg_preload_offset 0
		.amdhsa_user_sgpr_private_segment_size 0
		.amdhsa_uses_dynamic_stack 0
		.amdhsa_enable_private_segment 0
		.amdhsa_system_sgpr_workgroup_id_x 1
		.amdhsa_system_sgpr_workgroup_id_y 0
		.amdhsa_system_sgpr_workgroup_id_z 0
		.amdhsa_system_sgpr_workgroup_info 0
		.amdhsa_system_vgpr_workitem_id 0
		.amdhsa_next_free_vgpr 1
		.amdhsa_next_free_sgpr 0
		.amdhsa_accum_offset 4
		.amdhsa_reserve_vcc 0
		.amdhsa_float_round_mode_32 0
		.amdhsa_float_round_mode_16_64 0
		.amdhsa_float_denorm_mode_32 3
		.amdhsa_float_denorm_mode_16_64 3
		.amdhsa_dx10_clamp 1
		.amdhsa_ieee_mode 1
		.amdhsa_fp16_overflow 0
		.amdhsa_tg_split 0
		.amdhsa_exception_fp_ieee_invalid_op 0
		.amdhsa_exception_fp_denorm_src 0
		.amdhsa_exception_fp_ieee_div_zero 0
		.amdhsa_exception_fp_ieee_overflow 0
		.amdhsa_exception_fp_ieee_underflow 0
		.amdhsa_exception_fp_ieee_inexact 0
		.amdhsa_exception_int_div_zero 0
	.end_amdhsa_kernel
	.section	.text._ZN7rocprim17ROCPRIM_400000_NS6detail17trampoline_kernelINS0_14default_configENS1_27scan_by_key_config_selectorIiiEEZZNS1_16scan_by_key_implILNS1_25lookback_scan_determinismE0ELb1ES3_N6thrust23THRUST_200600_302600_NS10device_ptrIiEESB_SB_iNS9_4plusIvEENS9_8equal_toIvEEiEE10hipError_tPvRmT2_T3_T4_T5_mT6_T7_P12ihipStream_tbENKUlT_T0_E_clISt17integral_constantIbLb1EESW_EEDaSR_SS_EUlSR_E_NS1_11comp_targetILNS1_3genE2ELNS1_11target_archE906ELNS1_3gpuE6ELNS1_3repE0EEENS1_30default_config_static_selectorELNS0_4arch9wavefront6targetE1EEEvT1_,"axG",@progbits,_ZN7rocprim17ROCPRIM_400000_NS6detail17trampoline_kernelINS0_14default_configENS1_27scan_by_key_config_selectorIiiEEZZNS1_16scan_by_key_implILNS1_25lookback_scan_determinismE0ELb1ES3_N6thrust23THRUST_200600_302600_NS10device_ptrIiEESB_SB_iNS9_4plusIvEENS9_8equal_toIvEEiEE10hipError_tPvRmT2_T3_T4_T5_mT6_T7_P12ihipStream_tbENKUlT_T0_E_clISt17integral_constantIbLb1EESW_EEDaSR_SS_EUlSR_E_NS1_11comp_targetILNS1_3genE2ELNS1_11target_archE906ELNS1_3gpuE6ELNS1_3repE0EEENS1_30default_config_static_selectorELNS0_4arch9wavefront6targetE1EEEvT1_,comdat
.Lfunc_end2248:
	.size	_ZN7rocprim17ROCPRIM_400000_NS6detail17trampoline_kernelINS0_14default_configENS1_27scan_by_key_config_selectorIiiEEZZNS1_16scan_by_key_implILNS1_25lookback_scan_determinismE0ELb1ES3_N6thrust23THRUST_200600_302600_NS10device_ptrIiEESB_SB_iNS9_4plusIvEENS9_8equal_toIvEEiEE10hipError_tPvRmT2_T3_T4_T5_mT6_T7_P12ihipStream_tbENKUlT_T0_E_clISt17integral_constantIbLb1EESW_EEDaSR_SS_EUlSR_E_NS1_11comp_targetILNS1_3genE2ELNS1_11target_archE906ELNS1_3gpuE6ELNS1_3repE0EEENS1_30default_config_static_selectorELNS0_4arch9wavefront6targetE1EEEvT1_, .Lfunc_end2248-_ZN7rocprim17ROCPRIM_400000_NS6detail17trampoline_kernelINS0_14default_configENS1_27scan_by_key_config_selectorIiiEEZZNS1_16scan_by_key_implILNS1_25lookback_scan_determinismE0ELb1ES3_N6thrust23THRUST_200600_302600_NS10device_ptrIiEESB_SB_iNS9_4plusIvEENS9_8equal_toIvEEiEE10hipError_tPvRmT2_T3_T4_T5_mT6_T7_P12ihipStream_tbENKUlT_T0_E_clISt17integral_constantIbLb1EESW_EEDaSR_SS_EUlSR_E_NS1_11comp_targetILNS1_3genE2ELNS1_11target_archE906ELNS1_3gpuE6ELNS1_3repE0EEENS1_30default_config_static_selectorELNS0_4arch9wavefront6targetE1EEEvT1_
                                        ; -- End function
	.section	.AMDGPU.csdata,"",@progbits
; Kernel info:
; codeLenInByte = 0
; NumSgprs: 6
; NumVgprs: 0
; NumAgprs: 0
; TotalNumVgprs: 0
; ScratchSize: 0
; MemoryBound: 0
; FloatMode: 240
; IeeeMode: 1
; LDSByteSize: 0 bytes/workgroup (compile time only)
; SGPRBlocks: 0
; VGPRBlocks: 0
; NumSGPRsForWavesPerEU: 6
; NumVGPRsForWavesPerEU: 1
; AccumOffset: 4
; Occupancy: 8
; WaveLimiterHint : 0
; COMPUTE_PGM_RSRC2:SCRATCH_EN: 0
; COMPUTE_PGM_RSRC2:USER_SGPR: 2
; COMPUTE_PGM_RSRC2:TRAP_HANDLER: 0
; COMPUTE_PGM_RSRC2:TGID_X_EN: 1
; COMPUTE_PGM_RSRC2:TGID_Y_EN: 0
; COMPUTE_PGM_RSRC2:TGID_Z_EN: 0
; COMPUTE_PGM_RSRC2:TIDIG_COMP_CNT: 0
; COMPUTE_PGM_RSRC3_GFX90A:ACCUM_OFFSET: 0
; COMPUTE_PGM_RSRC3_GFX90A:TG_SPLIT: 0
	.section	.text._ZN7rocprim17ROCPRIM_400000_NS6detail17trampoline_kernelINS0_14default_configENS1_27scan_by_key_config_selectorIiiEEZZNS1_16scan_by_key_implILNS1_25lookback_scan_determinismE0ELb1ES3_N6thrust23THRUST_200600_302600_NS10device_ptrIiEESB_SB_iNS9_4plusIvEENS9_8equal_toIvEEiEE10hipError_tPvRmT2_T3_T4_T5_mT6_T7_P12ihipStream_tbENKUlT_T0_E_clISt17integral_constantIbLb1EESW_EEDaSR_SS_EUlSR_E_NS1_11comp_targetILNS1_3genE10ELNS1_11target_archE1200ELNS1_3gpuE4ELNS1_3repE0EEENS1_30default_config_static_selectorELNS0_4arch9wavefront6targetE1EEEvT1_,"axG",@progbits,_ZN7rocprim17ROCPRIM_400000_NS6detail17trampoline_kernelINS0_14default_configENS1_27scan_by_key_config_selectorIiiEEZZNS1_16scan_by_key_implILNS1_25lookback_scan_determinismE0ELb1ES3_N6thrust23THRUST_200600_302600_NS10device_ptrIiEESB_SB_iNS9_4plusIvEENS9_8equal_toIvEEiEE10hipError_tPvRmT2_T3_T4_T5_mT6_T7_P12ihipStream_tbENKUlT_T0_E_clISt17integral_constantIbLb1EESW_EEDaSR_SS_EUlSR_E_NS1_11comp_targetILNS1_3genE10ELNS1_11target_archE1200ELNS1_3gpuE4ELNS1_3repE0EEENS1_30default_config_static_selectorELNS0_4arch9wavefront6targetE1EEEvT1_,comdat
	.protected	_ZN7rocprim17ROCPRIM_400000_NS6detail17trampoline_kernelINS0_14default_configENS1_27scan_by_key_config_selectorIiiEEZZNS1_16scan_by_key_implILNS1_25lookback_scan_determinismE0ELb1ES3_N6thrust23THRUST_200600_302600_NS10device_ptrIiEESB_SB_iNS9_4plusIvEENS9_8equal_toIvEEiEE10hipError_tPvRmT2_T3_T4_T5_mT6_T7_P12ihipStream_tbENKUlT_T0_E_clISt17integral_constantIbLb1EESW_EEDaSR_SS_EUlSR_E_NS1_11comp_targetILNS1_3genE10ELNS1_11target_archE1200ELNS1_3gpuE4ELNS1_3repE0EEENS1_30default_config_static_selectorELNS0_4arch9wavefront6targetE1EEEvT1_ ; -- Begin function _ZN7rocprim17ROCPRIM_400000_NS6detail17trampoline_kernelINS0_14default_configENS1_27scan_by_key_config_selectorIiiEEZZNS1_16scan_by_key_implILNS1_25lookback_scan_determinismE0ELb1ES3_N6thrust23THRUST_200600_302600_NS10device_ptrIiEESB_SB_iNS9_4plusIvEENS9_8equal_toIvEEiEE10hipError_tPvRmT2_T3_T4_T5_mT6_T7_P12ihipStream_tbENKUlT_T0_E_clISt17integral_constantIbLb1EESW_EEDaSR_SS_EUlSR_E_NS1_11comp_targetILNS1_3genE10ELNS1_11target_archE1200ELNS1_3gpuE4ELNS1_3repE0EEENS1_30default_config_static_selectorELNS0_4arch9wavefront6targetE1EEEvT1_
	.globl	_ZN7rocprim17ROCPRIM_400000_NS6detail17trampoline_kernelINS0_14default_configENS1_27scan_by_key_config_selectorIiiEEZZNS1_16scan_by_key_implILNS1_25lookback_scan_determinismE0ELb1ES3_N6thrust23THRUST_200600_302600_NS10device_ptrIiEESB_SB_iNS9_4plusIvEENS9_8equal_toIvEEiEE10hipError_tPvRmT2_T3_T4_T5_mT6_T7_P12ihipStream_tbENKUlT_T0_E_clISt17integral_constantIbLb1EESW_EEDaSR_SS_EUlSR_E_NS1_11comp_targetILNS1_3genE10ELNS1_11target_archE1200ELNS1_3gpuE4ELNS1_3repE0EEENS1_30default_config_static_selectorELNS0_4arch9wavefront6targetE1EEEvT1_
	.p2align	8
	.type	_ZN7rocprim17ROCPRIM_400000_NS6detail17trampoline_kernelINS0_14default_configENS1_27scan_by_key_config_selectorIiiEEZZNS1_16scan_by_key_implILNS1_25lookback_scan_determinismE0ELb1ES3_N6thrust23THRUST_200600_302600_NS10device_ptrIiEESB_SB_iNS9_4plusIvEENS9_8equal_toIvEEiEE10hipError_tPvRmT2_T3_T4_T5_mT6_T7_P12ihipStream_tbENKUlT_T0_E_clISt17integral_constantIbLb1EESW_EEDaSR_SS_EUlSR_E_NS1_11comp_targetILNS1_3genE10ELNS1_11target_archE1200ELNS1_3gpuE4ELNS1_3repE0EEENS1_30default_config_static_selectorELNS0_4arch9wavefront6targetE1EEEvT1_,@function
_ZN7rocprim17ROCPRIM_400000_NS6detail17trampoline_kernelINS0_14default_configENS1_27scan_by_key_config_selectorIiiEEZZNS1_16scan_by_key_implILNS1_25lookback_scan_determinismE0ELb1ES3_N6thrust23THRUST_200600_302600_NS10device_ptrIiEESB_SB_iNS9_4plusIvEENS9_8equal_toIvEEiEE10hipError_tPvRmT2_T3_T4_T5_mT6_T7_P12ihipStream_tbENKUlT_T0_E_clISt17integral_constantIbLb1EESW_EEDaSR_SS_EUlSR_E_NS1_11comp_targetILNS1_3genE10ELNS1_11target_archE1200ELNS1_3gpuE4ELNS1_3repE0EEENS1_30default_config_static_selectorELNS0_4arch9wavefront6targetE1EEEvT1_: ; @_ZN7rocprim17ROCPRIM_400000_NS6detail17trampoline_kernelINS0_14default_configENS1_27scan_by_key_config_selectorIiiEEZZNS1_16scan_by_key_implILNS1_25lookback_scan_determinismE0ELb1ES3_N6thrust23THRUST_200600_302600_NS10device_ptrIiEESB_SB_iNS9_4plusIvEENS9_8equal_toIvEEiEE10hipError_tPvRmT2_T3_T4_T5_mT6_T7_P12ihipStream_tbENKUlT_T0_E_clISt17integral_constantIbLb1EESW_EEDaSR_SS_EUlSR_E_NS1_11comp_targetILNS1_3genE10ELNS1_11target_archE1200ELNS1_3gpuE4ELNS1_3repE0EEENS1_30default_config_static_selectorELNS0_4arch9wavefront6targetE1EEEvT1_
; %bb.0:
	.section	.rodata,"a",@progbits
	.p2align	6, 0x0
	.amdhsa_kernel _ZN7rocprim17ROCPRIM_400000_NS6detail17trampoline_kernelINS0_14default_configENS1_27scan_by_key_config_selectorIiiEEZZNS1_16scan_by_key_implILNS1_25lookback_scan_determinismE0ELb1ES3_N6thrust23THRUST_200600_302600_NS10device_ptrIiEESB_SB_iNS9_4plusIvEENS9_8equal_toIvEEiEE10hipError_tPvRmT2_T3_T4_T5_mT6_T7_P12ihipStream_tbENKUlT_T0_E_clISt17integral_constantIbLb1EESW_EEDaSR_SS_EUlSR_E_NS1_11comp_targetILNS1_3genE10ELNS1_11target_archE1200ELNS1_3gpuE4ELNS1_3repE0EEENS1_30default_config_static_selectorELNS0_4arch9wavefront6targetE1EEEvT1_
		.amdhsa_group_segment_fixed_size 0
		.amdhsa_private_segment_fixed_size 0
		.amdhsa_kernarg_size 112
		.amdhsa_user_sgpr_count 2
		.amdhsa_user_sgpr_dispatch_ptr 0
		.amdhsa_user_sgpr_queue_ptr 0
		.amdhsa_user_sgpr_kernarg_segment_ptr 1
		.amdhsa_user_sgpr_dispatch_id 0
		.amdhsa_user_sgpr_kernarg_preload_length 0
		.amdhsa_user_sgpr_kernarg_preload_offset 0
		.amdhsa_user_sgpr_private_segment_size 0
		.amdhsa_uses_dynamic_stack 0
		.amdhsa_enable_private_segment 0
		.amdhsa_system_sgpr_workgroup_id_x 1
		.amdhsa_system_sgpr_workgroup_id_y 0
		.amdhsa_system_sgpr_workgroup_id_z 0
		.amdhsa_system_sgpr_workgroup_info 0
		.amdhsa_system_vgpr_workitem_id 0
		.amdhsa_next_free_vgpr 1
		.amdhsa_next_free_sgpr 0
		.amdhsa_accum_offset 4
		.amdhsa_reserve_vcc 0
		.amdhsa_float_round_mode_32 0
		.amdhsa_float_round_mode_16_64 0
		.amdhsa_float_denorm_mode_32 3
		.amdhsa_float_denorm_mode_16_64 3
		.amdhsa_dx10_clamp 1
		.amdhsa_ieee_mode 1
		.amdhsa_fp16_overflow 0
		.amdhsa_tg_split 0
		.amdhsa_exception_fp_ieee_invalid_op 0
		.amdhsa_exception_fp_denorm_src 0
		.amdhsa_exception_fp_ieee_div_zero 0
		.amdhsa_exception_fp_ieee_overflow 0
		.amdhsa_exception_fp_ieee_underflow 0
		.amdhsa_exception_fp_ieee_inexact 0
		.amdhsa_exception_int_div_zero 0
	.end_amdhsa_kernel
	.section	.text._ZN7rocprim17ROCPRIM_400000_NS6detail17trampoline_kernelINS0_14default_configENS1_27scan_by_key_config_selectorIiiEEZZNS1_16scan_by_key_implILNS1_25lookback_scan_determinismE0ELb1ES3_N6thrust23THRUST_200600_302600_NS10device_ptrIiEESB_SB_iNS9_4plusIvEENS9_8equal_toIvEEiEE10hipError_tPvRmT2_T3_T4_T5_mT6_T7_P12ihipStream_tbENKUlT_T0_E_clISt17integral_constantIbLb1EESW_EEDaSR_SS_EUlSR_E_NS1_11comp_targetILNS1_3genE10ELNS1_11target_archE1200ELNS1_3gpuE4ELNS1_3repE0EEENS1_30default_config_static_selectorELNS0_4arch9wavefront6targetE1EEEvT1_,"axG",@progbits,_ZN7rocprim17ROCPRIM_400000_NS6detail17trampoline_kernelINS0_14default_configENS1_27scan_by_key_config_selectorIiiEEZZNS1_16scan_by_key_implILNS1_25lookback_scan_determinismE0ELb1ES3_N6thrust23THRUST_200600_302600_NS10device_ptrIiEESB_SB_iNS9_4plusIvEENS9_8equal_toIvEEiEE10hipError_tPvRmT2_T3_T4_T5_mT6_T7_P12ihipStream_tbENKUlT_T0_E_clISt17integral_constantIbLb1EESW_EEDaSR_SS_EUlSR_E_NS1_11comp_targetILNS1_3genE10ELNS1_11target_archE1200ELNS1_3gpuE4ELNS1_3repE0EEENS1_30default_config_static_selectorELNS0_4arch9wavefront6targetE1EEEvT1_,comdat
.Lfunc_end2249:
	.size	_ZN7rocprim17ROCPRIM_400000_NS6detail17trampoline_kernelINS0_14default_configENS1_27scan_by_key_config_selectorIiiEEZZNS1_16scan_by_key_implILNS1_25lookback_scan_determinismE0ELb1ES3_N6thrust23THRUST_200600_302600_NS10device_ptrIiEESB_SB_iNS9_4plusIvEENS9_8equal_toIvEEiEE10hipError_tPvRmT2_T3_T4_T5_mT6_T7_P12ihipStream_tbENKUlT_T0_E_clISt17integral_constantIbLb1EESW_EEDaSR_SS_EUlSR_E_NS1_11comp_targetILNS1_3genE10ELNS1_11target_archE1200ELNS1_3gpuE4ELNS1_3repE0EEENS1_30default_config_static_selectorELNS0_4arch9wavefront6targetE1EEEvT1_, .Lfunc_end2249-_ZN7rocprim17ROCPRIM_400000_NS6detail17trampoline_kernelINS0_14default_configENS1_27scan_by_key_config_selectorIiiEEZZNS1_16scan_by_key_implILNS1_25lookback_scan_determinismE0ELb1ES3_N6thrust23THRUST_200600_302600_NS10device_ptrIiEESB_SB_iNS9_4plusIvEENS9_8equal_toIvEEiEE10hipError_tPvRmT2_T3_T4_T5_mT6_T7_P12ihipStream_tbENKUlT_T0_E_clISt17integral_constantIbLb1EESW_EEDaSR_SS_EUlSR_E_NS1_11comp_targetILNS1_3genE10ELNS1_11target_archE1200ELNS1_3gpuE4ELNS1_3repE0EEENS1_30default_config_static_selectorELNS0_4arch9wavefront6targetE1EEEvT1_
                                        ; -- End function
	.section	.AMDGPU.csdata,"",@progbits
; Kernel info:
; codeLenInByte = 0
; NumSgprs: 6
; NumVgprs: 0
; NumAgprs: 0
; TotalNumVgprs: 0
; ScratchSize: 0
; MemoryBound: 0
; FloatMode: 240
; IeeeMode: 1
; LDSByteSize: 0 bytes/workgroup (compile time only)
; SGPRBlocks: 0
; VGPRBlocks: 0
; NumSGPRsForWavesPerEU: 6
; NumVGPRsForWavesPerEU: 1
; AccumOffset: 4
; Occupancy: 8
; WaveLimiterHint : 0
; COMPUTE_PGM_RSRC2:SCRATCH_EN: 0
; COMPUTE_PGM_RSRC2:USER_SGPR: 2
; COMPUTE_PGM_RSRC2:TRAP_HANDLER: 0
; COMPUTE_PGM_RSRC2:TGID_X_EN: 1
; COMPUTE_PGM_RSRC2:TGID_Y_EN: 0
; COMPUTE_PGM_RSRC2:TGID_Z_EN: 0
; COMPUTE_PGM_RSRC2:TIDIG_COMP_CNT: 0
; COMPUTE_PGM_RSRC3_GFX90A:ACCUM_OFFSET: 0
; COMPUTE_PGM_RSRC3_GFX90A:TG_SPLIT: 0
	.section	.text._ZN7rocprim17ROCPRIM_400000_NS6detail17trampoline_kernelINS0_14default_configENS1_27scan_by_key_config_selectorIiiEEZZNS1_16scan_by_key_implILNS1_25lookback_scan_determinismE0ELb1ES3_N6thrust23THRUST_200600_302600_NS10device_ptrIiEESB_SB_iNS9_4plusIvEENS9_8equal_toIvEEiEE10hipError_tPvRmT2_T3_T4_T5_mT6_T7_P12ihipStream_tbENKUlT_T0_E_clISt17integral_constantIbLb1EESW_EEDaSR_SS_EUlSR_E_NS1_11comp_targetILNS1_3genE9ELNS1_11target_archE1100ELNS1_3gpuE3ELNS1_3repE0EEENS1_30default_config_static_selectorELNS0_4arch9wavefront6targetE1EEEvT1_,"axG",@progbits,_ZN7rocprim17ROCPRIM_400000_NS6detail17trampoline_kernelINS0_14default_configENS1_27scan_by_key_config_selectorIiiEEZZNS1_16scan_by_key_implILNS1_25lookback_scan_determinismE0ELb1ES3_N6thrust23THRUST_200600_302600_NS10device_ptrIiEESB_SB_iNS9_4plusIvEENS9_8equal_toIvEEiEE10hipError_tPvRmT2_T3_T4_T5_mT6_T7_P12ihipStream_tbENKUlT_T0_E_clISt17integral_constantIbLb1EESW_EEDaSR_SS_EUlSR_E_NS1_11comp_targetILNS1_3genE9ELNS1_11target_archE1100ELNS1_3gpuE3ELNS1_3repE0EEENS1_30default_config_static_selectorELNS0_4arch9wavefront6targetE1EEEvT1_,comdat
	.protected	_ZN7rocprim17ROCPRIM_400000_NS6detail17trampoline_kernelINS0_14default_configENS1_27scan_by_key_config_selectorIiiEEZZNS1_16scan_by_key_implILNS1_25lookback_scan_determinismE0ELb1ES3_N6thrust23THRUST_200600_302600_NS10device_ptrIiEESB_SB_iNS9_4plusIvEENS9_8equal_toIvEEiEE10hipError_tPvRmT2_T3_T4_T5_mT6_T7_P12ihipStream_tbENKUlT_T0_E_clISt17integral_constantIbLb1EESW_EEDaSR_SS_EUlSR_E_NS1_11comp_targetILNS1_3genE9ELNS1_11target_archE1100ELNS1_3gpuE3ELNS1_3repE0EEENS1_30default_config_static_selectorELNS0_4arch9wavefront6targetE1EEEvT1_ ; -- Begin function _ZN7rocprim17ROCPRIM_400000_NS6detail17trampoline_kernelINS0_14default_configENS1_27scan_by_key_config_selectorIiiEEZZNS1_16scan_by_key_implILNS1_25lookback_scan_determinismE0ELb1ES3_N6thrust23THRUST_200600_302600_NS10device_ptrIiEESB_SB_iNS9_4plusIvEENS9_8equal_toIvEEiEE10hipError_tPvRmT2_T3_T4_T5_mT6_T7_P12ihipStream_tbENKUlT_T0_E_clISt17integral_constantIbLb1EESW_EEDaSR_SS_EUlSR_E_NS1_11comp_targetILNS1_3genE9ELNS1_11target_archE1100ELNS1_3gpuE3ELNS1_3repE0EEENS1_30default_config_static_selectorELNS0_4arch9wavefront6targetE1EEEvT1_
	.globl	_ZN7rocprim17ROCPRIM_400000_NS6detail17trampoline_kernelINS0_14default_configENS1_27scan_by_key_config_selectorIiiEEZZNS1_16scan_by_key_implILNS1_25lookback_scan_determinismE0ELb1ES3_N6thrust23THRUST_200600_302600_NS10device_ptrIiEESB_SB_iNS9_4plusIvEENS9_8equal_toIvEEiEE10hipError_tPvRmT2_T3_T4_T5_mT6_T7_P12ihipStream_tbENKUlT_T0_E_clISt17integral_constantIbLb1EESW_EEDaSR_SS_EUlSR_E_NS1_11comp_targetILNS1_3genE9ELNS1_11target_archE1100ELNS1_3gpuE3ELNS1_3repE0EEENS1_30default_config_static_selectorELNS0_4arch9wavefront6targetE1EEEvT1_
	.p2align	8
	.type	_ZN7rocprim17ROCPRIM_400000_NS6detail17trampoline_kernelINS0_14default_configENS1_27scan_by_key_config_selectorIiiEEZZNS1_16scan_by_key_implILNS1_25lookback_scan_determinismE0ELb1ES3_N6thrust23THRUST_200600_302600_NS10device_ptrIiEESB_SB_iNS9_4plusIvEENS9_8equal_toIvEEiEE10hipError_tPvRmT2_T3_T4_T5_mT6_T7_P12ihipStream_tbENKUlT_T0_E_clISt17integral_constantIbLb1EESW_EEDaSR_SS_EUlSR_E_NS1_11comp_targetILNS1_3genE9ELNS1_11target_archE1100ELNS1_3gpuE3ELNS1_3repE0EEENS1_30default_config_static_selectorELNS0_4arch9wavefront6targetE1EEEvT1_,@function
_ZN7rocprim17ROCPRIM_400000_NS6detail17trampoline_kernelINS0_14default_configENS1_27scan_by_key_config_selectorIiiEEZZNS1_16scan_by_key_implILNS1_25lookback_scan_determinismE0ELb1ES3_N6thrust23THRUST_200600_302600_NS10device_ptrIiEESB_SB_iNS9_4plusIvEENS9_8equal_toIvEEiEE10hipError_tPvRmT2_T3_T4_T5_mT6_T7_P12ihipStream_tbENKUlT_T0_E_clISt17integral_constantIbLb1EESW_EEDaSR_SS_EUlSR_E_NS1_11comp_targetILNS1_3genE9ELNS1_11target_archE1100ELNS1_3gpuE3ELNS1_3repE0EEENS1_30default_config_static_selectorELNS0_4arch9wavefront6targetE1EEEvT1_: ; @_ZN7rocprim17ROCPRIM_400000_NS6detail17trampoline_kernelINS0_14default_configENS1_27scan_by_key_config_selectorIiiEEZZNS1_16scan_by_key_implILNS1_25lookback_scan_determinismE0ELb1ES3_N6thrust23THRUST_200600_302600_NS10device_ptrIiEESB_SB_iNS9_4plusIvEENS9_8equal_toIvEEiEE10hipError_tPvRmT2_T3_T4_T5_mT6_T7_P12ihipStream_tbENKUlT_T0_E_clISt17integral_constantIbLb1EESW_EEDaSR_SS_EUlSR_E_NS1_11comp_targetILNS1_3genE9ELNS1_11target_archE1100ELNS1_3gpuE3ELNS1_3repE0EEENS1_30default_config_static_selectorELNS0_4arch9wavefront6targetE1EEEvT1_
; %bb.0:
	.section	.rodata,"a",@progbits
	.p2align	6, 0x0
	.amdhsa_kernel _ZN7rocprim17ROCPRIM_400000_NS6detail17trampoline_kernelINS0_14default_configENS1_27scan_by_key_config_selectorIiiEEZZNS1_16scan_by_key_implILNS1_25lookback_scan_determinismE0ELb1ES3_N6thrust23THRUST_200600_302600_NS10device_ptrIiEESB_SB_iNS9_4plusIvEENS9_8equal_toIvEEiEE10hipError_tPvRmT2_T3_T4_T5_mT6_T7_P12ihipStream_tbENKUlT_T0_E_clISt17integral_constantIbLb1EESW_EEDaSR_SS_EUlSR_E_NS1_11comp_targetILNS1_3genE9ELNS1_11target_archE1100ELNS1_3gpuE3ELNS1_3repE0EEENS1_30default_config_static_selectorELNS0_4arch9wavefront6targetE1EEEvT1_
		.amdhsa_group_segment_fixed_size 0
		.amdhsa_private_segment_fixed_size 0
		.amdhsa_kernarg_size 112
		.amdhsa_user_sgpr_count 2
		.amdhsa_user_sgpr_dispatch_ptr 0
		.amdhsa_user_sgpr_queue_ptr 0
		.amdhsa_user_sgpr_kernarg_segment_ptr 1
		.amdhsa_user_sgpr_dispatch_id 0
		.amdhsa_user_sgpr_kernarg_preload_length 0
		.amdhsa_user_sgpr_kernarg_preload_offset 0
		.amdhsa_user_sgpr_private_segment_size 0
		.amdhsa_uses_dynamic_stack 0
		.amdhsa_enable_private_segment 0
		.amdhsa_system_sgpr_workgroup_id_x 1
		.amdhsa_system_sgpr_workgroup_id_y 0
		.amdhsa_system_sgpr_workgroup_id_z 0
		.amdhsa_system_sgpr_workgroup_info 0
		.amdhsa_system_vgpr_workitem_id 0
		.amdhsa_next_free_vgpr 1
		.amdhsa_next_free_sgpr 0
		.amdhsa_accum_offset 4
		.amdhsa_reserve_vcc 0
		.amdhsa_float_round_mode_32 0
		.amdhsa_float_round_mode_16_64 0
		.amdhsa_float_denorm_mode_32 3
		.amdhsa_float_denorm_mode_16_64 3
		.amdhsa_dx10_clamp 1
		.amdhsa_ieee_mode 1
		.amdhsa_fp16_overflow 0
		.amdhsa_tg_split 0
		.amdhsa_exception_fp_ieee_invalid_op 0
		.amdhsa_exception_fp_denorm_src 0
		.amdhsa_exception_fp_ieee_div_zero 0
		.amdhsa_exception_fp_ieee_overflow 0
		.amdhsa_exception_fp_ieee_underflow 0
		.amdhsa_exception_fp_ieee_inexact 0
		.amdhsa_exception_int_div_zero 0
	.end_amdhsa_kernel
	.section	.text._ZN7rocprim17ROCPRIM_400000_NS6detail17trampoline_kernelINS0_14default_configENS1_27scan_by_key_config_selectorIiiEEZZNS1_16scan_by_key_implILNS1_25lookback_scan_determinismE0ELb1ES3_N6thrust23THRUST_200600_302600_NS10device_ptrIiEESB_SB_iNS9_4plusIvEENS9_8equal_toIvEEiEE10hipError_tPvRmT2_T3_T4_T5_mT6_T7_P12ihipStream_tbENKUlT_T0_E_clISt17integral_constantIbLb1EESW_EEDaSR_SS_EUlSR_E_NS1_11comp_targetILNS1_3genE9ELNS1_11target_archE1100ELNS1_3gpuE3ELNS1_3repE0EEENS1_30default_config_static_selectorELNS0_4arch9wavefront6targetE1EEEvT1_,"axG",@progbits,_ZN7rocprim17ROCPRIM_400000_NS6detail17trampoline_kernelINS0_14default_configENS1_27scan_by_key_config_selectorIiiEEZZNS1_16scan_by_key_implILNS1_25lookback_scan_determinismE0ELb1ES3_N6thrust23THRUST_200600_302600_NS10device_ptrIiEESB_SB_iNS9_4plusIvEENS9_8equal_toIvEEiEE10hipError_tPvRmT2_T3_T4_T5_mT6_T7_P12ihipStream_tbENKUlT_T0_E_clISt17integral_constantIbLb1EESW_EEDaSR_SS_EUlSR_E_NS1_11comp_targetILNS1_3genE9ELNS1_11target_archE1100ELNS1_3gpuE3ELNS1_3repE0EEENS1_30default_config_static_selectorELNS0_4arch9wavefront6targetE1EEEvT1_,comdat
.Lfunc_end2250:
	.size	_ZN7rocprim17ROCPRIM_400000_NS6detail17trampoline_kernelINS0_14default_configENS1_27scan_by_key_config_selectorIiiEEZZNS1_16scan_by_key_implILNS1_25lookback_scan_determinismE0ELb1ES3_N6thrust23THRUST_200600_302600_NS10device_ptrIiEESB_SB_iNS9_4plusIvEENS9_8equal_toIvEEiEE10hipError_tPvRmT2_T3_T4_T5_mT6_T7_P12ihipStream_tbENKUlT_T0_E_clISt17integral_constantIbLb1EESW_EEDaSR_SS_EUlSR_E_NS1_11comp_targetILNS1_3genE9ELNS1_11target_archE1100ELNS1_3gpuE3ELNS1_3repE0EEENS1_30default_config_static_selectorELNS0_4arch9wavefront6targetE1EEEvT1_, .Lfunc_end2250-_ZN7rocprim17ROCPRIM_400000_NS6detail17trampoline_kernelINS0_14default_configENS1_27scan_by_key_config_selectorIiiEEZZNS1_16scan_by_key_implILNS1_25lookback_scan_determinismE0ELb1ES3_N6thrust23THRUST_200600_302600_NS10device_ptrIiEESB_SB_iNS9_4plusIvEENS9_8equal_toIvEEiEE10hipError_tPvRmT2_T3_T4_T5_mT6_T7_P12ihipStream_tbENKUlT_T0_E_clISt17integral_constantIbLb1EESW_EEDaSR_SS_EUlSR_E_NS1_11comp_targetILNS1_3genE9ELNS1_11target_archE1100ELNS1_3gpuE3ELNS1_3repE0EEENS1_30default_config_static_selectorELNS0_4arch9wavefront6targetE1EEEvT1_
                                        ; -- End function
	.section	.AMDGPU.csdata,"",@progbits
; Kernel info:
; codeLenInByte = 0
; NumSgprs: 6
; NumVgprs: 0
; NumAgprs: 0
; TotalNumVgprs: 0
; ScratchSize: 0
; MemoryBound: 0
; FloatMode: 240
; IeeeMode: 1
; LDSByteSize: 0 bytes/workgroup (compile time only)
; SGPRBlocks: 0
; VGPRBlocks: 0
; NumSGPRsForWavesPerEU: 6
; NumVGPRsForWavesPerEU: 1
; AccumOffset: 4
; Occupancy: 8
; WaveLimiterHint : 0
; COMPUTE_PGM_RSRC2:SCRATCH_EN: 0
; COMPUTE_PGM_RSRC2:USER_SGPR: 2
; COMPUTE_PGM_RSRC2:TRAP_HANDLER: 0
; COMPUTE_PGM_RSRC2:TGID_X_EN: 1
; COMPUTE_PGM_RSRC2:TGID_Y_EN: 0
; COMPUTE_PGM_RSRC2:TGID_Z_EN: 0
; COMPUTE_PGM_RSRC2:TIDIG_COMP_CNT: 0
; COMPUTE_PGM_RSRC3_GFX90A:ACCUM_OFFSET: 0
; COMPUTE_PGM_RSRC3_GFX90A:TG_SPLIT: 0
	.section	.text._ZN7rocprim17ROCPRIM_400000_NS6detail17trampoline_kernelINS0_14default_configENS1_27scan_by_key_config_selectorIiiEEZZNS1_16scan_by_key_implILNS1_25lookback_scan_determinismE0ELb1ES3_N6thrust23THRUST_200600_302600_NS10device_ptrIiEESB_SB_iNS9_4plusIvEENS9_8equal_toIvEEiEE10hipError_tPvRmT2_T3_T4_T5_mT6_T7_P12ihipStream_tbENKUlT_T0_E_clISt17integral_constantIbLb1EESW_EEDaSR_SS_EUlSR_E_NS1_11comp_targetILNS1_3genE8ELNS1_11target_archE1030ELNS1_3gpuE2ELNS1_3repE0EEENS1_30default_config_static_selectorELNS0_4arch9wavefront6targetE1EEEvT1_,"axG",@progbits,_ZN7rocprim17ROCPRIM_400000_NS6detail17trampoline_kernelINS0_14default_configENS1_27scan_by_key_config_selectorIiiEEZZNS1_16scan_by_key_implILNS1_25lookback_scan_determinismE0ELb1ES3_N6thrust23THRUST_200600_302600_NS10device_ptrIiEESB_SB_iNS9_4plusIvEENS9_8equal_toIvEEiEE10hipError_tPvRmT2_T3_T4_T5_mT6_T7_P12ihipStream_tbENKUlT_T0_E_clISt17integral_constantIbLb1EESW_EEDaSR_SS_EUlSR_E_NS1_11comp_targetILNS1_3genE8ELNS1_11target_archE1030ELNS1_3gpuE2ELNS1_3repE0EEENS1_30default_config_static_selectorELNS0_4arch9wavefront6targetE1EEEvT1_,comdat
	.protected	_ZN7rocprim17ROCPRIM_400000_NS6detail17trampoline_kernelINS0_14default_configENS1_27scan_by_key_config_selectorIiiEEZZNS1_16scan_by_key_implILNS1_25lookback_scan_determinismE0ELb1ES3_N6thrust23THRUST_200600_302600_NS10device_ptrIiEESB_SB_iNS9_4plusIvEENS9_8equal_toIvEEiEE10hipError_tPvRmT2_T3_T4_T5_mT6_T7_P12ihipStream_tbENKUlT_T0_E_clISt17integral_constantIbLb1EESW_EEDaSR_SS_EUlSR_E_NS1_11comp_targetILNS1_3genE8ELNS1_11target_archE1030ELNS1_3gpuE2ELNS1_3repE0EEENS1_30default_config_static_selectorELNS0_4arch9wavefront6targetE1EEEvT1_ ; -- Begin function _ZN7rocprim17ROCPRIM_400000_NS6detail17trampoline_kernelINS0_14default_configENS1_27scan_by_key_config_selectorIiiEEZZNS1_16scan_by_key_implILNS1_25lookback_scan_determinismE0ELb1ES3_N6thrust23THRUST_200600_302600_NS10device_ptrIiEESB_SB_iNS9_4plusIvEENS9_8equal_toIvEEiEE10hipError_tPvRmT2_T3_T4_T5_mT6_T7_P12ihipStream_tbENKUlT_T0_E_clISt17integral_constantIbLb1EESW_EEDaSR_SS_EUlSR_E_NS1_11comp_targetILNS1_3genE8ELNS1_11target_archE1030ELNS1_3gpuE2ELNS1_3repE0EEENS1_30default_config_static_selectorELNS0_4arch9wavefront6targetE1EEEvT1_
	.globl	_ZN7rocprim17ROCPRIM_400000_NS6detail17trampoline_kernelINS0_14default_configENS1_27scan_by_key_config_selectorIiiEEZZNS1_16scan_by_key_implILNS1_25lookback_scan_determinismE0ELb1ES3_N6thrust23THRUST_200600_302600_NS10device_ptrIiEESB_SB_iNS9_4plusIvEENS9_8equal_toIvEEiEE10hipError_tPvRmT2_T3_T4_T5_mT6_T7_P12ihipStream_tbENKUlT_T0_E_clISt17integral_constantIbLb1EESW_EEDaSR_SS_EUlSR_E_NS1_11comp_targetILNS1_3genE8ELNS1_11target_archE1030ELNS1_3gpuE2ELNS1_3repE0EEENS1_30default_config_static_selectorELNS0_4arch9wavefront6targetE1EEEvT1_
	.p2align	8
	.type	_ZN7rocprim17ROCPRIM_400000_NS6detail17trampoline_kernelINS0_14default_configENS1_27scan_by_key_config_selectorIiiEEZZNS1_16scan_by_key_implILNS1_25lookback_scan_determinismE0ELb1ES3_N6thrust23THRUST_200600_302600_NS10device_ptrIiEESB_SB_iNS9_4plusIvEENS9_8equal_toIvEEiEE10hipError_tPvRmT2_T3_T4_T5_mT6_T7_P12ihipStream_tbENKUlT_T0_E_clISt17integral_constantIbLb1EESW_EEDaSR_SS_EUlSR_E_NS1_11comp_targetILNS1_3genE8ELNS1_11target_archE1030ELNS1_3gpuE2ELNS1_3repE0EEENS1_30default_config_static_selectorELNS0_4arch9wavefront6targetE1EEEvT1_,@function
_ZN7rocprim17ROCPRIM_400000_NS6detail17trampoline_kernelINS0_14default_configENS1_27scan_by_key_config_selectorIiiEEZZNS1_16scan_by_key_implILNS1_25lookback_scan_determinismE0ELb1ES3_N6thrust23THRUST_200600_302600_NS10device_ptrIiEESB_SB_iNS9_4plusIvEENS9_8equal_toIvEEiEE10hipError_tPvRmT2_T3_T4_T5_mT6_T7_P12ihipStream_tbENKUlT_T0_E_clISt17integral_constantIbLb1EESW_EEDaSR_SS_EUlSR_E_NS1_11comp_targetILNS1_3genE8ELNS1_11target_archE1030ELNS1_3gpuE2ELNS1_3repE0EEENS1_30default_config_static_selectorELNS0_4arch9wavefront6targetE1EEEvT1_: ; @_ZN7rocprim17ROCPRIM_400000_NS6detail17trampoline_kernelINS0_14default_configENS1_27scan_by_key_config_selectorIiiEEZZNS1_16scan_by_key_implILNS1_25lookback_scan_determinismE0ELb1ES3_N6thrust23THRUST_200600_302600_NS10device_ptrIiEESB_SB_iNS9_4plusIvEENS9_8equal_toIvEEiEE10hipError_tPvRmT2_T3_T4_T5_mT6_T7_P12ihipStream_tbENKUlT_T0_E_clISt17integral_constantIbLb1EESW_EEDaSR_SS_EUlSR_E_NS1_11comp_targetILNS1_3genE8ELNS1_11target_archE1030ELNS1_3gpuE2ELNS1_3repE0EEENS1_30default_config_static_selectorELNS0_4arch9wavefront6targetE1EEEvT1_
; %bb.0:
	.section	.rodata,"a",@progbits
	.p2align	6, 0x0
	.amdhsa_kernel _ZN7rocprim17ROCPRIM_400000_NS6detail17trampoline_kernelINS0_14default_configENS1_27scan_by_key_config_selectorIiiEEZZNS1_16scan_by_key_implILNS1_25lookback_scan_determinismE0ELb1ES3_N6thrust23THRUST_200600_302600_NS10device_ptrIiEESB_SB_iNS9_4plusIvEENS9_8equal_toIvEEiEE10hipError_tPvRmT2_T3_T4_T5_mT6_T7_P12ihipStream_tbENKUlT_T0_E_clISt17integral_constantIbLb1EESW_EEDaSR_SS_EUlSR_E_NS1_11comp_targetILNS1_3genE8ELNS1_11target_archE1030ELNS1_3gpuE2ELNS1_3repE0EEENS1_30default_config_static_selectorELNS0_4arch9wavefront6targetE1EEEvT1_
		.amdhsa_group_segment_fixed_size 0
		.amdhsa_private_segment_fixed_size 0
		.amdhsa_kernarg_size 112
		.amdhsa_user_sgpr_count 2
		.amdhsa_user_sgpr_dispatch_ptr 0
		.amdhsa_user_sgpr_queue_ptr 0
		.amdhsa_user_sgpr_kernarg_segment_ptr 1
		.amdhsa_user_sgpr_dispatch_id 0
		.amdhsa_user_sgpr_kernarg_preload_length 0
		.amdhsa_user_sgpr_kernarg_preload_offset 0
		.amdhsa_user_sgpr_private_segment_size 0
		.amdhsa_uses_dynamic_stack 0
		.amdhsa_enable_private_segment 0
		.amdhsa_system_sgpr_workgroup_id_x 1
		.amdhsa_system_sgpr_workgroup_id_y 0
		.amdhsa_system_sgpr_workgroup_id_z 0
		.amdhsa_system_sgpr_workgroup_info 0
		.amdhsa_system_vgpr_workitem_id 0
		.amdhsa_next_free_vgpr 1
		.amdhsa_next_free_sgpr 0
		.amdhsa_accum_offset 4
		.amdhsa_reserve_vcc 0
		.amdhsa_float_round_mode_32 0
		.amdhsa_float_round_mode_16_64 0
		.amdhsa_float_denorm_mode_32 3
		.amdhsa_float_denorm_mode_16_64 3
		.amdhsa_dx10_clamp 1
		.amdhsa_ieee_mode 1
		.amdhsa_fp16_overflow 0
		.amdhsa_tg_split 0
		.amdhsa_exception_fp_ieee_invalid_op 0
		.amdhsa_exception_fp_denorm_src 0
		.amdhsa_exception_fp_ieee_div_zero 0
		.amdhsa_exception_fp_ieee_overflow 0
		.amdhsa_exception_fp_ieee_underflow 0
		.amdhsa_exception_fp_ieee_inexact 0
		.amdhsa_exception_int_div_zero 0
	.end_amdhsa_kernel
	.section	.text._ZN7rocprim17ROCPRIM_400000_NS6detail17trampoline_kernelINS0_14default_configENS1_27scan_by_key_config_selectorIiiEEZZNS1_16scan_by_key_implILNS1_25lookback_scan_determinismE0ELb1ES3_N6thrust23THRUST_200600_302600_NS10device_ptrIiEESB_SB_iNS9_4plusIvEENS9_8equal_toIvEEiEE10hipError_tPvRmT2_T3_T4_T5_mT6_T7_P12ihipStream_tbENKUlT_T0_E_clISt17integral_constantIbLb1EESW_EEDaSR_SS_EUlSR_E_NS1_11comp_targetILNS1_3genE8ELNS1_11target_archE1030ELNS1_3gpuE2ELNS1_3repE0EEENS1_30default_config_static_selectorELNS0_4arch9wavefront6targetE1EEEvT1_,"axG",@progbits,_ZN7rocprim17ROCPRIM_400000_NS6detail17trampoline_kernelINS0_14default_configENS1_27scan_by_key_config_selectorIiiEEZZNS1_16scan_by_key_implILNS1_25lookback_scan_determinismE0ELb1ES3_N6thrust23THRUST_200600_302600_NS10device_ptrIiEESB_SB_iNS9_4plusIvEENS9_8equal_toIvEEiEE10hipError_tPvRmT2_T3_T4_T5_mT6_T7_P12ihipStream_tbENKUlT_T0_E_clISt17integral_constantIbLb1EESW_EEDaSR_SS_EUlSR_E_NS1_11comp_targetILNS1_3genE8ELNS1_11target_archE1030ELNS1_3gpuE2ELNS1_3repE0EEENS1_30default_config_static_selectorELNS0_4arch9wavefront6targetE1EEEvT1_,comdat
.Lfunc_end2251:
	.size	_ZN7rocprim17ROCPRIM_400000_NS6detail17trampoline_kernelINS0_14default_configENS1_27scan_by_key_config_selectorIiiEEZZNS1_16scan_by_key_implILNS1_25lookback_scan_determinismE0ELb1ES3_N6thrust23THRUST_200600_302600_NS10device_ptrIiEESB_SB_iNS9_4plusIvEENS9_8equal_toIvEEiEE10hipError_tPvRmT2_T3_T4_T5_mT6_T7_P12ihipStream_tbENKUlT_T0_E_clISt17integral_constantIbLb1EESW_EEDaSR_SS_EUlSR_E_NS1_11comp_targetILNS1_3genE8ELNS1_11target_archE1030ELNS1_3gpuE2ELNS1_3repE0EEENS1_30default_config_static_selectorELNS0_4arch9wavefront6targetE1EEEvT1_, .Lfunc_end2251-_ZN7rocprim17ROCPRIM_400000_NS6detail17trampoline_kernelINS0_14default_configENS1_27scan_by_key_config_selectorIiiEEZZNS1_16scan_by_key_implILNS1_25lookback_scan_determinismE0ELb1ES3_N6thrust23THRUST_200600_302600_NS10device_ptrIiEESB_SB_iNS9_4plusIvEENS9_8equal_toIvEEiEE10hipError_tPvRmT2_T3_T4_T5_mT6_T7_P12ihipStream_tbENKUlT_T0_E_clISt17integral_constantIbLb1EESW_EEDaSR_SS_EUlSR_E_NS1_11comp_targetILNS1_3genE8ELNS1_11target_archE1030ELNS1_3gpuE2ELNS1_3repE0EEENS1_30default_config_static_selectorELNS0_4arch9wavefront6targetE1EEEvT1_
                                        ; -- End function
	.section	.AMDGPU.csdata,"",@progbits
; Kernel info:
; codeLenInByte = 0
; NumSgprs: 6
; NumVgprs: 0
; NumAgprs: 0
; TotalNumVgprs: 0
; ScratchSize: 0
; MemoryBound: 0
; FloatMode: 240
; IeeeMode: 1
; LDSByteSize: 0 bytes/workgroup (compile time only)
; SGPRBlocks: 0
; VGPRBlocks: 0
; NumSGPRsForWavesPerEU: 6
; NumVGPRsForWavesPerEU: 1
; AccumOffset: 4
; Occupancy: 8
; WaveLimiterHint : 0
; COMPUTE_PGM_RSRC2:SCRATCH_EN: 0
; COMPUTE_PGM_RSRC2:USER_SGPR: 2
; COMPUTE_PGM_RSRC2:TRAP_HANDLER: 0
; COMPUTE_PGM_RSRC2:TGID_X_EN: 1
; COMPUTE_PGM_RSRC2:TGID_Y_EN: 0
; COMPUTE_PGM_RSRC2:TGID_Z_EN: 0
; COMPUTE_PGM_RSRC2:TIDIG_COMP_CNT: 0
; COMPUTE_PGM_RSRC3_GFX90A:ACCUM_OFFSET: 0
; COMPUTE_PGM_RSRC3_GFX90A:TG_SPLIT: 0
	.section	.text._ZN7rocprim17ROCPRIM_400000_NS6detail17trampoline_kernelINS0_14default_configENS1_27scan_by_key_config_selectorIiiEEZZNS1_16scan_by_key_implILNS1_25lookback_scan_determinismE0ELb1ES3_N6thrust23THRUST_200600_302600_NS10device_ptrIiEESB_SB_iNS9_4plusIvEENS9_8equal_toIvEEiEE10hipError_tPvRmT2_T3_T4_T5_mT6_T7_P12ihipStream_tbENKUlT_T0_E_clISt17integral_constantIbLb1EESV_IbLb0EEEEDaSR_SS_EUlSR_E_NS1_11comp_targetILNS1_3genE0ELNS1_11target_archE4294967295ELNS1_3gpuE0ELNS1_3repE0EEENS1_30default_config_static_selectorELNS0_4arch9wavefront6targetE1EEEvT1_,"axG",@progbits,_ZN7rocprim17ROCPRIM_400000_NS6detail17trampoline_kernelINS0_14default_configENS1_27scan_by_key_config_selectorIiiEEZZNS1_16scan_by_key_implILNS1_25lookback_scan_determinismE0ELb1ES3_N6thrust23THRUST_200600_302600_NS10device_ptrIiEESB_SB_iNS9_4plusIvEENS9_8equal_toIvEEiEE10hipError_tPvRmT2_T3_T4_T5_mT6_T7_P12ihipStream_tbENKUlT_T0_E_clISt17integral_constantIbLb1EESV_IbLb0EEEEDaSR_SS_EUlSR_E_NS1_11comp_targetILNS1_3genE0ELNS1_11target_archE4294967295ELNS1_3gpuE0ELNS1_3repE0EEENS1_30default_config_static_selectorELNS0_4arch9wavefront6targetE1EEEvT1_,comdat
	.protected	_ZN7rocprim17ROCPRIM_400000_NS6detail17trampoline_kernelINS0_14default_configENS1_27scan_by_key_config_selectorIiiEEZZNS1_16scan_by_key_implILNS1_25lookback_scan_determinismE0ELb1ES3_N6thrust23THRUST_200600_302600_NS10device_ptrIiEESB_SB_iNS9_4plusIvEENS9_8equal_toIvEEiEE10hipError_tPvRmT2_T3_T4_T5_mT6_T7_P12ihipStream_tbENKUlT_T0_E_clISt17integral_constantIbLb1EESV_IbLb0EEEEDaSR_SS_EUlSR_E_NS1_11comp_targetILNS1_3genE0ELNS1_11target_archE4294967295ELNS1_3gpuE0ELNS1_3repE0EEENS1_30default_config_static_selectorELNS0_4arch9wavefront6targetE1EEEvT1_ ; -- Begin function _ZN7rocprim17ROCPRIM_400000_NS6detail17trampoline_kernelINS0_14default_configENS1_27scan_by_key_config_selectorIiiEEZZNS1_16scan_by_key_implILNS1_25lookback_scan_determinismE0ELb1ES3_N6thrust23THRUST_200600_302600_NS10device_ptrIiEESB_SB_iNS9_4plusIvEENS9_8equal_toIvEEiEE10hipError_tPvRmT2_T3_T4_T5_mT6_T7_P12ihipStream_tbENKUlT_T0_E_clISt17integral_constantIbLb1EESV_IbLb0EEEEDaSR_SS_EUlSR_E_NS1_11comp_targetILNS1_3genE0ELNS1_11target_archE4294967295ELNS1_3gpuE0ELNS1_3repE0EEENS1_30default_config_static_selectorELNS0_4arch9wavefront6targetE1EEEvT1_
	.globl	_ZN7rocprim17ROCPRIM_400000_NS6detail17trampoline_kernelINS0_14default_configENS1_27scan_by_key_config_selectorIiiEEZZNS1_16scan_by_key_implILNS1_25lookback_scan_determinismE0ELb1ES3_N6thrust23THRUST_200600_302600_NS10device_ptrIiEESB_SB_iNS9_4plusIvEENS9_8equal_toIvEEiEE10hipError_tPvRmT2_T3_T4_T5_mT6_T7_P12ihipStream_tbENKUlT_T0_E_clISt17integral_constantIbLb1EESV_IbLb0EEEEDaSR_SS_EUlSR_E_NS1_11comp_targetILNS1_3genE0ELNS1_11target_archE4294967295ELNS1_3gpuE0ELNS1_3repE0EEENS1_30default_config_static_selectorELNS0_4arch9wavefront6targetE1EEEvT1_
	.p2align	8
	.type	_ZN7rocprim17ROCPRIM_400000_NS6detail17trampoline_kernelINS0_14default_configENS1_27scan_by_key_config_selectorIiiEEZZNS1_16scan_by_key_implILNS1_25lookback_scan_determinismE0ELb1ES3_N6thrust23THRUST_200600_302600_NS10device_ptrIiEESB_SB_iNS9_4plusIvEENS9_8equal_toIvEEiEE10hipError_tPvRmT2_T3_T4_T5_mT6_T7_P12ihipStream_tbENKUlT_T0_E_clISt17integral_constantIbLb1EESV_IbLb0EEEEDaSR_SS_EUlSR_E_NS1_11comp_targetILNS1_3genE0ELNS1_11target_archE4294967295ELNS1_3gpuE0ELNS1_3repE0EEENS1_30default_config_static_selectorELNS0_4arch9wavefront6targetE1EEEvT1_,@function
_ZN7rocprim17ROCPRIM_400000_NS6detail17trampoline_kernelINS0_14default_configENS1_27scan_by_key_config_selectorIiiEEZZNS1_16scan_by_key_implILNS1_25lookback_scan_determinismE0ELb1ES3_N6thrust23THRUST_200600_302600_NS10device_ptrIiEESB_SB_iNS9_4plusIvEENS9_8equal_toIvEEiEE10hipError_tPvRmT2_T3_T4_T5_mT6_T7_P12ihipStream_tbENKUlT_T0_E_clISt17integral_constantIbLb1EESV_IbLb0EEEEDaSR_SS_EUlSR_E_NS1_11comp_targetILNS1_3genE0ELNS1_11target_archE4294967295ELNS1_3gpuE0ELNS1_3repE0EEENS1_30default_config_static_selectorELNS0_4arch9wavefront6targetE1EEEvT1_: ; @_ZN7rocprim17ROCPRIM_400000_NS6detail17trampoline_kernelINS0_14default_configENS1_27scan_by_key_config_selectorIiiEEZZNS1_16scan_by_key_implILNS1_25lookback_scan_determinismE0ELb1ES3_N6thrust23THRUST_200600_302600_NS10device_ptrIiEESB_SB_iNS9_4plusIvEENS9_8equal_toIvEEiEE10hipError_tPvRmT2_T3_T4_T5_mT6_T7_P12ihipStream_tbENKUlT_T0_E_clISt17integral_constantIbLb1EESV_IbLb0EEEEDaSR_SS_EUlSR_E_NS1_11comp_targetILNS1_3genE0ELNS1_11target_archE4294967295ELNS1_3gpuE0ELNS1_3repE0EEENS1_30default_config_static_selectorELNS0_4arch9wavefront6targetE1EEEvT1_
; %bb.0:
	.section	.rodata,"a",@progbits
	.p2align	6, 0x0
	.amdhsa_kernel _ZN7rocprim17ROCPRIM_400000_NS6detail17trampoline_kernelINS0_14default_configENS1_27scan_by_key_config_selectorIiiEEZZNS1_16scan_by_key_implILNS1_25lookback_scan_determinismE0ELb1ES3_N6thrust23THRUST_200600_302600_NS10device_ptrIiEESB_SB_iNS9_4plusIvEENS9_8equal_toIvEEiEE10hipError_tPvRmT2_T3_T4_T5_mT6_T7_P12ihipStream_tbENKUlT_T0_E_clISt17integral_constantIbLb1EESV_IbLb0EEEEDaSR_SS_EUlSR_E_NS1_11comp_targetILNS1_3genE0ELNS1_11target_archE4294967295ELNS1_3gpuE0ELNS1_3repE0EEENS1_30default_config_static_selectorELNS0_4arch9wavefront6targetE1EEEvT1_
		.amdhsa_group_segment_fixed_size 0
		.amdhsa_private_segment_fixed_size 0
		.amdhsa_kernarg_size 112
		.amdhsa_user_sgpr_count 2
		.amdhsa_user_sgpr_dispatch_ptr 0
		.amdhsa_user_sgpr_queue_ptr 0
		.amdhsa_user_sgpr_kernarg_segment_ptr 1
		.amdhsa_user_sgpr_dispatch_id 0
		.amdhsa_user_sgpr_kernarg_preload_length 0
		.amdhsa_user_sgpr_kernarg_preload_offset 0
		.amdhsa_user_sgpr_private_segment_size 0
		.amdhsa_uses_dynamic_stack 0
		.amdhsa_enable_private_segment 0
		.amdhsa_system_sgpr_workgroup_id_x 1
		.amdhsa_system_sgpr_workgroup_id_y 0
		.amdhsa_system_sgpr_workgroup_id_z 0
		.amdhsa_system_sgpr_workgroup_info 0
		.amdhsa_system_vgpr_workitem_id 0
		.amdhsa_next_free_vgpr 1
		.amdhsa_next_free_sgpr 0
		.amdhsa_accum_offset 4
		.amdhsa_reserve_vcc 0
		.amdhsa_float_round_mode_32 0
		.amdhsa_float_round_mode_16_64 0
		.amdhsa_float_denorm_mode_32 3
		.amdhsa_float_denorm_mode_16_64 3
		.amdhsa_dx10_clamp 1
		.amdhsa_ieee_mode 1
		.amdhsa_fp16_overflow 0
		.amdhsa_tg_split 0
		.amdhsa_exception_fp_ieee_invalid_op 0
		.amdhsa_exception_fp_denorm_src 0
		.amdhsa_exception_fp_ieee_div_zero 0
		.amdhsa_exception_fp_ieee_overflow 0
		.amdhsa_exception_fp_ieee_underflow 0
		.amdhsa_exception_fp_ieee_inexact 0
		.amdhsa_exception_int_div_zero 0
	.end_amdhsa_kernel
	.section	.text._ZN7rocprim17ROCPRIM_400000_NS6detail17trampoline_kernelINS0_14default_configENS1_27scan_by_key_config_selectorIiiEEZZNS1_16scan_by_key_implILNS1_25lookback_scan_determinismE0ELb1ES3_N6thrust23THRUST_200600_302600_NS10device_ptrIiEESB_SB_iNS9_4plusIvEENS9_8equal_toIvEEiEE10hipError_tPvRmT2_T3_T4_T5_mT6_T7_P12ihipStream_tbENKUlT_T0_E_clISt17integral_constantIbLb1EESV_IbLb0EEEEDaSR_SS_EUlSR_E_NS1_11comp_targetILNS1_3genE0ELNS1_11target_archE4294967295ELNS1_3gpuE0ELNS1_3repE0EEENS1_30default_config_static_selectorELNS0_4arch9wavefront6targetE1EEEvT1_,"axG",@progbits,_ZN7rocprim17ROCPRIM_400000_NS6detail17trampoline_kernelINS0_14default_configENS1_27scan_by_key_config_selectorIiiEEZZNS1_16scan_by_key_implILNS1_25lookback_scan_determinismE0ELb1ES3_N6thrust23THRUST_200600_302600_NS10device_ptrIiEESB_SB_iNS9_4plusIvEENS9_8equal_toIvEEiEE10hipError_tPvRmT2_T3_T4_T5_mT6_T7_P12ihipStream_tbENKUlT_T0_E_clISt17integral_constantIbLb1EESV_IbLb0EEEEDaSR_SS_EUlSR_E_NS1_11comp_targetILNS1_3genE0ELNS1_11target_archE4294967295ELNS1_3gpuE0ELNS1_3repE0EEENS1_30default_config_static_selectorELNS0_4arch9wavefront6targetE1EEEvT1_,comdat
.Lfunc_end2252:
	.size	_ZN7rocprim17ROCPRIM_400000_NS6detail17trampoline_kernelINS0_14default_configENS1_27scan_by_key_config_selectorIiiEEZZNS1_16scan_by_key_implILNS1_25lookback_scan_determinismE0ELb1ES3_N6thrust23THRUST_200600_302600_NS10device_ptrIiEESB_SB_iNS9_4plusIvEENS9_8equal_toIvEEiEE10hipError_tPvRmT2_T3_T4_T5_mT6_T7_P12ihipStream_tbENKUlT_T0_E_clISt17integral_constantIbLb1EESV_IbLb0EEEEDaSR_SS_EUlSR_E_NS1_11comp_targetILNS1_3genE0ELNS1_11target_archE4294967295ELNS1_3gpuE0ELNS1_3repE0EEENS1_30default_config_static_selectorELNS0_4arch9wavefront6targetE1EEEvT1_, .Lfunc_end2252-_ZN7rocprim17ROCPRIM_400000_NS6detail17trampoline_kernelINS0_14default_configENS1_27scan_by_key_config_selectorIiiEEZZNS1_16scan_by_key_implILNS1_25lookback_scan_determinismE0ELb1ES3_N6thrust23THRUST_200600_302600_NS10device_ptrIiEESB_SB_iNS9_4plusIvEENS9_8equal_toIvEEiEE10hipError_tPvRmT2_T3_T4_T5_mT6_T7_P12ihipStream_tbENKUlT_T0_E_clISt17integral_constantIbLb1EESV_IbLb0EEEEDaSR_SS_EUlSR_E_NS1_11comp_targetILNS1_3genE0ELNS1_11target_archE4294967295ELNS1_3gpuE0ELNS1_3repE0EEENS1_30default_config_static_selectorELNS0_4arch9wavefront6targetE1EEEvT1_
                                        ; -- End function
	.section	.AMDGPU.csdata,"",@progbits
; Kernel info:
; codeLenInByte = 0
; NumSgprs: 6
; NumVgprs: 0
; NumAgprs: 0
; TotalNumVgprs: 0
; ScratchSize: 0
; MemoryBound: 0
; FloatMode: 240
; IeeeMode: 1
; LDSByteSize: 0 bytes/workgroup (compile time only)
; SGPRBlocks: 0
; VGPRBlocks: 0
; NumSGPRsForWavesPerEU: 6
; NumVGPRsForWavesPerEU: 1
; AccumOffset: 4
; Occupancy: 8
; WaveLimiterHint : 0
; COMPUTE_PGM_RSRC2:SCRATCH_EN: 0
; COMPUTE_PGM_RSRC2:USER_SGPR: 2
; COMPUTE_PGM_RSRC2:TRAP_HANDLER: 0
; COMPUTE_PGM_RSRC2:TGID_X_EN: 1
; COMPUTE_PGM_RSRC2:TGID_Y_EN: 0
; COMPUTE_PGM_RSRC2:TGID_Z_EN: 0
; COMPUTE_PGM_RSRC2:TIDIG_COMP_CNT: 0
; COMPUTE_PGM_RSRC3_GFX90A:ACCUM_OFFSET: 0
; COMPUTE_PGM_RSRC3_GFX90A:TG_SPLIT: 0
	.section	.text._ZN7rocprim17ROCPRIM_400000_NS6detail17trampoline_kernelINS0_14default_configENS1_27scan_by_key_config_selectorIiiEEZZNS1_16scan_by_key_implILNS1_25lookback_scan_determinismE0ELb1ES3_N6thrust23THRUST_200600_302600_NS10device_ptrIiEESB_SB_iNS9_4plusIvEENS9_8equal_toIvEEiEE10hipError_tPvRmT2_T3_T4_T5_mT6_T7_P12ihipStream_tbENKUlT_T0_E_clISt17integral_constantIbLb1EESV_IbLb0EEEEDaSR_SS_EUlSR_E_NS1_11comp_targetILNS1_3genE10ELNS1_11target_archE1201ELNS1_3gpuE5ELNS1_3repE0EEENS1_30default_config_static_selectorELNS0_4arch9wavefront6targetE1EEEvT1_,"axG",@progbits,_ZN7rocprim17ROCPRIM_400000_NS6detail17trampoline_kernelINS0_14default_configENS1_27scan_by_key_config_selectorIiiEEZZNS1_16scan_by_key_implILNS1_25lookback_scan_determinismE0ELb1ES3_N6thrust23THRUST_200600_302600_NS10device_ptrIiEESB_SB_iNS9_4plusIvEENS9_8equal_toIvEEiEE10hipError_tPvRmT2_T3_T4_T5_mT6_T7_P12ihipStream_tbENKUlT_T0_E_clISt17integral_constantIbLb1EESV_IbLb0EEEEDaSR_SS_EUlSR_E_NS1_11comp_targetILNS1_3genE10ELNS1_11target_archE1201ELNS1_3gpuE5ELNS1_3repE0EEENS1_30default_config_static_selectorELNS0_4arch9wavefront6targetE1EEEvT1_,comdat
	.protected	_ZN7rocprim17ROCPRIM_400000_NS6detail17trampoline_kernelINS0_14default_configENS1_27scan_by_key_config_selectorIiiEEZZNS1_16scan_by_key_implILNS1_25lookback_scan_determinismE0ELb1ES3_N6thrust23THRUST_200600_302600_NS10device_ptrIiEESB_SB_iNS9_4plusIvEENS9_8equal_toIvEEiEE10hipError_tPvRmT2_T3_T4_T5_mT6_T7_P12ihipStream_tbENKUlT_T0_E_clISt17integral_constantIbLb1EESV_IbLb0EEEEDaSR_SS_EUlSR_E_NS1_11comp_targetILNS1_3genE10ELNS1_11target_archE1201ELNS1_3gpuE5ELNS1_3repE0EEENS1_30default_config_static_selectorELNS0_4arch9wavefront6targetE1EEEvT1_ ; -- Begin function _ZN7rocprim17ROCPRIM_400000_NS6detail17trampoline_kernelINS0_14default_configENS1_27scan_by_key_config_selectorIiiEEZZNS1_16scan_by_key_implILNS1_25lookback_scan_determinismE0ELb1ES3_N6thrust23THRUST_200600_302600_NS10device_ptrIiEESB_SB_iNS9_4plusIvEENS9_8equal_toIvEEiEE10hipError_tPvRmT2_T3_T4_T5_mT6_T7_P12ihipStream_tbENKUlT_T0_E_clISt17integral_constantIbLb1EESV_IbLb0EEEEDaSR_SS_EUlSR_E_NS1_11comp_targetILNS1_3genE10ELNS1_11target_archE1201ELNS1_3gpuE5ELNS1_3repE0EEENS1_30default_config_static_selectorELNS0_4arch9wavefront6targetE1EEEvT1_
	.globl	_ZN7rocprim17ROCPRIM_400000_NS6detail17trampoline_kernelINS0_14default_configENS1_27scan_by_key_config_selectorIiiEEZZNS1_16scan_by_key_implILNS1_25lookback_scan_determinismE0ELb1ES3_N6thrust23THRUST_200600_302600_NS10device_ptrIiEESB_SB_iNS9_4plusIvEENS9_8equal_toIvEEiEE10hipError_tPvRmT2_T3_T4_T5_mT6_T7_P12ihipStream_tbENKUlT_T0_E_clISt17integral_constantIbLb1EESV_IbLb0EEEEDaSR_SS_EUlSR_E_NS1_11comp_targetILNS1_3genE10ELNS1_11target_archE1201ELNS1_3gpuE5ELNS1_3repE0EEENS1_30default_config_static_selectorELNS0_4arch9wavefront6targetE1EEEvT1_
	.p2align	8
	.type	_ZN7rocprim17ROCPRIM_400000_NS6detail17trampoline_kernelINS0_14default_configENS1_27scan_by_key_config_selectorIiiEEZZNS1_16scan_by_key_implILNS1_25lookback_scan_determinismE0ELb1ES3_N6thrust23THRUST_200600_302600_NS10device_ptrIiEESB_SB_iNS9_4plusIvEENS9_8equal_toIvEEiEE10hipError_tPvRmT2_T3_T4_T5_mT6_T7_P12ihipStream_tbENKUlT_T0_E_clISt17integral_constantIbLb1EESV_IbLb0EEEEDaSR_SS_EUlSR_E_NS1_11comp_targetILNS1_3genE10ELNS1_11target_archE1201ELNS1_3gpuE5ELNS1_3repE0EEENS1_30default_config_static_selectorELNS0_4arch9wavefront6targetE1EEEvT1_,@function
_ZN7rocprim17ROCPRIM_400000_NS6detail17trampoline_kernelINS0_14default_configENS1_27scan_by_key_config_selectorIiiEEZZNS1_16scan_by_key_implILNS1_25lookback_scan_determinismE0ELb1ES3_N6thrust23THRUST_200600_302600_NS10device_ptrIiEESB_SB_iNS9_4plusIvEENS9_8equal_toIvEEiEE10hipError_tPvRmT2_T3_T4_T5_mT6_T7_P12ihipStream_tbENKUlT_T0_E_clISt17integral_constantIbLb1EESV_IbLb0EEEEDaSR_SS_EUlSR_E_NS1_11comp_targetILNS1_3genE10ELNS1_11target_archE1201ELNS1_3gpuE5ELNS1_3repE0EEENS1_30default_config_static_selectorELNS0_4arch9wavefront6targetE1EEEvT1_: ; @_ZN7rocprim17ROCPRIM_400000_NS6detail17trampoline_kernelINS0_14default_configENS1_27scan_by_key_config_selectorIiiEEZZNS1_16scan_by_key_implILNS1_25lookback_scan_determinismE0ELb1ES3_N6thrust23THRUST_200600_302600_NS10device_ptrIiEESB_SB_iNS9_4plusIvEENS9_8equal_toIvEEiEE10hipError_tPvRmT2_T3_T4_T5_mT6_T7_P12ihipStream_tbENKUlT_T0_E_clISt17integral_constantIbLb1EESV_IbLb0EEEEDaSR_SS_EUlSR_E_NS1_11comp_targetILNS1_3genE10ELNS1_11target_archE1201ELNS1_3gpuE5ELNS1_3repE0EEENS1_30default_config_static_selectorELNS0_4arch9wavefront6targetE1EEEvT1_
; %bb.0:
	.section	.rodata,"a",@progbits
	.p2align	6, 0x0
	.amdhsa_kernel _ZN7rocprim17ROCPRIM_400000_NS6detail17trampoline_kernelINS0_14default_configENS1_27scan_by_key_config_selectorIiiEEZZNS1_16scan_by_key_implILNS1_25lookback_scan_determinismE0ELb1ES3_N6thrust23THRUST_200600_302600_NS10device_ptrIiEESB_SB_iNS9_4plusIvEENS9_8equal_toIvEEiEE10hipError_tPvRmT2_T3_T4_T5_mT6_T7_P12ihipStream_tbENKUlT_T0_E_clISt17integral_constantIbLb1EESV_IbLb0EEEEDaSR_SS_EUlSR_E_NS1_11comp_targetILNS1_3genE10ELNS1_11target_archE1201ELNS1_3gpuE5ELNS1_3repE0EEENS1_30default_config_static_selectorELNS0_4arch9wavefront6targetE1EEEvT1_
		.amdhsa_group_segment_fixed_size 0
		.amdhsa_private_segment_fixed_size 0
		.amdhsa_kernarg_size 112
		.amdhsa_user_sgpr_count 2
		.amdhsa_user_sgpr_dispatch_ptr 0
		.amdhsa_user_sgpr_queue_ptr 0
		.amdhsa_user_sgpr_kernarg_segment_ptr 1
		.amdhsa_user_sgpr_dispatch_id 0
		.amdhsa_user_sgpr_kernarg_preload_length 0
		.amdhsa_user_sgpr_kernarg_preload_offset 0
		.amdhsa_user_sgpr_private_segment_size 0
		.amdhsa_uses_dynamic_stack 0
		.amdhsa_enable_private_segment 0
		.amdhsa_system_sgpr_workgroup_id_x 1
		.amdhsa_system_sgpr_workgroup_id_y 0
		.amdhsa_system_sgpr_workgroup_id_z 0
		.amdhsa_system_sgpr_workgroup_info 0
		.amdhsa_system_vgpr_workitem_id 0
		.amdhsa_next_free_vgpr 1
		.amdhsa_next_free_sgpr 0
		.amdhsa_accum_offset 4
		.amdhsa_reserve_vcc 0
		.amdhsa_float_round_mode_32 0
		.amdhsa_float_round_mode_16_64 0
		.amdhsa_float_denorm_mode_32 3
		.amdhsa_float_denorm_mode_16_64 3
		.amdhsa_dx10_clamp 1
		.amdhsa_ieee_mode 1
		.amdhsa_fp16_overflow 0
		.amdhsa_tg_split 0
		.amdhsa_exception_fp_ieee_invalid_op 0
		.amdhsa_exception_fp_denorm_src 0
		.amdhsa_exception_fp_ieee_div_zero 0
		.amdhsa_exception_fp_ieee_overflow 0
		.amdhsa_exception_fp_ieee_underflow 0
		.amdhsa_exception_fp_ieee_inexact 0
		.amdhsa_exception_int_div_zero 0
	.end_amdhsa_kernel
	.section	.text._ZN7rocprim17ROCPRIM_400000_NS6detail17trampoline_kernelINS0_14default_configENS1_27scan_by_key_config_selectorIiiEEZZNS1_16scan_by_key_implILNS1_25lookback_scan_determinismE0ELb1ES3_N6thrust23THRUST_200600_302600_NS10device_ptrIiEESB_SB_iNS9_4plusIvEENS9_8equal_toIvEEiEE10hipError_tPvRmT2_T3_T4_T5_mT6_T7_P12ihipStream_tbENKUlT_T0_E_clISt17integral_constantIbLb1EESV_IbLb0EEEEDaSR_SS_EUlSR_E_NS1_11comp_targetILNS1_3genE10ELNS1_11target_archE1201ELNS1_3gpuE5ELNS1_3repE0EEENS1_30default_config_static_selectorELNS0_4arch9wavefront6targetE1EEEvT1_,"axG",@progbits,_ZN7rocprim17ROCPRIM_400000_NS6detail17trampoline_kernelINS0_14default_configENS1_27scan_by_key_config_selectorIiiEEZZNS1_16scan_by_key_implILNS1_25lookback_scan_determinismE0ELb1ES3_N6thrust23THRUST_200600_302600_NS10device_ptrIiEESB_SB_iNS9_4plusIvEENS9_8equal_toIvEEiEE10hipError_tPvRmT2_T3_T4_T5_mT6_T7_P12ihipStream_tbENKUlT_T0_E_clISt17integral_constantIbLb1EESV_IbLb0EEEEDaSR_SS_EUlSR_E_NS1_11comp_targetILNS1_3genE10ELNS1_11target_archE1201ELNS1_3gpuE5ELNS1_3repE0EEENS1_30default_config_static_selectorELNS0_4arch9wavefront6targetE1EEEvT1_,comdat
.Lfunc_end2253:
	.size	_ZN7rocprim17ROCPRIM_400000_NS6detail17trampoline_kernelINS0_14default_configENS1_27scan_by_key_config_selectorIiiEEZZNS1_16scan_by_key_implILNS1_25lookback_scan_determinismE0ELb1ES3_N6thrust23THRUST_200600_302600_NS10device_ptrIiEESB_SB_iNS9_4plusIvEENS9_8equal_toIvEEiEE10hipError_tPvRmT2_T3_T4_T5_mT6_T7_P12ihipStream_tbENKUlT_T0_E_clISt17integral_constantIbLb1EESV_IbLb0EEEEDaSR_SS_EUlSR_E_NS1_11comp_targetILNS1_3genE10ELNS1_11target_archE1201ELNS1_3gpuE5ELNS1_3repE0EEENS1_30default_config_static_selectorELNS0_4arch9wavefront6targetE1EEEvT1_, .Lfunc_end2253-_ZN7rocprim17ROCPRIM_400000_NS6detail17trampoline_kernelINS0_14default_configENS1_27scan_by_key_config_selectorIiiEEZZNS1_16scan_by_key_implILNS1_25lookback_scan_determinismE0ELb1ES3_N6thrust23THRUST_200600_302600_NS10device_ptrIiEESB_SB_iNS9_4plusIvEENS9_8equal_toIvEEiEE10hipError_tPvRmT2_T3_T4_T5_mT6_T7_P12ihipStream_tbENKUlT_T0_E_clISt17integral_constantIbLb1EESV_IbLb0EEEEDaSR_SS_EUlSR_E_NS1_11comp_targetILNS1_3genE10ELNS1_11target_archE1201ELNS1_3gpuE5ELNS1_3repE0EEENS1_30default_config_static_selectorELNS0_4arch9wavefront6targetE1EEEvT1_
                                        ; -- End function
	.section	.AMDGPU.csdata,"",@progbits
; Kernel info:
; codeLenInByte = 0
; NumSgprs: 6
; NumVgprs: 0
; NumAgprs: 0
; TotalNumVgprs: 0
; ScratchSize: 0
; MemoryBound: 0
; FloatMode: 240
; IeeeMode: 1
; LDSByteSize: 0 bytes/workgroup (compile time only)
; SGPRBlocks: 0
; VGPRBlocks: 0
; NumSGPRsForWavesPerEU: 6
; NumVGPRsForWavesPerEU: 1
; AccumOffset: 4
; Occupancy: 8
; WaveLimiterHint : 0
; COMPUTE_PGM_RSRC2:SCRATCH_EN: 0
; COMPUTE_PGM_RSRC2:USER_SGPR: 2
; COMPUTE_PGM_RSRC2:TRAP_HANDLER: 0
; COMPUTE_PGM_RSRC2:TGID_X_EN: 1
; COMPUTE_PGM_RSRC2:TGID_Y_EN: 0
; COMPUTE_PGM_RSRC2:TGID_Z_EN: 0
; COMPUTE_PGM_RSRC2:TIDIG_COMP_CNT: 0
; COMPUTE_PGM_RSRC3_GFX90A:ACCUM_OFFSET: 0
; COMPUTE_PGM_RSRC3_GFX90A:TG_SPLIT: 0
	.section	.text._ZN7rocprim17ROCPRIM_400000_NS6detail17trampoline_kernelINS0_14default_configENS1_27scan_by_key_config_selectorIiiEEZZNS1_16scan_by_key_implILNS1_25lookback_scan_determinismE0ELb1ES3_N6thrust23THRUST_200600_302600_NS10device_ptrIiEESB_SB_iNS9_4plusIvEENS9_8equal_toIvEEiEE10hipError_tPvRmT2_T3_T4_T5_mT6_T7_P12ihipStream_tbENKUlT_T0_E_clISt17integral_constantIbLb1EESV_IbLb0EEEEDaSR_SS_EUlSR_E_NS1_11comp_targetILNS1_3genE5ELNS1_11target_archE942ELNS1_3gpuE9ELNS1_3repE0EEENS1_30default_config_static_selectorELNS0_4arch9wavefront6targetE1EEEvT1_,"axG",@progbits,_ZN7rocprim17ROCPRIM_400000_NS6detail17trampoline_kernelINS0_14default_configENS1_27scan_by_key_config_selectorIiiEEZZNS1_16scan_by_key_implILNS1_25lookback_scan_determinismE0ELb1ES3_N6thrust23THRUST_200600_302600_NS10device_ptrIiEESB_SB_iNS9_4plusIvEENS9_8equal_toIvEEiEE10hipError_tPvRmT2_T3_T4_T5_mT6_T7_P12ihipStream_tbENKUlT_T0_E_clISt17integral_constantIbLb1EESV_IbLb0EEEEDaSR_SS_EUlSR_E_NS1_11comp_targetILNS1_3genE5ELNS1_11target_archE942ELNS1_3gpuE9ELNS1_3repE0EEENS1_30default_config_static_selectorELNS0_4arch9wavefront6targetE1EEEvT1_,comdat
	.protected	_ZN7rocprim17ROCPRIM_400000_NS6detail17trampoline_kernelINS0_14default_configENS1_27scan_by_key_config_selectorIiiEEZZNS1_16scan_by_key_implILNS1_25lookback_scan_determinismE0ELb1ES3_N6thrust23THRUST_200600_302600_NS10device_ptrIiEESB_SB_iNS9_4plusIvEENS9_8equal_toIvEEiEE10hipError_tPvRmT2_T3_T4_T5_mT6_T7_P12ihipStream_tbENKUlT_T0_E_clISt17integral_constantIbLb1EESV_IbLb0EEEEDaSR_SS_EUlSR_E_NS1_11comp_targetILNS1_3genE5ELNS1_11target_archE942ELNS1_3gpuE9ELNS1_3repE0EEENS1_30default_config_static_selectorELNS0_4arch9wavefront6targetE1EEEvT1_ ; -- Begin function _ZN7rocprim17ROCPRIM_400000_NS6detail17trampoline_kernelINS0_14default_configENS1_27scan_by_key_config_selectorIiiEEZZNS1_16scan_by_key_implILNS1_25lookback_scan_determinismE0ELb1ES3_N6thrust23THRUST_200600_302600_NS10device_ptrIiEESB_SB_iNS9_4plusIvEENS9_8equal_toIvEEiEE10hipError_tPvRmT2_T3_T4_T5_mT6_T7_P12ihipStream_tbENKUlT_T0_E_clISt17integral_constantIbLb1EESV_IbLb0EEEEDaSR_SS_EUlSR_E_NS1_11comp_targetILNS1_3genE5ELNS1_11target_archE942ELNS1_3gpuE9ELNS1_3repE0EEENS1_30default_config_static_selectorELNS0_4arch9wavefront6targetE1EEEvT1_
	.globl	_ZN7rocprim17ROCPRIM_400000_NS6detail17trampoline_kernelINS0_14default_configENS1_27scan_by_key_config_selectorIiiEEZZNS1_16scan_by_key_implILNS1_25lookback_scan_determinismE0ELb1ES3_N6thrust23THRUST_200600_302600_NS10device_ptrIiEESB_SB_iNS9_4plusIvEENS9_8equal_toIvEEiEE10hipError_tPvRmT2_T3_T4_T5_mT6_T7_P12ihipStream_tbENKUlT_T0_E_clISt17integral_constantIbLb1EESV_IbLb0EEEEDaSR_SS_EUlSR_E_NS1_11comp_targetILNS1_3genE5ELNS1_11target_archE942ELNS1_3gpuE9ELNS1_3repE0EEENS1_30default_config_static_selectorELNS0_4arch9wavefront6targetE1EEEvT1_
	.p2align	8
	.type	_ZN7rocprim17ROCPRIM_400000_NS6detail17trampoline_kernelINS0_14default_configENS1_27scan_by_key_config_selectorIiiEEZZNS1_16scan_by_key_implILNS1_25lookback_scan_determinismE0ELb1ES3_N6thrust23THRUST_200600_302600_NS10device_ptrIiEESB_SB_iNS9_4plusIvEENS9_8equal_toIvEEiEE10hipError_tPvRmT2_T3_T4_T5_mT6_T7_P12ihipStream_tbENKUlT_T0_E_clISt17integral_constantIbLb1EESV_IbLb0EEEEDaSR_SS_EUlSR_E_NS1_11comp_targetILNS1_3genE5ELNS1_11target_archE942ELNS1_3gpuE9ELNS1_3repE0EEENS1_30default_config_static_selectorELNS0_4arch9wavefront6targetE1EEEvT1_,@function
_ZN7rocprim17ROCPRIM_400000_NS6detail17trampoline_kernelINS0_14default_configENS1_27scan_by_key_config_selectorIiiEEZZNS1_16scan_by_key_implILNS1_25lookback_scan_determinismE0ELb1ES3_N6thrust23THRUST_200600_302600_NS10device_ptrIiEESB_SB_iNS9_4plusIvEENS9_8equal_toIvEEiEE10hipError_tPvRmT2_T3_T4_T5_mT6_T7_P12ihipStream_tbENKUlT_T0_E_clISt17integral_constantIbLb1EESV_IbLb0EEEEDaSR_SS_EUlSR_E_NS1_11comp_targetILNS1_3genE5ELNS1_11target_archE942ELNS1_3gpuE9ELNS1_3repE0EEENS1_30default_config_static_selectorELNS0_4arch9wavefront6targetE1EEEvT1_: ; @_ZN7rocprim17ROCPRIM_400000_NS6detail17trampoline_kernelINS0_14default_configENS1_27scan_by_key_config_selectorIiiEEZZNS1_16scan_by_key_implILNS1_25lookback_scan_determinismE0ELb1ES3_N6thrust23THRUST_200600_302600_NS10device_ptrIiEESB_SB_iNS9_4plusIvEENS9_8equal_toIvEEiEE10hipError_tPvRmT2_T3_T4_T5_mT6_T7_P12ihipStream_tbENKUlT_T0_E_clISt17integral_constantIbLb1EESV_IbLb0EEEEDaSR_SS_EUlSR_E_NS1_11comp_targetILNS1_3genE5ELNS1_11target_archE942ELNS1_3gpuE9ELNS1_3repE0EEENS1_30default_config_static_selectorELNS0_4arch9wavefront6targetE1EEEvT1_
; %bb.0:
	s_load_dwordx8 s[48:55], s[0:1], 0x0
	s_load_dword s76, s[0:1], 0x20
	s_load_dwordx4 s[56:59], s[0:1], 0x28
	s_load_dwordx2 s[68:69], s[0:1], 0x38
	s_load_dword s3, s[0:1], 0x40
	s_load_dwordx4 s[60:63], s[0:1], 0x48
	s_waitcnt lgkmcnt(0)
	s_lshl_b64 s[64:65], s[50:51], 2
	s_add_u32 s4, s48, s64
	s_addc_u32 s5, s49, s65
	s_add_u32 s6, s52, s64
	s_mul_i32 s0, s69, s3
	s_mul_hi_u32 s1, s68, s3
	s_addc_u32 s7, s53, s65
	s_add_i32 s8, s1, s0
	s_mul_i32 s0, s2, 0x1700
	s_mov_b32 s1, 0
	s_lshl_b64 s[66:67], s[0:1], 2
	s_add_u32 s70, s4, s66
	s_addc_u32 s71, s5, s67
	s_add_u32 s52, s6, s66
	s_mul_i32 s3, s68, s3
	s_addc_u32 s53, s7, s67
	s_add_u32 s0, s3, s2
	s_addc_u32 s1, s8, 0
	s_add_u32 s6, s60, -1
	s_addc_u32 s7, s61, -1
	v_mov_b64_e32 v[2:3], s[6:7]
	v_cmp_ge_u64_e64 s[0:1], s[0:1], v[2:3]
	s_mov_b64 s[4:5], -1
	s_and_b64 vcc, exec, s[0:1]
	s_mul_i32 s33, s6, 0xffffe900
	s_barrier
	s_cbranch_vccz .LBB2254_71
; %bb.1:
	v_mov_b64_e32 v[2:3], s[70:71]
	flat_load_dword v1, v[2:3]
	s_add_i32 s3, s33, s58
	v_cmp_gt_u32_e32 vcc, s3, v0
	s_waitcnt vmcnt(0) lgkmcnt(0)
	v_mov_b32_e32 v3, v1
	s_and_saveexec_b64 s[4:5], vcc
	s_cbranch_execz .LBB2254_3
; %bb.2:
	v_lshlrev_b32_e32 v2, 2, v0
	v_mov_b32_e32 v3, 0
	v_lshl_add_u64 v[2:3], s[70:71], 0, v[2:3]
	flat_load_dword v3, v[2:3]
.LBB2254_3:
	s_or_b64 exec, exec, s[4:5]
	v_or_b32_e32 v2, 0x100, v0
	v_cmp_gt_u32_e64 s[48:49], s3, v2
	v_mov_b32_e32 v4, v1
	s_and_saveexec_b64 s[4:5], s[48:49]
	s_cbranch_execz .LBB2254_5
; %bb.4:
	v_lshlrev_b32_e32 v4, 2, v0
	v_mov_b32_e32 v5, 0
	v_lshl_add_u64 v[4:5], s[70:71], 0, v[4:5]
	flat_load_dword v4, v[4:5] offset:1024
.LBB2254_5:
	s_or_b64 exec, exec, s[4:5]
	v_or_b32_e32 v2, 0x200, v0
	v_cmp_gt_u32_e64 s[4:5], s3, v2
	v_mov_b32_e32 v5, v1
	s_and_saveexec_b64 s[6:7], s[4:5]
	s_cbranch_execz .LBB2254_7
; %bb.6:
	v_lshlrev_b32_e32 v6, 2, v0
	v_mov_b32_e32 v7, 0
	v_lshl_add_u64 v[6:7], s[70:71], 0, v[6:7]
	flat_load_dword v5, v[6:7] offset:2048
.LBB2254_7:
	;; [unrolled: 12-line block ×3, first 2 shown]
	s_or_b64 exec, exec, s[8:9]
	v_or_b32_e32 v10, 0x400, v0
	v_cmp_gt_u32_e64 s[8:9], s3, v10
	v_mov_b32_e32 v7, v1
	s_and_saveexec_b64 s[10:11], s[8:9]
	s_cbranch_execz .LBB2254_11
; %bb.10:
	v_lshlrev_b32_e32 v8, 2, v10
	v_mov_b32_e32 v9, 0
	v_lshl_add_u64 v[8:9], s[70:71], 0, v[8:9]
	flat_load_dword v7, v[8:9]
.LBB2254_11:
	s_or_b64 exec, exec, s[10:11]
	v_or_b32_e32 v11, 0x500, v0
	v_cmp_gt_u32_e64 s[10:11], s3, v11
	v_mov_b32_e32 v8, v1
	s_and_saveexec_b64 s[12:13], s[10:11]
	s_cbranch_execz .LBB2254_13
; %bb.12:
	v_lshlrev_b32_e32 v8, 2, v11
	v_mov_b32_e32 v9, 0
	v_lshl_add_u64 v[8:9], s[70:71], 0, v[8:9]
	flat_load_dword v8, v[8:9]
.LBB2254_13:
	s_or_b64 exec, exec, s[12:13]
	v_or_b32_e32 v12, 0x600, v0
	v_cmp_gt_u32_e64 s[12:13], s3, v12
	v_mov_b32_e32 v9, v1
	s_and_saveexec_b64 s[14:15], s[12:13]
	s_cbranch_execz .LBB2254_15
; %bb.14:
	v_lshlrev_b32_e32 v14, 2, v12
	v_mov_b32_e32 v15, 0
	v_lshl_add_u64 v[14:15], s[70:71], 0, v[14:15]
	flat_load_dword v9, v[14:15]
.LBB2254_15:
	s_or_b64 exec, exec, s[14:15]
	v_or_b32_e32 v13, 0x700, v0
	v_cmp_gt_u32_e64 s[14:15], s3, v13
	v_mov_b32_e32 v29, v1
	s_and_saveexec_b64 s[16:17], s[14:15]
	s_cbranch_execz .LBB2254_17
; %bb.16:
	v_lshlrev_b32_e32 v14, 2, v13
	v_mov_b32_e32 v15, 0
	v_lshl_add_u64 v[14:15], s[70:71], 0, v[14:15]
	flat_load_dword v29, v[14:15]
.LBB2254_17:
	s_or_b64 exec, exec, s[16:17]
	v_or_b32_e32 v14, 0x800, v0
	v_cmp_gt_u32_e64 s[16:17], s3, v14
	v_mov_b32_e32 v30, v1
	s_and_saveexec_b64 s[18:19], s[16:17]
	s_cbranch_execz .LBB2254_19
; %bb.18:
	v_lshlrev_b32_e32 v16, 2, v14
	v_mov_b32_e32 v17, 0
	v_lshl_add_u64 v[16:17], s[70:71], 0, v[16:17]
	flat_load_dword v30, v[16:17]
.LBB2254_19:
	s_or_b64 exec, exec, s[18:19]
	v_or_b32_e32 v15, 0x900, v0
	v_cmp_gt_u32_e64 s[18:19], s3, v15
	v_mov_b32_e32 v31, v1
	s_and_saveexec_b64 s[20:21], s[18:19]
	s_cbranch_execz .LBB2254_21
; %bb.20:
	v_lshlrev_b32_e32 v16, 2, v15
	v_mov_b32_e32 v17, 0
	v_lshl_add_u64 v[16:17], s[70:71], 0, v[16:17]
	flat_load_dword v31, v[16:17]
.LBB2254_21:
	s_or_b64 exec, exec, s[20:21]
	v_or_b32_e32 v16, 0xa00, v0
	v_cmp_gt_u32_e64 s[20:21], s3, v16
	v_mov_b32_e32 v32, v1
	s_and_saveexec_b64 s[22:23], s[20:21]
	s_cbranch_execz .LBB2254_23
; %bb.22:
	v_lshlrev_b32_e32 v18, 2, v16
	v_mov_b32_e32 v19, 0
	v_lshl_add_u64 v[18:19], s[70:71], 0, v[18:19]
	flat_load_dword v32, v[18:19]
.LBB2254_23:
	s_or_b64 exec, exec, s[22:23]
	v_or_b32_e32 v17, 0xb00, v0
	v_cmp_gt_u32_e64 s[22:23], s3, v17
	v_mov_b32_e32 v33, v1
	s_and_saveexec_b64 s[24:25], s[22:23]
	s_cbranch_execz .LBB2254_25
; %bb.24:
	v_lshlrev_b32_e32 v18, 2, v17
	v_mov_b32_e32 v19, 0
	v_lshl_add_u64 v[18:19], s[70:71], 0, v[18:19]
	flat_load_dword v33, v[18:19]
.LBB2254_25:
	s_or_b64 exec, exec, s[24:25]
	v_or_b32_e32 v18, 0xc00, v0
	v_cmp_gt_u32_e64 s[24:25], s3, v18
	v_mov_b32_e32 v34, v1
	s_and_saveexec_b64 s[26:27], s[24:25]
	s_cbranch_execz .LBB2254_27
; %bb.26:
	v_lshlrev_b32_e32 v20, 2, v18
	v_mov_b32_e32 v21, 0
	v_lshl_add_u64 v[20:21], s[70:71], 0, v[20:21]
	flat_load_dword v34, v[20:21]
.LBB2254_27:
	s_or_b64 exec, exec, s[26:27]
	v_or_b32_e32 v19, 0xd00, v0
	v_cmp_gt_u32_e64 s[26:27], s3, v19
	v_mov_b32_e32 v35, v1
	s_and_saveexec_b64 s[28:29], s[26:27]
	s_cbranch_execz .LBB2254_29
; %bb.28:
	v_lshlrev_b32_e32 v20, 2, v19
	v_mov_b32_e32 v21, 0
	v_lshl_add_u64 v[20:21], s[70:71], 0, v[20:21]
	flat_load_dword v35, v[20:21]
.LBB2254_29:
	s_or_b64 exec, exec, s[28:29]
	v_or_b32_e32 v20, 0xe00, v0
	v_cmp_gt_u32_e64 s[28:29], s3, v20
	v_mov_b32_e32 v36, v1
	s_and_saveexec_b64 s[30:31], s[28:29]
	s_cbranch_execz .LBB2254_31
; %bb.30:
	v_lshlrev_b32_e32 v22, 2, v20
	v_mov_b32_e32 v23, 0
	v_lshl_add_u64 v[22:23], s[70:71], 0, v[22:23]
	flat_load_dword v36, v[22:23]
.LBB2254_31:
	s_or_b64 exec, exec, s[30:31]
	v_or_b32_e32 v21, 0xf00, v0
	v_cmp_gt_u32_e64 s[30:31], s3, v21
	v_mov_b32_e32 v37, v1
	s_and_saveexec_b64 s[34:35], s[30:31]
	s_cbranch_execz .LBB2254_33
; %bb.32:
	v_lshlrev_b32_e32 v22, 2, v21
	v_mov_b32_e32 v23, 0
	v_lshl_add_u64 v[22:23], s[70:71], 0, v[22:23]
	flat_load_dword v37, v[22:23]
.LBB2254_33:
	s_or_b64 exec, exec, s[34:35]
	v_or_b32_e32 v22, 0x1000, v0
	v_cmp_gt_u32_e64 s[34:35], s3, v22
	v_mov_b32_e32 v38, v1
	s_and_saveexec_b64 s[36:37], s[34:35]
	s_cbranch_execz .LBB2254_35
; %bb.34:
	v_lshlrev_b32_e32 v24, 2, v22
	v_mov_b32_e32 v25, 0
	v_lshl_add_u64 v[24:25], s[70:71], 0, v[24:25]
	flat_load_dword v38, v[24:25]
.LBB2254_35:
	s_or_b64 exec, exec, s[36:37]
	v_or_b32_e32 v23, 0x1100, v0
	v_cmp_gt_u32_e64 s[36:37], s3, v23
	v_mov_b32_e32 v39, v1
	s_and_saveexec_b64 s[38:39], s[36:37]
	s_cbranch_execz .LBB2254_37
; %bb.36:
	v_lshlrev_b32_e32 v24, 2, v23
	v_mov_b32_e32 v25, 0
	v_lshl_add_u64 v[24:25], s[70:71], 0, v[24:25]
	flat_load_dword v39, v[24:25]
.LBB2254_37:
	s_or_b64 exec, exec, s[38:39]
	v_or_b32_e32 v24, 0x1200, v0
	v_cmp_gt_u32_e64 s[38:39], s3, v24
	v_mov_b32_e32 v40, v1
	s_and_saveexec_b64 s[40:41], s[38:39]
	s_cbranch_execz .LBB2254_39
; %bb.38:
	v_lshlrev_b32_e32 v26, 2, v24
	v_mov_b32_e32 v27, 0
	v_lshl_add_u64 v[26:27], s[70:71], 0, v[26:27]
	flat_load_dword v40, v[26:27]
.LBB2254_39:
	s_or_b64 exec, exec, s[40:41]
	v_or_b32_e32 v25, 0x1300, v0
	v_cmp_gt_u32_e64 s[40:41], s3, v25
	v_mov_b32_e32 v41, v1
	s_and_saveexec_b64 s[42:43], s[40:41]
	s_cbranch_execz .LBB2254_41
; %bb.40:
	v_lshlrev_b32_e32 v26, 2, v25
	v_mov_b32_e32 v27, 0
	v_lshl_add_u64 v[26:27], s[70:71], 0, v[26:27]
	flat_load_dword v41, v[26:27]
.LBB2254_41:
	s_or_b64 exec, exec, s[42:43]
	v_or_b32_e32 v26, 0x1400, v0
	v_cmp_gt_u32_e64 s[42:43], s3, v26
	v_mov_b32_e32 v42, v1
	s_and_saveexec_b64 s[44:45], s[42:43]
	s_cbranch_execz .LBB2254_43
; %bb.42:
	v_lshlrev_b32_e32 v42, 2, v26
	v_mov_b32_e32 v43, 0
	v_lshl_add_u64 v[42:43], s[70:71], 0, v[42:43]
	flat_load_dword v42, v[42:43]
.LBB2254_43:
	s_or_b64 exec, exec, s[44:45]
	v_or_b32_e32 v27, 0x1500, v0
	v_cmp_gt_u32_e64 s[44:45], s3, v27
	v_mov_b32_e32 v43, v1
	s_and_saveexec_b64 s[46:47], s[44:45]
	s_cbranch_execz .LBB2254_45
; %bb.44:
	v_lshlrev_b32_e32 v44, 2, v27
	v_mov_b32_e32 v45, 0
	v_lshl_add_u64 v[44:45], s[70:71], 0, v[44:45]
	flat_load_dword v43, v[44:45]
.LBB2254_45:
	s_or_b64 exec, exec, s[46:47]
	v_or_b32_e32 v28, 0x1600, v0
	v_cmp_gt_u32_e64 s[46:47], s3, v28
	s_and_saveexec_b64 s[50:51], s[46:47]
	s_cbranch_execz .LBB2254_47
; %bb.46:
	v_lshlrev_b32_e32 v44, 2, v28
	v_mov_b32_e32 v45, 0
	v_lshl_add_u64 v[44:45], s[70:71], 0, v[44:45]
	flat_load_dword v1, v[44:45]
.LBB2254_47:
	s_or_b64 exec, exec, s[50:51]
	v_lshlrev_b32_e32 v2, 2, v0
	s_waitcnt vmcnt(0) lgkmcnt(0)
	ds_write2st64_b32 v2, v3, v4 offset1:4
	ds_write2st64_b32 v2, v5, v6 offset0:8 offset1:12
	ds_write2st64_b32 v2, v7, v8 offset0:16 offset1:20
	;; [unrolled: 1-line block ×10, first 2 shown]
	ds_write_b32 v2, v1 offset:22528
	v_mov_b64_e32 v[4:5], s[70:71]
	s_waitcnt lgkmcnt(0)
	s_barrier
	flat_load_dword v1, v[4:5]
	s_movk_i32 s50, 0x58
	v_mad_u32_u24 v70, v0, s50, v2
	s_movk_i32 s50, 0xffa8
	v_mad_i32_i24 v3, v0, s50, v70
	s_movk_i32 s50, 0xff
	v_cmp_ne_u32_e64 s[50:51], s50, v0
	ds_read_b32 v72, v70
	ds_read2_b32 v[68:69], v70 offset0:1 offset1:2
	ds_read2_b32 v[66:67], v70 offset0:3 offset1:4
	;; [unrolled: 1-line block ×11, first 2 shown]
	s_waitcnt lgkmcnt(0)
	ds_write_b32 v3, v72 offset:24576
	s_waitcnt lgkmcnt(0)
	s_barrier
	s_and_saveexec_b64 s[60:61], s[50:51]
	s_cbranch_execz .LBB2254_49
; %bb.48:
	s_waitcnt vmcnt(0)
	ds_read_b32 v1, v2 offset:24580
.LBB2254_49:
	s_or_b64 exec, exec, s[60:61]
	v_mov_b32_e32 v3, 0
	s_waitcnt lgkmcnt(0)
	s_barrier
	s_waitcnt lgkmcnt(0)
                                        ; implicit-def: $vgpr29
	s_and_saveexec_b64 s[50:51], vcc
	s_cbranch_execz .LBB2254_72
; %bb.50:
	v_lshl_add_u64 v[30:31], s[52:53], 0, v[2:3]
	flat_load_dword v29, v[30:31]
	s_or_b64 exec, exec, s[50:51]
                                        ; implicit-def: $vgpr30
	s_and_saveexec_b64 s[50:51], s[48:49]
	s_cbranch_execnz .LBB2254_73
.LBB2254_51:
	s_or_b64 exec, exec, s[50:51]
                                        ; implicit-def: $vgpr31
	s_and_saveexec_b64 s[48:49], s[4:5]
	s_cbranch_execz .LBB2254_74
.LBB2254_52:
	v_mov_b32_e32 v3, 0
	v_lshl_add_u64 v[32:33], s[52:53], 0, v[2:3]
	flat_load_dword v31, v[32:33] offset:2048
	s_or_b64 exec, exec, s[48:49]
                                        ; implicit-def: $vgpr3
	s_and_saveexec_b64 s[4:5], s[6:7]
	s_cbranch_execnz .LBB2254_75
.LBB2254_53:
	s_or_b64 exec, exec, s[4:5]
                                        ; implicit-def: $vgpr32
	s_and_saveexec_b64 s[4:5], s[8:9]
	s_cbranch_execz .LBB2254_76
.LBB2254_54:
	v_lshlrev_b32_e32 v32, 2, v10
	v_mov_b32_e32 v33, 0
	v_lshl_add_u64 v[32:33], s[52:53], 0, v[32:33]
	flat_load_dword v32, v[32:33]
	s_or_b64 exec, exec, s[4:5]
                                        ; implicit-def: $vgpr10
	s_and_saveexec_b64 s[4:5], s[10:11]
	s_cbranch_execnz .LBB2254_77
.LBB2254_55:
	s_or_b64 exec, exec, s[4:5]
                                        ; implicit-def: $vgpr11
	s_and_saveexec_b64 s[4:5], s[12:13]
	s_cbranch_execz .LBB2254_78
.LBB2254_56:
	v_lshlrev_b32_e32 v34, 2, v12
	v_mov_b32_e32 v35, 0
	v_lshl_add_u64 v[34:35], s[52:53], 0, v[34:35]
	flat_load_dword v11, v[34:35]
	s_or_b64 exec, exec, s[4:5]
                                        ; implicit-def: $vgpr12
	s_and_saveexec_b64 s[4:5], s[14:15]
	s_cbranch_execnz .LBB2254_79
.LBB2254_57:
	s_or_b64 exec, exec, s[4:5]
                                        ; implicit-def: $vgpr13
	s_and_saveexec_b64 s[4:5], s[16:17]
	s_cbranch_execz .LBB2254_80
.LBB2254_58:
	v_lshlrev_b32_e32 v34, 2, v14
	v_mov_b32_e32 v35, 0
	v_lshl_add_u64 v[34:35], s[52:53], 0, v[34:35]
	flat_load_dword v13, v[34:35]
	s_or_b64 exec, exec, s[4:5]
                                        ; implicit-def: $vgpr14
	s_and_saveexec_b64 s[4:5], s[18:19]
	s_cbranch_execnz .LBB2254_81
.LBB2254_59:
	s_or_b64 exec, exec, s[4:5]
                                        ; implicit-def: $vgpr15
	s_and_saveexec_b64 s[4:5], s[20:21]
	s_cbranch_execz .LBB2254_82
.LBB2254_60:
	v_lshlrev_b32_e32 v34, 2, v16
	v_mov_b32_e32 v35, 0
	v_lshl_add_u64 v[34:35], s[52:53], 0, v[34:35]
	flat_load_dword v15, v[34:35]
	s_or_b64 exec, exec, s[4:5]
                                        ; implicit-def: $vgpr16
	s_and_saveexec_b64 s[4:5], s[22:23]
	s_cbranch_execnz .LBB2254_83
.LBB2254_61:
	s_or_b64 exec, exec, s[4:5]
                                        ; implicit-def: $vgpr17
	s_and_saveexec_b64 s[4:5], s[24:25]
	s_cbranch_execz .LBB2254_84
.LBB2254_62:
	v_lshlrev_b32_e32 v34, 2, v18
	v_mov_b32_e32 v35, 0
	v_lshl_add_u64 v[34:35], s[52:53], 0, v[34:35]
	flat_load_dword v17, v[34:35]
	s_or_b64 exec, exec, s[4:5]
                                        ; implicit-def: $vgpr18
	s_and_saveexec_b64 s[4:5], s[26:27]
	s_cbranch_execnz .LBB2254_85
.LBB2254_63:
	s_or_b64 exec, exec, s[4:5]
                                        ; implicit-def: $vgpr19
	s_and_saveexec_b64 s[4:5], s[28:29]
	s_cbranch_execz .LBB2254_86
.LBB2254_64:
	v_lshlrev_b32_e32 v34, 2, v20
	v_mov_b32_e32 v35, 0
	v_lshl_add_u64 v[34:35], s[52:53], 0, v[34:35]
	flat_load_dword v19, v[34:35]
	s_or_b64 exec, exec, s[4:5]
                                        ; implicit-def: $vgpr20
	s_and_saveexec_b64 s[4:5], s[30:31]
	s_cbranch_execnz .LBB2254_87
.LBB2254_65:
	s_or_b64 exec, exec, s[4:5]
                                        ; implicit-def: $vgpr21
	s_and_saveexec_b64 s[4:5], s[34:35]
	s_cbranch_execz .LBB2254_88
.LBB2254_66:
	v_lshlrev_b32_e32 v34, 2, v22
	v_mov_b32_e32 v35, 0
	v_lshl_add_u64 v[34:35], s[52:53], 0, v[34:35]
	flat_load_dword v21, v[34:35]
	s_or_b64 exec, exec, s[4:5]
                                        ; implicit-def: $vgpr22
	s_and_saveexec_b64 s[4:5], s[36:37]
	s_cbranch_execnz .LBB2254_89
.LBB2254_67:
	s_or_b64 exec, exec, s[4:5]
                                        ; implicit-def: $vgpr23
	s_and_saveexec_b64 s[4:5], s[38:39]
	s_cbranch_execz .LBB2254_90
.LBB2254_68:
	v_lshlrev_b32_e32 v34, 2, v24
	v_mov_b32_e32 v35, 0
	v_lshl_add_u64 v[34:35], s[52:53], 0, v[34:35]
	flat_load_dword v23, v[34:35]
	s_or_b64 exec, exec, s[4:5]
                                        ; implicit-def: $vgpr24
	s_and_saveexec_b64 s[4:5], s[40:41]
	s_cbranch_execnz .LBB2254_91
.LBB2254_69:
	s_or_b64 exec, exec, s[4:5]
                                        ; implicit-def: $vgpr25
	s_and_saveexec_b64 s[4:5], s[42:43]
	s_cbranch_execz .LBB2254_92
.LBB2254_70:
	v_lshlrev_b32_e32 v34, 2, v26
	v_mov_b32_e32 v35, 0
	v_lshl_add_u64 v[34:35], s[52:53], 0, v[34:35]
	flat_load_dword v25, v[34:35]
	s_or_b64 exec, exec, s[4:5]
                                        ; implicit-def: $vgpr26
	s_and_saveexec_b64 s[4:5], s[44:45]
	s_cbranch_execz .LBB2254_94
	s_branch .LBB2254_93
.LBB2254_71:
	s_mov_b64 s[10:11], 0
                                        ; implicit-def: $sgpr8_sgpr9
                                        ; implicit-def: $vgpr2
                                        ; implicit-def: $vgpr10_vgpr11
                                        ; implicit-def: $vgpr12_vgpr13
                                        ; implicit-def: $vgpr14_vgpr15
                                        ; implicit-def: $vgpr16_vgpr17
                                        ; implicit-def: $vgpr18_vgpr19
                                        ; implicit-def: $vgpr20_vgpr21
                                        ; implicit-def: $vgpr22_vgpr23
                                        ; implicit-def: $vgpr24_vgpr25
                                        ; implicit-def: $vgpr26_vgpr27
                                        ; implicit-def: $vgpr28_vgpr29
                                        ; implicit-def: $vgpr30_vgpr31
                                        ; implicit-def: $vgpr32_vgpr33
                                        ; implicit-def: $vgpr34_vgpr35
                                        ; implicit-def: $vgpr36_vgpr37
                                        ; implicit-def: $vgpr38_vgpr39
                                        ; implicit-def: $vgpr40_vgpr41
                                        ; implicit-def: $vgpr42_vgpr43
                                        ; implicit-def: $vgpr44_vgpr45
                                        ; implicit-def: $vgpr46_vgpr47
                                        ; implicit-def: $vgpr48_vgpr49
                                        ; implicit-def: $vgpr50_vgpr51
                                        ; implicit-def: $vgpr52_vgpr53
                                        ; implicit-def: $sgpr6_sgpr7
	s_and_b64 vcc, exec, s[4:5]
	v_lshlrev_b32_e32 v54, 2, v0
	s_cbranch_vccz .LBB2254_148
	s_branch .LBB2254_143
.LBB2254_72:
	s_or_b64 exec, exec, s[50:51]
                                        ; implicit-def: $vgpr30
	s_and_saveexec_b64 s[50:51], s[48:49]
	s_cbranch_execz .LBB2254_51
.LBB2254_73:
	v_mov_b32_e32 v3, 0
	v_lshl_add_u64 v[30:31], s[52:53], 0, v[2:3]
	flat_load_dword v30, v[30:31] offset:1024
	s_or_b64 exec, exec, s[50:51]
                                        ; implicit-def: $vgpr31
	s_and_saveexec_b64 s[48:49], s[4:5]
	s_cbranch_execnz .LBB2254_52
.LBB2254_74:
	s_or_b64 exec, exec, s[48:49]
                                        ; implicit-def: $vgpr3
	s_and_saveexec_b64 s[4:5], s[6:7]
	s_cbranch_execz .LBB2254_53
.LBB2254_75:
	v_mov_b32_e32 v3, 0
	v_lshl_add_u64 v[32:33], s[52:53], 0, v[2:3]
	flat_load_dword v3, v[32:33] offset:3072
	s_or_b64 exec, exec, s[4:5]
                                        ; implicit-def: $vgpr32
	s_and_saveexec_b64 s[4:5], s[8:9]
	s_cbranch_execnz .LBB2254_54
.LBB2254_76:
	s_or_b64 exec, exec, s[4:5]
                                        ; implicit-def: $vgpr10
	s_and_saveexec_b64 s[4:5], s[10:11]
	s_cbranch_execz .LBB2254_55
.LBB2254_77:
	v_lshlrev_b32_e32 v10, 2, v11
	v_mov_b32_e32 v11, 0
	v_lshl_add_u64 v[10:11], s[52:53], 0, v[10:11]
	flat_load_dword v10, v[10:11]
	s_or_b64 exec, exec, s[4:5]
                                        ; implicit-def: $vgpr11
	s_and_saveexec_b64 s[4:5], s[12:13]
	s_cbranch_execnz .LBB2254_56
.LBB2254_78:
	s_or_b64 exec, exec, s[4:5]
                                        ; implicit-def: $vgpr12
	s_and_saveexec_b64 s[4:5], s[14:15]
	s_cbranch_execz .LBB2254_57
.LBB2254_79:
	v_lshlrev_b32_e32 v12, 2, v13
	v_mov_b32_e32 v13, 0
	v_lshl_add_u64 v[12:13], s[52:53], 0, v[12:13]
	flat_load_dword v12, v[12:13]
	s_or_b64 exec, exec, s[4:5]
                                        ; implicit-def: $vgpr13
	s_and_saveexec_b64 s[4:5], s[16:17]
	s_cbranch_execnz .LBB2254_58
.LBB2254_80:
	s_or_b64 exec, exec, s[4:5]
                                        ; implicit-def: $vgpr14
	s_and_saveexec_b64 s[4:5], s[18:19]
	s_cbranch_execz .LBB2254_59
.LBB2254_81:
	v_lshlrev_b32_e32 v14, 2, v15
	v_mov_b32_e32 v15, 0
	v_lshl_add_u64 v[14:15], s[52:53], 0, v[14:15]
	flat_load_dword v14, v[14:15]
	s_or_b64 exec, exec, s[4:5]
                                        ; implicit-def: $vgpr15
	s_and_saveexec_b64 s[4:5], s[20:21]
	s_cbranch_execnz .LBB2254_60
.LBB2254_82:
	s_or_b64 exec, exec, s[4:5]
                                        ; implicit-def: $vgpr16
	s_and_saveexec_b64 s[4:5], s[22:23]
	s_cbranch_execz .LBB2254_61
.LBB2254_83:
	v_lshlrev_b32_e32 v16, 2, v17
	v_mov_b32_e32 v17, 0
	v_lshl_add_u64 v[16:17], s[52:53], 0, v[16:17]
	flat_load_dword v16, v[16:17]
	s_or_b64 exec, exec, s[4:5]
                                        ; implicit-def: $vgpr17
	s_and_saveexec_b64 s[4:5], s[24:25]
	s_cbranch_execnz .LBB2254_62
.LBB2254_84:
	s_or_b64 exec, exec, s[4:5]
                                        ; implicit-def: $vgpr18
	s_and_saveexec_b64 s[4:5], s[26:27]
	s_cbranch_execz .LBB2254_63
.LBB2254_85:
	v_lshlrev_b32_e32 v18, 2, v19
	v_mov_b32_e32 v19, 0
	v_lshl_add_u64 v[18:19], s[52:53], 0, v[18:19]
	flat_load_dword v18, v[18:19]
	s_or_b64 exec, exec, s[4:5]
                                        ; implicit-def: $vgpr19
	s_and_saveexec_b64 s[4:5], s[28:29]
	s_cbranch_execnz .LBB2254_64
.LBB2254_86:
	s_or_b64 exec, exec, s[4:5]
                                        ; implicit-def: $vgpr20
	s_and_saveexec_b64 s[4:5], s[30:31]
	s_cbranch_execz .LBB2254_65
.LBB2254_87:
	v_lshlrev_b32_e32 v20, 2, v21
	v_mov_b32_e32 v21, 0
	v_lshl_add_u64 v[20:21], s[52:53], 0, v[20:21]
	flat_load_dword v20, v[20:21]
	s_or_b64 exec, exec, s[4:5]
                                        ; implicit-def: $vgpr21
	s_and_saveexec_b64 s[4:5], s[34:35]
	s_cbranch_execnz .LBB2254_66
.LBB2254_88:
	s_or_b64 exec, exec, s[4:5]
                                        ; implicit-def: $vgpr22
	s_and_saveexec_b64 s[4:5], s[36:37]
	s_cbranch_execz .LBB2254_67
.LBB2254_89:
	v_lshlrev_b32_e32 v22, 2, v23
	v_mov_b32_e32 v23, 0
	v_lshl_add_u64 v[22:23], s[52:53], 0, v[22:23]
	flat_load_dword v22, v[22:23]
	s_or_b64 exec, exec, s[4:5]
                                        ; implicit-def: $vgpr23
	s_and_saveexec_b64 s[4:5], s[38:39]
	s_cbranch_execnz .LBB2254_68
.LBB2254_90:
	s_or_b64 exec, exec, s[4:5]
                                        ; implicit-def: $vgpr24
	s_and_saveexec_b64 s[4:5], s[40:41]
	s_cbranch_execz .LBB2254_69
.LBB2254_91:
	v_lshlrev_b32_e32 v24, 2, v25
	v_mov_b32_e32 v25, 0
	v_lshl_add_u64 v[24:25], s[52:53], 0, v[24:25]
	flat_load_dword v24, v[24:25]
	s_or_b64 exec, exec, s[4:5]
                                        ; implicit-def: $vgpr25
	s_and_saveexec_b64 s[4:5], s[42:43]
	s_cbranch_execnz .LBB2254_70
.LBB2254_92:
	s_or_b64 exec, exec, s[4:5]
                                        ; implicit-def: $vgpr26
	s_and_saveexec_b64 s[4:5], s[44:45]
	s_cbranch_execz .LBB2254_94
.LBB2254_93:
	v_lshlrev_b32_e32 v26, 2, v27
	v_mov_b32_e32 v27, 0
	v_lshl_add_u64 v[26:27], s[52:53], 0, v[26:27]
	flat_load_dword v26, v[26:27]
.LBB2254_94:
	s_or_b64 exec, exec, s[4:5]
	v_mul_u32_u24_e32 v71, 23, v0
                                        ; implicit-def: $vgpr27
	s_and_saveexec_b64 s[4:5], s[46:47]
	s_cbranch_execz .LBB2254_96
; %bb.95:
	v_lshlrev_b32_e32 v34, 2, v28
	v_mov_b32_e32 v35, 0
	v_lshl_add_u64 v[34:35], s[52:53], 0, v[34:35]
	flat_load_dword v27, v[34:35]
.LBB2254_96:
	s_or_b64 exec, exec, s[4:5]
	s_waitcnt vmcnt(0) lgkmcnt(0)
	ds_write2st64_b32 v2, v29, v30 offset1:4
	ds_write2st64_b32 v2, v31, v3 offset0:8 offset1:12
	ds_write2st64_b32 v2, v32, v10 offset0:16 offset1:20
	;; [unrolled: 1-line block ×10, first 2 shown]
	ds_write_b32 v2, v27 offset:22528
	v_mov_b64_e32 v[10:11], 0
	v_cmp_gt_u32_e32 vcc, s3, v71
	s_mov_b64 s[10:11], 0
	s_mov_b64 s[4:5], 0
	v_mov_b64_e32 v[12:13], v[10:11]
	v_mov_b64_e32 v[14:15], v[10:11]
	;; [unrolled: 1-line block ×21, first 2 shown]
	s_waitcnt lgkmcnt(0)
	s_barrier
	s_waitcnt lgkmcnt(0)
                                        ; implicit-def: $sgpr8_sgpr9
                                        ; implicit-def: $vgpr2
	s_and_saveexec_b64 s[6:7], vcc
	s_cbranch_execz .LBB2254_142
; %bb.97:
	ds_read_b32 v2, v70
	v_mov_b32_e32 v10, s76
	v_cmp_eq_u32_e32 vcc, v72, v68
	v_add_u32_e32 v3, 1, v71
	v_mov_b64_e32 v[12:13], 0
	s_waitcnt lgkmcnt(0)
	v_cndmask_b32_e32 v10, v10, v2, vcc
	v_cmp_ne_u32_e32 vcc, v72, v68
	s_mov_b64 s[12:13], 0
	v_mov_b64_e32 v[14:15], v[12:13]
	v_cndmask_b32_e64 v11, 0, 1, vcc
	v_cmp_gt_u32_e32 vcc, s3, v3
	v_mov_b64_e32 v[16:17], v[12:13]
	v_mov_b64_e32 v[18:19], v[12:13]
	;; [unrolled: 1-line block ×19, first 2 shown]
                                        ; implicit-def: $sgpr14_sgpr15
                                        ; implicit-def: $vgpr2
	s_and_saveexec_b64 s[8:9], vcc
	s_cbranch_execz .LBB2254_141
; %bb.98:
	ds_read2_b32 v[2:3], v70 offset0:1 offset1:2
	v_mov_b32_e32 v12, s76
	v_cmp_eq_u32_e32 vcc, v68, v69
	v_add_u32_e32 v14, 2, v71
	s_mov_b64 s[14:15], 0
	s_waitcnt lgkmcnt(0)
	v_cndmask_b32_e32 v12, v12, v2, vcc
	v_cmp_ne_u32_e32 vcc, v68, v69
                                        ; implicit-def: $sgpr16_sgpr17
                                        ; implicit-def: $vgpr2
	s_nop 1
	v_cndmask_b32_e64 v13, 0, 1, vcc
	v_cmp_gt_u32_e32 vcc, s3, v14
	v_mov_b64_e32 v[14:15], 0
	v_mov_b64_e32 v[16:17], v[14:15]
	v_mov_b64_e32 v[18:19], v[14:15]
	v_mov_b64_e32 v[20:21], v[14:15]
	v_mov_b64_e32 v[22:23], v[14:15]
	v_mov_b64_e32 v[24:25], v[14:15]
	v_mov_b64_e32 v[26:27], v[14:15]
	v_mov_b64_e32 v[28:29], v[14:15]
	v_mov_b64_e32 v[30:31], v[14:15]
	v_mov_b64_e32 v[32:33], v[14:15]
	v_mov_b64_e32 v[34:35], v[14:15]
	v_mov_b64_e32 v[36:37], v[14:15]
	v_mov_b64_e32 v[38:39], v[14:15]
	v_mov_b64_e32 v[40:41], v[14:15]
	v_mov_b64_e32 v[42:43], v[14:15]
	v_mov_b64_e32 v[44:45], v[14:15]
	v_mov_b64_e32 v[46:47], v[14:15]
	v_mov_b64_e32 v[48:49], v[14:15]
	v_mov_b64_e32 v[50:51], v[14:15]
	v_mov_b64_e32 v[52:53], v[14:15]
	s_and_saveexec_b64 s[10:11], vcc
	s_cbranch_execz .LBB2254_140
; %bb.99:
	v_mov_b32_e32 v14, s76
	v_cmp_eq_u32_e32 vcc, v69, v66
	v_add_u32_e32 v2, 3, v71
	v_mov_b64_e32 v[16:17], 0
	v_cndmask_b32_e32 v14, v14, v3, vcc
	v_cmp_ne_u32_e32 vcc, v69, v66
	s_mov_b64 s[16:17], 0
	v_mov_b64_e32 v[18:19], v[16:17]
	v_cndmask_b32_e64 v15, 0, 1, vcc
	v_cmp_gt_u32_e32 vcc, s3, v2
	v_mov_b64_e32 v[20:21], v[16:17]
	v_mov_b64_e32 v[22:23], v[16:17]
	;; [unrolled: 1-line block ×17, first 2 shown]
                                        ; implicit-def: $sgpr18_sgpr19
                                        ; implicit-def: $vgpr2
	s_and_saveexec_b64 s[12:13], vcc
	s_cbranch_execz .LBB2254_139
; %bb.100:
	ds_read2_b32 v[2:3], v70 offset0:3 offset1:4
	v_mov_b32_e32 v16, s76
	v_cmp_eq_u32_e32 vcc, v66, v67
	v_add_u32_e32 v18, 4, v71
	s_mov_b64 s[18:19], 0
	s_waitcnt lgkmcnt(0)
	v_cndmask_b32_e32 v16, v16, v2, vcc
	v_cmp_ne_u32_e32 vcc, v66, v67
                                        ; implicit-def: $sgpr20_sgpr21
                                        ; implicit-def: $vgpr2
	s_nop 1
	v_cndmask_b32_e64 v17, 0, 1, vcc
	v_cmp_gt_u32_e32 vcc, s3, v18
	v_mov_b64_e32 v[18:19], 0
	v_mov_b64_e32 v[20:21], v[18:19]
	;; [unrolled: 1-line block ×18, first 2 shown]
	s_and_saveexec_b64 s[14:15], vcc
	s_cbranch_execz .LBB2254_138
; %bb.101:
	v_mov_b32_e32 v18, s76
	v_cmp_eq_u32_e32 vcc, v67, v64
	v_add_u32_e32 v2, 5, v71
	v_mov_b64_e32 v[20:21], 0
	v_cndmask_b32_e32 v18, v18, v3, vcc
	v_cmp_ne_u32_e32 vcc, v67, v64
	s_mov_b64 s[20:21], 0
	v_mov_b64_e32 v[22:23], v[20:21]
	v_cndmask_b32_e64 v19, 0, 1, vcc
	v_cmp_gt_u32_e32 vcc, s3, v2
	v_mov_b64_e32 v[24:25], v[20:21]
	v_mov_b64_e32 v[26:27], v[20:21]
	;; [unrolled: 1-line block ×15, first 2 shown]
                                        ; implicit-def: $sgpr22_sgpr23
                                        ; implicit-def: $vgpr2
	s_and_saveexec_b64 s[16:17], vcc
	s_cbranch_execz .LBB2254_137
; %bb.102:
	ds_read2_b32 v[2:3], v70 offset0:5 offset1:6
	v_mov_b32_e32 v20, s76
	v_cmp_eq_u32_e32 vcc, v64, v65
	v_add_u32_e32 v22, 6, v71
	s_mov_b64 s[22:23], 0
	s_waitcnt lgkmcnt(0)
	v_cndmask_b32_e32 v20, v20, v2, vcc
	v_cmp_ne_u32_e32 vcc, v64, v65
                                        ; implicit-def: $sgpr24_sgpr25
                                        ; implicit-def: $vgpr2
	s_nop 1
	v_cndmask_b32_e64 v21, 0, 1, vcc
	v_cmp_gt_u32_e32 vcc, s3, v22
	v_mov_b64_e32 v[22:23], 0
	v_mov_b64_e32 v[24:25], v[22:23]
	;; [unrolled: 1-line block ×16, first 2 shown]
	s_and_saveexec_b64 s[18:19], vcc
	s_cbranch_execz .LBB2254_136
; %bb.103:
	v_mov_b32_e32 v22, s76
	v_cmp_eq_u32_e32 vcc, v65, v62
	v_add_u32_e32 v2, 7, v71
	v_mov_b64_e32 v[24:25], 0
	v_cndmask_b32_e32 v22, v22, v3, vcc
	v_cmp_ne_u32_e32 vcc, v65, v62
	s_mov_b64 s[24:25], 0
	v_mov_b64_e32 v[26:27], v[24:25]
	v_cndmask_b32_e64 v23, 0, 1, vcc
	v_cmp_gt_u32_e32 vcc, s3, v2
	v_mov_b64_e32 v[28:29], v[24:25]
	v_mov_b64_e32 v[30:31], v[24:25]
	;; [unrolled: 1-line block ×13, first 2 shown]
                                        ; implicit-def: $sgpr26_sgpr27
                                        ; implicit-def: $vgpr2
	s_and_saveexec_b64 s[20:21], vcc
	s_cbranch_execz .LBB2254_135
; %bb.104:
	ds_read2_b32 v[2:3], v70 offset0:7 offset1:8
	v_mov_b32_e32 v24, s76
	v_cmp_eq_u32_e32 vcc, v62, v63
	v_add_u32_e32 v26, 8, v71
	s_mov_b64 s[26:27], 0
	s_waitcnt lgkmcnt(0)
	v_cndmask_b32_e32 v24, v24, v2, vcc
	v_cmp_ne_u32_e32 vcc, v62, v63
                                        ; implicit-def: $sgpr28_sgpr29
                                        ; implicit-def: $vgpr2
	s_nop 1
	v_cndmask_b32_e64 v25, 0, 1, vcc
	v_cmp_gt_u32_e32 vcc, s3, v26
	v_mov_b64_e32 v[26:27], 0
	v_mov_b64_e32 v[28:29], v[26:27]
	;; [unrolled: 1-line block ×14, first 2 shown]
	s_and_saveexec_b64 s[22:23], vcc
	s_cbranch_execz .LBB2254_134
; %bb.105:
	v_mov_b32_e32 v26, s76
	v_cmp_eq_u32_e32 vcc, v63, v60
	v_add_u32_e32 v2, 9, v71
	v_mov_b64_e32 v[28:29], 0
	v_cndmask_b32_e32 v26, v26, v3, vcc
	v_cmp_ne_u32_e32 vcc, v63, v60
	s_mov_b64 s[28:29], 0
	v_mov_b64_e32 v[30:31], v[28:29]
	v_cndmask_b32_e64 v27, 0, 1, vcc
	v_cmp_gt_u32_e32 vcc, s3, v2
	v_mov_b64_e32 v[32:33], v[28:29]
	v_mov_b64_e32 v[34:35], v[28:29]
	;; [unrolled: 1-line block ×11, first 2 shown]
                                        ; implicit-def: $sgpr30_sgpr31
                                        ; implicit-def: $vgpr2
	s_and_saveexec_b64 s[24:25], vcc
	s_cbranch_execz .LBB2254_133
; %bb.106:
	ds_read2_b32 v[2:3], v70 offset0:9 offset1:10
	v_mov_b32_e32 v28, s76
	v_cmp_eq_u32_e32 vcc, v60, v61
	v_add_u32_e32 v30, 10, v71
	s_mov_b64 s[30:31], 0
	s_waitcnt lgkmcnt(0)
	v_cndmask_b32_e32 v28, v28, v2, vcc
	v_cmp_ne_u32_e32 vcc, v60, v61
                                        ; implicit-def: $sgpr34_sgpr35
                                        ; implicit-def: $vgpr2
	s_nop 1
	v_cndmask_b32_e64 v29, 0, 1, vcc
	v_cmp_gt_u32_e32 vcc, s3, v30
	v_mov_b64_e32 v[30:31], 0
	v_mov_b64_e32 v[32:33], v[30:31]
	;; [unrolled: 1-line block ×12, first 2 shown]
	s_and_saveexec_b64 s[26:27], vcc
	s_cbranch_execz .LBB2254_132
; %bb.107:
	v_mov_b32_e32 v30, s76
	v_cmp_eq_u32_e32 vcc, v61, v58
	v_add_u32_e32 v2, 11, v71
	v_mov_b64_e32 v[32:33], 0
	v_cndmask_b32_e32 v30, v30, v3, vcc
	v_cmp_ne_u32_e32 vcc, v61, v58
	s_mov_b64 s[34:35], 0
	v_mov_b64_e32 v[34:35], v[32:33]
	v_cndmask_b32_e64 v31, 0, 1, vcc
	v_cmp_gt_u32_e32 vcc, s3, v2
	v_mov_b64_e32 v[36:37], v[32:33]
	v_mov_b64_e32 v[38:39], v[32:33]
	;; [unrolled: 1-line block ×9, first 2 shown]
                                        ; implicit-def: $sgpr36_sgpr37
                                        ; implicit-def: $vgpr2
	s_and_saveexec_b64 s[28:29], vcc
	s_cbranch_execz .LBB2254_131
; %bb.108:
	ds_read2_b32 v[2:3], v70 offset0:11 offset1:12
	v_mov_b32_e32 v32, s76
	v_cmp_eq_u32_e32 vcc, v58, v59
	v_add_u32_e32 v34, 12, v71
	s_mov_b64 s[36:37], 0
	s_waitcnt lgkmcnt(0)
	v_cndmask_b32_e32 v32, v32, v2, vcc
	v_cmp_ne_u32_e32 vcc, v58, v59
                                        ; implicit-def: $sgpr38_sgpr39
                                        ; implicit-def: $vgpr2
	s_nop 1
	v_cndmask_b32_e64 v33, 0, 1, vcc
	v_cmp_gt_u32_e32 vcc, s3, v34
	v_mov_b64_e32 v[34:35], 0
	v_mov_b64_e32 v[36:37], v[34:35]
	;; [unrolled: 1-line block ×10, first 2 shown]
	s_and_saveexec_b64 s[30:31], vcc
	s_cbranch_execz .LBB2254_130
; %bb.109:
	v_mov_b32_e32 v34, s76
	v_cmp_eq_u32_e32 vcc, v59, v56
	v_add_u32_e32 v2, 13, v71
	v_mov_b64_e32 v[36:37], 0
	v_cndmask_b32_e32 v34, v34, v3, vcc
	v_cmp_ne_u32_e32 vcc, v59, v56
	s_mov_b64 s[38:39], 0
	v_mov_b64_e32 v[38:39], v[36:37]
	v_cndmask_b32_e64 v35, 0, 1, vcc
	v_cmp_gt_u32_e32 vcc, s3, v2
	v_mov_b64_e32 v[40:41], v[36:37]
	v_mov_b64_e32 v[42:43], v[36:37]
	;; [unrolled: 1-line block ×7, first 2 shown]
                                        ; implicit-def: $sgpr40_sgpr41
                                        ; implicit-def: $vgpr2
	s_and_saveexec_b64 s[34:35], vcc
	s_cbranch_execz .LBB2254_129
; %bb.110:
	ds_read2_b32 v[2:3], v70 offset0:13 offset1:14
	v_mov_b32_e32 v36, s76
	v_cmp_eq_u32_e32 vcc, v56, v57
	v_add_u32_e32 v38, 14, v71
	s_mov_b64 s[40:41], 0
	s_waitcnt lgkmcnt(0)
	v_cndmask_b32_e32 v36, v36, v2, vcc
	v_cmp_ne_u32_e32 vcc, v56, v57
                                        ; implicit-def: $sgpr42_sgpr43
                                        ; implicit-def: $vgpr2
	s_nop 1
	v_cndmask_b32_e64 v37, 0, 1, vcc
	v_cmp_gt_u32_e32 vcc, s3, v38
	v_mov_b64_e32 v[38:39], 0
	v_mov_b64_e32 v[40:41], v[38:39]
	v_mov_b64_e32 v[42:43], v[38:39]
	v_mov_b64_e32 v[44:45], v[38:39]
	v_mov_b64_e32 v[46:47], v[38:39]
	v_mov_b64_e32 v[48:49], v[38:39]
	v_mov_b64_e32 v[50:51], v[38:39]
	v_mov_b64_e32 v[52:53], v[38:39]
	s_and_saveexec_b64 s[36:37], vcc
	s_cbranch_execz .LBB2254_128
; %bb.111:
	v_mov_b32_e32 v38, s76
	v_cmp_eq_u32_e32 vcc, v57, v54
	v_add_u32_e32 v2, 15, v71
	v_mov_b64_e32 v[40:41], 0
	v_cndmask_b32_e32 v38, v38, v3, vcc
	v_cmp_ne_u32_e32 vcc, v57, v54
	s_mov_b64 s[42:43], 0
	v_mov_b64_e32 v[42:43], v[40:41]
	v_cndmask_b32_e64 v39, 0, 1, vcc
	v_cmp_gt_u32_e32 vcc, s3, v2
	v_mov_b64_e32 v[44:45], v[40:41]
	v_mov_b64_e32 v[46:47], v[40:41]
	;; [unrolled: 1-line block ×5, first 2 shown]
                                        ; implicit-def: $sgpr44_sgpr45
                                        ; implicit-def: $vgpr2
	s_and_saveexec_b64 s[38:39], vcc
	s_cbranch_execz .LBB2254_127
; %bb.112:
	ds_read2_b32 v[2:3], v70 offset0:15 offset1:16
	v_mov_b32_e32 v40, s76
	v_cmp_eq_u32_e32 vcc, v54, v55
	v_add_u32_e32 v42, 16, v71
	s_mov_b64 s[44:45], 0
	s_waitcnt lgkmcnt(0)
	v_cndmask_b32_e32 v40, v40, v2, vcc
	v_cmp_ne_u32_e32 vcc, v54, v55
                                        ; implicit-def: $sgpr46_sgpr47
                                        ; implicit-def: $vgpr2
	s_nop 1
	v_cndmask_b32_e64 v41, 0, 1, vcc
	v_cmp_gt_u32_e32 vcc, s3, v42
	v_mov_b64_e32 v[42:43], 0
	v_mov_b64_e32 v[44:45], v[42:43]
	;; [unrolled: 1-line block ×6, first 2 shown]
	s_and_saveexec_b64 s[40:41], vcc
	s_cbranch_execz .LBB2254_126
; %bb.113:
	v_mov_b32_e32 v42, s76
	v_cmp_eq_u32_e32 vcc, v55, v8
	v_add_u32_e32 v2, 17, v71
	v_mov_b64_e32 v[44:45], 0
	v_cndmask_b32_e32 v42, v42, v3, vcc
	v_cmp_ne_u32_e32 vcc, v55, v8
	s_mov_b64 s[46:47], 0
	v_mov_b64_e32 v[46:47], v[44:45]
	v_cndmask_b32_e64 v43, 0, 1, vcc
	v_cmp_gt_u32_e32 vcc, s3, v2
	v_mov_b64_e32 v[48:49], v[44:45]
	v_mov_b64_e32 v[50:51], v[44:45]
	;; [unrolled: 1-line block ×3, first 2 shown]
                                        ; implicit-def: $sgpr48_sgpr49
                                        ; implicit-def: $vgpr2
	s_and_saveexec_b64 s[42:43], vcc
	s_cbranch_execz .LBB2254_125
; %bb.114:
	ds_read2_b32 v[2:3], v70 offset0:17 offset1:18
	v_mov_b32_e32 v44, s76
	v_cmp_eq_u32_e32 vcc, v8, v9
	v_add_u32_e32 v46, 18, v71
	s_mov_b64 s[48:49], 0
	s_waitcnt lgkmcnt(0)
	v_cndmask_b32_e32 v44, v44, v2, vcc
	v_cmp_ne_u32_e32 vcc, v8, v9
                                        ; implicit-def: $sgpr50_sgpr51
                                        ; implicit-def: $vgpr2
	s_nop 1
	v_cndmask_b32_e64 v45, 0, 1, vcc
	v_cmp_gt_u32_e32 vcc, s3, v46
	v_mov_b64_e32 v[46:47], 0
	v_mov_b64_e32 v[48:49], v[46:47]
	;; [unrolled: 1-line block ×4, first 2 shown]
	s_and_saveexec_b64 s[44:45], vcc
	s_cbranch_execz .LBB2254_124
; %bb.115:
	v_mov_b32_e32 v8, s76
	v_cmp_eq_u32_e32 vcc, v9, v6
	v_add_u32_e32 v2, 19, v71
	v_mov_b64_e32 v[48:49], 0
	v_cndmask_b32_e32 v46, v8, v3, vcc
	v_cmp_ne_u32_e32 vcc, v9, v6
	s_mov_b64 s[50:51], 0
	v_mov_b64_e32 v[50:51], v[48:49]
	v_cndmask_b32_e64 v47, 0, 1, vcc
	v_cmp_gt_u32_e32 vcc, s3, v2
	v_mov_b64_e32 v[52:53], v[48:49]
                                        ; implicit-def: $sgpr60_sgpr61
                                        ; implicit-def: $vgpr2
	s_and_saveexec_b64 s[46:47], vcc
	s_cbranch_execz .LBB2254_123
; %bb.116:
	ds_read2_b32 v[2:3], v70 offset0:19 offset1:20
	v_mov_b32_e32 v9, s76
	v_cmp_eq_u32_e32 vcc, v6, v7
	v_add_u32_e32 v8, 20, v71
	v_mov_b64_e32 v[50:51], 0
	s_waitcnt lgkmcnt(0)
	v_cndmask_b32_e32 v48, v9, v2, vcc
	v_cmp_ne_u32_e32 vcc, v6, v7
	s_mov_b64 s[60:61], 0
	v_mov_b64_e32 v[52:53], v[50:51]
	v_cndmask_b32_e64 v49, 0, 1, vcc
	v_cmp_gt_u32_e32 vcc, s3, v8
                                        ; implicit-def: $sgpr72_sgpr73
                                        ; implicit-def: $vgpr2
	s_and_saveexec_b64 s[48:49], vcc
	s_cbranch_execz .LBB2254_122
; %bb.117:
	v_mov_b32_e32 v6, s76
	v_cmp_eq_u32_e32 vcc, v7, v4
	v_add_u32_e32 v2, 21, v71
	v_mov_b64_e32 v[52:53], 0
	v_cndmask_b32_e32 v50, v6, v3, vcc
	v_cmp_ne_u32_e32 vcc, v7, v4
                                        ; implicit-def: $sgpr72_sgpr73
	s_nop 1
	v_cndmask_b32_e64 v51, 0, 1, vcc
	v_cmp_gt_u32_e32 vcc, s3, v2
                                        ; implicit-def: $vgpr2
	s_and_saveexec_b64 s[50:51], vcc
	s_cbranch_execz .LBB2254_121
; %bb.118:
	ds_read2_b32 v[2:3], v70 offset0:21 offset1:22
	v_mov_b32_e32 v7, s76
	v_cmp_eq_u32_e32 vcc, v4, v5
	v_add_u32_e32 v6, 22, v71
                                        ; implicit-def: $sgpr72_sgpr73
	s_waitcnt lgkmcnt(0)
	v_cndmask_b32_e32 v52, v7, v2, vcc
	v_cmp_ne_u32_e32 vcc, v4, v5
                                        ; implicit-def: $vgpr2
	s_nop 1
	v_cndmask_b32_e64 v53, 0, 1, vcc
	v_cmp_gt_u32_e32 vcc, s3, v6
	s_and_saveexec_b64 s[74:75], vcc
	s_xor_b64 s[74:75], exec, s[74:75]
; %bb.119:
	v_mov_b32_e32 v2, s76
	v_cmp_ne_u32_e32 vcc, v5, v1
	s_mov_b64 s[60:61], exec
	s_and_b64 s[72:73], vcc, exec
	v_cndmask_b32_e32 v2, v3, v2, vcc
; %bb.120:
	s_or_b64 exec, exec, s[74:75]
	s_and_b64 s[72:73], s[72:73], exec
	s_and_b64 s[60:61], s[60:61], exec
.LBB2254_121:
	s_or_b64 exec, exec, s[50:51]
	s_and_b64 s[72:73], s[72:73], exec
	s_and_b64 s[50:51], s[60:61], exec
.LBB2254_122:
	s_or_b64 exec, exec, s[48:49]
	s_and_b64 s[60:61], s[72:73], exec
	s_and_b64 s[48:49], s[50:51], exec
.LBB2254_123:
	s_or_b64 exec, exec, s[46:47]
	s_and_b64 s[50:51], s[60:61], exec
	s_and_b64 s[46:47], s[48:49], exec
.LBB2254_124:
	s_or_b64 exec, exec, s[44:45]
	s_and_b64 s[48:49], s[50:51], exec
	s_and_b64 s[44:45], s[46:47], exec
.LBB2254_125:
	s_or_b64 exec, exec, s[42:43]
	s_and_b64 s[46:47], s[48:49], exec
	s_and_b64 s[42:43], s[44:45], exec
.LBB2254_126:
	s_or_b64 exec, exec, s[40:41]
	s_and_b64 s[44:45], s[46:47], exec
	s_and_b64 s[40:41], s[42:43], exec
.LBB2254_127:
	s_or_b64 exec, exec, s[38:39]
	s_and_b64 s[42:43], s[44:45], exec
	s_and_b64 s[38:39], s[40:41], exec
.LBB2254_128:
	s_or_b64 exec, exec, s[36:37]
	s_and_b64 s[40:41], s[42:43], exec
	s_and_b64 s[36:37], s[38:39], exec
.LBB2254_129:
	s_or_b64 exec, exec, s[34:35]
	s_and_b64 s[38:39], s[40:41], exec
	s_and_b64 s[34:35], s[36:37], exec
.LBB2254_130:
	s_or_b64 exec, exec, s[30:31]
	s_and_b64 s[36:37], s[38:39], exec
	s_and_b64 s[30:31], s[34:35], exec
.LBB2254_131:
	s_or_b64 exec, exec, s[28:29]
	s_and_b64 s[34:35], s[36:37], exec
	s_and_b64 s[28:29], s[30:31], exec
.LBB2254_132:
	s_or_b64 exec, exec, s[26:27]
	s_and_b64 s[30:31], s[34:35], exec
	s_and_b64 s[26:27], s[28:29], exec
.LBB2254_133:
	s_or_b64 exec, exec, s[24:25]
	s_and_b64 s[28:29], s[30:31], exec
	s_and_b64 s[24:25], s[26:27], exec
.LBB2254_134:
	s_or_b64 exec, exec, s[22:23]
	s_and_b64 s[26:27], s[28:29], exec
	s_and_b64 s[22:23], s[24:25], exec
.LBB2254_135:
	s_or_b64 exec, exec, s[20:21]
	s_and_b64 s[24:25], s[26:27], exec
	s_and_b64 s[20:21], s[22:23], exec
.LBB2254_136:
	s_or_b64 exec, exec, s[18:19]
	s_and_b64 s[22:23], s[24:25], exec
	s_and_b64 s[18:19], s[20:21], exec
.LBB2254_137:
	s_or_b64 exec, exec, s[16:17]
	s_and_b64 s[20:21], s[22:23], exec
	s_and_b64 s[16:17], s[18:19], exec
.LBB2254_138:
	s_or_b64 exec, exec, s[14:15]
	s_and_b64 s[18:19], s[20:21], exec
	s_and_b64 s[14:15], s[16:17], exec
.LBB2254_139:
	s_or_b64 exec, exec, s[12:13]
	s_and_b64 s[16:17], s[18:19], exec
	s_and_b64 s[12:13], s[14:15], exec
.LBB2254_140:
	s_or_b64 exec, exec, s[10:11]
	s_and_b64 s[14:15], s[16:17], exec
	s_and_b64 s[10:11], s[12:13], exec
.LBB2254_141:
	s_or_b64 exec, exec, s[8:9]
	s_and_b64 s[8:9], s[14:15], exec
	s_and_b64 s[10:11], s[10:11], exec
.LBB2254_142:
	s_or_b64 exec, exec, s[6:7]
	s_mov_b64 s[6:7], 0
	s_and_b64 vcc, exec, s[4:5]
	v_lshlrev_b32_e32 v54, 2, v0
	s_cbranch_vccz .LBB2254_148
.LBB2254_143:
	v_mov_b32_e32 v55, 0
	v_lshl_add_u64 v[2:3], s[70:71], 0, v[54:55]
	v_add_co_u32_e32 v4, vcc, 0x1000, v2
	s_movk_i32 s6, 0x58
	s_nop 0
	v_addc_co_u32_e32 v5, vcc, 0, v3, vcc
	flat_load_dword v1, v[2:3]
	flat_load_dword v8, v[2:3] offset:1024
	flat_load_dword v9, v[2:3] offset:2048
	;; [unrolled: 1-line block ×3, first 2 shown]
	flat_load_dword v11, v[4:5]
	flat_load_dword v12, v[4:5] offset:1024
	flat_load_dword v13, v[4:5] offset:2048
	;; [unrolled: 1-line block ×3, first 2 shown]
	v_add_co_u32_e32 v4, vcc, 0x2000, v2
	s_movk_i32 s10, 0x1000
	s_nop 0
	v_addc_co_u32_e32 v5, vcc, 0, v3, vcc
	v_add_co_u32_e32 v6, vcc, 0x3000, v2
	s_mov_b32 s4, 0
	s_nop 0
	v_addc_co_u32_e32 v7, vcc, 0, v3, vcc
	flat_load_dword v15, v[4:5]
	flat_load_dword v16, v[4:5] offset:1024
	flat_load_dword v17, v[4:5] offset:2048
	;; [unrolled: 1-line block ×3, first 2 shown]
	flat_load_dword v19, v[6:7]
	flat_load_dword v20, v[6:7] offset:1024
	flat_load_dword v21, v[6:7] offset:2048
	;; [unrolled: 1-line block ×3, first 2 shown]
	v_add_co_u32_e32 v4, vcc, 0x4000, v2
	s_movk_i32 s9, 0x2000
	s_nop 0
	v_addc_co_u32_e32 v5, vcc, 0, v3, vcc
	v_add_co_u32_e32 v2, vcc, 0x5000, v2
	s_movk_i32 s8, 0x3000
	s_nop 0
	v_addc_co_u32_e32 v3, vcc, 0, v3, vcc
	flat_load_dword v6, v[4:5]
	flat_load_dword v7, v[4:5] offset:1024
	flat_load_dword v23, v[4:5] offset:2048
	;; [unrolled: 1-line block ×3, first 2 shown]
	flat_load_dword v25, v[2:3]
	flat_load_dword v26, v[2:3] offset:1024
	flat_load_dword v27, v[2:3] offset:2048
	v_mov_b32_e32 v2, s70
	v_mov_b32_e32 v3, s71
	v_add_co_u32_e32 v2, vcc, 0x5000, v2
	s_movk_i32 s5, 0x4000
	s_nop 0
	v_addc_co_u32_e32 v3, vcc, 0, v3, vcc
	s_movk_i32 s3, 0x5000
	s_waitcnt vmcnt(0) lgkmcnt(0)
	ds_write2st64_b32 v54, v1, v8 offset1:4
	ds_write2st64_b32 v54, v9, v10 offset0:8 offset1:12
	ds_write2st64_b32 v54, v11, v12 offset0:16 offset1:20
	;; [unrolled: 1-line block ×10, first 2 shown]
	ds_write_b32 v54, v27 offset:22528
	s_waitcnt lgkmcnt(0)
	s_barrier
	flat_load_dword v1, v[2:3] offset:3072
	v_mad_u32_u24 v12, v0, s6, v54
	s_movk_i32 s6, 0xffa8
	v_mad_i32_i24 v11, v0, s6, v12
	s_movk_i32 s6, 0xff
	v_cmp_ne_u32_e32 vcc, s6, v0
	ds_read_b32 v10, v12
	ds_read2_b32 v[14:15], v12 offset0:1 offset1:2
	ds_read2_b32 v[18:19], v12 offset0:3 offset1:4
	;; [unrolled: 1-line block ×11, first 2 shown]
	s_waitcnt lgkmcnt(0)
	ds_write_b32 v11, v10 offset:24576
	s_waitcnt lgkmcnt(0)
	s_barrier
	s_and_saveexec_b64 s[6:7], vcc
	s_cbranch_execz .LBB2254_145
; %bb.144:
	s_waitcnt vmcnt(0)
	ds_read_b32 v1, v54 offset:24580
.LBB2254_145:
	s_or_b64 exec, exec, s[6:7]
	v_lshl_add_u64 v[16:17], s[52:53], 0, v[54:55]
	v_add_co_u32_e32 v20, vcc, s10, v16
	s_waitcnt lgkmcnt(0)
	s_nop 0
	v_addc_co_u32_e32 v21, vcc, 0, v17, vcc
	s_barrier
	flat_load_dword v11, v[16:17]
	flat_load_dword v13, v[16:17] offset:1024
	flat_load_dword v28, v[16:17] offset:2048
	;; [unrolled: 1-line block ×3, first 2 shown]
	flat_load_dword v32, v[20:21]
	flat_load_dword v33, v[20:21] offset:1024
	flat_load_dword v36, v[20:21] offset:2048
	;; [unrolled: 1-line block ×3, first 2 shown]
	v_add_co_u32_e32 v20, vcc, s9, v16
	s_nop 1
	v_addc_co_u32_e32 v21, vcc, 0, v17, vcc
	v_add_co_u32_e32 v24, vcc, s8, v16
	s_nop 1
	v_addc_co_u32_e32 v25, vcc, 0, v17, vcc
	flat_load_dword v40, v[20:21]
	flat_load_dword v41, v[20:21] offset:1024
	flat_load_dword v42, v[20:21] offset:2048
	;; [unrolled: 1-line block ×3, first 2 shown]
	flat_load_dword v44, v[24:25]
	flat_load_dword v45, v[24:25] offset:1024
	flat_load_dword v46, v[24:25] offset:2048
	flat_load_dword v47, v[24:25] offset:3072
	v_add_co_u32_e32 v20, vcc, s5, v16
	s_mov_b32 s5, 1
	s_nop 0
	v_addc_co_u32_e32 v21, vcc, 0, v17, vcc
	v_add_co_u32_e32 v16, vcc, s3, v16
	s_nop 1
	v_addc_co_u32_e32 v17, vcc, 0, v17, vcc
	flat_load_dword v24, v[20:21]
	flat_load_dword v25, v[20:21] offset:1024
	flat_load_dword v48, v[20:21] offset:2048
	;; [unrolled: 1-line block ×3, first 2 shown]
	flat_load_dword v50, v[16:17]
	flat_load_dword v51, v[16:17] offset:1024
	flat_load_dword v52, v[16:17] offset:2048
	v_cmp_eq_u32_e32 vcc, v10, v14
	s_waitcnt vmcnt(0) lgkmcnt(0)
	ds_write2st64_b32 v54, v11, v13 offset1:4
	ds_write2st64_b32 v54, v28, v29 offset0:8 offset1:12
	ds_write2st64_b32 v54, v32, v33 offset0:16 offset1:20
	;; [unrolled: 1-line block ×10, first 2 shown]
	ds_write_b32 v54, v52 offset:22528
	s_waitcnt lgkmcnt(0)
	s_barrier
	ds_read2_b32 v[16:17], v12 offset0:1 offset1:2
	ds_read2_b32 v[20:21], v12 offset0:3 offset1:4
	;; [unrolled: 1-line block ×11, first 2 shown]
	v_mov_b64_e32 v[10:11], s[4:5]
	v_mov_b32_e32 v13, s76
	s_and_saveexec_b64 s[4:5], vcc
	s_cbranch_execz .LBB2254_147
; %bb.146:
	ds_read_b32 v13, v12
	v_mov_b64_e32 v[10:11], 0
.LBB2254_147:
	s_or_b64 exec, exec, s[4:5]
	v_mov_b32_e32 v55, s76
	v_cmp_eq_u32_e32 vcc, v14, v15
	s_waitcnt lgkmcnt(0)
	v_or_b32_e32 v10, v10, v13
	v_cmp_ne_u32_e64 s[8:9], v3, v1
	v_cndmask_b32_e32 v12, v55, v16, vcc
	v_cmp_ne_u32_e32 vcc, v14, v15
	s_mov_b64 s[10:11], -1
                                        ; implicit-def: $sgpr6_sgpr7
	s_nop 0
	v_cndmask_b32_e64 v13, 0, 1, vcc
	v_cmp_eq_u32_e32 vcc, v15, v18
	s_nop 1
	v_cndmask_b32_e32 v14, v55, v17, vcc
	v_cmp_ne_u32_e32 vcc, v15, v18
	s_nop 1
	v_cndmask_b32_e64 v15, 0, 1, vcc
	v_cmp_eq_u32_e32 vcc, v18, v19
	s_nop 1
	v_cndmask_b32_e32 v16, v55, v20, vcc
	v_cmp_ne_u32_e32 vcc, v18, v19
	s_nop 1
	v_cndmask_b32_e64 v17, 0, 1, vcc
	v_cmp_eq_u32_e32 vcc, v19, v22
	s_nop 1
	v_cndmask_b32_e32 v18, v55, v21, vcc
	v_cmp_ne_u32_e32 vcc, v19, v22
	s_nop 1
	v_cndmask_b32_e64 v19, 0, 1, vcc
	v_cmp_eq_u32_e32 vcc, v22, v23
	s_nop 1
	v_cndmask_b32_e32 v20, v55, v24, vcc
	v_cmp_ne_u32_e32 vcc, v22, v23
	s_nop 1
	v_cndmask_b32_e64 v21, 0, 1, vcc
	v_cmp_eq_u32_e32 vcc, v23, v26
	s_nop 1
	v_cndmask_b32_e32 v22, v55, v25, vcc
	v_cmp_ne_u32_e32 vcc, v23, v26
	s_nop 1
	v_cndmask_b32_e64 v23, 0, 1, vcc
	v_cmp_eq_u32_e32 vcc, v26, v27
	s_nop 1
	v_cndmask_b32_e32 v24, v55, v28, vcc
	v_cmp_ne_u32_e32 vcc, v26, v27
	s_nop 1
	v_cndmask_b32_e64 v25, 0, 1, vcc
	v_cmp_eq_u32_e32 vcc, v27, v30
	s_nop 1
	v_cndmask_b32_e32 v26, v55, v29, vcc
	v_cmp_ne_u32_e32 vcc, v27, v30
	s_nop 1
	v_cndmask_b32_e64 v27, 0, 1, vcc
	v_cmp_eq_u32_e32 vcc, v30, v31
	s_nop 1
	v_cndmask_b32_e32 v28, v55, v32, vcc
	v_cmp_ne_u32_e32 vcc, v30, v31
	s_nop 1
	v_cndmask_b32_e64 v29, 0, 1, vcc
	v_cmp_eq_u32_e32 vcc, v31, v34
	s_nop 1
	v_cndmask_b32_e32 v30, v55, v33, vcc
	v_cmp_ne_u32_e32 vcc, v31, v34
	s_nop 1
	v_cndmask_b32_e64 v31, 0, 1, vcc
	v_cmp_eq_u32_e32 vcc, v34, v35
	s_nop 1
	v_cndmask_b32_e32 v32, v55, v36, vcc
	v_cmp_ne_u32_e32 vcc, v34, v35
	s_nop 1
	v_cndmask_b32_e64 v33, 0, 1, vcc
	v_cmp_eq_u32_e32 vcc, v35, v38
	s_nop 1
	v_cndmask_b32_e32 v34, v55, v37, vcc
	v_cmp_ne_u32_e32 vcc, v35, v38
	s_nop 1
	v_cndmask_b32_e64 v35, 0, 1, vcc
	v_cmp_eq_u32_e32 vcc, v38, v39
	s_nop 1
	v_cndmask_b32_e32 v36, v55, v40, vcc
	v_cmp_ne_u32_e32 vcc, v38, v39
	s_nop 1
	v_cndmask_b32_e64 v37, 0, 1, vcc
	v_cmp_eq_u32_e32 vcc, v39, v8
	s_nop 1
	v_cndmask_b32_e32 v38, v55, v41, vcc
	v_cmp_ne_u32_e32 vcc, v39, v8
	s_nop 1
	v_cndmask_b32_e64 v39, 0, 1, vcc
	v_cmp_eq_u32_e32 vcc, v8, v9
	s_nop 1
	v_cndmask_b32_e32 v40, v55, v42, vcc
	v_cmp_ne_u32_e32 vcc, v8, v9
	s_nop 1
	v_cndmask_b32_e64 v41, 0, 1, vcc
	v_cmp_eq_u32_e32 vcc, v9, v6
	s_nop 1
	v_cndmask_b32_e32 v42, v55, v43, vcc
	v_cmp_ne_u32_e32 vcc, v9, v6
	s_nop 1
	v_cndmask_b32_e64 v43, 0, 1, vcc
	v_cmp_eq_u32_e32 vcc, v6, v7
	s_nop 1
	v_cndmask_b32_e32 v44, v55, v46, vcc
	v_cmp_ne_u32_e32 vcc, v6, v7
	s_nop 1
	v_cndmask_b32_e64 v45, 0, 1, vcc
	v_cmp_eq_u32_e32 vcc, v7, v4
	s_nop 1
	v_cndmask_b32_e32 v46, v55, v47, vcc
	v_cmp_ne_u32_e32 vcc, v7, v4
	s_nop 1
	v_cndmask_b32_e64 v47, 0, 1, vcc
	v_cmp_eq_u32_e32 vcc, v4, v5
	s_nop 1
	v_cndmask_b32_e32 v48, v55, v50, vcc
	v_cmp_ne_u32_e32 vcc, v4, v5
	s_nop 1
	v_cndmask_b32_e64 v49, 0, 1, vcc
	v_cmp_eq_u32_e32 vcc, v5, v2
	s_nop 1
	v_cndmask_b32_e32 v50, v55, v51, vcc
	v_cmp_ne_u32_e32 vcc, v5, v2
	s_nop 1
	v_cndmask_b32_e64 v51, 0, 1, vcc
	v_cmp_eq_u32_e32 vcc, v2, v3
	s_nop 1
	v_cndmask_b32_e32 v52, v55, v56, vcc
	v_cmp_ne_u32_e32 vcc, v2, v3
	v_cndmask_b32_e64 v2, v57, v55, s[8:9]
	s_nop 0
	v_cndmask_b32_e64 v53, 0, 1, vcc
.LBB2254_148:
	v_mov_b64_e32 v[56:57], s[6:7]
	s_and_saveexec_b64 s[4:5], s[10:11]
; %bb.149:
	v_cndmask_b32_e64 v3, 0, 1, s[8:9]
	v_mov_b64_e32 v[56:57], v[2:3]
; %bb.150:
	s_or_b64 exec, exec, s[4:5]
	s_mov_b32 s46, 0
	s_cmp_lg_u32 s2, 0
	v_or_b32_e32 v55, v57, v53
	v_lshrrev_b32_e32 v1, 5, v0
	v_cmp_gt_u32_e32 vcc, 64, v0
	s_barrier
	s_cbranch_scc0 .LBB2254_189
; %bb.151:
	s_mov_b32 s47, 1
	v_cmp_gt_u64_e64 s[50:51], s[46:47], v[12:13]
	v_cmp_gt_u64_e64 s[4:5], s[46:47], v[14:15]
	v_cmp_gt_u64_e64 s[6:7], s[46:47], v[16:17]
	v_cndmask_b32_e64 v2, 0, v10, s[50:51]
	v_add_u32_e32 v2, v2, v12
	v_cndmask_b32_e64 v2, 0, v2, s[4:5]
	v_add_u32_e32 v2, v2, v14
	v_cndmask_b32_e64 v2, 0, v2, s[6:7]
	v_add_u32_e32 v2, v2, v16
	v_cmp_gt_u64_e64 s[8:9], s[46:47], v[18:19]
	v_cmp_gt_u64_e64 s[10:11], s[46:47], v[20:21]
	v_cmp_gt_u64_e64 s[12:13], s[46:47], v[22:23]
	v_cndmask_b32_e64 v2, 0, v2, s[8:9]
	v_add_u32_e32 v2, v2, v18
	v_cndmask_b32_e64 v2, 0, v2, s[10:11]
	v_add_u32_e32 v2, v2, v20
	v_cndmask_b32_e64 v2, 0, v2, s[12:13]
	v_add_u32_e32 v2, v2, v22
	;; [unrolled: 9-line block ×7, first 2 shown]
	v_cmp_gt_u64_e64 s[46:47], s[46:47], v[56:57]
	s_nop 1
	v_cndmask_b32_e64 v2, 0, v2, s[46:47]
	v_add_u32_e32 v62, v2, v56
	v_or3_b32 v2, v55, v51, v49
	v_or3_b32 v2, v2, v47, v45
	;; [unrolled: 1-line block ×10, first 2 shown]
	v_and_b32_e32 v2, 1, v2
	v_cmp_eq_u32_e64 s[46:47], 1, v2
	v_add_lshl_u32 v2, v1, v0, 3
	s_nop 0
	v_cndmask_b32_e64 v63, v11, 1, s[46:47]
	ds_write_b32 v2, v62
	ds_write_b8 v2, v63 offset:4
	s_waitcnt lgkmcnt(0)
	s_barrier
	s_and_saveexec_b64 s[48:49], vcc
	s_cbranch_execz .LBB2254_163
; %bb.152:
	v_lshrrev_b32_e32 v2, 3, v0
	v_add_lshl_u32 v4, v2, v54, 3
	ds_read2_b32 v[6:7], v4 offset0:2 offset1:4
	ds_read_b64 v[2:3], v4
	ds_read_u8 v8, v4 offset:12
	ds_read_u8 v9, v4 offset:20
	ds_read_b32 v58, v4 offset:24
	ds_read_u8 v59, v4 offset:28
	v_mov_b32_e32 v60, 0
	s_waitcnt lgkmcnt(3)
	v_cmp_eq_u16_sdwa s[46:47], v8, v60 src0_sel:BYTE_0 src1_sel:DWORD
	v_and_b32_e32 v5, 1, v3
	s_nop 0
	v_cndmask_b32_e64 v61, 0, v2, s[46:47]
	v_add_u32_e32 v6, v61, v6
	s_waitcnt lgkmcnt(2)
	v_cmp_eq_u16_sdwa s[46:47], v9, v60 src0_sel:BYTE_0 src1_sel:DWORD
	s_nop 1
	v_cndmask_b32_e64 v6, 0, v6, s[46:47]
	v_add_u32_e32 v6, v6, v7
	s_waitcnt lgkmcnt(0)
	v_cmp_eq_u16_e64 s[46:47], 0, v59
	s_nop 1
	v_cndmask_b32_e64 v6, 0, v6, s[46:47]
	v_add_u32_e32 v7, v6, v58
	v_or_b32_e32 v6, v59, v9
	v_or_b32_e32 v6, v6, v8
	v_and_b32_e32 v6, 1, v6
	v_cmp_eq_u32_e64 s[46:47], 1, v6
	v_mbcnt_lo_u32_b32 v8, -1, 0
	v_and_b32_e32 v6, 0xffffff00, v3
	v_cndmask_b32_e64 v9, v5, 1, s[46:47]
	v_mbcnt_hi_u32_b32 v8, -1, v8
	v_and_b32_e32 v59, 15, v8
	v_or_b32_sdwa v58, v6, v9 dst_sel:DWORD dst_unused:UNUSED_PAD src0_sel:DWORD src1_sel:WORD_0
	v_mov_b32_dpp v60, v7 row_shr:1 row_mask:0xf bank_mask:0xf
	v_cmp_ne_u32_e64 s[46:47], 0, v59
	v_mov_b32_dpp v61, v58 row_shr:1 row_mask:0xf bank_mask:0xf
	s_and_saveexec_b64 s[52:53], s[46:47]
; %bb.153:
	v_and_b32_e32 v58, 1, v9
	v_and_b32_e32 v61, 1, v61
	v_cmp_eq_u32_e64 s[46:47], 1, v58
	s_nop 1
	v_cndmask_b32_e64 v61, v61, 1, s[46:47]
	v_cmp_eq_u16_e64 s[46:47], 0, v9
	v_or_b32_sdwa v58, v6, v61 dst_sel:DWORD dst_unused:UNUSED_PAD src0_sel:DWORD src1_sel:WORD_0
	s_nop 0
	v_cndmask_b32_e64 v9, 0, v60, s[46:47]
	v_add_u32_e32 v7, v9, v7
	v_mov_b32_e32 v9, v61
; %bb.154:
	s_or_b64 exec, exec, s[52:53]
	v_mov_b32_dpp v60, v7 row_shr:2 row_mask:0xf bank_mask:0xf
	v_mov_b32_dpp v61, v58 row_shr:2 row_mask:0xf bank_mask:0xf
	v_cmp_lt_u32_e64 s[46:47], 1, v59
	s_and_saveexec_b64 s[52:53], s[46:47]
; %bb.155:
	v_and_b32_e32 v58, 1, v9
	v_and_b32_e32 v61, 1, v61
	v_cmp_eq_u32_e64 s[46:47], 1, v58
	s_nop 1
	v_cndmask_b32_e64 v61, v61, 1, s[46:47]
	v_cmp_eq_u16_e64 s[46:47], 0, v9
	v_or_b32_sdwa v58, v6, v61 dst_sel:DWORD dst_unused:UNUSED_PAD src0_sel:DWORD src1_sel:WORD_0
	s_nop 0
	v_cndmask_b32_e64 v9, 0, v60, s[46:47]
	v_add_u32_e32 v7, v9, v7
	v_mov_b32_e32 v9, v61
; %bb.156:
	s_or_b64 exec, exec, s[52:53]
	v_mov_b32_dpp v60, v7 row_shr:4 row_mask:0xf bank_mask:0xf
	v_mov_b32_dpp v61, v58 row_shr:4 row_mask:0xf bank_mask:0xf
	v_cmp_lt_u32_e64 s[46:47], 3, v59
	;; [unrolled: 18-line block ×3, first 2 shown]
	s_and_saveexec_b64 s[52:53], s[46:47]
; %bb.159:
	v_and_b32_e32 v58, 1, v9
	v_and_b32_e32 v59, 1, v61
	v_cmp_eq_u32_e64 s[46:47], 1, v58
	s_nop 1
	v_cndmask_b32_e64 v59, v59, 1, s[46:47]
	v_cmp_eq_u16_e64 s[46:47], 0, v9
	v_or_b32_sdwa v58, v6, v59 dst_sel:DWORD dst_unused:UNUSED_PAD src0_sel:DWORD src1_sel:WORD_0
	s_nop 0
	v_cndmask_b32_e64 v9, 0, v60, s[46:47]
	v_add_u32_e32 v7, v9, v7
	v_mov_b32_e32 v9, v59
; %bb.160:
	s_or_b64 exec, exec, s[52:53]
	v_and_b32_e32 v61, 16, v8
	v_mov_b32_dpp v59, v7 row_bcast:15 row_mask:0xf bank_mask:0xf
	v_mov_b32_dpp v60, v58 row_bcast:15 row_mask:0xf bank_mask:0xf
	v_cmp_ne_u32_e64 s[46:47], 0, v61
	s_and_saveexec_b64 s[52:53], s[46:47]
; %bb.161:
	v_and_b32_e32 v58, 1, v9
	v_and_b32_e32 v60, 1, v60
	v_cmp_eq_u32_e64 s[46:47], 1, v58
	s_nop 1
	v_cndmask_b32_e64 v60, v60, 1, s[46:47]
	v_cmp_eq_u16_e64 s[46:47], 0, v9
	v_or_b32_sdwa v58, v6, v60 dst_sel:DWORD dst_unused:UNUSED_PAD src0_sel:DWORD src1_sel:WORD_0
	s_nop 0
	v_cndmask_b32_e64 v9, 0, v59, s[46:47]
	v_add_u32_e32 v7, v9, v7
	v_mov_b32_e32 v9, v60
; %bb.162:
	s_or_b64 exec, exec, s[52:53]
	v_mov_b32_dpp v58, v58 row_bcast:31 row_mask:0xf bank_mask:0xf
	v_and_b32_e32 v60, 1, v9
	v_and_b32_e32 v58, 1, v58
	v_cmp_eq_u32_e64 s[46:47], 1, v60
	v_mov_b32_e32 v60, 0
	v_cmp_eq_u16_sdwa s[52:53], v9, v60 src0_sel:BYTE_0 src1_sel:DWORD
	v_cndmask_b32_e64 v58, v58, 1, s[46:47]
	v_cmp_lt_u32_e64 s[46:47], 31, v8
	v_mov_b32_dpp v59, v7 row_bcast:31 row_mask:0xf bank_mask:0xf
	s_movk_i32 s3, 0xff
	v_cndmask_b32_e64 v9, v9, v58, s[46:47]
	s_and_b64 s[46:47], s[46:47], s[52:53]
	v_cndmask_b32_e64 v58, 0, v59, s[46:47]
	v_add_u32_e32 v7, v58, v7
	v_add_u32_e32 v58, -1, v8
	v_and_b32_e32 v59, 64, v8
	v_cmp_lt_i32_e64 s[46:47], v58, v59
	v_and_or_b32 v6, v9, s3, v6
	s_nop 0
	v_cndmask_b32_e64 v8, v58, v8, s[46:47]
	v_lshlrev_b32_e32 v8, 2, v8
	ds_bpermute_b32 v7, v8, v7
	ds_bpermute_b32 v6, v8, v6
	v_cmp_eq_u16_sdwa s[46:47], v3, v60 src0_sel:BYTE_0 src1_sel:DWORD
	; wave barrier
	s_waitcnt lgkmcnt(1)
	s_nop 0
	v_cndmask_b32_e64 v3, 0, v7, s[46:47]
	v_add_u32_e32 v2, v3, v2
	s_waitcnt lgkmcnt(0)
	v_and_b32_e32 v3, 1, v6
	v_cmp_eq_u32_e64 s[46:47], 1, v5
	s_nop 1
	v_cndmask_b32_e64 v3, v3, 1, s[46:47]
	v_cmp_eq_u32_e64 s[46:47], 0, v0
	s_nop 1
	v_cndmask_b32_e64 v5, v2, v62, s[46:47]
	v_cndmask_b32_e64 v6, v3, v63, s[46:47]
	ds_write_b32 v4, v5
	ds_write_b8 v4, v6 offset:4
	; wave barrier
	ds_read_u8 v7, v4 offset:12
	ds_read2_b32 v[2:3], v4 offset0:2 offset1:4
	ds_read_u8 v8, v4 offset:20
	ds_read_b32 v9, v4 offset:24
	ds_read_u8 v58, v4 offset:28
	s_waitcnt lgkmcnt(4)
	v_cmp_eq_u16_e64 s[46:47], 0, v7
	s_nop 1
	v_cndmask_b32_e64 v5, 0, v5, s[46:47]
	s_waitcnt lgkmcnt(3)
	v_add_u32_e32 v2, v5, v2
	v_and_b32_e32 v5, 1, v7
	v_cmp_eq_u32_e64 s[46:47], 1, v5
	s_nop 1
	v_cndmask_b32_e64 v5, v6, 1, s[46:47]
	s_waitcnt lgkmcnt(2)
	v_cmp_eq_u16_e64 s[46:47], 0, v8
	ds_write_b8 v4, v5 offset:12
	s_nop 0
	v_cndmask_b32_e64 v6, 0, v2, s[46:47]
	v_add_u32_e32 v3, v6, v3
	v_and_b32_e32 v6, 1, v8
	v_cmp_eq_u32_e64 s[46:47], 1, v6
	s_nop 1
	v_cndmask_b32_e64 v5, v5, 1, s[46:47]
	s_waitcnt lgkmcnt(1)
	v_cmp_eq_u16_e64 s[46:47], 0, v58
	ds_write2_b32 v4, v2, v3 offset0:2 offset1:4
	ds_write_b8 v4, v5 offset:20
	v_cndmask_b32_e64 v2, 0, v3, s[46:47]
	v_and_b32_e32 v3, 1, v58
	v_add_u32_e32 v2, v2, v9
	v_cmp_eq_u32_e64 s[46:47], 1, v3
	s_nop 1
	v_cndmask_b32_e64 v3, v5, 1, s[46:47]
	ds_write_b32 v4, v2 offset:24
	ds_write_b8 v4, v3 offset:28
.LBB2254_163:
	s_or_b64 exec, exec, s[48:49]
	v_cmp_eq_u32_e64 s[46:47], 0, v0
	v_cmp_ne_u32_e64 s[48:49], 0, v0
	s_waitcnt lgkmcnt(0)
	s_barrier
	s_and_saveexec_b64 s[52:53], s[48:49]
	s_cbranch_execz .LBB2254_165
; %bb.164:
	v_add_u32_e32 v2, -1, v0
	v_lshrrev_b32_e32 v3, 5, v2
	v_add_lshl_u32 v2, v3, v2, 3
	ds_read_b32 v62, v2
	ds_read_u8 v63, v2 offset:4
.LBB2254_165:
	s_or_b64 exec, exec, s[52:53]
	s_and_saveexec_b64 s[60:61], vcc
	s_cbranch_execz .LBB2254_188
; %bb.166:
	v_mov_b32_e32 v5, 0
	ds_read_b64 v[2:3], v5 offset:2096
	v_mbcnt_lo_u32_b32 v4, -1, 0
	v_mbcnt_hi_u32_b32 v73, -1, v4
	s_mov_b32 s71, 0
	v_cmp_eq_u32_e64 s[48:49], 0, v73
	s_waitcnt lgkmcnt(0)
	v_readfirstlane_b32 s3, v3
	s_and_saveexec_b64 s[52:53], s[48:49]
	s_cbranch_execz .LBB2254_168
; %bb.167:
	s_add_i32 s70, s2, 64
	s_lshl_b64 s[72:73], s[70:71], 4
	s_add_u32 s72, s56, s72
	s_addc_u32 s73, s57, s73
	s_and_b32 s75, s3, 0xff000000
	s_mov_b32 s74, s71
	s_and_b32 s79, s3, 0xff0000
	s_mov_b32 s78, s71
	s_or_b64 s[74:75], s[78:79], s[74:75]
	s_and_b32 s79, s3, 0xff00
	s_or_b64 s[74:75], s[74:75], s[78:79]
	s_and_b32 s79, s3, 0xff
	s_or_b64 s[70:71], s[74:75], s[78:79]
	v_mov_b32_e32 v3, s71
	v_mov_b32_e32 v4, 1
	v_mov_b64_e32 v[6:7], s[72:73]
	;;#ASMSTART
	global_store_dwordx4 v[6:7], v[2:5] off sc1	
s_waitcnt vmcnt(0)
	;;#ASMEND
.LBB2254_168:
	s_or_b64 exec, exec, s[52:53]
	v_xad_u32 v58, v73, -1, s2
	v_add_u32_e32 v4, 64, v58
	v_lshl_add_u64 v[60:61], v[4:5], 4, s[56:57]
	;;#ASMSTART
	global_load_dwordx4 v[6:9], v[60:61] off sc1	
s_waitcnt vmcnt(0)
	;;#ASMEND
	s_nop 0
	v_and_b32_e32 v3, 0xff0000, v6
	v_and_b32_e32 v4, 0xff000000, v6
	;; [unrolled: 1-line block ×3, first 2 shown]
	v_or_b32_sdwa v3, v6, v3 dst_sel:DWORD dst_unused:UNUSED_PAD src0_sel:WORD_0 src1_sel:DWORD
	v_or3_b32 v7, 0, 0, v7
	v_or3_b32 v6, v3, v4, 0
	v_cmp_eq_u16_sdwa s[70:71], v8, v5 src0_sel:BYTE_0 src1_sel:DWORD
	s_and_saveexec_b64 s[52:53], s[70:71]
	s_cbranch_execz .LBB2254_174
; %bb.169:
	s_mov_b32 s59, 1
	s_mov_b64 s[70:71], 0
	v_mov_b32_e32 v3, 0
.LBB2254_170:                           ; =>This Loop Header: Depth=1
                                        ;     Child Loop BB2254_171 Depth 2
	s_max_u32 s72, s59, 1
.LBB2254_171:                           ;   Parent Loop BB2254_170 Depth=1
                                        ; =>  This Inner Loop Header: Depth=2
	s_add_i32 s72, s72, -1
	s_cmp_eq_u32 s72, 0
	s_sleep 1
	s_cbranch_scc0 .LBB2254_171
; %bb.172:                              ;   in Loop: Header=BB2254_170 Depth=1
	s_cmp_lt_u32 s59, 32
	s_cselect_b64 s[72:73], -1, 0
	s_cmp_lg_u64 s[72:73], 0
	s_addc_u32 s59, s59, 0
	;;#ASMSTART
	global_load_dwordx4 v[6:9], v[60:61] off sc1	
s_waitcnt vmcnt(0)
	;;#ASMEND
	s_nop 0
	v_cmp_ne_u16_sdwa s[72:73], v8, v3 src0_sel:BYTE_0 src1_sel:DWORD
	s_or_b64 s[70:71], s[72:73], s[70:71]
	s_andn2_b64 exec, exec, s[70:71]
	s_cbranch_execnz .LBB2254_170
; %bb.173:
	s_or_b64 exec, exec, s[70:71]
	v_and_b32_e32 v7, 0xff, v7
.LBB2254_174:
	s_or_b64 exec, exec, s[52:53]
	v_mov_b32_e32 v3, 2
	v_cmp_eq_u16_sdwa s[52:53], v8, v3 src0_sel:BYTE_0 src1_sel:DWORD
	v_lshlrev_b64 v[4:5], v73, -1
	v_and_b32_e32 v64, 63, v73
	v_and_b32_e32 v9, s53, v5
	v_or_b32_e32 v9, 0x80000000, v9
	v_and_b32_e32 v59, s52, v4
	v_ffbl_b32_e32 v9, v9
	v_add_u32_e32 v9, 32, v9
	v_ffbl_b32_e32 v59, v59
	v_cmp_ne_u32_e32 vcc, 63, v64
	v_min_u32_e32 v9, v59, v9
	s_mov_b32 s70, 0
	v_addc_co_u32_e32 v59, vcc, 0, v73, vcc
	v_lshlrev_b32_e32 v65, 2, v59
	ds_bpermute_b32 v59, v65, v7
	ds_bpermute_b32 v60, v65, v6
	v_and_b32_e32 v61, 1, v7
	s_mov_b32 s71, 1
	v_cmp_eq_u32_e32 vcc, 1, v61
	s_waitcnt lgkmcnt(1)
	v_and_b32_e32 v59, 1, v59
	v_cmp_lt_u32_e64 s[52:53], v64, v9
	v_cndmask_b32_e64 v59, v59, 1, vcc
	v_cmp_gt_u64_e32 vcc, s[70:71], v[6:7]
	s_and_b64 vcc, s[52:53], vcc
	v_and_b32_e32 v61, 0xffff, v59
	v_cndmask_b32_e64 v68, v7, v59, s[52:53]
	s_waitcnt lgkmcnt(0)
	v_cndmask_b32_e32 v59, 0, v60, vcc
	v_cmp_gt_u32_e32 vcc, 62, v64
	v_cndmask_b32_e64 v7, v7, v61, s[52:53]
	v_add_u32_e32 v6, v59, v6
	v_cndmask_b32_e64 v60, 0, 1, vcc
	v_lshlrev_b32_e32 v60, 1, v60
	v_add_lshl_u32 v66, v60, v73, 2
	ds_bpermute_b32 v60, v66, v7
	ds_bpermute_b32 v61, v66, v6
	v_and_b32_e32 v59, 1, v68
	v_cmp_eq_u32_e32 vcc, 1, v59
	v_mov_b32_e32 v59, 0
	s_waitcnt lgkmcnt(1)
	v_and_b32_e32 v60, 1, v60
	v_add_u32_e32 v67, 2, v64
	v_cndmask_b32_e64 v60, v60, 1, vcc
	v_cmp_eq_u16_sdwa vcc, v68, v59 src0_sel:BYTE_0 src1_sel:DWORD
	v_and_b32_e32 v69, 0xffff, v60
	v_add_u32_e32 v77, 32, v64
	s_waitcnt lgkmcnt(0)
	v_cndmask_b32_e32 v61, 0, v61, vcc
	v_cmp_gt_u32_e32 vcc, v67, v9
	s_nop 1
	v_cndmask_b32_e32 v60, v60, v68, vcc
	v_cndmask_b32_e64 v61, v61, 0, vcc
	v_cndmask_b32_e32 v7, v69, v7, vcc
	v_cmp_gt_u32_e32 vcc, 60, v64
	v_add_u32_e32 v6, v61, v6
	v_and_b32_e32 v71, 1, v60
	v_cndmask_b32_e64 v68, 0, 1, vcc
	v_lshlrev_b32_e32 v68, 2, v68
	v_add_lshl_u32 v68, v68, v73, 2
	ds_bpermute_b32 v70, v68, v7
	ds_bpermute_b32 v61, v68, v6
	v_cmp_eq_u32_e32 vcc, 1, v71
	v_add_u32_e32 v69, 4, v64
	s_waitcnt lgkmcnt(1)
	v_and_b32_e32 v70, 1, v70
	v_cndmask_b32_e64 v70, v70, 1, vcc
	v_cmp_eq_u16_sdwa vcc, v60, v59 src0_sel:BYTE_0 src1_sel:DWORD
	v_and_b32_e32 v71, 0xffff, v70
	s_waitcnt lgkmcnt(0)
	v_cndmask_b32_e32 v61, 0, v61, vcc
	v_cmp_gt_u32_e32 vcc, v69, v9
	s_nop 1
	v_cndmask_b32_e32 v60, v70, v60, vcc
	v_cndmask_b32_e64 v61, v61, 0, vcc
	v_cndmask_b32_e32 v7, v71, v7, vcc
	v_cmp_gt_u32_e32 vcc, 56, v64
	v_add_u32_e32 v6, v61, v6
	v_and_b32_e32 v74, 1, v60
	v_cndmask_b32_e64 v70, 0, 1, vcc
	v_lshlrev_b32_e32 v70, 3, v70
	v_add_lshl_u32 v70, v70, v73, 2
	ds_bpermute_b32 v72, v70, v7
	ds_bpermute_b32 v61, v70, v6
	v_cmp_eq_u32_e32 vcc, 1, v74
	v_add_u32_e32 v71, 8, v64
	s_waitcnt lgkmcnt(1)
	v_and_b32_e32 v72, 1, v72
	v_cndmask_b32_e64 v72, v72, 1, vcc
	v_cmp_eq_u16_sdwa vcc, v60, v59 src0_sel:BYTE_0 src1_sel:DWORD
	v_and_b32_e32 v74, 0xffff, v72
	;; [unrolled: 22-line block ×3, first 2 shown]
	s_waitcnt lgkmcnt(0)
	v_cndmask_b32_e32 v61, 0, v61, vcc
	v_cmp_gt_u32_e32 vcc, v74, v9
	s_nop 1
	v_cndmask_b32_e32 v60, v75, v60, vcc
	v_cndmask_b32_e64 v61, v61, 0, vcc
	v_cndmask_b32_e32 v7, v76, v7, vcc
	v_cmp_gt_u32_e32 vcc, 32, v64
	v_add_u32_e32 v6, v61, v6
	s_nop 0
	v_cndmask_b32_e64 v75, 0, 1, vcc
	v_lshlrev_b32_e32 v75, 5, v75
	v_add_lshl_u32 v76, v75, v73, 2
	ds_bpermute_b32 v7, v76, v7
	ds_bpermute_b32 v61, v76, v6
	v_and_b32_e32 v73, 1, v60
	v_cmp_eq_u32_e32 vcc, 1, v73
	s_waitcnt lgkmcnt(1)
	v_and_b32_e32 v7, 1, v7
	v_cndmask_b32_e64 v7, v7, 1, vcc
	v_cmp_eq_u16_sdwa vcc, v60, v59 src0_sel:BYTE_0 src1_sel:DWORD
	s_waitcnt lgkmcnt(0)
	s_nop 0
	v_cndmask_b32_e32 v61, 0, v61, vcc
	v_cmp_gt_u32_e32 vcc, v77, v9
	s_nop 1
	v_cndmask_b32_e64 v9, v61, 0, vcc
	v_cndmask_b32_e32 v7, v7, v60, vcc
	v_add_u32_e32 v6, v9, v6
	s_branch .LBB2254_176
.LBB2254_175:                           ;   in Loop: Header=BB2254_176 Depth=1
	s_or_b64 exec, exec, s[52:53]
	v_cmp_eq_u16_sdwa s[52:53], v8, v3 src0_sel:BYTE_0 src1_sel:DWORD
	ds_bpermute_b32 v61, v65, v7
	v_and_b32_e32 v78, 1, v7
	v_and_b32_e32 v9, s53, v5
	v_or_b32_e32 v9, 0x80000000, v9
	v_and_b32_e32 v60, s52, v4
	v_ffbl_b32_e32 v9, v9
	v_add_u32_e32 v9, 32, v9
	v_ffbl_b32_e32 v60, v60
	v_min_u32_e32 v9, v60, v9
	ds_bpermute_b32 v60, v65, v6
	s_waitcnt lgkmcnt(1)
	v_and_b32_e32 v61, 1, v61
	v_cmp_eq_u32_e32 vcc, 1, v78
	v_cmp_lt_u32_e64 s[52:53], v64, v9
	v_subrev_u32_e32 v58, 64, v58
	v_cndmask_b32_e64 v61, v61, 1, vcc
	v_cmp_gt_u64_e32 vcc, s[70:71], v[6:7]
	v_and_b32_e32 v78, 0xffff, v61
	v_cndmask_b32_e64 v61, v7, v61, s[52:53]
	v_cndmask_b32_e64 v7, v7, v78, s[52:53]
	s_and_b64 vcc, s[52:53], vcc
	ds_bpermute_b32 v78, v66, v7
	s_waitcnt lgkmcnt(1)
	v_cndmask_b32_e32 v60, 0, v60, vcc
	v_add_u32_e32 v6, v60, v6
	ds_bpermute_b32 v60, v66, v6
	v_and_b32_e32 v79, 1, v61
	s_waitcnt lgkmcnt(1)
	v_and_b32_e32 v78, 1, v78
	v_cmp_eq_u32_e32 vcc, 1, v79
	s_nop 1
	v_cndmask_b32_e64 v78, v78, 1, vcc
	v_cmp_eq_u16_sdwa vcc, v61, v59 src0_sel:BYTE_0 src1_sel:DWORD
	v_and_b32_e32 v79, 0xffff, v78
	s_waitcnt lgkmcnt(0)
	v_cndmask_b32_e32 v60, 0, v60, vcc
	v_cmp_gt_u32_e32 vcc, v67, v9
	s_nop 1
	v_cndmask_b32_e32 v7, v79, v7, vcc
	v_cndmask_b32_e32 v61, v78, v61, vcc
	ds_bpermute_b32 v78, v68, v7
	v_cndmask_b32_e64 v60, v60, 0, vcc
	v_add_u32_e32 v6, v60, v6
	ds_bpermute_b32 v60, v68, v6
	v_and_b32_e32 v79, 1, v61
	s_waitcnt lgkmcnt(1)
	v_and_b32_e32 v78, 1, v78
	v_cmp_eq_u32_e32 vcc, 1, v79
	s_nop 1
	v_cndmask_b32_e64 v78, v78, 1, vcc
	v_cmp_eq_u16_sdwa vcc, v61, v59 src0_sel:BYTE_0 src1_sel:DWORD
	v_and_b32_e32 v79, 0xffff, v78
	s_waitcnt lgkmcnt(0)
	v_cndmask_b32_e32 v60, 0, v60, vcc
	v_cmp_gt_u32_e32 vcc, v69, v9
	s_nop 1
	v_cndmask_b32_e32 v7, v79, v7, vcc
	v_cndmask_b32_e32 v61, v78, v61, vcc
	ds_bpermute_b32 v78, v70, v7
	v_cndmask_b32_e64 v60, v60, 0, vcc
	;; [unrolled: 18-line block ×3, first 2 shown]
	v_add_u32_e32 v6, v60, v6
	ds_bpermute_b32 v60, v72, v6
	v_and_b32_e32 v79, 1, v61
	s_waitcnt lgkmcnt(1)
	v_and_b32_e32 v78, 1, v78
	v_cmp_eq_u32_e32 vcc, 1, v79
	s_nop 1
	v_cndmask_b32_e64 v78, v78, 1, vcc
	v_cmp_eq_u16_sdwa vcc, v61, v59 src0_sel:BYTE_0 src1_sel:DWORD
	v_and_b32_e32 v79, 0xffff, v78
	s_waitcnt lgkmcnt(0)
	v_cndmask_b32_e32 v60, 0, v60, vcc
	v_cmp_gt_u32_e32 vcc, v74, v9
	s_nop 1
	v_cndmask_b32_e64 v60, v60, 0, vcc
	v_cndmask_b32_e32 v7, v79, v7, vcc
	ds_bpermute_b32 v7, v76, v7
	v_add_u32_e32 v6, v60, v6
	ds_bpermute_b32 v60, v76, v6
	v_cndmask_b32_e32 v61, v78, v61, vcc
	v_and_b32_e32 v78, 1, v61
	v_cmp_eq_u32_e32 vcc, 1, v78
	s_waitcnt lgkmcnt(1)
	s_nop 0
	v_cndmask_b32_e64 v7, v7, 1, vcc
	v_cmp_eq_u16_sdwa vcc, v61, v59 src0_sel:BYTE_0 src1_sel:DWORD
	s_waitcnt lgkmcnt(0)
	s_nop 0
	v_cndmask_b32_e32 v60, 0, v60, vcc
	v_cmp_gt_u32_e32 vcc, v77, v9
	s_nop 1
	v_cndmask_b32_e64 v9, v60, 0, vcc
	v_cndmask_b32_e32 v7, v7, v61, vcc
	v_add_u32_e32 v6, v9, v6
	v_cmp_eq_u16_sdwa vcc, v73, v59 src0_sel:BYTE_0 src1_sel:DWORD
	v_and_b32_e32 v9, 1, v73
	v_and_b32_e32 v7, 1, v7
	v_cndmask_b32_e32 v6, 0, v6, vcc
	v_cmp_eq_u32_e32 vcc, 1, v9
	v_add_u32_e32 v6, v6, v75
	s_nop 0
	v_cndmask_b32_e64 v7, v7, 1, vcc
.LBB2254_176:                           ; =>This Loop Header: Depth=1
                                        ;     Child Loop BB2254_179 Depth 2
                                        ;       Child Loop BB2254_180 Depth 3
	v_cmp_ne_u16_sdwa s[52:53], v8, v3 src0_sel:BYTE_0 src1_sel:DWORD
	v_mov_b32_e32 v73, v7
	v_mov_b32_e32 v75, v6
	v_cndmask_b32_e64 v7, 0, 1, s[52:53]
	;;#ASMSTART
	;;#ASMEND
	s_nop 0
	v_cmp_ne_u32_e32 vcc, 0, v7
	s_cmp_lg_u64 vcc, exec
	s_cbranch_scc1 .LBB2254_183
; %bb.177:                              ;   in Loop: Header=BB2254_176 Depth=1
	v_lshl_add_u64 v[60:61], v[58:59], 4, s[56:57]
	;;#ASMSTART
	global_load_dwordx4 v[6:9], v[60:61] off sc1	
s_waitcnt vmcnt(0)
	;;#ASMEND
	s_nop 0
	v_and_b32_e32 v9, 0xff0000, v6
	v_and_b32_e32 v78, 0xff000000, v6
	;; [unrolled: 1-line block ×3, first 2 shown]
	v_or_b32_sdwa v6, v6, v9 dst_sel:DWORD dst_unused:UNUSED_PAD src0_sel:WORD_0 src1_sel:DWORD
	v_or3_b32 v7, 0, 0, v7
	v_or3_b32 v6, v6, v78, 0
	v_cmp_eq_u16_sdwa s[72:73], v8, v59 src0_sel:BYTE_0 src1_sel:DWORD
	s_and_saveexec_b64 s[52:53], s[72:73]
	s_cbranch_execz .LBB2254_175
; %bb.178:                              ;   in Loop: Header=BB2254_176 Depth=1
	s_mov_b32 s59, 1
	s_mov_b64 s[72:73], 0
.LBB2254_179:                           ;   Parent Loop BB2254_176 Depth=1
                                        ; =>  This Loop Header: Depth=2
                                        ;       Child Loop BB2254_180 Depth 3
	s_max_u32 s74, s59, 1
.LBB2254_180:                           ;   Parent Loop BB2254_176 Depth=1
                                        ;     Parent Loop BB2254_179 Depth=2
                                        ; =>    This Inner Loop Header: Depth=3
	s_add_i32 s74, s74, -1
	s_cmp_eq_u32 s74, 0
	s_sleep 1
	s_cbranch_scc0 .LBB2254_180
; %bb.181:                              ;   in Loop: Header=BB2254_179 Depth=2
	s_cmp_lt_u32 s59, 32
	s_cselect_b64 s[74:75], -1, 0
	s_cmp_lg_u64 s[74:75], 0
	s_addc_u32 s59, s59, 0
	;;#ASMSTART
	global_load_dwordx4 v[6:9], v[60:61] off sc1	
s_waitcnt vmcnt(0)
	;;#ASMEND
	s_nop 0
	v_cmp_ne_u16_sdwa s[74:75], v8, v59 src0_sel:BYTE_0 src1_sel:DWORD
	s_or_b64 s[72:73], s[74:75], s[72:73]
	s_andn2_b64 exec, exec, s[72:73]
	s_cbranch_execnz .LBB2254_179
; %bb.182:                              ;   in Loop: Header=BB2254_176 Depth=1
	s_or_b64 exec, exec, s[72:73]
	v_and_b32_e32 v7, 0xff, v7
	s_branch .LBB2254_175
.LBB2254_183:                           ;   in Loop: Header=BB2254_176 Depth=1
                                        ; implicit-def: $vgpr7
                                        ; implicit-def: $vgpr6
                                        ; implicit-def: $vgpr8
	s_cbranch_execz .LBB2254_176
; %bb.184:
	s_and_saveexec_b64 s[52:53], s[48:49]
	s_cbranch_execz .LBB2254_186
; %bb.185:
	s_and_b32 s48, s3, 0xff
	s_cmp_eq_u32 s48, 0
	s_cselect_b64 vcc, -1, 0
	s_bitcmp1_b32 s3, 0
	s_mov_b32 s49, 0
	s_cselect_b64 s[70:71], -1, 0
	s_add_i32 s48, s2, 64
	s_lshl_b64 s[2:3], s[48:49], 4
	v_cndmask_b32_e32 v3, 0, v75, vcc
	s_add_u32 s2, s56, s2
	v_add_u32_e32 v2, v3, v2
	v_and_b32_e32 v3, 1, v73
	s_addc_u32 s3, s57, s3
	v_mov_b32_e32 v5, 0
	v_cndmask_b32_e64 v3, v3, 1, s[70:71]
	v_mov_b32_e32 v4, 2
	v_mov_b64_e32 v[6:7], s[2:3]
	;;#ASMSTART
	global_store_dwordx4 v[6:7], v[2:5] off sc1	
s_waitcnt vmcnt(0)
	;;#ASMEND
.LBB2254_186:
	s_or_b64 exec, exec, s[52:53]
	s_and_b64 exec, exec, s[46:47]
	s_cbranch_execz .LBB2254_188
; %bb.187:
	v_mov_b32_e32 v2, 0
	ds_write_b32 v2, v75
	ds_write_b8 v2, v73 offset:4
.LBB2254_188:
	s_or_b64 exec, exec, s[60:61]
	v_mov_b32_e32 v2, 0
	s_waitcnt lgkmcnt(0)
	s_barrier
	ds_read_b32 v3, v2
	v_cmp_eq_u16_sdwa vcc, v63, v2 src0_sel:BYTE_0 src1_sel:DWORD
	s_waitcnt lgkmcnt(0)
	s_nop 0
	v_cndmask_b32_e32 v4, 0, v3, vcc
	v_add_u32_e32 v4, v4, v62
	v_cndmask_b32_e64 v58, v4, v3, s[46:47]
	v_and_b32_e32 v3, 0xff, v11
	v_cmp_eq_u64_e32 vcc, 0, v[2:3]
	s_nop 1
	v_cndmask_b32_e32 v2, 0, v58, vcc
	v_add_u32_e32 v59, v2, v10
	v_cndmask_b32_e64 v2, 0, v59, s[50:51]
	v_add_u32_e32 v60, v2, v12
	v_cndmask_b32_e64 v2, 0, v60, s[4:5]
	;; [unrolled: 2-line block ×21, first 2 shown]
	v_add_u32_e32 v80, v2, v52
	s_branch .LBB2254_209
.LBB2254_189:
                                        ; implicit-def: $vgpr79
                                        ; implicit-def: $vgpr78
                                        ; implicit-def: $vgpr77
                                        ; implicit-def: $vgpr76
                                        ; implicit-def: $vgpr75
                                        ; implicit-def: $vgpr74
                                        ; implicit-def: $vgpr73
                                        ; implicit-def: $vgpr72
                                        ; implicit-def: $vgpr71
                                        ; implicit-def: $vgpr70
                                        ; implicit-def: $vgpr69
                                        ; implicit-def: $vgpr68
                                        ; implicit-def: $vgpr67
                                        ; implicit-def: $vgpr66
                                        ; implicit-def: $vgpr65
                                        ; implicit-def: $vgpr64
                                        ; implicit-def: $vgpr63
                                        ; implicit-def: $vgpr62
                                        ; implicit-def: $vgpr61
                                        ; implicit-def: $vgpr60
                                        ; implicit-def: $vgpr59
                                        ; implicit-def: $vgpr58
                                        ; implicit-def: $vgpr80
	s_cbranch_execz .LBB2254_209
; %bb.190:
	s_cmp_lg_u64 s[68:69], 0
	s_cselect_b32 s3, s63, 0
	s_cselect_b32 s2, s62, 0
	s_mov_b32 s44, 0
	s_cmp_eq_u64 s[2:3], 0
	v_mov_b32_e32 v4, s76
	s_cbranch_scc1 .LBB2254_192
; %bb.191:
	v_mov_b32_e32 v2, 0
	global_load_dword v4, v2, s[2:3]
.LBB2254_192:
	s_mov_b32 s45, 1
	v_cmp_gt_u64_e32 vcc, s[44:45], v[12:13]
	v_cmp_gt_u64_e64 s[2:3], s[44:45], v[14:15]
	v_cmp_gt_u64_e64 s[4:5], s[44:45], v[16:17]
	v_cndmask_b32_e32 v2, 0, v10, vcc
	v_add_u32_e32 v2, v2, v12
	v_cndmask_b32_e64 v2, 0, v2, s[2:3]
	v_add_u32_e32 v2, v2, v14
	v_cndmask_b32_e64 v2, 0, v2, s[4:5]
	v_add_u32_e32 v2, v2, v16
	v_cmp_gt_u64_e64 s[6:7], s[44:45], v[18:19]
	v_cmp_gt_u64_e64 s[8:9], s[44:45], v[20:21]
	v_cmp_gt_u64_e64 s[10:11], s[44:45], v[22:23]
	v_cndmask_b32_e64 v2, 0, v2, s[6:7]
	v_add_u32_e32 v2, v2, v18
	v_cndmask_b32_e64 v2, 0, v2, s[8:9]
	v_add_u32_e32 v2, v2, v20
	v_cndmask_b32_e64 v2, 0, v2, s[10:11]
	v_add_u32_e32 v2, v2, v22
	v_cmp_gt_u64_e64 s[12:13], s[44:45], v[24:25]
	v_cmp_gt_u64_e64 s[14:15], s[44:45], v[26:27]
	v_cmp_gt_u64_e64 s[16:17], s[44:45], v[28:29]
	v_cndmask_b32_e64 v2, 0, v2, s[12:13]
	;; [unrolled: 9-line block ×6, first 2 shown]
	v_add_u32_e32 v2, v2, v48
	v_cndmask_b32_e64 v2, 0, v2, s[40:41]
	v_add_u32_e32 v2, v2, v50
	v_cndmask_b32_e64 v2, 0, v2, s[42:43]
	v_add_u32_e32 v2, v2, v52
	v_cmp_gt_u64_e64 s[44:45], s[44:45], v[56:57]
	v_add_lshl_u32 v1, v1, v0, 3
	s_nop 0
	v_cndmask_b32_e64 v2, 0, v2, s[44:45]
	v_add_u32_e32 v5, v2, v56
	v_or3_b32 v2, v55, v51, v49
	v_or3_b32 v2, v2, v47, v45
	;; [unrolled: 1-line block ×10, first 2 shown]
	v_and_b32_e32 v2, 1, v2
	v_cmp_eq_u32_e64 s[44:45], 1, v2
	s_nop 1
	v_cndmask_b32_e64 v6, v11, 1, s[44:45]
	v_cmp_gt_u32_e64 s[44:45], 64, v0
	ds_write_b32 v1, v5
	ds_write_b8 v1, v6 offset:4
	s_waitcnt lgkmcnt(0)
	s_barrier
	s_and_saveexec_b64 s[46:47], s[44:45]
	s_cbranch_execz .LBB2254_204
; %bb.193:
	v_lshrrev_b32_e32 v1, 3, v0
	v_add_lshl_u32 v1, v1, v54, 3
	ds_read2_b32 v[8:9], v1 offset0:2 offset1:4
	ds_read_b64 v[2:3], v1
	ds_read_u8 v13, v1 offset:12
	ds_read_u8 v15, v1 offset:20
	ds_read_b32 v17, v1 offset:24
	ds_read_u8 v19, v1 offset:28
	v_mov_b32_e32 v21, 0
	s_waitcnt lgkmcnt(3)
	v_cmp_eq_u16_sdwa s[44:45], v13, v21 src0_sel:BYTE_0 src1_sel:DWORD
	v_and_b32_e32 v7, 1, v3
	s_nop 0
	v_cndmask_b32_e64 v23, 0, v2, s[44:45]
	v_add_u32_e32 v8, v23, v8
	s_waitcnt lgkmcnt(2)
	v_cmp_eq_u16_sdwa s[44:45], v15, v21 src0_sel:BYTE_0 src1_sel:DWORD
	s_nop 1
	v_cndmask_b32_e64 v8, 0, v8, s[44:45]
	v_add_u32_e32 v8, v8, v9
	s_waitcnt lgkmcnt(0)
	v_cmp_eq_u16_e64 s[44:45], 0, v19
	s_nop 1
	v_cndmask_b32_e64 v8, 0, v8, s[44:45]
	v_add_u32_e32 v9, v8, v17
	v_or_b32_e32 v8, v19, v15
	v_or_b32_e32 v8, v8, v13
	v_and_b32_e32 v8, 1, v8
	v_cmp_eq_u32_e64 s[44:45], 1, v8
	v_mbcnt_lo_u32_b32 v13, -1, 0
	v_and_b32_e32 v8, 0xffffff00, v3
	v_cndmask_b32_e64 v15, v7, 1, s[44:45]
	v_mbcnt_hi_u32_b32 v13, -1, v13
	v_and_b32_e32 v19, 15, v13
	v_or_b32_sdwa v17, v8, v15 dst_sel:DWORD dst_unused:UNUSED_PAD src0_sel:DWORD src1_sel:WORD_0
	v_mov_b32_dpp v21, v9 row_shr:1 row_mask:0xf bank_mask:0xf
	v_cmp_ne_u32_e64 s[44:45], 0, v19
	v_mov_b32_dpp v23, v17 row_shr:1 row_mask:0xf bank_mask:0xf
	s_and_saveexec_b64 s[48:49], s[44:45]
; %bb.194:
	v_and_b32_e32 v17, 1, v15
	v_and_b32_e32 v23, 1, v23
	v_cmp_eq_u32_e64 s[44:45], 1, v17
	s_nop 1
	v_cndmask_b32_e64 v23, v23, 1, s[44:45]
	v_cmp_eq_u16_e64 s[44:45], 0, v15
	v_or_b32_sdwa v17, v8, v23 dst_sel:DWORD dst_unused:UNUSED_PAD src0_sel:DWORD src1_sel:WORD_0
	s_nop 0
	v_cndmask_b32_e64 v15, 0, v21, s[44:45]
	v_add_u32_e32 v9, v15, v9
	v_mov_b32_e32 v15, v23
; %bb.195:
	s_or_b64 exec, exec, s[48:49]
	v_mov_b32_dpp v21, v9 row_shr:2 row_mask:0xf bank_mask:0xf
	v_mov_b32_dpp v23, v17 row_shr:2 row_mask:0xf bank_mask:0xf
	v_cmp_lt_u32_e64 s[44:45], 1, v19
	s_and_saveexec_b64 s[48:49], s[44:45]
; %bb.196:
	v_and_b32_e32 v17, 1, v15
	v_and_b32_e32 v23, 1, v23
	v_cmp_eq_u32_e64 s[44:45], 1, v17
	s_nop 1
	v_cndmask_b32_e64 v23, v23, 1, s[44:45]
	v_cmp_eq_u16_e64 s[44:45], 0, v15
	v_or_b32_sdwa v17, v8, v23 dst_sel:DWORD dst_unused:UNUSED_PAD src0_sel:DWORD src1_sel:WORD_0
	s_nop 0
	v_cndmask_b32_e64 v15, 0, v21, s[44:45]
	v_add_u32_e32 v9, v15, v9
	v_mov_b32_e32 v15, v23
; %bb.197:
	s_or_b64 exec, exec, s[48:49]
	v_mov_b32_dpp v21, v9 row_shr:4 row_mask:0xf bank_mask:0xf
	v_mov_b32_dpp v23, v17 row_shr:4 row_mask:0xf bank_mask:0xf
	v_cmp_lt_u32_e64 s[44:45], 3, v19
	;; [unrolled: 18-line block ×3, first 2 shown]
	s_and_saveexec_b64 s[48:49], s[44:45]
; %bb.200:
	v_and_b32_e32 v17, 1, v15
	v_and_b32_e32 v19, 1, v23
	v_cmp_eq_u32_e64 s[44:45], 1, v17
	s_nop 1
	v_cndmask_b32_e64 v19, v19, 1, s[44:45]
	v_cmp_eq_u16_e64 s[44:45], 0, v15
	v_or_b32_sdwa v17, v8, v19 dst_sel:DWORD dst_unused:UNUSED_PAD src0_sel:DWORD src1_sel:WORD_0
	s_nop 0
	v_cndmask_b32_e64 v15, 0, v21, s[44:45]
	v_add_u32_e32 v9, v15, v9
	v_mov_b32_e32 v15, v19
; %bb.201:
	s_or_b64 exec, exec, s[48:49]
	v_and_b32_e32 v23, 16, v13
	v_mov_b32_dpp v19, v9 row_bcast:15 row_mask:0xf bank_mask:0xf
	v_mov_b32_dpp v21, v17 row_bcast:15 row_mask:0xf bank_mask:0xf
	v_cmp_ne_u32_e64 s[44:45], 0, v23
	s_and_saveexec_b64 s[48:49], s[44:45]
; %bb.202:
	v_and_b32_e32 v17, 1, v15
	v_and_b32_e32 v21, 1, v21
	v_cmp_eq_u32_e64 s[44:45], 1, v17
	s_nop 1
	v_cndmask_b32_e64 v21, v21, 1, s[44:45]
	v_cmp_eq_u16_e64 s[44:45], 0, v15
	v_or_b32_sdwa v17, v8, v21 dst_sel:DWORD dst_unused:UNUSED_PAD src0_sel:DWORD src1_sel:WORD_0
	s_nop 0
	v_cndmask_b32_e64 v15, 0, v19, s[44:45]
	v_add_u32_e32 v9, v15, v9
	v_mov_b32_e32 v15, v21
; %bb.203:
	s_or_b64 exec, exec, s[48:49]
	v_mov_b32_dpp v17, v17 row_bcast:31 row_mask:0xf bank_mask:0xf
	v_and_b32_e32 v21, 1, v15
	v_and_b32_e32 v17, 1, v17
	v_cmp_eq_u32_e64 s[44:45], 1, v21
	v_mov_b32_e32 v21, 0
	v_cmp_eq_u16_sdwa s[48:49], v15, v21 src0_sel:BYTE_0 src1_sel:DWORD
	v_cndmask_b32_e64 v17, v17, 1, s[44:45]
	v_cmp_lt_u32_e64 s[44:45], 31, v13
	v_mov_b32_dpp v19, v9 row_bcast:31 row_mask:0xf bank_mask:0xf
	s_movk_i32 s50, 0xff
	v_cndmask_b32_e64 v15, v15, v17, s[44:45]
	s_and_b64 s[44:45], s[44:45], s[48:49]
	v_cndmask_b32_e64 v17, 0, v19, s[44:45]
	v_add_u32_e32 v9, v17, v9
	v_add_u32_e32 v17, -1, v13
	v_and_b32_e32 v19, 64, v13
	v_cmp_lt_i32_e64 s[44:45], v17, v19
	v_and_or_b32 v8, v15, s50, v8
	s_nop 0
	v_cndmask_b32_e64 v13, v17, v13, s[44:45]
	v_lshlrev_b32_e32 v13, 2, v13
	ds_bpermute_b32 v9, v13, v9
	ds_bpermute_b32 v8, v13, v8
	v_cmp_eq_u16_sdwa s[44:45], v3, v21 src0_sel:BYTE_0 src1_sel:DWORD
	; wave barrier
	s_waitcnt lgkmcnt(1)
	s_nop 0
	v_cndmask_b32_e64 v3, 0, v9, s[44:45]
	v_add_u32_e32 v2, v3, v2
	s_waitcnt lgkmcnt(0)
	v_and_b32_e32 v3, 1, v8
	v_cmp_eq_u32_e64 s[44:45], 1, v7
	s_nop 1
	v_cndmask_b32_e64 v3, v3, 1, s[44:45]
	v_cmp_eq_u32_e64 s[44:45], 0, v0
	s_nop 1
	v_cndmask_b32_e64 v5, v2, v5, s[44:45]
	v_cndmask_b32_e64 v6, v3, v6, s[44:45]
	ds_write_b32 v1, v5
	ds_write_b8 v1, v6 offset:4
	; wave barrier
	ds_read_u8 v7, v1 offset:12
	ds_read2_b32 v[2:3], v1 offset0:2 offset1:4
	ds_read_u8 v8, v1 offset:20
	ds_read_b32 v9, v1 offset:24
	ds_read_u8 v13, v1 offset:28
	s_waitcnt lgkmcnt(4)
	v_cmp_eq_u16_e64 s[44:45], 0, v7
	s_nop 1
	v_cndmask_b32_e64 v5, 0, v5, s[44:45]
	s_waitcnt lgkmcnt(3)
	v_add_u32_e32 v2, v5, v2
	v_and_b32_e32 v5, 1, v7
	v_cmp_eq_u32_e64 s[44:45], 1, v5
	s_nop 1
	v_cndmask_b32_e64 v5, v6, 1, s[44:45]
	s_waitcnt lgkmcnt(2)
	v_cmp_eq_u16_e64 s[44:45], 0, v8
	ds_write_b8 v1, v5 offset:12
	s_nop 0
	v_cndmask_b32_e64 v6, 0, v2, s[44:45]
	v_add_u32_e32 v3, v6, v3
	v_and_b32_e32 v6, 1, v8
	v_cmp_eq_u32_e64 s[44:45], 1, v6
	s_nop 1
	v_cndmask_b32_e64 v5, v5, 1, s[44:45]
	s_waitcnt lgkmcnt(1)
	v_cmp_eq_u16_e64 s[44:45], 0, v13
	ds_write2_b32 v1, v2, v3 offset0:2 offset1:4
	ds_write_b8 v1, v5 offset:20
	v_cndmask_b32_e64 v2, 0, v3, s[44:45]
	v_and_b32_e32 v3, 1, v13
	v_add_u32_e32 v2, v2, v9
	v_cmp_eq_u32_e64 s[44:45], 1, v3
	s_nop 1
	v_cndmask_b32_e64 v3, v5, 1, s[44:45]
	ds_write_b32 v1, v2 offset:24
	ds_write_b8 v1, v3 offset:28
.LBB2254_204:
	s_or_b64 exec, exec, s[46:47]
	v_cmp_eq_u32_e64 s[44:45], 0, v0
	v_cmp_ne_u32_e64 s[46:47], 0, v0
	s_waitcnt vmcnt(0)
	v_mov_b32_e32 v58, v4
	s_waitcnt lgkmcnt(0)
	s_barrier
	s_and_saveexec_b64 s[48:49], s[46:47]
	s_cbranch_execz .LBB2254_206
; %bb.205:
	v_add_u32_e32 v1, -1, v0
	v_lshrrev_b32_e32 v2, 5, v1
	v_add_lshl_u32 v1, v2, v1, 3
	ds_read_u8 v2, v1 offset:4
	ds_read_b32 v1, v1
	s_waitcnt lgkmcnt(1)
	v_cmp_eq_u16_e64 s[46:47], 0, v2
	s_nop 1
	v_cndmask_b32_e64 v2, 0, v4, s[46:47]
	s_waitcnt lgkmcnt(0)
	v_add_u32_e32 v58, v2, v1
.LBB2254_206:
	s_or_b64 exec, exec, s[48:49]
	v_and_b32_e32 v3, 0xff, v11
	v_mov_b32_e32 v2, 0
	v_cmp_eq_u64_e64 s[46:47], 0, v[2:3]
	s_nop 1
	v_cndmask_b32_e64 v1, 0, v58, s[46:47]
	v_add_u32_e32 v59, v1, v10
	v_cndmask_b32_e32 v1, 0, v59, vcc
	v_add_u32_e32 v60, v1, v12
	v_cndmask_b32_e64 v1, 0, v60, s[2:3]
	v_add_u32_e32 v61, v1, v14
	v_cndmask_b32_e64 v1, 0, v61, s[4:5]
	;; [unrolled: 2-line block ×20, first 2 shown]
	s_and_saveexec_b64 s[2:3], s[44:45]
	s_cbranch_execz .LBB2254_208
; %bb.207:
	ds_read_u8 v3, v2 offset:2100
	ds_read_b32 v5, v2 offset:2096
	s_add_u32 s4, s56, 0x400
	s_addc_u32 s5, s57, 0
	v_mov_b32_e32 v6, 2
	s_waitcnt lgkmcnt(1)
	v_cmp_eq_u16_e32 vcc, 0, v3
	v_mov_b32_e32 v7, v2
	s_nop 0
	v_cndmask_b32_e32 v4, 0, v4, vcc
	s_waitcnt lgkmcnt(0)
	v_add_u32_e32 v4, v4, v5
	v_and_b32_e32 v5, 0xffff, v3
	v_mov_b64_e32 v[2:3], s[4:5]
	;;#ASMSTART
	global_store_dwordx4 v[2:3], v[4:7] off sc1	
s_waitcnt vmcnt(0)
	;;#ASMEND
.LBB2254_208:
	s_or_b64 exec, exec, s[2:3]
	v_add_u32_e32 v80, v1, v52
.LBB2254_209:
	s_add_u32 s2, s54, s64
	s_addc_u32 s3, s55, s65
	s_add_u32 s2, s2, s66
	s_addc_u32 s3, s3, s67
	s_and_b64 vcc, exec, s[0:1]
	s_cbranch_vccz .LBB2254_255
; %bb.210:
	s_movk_i32 s0, 0x5c
	v_mul_i32_i24_e32 v26, 0xffffffa8, v0
	v_mul_u32_u24_e32 v1, 0x5c, v0
	v_mad_u32_u24 v2, v0, s0, v26
	s_barrier
	ds_write2_b32 v1, v58, v59 offset1:1
	ds_write2_b32 v1, v60, v61 offset0:2 offset1:3
	ds_write2_b32 v1, v62, v63 offset0:4 offset1:5
	;; [unrolled: 1-line block ×10, first 2 shown]
	ds_write_b32 v1, v80 offset:88
	s_waitcnt lgkmcnt(0)
	s_barrier
	ds_read2st64_b32 v[24:25], v2 offset0:4 offset1:8
	ds_read2st64_b32 v[22:23], v2 offset0:12 offset1:16
	;; [unrolled: 1-line block ×11, first 2 shown]
	s_add_i32 s33, s33, s58
	v_mov_b32_e32 v55, 0
	v_lshl_add_u64 v[4:5], s[2:3], 0, v[54:55]
	v_cmp_gt_u32_e32 vcc, s33, v0
	s_and_saveexec_b64 s[0:1], vcc
	s_cbranch_execz .LBB2254_212
; %bb.211:
	v_add_u32_e32 v1, v1, v26
	ds_read_b32 v1, v1
	s_waitcnt lgkmcnt(0)
	flat_store_dword v[4:5], v1
.LBB2254_212:
	s_or_b64 exec, exec, s[0:1]
	v_or_b32_e32 v1, 0x100, v0
	v_cmp_gt_u32_e32 vcc, s33, v1
	s_and_saveexec_b64 s[0:1], vcc
	s_cbranch_execz .LBB2254_214
; %bb.213:
	s_waitcnt lgkmcnt(0)
	flat_store_dword v[4:5], v24 offset:1024
.LBB2254_214:
	s_or_b64 exec, exec, s[0:1]
	v_or_b32_e32 v1, 0x200, v0
	v_cmp_gt_u32_e32 vcc, s33, v1
	s_and_saveexec_b64 s[0:1], vcc
	s_cbranch_execz .LBB2254_216
; %bb.215:
	s_waitcnt lgkmcnt(0)
	flat_store_dword v[4:5], v25 offset:2048
.LBB2254_216:
	;; [unrolled: 9-line block ×3, first 2 shown]
	s_or_b64 exec, exec, s[0:1]
	v_or_b32_e32 v1, 0x400, v0
	v_cmp_gt_u32_e32 vcc, s33, v1
	s_and_saveexec_b64 s[0:1], vcc
	s_cbranch_execz .LBB2254_220
; %bb.219:
	s_waitcnt lgkmcnt(0)
	v_add_co_u32_e32 v24, vcc, 0x1000, v4
	s_nop 1
	v_addc_co_u32_e32 v25, vcc, 0, v5, vcc
	flat_store_dword v[24:25], v23
.LBB2254_220:
	s_or_b64 exec, exec, s[0:1]
	v_or_b32_e32 v1, 0x500, v0
	v_cmp_gt_u32_e32 vcc, s33, v1
	s_and_saveexec_b64 s[0:1], vcc
	s_cbranch_execz .LBB2254_222
; %bb.221:
	s_waitcnt lgkmcnt(0)
	v_add_co_u32_e32 v22, vcc, 0x1000, v4
	s_nop 1
	v_addc_co_u32_e32 v23, vcc, 0, v5, vcc
	flat_store_dword v[22:23], v20 offset:1024
.LBB2254_222:
	s_or_b64 exec, exec, s[0:1]
	v_or_b32_e32 v1, 0x600, v0
	v_cmp_gt_u32_e32 vcc, s33, v1
	s_and_saveexec_b64 s[0:1], vcc
	s_cbranch_execz .LBB2254_224
; %bb.223:
	s_waitcnt lgkmcnt(0)
	v_add_co_u32_e32 v22, vcc, 0x1000, v4
	s_nop 1
	v_addc_co_u32_e32 v23, vcc, 0, v5, vcc
	flat_store_dword v[22:23], v21 offset:2048
.LBB2254_224:
	s_or_b64 exec, exec, s[0:1]
	v_or_b32_e32 v1, 0x700, v0
	v_cmp_gt_u32_e32 vcc, s33, v1
	s_and_saveexec_b64 s[0:1], vcc
	s_cbranch_execz .LBB2254_226
; %bb.225:
	s_waitcnt lgkmcnt(0)
	v_add_co_u32_e32 v20, vcc, 0x1000, v4
	s_nop 1
	v_addc_co_u32_e32 v21, vcc, 0, v5, vcc
	flat_store_dword v[20:21], v18 offset:3072
.LBB2254_226:
	s_or_b64 exec, exec, s[0:1]
	v_or_b32_e32 v1, 0x800, v0
	v_cmp_gt_u32_e32 vcc, s33, v1
	s_and_saveexec_b64 s[0:1], vcc
	s_cbranch_execz .LBB2254_228
; %bb.227:
	s_waitcnt lgkmcnt(0)
	v_add_co_u32_e32 v20, vcc, 0x2000, v4
	s_nop 1
	v_addc_co_u32_e32 v21, vcc, 0, v5, vcc
	flat_store_dword v[20:21], v19
.LBB2254_228:
	s_or_b64 exec, exec, s[0:1]
	v_or_b32_e32 v1, 0x900, v0
	v_cmp_gt_u32_e32 vcc, s33, v1
	s_and_saveexec_b64 s[0:1], vcc
	s_cbranch_execz .LBB2254_230
; %bb.229:
	s_waitcnt lgkmcnt(0)
	v_add_co_u32_e32 v18, vcc, 0x2000, v4
	s_nop 1
	v_addc_co_u32_e32 v19, vcc, 0, v5, vcc
	flat_store_dword v[18:19], v16 offset:1024
.LBB2254_230:
	s_or_b64 exec, exec, s[0:1]
	v_or_b32_e32 v1, 0xa00, v0
	v_cmp_gt_u32_e32 vcc, s33, v1
	s_and_saveexec_b64 s[0:1], vcc
	s_cbranch_execz .LBB2254_232
; %bb.231:
	s_waitcnt lgkmcnt(0)
	v_add_co_u32_e32 v18, vcc, 0x2000, v4
	s_nop 1
	v_addc_co_u32_e32 v19, vcc, 0, v5, vcc
	flat_store_dword v[18:19], v17 offset:2048
.LBB2254_232:
	s_or_b64 exec, exec, s[0:1]
	v_or_b32_e32 v1, 0xb00, v0
	v_cmp_gt_u32_e32 vcc, s33, v1
	s_and_saveexec_b64 s[0:1], vcc
	s_cbranch_execz .LBB2254_234
; %bb.233:
	s_waitcnt lgkmcnt(0)
	v_add_co_u32_e32 v16, vcc, 0x2000, v4
	s_nop 1
	v_addc_co_u32_e32 v17, vcc, 0, v5, vcc
	flat_store_dword v[16:17], v14 offset:3072
.LBB2254_234:
	;; [unrolled: 48-line block ×4, first 2 shown]
	s_or_b64 exec, exec, s[0:1]
	v_or_b32_e32 v1, 0x1400, v0
	v_cmp_gt_u32_e32 vcc, s33, v1
	s_and_saveexec_b64 s[0:1], vcc
	s_cbranch_execz .LBB2254_252
; %bb.251:
	s_waitcnt lgkmcnt(0)
	v_add_co_u32_e32 v8, vcc, 0x5000, v4
	s_nop 1
	v_addc_co_u32_e32 v9, vcc, 0, v5, vcc
	flat_store_dword v[8:9], v7
.LBB2254_252:
	s_or_b64 exec, exec, s[0:1]
	v_or_b32_e32 v1, 0x1500, v0
	v_cmp_gt_u32_e32 vcc, s33, v1
	s_and_saveexec_b64 s[0:1], vcc
	s_cbranch_execz .LBB2254_254
; %bb.253:
	v_add_co_u32_e32 v4, vcc, 0x5000, v4
	s_nop 1
	v_addc_co_u32_e32 v5, vcc, 0, v5, vcc
	s_waitcnt lgkmcnt(0)
	flat_store_dword v[4:5], v2 offset:1024
.LBB2254_254:
	s_or_b64 exec, exec, s[0:1]
	s_waitcnt lgkmcnt(0)
	v_or_b32_e32 v2, 0x1600, v0
	v_mov_b32_e32 v1, v55
	v_cmp_gt_u32_e64 s[0:1], s33, v2
	s_branch .LBB2254_257
.LBB2254_255:
	s_mov_b64 s[0:1], 0
                                        ; implicit-def: $vgpr3
	s_cbranch_execz .LBB2254_257
; %bb.256:
	v_mul_u32_u24_e32 v1, 0x5c, v0
	s_barrier
	s_movk_i32 s4, 0x5c
	ds_write2_b32 v1, v58, v59 offset1:1
	ds_write2_b32 v1, v60, v61 offset0:2 offset1:3
	ds_write2_b32 v1, v62, v63 offset0:4 offset1:5
	;; [unrolled: 1-line block ×10, first 2 shown]
	ds_write_b32 v1, v80 offset:88
	v_mov_b32_e32 v1, 0
	v_mul_i32_i24_e32 v2, 0xffffffa8, v0
	v_mad_u32_u24 v2, v0, s4, v2
	v_mov_b32_e32 v55, v1
	s_waitcnt lgkmcnt(0)
	s_barrier
	ds_read2st64_b32 v[4:5], v2 offset1:4
	ds_read2st64_b32 v[6:7], v2 offset0:8 offset1:12
	ds_read2st64_b32 v[8:9], v2 offset0:16 offset1:20
	;; [unrolled: 1-line block ×10, first 2 shown]
	ds_read_b32 v3, v2 offset:22528
	v_lshl_add_u64 v[26:27], s[2:3], 0, v[54:55]
	s_movk_i32 s4, 0x1000
	s_waitcnt lgkmcnt(0)
	flat_store_dword v[26:27], v4
	flat_store_dword v[26:27], v5 offset:1024
	flat_store_dword v[26:27], v6 offset:2048
	;; [unrolled: 1-line block ×3, first 2 shown]
	v_add_co_u32_e32 v4, vcc, s4, v26
	s_movk_i32 s4, 0x2000
	s_nop 0
	v_addc_co_u32_e32 v5, vcc, 0, v27, vcc
	flat_store_dword v[4:5], v8
	flat_store_dword v[4:5], v9 offset:1024
	flat_store_dword v[4:5], v10 offset:2048
	;; [unrolled: 1-line block ×3, first 2 shown]
	v_add_co_u32_e32 v4, vcc, s4, v26
	s_movk_i32 s4, 0x3000
	s_nop 0
	v_addc_co_u32_e32 v5, vcc, 0, v27, vcc
	flat_store_dword v[4:5], v12
	flat_store_dword v[4:5], v13 offset:1024
	flat_store_dword v[4:5], v14 offset:2048
	;; [unrolled: 1-line block ×3, first 2 shown]
	v_add_co_u32_e32 v4, vcc, s4, v26
	s_or_b64 s[0:1], s[0:1], exec
	s_nop 0
	v_addc_co_u32_e32 v5, vcc, 0, v27, vcc
	flat_store_dword v[4:5], v16
	flat_store_dword v[4:5], v17 offset:1024
	flat_store_dword v[4:5], v18 offset:2048
	;; [unrolled: 1-line block ×3, first 2 shown]
	v_add_co_u32_e32 v4, vcc, 0x4000, v26
	s_nop 1
	v_addc_co_u32_e32 v5, vcc, 0, v27, vcc
	flat_store_dword v[4:5], v20
	flat_store_dword v[4:5], v21 offset:1024
	flat_store_dword v[4:5], v22 offset:2048
	;; [unrolled: 1-line block ×3, first 2 shown]
	v_add_co_u32_e32 v4, vcc, 0x5000, v26
	s_nop 1
	v_addc_co_u32_e32 v5, vcc, 0, v27, vcc
	flat_store_dword v[4:5], v24
	flat_store_dword v[4:5], v25 offset:1024
.LBB2254_257:
	s_and_saveexec_b64 s[4:5], s[0:1]
	s_cbranch_execz .LBB2254_259
; %bb.258:
	v_lshl_add_u64 v[0:1], v[0:1], 2, s[2:3]
	v_add_co_u32_e32 v0, vcc, 0x5000, v0
	s_nop 1
	v_addc_co_u32_e32 v1, vcc, 0, v1, vcc
	flat_store_dword v[0:1], v3 offset:2048
	s_endpgm
.LBB2254_259:
	s_endpgm
	.section	.rodata,"a",@progbits
	.p2align	6, 0x0
	.amdhsa_kernel _ZN7rocprim17ROCPRIM_400000_NS6detail17trampoline_kernelINS0_14default_configENS1_27scan_by_key_config_selectorIiiEEZZNS1_16scan_by_key_implILNS1_25lookback_scan_determinismE0ELb1ES3_N6thrust23THRUST_200600_302600_NS10device_ptrIiEESB_SB_iNS9_4plusIvEENS9_8equal_toIvEEiEE10hipError_tPvRmT2_T3_T4_T5_mT6_T7_P12ihipStream_tbENKUlT_T0_E_clISt17integral_constantIbLb1EESV_IbLb0EEEEDaSR_SS_EUlSR_E_NS1_11comp_targetILNS1_3genE5ELNS1_11target_archE942ELNS1_3gpuE9ELNS1_3repE0EEENS1_30default_config_static_selectorELNS0_4arch9wavefront6targetE1EEEvT1_
		.amdhsa_group_segment_fixed_size 25600
		.amdhsa_private_segment_fixed_size 0
		.amdhsa_kernarg_size 112
		.amdhsa_user_sgpr_count 2
		.amdhsa_user_sgpr_dispatch_ptr 0
		.amdhsa_user_sgpr_queue_ptr 0
		.amdhsa_user_sgpr_kernarg_segment_ptr 1
		.amdhsa_user_sgpr_dispatch_id 0
		.amdhsa_user_sgpr_kernarg_preload_length 0
		.amdhsa_user_sgpr_kernarg_preload_offset 0
		.amdhsa_user_sgpr_private_segment_size 0
		.amdhsa_uses_dynamic_stack 0
		.amdhsa_enable_private_segment 0
		.amdhsa_system_sgpr_workgroup_id_x 1
		.amdhsa_system_sgpr_workgroup_id_y 0
		.amdhsa_system_sgpr_workgroup_id_z 0
		.amdhsa_system_sgpr_workgroup_info 0
		.amdhsa_system_vgpr_workitem_id 0
		.amdhsa_next_free_vgpr 81
		.amdhsa_next_free_sgpr 80
		.amdhsa_accum_offset 84
		.amdhsa_reserve_vcc 1
		.amdhsa_float_round_mode_32 0
		.amdhsa_float_round_mode_16_64 0
		.amdhsa_float_denorm_mode_32 3
		.amdhsa_float_denorm_mode_16_64 3
		.amdhsa_dx10_clamp 1
		.amdhsa_ieee_mode 1
		.amdhsa_fp16_overflow 0
		.amdhsa_tg_split 0
		.amdhsa_exception_fp_ieee_invalid_op 0
		.amdhsa_exception_fp_denorm_src 0
		.amdhsa_exception_fp_ieee_div_zero 0
		.amdhsa_exception_fp_ieee_overflow 0
		.amdhsa_exception_fp_ieee_underflow 0
		.amdhsa_exception_fp_ieee_inexact 0
		.amdhsa_exception_int_div_zero 0
	.end_amdhsa_kernel
	.section	.text._ZN7rocprim17ROCPRIM_400000_NS6detail17trampoline_kernelINS0_14default_configENS1_27scan_by_key_config_selectorIiiEEZZNS1_16scan_by_key_implILNS1_25lookback_scan_determinismE0ELb1ES3_N6thrust23THRUST_200600_302600_NS10device_ptrIiEESB_SB_iNS9_4plusIvEENS9_8equal_toIvEEiEE10hipError_tPvRmT2_T3_T4_T5_mT6_T7_P12ihipStream_tbENKUlT_T0_E_clISt17integral_constantIbLb1EESV_IbLb0EEEEDaSR_SS_EUlSR_E_NS1_11comp_targetILNS1_3genE5ELNS1_11target_archE942ELNS1_3gpuE9ELNS1_3repE0EEENS1_30default_config_static_selectorELNS0_4arch9wavefront6targetE1EEEvT1_,"axG",@progbits,_ZN7rocprim17ROCPRIM_400000_NS6detail17trampoline_kernelINS0_14default_configENS1_27scan_by_key_config_selectorIiiEEZZNS1_16scan_by_key_implILNS1_25lookback_scan_determinismE0ELb1ES3_N6thrust23THRUST_200600_302600_NS10device_ptrIiEESB_SB_iNS9_4plusIvEENS9_8equal_toIvEEiEE10hipError_tPvRmT2_T3_T4_T5_mT6_T7_P12ihipStream_tbENKUlT_T0_E_clISt17integral_constantIbLb1EESV_IbLb0EEEEDaSR_SS_EUlSR_E_NS1_11comp_targetILNS1_3genE5ELNS1_11target_archE942ELNS1_3gpuE9ELNS1_3repE0EEENS1_30default_config_static_selectorELNS0_4arch9wavefront6targetE1EEEvT1_,comdat
.Lfunc_end2254:
	.size	_ZN7rocprim17ROCPRIM_400000_NS6detail17trampoline_kernelINS0_14default_configENS1_27scan_by_key_config_selectorIiiEEZZNS1_16scan_by_key_implILNS1_25lookback_scan_determinismE0ELb1ES3_N6thrust23THRUST_200600_302600_NS10device_ptrIiEESB_SB_iNS9_4plusIvEENS9_8equal_toIvEEiEE10hipError_tPvRmT2_T3_T4_T5_mT6_T7_P12ihipStream_tbENKUlT_T0_E_clISt17integral_constantIbLb1EESV_IbLb0EEEEDaSR_SS_EUlSR_E_NS1_11comp_targetILNS1_3genE5ELNS1_11target_archE942ELNS1_3gpuE9ELNS1_3repE0EEENS1_30default_config_static_selectorELNS0_4arch9wavefront6targetE1EEEvT1_, .Lfunc_end2254-_ZN7rocprim17ROCPRIM_400000_NS6detail17trampoline_kernelINS0_14default_configENS1_27scan_by_key_config_selectorIiiEEZZNS1_16scan_by_key_implILNS1_25lookback_scan_determinismE0ELb1ES3_N6thrust23THRUST_200600_302600_NS10device_ptrIiEESB_SB_iNS9_4plusIvEENS9_8equal_toIvEEiEE10hipError_tPvRmT2_T3_T4_T5_mT6_T7_P12ihipStream_tbENKUlT_T0_E_clISt17integral_constantIbLb1EESV_IbLb0EEEEDaSR_SS_EUlSR_E_NS1_11comp_targetILNS1_3genE5ELNS1_11target_archE942ELNS1_3gpuE9ELNS1_3repE0EEENS1_30default_config_static_selectorELNS0_4arch9wavefront6targetE1EEEvT1_
                                        ; -- End function
	.section	.AMDGPU.csdata,"",@progbits
; Kernel info:
; codeLenInByte = 15836
; NumSgprs: 86
; NumVgprs: 81
; NumAgprs: 0
; TotalNumVgprs: 81
; ScratchSize: 0
; MemoryBound: 0
; FloatMode: 240
; IeeeMode: 1
; LDSByteSize: 25600 bytes/workgroup (compile time only)
; SGPRBlocks: 10
; VGPRBlocks: 10
; NumSGPRsForWavesPerEU: 86
; NumVGPRsForWavesPerEU: 81
; AccumOffset: 84
; Occupancy: 2
; WaveLimiterHint : 1
; COMPUTE_PGM_RSRC2:SCRATCH_EN: 0
; COMPUTE_PGM_RSRC2:USER_SGPR: 2
; COMPUTE_PGM_RSRC2:TRAP_HANDLER: 0
; COMPUTE_PGM_RSRC2:TGID_X_EN: 1
; COMPUTE_PGM_RSRC2:TGID_Y_EN: 0
; COMPUTE_PGM_RSRC2:TGID_Z_EN: 0
; COMPUTE_PGM_RSRC2:TIDIG_COMP_CNT: 0
; COMPUTE_PGM_RSRC3_GFX90A:ACCUM_OFFSET: 20
; COMPUTE_PGM_RSRC3_GFX90A:TG_SPLIT: 0
	.section	.text._ZN7rocprim17ROCPRIM_400000_NS6detail17trampoline_kernelINS0_14default_configENS1_27scan_by_key_config_selectorIiiEEZZNS1_16scan_by_key_implILNS1_25lookback_scan_determinismE0ELb1ES3_N6thrust23THRUST_200600_302600_NS10device_ptrIiEESB_SB_iNS9_4plusIvEENS9_8equal_toIvEEiEE10hipError_tPvRmT2_T3_T4_T5_mT6_T7_P12ihipStream_tbENKUlT_T0_E_clISt17integral_constantIbLb1EESV_IbLb0EEEEDaSR_SS_EUlSR_E_NS1_11comp_targetILNS1_3genE4ELNS1_11target_archE910ELNS1_3gpuE8ELNS1_3repE0EEENS1_30default_config_static_selectorELNS0_4arch9wavefront6targetE1EEEvT1_,"axG",@progbits,_ZN7rocprim17ROCPRIM_400000_NS6detail17trampoline_kernelINS0_14default_configENS1_27scan_by_key_config_selectorIiiEEZZNS1_16scan_by_key_implILNS1_25lookback_scan_determinismE0ELb1ES3_N6thrust23THRUST_200600_302600_NS10device_ptrIiEESB_SB_iNS9_4plusIvEENS9_8equal_toIvEEiEE10hipError_tPvRmT2_T3_T4_T5_mT6_T7_P12ihipStream_tbENKUlT_T0_E_clISt17integral_constantIbLb1EESV_IbLb0EEEEDaSR_SS_EUlSR_E_NS1_11comp_targetILNS1_3genE4ELNS1_11target_archE910ELNS1_3gpuE8ELNS1_3repE0EEENS1_30default_config_static_selectorELNS0_4arch9wavefront6targetE1EEEvT1_,comdat
	.protected	_ZN7rocprim17ROCPRIM_400000_NS6detail17trampoline_kernelINS0_14default_configENS1_27scan_by_key_config_selectorIiiEEZZNS1_16scan_by_key_implILNS1_25lookback_scan_determinismE0ELb1ES3_N6thrust23THRUST_200600_302600_NS10device_ptrIiEESB_SB_iNS9_4plusIvEENS9_8equal_toIvEEiEE10hipError_tPvRmT2_T3_T4_T5_mT6_T7_P12ihipStream_tbENKUlT_T0_E_clISt17integral_constantIbLb1EESV_IbLb0EEEEDaSR_SS_EUlSR_E_NS1_11comp_targetILNS1_3genE4ELNS1_11target_archE910ELNS1_3gpuE8ELNS1_3repE0EEENS1_30default_config_static_selectorELNS0_4arch9wavefront6targetE1EEEvT1_ ; -- Begin function _ZN7rocprim17ROCPRIM_400000_NS6detail17trampoline_kernelINS0_14default_configENS1_27scan_by_key_config_selectorIiiEEZZNS1_16scan_by_key_implILNS1_25lookback_scan_determinismE0ELb1ES3_N6thrust23THRUST_200600_302600_NS10device_ptrIiEESB_SB_iNS9_4plusIvEENS9_8equal_toIvEEiEE10hipError_tPvRmT2_T3_T4_T5_mT6_T7_P12ihipStream_tbENKUlT_T0_E_clISt17integral_constantIbLb1EESV_IbLb0EEEEDaSR_SS_EUlSR_E_NS1_11comp_targetILNS1_3genE4ELNS1_11target_archE910ELNS1_3gpuE8ELNS1_3repE0EEENS1_30default_config_static_selectorELNS0_4arch9wavefront6targetE1EEEvT1_
	.globl	_ZN7rocprim17ROCPRIM_400000_NS6detail17trampoline_kernelINS0_14default_configENS1_27scan_by_key_config_selectorIiiEEZZNS1_16scan_by_key_implILNS1_25lookback_scan_determinismE0ELb1ES3_N6thrust23THRUST_200600_302600_NS10device_ptrIiEESB_SB_iNS9_4plusIvEENS9_8equal_toIvEEiEE10hipError_tPvRmT2_T3_T4_T5_mT6_T7_P12ihipStream_tbENKUlT_T0_E_clISt17integral_constantIbLb1EESV_IbLb0EEEEDaSR_SS_EUlSR_E_NS1_11comp_targetILNS1_3genE4ELNS1_11target_archE910ELNS1_3gpuE8ELNS1_3repE0EEENS1_30default_config_static_selectorELNS0_4arch9wavefront6targetE1EEEvT1_
	.p2align	8
	.type	_ZN7rocprim17ROCPRIM_400000_NS6detail17trampoline_kernelINS0_14default_configENS1_27scan_by_key_config_selectorIiiEEZZNS1_16scan_by_key_implILNS1_25lookback_scan_determinismE0ELb1ES3_N6thrust23THRUST_200600_302600_NS10device_ptrIiEESB_SB_iNS9_4plusIvEENS9_8equal_toIvEEiEE10hipError_tPvRmT2_T3_T4_T5_mT6_T7_P12ihipStream_tbENKUlT_T0_E_clISt17integral_constantIbLb1EESV_IbLb0EEEEDaSR_SS_EUlSR_E_NS1_11comp_targetILNS1_3genE4ELNS1_11target_archE910ELNS1_3gpuE8ELNS1_3repE0EEENS1_30default_config_static_selectorELNS0_4arch9wavefront6targetE1EEEvT1_,@function
_ZN7rocprim17ROCPRIM_400000_NS6detail17trampoline_kernelINS0_14default_configENS1_27scan_by_key_config_selectorIiiEEZZNS1_16scan_by_key_implILNS1_25lookback_scan_determinismE0ELb1ES3_N6thrust23THRUST_200600_302600_NS10device_ptrIiEESB_SB_iNS9_4plusIvEENS9_8equal_toIvEEiEE10hipError_tPvRmT2_T3_T4_T5_mT6_T7_P12ihipStream_tbENKUlT_T0_E_clISt17integral_constantIbLb1EESV_IbLb0EEEEDaSR_SS_EUlSR_E_NS1_11comp_targetILNS1_3genE4ELNS1_11target_archE910ELNS1_3gpuE8ELNS1_3repE0EEENS1_30default_config_static_selectorELNS0_4arch9wavefront6targetE1EEEvT1_: ; @_ZN7rocprim17ROCPRIM_400000_NS6detail17trampoline_kernelINS0_14default_configENS1_27scan_by_key_config_selectorIiiEEZZNS1_16scan_by_key_implILNS1_25lookback_scan_determinismE0ELb1ES3_N6thrust23THRUST_200600_302600_NS10device_ptrIiEESB_SB_iNS9_4plusIvEENS9_8equal_toIvEEiEE10hipError_tPvRmT2_T3_T4_T5_mT6_T7_P12ihipStream_tbENKUlT_T0_E_clISt17integral_constantIbLb1EESV_IbLb0EEEEDaSR_SS_EUlSR_E_NS1_11comp_targetILNS1_3genE4ELNS1_11target_archE910ELNS1_3gpuE8ELNS1_3repE0EEENS1_30default_config_static_selectorELNS0_4arch9wavefront6targetE1EEEvT1_
; %bb.0:
	.section	.rodata,"a",@progbits
	.p2align	6, 0x0
	.amdhsa_kernel _ZN7rocprim17ROCPRIM_400000_NS6detail17trampoline_kernelINS0_14default_configENS1_27scan_by_key_config_selectorIiiEEZZNS1_16scan_by_key_implILNS1_25lookback_scan_determinismE0ELb1ES3_N6thrust23THRUST_200600_302600_NS10device_ptrIiEESB_SB_iNS9_4plusIvEENS9_8equal_toIvEEiEE10hipError_tPvRmT2_T3_T4_T5_mT6_T7_P12ihipStream_tbENKUlT_T0_E_clISt17integral_constantIbLb1EESV_IbLb0EEEEDaSR_SS_EUlSR_E_NS1_11comp_targetILNS1_3genE4ELNS1_11target_archE910ELNS1_3gpuE8ELNS1_3repE0EEENS1_30default_config_static_selectorELNS0_4arch9wavefront6targetE1EEEvT1_
		.amdhsa_group_segment_fixed_size 0
		.amdhsa_private_segment_fixed_size 0
		.amdhsa_kernarg_size 112
		.amdhsa_user_sgpr_count 2
		.amdhsa_user_sgpr_dispatch_ptr 0
		.amdhsa_user_sgpr_queue_ptr 0
		.amdhsa_user_sgpr_kernarg_segment_ptr 1
		.amdhsa_user_sgpr_dispatch_id 0
		.amdhsa_user_sgpr_kernarg_preload_length 0
		.amdhsa_user_sgpr_kernarg_preload_offset 0
		.amdhsa_user_sgpr_private_segment_size 0
		.amdhsa_uses_dynamic_stack 0
		.amdhsa_enable_private_segment 0
		.amdhsa_system_sgpr_workgroup_id_x 1
		.amdhsa_system_sgpr_workgroup_id_y 0
		.amdhsa_system_sgpr_workgroup_id_z 0
		.amdhsa_system_sgpr_workgroup_info 0
		.amdhsa_system_vgpr_workitem_id 0
		.amdhsa_next_free_vgpr 1
		.amdhsa_next_free_sgpr 0
		.amdhsa_accum_offset 4
		.amdhsa_reserve_vcc 0
		.amdhsa_float_round_mode_32 0
		.amdhsa_float_round_mode_16_64 0
		.amdhsa_float_denorm_mode_32 3
		.amdhsa_float_denorm_mode_16_64 3
		.amdhsa_dx10_clamp 1
		.amdhsa_ieee_mode 1
		.amdhsa_fp16_overflow 0
		.amdhsa_tg_split 0
		.amdhsa_exception_fp_ieee_invalid_op 0
		.amdhsa_exception_fp_denorm_src 0
		.amdhsa_exception_fp_ieee_div_zero 0
		.amdhsa_exception_fp_ieee_overflow 0
		.amdhsa_exception_fp_ieee_underflow 0
		.amdhsa_exception_fp_ieee_inexact 0
		.amdhsa_exception_int_div_zero 0
	.end_amdhsa_kernel
	.section	.text._ZN7rocprim17ROCPRIM_400000_NS6detail17trampoline_kernelINS0_14default_configENS1_27scan_by_key_config_selectorIiiEEZZNS1_16scan_by_key_implILNS1_25lookback_scan_determinismE0ELb1ES3_N6thrust23THRUST_200600_302600_NS10device_ptrIiEESB_SB_iNS9_4plusIvEENS9_8equal_toIvEEiEE10hipError_tPvRmT2_T3_T4_T5_mT6_T7_P12ihipStream_tbENKUlT_T0_E_clISt17integral_constantIbLb1EESV_IbLb0EEEEDaSR_SS_EUlSR_E_NS1_11comp_targetILNS1_3genE4ELNS1_11target_archE910ELNS1_3gpuE8ELNS1_3repE0EEENS1_30default_config_static_selectorELNS0_4arch9wavefront6targetE1EEEvT1_,"axG",@progbits,_ZN7rocprim17ROCPRIM_400000_NS6detail17trampoline_kernelINS0_14default_configENS1_27scan_by_key_config_selectorIiiEEZZNS1_16scan_by_key_implILNS1_25lookback_scan_determinismE0ELb1ES3_N6thrust23THRUST_200600_302600_NS10device_ptrIiEESB_SB_iNS9_4plusIvEENS9_8equal_toIvEEiEE10hipError_tPvRmT2_T3_T4_T5_mT6_T7_P12ihipStream_tbENKUlT_T0_E_clISt17integral_constantIbLb1EESV_IbLb0EEEEDaSR_SS_EUlSR_E_NS1_11comp_targetILNS1_3genE4ELNS1_11target_archE910ELNS1_3gpuE8ELNS1_3repE0EEENS1_30default_config_static_selectorELNS0_4arch9wavefront6targetE1EEEvT1_,comdat
.Lfunc_end2255:
	.size	_ZN7rocprim17ROCPRIM_400000_NS6detail17trampoline_kernelINS0_14default_configENS1_27scan_by_key_config_selectorIiiEEZZNS1_16scan_by_key_implILNS1_25lookback_scan_determinismE0ELb1ES3_N6thrust23THRUST_200600_302600_NS10device_ptrIiEESB_SB_iNS9_4plusIvEENS9_8equal_toIvEEiEE10hipError_tPvRmT2_T3_T4_T5_mT6_T7_P12ihipStream_tbENKUlT_T0_E_clISt17integral_constantIbLb1EESV_IbLb0EEEEDaSR_SS_EUlSR_E_NS1_11comp_targetILNS1_3genE4ELNS1_11target_archE910ELNS1_3gpuE8ELNS1_3repE0EEENS1_30default_config_static_selectorELNS0_4arch9wavefront6targetE1EEEvT1_, .Lfunc_end2255-_ZN7rocprim17ROCPRIM_400000_NS6detail17trampoline_kernelINS0_14default_configENS1_27scan_by_key_config_selectorIiiEEZZNS1_16scan_by_key_implILNS1_25lookback_scan_determinismE0ELb1ES3_N6thrust23THRUST_200600_302600_NS10device_ptrIiEESB_SB_iNS9_4plusIvEENS9_8equal_toIvEEiEE10hipError_tPvRmT2_T3_T4_T5_mT6_T7_P12ihipStream_tbENKUlT_T0_E_clISt17integral_constantIbLb1EESV_IbLb0EEEEDaSR_SS_EUlSR_E_NS1_11comp_targetILNS1_3genE4ELNS1_11target_archE910ELNS1_3gpuE8ELNS1_3repE0EEENS1_30default_config_static_selectorELNS0_4arch9wavefront6targetE1EEEvT1_
                                        ; -- End function
	.section	.AMDGPU.csdata,"",@progbits
; Kernel info:
; codeLenInByte = 0
; NumSgprs: 6
; NumVgprs: 0
; NumAgprs: 0
; TotalNumVgprs: 0
; ScratchSize: 0
; MemoryBound: 0
; FloatMode: 240
; IeeeMode: 1
; LDSByteSize: 0 bytes/workgroup (compile time only)
; SGPRBlocks: 0
; VGPRBlocks: 0
; NumSGPRsForWavesPerEU: 6
; NumVGPRsForWavesPerEU: 1
; AccumOffset: 4
; Occupancy: 8
; WaveLimiterHint : 0
; COMPUTE_PGM_RSRC2:SCRATCH_EN: 0
; COMPUTE_PGM_RSRC2:USER_SGPR: 2
; COMPUTE_PGM_RSRC2:TRAP_HANDLER: 0
; COMPUTE_PGM_RSRC2:TGID_X_EN: 1
; COMPUTE_PGM_RSRC2:TGID_Y_EN: 0
; COMPUTE_PGM_RSRC2:TGID_Z_EN: 0
; COMPUTE_PGM_RSRC2:TIDIG_COMP_CNT: 0
; COMPUTE_PGM_RSRC3_GFX90A:ACCUM_OFFSET: 0
; COMPUTE_PGM_RSRC3_GFX90A:TG_SPLIT: 0
	.section	.text._ZN7rocprim17ROCPRIM_400000_NS6detail17trampoline_kernelINS0_14default_configENS1_27scan_by_key_config_selectorIiiEEZZNS1_16scan_by_key_implILNS1_25lookback_scan_determinismE0ELb1ES3_N6thrust23THRUST_200600_302600_NS10device_ptrIiEESB_SB_iNS9_4plusIvEENS9_8equal_toIvEEiEE10hipError_tPvRmT2_T3_T4_T5_mT6_T7_P12ihipStream_tbENKUlT_T0_E_clISt17integral_constantIbLb1EESV_IbLb0EEEEDaSR_SS_EUlSR_E_NS1_11comp_targetILNS1_3genE3ELNS1_11target_archE908ELNS1_3gpuE7ELNS1_3repE0EEENS1_30default_config_static_selectorELNS0_4arch9wavefront6targetE1EEEvT1_,"axG",@progbits,_ZN7rocprim17ROCPRIM_400000_NS6detail17trampoline_kernelINS0_14default_configENS1_27scan_by_key_config_selectorIiiEEZZNS1_16scan_by_key_implILNS1_25lookback_scan_determinismE0ELb1ES3_N6thrust23THRUST_200600_302600_NS10device_ptrIiEESB_SB_iNS9_4plusIvEENS9_8equal_toIvEEiEE10hipError_tPvRmT2_T3_T4_T5_mT6_T7_P12ihipStream_tbENKUlT_T0_E_clISt17integral_constantIbLb1EESV_IbLb0EEEEDaSR_SS_EUlSR_E_NS1_11comp_targetILNS1_3genE3ELNS1_11target_archE908ELNS1_3gpuE7ELNS1_3repE0EEENS1_30default_config_static_selectorELNS0_4arch9wavefront6targetE1EEEvT1_,comdat
	.protected	_ZN7rocprim17ROCPRIM_400000_NS6detail17trampoline_kernelINS0_14default_configENS1_27scan_by_key_config_selectorIiiEEZZNS1_16scan_by_key_implILNS1_25lookback_scan_determinismE0ELb1ES3_N6thrust23THRUST_200600_302600_NS10device_ptrIiEESB_SB_iNS9_4plusIvEENS9_8equal_toIvEEiEE10hipError_tPvRmT2_T3_T4_T5_mT6_T7_P12ihipStream_tbENKUlT_T0_E_clISt17integral_constantIbLb1EESV_IbLb0EEEEDaSR_SS_EUlSR_E_NS1_11comp_targetILNS1_3genE3ELNS1_11target_archE908ELNS1_3gpuE7ELNS1_3repE0EEENS1_30default_config_static_selectorELNS0_4arch9wavefront6targetE1EEEvT1_ ; -- Begin function _ZN7rocprim17ROCPRIM_400000_NS6detail17trampoline_kernelINS0_14default_configENS1_27scan_by_key_config_selectorIiiEEZZNS1_16scan_by_key_implILNS1_25lookback_scan_determinismE0ELb1ES3_N6thrust23THRUST_200600_302600_NS10device_ptrIiEESB_SB_iNS9_4plusIvEENS9_8equal_toIvEEiEE10hipError_tPvRmT2_T3_T4_T5_mT6_T7_P12ihipStream_tbENKUlT_T0_E_clISt17integral_constantIbLb1EESV_IbLb0EEEEDaSR_SS_EUlSR_E_NS1_11comp_targetILNS1_3genE3ELNS1_11target_archE908ELNS1_3gpuE7ELNS1_3repE0EEENS1_30default_config_static_selectorELNS0_4arch9wavefront6targetE1EEEvT1_
	.globl	_ZN7rocprim17ROCPRIM_400000_NS6detail17trampoline_kernelINS0_14default_configENS1_27scan_by_key_config_selectorIiiEEZZNS1_16scan_by_key_implILNS1_25lookback_scan_determinismE0ELb1ES3_N6thrust23THRUST_200600_302600_NS10device_ptrIiEESB_SB_iNS9_4plusIvEENS9_8equal_toIvEEiEE10hipError_tPvRmT2_T3_T4_T5_mT6_T7_P12ihipStream_tbENKUlT_T0_E_clISt17integral_constantIbLb1EESV_IbLb0EEEEDaSR_SS_EUlSR_E_NS1_11comp_targetILNS1_3genE3ELNS1_11target_archE908ELNS1_3gpuE7ELNS1_3repE0EEENS1_30default_config_static_selectorELNS0_4arch9wavefront6targetE1EEEvT1_
	.p2align	8
	.type	_ZN7rocprim17ROCPRIM_400000_NS6detail17trampoline_kernelINS0_14default_configENS1_27scan_by_key_config_selectorIiiEEZZNS1_16scan_by_key_implILNS1_25lookback_scan_determinismE0ELb1ES3_N6thrust23THRUST_200600_302600_NS10device_ptrIiEESB_SB_iNS9_4plusIvEENS9_8equal_toIvEEiEE10hipError_tPvRmT2_T3_T4_T5_mT6_T7_P12ihipStream_tbENKUlT_T0_E_clISt17integral_constantIbLb1EESV_IbLb0EEEEDaSR_SS_EUlSR_E_NS1_11comp_targetILNS1_3genE3ELNS1_11target_archE908ELNS1_3gpuE7ELNS1_3repE0EEENS1_30default_config_static_selectorELNS0_4arch9wavefront6targetE1EEEvT1_,@function
_ZN7rocprim17ROCPRIM_400000_NS6detail17trampoline_kernelINS0_14default_configENS1_27scan_by_key_config_selectorIiiEEZZNS1_16scan_by_key_implILNS1_25lookback_scan_determinismE0ELb1ES3_N6thrust23THRUST_200600_302600_NS10device_ptrIiEESB_SB_iNS9_4plusIvEENS9_8equal_toIvEEiEE10hipError_tPvRmT2_T3_T4_T5_mT6_T7_P12ihipStream_tbENKUlT_T0_E_clISt17integral_constantIbLb1EESV_IbLb0EEEEDaSR_SS_EUlSR_E_NS1_11comp_targetILNS1_3genE3ELNS1_11target_archE908ELNS1_3gpuE7ELNS1_3repE0EEENS1_30default_config_static_selectorELNS0_4arch9wavefront6targetE1EEEvT1_: ; @_ZN7rocprim17ROCPRIM_400000_NS6detail17trampoline_kernelINS0_14default_configENS1_27scan_by_key_config_selectorIiiEEZZNS1_16scan_by_key_implILNS1_25lookback_scan_determinismE0ELb1ES3_N6thrust23THRUST_200600_302600_NS10device_ptrIiEESB_SB_iNS9_4plusIvEENS9_8equal_toIvEEiEE10hipError_tPvRmT2_T3_T4_T5_mT6_T7_P12ihipStream_tbENKUlT_T0_E_clISt17integral_constantIbLb1EESV_IbLb0EEEEDaSR_SS_EUlSR_E_NS1_11comp_targetILNS1_3genE3ELNS1_11target_archE908ELNS1_3gpuE7ELNS1_3repE0EEENS1_30default_config_static_selectorELNS0_4arch9wavefront6targetE1EEEvT1_
; %bb.0:
	.section	.rodata,"a",@progbits
	.p2align	6, 0x0
	.amdhsa_kernel _ZN7rocprim17ROCPRIM_400000_NS6detail17trampoline_kernelINS0_14default_configENS1_27scan_by_key_config_selectorIiiEEZZNS1_16scan_by_key_implILNS1_25lookback_scan_determinismE0ELb1ES3_N6thrust23THRUST_200600_302600_NS10device_ptrIiEESB_SB_iNS9_4plusIvEENS9_8equal_toIvEEiEE10hipError_tPvRmT2_T3_T4_T5_mT6_T7_P12ihipStream_tbENKUlT_T0_E_clISt17integral_constantIbLb1EESV_IbLb0EEEEDaSR_SS_EUlSR_E_NS1_11comp_targetILNS1_3genE3ELNS1_11target_archE908ELNS1_3gpuE7ELNS1_3repE0EEENS1_30default_config_static_selectorELNS0_4arch9wavefront6targetE1EEEvT1_
		.amdhsa_group_segment_fixed_size 0
		.amdhsa_private_segment_fixed_size 0
		.amdhsa_kernarg_size 112
		.amdhsa_user_sgpr_count 2
		.amdhsa_user_sgpr_dispatch_ptr 0
		.amdhsa_user_sgpr_queue_ptr 0
		.amdhsa_user_sgpr_kernarg_segment_ptr 1
		.amdhsa_user_sgpr_dispatch_id 0
		.amdhsa_user_sgpr_kernarg_preload_length 0
		.amdhsa_user_sgpr_kernarg_preload_offset 0
		.amdhsa_user_sgpr_private_segment_size 0
		.amdhsa_uses_dynamic_stack 0
		.amdhsa_enable_private_segment 0
		.amdhsa_system_sgpr_workgroup_id_x 1
		.amdhsa_system_sgpr_workgroup_id_y 0
		.amdhsa_system_sgpr_workgroup_id_z 0
		.amdhsa_system_sgpr_workgroup_info 0
		.amdhsa_system_vgpr_workitem_id 0
		.amdhsa_next_free_vgpr 1
		.amdhsa_next_free_sgpr 0
		.amdhsa_accum_offset 4
		.amdhsa_reserve_vcc 0
		.amdhsa_float_round_mode_32 0
		.amdhsa_float_round_mode_16_64 0
		.amdhsa_float_denorm_mode_32 3
		.amdhsa_float_denorm_mode_16_64 3
		.amdhsa_dx10_clamp 1
		.amdhsa_ieee_mode 1
		.amdhsa_fp16_overflow 0
		.amdhsa_tg_split 0
		.amdhsa_exception_fp_ieee_invalid_op 0
		.amdhsa_exception_fp_denorm_src 0
		.amdhsa_exception_fp_ieee_div_zero 0
		.amdhsa_exception_fp_ieee_overflow 0
		.amdhsa_exception_fp_ieee_underflow 0
		.amdhsa_exception_fp_ieee_inexact 0
		.amdhsa_exception_int_div_zero 0
	.end_amdhsa_kernel
	.section	.text._ZN7rocprim17ROCPRIM_400000_NS6detail17trampoline_kernelINS0_14default_configENS1_27scan_by_key_config_selectorIiiEEZZNS1_16scan_by_key_implILNS1_25lookback_scan_determinismE0ELb1ES3_N6thrust23THRUST_200600_302600_NS10device_ptrIiEESB_SB_iNS9_4plusIvEENS9_8equal_toIvEEiEE10hipError_tPvRmT2_T3_T4_T5_mT6_T7_P12ihipStream_tbENKUlT_T0_E_clISt17integral_constantIbLb1EESV_IbLb0EEEEDaSR_SS_EUlSR_E_NS1_11comp_targetILNS1_3genE3ELNS1_11target_archE908ELNS1_3gpuE7ELNS1_3repE0EEENS1_30default_config_static_selectorELNS0_4arch9wavefront6targetE1EEEvT1_,"axG",@progbits,_ZN7rocprim17ROCPRIM_400000_NS6detail17trampoline_kernelINS0_14default_configENS1_27scan_by_key_config_selectorIiiEEZZNS1_16scan_by_key_implILNS1_25lookback_scan_determinismE0ELb1ES3_N6thrust23THRUST_200600_302600_NS10device_ptrIiEESB_SB_iNS9_4plusIvEENS9_8equal_toIvEEiEE10hipError_tPvRmT2_T3_T4_T5_mT6_T7_P12ihipStream_tbENKUlT_T0_E_clISt17integral_constantIbLb1EESV_IbLb0EEEEDaSR_SS_EUlSR_E_NS1_11comp_targetILNS1_3genE3ELNS1_11target_archE908ELNS1_3gpuE7ELNS1_3repE0EEENS1_30default_config_static_selectorELNS0_4arch9wavefront6targetE1EEEvT1_,comdat
.Lfunc_end2256:
	.size	_ZN7rocprim17ROCPRIM_400000_NS6detail17trampoline_kernelINS0_14default_configENS1_27scan_by_key_config_selectorIiiEEZZNS1_16scan_by_key_implILNS1_25lookback_scan_determinismE0ELb1ES3_N6thrust23THRUST_200600_302600_NS10device_ptrIiEESB_SB_iNS9_4plusIvEENS9_8equal_toIvEEiEE10hipError_tPvRmT2_T3_T4_T5_mT6_T7_P12ihipStream_tbENKUlT_T0_E_clISt17integral_constantIbLb1EESV_IbLb0EEEEDaSR_SS_EUlSR_E_NS1_11comp_targetILNS1_3genE3ELNS1_11target_archE908ELNS1_3gpuE7ELNS1_3repE0EEENS1_30default_config_static_selectorELNS0_4arch9wavefront6targetE1EEEvT1_, .Lfunc_end2256-_ZN7rocprim17ROCPRIM_400000_NS6detail17trampoline_kernelINS0_14default_configENS1_27scan_by_key_config_selectorIiiEEZZNS1_16scan_by_key_implILNS1_25lookback_scan_determinismE0ELb1ES3_N6thrust23THRUST_200600_302600_NS10device_ptrIiEESB_SB_iNS9_4plusIvEENS9_8equal_toIvEEiEE10hipError_tPvRmT2_T3_T4_T5_mT6_T7_P12ihipStream_tbENKUlT_T0_E_clISt17integral_constantIbLb1EESV_IbLb0EEEEDaSR_SS_EUlSR_E_NS1_11comp_targetILNS1_3genE3ELNS1_11target_archE908ELNS1_3gpuE7ELNS1_3repE0EEENS1_30default_config_static_selectorELNS0_4arch9wavefront6targetE1EEEvT1_
                                        ; -- End function
	.section	.AMDGPU.csdata,"",@progbits
; Kernel info:
; codeLenInByte = 0
; NumSgprs: 6
; NumVgprs: 0
; NumAgprs: 0
; TotalNumVgprs: 0
; ScratchSize: 0
; MemoryBound: 0
; FloatMode: 240
; IeeeMode: 1
; LDSByteSize: 0 bytes/workgroup (compile time only)
; SGPRBlocks: 0
; VGPRBlocks: 0
; NumSGPRsForWavesPerEU: 6
; NumVGPRsForWavesPerEU: 1
; AccumOffset: 4
; Occupancy: 8
; WaveLimiterHint : 0
; COMPUTE_PGM_RSRC2:SCRATCH_EN: 0
; COMPUTE_PGM_RSRC2:USER_SGPR: 2
; COMPUTE_PGM_RSRC2:TRAP_HANDLER: 0
; COMPUTE_PGM_RSRC2:TGID_X_EN: 1
; COMPUTE_PGM_RSRC2:TGID_Y_EN: 0
; COMPUTE_PGM_RSRC2:TGID_Z_EN: 0
; COMPUTE_PGM_RSRC2:TIDIG_COMP_CNT: 0
; COMPUTE_PGM_RSRC3_GFX90A:ACCUM_OFFSET: 0
; COMPUTE_PGM_RSRC3_GFX90A:TG_SPLIT: 0
	.section	.text._ZN7rocprim17ROCPRIM_400000_NS6detail17trampoline_kernelINS0_14default_configENS1_27scan_by_key_config_selectorIiiEEZZNS1_16scan_by_key_implILNS1_25lookback_scan_determinismE0ELb1ES3_N6thrust23THRUST_200600_302600_NS10device_ptrIiEESB_SB_iNS9_4plusIvEENS9_8equal_toIvEEiEE10hipError_tPvRmT2_T3_T4_T5_mT6_T7_P12ihipStream_tbENKUlT_T0_E_clISt17integral_constantIbLb1EESV_IbLb0EEEEDaSR_SS_EUlSR_E_NS1_11comp_targetILNS1_3genE2ELNS1_11target_archE906ELNS1_3gpuE6ELNS1_3repE0EEENS1_30default_config_static_selectorELNS0_4arch9wavefront6targetE1EEEvT1_,"axG",@progbits,_ZN7rocprim17ROCPRIM_400000_NS6detail17trampoline_kernelINS0_14default_configENS1_27scan_by_key_config_selectorIiiEEZZNS1_16scan_by_key_implILNS1_25lookback_scan_determinismE0ELb1ES3_N6thrust23THRUST_200600_302600_NS10device_ptrIiEESB_SB_iNS9_4plusIvEENS9_8equal_toIvEEiEE10hipError_tPvRmT2_T3_T4_T5_mT6_T7_P12ihipStream_tbENKUlT_T0_E_clISt17integral_constantIbLb1EESV_IbLb0EEEEDaSR_SS_EUlSR_E_NS1_11comp_targetILNS1_3genE2ELNS1_11target_archE906ELNS1_3gpuE6ELNS1_3repE0EEENS1_30default_config_static_selectorELNS0_4arch9wavefront6targetE1EEEvT1_,comdat
	.protected	_ZN7rocprim17ROCPRIM_400000_NS6detail17trampoline_kernelINS0_14default_configENS1_27scan_by_key_config_selectorIiiEEZZNS1_16scan_by_key_implILNS1_25lookback_scan_determinismE0ELb1ES3_N6thrust23THRUST_200600_302600_NS10device_ptrIiEESB_SB_iNS9_4plusIvEENS9_8equal_toIvEEiEE10hipError_tPvRmT2_T3_T4_T5_mT6_T7_P12ihipStream_tbENKUlT_T0_E_clISt17integral_constantIbLb1EESV_IbLb0EEEEDaSR_SS_EUlSR_E_NS1_11comp_targetILNS1_3genE2ELNS1_11target_archE906ELNS1_3gpuE6ELNS1_3repE0EEENS1_30default_config_static_selectorELNS0_4arch9wavefront6targetE1EEEvT1_ ; -- Begin function _ZN7rocprim17ROCPRIM_400000_NS6detail17trampoline_kernelINS0_14default_configENS1_27scan_by_key_config_selectorIiiEEZZNS1_16scan_by_key_implILNS1_25lookback_scan_determinismE0ELb1ES3_N6thrust23THRUST_200600_302600_NS10device_ptrIiEESB_SB_iNS9_4plusIvEENS9_8equal_toIvEEiEE10hipError_tPvRmT2_T3_T4_T5_mT6_T7_P12ihipStream_tbENKUlT_T0_E_clISt17integral_constantIbLb1EESV_IbLb0EEEEDaSR_SS_EUlSR_E_NS1_11comp_targetILNS1_3genE2ELNS1_11target_archE906ELNS1_3gpuE6ELNS1_3repE0EEENS1_30default_config_static_selectorELNS0_4arch9wavefront6targetE1EEEvT1_
	.globl	_ZN7rocprim17ROCPRIM_400000_NS6detail17trampoline_kernelINS0_14default_configENS1_27scan_by_key_config_selectorIiiEEZZNS1_16scan_by_key_implILNS1_25lookback_scan_determinismE0ELb1ES3_N6thrust23THRUST_200600_302600_NS10device_ptrIiEESB_SB_iNS9_4plusIvEENS9_8equal_toIvEEiEE10hipError_tPvRmT2_T3_T4_T5_mT6_T7_P12ihipStream_tbENKUlT_T0_E_clISt17integral_constantIbLb1EESV_IbLb0EEEEDaSR_SS_EUlSR_E_NS1_11comp_targetILNS1_3genE2ELNS1_11target_archE906ELNS1_3gpuE6ELNS1_3repE0EEENS1_30default_config_static_selectorELNS0_4arch9wavefront6targetE1EEEvT1_
	.p2align	8
	.type	_ZN7rocprim17ROCPRIM_400000_NS6detail17trampoline_kernelINS0_14default_configENS1_27scan_by_key_config_selectorIiiEEZZNS1_16scan_by_key_implILNS1_25lookback_scan_determinismE0ELb1ES3_N6thrust23THRUST_200600_302600_NS10device_ptrIiEESB_SB_iNS9_4plusIvEENS9_8equal_toIvEEiEE10hipError_tPvRmT2_T3_T4_T5_mT6_T7_P12ihipStream_tbENKUlT_T0_E_clISt17integral_constantIbLb1EESV_IbLb0EEEEDaSR_SS_EUlSR_E_NS1_11comp_targetILNS1_3genE2ELNS1_11target_archE906ELNS1_3gpuE6ELNS1_3repE0EEENS1_30default_config_static_selectorELNS0_4arch9wavefront6targetE1EEEvT1_,@function
_ZN7rocprim17ROCPRIM_400000_NS6detail17trampoline_kernelINS0_14default_configENS1_27scan_by_key_config_selectorIiiEEZZNS1_16scan_by_key_implILNS1_25lookback_scan_determinismE0ELb1ES3_N6thrust23THRUST_200600_302600_NS10device_ptrIiEESB_SB_iNS9_4plusIvEENS9_8equal_toIvEEiEE10hipError_tPvRmT2_T3_T4_T5_mT6_T7_P12ihipStream_tbENKUlT_T0_E_clISt17integral_constantIbLb1EESV_IbLb0EEEEDaSR_SS_EUlSR_E_NS1_11comp_targetILNS1_3genE2ELNS1_11target_archE906ELNS1_3gpuE6ELNS1_3repE0EEENS1_30default_config_static_selectorELNS0_4arch9wavefront6targetE1EEEvT1_: ; @_ZN7rocprim17ROCPRIM_400000_NS6detail17trampoline_kernelINS0_14default_configENS1_27scan_by_key_config_selectorIiiEEZZNS1_16scan_by_key_implILNS1_25lookback_scan_determinismE0ELb1ES3_N6thrust23THRUST_200600_302600_NS10device_ptrIiEESB_SB_iNS9_4plusIvEENS9_8equal_toIvEEiEE10hipError_tPvRmT2_T3_T4_T5_mT6_T7_P12ihipStream_tbENKUlT_T0_E_clISt17integral_constantIbLb1EESV_IbLb0EEEEDaSR_SS_EUlSR_E_NS1_11comp_targetILNS1_3genE2ELNS1_11target_archE906ELNS1_3gpuE6ELNS1_3repE0EEENS1_30default_config_static_selectorELNS0_4arch9wavefront6targetE1EEEvT1_
; %bb.0:
	.section	.rodata,"a",@progbits
	.p2align	6, 0x0
	.amdhsa_kernel _ZN7rocprim17ROCPRIM_400000_NS6detail17trampoline_kernelINS0_14default_configENS1_27scan_by_key_config_selectorIiiEEZZNS1_16scan_by_key_implILNS1_25lookback_scan_determinismE0ELb1ES3_N6thrust23THRUST_200600_302600_NS10device_ptrIiEESB_SB_iNS9_4plusIvEENS9_8equal_toIvEEiEE10hipError_tPvRmT2_T3_T4_T5_mT6_T7_P12ihipStream_tbENKUlT_T0_E_clISt17integral_constantIbLb1EESV_IbLb0EEEEDaSR_SS_EUlSR_E_NS1_11comp_targetILNS1_3genE2ELNS1_11target_archE906ELNS1_3gpuE6ELNS1_3repE0EEENS1_30default_config_static_selectorELNS0_4arch9wavefront6targetE1EEEvT1_
		.amdhsa_group_segment_fixed_size 0
		.amdhsa_private_segment_fixed_size 0
		.amdhsa_kernarg_size 112
		.amdhsa_user_sgpr_count 2
		.amdhsa_user_sgpr_dispatch_ptr 0
		.amdhsa_user_sgpr_queue_ptr 0
		.amdhsa_user_sgpr_kernarg_segment_ptr 1
		.amdhsa_user_sgpr_dispatch_id 0
		.amdhsa_user_sgpr_kernarg_preload_length 0
		.amdhsa_user_sgpr_kernarg_preload_offset 0
		.amdhsa_user_sgpr_private_segment_size 0
		.amdhsa_uses_dynamic_stack 0
		.amdhsa_enable_private_segment 0
		.amdhsa_system_sgpr_workgroup_id_x 1
		.amdhsa_system_sgpr_workgroup_id_y 0
		.amdhsa_system_sgpr_workgroup_id_z 0
		.amdhsa_system_sgpr_workgroup_info 0
		.amdhsa_system_vgpr_workitem_id 0
		.amdhsa_next_free_vgpr 1
		.amdhsa_next_free_sgpr 0
		.amdhsa_accum_offset 4
		.amdhsa_reserve_vcc 0
		.amdhsa_float_round_mode_32 0
		.amdhsa_float_round_mode_16_64 0
		.amdhsa_float_denorm_mode_32 3
		.amdhsa_float_denorm_mode_16_64 3
		.amdhsa_dx10_clamp 1
		.amdhsa_ieee_mode 1
		.amdhsa_fp16_overflow 0
		.amdhsa_tg_split 0
		.amdhsa_exception_fp_ieee_invalid_op 0
		.amdhsa_exception_fp_denorm_src 0
		.amdhsa_exception_fp_ieee_div_zero 0
		.amdhsa_exception_fp_ieee_overflow 0
		.amdhsa_exception_fp_ieee_underflow 0
		.amdhsa_exception_fp_ieee_inexact 0
		.amdhsa_exception_int_div_zero 0
	.end_amdhsa_kernel
	.section	.text._ZN7rocprim17ROCPRIM_400000_NS6detail17trampoline_kernelINS0_14default_configENS1_27scan_by_key_config_selectorIiiEEZZNS1_16scan_by_key_implILNS1_25lookback_scan_determinismE0ELb1ES3_N6thrust23THRUST_200600_302600_NS10device_ptrIiEESB_SB_iNS9_4plusIvEENS9_8equal_toIvEEiEE10hipError_tPvRmT2_T3_T4_T5_mT6_T7_P12ihipStream_tbENKUlT_T0_E_clISt17integral_constantIbLb1EESV_IbLb0EEEEDaSR_SS_EUlSR_E_NS1_11comp_targetILNS1_3genE2ELNS1_11target_archE906ELNS1_3gpuE6ELNS1_3repE0EEENS1_30default_config_static_selectorELNS0_4arch9wavefront6targetE1EEEvT1_,"axG",@progbits,_ZN7rocprim17ROCPRIM_400000_NS6detail17trampoline_kernelINS0_14default_configENS1_27scan_by_key_config_selectorIiiEEZZNS1_16scan_by_key_implILNS1_25lookback_scan_determinismE0ELb1ES3_N6thrust23THRUST_200600_302600_NS10device_ptrIiEESB_SB_iNS9_4plusIvEENS9_8equal_toIvEEiEE10hipError_tPvRmT2_T3_T4_T5_mT6_T7_P12ihipStream_tbENKUlT_T0_E_clISt17integral_constantIbLb1EESV_IbLb0EEEEDaSR_SS_EUlSR_E_NS1_11comp_targetILNS1_3genE2ELNS1_11target_archE906ELNS1_3gpuE6ELNS1_3repE0EEENS1_30default_config_static_selectorELNS0_4arch9wavefront6targetE1EEEvT1_,comdat
.Lfunc_end2257:
	.size	_ZN7rocprim17ROCPRIM_400000_NS6detail17trampoline_kernelINS0_14default_configENS1_27scan_by_key_config_selectorIiiEEZZNS1_16scan_by_key_implILNS1_25lookback_scan_determinismE0ELb1ES3_N6thrust23THRUST_200600_302600_NS10device_ptrIiEESB_SB_iNS9_4plusIvEENS9_8equal_toIvEEiEE10hipError_tPvRmT2_T3_T4_T5_mT6_T7_P12ihipStream_tbENKUlT_T0_E_clISt17integral_constantIbLb1EESV_IbLb0EEEEDaSR_SS_EUlSR_E_NS1_11comp_targetILNS1_3genE2ELNS1_11target_archE906ELNS1_3gpuE6ELNS1_3repE0EEENS1_30default_config_static_selectorELNS0_4arch9wavefront6targetE1EEEvT1_, .Lfunc_end2257-_ZN7rocprim17ROCPRIM_400000_NS6detail17trampoline_kernelINS0_14default_configENS1_27scan_by_key_config_selectorIiiEEZZNS1_16scan_by_key_implILNS1_25lookback_scan_determinismE0ELb1ES3_N6thrust23THRUST_200600_302600_NS10device_ptrIiEESB_SB_iNS9_4plusIvEENS9_8equal_toIvEEiEE10hipError_tPvRmT2_T3_T4_T5_mT6_T7_P12ihipStream_tbENKUlT_T0_E_clISt17integral_constantIbLb1EESV_IbLb0EEEEDaSR_SS_EUlSR_E_NS1_11comp_targetILNS1_3genE2ELNS1_11target_archE906ELNS1_3gpuE6ELNS1_3repE0EEENS1_30default_config_static_selectorELNS0_4arch9wavefront6targetE1EEEvT1_
                                        ; -- End function
	.section	.AMDGPU.csdata,"",@progbits
; Kernel info:
; codeLenInByte = 0
; NumSgprs: 6
; NumVgprs: 0
; NumAgprs: 0
; TotalNumVgprs: 0
; ScratchSize: 0
; MemoryBound: 0
; FloatMode: 240
; IeeeMode: 1
; LDSByteSize: 0 bytes/workgroup (compile time only)
; SGPRBlocks: 0
; VGPRBlocks: 0
; NumSGPRsForWavesPerEU: 6
; NumVGPRsForWavesPerEU: 1
; AccumOffset: 4
; Occupancy: 8
; WaveLimiterHint : 0
; COMPUTE_PGM_RSRC2:SCRATCH_EN: 0
; COMPUTE_PGM_RSRC2:USER_SGPR: 2
; COMPUTE_PGM_RSRC2:TRAP_HANDLER: 0
; COMPUTE_PGM_RSRC2:TGID_X_EN: 1
; COMPUTE_PGM_RSRC2:TGID_Y_EN: 0
; COMPUTE_PGM_RSRC2:TGID_Z_EN: 0
; COMPUTE_PGM_RSRC2:TIDIG_COMP_CNT: 0
; COMPUTE_PGM_RSRC3_GFX90A:ACCUM_OFFSET: 0
; COMPUTE_PGM_RSRC3_GFX90A:TG_SPLIT: 0
	.section	.text._ZN7rocprim17ROCPRIM_400000_NS6detail17trampoline_kernelINS0_14default_configENS1_27scan_by_key_config_selectorIiiEEZZNS1_16scan_by_key_implILNS1_25lookback_scan_determinismE0ELb1ES3_N6thrust23THRUST_200600_302600_NS10device_ptrIiEESB_SB_iNS9_4plusIvEENS9_8equal_toIvEEiEE10hipError_tPvRmT2_T3_T4_T5_mT6_T7_P12ihipStream_tbENKUlT_T0_E_clISt17integral_constantIbLb1EESV_IbLb0EEEEDaSR_SS_EUlSR_E_NS1_11comp_targetILNS1_3genE10ELNS1_11target_archE1200ELNS1_3gpuE4ELNS1_3repE0EEENS1_30default_config_static_selectorELNS0_4arch9wavefront6targetE1EEEvT1_,"axG",@progbits,_ZN7rocprim17ROCPRIM_400000_NS6detail17trampoline_kernelINS0_14default_configENS1_27scan_by_key_config_selectorIiiEEZZNS1_16scan_by_key_implILNS1_25lookback_scan_determinismE0ELb1ES3_N6thrust23THRUST_200600_302600_NS10device_ptrIiEESB_SB_iNS9_4plusIvEENS9_8equal_toIvEEiEE10hipError_tPvRmT2_T3_T4_T5_mT6_T7_P12ihipStream_tbENKUlT_T0_E_clISt17integral_constantIbLb1EESV_IbLb0EEEEDaSR_SS_EUlSR_E_NS1_11comp_targetILNS1_3genE10ELNS1_11target_archE1200ELNS1_3gpuE4ELNS1_3repE0EEENS1_30default_config_static_selectorELNS0_4arch9wavefront6targetE1EEEvT1_,comdat
	.protected	_ZN7rocprim17ROCPRIM_400000_NS6detail17trampoline_kernelINS0_14default_configENS1_27scan_by_key_config_selectorIiiEEZZNS1_16scan_by_key_implILNS1_25lookback_scan_determinismE0ELb1ES3_N6thrust23THRUST_200600_302600_NS10device_ptrIiEESB_SB_iNS9_4plusIvEENS9_8equal_toIvEEiEE10hipError_tPvRmT2_T3_T4_T5_mT6_T7_P12ihipStream_tbENKUlT_T0_E_clISt17integral_constantIbLb1EESV_IbLb0EEEEDaSR_SS_EUlSR_E_NS1_11comp_targetILNS1_3genE10ELNS1_11target_archE1200ELNS1_3gpuE4ELNS1_3repE0EEENS1_30default_config_static_selectorELNS0_4arch9wavefront6targetE1EEEvT1_ ; -- Begin function _ZN7rocprim17ROCPRIM_400000_NS6detail17trampoline_kernelINS0_14default_configENS1_27scan_by_key_config_selectorIiiEEZZNS1_16scan_by_key_implILNS1_25lookback_scan_determinismE0ELb1ES3_N6thrust23THRUST_200600_302600_NS10device_ptrIiEESB_SB_iNS9_4plusIvEENS9_8equal_toIvEEiEE10hipError_tPvRmT2_T3_T4_T5_mT6_T7_P12ihipStream_tbENKUlT_T0_E_clISt17integral_constantIbLb1EESV_IbLb0EEEEDaSR_SS_EUlSR_E_NS1_11comp_targetILNS1_3genE10ELNS1_11target_archE1200ELNS1_3gpuE4ELNS1_3repE0EEENS1_30default_config_static_selectorELNS0_4arch9wavefront6targetE1EEEvT1_
	.globl	_ZN7rocprim17ROCPRIM_400000_NS6detail17trampoline_kernelINS0_14default_configENS1_27scan_by_key_config_selectorIiiEEZZNS1_16scan_by_key_implILNS1_25lookback_scan_determinismE0ELb1ES3_N6thrust23THRUST_200600_302600_NS10device_ptrIiEESB_SB_iNS9_4plusIvEENS9_8equal_toIvEEiEE10hipError_tPvRmT2_T3_T4_T5_mT6_T7_P12ihipStream_tbENKUlT_T0_E_clISt17integral_constantIbLb1EESV_IbLb0EEEEDaSR_SS_EUlSR_E_NS1_11comp_targetILNS1_3genE10ELNS1_11target_archE1200ELNS1_3gpuE4ELNS1_3repE0EEENS1_30default_config_static_selectorELNS0_4arch9wavefront6targetE1EEEvT1_
	.p2align	8
	.type	_ZN7rocprim17ROCPRIM_400000_NS6detail17trampoline_kernelINS0_14default_configENS1_27scan_by_key_config_selectorIiiEEZZNS1_16scan_by_key_implILNS1_25lookback_scan_determinismE0ELb1ES3_N6thrust23THRUST_200600_302600_NS10device_ptrIiEESB_SB_iNS9_4plusIvEENS9_8equal_toIvEEiEE10hipError_tPvRmT2_T3_T4_T5_mT6_T7_P12ihipStream_tbENKUlT_T0_E_clISt17integral_constantIbLb1EESV_IbLb0EEEEDaSR_SS_EUlSR_E_NS1_11comp_targetILNS1_3genE10ELNS1_11target_archE1200ELNS1_3gpuE4ELNS1_3repE0EEENS1_30default_config_static_selectorELNS0_4arch9wavefront6targetE1EEEvT1_,@function
_ZN7rocprim17ROCPRIM_400000_NS6detail17trampoline_kernelINS0_14default_configENS1_27scan_by_key_config_selectorIiiEEZZNS1_16scan_by_key_implILNS1_25lookback_scan_determinismE0ELb1ES3_N6thrust23THRUST_200600_302600_NS10device_ptrIiEESB_SB_iNS9_4plusIvEENS9_8equal_toIvEEiEE10hipError_tPvRmT2_T3_T4_T5_mT6_T7_P12ihipStream_tbENKUlT_T0_E_clISt17integral_constantIbLb1EESV_IbLb0EEEEDaSR_SS_EUlSR_E_NS1_11comp_targetILNS1_3genE10ELNS1_11target_archE1200ELNS1_3gpuE4ELNS1_3repE0EEENS1_30default_config_static_selectorELNS0_4arch9wavefront6targetE1EEEvT1_: ; @_ZN7rocprim17ROCPRIM_400000_NS6detail17trampoline_kernelINS0_14default_configENS1_27scan_by_key_config_selectorIiiEEZZNS1_16scan_by_key_implILNS1_25lookback_scan_determinismE0ELb1ES3_N6thrust23THRUST_200600_302600_NS10device_ptrIiEESB_SB_iNS9_4plusIvEENS9_8equal_toIvEEiEE10hipError_tPvRmT2_T3_T4_T5_mT6_T7_P12ihipStream_tbENKUlT_T0_E_clISt17integral_constantIbLb1EESV_IbLb0EEEEDaSR_SS_EUlSR_E_NS1_11comp_targetILNS1_3genE10ELNS1_11target_archE1200ELNS1_3gpuE4ELNS1_3repE0EEENS1_30default_config_static_selectorELNS0_4arch9wavefront6targetE1EEEvT1_
; %bb.0:
	.section	.rodata,"a",@progbits
	.p2align	6, 0x0
	.amdhsa_kernel _ZN7rocprim17ROCPRIM_400000_NS6detail17trampoline_kernelINS0_14default_configENS1_27scan_by_key_config_selectorIiiEEZZNS1_16scan_by_key_implILNS1_25lookback_scan_determinismE0ELb1ES3_N6thrust23THRUST_200600_302600_NS10device_ptrIiEESB_SB_iNS9_4plusIvEENS9_8equal_toIvEEiEE10hipError_tPvRmT2_T3_T4_T5_mT6_T7_P12ihipStream_tbENKUlT_T0_E_clISt17integral_constantIbLb1EESV_IbLb0EEEEDaSR_SS_EUlSR_E_NS1_11comp_targetILNS1_3genE10ELNS1_11target_archE1200ELNS1_3gpuE4ELNS1_3repE0EEENS1_30default_config_static_selectorELNS0_4arch9wavefront6targetE1EEEvT1_
		.amdhsa_group_segment_fixed_size 0
		.amdhsa_private_segment_fixed_size 0
		.amdhsa_kernarg_size 112
		.amdhsa_user_sgpr_count 2
		.amdhsa_user_sgpr_dispatch_ptr 0
		.amdhsa_user_sgpr_queue_ptr 0
		.amdhsa_user_sgpr_kernarg_segment_ptr 1
		.amdhsa_user_sgpr_dispatch_id 0
		.amdhsa_user_sgpr_kernarg_preload_length 0
		.amdhsa_user_sgpr_kernarg_preload_offset 0
		.amdhsa_user_sgpr_private_segment_size 0
		.amdhsa_uses_dynamic_stack 0
		.amdhsa_enable_private_segment 0
		.amdhsa_system_sgpr_workgroup_id_x 1
		.amdhsa_system_sgpr_workgroup_id_y 0
		.amdhsa_system_sgpr_workgroup_id_z 0
		.amdhsa_system_sgpr_workgroup_info 0
		.amdhsa_system_vgpr_workitem_id 0
		.amdhsa_next_free_vgpr 1
		.amdhsa_next_free_sgpr 0
		.amdhsa_accum_offset 4
		.amdhsa_reserve_vcc 0
		.amdhsa_float_round_mode_32 0
		.amdhsa_float_round_mode_16_64 0
		.amdhsa_float_denorm_mode_32 3
		.amdhsa_float_denorm_mode_16_64 3
		.amdhsa_dx10_clamp 1
		.amdhsa_ieee_mode 1
		.amdhsa_fp16_overflow 0
		.amdhsa_tg_split 0
		.amdhsa_exception_fp_ieee_invalid_op 0
		.amdhsa_exception_fp_denorm_src 0
		.amdhsa_exception_fp_ieee_div_zero 0
		.amdhsa_exception_fp_ieee_overflow 0
		.amdhsa_exception_fp_ieee_underflow 0
		.amdhsa_exception_fp_ieee_inexact 0
		.amdhsa_exception_int_div_zero 0
	.end_amdhsa_kernel
	.section	.text._ZN7rocprim17ROCPRIM_400000_NS6detail17trampoline_kernelINS0_14default_configENS1_27scan_by_key_config_selectorIiiEEZZNS1_16scan_by_key_implILNS1_25lookback_scan_determinismE0ELb1ES3_N6thrust23THRUST_200600_302600_NS10device_ptrIiEESB_SB_iNS9_4plusIvEENS9_8equal_toIvEEiEE10hipError_tPvRmT2_T3_T4_T5_mT6_T7_P12ihipStream_tbENKUlT_T0_E_clISt17integral_constantIbLb1EESV_IbLb0EEEEDaSR_SS_EUlSR_E_NS1_11comp_targetILNS1_3genE10ELNS1_11target_archE1200ELNS1_3gpuE4ELNS1_3repE0EEENS1_30default_config_static_selectorELNS0_4arch9wavefront6targetE1EEEvT1_,"axG",@progbits,_ZN7rocprim17ROCPRIM_400000_NS6detail17trampoline_kernelINS0_14default_configENS1_27scan_by_key_config_selectorIiiEEZZNS1_16scan_by_key_implILNS1_25lookback_scan_determinismE0ELb1ES3_N6thrust23THRUST_200600_302600_NS10device_ptrIiEESB_SB_iNS9_4plusIvEENS9_8equal_toIvEEiEE10hipError_tPvRmT2_T3_T4_T5_mT6_T7_P12ihipStream_tbENKUlT_T0_E_clISt17integral_constantIbLb1EESV_IbLb0EEEEDaSR_SS_EUlSR_E_NS1_11comp_targetILNS1_3genE10ELNS1_11target_archE1200ELNS1_3gpuE4ELNS1_3repE0EEENS1_30default_config_static_selectorELNS0_4arch9wavefront6targetE1EEEvT1_,comdat
.Lfunc_end2258:
	.size	_ZN7rocprim17ROCPRIM_400000_NS6detail17trampoline_kernelINS0_14default_configENS1_27scan_by_key_config_selectorIiiEEZZNS1_16scan_by_key_implILNS1_25lookback_scan_determinismE0ELb1ES3_N6thrust23THRUST_200600_302600_NS10device_ptrIiEESB_SB_iNS9_4plusIvEENS9_8equal_toIvEEiEE10hipError_tPvRmT2_T3_T4_T5_mT6_T7_P12ihipStream_tbENKUlT_T0_E_clISt17integral_constantIbLb1EESV_IbLb0EEEEDaSR_SS_EUlSR_E_NS1_11comp_targetILNS1_3genE10ELNS1_11target_archE1200ELNS1_3gpuE4ELNS1_3repE0EEENS1_30default_config_static_selectorELNS0_4arch9wavefront6targetE1EEEvT1_, .Lfunc_end2258-_ZN7rocprim17ROCPRIM_400000_NS6detail17trampoline_kernelINS0_14default_configENS1_27scan_by_key_config_selectorIiiEEZZNS1_16scan_by_key_implILNS1_25lookback_scan_determinismE0ELb1ES3_N6thrust23THRUST_200600_302600_NS10device_ptrIiEESB_SB_iNS9_4plusIvEENS9_8equal_toIvEEiEE10hipError_tPvRmT2_T3_T4_T5_mT6_T7_P12ihipStream_tbENKUlT_T0_E_clISt17integral_constantIbLb1EESV_IbLb0EEEEDaSR_SS_EUlSR_E_NS1_11comp_targetILNS1_3genE10ELNS1_11target_archE1200ELNS1_3gpuE4ELNS1_3repE0EEENS1_30default_config_static_selectorELNS0_4arch9wavefront6targetE1EEEvT1_
                                        ; -- End function
	.section	.AMDGPU.csdata,"",@progbits
; Kernel info:
; codeLenInByte = 0
; NumSgprs: 6
; NumVgprs: 0
; NumAgprs: 0
; TotalNumVgprs: 0
; ScratchSize: 0
; MemoryBound: 0
; FloatMode: 240
; IeeeMode: 1
; LDSByteSize: 0 bytes/workgroup (compile time only)
; SGPRBlocks: 0
; VGPRBlocks: 0
; NumSGPRsForWavesPerEU: 6
; NumVGPRsForWavesPerEU: 1
; AccumOffset: 4
; Occupancy: 8
; WaveLimiterHint : 0
; COMPUTE_PGM_RSRC2:SCRATCH_EN: 0
; COMPUTE_PGM_RSRC2:USER_SGPR: 2
; COMPUTE_PGM_RSRC2:TRAP_HANDLER: 0
; COMPUTE_PGM_RSRC2:TGID_X_EN: 1
; COMPUTE_PGM_RSRC2:TGID_Y_EN: 0
; COMPUTE_PGM_RSRC2:TGID_Z_EN: 0
; COMPUTE_PGM_RSRC2:TIDIG_COMP_CNT: 0
; COMPUTE_PGM_RSRC3_GFX90A:ACCUM_OFFSET: 0
; COMPUTE_PGM_RSRC3_GFX90A:TG_SPLIT: 0
	.section	.text._ZN7rocprim17ROCPRIM_400000_NS6detail17trampoline_kernelINS0_14default_configENS1_27scan_by_key_config_selectorIiiEEZZNS1_16scan_by_key_implILNS1_25lookback_scan_determinismE0ELb1ES3_N6thrust23THRUST_200600_302600_NS10device_ptrIiEESB_SB_iNS9_4plusIvEENS9_8equal_toIvEEiEE10hipError_tPvRmT2_T3_T4_T5_mT6_T7_P12ihipStream_tbENKUlT_T0_E_clISt17integral_constantIbLb1EESV_IbLb0EEEEDaSR_SS_EUlSR_E_NS1_11comp_targetILNS1_3genE9ELNS1_11target_archE1100ELNS1_3gpuE3ELNS1_3repE0EEENS1_30default_config_static_selectorELNS0_4arch9wavefront6targetE1EEEvT1_,"axG",@progbits,_ZN7rocprim17ROCPRIM_400000_NS6detail17trampoline_kernelINS0_14default_configENS1_27scan_by_key_config_selectorIiiEEZZNS1_16scan_by_key_implILNS1_25lookback_scan_determinismE0ELb1ES3_N6thrust23THRUST_200600_302600_NS10device_ptrIiEESB_SB_iNS9_4plusIvEENS9_8equal_toIvEEiEE10hipError_tPvRmT2_T3_T4_T5_mT6_T7_P12ihipStream_tbENKUlT_T0_E_clISt17integral_constantIbLb1EESV_IbLb0EEEEDaSR_SS_EUlSR_E_NS1_11comp_targetILNS1_3genE9ELNS1_11target_archE1100ELNS1_3gpuE3ELNS1_3repE0EEENS1_30default_config_static_selectorELNS0_4arch9wavefront6targetE1EEEvT1_,comdat
	.protected	_ZN7rocprim17ROCPRIM_400000_NS6detail17trampoline_kernelINS0_14default_configENS1_27scan_by_key_config_selectorIiiEEZZNS1_16scan_by_key_implILNS1_25lookback_scan_determinismE0ELb1ES3_N6thrust23THRUST_200600_302600_NS10device_ptrIiEESB_SB_iNS9_4plusIvEENS9_8equal_toIvEEiEE10hipError_tPvRmT2_T3_T4_T5_mT6_T7_P12ihipStream_tbENKUlT_T0_E_clISt17integral_constantIbLb1EESV_IbLb0EEEEDaSR_SS_EUlSR_E_NS1_11comp_targetILNS1_3genE9ELNS1_11target_archE1100ELNS1_3gpuE3ELNS1_3repE0EEENS1_30default_config_static_selectorELNS0_4arch9wavefront6targetE1EEEvT1_ ; -- Begin function _ZN7rocprim17ROCPRIM_400000_NS6detail17trampoline_kernelINS0_14default_configENS1_27scan_by_key_config_selectorIiiEEZZNS1_16scan_by_key_implILNS1_25lookback_scan_determinismE0ELb1ES3_N6thrust23THRUST_200600_302600_NS10device_ptrIiEESB_SB_iNS9_4plusIvEENS9_8equal_toIvEEiEE10hipError_tPvRmT2_T3_T4_T5_mT6_T7_P12ihipStream_tbENKUlT_T0_E_clISt17integral_constantIbLb1EESV_IbLb0EEEEDaSR_SS_EUlSR_E_NS1_11comp_targetILNS1_3genE9ELNS1_11target_archE1100ELNS1_3gpuE3ELNS1_3repE0EEENS1_30default_config_static_selectorELNS0_4arch9wavefront6targetE1EEEvT1_
	.globl	_ZN7rocprim17ROCPRIM_400000_NS6detail17trampoline_kernelINS0_14default_configENS1_27scan_by_key_config_selectorIiiEEZZNS1_16scan_by_key_implILNS1_25lookback_scan_determinismE0ELb1ES3_N6thrust23THRUST_200600_302600_NS10device_ptrIiEESB_SB_iNS9_4plusIvEENS9_8equal_toIvEEiEE10hipError_tPvRmT2_T3_T4_T5_mT6_T7_P12ihipStream_tbENKUlT_T0_E_clISt17integral_constantIbLb1EESV_IbLb0EEEEDaSR_SS_EUlSR_E_NS1_11comp_targetILNS1_3genE9ELNS1_11target_archE1100ELNS1_3gpuE3ELNS1_3repE0EEENS1_30default_config_static_selectorELNS0_4arch9wavefront6targetE1EEEvT1_
	.p2align	8
	.type	_ZN7rocprim17ROCPRIM_400000_NS6detail17trampoline_kernelINS0_14default_configENS1_27scan_by_key_config_selectorIiiEEZZNS1_16scan_by_key_implILNS1_25lookback_scan_determinismE0ELb1ES3_N6thrust23THRUST_200600_302600_NS10device_ptrIiEESB_SB_iNS9_4plusIvEENS9_8equal_toIvEEiEE10hipError_tPvRmT2_T3_T4_T5_mT6_T7_P12ihipStream_tbENKUlT_T0_E_clISt17integral_constantIbLb1EESV_IbLb0EEEEDaSR_SS_EUlSR_E_NS1_11comp_targetILNS1_3genE9ELNS1_11target_archE1100ELNS1_3gpuE3ELNS1_3repE0EEENS1_30default_config_static_selectorELNS0_4arch9wavefront6targetE1EEEvT1_,@function
_ZN7rocprim17ROCPRIM_400000_NS6detail17trampoline_kernelINS0_14default_configENS1_27scan_by_key_config_selectorIiiEEZZNS1_16scan_by_key_implILNS1_25lookback_scan_determinismE0ELb1ES3_N6thrust23THRUST_200600_302600_NS10device_ptrIiEESB_SB_iNS9_4plusIvEENS9_8equal_toIvEEiEE10hipError_tPvRmT2_T3_T4_T5_mT6_T7_P12ihipStream_tbENKUlT_T0_E_clISt17integral_constantIbLb1EESV_IbLb0EEEEDaSR_SS_EUlSR_E_NS1_11comp_targetILNS1_3genE9ELNS1_11target_archE1100ELNS1_3gpuE3ELNS1_3repE0EEENS1_30default_config_static_selectorELNS0_4arch9wavefront6targetE1EEEvT1_: ; @_ZN7rocprim17ROCPRIM_400000_NS6detail17trampoline_kernelINS0_14default_configENS1_27scan_by_key_config_selectorIiiEEZZNS1_16scan_by_key_implILNS1_25lookback_scan_determinismE0ELb1ES3_N6thrust23THRUST_200600_302600_NS10device_ptrIiEESB_SB_iNS9_4plusIvEENS9_8equal_toIvEEiEE10hipError_tPvRmT2_T3_T4_T5_mT6_T7_P12ihipStream_tbENKUlT_T0_E_clISt17integral_constantIbLb1EESV_IbLb0EEEEDaSR_SS_EUlSR_E_NS1_11comp_targetILNS1_3genE9ELNS1_11target_archE1100ELNS1_3gpuE3ELNS1_3repE0EEENS1_30default_config_static_selectorELNS0_4arch9wavefront6targetE1EEEvT1_
; %bb.0:
	.section	.rodata,"a",@progbits
	.p2align	6, 0x0
	.amdhsa_kernel _ZN7rocprim17ROCPRIM_400000_NS6detail17trampoline_kernelINS0_14default_configENS1_27scan_by_key_config_selectorIiiEEZZNS1_16scan_by_key_implILNS1_25lookback_scan_determinismE0ELb1ES3_N6thrust23THRUST_200600_302600_NS10device_ptrIiEESB_SB_iNS9_4plusIvEENS9_8equal_toIvEEiEE10hipError_tPvRmT2_T3_T4_T5_mT6_T7_P12ihipStream_tbENKUlT_T0_E_clISt17integral_constantIbLb1EESV_IbLb0EEEEDaSR_SS_EUlSR_E_NS1_11comp_targetILNS1_3genE9ELNS1_11target_archE1100ELNS1_3gpuE3ELNS1_3repE0EEENS1_30default_config_static_selectorELNS0_4arch9wavefront6targetE1EEEvT1_
		.amdhsa_group_segment_fixed_size 0
		.amdhsa_private_segment_fixed_size 0
		.amdhsa_kernarg_size 112
		.amdhsa_user_sgpr_count 2
		.amdhsa_user_sgpr_dispatch_ptr 0
		.amdhsa_user_sgpr_queue_ptr 0
		.amdhsa_user_sgpr_kernarg_segment_ptr 1
		.amdhsa_user_sgpr_dispatch_id 0
		.amdhsa_user_sgpr_kernarg_preload_length 0
		.amdhsa_user_sgpr_kernarg_preload_offset 0
		.amdhsa_user_sgpr_private_segment_size 0
		.amdhsa_uses_dynamic_stack 0
		.amdhsa_enable_private_segment 0
		.amdhsa_system_sgpr_workgroup_id_x 1
		.amdhsa_system_sgpr_workgroup_id_y 0
		.amdhsa_system_sgpr_workgroup_id_z 0
		.amdhsa_system_sgpr_workgroup_info 0
		.amdhsa_system_vgpr_workitem_id 0
		.amdhsa_next_free_vgpr 1
		.amdhsa_next_free_sgpr 0
		.amdhsa_accum_offset 4
		.amdhsa_reserve_vcc 0
		.amdhsa_float_round_mode_32 0
		.amdhsa_float_round_mode_16_64 0
		.amdhsa_float_denorm_mode_32 3
		.amdhsa_float_denorm_mode_16_64 3
		.amdhsa_dx10_clamp 1
		.amdhsa_ieee_mode 1
		.amdhsa_fp16_overflow 0
		.amdhsa_tg_split 0
		.amdhsa_exception_fp_ieee_invalid_op 0
		.amdhsa_exception_fp_denorm_src 0
		.amdhsa_exception_fp_ieee_div_zero 0
		.amdhsa_exception_fp_ieee_overflow 0
		.amdhsa_exception_fp_ieee_underflow 0
		.amdhsa_exception_fp_ieee_inexact 0
		.amdhsa_exception_int_div_zero 0
	.end_amdhsa_kernel
	.section	.text._ZN7rocprim17ROCPRIM_400000_NS6detail17trampoline_kernelINS0_14default_configENS1_27scan_by_key_config_selectorIiiEEZZNS1_16scan_by_key_implILNS1_25lookback_scan_determinismE0ELb1ES3_N6thrust23THRUST_200600_302600_NS10device_ptrIiEESB_SB_iNS9_4plusIvEENS9_8equal_toIvEEiEE10hipError_tPvRmT2_T3_T4_T5_mT6_T7_P12ihipStream_tbENKUlT_T0_E_clISt17integral_constantIbLb1EESV_IbLb0EEEEDaSR_SS_EUlSR_E_NS1_11comp_targetILNS1_3genE9ELNS1_11target_archE1100ELNS1_3gpuE3ELNS1_3repE0EEENS1_30default_config_static_selectorELNS0_4arch9wavefront6targetE1EEEvT1_,"axG",@progbits,_ZN7rocprim17ROCPRIM_400000_NS6detail17trampoline_kernelINS0_14default_configENS1_27scan_by_key_config_selectorIiiEEZZNS1_16scan_by_key_implILNS1_25lookback_scan_determinismE0ELb1ES3_N6thrust23THRUST_200600_302600_NS10device_ptrIiEESB_SB_iNS9_4plusIvEENS9_8equal_toIvEEiEE10hipError_tPvRmT2_T3_T4_T5_mT6_T7_P12ihipStream_tbENKUlT_T0_E_clISt17integral_constantIbLb1EESV_IbLb0EEEEDaSR_SS_EUlSR_E_NS1_11comp_targetILNS1_3genE9ELNS1_11target_archE1100ELNS1_3gpuE3ELNS1_3repE0EEENS1_30default_config_static_selectorELNS0_4arch9wavefront6targetE1EEEvT1_,comdat
.Lfunc_end2259:
	.size	_ZN7rocprim17ROCPRIM_400000_NS6detail17trampoline_kernelINS0_14default_configENS1_27scan_by_key_config_selectorIiiEEZZNS1_16scan_by_key_implILNS1_25lookback_scan_determinismE0ELb1ES3_N6thrust23THRUST_200600_302600_NS10device_ptrIiEESB_SB_iNS9_4plusIvEENS9_8equal_toIvEEiEE10hipError_tPvRmT2_T3_T4_T5_mT6_T7_P12ihipStream_tbENKUlT_T0_E_clISt17integral_constantIbLb1EESV_IbLb0EEEEDaSR_SS_EUlSR_E_NS1_11comp_targetILNS1_3genE9ELNS1_11target_archE1100ELNS1_3gpuE3ELNS1_3repE0EEENS1_30default_config_static_selectorELNS0_4arch9wavefront6targetE1EEEvT1_, .Lfunc_end2259-_ZN7rocprim17ROCPRIM_400000_NS6detail17trampoline_kernelINS0_14default_configENS1_27scan_by_key_config_selectorIiiEEZZNS1_16scan_by_key_implILNS1_25lookback_scan_determinismE0ELb1ES3_N6thrust23THRUST_200600_302600_NS10device_ptrIiEESB_SB_iNS9_4plusIvEENS9_8equal_toIvEEiEE10hipError_tPvRmT2_T3_T4_T5_mT6_T7_P12ihipStream_tbENKUlT_T0_E_clISt17integral_constantIbLb1EESV_IbLb0EEEEDaSR_SS_EUlSR_E_NS1_11comp_targetILNS1_3genE9ELNS1_11target_archE1100ELNS1_3gpuE3ELNS1_3repE0EEENS1_30default_config_static_selectorELNS0_4arch9wavefront6targetE1EEEvT1_
                                        ; -- End function
	.section	.AMDGPU.csdata,"",@progbits
; Kernel info:
; codeLenInByte = 0
; NumSgprs: 6
; NumVgprs: 0
; NumAgprs: 0
; TotalNumVgprs: 0
; ScratchSize: 0
; MemoryBound: 0
; FloatMode: 240
; IeeeMode: 1
; LDSByteSize: 0 bytes/workgroup (compile time only)
; SGPRBlocks: 0
; VGPRBlocks: 0
; NumSGPRsForWavesPerEU: 6
; NumVGPRsForWavesPerEU: 1
; AccumOffset: 4
; Occupancy: 8
; WaveLimiterHint : 0
; COMPUTE_PGM_RSRC2:SCRATCH_EN: 0
; COMPUTE_PGM_RSRC2:USER_SGPR: 2
; COMPUTE_PGM_RSRC2:TRAP_HANDLER: 0
; COMPUTE_PGM_RSRC2:TGID_X_EN: 1
; COMPUTE_PGM_RSRC2:TGID_Y_EN: 0
; COMPUTE_PGM_RSRC2:TGID_Z_EN: 0
; COMPUTE_PGM_RSRC2:TIDIG_COMP_CNT: 0
; COMPUTE_PGM_RSRC3_GFX90A:ACCUM_OFFSET: 0
; COMPUTE_PGM_RSRC3_GFX90A:TG_SPLIT: 0
	.section	.text._ZN7rocprim17ROCPRIM_400000_NS6detail17trampoline_kernelINS0_14default_configENS1_27scan_by_key_config_selectorIiiEEZZNS1_16scan_by_key_implILNS1_25lookback_scan_determinismE0ELb1ES3_N6thrust23THRUST_200600_302600_NS10device_ptrIiEESB_SB_iNS9_4plusIvEENS9_8equal_toIvEEiEE10hipError_tPvRmT2_T3_T4_T5_mT6_T7_P12ihipStream_tbENKUlT_T0_E_clISt17integral_constantIbLb1EESV_IbLb0EEEEDaSR_SS_EUlSR_E_NS1_11comp_targetILNS1_3genE8ELNS1_11target_archE1030ELNS1_3gpuE2ELNS1_3repE0EEENS1_30default_config_static_selectorELNS0_4arch9wavefront6targetE1EEEvT1_,"axG",@progbits,_ZN7rocprim17ROCPRIM_400000_NS6detail17trampoline_kernelINS0_14default_configENS1_27scan_by_key_config_selectorIiiEEZZNS1_16scan_by_key_implILNS1_25lookback_scan_determinismE0ELb1ES3_N6thrust23THRUST_200600_302600_NS10device_ptrIiEESB_SB_iNS9_4plusIvEENS9_8equal_toIvEEiEE10hipError_tPvRmT2_T3_T4_T5_mT6_T7_P12ihipStream_tbENKUlT_T0_E_clISt17integral_constantIbLb1EESV_IbLb0EEEEDaSR_SS_EUlSR_E_NS1_11comp_targetILNS1_3genE8ELNS1_11target_archE1030ELNS1_3gpuE2ELNS1_3repE0EEENS1_30default_config_static_selectorELNS0_4arch9wavefront6targetE1EEEvT1_,comdat
	.protected	_ZN7rocprim17ROCPRIM_400000_NS6detail17trampoline_kernelINS0_14default_configENS1_27scan_by_key_config_selectorIiiEEZZNS1_16scan_by_key_implILNS1_25lookback_scan_determinismE0ELb1ES3_N6thrust23THRUST_200600_302600_NS10device_ptrIiEESB_SB_iNS9_4plusIvEENS9_8equal_toIvEEiEE10hipError_tPvRmT2_T3_T4_T5_mT6_T7_P12ihipStream_tbENKUlT_T0_E_clISt17integral_constantIbLb1EESV_IbLb0EEEEDaSR_SS_EUlSR_E_NS1_11comp_targetILNS1_3genE8ELNS1_11target_archE1030ELNS1_3gpuE2ELNS1_3repE0EEENS1_30default_config_static_selectorELNS0_4arch9wavefront6targetE1EEEvT1_ ; -- Begin function _ZN7rocprim17ROCPRIM_400000_NS6detail17trampoline_kernelINS0_14default_configENS1_27scan_by_key_config_selectorIiiEEZZNS1_16scan_by_key_implILNS1_25lookback_scan_determinismE0ELb1ES3_N6thrust23THRUST_200600_302600_NS10device_ptrIiEESB_SB_iNS9_4plusIvEENS9_8equal_toIvEEiEE10hipError_tPvRmT2_T3_T4_T5_mT6_T7_P12ihipStream_tbENKUlT_T0_E_clISt17integral_constantIbLb1EESV_IbLb0EEEEDaSR_SS_EUlSR_E_NS1_11comp_targetILNS1_3genE8ELNS1_11target_archE1030ELNS1_3gpuE2ELNS1_3repE0EEENS1_30default_config_static_selectorELNS0_4arch9wavefront6targetE1EEEvT1_
	.globl	_ZN7rocprim17ROCPRIM_400000_NS6detail17trampoline_kernelINS0_14default_configENS1_27scan_by_key_config_selectorIiiEEZZNS1_16scan_by_key_implILNS1_25lookback_scan_determinismE0ELb1ES3_N6thrust23THRUST_200600_302600_NS10device_ptrIiEESB_SB_iNS9_4plusIvEENS9_8equal_toIvEEiEE10hipError_tPvRmT2_T3_T4_T5_mT6_T7_P12ihipStream_tbENKUlT_T0_E_clISt17integral_constantIbLb1EESV_IbLb0EEEEDaSR_SS_EUlSR_E_NS1_11comp_targetILNS1_3genE8ELNS1_11target_archE1030ELNS1_3gpuE2ELNS1_3repE0EEENS1_30default_config_static_selectorELNS0_4arch9wavefront6targetE1EEEvT1_
	.p2align	8
	.type	_ZN7rocprim17ROCPRIM_400000_NS6detail17trampoline_kernelINS0_14default_configENS1_27scan_by_key_config_selectorIiiEEZZNS1_16scan_by_key_implILNS1_25lookback_scan_determinismE0ELb1ES3_N6thrust23THRUST_200600_302600_NS10device_ptrIiEESB_SB_iNS9_4plusIvEENS9_8equal_toIvEEiEE10hipError_tPvRmT2_T3_T4_T5_mT6_T7_P12ihipStream_tbENKUlT_T0_E_clISt17integral_constantIbLb1EESV_IbLb0EEEEDaSR_SS_EUlSR_E_NS1_11comp_targetILNS1_3genE8ELNS1_11target_archE1030ELNS1_3gpuE2ELNS1_3repE0EEENS1_30default_config_static_selectorELNS0_4arch9wavefront6targetE1EEEvT1_,@function
_ZN7rocprim17ROCPRIM_400000_NS6detail17trampoline_kernelINS0_14default_configENS1_27scan_by_key_config_selectorIiiEEZZNS1_16scan_by_key_implILNS1_25lookback_scan_determinismE0ELb1ES3_N6thrust23THRUST_200600_302600_NS10device_ptrIiEESB_SB_iNS9_4plusIvEENS9_8equal_toIvEEiEE10hipError_tPvRmT2_T3_T4_T5_mT6_T7_P12ihipStream_tbENKUlT_T0_E_clISt17integral_constantIbLb1EESV_IbLb0EEEEDaSR_SS_EUlSR_E_NS1_11comp_targetILNS1_3genE8ELNS1_11target_archE1030ELNS1_3gpuE2ELNS1_3repE0EEENS1_30default_config_static_selectorELNS0_4arch9wavefront6targetE1EEEvT1_: ; @_ZN7rocprim17ROCPRIM_400000_NS6detail17trampoline_kernelINS0_14default_configENS1_27scan_by_key_config_selectorIiiEEZZNS1_16scan_by_key_implILNS1_25lookback_scan_determinismE0ELb1ES3_N6thrust23THRUST_200600_302600_NS10device_ptrIiEESB_SB_iNS9_4plusIvEENS9_8equal_toIvEEiEE10hipError_tPvRmT2_T3_T4_T5_mT6_T7_P12ihipStream_tbENKUlT_T0_E_clISt17integral_constantIbLb1EESV_IbLb0EEEEDaSR_SS_EUlSR_E_NS1_11comp_targetILNS1_3genE8ELNS1_11target_archE1030ELNS1_3gpuE2ELNS1_3repE0EEENS1_30default_config_static_selectorELNS0_4arch9wavefront6targetE1EEEvT1_
; %bb.0:
	.section	.rodata,"a",@progbits
	.p2align	6, 0x0
	.amdhsa_kernel _ZN7rocprim17ROCPRIM_400000_NS6detail17trampoline_kernelINS0_14default_configENS1_27scan_by_key_config_selectorIiiEEZZNS1_16scan_by_key_implILNS1_25lookback_scan_determinismE0ELb1ES3_N6thrust23THRUST_200600_302600_NS10device_ptrIiEESB_SB_iNS9_4plusIvEENS9_8equal_toIvEEiEE10hipError_tPvRmT2_T3_T4_T5_mT6_T7_P12ihipStream_tbENKUlT_T0_E_clISt17integral_constantIbLb1EESV_IbLb0EEEEDaSR_SS_EUlSR_E_NS1_11comp_targetILNS1_3genE8ELNS1_11target_archE1030ELNS1_3gpuE2ELNS1_3repE0EEENS1_30default_config_static_selectorELNS0_4arch9wavefront6targetE1EEEvT1_
		.amdhsa_group_segment_fixed_size 0
		.amdhsa_private_segment_fixed_size 0
		.amdhsa_kernarg_size 112
		.amdhsa_user_sgpr_count 2
		.amdhsa_user_sgpr_dispatch_ptr 0
		.amdhsa_user_sgpr_queue_ptr 0
		.amdhsa_user_sgpr_kernarg_segment_ptr 1
		.amdhsa_user_sgpr_dispatch_id 0
		.amdhsa_user_sgpr_kernarg_preload_length 0
		.amdhsa_user_sgpr_kernarg_preload_offset 0
		.amdhsa_user_sgpr_private_segment_size 0
		.amdhsa_uses_dynamic_stack 0
		.amdhsa_enable_private_segment 0
		.amdhsa_system_sgpr_workgroup_id_x 1
		.amdhsa_system_sgpr_workgroup_id_y 0
		.amdhsa_system_sgpr_workgroup_id_z 0
		.amdhsa_system_sgpr_workgroup_info 0
		.amdhsa_system_vgpr_workitem_id 0
		.amdhsa_next_free_vgpr 1
		.amdhsa_next_free_sgpr 0
		.amdhsa_accum_offset 4
		.amdhsa_reserve_vcc 0
		.amdhsa_float_round_mode_32 0
		.amdhsa_float_round_mode_16_64 0
		.amdhsa_float_denorm_mode_32 3
		.amdhsa_float_denorm_mode_16_64 3
		.amdhsa_dx10_clamp 1
		.amdhsa_ieee_mode 1
		.amdhsa_fp16_overflow 0
		.amdhsa_tg_split 0
		.amdhsa_exception_fp_ieee_invalid_op 0
		.amdhsa_exception_fp_denorm_src 0
		.amdhsa_exception_fp_ieee_div_zero 0
		.amdhsa_exception_fp_ieee_overflow 0
		.amdhsa_exception_fp_ieee_underflow 0
		.amdhsa_exception_fp_ieee_inexact 0
		.amdhsa_exception_int_div_zero 0
	.end_amdhsa_kernel
	.section	.text._ZN7rocprim17ROCPRIM_400000_NS6detail17trampoline_kernelINS0_14default_configENS1_27scan_by_key_config_selectorIiiEEZZNS1_16scan_by_key_implILNS1_25lookback_scan_determinismE0ELb1ES3_N6thrust23THRUST_200600_302600_NS10device_ptrIiEESB_SB_iNS9_4plusIvEENS9_8equal_toIvEEiEE10hipError_tPvRmT2_T3_T4_T5_mT6_T7_P12ihipStream_tbENKUlT_T0_E_clISt17integral_constantIbLb1EESV_IbLb0EEEEDaSR_SS_EUlSR_E_NS1_11comp_targetILNS1_3genE8ELNS1_11target_archE1030ELNS1_3gpuE2ELNS1_3repE0EEENS1_30default_config_static_selectorELNS0_4arch9wavefront6targetE1EEEvT1_,"axG",@progbits,_ZN7rocprim17ROCPRIM_400000_NS6detail17trampoline_kernelINS0_14default_configENS1_27scan_by_key_config_selectorIiiEEZZNS1_16scan_by_key_implILNS1_25lookback_scan_determinismE0ELb1ES3_N6thrust23THRUST_200600_302600_NS10device_ptrIiEESB_SB_iNS9_4plusIvEENS9_8equal_toIvEEiEE10hipError_tPvRmT2_T3_T4_T5_mT6_T7_P12ihipStream_tbENKUlT_T0_E_clISt17integral_constantIbLb1EESV_IbLb0EEEEDaSR_SS_EUlSR_E_NS1_11comp_targetILNS1_3genE8ELNS1_11target_archE1030ELNS1_3gpuE2ELNS1_3repE0EEENS1_30default_config_static_selectorELNS0_4arch9wavefront6targetE1EEEvT1_,comdat
.Lfunc_end2260:
	.size	_ZN7rocprim17ROCPRIM_400000_NS6detail17trampoline_kernelINS0_14default_configENS1_27scan_by_key_config_selectorIiiEEZZNS1_16scan_by_key_implILNS1_25lookback_scan_determinismE0ELb1ES3_N6thrust23THRUST_200600_302600_NS10device_ptrIiEESB_SB_iNS9_4plusIvEENS9_8equal_toIvEEiEE10hipError_tPvRmT2_T3_T4_T5_mT6_T7_P12ihipStream_tbENKUlT_T0_E_clISt17integral_constantIbLb1EESV_IbLb0EEEEDaSR_SS_EUlSR_E_NS1_11comp_targetILNS1_3genE8ELNS1_11target_archE1030ELNS1_3gpuE2ELNS1_3repE0EEENS1_30default_config_static_selectorELNS0_4arch9wavefront6targetE1EEEvT1_, .Lfunc_end2260-_ZN7rocprim17ROCPRIM_400000_NS6detail17trampoline_kernelINS0_14default_configENS1_27scan_by_key_config_selectorIiiEEZZNS1_16scan_by_key_implILNS1_25lookback_scan_determinismE0ELb1ES3_N6thrust23THRUST_200600_302600_NS10device_ptrIiEESB_SB_iNS9_4plusIvEENS9_8equal_toIvEEiEE10hipError_tPvRmT2_T3_T4_T5_mT6_T7_P12ihipStream_tbENKUlT_T0_E_clISt17integral_constantIbLb1EESV_IbLb0EEEEDaSR_SS_EUlSR_E_NS1_11comp_targetILNS1_3genE8ELNS1_11target_archE1030ELNS1_3gpuE2ELNS1_3repE0EEENS1_30default_config_static_selectorELNS0_4arch9wavefront6targetE1EEEvT1_
                                        ; -- End function
	.section	.AMDGPU.csdata,"",@progbits
; Kernel info:
; codeLenInByte = 0
; NumSgprs: 6
; NumVgprs: 0
; NumAgprs: 0
; TotalNumVgprs: 0
; ScratchSize: 0
; MemoryBound: 0
; FloatMode: 240
; IeeeMode: 1
; LDSByteSize: 0 bytes/workgroup (compile time only)
; SGPRBlocks: 0
; VGPRBlocks: 0
; NumSGPRsForWavesPerEU: 6
; NumVGPRsForWavesPerEU: 1
; AccumOffset: 4
; Occupancy: 8
; WaveLimiterHint : 0
; COMPUTE_PGM_RSRC2:SCRATCH_EN: 0
; COMPUTE_PGM_RSRC2:USER_SGPR: 2
; COMPUTE_PGM_RSRC2:TRAP_HANDLER: 0
; COMPUTE_PGM_RSRC2:TGID_X_EN: 1
; COMPUTE_PGM_RSRC2:TGID_Y_EN: 0
; COMPUTE_PGM_RSRC2:TGID_Z_EN: 0
; COMPUTE_PGM_RSRC2:TIDIG_COMP_CNT: 0
; COMPUTE_PGM_RSRC3_GFX90A:ACCUM_OFFSET: 0
; COMPUTE_PGM_RSRC3_GFX90A:TG_SPLIT: 0
	.section	.text._ZN7rocprim17ROCPRIM_400000_NS6detail17trampoline_kernelINS0_14default_configENS1_27scan_by_key_config_selectorIiiEEZZNS1_16scan_by_key_implILNS1_25lookback_scan_determinismE0ELb1ES3_N6thrust23THRUST_200600_302600_NS10device_ptrIiEESB_SB_iNS9_4plusIvEENS9_8equal_toIvEEiEE10hipError_tPvRmT2_T3_T4_T5_mT6_T7_P12ihipStream_tbENKUlT_T0_E_clISt17integral_constantIbLb0EESV_IbLb1EEEEDaSR_SS_EUlSR_E_NS1_11comp_targetILNS1_3genE0ELNS1_11target_archE4294967295ELNS1_3gpuE0ELNS1_3repE0EEENS1_30default_config_static_selectorELNS0_4arch9wavefront6targetE1EEEvT1_,"axG",@progbits,_ZN7rocprim17ROCPRIM_400000_NS6detail17trampoline_kernelINS0_14default_configENS1_27scan_by_key_config_selectorIiiEEZZNS1_16scan_by_key_implILNS1_25lookback_scan_determinismE0ELb1ES3_N6thrust23THRUST_200600_302600_NS10device_ptrIiEESB_SB_iNS9_4plusIvEENS9_8equal_toIvEEiEE10hipError_tPvRmT2_T3_T4_T5_mT6_T7_P12ihipStream_tbENKUlT_T0_E_clISt17integral_constantIbLb0EESV_IbLb1EEEEDaSR_SS_EUlSR_E_NS1_11comp_targetILNS1_3genE0ELNS1_11target_archE4294967295ELNS1_3gpuE0ELNS1_3repE0EEENS1_30default_config_static_selectorELNS0_4arch9wavefront6targetE1EEEvT1_,comdat
	.protected	_ZN7rocprim17ROCPRIM_400000_NS6detail17trampoline_kernelINS0_14default_configENS1_27scan_by_key_config_selectorIiiEEZZNS1_16scan_by_key_implILNS1_25lookback_scan_determinismE0ELb1ES3_N6thrust23THRUST_200600_302600_NS10device_ptrIiEESB_SB_iNS9_4plusIvEENS9_8equal_toIvEEiEE10hipError_tPvRmT2_T3_T4_T5_mT6_T7_P12ihipStream_tbENKUlT_T0_E_clISt17integral_constantIbLb0EESV_IbLb1EEEEDaSR_SS_EUlSR_E_NS1_11comp_targetILNS1_3genE0ELNS1_11target_archE4294967295ELNS1_3gpuE0ELNS1_3repE0EEENS1_30default_config_static_selectorELNS0_4arch9wavefront6targetE1EEEvT1_ ; -- Begin function _ZN7rocprim17ROCPRIM_400000_NS6detail17trampoline_kernelINS0_14default_configENS1_27scan_by_key_config_selectorIiiEEZZNS1_16scan_by_key_implILNS1_25lookback_scan_determinismE0ELb1ES3_N6thrust23THRUST_200600_302600_NS10device_ptrIiEESB_SB_iNS9_4plusIvEENS9_8equal_toIvEEiEE10hipError_tPvRmT2_T3_T4_T5_mT6_T7_P12ihipStream_tbENKUlT_T0_E_clISt17integral_constantIbLb0EESV_IbLb1EEEEDaSR_SS_EUlSR_E_NS1_11comp_targetILNS1_3genE0ELNS1_11target_archE4294967295ELNS1_3gpuE0ELNS1_3repE0EEENS1_30default_config_static_selectorELNS0_4arch9wavefront6targetE1EEEvT1_
	.globl	_ZN7rocprim17ROCPRIM_400000_NS6detail17trampoline_kernelINS0_14default_configENS1_27scan_by_key_config_selectorIiiEEZZNS1_16scan_by_key_implILNS1_25lookback_scan_determinismE0ELb1ES3_N6thrust23THRUST_200600_302600_NS10device_ptrIiEESB_SB_iNS9_4plusIvEENS9_8equal_toIvEEiEE10hipError_tPvRmT2_T3_T4_T5_mT6_T7_P12ihipStream_tbENKUlT_T0_E_clISt17integral_constantIbLb0EESV_IbLb1EEEEDaSR_SS_EUlSR_E_NS1_11comp_targetILNS1_3genE0ELNS1_11target_archE4294967295ELNS1_3gpuE0ELNS1_3repE0EEENS1_30default_config_static_selectorELNS0_4arch9wavefront6targetE1EEEvT1_
	.p2align	8
	.type	_ZN7rocprim17ROCPRIM_400000_NS6detail17trampoline_kernelINS0_14default_configENS1_27scan_by_key_config_selectorIiiEEZZNS1_16scan_by_key_implILNS1_25lookback_scan_determinismE0ELb1ES3_N6thrust23THRUST_200600_302600_NS10device_ptrIiEESB_SB_iNS9_4plusIvEENS9_8equal_toIvEEiEE10hipError_tPvRmT2_T3_T4_T5_mT6_T7_P12ihipStream_tbENKUlT_T0_E_clISt17integral_constantIbLb0EESV_IbLb1EEEEDaSR_SS_EUlSR_E_NS1_11comp_targetILNS1_3genE0ELNS1_11target_archE4294967295ELNS1_3gpuE0ELNS1_3repE0EEENS1_30default_config_static_selectorELNS0_4arch9wavefront6targetE1EEEvT1_,@function
_ZN7rocprim17ROCPRIM_400000_NS6detail17trampoline_kernelINS0_14default_configENS1_27scan_by_key_config_selectorIiiEEZZNS1_16scan_by_key_implILNS1_25lookback_scan_determinismE0ELb1ES3_N6thrust23THRUST_200600_302600_NS10device_ptrIiEESB_SB_iNS9_4plusIvEENS9_8equal_toIvEEiEE10hipError_tPvRmT2_T3_T4_T5_mT6_T7_P12ihipStream_tbENKUlT_T0_E_clISt17integral_constantIbLb0EESV_IbLb1EEEEDaSR_SS_EUlSR_E_NS1_11comp_targetILNS1_3genE0ELNS1_11target_archE4294967295ELNS1_3gpuE0ELNS1_3repE0EEENS1_30default_config_static_selectorELNS0_4arch9wavefront6targetE1EEEvT1_: ; @_ZN7rocprim17ROCPRIM_400000_NS6detail17trampoline_kernelINS0_14default_configENS1_27scan_by_key_config_selectorIiiEEZZNS1_16scan_by_key_implILNS1_25lookback_scan_determinismE0ELb1ES3_N6thrust23THRUST_200600_302600_NS10device_ptrIiEESB_SB_iNS9_4plusIvEENS9_8equal_toIvEEiEE10hipError_tPvRmT2_T3_T4_T5_mT6_T7_P12ihipStream_tbENKUlT_T0_E_clISt17integral_constantIbLb0EESV_IbLb1EEEEDaSR_SS_EUlSR_E_NS1_11comp_targetILNS1_3genE0ELNS1_11target_archE4294967295ELNS1_3gpuE0ELNS1_3repE0EEENS1_30default_config_static_selectorELNS0_4arch9wavefront6targetE1EEEvT1_
; %bb.0:
	.section	.rodata,"a",@progbits
	.p2align	6, 0x0
	.amdhsa_kernel _ZN7rocprim17ROCPRIM_400000_NS6detail17trampoline_kernelINS0_14default_configENS1_27scan_by_key_config_selectorIiiEEZZNS1_16scan_by_key_implILNS1_25lookback_scan_determinismE0ELb1ES3_N6thrust23THRUST_200600_302600_NS10device_ptrIiEESB_SB_iNS9_4plusIvEENS9_8equal_toIvEEiEE10hipError_tPvRmT2_T3_T4_T5_mT6_T7_P12ihipStream_tbENKUlT_T0_E_clISt17integral_constantIbLb0EESV_IbLb1EEEEDaSR_SS_EUlSR_E_NS1_11comp_targetILNS1_3genE0ELNS1_11target_archE4294967295ELNS1_3gpuE0ELNS1_3repE0EEENS1_30default_config_static_selectorELNS0_4arch9wavefront6targetE1EEEvT1_
		.amdhsa_group_segment_fixed_size 0
		.amdhsa_private_segment_fixed_size 0
		.amdhsa_kernarg_size 112
		.amdhsa_user_sgpr_count 2
		.amdhsa_user_sgpr_dispatch_ptr 0
		.amdhsa_user_sgpr_queue_ptr 0
		.amdhsa_user_sgpr_kernarg_segment_ptr 1
		.amdhsa_user_sgpr_dispatch_id 0
		.amdhsa_user_sgpr_kernarg_preload_length 0
		.amdhsa_user_sgpr_kernarg_preload_offset 0
		.amdhsa_user_sgpr_private_segment_size 0
		.amdhsa_uses_dynamic_stack 0
		.amdhsa_enable_private_segment 0
		.amdhsa_system_sgpr_workgroup_id_x 1
		.amdhsa_system_sgpr_workgroup_id_y 0
		.amdhsa_system_sgpr_workgroup_id_z 0
		.amdhsa_system_sgpr_workgroup_info 0
		.amdhsa_system_vgpr_workitem_id 0
		.amdhsa_next_free_vgpr 1
		.amdhsa_next_free_sgpr 0
		.amdhsa_accum_offset 4
		.amdhsa_reserve_vcc 0
		.amdhsa_float_round_mode_32 0
		.amdhsa_float_round_mode_16_64 0
		.amdhsa_float_denorm_mode_32 3
		.amdhsa_float_denorm_mode_16_64 3
		.amdhsa_dx10_clamp 1
		.amdhsa_ieee_mode 1
		.amdhsa_fp16_overflow 0
		.amdhsa_tg_split 0
		.amdhsa_exception_fp_ieee_invalid_op 0
		.amdhsa_exception_fp_denorm_src 0
		.amdhsa_exception_fp_ieee_div_zero 0
		.amdhsa_exception_fp_ieee_overflow 0
		.amdhsa_exception_fp_ieee_underflow 0
		.amdhsa_exception_fp_ieee_inexact 0
		.amdhsa_exception_int_div_zero 0
	.end_amdhsa_kernel
	.section	.text._ZN7rocprim17ROCPRIM_400000_NS6detail17trampoline_kernelINS0_14default_configENS1_27scan_by_key_config_selectorIiiEEZZNS1_16scan_by_key_implILNS1_25lookback_scan_determinismE0ELb1ES3_N6thrust23THRUST_200600_302600_NS10device_ptrIiEESB_SB_iNS9_4plusIvEENS9_8equal_toIvEEiEE10hipError_tPvRmT2_T3_T4_T5_mT6_T7_P12ihipStream_tbENKUlT_T0_E_clISt17integral_constantIbLb0EESV_IbLb1EEEEDaSR_SS_EUlSR_E_NS1_11comp_targetILNS1_3genE0ELNS1_11target_archE4294967295ELNS1_3gpuE0ELNS1_3repE0EEENS1_30default_config_static_selectorELNS0_4arch9wavefront6targetE1EEEvT1_,"axG",@progbits,_ZN7rocprim17ROCPRIM_400000_NS6detail17trampoline_kernelINS0_14default_configENS1_27scan_by_key_config_selectorIiiEEZZNS1_16scan_by_key_implILNS1_25lookback_scan_determinismE0ELb1ES3_N6thrust23THRUST_200600_302600_NS10device_ptrIiEESB_SB_iNS9_4plusIvEENS9_8equal_toIvEEiEE10hipError_tPvRmT2_T3_T4_T5_mT6_T7_P12ihipStream_tbENKUlT_T0_E_clISt17integral_constantIbLb0EESV_IbLb1EEEEDaSR_SS_EUlSR_E_NS1_11comp_targetILNS1_3genE0ELNS1_11target_archE4294967295ELNS1_3gpuE0ELNS1_3repE0EEENS1_30default_config_static_selectorELNS0_4arch9wavefront6targetE1EEEvT1_,comdat
.Lfunc_end2261:
	.size	_ZN7rocprim17ROCPRIM_400000_NS6detail17trampoline_kernelINS0_14default_configENS1_27scan_by_key_config_selectorIiiEEZZNS1_16scan_by_key_implILNS1_25lookback_scan_determinismE0ELb1ES3_N6thrust23THRUST_200600_302600_NS10device_ptrIiEESB_SB_iNS9_4plusIvEENS9_8equal_toIvEEiEE10hipError_tPvRmT2_T3_T4_T5_mT6_T7_P12ihipStream_tbENKUlT_T0_E_clISt17integral_constantIbLb0EESV_IbLb1EEEEDaSR_SS_EUlSR_E_NS1_11comp_targetILNS1_3genE0ELNS1_11target_archE4294967295ELNS1_3gpuE0ELNS1_3repE0EEENS1_30default_config_static_selectorELNS0_4arch9wavefront6targetE1EEEvT1_, .Lfunc_end2261-_ZN7rocprim17ROCPRIM_400000_NS6detail17trampoline_kernelINS0_14default_configENS1_27scan_by_key_config_selectorIiiEEZZNS1_16scan_by_key_implILNS1_25lookback_scan_determinismE0ELb1ES3_N6thrust23THRUST_200600_302600_NS10device_ptrIiEESB_SB_iNS9_4plusIvEENS9_8equal_toIvEEiEE10hipError_tPvRmT2_T3_T4_T5_mT6_T7_P12ihipStream_tbENKUlT_T0_E_clISt17integral_constantIbLb0EESV_IbLb1EEEEDaSR_SS_EUlSR_E_NS1_11comp_targetILNS1_3genE0ELNS1_11target_archE4294967295ELNS1_3gpuE0ELNS1_3repE0EEENS1_30default_config_static_selectorELNS0_4arch9wavefront6targetE1EEEvT1_
                                        ; -- End function
	.section	.AMDGPU.csdata,"",@progbits
; Kernel info:
; codeLenInByte = 0
; NumSgprs: 6
; NumVgprs: 0
; NumAgprs: 0
; TotalNumVgprs: 0
; ScratchSize: 0
; MemoryBound: 0
; FloatMode: 240
; IeeeMode: 1
; LDSByteSize: 0 bytes/workgroup (compile time only)
; SGPRBlocks: 0
; VGPRBlocks: 0
; NumSGPRsForWavesPerEU: 6
; NumVGPRsForWavesPerEU: 1
; AccumOffset: 4
; Occupancy: 8
; WaveLimiterHint : 0
; COMPUTE_PGM_RSRC2:SCRATCH_EN: 0
; COMPUTE_PGM_RSRC2:USER_SGPR: 2
; COMPUTE_PGM_RSRC2:TRAP_HANDLER: 0
; COMPUTE_PGM_RSRC2:TGID_X_EN: 1
; COMPUTE_PGM_RSRC2:TGID_Y_EN: 0
; COMPUTE_PGM_RSRC2:TGID_Z_EN: 0
; COMPUTE_PGM_RSRC2:TIDIG_COMP_CNT: 0
; COMPUTE_PGM_RSRC3_GFX90A:ACCUM_OFFSET: 0
; COMPUTE_PGM_RSRC3_GFX90A:TG_SPLIT: 0
	.section	.text._ZN7rocprim17ROCPRIM_400000_NS6detail17trampoline_kernelINS0_14default_configENS1_27scan_by_key_config_selectorIiiEEZZNS1_16scan_by_key_implILNS1_25lookback_scan_determinismE0ELb1ES3_N6thrust23THRUST_200600_302600_NS10device_ptrIiEESB_SB_iNS9_4plusIvEENS9_8equal_toIvEEiEE10hipError_tPvRmT2_T3_T4_T5_mT6_T7_P12ihipStream_tbENKUlT_T0_E_clISt17integral_constantIbLb0EESV_IbLb1EEEEDaSR_SS_EUlSR_E_NS1_11comp_targetILNS1_3genE10ELNS1_11target_archE1201ELNS1_3gpuE5ELNS1_3repE0EEENS1_30default_config_static_selectorELNS0_4arch9wavefront6targetE1EEEvT1_,"axG",@progbits,_ZN7rocprim17ROCPRIM_400000_NS6detail17trampoline_kernelINS0_14default_configENS1_27scan_by_key_config_selectorIiiEEZZNS1_16scan_by_key_implILNS1_25lookback_scan_determinismE0ELb1ES3_N6thrust23THRUST_200600_302600_NS10device_ptrIiEESB_SB_iNS9_4plusIvEENS9_8equal_toIvEEiEE10hipError_tPvRmT2_T3_T4_T5_mT6_T7_P12ihipStream_tbENKUlT_T0_E_clISt17integral_constantIbLb0EESV_IbLb1EEEEDaSR_SS_EUlSR_E_NS1_11comp_targetILNS1_3genE10ELNS1_11target_archE1201ELNS1_3gpuE5ELNS1_3repE0EEENS1_30default_config_static_selectorELNS0_4arch9wavefront6targetE1EEEvT1_,comdat
	.protected	_ZN7rocprim17ROCPRIM_400000_NS6detail17trampoline_kernelINS0_14default_configENS1_27scan_by_key_config_selectorIiiEEZZNS1_16scan_by_key_implILNS1_25lookback_scan_determinismE0ELb1ES3_N6thrust23THRUST_200600_302600_NS10device_ptrIiEESB_SB_iNS9_4plusIvEENS9_8equal_toIvEEiEE10hipError_tPvRmT2_T3_T4_T5_mT6_T7_P12ihipStream_tbENKUlT_T0_E_clISt17integral_constantIbLb0EESV_IbLb1EEEEDaSR_SS_EUlSR_E_NS1_11comp_targetILNS1_3genE10ELNS1_11target_archE1201ELNS1_3gpuE5ELNS1_3repE0EEENS1_30default_config_static_selectorELNS0_4arch9wavefront6targetE1EEEvT1_ ; -- Begin function _ZN7rocprim17ROCPRIM_400000_NS6detail17trampoline_kernelINS0_14default_configENS1_27scan_by_key_config_selectorIiiEEZZNS1_16scan_by_key_implILNS1_25lookback_scan_determinismE0ELb1ES3_N6thrust23THRUST_200600_302600_NS10device_ptrIiEESB_SB_iNS9_4plusIvEENS9_8equal_toIvEEiEE10hipError_tPvRmT2_T3_T4_T5_mT6_T7_P12ihipStream_tbENKUlT_T0_E_clISt17integral_constantIbLb0EESV_IbLb1EEEEDaSR_SS_EUlSR_E_NS1_11comp_targetILNS1_3genE10ELNS1_11target_archE1201ELNS1_3gpuE5ELNS1_3repE0EEENS1_30default_config_static_selectorELNS0_4arch9wavefront6targetE1EEEvT1_
	.globl	_ZN7rocprim17ROCPRIM_400000_NS6detail17trampoline_kernelINS0_14default_configENS1_27scan_by_key_config_selectorIiiEEZZNS1_16scan_by_key_implILNS1_25lookback_scan_determinismE0ELb1ES3_N6thrust23THRUST_200600_302600_NS10device_ptrIiEESB_SB_iNS9_4plusIvEENS9_8equal_toIvEEiEE10hipError_tPvRmT2_T3_T4_T5_mT6_T7_P12ihipStream_tbENKUlT_T0_E_clISt17integral_constantIbLb0EESV_IbLb1EEEEDaSR_SS_EUlSR_E_NS1_11comp_targetILNS1_3genE10ELNS1_11target_archE1201ELNS1_3gpuE5ELNS1_3repE0EEENS1_30default_config_static_selectorELNS0_4arch9wavefront6targetE1EEEvT1_
	.p2align	8
	.type	_ZN7rocprim17ROCPRIM_400000_NS6detail17trampoline_kernelINS0_14default_configENS1_27scan_by_key_config_selectorIiiEEZZNS1_16scan_by_key_implILNS1_25lookback_scan_determinismE0ELb1ES3_N6thrust23THRUST_200600_302600_NS10device_ptrIiEESB_SB_iNS9_4plusIvEENS9_8equal_toIvEEiEE10hipError_tPvRmT2_T3_T4_T5_mT6_T7_P12ihipStream_tbENKUlT_T0_E_clISt17integral_constantIbLb0EESV_IbLb1EEEEDaSR_SS_EUlSR_E_NS1_11comp_targetILNS1_3genE10ELNS1_11target_archE1201ELNS1_3gpuE5ELNS1_3repE0EEENS1_30default_config_static_selectorELNS0_4arch9wavefront6targetE1EEEvT1_,@function
_ZN7rocprim17ROCPRIM_400000_NS6detail17trampoline_kernelINS0_14default_configENS1_27scan_by_key_config_selectorIiiEEZZNS1_16scan_by_key_implILNS1_25lookback_scan_determinismE0ELb1ES3_N6thrust23THRUST_200600_302600_NS10device_ptrIiEESB_SB_iNS9_4plusIvEENS9_8equal_toIvEEiEE10hipError_tPvRmT2_T3_T4_T5_mT6_T7_P12ihipStream_tbENKUlT_T0_E_clISt17integral_constantIbLb0EESV_IbLb1EEEEDaSR_SS_EUlSR_E_NS1_11comp_targetILNS1_3genE10ELNS1_11target_archE1201ELNS1_3gpuE5ELNS1_3repE0EEENS1_30default_config_static_selectorELNS0_4arch9wavefront6targetE1EEEvT1_: ; @_ZN7rocprim17ROCPRIM_400000_NS6detail17trampoline_kernelINS0_14default_configENS1_27scan_by_key_config_selectorIiiEEZZNS1_16scan_by_key_implILNS1_25lookback_scan_determinismE0ELb1ES3_N6thrust23THRUST_200600_302600_NS10device_ptrIiEESB_SB_iNS9_4plusIvEENS9_8equal_toIvEEiEE10hipError_tPvRmT2_T3_T4_T5_mT6_T7_P12ihipStream_tbENKUlT_T0_E_clISt17integral_constantIbLb0EESV_IbLb1EEEEDaSR_SS_EUlSR_E_NS1_11comp_targetILNS1_3genE10ELNS1_11target_archE1201ELNS1_3gpuE5ELNS1_3repE0EEENS1_30default_config_static_selectorELNS0_4arch9wavefront6targetE1EEEvT1_
; %bb.0:
	.section	.rodata,"a",@progbits
	.p2align	6, 0x0
	.amdhsa_kernel _ZN7rocprim17ROCPRIM_400000_NS6detail17trampoline_kernelINS0_14default_configENS1_27scan_by_key_config_selectorIiiEEZZNS1_16scan_by_key_implILNS1_25lookback_scan_determinismE0ELb1ES3_N6thrust23THRUST_200600_302600_NS10device_ptrIiEESB_SB_iNS9_4plusIvEENS9_8equal_toIvEEiEE10hipError_tPvRmT2_T3_T4_T5_mT6_T7_P12ihipStream_tbENKUlT_T0_E_clISt17integral_constantIbLb0EESV_IbLb1EEEEDaSR_SS_EUlSR_E_NS1_11comp_targetILNS1_3genE10ELNS1_11target_archE1201ELNS1_3gpuE5ELNS1_3repE0EEENS1_30default_config_static_selectorELNS0_4arch9wavefront6targetE1EEEvT1_
		.amdhsa_group_segment_fixed_size 0
		.amdhsa_private_segment_fixed_size 0
		.amdhsa_kernarg_size 112
		.amdhsa_user_sgpr_count 2
		.amdhsa_user_sgpr_dispatch_ptr 0
		.amdhsa_user_sgpr_queue_ptr 0
		.amdhsa_user_sgpr_kernarg_segment_ptr 1
		.amdhsa_user_sgpr_dispatch_id 0
		.amdhsa_user_sgpr_kernarg_preload_length 0
		.amdhsa_user_sgpr_kernarg_preload_offset 0
		.amdhsa_user_sgpr_private_segment_size 0
		.amdhsa_uses_dynamic_stack 0
		.amdhsa_enable_private_segment 0
		.amdhsa_system_sgpr_workgroup_id_x 1
		.amdhsa_system_sgpr_workgroup_id_y 0
		.amdhsa_system_sgpr_workgroup_id_z 0
		.amdhsa_system_sgpr_workgroup_info 0
		.amdhsa_system_vgpr_workitem_id 0
		.amdhsa_next_free_vgpr 1
		.amdhsa_next_free_sgpr 0
		.amdhsa_accum_offset 4
		.amdhsa_reserve_vcc 0
		.amdhsa_float_round_mode_32 0
		.amdhsa_float_round_mode_16_64 0
		.amdhsa_float_denorm_mode_32 3
		.amdhsa_float_denorm_mode_16_64 3
		.amdhsa_dx10_clamp 1
		.amdhsa_ieee_mode 1
		.amdhsa_fp16_overflow 0
		.amdhsa_tg_split 0
		.amdhsa_exception_fp_ieee_invalid_op 0
		.amdhsa_exception_fp_denorm_src 0
		.amdhsa_exception_fp_ieee_div_zero 0
		.amdhsa_exception_fp_ieee_overflow 0
		.amdhsa_exception_fp_ieee_underflow 0
		.amdhsa_exception_fp_ieee_inexact 0
		.amdhsa_exception_int_div_zero 0
	.end_amdhsa_kernel
	.section	.text._ZN7rocprim17ROCPRIM_400000_NS6detail17trampoline_kernelINS0_14default_configENS1_27scan_by_key_config_selectorIiiEEZZNS1_16scan_by_key_implILNS1_25lookback_scan_determinismE0ELb1ES3_N6thrust23THRUST_200600_302600_NS10device_ptrIiEESB_SB_iNS9_4plusIvEENS9_8equal_toIvEEiEE10hipError_tPvRmT2_T3_T4_T5_mT6_T7_P12ihipStream_tbENKUlT_T0_E_clISt17integral_constantIbLb0EESV_IbLb1EEEEDaSR_SS_EUlSR_E_NS1_11comp_targetILNS1_3genE10ELNS1_11target_archE1201ELNS1_3gpuE5ELNS1_3repE0EEENS1_30default_config_static_selectorELNS0_4arch9wavefront6targetE1EEEvT1_,"axG",@progbits,_ZN7rocprim17ROCPRIM_400000_NS6detail17trampoline_kernelINS0_14default_configENS1_27scan_by_key_config_selectorIiiEEZZNS1_16scan_by_key_implILNS1_25lookback_scan_determinismE0ELb1ES3_N6thrust23THRUST_200600_302600_NS10device_ptrIiEESB_SB_iNS9_4plusIvEENS9_8equal_toIvEEiEE10hipError_tPvRmT2_T3_T4_T5_mT6_T7_P12ihipStream_tbENKUlT_T0_E_clISt17integral_constantIbLb0EESV_IbLb1EEEEDaSR_SS_EUlSR_E_NS1_11comp_targetILNS1_3genE10ELNS1_11target_archE1201ELNS1_3gpuE5ELNS1_3repE0EEENS1_30default_config_static_selectorELNS0_4arch9wavefront6targetE1EEEvT1_,comdat
.Lfunc_end2262:
	.size	_ZN7rocprim17ROCPRIM_400000_NS6detail17trampoline_kernelINS0_14default_configENS1_27scan_by_key_config_selectorIiiEEZZNS1_16scan_by_key_implILNS1_25lookback_scan_determinismE0ELb1ES3_N6thrust23THRUST_200600_302600_NS10device_ptrIiEESB_SB_iNS9_4plusIvEENS9_8equal_toIvEEiEE10hipError_tPvRmT2_T3_T4_T5_mT6_T7_P12ihipStream_tbENKUlT_T0_E_clISt17integral_constantIbLb0EESV_IbLb1EEEEDaSR_SS_EUlSR_E_NS1_11comp_targetILNS1_3genE10ELNS1_11target_archE1201ELNS1_3gpuE5ELNS1_3repE0EEENS1_30default_config_static_selectorELNS0_4arch9wavefront6targetE1EEEvT1_, .Lfunc_end2262-_ZN7rocprim17ROCPRIM_400000_NS6detail17trampoline_kernelINS0_14default_configENS1_27scan_by_key_config_selectorIiiEEZZNS1_16scan_by_key_implILNS1_25lookback_scan_determinismE0ELb1ES3_N6thrust23THRUST_200600_302600_NS10device_ptrIiEESB_SB_iNS9_4plusIvEENS9_8equal_toIvEEiEE10hipError_tPvRmT2_T3_T4_T5_mT6_T7_P12ihipStream_tbENKUlT_T0_E_clISt17integral_constantIbLb0EESV_IbLb1EEEEDaSR_SS_EUlSR_E_NS1_11comp_targetILNS1_3genE10ELNS1_11target_archE1201ELNS1_3gpuE5ELNS1_3repE0EEENS1_30default_config_static_selectorELNS0_4arch9wavefront6targetE1EEEvT1_
                                        ; -- End function
	.section	.AMDGPU.csdata,"",@progbits
; Kernel info:
; codeLenInByte = 0
; NumSgprs: 6
; NumVgprs: 0
; NumAgprs: 0
; TotalNumVgprs: 0
; ScratchSize: 0
; MemoryBound: 0
; FloatMode: 240
; IeeeMode: 1
; LDSByteSize: 0 bytes/workgroup (compile time only)
; SGPRBlocks: 0
; VGPRBlocks: 0
; NumSGPRsForWavesPerEU: 6
; NumVGPRsForWavesPerEU: 1
; AccumOffset: 4
; Occupancy: 8
; WaveLimiterHint : 0
; COMPUTE_PGM_RSRC2:SCRATCH_EN: 0
; COMPUTE_PGM_RSRC2:USER_SGPR: 2
; COMPUTE_PGM_RSRC2:TRAP_HANDLER: 0
; COMPUTE_PGM_RSRC2:TGID_X_EN: 1
; COMPUTE_PGM_RSRC2:TGID_Y_EN: 0
; COMPUTE_PGM_RSRC2:TGID_Z_EN: 0
; COMPUTE_PGM_RSRC2:TIDIG_COMP_CNT: 0
; COMPUTE_PGM_RSRC3_GFX90A:ACCUM_OFFSET: 0
; COMPUTE_PGM_RSRC3_GFX90A:TG_SPLIT: 0
	.section	.text._ZN7rocprim17ROCPRIM_400000_NS6detail17trampoline_kernelINS0_14default_configENS1_27scan_by_key_config_selectorIiiEEZZNS1_16scan_by_key_implILNS1_25lookback_scan_determinismE0ELb1ES3_N6thrust23THRUST_200600_302600_NS10device_ptrIiEESB_SB_iNS9_4plusIvEENS9_8equal_toIvEEiEE10hipError_tPvRmT2_T3_T4_T5_mT6_T7_P12ihipStream_tbENKUlT_T0_E_clISt17integral_constantIbLb0EESV_IbLb1EEEEDaSR_SS_EUlSR_E_NS1_11comp_targetILNS1_3genE5ELNS1_11target_archE942ELNS1_3gpuE9ELNS1_3repE0EEENS1_30default_config_static_selectorELNS0_4arch9wavefront6targetE1EEEvT1_,"axG",@progbits,_ZN7rocprim17ROCPRIM_400000_NS6detail17trampoline_kernelINS0_14default_configENS1_27scan_by_key_config_selectorIiiEEZZNS1_16scan_by_key_implILNS1_25lookback_scan_determinismE0ELb1ES3_N6thrust23THRUST_200600_302600_NS10device_ptrIiEESB_SB_iNS9_4plusIvEENS9_8equal_toIvEEiEE10hipError_tPvRmT2_T3_T4_T5_mT6_T7_P12ihipStream_tbENKUlT_T0_E_clISt17integral_constantIbLb0EESV_IbLb1EEEEDaSR_SS_EUlSR_E_NS1_11comp_targetILNS1_3genE5ELNS1_11target_archE942ELNS1_3gpuE9ELNS1_3repE0EEENS1_30default_config_static_selectorELNS0_4arch9wavefront6targetE1EEEvT1_,comdat
	.protected	_ZN7rocprim17ROCPRIM_400000_NS6detail17trampoline_kernelINS0_14default_configENS1_27scan_by_key_config_selectorIiiEEZZNS1_16scan_by_key_implILNS1_25lookback_scan_determinismE0ELb1ES3_N6thrust23THRUST_200600_302600_NS10device_ptrIiEESB_SB_iNS9_4plusIvEENS9_8equal_toIvEEiEE10hipError_tPvRmT2_T3_T4_T5_mT6_T7_P12ihipStream_tbENKUlT_T0_E_clISt17integral_constantIbLb0EESV_IbLb1EEEEDaSR_SS_EUlSR_E_NS1_11comp_targetILNS1_3genE5ELNS1_11target_archE942ELNS1_3gpuE9ELNS1_3repE0EEENS1_30default_config_static_selectorELNS0_4arch9wavefront6targetE1EEEvT1_ ; -- Begin function _ZN7rocprim17ROCPRIM_400000_NS6detail17trampoline_kernelINS0_14default_configENS1_27scan_by_key_config_selectorIiiEEZZNS1_16scan_by_key_implILNS1_25lookback_scan_determinismE0ELb1ES3_N6thrust23THRUST_200600_302600_NS10device_ptrIiEESB_SB_iNS9_4plusIvEENS9_8equal_toIvEEiEE10hipError_tPvRmT2_T3_T4_T5_mT6_T7_P12ihipStream_tbENKUlT_T0_E_clISt17integral_constantIbLb0EESV_IbLb1EEEEDaSR_SS_EUlSR_E_NS1_11comp_targetILNS1_3genE5ELNS1_11target_archE942ELNS1_3gpuE9ELNS1_3repE0EEENS1_30default_config_static_selectorELNS0_4arch9wavefront6targetE1EEEvT1_
	.globl	_ZN7rocprim17ROCPRIM_400000_NS6detail17trampoline_kernelINS0_14default_configENS1_27scan_by_key_config_selectorIiiEEZZNS1_16scan_by_key_implILNS1_25lookback_scan_determinismE0ELb1ES3_N6thrust23THRUST_200600_302600_NS10device_ptrIiEESB_SB_iNS9_4plusIvEENS9_8equal_toIvEEiEE10hipError_tPvRmT2_T3_T4_T5_mT6_T7_P12ihipStream_tbENKUlT_T0_E_clISt17integral_constantIbLb0EESV_IbLb1EEEEDaSR_SS_EUlSR_E_NS1_11comp_targetILNS1_3genE5ELNS1_11target_archE942ELNS1_3gpuE9ELNS1_3repE0EEENS1_30default_config_static_selectorELNS0_4arch9wavefront6targetE1EEEvT1_
	.p2align	8
	.type	_ZN7rocprim17ROCPRIM_400000_NS6detail17trampoline_kernelINS0_14default_configENS1_27scan_by_key_config_selectorIiiEEZZNS1_16scan_by_key_implILNS1_25lookback_scan_determinismE0ELb1ES3_N6thrust23THRUST_200600_302600_NS10device_ptrIiEESB_SB_iNS9_4plusIvEENS9_8equal_toIvEEiEE10hipError_tPvRmT2_T3_T4_T5_mT6_T7_P12ihipStream_tbENKUlT_T0_E_clISt17integral_constantIbLb0EESV_IbLb1EEEEDaSR_SS_EUlSR_E_NS1_11comp_targetILNS1_3genE5ELNS1_11target_archE942ELNS1_3gpuE9ELNS1_3repE0EEENS1_30default_config_static_selectorELNS0_4arch9wavefront6targetE1EEEvT1_,@function
_ZN7rocprim17ROCPRIM_400000_NS6detail17trampoline_kernelINS0_14default_configENS1_27scan_by_key_config_selectorIiiEEZZNS1_16scan_by_key_implILNS1_25lookback_scan_determinismE0ELb1ES3_N6thrust23THRUST_200600_302600_NS10device_ptrIiEESB_SB_iNS9_4plusIvEENS9_8equal_toIvEEiEE10hipError_tPvRmT2_T3_T4_T5_mT6_T7_P12ihipStream_tbENKUlT_T0_E_clISt17integral_constantIbLb0EESV_IbLb1EEEEDaSR_SS_EUlSR_E_NS1_11comp_targetILNS1_3genE5ELNS1_11target_archE942ELNS1_3gpuE9ELNS1_3repE0EEENS1_30default_config_static_selectorELNS0_4arch9wavefront6targetE1EEEvT1_: ; @_ZN7rocprim17ROCPRIM_400000_NS6detail17trampoline_kernelINS0_14default_configENS1_27scan_by_key_config_selectorIiiEEZZNS1_16scan_by_key_implILNS1_25lookback_scan_determinismE0ELb1ES3_N6thrust23THRUST_200600_302600_NS10device_ptrIiEESB_SB_iNS9_4plusIvEENS9_8equal_toIvEEiEE10hipError_tPvRmT2_T3_T4_T5_mT6_T7_P12ihipStream_tbENKUlT_T0_E_clISt17integral_constantIbLb0EESV_IbLb1EEEEDaSR_SS_EUlSR_E_NS1_11comp_targetILNS1_3genE5ELNS1_11target_archE942ELNS1_3gpuE9ELNS1_3repE0EEENS1_30default_config_static_selectorELNS0_4arch9wavefront6targetE1EEEvT1_
; %bb.0:
	s_load_dword s74, s[0:1], 0x20
	s_load_dwordx4 s[64:67], s[0:1], 0x28
	s_load_dwordx2 s[72:73], s[0:1], 0x38
	v_cmp_ne_u32_e64 s[4:5], 0, v0
	v_cmp_eq_u32_e64 s[52:53], 0, v0
	s_and_saveexec_b64 s[2:3], s[52:53]
	s_cbranch_execz .LBB2263_4
; %bb.1:
	s_mov_b64 s[8:9], exec
	v_mbcnt_lo_u32_b32 v1, s8, 0
	v_mbcnt_hi_u32_b32 v1, s9, v1
	v_cmp_eq_u32_e32 vcc, 0, v1
                                        ; implicit-def: $vgpr2
	s_and_saveexec_b64 s[6:7], vcc
	s_cbranch_execz .LBB2263_3
; %bb.2:
	s_load_dwordx2 s[10:11], s[0:1], 0x68
	s_bcnt1_i32_b64 s8, s[8:9]
	v_mov_b32_e32 v2, 0
	v_mov_b32_e32 v3, s8
	s_waitcnt lgkmcnt(0)
	global_atomic_add v2, v2, v3, s[10:11] sc0
.LBB2263_3:
	s_or_b64 exec, exec, s[6:7]
	s_waitcnt vmcnt(0)
	v_readfirstlane_b32 s6, v2
	v_mov_b32_e32 v2, 0
	s_nop 0
	v_add_u32_e32 v1, s6, v1
	ds_write_b32 v2, v1
.LBB2263_4:
	s_or_b64 exec, exec, s[2:3]
	s_load_dwordx8 s[56:63], s[0:1], 0x0
	s_load_dword s2, s[0:1], 0x40
	s_load_dwordx4 s[68:71], s[0:1], 0x48
	v_mov_b32_e32 v7, 0
	s_waitcnt lgkmcnt(0)
	s_lshl_b64 s[54:55], s[58:59], 2
	s_barrier
	ds_read_b32 v6, v7
	s_add_u32 s0, s56, s54
	s_addc_u32 s1, s57, s55
	s_add_u32 s6, s60, s54
	s_mul_i32 s3, s73, s2
	s_mul_hi_u32 s8, s72, s2
	s_addc_u32 s7, s61, s55
	s_add_i32 s3, s8, s3
	s_movk_i32 s8, 0x1700
	s_waitcnt lgkmcnt(0)
	v_mul_lo_u32 v2, v6, s8
	v_mov_b32_e32 v3, v7
	v_lshlrev_b64 v[10:11], 2, v[2:3]
	s_mul_i32 s2, s72, s2
	v_lshl_add_u64 v[2:3], s[6:7], 0, v[10:11]
	s_add_u32 s6, s68, -1
	v_readfirstlane_b32 s67, v6
	v_lshl_add_u64 v[6:7], s[2:3], 0, v[6:7]
	s_addc_u32 s7, s69, -1
	v_cmp_le_u64_e64 s[2:3], s[6:7], v[6:7]
	v_lshl_add_u64 v[4:5], s[0:1], 0, v[10:11]
	s_mov_b64 s[0:1], -1
	s_and_b64 vcc, exec, s[2:3]
	s_mul_i32 s33, s6, 0xffffe900
	s_barrier
	s_barrier
	s_cbranch_vccz .LBB2263_75
; %bb.5:
	flat_load_dword v1, v[4:5]
	s_add_i32 s60, s33, s66
	v_cmp_gt_u32_e32 vcc, s60, v0
	s_waitcnt vmcnt(0) lgkmcnt(0)
	v_mov_b32_e32 v8, v1
	s_and_saveexec_b64 s[0:1], vcc
	s_cbranch_execz .LBB2263_7
; %bb.6:
	v_lshlrev_b32_e32 v6, 2, v0
	v_mov_b32_e32 v7, 0
	v_lshl_add_u64 v[6:7], v[4:5], 0, v[6:7]
	flat_load_dword v8, v[6:7]
.LBB2263_7:
	s_or_b64 exec, exec, s[0:1]
	v_or_b32_e32 v6, 0x100, v0
	v_cmp_gt_u32_e64 s[6:7], s60, v6
	v_mov_b32_e32 v9, v1
	s_and_saveexec_b64 s[0:1], s[6:7]
	s_cbranch_execz .LBB2263_9
; %bb.8:
	v_lshlrev_b32_e32 v6, 2, v0
	v_mov_b32_e32 v7, 0
	v_lshl_add_u64 v[6:7], v[4:5], 0, v[6:7]
	flat_load_dword v9, v[6:7] offset:1024
.LBB2263_9:
	s_or_b64 exec, exec, s[0:1]
	v_or_b32_e32 v6, 0x200, v0
	v_cmp_gt_u32_e64 s[8:9], s60, v6
	v_mov_b32_e32 v49, v1
	s_and_saveexec_b64 s[0:1], s[8:9]
	s_cbranch_execz .LBB2263_11
; %bb.10:
	v_lshlrev_b32_e32 v6, 2, v0
	v_mov_b32_e32 v7, 0
	v_lshl_add_u64 v[6:7], v[4:5], 0, v[6:7]
	flat_load_dword v49, v[6:7] offset:2048
.LBB2263_11:
	;; [unrolled: 12-line block ×3, first 2 shown]
	s_or_b64 exec, exec, s[0:1]
	v_or_b32_e32 v6, 0x400, v0
	v_cmp_gt_u32_e64 s[12:13], s60, v6
	v_lshlrev_b32_e32 v6, 2, v6
	v_mov_b32_e32 v7, v1
	s_and_saveexec_b64 s[0:1], s[12:13]
	s_cbranch_execz .LBB2263_15
; %bb.14:
	v_mov_b32_e32 v7, 0
	v_lshl_add_u64 v[12:13], v[4:5], 0, v[6:7]
	flat_load_dword v7, v[12:13]
.LBB2263_15:
	s_or_b64 exec, exec, s[0:1]
	v_or_b32_e32 v12, 0x500, v0
	v_cmp_gt_u32_e64 s[14:15], s60, v12
	v_lshlrev_b32_e32 v12, 2, v12
	v_mov_b32_e32 v13, v1
	s_and_saveexec_b64 s[0:1], s[14:15]
	s_cbranch_execz .LBB2263_17
; %bb.16:
	v_mov_b32_e32 v13, 0
	v_lshl_add_u64 v[14:15], v[4:5], 0, v[12:13]
	flat_load_dword v13, v[14:15]
.LBB2263_17:
	;; [unrolled: 12-line block ×18, first 2 shown]
	s_or_b64 exec, exec, s[0:1]
	v_or_b32_e32 v46, 0x1600, v0
	v_cmp_gt_u32_e64 s[50:51], s60, v46
	v_lshlrev_b32_e32 v46, 2, v46
	s_and_saveexec_b64 s[0:1], s[50:51]
	s_cbranch_execz .LBB2263_51
; %bb.50:
	v_mov_b32_e32 v47, 0
	v_lshl_add_u64 v[52:53], v[4:5], 0, v[46:47]
	flat_load_dword v1, v[52:53]
.LBB2263_51:
	s_or_b64 exec, exec, s[0:1]
	v_lshlrev_b32_e32 v48, 2, v0
	s_waitcnt vmcnt(0) lgkmcnt(0)
	ds_write2st64_b32 v48, v8, v9 offset1:4
	ds_write2st64_b32 v48, v49, v50 offset0:8 offset1:12
	ds_write2st64_b32 v48, v7, v13 offset0:16 offset1:20
	;; [unrolled: 1-line block ×10, first 2 shown]
	ds_write_b32 v48, v1 offset:22528
	s_waitcnt lgkmcnt(0)
	s_barrier
	flat_load_dword v1, v[4:5]
	s_movk_i32 s0, 0x58
	v_mad_u32_u24 v76, v0, s0, v48
	s_movk_i32 s0, 0xffa8
	v_mad_i32_i24 v7, v0, s0, v76
	s_movk_i32 s0, 0xff
	v_cmp_ne_u32_e64 s[0:1], s0, v0
	ds_read_b32 v78, v76
	ds_read2_b32 v[74:75], v76 offset0:1 offset1:2
	ds_read2_b32 v[72:73], v76 offset0:3 offset1:4
	;; [unrolled: 1-line block ×11, first 2 shown]
	s_waitcnt lgkmcnt(0)
	ds_write_b32 v7, v78 offset:24576
	s_waitcnt lgkmcnt(0)
	s_barrier
	s_and_saveexec_b64 s[56:57], s[0:1]
	s_cbranch_execz .LBB2263_53
; %bb.52:
	s_waitcnt vmcnt(0)
	ds_read_b32 v1, v48 offset:24580
.LBB2263_53:
	s_or_b64 exec, exec, s[56:57]
	v_mov_b32_e32 v49, 0
	s_waitcnt lgkmcnt(0)
	s_barrier
	s_waitcnt lgkmcnt(0)
                                        ; implicit-def: $vgpr50
	s_and_saveexec_b64 s[0:1], vcc
	s_cbranch_execz .LBB2263_76
; %bb.54:
	v_lshl_add_u64 v[50:51], v[2:3], 0, v[48:49]
	flat_load_dword v50, v[50:51]
	s_or_b64 exec, exec, s[0:1]
                                        ; implicit-def: $vgpr51
	s_and_saveexec_b64 s[0:1], s[6:7]
	s_cbranch_execnz .LBB2263_77
.LBB2263_55:
	s_or_b64 exec, exec, s[0:1]
                                        ; implicit-def: $vgpr52
	s_and_saveexec_b64 s[0:1], s[8:9]
	s_cbranch_execz .LBB2263_78
.LBB2263_56:
	v_mov_b32_e32 v49, 0
	v_lshl_add_u64 v[52:53], v[2:3], 0, v[48:49]
	flat_load_dword v52, v[52:53] offset:2048
	s_or_b64 exec, exec, s[0:1]
                                        ; implicit-def: $vgpr49
	s_and_saveexec_b64 s[0:1], s[10:11]
	s_cbranch_execnz .LBB2263_79
.LBB2263_57:
	s_or_b64 exec, exec, s[0:1]
                                        ; implicit-def: $vgpr7
	s_and_saveexec_b64 s[0:1], s[12:13]
	s_cbranch_execz .LBB2263_80
.LBB2263_58:
	v_mov_b32_e32 v7, 0
	v_lshl_add_u64 v[6:7], v[2:3], 0, v[6:7]
	flat_load_dword v7, v[6:7]
	s_or_b64 exec, exec, s[0:1]
                                        ; implicit-def: $vgpr6
	s_and_saveexec_b64 s[0:1], s[14:15]
	s_cbranch_execnz .LBB2263_81
.LBB2263_59:
	s_or_b64 exec, exec, s[0:1]
                                        ; implicit-def: $vgpr12
	s_and_saveexec_b64 s[0:1], s[16:17]
	s_cbranch_execz .LBB2263_82
.LBB2263_60:
	v_mov_b32_e32 v15, 0
	v_lshl_add_u64 v[12:13], v[2:3], 0, v[14:15]
	flat_load_dword v12, v[12:13]
	s_or_b64 exec, exec, s[0:1]
                                        ; implicit-def: $vgpr13
	s_and_saveexec_b64 s[0:1], s[18:19]
	s_cbranch_execnz .LBB2263_83
.LBB2263_61:
	s_or_b64 exec, exec, s[0:1]
                                        ; implicit-def: $vgpr14
	s_and_saveexec_b64 s[0:1], s[20:21]
	s_cbranch_execz .LBB2263_84
.LBB2263_62:
	v_mov_b32_e32 v19, 0
	v_lshl_add_u64 v[14:15], v[2:3], 0, v[18:19]
	flat_load_dword v14, v[14:15]
	s_or_b64 exec, exec, s[0:1]
                                        ; implicit-def: $vgpr15
	s_and_saveexec_b64 s[0:1], s[22:23]
	s_cbranch_execnz .LBB2263_85
.LBB2263_63:
	s_or_b64 exec, exec, s[0:1]
                                        ; implicit-def: $vgpr16
	s_and_saveexec_b64 s[0:1], s[24:25]
	s_cbranch_execz .LBB2263_86
.LBB2263_64:
	v_mov_b32_e32 v23, 0
	v_lshl_add_u64 v[16:17], v[2:3], 0, v[22:23]
	flat_load_dword v16, v[16:17]
	s_or_b64 exec, exec, s[0:1]
                                        ; implicit-def: $vgpr17
	s_and_saveexec_b64 s[0:1], s[26:27]
	s_cbranch_execnz .LBB2263_87
.LBB2263_65:
	s_or_b64 exec, exec, s[0:1]
                                        ; implicit-def: $vgpr18
	s_and_saveexec_b64 s[0:1], s[28:29]
	s_cbranch_execz .LBB2263_88
.LBB2263_66:
	v_mov_b32_e32 v27, 0
	v_lshl_add_u64 v[18:19], v[2:3], 0, v[26:27]
	flat_load_dword v18, v[18:19]
	s_or_b64 exec, exec, s[0:1]
                                        ; implicit-def: $vgpr19
	s_and_saveexec_b64 s[0:1], s[30:31]
	s_cbranch_execnz .LBB2263_89
.LBB2263_67:
	s_or_b64 exec, exec, s[0:1]
                                        ; implicit-def: $vgpr20
	s_and_saveexec_b64 s[0:1], s[34:35]
	s_cbranch_execz .LBB2263_90
.LBB2263_68:
	v_mov_b32_e32 v31, 0
	v_lshl_add_u64 v[20:21], v[2:3], 0, v[30:31]
	flat_load_dword v20, v[20:21]
	s_or_b64 exec, exec, s[0:1]
                                        ; implicit-def: $vgpr21
	s_and_saveexec_b64 s[0:1], s[36:37]
	s_cbranch_execnz .LBB2263_91
.LBB2263_69:
	s_or_b64 exec, exec, s[0:1]
                                        ; implicit-def: $vgpr22
	s_and_saveexec_b64 s[0:1], s[38:39]
	s_cbranch_execz .LBB2263_92
.LBB2263_70:
	v_mov_b32_e32 v35, 0
	v_lshl_add_u64 v[22:23], v[2:3], 0, v[34:35]
	flat_load_dword v22, v[22:23]
	s_or_b64 exec, exec, s[0:1]
                                        ; implicit-def: $vgpr23
	s_and_saveexec_b64 s[0:1], s[40:41]
	s_cbranch_execnz .LBB2263_93
.LBB2263_71:
	s_or_b64 exec, exec, s[0:1]
                                        ; implicit-def: $vgpr24
	s_and_saveexec_b64 s[0:1], s[42:43]
	s_cbranch_execz .LBB2263_94
.LBB2263_72:
	v_mov_b32_e32 v39, 0
	v_lshl_add_u64 v[24:25], v[2:3], 0, v[38:39]
	flat_load_dword v24, v[24:25]
	s_or_b64 exec, exec, s[0:1]
                                        ; implicit-def: $vgpr25
	s_and_saveexec_b64 s[0:1], s[44:45]
	s_cbranch_execnz .LBB2263_95
.LBB2263_73:
	s_or_b64 exec, exec, s[0:1]
                                        ; implicit-def: $vgpr26
	s_and_saveexec_b64 s[0:1], s[46:47]
	s_cbranch_execz .LBB2263_96
.LBB2263_74:
	v_mov_b32_e32 v43, 0
	v_lshl_add_u64 v[26:27], v[2:3], 0, v[42:43]
	flat_load_dword v26, v[26:27]
	s_or_b64 exec, exec, s[0:1]
                                        ; implicit-def: $vgpr27
	s_and_saveexec_b64 s[0:1], s[48:49]
	s_cbranch_execz .LBB2263_98
	s_branch .LBB2263_97
.LBB2263_75:
	s_mov_b64 s[10:11], 0
                                        ; implicit-def: $sgpr8_sgpr9
                                        ; implicit-def: $vgpr6
                                        ; implicit-def: $vgpr12_vgpr13
                                        ; implicit-def: $vgpr14_vgpr15
                                        ; implicit-def: $vgpr16_vgpr17
                                        ; implicit-def: $vgpr18_vgpr19
                                        ; implicit-def: $vgpr20_vgpr21
                                        ; implicit-def: $vgpr22_vgpr23
                                        ; implicit-def: $vgpr24_vgpr25
                                        ; implicit-def: $vgpr26_vgpr27
                                        ; implicit-def: $vgpr28_vgpr29
                                        ; implicit-def: $vgpr30_vgpr31
                                        ; implicit-def: $vgpr32_vgpr33
                                        ; implicit-def: $vgpr34_vgpr35
                                        ; implicit-def: $vgpr36_vgpr37
                                        ; implicit-def: $vgpr38_vgpr39
                                        ; implicit-def: $vgpr40_vgpr41
                                        ; implicit-def: $vgpr42_vgpr43
                                        ; implicit-def: $vgpr44_vgpr45
                                        ; implicit-def: $vgpr46_vgpr47
                                        ; implicit-def: $vgpr48_vgpr49
                                        ; implicit-def: $vgpr50_vgpr51
                                        ; implicit-def: $vgpr52_vgpr53
                                        ; implicit-def: $vgpr54_vgpr55
                                        ; implicit-def: $sgpr6_sgpr7
	s_and_b64 vcc, exec, s[0:1]
	v_lshlrev_b32_e32 v56, 2, v0
	s_cbranch_vccz .LBB2263_152
	s_branch .LBB2263_147
.LBB2263_76:
	s_or_b64 exec, exec, s[0:1]
                                        ; implicit-def: $vgpr51
	s_and_saveexec_b64 s[0:1], s[6:7]
	s_cbranch_execz .LBB2263_55
.LBB2263_77:
	v_mov_b32_e32 v49, 0
	v_lshl_add_u64 v[52:53], v[2:3], 0, v[48:49]
	flat_load_dword v51, v[52:53] offset:1024
	s_or_b64 exec, exec, s[0:1]
                                        ; implicit-def: $vgpr52
	s_and_saveexec_b64 s[0:1], s[8:9]
	s_cbranch_execnz .LBB2263_56
.LBB2263_78:
	s_or_b64 exec, exec, s[0:1]
                                        ; implicit-def: $vgpr49
	s_and_saveexec_b64 s[0:1], s[10:11]
	s_cbranch_execz .LBB2263_57
.LBB2263_79:
	v_mov_b32_e32 v49, 0
	v_lshl_add_u64 v[54:55], v[2:3], 0, v[48:49]
	flat_load_dword v49, v[54:55] offset:3072
	s_or_b64 exec, exec, s[0:1]
                                        ; implicit-def: $vgpr7
	s_and_saveexec_b64 s[0:1], s[12:13]
	s_cbranch_execnz .LBB2263_58
.LBB2263_80:
	s_or_b64 exec, exec, s[0:1]
                                        ; implicit-def: $vgpr6
	s_and_saveexec_b64 s[0:1], s[14:15]
	s_cbranch_execz .LBB2263_59
.LBB2263_81:
	v_mov_b32_e32 v13, 0
	v_lshl_add_u64 v[12:13], v[2:3], 0, v[12:13]
	flat_load_dword v6, v[12:13]
	s_or_b64 exec, exec, s[0:1]
                                        ; implicit-def: $vgpr12
	s_and_saveexec_b64 s[0:1], s[16:17]
	s_cbranch_execnz .LBB2263_60
.LBB2263_82:
	s_or_b64 exec, exec, s[0:1]
                                        ; implicit-def: $vgpr13
	s_and_saveexec_b64 s[0:1], s[18:19]
	s_cbranch_execz .LBB2263_61
.LBB2263_83:
	v_mov_b32_e32 v17, 0
	v_lshl_add_u64 v[14:15], v[2:3], 0, v[16:17]
	flat_load_dword v13, v[14:15]
	s_or_b64 exec, exec, s[0:1]
                                        ; implicit-def: $vgpr14
	s_and_saveexec_b64 s[0:1], s[20:21]
	s_cbranch_execnz .LBB2263_62
.LBB2263_84:
	s_or_b64 exec, exec, s[0:1]
                                        ; implicit-def: $vgpr15
	s_and_saveexec_b64 s[0:1], s[22:23]
	s_cbranch_execz .LBB2263_63
.LBB2263_85:
	v_mov_b32_e32 v21, 0
	v_lshl_add_u64 v[16:17], v[2:3], 0, v[20:21]
	flat_load_dword v15, v[16:17]
	s_or_b64 exec, exec, s[0:1]
                                        ; implicit-def: $vgpr16
	s_and_saveexec_b64 s[0:1], s[24:25]
	s_cbranch_execnz .LBB2263_64
.LBB2263_86:
	s_or_b64 exec, exec, s[0:1]
                                        ; implicit-def: $vgpr17
	s_and_saveexec_b64 s[0:1], s[26:27]
	s_cbranch_execz .LBB2263_65
.LBB2263_87:
	v_mov_b32_e32 v25, 0
	v_lshl_add_u64 v[18:19], v[2:3], 0, v[24:25]
	flat_load_dword v17, v[18:19]
	s_or_b64 exec, exec, s[0:1]
                                        ; implicit-def: $vgpr18
	s_and_saveexec_b64 s[0:1], s[28:29]
	s_cbranch_execnz .LBB2263_66
.LBB2263_88:
	s_or_b64 exec, exec, s[0:1]
                                        ; implicit-def: $vgpr19
	s_and_saveexec_b64 s[0:1], s[30:31]
	s_cbranch_execz .LBB2263_67
.LBB2263_89:
	v_mov_b32_e32 v29, 0
	v_lshl_add_u64 v[20:21], v[2:3], 0, v[28:29]
	flat_load_dword v19, v[20:21]
	s_or_b64 exec, exec, s[0:1]
                                        ; implicit-def: $vgpr20
	s_and_saveexec_b64 s[0:1], s[34:35]
	s_cbranch_execnz .LBB2263_68
.LBB2263_90:
	s_or_b64 exec, exec, s[0:1]
                                        ; implicit-def: $vgpr21
	s_and_saveexec_b64 s[0:1], s[36:37]
	s_cbranch_execz .LBB2263_69
.LBB2263_91:
	v_mov_b32_e32 v33, 0
	v_lshl_add_u64 v[22:23], v[2:3], 0, v[32:33]
	flat_load_dword v21, v[22:23]
	s_or_b64 exec, exec, s[0:1]
                                        ; implicit-def: $vgpr22
	s_and_saveexec_b64 s[0:1], s[38:39]
	s_cbranch_execnz .LBB2263_70
.LBB2263_92:
	s_or_b64 exec, exec, s[0:1]
                                        ; implicit-def: $vgpr23
	s_and_saveexec_b64 s[0:1], s[40:41]
	s_cbranch_execz .LBB2263_71
.LBB2263_93:
	v_mov_b32_e32 v37, 0
	v_lshl_add_u64 v[24:25], v[2:3], 0, v[36:37]
	flat_load_dword v23, v[24:25]
	s_or_b64 exec, exec, s[0:1]
                                        ; implicit-def: $vgpr24
	s_and_saveexec_b64 s[0:1], s[42:43]
	s_cbranch_execnz .LBB2263_72
.LBB2263_94:
	s_or_b64 exec, exec, s[0:1]
                                        ; implicit-def: $vgpr25
	s_and_saveexec_b64 s[0:1], s[44:45]
	s_cbranch_execz .LBB2263_73
.LBB2263_95:
	v_mov_b32_e32 v41, 0
	v_lshl_add_u64 v[26:27], v[2:3], 0, v[40:41]
	flat_load_dword v25, v[26:27]
	s_or_b64 exec, exec, s[0:1]
                                        ; implicit-def: $vgpr26
	s_and_saveexec_b64 s[0:1], s[46:47]
	s_cbranch_execnz .LBB2263_74
.LBB2263_96:
	s_or_b64 exec, exec, s[0:1]
                                        ; implicit-def: $vgpr27
	s_and_saveexec_b64 s[0:1], s[48:49]
	s_cbranch_execz .LBB2263_98
.LBB2263_97:
	v_mov_b32_e32 v45, 0
	v_lshl_add_u64 v[28:29], v[2:3], 0, v[44:45]
	flat_load_dword v27, v[28:29]
.LBB2263_98:
	s_or_b64 exec, exec, s[0:1]
	v_mul_u32_u24_e32 v77, 23, v0
                                        ; implicit-def: $vgpr28
	s_and_saveexec_b64 s[0:1], s[50:51]
	s_cbranch_execz .LBB2263_100
; %bb.99:
	v_mov_b32_e32 v47, 0
	v_lshl_add_u64 v[28:29], v[2:3], 0, v[46:47]
	flat_load_dword v28, v[28:29]
.LBB2263_100:
	s_or_b64 exec, exec, s[0:1]
	s_waitcnt vmcnt(0) lgkmcnt(0)
	ds_write2st64_b32 v48, v50, v51 offset1:4
	ds_write2st64_b32 v48, v52, v49 offset0:8 offset1:12
	ds_write2st64_b32 v48, v7, v6 offset0:16 offset1:20
	;; [unrolled: 1-line block ×10, first 2 shown]
	ds_write_b32 v48, v28 offset:22528
	v_mov_b64_e32 v[12:13], 0
	v_cmp_gt_u32_e32 vcc, s60, v77
	s_mov_b64 s[10:11], 0
	s_mov_b64 s[0:1], 0
	v_mov_b64_e32 v[14:15], v[12:13]
	v_mov_b64_e32 v[16:17], v[12:13]
	;; [unrolled: 1-line block ×21, first 2 shown]
	s_waitcnt lgkmcnt(0)
	s_barrier
	s_waitcnt lgkmcnt(0)
                                        ; implicit-def: $sgpr8_sgpr9
                                        ; implicit-def: $vgpr6
	s_and_saveexec_b64 s[6:7], vcc
	s_cbranch_execz .LBB2263_146
; %bb.101:
	ds_read_b32 v6, v76
	v_mov_b32_e32 v12, s74
	v_cmp_eq_u32_e32 vcc, v78, v74
	v_add_u32_e32 v7, 1, v77
	v_mov_b64_e32 v[14:15], 0
	s_waitcnt lgkmcnt(0)
	v_cndmask_b32_e32 v12, v12, v6, vcc
	v_cmp_ne_u32_e32 vcc, v78, v74
	s_mov_b64 s[12:13], 0
	v_mov_b64_e32 v[16:17], v[14:15]
	v_cndmask_b32_e64 v13, 0, 1, vcc
	v_cmp_gt_u32_e32 vcc, s60, v7
	v_mov_b64_e32 v[18:19], v[14:15]
	v_mov_b64_e32 v[20:21], v[14:15]
	;; [unrolled: 1-line block ×19, first 2 shown]
                                        ; implicit-def: $sgpr14_sgpr15
                                        ; implicit-def: $vgpr6
	s_and_saveexec_b64 s[8:9], vcc
	s_cbranch_execz .LBB2263_145
; %bb.102:
	ds_read2_b32 v[6:7], v76 offset0:1 offset1:2
	v_mov_b32_e32 v14, s74
	v_cmp_eq_u32_e32 vcc, v74, v75
	v_add_u32_e32 v16, 2, v77
	s_mov_b64 s[14:15], 0
	s_waitcnt lgkmcnt(0)
	v_cndmask_b32_e32 v14, v14, v6, vcc
	v_cmp_ne_u32_e32 vcc, v74, v75
                                        ; implicit-def: $sgpr16_sgpr17
                                        ; implicit-def: $vgpr6
	s_nop 1
	v_cndmask_b32_e64 v15, 0, 1, vcc
	v_cmp_gt_u32_e32 vcc, s60, v16
	v_mov_b64_e32 v[16:17], 0
	v_mov_b64_e32 v[18:19], v[16:17]
	;; [unrolled: 1-line block ×20, first 2 shown]
	s_and_saveexec_b64 s[10:11], vcc
	s_cbranch_execz .LBB2263_144
; %bb.103:
	v_mov_b32_e32 v16, s74
	v_cmp_eq_u32_e32 vcc, v75, v72
	v_add_u32_e32 v6, 3, v77
	v_mov_b64_e32 v[18:19], 0
	v_cndmask_b32_e32 v16, v16, v7, vcc
	v_cmp_ne_u32_e32 vcc, v75, v72
	s_mov_b64 s[16:17], 0
	v_mov_b64_e32 v[20:21], v[18:19]
	v_cndmask_b32_e64 v17, 0, 1, vcc
	v_cmp_gt_u32_e32 vcc, s60, v6
	v_mov_b64_e32 v[22:23], v[18:19]
	v_mov_b64_e32 v[24:25], v[18:19]
	;; [unrolled: 1-line block ×17, first 2 shown]
                                        ; implicit-def: $sgpr18_sgpr19
                                        ; implicit-def: $vgpr6
	s_and_saveexec_b64 s[12:13], vcc
	s_cbranch_execz .LBB2263_143
; %bb.104:
	ds_read2_b32 v[6:7], v76 offset0:3 offset1:4
	v_mov_b32_e32 v18, s74
	v_cmp_eq_u32_e32 vcc, v72, v73
	v_add_u32_e32 v20, 4, v77
	s_mov_b64 s[18:19], 0
	s_waitcnt lgkmcnt(0)
	v_cndmask_b32_e32 v18, v18, v6, vcc
	v_cmp_ne_u32_e32 vcc, v72, v73
                                        ; implicit-def: $sgpr20_sgpr21
                                        ; implicit-def: $vgpr6
	s_nop 1
	v_cndmask_b32_e64 v19, 0, 1, vcc
	v_cmp_gt_u32_e32 vcc, s60, v20
	v_mov_b64_e32 v[20:21], 0
	v_mov_b64_e32 v[22:23], v[20:21]
	;; [unrolled: 1-line block ×18, first 2 shown]
	s_and_saveexec_b64 s[14:15], vcc
	s_cbranch_execz .LBB2263_142
; %bb.105:
	v_mov_b32_e32 v20, s74
	v_cmp_eq_u32_e32 vcc, v73, v70
	v_add_u32_e32 v6, 5, v77
	v_mov_b64_e32 v[22:23], 0
	v_cndmask_b32_e32 v20, v20, v7, vcc
	v_cmp_ne_u32_e32 vcc, v73, v70
	s_mov_b64 s[20:21], 0
	v_mov_b64_e32 v[24:25], v[22:23]
	v_cndmask_b32_e64 v21, 0, 1, vcc
	v_cmp_gt_u32_e32 vcc, s60, v6
	v_mov_b64_e32 v[26:27], v[22:23]
	v_mov_b64_e32 v[28:29], v[22:23]
	;; [unrolled: 1-line block ×15, first 2 shown]
                                        ; implicit-def: $sgpr22_sgpr23
                                        ; implicit-def: $vgpr6
	s_and_saveexec_b64 s[16:17], vcc
	s_cbranch_execz .LBB2263_141
; %bb.106:
	ds_read2_b32 v[6:7], v76 offset0:5 offset1:6
	v_mov_b32_e32 v22, s74
	v_cmp_eq_u32_e32 vcc, v70, v71
	v_add_u32_e32 v24, 6, v77
	s_mov_b64 s[22:23], 0
	s_waitcnt lgkmcnt(0)
	v_cndmask_b32_e32 v22, v22, v6, vcc
	v_cmp_ne_u32_e32 vcc, v70, v71
                                        ; implicit-def: $sgpr24_sgpr25
                                        ; implicit-def: $vgpr6
	s_nop 1
	v_cndmask_b32_e64 v23, 0, 1, vcc
	v_cmp_gt_u32_e32 vcc, s60, v24
	v_mov_b64_e32 v[24:25], 0
	v_mov_b64_e32 v[26:27], v[24:25]
	;; [unrolled: 1-line block ×16, first 2 shown]
	s_and_saveexec_b64 s[18:19], vcc
	s_cbranch_execz .LBB2263_140
; %bb.107:
	v_mov_b32_e32 v24, s74
	v_cmp_eq_u32_e32 vcc, v71, v68
	v_add_u32_e32 v6, 7, v77
	v_mov_b64_e32 v[26:27], 0
	v_cndmask_b32_e32 v24, v24, v7, vcc
	v_cmp_ne_u32_e32 vcc, v71, v68
	s_mov_b64 s[24:25], 0
	v_mov_b64_e32 v[28:29], v[26:27]
	v_cndmask_b32_e64 v25, 0, 1, vcc
	v_cmp_gt_u32_e32 vcc, s60, v6
	v_mov_b64_e32 v[30:31], v[26:27]
	v_mov_b64_e32 v[32:33], v[26:27]
	;; [unrolled: 1-line block ×13, first 2 shown]
                                        ; implicit-def: $sgpr26_sgpr27
                                        ; implicit-def: $vgpr6
	s_and_saveexec_b64 s[20:21], vcc
	s_cbranch_execz .LBB2263_139
; %bb.108:
	ds_read2_b32 v[6:7], v76 offset0:7 offset1:8
	v_mov_b32_e32 v26, s74
	v_cmp_eq_u32_e32 vcc, v68, v69
	v_add_u32_e32 v28, 8, v77
	s_mov_b64 s[26:27], 0
	s_waitcnt lgkmcnt(0)
	v_cndmask_b32_e32 v26, v26, v6, vcc
	v_cmp_ne_u32_e32 vcc, v68, v69
                                        ; implicit-def: $sgpr28_sgpr29
                                        ; implicit-def: $vgpr6
	s_nop 1
	v_cndmask_b32_e64 v27, 0, 1, vcc
	v_cmp_gt_u32_e32 vcc, s60, v28
	v_mov_b64_e32 v[28:29], 0
	v_mov_b64_e32 v[30:31], v[28:29]
	;; [unrolled: 1-line block ×14, first 2 shown]
	s_and_saveexec_b64 s[22:23], vcc
	s_cbranch_execz .LBB2263_138
; %bb.109:
	v_mov_b32_e32 v28, s74
	v_cmp_eq_u32_e32 vcc, v69, v66
	v_add_u32_e32 v6, 9, v77
	v_mov_b64_e32 v[30:31], 0
	v_cndmask_b32_e32 v28, v28, v7, vcc
	v_cmp_ne_u32_e32 vcc, v69, v66
	s_mov_b64 s[28:29], 0
	v_mov_b64_e32 v[32:33], v[30:31]
	v_cndmask_b32_e64 v29, 0, 1, vcc
	v_cmp_gt_u32_e32 vcc, s60, v6
	v_mov_b64_e32 v[34:35], v[30:31]
	v_mov_b64_e32 v[36:37], v[30:31]
	v_mov_b64_e32 v[38:39], v[30:31]
	v_mov_b64_e32 v[40:41], v[30:31]
	v_mov_b64_e32 v[42:43], v[30:31]
	v_mov_b64_e32 v[44:45], v[30:31]
	v_mov_b64_e32 v[46:47], v[30:31]
	v_mov_b64_e32 v[48:49], v[30:31]
	v_mov_b64_e32 v[50:51], v[30:31]
	v_mov_b64_e32 v[52:53], v[30:31]
	v_mov_b64_e32 v[54:55], v[30:31]
                                        ; implicit-def: $sgpr30_sgpr31
                                        ; implicit-def: $vgpr6
	s_and_saveexec_b64 s[24:25], vcc
	s_cbranch_execz .LBB2263_137
; %bb.110:
	ds_read2_b32 v[6:7], v76 offset0:9 offset1:10
	v_mov_b32_e32 v30, s74
	v_cmp_eq_u32_e32 vcc, v66, v67
	v_add_u32_e32 v32, 10, v77
	s_mov_b64 s[30:31], 0
	s_waitcnt lgkmcnt(0)
	v_cndmask_b32_e32 v30, v30, v6, vcc
	v_cmp_ne_u32_e32 vcc, v66, v67
                                        ; implicit-def: $sgpr34_sgpr35
                                        ; implicit-def: $vgpr6
	s_nop 1
	v_cndmask_b32_e64 v31, 0, 1, vcc
	v_cmp_gt_u32_e32 vcc, s60, v32
	v_mov_b64_e32 v[32:33], 0
	v_mov_b64_e32 v[34:35], v[32:33]
	;; [unrolled: 1-line block ×12, first 2 shown]
	s_and_saveexec_b64 s[26:27], vcc
	s_cbranch_execz .LBB2263_136
; %bb.111:
	v_mov_b32_e32 v32, s74
	v_cmp_eq_u32_e32 vcc, v67, v64
	v_add_u32_e32 v6, 11, v77
	v_mov_b64_e32 v[34:35], 0
	v_cndmask_b32_e32 v32, v32, v7, vcc
	v_cmp_ne_u32_e32 vcc, v67, v64
	s_mov_b64 s[34:35], 0
	v_mov_b64_e32 v[36:37], v[34:35]
	v_cndmask_b32_e64 v33, 0, 1, vcc
	v_cmp_gt_u32_e32 vcc, s60, v6
	v_mov_b64_e32 v[38:39], v[34:35]
	v_mov_b64_e32 v[40:41], v[34:35]
	;; [unrolled: 1-line block ×9, first 2 shown]
                                        ; implicit-def: $sgpr36_sgpr37
                                        ; implicit-def: $vgpr6
	s_and_saveexec_b64 s[28:29], vcc
	s_cbranch_execz .LBB2263_135
; %bb.112:
	ds_read2_b32 v[6:7], v76 offset0:11 offset1:12
	v_mov_b32_e32 v34, s74
	v_cmp_eq_u32_e32 vcc, v64, v65
	v_add_u32_e32 v36, 12, v77
	s_mov_b64 s[36:37], 0
	s_waitcnt lgkmcnt(0)
	v_cndmask_b32_e32 v34, v34, v6, vcc
	v_cmp_ne_u32_e32 vcc, v64, v65
                                        ; implicit-def: $sgpr38_sgpr39
                                        ; implicit-def: $vgpr6
	s_nop 1
	v_cndmask_b32_e64 v35, 0, 1, vcc
	v_cmp_gt_u32_e32 vcc, s60, v36
	v_mov_b64_e32 v[36:37], 0
	v_mov_b64_e32 v[38:39], v[36:37]
	;; [unrolled: 1-line block ×10, first 2 shown]
	s_and_saveexec_b64 s[30:31], vcc
	s_cbranch_execz .LBB2263_134
; %bb.113:
	v_mov_b32_e32 v36, s74
	v_cmp_eq_u32_e32 vcc, v65, v62
	v_add_u32_e32 v6, 13, v77
	v_mov_b64_e32 v[38:39], 0
	v_cndmask_b32_e32 v36, v36, v7, vcc
	v_cmp_ne_u32_e32 vcc, v65, v62
	s_mov_b64 s[38:39], 0
	v_mov_b64_e32 v[40:41], v[38:39]
	v_cndmask_b32_e64 v37, 0, 1, vcc
	v_cmp_gt_u32_e32 vcc, s60, v6
	v_mov_b64_e32 v[42:43], v[38:39]
	v_mov_b64_e32 v[44:45], v[38:39]
	;; [unrolled: 1-line block ×7, first 2 shown]
                                        ; implicit-def: $sgpr40_sgpr41
                                        ; implicit-def: $vgpr6
	s_and_saveexec_b64 s[34:35], vcc
	s_cbranch_execz .LBB2263_133
; %bb.114:
	ds_read2_b32 v[6:7], v76 offset0:13 offset1:14
	v_mov_b32_e32 v38, s74
	v_cmp_eq_u32_e32 vcc, v62, v63
	v_add_u32_e32 v40, 14, v77
	s_mov_b64 s[40:41], 0
	s_waitcnt lgkmcnt(0)
	v_cndmask_b32_e32 v38, v38, v6, vcc
	v_cmp_ne_u32_e32 vcc, v62, v63
                                        ; implicit-def: $sgpr42_sgpr43
                                        ; implicit-def: $vgpr6
	s_nop 1
	v_cndmask_b32_e64 v39, 0, 1, vcc
	v_cmp_gt_u32_e32 vcc, s60, v40
	v_mov_b64_e32 v[40:41], 0
	v_mov_b64_e32 v[42:43], v[40:41]
	;; [unrolled: 1-line block ×8, first 2 shown]
	s_and_saveexec_b64 s[36:37], vcc
	s_cbranch_execz .LBB2263_132
; %bb.115:
	v_mov_b32_e32 v40, s74
	v_cmp_eq_u32_e32 vcc, v63, v60
	v_add_u32_e32 v6, 15, v77
	v_mov_b64_e32 v[42:43], 0
	v_cndmask_b32_e32 v40, v40, v7, vcc
	v_cmp_ne_u32_e32 vcc, v63, v60
	s_mov_b64 s[42:43], 0
	v_mov_b64_e32 v[44:45], v[42:43]
	v_cndmask_b32_e64 v41, 0, 1, vcc
	v_cmp_gt_u32_e32 vcc, s60, v6
	v_mov_b64_e32 v[46:47], v[42:43]
	v_mov_b64_e32 v[48:49], v[42:43]
	v_mov_b64_e32 v[50:51], v[42:43]
	v_mov_b64_e32 v[52:53], v[42:43]
	v_mov_b64_e32 v[54:55], v[42:43]
                                        ; implicit-def: $sgpr44_sgpr45
                                        ; implicit-def: $vgpr6
	s_and_saveexec_b64 s[38:39], vcc
	s_cbranch_execz .LBB2263_131
; %bb.116:
	ds_read2_b32 v[6:7], v76 offset0:15 offset1:16
	v_mov_b32_e32 v42, s74
	v_cmp_eq_u32_e32 vcc, v60, v61
	v_add_u32_e32 v44, 16, v77
	s_mov_b64 s[44:45], 0
	s_waitcnt lgkmcnt(0)
	v_cndmask_b32_e32 v42, v42, v6, vcc
	v_cmp_ne_u32_e32 vcc, v60, v61
                                        ; implicit-def: $sgpr46_sgpr47
                                        ; implicit-def: $vgpr6
	s_nop 1
	v_cndmask_b32_e64 v43, 0, 1, vcc
	v_cmp_gt_u32_e32 vcc, s60, v44
	v_mov_b64_e32 v[44:45], 0
	v_mov_b64_e32 v[46:47], v[44:45]
	;; [unrolled: 1-line block ×6, first 2 shown]
	s_and_saveexec_b64 s[40:41], vcc
	s_cbranch_execz .LBB2263_130
; %bb.117:
	v_mov_b32_e32 v44, s74
	v_cmp_eq_u32_e32 vcc, v61, v58
	v_add_u32_e32 v6, 17, v77
	v_mov_b64_e32 v[46:47], 0
	v_cndmask_b32_e32 v44, v44, v7, vcc
	v_cmp_ne_u32_e32 vcc, v61, v58
	s_mov_b64 s[46:47], 0
	v_mov_b64_e32 v[48:49], v[46:47]
	v_cndmask_b32_e64 v45, 0, 1, vcc
	v_cmp_gt_u32_e32 vcc, s60, v6
	v_mov_b64_e32 v[50:51], v[46:47]
	v_mov_b64_e32 v[52:53], v[46:47]
	;; [unrolled: 1-line block ×3, first 2 shown]
                                        ; implicit-def: $sgpr48_sgpr49
                                        ; implicit-def: $vgpr6
	s_and_saveexec_b64 s[42:43], vcc
	s_cbranch_execz .LBB2263_129
; %bb.118:
	ds_read2_b32 v[6:7], v76 offset0:17 offset1:18
	v_mov_b32_e32 v46, s74
	v_cmp_eq_u32_e32 vcc, v58, v59
	v_add_u32_e32 v48, 18, v77
	s_mov_b64 s[48:49], 0
	s_waitcnt lgkmcnt(0)
	v_cndmask_b32_e32 v46, v46, v6, vcc
	v_cmp_ne_u32_e32 vcc, v58, v59
                                        ; implicit-def: $sgpr50_sgpr51
                                        ; implicit-def: $vgpr6
	s_nop 1
	v_cndmask_b32_e64 v47, 0, 1, vcc
	v_cmp_gt_u32_e32 vcc, s60, v48
	v_mov_b64_e32 v[48:49], 0
	v_mov_b64_e32 v[50:51], v[48:49]
	;; [unrolled: 1-line block ×4, first 2 shown]
	s_and_saveexec_b64 s[44:45], vcc
	s_cbranch_execz .LBB2263_128
; %bb.119:
	v_mov_b32_e32 v48, s74
	v_cmp_eq_u32_e32 vcc, v59, v56
	v_add_u32_e32 v6, 19, v77
	v_mov_b64_e32 v[50:51], 0
	v_cndmask_b32_e32 v48, v48, v7, vcc
	v_cmp_ne_u32_e32 vcc, v59, v56
	s_mov_b64 s[50:51], 0
	v_mov_b64_e32 v[52:53], v[50:51]
	v_cndmask_b32_e64 v49, 0, 1, vcc
	v_cmp_gt_u32_e32 vcc, s60, v6
	v_mov_b64_e32 v[54:55], v[50:51]
                                        ; implicit-def: $sgpr56_sgpr57
                                        ; implicit-def: $vgpr6
	s_and_saveexec_b64 s[46:47], vcc
	s_cbranch_execz .LBB2263_127
; %bb.120:
	ds_read2_b32 v[6:7], v76 offset0:19 offset1:20
	v_mov_b32_e32 v50, s74
	v_cmp_eq_u32_e32 vcc, v56, v57
	v_add_u32_e32 v52, 20, v77
	s_mov_b64 s[56:57], 0
	s_waitcnt lgkmcnt(0)
	v_cndmask_b32_e32 v50, v50, v6, vcc
	v_cmp_ne_u32_e32 vcc, v56, v57
                                        ; implicit-def: $sgpr58_sgpr59
                                        ; implicit-def: $vgpr6
	s_nop 1
	v_cndmask_b32_e64 v51, 0, 1, vcc
	v_cmp_gt_u32_e32 vcc, s60, v52
	v_mov_b64_e32 v[52:53], 0
	v_mov_b64_e32 v[54:55], v[52:53]
	s_and_saveexec_b64 s[48:49], vcc
	s_cbranch_execz .LBB2263_126
; %bb.121:
	v_mov_b32_e32 v52, s74
	v_cmp_eq_u32_e32 vcc, v57, v8
	v_add_u32_e32 v6, 21, v77
	v_mov_b64_e32 v[54:55], 0
	v_cndmask_b32_e32 v52, v52, v7, vcc
	v_cmp_ne_u32_e32 vcc, v57, v8
                                        ; implicit-def: $sgpr58_sgpr59
	s_nop 1
	v_cndmask_b32_e64 v53, 0, 1, vcc
	v_cmp_gt_u32_e32 vcc, s60, v6
                                        ; implicit-def: $vgpr6
	s_and_saveexec_b64 s[50:51], vcc
	s_cbranch_execz .LBB2263_125
; %bb.122:
	ds_read2_b32 v[6:7], v76 offset0:21 offset1:22
	v_mov_b32_e32 v54, s74
	v_cmp_eq_u32_e32 vcc, v8, v9
	v_add_u32_e32 v56, 22, v77
                                        ; implicit-def: $sgpr58_sgpr59
	s_waitcnt lgkmcnt(0)
	v_cndmask_b32_e32 v54, v54, v6, vcc
	v_cmp_ne_u32_e32 vcc, v8, v9
                                        ; implicit-def: $vgpr6
	s_nop 1
	v_cndmask_b32_e64 v55, 0, 1, vcc
	v_cmp_gt_u32_e32 vcc, s60, v56
	s_and_saveexec_b64 s[60:61], vcc
	s_xor_b64 s[60:61], exec, s[60:61]
; %bb.123:
	v_mov_b32_e32 v6, s74
	v_cmp_ne_u32_e32 vcc, v9, v1
	s_mov_b64 s[56:57], exec
	s_and_b64 s[58:59], vcc, exec
	v_cndmask_b32_e32 v6, v7, v6, vcc
; %bb.124:
	s_or_b64 exec, exec, s[60:61]
	s_and_b64 s[58:59], s[58:59], exec
	s_and_b64 s[56:57], s[56:57], exec
.LBB2263_125:
	s_or_b64 exec, exec, s[50:51]
	s_and_b64 s[58:59], s[58:59], exec
	s_and_b64 s[50:51], s[56:57], exec
.LBB2263_126:
	s_or_b64 exec, exec, s[48:49]
	s_and_b64 s[56:57], s[58:59], exec
	s_and_b64 s[48:49], s[50:51], exec
.LBB2263_127:
	s_or_b64 exec, exec, s[46:47]
	s_and_b64 s[50:51], s[56:57], exec
	s_and_b64 s[46:47], s[48:49], exec
.LBB2263_128:
	s_or_b64 exec, exec, s[44:45]
	s_and_b64 s[48:49], s[50:51], exec
	s_and_b64 s[44:45], s[46:47], exec
.LBB2263_129:
	s_or_b64 exec, exec, s[42:43]
	s_and_b64 s[46:47], s[48:49], exec
	s_and_b64 s[42:43], s[44:45], exec
.LBB2263_130:
	s_or_b64 exec, exec, s[40:41]
	s_and_b64 s[44:45], s[46:47], exec
	s_and_b64 s[40:41], s[42:43], exec
.LBB2263_131:
	s_or_b64 exec, exec, s[38:39]
	s_and_b64 s[42:43], s[44:45], exec
	s_and_b64 s[38:39], s[40:41], exec
.LBB2263_132:
	s_or_b64 exec, exec, s[36:37]
	s_and_b64 s[40:41], s[42:43], exec
	s_and_b64 s[36:37], s[38:39], exec
.LBB2263_133:
	s_or_b64 exec, exec, s[34:35]
	s_and_b64 s[38:39], s[40:41], exec
	s_and_b64 s[34:35], s[36:37], exec
.LBB2263_134:
	s_or_b64 exec, exec, s[30:31]
	s_and_b64 s[36:37], s[38:39], exec
	s_and_b64 s[30:31], s[34:35], exec
.LBB2263_135:
	s_or_b64 exec, exec, s[28:29]
	s_and_b64 s[34:35], s[36:37], exec
	s_and_b64 s[28:29], s[30:31], exec
.LBB2263_136:
	s_or_b64 exec, exec, s[26:27]
	s_and_b64 s[30:31], s[34:35], exec
	s_and_b64 s[26:27], s[28:29], exec
.LBB2263_137:
	s_or_b64 exec, exec, s[24:25]
	s_and_b64 s[28:29], s[30:31], exec
	s_and_b64 s[24:25], s[26:27], exec
.LBB2263_138:
	s_or_b64 exec, exec, s[22:23]
	s_and_b64 s[26:27], s[28:29], exec
	s_and_b64 s[22:23], s[24:25], exec
.LBB2263_139:
	s_or_b64 exec, exec, s[20:21]
	s_and_b64 s[24:25], s[26:27], exec
	s_and_b64 s[20:21], s[22:23], exec
.LBB2263_140:
	s_or_b64 exec, exec, s[18:19]
	s_and_b64 s[22:23], s[24:25], exec
	s_and_b64 s[18:19], s[20:21], exec
.LBB2263_141:
	s_or_b64 exec, exec, s[16:17]
	s_and_b64 s[20:21], s[22:23], exec
	s_and_b64 s[16:17], s[18:19], exec
.LBB2263_142:
	s_or_b64 exec, exec, s[14:15]
	s_and_b64 s[18:19], s[20:21], exec
	s_and_b64 s[14:15], s[16:17], exec
.LBB2263_143:
	s_or_b64 exec, exec, s[12:13]
	s_and_b64 s[16:17], s[18:19], exec
	s_and_b64 s[12:13], s[14:15], exec
.LBB2263_144:
	s_or_b64 exec, exec, s[10:11]
	s_and_b64 s[14:15], s[16:17], exec
	s_and_b64 s[10:11], s[12:13], exec
.LBB2263_145:
	s_or_b64 exec, exec, s[8:9]
	s_and_b64 s[8:9], s[14:15], exec
	s_and_b64 s[10:11], s[10:11], exec
.LBB2263_146:
	s_or_b64 exec, exec, s[6:7]
	s_mov_b64 s[6:7], 0
	s_and_b64 vcc, exec, s[0:1]
	v_lshlrev_b32_e32 v56, 2, v0
	s_cbranch_vccz .LBB2263_152
.LBB2263_147:
	v_mov_b32_e32 v57, 0
	v_lshl_add_u64 v[6:7], v[4:5], 0, v[56:57]
	v_add_co_u32_e32 v8, vcc, 0x1000, v6
	s_movk_i32 s6, 0x58
	s_nop 0
	v_addc_co_u32_e32 v9, vcc, 0, v7, vcc
	flat_load_dword v1, v[6:7]
	flat_load_dword v14, v[6:7] offset:1024
	flat_load_dword v15, v[6:7] offset:2048
	;; [unrolled: 1-line block ×3, first 2 shown]
	flat_load_dword v17, v[8:9]
	flat_load_dword v18, v[8:9] offset:1024
	flat_load_dword v19, v[8:9] offset:2048
	;; [unrolled: 1-line block ×3, first 2 shown]
	v_add_co_u32_e32 v8, vcc, 0x2000, v6
	s_movk_i32 s11, 0x1000
	s_nop 0
	v_addc_co_u32_e32 v9, vcc, 0, v7, vcc
	v_add_co_u32_e32 v12, vcc, 0x3000, v6
	s_mov_b32 s0, 0
	s_nop 0
	v_addc_co_u32_e32 v13, vcc, 0, v7, vcc
	flat_load_dword v21, v[8:9]
	flat_load_dword v22, v[8:9] offset:1024
	flat_load_dword v23, v[8:9] offset:2048
	;; [unrolled: 1-line block ×3, first 2 shown]
	flat_load_dword v25, v[12:13]
	flat_load_dword v26, v[12:13] offset:1024
	flat_load_dword v27, v[12:13] offset:2048
	;; [unrolled: 1-line block ×3, first 2 shown]
	v_add_co_u32_e32 v8, vcc, 0x4000, v6
	s_movk_i32 s10, 0x2000
	s_nop 0
	v_addc_co_u32_e32 v9, vcc, 0, v7, vcc
	v_add_co_u32_e32 v6, vcc, 0x5000, v6
	s_movk_i32 s9, 0x3000
	s_nop 0
	v_addc_co_u32_e32 v7, vcc, 0, v7, vcc
	flat_load_dword v12, v[8:9]
	flat_load_dword v13, v[8:9] offset:1024
	flat_load_dword v29, v[8:9] offset:2048
	;; [unrolled: 1-line block ×3, first 2 shown]
	flat_load_dword v31, v[6:7]
	flat_load_dword v32, v[6:7] offset:1024
	flat_load_dword v33, v[6:7] offset:2048
	v_add_co_u32_e32 v4, vcc, 0x5000, v4
	s_movk_i32 s8, 0x4000
	s_nop 0
	v_addc_co_u32_e32 v5, vcc, 0, v5, vcc
	s_movk_i32 s1, 0x5000
	s_waitcnt vmcnt(0) lgkmcnt(0)
	ds_write2st64_b32 v56, v1, v14 offset1:4
	ds_write2st64_b32 v56, v15, v16 offset0:8 offset1:12
	ds_write2st64_b32 v56, v17, v18 offset0:16 offset1:20
	;; [unrolled: 1-line block ×10, first 2 shown]
	ds_write_b32 v56, v33 offset:22528
	s_waitcnt lgkmcnt(0)
	s_barrier
	flat_load_dword v1, v[4:5] offset:3072
	v_mad_u32_u24 v14, v0, s6, v56
	s_movk_i32 s6, 0xffa8
	v_mad_i32_i24 v13, v0, s6, v14
	s_movk_i32 s6, 0xff
	v_cmp_ne_u32_e32 vcc, s6, v0
	ds_read_b32 v12, v14
	ds_read2_b32 v[16:17], v14 offset0:1 offset1:2
	ds_read2_b32 v[20:21], v14 offset0:3 offset1:4
	;; [unrolled: 1-line block ×11, first 2 shown]
	s_waitcnt lgkmcnt(0)
	ds_write_b32 v13, v12 offset:24576
	s_waitcnt lgkmcnt(0)
	s_barrier
	s_and_saveexec_b64 s[6:7], vcc
	s_cbranch_execz .LBB2263_149
; %bb.148:
	s_waitcnt vmcnt(0)
	ds_read_b32 v1, v56 offset:24580
.LBB2263_149:
	s_or_b64 exec, exec, s[6:7]
	v_lshl_add_u64 v[2:3], v[2:3], 0, v[56:57]
	v_add_co_u32_e32 v18, vcc, s11, v2
	s_waitcnt lgkmcnt(0)
	s_nop 0
	v_addc_co_u32_e32 v19, vcc, 0, v3, vcc
	s_barrier
	flat_load_dword v13, v[2:3]
	flat_load_dword v15, v[2:3] offset:1024
	flat_load_dword v26, v[2:3] offset:2048
	flat_load_dword v27, v[2:3] offset:3072
	flat_load_dword v30, v[18:19]
	flat_load_dword v31, v[18:19] offset:1024
	flat_load_dword v34, v[18:19] offset:2048
	;; [unrolled: 1-line block ×3, first 2 shown]
	v_add_co_u32_e32 v18, vcc, s10, v2
	s_nop 1
	v_addc_co_u32_e32 v19, vcc, 0, v3, vcc
	v_add_co_u32_e32 v22, vcc, s9, v2
	s_nop 1
	v_addc_co_u32_e32 v23, vcc, 0, v3, vcc
	flat_load_dword v38, v[18:19]
	flat_load_dword v39, v[18:19] offset:1024
	flat_load_dword v42, v[18:19] offset:2048
	flat_load_dword v43, v[18:19] offset:3072
	flat_load_dword v46, v[22:23]
	flat_load_dword v47, v[22:23] offset:1024
	flat_load_dword v48, v[22:23] offset:2048
	;; [unrolled: 1-line block ×3, first 2 shown]
	v_add_co_u32_e32 v18, vcc, s8, v2
	s_nop 1
	v_addc_co_u32_e32 v19, vcc, 0, v3, vcc
	v_add_co_u32_e32 v2, vcc, s1, v2
	s_mov_b32 s1, 1
	s_nop 0
	v_addc_co_u32_e32 v3, vcc, 0, v3, vcc
	flat_load_dword v22, v[18:19]
	flat_load_dword v23, v[18:19] offset:1024
	flat_load_dword v50, v[18:19] offset:2048
	;; [unrolled: 1-line block ×3, first 2 shown]
	flat_load_dword v52, v[2:3]
	flat_load_dword v53, v[2:3] offset:1024
	flat_load_dword v54, v[2:3] offset:2048
	v_cmp_eq_u32_e32 vcc, v12, v16
	s_waitcnt vmcnt(0) lgkmcnt(0)
	ds_write2st64_b32 v56, v13, v15 offset1:4
	ds_write2st64_b32 v56, v26, v27 offset0:8 offset1:12
	ds_write2st64_b32 v56, v30, v31 offset0:16 offset1:20
	;; [unrolled: 1-line block ×10, first 2 shown]
	ds_write_b32 v56, v54 offset:22528
	s_waitcnt lgkmcnt(0)
	s_barrier
	ds_read2_b32 v[18:19], v14 offset0:1 offset1:2
	ds_read2_b32 v[22:23], v14 offset0:3 offset1:4
	;; [unrolled: 1-line block ×11, first 2 shown]
	v_mov_b64_e32 v[12:13], s[0:1]
	v_mov_b32_e32 v15, s74
	s_and_saveexec_b64 s[0:1], vcc
	s_cbranch_execz .LBB2263_151
; %bb.150:
	ds_read_b32 v15, v14
	v_mov_b64_e32 v[12:13], 0
.LBB2263_151:
	s_or_b64 exec, exec, s[0:1]
	v_mov_b32_e32 v57, s74
	v_cmp_eq_u32_e32 vcc, v16, v17
	s_waitcnt lgkmcnt(0)
	v_or_b32_e32 v12, v12, v15
	v_cmp_ne_u32_e64 s[8:9], v5, v1
	v_cndmask_b32_e32 v14, v57, v18, vcc
	v_cmp_ne_u32_e32 vcc, v16, v17
	s_mov_b64 s[10:11], -1
                                        ; implicit-def: $sgpr6_sgpr7
	s_nop 0
	v_cndmask_b32_e64 v15, 0, 1, vcc
	v_cmp_eq_u32_e32 vcc, v17, v20
	s_nop 1
	v_cndmask_b32_e32 v16, v57, v19, vcc
	v_cmp_ne_u32_e32 vcc, v17, v20
	s_nop 1
	v_cndmask_b32_e64 v17, 0, 1, vcc
	v_cmp_eq_u32_e32 vcc, v20, v21
	s_nop 1
	v_cndmask_b32_e32 v18, v57, v22, vcc
	v_cmp_ne_u32_e32 vcc, v20, v21
	;; [unrolled: 6-line block ×18, first 2 shown]
	v_cndmask_b32_e64 v6, v3, v57, s[8:9]
	s_nop 0
	v_cndmask_b32_e64 v51, 0, 1, vcc
	v_cmp_eq_u32_e32 vcc, v7, v4
	s_nop 1
	v_cndmask_b32_e32 v52, v57, v53, vcc
	v_cmp_ne_u32_e32 vcc, v7, v4
	s_nop 1
	v_cndmask_b32_e64 v53, 0, 1, vcc
	v_cmp_eq_u32_e32 vcc, v4, v5
	s_nop 1
	v_cndmask_b32_e32 v54, v57, v2, vcc
	v_cmp_ne_u32_e32 vcc, v4, v5
	s_nop 1
	v_cndmask_b32_e64 v55, 0, 1, vcc
.LBB2263_152:
	v_mov_b64_e32 v[58:59], s[6:7]
	s_and_saveexec_b64 s[0:1], s[10:11]
; %bb.153:
	v_cndmask_b32_e64 v7, 0, 1, s[8:9]
	v_mov_b64_e32 v[58:59], v[6:7]
; %bb.154:
	s_or_b64 exec, exec, s[0:1]
	s_mov_b32 s0, 0
	s_cmp_lg_u32 s67, 0
	v_or_b32_e32 v57, v59, v55
	v_lshrrev_b32_e32 v1, 5, v0
	v_cmp_gt_u32_e32 vcc, 64, v0
	s_barrier
	s_cbranch_scc0 .LBB2263_189
; %bb.155:
	s_mov_b32 s1, 1
	v_cmp_gt_u64_e64 s[6:7], s[0:1], v[14:15]
	v_cmp_gt_u64_e64 s[8:9], s[0:1], v[16:17]
	v_cmp_gt_u64_e64 s[10:11], s[0:1], v[18:19]
	v_cndmask_b32_e64 v2, 0, v12, s[6:7]
	v_add_u32_e32 v2, v2, v14
	v_cndmask_b32_e64 v2, 0, v2, s[8:9]
	v_add_u32_e32 v2, v2, v16
	v_cndmask_b32_e64 v2, 0, v2, s[10:11]
	v_add_u32_e32 v2, v2, v18
	v_cmp_gt_u64_e64 s[12:13], s[0:1], v[20:21]
	v_cmp_gt_u64_e64 s[14:15], s[0:1], v[22:23]
	v_cmp_gt_u64_e64 s[16:17], s[0:1], v[24:25]
	v_cndmask_b32_e64 v2, 0, v2, s[12:13]
	v_add_u32_e32 v2, v2, v20
	v_cndmask_b32_e64 v2, 0, v2, s[14:15]
	v_add_u32_e32 v2, v2, v22
	v_cndmask_b32_e64 v2, 0, v2, s[16:17]
	v_add_u32_e32 v2, v2, v24
	;; [unrolled: 9-line block ×7, first 2 shown]
	v_cmp_gt_u64_e64 s[0:1], s[0:1], v[58:59]
	s_nop 1
	v_cndmask_b32_e64 v2, 0, v2, s[0:1]
	v_add_u32_e32 v64, v2, v58
	v_or3_b32 v2, v57, v53, v51
	v_or3_b32 v2, v2, v49, v47
	;; [unrolled: 1-line block ×10, first 2 shown]
	v_and_b32_e32 v2, 1, v2
	v_cmp_eq_u32_e64 s[0:1], 1, v2
	v_add_lshl_u32 v2, v1, v0, 3
	s_nop 0
	v_cndmask_b32_e64 v65, v13, 1, s[0:1]
	ds_write_b32 v2, v64
	ds_write_b8 v2, v65 offset:4
	s_waitcnt lgkmcnt(0)
	s_barrier
	s_and_saveexec_b64 s[50:51], vcc
	s_cbranch_execz .LBB2263_167
; %bb.156:
	v_lshrrev_b32_e32 v2, 3, v0
	v_add_lshl_u32 v4, v2, v56, 3
	ds_read2_b32 v[6:7], v4 offset0:2 offset1:4
	ds_read_b64 v[2:3], v4
	ds_read_u8 v8, v4 offset:12
	ds_read_u8 v9, v4 offset:20
	ds_read_b32 v60, v4 offset:24
	ds_read_u8 v61, v4 offset:28
	v_mov_b32_e32 v62, 0
	s_waitcnt lgkmcnt(3)
	v_cmp_eq_u16_sdwa s[0:1], v8, v62 src0_sel:BYTE_0 src1_sel:DWORD
	v_and_b32_e32 v5, 1, v3
	s_nop 0
	v_cndmask_b32_e64 v63, 0, v2, s[0:1]
	v_add_u32_e32 v6, v63, v6
	s_waitcnt lgkmcnt(2)
	v_cmp_eq_u16_sdwa s[0:1], v9, v62 src0_sel:BYTE_0 src1_sel:DWORD
	s_nop 1
	v_cndmask_b32_e64 v6, 0, v6, s[0:1]
	v_add_u32_e32 v6, v6, v7
	s_waitcnt lgkmcnt(0)
	v_cmp_eq_u16_e64 s[0:1], 0, v61
	s_nop 1
	v_cndmask_b32_e64 v6, 0, v6, s[0:1]
	v_add_u32_e32 v7, v6, v60
	v_or_b32_e32 v6, v61, v9
	v_or_b32_e32 v6, v6, v8
	v_and_b32_e32 v6, 1, v6
	v_cmp_eq_u32_e64 s[0:1], 1, v6
	v_mbcnt_lo_u32_b32 v8, -1, 0
	v_and_b32_e32 v6, 0xffffff00, v3
	v_cndmask_b32_e64 v9, v5, 1, s[0:1]
	v_mbcnt_hi_u32_b32 v8, -1, v8
	v_and_b32_e32 v61, 15, v8
	v_or_b32_sdwa v60, v6, v9 dst_sel:DWORD dst_unused:UNUSED_PAD src0_sel:DWORD src1_sel:WORD_0
	v_mov_b32_dpp v62, v7 row_shr:1 row_mask:0xf bank_mask:0xf
	v_cmp_ne_u32_e64 s[0:1], 0, v61
	v_mov_b32_dpp v63, v60 row_shr:1 row_mask:0xf bank_mask:0xf
	s_and_saveexec_b64 s[56:57], s[0:1]
; %bb.157:
	v_and_b32_e32 v60, 1, v9
	v_and_b32_e32 v63, 1, v63
	v_cmp_eq_u32_e64 s[0:1], 1, v60
	s_nop 1
	v_cndmask_b32_e64 v63, v63, 1, s[0:1]
	v_cmp_eq_u16_e64 s[0:1], 0, v9
	v_or_b32_sdwa v60, v6, v63 dst_sel:DWORD dst_unused:UNUSED_PAD src0_sel:DWORD src1_sel:WORD_0
	s_nop 0
	v_cndmask_b32_e64 v9, 0, v62, s[0:1]
	v_add_u32_e32 v7, v9, v7
	v_mov_b32_e32 v9, v63
; %bb.158:
	s_or_b64 exec, exec, s[56:57]
	v_mov_b32_dpp v62, v7 row_shr:2 row_mask:0xf bank_mask:0xf
	v_mov_b32_dpp v63, v60 row_shr:2 row_mask:0xf bank_mask:0xf
	v_cmp_lt_u32_e64 s[0:1], 1, v61
	s_and_saveexec_b64 s[56:57], s[0:1]
; %bb.159:
	v_and_b32_e32 v60, 1, v9
	v_and_b32_e32 v63, 1, v63
	v_cmp_eq_u32_e64 s[0:1], 1, v60
	s_nop 1
	v_cndmask_b32_e64 v63, v63, 1, s[0:1]
	v_cmp_eq_u16_e64 s[0:1], 0, v9
	v_or_b32_sdwa v60, v6, v63 dst_sel:DWORD dst_unused:UNUSED_PAD src0_sel:DWORD src1_sel:WORD_0
	s_nop 0
	v_cndmask_b32_e64 v9, 0, v62, s[0:1]
	v_add_u32_e32 v7, v9, v7
	v_mov_b32_e32 v9, v63
; %bb.160:
	s_or_b64 exec, exec, s[56:57]
	v_mov_b32_dpp v62, v7 row_shr:4 row_mask:0xf bank_mask:0xf
	v_mov_b32_dpp v63, v60 row_shr:4 row_mask:0xf bank_mask:0xf
	v_cmp_lt_u32_e64 s[0:1], 3, v61
	;; [unrolled: 18-line block ×3, first 2 shown]
	s_and_saveexec_b64 s[56:57], s[0:1]
; %bb.163:
	v_and_b32_e32 v60, 1, v9
	v_and_b32_e32 v61, 1, v63
	v_cmp_eq_u32_e64 s[0:1], 1, v60
	s_nop 1
	v_cndmask_b32_e64 v61, v61, 1, s[0:1]
	v_cmp_eq_u16_e64 s[0:1], 0, v9
	v_or_b32_sdwa v60, v6, v61 dst_sel:DWORD dst_unused:UNUSED_PAD src0_sel:DWORD src1_sel:WORD_0
	s_nop 0
	v_cndmask_b32_e64 v9, 0, v62, s[0:1]
	v_add_u32_e32 v7, v9, v7
	v_mov_b32_e32 v9, v61
; %bb.164:
	s_or_b64 exec, exec, s[56:57]
	v_and_b32_e32 v63, 16, v8
	v_mov_b32_dpp v61, v7 row_bcast:15 row_mask:0xf bank_mask:0xf
	v_mov_b32_dpp v62, v60 row_bcast:15 row_mask:0xf bank_mask:0xf
	v_cmp_ne_u32_e64 s[0:1], 0, v63
	s_and_saveexec_b64 s[56:57], s[0:1]
; %bb.165:
	v_and_b32_e32 v60, 1, v9
	v_and_b32_e32 v62, 1, v62
	v_cmp_eq_u32_e64 s[0:1], 1, v60
	s_nop 1
	v_cndmask_b32_e64 v62, v62, 1, s[0:1]
	v_cmp_eq_u16_e64 s[0:1], 0, v9
	v_or_b32_sdwa v60, v6, v62 dst_sel:DWORD dst_unused:UNUSED_PAD src0_sel:DWORD src1_sel:WORD_0
	s_nop 0
	v_cndmask_b32_e64 v9, 0, v61, s[0:1]
	v_add_u32_e32 v7, v9, v7
	v_mov_b32_e32 v9, v62
; %bb.166:
	s_or_b64 exec, exec, s[56:57]
	v_mov_b32_dpp v60, v60 row_bcast:31 row_mask:0xf bank_mask:0xf
	v_and_b32_e32 v62, 1, v9
	v_and_b32_e32 v60, 1, v60
	v_cmp_eq_u32_e64 s[0:1], 1, v62
	v_mov_b32_e32 v62, 0
	v_cmp_eq_u16_sdwa s[56:57], v9, v62 src0_sel:BYTE_0 src1_sel:DWORD
	v_cndmask_b32_e64 v60, v60, 1, s[0:1]
	v_cmp_lt_u32_e64 s[0:1], 31, v8
	v_mov_b32_dpp v61, v7 row_bcast:31 row_mask:0xf bank_mask:0xf
	s_movk_i32 s58, 0xff
	v_cndmask_b32_e64 v9, v9, v60, s[0:1]
	s_and_b64 s[0:1], s[0:1], s[56:57]
	v_cndmask_b32_e64 v60, 0, v61, s[0:1]
	v_add_u32_e32 v7, v60, v7
	v_add_u32_e32 v60, -1, v8
	v_and_b32_e32 v61, 64, v8
	v_cmp_lt_i32_e64 s[0:1], v60, v61
	v_and_or_b32 v6, v9, s58, v6
	s_nop 0
	v_cndmask_b32_e64 v8, v60, v8, s[0:1]
	v_lshlrev_b32_e32 v8, 2, v8
	ds_bpermute_b32 v7, v8, v7
	ds_bpermute_b32 v6, v8, v6
	v_cmp_eq_u16_sdwa s[0:1], v3, v62 src0_sel:BYTE_0 src1_sel:DWORD
	; wave barrier
	s_waitcnt lgkmcnt(1)
	s_nop 0
	v_cndmask_b32_e64 v3, 0, v7, s[0:1]
	v_add_u32_e32 v2, v3, v2
	s_waitcnt lgkmcnt(0)
	v_and_b32_e32 v3, 1, v6
	v_cmp_eq_u32_e64 s[0:1], 1, v5
	v_cndmask_b32_e64 v5, v2, v64, s[52:53]
	s_nop 0
	v_cndmask_b32_e64 v3, v3, 1, s[0:1]
	v_cndmask_b32_e64 v6, v3, v65, s[52:53]
	ds_write_b32 v4, v5
	ds_write_b8 v4, v6 offset:4
	; wave barrier
	ds_read_u8 v7, v4 offset:12
	ds_read2_b32 v[2:3], v4 offset0:2 offset1:4
	ds_read_u8 v8, v4 offset:20
	ds_read_b32 v9, v4 offset:24
	ds_read_u8 v60, v4 offset:28
	s_waitcnt lgkmcnt(4)
	v_cmp_eq_u16_e64 s[0:1], 0, v7
	s_nop 1
	v_cndmask_b32_e64 v5, 0, v5, s[0:1]
	s_waitcnt lgkmcnt(3)
	v_add_u32_e32 v2, v5, v2
	v_and_b32_e32 v5, 1, v7
	v_cmp_eq_u32_e64 s[0:1], 1, v5
	s_nop 1
	v_cndmask_b32_e64 v5, v6, 1, s[0:1]
	s_waitcnt lgkmcnt(2)
	v_cmp_eq_u16_e64 s[0:1], 0, v8
	ds_write_b8 v4, v5 offset:12
	s_nop 0
	v_cndmask_b32_e64 v6, 0, v2, s[0:1]
	v_add_u32_e32 v3, v6, v3
	v_and_b32_e32 v6, 1, v8
	v_cmp_eq_u32_e64 s[0:1], 1, v6
	s_nop 1
	v_cndmask_b32_e64 v5, v5, 1, s[0:1]
	s_waitcnt lgkmcnt(1)
	v_cmp_eq_u16_e64 s[0:1], 0, v60
	ds_write2_b32 v4, v2, v3 offset0:2 offset1:4
	ds_write_b8 v4, v5 offset:20
	v_cndmask_b32_e64 v2, 0, v3, s[0:1]
	v_and_b32_e32 v3, 1, v60
	v_add_u32_e32 v2, v2, v9
	v_cmp_eq_u32_e64 s[0:1], 1, v3
	s_nop 1
	v_cndmask_b32_e64 v3, v5, 1, s[0:1]
	ds_write_b32 v4, v2 offset:24
	ds_write_b8 v4, v3 offset:28
.LBB2263_167:
	s_or_b64 exec, exec, s[50:51]
	s_waitcnt lgkmcnt(0)
	s_barrier
	s_and_saveexec_b64 s[0:1], s[4:5]
	s_cbranch_execz .LBB2263_169
; %bb.168:
	v_add_u32_e32 v2, -1, v0
	v_lshrrev_b32_e32 v3, 5, v2
	v_add_lshl_u32 v2, v3, v2, 3
	ds_read_b32 v64, v2
	ds_read_u8 v65, v2 offset:4
.LBB2263_169:
	s_or_b64 exec, exec, s[0:1]
	s_and_saveexec_b64 s[56:57], vcc
	s_cbranch_execz .LBB2263_188
; %bb.170:
	v_mov_b32_e32 v5, 0
	ds_read_b64 v[2:3], v5 offset:2096
	v_mbcnt_lo_u32_b32 v4, -1, 0
	v_mbcnt_hi_u32_b32 v75, -1, v4
	s_mov_b32 s59, 0
	v_cmp_eq_u32_e64 s[50:51], 0, v75
	s_waitcnt lgkmcnt(0)
	v_readfirstlane_b32 s68, v3
	s_and_saveexec_b64 s[0:1], s[50:51]
	s_cbranch_execz .LBB2263_172
; %bb.171:
	s_add_i32 s58, s67, 64
	s_lshl_b64 s[60:61], s[58:59], 4
	s_add_u32 s60, s64, s60
	s_addc_u32 s61, s65, s61
	s_and_b32 s77, s68, 0xff000000
	s_mov_b32 s76, s59
	s_and_b32 s79, s68, 0xff0000
	s_mov_b32 s78, s59
	s_or_b64 s[76:77], s[78:79], s[76:77]
	s_and_b32 s79, s68, 0xff00
	s_or_b64 s[76:77], s[76:77], s[78:79]
	s_and_b32 s79, s68, 0xff
	s_or_b64 s[58:59], s[76:77], s[78:79]
	v_mov_b32_e32 v3, s59
	v_mov_b32_e32 v4, 1
	v_mov_b64_e32 v[6:7], s[60:61]
	;;#ASMSTART
	global_store_dwordx4 v[6:7], v[2:5] off sc1	
s_waitcnt vmcnt(0)
	;;#ASMEND
.LBB2263_172:
	s_or_b64 exec, exec, s[0:1]
	v_xad_u32 v60, v75, -1, s67
	v_add_u32_e32 v4, 64, v60
	v_lshl_add_u64 v[62:63], v[4:5], 4, s[64:65]
	;;#ASMSTART
	global_load_dwordx4 v[6:9], v[62:63] off sc1	
s_waitcnt vmcnt(0)
	;;#ASMEND
	s_nop 0
	v_and_b32_e32 v3, 0xff0000, v6
	v_and_b32_e32 v4, 0xff000000, v6
	;; [unrolled: 1-line block ×3, first 2 shown]
	v_or_b32_sdwa v3, v6, v3 dst_sel:DWORD dst_unused:UNUSED_PAD src0_sel:WORD_0 src1_sel:DWORD
	v_or3_b32 v7, 0, 0, v7
	v_or3_b32 v6, v3, v4, 0
	v_cmp_eq_u16_sdwa s[58:59], v8, v5 src0_sel:BYTE_0 src1_sel:DWORD
	s_and_saveexec_b64 s[0:1], s[58:59]
	s_cbranch_execz .LBB2263_176
; %bb.173:
	s_mov_b64 s[58:59], 0
	v_mov_b32_e32 v3, 0
.LBB2263_174:                           ; =>This Inner Loop Header: Depth=1
	;;#ASMSTART
	global_load_dwordx4 v[6:9], v[62:63] off sc1	
s_waitcnt vmcnt(0)
	;;#ASMEND
	s_nop 0
	v_cmp_ne_u16_sdwa s[60:61], v8, v3 src0_sel:BYTE_0 src1_sel:DWORD
	s_or_b64 s[58:59], s[60:61], s[58:59]
	s_andn2_b64 exec, exec, s[58:59]
	s_cbranch_execnz .LBB2263_174
; %bb.175:
	s_or_b64 exec, exec, s[58:59]
	v_and_b32_e32 v7, 0xff, v7
.LBB2263_176:
	s_or_b64 exec, exec, s[0:1]
	v_mov_b32_e32 v3, 2
	v_cmp_eq_u16_sdwa s[0:1], v8, v3 src0_sel:BYTE_0 src1_sel:DWORD
	v_lshlrev_b64 v[4:5], v75, -1
	v_and_b32_e32 v66, 63, v75
	v_and_b32_e32 v9, s1, v5
	v_or_b32_e32 v9, 0x80000000, v9
	v_and_b32_e32 v61, s0, v4
	v_ffbl_b32_e32 v9, v9
	v_add_u32_e32 v9, 32, v9
	v_ffbl_b32_e32 v61, v61
	v_cmp_ne_u32_e32 vcc, 63, v66
	v_min_u32_e32 v9, v61, v9
	s_mov_b32 s58, 0
	v_addc_co_u32_e32 v61, vcc, 0, v75, vcc
	v_lshlrev_b32_e32 v67, 2, v61
	ds_bpermute_b32 v61, v67, v7
	ds_bpermute_b32 v62, v67, v6
	v_and_b32_e32 v63, 1, v7
	s_mov_b32 s59, 1
	v_cmp_eq_u32_e32 vcc, 1, v63
	s_waitcnt lgkmcnt(1)
	v_and_b32_e32 v61, 1, v61
	v_cmp_lt_u32_e64 s[0:1], v66, v9
	v_cndmask_b32_e64 v61, v61, 1, vcc
	v_cmp_gt_u64_e32 vcc, s[58:59], v[6:7]
	s_and_b64 vcc, s[0:1], vcc
	v_and_b32_e32 v63, 0xffff, v61
	v_cndmask_b32_e64 v70, v7, v61, s[0:1]
	s_waitcnt lgkmcnt(0)
	v_cndmask_b32_e32 v61, 0, v62, vcc
	v_cmp_gt_u32_e32 vcc, 62, v66
	v_cndmask_b32_e64 v7, v7, v63, s[0:1]
	v_add_u32_e32 v6, v61, v6
	v_cndmask_b32_e64 v62, 0, 1, vcc
	v_lshlrev_b32_e32 v62, 1, v62
	v_add_lshl_u32 v68, v62, v75, 2
	ds_bpermute_b32 v62, v68, v7
	ds_bpermute_b32 v63, v68, v6
	v_and_b32_e32 v61, 1, v70
	v_cmp_eq_u32_e32 vcc, 1, v61
	v_mov_b32_e32 v61, 0
	s_waitcnt lgkmcnt(1)
	v_and_b32_e32 v62, 1, v62
	v_add_u32_e32 v69, 2, v66
	v_cndmask_b32_e64 v62, v62, 1, vcc
	v_cmp_eq_u16_sdwa vcc, v70, v61 src0_sel:BYTE_0 src1_sel:DWORD
	v_and_b32_e32 v71, 0xffff, v62
	v_add_u32_e32 v79, 32, v66
	s_waitcnt lgkmcnt(0)
	v_cndmask_b32_e32 v63, 0, v63, vcc
	v_cmp_gt_u32_e32 vcc, v69, v9
	s_nop 1
	v_cndmask_b32_e32 v62, v62, v70, vcc
	v_cndmask_b32_e64 v63, v63, 0, vcc
	v_cndmask_b32_e32 v7, v71, v7, vcc
	v_cmp_gt_u32_e32 vcc, 60, v66
	v_add_u32_e32 v6, v63, v6
	v_and_b32_e32 v73, 1, v62
	v_cndmask_b32_e64 v70, 0, 1, vcc
	v_lshlrev_b32_e32 v70, 2, v70
	v_add_lshl_u32 v70, v70, v75, 2
	ds_bpermute_b32 v72, v70, v7
	ds_bpermute_b32 v63, v70, v6
	v_cmp_eq_u32_e32 vcc, 1, v73
	v_add_u32_e32 v71, 4, v66
	s_waitcnt lgkmcnt(1)
	v_and_b32_e32 v72, 1, v72
	v_cndmask_b32_e64 v72, v72, 1, vcc
	v_cmp_eq_u16_sdwa vcc, v62, v61 src0_sel:BYTE_0 src1_sel:DWORD
	v_and_b32_e32 v73, 0xffff, v72
	s_waitcnt lgkmcnt(0)
	v_cndmask_b32_e32 v63, 0, v63, vcc
	v_cmp_gt_u32_e32 vcc, v71, v9
	s_nop 1
	v_cndmask_b32_e32 v62, v72, v62, vcc
	v_cndmask_b32_e64 v63, v63, 0, vcc
	v_cndmask_b32_e32 v7, v73, v7, vcc
	v_cmp_gt_u32_e32 vcc, 56, v66
	v_add_u32_e32 v6, v63, v6
	v_and_b32_e32 v76, 1, v62
	v_cndmask_b32_e64 v72, 0, 1, vcc
	v_lshlrev_b32_e32 v72, 3, v72
	v_add_lshl_u32 v72, v72, v75, 2
	ds_bpermute_b32 v74, v72, v7
	ds_bpermute_b32 v63, v72, v6
	v_cmp_eq_u32_e32 vcc, 1, v76
	v_add_u32_e32 v73, 8, v66
	s_waitcnt lgkmcnt(1)
	v_and_b32_e32 v74, 1, v74
	v_cndmask_b32_e64 v74, v74, 1, vcc
	v_cmp_eq_u16_sdwa vcc, v62, v61 src0_sel:BYTE_0 src1_sel:DWORD
	v_and_b32_e32 v76, 0xffff, v74
	;; [unrolled: 22-line block ×3, first 2 shown]
	s_waitcnt lgkmcnt(0)
	v_cndmask_b32_e32 v63, 0, v63, vcc
	v_cmp_gt_u32_e32 vcc, v76, v9
	s_nop 1
	v_cndmask_b32_e32 v62, v77, v62, vcc
	v_cndmask_b32_e64 v63, v63, 0, vcc
	v_cndmask_b32_e32 v7, v78, v7, vcc
	v_cmp_gt_u32_e32 vcc, 32, v66
	v_add_u32_e32 v6, v63, v6
	s_nop 0
	v_cndmask_b32_e64 v77, 0, 1, vcc
	v_lshlrev_b32_e32 v77, 5, v77
	v_add_lshl_u32 v78, v77, v75, 2
	ds_bpermute_b32 v7, v78, v7
	ds_bpermute_b32 v63, v78, v6
	v_and_b32_e32 v75, 1, v62
	v_cmp_eq_u32_e32 vcc, 1, v75
	s_waitcnt lgkmcnt(1)
	v_and_b32_e32 v7, 1, v7
	v_cndmask_b32_e64 v7, v7, 1, vcc
	v_cmp_eq_u16_sdwa vcc, v62, v61 src0_sel:BYTE_0 src1_sel:DWORD
	s_waitcnt lgkmcnt(0)
	s_nop 0
	v_cndmask_b32_e32 v63, 0, v63, vcc
	v_cmp_gt_u32_e32 vcc, v79, v9
	s_nop 1
	v_cndmask_b32_e64 v9, v63, 0, vcc
	v_cndmask_b32_e32 v7, v7, v62, vcc
	v_add_u32_e32 v6, v9, v6
	s_branch .LBB2263_178
.LBB2263_177:                           ;   in Loop: Header=BB2263_178 Depth=1
	s_or_b64 exec, exec, s[0:1]
	v_cmp_eq_u16_sdwa s[0:1], v8, v3 src0_sel:BYTE_0 src1_sel:DWORD
	ds_bpermute_b32 v63, v67, v7
	v_and_b32_e32 v80, 1, v7
	v_and_b32_e32 v9, s1, v5
	v_or_b32_e32 v9, 0x80000000, v9
	v_and_b32_e32 v62, s0, v4
	v_ffbl_b32_e32 v9, v9
	v_add_u32_e32 v9, 32, v9
	v_ffbl_b32_e32 v62, v62
	v_min_u32_e32 v9, v62, v9
	ds_bpermute_b32 v62, v67, v6
	s_waitcnt lgkmcnt(1)
	v_and_b32_e32 v63, 1, v63
	v_cmp_eq_u32_e32 vcc, 1, v80
	v_cmp_lt_u32_e64 s[0:1], v66, v9
	v_subrev_u32_e32 v60, 64, v60
	v_cndmask_b32_e64 v63, v63, 1, vcc
	v_cmp_gt_u64_e32 vcc, s[58:59], v[6:7]
	v_and_b32_e32 v80, 0xffff, v63
	v_cndmask_b32_e64 v63, v7, v63, s[0:1]
	v_cndmask_b32_e64 v7, v7, v80, s[0:1]
	s_and_b64 vcc, s[0:1], vcc
	ds_bpermute_b32 v80, v68, v7
	s_waitcnt lgkmcnt(1)
	v_cndmask_b32_e32 v62, 0, v62, vcc
	v_add_u32_e32 v6, v62, v6
	ds_bpermute_b32 v62, v68, v6
	v_and_b32_e32 v81, 1, v63
	s_waitcnt lgkmcnt(1)
	v_and_b32_e32 v80, 1, v80
	v_cmp_eq_u32_e32 vcc, 1, v81
	s_nop 1
	v_cndmask_b32_e64 v80, v80, 1, vcc
	v_cmp_eq_u16_sdwa vcc, v63, v61 src0_sel:BYTE_0 src1_sel:DWORD
	v_and_b32_e32 v81, 0xffff, v80
	s_waitcnt lgkmcnt(0)
	v_cndmask_b32_e32 v62, 0, v62, vcc
	v_cmp_gt_u32_e32 vcc, v69, v9
	s_nop 1
	v_cndmask_b32_e32 v7, v81, v7, vcc
	v_cndmask_b32_e32 v63, v80, v63, vcc
	ds_bpermute_b32 v80, v70, v7
	v_cndmask_b32_e64 v62, v62, 0, vcc
	v_add_u32_e32 v6, v62, v6
	ds_bpermute_b32 v62, v70, v6
	v_and_b32_e32 v81, 1, v63
	s_waitcnt lgkmcnt(1)
	v_and_b32_e32 v80, 1, v80
	v_cmp_eq_u32_e32 vcc, 1, v81
	s_nop 1
	v_cndmask_b32_e64 v80, v80, 1, vcc
	v_cmp_eq_u16_sdwa vcc, v63, v61 src0_sel:BYTE_0 src1_sel:DWORD
	v_and_b32_e32 v81, 0xffff, v80
	s_waitcnt lgkmcnt(0)
	v_cndmask_b32_e32 v62, 0, v62, vcc
	v_cmp_gt_u32_e32 vcc, v71, v9
	s_nop 1
	v_cndmask_b32_e32 v7, v81, v7, vcc
	v_cndmask_b32_e32 v63, v80, v63, vcc
	ds_bpermute_b32 v80, v72, v7
	v_cndmask_b32_e64 v62, v62, 0, vcc
	;; [unrolled: 18-line block ×3, first 2 shown]
	v_add_u32_e32 v6, v62, v6
	ds_bpermute_b32 v62, v74, v6
	v_and_b32_e32 v81, 1, v63
	s_waitcnt lgkmcnt(1)
	v_and_b32_e32 v80, 1, v80
	v_cmp_eq_u32_e32 vcc, 1, v81
	s_nop 1
	v_cndmask_b32_e64 v80, v80, 1, vcc
	v_cmp_eq_u16_sdwa vcc, v63, v61 src0_sel:BYTE_0 src1_sel:DWORD
	v_and_b32_e32 v81, 0xffff, v80
	s_waitcnt lgkmcnt(0)
	v_cndmask_b32_e32 v62, 0, v62, vcc
	v_cmp_gt_u32_e32 vcc, v76, v9
	s_nop 1
	v_cndmask_b32_e64 v62, v62, 0, vcc
	v_cndmask_b32_e32 v7, v81, v7, vcc
	ds_bpermute_b32 v7, v78, v7
	v_add_u32_e32 v6, v62, v6
	ds_bpermute_b32 v62, v78, v6
	v_cndmask_b32_e32 v63, v80, v63, vcc
	v_and_b32_e32 v80, 1, v63
	v_cmp_eq_u32_e32 vcc, 1, v80
	s_waitcnt lgkmcnt(1)
	s_nop 0
	v_cndmask_b32_e64 v7, v7, 1, vcc
	v_cmp_eq_u16_sdwa vcc, v63, v61 src0_sel:BYTE_0 src1_sel:DWORD
	s_waitcnt lgkmcnt(0)
	s_nop 0
	v_cndmask_b32_e32 v62, 0, v62, vcc
	v_cmp_gt_u32_e32 vcc, v79, v9
	s_nop 1
	v_cndmask_b32_e64 v9, v62, 0, vcc
	v_cndmask_b32_e32 v7, v7, v63, vcc
	v_add_u32_e32 v6, v9, v6
	v_cmp_eq_u16_sdwa vcc, v75, v61 src0_sel:BYTE_0 src1_sel:DWORD
	v_and_b32_e32 v9, 1, v75
	v_and_b32_e32 v7, 1, v7
	v_cndmask_b32_e32 v6, 0, v6, vcc
	v_cmp_eq_u32_e32 vcc, 1, v9
	v_add_u32_e32 v6, v6, v77
	s_nop 0
	v_cndmask_b32_e64 v7, v7, 1, vcc
.LBB2263_178:                           ; =>This Loop Header: Depth=1
                                        ;     Child Loop BB2263_181 Depth 2
	v_cmp_ne_u16_sdwa s[0:1], v8, v3 src0_sel:BYTE_0 src1_sel:DWORD
	v_mov_b32_e32 v75, v7
	v_mov_b32_e32 v77, v6
	v_cndmask_b32_e64 v7, 0, 1, s[0:1]
	;;#ASMSTART
	;;#ASMEND
	s_nop 0
	v_cmp_ne_u32_e32 vcc, 0, v7
	s_cmp_lg_u64 vcc, exec
	s_cbranch_scc1 .LBB2263_183
; %bb.179:                              ;   in Loop: Header=BB2263_178 Depth=1
	v_lshl_add_u64 v[62:63], v[60:61], 4, s[64:65]
	;;#ASMSTART
	global_load_dwordx4 v[6:9], v[62:63] off sc1	
s_waitcnt vmcnt(0)
	;;#ASMEND
	s_nop 0
	v_and_b32_e32 v9, 0xff0000, v6
	v_and_b32_e32 v80, 0xff000000, v6
	;; [unrolled: 1-line block ×3, first 2 shown]
	v_or_b32_sdwa v6, v6, v9 dst_sel:DWORD dst_unused:UNUSED_PAD src0_sel:WORD_0 src1_sel:DWORD
	v_or3_b32 v7, 0, 0, v7
	v_or3_b32 v6, v6, v80, 0
	v_cmp_eq_u16_sdwa s[60:61], v8, v61 src0_sel:BYTE_0 src1_sel:DWORD
	s_and_saveexec_b64 s[0:1], s[60:61]
	s_cbranch_execz .LBB2263_177
; %bb.180:                              ;   in Loop: Header=BB2263_178 Depth=1
	s_mov_b64 s[60:61], 0
.LBB2263_181:                           ;   Parent Loop BB2263_178 Depth=1
                                        ; =>  This Inner Loop Header: Depth=2
	;;#ASMSTART
	global_load_dwordx4 v[6:9], v[62:63] off sc1	
s_waitcnt vmcnt(0)
	;;#ASMEND
	s_nop 0
	v_cmp_ne_u16_sdwa s[76:77], v8, v61 src0_sel:BYTE_0 src1_sel:DWORD
	s_or_b64 s[60:61], s[76:77], s[60:61]
	s_andn2_b64 exec, exec, s[60:61]
	s_cbranch_execnz .LBB2263_181
; %bb.182:                              ;   in Loop: Header=BB2263_178 Depth=1
	s_or_b64 exec, exec, s[60:61]
	v_and_b32_e32 v7, 0xff, v7
	s_branch .LBB2263_177
.LBB2263_183:                           ;   in Loop: Header=BB2263_178 Depth=1
                                        ; implicit-def: $vgpr7
                                        ; implicit-def: $vgpr6
                                        ; implicit-def: $vgpr8
	s_cbranch_execz .LBB2263_178
; %bb.184:
	s_and_saveexec_b64 s[0:1], s[50:51]
	s_cbranch_execz .LBB2263_186
; %bb.185:
	s_and_b32 s50, s68, 0xff
	s_cmp_eq_u32 s50, 0
	s_cselect_b64 vcc, -1, 0
	s_bitcmp1_b32 s68, 0
	s_mov_b32 s51, 0
	s_cselect_b64 s[58:59], -1, 0
	s_add_i32 s50, s67, 64
	s_lshl_b64 s[50:51], s[50:51], 4
	v_cndmask_b32_e32 v3, 0, v77, vcc
	s_add_u32 s50, s64, s50
	v_add_u32_e32 v2, v3, v2
	v_and_b32_e32 v3, 1, v75
	s_addc_u32 s51, s65, s51
	v_mov_b32_e32 v5, 0
	v_cndmask_b32_e64 v3, v3, 1, s[58:59]
	v_mov_b32_e32 v4, 2
	v_mov_b64_e32 v[6:7], s[50:51]
	;;#ASMSTART
	global_store_dwordx4 v[6:7], v[2:5] off sc1	
s_waitcnt vmcnt(0)
	;;#ASMEND
.LBB2263_186:
	s_or_b64 exec, exec, s[0:1]
	s_and_b64 exec, exec, s[52:53]
	s_cbranch_execz .LBB2263_188
; %bb.187:
	v_mov_b32_e32 v2, 0
	ds_write_b32 v2, v77
	ds_write_b8 v2, v75 offset:4
.LBB2263_188:
	s_or_b64 exec, exec, s[56:57]
	v_mov_b32_e32 v2, 0
	s_waitcnt lgkmcnt(0)
	s_barrier
	ds_read_b32 v3, v2
	v_cmp_eq_u16_sdwa vcc, v65, v2 src0_sel:BYTE_0 src1_sel:DWORD
	s_waitcnt lgkmcnt(0)
	s_nop 0
	v_cndmask_b32_e32 v4, 0, v3, vcc
	v_add_u32_e32 v4, v4, v64
	v_cndmask_b32_e64 v60, v4, v3, s[52:53]
	v_and_b32_e32 v3, 0xff, v13
	v_cmp_eq_u64_e32 vcc, 0, v[2:3]
	s_nop 1
	v_cndmask_b32_e32 v2, 0, v60, vcc
	v_add_u32_e32 v61, v2, v12
	v_cndmask_b32_e64 v2, 0, v61, s[6:7]
	v_add_u32_e32 v62, v2, v14
	v_cndmask_b32_e64 v2, 0, v62, s[8:9]
	;; [unrolled: 2-line block ×21, first 2 shown]
	v_add_u32_e32 v82, v2, v54
	s_branch .LBB2263_209
.LBB2263_189:
                                        ; implicit-def: $vgpr81
                                        ; implicit-def: $vgpr80
                                        ; implicit-def: $vgpr79
                                        ; implicit-def: $vgpr78
                                        ; implicit-def: $vgpr77
                                        ; implicit-def: $vgpr76
                                        ; implicit-def: $vgpr75
                                        ; implicit-def: $vgpr74
                                        ; implicit-def: $vgpr73
                                        ; implicit-def: $vgpr72
                                        ; implicit-def: $vgpr71
                                        ; implicit-def: $vgpr70
                                        ; implicit-def: $vgpr69
                                        ; implicit-def: $vgpr68
                                        ; implicit-def: $vgpr67
                                        ; implicit-def: $vgpr66
                                        ; implicit-def: $vgpr65
                                        ; implicit-def: $vgpr64
                                        ; implicit-def: $vgpr63
                                        ; implicit-def: $vgpr62
                                        ; implicit-def: $vgpr61
                                        ; implicit-def: $vgpr60
                                        ; implicit-def: $vgpr82
	s_cbranch_execz .LBB2263_209
; %bb.190:
	s_cmp_lg_u64 s[72:73], 0
	s_cselect_b32 s7, s71, 0
	s_cselect_b32 s6, s70, 0
	s_mov_b32 s0, 0
	s_cmp_eq_u64 s[6:7], 0
	v_mov_b32_e32 v4, s74
	s_cbranch_scc1 .LBB2263_192
; %bb.191:
	v_mov_b32_e32 v2, 0
	global_load_dword v4, v2, s[6:7]
.LBB2263_192:
	s_mov_b32 s1, 1
	v_cmp_gt_u64_e32 vcc, s[0:1], v[14:15]
	v_cmp_gt_u64_e64 s[6:7], s[0:1], v[16:17]
	v_cmp_gt_u64_e64 s[8:9], s[0:1], v[18:19]
	v_cndmask_b32_e32 v2, 0, v12, vcc
	v_add_u32_e32 v2, v2, v14
	v_cndmask_b32_e64 v2, 0, v2, s[6:7]
	v_add_u32_e32 v2, v2, v16
	v_cndmask_b32_e64 v2, 0, v2, s[8:9]
	v_add_u32_e32 v2, v2, v18
	v_cmp_gt_u64_e64 s[10:11], s[0:1], v[20:21]
	v_cmp_gt_u64_e64 s[12:13], s[0:1], v[22:23]
	v_cmp_gt_u64_e64 s[14:15], s[0:1], v[24:25]
	v_cndmask_b32_e64 v2, 0, v2, s[10:11]
	v_add_u32_e32 v2, v2, v20
	v_cndmask_b32_e64 v2, 0, v2, s[12:13]
	v_add_u32_e32 v2, v2, v22
	v_cndmask_b32_e64 v2, 0, v2, s[14:15]
	v_add_u32_e32 v2, v2, v24
	v_cmp_gt_u64_e64 s[16:17], s[0:1], v[26:27]
	v_cmp_gt_u64_e64 s[18:19], s[0:1], v[28:29]
	v_cmp_gt_u64_e64 s[20:21], s[0:1], v[30:31]
	v_cndmask_b32_e64 v2, 0, v2, s[16:17]
	;; [unrolled: 9-line block ×6, first 2 shown]
	v_add_u32_e32 v2, v2, v50
	v_cndmask_b32_e64 v2, 0, v2, s[44:45]
	v_add_u32_e32 v2, v2, v52
	v_cndmask_b32_e64 v2, 0, v2, s[46:47]
	v_add_u32_e32 v2, v2, v54
	v_cmp_gt_u64_e64 s[0:1], s[0:1], v[58:59]
	v_add_lshl_u32 v1, v1, v0, 3
	s_nop 0
	v_cndmask_b32_e64 v2, 0, v2, s[0:1]
	v_add_u32_e32 v5, v2, v58
	v_or3_b32 v2, v57, v53, v51
	v_or3_b32 v2, v2, v49, v47
	;; [unrolled: 1-line block ×10, first 2 shown]
	v_and_b32_e32 v2, 1, v2
	v_cmp_eq_u32_e64 s[0:1], 1, v2
	s_nop 1
	v_cndmask_b32_e64 v6, v13, 1, s[0:1]
	v_cmp_gt_u32_e64 s[0:1], 64, v0
	ds_write_b32 v1, v5
	ds_write_b8 v1, v6 offset:4
	s_waitcnt lgkmcnt(0)
	s_barrier
	s_and_saveexec_b64 s[48:49], s[0:1]
	s_cbranch_execz .LBB2263_204
; %bb.193:
	v_lshrrev_b32_e32 v1, 3, v0
	v_add_lshl_u32 v1, v1, v56, 3
	ds_read2_b32 v[8:9], v1 offset0:2 offset1:4
	ds_read_b64 v[2:3], v1
	ds_read_u8 v15, v1 offset:12
	ds_read_u8 v17, v1 offset:20
	ds_read_b32 v19, v1 offset:24
	ds_read_u8 v21, v1 offset:28
	v_mov_b32_e32 v23, 0
	s_waitcnt lgkmcnt(3)
	v_cmp_eq_u16_sdwa s[0:1], v15, v23 src0_sel:BYTE_0 src1_sel:DWORD
	v_and_b32_e32 v7, 1, v3
	s_nop 0
	v_cndmask_b32_e64 v25, 0, v2, s[0:1]
	v_add_u32_e32 v8, v25, v8
	s_waitcnt lgkmcnt(2)
	v_cmp_eq_u16_sdwa s[0:1], v17, v23 src0_sel:BYTE_0 src1_sel:DWORD
	s_nop 1
	v_cndmask_b32_e64 v8, 0, v8, s[0:1]
	v_add_u32_e32 v8, v8, v9
	s_waitcnt lgkmcnt(0)
	v_cmp_eq_u16_e64 s[0:1], 0, v21
	s_nop 1
	v_cndmask_b32_e64 v8, 0, v8, s[0:1]
	v_add_u32_e32 v9, v8, v19
	v_or_b32_e32 v8, v21, v17
	v_or_b32_e32 v8, v8, v15
	v_and_b32_e32 v8, 1, v8
	v_cmp_eq_u32_e64 s[0:1], 1, v8
	v_mbcnt_lo_u32_b32 v15, -1, 0
	v_and_b32_e32 v8, 0xffffff00, v3
	v_cndmask_b32_e64 v17, v7, 1, s[0:1]
	v_mbcnt_hi_u32_b32 v15, -1, v15
	v_and_b32_e32 v21, 15, v15
	v_or_b32_sdwa v19, v8, v17 dst_sel:DWORD dst_unused:UNUSED_PAD src0_sel:DWORD src1_sel:WORD_0
	v_mov_b32_dpp v23, v9 row_shr:1 row_mask:0xf bank_mask:0xf
	v_cmp_ne_u32_e64 s[0:1], 0, v21
	v_mov_b32_dpp v25, v19 row_shr:1 row_mask:0xf bank_mask:0xf
	s_and_saveexec_b64 s[50:51], s[0:1]
; %bb.194:
	v_and_b32_e32 v19, 1, v17
	v_and_b32_e32 v25, 1, v25
	v_cmp_eq_u32_e64 s[0:1], 1, v19
	s_nop 1
	v_cndmask_b32_e64 v25, v25, 1, s[0:1]
	v_cmp_eq_u16_e64 s[0:1], 0, v17
	v_or_b32_sdwa v19, v8, v25 dst_sel:DWORD dst_unused:UNUSED_PAD src0_sel:DWORD src1_sel:WORD_0
	s_nop 0
	v_cndmask_b32_e64 v17, 0, v23, s[0:1]
	v_add_u32_e32 v9, v17, v9
	v_mov_b32_e32 v17, v25
; %bb.195:
	s_or_b64 exec, exec, s[50:51]
	v_mov_b32_dpp v23, v9 row_shr:2 row_mask:0xf bank_mask:0xf
	v_mov_b32_dpp v25, v19 row_shr:2 row_mask:0xf bank_mask:0xf
	v_cmp_lt_u32_e64 s[0:1], 1, v21
	s_and_saveexec_b64 s[50:51], s[0:1]
; %bb.196:
	v_and_b32_e32 v19, 1, v17
	v_and_b32_e32 v25, 1, v25
	v_cmp_eq_u32_e64 s[0:1], 1, v19
	s_nop 1
	v_cndmask_b32_e64 v25, v25, 1, s[0:1]
	v_cmp_eq_u16_e64 s[0:1], 0, v17
	v_or_b32_sdwa v19, v8, v25 dst_sel:DWORD dst_unused:UNUSED_PAD src0_sel:DWORD src1_sel:WORD_0
	s_nop 0
	v_cndmask_b32_e64 v17, 0, v23, s[0:1]
	v_add_u32_e32 v9, v17, v9
	v_mov_b32_e32 v17, v25
; %bb.197:
	s_or_b64 exec, exec, s[50:51]
	v_mov_b32_dpp v23, v9 row_shr:4 row_mask:0xf bank_mask:0xf
	v_mov_b32_dpp v25, v19 row_shr:4 row_mask:0xf bank_mask:0xf
	v_cmp_lt_u32_e64 s[0:1], 3, v21
	;; [unrolled: 18-line block ×3, first 2 shown]
	s_and_saveexec_b64 s[50:51], s[0:1]
; %bb.200:
	v_and_b32_e32 v19, 1, v17
	v_and_b32_e32 v21, 1, v25
	v_cmp_eq_u32_e64 s[0:1], 1, v19
	s_nop 1
	v_cndmask_b32_e64 v21, v21, 1, s[0:1]
	v_cmp_eq_u16_e64 s[0:1], 0, v17
	v_or_b32_sdwa v19, v8, v21 dst_sel:DWORD dst_unused:UNUSED_PAD src0_sel:DWORD src1_sel:WORD_0
	s_nop 0
	v_cndmask_b32_e64 v17, 0, v23, s[0:1]
	v_add_u32_e32 v9, v17, v9
	v_mov_b32_e32 v17, v21
; %bb.201:
	s_or_b64 exec, exec, s[50:51]
	v_and_b32_e32 v25, 16, v15
	v_mov_b32_dpp v21, v9 row_bcast:15 row_mask:0xf bank_mask:0xf
	v_mov_b32_dpp v23, v19 row_bcast:15 row_mask:0xf bank_mask:0xf
	v_cmp_ne_u32_e64 s[0:1], 0, v25
	s_and_saveexec_b64 s[50:51], s[0:1]
; %bb.202:
	v_and_b32_e32 v19, 1, v17
	v_and_b32_e32 v23, 1, v23
	v_cmp_eq_u32_e64 s[0:1], 1, v19
	s_nop 1
	v_cndmask_b32_e64 v23, v23, 1, s[0:1]
	v_cmp_eq_u16_e64 s[0:1], 0, v17
	v_or_b32_sdwa v19, v8, v23 dst_sel:DWORD dst_unused:UNUSED_PAD src0_sel:DWORD src1_sel:WORD_0
	s_nop 0
	v_cndmask_b32_e64 v17, 0, v21, s[0:1]
	v_add_u32_e32 v9, v17, v9
	v_mov_b32_e32 v17, v23
; %bb.203:
	s_or_b64 exec, exec, s[50:51]
	v_mov_b32_dpp v19, v19 row_bcast:31 row_mask:0xf bank_mask:0xf
	v_and_b32_e32 v23, 1, v17
	v_and_b32_e32 v19, 1, v19
	v_cmp_eq_u32_e64 s[0:1], 1, v23
	v_mov_b32_e32 v23, 0
	v_cmp_eq_u16_sdwa s[50:51], v17, v23 src0_sel:BYTE_0 src1_sel:DWORD
	v_cndmask_b32_e64 v19, v19, 1, s[0:1]
	v_cmp_lt_u32_e64 s[0:1], 31, v15
	v_mov_b32_dpp v21, v9 row_bcast:31 row_mask:0xf bank_mask:0xf
	s_movk_i32 s56, 0xff
	v_cndmask_b32_e64 v17, v17, v19, s[0:1]
	s_and_b64 s[0:1], s[0:1], s[50:51]
	v_cndmask_b32_e64 v19, 0, v21, s[0:1]
	v_add_u32_e32 v9, v19, v9
	v_add_u32_e32 v19, -1, v15
	v_and_b32_e32 v21, 64, v15
	v_cmp_lt_i32_e64 s[0:1], v19, v21
	v_and_or_b32 v8, v17, s56, v8
	s_nop 0
	v_cndmask_b32_e64 v15, v19, v15, s[0:1]
	v_lshlrev_b32_e32 v15, 2, v15
	ds_bpermute_b32 v9, v15, v9
	ds_bpermute_b32 v8, v15, v8
	v_cmp_eq_u16_sdwa s[0:1], v3, v23 src0_sel:BYTE_0 src1_sel:DWORD
	; wave barrier
	s_waitcnt lgkmcnt(1)
	s_nop 0
	v_cndmask_b32_e64 v3, 0, v9, s[0:1]
	v_add_u32_e32 v2, v3, v2
	s_waitcnt lgkmcnt(0)
	v_and_b32_e32 v3, 1, v8
	v_cmp_eq_u32_e64 s[0:1], 1, v7
	v_cndmask_b32_e64 v5, v2, v5, s[52:53]
	s_nop 0
	v_cndmask_b32_e64 v3, v3, 1, s[0:1]
	v_cndmask_b32_e64 v6, v3, v6, s[52:53]
	ds_write_b32 v1, v5
	ds_write_b8 v1, v6 offset:4
	; wave barrier
	ds_read_u8 v7, v1 offset:12
	ds_read2_b32 v[2:3], v1 offset0:2 offset1:4
	ds_read_u8 v8, v1 offset:20
	ds_read_b32 v9, v1 offset:24
	ds_read_u8 v15, v1 offset:28
	s_waitcnt lgkmcnt(4)
	v_cmp_eq_u16_e64 s[0:1], 0, v7
	s_nop 1
	v_cndmask_b32_e64 v5, 0, v5, s[0:1]
	s_waitcnt lgkmcnt(3)
	v_add_u32_e32 v2, v5, v2
	v_and_b32_e32 v5, 1, v7
	v_cmp_eq_u32_e64 s[0:1], 1, v5
	s_nop 1
	v_cndmask_b32_e64 v5, v6, 1, s[0:1]
	s_waitcnt lgkmcnt(2)
	v_cmp_eq_u16_e64 s[0:1], 0, v8
	ds_write_b8 v1, v5 offset:12
	s_nop 0
	v_cndmask_b32_e64 v6, 0, v2, s[0:1]
	v_add_u32_e32 v3, v6, v3
	v_and_b32_e32 v6, 1, v8
	v_cmp_eq_u32_e64 s[0:1], 1, v6
	s_nop 1
	v_cndmask_b32_e64 v5, v5, 1, s[0:1]
	s_waitcnt lgkmcnt(1)
	v_cmp_eq_u16_e64 s[0:1], 0, v15
	ds_write2_b32 v1, v2, v3 offset0:2 offset1:4
	ds_write_b8 v1, v5 offset:20
	v_cndmask_b32_e64 v2, 0, v3, s[0:1]
	v_and_b32_e32 v3, 1, v15
	v_add_u32_e32 v2, v2, v9
	v_cmp_eq_u32_e64 s[0:1], 1, v3
	s_nop 1
	v_cndmask_b32_e64 v3, v5, 1, s[0:1]
	ds_write_b32 v1, v2 offset:24
	ds_write_b8 v1, v3 offset:28
.LBB2263_204:
	s_or_b64 exec, exec, s[48:49]
	s_waitcnt vmcnt(0)
	v_mov_b32_e32 v60, v4
	s_waitcnt lgkmcnt(0)
	s_barrier
	s_and_saveexec_b64 s[48:49], s[4:5]
	s_cbranch_execz .LBB2263_206
; %bb.205:
	v_add_u32_e32 v1, -1, v0
	v_lshrrev_b32_e32 v2, 5, v1
	v_add_lshl_u32 v1, v2, v1, 3
	ds_read_u8 v2, v1 offset:4
	ds_read_b32 v1, v1
	s_waitcnt lgkmcnt(1)
	v_cmp_eq_u16_e64 s[0:1], 0, v2
	s_nop 1
	v_cndmask_b32_e64 v2, 0, v4, s[0:1]
	s_waitcnt lgkmcnt(0)
	v_add_u32_e32 v60, v2, v1
.LBB2263_206:
	s_or_b64 exec, exec, s[48:49]
	v_and_b32_e32 v3, 0xff, v13
	v_mov_b32_e32 v2, 0
	v_cmp_eq_u64_e64 s[0:1], 0, v[2:3]
	s_nop 1
	v_cndmask_b32_e64 v1, 0, v60, s[0:1]
	v_add_u32_e32 v61, v1, v12
	v_cndmask_b32_e32 v1, 0, v61, vcc
	v_add_u32_e32 v62, v1, v14
	v_cndmask_b32_e64 v1, 0, v62, s[6:7]
	v_add_u32_e32 v63, v1, v16
	v_cndmask_b32_e64 v1, 0, v63, s[8:9]
	;; [unrolled: 2-line block ×20, first 2 shown]
	s_and_saveexec_b64 s[0:1], s[52:53]
	s_cbranch_execz .LBB2263_208
; %bb.207:
	ds_read_u8 v3, v2 offset:2100
	ds_read_b32 v5, v2 offset:2096
	s_add_u32 s4, s64, 0x400
	s_addc_u32 s5, s65, 0
	v_mov_b32_e32 v6, 2
	s_waitcnt lgkmcnt(1)
	v_cmp_eq_u16_e32 vcc, 0, v3
	v_mov_b32_e32 v7, v2
	s_nop 0
	v_cndmask_b32_e32 v4, 0, v4, vcc
	s_waitcnt lgkmcnt(0)
	v_add_u32_e32 v4, v4, v5
	v_and_b32_e32 v5, 0xffff, v3
	v_mov_b64_e32 v[2:3], s[4:5]
	;;#ASMSTART
	global_store_dwordx4 v[2:3], v[4:7] off sc1	
s_waitcnt vmcnt(0)
	;;#ASMEND
.LBB2263_208:
	s_or_b64 exec, exec, s[0:1]
	v_add_u32_e32 v82, v1, v54
.LBB2263_209:
	s_add_u32 s0, s62, s54
	s_addc_u32 s1, s63, s55
	v_lshl_add_u64 v[2:3], s[0:1], 0, v[10:11]
	s_and_b64 vcc, exec, s[2:3]
	s_cbranch_vccz .LBB2263_255
; %bb.210:
	s_movk_i32 s0, 0x5c
	v_mul_i32_i24_e32 v28, 0xffffffa8, v0
	v_mul_u32_u24_e32 v1, 0x5c, v0
	v_mad_u32_u24 v4, v0, s0, v28
	s_barrier
	ds_write2_b32 v1, v60, v61 offset1:1
	ds_write2_b32 v1, v62, v63 offset0:2 offset1:3
	ds_write2_b32 v1, v64, v65 offset0:4 offset1:5
	;; [unrolled: 1-line block ×10, first 2 shown]
	ds_write_b32 v1, v82 offset:88
	s_waitcnt lgkmcnt(0)
	s_barrier
	ds_read2st64_b32 v[26:27], v4 offset0:4 offset1:8
	ds_read2st64_b32 v[24:25], v4 offset0:12 offset1:16
	;; [unrolled: 1-line block ×11, first 2 shown]
	s_add_i32 s33, s33, s66
	v_mov_b32_e32 v57, 0
	v_lshl_add_u64 v[6:7], v[2:3], 0, v[56:57]
	v_cmp_gt_u32_e32 vcc, s33, v0
	s_and_saveexec_b64 s[0:1], vcc
	s_cbranch_execz .LBB2263_212
; %bb.211:
	v_add_u32_e32 v1, v1, v28
	ds_read_b32 v1, v1
	s_waitcnt lgkmcnt(0)
	flat_store_dword v[6:7], v1
.LBB2263_212:
	s_or_b64 exec, exec, s[0:1]
	v_or_b32_e32 v1, 0x100, v0
	v_cmp_gt_u32_e32 vcc, s33, v1
	s_and_saveexec_b64 s[0:1], vcc
	s_cbranch_execz .LBB2263_214
; %bb.213:
	s_waitcnt lgkmcnt(0)
	flat_store_dword v[6:7], v26 offset:1024
.LBB2263_214:
	s_or_b64 exec, exec, s[0:1]
	v_or_b32_e32 v1, 0x200, v0
	v_cmp_gt_u32_e32 vcc, s33, v1
	s_and_saveexec_b64 s[0:1], vcc
	s_cbranch_execz .LBB2263_216
; %bb.215:
	s_waitcnt lgkmcnt(0)
	flat_store_dword v[6:7], v27 offset:2048
.LBB2263_216:
	s_or_b64 exec, exec, s[0:1]
	v_or_b32_e32 v1, 0x300, v0
	v_cmp_gt_u32_e32 vcc, s33, v1
	s_and_saveexec_b64 s[0:1], vcc
	s_cbranch_execz .LBB2263_218
; %bb.217:
	s_waitcnt lgkmcnt(0)
	flat_store_dword v[6:7], v24 offset:3072
.LBB2263_218:
	s_or_b64 exec, exec, s[0:1]
	v_or_b32_e32 v1, 0x400, v0
	v_cmp_gt_u32_e32 vcc, s33, v1
	s_and_saveexec_b64 s[0:1], vcc
	s_cbranch_execz .LBB2263_220
; %bb.219:
	s_waitcnt lgkmcnt(0)
	v_add_co_u32_e32 v26, vcc, 0x1000, v6
	s_nop 1
	v_addc_co_u32_e32 v27, vcc, 0, v7, vcc
	flat_store_dword v[26:27], v25
.LBB2263_220:
	s_or_b64 exec, exec, s[0:1]
	v_or_b32_e32 v1, 0x500, v0
	v_cmp_gt_u32_e32 vcc, s33, v1
	s_and_saveexec_b64 s[0:1], vcc
	s_cbranch_execz .LBB2263_222
; %bb.221:
	s_waitcnt lgkmcnt(0)
	v_add_co_u32_e32 v24, vcc, 0x1000, v6
	s_nop 1
	v_addc_co_u32_e32 v25, vcc, 0, v7, vcc
	flat_store_dword v[24:25], v22 offset:1024
.LBB2263_222:
	s_or_b64 exec, exec, s[0:1]
	v_or_b32_e32 v1, 0x600, v0
	v_cmp_gt_u32_e32 vcc, s33, v1
	s_and_saveexec_b64 s[0:1], vcc
	s_cbranch_execz .LBB2263_224
; %bb.223:
	s_waitcnt lgkmcnt(0)
	v_add_co_u32_e32 v24, vcc, 0x1000, v6
	s_nop 1
	v_addc_co_u32_e32 v25, vcc, 0, v7, vcc
	flat_store_dword v[24:25], v23 offset:2048
.LBB2263_224:
	s_or_b64 exec, exec, s[0:1]
	v_or_b32_e32 v1, 0x700, v0
	v_cmp_gt_u32_e32 vcc, s33, v1
	s_and_saveexec_b64 s[0:1], vcc
	s_cbranch_execz .LBB2263_226
; %bb.225:
	s_waitcnt lgkmcnt(0)
	v_add_co_u32_e32 v22, vcc, 0x1000, v6
	s_nop 1
	v_addc_co_u32_e32 v23, vcc, 0, v7, vcc
	flat_store_dword v[22:23], v20 offset:3072
.LBB2263_226:
	s_or_b64 exec, exec, s[0:1]
	v_or_b32_e32 v1, 0x800, v0
	v_cmp_gt_u32_e32 vcc, s33, v1
	s_and_saveexec_b64 s[0:1], vcc
	s_cbranch_execz .LBB2263_228
; %bb.227:
	s_waitcnt lgkmcnt(0)
	v_add_co_u32_e32 v22, vcc, 0x2000, v6
	s_nop 1
	v_addc_co_u32_e32 v23, vcc, 0, v7, vcc
	flat_store_dword v[22:23], v21
.LBB2263_228:
	s_or_b64 exec, exec, s[0:1]
	v_or_b32_e32 v1, 0x900, v0
	v_cmp_gt_u32_e32 vcc, s33, v1
	s_and_saveexec_b64 s[0:1], vcc
	s_cbranch_execz .LBB2263_230
; %bb.229:
	s_waitcnt lgkmcnt(0)
	v_add_co_u32_e32 v20, vcc, 0x2000, v6
	s_nop 1
	v_addc_co_u32_e32 v21, vcc, 0, v7, vcc
	flat_store_dword v[20:21], v18 offset:1024
.LBB2263_230:
	s_or_b64 exec, exec, s[0:1]
	v_or_b32_e32 v1, 0xa00, v0
	v_cmp_gt_u32_e32 vcc, s33, v1
	s_and_saveexec_b64 s[0:1], vcc
	s_cbranch_execz .LBB2263_232
; %bb.231:
	s_waitcnt lgkmcnt(0)
	v_add_co_u32_e32 v20, vcc, 0x2000, v6
	s_nop 1
	v_addc_co_u32_e32 v21, vcc, 0, v7, vcc
	flat_store_dword v[20:21], v19 offset:2048
.LBB2263_232:
	s_or_b64 exec, exec, s[0:1]
	v_or_b32_e32 v1, 0xb00, v0
	v_cmp_gt_u32_e32 vcc, s33, v1
	s_and_saveexec_b64 s[0:1], vcc
	s_cbranch_execz .LBB2263_234
; %bb.233:
	s_waitcnt lgkmcnt(0)
	v_add_co_u32_e32 v18, vcc, 0x2000, v6
	s_nop 1
	v_addc_co_u32_e32 v19, vcc, 0, v7, vcc
	flat_store_dword v[18:19], v16 offset:3072
.LBB2263_234:
	;; [unrolled: 48-line block ×4, first 2 shown]
	s_or_b64 exec, exec, s[0:1]
	v_or_b32_e32 v1, 0x1400, v0
	v_cmp_gt_u32_e32 vcc, s33, v1
	s_and_saveexec_b64 s[0:1], vcc
	s_cbranch_execz .LBB2263_252
; %bb.251:
	s_waitcnt lgkmcnt(0)
	v_add_co_u32_e32 v10, vcc, 0x5000, v6
	s_nop 1
	v_addc_co_u32_e32 v11, vcc, 0, v7, vcc
	flat_store_dword v[10:11], v9
.LBB2263_252:
	s_or_b64 exec, exec, s[0:1]
	v_or_b32_e32 v1, 0x1500, v0
	v_cmp_gt_u32_e32 vcc, s33, v1
	s_and_saveexec_b64 s[0:1], vcc
	s_cbranch_execz .LBB2263_254
; %bb.253:
	v_add_co_u32_e32 v6, vcc, 0x5000, v6
	s_nop 1
	v_addc_co_u32_e32 v7, vcc, 0, v7, vcc
	s_waitcnt lgkmcnt(0)
	flat_store_dword v[6:7], v4 offset:1024
.LBB2263_254:
	s_or_b64 exec, exec, s[0:1]
	s_waitcnt lgkmcnt(0)
	v_or_b32_e32 v4, 0x1600, v0
	v_mov_b32_e32 v1, v57
	v_cmp_gt_u32_e64 s[0:1], s33, v4
	s_branch .LBB2263_257
.LBB2263_255:
	s_mov_b64 s[0:1], 0
                                        ; implicit-def: $vgpr5
	s_cbranch_execz .LBB2263_257
; %bb.256:
	v_mul_u32_u24_e32 v1, 0x5c, v0
	s_barrier
	s_movk_i32 s2, 0x5c
	ds_write2_b32 v1, v60, v61 offset1:1
	ds_write2_b32 v1, v62, v63 offset0:2 offset1:3
	ds_write2_b32 v1, v64, v65 offset0:4 offset1:5
	;; [unrolled: 1-line block ×10, first 2 shown]
	ds_write_b32 v1, v82 offset:88
	v_mov_b32_e32 v1, 0
	v_mul_i32_i24_e32 v4, 0xffffffa8, v0
	v_mad_u32_u24 v4, v0, s2, v4
	v_mov_b32_e32 v57, v1
	s_waitcnt lgkmcnt(0)
	s_barrier
	ds_read2st64_b32 v[6:7], v4 offset1:4
	ds_read2st64_b32 v[8:9], v4 offset0:8 offset1:12
	ds_read2st64_b32 v[10:11], v4 offset0:16 offset1:20
	;; [unrolled: 1-line block ×10, first 2 shown]
	ds_read_b32 v5, v4 offset:22528
	v_lshl_add_u64 v[28:29], v[2:3], 0, v[56:57]
	s_movk_i32 s2, 0x1000
	s_waitcnt lgkmcnt(0)
	flat_store_dword v[28:29], v6
	flat_store_dword v[28:29], v7 offset:1024
	flat_store_dword v[28:29], v8 offset:2048
	;; [unrolled: 1-line block ×3, first 2 shown]
	v_add_co_u32_e32 v6, vcc, s2, v28
	s_movk_i32 s2, 0x2000
	s_nop 0
	v_addc_co_u32_e32 v7, vcc, 0, v29, vcc
	flat_store_dword v[6:7], v10
	flat_store_dword v[6:7], v11 offset:1024
	flat_store_dword v[6:7], v12 offset:2048
	;; [unrolled: 1-line block ×3, first 2 shown]
	v_add_co_u32_e32 v6, vcc, s2, v28
	s_movk_i32 s2, 0x3000
	s_nop 0
	v_addc_co_u32_e32 v7, vcc, 0, v29, vcc
	flat_store_dword v[6:7], v14
	flat_store_dword v[6:7], v15 offset:1024
	flat_store_dword v[6:7], v16 offset:2048
	;; [unrolled: 1-line block ×3, first 2 shown]
	v_add_co_u32_e32 v6, vcc, s2, v28
	s_or_b64 s[0:1], s[0:1], exec
	s_nop 0
	v_addc_co_u32_e32 v7, vcc, 0, v29, vcc
	flat_store_dword v[6:7], v18
	flat_store_dword v[6:7], v19 offset:1024
	flat_store_dword v[6:7], v20 offset:2048
	;; [unrolled: 1-line block ×3, first 2 shown]
	v_add_co_u32_e32 v6, vcc, 0x4000, v28
	s_nop 1
	v_addc_co_u32_e32 v7, vcc, 0, v29, vcc
	flat_store_dword v[6:7], v22
	flat_store_dword v[6:7], v23 offset:1024
	flat_store_dword v[6:7], v24 offset:2048
	;; [unrolled: 1-line block ×3, first 2 shown]
	v_add_co_u32_e32 v6, vcc, 0x5000, v28
	s_nop 1
	v_addc_co_u32_e32 v7, vcc, 0, v29, vcc
	flat_store_dword v[6:7], v26
	flat_store_dword v[6:7], v27 offset:1024
.LBB2263_257:
	s_and_saveexec_b64 s[2:3], s[0:1]
	s_cbranch_execz .LBB2263_259
; %bb.258:
	v_lshl_add_u64 v[0:1], v[0:1], 2, v[2:3]
	v_add_co_u32_e32 v0, vcc, 0x5000, v0
	s_nop 1
	v_addc_co_u32_e32 v1, vcc, 0, v1, vcc
	flat_store_dword v[0:1], v5 offset:2048
	s_endpgm
.LBB2263_259:
	s_endpgm
	.section	.rodata,"a",@progbits
	.p2align	6, 0x0
	.amdhsa_kernel _ZN7rocprim17ROCPRIM_400000_NS6detail17trampoline_kernelINS0_14default_configENS1_27scan_by_key_config_selectorIiiEEZZNS1_16scan_by_key_implILNS1_25lookback_scan_determinismE0ELb1ES3_N6thrust23THRUST_200600_302600_NS10device_ptrIiEESB_SB_iNS9_4plusIvEENS9_8equal_toIvEEiEE10hipError_tPvRmT2_T3_T4_T5_mT6_T7_P12ihipStream_tbENKUlT_T0_E_clISt17integral_constantIbLb0EESV_IbLb1EEEEDaSR_SS_EUlSR_E_NS1_11comp_targetILNS1_3genE5ELNS1_11target_archE942ELNS1_3gpuE9ELNS1_3repE0EEENS1_30default_config_static_selectorELNS0_4arch9wavefront6targetE1EEEvT1_
		.amdhsa_group_segment_fixed_size 25600
		.amdhsa_private_segment_fixed_size 0
		.amdhsa_kernarg_size 112
		.amdhsa_user_sgpr_count 2
		.amdhsa_user_sgpr_dispatch_ptr 0
		.amdhsa_user_sgpr_queue_ptr 0
		.amdhsa_user_sgpr_kernarg_segment_ptr 1
		.amdhsa_user_sgpr_dispatch_id 0
		.amdhsa_user_sgpr_kernarg_preload_length 0
		.amdhsa_user_sgpr_kernarg_preload_offset 0
		.amdhsa_user_sgpr_private_segment_size 0
		.amdhsa_uses_dynamic_stack 0
		.amdhsa_enable_private_segment 0
		.amdhsa_system_sgpr_workgroup_id_x 1
		.amdhsa_system_sgpr_workgroup_id_y 0
		.amdhsa_system_sgpr_workgroup_id_z 0
		.amdhsa_system_sgpr_workgroup_info 0
		.amdhsa_system_vgpr_workitem_id 0
		.amdhsa_next_free_vgpr 83
		.amdhsa_next_free_sgpr 80
		.amdhsa_accum_offset 84
		.amdhsa_reserve_vcc 1
		.amdhsa_float_round_mode_32 0
		.amdhsa_float_round_mode_16_64 0
		.amdhsa_float_denorm_mode_32 3
		.amdhsa_float_denorm_mode_16_64 3
		.amdhsa_dx10_clamp 1
		.amdhsa_ieee_mode 1
		.amdhsa_fp16_overflow 0
		.amdhsa_tg_split 0
		.amdhsa_exception_fp_ieee_invalid_op 0
		.amdhsa_exception_fp_denorm_src 0
		.amdhsa_exception_fp_ieee_div_zero 0
		.amdhsa_exception_fp_ieee_overflow 0
		.amdhsa_exception_fp_ieee_underflow 0
		.amdhsa_exception_fp_ieee_inexact 0
		.amdhsa_exception_int_div_zero 0
	.end_amdhsa_kernel
	.section	.text._ZN7rocprim17ROCPRIM_400000_NS6detail17trampoline_kernelINS0_14default_configENS1_27scan_by_key_config_selectorIiiEEZZNS1_16scan_by_key_implILNS1_25lookback_scan_determinismE0ELb1ES3_N6thrust23THRUST_200600_302600_NS10device_ptrIiEESB_SB_iNS9_4plusIvEENS9_8equal_toIvEEiEE10hipError_tPvRmT2_T3_T4_T5_mT6_T7_P12ihipStream_tbENKUlT_T0_E_clISt17integral_constantIbLb0EESV_IbLb1EEEEDaSR_SS_EUlSR_E_NS1_11comp_targetILNS1_3genE5ELNS1_11target_archE942ELNS1_3gpuE9ELNS1_3repE0EEENS1_30default_config_static_selectorELNS0_4arch9wavefront6targetE1EEEvT1_,"axG",@progbits,_ZN7rocprim17ROCPRIM_400000_NS6detail17trampoline_kernelINS0_14default_configENS1_27scan_by_key_config_selectorIiiEEZZNS1_16scan_by_key_implILNS1_25lookback_scan_determinismE0ELb1ES3_N6thrust23THRUST_200600_302600_NS10device_ptrIiEESB_SB_iNS9_4plusIvEENS9_8equal_toIvEEiEE10hipError_tPvRmT2_T3_T4_T5_mT6_T7_P12ihipStream_tbENKUlT_T0_E_clISt17integral_constantIbLb0EESV_IbLb1EEEEDaSR_SS_EUlSR_E_NS1_11comp_targetILNS1_3genE5ELNS1_11target_archE942ELNS1_3gpuE9ELNS1_3repE0EEENS1_30default_config_static_selectorELNS0_4arch9wavefront6targetE1EEEvT1_,comdat
.Lfunc_end2263:
	.size	_ZN7rocprim17ROCPRIM_400000_NS6detail17trampoline_kernelINS0_14default_configENS1_27scan_by_key_config_selectorIiiEEZZNS1_16scan_by_key_implILNS1_25lookback_scan_determinismE0ELb1ES3_N6thrust23THRUST_200600_302600_NS10device_ptrIiEESB_SB_iNS9_4plusIvEENS9_8equal_toIvEEiEE10hipError_tPvRmT2_T3_T4_T5_mT6_T7_P12ihipStream_tbENKUlT_T0_E_clISt17integral_constantIbLb0EESV_IbLb1EEEEDaSR_SS_EUlSR_E_NS1_11comp_targetILNS1_3genE5ELNS1_11target_archE942ELNS1_3gpuE9ELNS1_3repE0EEENS1_30default_config_static_selectorELNS0_4arch9wavefront6targetE1EEEvT1_, .Lfunc_end2263-_ZN7rocprim17ROCPRIM_400000_NS6detail17trampoline_kernelINS0_14default_configENS1_27scan_by_key_config_selectorIiiEEZZNS1_16scan_by_key_implILNS1_25lookback_scan_determinismE0ELb1ES3_N6thrust23THRUST_200600_302600_NS10device_ptrIiEESB_SB_iNS9_4plusIvEENS9_8equal_toIvEEiEE10hipError_tPvRmT2_T3_T4_T5_mT6_T7_P12ihipStream_tbENKUlT_T0_E_clISt17integral_constantIbLb0EESV_IbLb1EEEEDaSR_SS_EUlSR_E_NS1_11comp_targetILNS1_3genE5ELNS1_11target_archE942ELNS1_3gpuE9ELNS1_3repE0EEENS1_30default_config_static_selectorELNS0_4arch9wavefront6targetE1EEEvT1_
                                        ; -- End function
	.section	.AMDGPU.csdata,"",@progbits
; Kernel info:
; codeLenInByte = 15768
; NumSgprs: 86
; NumVgprs: 83
; NumAgprs: 0
; TotalNumVgprs: 83
; ScratchSize: 0
; MemoryBound: 0
; FloatMode: 240
; IeeeMode: 1
; LDSByteSize: 25600 bytes/workgroup (compile time only)
; SGPRBlocks: 10
; VGPRBlocks: 10
; NumSGPRsForWavesPerEU: 86
; NumVGPRsForWavesPerEU: 83
; AccumOffset: 84
; Occupancy: 2
; WaveLimiterHint : 1
; COMPUTE_PGM_RSRC2:SCRATCH_EN: 0
; COMPUTE_PGM_RSRC2:USER_SGPR: 2
; COMPUTE_PGM_RSRC2:TRAP_HANDLER: 0
; COMPUTE_PGM_RSRC2:TGID_X_EN: 1
; COMPUTE_PGM_RSRC2:TGID_Y_EN: 0
; COMPUTE_PGM_RSRC2:TGID_Z_EN: 0
; COMPUTE_PGM_RSRC2:TIDIG_COMP_CNT: 0
; COMPUTE_PGM_RSRC3_GFX90A:ACCUM_OFFSET: 20
; COMPUTE_PGM_RSRC3_GFX90A:TG_SPLIT: 0
	.section	.text._ZN7rocprim17ROCPRIM_400000_NS6detail17trampoline_kernelINS0_14default_configENS1_27scan_by_key_config_selectorIiiEEZZNS1_16scan_by_key_implILNS1_25lookback_scan_determinismE0ELb1ES3_N6thrust23THRUST_200600_302600_NS10device_ptrIiEESB_SB_iNS9_4plusIvEENS9_8equal_toIvEEiEE10hipError_tPvRmT2_T3_T4_T5_mT6_T7_P12ihipStream_tbENKUlT_T0_E_clISt17integral_constantIbLb0EESV_IbLb1EEEEDaSR_SS_EUlSR_E_NS1_11comp_targetILNS1_3genE4ELNS1_11target_archE910ELNS1_3gpuE8ELNS1_3repE0EEENS1_30default_config_static_selectorELNS0_4arch9wavefront6targetE1EEEvT1_,"axG",@progbits,_ZN7rocprim17ROCPRIM_400000_NS6detail17trampoline_kernelINS0_14default_configENS1_27scan_by_key_config_selectorIiiEEZZNS1_16scan_by_key_implILNS1_25lookback_scan_determinismE0ELb1ES3_N6thrust23THRUST_200600_302600_NS10device_ptrIiEESB_SB_iNS9_4plusIvEENS9_8equal_toIvEEiEE10hipError_tPvRmT2_T3_T4_T5_mT6_T7_P12ihipStream_tbENKUlT_T0_E_clISt17integral_constantIbLb0EESV_IbLb1EEEEDaSR_SS_EUlSR_E_NS1_11comp_targetILNS1_3genE4ELNS1_11target_archE910ELNS1_3gpuE8ELNS1_3repE0EEENS1_30default_config_static_selectorELNS0_4arch9wavefront6targetE1EEEvT1_,comdat
	.protected	_ZN7rocprim17ROCPRIM_400000_NS6detail17trampoline_kernelINS0_14default_configENS1_27scan_by_key_config_selectorIiiEEZZNS1_16scan_by_key_implILNS1_25lookback_scan_determinismE0ELb1ES3_N6thrust23THRUST_200600_302600_NS10device_ptrIiEESB_SB_iNS9_4plusIvEENS9_8equal_toIvEEiEE10hipError_tPvRmT2_T3_T4_T5_mT6_T7_P12ihipStream_tbENKUlT_T0_E_clISt17integral_constantIbLb0EESV_IbLb1EEEEDaSR_SS_EUlSR_E_NS1_11comp_targetILNS1_3genE4ELNS1_11target_archE910ELNS1_3gpuE8ELNS1_3repE0EEENS1_30default_config_static_selectorELNS0_4arch9wavefront6targetE1EEEvT1_ ; -- Begin function _ZN7rocprim17ROCPRIM_400000_NS6detail17trampoline_kernelINS0_14default_configENS1_27scan_by_key_config_selectorIiiEEZZNS1_16scan_by_key_implILNS1_25lookback_scan_determinismE0ELb1ES3_N6thrust23THRUST_200600_302600_NS10device_ptrIiEESB_SB_iNS9_4plusIvEENS9_8equal_toIvEEiEE10hipError_tPvRmT2_T3_T4_T5_mT6_T7_P12ihipStream_tbENKUlT_T0_E_clISt17integral_constantIbLb0EESV_IbLb1EEEEDaSR_SS_EUlSR_E_NS1_11comp_targetILNS1_3genE4ELNS1_11target_archE910ELNS1_3gpuE8ELNS1_3repE0EEENS1_30default_config_static_selectorELNS0_4arch9wavefront6targetE1EEEvT1_
	.globl	_ZN7rocprim17ROCPRIM_400000_NS6detail17trampoline_kernelINS0_14default_configENS1_27scan_by_key_config_selectorIiiEEZZNS1_16scan_by_key_implILNS1_25lookback_scan_determinismE0ELb1ES3_N6thrust23THRUST_200600_302600_NS10device_ptrIiEESB_SB_iNS9_4plusIvEENS9_8equal_toIvEEiEE10hipError_tPvRmT2_T3_T4_T5_mT6_T7_P12ihipStream_tbENKUlT_T0_E_clISt17integral_constantIbLb0EESV_IbLb1EEEEDaSR_SS_EUlSR_E_NS1_11comp_targetILNS1_3genE4ELNS1_11target_archE910ELNS1_3gpuE8ELNS1_3repE0EEENS1_30default_config_static_selectorELNS0_4arch9wavefront6targetE1EEEvT1_
	.p2align	8
	.type	_ZN7rocprim17ROCPRIM_400000_NS6detail17trampoline_kernelINS0_14default_configENS1_27scan_by_key_config_selectorIiiEEZZNS1_16scan_by_key_implILNS1_25lookback_scan_determinismE0ELb1ES3_N6thrust23THRUST_200600_302600_NS10device_ptrIiEESB_SB_iNS9_4plusIvEENS9_8equal_toIvEEiEE10hipError_tPvRmT2_T3_T4_T5_mT6_T7_P12ihipStream_tbENKUlT_T0_E_clISt17integral_constantIbLb0EESV_IbLb1EEEEDaSR_SS_EUlSR_E_NS1_11comp_targetILNS1_3genE4ELNS1_11target_archE910ELNS1_3gpuE8ELNS1_3repE0EEENS1_30default_config_static_selectorELNS0_4arch9wavefront6targetE1EEEvT1_,@function
_ZN7rocprim17ROCPRIM_400000_NS6detail17trampoline_kernelINS0_14default_configENS1_27scan_by_key_config_selectorIiiEEZZNS1_16scan_by_key_implILNS1_25lookback_scan_determinismE0ELb1ES3_N6thrust23THRUST_200600_302600_NS10device_ptrIiEESB_SB_iNS9_4plusIvEENS9_8equal_toIvEEiEE10hipError_tPvRmT2_T3_T4_T5_mT6_T7_P12ihipStream_tbENKUlT_T0_E_clISt17integral_constantIbLb0EESV_IbLb1EEEEDaSR_SS_EUlSR_E_NS1_11comp_targetILNS1_3genE4ELNS1_11target_archE910ELNS1_3gpuE8ELNS1_3repE0EEENS1_30default_config_static_selectorELNS0_4arch9wavefront6targetE1EEEvT1_: ; @_ZN7rocprim17ROCPRIM_400000_NS6detail17trampoline_kernelINS0_14default_configENS1_27scan_by_key_config_selectorIiiEEZZNS1_16scan_by_key_implILNS1_25lookback_scan_determinismE0ELb1ES3_N6thrust23THRUST_200600_302600_NS10device_ptrIiEESB_SB_iNS9_4plusIvEENS9_8equal_toIvEEiEE10hipError_tPvRmT2_T3_T4_T5_mT6_T7_P12ihipStream_tbENKUlT_T0_E_clISt17integral_constantIbLb0EESV_IbLb1EEEEDaSR_SS_EUlSR_E_NS1_11comp_targetILNS1_3genE4ELNS1_11target_archE910ELNS1_3gpuE8ELNS1_3repE0EEENS1_30default_config_static_selectorELNS0_4arch9wavefront6targetE1EEEvT1_
; %bb.0:
	.section	.rodata,"a",@progbits
	.p2align	6, 0x0
	.amdhsa_kernel _ZN7rocprim17ROCPRIM_400000_NS6detail17trampoline_kernelINS0_14default_configENS1_27scan_by_key_config_selectorIiiEEZZNS1_16scan_by_key_implILNS1_25lookback_scan_determinismE0ELb1ES3_N6thrust23THRUST_200600_302600_NS10device_ptrIiEESB_SB_iNS9_4plusIvEENS9_8equal_toIvEEiEE10hipError_tPvRmT2_T3_T4_T5_mT6_T7_P12ihipStream_tbENKUlT_T0_E_clISt17integral_constantIbLb0EESV_IbLb1EEEEDaSR_SS_EUlSR_E_NS1_11comp_targetILNS1_3genE4ELNS1_11target_archE910ELNS1_3gpuE8ELNS1_3repE0EEENS1_30default_config_static_selectorELNS0_4arch9wavefront6targetE1EEEvT1_
		.amdhsa_group_segment_fixed_size 0
		.amdhsa_private_segment_fixed_size 0
		.amdhsa_kernarg_size 112
		.amdhsa_user_sgpr_count 2
		.amdhsa_user_sgpr_dispatch_ptr 0
		.amdhsa_user_sgpr_queue_ptr 0
		.amdhsa_user_sgpr_kernarg_segment_ptr 1
		.amdhsa_user_sgpr_dispatch_id 0
		.amdhsa_user_sgpr_kernarg_preload_length 0
		.amdhsa_user_sgpr_kernarg_preload_offset 0
		.amdhsa_user_sgpr_private_segment_size 0
		.amdhsa_uses_dynamic_stack 0
		.amdhsa_enable_private_segment 0
		.amdhsa_system_sgpr_workgroup_id_x 1
		.amdhsa_system_sgpr_workgroup_id_y 0
		.amdhsa_system_sgpr_workgroup_id_z 0
		.amdhsa_system_sgpr_workgroup_info 0
		.amdhsa_system_vgpr_workitem_id 0
		.amdhsa_next_free_vgpr 1
		.amdhsa_next_free_sgpr 0
		.amdhsa_accum_offset 4
		.amdhsa_reserve_vcc 0
		.amdhsa_float_round_mode_32 0
		.amdhsa_float_round_mode_16_64 0
		.amdhsa_float_denorm_mode_32 3
		.amdhsa_float_denorm_mode_16_64 3
		.amdhsa_dx10_clamp 1
		.amdhsa_ieee_mode 1
		.amdhsa_fp16_overflow 0
		.amdhsa_tg_split 0
		.amdhsa_exception_fp_ieee_invalid_op 0
		.amdhsa_exception_fp_denorm_src 0
		.amdhsa_exception_fp_ieee_div_zero 0
		.amdhsa_exception_fp_ieee_overflow 0
		.amdhsa_exception_fp_ieee_underflow 0
		.amdhsa_exception_fp_ieee_inexact 0
		.amdhsa_exception_int_div_zero 0
	.end_amdhsa_kernel
	.section	.text._ZN7rocprim17ROCPRIM_400000_NS6detail17trampoline_kernelINS0_14default_configENS1_27scan_by_key_config_selectorIiiEEZZNS1_16scan_by_key_implILNS1_25lookback_scan_determinismE0ELb1ES3_N6thrust23THRUST_200600_302600_NS10device_ptrIiEESB_SB_iNS9_4plusIvEENS9_8equal_toIvEEiEE10hipError_tPvRmT2_T3_T4_T5_mT6_T7_P12ihipStream_tbENKUlT_T0_E_clISt17integral_constantIbLb0EESV_IbLb1EEEEDaSR_SS_EUlSR_E_NS1_11comp_targetILNS1_3genE4ELNS1_11target_archE910ELNS1_3gpuE8ELNS1_3repE0EEENS1_30default_config_static_selectorELNS0_4arch9wavefront6targetE1EEEvT1_,"axG",@progbits,_ZN7rocprim17ROCPRIM_400000_NS6detail17trampoline_kernelINS0_14default_configENS1_27scan_by_key_config_selectorIiiEEZZNS1_16scan_by_key_implILNS1_25lookback_scan_determinismE0ELb1ES3_N6thrust23THRUST_200600_302600_NS10device_ptrIiEESB_SB_iNS9_4plusIvEENS9_8equal_toIvEEiEE10hipError_tPvRmT2_T3_T4_T5_mT6_T7_P12ihipStream_tbENKUlT_T0_E_clISt17integral_constantIbLb0EESV_IbLb1EEEEDaSR_SS_EUlSR_E_NS1_11comp_targetILNS1_3genE4ELNS1_11target_archE910ELNS1_3gpuE8ELNS1_3repE0EEENS1_30default_config_static_selectorELNS0_4arch9wavefront6targetE1EEEvT1_,comdat
.Lfunc_end2264:
	.size	_ZN7rocprim17ROCPRIM_400000_NS6detail17trampoline_kernelINS0_14default_configENS1_27scan_by_key_config_selectorIiiEEZZNS1_16scan_by_key_implILNS1_25lookback_scan_determinismE0ELb1ES3_N6thrust23THRUST_200600_302600_NS10device_ptrIiEESB_SB_iNS9_4plusIvEENS9_8equal_toIvEEiEE10hipError_tPvRmT2_T3_T4_T5_mT6_T7_P12ihipStream_tbENKUlT_T0_E_clISt17integral_constantIbLb0EESV_IbLb1EEEEDaSR_SS_EUlSR_E_NS1_11comp_targetILNS1_3genE4ELNS1_11target_archE910ELNS1_3gpuE8ELNS1_3repE0EEENS1_30default_config_static_selectorELNS0_4arch9wavefront6targetE1EEEvT1_, .Lfunc_end2264-_ZN7rocprim17ROCPRIM_400000_NS6detail17trampoline_kernelINS0_14default_configENS1_27scan_by_key_config_selectorIiiEEZZNS1_16scan_by_key_implILNS1_25lookback_scan_determinismE0ELb1ES3_N6thrust23THRUST_200600_302600_NS10device_ptrIiEESB_SB_iNS9_4plusIvEENS9_8equal_toIvEEiEE10hipError_tPvRmT2_T3_T4_T5_mT6_T7_P12ihipStream_tbENKUlT_T0_E_clISt17integral_constantIbLb0EESV_IbLb1EEEEDaSR_SS_EUlSR_E_NS1_11comp_targetILNS1_3genE4ELNS1_11target_archE910ELNS1_3gpuE8ELNS1_3repE0EEENS1_30default_config_static_selectorELNS0_4arch9wavefront6targetE1EEEvT1_
                                        ; -- End function
	.section	.AMDGPU.csdata,"",@progbits
; Kernel info:
; codeLenInByte = 0
; NumSgprs: 6
; NumVgprs: 0
; NumAgprs: 0
; TotalNumVgprs: 0
; ScratchSize: 0
; MemoryBound: 0
; FloatMode: 240
; IeeeMode: 1
; LDSByteSize: 0 bytes/workgroup (compile time only)
; SGPRBlocks: 0
; VGPRBlocks: 0
; NumSGPRsForWavesPerEU: 6
; NumVGPRsForWavesPerEU: 1
; AccumOffset: 4
; Occupancy: 8
; WaveLimiterHint : 0
; COMPUTE_PGM_RSRC2:SCRATCH_EN: 0
; COMPUTE_PGM_RSRC2:USER_SGPR: 2
; COMPUTE_PGM_RSRC2:TRAP_HANDLER: 0
; COMPUTE_PGM_RSRC2:TGID_X_EN: 1
; COMPUTE_PGM_RSRC2:TGID_Y_EN: 0
; COMPUTE_PGM_RSRC2:TGID_Z_EN: 0
; COMPUTE_PGM_RSRC2:TIDIG_COMP_CNT: 0
; COMPUTE_PGM_RSRC3_GFX90A:ACCUM_OFFSET: 0
; COMPUTE_PGM_RSRC3_GFX90A:TG_SPLIT: 0
	.section	.text._ZN7rocprim17ROCPRIM_400000_NS6detail17trampoline_kernelINS0_14default_configENS1_27scan_by_key_config_selectorIiiEEZZNS1_16scan_by_key_implILNS1_25lookback_scan_determinismE0ELb1ES3_N6thrust23THRUST_200600_302600_NS10device_ptrIiEESB_SB_iNS9_4plusIvEENS9_8equal_toIvEEiEE10hipError_tPvRmT2_T3_T4_T5_mT6_T7_P12ihipStream_tbENKUlT_T0_E_clISt17integral_constantIbLb0EESV_IbLb1EEEEDaSR_SS_EUlSR_E_NS1_11comp_targetILNS1_3genE3ELNS1_11target_archE908ELNS1_3gpuE7ELNS1_3repE0EEENS1_30default_config_static_selectorELNS0_4arch9wavefront6targetE1EEEvT1_,"axG",@progbits,_ZN7rocprim17ROCPRIM_400000_NS6detail17trampoline_kernelINS0_14default_configENS1_27scan_by_key_config_selectorIiiEEZZNS1_16scan_by_key_implILNS1_25lookback_scan_determinismE0ELb1ES3_N6thrust23THRUST_200600_302600_NS10device_ptrIiEESB_SB_iNS9_4plusIvEENS9_8equal_toIvEEiEE10hipError_tPvRmT2_T3_T4_T5_mT6_T7_P12ihipStream_tbENKUlT_T0_E_clISt17integral_constantIbLb0EESV_IbLb1EEEEDaSR_SS_EUlSR_E_NS1_11comp_targetILNS1_3genE3ELNS1_11target_archE908ELNS1_3gpuE7ELNS1_3repE0EEENS1_30default_config_static_selectorELNS0_4arch9wavefront6targetE1EEEvT1_,comdat
	.protected	_ZN7rocprim17ROCPRIM_400000_NS6detail17trampoline_kernelINS0_14default_configENS1_27scan_by_key_config_selectorIiiEEZZNS1_16scan_by_key_implILNS1_25lookback_scan_determinismE0ELb1ES3_N6thrust23THRUST_200600_302600_NS10device_ptrIiEESB_SB_iNS9_4plusIvEENS9_8equal_toIvEEiEE10hipError_tPvRmT2_T3_T4_T5_mT6_T7_P12ihipStream_tbENKUlT_T0_E_clISt17integral_constantIbLb0EESV_IbLb1EEEEDaSR_SS_EUlSR_E_NS1_11comp_targetILNS1_3genE3ELNS1_11target_archE908ELNS1_3gpuE7ELNS1_3repE0EEENS1_30default_config_static_selectorELNS0_4arch9wavefront6targetE1EEEvT1_ ; -- Begin function _ZN7rocprim17ROCPRIM_400000_NS6detail17trampoline_kernelINS0_14default_configENS1_27scan_by_key_config_selectorIiiEEZZNS1_16scan_by_key_implILNS1_25lookback_scan_determinismE0ELb1ES3_N6thrust23THRUST_200600_302600_NS10device_ptrIiEESB_SB_iNS9_4plusIvEENS9_8equal_toIvEEiEE10hipError_tPvRmT2_T3_T4_T5_mT6_T7_P12ihipStream_tbENKUlT_T0_E_clISt17integral_constantIbLb0EESV_IbLb1EEEEDaSR_SS_EUlSR_E_NS1_11comp_targetILNS1_3genE3ELNS1_11target_archE908ELNS1_3gpuE7ELNS1_3repE0EEENS1_30default_config_static_selectorELNS0_4arch9wavefront6targetE1EEEvT1_
	.globl	_ZN7rocprim17ROCPRIM_400000_NS6detail17trampoline_kernelINS0_14default_configENS1_27scan_by_key_config_selectorIiiEEZZNS1_16scan_by_key_implILNS1_25lookback_scan_determinismE0ELb1ES3_N6thrust23THRUST_200600_302600_NS10device_ptrIiEESB_SB_iNS9_4plusIvEENS9_8equal_toIvEEiEE10hipError_tPvRmT2_T3_T4_T5_mT6_T7_P12ihipStream_tbENKUlT_T0_E_clISt17integral_constantIbLb0EESV_IbLb1EEEEDaSR_SS_EUlSR_E_NS1_11comp_targetILNS1_3genE3ELNS1_11target_archE908ELNS1_3gpuE7ELNS1_3repE0EEENS1_30default_config_static_selectorELNS0_4arch9wavefront6targetE1EEEvT1_
	.p2align	8
	.type	_ZN7rocprim17ROCPRIM_400000_NS6detail17trampoline_kernelINS0_14default_configENS1_27scan_by_key_config_selectorIiiEEZZNS1_16scan_by_key_implILNS1_25lookback_scan_determinismE0ELb1ES3_N6thrust23THRUST_200600_302600_NS10device_ptrIiEESB_SB_iNS9_4plusIvEENS9_8equal_toIvEEiEE10hipError_tPvRmT2_T3_T4_T5_mT6_T7_P12ihipStream_tbENKUlT_T0_E_clISt17integral_constantIbLb0EESV_IbLb1EEEEDaSR_SS_EUlSR_E_NS1_11comp_targetILNS1_3genE3ELNS1_11target_archE908ELNS1_3gpuE7ELNS1_3repE0EEENS1_30default_config_static_selectorELNS0_4arch9wavefront6targetE1EEEvT1_,@function
_ZN7rocprim17ROCPRIM_400000_NS6detail17trampoline_kernelINS0_14default_configENS1_27scan_by_key_config_selectorIiiEEZZNS1_16scan_by_key_implILNS1_25lookback_scan_determinismE0ELb1ES3_N6thrust23THRUST_200600_302600_NS10device_ptrIiEESB_SB_iNS9_4plusIvEENS9_8equal_toIvEEiEE10hipError_tPvRmT2_T3_T4_T5_mT6_T7_P12ihipStream_tbENKUlT_T0_E_clISt17integral_constantIbLb0EESV_IbLb1EEEEDaSR_SS_EUlSR_E_NS1_11comp_targetILNS1_3genE3ELNS1_11target_archE908ELNS1_3gpuE7ELNS1_3repE0EEENS1_30default_config_static_selectorELNS0_4arch9wavefront6targetE1EEEvT1_: ; @_ZN7rocprim17ROCPRIM_400000_NS6detail17trampoline_kernelINS0_14default_configENS1_27scan_by_key_config_selectorIiiEEZZNS1_16scan_by_key_implILNS1_25lookback_scan_determinismE0ELb1ES3_N6thrust23THRUST_200600_302600_NS10device_ptrIiEESB_SB_iNS9_4plusIvEENS9_8equal_toIvEEiEE10hipError_tPvRmT2_T3_T4_T5_mT6_T7_P12ihipStream_tbENKUlT_T0_E_clISt17integral_constantIbLb0EESV_IbLb1EEEEDaSR_SS_EUlSR_E_NS1_11comp_targetILNS1_3genE3ELNS1_11target_archE908ELNS1_3gpuE7ELNS1_3repE0EEENS1_30default_config_static_selectorELNS0_4arch9wavefront6targetE1EEEvT1_
; %bb.0:
	.section	.rodata,"a",@progbits
	.p2align	6, 0x0
	.amdhsa_kernel _ZN7rocprim17ROCPRIM_400000_NS6detail17trampoline_kernelINS0_14default_configENS1_27scan_by_key_config_selectorIiiEEZZNS1_16scan_by_key_implILNS1_25lookback_scan_determinismE0ELb1ES3_N6thrust23THRUST_200600_302600_NS10device_ptrIiEESB_SB_iNS9_4plusIvEENS9_8equal_toIvEEiEE10hipError_tPvRmT2_T3_T4_T5_mT6_T7_P12ihipStream_tbENKUlT_T0_E_clISt17integral_constantIbLb0EESV_IbLb1EEEEDaSR_SS_EUlSR_E_NS1_11comp_targetILNS1_3genE3ELNS1_11target_archE908ELNS1_3gpuE7ELNS1_3repE0EEENS1_30default_config_static_selectorELNS0_4arch9wavefront6targetE1EEEvT1_
		.amdhsa_group_segment_fixed_size 0
		.amdhsa_private_segment_fixed_size 0
		.amdhsa_kernarg_size 112
		.amdhsa_user_sgpr_count 2
		.amdhsa_user_sgpr_dispatch_ptr 0
		.amdhsa_user_sgpr_queue_ptr 0
		.amdhsa_user_sgpr_kernarg_segment_ptr 1
		.amdhsa_user_sgpr_dispatch_id 0
		.amdhsa_user_sgpr_kernarg_preload_length 0
		.amdhsa_user_sgpr_kernarg_preload_offset 0
		.amdhsa_user_sgpr_private_segment_size 0
		.amdhsa_uses_dynamic_stack 0
		.amdhsa_enable_private_segment 0
		.amdhsa_system_sgpr_workgroup_id_x 1
		.amdhsa_system_sgpr_workgroup_id_y 0
		.amdhsa_system_sgpr_workgroup_id_z 0
		.amdhsa_system_sgpr_workgroup_info 0
		.amdhsa_system_vgpr_workitem_id 0
		.amdhsa_next_free_vgpr 1
		.amdhsa_next_free_sgpr 0
		.amdhsa_accum_offset 4
		.amdhsa_reserve_vcc 0
		.amdhsa_float_round_mode_32 0
		.amdhsa_float_round_mode_16_64 0
		.amdhsa_float_denorm_mode_32 3
		.amdhsa_float_denorm_mode_16_64 3
		.amdhsa_dx10_clamp 1
		.amdhsa_ieee_mode 1
		.amdhsa_fp16_overflow 0
		.amdhsa_tg_split 0
		.amdhsa_exception_fp_ieee_invalid_op 0
		.amdhsa_exception_fp_denorm_src 0
		.amdhsa_exception_fp_ieee_div_zero 0
		.amdhsa_exception_fp_ieee_overflow 0
		.amdhsa_exception_fp_ieee_underflow 0
		.amdhsa_exception_fp_ieee_inexact 0
		.amdhsa_exception_int_div_zero 0
	.end_amdhsa_kernel
	.section	.text._ZN7rocprim17ROCPRIM_400000_NS6detail17trampoline_kernelINS0_14default_configENS1_27scan_by_key_config_selectorIiiEEZZNS1_16scan_by_key_implILNS1_25lookback_scan_determinismE0ELb1ES3_N6thrust23THRUST_200600_302600_NS10device_ptrIiEESB_SB_iNS9_4plusIvEENS9_8equal_toIvEEiEE10hipError_tPvRmT2_T3_T4_T5_mT6_T7_P12ihipStream_tbENKUlT_T0_E_clISt17integral_constantIbLb0EESV_IbLb1EEEEDaSR_SS_EUlSR_E_NS1_11comp_targetILNS1_3genE3ELNS1_11target_archE908ELNS1_3gpuE7ELNS1_3repE0EEENS1_30default_config_static_selectorELNS0_4arch9wavefront6targetE1EEEvT1_,"axG",@progbits,_ZN7rocprim17ROCPRIM_400000_NS6detail17trampoline_kernelINS0_14default_configENS1_27scan_by_key_config_selectorIiiEEZZNS1_16scan_by_key_implILNS1_25lookback_scan_determinismE0ELb1ES3_N6thrust23THRUST_200600_302600_NS10device_ptrIiEESB_SB_iNS9_4plusIvEENS9_8equal_toIvEEiEE10hipError_tPvRmT2_T3_T4_T5_mT6_T7_P12ihipStream_tbENKUlT_T0_E_clISt17integral_constantIbLb0EESV_IbLb1EEEEDaSR_SS_EUlSR_E_NS1_11comp_targetILNS1_3genE3ELNS1_11target_archE908ELNS1_3gpuE7ELNS1_3repE0EEENS1_30default_config_static_selectorELNS0_4arch9wavefront6targetE1EEEvT1_,comdat
.Lfunc_end2265:
	.size	_ZN7rocprim17ROCPRIM_400000_NS6detail17trampoline_kernelINS0_14default_configENS1_27scan_by_key_config_selectorIiiEEZZNS1_16scan_by_key_implILNS1_25lookback_scan_determinismE0ELb1ES3_N6thrust23THRUST_200600_302600_NS10device_ptrIiEESB_SB_iNS9_4plusIvEENS9_8equal_toIvEEiEE10hipError_tPvRmT2_T3_T4_T5_mT6_T7_P12ihipStream_tbENKUlT_T0_E_clISt17integral_constantIbLb0EESV_IbLb1EEEEDaSR_SS_EUlSR_E_NS1_11comp_targetILNS1_3genE3ELNS1_11target_archE908ELNS1_3gpuE7ELNS1_3repE0EEENS1_30default_config_static_selectorELNS0_4arch9wavefront6targetE1EEEvT1_, .Lfunc_end2265-_ZN7rocprim17ROCPRIM_400000_NS6detail17trampoline_kernelINS0_14default_configENS1_27scan_by_key_config_selectorIiiEEZZNS1_16scan_by_key_implILNS1_25lookback_scan_determinismE0ELb1ES3_N6thrust23THRUST_200600_302600_NS10device_ptrIiEESB_SB_iNS9_4plusIvEENS9_8equal_toIvEEiEE10hipError_tPvRmT2_T3_T4_T5_mT6_T7_P12ihipStream_tbENKUlT_T0_E_clISt17integral_constantIbLb0EESV_IbLb1EEEEDaSR_SS_EUlSR_E_NS1_11comp_targetILNS1_3genE3ELNS1_11target_archE908ELNS1_3gpuE7ELNS1_3repE0EEENS1_30default_config_static_selectorELNS0_4arch9wavefront6targetE1EEEvT1_
                                        ; -- End function
	.section	.AMDGPU.csdata,"",@progbits
; Kernel info:
; codeLenInByte = 0
; NumSgprs: 6
; NumVgprs: 0
; NumAgprs: 0
; TotalNumVgprs: 0
; ScratchSize: 0
; MemoryBound: 0
; FloatMode: 240
; IeeeMode: 1
; LDSByteSize: 0 bytes/workgroup (compile time only)
; SGPRBlocks: 0
; VGPRBlocks: 0
; NumSGPRsForWavesPerEU: 6
; NumVGPRsForWavesPerEU: 1
; AccumOffset: 4
; Occupancy: 8
; WaveLimiterHint : 0
; COMPUTE_PGM_RSRC2:SCRATCH_EN: 0
; COMPUTE_PGM_RSRC2:USER_SGPR: 2
; COMPUTE_PGM_RSRC2:TRAP_HANDLER: 0
; COMPUTE_PGM_RSRC2:TGID_X_EN: 1
; COMPUTE_PGM_RSRC2:TGID_Y_EN: 0
; COMPUTE_PGM_RSRC2:TGID_Z_EN: 0
; COMPUTE_PGM_RSRC2:TIDIG_COMP_CNT: 0
; COMPUTE_PGM_RSRC3_GFX90A:ACCUM_OFFSET: 0
; COMPUTE_PGM_RSRC3_GFX90A:TG_SPLIT: 0
	.section	.text._ZN7rocprim17ROCPRIM_400000_NS6detail17trampoline_kernelINS0_14default_configENS1_27scan_by_key_config_selectorIiiEEZZNS1_16scan_by_key_implILNS1_25lookback_scan_determinismE0ELb1ES3_N6thrust23THRUST_200600_302600_NS10device_ptrIiEESB_SB_iNS9_4plusIvEENS9_8equal_toIvEEiEE10hipError_tPvRmT2_T3_T4_T5_mT6_T7_P12ihipStream_tbENKUlT_T0_E_clISt17integral_constantIbLb0EESV_IbLb1EEEEDaSR_SS_EUlSR_E_NS1_11comp_targetILNS1_3genE2ELNS1_11target_archE906ELNS1_3gpuE6ELNS1_3repE0EEENS1_30default_config_static_selectorELNS0_4arch9wavefront6targetE1EEEvT1_,"axG",@progbits,_ZN7rocprim17ROCPRIM_400000_NS6detail17trampoline_kernelINS0_14default_configENS1_27scan_by_key_config_selectorIiiEEZZNS1_16scan_by_key_implILNS1_25lookback_scan_determinismE0ELb1ES3_N6thrust23THRUST_200600_302600_NS10device_ptrIiEESB_SB_iNS9_4plusIvEENS9_8equal_toIvEEiEE10hipError_tPvRmT2_T3_T4_T5_mT6_T7_P12ihipStream_tbENKUlT_T0_E_clISt17integral_constantIbLb0EESV_IbLb1EEEEDaSR_SS_EUlSR_E_NS1_11comp_targetILNS1_3genE2ELNS1_11target_archE906ELNS1_3gpuE6ELNS1_3repE0EEENS1_30default_config_static_selectorELNS0_4arch9wavefront6targetE1EEEvT1_,comdat
	.protected	_ZN7rocprim17ROCPRIM_400000_NS6detail17trampoline_kernelINS0_14default_configENS1_27scan_by_key_config_selectorIiiEEZZNS1_16scan_by_key_implILNS1_25lookback_scan_determinismE0ELb1ES3_N6thrust23THRUST_200600_302600_NS10device_ptrIiEESB_SB_iNS9_4plusIvEENS9_8equal_toIvEEiEE10hipError_tPvRmT2_T3_T4_T5_mT6_T7_P12ihipStream_tbENKUlT_T0_E_clISt17integral_constantIbLb0EESV_IbLb1EEEEDaSR_SS_EUlSR_E_NS1_11comp_targetILNS1_3genE2ELNS1_11target_archE906ELNS1_3gpuE6ELNS1_3repE0EEENS1_30default_config_static_selectorELNS0_4arch9wavefront6targetE1EEEvT1_ ; -- Begin function _ZN7rocprim17ROCPRIM_400000_NS6detail17trampoline_kernelINS0_14default_configENS1_27scan_by_key_config_selectorIiiEEZZNS1_16scan_by_key_implILNS1_25lookback_scan_determinismE0ELb1ES3_N6thrust23THRUST_200600_302600_NS10device_ptrIiEESB_SB_iNS9_4plusIvEENS9_8equal_toIvEEiEE10hipError_tPvRmT2_T3_T4_T5_mT6_T7_P12ihipStream_tbENKUlT_T0_E_clISt17integral_constantIbLb0EESV_IbLb1EEEEDaSR_SS_EUlSR_E_NS1_11comp_targetILNS1_3genE2ELNS1_11target_archE906ELNS1_3gpuE6ELNS1_3repE0EEENS1_30default_config_static_selectorELNS0_4arch9wavefront6targetE1EEEvT1_
	.globl	_ZN7rocprim17ROCPRIM_400000_NS6detail17trampoline_kernelINS0_14default_configENS1_27scan_by_key_config_selectorIiiEEZZNS1_16scan_by_key_implILNS1_25lookback_scan_determinismE0ELb1ES3_N6thrust23THRUST_200600_302600_NS10device_ptrIiEESB_SB_iNS9_4plusIvEENS9_8equal_toIvEEiEE10hipError_tPvRmT2_T3_T4_T5_mT6_T7_P12ihipStream_tbENKUlT_T0_E_clISt17integral_constantIbLb0EESV_IbLb1EEEEDaSR_SS_EUlSR_E_NS1_11comp_targetILNS1_3genE2ELNS1_11target_archE906ELNS1_3gpuE6ELNS1_3repE0EEENS1_30default_config_static_selectorELNS0_4arch9wavefront6targetE1EEEvT1_
	.p2align	8
	.type	_ZN7rocprim17ROCPRIM_400000_NS6detail17trampoline_kernelINS0_14default_configENS1_27scan_by_key_config_selectorIiiEEZZNS1_16scan_by_key_implILNS1_25lookback_scan_determinismE0ELb1ES3_N6thrust23THRUST_200600_302600_NS10device_ptrIiEESB_SB_iNS9_4plusIvEENS9_8equal_toIvEEiEE10hipError_tPvRmT2_T3_T4_T5_mT6_T7_P12ihipStream_tbENKUlT_T0_E_clISt17integral_constantIbLb0EESV_IbLb1EEEEDaSR_SS_EUlSR_E_NS1_11comp_targetILNS1_3genE2ELNS1_11target_archE906ELNS1_3gpuE6ELNS1_3repE0EEENS1_30default_config_static_selectorELNS0_4arch9wavefront6targetE1EEEvT1_,@function
_ZN7rocprim17ROCPRIM_400000_NS6detail17trampoline_kernelINS0_14default_configENS1_27scan_by_key_config_selectorIiiEEZZNS1_16scan_by_key_implILNS1_25lookback_scan_determinismE0ELb1ES3_N6thrust23THRUST_200600_302600_NS10device_ptrIiEESB_SB_iNS9_4plusIvEENS9_8equal_toIvEEiEE10hipError_tPvRmT2_T3_T4_T5_mT6_T7_P12ihipStream_tbENKUlT_T0_E_clISt17integral_constantIbLb0EESV_IbLb1EEEEDaSR_SS_EUlSR_E_NS1_11comp_targetILNS1_3genE2ELNS1_11target_archE906ELNS1_3gpuE6ELNS1_3repE0EEENS1_30default_config_static_selectorELNS0_4arch9wavefront6targetE1EEEvT1_: ; @_ZN7rocprim17ROCPRIM_400000_NS6detail17trampoline_kernelINS0_14default_configENS1_27scan_by_key_config_selectorIiiEEZZNS1_16scan_by_key_implILNS1_25lookback_scan_determinismE0ELb1ES3_N6thrust23THRUST_200600_302600_NS10device_ptrIiEESB_SB_iNS9_4plusIvEENS9_8equal_toIvEEiEE10hipError_tPvRmT2_T3_T4_T5_mT6_T7_P12ihipStream_tbENKUlT_T0_E_clISt17integral_constantIbLb0EESV_IbLb1EEEEDaSR_SS_EUlSR_E_NS1_11comp_targetILNS1_3genE2ELNS1_11target_archE906ELNS1_3gpuE6ELNS1_3repE0EEENS1_30default_config_static_selectorELNS0_4arch9wavefront6targetE1EEEvT1_
; %bb.0:
	.section	.rodata,"a",@progbits
	.p2align	6, 0x0
	.amdhsa_kernel _ZN7rocprim17ROCPRIM_400000_NS6detail17trampoline_kernelINS0_14default_configENS1_27scan_by_key_config_selectorIiiEEZZNS1_16scan_by_key_implILNS1_25lookback_scan_determinismE0ELb1ES3_N6thrust23THRUST_200600_302600_NS10device_ptrIiEESB_SB_iNS9_4plusIvEENS9_8equal_toIvEEiEE10hipError_tPvRmT2_T3_T4_T5_mT6_T7_P12ihipStream_tbENKUlT_T0_E_clISt17integral_constantIbLb0EESV_IbLb1EEEEDaSR_SS_EUlSR_E_NS1_11comp_targetILNS1_3genE2ELNS1_11target_archE906ELNS1_3gpuE6ELNS1_3repE0EEENS1_30default_config_static_selectorELNS0_4arch9wavefront6targetE1EEEvT1_
		.amdhsa_group_segment_fixed_size 0
		.amdhsa_private_segment_fixed_size 0
		.amdhsa_kernarg_size 112
		.amdhsa_user_sgpr_count 2
		.amdhsa_user_sgpr_dispatch_ptr 0
		.amdhsa_user_sgpr_queue_ptr 0
		.amdhsa_user_sgpr_kernarg_segment_ptr 1
		.amdhsa_user_sgpr_dispatch_id 0
		.amdhsa_user_sgpr_kernarg_preload_length 0
		.amdhsa_user_sgpr_kernarg_preload_offset 0
		.amdhsa_user_sgpr_private_segment_size 0
		.amdhsa_uses_dynamic_stack 0
		.amdhsa_enable_private_segment 0
		.amdhsa_system_sgpr_workgroup_id_x 1
		.amdhsa_system_sgpr_workgroup_id_y 0
		.amdhsa_system_sgpr_workgroup_id_z 0
		.amdhsa_system_sgpr_workgroup_info 0
		.amdhsa_system_vgpr_workitem_id 0
		.amdhsa_next_free_vgpr 1
		.amdhsa_next_free_sgpr 0
		.amdhsa_accum_offset 4
		.amdhsa_reserve_vcc 0
		.amdhsa_float_round_mode_32 0
		.amdhsa_float_round_mode_16_64 0
		.amdhsa_float_denorm_mode_32 3
		.amdhsa_float_denorm_mode_16_64 3
		.amdhsa_dx10_clamp 1
		.amdhsa_ieee_mode 1
		.amdhsa_fp16_overflow 0
		.amdhsa_tg_split 0
		.amdhsa_exception_fp_ieee_invalid_op 0
		.amdhsa_exception_fp_denorm_src 0
		.amdhsa_exception_fp_ieee_div_zero 0
		.amdhsa_exception_fp_ieee_overflow 0
		.amdhsa_exception_fp_ieee_underflow 0
		.amdhsa_exception_fp_ieee_inexact 0
		.amdhsa_exception_int_div_zero 0
	.end_amdhsa_kernel
	.section	.text._ZN7rocprim17ROCPRIM_400000_NS6detail17trampoline_kernelINS0_14default_configENS1_27scan_by_key_config_selectorIiiEEZZNS1_16scan_by_key_implILNS1_25lookback_scan_determinismE0ELb1ES3_N6thrust23THRUST_200600_302600_NS10device_ptrIiEESB_SB_iNS9_4plusIvEENS9_8equal_toIvEEiEE10hipError_tPvRmT2_T3_T4_T5_mT6_T7_P12ihipStream_tbENKUlT_T0_E_clISt17integral_constantIbLb0EESV_IbLb1EEEEDaSR_SS_EUlSR_E_NS1_11comp_targetILNS1_3genE2ELNS1_11target_archE906ELNS1_3gpuE6ELNS1_3repE0EEENS1_30default_config_static_selectorELNS0_4arch9wavefront6targetE1EEEvT1_,"axG",@progbits,_ZN7rocprim17ROCPRIM_400000_NS6detail17trampoline_kernelINS0_14default_configENS1_27scan_by_key_config_selectorIiiEEZZNS1_16scan_by_key_implILNS1_25lookback_scan_determinismE0ELb1ES3_N6thrust23THRUST_200600_302600_NS10device_ptrIiEESB_SB_iNS9_4plusIvEENS9_8equal_toIvEEiEE10hipError_tPvRmT2_T3_T4_T5_mT6_T7_P12ihipStream_tbENKUlT_T0_E_clISt17integral_constantIbLb0EESV_IbLb1EEEEDaSR_SS_EUlSR_E_NS1_11comp_targetILNS1_3genE2ELNS1_11target_archE906ELNS1_3gpuE6ELNS1_3repE0EEENS1_30default_config_static_selectorELNS0_4arch9wavefront6targetE1EEEvT1_,comdat
.Lfunc_end2266:
	.size	_ZN7rocprim17ROCPRIM_400000_NS6detail17trampoline_kernelINS0_14default_configENS1_27scan_by_key_config_selectorIiiEEZZNS1_16scan_by_key_implILNS1_25lookback_scan_determinismE0ELb1ES3_N6thrust23THRUST_200600_302600_NS10device_ptrIiEESB_SB_iNS9_4plusIvEENS9_8equal_toIvEEiEE10hipError_tPvRmT2_T3_T4_T5_mT6_T7_P12ihipStream_tbENKUlT_T0_E_clISt17integral_constantIbLb0EESV_IbLb1EEEEDaSR_SS_EUlSR_E_NS1_11comp_targetILNS1_3genE2ELNS1_11target_archE906ELNS1_3gpuE6ELNS1_3repE0EEENS1_30default_config_static_selectorELNS0_4arch9wavefront6targetE1EEEvT1_, .Lfunc_end2266-_ZN7rocprim17ROCPRIM_400000_NS6detail17trampoline_kernelINS0_14default_configENS1_27scan_by_key_config_selectorIiiEEZZNS1_16scan_by_key_implILNS1_25lookback_scan_determinismE0ELb1ES3_N6thrust23THRUST_200600_302600_NS10device_ptrIiEESB_SB_iNS9_4plusIvEENS9_8equal_toIvEEiEE10hipError_tPvRmT2_T3_T4_T5_mT6_T7_P12ihipStream_tbENKUlT_T0_E_clISt17integral_constantIbLb0EESV_IbLb1EEEEDaSR_SS_EUlSR_E_NS1_11comp_targetILNS1_3genE2ELNS1_11target_archE906ELNS1_3gpuE6ELNS1_3repE0EEENS1_30default_config_static_selectorELNS0_4arch9wavefront6targetE1EEEvT1_
                                        ; -- End function
	.section	.AMDGPU.csdata,"",@progbits
; Kernel info:
; codeLenInByte = 0
; NumSgprs: 6
; NumVgprs: 0
; NumAgprs: 0
; TotalNumVgprs: 0
; ScratchSize: 0
; MemoryBound: 0
; FloatMode: 240
; IeeeMode: 1
; LDSByteSize: 0 bytes/workgroup (compile time only)
; SGPRBlocks: 0
; VGPRBlocks: 0
; NumSGPRsForWavesPerEU: 6
; NumVGPRsForWavesPerEU: 1
; AccumOffset: 4
; Occupancy: 8
; WaveLimiterHint : 0
; COMPUTE_PGM_RSRC2:SCRATCH_EN: 0
; COMPUTE_PGM_RSRC2:USER_SGPR: 2
; COMPUTE_PGM_RSRC2:TRAP_HANDLER: 0
; COMPUTE_PGM_RSRC2:TGID_X_EN: 1
; COMPUTE_PGM_RSRC2:TGID_Y_EN: 0
; COMPUTE_PGM_RSRC2:TGID_Z_EN: 0
; COMPUTE_PGM_RSRC2:TIDIG_COMP_CNT: 0
; COMPUTE_PGM_RSRC3_GFX90A:ACCUM_OFFSET: 0
; COMPUTE_PGM_RSRC3_GFX90A:TG_SPLIT: 0
	.section	.text._ZN7rocprim17ROCPRIM_400000_NS6detail17trampoline_kernelINS0_14default_configENS1_27scan_by_key_config_selectorIiiEEZZNS1_16scan_by_key_implILNS1_25lookback_scan_determinismE0ELb1ES3_N6thrust23THRUST_200600_302600_NS10device_ptrIiEESB_SB_iNS9_4plusIvEENS9_8equal_toIvEEiEE10hipError_tPvRmT2_T3_T4_T5_mT6_T7_P12ihipStream_tbENKUlT_T0_E_clISt17integral_constantIbLb0EESV_IbLb1EEEEDaSR_SS_EUlSR_E_NS1_11comp_targetILNS1_3genE10ELNS1_11target_archE1200ELNS1_3gpuE4ELNS1_3repE0EEENS1_30default_config_static_selectorELNS0_4arch9wavefront6targetE1EEEvT1_,"axG",@progbits,_ZN7rocprim17ROCPRIM_400000_NS6detail17trampoline_kernelINS0_14default_configENS1_27scan_by_key_config_selectorIiiEEZZNS1_16scan_by_key_implILNS1_25lookback_scan_determinismE0ELb1ES3_N6thrust23THRUST_200600_302600_NS10device_ptrIiEESB_SB_iNS9_4plusIvEENS9_8equal_toIvEEiEE10hipError_tPvRmT2_T3_T4_T5_mT6_T7_P12ihipStream_tbENKUlT_T0_E_clISt17integral_constantIbLb0EESV_IbLb1EEEEDaSR_SS_EUlSR_E_NS1_11comp_targetILNS1_3genE10ELNS1_11target_archE1200ELNS1_3gpuE4ELNS1_3repE0EEENS1_30default_config_static_selectorELNS0_4arch9wavefront6targetE1EEEvT1_,comdat
	.protected	_ZN7rocprim17ROCPRIM_400000_NS6detail17trampoline_kernelINS0_14default_configENS1_27scan_by_key_config_selectorIiiEEZZNS1_16scan_by_key_implILNS1_25lookback_scan_determinismE0ELb1ES3_N6thrust23THRUST_200600_302600_NS10device_ptrIiEESB_SB_iNS9_4plusIvEENS9_8equal_toIvEEiEE10hipError_tPvRmT2_T3_T4_T5_mT6_T7_P12ihipStream_tbENKUlT_T0_E_clISt17integral_constantIbLb0EESV_IbLb1EEEEDaSR_SS_EUlSR_E_NS1_11comp_targetILNS1_3genE10ELNS1_11target_archE1200ELNS1_3gpuE4ELNS1_3repE0EEENS1_30default_config_static_selectorELNS0_4arch9wavefront6targetE1EEEvT1_ ; -- Begin function _ZN7rocprim17ROCPRIM_400000_NS6detail17trampoline_kernelINS0_14default_configENS1_27scan_by_key_config_selectorIiiEEZZNS1_16scan_by_key_implILNS1_25lookback_scan_determinismE0ELb1ES3_N6thrust23THRUST_200600_302600_NS10device_ptrIiEESB_SB_iNS9_4plusIvEENS9_8equal_toIvEEiEE10hipError_tPvRmT2_T3_T4_T5_mT6_T7_P12ihipStream_tbENKUlT_T0_E_clISt17integral_constantIbLb0EESV_IbLb1EEEEDaSR_SS_EUlSR_E_NS1_11comp_targetILNS1_3genE10ELNS1_11target_archE1200ELNS1_3gpuE4ELNS1_3repE0EEENS1_30default_config_static_selectorELNS0_4arch9wavefront6targetE1EEEvT1_
	.globl	_ZN7rocprim17ROCPRIM_400000_NS6detail17trampoline_kernelINS0_14default_configENS1_27scan_by_key_config_selectorIiiEEZZNS1_16scan_by_key_implILNS1_25lookback_scan_determinismE0ELb1ES3_N6thrust23THRUST_200600_302600_NS10device_ptrIiEESB_SB_iNS9_4plusIvEENS9_8equal_toIvEEiEE10hipError_tPvRmT2_T3_T4_T5_mT6_T7_P12ihipStream_tbENKUlT_T0_E_clISt17integral_constantIbLb0EESV_IbLb1EEEEDaSR_SS_EUlSR_E_NS1_11comp_targetILNS1_3genE10ELNS1_11target_archE1200ELNS1_3gpuE4ELNS1_3repE0EEENS1_30default_config_static_selectorELNS0_4arch9wavefront6targetE1EEEvT1_
	.p2align	8
	.type	_ZN7rocprim17ROCPRIM_400000_NS6detail17trampoline_kernelINS0_14default_configENS1_27scan_by_key_config_selectorIiiEEZZNS1_16scan_by_key_implILNS1_25lookback_scan_determinismE0ELb1ES3_N6thrust23THRUST_200600_302600_NS10device_ptrIiEESB_SB_iNS9_4plusIvEENS9_8equal_toIvEEiEE10hipError_tPvRmT2_T3_T4_T5_mT6_T7_P12ihipStream_tbENKUlT_T0_E_clISt17integral_constantIbLb0EESV_IbLb1EEEEDaSR_SS_EUlSR_E_NS1_11comp_targetILNS1_3genE10ELNS1_11target_archE1200ELNS1_3gpuE4ELNS1_3repE0EEENS1_30default_config_static_selectorELNS0_4arch9wavefront6targetE1EEEvT1_,@function
_ZN7rocprim17ROCPRIM_400000_NS6detail17trampoline_kernelINS0_14default_configENS1_27scan_by_key_config_selectorIiiEEZZNS1_16scan_by_key_implILNS1_25lookback_scan_determinismE0ELb1ES3_N6thrust23THRUST_200600_302600_NS10device_ptrIiEESB_SB_iNS9_4plusIvEENS9_8equal_toIvEEiEE10hipError_tPvRmT2_T3_T4_T5_mT6_T7_P12ihipStream_tbENKUlT_T0_E_clISt17integral_constantIbLb0EESV_IbLb1EEEEDaSR_SS_EUlSR_E_NS1_11comp_targetILNS1_3genE10ELNS1_11target_archE1200ELNS1_3gpuE4ELNS1_3repE0EEENS1_30default_config_static_selectorELNS0_4arch9wavefront6targetE1EEEvT1_: ; @_ZN7rocprim17ROCPRIM_400000_NS6detail17trampoline_kernelINS0_14default_configENS1_27scan_by_key_config_selectorIiiEEZZNS1_16scan_by_key_implILNS1_25lookback_scan_determinismE0ELb1ES3_N6thrust23THRUST_200600_302600_NS10device_ptrIiEESB_SB_iNS9_4plusIvEENS9_8equal_toIvEEiEE10hipError_tPvRmT2_T3_T4_T5_mT6_T7_P12ihipStream_tbENKUlT_T0_E_clISt17integral_constantIbLb0EESV_IbLb1EEEEDaSR_SS_EUlSR_E_NS1_11comp_targetILNS1_3genE10ELNS1_11target_archE1200ELNS1_3gpuE4ELNS1_3repE0EEENS1_30default_config_static_selectorELNS0_4arch9wavefront6targetE1EEEvT1_
; %bb.0:
	.section	.rodata,"a",@progbits
	.p2align	6, 0x0
	.amdhsa_kernel _ZN7rocprim17ROCPRIM_400000_NS6detail17trampoline_kernelINS0_14default_configENS1_27scan_by_key_config_selectorIiiEEZZNS1_16scan_by_key_implILNS1_25lookback_scan_determinismE0ELb1ES3_N6thrust23THRUST_200600_302600_NS10device_ptrIiEESB_SB_iNS9_4plusIvEENS9_8equal_toIvEEiEE10hipError_tPvRmT2_T3_T4_T5_mT6_T7_P12ihipStream_tbENKUlT_T0_E_clISt17integral_constantIbLb0EESV_IbLb1EEEEDaSR_SS_EUlSR_E_NS1_11comp_targetILNS1_3genE10ELNS1_11target_archE1200ELNS1_3gpuE4ELNS1_3repE0EEENS1_30default_config_static_selectorELNS0_4arch9wavefront6targetE1EEEvT1_
		.amdhsa_group_segment_fixed_size 0
		.amdhsa_private_segment_fixed_size 0
		.amdhsa_kernarg_size 112
		.amdhsa_user_sgpr_count 2
		.amdhsa_user_sgpr_dispatch_ptr 0
		.amdhsa_user_sgpr_queue_ptr 0
		.amdhsa_user_sgpr_kernarg_segment_ptr 1
		.amdhsa_user_sgpr_dispatch_id 0
		.amdhsa_user_sgpr_kernarg_preload_length 0
		.amdhsa_user_sgpr_kernarg_preload_offset 0
		.amdhsa_user_sgpr_private_segment_size 0
		.amdhsa_uses_dynamic_stack 0
		.amdhsa_enable_private_segment 0
		.amdhsa_system_sgpr_workgroup_id_x 1
		.amdhsa_system_sgpr_workgroup_id_y 0
		.amdhsa_system_sgpr_workgroup_id_z 0
		.amdhsa_system_sgpr_workgroup_info 0
		.amdhsa_system_vgpr_workitem_id 0
		.amdhsa_next_free_vgpr 1
		.amdhsa_next_free_sgpr 0
		.amdhsa_accum_offset 4
		.amdhsa_reserve_vcc 0
		.amdhsa_float_round_mode_32 0
		.amdhsa_float_round_mode_16_64 0
		.amdhsa_float_denorm_mode_32 3
		.amdhsa_float_denorm_mode_16_64 3
		.amdhsa_dx10_clamp 1
		.amdhsa_ieee_mode 1
		.amdhsa_fp16_overflow 0
		.amdhsa_tg_split 0
		.amdhsa_exception_fp_ieee_invalid_op 0
		.amdhsa_exception_fp_denorm_src 0
		.amdhsa_exception_fp_ieee_div_zero 0
		.amdhsa_exception_fp_ieee_overflow 0
		.amdhsa_exception_fp_ieee_underflow 0
		.amdhsa_exception_fp_ieee_inexact 0
		.amdhsa_exception_int_div_zero 0
	.end_amdhsa_kernel
	.section	.text._ZN7rocprim17ROCPRIM_400000_NS6detail17trampoline_kernelINS0_14default_configENS1_27scan_by_key_config_selectorIiiEEZZNS1_16scan_by_key_implILNS1_25lookback_scan_determinismE0ELb1ES3_N6thrust23THRUST_200600_302600_NS10device_ptrIiEESB_SB_iNS9_4plusIvEENS9_8equal_toIvEEiEE10hipError_tPvRmT2_T3_T4_T5_mT6_T7_P12ihipStream_tbENKUlT_T0_E_clISt17integral_constantIbLb0EESV_IbLb1EEEEDaSR_SS_EUlSR_E_NS1_11comp_targetILNS1_3genE10ELNS1_11target_archE1200ELNS1_3gpuE4ELNS1_3repE0EEENS1_30default_config_static_selectorELNS0_4arch9wavefront6targetE1EEEvT1_,"axG",@progbits,_ZN7rocprim17ROCPRIM_400000_NS6detail17trampoline_kernelINS0_14default_configENS1_27scan_by_key_config_selectorIiiEEZZNS1_16scan_by_key_implILNS1_25lookback_scan_determinismE0ELb1ES3_N6thrust23THRUST_200600_302600_NS10device_ptrIiEESB_SB_iNS9_4plusIvEENS9_8equal_toIvEEiEE10hipError_tPvRmT2_T3_T4_T5_mT6_T7_P12ihipStream_tbENKUlT_T0_E_clISt17integral_constantIbLb0EESV_IbLb1EEEEDaSR_SS_EUlSR_E_NS1_11comp_targetILNS1_3genE10ELNS1_11target_archE1200ELNS1_3gpuE4ELNS1_3repE0EEENS1_30default_config_static_selectorELNS0_4arch9wavefront6targetE1EEEvT1_,comdat
.Lfunc_end2267:
	.size	_ZN7rocprim17ROCPRIM_400000_NS6detail17trampoline_kernelINS0_14default_configENS1_27scan_by_key_config_selectorIiiEEZZNS1_16scan_by_key_implILNS1_25lookback_scan_determinismE0ELb1ES3_N6thrust23THRUST_200600_302600_NS10device_ptrIiEESB_SB_iNS9_4plusIvEENS9_8equal_toIvEEiEE10hipError_tPvRmT2_T3_T4_T5_mT6_T7_P12ihipStream_tbENKUlT_T0_E_clISt17integral_constantIbLb0EESV_IbLb1EEEEDaSR_SS_EUlSR_E_NS1_11comp_targetILNS1_3genE10ELNS1_11target_archE1200ELNS1_3gpuE4ELNS1_3repE0EEENS1_30default_config_static_selectorELNS0_4arch9wavefront6targetE1EEEvT1_, .Lfunc_end2267-_ZN7rocprim17ROCPRIM_400000_NS6detail17trampoline_kernelINS0_14default_configENS1_27scan_by_key_config_selectorIiiEEZZNS1_16scan_by_key_implILNS1_25lookback_scan_determinismE0ELb1ES3_N6thrust23THRUST_200600_302600_NS10device_ptrIiEESB_SB_iNS9_4plusIvEENS9_8equal_toIvEEiEE10hipError_tPvRmT2_T3_T4_T5_mT6_T7_P12ihipStream_tbENKUlT_T0_E_clISt17integral_constantIbLb0EESV_IbLb1EEEEDaSR_SS_EUlSR_E_NS1_11comp_targetILNS1_3genE10ELNS1_11target_archE1200ELNS1_3gpuE4ELNS1_3repE0EEENS1_30default_config_static_selectorELNS0_4arch9wavefront6targetE1EEEvT1_
                                        ; -- End function
	.section	.AMDGPU.csdata,"",@progbits
; Kernel info:
; codeLenInByte = 0
; NumSgprs: 6
; NumVgprs: 0
; NumAgprs: 0
; TotalNumVgprs: 0
; ScratchSize: 0
; MemoryBound: 0
; FloatMode: 240
; IeeeMode: 1
; LDSByteSize: 0 bytes/workgroup (compile time only)
; SGPRBlocks: 0
; VGPRBlocks: 0
; NumSGPRsForWavesPerEU: 6
; NumVGPRsForWavesPerEU: 1
; AccumOffset: 4
; Occupancy: 8
; WaveLimiterHint : 0
; COMPUTE_PGM_RSRC2:SCRATCH_EN: 0
; COMPUTE_PGM_RSRC2:USER_SGPR: 2
; COMPUTE_PGM_RSRC2:TRAP_HANDLER: 0
; COMPUTE_PGM_RSRC2:TGID_X_EN: 1
; COMPUTE_PGM_RSRC2:TGID_Y_EN: 0
; COMPUTE_PGM_RSRC2:TGID_Z_EN: 0
; COMPUTE_PGM_RSRC2:TIDIG_COMP_CNT: 0
; COMPUTE_PGM_RSRC3_GFX90A:ACCUM_OFFSET: 0
; COMPUTE_PGM_RSRC3_GFX90A:TG_SPLIT: 0
	.section	.text._ZN7rocprim17ROCPRIM_400000_NS6detail17trampoline_kernelINS0_14default_configENS1_27scan_by_key_config_selectorIiiEEZZNS1_16scan_by_key_implILNS1_25lookback_scan_determinismE0ELb1ES3_N6thrust23THRUST_200600_302600_NS10device_ptrIiEESB_SB_iNS9_4plusIvEENS9_8equal_toIvEEiEE10hipError_tPvRmT2_T3_T4_T5_mT6_T7_P12ihipStream_tbENKUlT_T0_E_clISt17integral_constantIbLb0EESV_IbLb1EEEEDaSR_SS_EUlSR_E_NS1_11comp_targetILNS1_3genE9ELNS1_11target_archE1100ELNS1_3gpuE3ELNS1_3repE0EEENS1_30default_config_static_selectorELNS0_4arch9wavefront6targetE1EEEvT1_,"axG",@progbits,_ZN7rocprim17ROCPRIM_400000_NS6detail17trampoline_kernelINS0_14default_configENS1_27scan_by_key_config_selectorIiiEEZZNS1_16scan_by_key_implILNS1_25lookback_scan_determinismE0ELb1ES3_N6thrust23THRUST_200600_302600_NS10device_ptrIiEESB_SB_iNS9_4plusIvEENS9_8equal_toIvEEiEE10hipError_tPvRmT2_T3_T4_T5_mT6_T7_P12ihipStream_tbENKUlT_T0_E_clISt17integral_constantIbLb0EESV_IbLb1EEEEDaSR_SS_EUlSR_E_NS1_11comp_targetILNS1_3genE9ELNS1_11target_archE1100ELNS1_3gpuE3ELNS1_3repE0EEENS1_30default_config_static_selectorELNS0_4arch9wavefront6targetE1EEEvT1_,comdat
	.protected	_ZN7rocprim17ROCPRIM_400000_NS6detail17trampoline_kernelINS0_14default_configENS1_27scan_by_key_config_selectorIiiEEZZNS1_16scan_by_key_implILNS1_25lookback_scan_determinismE0ELb1ES3_N6thrust23THRUST_200600_302600_NS10device_ptrIiEESB_SB_iNS9_4plusIvEENS9_8equal_toIvEEiEE10hipError_tPvRmT2_T3_T4_T5_mT6_T7_P12ihipStream_tbENKUlT_T0_E_clISt17integral_constantIbLb0EESV_IbLb1EEEEDaSR_SS_EUlSR_E_NS1_11comp_targetILNS1_3genE9ELNS1_11target_archE1100ELNS1_3gpuE3ELNS1_3repE0EEENS1_30default_config_static_selectorELNS0_4arch9wavefront6targetE1EEEvT1_ ; -- Begin function _ZN7rocprim17ROCPRIM_400000_NS6detail17trampoline_kernelINS0_14default_configENS1_27scan_by_key_config_selectorIiiEEZZNS1_16scan_by_key_implILNS1_25lookback_scan_determinismE0ELb1ES3_N6thrust23THRUST_200600_302600_NS10device_ptrIiEESB_SB_iNS9_4plusIvEENS9_8equal_toIvEEiEE10hipError_tPvRmT2_T3_T4_T5_mT6_T7_P12ihipStream_tbENKUlT_T0_E_clISt17integral_constantIbLb0EESV_IbLb1EEEEDaSR_SS_EUlSR_E_NS1_11comp_targetILNS1_3genE9ELNS1_11target_archE1100ELNS1_3gpuE3ELNS1_3repE0EEENS1_30default_config_static_selectorELNS0_4arch9wavefront6targetE1EEEvT1_
	.globl	_ZN7rocprim17ROCPRIM_400000_NS6detail17trampoline_kernelINS0_14default_configENS1_27scan_by_key_config_selectorIiiEEZZNS1_16scan_by_key_implILNS1_25lookback_scan_determinismE0ELb1ES3_N6thrust23THRUST_200600_302600_NS10device_ptrIiEESB_SB_iNS9_4plusIvEENS9_8equal_toIvEEiEE10hipError_tPvRmT2_T3_T4_T5_mT6_T7_P12ihipStream_tbENKUlT_T0_E_clISt17integral_constantIbLb0EESV_IbLb1EEEEDaSR_SS_EUlSR_E_NS1_11comp_targetILNS1_3genE9ELNS1_11target_archE1100ELNS1_3gpuE3ELNS1_3repE0EEENS1_30default_config_static_selectorELNS0_4arch9wavefront6targetE1EEEvT1_
	.p2align	8
	.type	_ZN7rocprim17ROCPRIM_400000_NS6detail17trampoline_kernelINS0_14default_configENS1_27scan_by_key_config_selectorIiiEEZZNS1_16scan_by_key_implILNS1_25lookback_scan_determinismE0ELb1ES3_N6thrust23THRUST_200600_302600_NS10device_ptrIiEESB_SB_iNS9_4plusIvEENS9_8equal_toIvEEiEE10hipError_tPvRmT2_T3_T4_T5_mT6_T7_P12ihipStream_tbENKUlT_T0_E_clISt17integral_constantIbLb0EESV_IbLb1EEEEDaSR_SS_EUlSR_E_NS1_11comp_targetILNS1_3genE9ELNS1_11target_archE1100ELNS1_3gpuE3ELNS1_3repE0EEENS1_30default_config_static_selectorELNS0_4arch9wavefront6targetE1EEEvT1_,@function
_ZN7rocprim17ROCPRIM_400000_NS6detail17trampoline_kernelINS0_14default_configENS1_27scan_by_key_config_selectorIiiEEZZNS1_16scan_by_key_implILNS1_25lookback_scan_determinismE0ELb1ES3_N6thrust23THRUST_200600_302600_NS10device_ptrIiEESB_SB_iNS9_4plusIvEENS9_8equal_toIvEEiEE10hipError_tPvRmT2_T3_T4_T5_mT6_T7_P12ihipStream_tbENKUlT_T0_E_clISt17integral_constantIbLb0EESV_IbLb1EEEEDaSR_SS_EUlSR_E_NS1_11comp_targetILNS1_3genE9ELNS1_11target_archE1100ELNS1_3gpuE3ELNS1_3repE0EEENS1_30default_config_static_selectorELNS0_4arch9wavefront6targetE1EEEvT1_: ; @_ZN7rocprim17ROCPRIM_400000_NS6detail17trampoline_kernelINS0_14default_configENS1_27scan_by_key_config_selectorIiiEEZZNS1_16scan_by_key_implILNS1_25lookback_scan_determinismE0ELb1ES3_N6thrust23THRUST_200600_302600_NS10device_ptrIiEESB_SB_iNS9_4plusIvEENS9_8equal_toIvEEiEE10hipError_tPvRmT2_T3_T4_T5_mT6_T7_P12ihipStream_tbENKUlT_T0_E_clISt17integral_constantIbLb0EESV_IbLb1EEEEDaSR_SS_EUlSR_E_NS1_11comp_targetILNS1_3genE9ELNS1_11target_archE1100ELNS1_3gpuE3ELNS1_3repE0EEENS1_30default_config_static_selectorELNS0_4arch9wavefront6targetE1EEEvT1_
; %bb.0:
	.section	.rodata,"a",@progbits
	.p2align	6, 0x0
	.amdhsa_kernel _ZN7rocprim17ROCPRIM_400000_NS6detail17trampoline_kernelINS0_14default_configENS1_27scan_by_key_config_selectorIiiEEZZNS1_16scan_by_key_implILNS1_25lookback_scan_determinismE0ELb1ES3_N6thrust23THRUST_200600_302600_NS10device_ptrIiEESB_SB_iNS9_4plusIvEENS9_8equal_toIvEEiEE10hipError_tPvRmT2_T3_T4_T5_mT6_T7_P12ihipStream_tbENKUlT_T0_E_clISt17integral_constantIbLb0EESV_IbLb1EEEEDaSR_SS_EUlSR_E_NS1_11comp_targetILNS1_3genE9ELNS1_11target_archE1100ELNS1_3gpuE3ELNS1_3repE0EEENS1_30default_config_static_selectorELNS0_4arch9wavefront6targetE1EEEvT1_
		.amdhsa_group_segment_fixed_size 0
		.amdhsa_private_segment_fixed_size 0
		.amdhsa_kernarg_size 112
		.amdhsa_user_sgpr_count 2
		.amdhsa_user_sgpr_dispatch_ptr 0
		.amdhsa_user_sgpr_queue_ptr 0
		.amdhsa_user_sgpr_kernarg_segment_ptr 1
		.amdhsa_user_sgpr_dispatch_id 0
		.amdhsa_user_sgpr_kernarg_preload_length 0
		.amdhsa_user_sgpr_kernarg_preload_offset 0
		.amdhsa_user_sgpr_private_segment_size 0
		.amdhsa_uses_dynamic_stack 0
		.amdhsa_enable_private_segment 0
		.amdhsa_system_sgpr_workgroup_id_x 1
		.amdhsa_system_sgpr_workgroup_id_y 0
		.amdhsa_system_sgpr_workgroup_id_z 0
		.amdhsa_system_sgpr_workgroup_info 0
		.amdhsa_system_vgpr_workitem_id 0
		.amdhsa_next_free_vgpr 1
		.amdhsa_next_free_sgpr 0
		.amdhsa_accum_offset 4
		.amdhsa_reserve_vcc 0
		.amdhsa_float_round_mode_32 0
		.amdhsa_float_round_mode_16_64 0
		.amdhsa_float_denorm_mode_32 3
		.amdhsa_float_denorm_mode_16_64 3
		.amdhsa_dx10_clamp 1
		.amdhsa_ieee_mode 1
		.amdhsa_fp16_overflow 0
		.amdhsa_tg_split 0
		.amdhsa_exception_fp_ieee_invalid_op 0
		.amdhsa_exception_fp_denorm_src 0
		.amdhsa_exception_fp_ieee_div_zero 0
		.amdhsa_exception_fp_ieee_overflow 0
		.amdhsa_exception_fp_ieee_underflow 0
		.amdhsa_exception_fp_ieee_inexact 0
		.amdhsa_exception_int_div_zero 0
	.end_amdhsa_kernel
	.section	.text._ZN7rocprim17ROCPRIM_400000_NS6detail17trampoline_kernelINS0_14default_configENS1_27scan_by_key_config_selectorIiiEEZZNS1_16scan_by_key_implILNS1_25lookback_scan_determinismE0ELb1ES3_N6thrust23THRUST_200600_302600_NS10device_ptrIiEESB_SB_iNS9_4plusIvEENS9_8equal_toIvEEiEE10hipError_tPvRmT2_T3_T4_T5_mT6_T7_P12ihipStream_tbENKUlT_T0_E_clISt17integral_constantIbLb0EESV_IbLb1EEEEDaSR_SS_EUlSR_E_NS1_11comp_targetILNS1_3genE9ELNS1_11target_archE1100ELNS1_3gpuE3ELNS1_3repE0EEENS1_30default_config_static_selectorELNS0_4arch9wavefront6targetE1EEEvT1_,"axG",@progbits,_ZN7rocprim17ROCPRIM_400000_NS6detail17trampoline_kernelINS0_14default_configENS1_27scan_by_key_config_selectorIiiEEZZNS1_16scan_by_key_implILNS1_25lookback_scan_determinismE0ELb1ES3_N6thrust23THRUST_200600_302600_NS10device_ptrIiEESB_SB_iNS9_4plusIvEENS9_8equal_toIvEEiEE10hipError_tPvRmT2_T3_T4_T5_mT6_T7_P12ihipStream_tbENKUlT_T0_E_clISt17integral_constantIbLb0EESV_IbLb1EEEEDaSR_SS_EUlSR_E_NS1_11comp_targetILNS1_3genE9ELNS1_11target_archE1100ELNS1_3gpuE3ELNS1_3repE0EEENS1_30default_config_static_selectorELNS0_4arch9wavefront6targetE1EEEvT1_,comdat
.Lfunc_end2268:
	.size	_ZN7rocprim17ROCPRIM_400000_NS6detail17trampoline_kernelINS0_14default_configENS1_27scan_by_key_config_selectorIiiEEZZNS1_16scan_by_key_implILNS1_25lookback_scan_determinismE0ELb1ES3_N6thrust23THRUST_200600_302600_NS10device_ptrIiEESB_SB_iNS9_4plusIvEENS9_8equal_toIvEEiEE10hipError_tPvRmT2_T3_T4_T5_mT6_T7_P12ihipStream_tbENKUlT_T0_E_clISt17integral_constantIbLb0EESV_IbLb1EEEEDaSR_SS_EUlSR_E_NS1_11comp_targetILNS1_3genE9ELNS1_11target_archE1100ELNS1_3gpuE3ELNS1_3repE0EEENS1_30default_config_static_selectorELNS0_4arch9wavefront6targetE1EEEvT1_, .Lfunc_end2268-_ZN7rocprim17ROCPRIM_400000_NS6detail17trampoline_kernelINS0_14default_configENS1_27scan_by_key_config_selectorIiiEEZZNS1_16scan_by_key_implILNS1_25lookback_scan_determinismE0ELb1ES3_N6thrust23THRUST_200600_302600_NS10device_ptrIiEESB_SB_iNS9_4plusIvEENS9_8equal_toIvEEiEE10hipError_tPvRmT2_T3_T4_T5_mT6_T7_P12ihipStream_tbENKUlT_T0_E_clISt17integral_constantIbLb0EESV_IbLb1EEEEDaSR_SS_EUlSR_E_NS1_11comp_targetILNS1_3genE9ELNS1_11target_archE1100ELNS1_3gpuE3ELNS1_3repE0EEENS1_30default_config_static_selectorELNS0_4arch9wavefront6targetE1EEEvT1_
                                        ; -- End function
	.section	.AMDGPU.csdata,"",@progbits
; Kernel info:
; codeLenInByte = 0
; NumSgprs: 6
; NumVgprs: 0
; NumAgprs: 0
; TotalNumVgprs: 0
; ScratchSize: 0
; MemoryBound: 0
; FloatMode: 240
; IeeeMode: 1
; LDSByteSize: 0 bytes/workgroup (compile time only)
; SGPRBlocks: 0
; VGPRBlocks: 0
; NumSGPRsForWavesPerEU: 6
; NumVGPRsForWavesPerEU: 1
; AccumOffset: 4
; Occupancy: 8
; WaveLimiterHint : 0
; COMPUTE_PGM_RSRC2:SCRATCH_EN: 0
; COMPUTE_PGM_RSRC2:USER_SGPR: 2
; COMPUTE_PGM_RSRC2:TRAP_HANDLER: 0
; COMPUTE_PGM_RSRC2:TGID_X_EN: 1
; COMPUTE_PGM_RSRC2:TGID_Y_EN: 0
; COMPUTE_PGM_RSRC2:TGID_Z_EN: 0
; COMPUTE_PGM_RSRC2:TIDIG_COMP_CNT: 0
; COMPUTE_PGM_RSRC3_GFX90A:ACCUM_OFFSET: 0
; COMPUTE_PGM_RSRC3_GFX90A:TG_SPLIT: 0
	.section	.text._ZN7rocprim17ROCPRIM_400000_NS6detail17trampoline_kernelINS0_14default_configENS1_27scan_by_key_config_selectorIiiEEZZNS1_16scan_by_key_implILNS1_25lookback_scan_determinismE0ELb1ES3_N6thrust23THRUST_200600_302600_NS10device_ptrIiEESB_SB_iNS9_4plusIvEENS9_8equal_toIvEEiEE10hipError_tPvRmT2_T3_T4_T5_mT6_T7_P12ihipStream_tbENKUlT_T0_E_clISt17integral_constantIbLb0EESV_IbLb1EEEEDaSR_SS_EUlSR_E_NS1_11comp_targetILNS1_3genE8ELNS1_11target_archE1030ELNS1_3gpuE2ELNS1_3repE0EEENS1_30default_config_static_selectorELNS0_4arch9wavefront6targetE1EEEvT1_,"axG",@progbits,_ZN7rocprim17ROCPRIM_400000_NS6detail17trampoline_kernelINS0_14default_configENS1_27scan_by_key_config_selectorIiiEEZZNS1_16scan_by_key_implILNS1_25lookback_scan_determinismE0ELb1ES3_N6thrust23THRUST_200600_302600_NS10device_ptrIiEESB_SB_iNS9_4plusIvEENS9_8equal_toIvEEiEE10hipError_tPvRmT2_T3_T4_T5_mT6_T7_P12ihipStream_tbENKUlT_T0_E_clISt17integral_constantIbLb0EESV_IbLb1EEEEDaSR_SS_EUlSR_E_NS1_11comp_targetILNS1_3genE8ELNS1_11target_archE1030ELNS1_3gpuE2ELNS1_3repE0EEENS1_30default_config_static_selectorELNS0_4arch9wavefront6targetE1EEEvT1_,comdat
	.protected	_ZN7rocprim17ROCPRIM_400000_NS6detail17trampoline_kernelINS0_14default_configENS1_27scan_by_key_config_selectorIiiEEZZNS1_16scan_by_key_implILNS1_25lookback_scan_determinismE0ELb1ES3_N6thrust23THRUST_200600_302600_NS10device_ptrIiEESB_SB_iNS9_4plusIvEENS9_8equal_toIvEEiEE10hipError_tPvRmT2_T3_T4_T5_mT6_T7_P12ihipStream_tbENKUlT_T0_E_clISt17integral_constantIbLb0EESV_IbLb1EEEEDaSR_SS_EUlSR_E_NS1_11comp_targetILNS1_3genE8ELNS1_11target_archE1030ELNS1_3gpuE2ELNS1_3repE0EEENS1_30default_config_static_selectorELNS0_4arch9wavefront6targetE1EEEvT1_ ; -- Begin function _ZN7rocprim17ROCPRIM_400000_NS6detail17trampoline_kernelINS0_14default_configENS1_27scan_by_key_config_selectorIiiEEZZNS1_16scan_by_key_implILNS1_25lookback_scan_determinismE0ELb1ES3_N6thrust23THRUST_200600_302600_NS10device_ptrIiEESB_SB_iNS9_4plusIvEENS9_8equal_toIvEEiEE10hipError_tPvRmT2_T3_T4_T5_mT6_T7_P12ihipStream_tbENKUlT_T0_E_clISt17integral_constantIbLb0EESV_IbLb1EEEEDaSR_SS_EUlSR_E_NS1_11comp_targetILNS1_3genE8ELNS1_11target_archE1030ELNS1_3gpuE2ELNS1_3repE0EEENS1_30default_config_static_selectorELNS0_4arch9wavefront6targetE1EEEvT1_
	.globl	_ZN7rocprim17ROCPRIM_400000_NS6detail17trampoline_kernelINS0_14default_configENS1_27scan_by_key_config_selectorIiiEEZZNS1_16scan_by_key_implILNS1_25lookback_scan_determinismE0ELb1ES3_N6thrust23THRUST_200600_302600_NS10device_ptrIiEESB_SB_iNS9_4plusIvEENS9_8equal_toIvEEiEE10hipError_tPvRmT2_T3_T4_T5_mT6_T7_P12ihipStream_tbENKUlT_T0_E_clISt17integral_constantIbLb0EESV_IbLb1EEEEDaSR_SS_EUlSR_E_NS1_11comp_targetILNS1_3genE8ELNS1_11target_archE1030ELNS1_3gpuE2ELNS1_3repE0EEENS1_30default_config_static_selectorELNS0_4arch9wavefront6targetE1EEEvT1_
	.p2align	8
	.type	_ZN7rocprim17ROCPRIM_400000_NS6detail17trampoline_kernelINS0_14default_configENS1_27scan_by_key_config_selectorIiiEEZZNS1_16scan_by_key_implILNS1_25lookback_scan_determinismE0ELb1ES3_N6thrust23THRUST_200600_302600_NS10device_ptrIiEESB_SB_iNS9_4plusIvEENS9_8equal_toIvEEiEE10hipError_tPvRmT2_T3_T4_T5_mT6_T7_P12ihipStream_tbENKUlT_T0_E_clISt17integral_constantIbLb0EESV_IbLb1EEEEDaSR_SS_EUlSR_E_NS1_11comp_targetILNS1_3genE8ELNS1_11target_archE1030ELNS1_3gpuE2ELNS1_3repE0EEENS1_30default_config_static_selectorELNS0_4arch9wavefront6targetE1EEEvT1_,@function
_ZN7rocprim17ROCPRIM_400000_NS6detail17trampoline_kernelINS0_14default_configENS1_27scan_by_key_config_selectorIiiEEZZNS1_16scan_by_key_implILNS1_25lookback_scan_determinismE0ELb1ES3_N6thrust23THRUST_200600_302600_NS10device_ptrIiEESB_SB_iNS9_4plusIvEENS9_8equal_toIvEEiEE10hipError_tPvRmT2_T3_T4_T5_mT6_T7_P12ihipStream_tbENKUlT_T0_E_clISt17integral_constantIbLb0EESV_IbLb1EEEEDaSR_SS_EUlSR_E_NS1_11comp_targetILNS1_3genE8ELNS1_11target_archE1030ELNS1_3gpuE2ELNS1_3repE0EEENS1_30default_config_static_selectorELNS0_4arch9wavefront6targetE1EEEvT1_: ; @_ZN7rocprim17ROCPRIM_400000_NS6detail17trampoline_kernelINS0_14default_configENS1_27scan_by_key_config_selectorIiiEEZZNS1_16scan_by_key_implILNS1_25lookback_scan_determinismE0ELb1ES3_N6thrust23THRUST_200600_302600_NS10device_ptrIiEESB_SB_iNS9_4plusIvEENS9_8equal_toIvEEiEE10hipError_tPvRmT2_T3_T4_T5_mT6_T7_P12ihipStream_tbENKUlT_T0_E_clISt17integral_constantIbLb0EESV_IbLb1EEEEDaSR_SS_EUlSR_E_NS1_11comp_targetILNS1_3genE8ELNS1_11target_archE1030ELNS1_3gpuE2ELNS1_3repE0EEENS1_30default_config_static_selectorELNS0_4arch9wavefront6targetE1EEEvT1_
; %bb.0:
	.section	.rodata,"a",@progbits
	.p2align	6, 0x0
	.amdhsa_kernel _ZN7rocprim17ROCPRIM_400000_NS6detail17trampoline_kernelINS0_14default_configENS1_27scan_by_key_config_selectorIiiEEZZNS1_16scan_by_key_implILNS1_25lookback_scan_determinismE0ELb1ES3_N6thrust23THRUST_200600_302600_NS10device_ptrIiEESB_SB_iNS9_4plusIvEENS9_8equal_toIvEEiEE10hipError_tPvRmT2_T3_T4_T5_mT6_T7_P12ihipStream_tbENKUlT_T0_E_clISt17integral_constantIbLb0EESV_IbLb1EEEEDaSR_SS_EUlSR_E_NS1_11comp_targetILNS1_3genE8ELNS1_11target_archE1030ELNS1_3gpuE2ELNS1_3repE0EEENS1_30default_config_static_selectorELNS0_4arch9wavefront6targetE1EEEvT1_
		.amdhsa_group_segment_fixed_size 0
		.amdhsa_private_segment_fixed_size 0
		.amdhsa_kernarg_size 112
		.amdhsa_user_sgpr_count 2
		.amdhsa_user_sgpr_dispatch_ptr 0
		.amdhsa_user_sgpr_queue_ptr 0
		.amdhsa_user_sgpr_kernarg_segment_ptr 1
		.amdhsa_user_sgpr_dispatch_id 0
		.amdhsa_user_sgpr_kernarg_preload_length 0
		.amdhsa_user_sgpr_kernarg_preload_offset 0
		.amdhsa_user_sgpr_private_segment_size 0
		.amdhsa_uses_dynamic_stack 0
		.amdhsa_enable_private_segment 0
		.amdhsa_system_sgpr_workgroup_id_x 1
		.amdhsa_system_sgpr_workgroup_id_y 0
		.amdhsa_system_sgpr_workgroup_id_z 0
		.amdhsa_system_sgpr_workgroup_info 0
		.amdhsa_system_vgpr_workitem_id 0
		.amdhsa_next_free_vgpr 1
		.amdhsa_next_free_sgpr 0
		.amdhsa_accum_offset 4
		.amdhsa_reserve_vcc 0
		.amdhsa_float_round_mode_32 0
		.amdhsa_float_round_mode_16_64 0
		.amdhsa_float_denorm_mode_32 3
		.amdhsa_float_denorm_mode_16_64 3
		.amdhsa_dx10_clamp 1
		.amdhsa_ieee_mode 1
		.amdhsa_fp16_overflow 0
		.amdhsa_tg_split 0
		.amdhsa_exception_fp_ieee_invalid_op 0
		.amdhsa_exception_fp_denorm_src 0
		.amdhsa_exception_fp_ieee_div_zero 0
		.amdhsa_exception_fp_ieee_overflow 0
		.amdhsa_exception_fp_ieee_underflow 0
		.amdhsa_exception_fp_ieee_inexact 0
		.amdhsa_exception_int_div_zero 0
	.end_amdhsa_kernel
	.section	.text._ZN7rocprim17ROCPRIM_400000_NS6detail17trampoline_kernelINS0_14default_configENS1_27scan_by_key_config_selectorIiiEEZZNS1_16scan_by_key_implILNS1_25lookback_scan_determinismE0ELb1ES3_N6thrust23THRUST_200600_302600_NS10device_ptrIiEESB_SB_iNS9_4plusIvEENS9_8equal_toIvEEiEE10hipError_tPvRmT2_T3_T4_T5_mT6_T7_P12ihipStream_tbENKUlT_T0_E_clISt17integral_constantIbLb0EESV_IbLb1EEEEDaSR_SS_EUlSR_E_NS1_11comp_targetILNS1_3genE8ELNS1_11target_archE1030ELNS1_3gpuE2ELNS1_3repE0EEENS1_30default_config_static_selectorELNS0_4arch9wavefront6targetE1EEEvT1_,"axG",@progbits,_ZN7rocprim17ROCPRIM_400000_NS6detail17trampoline_kernelINS0_14default_configENS1_27scan_by_key_config_selectorIiiEEZZNS1_16scan_by_key_implILNS1_25lookback_scan_determinismE0ELb1ES3_N6thrust23THRUST_200600_302600_NS10device_ptrIiEESB_SB_iNS9_4plusIvEENS9_8equal_toIvEEiEE10hipError_tPvRmT2_T3_T4_T5_mT6_T7_P12ihipStream_tbENKUlT_T0_E_clISt17integral_constantIbLb0EESV_IbLb1EEEEDaSR_SS_EUlSR_E_NS1_11comp_targetILNS1_3genE8ELNS1_11target_archE1030ELNS1_3gpuE2ELNS1_3repE0EEENS1_30default_config_static_selectorELNS0_4arch9wavefront6targetE1EEEvT1_,comdat
.Lfunc_end2269:
	.size	_ZN7rocprim17ROCPRIM_400000_NS6detail17trampoline_kernelINS0_14default_configENS1_27scan_by_key_config_selectorIiiEEZZNS1_16scan_by_key_implILNS1_25lookback_scan_determinismE0ELb1ES3_N6thrust23THRUST_200600_302600_NS10device_ptrIiEESB_SB_iNS9_4plusIvEENS9_8equal_toIvEEiEE10hipError_tPvRmT2_T3_T4_T5_mT6_T7_P12ihipStream_tbENKUlT_T0_E_clISt17integral_constantIbLb0EESV_IbLb1EEEEDaSR_SS_EUlSR_E_NS1_11comp_targetILNS1_3genE8ELNS1_11target_archE1030ELNS1_3gpuE2ELNS1_3repE0EEENS1_30default_config_static_selectorELNS0_4arch9wavefront6targetE1EEEvT1_, .Lfunc_end2269-_ZN7rocprim17ROCPRIM_400000_NS6detail17trampoline_kernelINS0_14default_configENS1_27scan_by_key_config_selectorIiiEEZZNS1_16scan_by_key_implILNS1_25lookback_scan_determinismE0ELb1ES3_N6thrust23THRUST_200600_302600_NS10device_ptrIiEESB_SB_iNS9_4plusIvEENS9_8equal_toIvEEiEE10hipError_tPvRmT2_T3_T4_T5_mT6_T7_P12ihipStream_tbENKUlT_T0_E_clISt17integral_constantIbLb0EESV_IbLb1EEEEDaSR_SS_EUlSR_E_NS1_11comp_targetILNS1_3genE8ELNS1_11target_archE1030ELNS1_3gpuE2ELNS1_3repE0EEENS1_30default_config_static_selectorELNS0_4arch9wavefront6targetE1EEEvT1_
                                        ; -- End function
	.section	.AMDGPU.csdata,"",@progbits
; Kernel info:
; codeLenInByte = 0
; NumSgprs: 6
; NumVgprs: 0
; NumAgprs: 0
; TotalNumVgprs: 0
; ScratchSize: 0
; MemoryBound: 0
; FloatMode: 240
; IeeeMode: 1
; LDSByteSize: 0 bytes/workgroup (compile time only)
; SGPRBlocks: 0
; VGPRBlocks: 0
; NumSGPRsForWavesPerEU: 6
; NumVGPRsForWavesPerEU: 1
; AccumOffset: 4
; Occupancy: 8
; WaveLimiterHint : 0
; COMPUTE_PGM_RSRC2:SCRATCH_EN: 0
; COMPUTE_PGM_RSRC2:USER_SGPR: 2
; COMPUTE_PGM_RSRC2:TRAP_HANDLER: 0
; COMPUTE_PGM_RSRC2:TGID_X_EN: 1
; COMPUTE_PGM_RSRC2:TGID_Y_EN: 0
; COMPUTE_PGM_RSRC2:TGID_Z_EN: 0
; COMPUTE_PGM_RSRC2:TIDIG_COMP_CNT: 0
; COMPUTE_PGM_RSRC3_GFX90A:ACCUM_OFFSET: 0
; COMPUTE_PGM_RSRC3_GFX90A:TG_SPLIT: 0
	.text
	.p2alignl 6, 3212836864
	.fill 256, 4, 3212836864
	.type	__hip_cuid_9b009c1eae31d947,@object ; @__hip_cuid_9b009c1eae31d947
	.section	.bss,"aw",@nobits
	.globl	__hip_cuid_9b009c1eae31d947
__hip_cuid_9b009c1eae31d947:
	.byte	0                               ; 0x0
	.size	__hip_cuid_9b009c1eae31d947, 1

	.ident	"AMD clang version 19.0.0git (https://github.com/RadeonOpenCompute/llvm-project roc-6.4.0 25133 c7fe45cf4b819c5991fe208aaa96edf142730f1d)"
	.section	".note.GNU-stack","",@progbits
	.addrsig
	.addrsig_sym __hip_cuid_9b009c1eae31d947
	.amdgpu_metadata
---
amdhsa.kernels:
  - .agpr_count:     0
    .args:
      - .offset:         0
        .size:           4
        .value_kind:     by_value
      - .address_space:  global
        .offset:         8
        .size:           8
        .value_kind:     global_buffer
      - .address_space:  global
        .offset:         16
        .size:           8
        .value_kind:     global_buffer
      - .address_space:  global
        .offset:         24
        .size:           8
        .value_kind:     global_buffer
    .group_segment_fixed_size: 0
    .kernarg_segment_align: 8
    .kernarg_segment_size: 32
    .language:       OpenCL C
    .language_version:
      - 2
      - 0
    .max_flat_workgroup_size: 256
    .name:           _Z24InclusiveScanByKeyKerneliPiS_S_
    .private_segment_fixed_size: 0
    .sgpr_count:     20
    .sgpr_spill_count: 0
    .symbol:         _Z24InclusiveScanByKeyKerneliPiS_S_.kd
    .uniform_work_group_size: 1
    .uses_dynamic_stack: false
    .vgpr_count:     5
    .vgpr_spill_count: 0
    .wavefront_size: 64
  - .agpr_count:     0
    .args:
      - .offset:         0
        .size:           4
        .value_kind:     by_value
      - .address_space:  global
        .offset:         8
        .size:           8
        .value_kind:     global_buffer
      - .address_space:  global
        .offset:         16
        .size:           8
        .value_kind:     global_buffer
      - .address_space:  global
        .offset:         24
        .size:           8
        .value_kind:     global_buffer
    .group_segment_fixed_size: 0
    .kernarg_segment_align: 8
    .kernarg_segment_size: 32
    .language:       OpenCL C
    .language_version:
      - 2
      - 0
    .max_flat_workgroup_size: 256
    .name:           _Z24ExclusiveScanByKeyKerneliPiS_S_
    .private_segment_fixed_size: 0
    .sgpr_count:     20
    .sgpr_spill_count: 0
    .symbol:         _Z24ExclusiveScanByKeyKerneliPiS_S_.kd
    .uniform_work_group_size: 1
    .uses_dynamic_stack: false
    .vgpr_count:     5
    .vgpr_spill_count: 0
    .wavefront_size: 64
  - .agpr_count:     0
    .args:
      - .offset:         0
        .size:           16
        .value_kind:     by_value
      - .offset:         16
        .size:           8
        .value_kind:     by_value
      - .offset:         24
        .size:           8
        .value_kind:     by_value
    .group_segment_fixed_size: 0
    .kernarg_segment_align: 8
    .kernarg_segment_size: 32
    .language:       OpenCL C
    .language_version:
      - 2
      - 0
    .max_flat_workgroup_size: 256
    .name:           _ZN6thrust23THRUST_200600_302600_NS11hip_rocprim14__parallel_for6kernelILj256ENS1_20__uninitialized_fill7functorINS0_10device_ptrIxEExEEmLj1EEEvT0_T1_SA_
    .private_segment_fixed_size: 0
    .sgpr_count:     18
    .sgpr_spill_count: 0
    .symbol:         _ZN6thrust23THRUST_200600_302600_NS11hip_rocprim14__parallel_for6kernelILj256ENS1_20__uninitialized_fill7functorINS0_10device_ptrIxEExEEmLj1EEEvT0_T1_SA_.kd
    .uniform_work_group_size: 1
    .uses_dynamic_stack: false
    .vgpr_count:     4
    .vgpr_spill_count: 0
    .wavefront_size: 64
  - .agpr_count:     0
    .args:
      - .offset:         0
        .size:           24
        .value_kind:     by_value
      - .offset:         24
        .size:           4
        .value_kind:     by_value
      - .offset:         28
        .size:           4
        .value_kind:     by_value
      - .address_space:  global
        .offset:         32
        .size:           8
        .value_kind:     global_buffer
      - .address_space:  global
        .offset:         40
        .size:           8
        .value_kind:     global_buffer
      - .actual_access:  write_only
        .address_space:  global
        .offset:         48
        .size:           8
        .value_kind:     global_buffer
      - .offset:         56
        .size:           8
        .value_kind:     by_value
      - .offset:         64
        .size:           4
        .value_kind:     by_value
      - .offset:         68
        .size:           1
        .value_kind:     by_value
      - .offset:         72
        .size:           4
        .value_kind:     hidden_block_count_x
      - .offset:         76
        .size:           4
        .value_kind:     hidden_block_count_y
      - .offset:         80
        .size:           4
        .value_kind:     hidden_block_count_z
      - .offset:         84
        .size:           2
        .value_kind:     hidden_group_size_x
      - .offset:         86
        .size:           2
        .value_kind:     hidden_group_size_y
      - .offset:         88
        .size:           2
        .value_kind:     hidden_group_size_z
      - .offset:         90
        .size:           2
        .value_kind:     hidden_remainder_x
      - .offset:         92
        .size:           2
        .value_kind:     hidden_remainder_y
      - .offset:         94
        .size:           2
        .value_kind:     hidden_remainder_z
      - .offset:         112
        .size:           8
        .value_kind:     hidden_global_offset_x
      - .offset:         120
        .size:           8
        .value_kind:     hidden_global_offset_y
      - .offset:         128
        .size:           8
        .value_kind:     hidden_global_offset_z
      - .offset:         136
        .size:           2
        .value_kind:     hidden_grid_dims
    .group_segment_fixed_size: 0
    .kernarg_segment_align: 8
    .kernarg_segment_size: 328
    .language:       OpenCL C
    .language_version:
      - 2
      - 0
    .max_flat_workgroup_size: 256
    .name:           _ZN7rocprim17ROCPRIM_400000_NS6detail30init_device_scan_by_key_kernelINS1_19lookback_scan_stateINS0_5tupleIJxbEEELb0ELb0EEEN6thrust23THRUST_200600_302600_NS6detail15normal_iteratorINS8_10device_ptrIxEEEEjNS1_16block_id_wrapperIjLb0EEEEEvT_jjPNSG_10value_typeET0_PNSt15iterator_traitsISJ_E10value_typeEmT1_T2_
    .private_segment_fixed_size: 0
    .sgpr_count:     28
    .sgpr_spill_count: 0
    .symbol:         _ZN7rocprim17ROCPRIM_400000_NS6detail30init_device_scan_by_key_kernelINS1_19lookback_scan_stateINS0_5tupleIJxbEEELb0ELb0EEEN6thrust23THRUST_200600_302600_NS6detail15normal_iteratorINS8_10device_ptrIxEEEEjNS1_16block_id_wrapperIjLb0EEEEEvT_jjPNSG_10value_typeET0_PNSt15iterator_traitsISJ_E10value_typeEmT1_T2_.kd
    .uniform_work_group_size: 1
    .uses_dynamic_stack: false
    .vgpr_count:     8
    .vgpr_spill_count: 0
    .wavefront_size: 64
  - .agpr_count:     0
    .args:
      - .offset:         0
        .size:           24
        .value_kind:     by_value
      - .offset:         24
        .size:           4
        .value_kind:     by_value
      - .offset:         28
        .size:           4
        .value_kind:     by_value
      - .address_space:  global
        .offset:         32
        .size:           8
        .value_kind:     global_buffer
      - .offset:         40
        .size:           1
        .value_kind:     by_value
      - .offset:         48
        .size:           4
        .value_kind:     hidden_block_count_x
      - .offset:         52
        .size:           4
        .value_kind:     hidden_block_count_y
      - .offset:         56
        .size:           4
        .value_kind:     hidden_block_count_z
      - .offset:         60
        .size:           2
        .value_kind:     hidden_group_size_x
      - .offset:         62
        .size:           2
        .value_kind:     hidden_group_size_y
      - .offset:         64
        .size:           2
        .value_kind:     hidden_group_size_z
      - .offset:         66
        .size:           2
        .value_kind:     hidden_remainder_x
      - .offset:         68
        .size:           2
        .value_kind:     hidden_remainder_y
      - .offset:         70
        .size:           2
        .value_kind:     hidden_remainder_z
      - .offset:         88
        .size:           8
        .value_kind:     hidden_global_offset_x
      - .offset:         96
        .size:           8
        .value_kind:     hidden_global_offset_y
      - .offset:         104
        .size:           8
        .value_kind:     hidden_global_offset_z
      - .offset:         112
        .size:           2
        .value_kind:     hidden_grid_dims
    .group_segment_fixed_size: 0
    .kernarg_segment_align: 8
    .kernarg_segment_size: 304
    .language:       OpenCL C
    .language_version:
      - 2
      - 0
    .max_flat_workgroup_size: 256
    .name:           _ZN7rocprim17ROCPRIM_400000_NS6detail30init_device_scan_by_key_kernelINS1_19lookback_scan_stateINS0_5tupleIJxbEEELb0ELb0EEENS1_16block_id_wrapperIjLb0EEEEEvT_jjPNS9_10value_typeET0_
    .private_segment_fixed_size: 0
    .sgpr_count:     22
    .sgpr_spill_count: 0
    .symbol:         _ZN7rocprim17ROCPRIM_400000_NS6detail30init_device_scan_by_key_kernelINS1_19lookback_scan_stateINS0_5tupleIJxbEEELb0ELb0EEENS1_16block_id_wrapperIjLb0EEEEEvT_jjPNS9_10value_typeET0_.kd
    .uniform_work_group_size: 1
    .uses_dynamic_stack: false
    .vgpr_count:     6
    .vgpr_spill_count: 0
    .wavefront_size: 64
  - .agpr_count:     0
    .args:
      - .offset:         0
        .size:           136
        .value_kind:     by_value
    .group_segment_fixed_size: 0
    .kernarg_segment_align: 8
    .kernarg_segment_size: 136
    .language:       OpenCL C
    .language_version:
      - 2
      - 0
    .max_flat_workgroup_size: 256
    .name:           _ZN7rocprim17ROCPRIM_400000_NS6detail17trampoline_kernelINS0_14default_configENS1_27scan_by_key_config_selectorIxxEEZZNS1_16scan_by_key_implILNS1_25lookback_scan_determinismE0ELb0ES3_N6thrust23THRUST_200600_302600_NS6detail15normal_iteratorINS9_10device_ptrIxEEEESE_SE_xNS9_4plusIvEENS9_8equal_toIvEExEE10hipError_tPvRmT2_T3_T4_T5_mT6_T7_P12ihipStream_tbENKUlT_T0_E_clISt17integral_constantIbLb0EESZ_EEDaSU_SV_EUlSU_E_NS1_11comp_targetILNS1_3genE0ELNS1_11target_archE4294967295ELNS1_3gpuE0ELNS1_3repE0EEENS1_30default_config_static_selectorELNS0_4arch9wavefront6targetE1EEEvT1_
    .private_segment_fixed_size: 0
    .sgpr_count:     6
    .sgpr_spill_count: 0
    .symbol:         _ZN7rocprim17ROCPRIM_400000_NS6detail17trampoline_kernelINS0_14default_configENS1_27scan_by_key_config_selectorIxxEEZZNS1_16scan_by_key_implILNS1_25lookback_scan_determinismE0ELb0ES3_N6thrust23THRUST_200600_302600_NS6detail15normal_iteratorINS9_10device_ptrIxEEEESE_SE_xNS9_4plusIvEENS9_8equal_toIvEExEE10hipError_tPvRmT2_T3_T4_T5_mT6_T7_P12ihipStream_tbENKUlT_T0_E_clISt17integral_constantIbLb0EESZ_EEDaSU_SV_EUlSU_E_NS1_11comp_targetILNS1_3genE0ELNS1_11target_archE4294967295ELNS1_3gpuE0ELNS1_3repE0EEENS1_30default_config_static_selectorELNS0_4arch9wavefront6targetE1EEEvT1_.kd
    .uniform_work_group_size: 1
    .uses_dynamic_stack: false
    .vgpr_count:     0
    .vgpr_spill_count: 0
    .wavefront_size: 64
  - .agpr_count:     0
    .args:
      - .offset:         0
        .size:           136
        .value_kind:     by_value
    .group_segment_fixed_size: 0
    .kernarg_segment_align: 8
    .kernarg_segment_size: 136
    .language:       OpenCL C
    .language_version:
      - 2
      - 0
    .max_flat_workgroup_size: 256
    .name:           _ZN7rocprim17ROCPRIM_400000_NS6detail17trampoline_kernelINS0_14default_configENS1_27scan_by_key_config_selectorIxxEEZZNS1_16scan_by_key_implILNS1_25lookback_scan_determinismE0ELb0ES3_N6thrust23THRUST_200600_302600_NS6detail15normal_iteratorINS9_10device_ptrIxEEEESE_SE_xNS9_4plusIvEENS9_8equal_toIvEExEE10hipError_tPvRmT2_T3_T4_T5_mT6_T7_P12ihipStream_tbENKUlT_T0_E_clISt17integral_constantIbLb0EESZ_EEDaSU_SV_EUlSU_E_NS1_11comp_targetILNS1_3genE10ELNS1_11target_archE1201ELNS1_3gpuE5ELNS1_3repE0EEENS1_30default_config_static_selectorELNS0_4arch9wavefront6targetE1EEEvT1_
    .private_segment_fixed_size: 0
    .sgpr_count:     6
    .sgpr_spill_count: 0
    .symbol:         _ZN7rocprim17ROCPRIM_400000_NS6detail17trampoline_kernelINS0_14default_configENS1_27scan_by_key_config_selectorIxxEEZZNS1_16scan_by_key_implILNS1_25lookback_scan_determinismE0ELb0ES3_N6thrust23THRUST_200600_302600_NS6detail15normal_iteratorINS9_10device_ptrIxEEEESE_SE_xNS9_4plusIvEENS9_8equal_toIvEExEE10hipError_tPvRmT2_T3_T4_T5_mT6_T7_P12ihipStream_tbENKUlT_T0_E_clISt17integral_constantIbLb0EESZ_EEDaSU_SV_EUlSU_E_NS1_11comp_targetILNS1_3genE10ELNS1_11target_archE1201ELNS1_3gpuE5ELNS1_3repE0EEENS1_30default_config_static_selectorELNS0_4arch9wavefront6targetE1EEEvT1_.kd
    .uniform_work_group_size: 1
    .uses_dynamic_stack: false
    .vgpr_count:     0
    .vgpr_spill_count: 0
    .wavefront_size: 64
  - .agpr_count:     0
    .args:
      - .offset:         0
        .size:           136
        .value_kind:     by_value
    .group_segment_fixed_size: 32768
    .kernarg_segment_align: 8
    .kernarg_segment_size: 136
    .language:       OpenCL C
    .language_version:
      - 2
      - 0
    .max_flat_workgroup_size: 256
    .name:           _ZN7rocprim17ROCPRIM_400000_NS6detail17trampoline_kernelINS0_14default_configENS1_27scan_by_key_config_selectorIxxEEZZNS1_16scan_by_key_implILNS1_25lookback_scan_determinismE0ELb0ES3_N6thrust23THRUST_200600_302600_NS6detail15normal_iteratorINS9_10device_ptrIxEEEESE_SE_xNS9_4plusIvEENS9_8equal_toIvEExEE10hipError_tPvRmT2_T3_T4_T5_mT6_T7_P12ihipStream_tbENKUlT_T0_E_clISt17integral_constantIbLb0EESZ_EEDaSU_SV_EUlSU_E_NS1_11comp_targetILNS1_3genE5ELNS1_11target_archE942ELNS1_3gpuE9ELNS1_3repE0EEENS1_30default_config_static_selectorELNS0_4arch9wavefront6targetE1EEEvT1_
    .private_segment_fixed_size: 0
    .sgpr_count:     72
    .sgpr_spill_count: 0
    .symbol:         _ZN7rocprim17ROCPRIM_400000_NS6detail17trampoline_kernelINS0_14default_configENS1_27scan_by_key_config_selectorIxxEEZZNS1_16scan_by_key_implILNS1_25lookback_scan_determinismE0ELb0ES3_N6thrust23THRUST_200600_302600_NS6detail15normal_iteratorINS9_10device_ptrIxEEEESE_SE_xNS9_4plusIvEENS9_8equal_toIvEExEE10hipError_tPvRmT2_T3_T4_T5_mT6_T7_P12ihipStream_tbENKUlT_T0_E_clISt17integral_constantIbLb0EESZ_EEDaSU_SV_EUlSU_E_NS1_11comp_targetILNS1_3genE5ELNS1_11target_archE942ELNS1_3gpuE9ELNS1_3repE0EEENS1_30default_config_static_selectorELNS0_4arch9wavefront6targetE1EEEvT1_.kd
    .uniform_work_group_size: 1
    .uses_dynamic_stack: false
    .vgpr_count:     92
    .vgpr_spill_count: 0
    .wavefront_size: 64
  - .agpr_count:     0
    .args:
      - .offset:         0
        .size:           136
        .value_kind:     by_value
    .group_segment_fixed_size: 0
    .kernarg_segment_align: 8
    .kernarg_segment_size: 136
    .language:       OpenCL C
    .language_version:
      - 2
      - 0
    .max_flat_workgroup_size: 64
    .name:           _ZN7rocprim17ROCPRIM_400000_NS6detail17trampoline_kernelINS0_14default_configENS1_27scan_by_key_config_selectorIxxEEZZNS1_16scan_by_key_implILNS1_25lookback_scan_determinismE0ELb0ES3_N6thrust23THRUST_200600_302600_NS6detail15normal_iteratorINS9_10device_ptrIxEEEESE_SE_xNS9_4plusIvEENS9_8equal_toIvEExEE10hipError_tPvRmT2_T3_T4_T5_mT6_T7_P12ihipStream_tbENKUlT_T0_E_clISt17integral_constantIbLb0EESZ_EEDaSU_SV_EUlSU_E_NS1_11comp_targetILNS1_3genE4ELNS1_11target_archE910ELNS1_3gpuE8ELNS1_3repE0EEENS1_30default_config_static_selectorELNS0_4arch9wavefront6targetE1EEEvT1_
    .private_segment_fixed_size: 0
    .sgpr_count:     6
    .sgpr_spill_count: 0
    .symbol:         _ZN7rocprim17ROCPRIM_400000_NS6detail17trampoline_kernelINS0_14default_configENS1_27scan_by_key_config_selectorIxxEEZZNS1_16scan_by_key_implILNS1_25lookback_scan_determinismE0ELb0ES3_N6thrust23THRUST_200600_302600_NS6detail15normal_iteratorINS9_10device_ptrIxEEEESE_SE_xNS9_4plusIvEENS9_8equal_toIvEExEE10hipError_tPvRmT2_T3_T4_T5_mT6_T7_P12ihipStream_tbENKUlT_T0_E_clISt17integral_constantIbLb0EESZ_EEDaSU_SV_EUlSU_E_NS1_11comp_targetILNS1_3genE4ELNS1_11target_archE910ELNS1_3gpuE8ELNS1_3repE0EEENS1_30default_config_static_selectorELNS0_4arch9wavefront6targetE1EEEvT1_.kd
    .uniform_work_group_size: 1
    .uses_dynamic_stack: false
    .vgpr_count:     0
    .vgpr_spill_count: 0
    .wavefront_size: 64
  - .agpr_count:     0
    .args:
      - .offset:         0
        .size:           136
        .value_kind:     by_value
    .group_segment_fixed_size: 0
    .kernarg_segment_align: 8
    .kernarg_segment_size: 136
    .language:       OpenCL C
    .language_version:
      - 2
      - 0
    .max_flat_workgroup_size: 256
    .name:           _ZN7rocprim17ROCPRIM_400000_NS6detail17trampoline_kernelINS0_14default_configENS1_27scan_by_key_config_selectorIxxEEZZNS1_16scan_by_key_implILNS1_25lookback_scan_determinismE0ELb0ES3_N6thrust23THRUST_200600_302600_NS6detail15normal_iteratorINS9_10device_ptrIxEEEESE_SE_xNS9_4plusIvEENS9_8equal_toIvEExEE10hipError_tPvRmT2_T3_T4_T5_mT6_T7_P12ihipStream_tbENKUlT_T0_E_clISt17integral_constantIbLb0EESZ_EEDaSU_SV_EUlSU_E_NS1_11comp_targetILNS1_3genE3ELNS1_11target_archE908ELNS1_3gpuE7ELNS1_3repE0EEENS1_30default_config_static_selectorELNS0_4arch9wavefront6targetE1EEEvT1_
    .private_segment_fixed_size: 0
    .sgpr_count:     6
    .sgpr_spill_count: 0
    .symbol:         _ZN7rocprim17ROCPRIM_400000_NS6detail17trampoline_kernelINS0_14default_configENS1_27scan_by_key_config_selectorIxxEEZZNS1_16scan_by_key_implILNS1_25lookback_scan_determinismE0ELb0ES3_N6thrust23THRUST_200600_302600_NS6detail15normal_iteratorINS9_10device_ptrIxEEEESE_SE_xNS9_4plusIvEENS9_8equal_toIvEExEE10hipError_tPvRmT2_T3_T4_T5_mT6_T7_P12ihipStream_tbENKUlT_T0_E_clISt17integral_constantIbLb0EESZ_EEDaSU_SV_EUlSU_E_NS1_11comp_targetILNS1_3genE3ELNS1_11target_archE908ELNS1_3gpuE7ELNS1_3repE0EEENS1_30default_config_static_selectorELNS0_4arch9wavefront6targetE1EEEvT1_.kd
    .uniform_work_group_size: 1
    .uses_dynamic_stack: false
    .vgpr_count:     0
    .vgpr_spill_count: 0
    .wavefront_size: 64
  - .agpr_count:     0
    .args:
      - .offset:         0
        .size:           136
        .value_kind:     by_value
    .group_segment_fixed_size: 0
    .kernarg_segment_align: 8
    .kernarg_segment_size: 136
    .language:       OpenCL C
    .language_version:
      - 2
      - 0
    .max_flat_workgroup_size: 256
    .name:           _ZN7rocprim17ROCPRIM_400000_NS6detail17trampoline_kernelINS0_14default_configENS1_27scan_by_key_config_selectorIxxEEZZNS1_16scan_by_key_implILNS1_25lookback_scan_determinismE0ELb0ES3_N6thrust23THRUST_200600_302600_NS6detail15normal_iteratorINS9_10device_ptrIxEEEESE_SE_xNS9_4plusIvEENS9_8equal_toIvEExEE10hipError_tPvRmT2_T3_T4_T5_mT6_T7_P12ihipStream_tbENKUlT_T0_E_clISt17integral_constantIbLb0EESZ_EEDaSU_SV_EUlSU_E_NS1_11comp_targetILNS1_3genE2ELNS1_11target_archE906ELNS1_3gpuE6ELNS1_3repE0EEENS1_30default_config_static_selectorELNS0_4arch9wavefront6targetE1EEEvT1_
    .private_segment_fixed_size: 0
    .sgpr_count:     6
    .sgpr_spill_count: 0
    .symbol:         _ZN7rocprim17ROCPRIM_400000_NS6detail17trampoline_kernelINS0_14default_configENS1_27scan_by_key_config_selectorIxxEEZZNS1_16scan_by_key_implILNS1_25lookback_scan_determinismE0ELb0ES3_N6thrust23THRUST_200600_302600_NS6detail15normal_iteratorINS9_10device_ptrIxEEEESE_SE_xNS9_4plusIvEENS9_8equal_toIvEExEE10hipError_tPvRmT2_T3_T4_T5_mT6_T7_P12ihipStream_tbENKUlT_T0_E_clISt17integral_constantIbLb0EESZ_EEDaSU_SV_EUlSU_E_NS1_11comp_targetILNS1_3genE2ELNS1_11target_archE906ELNS1_3gpuE6ELNS1_3repE0EEENS1_30default_config_static_selectorELNS0_4arch9wavefront6targetE1EEEvT1_.kd
    .uniform_work_group_size: 1
    .uses_dynamic_stack: false
    .vgpr_count:     0
    .vgpr_spill_count: 0
    .wavefront_size: 64
  - .agpr_count:     0
    .args:
      - .offset:         0
        .size:           136
        .value_kind:     by_value
    .group_segment_fixed_size: 0
    .kernarg_segment_align: 8
    .kernarg_segment_size: 136
    .language:       OpenCL C
    .language_version:
      - 2
      - 0
    .max_flat_workgroup_size: 256
    .name:           _ZN7rocprim17ROCPRIM_400000_NS6detail17trampoline_kernelINS0_14default_configENS1_27scan_by_key_config_selectorIxxEEZZNS1_16scan_by_key_implILNS1_25lookback_scan_determinismE0ELb0ES3_N6thrust23THRUST_200600_302600_NS6detail15normal_iteratorINS9_10device_ptrIxEEEESE_SE_xNS9_4plusIvEENS9_8equal_toIvEExEE10hipError_tPvRmT2_T3_T4_T5_mT6_T7_P12ihipStream_tbENKUlT_T0_E_clISt17integral_constantIbLb0EESZ_EEDaSU_SV_EUlSU_E_NS1_11comp_targetILNS1_3genE10ELNS1_11target_archE1200ELNS1_3gpuE4ELNS1_3repE0EEENS1_30default_config_static_selectorELNS0_4arch9wavefront6targetE1EEEvT1_
    .private_segment_fixed_size: 0
    .sgpr_count:     6
    .sgpr_spill_count: 0
    .symbol:         _ZN7rocprim17ROCPRIM_400000_NS6detail17trampoline_kernelINS0_14default_configENS1_27scan_by_key_config_selectorIxxEEZZNS1_16scan_by_key_implILNS1_25lookback_scan_determinismE0ELb0ES3_N6thrust23THRUST_200600_302600_NS6detail15normal_iteratorINS9_10device_ptrIxEEEESE_SE_xNS9_4plusIvEENS9_8equal_toIvEExEE10hipError_tPvRmT2_T3_T4_T5_mT6_T7_P12ihipStream_tbENKUlT_T0_E_clISt17integral_constantIbLb0EESZ_EEDaSU_SV_EUlSU_E_NS1_11comp_targetILNS1_3genE10ELNS1_11target_archE1200ELNS1_3gpuE4ELNS1_3repE0EEENS1_30default_config_static_selectorELNS0_4arch9wavefront6targetE1EEEvT1_.kd
    .uniform_work_group_size: 1
    .uses_dynamic_stack: false
    .vgpr_count:     0
    .vgpr_spill_count: 0
    .wavefront_size: 64
  - .agpr_count:     0
    .args:
      - .offset:         0
        .size:           136
        .value_kind:     by_value
    .group_segment_fixed_size: 0
    .kernarg_segment_align: 8
    .kernarg_segment_size: 136
    .language:       OpenCL C
    .language_version:
      - 2
      - 0
    .max_flat_workgroup_size: 256
    .name:           _ZN7rocprim17ROCPRIM_400000_NS6detail17trampoline_kernelINS0_14default_configENS1_27scan_by_key_config_selectorIxxEEZZNS1_16scan_by_key_implILNS1_25lookback_scan_determinismE0ELb0ES3_N6thrust23THRUST_200600_302600_NS6detail15normal_iteratorINS9_10device_ptrIxEEEESE_SE_xNS9_4plusIvEENS9_8equal_toIvEExEE10hipError_tPvRmT2_T3_T4_T5_mT6_T7_P12ihipStream_tbENKUlT_T0_E_clISt17integral_constantIbLb0EESZ_EEDaSU_SV_EUlSU_E_NS1_11comp_targetILNS1_3genE9ELNS1_11target_archE1100ELNS1_3gpuE3ELNS1_3repE0EEENS1_30default_config_static_selectorELNS0_4arch9wavefront6targetE1EEEvT1_
    .private_segment_fixed_size: 0
    .sgpr_count:     6
    .sgpr_spill_count: 0
    .symbol:         _ZN7rocprim17ROCPRIM_400000_NS6detail17trampoline_kernelINS0_14default_configENS1_27scan_by_key_config_selectorIxxEEZZNS1_16scan_by_key_implILNS1_25lookback_scan_determinismE0ELb0ES3_N6thrust23THRUST_200600_302600_NS6detail15normal_iteratorINS9_10device_ptrIxEEEESE_SE_xNS9_4plusIvEENS9_8equal_toIvEExEE10hipError_tPvRmT2_T3_T4_T5_mT6_T7_P12ihipStream_tbENKUlT_T0_E_clISt17integral_constantIbLb0EESZ_EEDaSU_SV_EUlSU_E_NS1_11comp_targetILNS1_3genE9ELNS1_11target_archE1100ELNS1_3gpuE3ELNS1_3repE0EEENS1_30default_config_static_selectorELNS0_4arch9wavefront6targetE1EEEvT1_.kd
    .uniform_work_group_size: 1
    .uses_dynamic_stack: false
    .vgpr_count:     0
    .vgpr_spill_count: 0
    .wavefront_size: 64
  - .agpr_count:     0
    .args:
      - .offset:         0
        .size:           136
        .value_kind:     by_value
    .group_segment_fixed_size: 0
    .kernarg_segment_align: 8
    .kernarg_segment_size: 136
    .language:       OpenCL C
    .language_version:
      - 2
      - 0
    .max_flat_workgroup_size: 256
    .name:           _ZN7rocprim17ROCPRIM_400000_NS6detail17trampoline_kernelINS0_14default_configENS1_27scan_by_key_config_selectorIxxEEZZNS1_16scan_by_key_implILNS1_25lookback_scan_determinismE0ELb0ES3_N6thrust23THRUST_200600_302600_NS6detail15normal_iteratorINS9_10device_ptrIxEEEESE_SE_xNS9_4plusIvEENS9_8equal_toIvEExEE10hipError_tPvRmT2_T3_T4_T5_mT6_T7_P12ihipStream_tbENKUlT_T0_E_clISt17integral_constantIbLb0EESZ_EEDaSU_SV_EUlSU_E_NS1_11comp_targetILNS1_3genE8ELNS1_11target_archE1030ELNS1_3gpuE2ELNS1_3repE0EEENS1_30default_config_static_selectorELNS0_4arch9wavefront6targetE1EEEvT1_
    .private_segment_fixed_size: 0
    .sgpr_count:     6
    .sgpr_spill_count: 0
    .symbol:         _ZN7rocprim17ROCPRIM_400000_NS6detail17trampoline_kernelINS0_14default_configENS1_27scan_by_key_config_selectorIxxEEZZNS1_16scan_by_key_implILNS1_25lookback_scan_determinismE0ELb0ES3_N6thrust23THRUST_200600_302600_NS6detail15normal_iteratorINS9_10device_ptrIxEEEESE_SE_xNS9_4plusIvEENS9_8equal_toIvEExEE10hipError_tPvRmT2_T3_T4_T5_mT6_T7_P12ihipStream_tbENKUlT_T0_E_clISt17integral_constantIbLb0EESZ_EEDaSU_SV_EUlSU_E_NS1_11comp_targetILNS1_3genE8ELNS1_11target_archE1030ELNS1_3gpuE2ELNS1_3repE0EEENS1_30default_config_static_selectorELNS0_4arch9wavefront6targetE1EEEvT1_.kd
    .uniform_work_group_size: 1
    .uses_dynamic_stack: false
    .vgpr_count:     0
    .vgpr_spill_count: 0
    .wavefront_size: 64
  - .agpr_count:     0
    .args:
      - .offset:         0
        .size:           24
        .value_kind:     by_value
      - .offset:         24
        .size:           4
        .value_kind:     by_value
      - .offset:         28
        .size:           4
        .value_kind:     by_value
      - .address_space:  global
        .offset:         32
        .size:           8
        .value_kind:     global_buffer
      - .address_space:  global
        .offset:         40
        .size:           8
        .value_kind:     global_buffer
      - .actual_access:  write_only
        .address_space:  global
        .offset:         48
        .size:           8
        .value_kind:     global_buffer
      - .offset:         56
        .size:           8
        .value_kind:     by_value
      - .offset:         64
        .size:           4
        .value_kind:     by_value
      - .address_space:  global
        .offset:         72
        .size:           8
        .value_kind:     global_buffer
      - .offset:         80
        .size:           4
        .value_kind:     hidden_block_count_x
      - .offset:         84
        .size:           4
        .value_kind:     hidden_block_count_y
      - .offset:         88
        .size:           4
        .value_kind:     hidden_block_count_z
      - .offset:         92
        .size:           2
        .value_kind:     hidden_group_size_x
      - .offset:         94
        .size:           2
        .value_kind:     hidden_group_size_y
      - .offset:         96
        .size:           2
        .value_kind:     hidden_group_size_z
      - .offset:         98
        .size:           2
        .value_kind:     hidden_remainder_x
      - .offset:         100
        .size:           2
        .value_kind:     hidden_remainder_y
      - .offset:         102
        .size:           2
        .value_kind:     hidden_remainder_z
      - .offset:         120
        .size:           8
        .value_kind:     hidden_global_offset_x
      - .offset:         128
        .size:           8
        .value_kind:     hidden_global_offset_y
      - .offset:         136
        .size:           8
        .value_kind:     hidden_global_offset_z
      - .offset:         144
        .size:           2
        .value_kind:     hidden_grid_dims
    .group_segment_fixed_size: 0
    .kernarg_segment_align: 8
    .kernarg_segment_size: 336
    .language:       OpenCL C
    .language_version:
      - 2
      - 0
    .max_flat_workgroup_size: 256
    .name:           _ZN7rocprim17ROCPRIM_400000_NS6detail30init_device_scan_by_key_kernelINS1_19lookback_scan_stateINS0_5tupleIJxbEEELb1ELb0EEEN6thrust23THRUST_200600_302600_NS6detail15normal_iteratorINS8_10device_ptrIxEEEEjNS1_16block_id_wrapperIjLb1EEEEEvT_jjPNSG_10value_typeET0_PNSt15iterator_traitsISJ_E10value_typeEmT1_T2_
    .private_segment_fixed_size: 0
    .sgpr_count:     30
    .sgpr_spill_count: 0
    .symbol:         _ZN7rocprim17ROCPRIM_400000_NS6detail30init_device_scan_by_key_kernelINS1_19lookback_scan_stateINS0_5tupleIJxbEEELb1ELb0EEEN6thrust23THRUST_200600_302600_NS6detail15normal_iteratorINS8_10device_ptrIxEEEEjNS1_16block_id_wrapperIjLb1EEEEEvT_jjPNSG_10value_typeET0_PNSt15iterator_traitsISJ_E10value_typeEmT1_T2_.kd
    .uniform_work_group_size: 1
    .uses_dynamic_stack: false
    .vgpr_count:     8
    .vgpr_spill_count: 0
    .wavefront_size: 64
  - .agpr_count:     0
    .args:
      - .offset:         0
        .size:           24
        .value_kind:     by_value
      - .offset:         24
        .size:           4
        .value_kind:     by_value
      - .offset:         28
        .size:           4
        .value_kind:     by_value
      - .address_space:  global
        .offset:         32
        .size:           8
        .value_kind:     global_buffer
      - .address_space:  global
        .offset:         40
        .size:           8
        .value_kind:     global_buffer
      - .offset:         48
        .size:           4
        .value_kind:     hidden_block_count_x
      - .offset:         52
        .size:           4
        .value_kind:     hidden_block_count_y
      - .offset:         56
        .size:           4
        .value_kind:     hidden_block_count_z
      - .offset:         60
        .size:           2
        .value_kind:     hidden_group_size_x
      - .offset:         62
        .size:           2
        .value_kind:     hidden_group_size_y
      - .offset:         64
        .size:           2
        .value_kind:     hidden_group_size_z
      - .offset:         66
        .size:           2
        .value_kind:     hidden_remainder_x
      - .offset:         68
        .size:           2
        .value_kind:     hidden_remainder_y
      - .offset:         70
        .size:           2
        .value_kind:     hidden_remainder_z
      - .offset:         88
        .size:           8
        .value_kind:     hidden_global_offset_x
      - .offset:         96
        .size:           8
        .value_kind:     hidden_global_offset_y
      - .offset:         104
        .size:           8
        .value_kind:     hidden_global_offset_z
      - .offset:         112
        .size:           2
        .value_kind:     hidden_grid_dims
    .group_segment_fixed_size: 0
    .kernarg_segment_align: 8
    .kernarg_segment_size: 304
    .language:       OpenCL C
    .language_version:
      - 2
      - 0
    .max_flat_workgroup_size: 256
    .name:           _ZN7rocprim17ROCPRIM_400000_NS6detail30init_device_scan_by_key_kernelINS1_19lookback_scan_stateINS0_5tupleIJxbEEELb1ELb0EEENS1_16block_id_wrapperIjLb1EEEEEvT_jjPNS9_10value_typeET0_
    .private_segment_fixed_size: 0
    .sgpr_count:     26
    .sgpr_spill_count: 0
    .symbol:         _ZN7rocprim17ROCPRIM_400000_NS6detail30init_device_scan_by_key_kernelINS1_19lookback_scan_stateINS0_5tupleIJxbEEELb1ELb0EEENS1_16block_id_wrapperIjLb1EEEEEvT_jjPNS9_10value_typeET0_.kd
    .uniform_work_group_size: 1
    .uses_dynamic_stack: false
    .vgpr_count:     6
    .vgpr_spill_count: 0
    .wavefront_size: 64
  - .agpr_count:     0
    .args:
      - .offset:         0
        .size:           136
        .value_kind:     by_value
    .group_segment_fixed_size: 0
    .kernarg_segment_align: 8
    .kernarg_segment_size: 136
    .language:       OpenCL C
    .language_version:
      - 2
      - 0
    .max_flat_workgroup_size: 256
    .name:           _ZN7rocprim17ROCPRIM_400000_NS6detail17trampoline_kernelINS0_14default_configENS1_27scan_by_key_config_selectorIxxEEZZNS1_16scan_by_key_implILNS1_25lookback_scan_determinismE0ELb0ES3_N6thrust23THRUST_200600_302600_NS6detail15normal_iteratorINS9_10device_ptrIxEEEESE_SE_xNS9_4plusIvEENS9_8equal_toIvEExEE10hipError_tPvRmT2_T3_T4_T5_mT6_T7_P12ihipStream_tbENKUlT_T0_E_clISt17integral_constantIbLb1EESZ_EEDaSU_SV_EUlSU_E_NS1_11comp_targetILNS1_3genE0ELNS1_11target_archE4294967295ELNS1_3gpuE0ELNS1_3repE0EEENS1_30default_config_static_selectorELNS0_4arch9wavefront6targetE1EEEvT1_
    .private_segment_fixed_size: 0
    .sgpr_count:     6
    .sgpr_spill_count: 0
    .symbol:         _ZN7rocprim17ROCPRIM_400000_NS6detail17trampoline_kernelINS0_14default_configENS1_27scan_by_key_config_selectorIxxEEZZNS1_16scan_by_key_implILNS1_25lookback_scan_determinismE0ELb0ES3_N6thrust23THRUST_200600_302600_NS6detail15normal_iteratorINS9_10device_ptrIxEEEESE_SE_xNS9_4plusIvEENS9_8equal_toIvEExEE10hipError_tPvRmT2_T3_T4_T5_mT6_T7_P12ihipStream_tbENKUlT_T0_E_clISt17integral_constantIbLb1EESZ_EEDaSU_SV_EUlSU_E_NS1_11comp_targetILNS1_3genE0ELNS1_11target_archE4294967295ELNS1_3gpuE0ELNS1_3repE0EEENS1_30default_config_static_selectorELNS0_4arch9wavefront6targetE1EEEvT1_.kd
    .uniform_work_group_size: 1
    .uses_dynamic_stack: false
    .vgpr_count:     0
    .vgpr_spill_count: 0
    .wavefront_size: 64
  - .agpr_count:     0
    .args:
      - .offset:         0
        .size:           136
        .value_kind:     by_value
    .group_segment_fixed_size: 0
    .kernarg_segment_align: 8
    .kernarg_segment_size: 136
    .language:       OpenCL C
    .language_version:
      - 2
      - 0
    .max_flat_workgroup_size: 256
    .name:           _ZN7rocprim17ROCPRIM_400000_NS6detail17trampoline_kernelINS0_14default_configENS1_27scan_by_key_config_selectorIxxEEZZNS1_16scan_by_key_implILNS1_25lookback_scan_determinismE0ELb0ES3_N6thrust23THRUST_200600_302600_NS6detail15normal_iteratorINS9_10device_ptrIxEEEESE_SE_xNS9_4plusIvEENS9_8equal_toIvEExEE10hipError_tPvRmT2_T3_T4_T5_mT6_T7_P12ihipStream_tbENKUlT_T0_E_clISt17integral_constantIbLb1EESZ_EEDaSU_SV_EUlSU_E_NS1_11comp_targetILNS1_3genE10ELNS1_11target_archE1201ELNS1_3gpuE5ELNS1_3repE0EEENS1_30default_config_static_selectorELNS0_4arch9wavefront6targetE1EEEvT1_
    .private_segment_fixed_size: 0
    .sgpr_count:     6
    .sgpr_spill_count: 0
    .symbol:         _ZN7rocprim17ROCPRIM_400000_NS6detail17trampoline_kernelINS0_14default_configENS1_27scan_by_key_config_selectorIxxEEZZNS1_16scan_by_key_implILNS1_25lookback_scan_determinismE0ELb0ES3_N6thrust23THRUST_200600_302600_NS6detail15normal_iteratorINS9_10device_ptrIxEEEESE_SE_xNS9_4plusIvEENS9_8equal_toIvEExEE10hipError_tPvRmT2_T3_T4_T5_mT6_T7_P12ihipStream_tbENKUlT_T0_E_clISt17integral_constantIbLb1EESZ_EEDaSU_SV_EUlSU_E_NS1_11comp_targetILNS1_3genE10ELNS1_11target_archE1201ELNS1_3gpuE5ELNS1_3repE0EEENS1_30default_config_static_selectorELNS0_4arch9wavefront6targetE1EEEvT1_.kd
    .uniform_work_group_size: 1
    .uses_dynamic_stack: false
    .vgpr_count:     0
    .vgpr_spill_count: 0
    .wavefront_size: 64
  - .agpr_count:     0
    .args:
      - .offset:         0
        .size:           136
        .value_kind:     by_value
    .group_segment_fixed_size: 32768
    .kernarg_segment_align: 8
    .kernarg_segment_size: 136
    .language:       OpenCL C
    .language_version:
      - 2
      - 0
    .max_flat_workgroup_size: 256
    .name:           _ZN7rocprim17ROCPRIM_400000_NS6detail17trampoline_kernelINS0_14default_configENS1_27scan_by_key_config_selectorIxxEEZZNS1_16scan_by_key_implILNS1_25lookback_scan_determinismE0ELb0ES3_N6thrust23THRUST_200600_302600_NS6detail15normal_iteratorINS9_10device_ptrIxEEEESE_SE_xNS9_4plusIvEENS9_8equal_toIvEExEE10hipError_tPvRmT2_T3_T4_T5_mT6_T7_P12ihipStream_tbENKUlT_T0_E_clISt17integral_constantIbLb1EESZ_EEDaSU_SV_EUlSU_E_NS1_11comp_targetILNS1_3genE5ELNS1_11target_archE942ELNS1_3gpuE9ELNS1_3repE0EEENS1_30default_config_static_selectorELNS0_4arch9wavefront6targetE1EEEvT1_
    .private_segment_fixed_size: 0
    .sgpr_count:     76
    .sgpr_spill_count: 0
    .symbol:         _ZN7rocprim17ROCPRIM_400000_NS6detail17trampoline_kernelINS0_14default_configENS1_27scan_by_key_config_selectorIxxEEZZNS1_16scan_by_key_implILNS1_25lookback_scan_determinismE0ELb0ES3_N6thrust23THRUST_200600_302600_NS6detail15normal_iteratorINS9_10device_ptrIxEEEESE_SE_xNS9_4plusIvEENS9_8equal_toIvEExEE10hipError_tPvRmT2_T3_T4_T5_mT6_T7_P12ihipStream_tbENKUlT_T0_E_clISt17integral_constantIbLb1EESZ_EEDaSU_SV_EUlSU_E_NS1_11comp_targetILNS1_3genE5ELNS1_11target_archE942ELNS1_3gpuE9ELNS1_3repE0EEENS1_30default_config_static_selectorELNS0_4arch9wavefront6targetE1EEEvT1_.kd
    .uniform_work_group_size: 1
    .uses_dynamic_stack: false
    .vgpr_count:     92
    .vgpr_spill_count: 0
    .wavefront_size: 64
  - .agpr_count:     0
    .args:
      - .offset:         0
        .size:           136
        .value_kind:     by_value
    .group_segment_fixed_size: 0
    .kernarg_segment_align: 8
    .kernarg_segment_size: 136
    .language:       OpenCL C
    .language_version:
      - 2
      - 0
    .max_flat_workgroup_size: 64
    .name:           _ZN7rocprim17ROCPRIM_400000_NS6detail17trampoline_kernelINS0_14default_configENS1_27scan_by_key_config_selectorIxxEEZZNS1_16scan_by_key_implILNS1_25lookback_scan_determinismE0ELb0ES3_N6thrust23THRUST_200600_302600_NS6detail15normal_iteratorINS9_10device_ptrIxEEEESE_SE_xNS9_4plusIvEENS9_8equal_toIvEExEE10hipError_tPvRmT2_T3_T4_T5_mT6_T7_P12ihipStream_tbENKUlT_T0_E_clISt17integral_constantIbLb1EESZ_EEDaSU_SV_EUlSU_E_NS1_11comp_targetILNS1_3genE4ELNS1_11target_archE910ELNS1_3gpuE8ELNS1_3repE0EEENS1_30default_config_static_selectorELNS0_4arch9wavefront6targetE1EEEvT1_
    .private_segment_fixed_size: 0
    .sgpr_count:     6
    .sgpr_spill_count: 0
    .symbol:         _ZN7rocprim17ROCPRIM_400000_NS6detail17trampoline_kernelINS0_14default_configENS1_27scan_by_key_config_selectorIxxEEZZNS1_16scan_by_key_implILNS1_25lookback_scan_determinismE0ELb0ES3_N6thrust23THRUST_200600_302600_NS6detail15normal_iteratorINS9_10device_ptrIxEEEESE_SE_xNS9_4plusIvEENS9_8equal_toIvEExEE10hipError_tPvRmT2_T3_T4_T5_mT6_T7_P12ihipStream_tbENKUlT_T0_E_clISt17integral_constantIbLb1EESZ_EEDaSU_SV_EUlSU_E_NS1_11comp_targetILNS1_3genE4ELNS1_11target_archE910ELNS1_3gpuE8ELNS1_3repE0EEENS1_30default_config_static_selectorELNS0_4arch9wavefront6targetE1EEEvT1_.kd
    .uniform_work_group_size: 1
    .uses_dynamic_stack: false
    .vgpr_count:     0
    .vgpr_spill_count: 0
    .wavefront_size: 64
  - .agpr_count:     0
    .args:
      - .offset:         0
        .size:           136
        .value_kind:     by_value
    .group_segment_fixed_size: 0
    .kernarg_segment_align: 8
    .kernarg_segment_size: 136
    .language:       OpenCL C
    .language_version:
      - 2
      - 0
    .max_flat_workgroup_size: 256
    .name:           _ZN7rocprim17ROCPRIM_400000_NS6detail17trampoline_kernelINS0_14default_configENS1_27scan_by_key_config_selectorIxxEEZZNS1_16scan_by_key_implILNS1_25lookback_scan_determinismE0ELb0ES3_N6thrust23THRUST_200600_302600_NS6detail15normal_iteratorINS9_10device_ptrIxEEEESE_SE_xNS9_4plusIvEENS9_8equal_toIvEExEE10hipError_tPvRmT2_T3_T4_T5_mT6_T7_P12ihipStream_tbENKUlT_T0_E_clISt17integral_constantIbLb1EESZ_EEDaSU_SV_EUlSU_E_NS1_11comp_targetILNS1_3genE3ELNS1_11target_archE908ELNS1_3gpuE7ELNS1_3repE0EEENS1_30default_config_static_selectorELNS0_4arch9wavefront6targetE1EEEvT1_
    .private_segment_fixed_size: 0
    .sgpr_count:     6
    .sgpr_spill_count: 0
    .symbol:         _ZN7rocprim17ROCPRIM_400000_NS6detail17trampoline_kernelINS0_14default_configENS1_27scan_by_key_config_selectorIxxEEZZNS1_16scan_by_key_implILNS1_25lookback_scan_determinismE0ELb0ES3_N6thrust23THRUST_200600_302600_NS6detail15normal_iteratorINS9_10device_ptrIxEEEESE_SE_xNS9_4plusIvEENS9_8equal_toIvEExEE10hipError_tPvRmT2_T3_T4_T5_mT6_T7_P12ihipStream_tbENKUlT_T0_E_clISt17integral_constantIbLb1EESZ_EEDaSU_SV_EUlSU_E_NS1_11comp_targetILNS1_3genE3ELNS1_11target_archE908ELNS1_3gpuE7ELNS1_3repE0EEENS1_30default_config_static_selectorELNS0_4arch9wavefront6targetE1EEEvT1_.kd
    .uniform_work_group_size: 1
    .uses_dynamic_stack: false
    .vgpr_count:     0
    .vgpr_spill_count: 0
    .wavefront_size: 64
  - .agpr_count:     0
    .args:
      - .offset:         0
        .size:           136
        .value_kind:     by_value
    .group_segment_fixed_size: 0
    .kernarg_segment_align: 8
    .kernarg_segment_size: 136
    .language:       OpenCL C
    .language_version:
      - 2
      - 0
    .max_flat_workgroup_size: 256
    .name:           _ZN7rocprim17ROCPRIM_400000_NS6detail17trampoline_kernelINS0_14default_configENS1_27scan_by_key_config_selectorIxxEEZZNS1_16scan_by_key_implILNS1_25lookback_scan_determinismE0ELb0ES3_N6thrust23THRUST_200600_302600_NS6detail15normal_iteratorINS9_10device_ptrIxEEEESE_SE_xNS9_4plusIvEENS9_8equal_toIvEExEE10hipError_tPvRmT2_T3_T4_T5_mT6_T7_P12ihipStream_tbENKUlT_T0_E_clISt17integral_constantIbLb1EESZ_EEDaSU_SV_EUlSU_E_NS1_11comp_targetILNS1_3genE2ELNS1_11target_archE906ELNS1_3gpuE6ELNS1_3repE0EEENS1_30default_config_static_selectorELNS0_4arch9wavefront6targetE1EEEvT1_
    .private_segment_fixed_size: 0
    .sgpr_count:     6
    .sgpr_spill_count: 0
    .symbol:         _ZN7rocprim17ROCPRIM_400000_NS6detail17trampoline_kernelINS0_14default_configENS1_27scan_by_key_config_selectorIxxEEZZNS1_16scan_by_key_implILNS1_25lookback_scan_determinismE0ELb0ES3_N6thrust23THRUST_200600_302600_NS6detail15normal_iteratorINS9_10device_ptrIxEEEESE_SE_xNS9_4plusIvEENS9_8equal_toIvEExEE10hipError_tPvRmT2_T3_T4_T5_mT6_T7_P12ihipStream_tbENKUlT_T0_E_clISt17integral_constantIbLb1EESZ_EEDaSU_SV_EUlSU_E_NS1_11comp_targetILNS1_3genE2ELNS1_11target_archE906ELNS1_3gpuE6ELNS1_3repE0EEENS1_30default_config_static_selectorELNS0_4arch9wavefront6targetE1EEEvT1_.kd
    .uniform_work_group_size: 1
    .uses_dynamic_stack: false
    .vgpr_count:     0
    .vgpr_spill_count: 0
    .wavefront_size: 64
  - .agpr_count:     0
    .args:
      - .offset:         0
        .size:           136
        .value_kind:     by_value
    .group_segment_fixed_size: 0
    .kernarg_segment_align: 8
    .kernarg_segment_size: 136
    .language:       OpenCL C
    .language_version:
      - 2
      - 0
    .max_flat_workgroup_size: 256
    .name:           _ZN7rocprim17ROCPRIM_400000_NS6detail17trampoline_kernelINS0_14default_configENS1_27scan_by_key_config_selectorIxxEEZZNS1_16scan_by_key_implILNS1_25lookback_scan_determinismE0ELb0ES3_N6thrust23THRUST_200600_302600_NS6detail15normal_iteratorINS9_10device_ptrIxEEEESE_SE_xNS9_4plusIvEENS9_8equal_toIvEExEE10hipError_tPvRmT2_T3_T4_T5_mT6_T7_P12ihipStream_tbENKUlT_T0_E_clISt17integral_constantIbLb1EESZ_EEDaSU_SV_EUlSU_E_NS1_11comp_targetILNS1_3genE10ELNS1_11target_archE1200ELNS1_3gpuE4ELNS1_3repE0EEENS1_30default_config_static_selectorELNS0_4arch9wavefront6targetE1EEEvT1_
    .private_segment_fixed_size: 0
    .sgpr_count:     6
    .sgpr_spill_count: 0
    .symbol:         _ZN7rocprim17ROCPRIM_400000_NS6detail17trampoline_kernelINS0_14default_configENS1_27scan_by_key_config_selectorIxxEEZZNS1_16scan_by_key_implILNS1_25lookback_scan_determinismE0ELb0ES3_N6thrust23THRUST_200600_302600_NS6detail15normal_iteratorINS9_10device_ptrIxEEEESE_SE_xNS9_4plusIvEENS9_8equal_toIvEExEE10hipError_tPvRmT2_T3_T4_T5_mT6_T7_P12ihipStream_tbENKUlT_T0_E_clISt17integral_constantIbLb1EESZ_EEDaSU_SV_EUlSU_E_NS1_11comp_targetILNS1_3genE10ELNS1_11target_archE1200ELNS1_3gpuE4ELNS1_3repE0EEENS1_30default_config_static_selectorELNS0_4arch9wavefront6targetE1EEEvT1_.kd
    .uniform_work_group_size: 1
    .uses_dynamic_stack: false
    .vgpr_count:     0
    .vgpr_spill_count: 0
    .wavefront_size: 64
  - .agpr_count:     0
    .args:
      - .offset:         0
        .size:           136
        .value_kind:     by_value
    .group_segment_fixed_size: 0
    .kernarg_segment_align: 8
    .kernarg_segment_size: 136
    .language:       OpenCL C
    .language_version:
      - 2
      - 0
    .max_flat_workgroup_size: 256
    .name:           _ZN7rocprim17ROCPRIM_400000_NS6detail17trampoline_kernelINS0_14default_configENS1_27scan_by_key_config_selectorIxxEEZZNS1_16scan_by_key_implILNS1_25lookback_scan_determinismE0ELb0ES3_N6thrust23THRUST_200600_302600_NS6detail15normal_iteratorINS9_10device_ptrIxEEEESE_SE_xNS9_4plusIvEENS9_8equal_toIvEExEE10hipError_tPvRmT2_T3_T4_T5_mT6_T7_P12ihipStream_tbENKUlT_T0_E_clISt17integral_constantIbLb1EESZ_EEDaSU_SV_EUlSU_E_NS1_11comp_targetILNS1_3genE9ELNS1_11target_archE1100ELNS1_3gpuE3ELNS1_3repE0EEENS1_30default_config_static_selectorELNS0_4arch9wavefront6targetE1EEEvT1_
    .private_segment_fixed_size: 0
    .sgpr_count:     6
    .sgpr_spill_count: 0
    .symbol:         _ZN7rocprim17ROCPRIM_400000_NS6detail17trampoline_kernelINS0_14default_configENS1_27scan_by_key_config_selectorIxxEEZZNS1_16scan_by_key_implILNS1_25lookback_scan_determinismE0ELb0ES3_N6thrust23THRUST_200600_302600_NS6detail15normal_iteratorINS9_10device_ptrIxEEEESE_SE_xNS9_4plusIvEENS9_8equal_toIvEExEE10hipError_tPvRmT2_T3_T4_T5_mT6_T7_P12ihipStream_tbENKUlT_T0_E_clISt17integral_constantIbLb1EESZ_EEDaSU_SV_EUlSU_E_NS1_11comp_targetILNS1_3genE9ELNS1_11target_archE1100ELNS1_3gpuE3ELNS1_3repE0EEENS1_30default_config_static_selectorELNS0_4arch9wavefront6targetE1EEEvT1_.kd
    .uniform_work_group_size: 1
    .uses_dynamic_stack: false
    .vgpr_count:     0
    .vgpr_spill_count: 0
    .wavefront_size: 64
  - .agpr_count:     0
    .args:
      - .offset:         0
        .size:           136
        .value_kind:     by_value
    .group_segment_fixed_size: 0
    .kernarg_segment_align: 8
    .kernarg_segment_size: 136
    .language:       OpenCL C
    .language_version:
      - 2
      - 0
    .max_flat_workgroup_size: 256
    .name:           _ZN7rocprim17ROCPRIM_400000_NS6detail17trampoline_kernelINS0_14default_configENS1_27scan_by_key_config_selectorIxxEEZZNS1_16scan_by_key_implILNS1_25lookback_scan_determinismE0ELb0ES3_N6thrust23THRUST_200600_302600_NS6detail15normal_iteratorINS9_10device_ptrIxEEEESE_SE_xNS9_4plusIvEENS9_8equal_toIvEExEE10hipError_tPvRmT2_T3_T4_T5_mT6_T7_P12ihipStream_tbENKUlT_T0_E_clISt17integral_constantIbLb1EESZ_EEDaSU_SV_EUlSU_E_NS1_11comp_targetILNS1_3genE8ELNS1_11target_archE1030ELNS1_3gpuE2ELNS1_3repE0EEENS1_30default_config_static_selectorELNS0_4arch9wavefront6targetE1EEEvT1_
    .private_segment_fixed_size: 0
    .sgpr_count:     6
    .sgpr_spill_count: 0
    .symbol:         _ZN7rocprim17ROCPRIM_400000_NS6detail17trampoline_kernelINS0_14default_configENS1_27scan_by_key_config_selectorIxxEEZZNS1_16scan_by_key_implILNS1_25lookback_scan_determinismE0ELb0ES3_N6thrust23THRUST_200600_302600_NS6detail15normal_iteratorINS9_10device_ptrIxEEEESE_SE_xNS9_4plusIvEENS9_8equal_toIvEExEE10hipError_tPvRmT2_T3_T4_T5_mT6_T7_P12ihipStream_tbENKUlT_T0_E_clISt17integral_constantIbLb1EESZ_EEDaSU_SV_EUlSU_E_NS1_11comp_targetILNS1_3genE8ELNS1_11target_archE1030ELNS1_3gpuE2ELNS1_3repE0EEENS1_30default_config_static_selectorELNS0_4arch9wavefront6targetE1EEEvT1_.kd
    .uniform_work_group_size: 1
    .uses_dynamic_stack: false
    .vgpr_count:     0
    .vgpr_spill_count: 0
    .wavefront_size: 64
  - .agpr_count:     0
    .args:
      - .offset:         0
        .size:           24
        .value_kind:     by_value
      - .offset:         24
        .size:           4
        .value_kind:     by_value
      - .offset:         28
        .size:           4
        .value_kind:     by_value
      - .address_space:  global
        .offset:         32
        .size:           8
        .value_kind:     global_buffer
      - .address_space:  global
        .offset:         40
        .size:           8
        .value_kind:     global_buffer
      - .actual_access:  write_only
        .address_space:  global
        .offset:         48
        .size:           8
        .value_kind:     global_buffer
      - .offset:         56
        .size:           8
        .value_kind:     by_value
      - .offset:         64
        .size:           4
        .value_kind:     by_value
      - .offset:         68
        .size:           1
        .value_kind:     by_value
      - .offset:         72
        .size:           4
        .value_kind:     hidden_block_count_x
      - .offset:         76
        .size:           4
        .value_kind:     hidden_block_count_y
      - .offset:         80
        .size:           4
        .value_kind:     hidden_block_count_z
      - .offset:         84
        .size:           2
        .value_kind:     hidden_group_size_x
      - .offset:         86
        .size:           2
        .value_kind:     hidden_group_size_y
      - .offset:         88
        .size:           2
        .value_kind:     hidden_group_size_z
      - .offset:         90
        .size:           2
        .value_kind:     hidden_remainder_x
      - .offset:         92
        .size:           2
        .value_kind:     hidden_remainder_y
      - .offset:         94
        .size:           2
        .value_kind:     hidden_remainder_z
      - .offset:         112
        .size:           8
        .value_kind:     hidden_global_offset_x
      - .offset:         120
        .size:           8
        .value_kind:     hidden_global_offset_y
      - .offset:         128
        .size:           8
        .value_kind:     hidden_global_offset_z
      - .offset:         136
        .size:           2
        .value_kind:     hidden_grid_dims
    .group_segment_fixed_size: 0
    .kernarg_segment_align: 8
    .kernarg_segment_size: 328
    .language:       OpenCL C
    .language_version:
      - 2
      - 0
    .max_flat_workgroup_size: 256
    .name:           _ZN7rocprim17ROCPRIM_400000_NS6detail30init_device_scan_by_key_kernelINS1_19lookback_scan_stateINS0_5tupleIJxbEEELb1ELb0EEEN6thrust23THRUST_200600_302600_NS6detail15normal_iteratorINS8_10device_ptrIxEEEEjNS1_16block_id_wrapperIjLb0EEEEEvT_jjPNSG_10value_typeET0_PNSt15iterator_traitsISJ_E10value_typeEmT1_T2_
    .private_segment_fixed_size: 0
    .sgpr_count:     30
    .sgpr_spill_count: 0
    .symbol:         _ZN7rocprim17ROCPRIM_400000_NS6detail30init_device_scan_by_key_kernelINS1_19lookback_scan_stateINS0_5tupleIJxbEEELb1ELb0EEEN6thrust23THRUST_200600_302600_NS6detail15normal_iteratorINS8_10device_ptrIxEEEEjNS1_16block_id_wrapperIjLb0EEEEEvT_jjPNSG_10value_typeET0_PNSt15iterator_traitsISJ_E10value_typeEmT1_T2_.kd
    .uniform_work_group_size: 1
    .uses_dynamic_stack: false
    .vgpr_count:     8
    .vgpr_spill_count: 0
    .wavefront_size: 64
  - .agpr_count:     0
    .args:
      - .offset:         0
        .size:           24
        .value_kind:     by_value
      - .offset:         24
        .size:           4
        .value_kind:     by_value
      - .offset:         28
        .size:           4
        .value_kind:     by_value
      - .address_space:  global
        .offset:         32
        .size:           8
        .value_kind:     global_buffer
      - .offset:         40
        .size:           1
        .value_kind:     by_value
      - .offset:         48
        .size:           4
        .value_kind:     hidden_block_count_x
      - .offset:         52
        .size:           4
        .value_kind:     hidden_block_count_y
      - .offset:         56
        .size:           4
        .value_kind:     hidden_block_count_z
      - .offset:         60
        .size:           2
        .value_kind:     hidden_group_size_x
      - .offset:         62
        .size:           2
        .value_kind:     hidden_group_size_y
      - .offset:         64
        .size:           2
        .value_kind:     hidden_group_size_z
      - .offset:         66
        .size:           2
        .value_kind:     hidden_remainder_x
      - .offset:         68
        .size:           2
        .value_kind:     hidden_remainder_y
      - .offset:         70
        .size:           2
        .value_kind:     hidden_remainder_z
      - .offset:         88
        .size:           8
        .value_kind:     hidden_global_offset_x
      - .offset:         96
        .size:           8
        .value_kind:     hidden_global_offset_y
      - .offset:         104
        .size:           8
        .value_kind:     hidden_global_offset_z
      - .offset:         112
        .size:           2
        .value_kind:     hidden_grid_dims
    .group_segment_fixed_size: 0
    .kernarg_segment_align: 8
    .kernarg_segment_size: 304
    .language:       OpenCL C
    .language_version:
      - 2
      - 0
    .max_flat_workgroup_size: 256
    .name:           _ZN7rocprim17ROCPRIM_400000_NS6detail30init_device_scan_by_key_kernelINS1_19lookback_scan_stateINS0_5tupleIJxbEEELb1ELb0EEENS1_16block_id_wrapperIjLb0EEEEEvT_jjPNS9_10value_typeET0_
    .private_segment_fixed_size: 0
    .sgpr_count:     24
    .sgpr_spill_count: 0
    .symbol:         _ZN7rocprim17ROCPRIM_400000_NS6detail30init_device_scan_by_key_kernelINS1_19lookback_scan_stateINS0_5tupleIJxbEEELb1ELb0EEENS1_16block_id_wrapperIjLb0EEEEEvT_jjPNS9_10value_typeET0_.kd
    .uniform_work_group_size: 1
    .uses_dynamic_stack: false
    .vgpr_count:     6
    .vgpr_spill_count: 0
    .wavefront_size: 64
  - .agpr_count:     0
    .args:
      - .offset:         0
        .size:           136
        .value_kind:     by_value
    .group_segment_fixed_size: 0
    .kernarg_segment_align: 8
    .kernarg_segment_size: 136
    .language:       OpenCL C
    .language_version:
      - 2
      - 0
    .max_flat_workgroup_size: 256
    .name:           _ZN7rocprim17ROCPRIM_400000_NS6detail17trampoline_kernelINS0_14default_configENS1_27scan_by_key_config_selectorIxxEEZZNS1_16scan_by_key_implILNS1_25lookback_scan_determinismE0ELb0ES3_N6thrust23THRUST_200600_302600_NS6detail15normal_iteratorINS9_10device_ptrIxEEEESE_SE_xNS9_4plusIvEENS9_8equal_toIvEExEE10hipError_tPvRmT2_T3_T4_T5_mT6_T7_P12ihipStream_tbENKUlT_T0_E_clISt17integral_constantIbLb1EESY_IbLb0EEEEDaSU_SV_EUlSU_E_NS1_11comp_targetILNS1_3genE0ELNS1_11target_archE4294967295ELNS1_3gpuE0ELNS1_3repE0EEENS1_30default_config_static_selectorELNS0_4arch9wavefront6targetE1EEEvT1_
    .private_segment_fixed_size: 0
    .sgpr_count:     6
    .sgpr_spill_count: 0
    .symbol:         _ZN7rocprim17ROCPRIM_400000_NS6detail17trampoline_kernelINS0_14default_configENS1_27scan_by_key_config_selectorIxxEEZZNS1_16scan_by_key_implILNS1_25lookback_scan_determinismE0ELb0ES3_N6thrust23THRUST_200600_302600_NS6detail15normal_iteratorINS9_10device_ptrIxEEEESE_SE_xNS9_4plusIvEENS9_8equal_toIvEExEE10hipError_tPvRmT2_T3_T4_T5_mT6_T7_P12ihipStream_tbENKUlT_T0_E_clISt17integral_constantIbLb1EESY_IbLb0EEEEDaSU_SV_EUlSU_E_NS1_11comp_targetILNS1_3genE0ELNS1_11target_archE4294967295ELNS1_3gpuE0ELNS1_3repE0EEENS1_30default_config_static_selectorELNS0_4arch9wavefront6targetE1EEEvT1_.kd
    .uniform_work_group_size: 1
    .uses_dynamic_stack: false
    .vgpr_count:     0
    .vgpr_spill_count: 0
    .wavefront_size: 64
  - .agpr_count:     0
    .args:
      - .offset:         0
        .size:           136
        .value_kind:     by_value
    .group_segment_fixed_size: 0
    .kernarg_segment_align: 8
    .kernarg_segment_size: 136
    .language:       OpenCL C
    .language_version:
      - 2
      - 0
    .max_flat_workgroup_size: 256
    .name:           _ZN7rocprim17ROCPRIM_400000_NS6detail17trampoline_kernelINS0_14default_configENS1_27scan_by_key_config_selectorIxxEEZZNS1_16scan_by_key_implILNS1_25lookback_scan_determinismE0ELb0ES3_N6thrust23THRUST_200600_302600_NS6detail15normal_iteratorINS9_10device_ptrIxEEEESE_SE_xNS9_4plusIvEENS9_8equal_toIvEExEE10hipError_tPvRmT2_T3_T4_T5_mT6_T7_P12ihipStream_tbENKUlT_T0_E_clISt17integral_constantIbLb1EESY_IbLb0EEEEDaSU_SV_EUlSU_E_NS1_11comp_targetILNS1_3genE10ELNS1_11target_archE1201ELNS1_3gpuE5ELNS1_3repE0EEENS1_30default_config_static_selectorELNS0_4arch9wavefront6targetE1EEEvT1_
    .private_segment_fixed_size: 0
    .sgpr_count:     6
    .sgpr_spill_count: 0
    .symbol:         _ZN7rocprim17ROCPRIM_400000_NS6detail17trampoline_kernelINS0_14default_configENS1_27scan_by_key_config_selectorIxxEEZZNS1_16scan_by_key_implILNS1_25lookback_scan_determinismE0ELb0ES3_N6thrust23THRUST_200600_302600_NS6detail15normal_iteratorINS9_10device_ptrIxEEEESE_SE_xNS9_4plusIvEENS9_8equal_toIvEExEE10hipError_tPvRmT2_T3_T4_T5_mT6_T7_P12ihipStream_tbENKUlT_T0_E_clISt17integral_constantIbLb1EESY_IbLb0EEEEDaSU_SV_EUlSU_E_NS1_11comp_targetILNS1_3genE10ELNS1_11target_archE1201ELNS1_3gpuE5ELNS1_3repE0EEENS1_30default_config_static_selectorELNS0_4arch9wavefront6targetE1EEEvT1_.kd
    .uniform_work_group_size: 1
    .uses_dynamic_stack: false
    .vgpr_count:     0
    .vgpr_spill_count: 0
    .wavefront_size: 64
  - .agpr_count:     0
    .args:
      - .offset:         0
        .size:           136
        .value_kind:     by_value
    .group_segment_fixed_size: 32768
    .kernarg_segment_align: 8
    .kernarg_segment_size: 136
    .language:       OpenCL C
    .language_version:
      - 2
      - 0
    .max_flat_workgroup_size: 256
    .name:           _ZN7rocprim17ROCPRIM_400000_NS6detail17trampoline_kernelINS0_14default_configENS1_27scan_by_key_config_selectorIxxEEZZNS1_16scan_by_key_implILNS1_25lookback_scan_determinismE0ELb0ES3_N6thrust23THRUST_200600_302600_NS6detail15normal_iteratorINS9_10device_ptrIxEEEESE_SE_xNS9_4plusIvEENS9_8equal_toIvEExEE10hipError_tPvRmT2_T3_T4_T5_mT6_T7_P12ihipStream_tbENKUlT_T0_E_clISt17integral_constantIbLb1EESY_IbLb0EEEEDaSU_SV_EUlSU_E_NS1_11comp_targetILNS1_3genE5ELNS1_11target_archE942ELNS1_3gpuE9ELNS1_3repE0EEENS1_30default_config_static_selectorELNS0_4arch9wavefront6targetE1EEEvT1_
    .private_segment_fixed_size: 0
    .sgpr_count:     72
    .sgpr_spill_count: 0
    .symbol:         _ZN7rocprim17ROCPRIM_400000_NS6detail17trampoline_kernelINS0_14default_configENS1_27scan_by_key_config_selectorIxxEEZZNS1_16scan_by_key_implILNS1_25lookback_scan_determinismE0ELb0ES3_N6thrust23THRUST_200600_302600_NS6detail15normal_iteratorINS9_10device_ptrIxEEEESE_SE_xNS9_4plusIvEENS9_8equal_toIvEExEE10hipError_tPvRmT2_T3_T4_T5_mT6_T7_P12ihipStream_tbENKUlT_T0_E_clISt17integral_constantIbLb1EESY_IbLb0EEEEDaSU_SV_EUlSU_E_NS1_11comp_targetILNS1_3genE5ELNS1_11target_archE942ELNS1_3gpuE9ELNS1_3repE0EEENS1_30default_config_static_selectorELNS0_4arch9wavefront6targetE1EEEvT1_.kd
    .uniform_work_group_size: 1
    .uses_dynamic_stack: false
    .vgpr_count:     92
    .vgpr_spill_count: 0
    .wavefront_size: 64
  - .agpr_count:     0
    .args:
      - .offset:         0
        .size:           136
        .value_kind:     by_value
    .group_segment_fixed_size: 0
    .kernarg_segment_align: 8
    .kernarg_segment_size: 136
    .language:       OpenCL C
    .language_version:
      - 2
      - 0
    .max_flat_workgroup_size: 64
    .name:           _ZN7rocprim17ROCPRIM_400000_NS6detail17trampoline_kernelINS0_14default_configENS1_27scan_by_key_config_selectorIxxEEZZNS1_16scan_by_key_implILNS1_25lookback_scan_determinismE0ELb0ES3_N6thrust23THRUST_200600_302600_NS6detail15normal_iteratorINS9_10device_ptrIxEEEESE_SE_xNS9_4plusIvEENS9_8equal_toIvEExEE10hipError_tPvRmT2_T3_T4_T5_mT6_T7_P12ihipStream_tbENKUlT_T0_E_clISt17integral_constantIbLb1EESY_IbLb0EEEEDaSU_SV_EUlSU_E_NS1_11comp_targetILNS1_3genE4ELNS1_11target_archE910ELNS1_3gpuE8ELNS1_3repE0EEENS1_30default_config_static_selectorELNS0_4arch9wavefront6targetE1EEEvT1_
    .private_segment_fixed_size: 0
    .sgpr_count:     6
    .sgpr_spill_count: 0
    .symbol:         _ZN7rocprim17ROCPRIM_400000_NS6detail17trampoline_kernelINS0_14default_configENS1_27scan_by_key_config_selectorIxxEEZZNS1_16scan_by_key_implILNS1_25lookback_scan_determinismE0ELb0ES3_N6thrust23THRUST_200600_302600_NS6detail15normal_iteratorINS9_10device_ptrIxEEEESE_SE_xNS9_4plusIvEENS9_8equal_toIvEExEE10hipError_tPvRmT2_T3_T4_T5_mT6_T7_P12ihipStream_tbENKUlT_T0_E_clISt17integral_constantIbLb1EESY_IbLb0EEEEDaSU_SV_EUlSU_E_NS1_11comp_targetILNS1_3genE4ELNS1_11target_archE910ELNS1_3gpuE8ELNS1_3repE0EEENS1_30default_config_static_selectorELNS0_4arch9wavefront6targetE1EEEvT1_.kd
    .uniform_work_group_size: 1
    .uses_dynamic_stack: false
    .vgpr_count:     0
    .vgpr_spill_count: 0
    .wavefront_size: 64
  - .agpr_count:     0
    .args:
      - .offset:         0
        .size:           136
        .value_kind:     by_value
    .group_segment_fixed_size: 0
    .kernarg_segment_align: 8
    .kernarg_segment_size: 136
    .language:       OpenCL C
    .language_version:
      - 2
      - 0
    .max_flat_workgroup_size: 256
    .name:           _ZN7rocprim17ROCPRIM_400000_NS6detail17trampoline_kernelINS0_14default_configENS1_27scan_by_key_config_selectorIxxEEZZNS1_16scan_by_key_implILNS1_25lookback_scan_determinismE0ELb0ES3_N6thrust23THRUST_200600_302600_NS6detail15normal_iteratorINS9_10device_ptrIxEEEESE_SE_xNS9_4plusIvEENS9_8equal_toIvEExEE10hipError_tPvRmT2_T3_T4_T5_mT6_T7_P12ihipStream_tbENKUlT_T0_E_clISt17integral_constantIbLb1EESY_IbLb0EEEEDaSU_SV_EUlSU_E_NS1_11comp_targetILNS1_3genE3ELNS1_11target_archE908ELNS1_3gpuE7ELNS1_3repE0EEENS1_30default_config_static_selectorELNS0_4arch9wavefront6targetE1EEEvT1_
    .private_segment_fixed_size: 0
    .sgpr_count:     6
    .sgpr_spill_count: 0
    .symbol:         _ZN7rocprim17ROCPRIM_400000_NS6detail17trampoline_kernelINS0_14default_configENS1_27scan_by_key_config_selectorIxxEEZZNS1_16scan_by_key_implILNS1_25lookback_scan_determinismE0ELb0ES3_N6thrust23THRUST_200600_302600_NS6detail15normal_iteratorINS9_10device_ptrIxEEEESE_SE_xNS9_4plusIvEENS9_8equal_toIvEExEE10hipError_tPvRmT2_T3_T4_T5_mT6_T7_P12ihipStream_tbENKUlT_T0_E_clISt17integral_constantIbLb1EESY_IbLb0EEEEDaSU_SV_EUlSU_E_NS1_11comp_targetILNS1_3genE3ELNS1_11target_archE908ELNS1_3gpuE7ELNS1_3repE0EEENS1_30default_config_static_selectorELNS0_4arch9wavefront6targetE1EEEvT1_.kd
    .uniform_work_group_size: 1
    .uses_dynamic_stack: false
    .vgpr_count:     0
    .vgpr_spill_count: 0
    .wavefront_size: 64
  - .agpr_count:     0
    .args:
      - .offset:         0
        .size:           136
        .value_kind:     by_value
    .group_segment_fixed_size: 0
    .kernarg_segment_align: 8
    .kernarg_segment_size: 136
    .language:       OpenCL C
    .language_version:
      - 2
      - 0
    .max_flat_workgroup_size: 256
    .name:           _ZN7rocprim17ROCPRIM_400000_NS6detail17trampoline_kernelINS0_14default_configENS1_27scan_by_key_config_selectorIxxEEZZNS1_16scan_by_key_implILNS1_25lookback_scan_determinismE0ELb0ES3_N6thrust23THRUST_200600_302600_NS6detail15normal_iteratorINS9_10device_ptrIxEEEESE_SE_xNS9_4plusIvEENS9_8equal_toIvEExEE10hipError_tPvRmT2_T3_T4_T5_mT6_T7_P12ihipStream_tbENKUlT_T0_E_clISt17integral_constantIbLb1EESY_IbLb0EEEEDaSU_SV_EUlSU_E_NS1_11comp_targetILNS1_3genE2ELNS1_11target_archE906ELNS1_3gpuE6ELNS1_3repE0EEENS1_30default_config_static_selectorELNS0_4arch9wavefront6targetE1EEEvT1_
    .private_segment_fixed_size: 0
    .sgpr_count:     6
    .sgpr_spill_count: 0
    .symbol:         _ZN7rocprim17ROCPRIM_400000_NS6detail17trampoline_kernelINS0_14default_configENS1_27scan_by_key_config_selectorIxxEEZZNS1_16scan_by_key_implILNS1_25lookback_scan_determinismE0ELb0ES3_N6thrust23THRUST_200600_302600_NS6detail15normal_iteratorINS9_10device_ptrIxEEEESE_SE_xNS9_4plusIvEENS9_8equal_toIvEExEE10hipError_tPvRmT2_T3_T4_T5_mT6_T7_P12ihipStream_tbENKUlT_T0_E_clISt17integral_constantIbLb1EESY_IbLb0EEEEDaSU_SV_EUlSU_E_NS1_11comp_targetILNS1_3genE2ELNS1_11target_archE906ELNS1_3gpuE6ELNS1_3repE0EEENS1_30default_config_static_selectorELNS0_4arch9wavefront6targetE1EEEvT1_.kd
    .uniform_work_group_size: 1
    .uses_dynamic_stack: false
    .vgpr_count:     0
    .vgpr_spill_count: 0
    .wavefront_size: 64
  - .agpr_count:     0
    .args:
      - .offset:         0
        .size:           136
        .value_kind:     by_value
    .group_segment_fixed_size: 0
    .kernarg_segment_align: 8
    .kernarg_segment_size: 136
    .language:       OpenCL C
    .language_version:
      - 2
      - 0
    .max_flat_workgroup_size: 256
    .name:           _ZN7rocprim17ROCPRIM_400000_NS6detail17trampoline_kernelINS0_14default_configENS1_27scan_by_key_config_selectorIxxEEZZNS1_16scan_by_key_implILNS1_25lookback_scan_determinismE0ELb0ES3_N6thrust23THRUST_200600_302600_NS6detail15normal_iteratorINS9_10device_ptrIxEEEESE_SE_xNS9_4plusIvEENS9_8equal_toIvEExEE10hipError_tPvRmT2_T3_T4_T5_mT6_T7_P12ihipStream_tbENKUlT_T0_E_clISt17integral_constantIbLb1EESY_IbLb0EEEEDaSU_SV_EUlSU_E_NS1_11comp_targetILNS1_3genE10ELNS1_11target_archE1200ELNS1_3gpuE4ELNS1_3repE0EEENS1_30default_config_static_selectorELNS0_4arch9wavefront6targetE1EEEvT1_
    .private_segment_fixed_size: 0
    .sgpr_count:     6
    .sgpr_spill_count: 0
    .symbol:         _ZN7rocprim17ROCPRIM_400000_NS6detail17trampoline_kernelINS0_14default_configENS1_27scan_by_key_config_selectorIxxEEZZNS1_16scan_by_key_implILNS1_25lookback_scan_determinismE0ELb0ES3_N6thrust23THRUST_200600_302600_NS6detail15normal_iteratorINS9_10device_ptrIxEEEESE_SE_xNS9_4plusIvEENS9_8equal_toIvEExEE10hipError_tPvRmT2_T3_T4_T5_mT6_T7_P12ihipStream_tbENKUlT_T0_E_clISt17integral_constantIbLb1EESY_IbLb0EEEEDaSU_SV_EUlSU_E_NS1_11comp_targetILNS1_3genE10ELNS1_11target_archE1200ELNS1_3gpuE4ELNS1_3repE0EEENS1_30default_config_static_selectorELNS0_4arch9wavefront6targetE1EEEvT1_.kd
    .uniform_work_group_size: 1
    .uses_dynamic_stack: false
    .vgpr_count:     0
    .vgpr_spill_count: 0
    .wavefront_size: 64
  - .agpr_count:     0
    .args:
      - .offset:         0
        .size:           136
        .value_kind:     by_value
    .group_segment_fixed_size: 0
    .kernarg_segment_align: 8
    .kernarg_segment_size: 136
    .language:       OpenCL C
    .language_version:
      - 2
      - 0
    .max_flat_workgroup_size: 256
    .name:           _ZN7rocprim17ROCPRIM_400000_NS6detail17trampoline_kernelINS0_14default_configENS1_27scan_by_key_config_selectorIxxEEZZNS1_16scan_by_key_implILNS1_25lookback_scan_determinismE0ELb0ES3_N6thrust23THRUST_200600_302600_NS6detail15normal_iteratorINS9_10device_ptrIxEEEESE_SE_xNS9_4plusIvEENS9_8equal_toIvEExEE10hipError_tPvRmT2_T3_T4_T5_mT6_T7_P12ihipStream_tbENKUlT_T0_E_clISt17integral_constantIbLb1EESY_IbLb0EEEEDaSU_SV_EUlSU_E_NS1_11comp_targetILNS1_3genE9ELNS1_11target_archE1100ELNS1_3gpuE3ELNS1_3repE0EEENS1_30default_config_static_selectorELNS0_4arch9wavefront6targetE1EEEvT1_
    .private_segment_fixed_size: 0
    .sgpr_count:     6
    .sgpr_spill_count: 0
    .symbol:         _ZN7rocprim17ROCPRIM_400000_NS6detail17trampoline_kernelINS0_14default_configENS1_27scan_by_key_config_selectorIxxEEZZNS1_16scan_by_key_implILNS1_25lookback_scan_determinismE0ELb0ES3_N6thrust23THRUST_200600_302600_NS6detail15normal_iteratorINS9_10device_ptrIxEEEESE_SE_xNS9_4plusIvEENS9_8equal_toIvEExEE10hipError_tPvRmT2_T3_T4_T5_mT6_T7_P12ihipStream_tbENKUlT_T0_E_clISt17integral_constantIbLb1EESY_IbLb0EEEEDaSU_SV_EUlSU_E_NS1_11comp_targetILNS1_3genE9ELNS1_11target_archE1100ELNS1_3gpuE3ELNS1_3repE0EEENS1_30default_config_static_selectorELNS0_4arch9wavefront6targetE1EEEvT1_.kd
    .uniform_work_group_size: 1
    .uses_dynamic_stack: false
    .vgpr_count:     0
    .vgpr_spill_count: 0
    .wavefront_size: 64
  - .agpr_count:     0
    .args:
      - .offset:         0
        .size:           136
        .value_kind:     by_value
    .group_segment_fixed_size: 0
    .kernarg_segment_align: 8
    .kernarg_segment_size: 136
    .language:       OpenCL C
    .language_version:
      - 2
      - 0
    .max_flat_workgroup_size: 256
    .name:           _ZN7rocprim17ROCPRIM_400000_NS6detail17trampoline_kernelINS0_14default_configENS1_27scan_by_key_config_selectorIxxEEZZNS1_16scan_by_key_implILNS1_25lookback_scan_determinismE0ELb0ES3_N6thrust23THRUST_200600_302600_NS6detail15normal_iteratorINS9_10device_ptrIxEEEESE_SE_xNS9_4plusIvEENS9_8equal_toIvEExEE10hipError_tPvRmT2_T3_T4_T5_mT6_T7_P12ihipStream_tbENKUlT_T0_E_clISt17integral_constantIbLb1EESY_IbLb0EEEEDaSU_SV_EUlSU_E_NS1_11comp_targetILNS1_3genE8ELNS1_11target_archE1030ELNS1_3gpuE2ELNS1_3repE0EEENS1_30default_config_static_selectorELNS0_4arch9wavefront6targetE1EEEvT1_
    .private_segment_fixed_size: 0
    .sgpr_count:     6
    .sgpr_spill_count: 0
    .symbol:         _ZN7rocprim17ROCPRIM_400000_NS6detail17trampoline_kernelINS0_14default_configENS1_27scan_by_key_config_selectorIxxEEZZNS1_16scan_by_key_implILNS1_25lookback_scan_determinismE0ELb0ES3_N6thrust23THRUST_200600_302600_NS6detail15normal_iteratorINS9_10device_ptrIxEEEESE_SE_xNS9_4plusIvEENS9_8equal_toIvEExEE10hipError_tPvRmT2_T3_T4_T5_mT6_T7_P12ihipStream_tbENKUlT_T0_E_clISt17integral_constantIbLb1EESY_IbLb0EEEEDaSU_SV_EUlSU_E_NS1_11comp_targetILNS1_3genE8ELNS1_11target_archE1030ELNS1_3gpuE2ELNS1_3repE0EEENS1_30default_config_static_selectorELNS0_4arch9wavefront6targetE1EEEvT1_.kd
    .uniform_work_group_size: 1
    .uses_dynamic_stack: false
    .vgpr_count:     0
    .vgpr_spill_count: 0
    .wavefront_size: 64
  - .agpr_count:     0
    .args:
      - .offset:         0
        .size:           24
        .value_kind:     by_value
      - .offset:         24
        .size:           4
        .value_kind:     by_value
      - .offset:         28
        .size:           4
        .value_kind:     by_value
      - .address_space:  global
        .offset:         32
        .size:           8
        .value_kind:     global_buffer
      - .address_space:  global
        .offset:         40
        .size:           8
        .value_kind:     global_buffer
      - .actual_access:  write_only
        .address_space:  global
        .offset:         48
        .size:           8
        .value_kind:     global_buffer
      - .offset:         56
        .size:           8
        .value_kind:     by_value
      - .offset:         64
        .size:           4
        .value_kind:     by_value
      - .address_space:  global
        .offset:         72
        .size:           8
        .value_kind:     global_buffer
      - .offset:         80
        .size:           4
        .value_kind:     hidden_block_count_x
      - .offset:         84
        .size:           4
        .value_kind:     hidden_block_count_y
      - .offset:         88
        .size:           4
        .value_kind:     hidden_block_count_z
      - .offset:         92
        .size:           2
        .value_kind:     hidden_group_size_x
      - .offset:         94
        .size:           2
        .value_kind:     hidden_group_size_y
      - .offset:         96
        .size:           2
        .value_kind:     hidden_group_size_z
      - .offset:         98
        .size:           2
        .value_kind:     hidden_remainder_x
      - .offset:         100
        .size:           2
        .value_kind:     hidden_remainder_y
      - .offset:         102
        .size:           2
        .value_kind:     hidden_remainder_z
      - .offset:         120
        .size:           8
        .value_kind:     hidden_global_offset_x
      - .offset:         128
        .size:           8
        .value_kind:     hidden_global_offset_y
      - .offset:         136
        .size:           8
        .value_kind:     hidden_global_offset_z
      - .offset:         144
        .size:           2
        .value_kind:     hidden_grid_dims
    .group_segment_fixed_size: 0
    .kernarg_segment_align: 8
    .kernarg_segment_size: 336
    .language:       OpenCL C
    .language_version:
      - 2
      - 0
    .max_flat_workgroup_size: 256
    .name:           _ZN7rocprim17ROCPRIM_400000_NS6detail30init_device_scan_by_key_kernelINS1_19lookback_scan_stateINS0_5tupleIJxbEEELb0ELb0EEEN6thrust23THRUST_200600_302600_NS6detail15normal_iteratorINS8_10device_ptrIxEEEEjNS1_16block_id_wrapperIjLb1EEEEEvT_jjPNSG_10value_typeET0_PNSt15iterator_traitsISJ_E10value_typeEmT1_T2_
    .private_segment_fixed_size: 0
    .sgpr_count:     28
    .sgpr_spill_count: 0
    .symbol:         _ZN7rocprim17ROCPRIM_400000_NS6detail30init_device_scan_by_key_kernelINS1_19lookback_scan_stateINS0_5tupleIJxbEEELb0ELb0EEEN6thrust23THRUST_200600_302600_NS6detail15normal_iteratorINS8_10device_ptrIxEEEEjNS1_16block_id_wrapperIjLb1EEEEEvT_jjPNSG_10value_typeET0_PNSt15iterator_traitsISJ_E10value_typeEmT1_T2_.kd
    .uniform_work_group_size: 1
    .uses_dynamic_stack: false
    .vgpr_count:     8
    .vgpr_spill_count: 0
    .wavefront_size: 64
  - .agpr_count:     0
    .args:
      - .offset:         0
        .size:           24
        .value_kind:     by_value
      - .offset:         24
        .size:           4
        .value_kind:     by_value
      - .offset:         28
        .size:           4
        .value_kind:     by_value
      - .address_space:  global
        .offset:         32
        .size:           8
        .value_kind:     global_buffer
      - .address_space:  global
        .offset:         40
        .size:           8
        .value_kind:     global_buffer
      - .offset:         48
        .size:           4
        .value_kind:     hidden_block_count_x
      - .offset:         52
        .size:           4
        .value_kind:     hidden_block_count_y
      - .offset:         56
        .size:           4
        .value_kind:     hidden_block_count_z
      - .offset:         60
        .size:           2
        .value_kind:     hidden_group_size_x
      - .offset:         62
        .size:           2
        .value_kind:     hidden_group_size_y
      - .offset:         64
        .size:           2
        .value_kind:     hidden_group_size_z
      - .offset:         66
        .size:           2
        .value_kind:     hidden_remainder_x
      - .offset:         68
        .size:           2
        .value_kind:     hidden_remainder_y
      - .offset:         70
        .size:           2
        .value_kind:     hidden_remainder_z
      - .offset:         88
        .size:           8
        .value_kind:     hidden_global_offset_x
      - .offset:         96
        .size:           8
        .value_kind:     hidden_global_offset_y
      - .offset:         104
        .size:           8
        .value_kind:     hidden_global_offset_z
      - .offset:         112
        .size:           2
        .value_kind:     hidden_grid_dims
    .group_segment_fixed_size: 0
    .kernarg_segment_align: 8
    .kernarg_segment_size: 304
    .language:       OpenCL C
    .language_version:
      - 2
      - 0
    .max_flat_workgroup_size: 256
    .name:           _ZN7rocprim17ROCPRIM_400000_NS6detail30init_device_scan_by_key_kernelINS1_19lookback_scan_stateINS0_5tupleIJxbEEELb0ELb0EEENS1_16block_id_wrapperIjLb1EEEEEvT_jjPNS9_10value_typeET0_
    .private_segment_fixed_size: 0
    .sgpr_count:     24
    .sgpr_spill_count: 0
    .symbol:         _ZN7rocprim17ROCPRIM_400000_NS6detail30init_device_scan_by_key_kernelINS1_19lookback_scan_stateINS0_5tupleIJxbEEELb0ELb0EEENS1_16block_id_wrapperIjLb1EEEEEvT_jjPNS9_10value_typeET0_.kd
    .uniform_work_group_size: 1
    .uses_dynamic_stack: false
    .vgpr_count:     6
    .vgpr_spill_count: 0
    .wavefront_size: 64
  - .agpr_count:     0
    .args:
      - .offset:         0
        .size:           136
        .value_kind:     by_value
    .group_segment_fixed_size: 0
    .kernarg_segment_align: 8
    .kernarg_segment_size: 136
    .language:       OpenCL C
    .language_version:
      - 2
      - 0
    .max_flat_workgroup_size: 256
    .name:           _ZN7rocprim17ROCPRIM_400000_NS6detail17trampoline_kernelINS0_14default_configENS1_27scan_by_key_config_selectorIxxEEZZNS1_16scan_by_key_implILNS1_25lookback_scan_determinismE0ELb0ES3_N6thrust23THRUST_200600_302600_NS6detail15normal_iteratorINS9_10device_ptrIxEEEESE_SE_xNS9_4plusIvEENS9_8equal_toIvEExEE10hipError_tPvRmT2_T3_T4_T5_mT6_T7_P12ihipStream_tbENKUlT_T0_E_clISt17integral_constantIbLb0EESY_IbLb1EEEEDaSU_SV_EUlSU_E_NS1_11comp_targetILNS1_3genE0ELNS1_11target_archE4294967295ELNS1_3gpuE0ELNS1_3repE0EEENS1_30default_config_static_selectorELNS0_4arch9wavefront6targetE1EEEvT1_
    .private_segment_fixed_size: 0
    .sgpr_count:     6
    .sgpr_spill_count: 0
    .symbol:         _ZN7rocprim17ROCPRIM_400000_NS6detail17trampoline_kernelINS0_14default_configENS1_27scan_by_key_config_selectorIxxEEZZNS1_16scan_by_key_implILNS1_25lookback_scan_determinismE0ELb0ES3_N6thrust23THRUST_200600_302600_NS6detail15normal_iteratorINS9_10device_ptrIxEEEESE_SE_xNS9_4plusIvEENS9_8equal_toIvEExEE10hipError_tPvRmT2_T3_T4_T5_mT6_T7_P12ihipStream_tbENKUlT_T0_E_clISt17integral_constantIbLb0EESY_IbLb1EEEEDaSU_SV_EUlSU_E_NS1_11comp_targetILNS1_3genE0ELNS1_11target_archE4294967295ELNS1_3gpuE0ELNS1_3repE0EEENS1_30default_config_static_selectorELNS0_4arch9wavefront6targetE1EEEvT1_.kd
    .uniform_work_group_size: 1
    .uses_dynamic_stack: false
    .vgpr_count:     0
    .vgpr_spill_count: 0
    .wavefront_size: 64
  - .agpr_count:     0
    .args:
      - .offset:         0
        .size:           136
        .value_kind:     by_value
    .group_segment_fixed_size: 0
    .kernarg_segment_align: 8
    .kernarg_segment_size: 136
    .language:       OpenCL C
    .language_version:
      - 2
      - 0
    .max_flat_workgroup_size: 256
    .name:           _ZN7rocprim17ROCPRIM_400000_NS6detail17trampoline_kernelINS0_14default_configENS1_27scan_by_key_config_selectorIxxEEZZNS1_16scan_by_key_implILNS1_25lookback_scan_determinismE0ELb0ES3_N6thrust23THRUST_200600_302600_NS6detail15normal_iteratorINS9_10device_ptrIxEEEESE_SE_xNS9_4plusIvEENS9_8equal_toIvEExEE10hipError_tPvRmT2_T3_T4_T5_mT6_T7_P12ihipStream_tbENKUlT_T0_E_clISt17integral_constantIbLb0EESY_IbLb1EEEEDaSU_SV_EUlSU_E_NS1_11comp_targetILNS1_3genE10ELNS1_11target_archE1201ELNS1_3gpuE5ELNS1_3repE0EEENS1_30default_config_static_selectorELNS0_4arch9wavefront6targetE1EEEvT1_
    .private_segment_fixed_size: 0
    .sgpr_count:     6
    .sgpr_spill_count: 0
    .symbol:         _ZN7rocprim17ROCPRIM_400000_NS6detail17trampoline_kernelINS0_14default_configENS1_27scan_by_key_config_selectorIxxEEZZNS1_16scan_by_key_implILNS1_25lookback_scan_determinismE0ELb0ES3_N6thrust23THRUST_200600_302600_NS6detail15normal_iteratorINS9_10device_ptrIxEEEESE_SE_xNS9_4plusIvEENS9_8equal_toIvEExEE10hipError_tPvRmT2_T3_T4_T5_mT6_T7_P12ihipStream_tbENKUlT_T0_E_clISt17integral_constantIbLb0EESY_IbLb1EEEEDaSU_SV_EUlSU_E_NS1_11comp_targetILNS1_3genE10ELNS1_11target_archE1201ELNS1_3gpuE5ELNS1_3repE0EEENS1_30default_config_static_selectorELNS0_4arch9wavefront6targetE1EEEvT1_.kd
    .uniform_work_group_size: 1
    .uses_dynamic_stack: false
    .vgpr_count:     0
    .vgpr_spill_count: 0
    .wavefront_size: 64
  - .agpr_count:     0
    .args:
      - .offset:         0
        .size:           136
        .value_kind:     by_value
    .group_segment_fixed_size: 32768
    .kernarg_segment_align: 8
    .kernarg_segment_size: 136
    .language:       OpenCL C
    .language_version:
      - 2
      - 0
    .max_flat_workgroup_size: 256
    .name:           _ZN7rocprim17ROCPRIM_400000_NS6detail17trampoline_kernelINS0_14default_configENS1_27scan_by_key_config_selectorIxxEEZZNS1_16scan_by_key_implILNS1_25lookback_scan_determinismE0ELb0ES3_N6thrust23THRUST_200600_302600_NS6detail15normal_iteratorINS9_10device_ptrIxEEEESE_SE_xNS9_4plusIvEENS9_8equal_toIvEExEE10hipError_tPvRmT2_T3_T4_T5_mT6_T7_P12ihipStream_tbENKUlT_T0_E_clISt17integral_constantIbLb0EESY_IbLb1EEEEDaSU_SV_EUlSU_E_NS1_11comp_targetILNS1_3genE5ELNS1_11target_archE942ELNS1_3gpuE9ELNS1_3repE0EEENS1_30default_config_static_selectorELNS0_4arch9wavefront6targetE1EEEvT1_
    .private_segment_fixed_size: 0
    .sgpr_count:     76
    .sgpr_spill_count: 0
    .symbol:         _ZN7rocprim17ROCPRIM_400000_NS6detail17trampoline_kernelINS0_14default_configENS1_27scan_by_key_config_selectorIxxEEZZNS1_16scan_by_key_implILNS1_25lookback_scan_determinismE0ELb0ES3_N6thrust23THRUST_200600_302600_NS6detail15normal_iteratorINS9_10device_ptrIxEEEESE_SE_xNS9_4plusIvEENS9_8equal_toIvEExEE10hipError_tPvRmT2_T3_T4_T5_mT6_T7_P12ihipStream_tbENKUlT_T0_E_clISt17integral_constantIbLb0EESY_IbLb1EEEEDaSU_SV_EUlSU_E_NS1_11comp_targetILNS1_3genE5ELNS1_11target_archE942ELNS1_3gpuE9ELNS1_3repE0EEENS1_30default_config_static_selectorELNS0_4arch9wavefront6targetE1EEEvT1_.kd
    .uniform_work_group_size: 1
    .uses_dynamic_stack: false
    .vgpr_count:     92
    .vgpr_spill_count: 0
    .wavefront_size: 64
  - .agpr_count:     0
    .args:
      - .offset:         0
        .size:           136
        .value_kind:     by_value
    .group_segment_fixed_size: 0
    .kernarg_segment_align: 8
    .kernarg_segment_size: 136
    .language:       OpenCL C
    .language_version:
      - 2
      - 0
    .max_flat_workgroup_size: 64
    .name:           _ZN7rocprim17ROCPRIM_400000_NS6detail17trampoline_kernelINS0_14default_configENS1_27scan_by_key_config_selectorIxxEEZZNS1_16scan_by_key_implILNS1_25lookback_scan_determinismE0ELb0ES3_N6thrust23THRUST_200600_302600_NS6detail15normal_iteratorINS9_10device_ptrIxEEEESE_SE_xNS9_4plusIvEENS9_8equal_toIvEExEE10hipError_tPvRmT2_T3_T4_T5_mT6_T7_P12ihipStream_tbENKUlT_T0_E_clISt17integral_constantIbLb0EESY_IbLb1EEEEDaSU_SV_EUlSU_E_NS1_11comp_targetILNS1_3genE4ELNS1_11target_archE910ELNS1_3gpuE8ELNS1_3repE0EEENS1_30default_config_static_selectorELNS0_4arch9wavefront6targetE1EEEvT1_
    .private_segment_fixed_size: 0
    .sgpr_count:     6
    .sgpr_spill_count: 0
    .symbol:         _ZN7rocprim17ROCPRIM_400000_NS6detail17trampoline_kernelINS0_14default_configENS1_27scan_by_key_config_selectorIxxEEZZNS1_16scan_by_key_implILNS1_25lookback_scan_determinismE0ELb0ES3_N6thrust23THRUST_200600_302600_NS6detail15normal_iteratorINS9_10device_ptrIxEEEESE_SE_xNS9_4plusIvEENS9_8equal_toIvEExEE10hipError_tPvRmT2_T3_T4_T5_mT6_T7_P12ihipStream_tbENKUlT_T0_E_clISt17integral_constantIbLb0EESY_IbLb1EEEEDaSU_SV_EUlSU_E_NS1_11comp_targetILNS1_3genE4ELNS1_11target_archE910ELNS1_3gpuE8ELNS1_3repE0EEENS1_30default_config_static_selectorELNS0_4arch9wavefront6targetE1EEEvT1_.kd
    .uniform_work_group_size: 1
    .uses_dynamic_stack: false
    .vgpr_count:     0
    .vgpr_spill_count: 0
    .wavefront_size: 64
  - .agpr_count:     0
    .args:
      - .offset:         0
        .size:           136
        .value_kind:     by_value
    .group_segment_fixed_size: 0
    .kernarg_segment_align: 8
    .kernarg_segment_size: 136
    .language:       OpenCL C
    .language_version:
      - 2
      - 0
    .max_flat_workgroup_size: 256
    .name:           _ZN7rocprim17ROCPRIM_400000_NS6detail17trampoline_kernelINS0_14default_configENS1_27scan_by_key_config_selectorIxxEEZZNS1_16scan_by_key_implILNS1_25lookback_scan_determinismE0ELb0ES3_N6thrust23THRUST_200600_302600_NS6detail15normal_iteratorINS9_10device_ptrIxEEEESE_SE_xNS9_4plusIvEENS9_8equal_toIvEExEE10hipError_tPvRmT2_T3_T4_T5_mT6_T7_P12ihipStream_tbENKUlT_T0_E_clISt17integral_constantIbLb0EESY_IbLb1EEEEDaSU_SV_EUlSU_E_NS1_11comp_targetILNS1_3genE3ELNS1_11target_archE908ELNS1_3gpuE7ELNS1_3repE0EEENS1_30default_config_static_selectorELNS0_4arch9wavefront6targetE1EEEvT1_
    .private_segment_fixed_size: 0
    .sgpr_count:     6
    .sgpr_spill_count: 0
    .symbol:         _ZN7rocprim17ROCPRIM_400000_NS6detail17trampoline_kernelINS0_14default_configENS1_27scan_by_key_config_selectorIxxEEZZNS1_16scan_by_key_implILNS1_25lookback_scan_determinismE0ELb0ES3_N6thrust23THRUST_200600_302600_NS6detail15normal_iteratorINS9_10device_ptrIxEEEESE_SE_xNS9_4plusIvEENS9_8equal_toIvEExEE10hipError_tPvRmT2_T3_T4_T5_mT6_T7_P12ihipStream_tbENKUlT_T0_E_clISt17integral_constantIbLb0EESY_IbLb1EEEEDaSU_SV_EUlSU_E_NS1_11comp_targetILNS1_3genE3ELNS1_11target_archE908ELNS1_3gpuE7ELNS1_3repE0EEENS1_30default_config_static_selectorELNS0_4arch9wavefront6targetE1EEEvT1_.kd
    .uniform_work_group_size: 1
    .uses_dynamic_stack: false
    .vgpr_count:     0
    .vgpr_spill_count: 0
    .wavefront_size: 64
  - .agpr_count:     0
    .args:
      - .offset:         0
        .size:           136
        .value_kind:     by_value
    .group_segment_fixed_size: 0
    .kernarg_segment_align: 8
    .kernarg_segment_size: 136
    .language:       OpenCL C
    .language_version:
      - 2
      - 0
    .max_flat_workgroup_size: 256
    .name:           _ZN7rocprim17ROCPRIM_400000_NS6detail17trampoline_kernelINS0_14default_configENS1_27scan_by_key_config_selectorIxxEEZZNS1_16scan_by_key_implILNS1_25lookback_scan_determinismE0ELb0ES3_N6thrust23THRUST_200600_302600_NS6detail15normal_iteratorINS9_10device_ptrIxEEEESE_SE_xNS9_4plusIvEENS9_8equal_toIvEExEE10hipError_tPvRmT2_T3_T4_T5_mT6_T7_P12ihipStream_tbENKUlT_T0_E_clISt17integral_constantIbLb0EESY_IbLb1EEEEDaSU_SV_EUlSU_E_NS1_11comp_targetILNS1_3genE2ELNS1_11target_archE906ELNS1_3gpuE6ELNS1_3repE0EEENS1_30default_config_static_selectorELNS0_4arch9wavefront6targetE1EEEvT1_
    .private_segment_fixed_size: 0
    .sgpr_count:     6
    .sgpr_spill_count: 0
    .symbol:         _ZN7rocprim17ROCPRIM_400000_NS6detail17trampoline_kernelINS0_14default_configENS1_27scan_by_key_config_selectorIxxEEZZNS1_16scan_by_key_implILNS1_25lookback_scan_determinismE0ELb0ES3_N6thrust23THRUST_200600_302600_NS6detail15normal_iteratorINS9_10device_ptrIxEEEESE_SE_xNS9_4plusIvEENS9_8equal_toIvEExEE10hipError_tPvRmT2_T3_T4_T5_mT6_T7_P12ihipStream_tbENKUlT_T0_E_clISt17integral_constantIbLb0EESY_IbLb1EEEEDaSU_SV_EUlSU_E_NS1_11comp_targetILNS1_3genE2ELNS1_11target_archE906ELNS1_3gpuE6ELNS1_3repE0EEENS1_30default_config_static_selectorELNS0_4arch9wavefront6targetE1EEEvT1_.kd
    .uniform_work_group_size: 1
    .uses_dynamic_stack: false
    .vgpr_count:     0
    .vgpr_spill_count: 0
    .wavefront_size: 64
  - .agpr_count:     0
    .args:
      - .offset:         0
        .size:           136
        .value_kind:     by_value
    .group_segment_fixed_size: 0
    .kernarg_segment_align: 8
    .kernarg_segment_size: 136
    .language:       OpenCL C
    .language_version:
      - 2
      - 0
    .max_flat_workgroup_size: 256
    .name:           _ZN7rocprim17ROCPRIM_400000_NS6detail17trampoline_kernelINS0_14default_configENS1_27scan_by_key_config_selectorIxxEEZZNS1_16scan_by_key_implILNS1_25lookback_scan_determinismE0ELb0ES3_N6thrust23THRUST_200600_302600_NS6detail15normal_iteratorINS9_10device_ptrIxEEEESE_SE_xNS9_4plusIvEENS9_8equal_toIvEExEE10hipError_tPvRmT2_T3_T4_T5_mT6_T7_P12ihipStream_tbENKUlT_T0_E_clISt17integral_constantIbLb0EESY_IbLb1EEEEDaSU_SV_EUlSU_E_NS1_11comp_targetILNS1_3genE10ELNS1_11target_archE1200ELNS1_3gpuE4ELNS1_3repE0EEENS1_30default_config_static_selectorELNS0_4arch9wavefront6targetE1EEEvT1_
    .private_segment_fixed_size: 0
    .sgpr_count:     6
    .sgpr_spill_count: 0
    .symbol:         _ZN7rocprim17ROCPRIM_400000_NS6detail17trampoline_kernelINS0_14default_configENS1_27scan_by_key_config_selectorIxxEEZZNS1_16scan_by_key_implILNS1_25lookback_scan_determinismE0ELb0ES3_N6thrust23THRUST_200600_302600_NS6detail15normal_iteratorINS9_10device_ptrIxEEEESE_SE_xNS9_4plusIvEENS9_8equal_toIvEExEE10hipError_tPvRmT2_T3_T4_T5_mT6_T7_P12ihipStream_tbENKUlT_T0_E_clISt17integral_constantIbLb0EESY_IbLb1EEEEDaSU_SV_EUlSU_E_NS1_11comp_targetILNS1_3genE10ELNS1_11target_archE1200ELNS1_3gpuE4ELNS1_3repE0EEENS1_30default_config_static_selectorELNS0_4arch9wavefront6targetE1EEEvT1_.kd
    .uniform_work_group_size: 1
    .uses_dynamic_stack: false
    .vgpr_count:     0
    .vgpr_spill_count: 0
    .wavefront_size: 64
  - .agpr_count:     0
    .args:
      - .offset:         0
        .size:           136
        .value_kind:     by_value
    .group_segment_fixed_size: 0
    .kernarg_segment_align: 8
    .kernarg_segment_size: 136
    .language:       OpenCL C
    .language_version:
      - 2
      - 0
    .max_flat_workgroup_size: 256
    .name:           _ZN7rocprim17ROCPRIM_400000_NS6detail17trampoline_kernelINS0_14default_configENS1_27scan_by_key_config_selectorIxxEEZZNS1_16scan_by_key_implILNS1_25lookback_scan_determinismE0ELb0ES3_N6thrust23THRUST_200600_302600_NS6detail15normal_iteratorINS9_10device_ptrIxEEEESE_SE_xNS9_4plusIvEENS9_8equal_toIvEExEE10hipError_tPvRmT2_T3_T4_T5_mT6_T7_P12ihipStream_tbENKUlT_T0_E_clISt17integral_constantIbLb0EESY_IbLb1EEEEDaSU_SV_EUlSU_E_NS1_11comp_targetILNS1_3genE9ELNS1_11target_archE1100ELNS1_3gpuE3ELNS1_3repE0EEENS1_30default_config_static_selectorELNS0_4arch9wavefront6targetE1EEEvT1_
    .private_segment_fixed_size: 0
    .sgpr_count:     6
    .sgpr_spill_count: 0
    .symbol:         _ZN7rocprim17ROCPRIM_400000_NS6detail17trampoline_kernelINS0_14default_configENS1_27scan_by_key_config_selectorIxxEEZZNS1_16scan_by_key_implILNS1_25lookback_scan_determinismE0ELb0ES3_N6thrust23THRUST_200600_302600_NS6detail15normal_iteratorINS9_10device_ptrIxEEEESE_SE_xNS9_4plusIvEENS9_8equal_toIvEExEE10hipError_tPvRmT2_T3_T4_T5_mT6_T7_P12ihipStream_tbENKUlT_T0_E_clISt17integral_constantIbLb0EESY_IbLb1EEEEDaSU_SV_EUlSU_E_NS1_11comp_targetILNS1_3genE9ELNS1_11target_archE1100ELNS1_3gpuE3ELNS1_3repE0EEENS1_30default_config_static_selectorELNS0_4arch9wavefront6targetE1EEEvT1_.kd
    .uniform_work_group_size: 1
    .uses_dynamic_stack: false
    .vgpr_count:     0
    .vgpr_spill_count: 0
    .wavefront_size: 64
  - .agpr_count:     0
    .args:
      - .offset:         0
        .size:           136
        .value_kind:     by_value
    .group_segment_fixed_size: 0
    .kernarg_segment_align: 8
    .kernarg_segment_size: 136
    .language:       OpenCL C
    .language_version:
      - 2
      - 0
    .max_flat_workgroup_size: 256
    .name:           _ZN7rocprim17ROCPRIM_400000_NS6detail17trampoline_kernelINS0_14default_configENS1_27scan_by_key_config_selectorIxxEEZZNS1_16scan_by_key_implILNS1_25lookback_scan_determinismE0ELb0ES3_N6thrust23THRUST_200600_302600_NS6detail15normal_iteratorINS9_10device_ptrIxEEEESE_SE_xNS9_4plusIvEENS9_8equal_toIvEExEE10hipError_tPvRmT2_T3_T4_T5_mT6_T7_P12ihipStream_tbENKUlT_T0_E_clISt17integral_constantIbLb0EESY_IbLb1EEEEDaSU_SV_EUlSU_E_NS1_11comp_targetILNS1_3genE8ELNS1_11target_archE1030ELNS1_3gpuE2ELNS1_3repE0EEENS1_30default_config_static_selectorELNS0_4arch9wavefront6targetE1EEEvT1_
    .private_segment_fixed_size: 0
    .sgpr_count:     6
    .sgpr_spill_count: 0
    .symbol:         _ZN7rocprim17ROCPRIM_400000_NS6detail17trampoline_kernelINS0_14default_configENS1_27scan_by_key_config_selectorIxxEEZZNS1_16scan_by_key_implILNS1_25lookback_scan_determinismE0ELb0ES3_N6thrust23THRUST_200600_302600_NS6detail15normal_iteratorINS9_10device_ptrIxEEEESE_SE_xNS9_4plusIvEENS9_8equal_toIvEExEE10hipError_tPvRmT2_T3_T4_T5_mT6_T7_P12ihipStream_tbENKUlT_T0_E_clISt17integral_constantIbLb0EESY_IbLb1EEEEDaSU_SV_EUlSU_E_NS1_11comp_targetILNS1_3genE8ELNS1_11target_archE1030ELNS1_3gpuE2ELNS1_3repE0EEENS1_30default_config_static_selectorELNS0_4arch9wavefront6targetE1EEEvT1_.kd
    .uniform_work_group_size: 1
    .uses_dynamic_stack: false
    .vgpr_count:     0
    .vgpr_spill_count: 0
    .wavefront_size: 64
  - .agpr_count:     0
    .args:
      - .offset:         0
        .size:           136
        .value_kind:     by_value
    .group_segment_fixed_size: 0
    .kernarg_segment_align: 8
    .kernarg_segment_size: 136
    .language:       OpenCL C
    .language_version:
      - 2
      - 0
    .max_flat_workgroup_size: 256
    .name:           _ZN7rocprim17ROCPRIM_400000_NS6detail17trampoline_kernelINS0_14default_configENS1_27scan_by_key_config_selectorIxxEEZZNS1_16scan_by_key_implILNS1_25lookback_scan_determinismE0ELb0ES3_N6thrust23THRUST_200600_302600_NS6detail15normal_iteratorINS9_10device_ptrIxEEEESE_SE_xNS9_10multipliesIxEENS9_8equal_toIxEExEE10hipError_tPvRmT2_T3_T4_T5_mT6_T7_P12ihipStream_tbENKUlT_T0_E_clISt17integral_constantIbLb0EESZ_EEDaSU_SV_EUlSU_E_NS1_11comp_targetILNS1_3genE0ELNS1_11target_archE4294967295ELNS1_3gpuE0ELNS1_3repE0EEENS1_30default_config_static_selectorELNS0_4arch9wavefront6targetE1EEEvT1_
    .private_segment_fixed_size: 0
    .sgpr_count:     6
    .sgpr_spill_count: 0
    .symbol:         _ZN7rocprim17ROCPRIM_400000_NS6detail17trampoline_kernelINS0_14default_configENS1_27scan_by_key_config_selectorIxxEEZZNS1_16scan_by_key_implILNS1_25lookback_scan_determinismE0ELb0ES3_N6thrust23THRUST_200600_302600_NS6detail15normal_iteratorINS9_10device_ptrIxEEEESE_SE_xNS9_10multipliesIxEENS9_8equal_toIxEExEE10hipError_tPvRmT2_T3_T4_T5_mT6_T7_P12ihipStream_tbENKUlT_T0_E_clISt17integral_constantIbLb0EESZ_EEDaSU_SV_EUlSU_E_NS1_11comp_targetILNS1_3genE0ELNS1_11target_archE4294967295ELNS1_3gpuE0ELNS1_3repE0EEENS1_30default_config_static_selectorELNS0_4arch9wavefront6targetE1EEEvT1_.kd
    .uniform_work_group_size: 1
    .uses_dynamic_stack: false
    .vgpr_count:     0
    .vgpr_spill_count: 0
    .wavefront_size: 64
  - .agpr_count:     0
    .args:
      - .offset:         0
        .size:           136
        .value_kind:     by_value
    .group_segment_fixed_size: 0
    .kernarg_segment_align: 8
    .kernarg_segment_size: 136
    .language:       OpenCL C
    .language_version:
      - 2
      - 0
    .max_flat_workgroup_size: 256
    .name:           _ZN7rocprim17ROCPRIM_400000_NS6detail17trampoline_kernelINS0_14default_configENS1_27scan_by_key_config_selectorIxxEEZZNS1_16scan_by_key_implILNS1_25lookback_scan_determinismE0ELb0ES3_N6thrust23THRUST_200600_302600_NS6detail15normal_iteratorINS9_10device_ptrIxEEEESE_SE_xNS9_10multipliesIxEENS9_8equal_toIxEExEE10hipError_tPvRmT2_T3_T4_T5_mT6_T7_P12ihipStream_tbENKUlT_T0_E_clISt17integral_constantIbLb0EESZ_EEDaSU_SV_EUlSU_E_NS1_11comp_targetILNS1_3genE10ELNS1_11target_archE1201ELNS1_3gpuE5ELNS1_3repE0EEENS1_30default_config_static_selectorELNS0_4arch9wavefront6targetE1EEEvT1_
    .private_segment_fixed_size: 0
    .sgpr_count:     6
    .sgpr_spill_count: 0
    .symbol:         _ZN7rocprim17ROCPRIM_400000_NS6detail17trampoline_kernelINS0_14default_configENS1_27scan_by_key_config_selectorIxxEEZZNS1_16scan_by_key_implILNS1_25lookback_scan_determinismE0ELb0ES3_N6thrust23THRUST_200600_302600_NS6detail15normal_iteratorINS9_10device_ptrIxEEEESE_SE_xNS9_10multipliesIxEENS9_8equal_toIxEExEE10hipError_tPvRmT2_T3_T4_T5_mT6_T7_P12ihipStream_tbENKUlT_T0_E_clISt17integral_constantIbLb0EESZ_EEDaSU_SV_EUlSU_E_NS1_11comp_targetILNS1_3genE10ELNS1_11target_archE1201ELNS1_3gpuE5ELNS1_3repE0EEENS1_30default_config_static_selectorELNS0_4arch9wavefront6targetE1EEEvT1_.kd
    .uniform_work_group_size: 1
    .uses_dynamic_stack: false
    .vgpr_count:     0
    .vgpr_spill_count: 0
    .wavefront_size: 64
  - .agpr_count:     0
    .args:
      - .offset:         0
        .size:           136
        .value_kind:     by_value
    .group_segment_fixed_size: 32768
    .kernarg_segment_align: 8
    .kernarg_segment_size: 136
    .language:       OpenCL C
    .language_version:
      - 2
      - 0
    .max_flat_workgroup_size: 256
    .name:           _ZN7rocprim17ROCPRIM_400000_NS6detail17trampoline_kernelINS0_14default_configENS1_27scan_by_key_config_selectorIxxEEZZNS1_16scan_by_key_implILNS1_25lookback_scan_determinismE0ELb0ES3_N6thrust23THRUST_200600_302600_NS6detail15normal_iteratorINS9_10device_ptrIxEEEESE_SE_xNS9_10multipliesIxEENS9_8equal_toIxEExEE10hipError_tPvRmT2_T3_T4_T5_mT6_T7_P12ihipStream_tbENKUlT_T0_E_clISt17integral_constantIbLb0EESZ_EEDaSU_SV_EUlSU_E_NS1_11comp_targetILNS1_3genE5ELNS1_11target_archE942ELNS1_3gpuE9ELNS1_3repE0EEENS1_30default_config_static_selectorELNS0_4arch9wavefront6targetE1EEEvT1_
    .private_segment_fixed_size: 0
    .sgpr_count:     72
    .sgpr_spill_count: 0
    .symbol:         _ZN7rocprim17ROCPRIM_400000_NS6detail17trampoline_kernelINS0_14default_configENS1_27scan_by_key_config_selectorIxxEEZZNS1_16scan_by_key_implILNS1_25lookback_scan_determinismE0ELb0ES3_N6thrust23THRUST_200600_302600_NS6detail15normal_iteratorINS9_10device_ptrIxEEEESE_SE_xNS9_10multipliesIxEENS9_8equal_toIxEExEE10hipError_tPvRmT2_T3_T4_T5_mT6_T7_P12ihipStream_tbENKUlT_T0_E_clISt17integral_constantIbLb0EESZ_EEDaSU_SV_EUlSU_E_NS1_11comp_targetILNS1_3genE5ELNS1_11target_archE942ELNS1_3gpuE9ELNS1_3repE0EEENS1_30default_config_static_selectorELNS0_4arch9wavefront6targetE1EEEvT1_.kd
    .uniform_work_group_size: 1
    .uses_dynamic_stack: false
    .vgpr_count:     92
    .vgpr_spill_count: 0
    .wavefront_size: 64
  - .agpr_count:     0
    .args:
      - .offset:         0
        .size:           136
        .value_kind:     by_value
    .group_segment_fixed_size: 0
    .kernarg_segment_align: 8
    .kernarg_segment_size: 136
    .language:       OpenCL C
    .language_version:
      - 2
      - 0
    .max_flat_workgroup_size: 64
    .name:           _ZN7rocprim17ROCPRIM_400000_NS6detail17trampoline_kernelINS0_14default_configENS1_27scan_by_key_config_selectorIxxEEZZNS1_16scan_by_key_implILNS1_25lookback_scan_determinismE0ELb0ES3_N6thrust23THRUST_200600_302600_NS6detail15normal_iteratorINS9_10device_ptrIxEEEESE_SE_xNS9_10multipliesIxEENS9_8equal_toIxEExEE10hipError_tPvRmT2_T3_T4_T5_mT6_T7_P12ihipStream_tbENKUlT_T0_E_clISt17integral_constantIbLb0EESZ_EEDaSU_SV_EUlSU_E_NS1_11comp_targetILNS1_3genE4ELNS1_11target_archE910ELNS1_3gpuE8ELNS1_3repE0EEENS1_30default_config_static_selectorELNS0_4arch9wavefront6targetE1EEEvT1_
    .private_segment_fixed_size: 0
    .sgpr_count:     6
    .sgpr_spill_count: 0
    .symbol:         _ZN7rocprim17ROCPRIM_400000_NS6detail17trampoline_kernelINS0_14default_configENS1_27scan_by_key_config_selectorIxxEEZZNS1_16scan_by_key_implILNS1_25lookback_scan_determinismE0ELb0ES3_N6thrust23THRUST_200600_302600_NS6detail15normal_iteratorINS9_10device_ptrIxEEEESE_SE_xNS9_10multipliesIxEENS9_8equal_toIxEExEE10hipError_tPvRmT2_T3_T4_T5_mT6_T7_P12ihipStream_tbENKUlT_T0_E_clISt17integral_constantIbLb0EESZ_EEDaSU_SV_EUlSU_E_NS1_11comp_targetILNS1_3genE4ELNS1_11target_archE910ELNS1_3gpuE8ELNS1_3repE0EEENS1_30default_config_static_selectorELNS0_4arch9wavefront6targetE1EEEvT1_.kd
    .uniform_work_group_size: 1
    .uses_dynamic_stack: false
    .vgpr_count:     0
    .vgpr_spill_count: 0
    .wavefront_size: 64
  - .agpr_count:     0
    .args:
      - .offset:         0
        .size:           136
        .value_kind:     by_value
    .group_segment_fixed_size: 0
    .kernarg_segment_align: 8
    .kernarg_segment_size: 136
    .language:       OpenCL C
    .language_version:
      - 2
      - 0
    .max_flat_workgroup_size: 256
    .name:           _ZN7rocprim17ROCPRIM_400000_NS6detail17trampoline_kernelINS0_14default_configENS1_27scan_by_key_config_selectorIxxEEZZNS1_16scan_by_key_implILNS1_25lookback_scan_determinismE0ELb0ES3_N6thrust23THRUST_200600_302600_NS6detail15normal_iteratorINS9_10device_ptrIxEEEESE_SE_xNS9_10multipliesIxEENS9_8equal_toIxEExEE10hipError_tPvRmT2_T3_T4_T5_mT6_T7_P12ihipStream_tbENKUlT_T0_E_clISt17integral_constantIbLb0EESZ_EEDaSU_SV_EUlSU_E_NS1_11comp_targetILNS1_3genE3ELNS1_11target_archE908ELNS1_3gpuE7ELNS1_3repE0EEENS1_30default_config_static_selectorELNS0_4arch9wavefront6targetE1EEEvT1_
    .private_segment_fixed_size: 0
    .sgpr_count:     6
    .sgpr_spill_count: 0
    .symbol:         _ZN7rocprim17ROCPRIM_400000_NS6detail17trampoline_kernelINS0_14default_configENS1_27scan_by_key_config_selectorIxxEEZZNS1_16scan_by_key_implILNS1_25lookback_scan_determinismE0ELb0ES3_N6thrust23THRUST_200600_302600_NS6detail15normal_iteratorINS9_10device_ptrIxEEEESE_SE_xNS9_10multipliesIxEENS9_8equal_toIxEExEE10hipError_tPvRmT2_T3_T4_T5_mT6_T7_P12ihipStream_tbENKUlT_T0_E_clISt17integral_constantIbLb0EESZ_EEDaSU_SV_EUlSU_E_NS1_11comp_targetILNS1_3genE3ELNS1_11target_archE908ELNS1_3gpuE7ELNS1_3repE0EEENS1_30default_config_static_selectorELNS0_4arch9wavefront6targetE1EEEvT1_.kd
    .uniform_work_group_size: 1
    .uses_dynamic_stack: false
    .vgpr_count:     0
    .vgpr_spill_count: 0
    .wavefront_size: 64
  - .agpr_count:     0
    .args:
      - .offset:         0
        .size:           136
        .value_kind:     by_value
    .group_segment_fixed_size: 0
    .kernarg_segment_align: 8
    .kernarg_segment_size: 136
    .language:       OpenCL C
    .language_version:
      - 2
      - 0
    .max_flat_workgroup_size: 256
    .name:           _ZN7rocprim17ROCPRIM_400000_NS6detail17trampoline_kernelINS0_14default_configENS1_27scan_by_key_config_selectorIxxEEZZNS1_16scan_by_key_implILNS1_25lookback_scan_determinismE0ELb0ES3_N6thrust23THRUST_200600_302600_NS6detail15normal_iteratorINS9_10device_ptrIxEEEESE_SE_xNS9_10multipliesIxEENS9_8equal_toIxEExEE10hipError_tPvRmT2_T3_T4_T5_mT6_T7_P12ihipStream_tbENKUlT_T0_E_clISt17integral_constantIbLb0EESZ_EEDaSU_SV_EUlSU_E_NS1_11comp_targetILNS1_3genE2ELNS1_11target_archE906ELNS1_3gpuE6ELNS1_3repE0EEENS1_30default_config_static_selectorELNS0_4arch9wavefront6targetE1EEEvT1_
    .private_segment_fixed_size: 0
    .sgpr_count:     6
    .sgpr_spill_count: 0
    .symbol:         _ZN7rocprim17ROCPRIM_400000_NS6detail17trampoline_kernelINS0_14default_configENS1_27scan_by_key_config_selectorIxxEEZZNS1_16scan_by_key_implILNS1_25lookback_scan_determinismE0ELb0ES3_N6thrust23THRUST_200600_302600_NS6detail15normal_iteratorINS9_10device_ptrIxEEEESE_SE_xNS9_10multipliesIxEENS9_8equal_toIxEExEE10hipError_tPvRmT2_T3_T4_T5_mT6_T7_P12ihipStream_tbENKUlT_T0_E_clISt17integral_constantIbLb0EESZ_EEDaSU_SV_EUlSU_E_NS1_11comp_targetILNS1_3genE2ELNS1_11target_archE906ELNS1_3gpuE6ELNS1_3repE0EEENS1_30default_config_static_selectorELNS0_4arch9wavefront6targetE1EEEvT1_.kd
    .uniform_work_group_size: 1
    .uses_dynamic_stack: false
    .vgpr_count:     0
    .vgpr_spill_count: 0
    .wavefront_size: 64
  - .agpr_count:     0
    .args:
      - .offset:         0
        .size:           136
        .value_kind:     by_value
    .group_segment_fixed_size: 0
    .kernarg_segment_align: 8
    .kernarg_segment_size: 136
    .language:       OpenCL C
    .language_version:
      - 2
      - 0
    .max_flat_workgroup_size: 256
    .name:           _ZN7rocprim17ROCPRIM_400000_NS6detail17trampoline_kernelINS0_14default_configENS1_27scan_by_key_config_selectorIxxEEZZNS1_16scan_by_key_implILNS1_25lookback_scan_determinismE0ELb0ES3_N6thrust23THRUST_200600_302600_NS6detail15normal_iteratorINS9_10device_ptrIxEEEESE_SE_xNS9_10multipliesIxEENS9_8equal_toIxEExEE10hipError_tPvRmT2_T3_T4_T5_mT6_T7_P12ihipStream_tbENKUlT_T0_E_clISt17integral_constantIbLb0EESZ_EEDaSU_SV_EUlSU_E_NS1_11comp_targetILNS1_3genE10ELNS1_11target_archE1200ELNS1_3gpuE4ELNS1_3repE0EEENS1_30default_config_static_selectorELNS0_4arch9wavefront6targetE1EEEvT1_
    .private_segment_fixed_size: 0
    .sgpr_count:     6
    .sgpr_spill_count: 0
    .symbol:         _ZN7rocprim17ROCPRIM_400000_NS6detail17trampoline_kernelINS0_14default_configENS1_27scan_by_key_config_selectorIxxEEZZNS1_16scan_by_key_implILNS1_25lookback_scan_determinismE0ELb0ES3_N6thrust23THRUST_200600_302600_NS6detail15normal_iteratorINS9_10device_ptrIxEEEESE_SE_xNS9_10multipliesIxEENS9_8equal_toIxEExEE10hipError_tPvRmT2_T3_T4_T5_mT6_T7_P12ihipStream_tbENKUlT_T0_E_clISt17integral_constantIbLb0EESZ_EEDaSU_SV_EUlSU_E_NS1_11comp_targetILNS1_3genE10ELNS1_11target_archE1200ELNS1_3gpuE4ELNS1_3repE0EEENS1_30default_config_static_selectorELNS0_4arch9wavefront6targetE1EEEvT1_.kd
    .uniform_work_group_size: 1
    .uses_dynamic_stack: false
    .vgpr_count:     0
    .vgpr_spill_count: 0
    .wavefront_size: 64
  - .agpr_count:     0
    .args:
      - .offset:         0
        .size:           136
        .value_kind:     by_value
    .group_segment_fixed_size: 0
    .kernarg_segment_align: 8
    .kernarg_segment_size: 136
    .language:       OpenCL C
    .language_version:
      - 2
      - 0
    .max_flat_workgroup_size: 256
    .name:           _ZN7rocprim17ROCPRIM_400000_NS6detail17trampoline_kernelINS0_14default_configENS1_27scan_by_key_config_selectorIxxEEZZNS1_16scan_by_key_implILNS1_25lookback_scan_determinismE0ELb0ES3_N6thrust23THRUST_200600_302600_NS6detail15normal_iteratorINS9_10device_ptrIxEEEESE_SE_xNS9_10multipliesIxEENS9_8equal_toIxEExEE10hipError_tPvRmT2_T3_T4_T5_mT6_T7_P12ihipStream_tbENKUlT_T0_E_clISt17integral_constantIbLb0EESZ_EEDaSU_SV_EUlSU_E_NS1_11comp_targetILNS1_3genE9ELNS1_11target_archE1100ELNS1_3gpuE3ELNS1_3repE0EEENS1_30default_config_static_selectorELNS0_4arch9wavefront6targetE1EEEvT1_
    .private_segment_fixed_size: 0
    .sgpr_count:     6
    .sgpr_spill_count: 0
    .symbol:         _ZN7rocprim17ROCPRIM_400000_NS6detail17trampoline_kernelINS0_14default_configENS1_27scan_by_key_config_selectorIxxEEZZNS1_16scan_by_key_implILNS1_25lookback_scan_determinismE0ELb0ES3_N6thrust23THRUST_200600_302600_NS6detail15normal_iteratorINS9_10device_ptrIxEEEESE_SE_xNS9_10multipliesIxEENS9_8equal_toIxEExEE10hipError_tPvRmT2_T3_T4_T5_mT6_T7_P12ihipStream_tbENKUlT_T0_E_clISt17integral_constantIbLb0EESZ_EEDaSU_SV_EUlSU_E_NS1_11comp_targetILNS1_3genE9ELNS1_11target_archE1100ELNS1_3gpuE3ELNS1_3repE0EEENS1_30default_config_static_selectorELNS0_4arch9wavefront6targetE1EEEvT1_.kd
    .uniform_work_group_size: 1
    .uses_dynamic_stack: false
    .vgpr_count:     0
    .vgpr_spill_count: 0
    .wavefront_size: 64
  - .agpr_count:     0
    .args:
      - .offset:         0
        .size:           136
        .value_kind:     by_value
    .group_segment_fixed_size: 0
    .kernarg_segment_align: 8
    .kernarg_segment_size: 136
    .language:       OpenCL C
    .language_version:
      - 2
      - 0
    .max_flat_workgroup_size: 256
    .name:           _ZN7rocprim17ROCPRIM_400000_NS6detail17trampoline_kernelINS0_14default_configENS1_27scan_by_key_config_selectorIxxEEZZNS1_16scan_by_key_implILNS1_25lookback_scan_determinismE0ELb0ES3_N6thrust23THRUST_200600_302600_NS6detail15normal_iteratorINS9_10device_ptrIxEEEESE_SE_xNS9_10multipliesIxEENS9_8equal_toIxEExEE10hipError_tPvRmT2_T3_T4_T5_mT6_T7_P12ihipStream_tbENKUlT_T0_E_clISt17integral_constantIbLb0EESZ_EEDaSU_SV_EUlSU_E_NS1_11comp_targetILNS1_3genE8ELNS1_11target_archE1030ELNS1_3gpuE2ELNS1_3repE0EEENS1_30default_config_static_selectorELNS0_4arch9wavefront6targetE1EEEvT1_
    .private_segment_fixed_size: 0
    .sgpr_count:     6
    .sgpr_spill_count: 0
    .symbol:         _ZN7rocprim17ROCPRIM_400000_NS6detail17trampoline_kernelINS0_14default_configENS1_27scan_by_key_config_selectorIxxEEZZNS1_16scan_by_key_implILNS1_25lookback_scan_determinismE0ELb0ES3_N6thrust23THRUST_200600_302600_NS6detail15normal_iteratorINS9_10device_ptrIxEEEESE_SE_xNS9_10multipliesIxEENS9_8equal_toIxEExEE10hipError_tPvRmT2_T3_T4_T5_mT6_T7_P12ihipStream_tbENKUlT_T0_E_clISt17integral_constantIbLb0EESZ_EEDaSU_SV_EUlSU_E_NS1_11comp_targetILNS1_3genE8ELNS1_11target_archE1030ELNS1_3gpuE2ELNS1_3repE0EEENS1_30default_config_static_selectorELNS0_4arch9wavefront6targetE1EEEvT1_.kd
    .uniform_work_group_size: 1
    .uses_dynamic_stack: false
    .vgpr_count:     0
    .vgpr_spill_count: 0
    .wavefront_size: 64
  - .agpr_count:     0
    .args:
      - .offset:         0
        .size:           136
        .value_kind:     by_value
    .group_segment_fixed_size: 0
    .kernarg_segment_align: 8
    .kernarg_segment_size: 136
    .language:       OpenCL C
    .language_version:
      - 2
      - 0
    .max_flat_workgroup_size: 256
    .name:           _ZN7rocprim17ROCPRIM_400000_NS6detail17trampoline_kernelINS0_14default_configENS1_27scan_by_key_config_selectorIxxEEZZNS1_16scan_by_key_implILNS1_25lookback_scan_determinismE0ELb0ES3_N6thrust23THRUST_200600_302600_NS6detail15normal_iteratorINS9_10device_ptrIxEEEESE_SE_xNS9_10multipliesIxEENS9_8equal_toIxEExEE10hipError_tPvRmT2_T3_T4_T5_mT6_T7_P12ihipStream_tbENKUlT_T0_E_clISt17integral_constantIbLb1EESZ_EEDaSU_SV_EUlSU_E_NS1_11comp_targetILNS1_3genE0ELNS1_11target_archE4294967295ELNS1_3gpuE0ELNS1_3repE0EEENS1_30default_config_static_selectorELNS0_4arch9wavefront6targetE1EEEvT1_
    .private_segment_fixed_size: 0
    .sgpr_count:     6
    .sgpr_spill_count: 0
    .symbol:         _ZN7rocprim17ROCPRIM_400000_NS6detail17trampoline_kernelINS0_14default_configENS1_27scan_by_key_config_selectorIxxEEZZNS1_16scan_by_key_implILNS1_25lookback_scan_determinismE0ELb0ES3_N6thrust23THRUST_200600_302600_NS6detail15normal_iteratorINS9_10device_ptrIxEEEESE_SE_xNS9_10multipliesIxEENS9_8equal_toIxEExEE10hipError_tPvRmT2_T3_T4_T5_mT6_T7_P12ihipStream_tbENKUlT_T0_E_clISt17integral_constantIbLb1EESZ_EEDaSU_SV_EUlSU_E_NS1_11comp_targetILNS1_3genE0ELNS1_11target_archE4294967295ELNS1_3gpuE0ELNS1_3repE0EEENS1_30default_config_static_selectorELNS0_4arch9wavefront6targetE1EEEvT1_.kd
    .uniform_work_group_size: 1
    .uses_dynamic_stack: false
    .vgpr_count:     0
    .vgpr_spill_count: 0
    .wavefront_size: 64
  - .agpr_count:     0
    .args:
      - .offset:         0
        .size:           136
        .value_kind:     by_value
    .group_segment_fixed_size: 0
    .kernarg_segment_align: 8
    .kernarg_segment_size: 136
    .language:       OpenCL C
    .language_version:
      - 2
      - 0
    .max_flat_workgroup_size: 256
    .name:           _ZN7rocprim17ROCPRIM_400000_NS6detail17trampoline_kernelINS0_14default_configENS1_27scan_by_key_config_selectorIxxEEZZNS1_16scan_by_key_implILNS1_25lookback_scan_determinismE0ELb0ES3_N6thrust23THRUST_200600_302600_NS6detail15normal_iteratorINS9_10device_ptrIxEEEESE_SE_xNS9_10multipliesIxEENS9_8equal_toIxEExEE10hipError_tPvRmT2_T3_T4_T5_mT6_T7_P12ihipStream_tbENKUlT_T0_E_clISt17integral_constantIbLb1EESZ_EEDaSU_SV_EUlSU_E_NS1_11comp_targetILNS1_3genE10ELNS1_11target_archE1201ELNS1_3gpuE5ELNS1_3repE0EEENS1_30default_config_static_selectorELNS0_4arch9wavefront6targetE1EEEvT1_
    .private_segment_fixed_size: 0
    .sgpr_count:     6
    .sgpr_spill_count: 0
    .symbol:         _ZN7rocprim17ROCPRIM_400000_NS6detail17trampoline_kernelINS0_14default_configENS1_27scan_by_key_config_selectorIxxEEZZNS1_16scan_by_key_implILNS1_25lookback_scan_determinismE0ELb0ES3_N6thrust23THRUST_200600_302600_NS6detail15normal_iteratorINS9_10device_ptrIxEEEESE_SE_xNS9_10multipliesIxEENS9_8equal_toIxEExEE10hipError_tPvRmT2_T3_T4_T5_mT6_T7_P12ihipStream_tbENKUlT_T0_E_clISt17integral_constantIbLb1EESZ_EEDaSU_SV_EUlSU_E_NS1_11comp_targetILNS1_3genE10ELNS1_11target_archE1201ELNS1_3gpuE5ELNS1_3repE0EEENS1_30default_config_static_selectorELNS0_4arch9wavefront6targetE1EEEvT1_.kd
    .uniform_work_group_size: 1
    .uses_dynamic_stack: false
    .vgpr_count:     0
    .vgpr_spill_count: 0
    .wavefront_size: 64
  - .agpr_count:     0
    .args:
      - .offset:         0
        .size:           136
        .value_kind:     by_value
    .group_segment_fixed_size: 32768
    .kernarg_segment_align: 8
    .kernarg_segment_size: 136
    .language:       OpenCL C
    .language_version:
      - 2
      - 0
    .max_flat_workgroup_size: 256
    .name:           _ZN7rocprim17ROCPRIM_400000_NS6detail17trampoline_kernelINS0_14default_configENS1_27scan_by_key_config_selectorIxxEEZZNS1_16scan_by_key_implILNS1_25lookback_scan_determinismE0ELb0ES3_N6thrust23THRUST_200600_302600_NS6detail15normal_iteratorINS9_10device_ptrIxEEEESE_SE_xNS9_10multipliesIxEENS9_8equal_toIxEExEE10hipError_tPvRmT2_T3_T4_T5_mT6_T7_P12ihipStream_tbENKUlT_T0_E_clISt17integral_constantIbLb1EESZ_EEDaSU_SV_EUlSU_E_NS1_11comp_targetILNS1_3genE5ELNS1_11target_archE942ELNS1_3gpuE9ELNS1_3repE0EEENS1_30default_config_static_selectorELNS0_4arch9wavefront6targetE1EEEvT1_
    .private_segment_fixed_size: 0
    .sgpr_count:     76
    .sgpr_spill_count: 0
    .symbol:         _ZN7rocprim17ROCPRIM_400000_NS6detail17trampoline_kernelINS0_14default_configENS1_27scan_by_key_config_selectorIxxEEZZNS1_16scan_by_key_implILNS1_25lookback_scan_determinismE0ELb0ES3_N6thrust23THRUST_200600_302600_NS6detail15normal_iteratorINS9_10device_ptrIxEEEESE_SE_xNS9_10multipliesIxEENS9_8equal_toIxEExEE10hipError_tPvRmT2_T3_T4_T5_mT6_T7_P12ihipStream_tbENKUlT_T0_E_clISt17integral_constantIbLb1EESZ_EEDaSU_SV_EUlSU_E_NS1_11comp_targetILNS1_3genE5ELNS1_11target_archE942ELNS1_3gpuE9ELNS1_3repE0EEENS1_30default_config_static_selectorELNS0_4arch9wavefront6targetE1EEEvT1_.kd
    .uniform_work_group_size: 1
    .uses_dynamic_stack: false
    .vgpr_count:     92
    .vgpr_spill_count: 0
    .wavefront_size: 64
  - .agpr_count:     0
    .args:
      - .offset:         0
        .size:           136
        .value_kind:     by_value
    .group_segment_fixed_size: 0
    .kernarg_segment_align: 8
    .kernarg_segment_size: 136
    .language:       OpenCL C
    .language_version:
      - 2
      - 0
    .max_flat_workgroup_size: 64
    .name:           _ZN7rocprim17ROCPRIM_400000_NS6detail17trampoline_kernelINS0_14default_configENS1_27scan_by_key_config_selectorIxxEEZZNS1_16scan_by_key_implILNS1_25lookback_scan_determinismE0ELb0ES3_N6thrust23THRUST_200600_302600_NS6detail15normal_iteratorINS9_10device_ptrIxEEEESE_SE_xNS9_10multipliesIxEENS9_8equal_toIxEExEE10hipError_tPvRmT2_T3_T4_T5_mT6_T7_P12ihipStream_tbENKUlT_T0_E_clISt17integral_constantIbLb1EESZ_EEDaSU_SV_EUlSU_E_NS1_11comp_targetILNS1_3genE4ELNS1_11target_archE910ELNS1_3gpuE8ELNS1_3repE0EEENS1_30default_config_static_selectorELNS0_4arch9wavefront6targetE1EEEvT1_
    .private_segment_fixed_size: 0
    .sgpr_count:     6
    .sgpr_spill_count: 0
    .symbol:         _ZN7rocprim17ROCPRIM_400000_NS6detail17trampoline_kernelINS0_14default_configENS1_27scan_by_key_config_selectorIxxEEZZNS1_16scan_by_key_implILNS1_25lookback_scan_determinismE0ELb0ES3_N6thrust23THRUST_200600_302600_NS6detail15normal_iteratorINS9_10device_ptrIxEEEESE_SE_xNS9_10multipliesIxEENS9_8equal_toIxEExEE10hipError_tPvRmT2_T3_T4_T5_mT6_T7_P12ihipStream_tbENKUlT_T0_E_clISt17integral_constantIbLb1EESZ_EEDaSU_SV_EUlSU_E_NS1_11comp_targetILNS1_3genE4ELNS1_11target_archE910ELNS1_3gpuE8ELNS1_3repE0EEENS1_30default_config_static_selectorELNS0_4arch9wavefront6targetE1EEEvT1_.kd
    .uniform_work_group_size: 1
    .uses_dynamic_stack: false
    .vgpr_count:     0
    .vgpr_spill_count: 0
    .wavefront_size: 64
  - .agpr_count:     0
    .args:
      - .offset:         0
        .size:           136
        .value_kind:     by_value
    .group_segment_fixed_size: 0
    .kernarg_segment_align: 8
    .kernarg_segment_size: 136
    .language:       OpenCL C
    .language_version:
      - 2
      - 0
    .max_flat_workgroup_size: 256
    .name:           _ZN7rocprim17ROCPRIM_400000_NS6detail17trampoline_kernelINS0_14default_configENS1_27scan_by_key_config_selectorIxxEEZZNS1_16scan_by_key_implILNS1_25lookback_scan_determinismE0ELb0ES3_N6thrust23THRUST_200600_302600_NS6detail15normal_iteratorINS9_10device_ptrIxEEEESE_SE_xNS9_10multipliesIxEENS9_8equal_toIxEExEE10hipError_tPvRmT2_T3_T4_T5_mT6_T7_P12ihipStream_tbENKUlT_T0_E_clISt17integral_constantIbLb1EESZ_EEDaSU_SV_EUlSU_E_NS1_11comp_targetILNS1_3genE3ELNS1_11target_archE908ELNS1_3gpuE7ELNS1_3repE0EEENS1_30default_config_static_selectorELNS0_4arch9wavefront6targetE1EEEvT1_
    .private_segment_fixed_size: 0
    .sgpr_count:     6
    .sgpr_spill_count: 0
    .symbol:         _ZN7rocprim17ROCPRIM_400000_NS6detail17trampoline_kernelINS0_14default_configENS1_27scan_by_key_config_selectorIxxEEZZNS1_16scan_by_key_implILNS1_25lookback_scan_determinismE0ELb0ES3_N6thrust23THRUST_200600_302600_NS6detail15normal_iteratorINS9_10device_ptrIxEEEESE_SE_xNS9_10multipliesIxEENS9_8equal_toIxEExEE10hipError_tPvRmT2_T3_T4_T5_mT6_T7_P12ihipStream_tbENKUlT_T0_E_clISt17integral_constantIbLb1EESZ_EEDaSU_SV_EUlSU_E_NS1_11comp_targetILNS1_3genE3ELNS1_11target_archE908ELNS1_3gpuE7ELNS1_3repE0EEENS1_30default_config_static_selectorELNS0_4arch9wavefront6targetE1EEEvT1_.kd
    .uniform_work_group_size: 1
    .uses_dynamic_stack: false
    .vgpr_count:     0
    .vgpr_spill_count: 0
    .wavefront_size: 64
  - .agpr_count:     0
    .args:
      - .offset:         0
        .size:           136
        .value_kind:     by_value
    .group_segment_fixed_size: 0
    .kernarg_segment_align: 8
    .kernarg_segment_size: 136
    .language:       OpenCL C
    .language_version:
      - 2
      - 0
    .max_flat_workgroup_size: 256
    .name:           _ZN7rocprim17ROCPRIM_400000_NS6detail17trampoline_kernelINS0_14default_configENS1_27scan_by_key_config_selectorIxxEEZZNS1_16scan_by_key_implILNS1_25lookback_scan_determinismE0ELb0ES3_N6thrust23THRUST_200600_302600_NS6detail15normal_iteratorINS9_10device_ptrIxEEEESE_SE_xNS9_10multipliesIxEENS9_8equal_toIxEExEE10hipError_tPvRmT2_T3_T4_T5_mT6_T7_P12ihipStream_tbENKUlT_T0_E_clISt17integral_constantIbLb1EESZ_EEDaSU_SV_EUlSU_E_NS1_11comp_targetILNS1_3genE2ELNS1_11target_archE906ELNS1_3gpuE6ELNS1_3repE0EEENS1_30default_config_static_selectorELNS0_4arch9wavefront6targetE1EEEvT1_
    .private_segment_fixed_size: 0
    .sgpr_count:     6
    .sgpr_spill_count: 0
    .symbol:         _ZN7rocprim17ROCPRIM_400000_NS6detail17trampoline_kernelINS0_14default_configENS1_27scan_by_key_config_selectorIxxEEZZNS1_16scan_by_key_implILNS1_25lookback_scan_determinismE0ELb0ES3_N6thrust23THRUST_200600_302600_NS6detail15normal_iteratorINS9_10device_ptrIxEEEESE_SE_xNS9_10multipliesIxEENS9_8equal_toIxEExEE10hipError_tPvRmT2_T3_T4_T5_mT6_T7_P12ihipStream_tbENKUlT_T0_E_clISt17integral_constantIbLb1EESZ_EEDaSU_SV_EUlSU_E_NS1_11comp_targetILNS1_3genE2ELNS1_11target_archE906ELNS1_3gpuE6ELNS1_3repE0EEENS1_30default_config_static_selectorELNS0_4arch9wavefront6targetE1EEEvT1_.kd
    .uniform_work_group_size: 1
    .uses_dynamic_stack: false
    .vgpr_count:     0
    .vgpr_spill_count: 0
    .wavefront_size: 64
  - .agpr_count:     0
    .args:
      - .offset:         0
        .size:           136
        .value_kind:     by_value
    .group_segment_fixed_size: 0
    .kernarg_segment_align: 8
    .kernarg_segment_size: 136
    .language:       OpenCL C
    .language_version:
      - 2
      - 0
    .max_flat_workgroup_size: 256
    .name:           _ZN7rocprim17ROCPRIM_400000_NS6detail17trampoline_kernelINS0_14default_configENS1_27scan_by_key_config_selectorIxxEEZZNS1_16scan_by_key_implILNS1_25lookback_scan_determinismE0ELb0ES3_N6thrust23THRUST_200600_302600_NS6detail15normal_iteratorINS9_10device_ptrIxEEEESE_SE_xNS9_10multipliesIxEENS9_8equal_toIxEExEE10hipError_tPvRmT2_T3_T4_T5_mT6_T7_P12ihipStream_tbENKUlT_T0_E_clISt17integral_constantIbLb1EESZ_EEDaSU_SV_EUlSU_E_NS1_11comp_targetILNS1_3genE10ELNS1_11target_archE1200ELNS1_3gpuE4ELNS1_3repE0EEENS1_30default_config_static_selectorELNS0_4arch9wavefront6targetE1EEEvT1_
    .private_segment_fixed_size: 0
    .sgpr_count:     6
    .sgpr_spill_count: 0
    .symbol:         _ZN7rocprim17ROCPRIM_400000_NS6detail17trampoline_kernelINS0_14default_configENS1_27scan_by_key_config_selectorIxxEEZZNS1_16scan_by_key_implILNS1_25lookback_scan_determinismE0ELb0ES3_N6thrust23THRUST_200600_302600_NS6detail15normal_iteratorINS9_10device_ptrIxEEEESE_SE_xNS9_10multipliesIxEENS9_8equal_toIxEExEE10hipError_tPvRmT2_T3_T4_T5_mT6_T7_P12ihipStream_tbENKUlT_T0_E_clISt17integral_constantIbLb1EESZ_EEDaSU_SV_EUlSU_E_NS1_11comp_targetILNS1_3genE10ELNS1_11target_archE1200ELNS1_3gpuE4ELNS1_3repE0EEENS1_30default_config_static_selectorELNS0_4arch9wavefront6targetE1EEEvT1_.kd
    .uniform_work_group_size: 1
    .uses_dynamic_stack: false
    .vgpr_count:     0
    .vgpr_spill_count: 0
    .wavefront_size: 64
  - .agpr_count:     0
    .args:
      - .offset:         0
        .size:           136
        .value_kind:     by_value
    .group_segment_fixed_size: 0
    .kernarg_segment_align: 8
    .kernarg_segment_size: 136
    .language:       OpenCL C
    .language_version:
      - 2
      - 0
    .max_flat_workgroup_size: 256
    .name:           _ZN7rocprim17ROCPRIM_400000_NS6detail17trampoline_kernelINS0_14default_configENS1_27scan_by_key_config_selectorIxxEEZZNS1_16scan_by_key_implILNS1_25lookback_scan_determinismE0ELb0ES3_N6thrust23THRUST_200600_302600_NS6detail15normal_iteratorINS9_10device_ptrIxEEEESE_SE_xNS9_10multipliesIxEENS9_8equal_toIxEExEE10hipError_tPvRmT2_T3_T4_T5_mT6_T7_P12ihipStream_tbENKUlT_T0_E_clISt17integral_constantIbLb1EESZ_EEDaSU_SV_EUlSU_E_NS1_11comp_targetILNS1_3genE9ELNS1_11target_archE1100ELNS1_3gpuE3ELNS1_3repE0EEENS1_30default_config_static_selectorELNS0_4arch9wavefront6targetE1EEEvT1_
    .private_segment_fixed_size: 0
    .sgpr_count:     6
    .sgpr_spill_count: 0
    .symbol:         _ZN7rocprim17ROCPRIM_400000_NS6detail17trampoline_kernelINS0_14default_configENS1_27scan_by_key_config_selectorIxxEEZZNS1_16scan_by_key_implILNS1_25lookback_scan_determinismE0ELb0ES3_N6thrust23THRUST_200600_302600_NS6detail15normal_iteratorINS9_10device_ptrIxEEEESE_SE_xNS9_10multipliesIxEENS9_8equal_toIxEExEE10hipError_tPvRmT2_T3_T4_T5_mT6_T7_P12ihipStream_tbENKUlT_T0_E_clISt17integral_constantIbLb1EESZ_EEDaSU_SV_EUlSU_E_NS1_11comp_targetILNS1_3genE9ELNS1_11target_archE1100ELNS1_3gpuE3ELNS1_3repE0EEENS1_30default_config_static_selectorELNS0_4arch9wavefront6targetE1EEEvT1_.kd
    .uniform_work_group_size: 1
    .uses_dynamic_stack: false
    .vgpr_count:     0
    .vgpr_spill_count: 0
    .wavefront_size: 64
  - .agpr_count:     0
    .args:
      - .offset:         0
        .size:           136
        .value_kind:     by_value
    .group_segment_fixed_size: 0
    .kernarg_segment_align: 8
    .kernarg_segment_size: 136
    .language:       OpenCL C
    .language_version:
      - 2
      - 0
    .max_flat_workgroup_size: 256
    .name:           _ZN7rocprim17ROCPRIM_400000_NS6detail17trampoline_kernelINS0_14default_configENS1_27scan_by_key_config_selectorIxxEEZZNS1_16scan_by_key_implILNS1_25lookback_scan_determinismE0ELb0ES3_N6thrust23THRUST_200600_302600_NS6detail15normal_iteratorINS9_10device_ptrIxEEEESE_SE_xNS9_10multipliesIxEENS9_8equal_toIxEExEE10hipError_tPvRmT2_T3_T4_T5_mT6_T7_P12ihipStream_tbENKUlT_T0_E_clISt17integral_constantIbLb1EESZ_EEDaSU_SV_EUlSU_E_NS1_11comp_targetILNS1_3genE8ELNS1_11target_archE1030ELNS1_3gpuE2ELNS1_3repE0EEENS1_30default_config_static_selectorELNS0_4arch9wavefront6targetE1EEEvT1_
    .private_segment_fixed_size: 0
    .sgpr_count:     6
    .sgpr_spill_count: 0
    .symbol:         _ZN7rocprim17ROCPRIM_400000_NS6detail17trampoline_kernelINS0_14default_configENS1_27scan_by_key_config_selectorIxxEEZZNS1_16scan_by_key_implILNS1_25lookback_scan_determinismE0ELb0ES3_N6thrust23THRUST_200600_302600_NS6detail15normal_iteratorINS9_10device_ptrIxEEEESE_SE_xNS9_10multipliesIxEENS9_8equal_toIxEExEE10hipError_tPvRmT2_T3_T4_T5_mT6_T7_P12ihipStream_tbENKUlT_T0_E_clISt17integral_constantIbLb1EESZ_EEDaSU_SV_EUlSU_E_NS1_11comp_targetILNS1_3genE8ELNS1_11target_archE1030ELNS1_3gpuE2ELNS1_3repE0EEENS1_30default_config_static_selectorELNS0_4arch9wavefront6targetE1EEEvT1_.kd
    .uniform_work_group_size: 1
    .uses_dynamic_stack: false
    .vgpr_count:     0
    .vgpr_spill_count: 0
    .wavefront_size: 64
  - .agpr_count:     0
    .args:
      - .offset:         0
        .size:           136
        .value_kind:     by_value
    .group_segment_fixed_size: 0
    .kernarg_segment_align: 8
    .kernarg_segment_size: 136
    .language:       OpenCL C
    .language_version:
      - 2
      - 0
    .max_flat_workgroup_size: 256
    .name:           _ZN7rocprim17ROCPRIM_400000_NS6detail17trampoline_kernelINS0_14default_configENS1_27scan_by_key_config_selectorIxxEEZZNS1_16scan_by_key_implILNS1_25lookback_scan_determinismE0ELb0ES3_N6thrust23THRUST_200600_302600_NS6detail15normal_iteratorINS9_10device_ptrIxEEEESE_SE_xNS9_10multipliesIxEENS9_8equal_toIxEExEE10hipError_tPvRmT2_T3_T4_T5_mT6_T7_P12ihipStream_tbENKUlT_T0_E_clISt17integral_constantIbLb1EESY_IbLb0EEEEDaSU_SV_EUlSU_E_NS1_11comp_targetILNS1_3genE0ELNS1_11target_archE4294967295ELNS1_3gpuE0ELNS1_3repE0EEENS1_30default_config_static_selectorELNS0_4arch9wavefront6targetE1EEEvT1_
    .private_segment_fixed_size: 0
    .sgpr_count:     6
    .sgpr_spill_count: 0
    .symbol:         _ZN7rocprim17ROCPRIM_400000_NS6detail17trampoline_kernelINS0_14default_configENS1_27scan_by_key_config_selectorIxxEEZZNS1_16scan_by_key_implILNS1_25lookback_scan_determinismE0ELb0ES3_N6thrust23THRUST_200600_302600_NS6detail15normal_iteratorINS9_10device_ptrIxEEEESE_SE_xNS9_10multipliesIxEENS9_8equal_toIxEExEE10hipError_tPvRmT2_T3_T4_T5_mT6_T7_P12ihipStream_tbENKUlT_T0_E_clISt17integral_constantIbLb1EESY_IbLb0EEEEDaSU_SV_EUlSU_E_NS1_11comp_targetILNS1_3genE0ELNS1_11target_archE4294967295ELNS1_3gpuE0ELNS1_3repE0EEENS1_30default_config_static_selectorELNS0_4arch9wavefront6targetE1EEEvT1_.kd
    .uniform_work_group_size: 1
    .uses_dynamic_stack: false
    .vgpr_count:     0
    .vgpr_spill_count: 0
    .wavefront_size: 64
  - .agpr_count:     0
    .args:
      - .offset:         0
        .size:           136
        .value_kind:     by_value
    .group_segment_fixed_size: 0
    .kernarg_segment_align: 8
    .kernarg_segment_size: 136
    .language:       OpenCL C
    .language_version:
      - 2
      - 0
    .max_flat_workgroup_size: 256
    .name:           _ZN7rocprim17ROCPRIM_400000_NS6detail17trampoline_kernelINS0_14default_configENS1_27scan_by_key_config_selectorIxxEEZZNS1_16scan_by_key_implILNS1_25lookback_scan_determinismE0ELb0ES3_N6thrust23THRUST_200600_302600_NS6detail15normal_iteratorINS9_10device_ptrIxEEEESE_SE_xNS9_10multipliesIxEENS9_8equal_toIxEExEE10hipError_tPvRmT2_T3_T4_T5_mT6_T7_P12ihipStream_tbENKUlT_T0_E_clISt17integral_constantIbLb1EESY_IbLb0EEEEDaSU_SV_EUlSU_E_NS1_11comp_targetILNS1_3genE10ELNS1_11target_archE1201ELNS1_3gpuE5ELNS1_3repE0EEENS1_30default_config_static_selectorELNS0_4arch9wavefront6targetE1EEEvT1_
    .private_segment_fixed_size: 0
    .sgpr_count:     6
    .sgpr_spill_count: 0
    .symbol:         _ZN7rocprim17ROCPRIM_400000_NS6detail17trampoline_kernelINS0_14default_configENS1_27scan_by_key_config_selectorIxxEEZZNS1_16scan_by_key_implILNS1_25lookback_scan_determinismE0ELb0ES3_N6thrust23THRUST_200600_302600_NS6detail15normal_iteratorINS9_10device_ptrIxEEEESE_SE_xNS9_10multipliesIxEENS9_8equal_toIxEExEE10hipError_tPvRmT2_T3_T4_T5_mT6_T7_P12ihipStream_tbENKUlT_T0_E_clISt17integral_constantIbLb1EESY_IbLb0EEEEDaSU_SV_EUlSU_E_NS1_11comp_targetILNS1_3genE10ELNS1_11target_archE1201ELNS1_3gpuE5ELNS1_3repE0EEENS1_30default_config_static_selectorELNS0_4arch9wavefront6targetE1EEEvT1_.kd
    .uniform_work_group_size: 1
    .uses_dynamic_stack: false
    .vgpr_count:     0
    .vgpr_spill_count: 0
    .wavefront_size: 64
  - .agpr_count:     0
    .args:
      - .offset:         0
        .size:           136
        .value_kind:     by_value
    .group_segment_fixed_size: 32768
    .kernarg_segment_align: 8
    .kernarg_segment_size: 136
    .language:       OpenCL C
    .language_version:
      - 2
      - 0
    .max_flat_workgroup_size: 256
    .name:           _ZN7rocprim17ROCPRIM_400000_NS6detail17trampoline_kernelINS0_14default_configENS1_27scan_by_key_config_selectorIxxEEZZNS1_16scan_by_key_implILNS1_25lookback_scan_determinismE0ELb0ES3_N6thrust23THRUST_200600_302600_NS6detail15normal_iteratorINS9_10device_ptrIxEEEESE_SE_xNS9_10multipliesIxEENS9_8equal_toIxEExEE10hipError_tPvRmT2_T3_T4_T5_mT6_T7_P12ihipStream_tbENKUlT_T0_E_clISt17integral_constantIbLb1EESY_IbLb0EEEEDaSU_SV_EUlSU_E_NS1_11comp_targetILNS1_3genE5ELNS1_11target_archE942ELNS1_3gpuE9ELNS1_3repE0EEENS1_30default_config_static_selectorELNS0_4arch9wavefront6targetE1EEEvT1_
    .private_segment_fixed_size: 0
    .sgpr_count:     72
    .sgpr_spill_count: 0
    .symbol:         _ZN7rocprim17ROCPRIM_400000_NS6detail17trampoline_kernelINS0_14default_configENS1_27scan_by_key_config_selectorIxxEEZZNS1_16scan_by_key_implILNS1_25lookback_scan_determinismE0ELb0ES3_N6thrust23THRUST_200600_302600_NS6detail15normal_iteratorINS9_10device_ptrIxEEEESE_SE_xNS9_10multipliesIxEENS9_8equal_toIxEExEE10hipError_tPvRmT2_T3_T4_T5_mT6_T7_P12ihipStream_tbENKUlT_T0_E_clISt17integral_constantIbLb1EESY_IbLb0EEEEDaSU_SV_EUlSU_E_NS1_11comp_targetILNS1_3genE5ELNS1_11target_archE942ELNS1_3gpuE9ELNS1_3repE0EEENS1_30default_config_static_selectorELNS0_4arch9wavefront6targetE1EEEvT1_.kd
    .uniform_work_group_size: 1
    .uses_dynamic_stack: false
    .vgpr_count:     92
    .vgpr_spill_count: 0
    .wavefront_size: 64
  - .agpr_count:     0
    .args:
      - .offset:         0
        .size:           136
        .value_kind:     by_value
    .group_segment_fixed_size: 0
    .kernarg_segment_align: 8
    .kernarg_segment_size: 136
    .language:       OpenCL C
    .language_version:
      - 2
      - 0
    .max_flat_workgroup_size: 64
    .name:           _ZN7rocprim17ROCPRIM_400000_NS6detail17trampoline_kernelINS0_14default_configENS1_27scan_by_key_config_selectorIxxEEZZNS1_16scan_by_key_implILNS1_25lookback_scan_determinismE0ELb0ES3_N6thrust23THRUST_200600_302600_NS6detail15normal_iteratorINS9_10device_ptrIxEEEESE_SE_xNS9_10multipliesIxEENS9_8equal_toIxEExEE10hipError_tPvRmT2_T3_T4_T5_mT6_T7_P12ihipStream_tbENKUlT_T0_E_clISt17integral_constantIbLb1EESY_IbLb0EEEEDaSU_SV_EUlSU_E_NS1_11comp_targetILNS1_3genE4ELNS1_11target_archE910ELNS1_3gpuE8ELNS1_3repE0EEENS1_30default_config_static_selectorELNS0_4arch9wavefront6targetE1EEEvT1_
    .private_segment_fixed_size: 0
    .sgpr_count:     6
    .sgpr_spill_count: 0
    .symbol:         _ZN7rocprim17ROCPRIM_400000_NS6detail17trampoline_kernelINS0_14default_configENS1_27scan_by_key_config_selectorIxxEEZZNS1_16scan_by_key_implILNS1_25lookback_scan_determinismE0ELb0ES3_N6thrust23THRUST_200600_302600_NS6detail15normal_iteratorINS9_10device_ptrIxEEEESE_SE_xNS9_10multipliesIxEENS9_8equal_toIxEExEE10hipError_tPvRmT2_T3_T4_T5_mT6_T7_P12ihipStream_tbENKUlT_T0_E_clISt17integral_constantIbLb1EESY_IbLb0EEEEDaSU_SV_EUlSU_E_NS1_11comp_targetILNS1_3genE4ELNS1_11target_archE910ELNS1_3gpuE8ELNS1_3repE0EEENS1_30default_config_static_selectorELNS0_4arch9wavefront6targetE1EEEvT1_.kd
    .uniform_work_group_size: 1
    .uses_dynamic_stack: false
    .vgpr_count:     0
    .vgpr_spill_count: 0
    .wavefront_size: 64
  - .agpr_count:     0
    .args:
      - .offset:         0
        .size:           136
        .value_kind:     by_value
    .group_segment_fixed_size: 0
    .kernarg_segment_align: 8
    .kernarg_segment_size: 136
    .language:       OpenCL C
    .language_version:
      - 2
      - 0
    .max_flat_workgroup_size: 256
    .name:           _ZN7rocprim17ROCPRIM_400000_NS6detail17trampoline_kernelINS0_14default_configENS1_27scan_by_key_config_selectorIxxEEZZNS1_16scan_by_key_implILNS1_25lookback_scan_determinismE0ELb0ES3_N6thrust23THRUST_200600_302600_NS6detail15normal_iteratorINS9_10device_ptrIxEEEESE_SE_xNS9_10multipliesIxEENS9_8equal_toIxEExEE10hipError_tPvRmT2_T3_T4_T5_mT6_T7_P12ihipStream_tbENKUlT_T0_E_clISt17integral_constantIbLb1EESY_IbLb0EEEEDaSU_SV_EUlSU_E_NS1_11comp_targetILNS1_3genE3ELNS1_11target_archE908ELNS1_3gpuE7ELNS1_3repE0EEENS1_30default_config_static_selectorELNS0_4arch9wavefront6targetE1EEEvT1_
    .private_segment_fixed_size: 0
    .sgpr_count:     6
    .sgpr_spill_count: 0
    .symbol:         _ZN7rocprim17ROCPRIM_400000_NS6detail17trampoline_kernelINS0_14default_configENS1_27scan_by_key_config_selectorIxxEEZZNS1_16scan_by_key_implILNS1_25lookback_scan_determinismE0ELb0ES3_N6thrust23THRUST_200600_302600_NS6detail15normal_iteratorINS9_10device_ptrIxEEEESE_SE_xNS9_10multipliesIxEENS9_8equal_toIxEExEE10hipError_tPvRmT2_T3_T4_T5_mT6_T7_P12ihipStream_tbENKUlT_T0_E_clISt17integral_constantIbLb1EESY_IbLb0EEEEDaSU_SV_EUlSU_E_NS1_11comp_targetILNS1_3genE3ELNS1_11target_archE908ELNS1_3gpuE7ELNS1_3repE0EEENS1_30default_config_static_selectorELNS0_4arch9wavefront6targetE1EEEvT1_.kd
    .uniform_work_group_size: 1
    .uses_dynamic_stack: false
    .vgpr_count:     0
    .vgpr_spill_count: 0
    .wavefront_size: 64
  - .agpr_count:     0
    .args:
      - .offset:         0
        .size:           136
        .value_kind:     by_value
    .group_segment_fixed_size: 0
    .kernarg_segment_align: 8
    .kernarg_segment_size: 136
    .language:       OpenCL C
    .language_version:
      - 2
      - 0
    .max_flat_workgroup_size: 256
    .name:           _ZN7rocprim17ROCPRIM_400000_NS6detail17trampoline_kernelINS0_14default_configENS1_27scan_by_key_config_selectorIxxEEZZNS1_16scan_by_key_implILNS1_25lookback_scan_determinismE0ELb0ES3_N6thrust23THRUST_200600_302600_NS6detail15normal_iteratorINS9_10device_ptrIxEEEESE_SE_xNS9_10multipliesIxEENS9_8equal_toIxEExEE10hipError_tPvRmT2_T3_T4_T5_mT6_T7_P12ihipStream_tbENKUlT_T0_E_clISt17integral_constantIbLb1EESY_IbLb0EEEEDaSU_SV_EUlSU_E_NS1_11comp_targetILNS1_3genE2ELNS1_11target_archE906ELNS1_3gpuE6ELNS1_3repE0EEENS1_30default_config_static_selectorELNS0_4arch9wavefront6targetE1EEEvT1_
    .private_segment_fixed_size: 0
    .sgpr_count:     6
    .sgpr_spill_count: 0
    .symbol:         _ZN7rocprim17ROCPRIM_400000_NS6detail17trampoline_kernelINS0_14default_configENS1_27scan_by_key_config_selectorIxxEEZZNS1_16scan_by_key_implILNS1_25lookback_scan_determinismE0ELb0ES3_N6thrust23THRUST_200600_302600_NS6detail15normal_iteratorINS9_10device_ptrIxEEEESE_SE_xNS9_10multipliesIxEENS9_8equal_toIxEExEE10hipError_tPvRmT2_T3_T4_T5_mT6_T7_P12ihipStream_tbENKUlT_T0_E_clISt17integral_constantIbLb1EESY_IbLb0EEEEDaSU_SV_EUlSU_E_NS1_11comp_targetILNS1_3genE2ELNS1_11target_archE906ELNS1_3gpuE6ELNS1_3repE0EEENS1_30default_config_static_selectorELNS0_4arch9wavefront6targetE1EEEvT1_.kd
    .uniform_work_group_size: 1
    .uses_dynamic_stack: false
    .vgpr_count:     0
    .vgpr_spill_count: 0
    .wavefront_size: 64
  - .agpr_count:     0
    .args:
      - .offset:         0
        .size:           136
        .value_kind:     by_value
    .group_segment_fixed_size: 0
    .kernarg_segment_align: 8
    .kernarg_segment_size: 136
    .language:       OpenCL C
    .language_version:
      - 2
      - 0
    .max_flat_workgroup_size: 256
    .name:           _ZN7rocprim17ROCPRIM_400000_NS6detail17trampoline_kernelINS0_14default_configENS1_27scan_by_key_config_selectorIxxEEZZNS1_16scan_by_key_implILNS1_25lookback_scan_determinismE0ELb0ES3_N6thrust23THRUST_200600_302600_NS6detail15normal_iteratorINS9_10device_ptrIxEEEESE_SE_xNS9_10multipliesIxEENS9_8equal_toIxEExEE10hipError_tPvRmT2_T3_T4_T5_mT6_T7_P12ihipStream_tbENKUlT_T0_E_clISt17integral_constantIbLb1EESY_IbLb0EEEEDaSU_SV_EUlSU_E_NS1_11comp_targetILNS1_3genE10ELNS1_11target_archE1200ELNS1_3gpuE4ELNS1_3repE0EEENS1_30default_config_static_selectorELNS0_4arch9wavefront6targetE1EEEvT1_
    .private_segment_fixed_size: 0
    .sgpr_count:     6
    .sgpr_spill_count: 0
    .symbol:         _ZN7rocprim17ROCPRIM_400000_NS6detail17trampoline_kernelINS0_14default_configENS1_27scan_by_key_config_selectorIxxEEZZNS1_16scan_by_key_implILNS1_25lookback_scan_determinismE0ELb0ES3_N6thrust23THRUST_200600_302600_NS6detail15normal_iteratorINS9_10device_ptrIxEEEESE_SE_xNS9_10multipliesIxEENS9_8equal_toIxEExEE10hipError_tPvRmT2_T3_T4_T5_mT6_T7_P12ihipStream_tbENKUlT_T0_E_clISt17integral_constantIbLb1EESY_IbLb0EEEEDaSU_SV_EUlSU_E_NS1_11comp_targetILNS1_3genE10ELNS1_11target_archE1200ELNS1_3gpuE4ELNS1_3repE0EEENS1_30default_config_static_selectorELNS0_4arch9wavefront6targetE1EEEvT1_.kd
    .uniform_work_group_size: 1
    .uses_dynamic_stack: false
    .vgpr_count:     0
    .vgpr_spill_count: 0
    .wavefront_size: 64
  - .agpr_count:     0
    .args:
      - .offset:         0
        .size:           136
        .value_kind:     by_value
    .group_segment_fixed_size: 0
    .kernarg_segment_align: 8
    .kernarg_segment_size: 136
    .language:       OpenCL C
    .language_version:
      - 2
      - 0
    .max_flat_workgroup_size: 256
    .name:           _ZN7rocprim17ROCPRIM_400000_NS6detail17trampoline_kernelINS0_14default_configENS1_27scan_by_key_config_selectorIxxEEZZNS1_16scan_by_key_implILNS1_25lookback_scan_determinismE0ELb0ES3_N6thrust23THRUST_200600_302600_NS6detail15normal_iteratorINS9_10device_ptrIxEEEESE_SE_xNS9_10multipliesIxEENS9_8equal_toIxEExEE10hipError_tPvRmT2_T3_T4_T5_mT6_T7_P12ihipStream_tbENKUlT_T0_E_clISt17integral_constantIbLb1EESY_IbLb0EEEEDaSU_SV_EUlSU_E_NS1_11comp_targetILNS1_3genE9ELNS1_11target_archE1100ELNS1_3gpuE3ELNS1_3repE0EEENS1_30default_config_static_selectorELNS0_4arch9wavefront6targetE1EEEvT1_
    .private_segment_fixed_size: 0
    .sgpr_count:     6
    .sgpr_spill_count: 0
    .symbol:         _ZN7rocprim17ROCPRIM_400000_NS6detail17trampoline_kernelINS0_14default_configENS1_27scan_by_key_config_selectorIxxEEZZNS1_16scan_by_key_implILNS1_25lookback_scan_determinismE0ELb0ES3_N6thrust23THRUST_200600_302600_NS6detail15normal_iteratorINS9_10device_ptrIxEEEESE_SE_xNS9_10multipliesIxEENS9_8equal_toIxEExEE10hipError_tPvRmT2_T3_T4_T5_mT6_T7_P12ihipStream_tbENKUlT_T0_E_clISt17integral_constantIbLb1EESY_IbLb0EEEEDaSU_SV_EUlSU_E_NS1_11comp_targetILNS1_3genE9ELNS1_11target_archE1100ELNS1_3gpuE3ELNS1_3repE0EEENS1_30default_config_static_selectorELNS0_4arch9wavefront6targetE1EEEvT1_.kd
    .uniform_work_group_size: 1
    .uses_dynamic_stack: false
    .vgpr_count:     0
    .vgpr_spill_count: 0
    .wavefront_size: 64
  - .agpr_count:     0
    .args:
      - .offset:         0
        .size:           136
        .value_kind:     by_value
    .group_segment_fixed_size: 0
    .kernarg_segment_align: 8
    .kernarg_segment_size: 136
    .language:       OpenCL C
    .language_version:
      - 2
      - 0
    .max_flat_workgroup_size: 256
    .name:           _ZN7rocprim17ROCPRIM_400000_NS6detail17trampoline_kernelINS0_14default_configENS1_27scan_by_key_config_selectorIxxEEZZNS1_16scan_by_key_implILNS1_25lookback_scan_determinismE0ELb0ES3_N6thrust23THRUST_200600_302600_NS6detail15normal_iteratorINS9_10device_ptrIxEEEESE_SE_xNS9_10multipliesIxEENS9_8equal_toIxEExEE10hipError_tPvRmT2_T3_T4_T5_mT6_T7_P12ihipStream_tbENKUlT_T0_E_clISt17integral_constantIbLb1EESY_IbLb0EEEEDaSU_SV_EUlSU_E_NS1_11comp_targetILNS1_3genE8ELNS1_11target_archE1030ELNS1_3gpuE2ELNS1_3repE0EEENS1_30default_config_static_selectorELNS0_4arch9wavefront6targetE1EEEvT1_
    .private_segment_fixed_size: 0
    .sgpr_count:     6
    .sgpr_spill_count: 0
    .symbol:         _ZN7rocprim17ROCPRIM_400000_NS6detail17trampoline_kernelINS0_14default_configENS1_27scan_by_key_config_selectorIxxEEZZNS1_16scan_by_key_implILNS1_25lookback_scan_determinismE0ELb0ES3_N6thrust23THRUST_200600_302600_NS6detail15normal_iteratorINS9_10device_ptrIxEEEESE_SE_xNS9_10multipliesIxEENS9_8equal_toIxEExEE10hipError_tPvRmT2_T3_T4_T5_mT6_T7_P12ihipStream_tbENKUlT_T0_E_clISt17integral_constantIbLb1EESY_IbLb0EEEEDaSU_SV_EUlSU_E_NS1_11comp_targetILNS1_3genE8ELNS1_11target_archE1030ELNS1_3gpuE2ELNS1_3repE0EEENS1_30default_config_static_selectorELNS0_4arch9wavefront6targetE1EEEvT1_.kd
    .uniform_work_group_size: 1
    .uses_dynamic_stack: false
    .vgpr_count:     0
    .vgpr_spill_count: 0
    .wavefront_size: 64
  - .agpr_count:     0
    .args:
      - .offset:         0
        .size:           136
        .value_kind:     by_value
    .group_segment_fixed_size: 0
    .kernarg_segment_align: 8
    .kernarg_segment_size: 136
    .language:       OpenCL C
    .language_version:
      - 2
      - 0
    .max_flat_workgroup_size: 256
    .name:           _ZN7rocprim17ROCPRIM_400000_NS6detail17trampoline_kernelINS0_14default_configENS1_27scan_by_key_config_selectorIxxEEZZNS1_16scan_by_key_implILNS1_25lookback_scan_determinismE0ELb0ES3_N6thrust23THRUST_200600_302600_NS6detail15normal_iteratorINS9_10device_ptrIxEEEESE_SE_xNS9_10multipliesIxEENS9_8equal_toIxEExEE10hipError_tPvRmT2_T3_T4_T5_mT6_T7_P12ihipStream_tbENKUlT_T0_E_clISt17integral_constantIbLb0EESY_IbLb1EEEEDaSU_SV_EUlSU_E_NS1_11comp_targetILNS1_3genE0ELNS1_11target_archE4294967295ELNS1_3gpuE0ELNS1_3repE0EEENS1_30default_config_static_selectorELNS0_4arch9wavefront6targetE1EEEvT1_
    .private_segment_fixed_size: 0
    .sgpr_count:     6
    .sgpr_spill_count: 0
    .symbol:         _ZN7rocprim17ROCPRIM_400000_NS6detail17trampoline_kernelINS0_14default_configENS1_27scan_by_key_config_selectorIxxEEZZNS1_16scan_by_key_implILNS1_25lookback_scan_determinismE0ELb0ES3_N6thrust23THRUST_200600_302600_NS6detail15normal_iteratorINS9_10device_ptrIxEEEESE_SE_xNS9_10multipliesIxEENS9_8equal_toIxEExEE10hipError_tPvRmT2_T3_T4_T5_mT6_T7_P12ihipStream_tbENKUlT_T0_E_clISt17integral_constantIbLb0EESY_IbLb1EEEEDaSU_SV_EUlSU_E_NS1_11comp_targetILNS1_3genE0ELNS1_11target_archE4294967295ELNS1_3gpuE0ELNS1_3repE0EEENS1_30default_config_static_selectorELNS0_4arch9wavefront6targetE1EEEvT1_.kd
    .uniform_work_group_size: 1
    .uses_dynamic_stack: false
    .vgpr_count:     0
    .vgpr_spill_count: 0
    .wavefront_size: 64
  - .agpr_count:     0
    .args:
      - .offset:         0
        .size:           136
        .value_kind:     by_value
    .group_segment_fixed_size: 0
    .kernarg_segment_align: 8
    .kernarg_segment_size: 136
    .language:       OpenCL C
    .language_version:
      - 2
      - 0
    .max_flat_workgroup_size: 256
    .name:           _ZN7rocprim17ROCPRIM_400000_NS6detail17trampoline_kernelINS0_14default_configENS1_27scan_by_key_config_selectorIxxEEZZNS1_16scan_by_key_implILNS1_25lookback_scan_determinismE0ELb0ES3_N6thrust23THRUST_200600_302600_NS6detail15normal_iteratorINS9_10device_ptrIxEEEESE_SE_xNS9_10multipliesIxEENS9_8equal_toIxEExEE10hipError_tPvRmT2_T3_T4_T5_mT6_T7_P12ihipStream_tbENKUlT_T0_E_clISt17integral_constantIbLb0EESY_IbLb1EEEEDaSU_SV_EUlSU_E_NS1_11comp_targetILNS1_3genE10ELNS1_11target_archE1201ELNS1_3gpuE5ELNS1_3repE0EEENS1_30default_config_static_selectorELNS0_4arch9wavefront6targetE1EEEvT1_
    .private_segment_fixed_size: 0
    .sgpr_count:     6
    .sgpr_spill_count: 0
    .symbol:         _ZN7rocprim17ROCPRIM_400000_NS6detail17trampoline_kernelINS0_14default_configENS1_27scan_by_key_config_selectorIxxEEZZNS1_16scan_by_key_implILNS1_25lookback_scan_determinismE0ELb0ES3_N6thrust23THRUST_200600_302600_NS6detail15normal_iteratorINS9_10device_ptrIxEEEESE_SE_xNS9_10multipliesIxEENS9_8equal_toIxEExEE10hipError_tPvRmT2_T3_T4_T5_mT6_T7_P12ihipStream_tbENKUlT_T0_E_clISt17integral_constantIbLb0EESY_IbLb1EEEEDaSU_SV_EUlSU_E_NS1_11comp_targetILNS1_3genE10ELNS1_11target_archE1201ELNS1_3gpuE5ELNS1_3repE0EEENS1_30default_config_static_selectorELNS0_4arch9wavefront6targetE1EEEvT1_.kd
    .uniform_work_group_size: 1
    .uses_dynamic_stack: false
    .vgpr_count:     0
    .vgpr_spill_count: 0
    .wavefront_size: 64
  - .agpr_count:     0
    .args:
      - .offset:         0
        .size:           136
        .value_kind:     by_value
    .group_segment_fixed_size: 32768
    .kernarg_segment_align: 8
    .kernarg_segment_size: 136
    .language:       OpenCL C
    .language_version:
      - 2
      - 0
    .max_flat_workgroup_size: 256
    .name:           _ZN7rocprim17ROCPRIM_400000_NS6detail17trampoline_kernelINS0_14default_configENS1_27scan_by_key_config_selectorIxxEEZZNS1_16scan_by_key_implILNS1_25lookback_scan_determinismE0ELb0ES3_N6thrust23THRUST_200600_302600_NS6detail15normal_iteratorINS9_10device_ptrIxEEEESE_SE_xNS9_10multipliesIxEENS9_8equal_toIxEExEE10hipError_tPvRmT2_T3_T4_T5_mT6_T7_P12ihipStream_tbENKUlT_T0_E_clISt17integral_constantIbLb0EESY_IbLb1EEEEDaSU_SV_EUlSU_E_NS1_11comp_targetILNS1_3genE5ELNS1_11target_archE942ELNS1_3gpuE9ELNS1_3repE0EEENS1_30default_config_static_selectorELNS0_4arch9wavefront6targetE1EEEvT1_
    .private_segment_fixed_size: 0
    .sgpr_count:     76
    .sgpr_spill_count: 0
    .symbol:         _ZN7rocprim17ROCPRIM_400000_NS6detail17trampoline_kernelINS0_14default_configENS1_27scan_by_key_config_selectorIxxEEZZNS1_16scan_by_key_implILNS1_25lookback_scan_determinismE0ELb0ES3_N6thrust23THRUST_200600_302600_NS6detail15normal_iteratorINS9_10device_ptrIxEEEESE_SE_xNS9_10multipliesIxEENS9_8equal_toIxEExEE10hipError_tPvRmT2_T3_T4_T5_mT6_T7_P12ihipStream_tbENKUlT_T0_E_clISt17integral_constantIbLb0EESY_IbLb1EEEEDaSU_SV_EUlSU_E_NS1_11comp_targetILNS1_3genE5ELNS1_11target_archE942ELNS1_3gpuE9ELNS1_3repE0EEENS1_30default_config_static_selectorELNS0_4arch9wavefront6targetE1EEEvT1_.kd
    .uniform_work_group_size: 1
    .uses_dynamic_stack: false
    .vgpr_count:     92
    .vgpr_spill_count: 0
    .wavefront_size: 64
  - .agpr_count:     0
    .args:
      - .offset:         0
        .size:           136
        .value_kind:     by_value
    .group_segment_fixed_size: 0
    .kernarg_segment_align: 8
    .kernarg_segment_size: 136
    .language:       OpenCL C
    .language_version:
      - 2
      - 0
    .max_flat_workgroup_size: 64
    .name:           _ZN7rocprim17ROCPRIM_400000_NS6detail17trampoline_kernelINS0_14default_configENS1_27scan_by_key_config_selectorIxxEEZZNS1_16scan_by_key_implILNS1_25lookback_scan_determinismE0ELb0ES3_N6thrust23THRUST_200600_302600_NS6detail15normal_iteratorINS9_10device_ptrIxEEEESE_SE_xNS9_10multipliesIxEENS9_8equal_toIxEExEE10hipError_tPvRmT2_T3_T4_T5_mT6_T7_P12ihipStream_tbENKUlT_T0_E_clISt17integral_constantIbLb0EESY_IbLb1EEEEDaSU_SV_EUlSU_E_NS1_11comp_targetILNS1_3genE4ELNS1_11target_archE910ELNS1_3gpuE8ELNS1_3repE0EEENS1_30default_config_static_selectorELNS0_4arch9wavefront6targetE1EEEvT1_
    .private_segment_fixed_size: 0
    .sgpr_count:     6
    .sgpr_spill_count: 0
    .symbol:         _ZN7rocprim17ROCPRIM_400000_NS6detail17trampoline_kernelINS0_14default_configENS1_27scan_by_key_config_selectorIxxEEZZNS1_16scan_by_key_implILNS1_25lookback_scan_determinismE0ELb0ES3_N6thrust23THRUST_200600_302600_NS6detail15normal_iteratorINS9_10device_ptrIxEEEESE_SE_xNS9_10multipliesIxEENS9_8equal_toIxEExEE10hipError_tPvRmT2_T3_T4_T5_mT6_T7_P12ihipStream_tbENKUlT_T0_E_clISt17integral_constantIbLb0EESY_IbLb1EEEEDaSU_SV_EUlSU_E_NS1_11comp_targetILNS1_3genE4ELNS1_11target_archE910ELNS1_3gpuE8ELNS1_3repE0EEENS1_30default_config_static_selectorELNS0_4arch9wavefront6targetE1EEEvT1_.kd
    .uniform_work_group_size: 1
    .uses_dynamic_stack: false
    .vgpr_count:     0
    .vgpr_spill_count: 0
    .wavefront_size: 64
  - .agpr_count:     0
    .args:
      - .offset:         0
        .size:           136
        .value_kind:     by_value
    .group_segment_fixed_size: 0
    .kernarg_segment_align: 8
    .kernarg_segment_size: 136
    .language:       OpenCL C
    .language_version:
      - 2
      - 0
    .max_flat_workgroup_size: 256
    .name:           _ZN7rocprim17ROCPRIM_400000_NS6detail17trampoline_kernelINS0_14default_configENS1_27scan_by_key_config_selectorIxxEEZZNS1_16scan_by_key_implILNS1_25lookback_scan_determinismE0ELb0ES3_N6thrust23THRUST_200600_302600_NS6detail15normal_iteratorINS9_10device_ptrIxEEEESE_SE_xNS9_10multipliesIxEENS9_8equal_toIxEExEE10hipError_tPvRmT2_T3_T4_T5_mT6_T7_P12ihipStream_tbENKUlT_T0_E_clISt17integral_constantIbLb0EESY_IbLb1EEEEDaSU_SV_EUlSU_E_NS1_11comp_targetILNS1_3genE3ELNS1_11target_archE908ELNS1_3gpuE7ELNS1_3repE0EEENS1_30default_config_static_selectorELNS0_4arch9wavefront6targetE1EEEvT1_
    .private_segment_fixed_size: 0
    .sgpr_count:     6
    .sgpr_spill_count: 0
    .symbol:         _ZN7rocprim17ROCPRIM_400000_NS6detail17trampoline_kernelINS0_14default_configENS1_27scan_by_key_config_selectorIxxEEZZNS1_16scan_by_key_implILNS1_25lookback_scan_determinismE0ELb0ES3_N6thrust23THRUST_200600_302600_NS6detail15normal_iteratorINS9_10device_ptrIxEEEESE_SE_xNS9_10multipliesIxEENS9_8equal_toIxEExEE10hipError_tPvRmT2_T3_T4_T5_mT6_T7_P12ihipStream_tbENKUlT_T0_E_clISt17integral_constantIbLb0EESY_IbLb1EEEEDaSU_SV_EUlSU_E_NS1_11comp_targetILNS1_3genE3ELNS1_11target_archE908ELNS1_3gpuE7ELNS1_3repE0EEENS1_30default_config_static_selectorELNS0_4arch9wavefront6targetE1EEEvT1_.kd
    .uniform_work_group_size: 1
    .uses_dynamic_stack: false
    .vgpr_count:     0
    .vgpr_spill_count: 0
    .wavefront_size: 64
  - .agpr_count:     0
    .args:
      - .offset:         0
        .size:           136
        .value_kind:     by_value
    .group_segment_fixed_size: 0
    .kernarg_segment_align: 8
    .kernarg_segment_size: 136
    .language:       OpenCL C
    .language_version:
      - 2
      - 0
    .max_flat_workgroup_size: 256
    .name:           _ZN7rocprim17ROCPRIM_400000_NS6detail17trampoline_kernelINS0_14default_configENS1_27scan_by_key_config_selectorIxxEEZZNS1_16scan_by_key_implILNS1_25lookback_scan_determinismE0ELb0ES3_N6thrust23THRUST_200600_302600_NS6detail15normal_iteratorINS9_10device_ptrIxEEEESE_SE_xNS9_10multipliesIxEENS9_8equal_toIxEExEE10hipError_tPvRmT2_T3_T4_T5_mT6_T7_P12ihipStream_tbENKUlT_T0_E_clISt17integral_constantIbLb0EESY_IbLb1EEEEDaSU_SV_EUlSU_E_NS1_11comp_targetILNS1_3genE2ELNS1_11target_archE906ELNS1_3gpuE6ELNS1_3repE0EEENS1_30default_config_static_selectorELNS0_4arch9wavefront6targetE1EEEvT1_
    .private_segment_fixed_size: 0
    .sgpr_count:     6
    .sgpr_spill_count: 0
    .symbol:         _ZN7rocprim17ROCPRIM_400000_NS6detail17trampoline_kernelINS0_14default_configENS1_27scan_by_key_config_selectorIxxEEZZNS1_16scan_by_key_implILNS1_25lookback_scan_determinismE0ELb0ES3_N6thrust23THRUST_200600_302600_NS6detail15normal_iteratorINS9_10device_ptrIxEEEESE_SE_xNS9_10multipliesIxEENS9_8equal_toIxEExEE10hipError_tPvRmT2_T3_T4_T5_mT6_T7_P12ihipStream_tbENKUlT_T0_E_clISt17integral_constantIbLb0EESY_IbLb1EEEEDaSU_SV_EUlSU_E_NS1_11comp_targetILNS1_3genE2ELNS1_11target_archE906ELNS1_3gpuE6ELNS1_3repE0EEENS1_30default_config_static_selectorELNS0_4arch9wavefront6targetE1EEEvT1_.kd
    .uniform_work_group_size: 1
    .uses_dynamic_stack: false
    .vgpr_count:     0
    .vgpr_spill_count: 0
    .wavefront_size: 64
  - .agpr_count:     0
    .args:
      - .offset:         0
        .size:           136
        .value_kind:     by_value
    .group_segment_fixed_size: 0
    .kernarg_segment_align: 8
    .kernarg_segment_size: 136
    .language:       OpenCL C
    .language_version:
      - 2
      - 0
    .max_flat_workgroup_size: 256
    .name:           _ZN7rocprim17ROCPRIM_400000_NS6detail17trampoline_kernelINS0_14default_configENS1_27scan_by_key_config_selectorIxxEEZZNS1_16scan_by_key_implILNS1_25lookback_scan_determinismE0ELb0ES3_N6thrust23THRUST_200600_302600_NS6detail15normal_iteratorINS9_10device_ptrIxEEEESE_SE_xNS9_10multipliesIxEENS9_8equal_toIxEExEE10hipError_tPvRmT2_T3_T4_T5_mT6_T7_P12ihipStream_tbENKUlT_T0_E_clISt17integral_constantIbLb0EESY_IbLb1EEEEDaSU_SV_EUlSU_E_NS1_11comp_targetILNS1_3genE10ELNS1_11target_archE1200ELNS1_3gpuE4ELNS1_3repE0EEENS1_30default_config_static_selectorELNS0_4arch9wavefront6targetE1EEEvT1_
    .private_segment_fixed_size: 0
    .sgpr_count:     6
    .sgpr_spill_count: 0
    .symbol:         _ZN7rocprim17ROCPRIM_400000_NS6detail17trampoline_kernelINS0_14default_configENS1_27scan_by_key_config_selectorIxxEEZZNS1_16scan_by_key_implILNS1_25lookback_scan_determinismE0ELb0ES3_N6thrust23THRUST_200600_302600_NS6detail15normal_iteratorINS9_10device_ptrIxEEEESE_SE_xNS9_10multipliesIxEENS9_8equal_toIxEExEE10hipError_tPvRmT2_T3_T4_T5_mT6_T7_P12ihipStream_tbENKUlT_T0_E_clISt17integral_constantIbLb0EESY_IbLb1EEEEDaSU_SV_EUlSU_E_NS1_11comp_targetILNS1_3genE10ELNS1_11target_archE1200ELNS1_3gpuE4ELNS1_3repE0EEENS1_30default_config_static_selectorELNS0_4arch9wavefront6targetE1EEEvT1_.kd
    .uniform_work_group_size: 1
    .uses_dynamic_stack: false
    .vgpr_count:     0
    .vgpr_spill_count: 0
    .wavefront_size: 64
  - .agpr_count:     0
    .args:
      - .offset:         0
        .size:           136
        .value_kind:     by_value
    .group_segment_fixed_size: 0
    .kernarg_segment_align: 8
    .kernarg_segment_size: 136
    .language:       OpenCL C
    .language_version:
      - 2
      - 0
    .max_flat_workgroup_size: 256
    .name:           _ZN7rocprim17ROCPRIM_400000_NS6detail17trampoline_kernelINS0_14default_configENS1_27scan_by_key_config_selectorIxxEEZZNS1_16scan_by_key_implILNS1_25lookback_scan_determinismE0ELb0ES3_N6thrust23THRUST_200600_302600_NS6detail15normal_iteratorINS9_10device_ptrIxEEEESE_SE_xNS9_10multipliesIxEENS9_8equal_toIxEExEE10hipError_tPvRmT2_T3_T4_T5_mT6_T7_P12ihipStream_tbENKUlT_T0_E_clISt17integral_constantIbLb0EESY_IbLb1EEEEDaSU_SV_EUlSU_E_NS1_11comp_targetILNS1_3genE9ELNS1_11target_archE1100ELNS1_3gpuE3ELNS1_3repE0EEENS1_30default_config_static_selectorELNS0_4arch9wavefront6targetE1EEEvT1_
    .private_segment_fixed_size: 0
    .sgpr_count:     6
    .sgpr_spill_count: 0
    .symbol:         _ZN7rocprim17ROCPRIM_400000_NS6detail17trampoline_kernelINS0_14default_configENS1_27scan_by_key_config_selectorIxxEEZZNS1_16scan_by_key_implILNS1_25lookback_scan_determinismE0ELb0ES3_N6thrust23THRUST_200600_302600_NS6detail15normal_iteratorINS9_10device_ptrIxEEEESE_SE_xNS9_10multipliesIxEENS9_8equal_toIxEExEE10hipError_tPvRmT2_T3_T4_T5_mT6_T7_P12ihipStream_tbENKUlT_T0_E_clISt17integral_constantIbLb0EESY_IbLb1EEEEDaSU_SV_EUlSU_E_NS1_11comp_targetILNS1_3genE9ELNS1_11target_archE1100ELNS1_3gpuE3ELNS1_3repE0EEENS1_30default_config_static_selectorELNS0_4arch9wavefront6targetE1EEEvT1_.kd
    .uniform_work_group_size: 1
    .uses_dynamic_stack: false
    .vgpr_count:     0
    .vgpr_spill_count: 0
    .wavefront_size: 64
  - .agpr_count:     0
    .args:
      - .offset:         0
        .size:           136
        .value_kind:     by_value
    .group_segment_fixed_size: 0
    .kernarg_segment_align: 8
    .kernarg_segment_size: 136
    .language:       OpenCL C
    .language_version:
      - 2
      - 0
    .max_flat_workgroup_size: 256
    .name:           _ZN7rocprim17ROCPRIM_400000_NS6detail17trampoline_kernelINS0_14default_configENS1_27scan_by_key_config_selectorIxxEEZZNS1_16scan_by_key_implILNS1_25lookback_scan_determinismE0ELb0ES3_N6thrust23THRUST_200600_302600_NS6detail15normal_iteratorINS9_10device_ptrIxEEEESE_SE_xNS9_10multipliesIxEENS9_8equal_toIxEExEE10hipError_tPvRmT2_T3_T4_T5_mT6_T7_P12ihipStream_tbENKUlT_T0_E_clISt17integral_constantIbLb0EESY_IbLb1EEEEDaSU_SV_EUlSU_E_NS1_11comp_targetILNS1_3genE8ELNS1_11target_archE1030ELNS1_3gpuE2ELNS1_3repE0EEENS1_30default_config_static_selectorELNS0_4arch9wavefront6targetE1EEEvT1_
    .private_segment_fixed_size: 0
    .sgpr_count:     6
    .sgpr_spill_count: 0
    .symbol:         _ZN7rocprim17ROCPRIM_400000_NS6detail17trampoline_kernelINS0_14default_configENS1_27scan_by_key_config_selectorIxxEEZZNS1_16scan_by_key_implILNS1_25lookback_scan_determinismE0ELb0ES3_N6thrust23THRUST_200600_302600_NS6detail15normal_iteratorINS9_10device_ptrIxEEEESE_SE_xNS9_10multipliesIxEENS9_8equal_toIxEExEE10hipError_tPvRmT2_T3_T4_T5_mT6_T7_P12ihipStream_tbENKUlT_T0_E_clISt17integral_constantIbLb0EESY_IbLb1EEEEDaSU_SV_EUlSU_E_NS1_11comp_targetILNS1_3genE8ELNS1_11target_archE1030ELNS1_3gpuE2ELNS1_3repE0EEENS1_30default_config_static_selectorELNS0_4arch9wavefront6targetE1EEEvT1_.kd
    .uniform_work_group_size: 1
    .uses_dynamic_stack: false
    .vgpr_count:     0
    .vgpr_spill_count: 0
    .wavefront_size: 64
  - .agpr_count:     0
    .args:
      - .offset:         0
        .size:           136
        .value_kind:     by_value
    .group_segment_fixed_size: 0
    .kernarg_segment_align: 8
    .kernarg_segment_size: 136
    .language:       OpenCL C
    .language_version:
      - 2
      - 0
    .max_flat_workgroup_size: 256
    .name:           _ZN7rocprim17ROCPRIM_400000_NS6detail17trampoline_kernelINS0_14default_configENS1_27scan_by_key_config_selectorIxxEEZZNS1_16scan_by_key_implILNS1_25lookback_scan_determinismE0ELb0ES3_N6thrust23THRUST_200600_302600_NS6detail15normal_iteratorINS9_10device_ptrIxEEEESE_SE_xNS9_4plusIvEENS9_8equal_toIxEExEE10hipError_tPvRmT2_T3_T4_T5_mT6_T7_P12ihipStream_tbENKUlT_T0_E_clISt17integral_constantIbLb0EESZ_EEDaSU_SV_EUlSU_E_NS1_11comp_targetILNS1_3genE0ELNS1_11target_archE4294967295ELNS1_3gpuE0ELNS1_3repE0EEENS1_30default_config_static_selectorELNS0_4arch9wavefront6targetE1EEEvT1_
    .private_segment_fixed_size: 0
    .sgpr_count:     6
    .sgpr_spill_count: 0
    .symbol:         _ZN7rocprim17ROCPRIM_400000_NS6detail17trampoline_kernelINS0_14default_configENS1_27scan_by_key_config_selectorIxxEEZZNS1_16scan_by_key_implILNS1_25lookback_scan_determinismE0ELb0ES3_N6thrust23THRUST_200600_302600_NS6detail15normal_iteratorINS9_10device_ptrIxEEEESE_SE_xNS9_4plusIvEENS9_8equal_toIxEExEE10hipError_tPvRmT2_T3_T4_T5_mT6_T7_P12ihipStream_tbENKUlT_T0_E_clISt17integral_constantIbLb0EESZ_EEDaSU_SV_EUlSU_E_NS1_11comp_targetILNS1_3genE0ELNS1_11target_archE4294967295ELNS1_3gpuE0ELNS1_3repE0EEENS1_30default_config_static_selectorELNS0_4arch9wavefront6targetE1EEEvT1_.kd
    .uniform_work_group_size: 1
    .uses_dynamic_stack: false
    .vgpr_count:     0
    .vgpr_spill_count: 0
    .wavefront_size: 64
  - .agpr_count:     0
    .args:
      - .offset:         0
        .size:           136
        .value_kind:     by_value
    .group_segment_fixed_size: 0
    .kernarg_segment_align: 8
    .kernarg_segment_size: 136
    .language:       OpenCL C
    .language_version:
      - 2
      - 0
    .max_flat_workgroup_size: 256
    .name:           _ZN7rocprim17ROCPRIM_400000_NS6detail17trampoline_kernelINS0_14default_configENS1_27scan_by_key_config_selectorIxxEEZZNS1_16scan_by_key_implILNS1_25lookback_scan_determinismE0ELb0ES3_N6thrust23THRUST_200600_302600_NS6detail15normal_iteratorINS9_10device_ptrIxEEEESE_SE_xNS9_4plusIvEENS9_8equal_toIxEExEE10hipError_tPvRmT2_T3_T4_T5_mT6_T7_P12ihipStream_tbENKUlT_T0_E_clISt17integral_constantIbLb0EESZ_EEDaSU_SV_EUlSU_E_NS1_11comp_targetILNS1_3genE10ELNS1_11target_archE1201ELNS1_3gpuE5ELNS1_3repE0EEENS1_30default_config_static_selectorELNS0_4arch9wavefront6targetE1EEEvT1_
    .private_segment_fixed_size: 0
    .sgpr_count:     6
    .sgpr_spill_count: 0
    .symbol:         _ZN7rocprim17ROCPRIM_400000_NS6detail17trampoline_kernelINS0_14default_configENS1_27scan_by_key_config_selectorIxxEEZZNS1_16scan_by_key_implILNS1_25lookback_scan_determinismE0ELb0ES3_N6thrust23THRUST_200600_302600_NS6detail15normal_iteratorINS9_10device_ptrIxEEEESE_SE_xNS9_4plusIvEENS9_8equal_toIxEExEE10hipError_tPvRmT2_T3_T4_T5_mT6_T7_P12ihipStream_tbENKUlT_T0_E_clISt17integral_constantIbLb0EESZ_EEDaSU_SV_EUlSU_E_NS1_11comp_targetILNS1_3genE10ELNS1_11target_archE1201ELNS1_3gpuE5ELNS1_3repE0EEENS1_30default_config_static_selectorELNS0_4arch9wavefront6targetE1EEEvT1_.kd
    .uniform_work_group_size: 1
    .uses_dynamic_stack: false
    .vgpr_count:     0
    .vgpr_spill_count: 0
    .wavefront_size: 64
  - .agpr_count:     0
    .args:
      - .offset:         0
        .size:           136
        .value_kind:     by_value
    .group_segment_fixed_size: 32768
    .kernarg_segment_align: 8
    .kernarg_segment_size: 136
    .language:       OpenCL C
    .language_version:
      - 2
      - 0
    .max_flat_workgroup_size: 256
    .name:           _ZN7rocprim17ROCPRIM_400000_NS6detail17trampoline_kernelINS0_14default_configENS1_27scan_by_key_config_selectorIxxEEZZNS1_16scan_by_key_implILNS1_25lookback_scan_determinismE0ELb0ES3_N6thrust23THRUST_200600_302600_NS6detail15normal_iteratorINS9_10device_ptrIxEEEESE_SE_xNS9_4plusIvEENS9_8equal_toIxEExEE10hipError_tPvRmT2_T3_T4_T5_mT6_T7_P12ihipStream_tbENKUlT_T0_E_clISt17integral_constantIbLb0EESZ_EEDaSU_SV_EUlSU_E_NS1_11comp_targetILNS1_3genE5ELNS1_11target_archE942ELNS1_3gpuE9ELNS1_3repE0EEENS1_30default_config_static_selectorELNS0_4arch9wavefront6targetE1EEEvT1_
    .private_segment_fixed_size: 0
    .sgpr_count:     72
    .sgpr_spill_count: 0
    .symbol:         _ZN7rocprim17ROCPRIM_400000_NS6detail17trampoline_kernelINS0_14default_configENS1_27scan_by_key_config_selectorIxxEEZZNS1_16scan_by_key_implILNS1_25lookback_scan_determinismE0ELb0ES3_N6thrust23THRUST_200600_302600_NS6detail15normal_iteratorINS9_10device_ptrIxEEEESE_SE_xNS9_4plusIvEENS9_8equal_toIxEExEE10hipError_tPvRmT2_T3_T4_T5_mT6_T7_P12ihipStream_tbENKUlT_T0_E_clISt17integral_constantIbLb0EESZ_EEDaSU_SV_EUlSU_E_NS1_11comp_targetILNS1_3genE5ELNS1_11target_archE942ELNS1_3gpuE9ELNS1_3repE0EEENS1_30default_config_static_selectorELNS0_4arch9wavefront6targetE1EEEvT1_.kd
    .uniform_work_group_size: 1
    .uses_dynamic_stack: false
    .vgpr_count:     92
    .vgpr_spill_count: 0
    .wavefront_size: 64
  - .agpr_count:     0
    .args:
      - .offset:         0
        .size:           136
        .value_kind:     by_value
    .group_segment_fixed_size: 0
    .kernarg_segment_align: 8
    .kernarg_segment_size: 136
    .language:       OpenCL C
    .language_version:
      - 2
      - 0
    .max_flat_workgroup_size: 64
    .name:           _ZN7rocprim17ROCPRIM_400000_NS6detail17trampoline_kernelINS0_14default_configENS1_27scan_by_key_config_selectorIxxEEZZNS1_16scan_by_key_implILNS1_25lookback_scan_determinismE0ELb0ES3_N6thrust23THRUST_200600_302600_NS6detail15normal_iteratorINS9_10device_ptrIxEEEESE_SE_xNS9_4plusIvEENS9_8equal_toIxEExEE10hipError_tPvRmT2_T3_T4_T5_mT6_T7_P12ihipStream_tbENKUlT_T0_E_clISt17integral_constantIbLb0EESZ_EEDaSU_SV_EUlSU_E_NS1_11comp_targetILNS1_3genE4ELNS1_11target_archE910ELNS1_3gpuE8ELNS1_3repE0EEENS1_30default_config_static_selectorELNS0_4arch9wavefront6targetE1EEEvT1_
    .private_segment_fixed_size: 0
    .sgpr_count:     6
    .sgpr_spill_count: 0
    .symbol:         _ZN7rocprim17ROCPRIM_400000_NS6detail17trampoline_kernelINS0_14default_configENS1_27scan_by_key_config_selectorIxxEEZZNS1_16scan_by_key_implILNS1_25lookback_scan_determinismE0ELb0ES3_N6thrust23THRUST_200600_302600_NS6detail15normal_iteratorINS9_10device_ptrIxEEEESE_SE_xNS9_4plusIvEENS9_8equal_toIxEExEE10hipError_tPvRmT2_T3_T4_T5_mT6_T7_P12ihipStream_tbENKUlT_T0_E_clISt17integral_constantIbLb0EESZ_EEDaSU_SV_EUlSU_E_NS1_11comp_targetILNS1_3genE4ELNS1_11target_archE910ELNS1_3gpuE8ELNS1_3repE0EEENS1_30default_config_static_selectorELNS0_4arch9wavefront6targetE1EEEvT1_.kd
    .uniform_work_group_size: 1
    .uses_dynamic_stack: false
    .vgpr_count:     0
    .vgpr_spill_count: 0
    .wavefront_size: 64
  - .agpr_count:     0
    .args:
      - .offset:         0
        .size:           136
        .value_kind:     by_value
    .group_segment_fixed_size: 0
    .kernarg_segment_align: 8
    .kernarg_segment_size: 136
    .language:       OpenCL C
    .language_version:
      - 2
      - 0
    .max_flat_workgroup_size: 256
    .name:           _ZN7rocprim17ROCPRIM_400000_NS6detail17trampoline_kernelINS0_14default_configENS1_27scan_by_key_config_selectorIxxEEZZNS1_16scan_by_key_implILNS1_25lookback_scan_determinismE0ELb0ES3_N6thrust23THRUST_200600_302600_NS6detail15normal_iteratorINS9_10device_ptrIxEEEESE_SE_xNS9_4plusIvEENS9_8equal_toIxEExEE10hipError_tPvRmT2_T3_T4_T5_mT6_T7_P12ihipStream_tbENKUlT_T0_E_clISt17integral_constantIbLb0EESZ_EEDaSU_SV_EUlSU_E_NS1_11comp_targetILNS1_3genE3ELNS1_11target_archE908ELNS1_3gpuE7ELNS1_3repE0EEENS1_30default_config_static_selectorELNS0_4arch9wavefront6targetE1EEEvT1_
    .private_segment_fixed_size: 0
    .sgpr_count:     6
    .sgpr_spill_count: 0
    .symbol:         _ZN7rocprim17ROCPRIM_400000_NS6detail17trampoline_kernelINS0_14default_configENS1_27scan_by_key_config_selectorIxxEEZZNS1_16scan_by_key_implILNS1_25lookback_scan_determinismE0ELb0ES3_N6thrust23THRUST_200600_302600_NS6detail15normal_iteratorINS9_10device_ptrIxEEEESE_SE_xNS9_4plusIvEENS9_8equal_toIxEExEE10hipError_tPvRmT2_T3_T4_T5_mT6_T7_P12ihipStream_tbENKUlT_T0_E_clISt17integral_constantIbLb0EESZ_EEDaSU_SV_EUlSU_E_NS1_11comp_targetILNS1_3genE3ELNS1_11target_archE908ELNS1_3gpuE7ELNS1_3repE0EEENS1_30default_config_static_selectorELNS0_4arch9wavefront6targetE1EEEvT1_.kd
    .uniform_work_group_size: 1
    .uses_dynamic_stack: false
    .vgpr_count:     0
    .vgpr_spill_count: 0
    .wavefront_size: 64
  - .agpr_count:     0
    .args:
      - .offset:         0
        .size:           136
        .value_kind:     by_value
    .group_segment_fixed_size: 0
    .kernarg_segment_align: 8
    .kernarg_segment_size: 136
    .language:       OpenCL C
    .language_version:
      - 2
      - 0
    .max_flat_workgroup_size: 256
    .name:           _ZN7rocprim17ROCPRIM_400000_NS6detail17trampoline_kernelINS0_14default_configENS1_27scan_by_key_config_selectorIxxEEZZNS1_16scan_by_key_implILNS1_25lookback_scan_determinismE0ELb0ES3_N6thrust23THRUST_200600_302600_NS6detail15normal_iteratorINS9_10device_ptrIxEEEESE_SE_xNS9_4plusIvEENS9_8equal_toIxEExEE10hipError_tPvRmT2_T3_T4_T5_mT6_T7_P12ihipStream_tbENKUlT_T0_E_clISt17integral_constantIbLb0EESZ_EEDaSU_SV_EUlSU_E_NS1_11comp_targetILNS1_3genE2ELNS1_11target_archE906ELNS1_3gpuE6ELNS1_3repE0EEENS1_30default_config_static_selectorELNS0_4arch9wavefront6targetE1EEEvT1_
    .private_segment_fixed_size: 0
    .sgpr_count:     6
    .sgpr_spill_count: 0
    .symbol:         _ZN7rocprim17ROCPRIM_400000_NS6detail17trampoline_kernelINS0_14default_configENS1_27scan_by_key_config_selectorIxxEEZZNS1_16scan_by_key_implILNS1_25lookback_scan_determinismE0ELb0ES3_N6thrust23THRUST_200600_302600_NS6detail15normal_iteratorINS9_10device_ptrIxEEEESE_SE_xNS9_4plusIvEENS9_8equal_toIxEExEE10hipError_tPvRmT2_T3_T4_T5_mT6_T7_P12ihipStream_tbENKUlT_T0_E_clISt17integral_constantIbLb0EESZ_EEDaSU_SV_EUlSU_E_NS1_11comp_targetILNS1_3genE2ELNS1_11target_archE906ELNS1_3gpuE6ELNS1_3repE0EEENS1_30default_config_static_selectorELNS0_4arch9wavefront6targetE1EEEvT1_.kd
    .uniform_work_group_size: 1
    .uses_dynamic_stack: false
    .vgpr_count:     0
    .vgpr_spill_count: 0
    .wavefront_size: 64
  - .agpr_count:     0
    .args:
      - .offset:         0
        .size:           136
        .value_kind:     by_value
    .group_segment_fixed_size: 0
    .kernarg_segment_align: 8
    .kernarg_segment_size: 136
    .language:       OpenCL C
    .language_version:
      - 2
      - 0
    .max_flat_workgroup_size: 256
    .name:           _ZN7rocprim17ROCPRIM_400000_NS6detail17trampoline_kernelINS0_14default_configENS1_27scan_by_key_config_selectorIxxEEZZNS1_16scan_by_key_implILNS1_25lookback_scan_determinismE0ELb0ES3_N6thrust23THRUST_200600_302600_NS6detail15normal_iteratorINS9_10device_ptrIxEEEESE_SE_xNS9_4plusIvEENS9_8equal_toIxEExEE10hipError_tPvRmT2_T3_T4_T5_mT6_T7_P12ihipStream_tbENKUlT_T0_E_clISt17integral_constantIbLb0EESZ_EEDaSU_SV_EUlSU_E_NS1_11comp_targetILNS1_3genE10ELNS1_11target_archE1200ELNS1_3gpuE4ELNS1_3repE0EEENS1_30default_config_static_selectorELNS0_4arch9wavefront6targetE1EEEvT1_
    .private_segment_fixed_size: 0
    .sgpr_count:     6
    .sgpr_spill_count: 0
    .symbol:         _ZN7rocprim17ROCPRIM_400000_NS6detail17trampoline_kernelINS0_14default_configENS1_27scan_by_key_config_selectorIxxEEZZNS1_16scan_by_key_implILNS1_25lookback_scan_determinismE0ELb0ES3_N6thrust23THRUST_200600_302600_NS6detail15normal_iteratorINS9_10device_ptrIxEEEESE_SE_xNS9_4plusIvEENS9_8equal_toIxEExEE10hipError_tPvRmT2_T3_T4_T5_mT6_T7_P12ihipStream_tbENKUlT_T0_E_clISt17integral_constantIbLb0EESZ_EEDaSU_SV_EUlSU_E_NS1_11comp_targetILNS1_3genE10ELNS1_11target_archE1200ELNS1_3gpuE4ELNS1_3repE0EEENS1_30default_config_static_selectorELNS0_4arch9wavefront6targetE1EEEvT1_.kd
    .uniform_work_group_size: 1
    .uses_dynamic_stack: false
    .vgpr_count:     0
    .vgpr_spill_count: 0
    .wavefront_size: 64
  - .agpr_count:     0
    .args:
      - .offset:         0
        .size:           136
        .value_kind:     by_value
    .group_segment_fixed_size: 0
    .kernarg_segment_align: 8
    .kernarg_segment_size: 136
    .language:       OpenCL C
    .language_version:
      - 2
      - 0
    .max_flat_workgroup_size: 256
    .name:           _ZN7rocprim17ROCPRIM_400000_NS6detail17trampoline_kernelINS0_14default_configENS1_27scan_by_key_config_selectorIxxEEZZNS1_16scan_by_key_implILNS1_25lookback_scan_determinismE0ELb0ES3_N6thrust23THRUST_200600_302600_NS6detail15normal_iteratorINS9_10device_ptrIxEEEESE_SE_xNS9_4plusIvEENS9_8equal_toIxEExEE10hipError_tPvRmT2_T3_T4_T5_mT6_T7_P12ihipStream_tbENKUlT_T0_E_clISt17integral_constantIbLb0EESZ_EEDaSU_SV_EUlSU_E_NS1_11comp_targetILNS1_3genE9ELNS1_11target_archE1100ELNS1_3gpuE3ELNS1_3repE0EEENS1_30default_config_static_selectorELNS0_4arch9wavefront6targetE1EEEvT1_
    .private_segment_fixed_size: 0
    .sgpr_count:     6
    .sgpr_spill_count: 0
    .symbol:         _ZN7rocprim17ROCPRIM_400000_NS6detail17trampoline_kernelINS0_14default_configENS1_27scan_by_key_config_selectorIxxEEZZNS1_16scan_by_key_implILNS1_25lookback_scan_determinismE0ELb0ES3_N6thrust23THRUST_200600_302600_NS6detail15normal_iteratorINS9_10device_ptrIxEEEESE_SE_xNS9_4plusIvEENS9_8equal_toIxEExEE10hipError_tPvRmT2_T3_T4_T5_mT6_T7_P12ihipStream_tbENKUlT_T0_E_clISt17integral_constantIbLb0EESZ_EEDaSU_SV_EUlSU_E_NS1_11comp_targetILNS1_3genE9ELNS1_11target_archE1100ELNS1_3gpuE3ELNS1_3repE0EEENS1_30default_config_static_selectorELNS0_4arch9wavefront6targetE1EEEvT1_.kd
    .uniform_work_group_size: 1
    .uses_dynamic_stack: false
    .vgpr_count:     0
    .vgpr_spill_count: 0
    .wavefront_size: 64
  - .agpr_count:     0
    .args:
      - .offset:         0
        .size:           136
        .value_kind:     by_value
    .group_segment_fixed_size: 0
    .kernarg_segment_align: 8
    .kernarg_segment_size: 136
    .language:       OpenCL C
    .language_version:
      - 2
      - 0
    .max_flat_workgroup_size: 256
    .name:           _ZN7rocprim17ROCPRIM_400000_NS6detail17trampoline_kernelINS0_14default_configENS1_27scan_by_key_config_selectorIxxEEZZNS1_16scan_by_key_implILNS1_25lookback_scan_determinismE0ELb0ES3_N6thrust23THRUST_200600_302600_NS6detail15normal_iteratorINS9_10device_ptrIxEEEESE_SE_xNS9_4plusIvEENS9_8equal_toIxEExEE10hipError_tPvRmT2_T3_T4_T5_mT6_T7_P12ihipStream_tbENKUlT_T0_E_clISt17integral_constantIbLb0EESZ_EEDaSU_SV_EUlSU_E_NS1_11comp_targetILNS1_3genE8ELNS1_11target_archE1030ELNS1_3gpuE2ELNS1_3repE0EEENS1_30default_config_static_selectorELNS0_4arch9wavefront6targetE1EEEvT1_
    .private_segment_fixed_size: 0
    .sgpr_count:     6
    .sgpr_spill_count: 0
    .symbol:         _ZN7rocprim17ROCPRIM_400000_NS6detail17trampoline_kernelINS0_14default_configENS1_27scan_by_key_config_selectorIxxEEZZNS1_16scan_by_key_implILNS1_25lookback_scan_determinismE0ELb0ES3_N6thrust23THRUST_200600_302600_NS6detail15normal_iteratorINS9_10device_ptrIxEEEESE_SE_xNS9_4plusIvEENS9_8equal_toIxEExEE10hipError_tPvRmT2_T3_T4_T5_mT6_T7_P12ihipStream_tbENKUlT_T0_E_clISt17integral_constantIbLb0EESZ_EEDaSU_SV_EUlSU_E_NS1_11comp_targetILNS1_3genE8ELNS1_11target_archE1030ELNS1_3gpuE2ELNS1_3repE0EEENS1_30default_config_static_selectorELNS0_4arch9wavefront6targetE1EEEvT1_.kd
    .uniform_work_group_size: 1
    .uses_dynamic_stack: false
    .vgpr_count:     0
    .vgpr_spill_count: 0
    .wavefront_size: 64
  - .agpr_count:     0
    .args:
      - .offset:         0
        .size:           136
        .value_kind:     by_value
    .group_segment_fixed_size: 0
    .kernarg_segment_align: 8
    .kernarg_segment_size: 136
    .language:       OpenCL C
    .language_version:
      - 2
      - 0
    .max_flat_workgroup_size: 256
    .name:           _ZN7rocprim17ROCPRIM_400000_NS6detail17trampoline_kernelINS0_14default_configENS1_27scan_by_key_config_selectorIxxEEZZNS1_16scan_by_key_implILNS1_25lookback_scan_determinismE0ELb0ES3_N6thrust23THRUST_200600_302600_NS6detail15normal_iteratorINS9_10device_ptrIxEEEESE_SE_xNS9_4plusIvEENS9_8equal_toIxEExEE10hipError_tPvRmT2_T3_T4_T5_mT6_T7_P12ihipStream_tbENKUlT_T0_E_clISt17integral_constantIbLb1EESZ_EEDaSU_SV_EUlSU_E_NS1_11comp_targetILNS1_3genE0ELNS1_11target_archE4294967295ELNS1_3gpuE0ELNS1_3repE0EEENS1_30default_config_static_selectorELNS0_4arch9wavefront6targetE1EEEvT1_
    .private_segment_fixed_size: 0
    .sgpr_count:     6
    .sgpr_spill_count: 0
    .symbol:         _ZN7rocprim17ROCPRIM_400000_NS6detail17trampoline_kernelINS0_14default_configENS1_27scan_by_key_config_selectorIxxEEZZNS1_16scan_by_key_implILNS1_25lookback_scan_determinismE0ELb0ES3_N6thrust23THRUST_200600_302600_NS6detail15normal_iteratorINS9_10device_ptrIxEEEESE_SE_xNS9_4plusIvEENS9_8equal_toIxEExEE10hipError_tPvRmT2_T3_T4_T5_mT6_T7_P12ihipStream_tbENKUlT_T0_E_clISt17integral_constantIbLb1EESZ_EEDaSU_SV_EUlSU_E_NS1_11comp_targetILNS1_3genE0ELNS1_11target_archE4294967295ELNS1_3gpuE0ELNS1_3repE0EEENS1_30default_config_static_selectorELNS0_4arch9wavefront6targetE1EEEvT1_.kd
    .uniform_work_group_size: 1
    .uses_dynamic_stack: false
    .vgpr_count:     0
    .vgpr_spill_count: 0
    .wavefront_size: 64
  - .agpr_count:     0
    .args:
      - .offset:         0
        .size:           136
        .value_kind:     by_value
    .group_segment_fixed_size: 0
    .kernarg_segment_align: 8
    .kernarg_segment_size: 136
    .language:       OpenCL C
    .language_version:
      - 2
      - 0
    .max_flat_workgroup_size: 256
    .name:           _ZN7rocprim17ROCPRIM_400000_NS6detail17trampoline_kernelINS0_14default_configENS1_27scan_by_key_config_selectorIxxEEZZNS1_16scan_by_key_implILNS1_25lookback_scan_determinismE0ELb0ES3_N6thrust23THRUST_200600_302600_NS6detail15normal_iteratorINS9_10device_ptrIxEEEESE_SE_xNS9_4plusIvEENS9_8equal_toIxEExEE10hipError_tPvRmT2_T3_T4_T5_mT6_T7_P12ihipStream_tbENKUlT_T0_E_clISt17integral_constantIbLb1EESZ_EEDaSU_SV_EUlSU_E_NS1_11comp_targetILNS1_3genE10ELNS1_11target_archE1201ELNS1_3gpuE5ELNS1_3repE0EEENS1_30default_config_static_selectorELNS0_4arch9wavefront6targetE1EEEvT1_
    .private_segment_fixed_size: 0
    .sgpr_count:     6
    .sgpr_spill_count: 0
    .symbol:         _ZN7rocprim17ROCPRIM_400000_NS6detail17trampoline_kernelINS0_14default_configENS1_27scan_by_key_config_selectorIxxEEZZNS1_16scan_by_key_implILNS1_25lookback_scan_determinismE0ELb0ES3_N6thrust23THRUST_200600_302600_NS6detail15normal_iteratorINS9_10device_ptrIxEEEESE_SE_xNS9_4plusIvEENS9_8equal_toIxEExEE10hipError_tPvRmT2_T3_T4_T5_mT6_T7_P12ihipStream_tbENKUlT_T0_E_clISt17integral_constantIbLb1EESZ_EEDaSU_SV_EUlSU_E_NS1_11comp_targetILNS1_3genE10ELNS1_11target_archE1201ELNS1_3gpuE5ELNS1_3repE0EEENS1_30default_config_static_selectorELNS0_4arch9wavefront6targetE1EEEvT1_.kd
    .uniform_work_group_size: 1
    .uses_dynamic_stack: false
    .vgpr_count:     0
    .vgpr_spill_count: 0
    .wavefront_size: 64
  - .agpr_count:     0
    .args:
      - .offset:         0
        .size:           136
        .value_kind:     by_value
    .group_segment_fixed_size: 32768
    .kernarg_segment_align: 8
    .kernarg_segment_size: 136
    .language:       OpenCL C
    .language_version:
      - 2
      - 0
    .max_flat_workgroup_size: 256
    .name:           _ZN7rocprim17ROCPRIM_400000_NS6detail17trampoline_kernelINS0_14default_configENS1_27scan_by_key_config_selectorIxxEEZZNS1_16scan_by_key_implILNS1_25lookback_scan_determinismE0ELb0ES3_N6thrust23THRUST_200600_302600_NS6detail15normal_iteratorINS9_10device_ptrIxEEEESE_SE_xNS9_4plusIvEENS9_8equal_toIxEExEE10hipError_tPvRmT2_T3_T4_T5_mT6_T7_P12ihipStream_tbENKUlT_T0_E_clISt17integral_constantIbLb1EESZ_EEDaSU_SV_EUlSU_E_NS1_11comp_targetILNS1_3genE5ELNS1_11target_archE942ELNS1_3gpuE9ELNS1_3repE0EEENS1_30default_config_static_selectorELNS0_4arch9wavefront6targetE1EEEvT1_
    .private_segment_fixed_size: 0
    .sgpr_count:     76
    .sgpr_spill_count: 0
    .symbol:         _ZN7rocprim17ROCPRIM_400000_NS6detail17trampoline_kernelINS0_14default_configENS1_27scan_by_key_config_selectorIxxEEZZNS1_16scan_by_key_implILNS1_25lookback_scan_determinismE0ELb0ES3_N6thrust23THRUST_200600_302600_NS6detail15normal_iteratorINS9_10device_ptrIxEEEESE_SE_xNS9_4plusIvEENS9_8equal_toIxEExEE10hipError_tPvRmT2_T3_T4_T5_mT6_T7_P12ihipStream_tbENKUlT_T0_E_clISt17integral_constantIbLb1EESZ_EEDaSU_SV_EUlSU_E_NS1_11comp_targetILNS1_3genE5ELNS1_11target_archE942ELNS1_3gpuE9ELNS1_3repE0EEENS1_30default_config_static_selectorELNS0_4arch9wavefront6targetE1EEEvT1_.kd
    .uniform_work_group_size: 1
    .uses_dynamic_stack: false
    .vgpr_count:     92
    .vgpr_spill_count: 0
    .wavefront_size: 64
  - .agpr_count:     0
    .args:
      - .offset:         0
        .size:           136
        .value_kind:     by_value
    .group_segment_fixed_size: 0
    .kernarg_segment_align: 8
    .kernarg_segment_size: 136
    .language:       OpenCL C
    .language_version:
      - 2
      - 0
    .max_flat_workgroup_size: 64
    .name:           _ZN7rocprim17ROCPRIM_400000_NS6detail17trampoline_kernelINS0_14default_configENS1_27scan_by_key_config_selectorIxxEEZZNS1_16scan_by_key_implILNS1_25lookback_scan_determinismE0ELb0ES3_N6thrust23THRUST_200600_302600_NS6detail15normal_iteratorINS9_10device_ptrIxEEEESE_SE_xNS9_4plusIvEENS9_8equal_toIxEExEE10hipError_tPvRmT2_T3_T4_T5_mT6_T7_P12ihipStream_tbENKUlT_T0_E_clISt17integral_constantIbLb1EESZ_EEDaSU_SV_EUlSU_E_NS1_11comp_targetILNS1_3genE4ELNS1_11target_archE910ELNS1_3gpuE8ELNS1_3repE0EEENS1_30default_config_static_selectorELNS0_4arch9wavefront6targetE1EEEvT1_
    .private_segment_fixed_size: 0
    .sgpr_count:     6
    .sgpr_spill_count: 0
    .symbol:         _ZN7rocprim17ROCPRIM_400000_NS6detail17trampoline_kernelINS0_14default_configENS1_27scan_by_key_config_selectorIxxEEZZNS1_16scan_by_key_implILNS1_25lookback_scan_determinismE0ELb0ES3_N6thrust23THRUST_200600_302600_NS6detail15normal_iteratorINS9_10device_ptrIxEEEESE_SE_xNS9_4plusIvEENS9_8equal_toIxEExEE10hipError_tPvRmT2_T3_T4_T5_mT6_T7_P12ihipStream_tbENKUlT_T0_E_clISt17integral_constantIbLb1EESZ_EEDaSU_SV_EUlSU_E_NS1_11comp_targetILNS1_3genE4ELNS1_11target_archE910ELNS1_3gpuE8ELNS1_3repE0EEENS1_30default_config_static_selectorELNS0_4arch9wavefront6targetE1EEEvT1_.kd
    .uniform_work_group_size: 1
    .uses_dynamic_stack: false
    .vgpr_count:     0
    .vgpr_spill_count: 0
    .wavefront_size: 64
  - .agpr_count:     0
    .args:
      - .offset:         0
        .size:           136
        .value_kind:     by_value
    .group_segment_fixed_size: 0
    .kernarg_segment_align: 8
    .kernarg_segment_size: 136
    .language:       OpenCL C
    .language_version:
      - 2
      - 0
    .max_flat_workgroup_size: 256
    .name:           _ZN7rocprim17ROCPRIM_400000_NS6detail17trampoline_kernelINS0_14default_configENS1_27scan_by_key_config_selectorIxxEEZZNS1_16scan_by_key_implILNS1_25lookback_scan_determinismE0ELb0ES3_N6thrust23THRUST_200600_302600_NS6detail15normal_iteratorINS9_10device_ptrIxEEEESE_SE_xNS9_4plusIvEENS9_8equal_toIxEExEE10hipError_tPvRmT2_T3_T4_T5_mT6_T7_P12ihipStream_tbENKUlT_T0_E_clISt17integral_constantIbLb1EESZ_EEDaSU_SV_EUlSU_E_NS1_11comp_targetILNS1_3genE3ELNS1_11target_archE908ELNS1_3gpuE7ELNS1_3repE0EEENS1_30default_config_static_selectorELNS0_4arch9wavefront6targetE1EEEvT1_
    .private_segment_fixed_size: 0
    .sgpr_count:     6
    .sgpr_spill_count: 0
    .symbol:         _ZN7rocprim17ROCPRIM_400000_NS6detail17trampoline_kernelINS0_14default_configENS1_27scan_by_key_config_selectorIxxEEZZNS1_16scan_by_key_implILNS1_25lookback_scan_determinismE0ELb0ES3_N6thrust23THRUST_200600_302600_NS6detail15normal_iteratorINS9_10device_ptrIxEEEESE_SE_xNS9_4plusIvEENS9_8equal_toIxEExEE10hipError_tPvRmT2_T3_T4_T5_mT6_T7_P12ihipStream_tbENKUlT_T0_E_clISt17integral_constantIbLb1EESZ_EEDaSU_SV_EUlSU_E_NS1_11comp_targetILNS1_3genE3ELNS1_11target_archE908ELNS1_3gpuE7ELNS1_3repE0EEENS1_30default_config_static_selectorELNS0_4arch9wavefront6targetE1EEEvT1_.kd
    .uniform_work_group_size: 1
    .uses_dynamic_stack: false
    .vgpr_count:     0
    .vgpr_spill_count: 0
    .wavefront_size: 64
  - .agpr_count:     0
    .args:
      - .offset:         0
        .size:           136
        .value_kind:     by_value
    .group_segment_fixed_size: 0
    .kernarg_segment_align: 8
    .kernarg_segment_size: 136
    .language:       OpenCL C
    .language_version:
      - 2
      - 0
    .max_flat_workgroup_size: 256
    .name:           _ZN7rocprim17ROCPRIM_400000_NS6detail17trampoline_kernelINS0_14default_configENS1_27scan_by_key_config_selectorIxxEEZZNS1_16scan_by_key_implILNS1_25lookback_scan_determinismE0ELb0ES3_N6thrust23THRUST_200600_302600_NS6detail15normal_iteratorINS9_10device_ptrIxEEEESE_SE_xNS9_4plusIvEENS9_8equal_toIxEExEE10hipError_tPvRmT2_T3_T4_T5_mT6_T7_P12ihipStream_tbENKUlT_T0_E_clISt17integral_constantIbLb1EESZ_EEDaSU_SV_EUlSU_E_NS1_11comp_targetILNS1_3genE2ELNS1_11target_archE906ELNS1_3gpuE6ELNS1_3repE0EEENS1_30default_config_static_selectorELNS0_4arch9wavefront6targetE1EEEvT1_
    .private_segment_fixed_size: 0
    .sgpr_count:     6
    .sgpr_spill_count: 0
    .symbol:         _ZN7rocprim17ROCPRIM_400000_NS6detail17trampoline_kernelINS0_14default_configENS1_27scan_by_key_config_selectorIxxEEZZNS1_16scan_by_key_implILNS1_25lookback_scan_determinismE0ELb0ES3_N6thrust23THRUST_200600_302600_NS6detail15normal_iteratorINS9_10device_ptrIxEEEESE_SE_xNS9_4plusIvEENS9_8equal_toIxEExEE10hipError_tPvRmT2_T3_T4_T5_mT6_T7_P12ihipStream_tbENKUlT_T0_E_clISt17integral_constantIbLb1EESZ_EEDaSU_SV_EUlSU_E_NS1_11comp_targetILNS1_3genE2ELNS1_11target_archE906ELNS1_3gpuE6ELNS1_3repE0EEENS1_30default_config_static_selectorELNS0_4arch9wavefront6targetE1EEEvT1_.kd
    .uniform_work_group_size: 1
    .uses_dynamic_stack: false
    .vgpr_count:     0
    .vgpr_spill_count: 0
    .wavefront_size: 64
  - .agpr_count:     0
    .args:
      - .offset:         0
        .size:           136
        .value_kind:     by_value
    .group_segment_fixed_size: 0
    .kernarg_segment_align: 8
    .kernarg_segment_size: 136
    .language:       OpenCL C
    .language_version:
      - 2
      - 0
    .max_flat_workgroup_size: 256
    .name:           _ZN7rocprim17ROCPRIM_400000_NS6detail17trampoline_kernelINS0_14default_configENS1_27scan_by_key_config_selectorIxxEEZZNS1_16scan_by_key_implILNS1_25lookback_scan_determinismE0ELb0ES3_N6thrust23THRUST_200600_302600_NS6detail15normal_iteratorINS9_10device_ptrIxEEEESE_SE_xNS9_4plusIvEENS9_8equal_toIxEExEE10hipError_tPvRmT2_T3_T4_T5_mT6_T7_P12ihipStream_tbENKUlT_T0_E_clISt17integral_constantIbLb1EESZ_EEDaSU_SV_EUlSU_E_NS1_11comp_targetILNS1_3genE10ELNS1_11target_archE1200ELNS1_3gpuE4ELNS1_3repE0EEENS1_30default_config_static_selectorELNS0_4arch9wavefront6targetE1EEEvT1_
    .private_segment_fixed_size: 0
    .sgpr_count:     6
    .sgpr_spill_count: 0
    .symbol:         _ZN7rocprim17ROCPRIM_400000_NS6detail17trampoline_kernelINS0_14default_configENS1_27scan_by_key_config_selectorIxxEEZZNS1_16scan_by_key_implILNS1_25lookback_scan_determinismE0ELb0ES3_N6thrust23THRUST_200600_302600_NS6detail15normal_iteratorINS9_10device_ptrIxEEEESE_SE_xNS9_4plusIvEENS9_8equal_toIxEExEE10hipError_tPvRmT2_T3_T4_T5_mT6_T7_P12ihipStream_tbENKUlT_T0_E_clISt17integral_constantIbLb1EESZ_EEDaSU_SV_EUlSU_E_NS1_11comp_targetILNS1_3genE10ELNS1_11target_archE1200ELNS1_3gpuE4ELNS1_3repE0EEENS1_30default_config_static_selectorELNS0_4arch9wavefront6targetE1EEEvT1_.kd
    .uniform_work_group_size: 1
    .uses_dynamic_stack: false
    .vgpr_count:     0
    .vgpr_spill_count: 0
    .wavefront_size: 64
  - .agpr_count:     0
    .args:
      - .offset:         0
        .size:           136
        .value_kind:     by_value
    .group_segment_fixed_size: 0
    .kernarg_segment_align: 8
    .kernarg_segment_size: 136
    .language:       OpenCL C
    .language_version:
      - 2
      - 0
    .max_flat_workgroup_size: 256
    .name:           _ZN7rocprim17ROCPRIM_400000_NS6detail17trampoline_kernelINS0_14default_configENS1_27scan_by_key_config_selectorIxxEEZZNS1_16scan_by_key_implILNS1_25lookback_scan_determinismE0ELb0ES3_N6thrust23THRUST_200600_302600_NS6detail15normal_iteratorINS9_10device_ptrIxEEEESE_SE_xNS9_4plusIvEENS9_8equal_toIxEExEE10hipError_tPvRmT2_T3_T4_T5_mT6_T7_P12ihipStream_tbENKUlT_T0_E_clISt17integral_constantIbLb1EESZ_EEDaSU_SV_EUlSU_E_NS1_11comp_targetILNS1_3genE9ELNS1_11target_archE1100ELNS1_3gpuE3ELNS1_3repE0EEENS1_30default_config_static_selectorELNS0_4arch9wavefront6targetE1EEEvT1_
    .private_segment_fixed_size: 0
    .sgpr_count:     6
    .sgpr_spill_count: 0
    .symbol:         _ZN7rocprim17ROCPRIM_400000_NS6detail17trampoline_kernelINS0_14default_configENS1_27scan_by_key_config_selectorIxxEEZZNS1_16scan_by_key_implILNS1_25lookback_scan_determinismE0ELb0ES3_N6thrust23THRUST_200600_302600_NS6detail15normal_iteratorINS9_10device_ptrIxEEEESE_SE_xNS9_4plusIvEENS9_8equal_toIxEExEE10hipError_tPvRmT2_T3_T4_T5_mT6_T7_P12ihipStream_tbENKUlT_T0_E_clISt17integral_constantIbLb1EESZ_EEDaSU_SV_EUlSU_E_NS1_11comp_targetILNS1_3genE9ELNS1_11target_archE1100ELNS1_3gpuE3ELNS1_3repE0EEENS1_30default_config_static_selectorELNS0_4arch9wavefront6targetE1EEEvT1_.kd
    .uniform_work_group_size: 1
    .uses_dynamic_stack: false
    .vgpr_count:     0
    .vgpr_spill_count: 0
    .wavefront_size: 64
  - .agpr_count:     0
    .args:
      - .offset:         0
        .size:           136
        .value_kind:     by_value
    .group_segment_fixed_size: 0
    .kernarg_segment_align: 8
    .kernarg_segment_size: 136
    .language:       OpenCL C
    .language_version:
      - 2
      - 0
    .max_flat_workgroup_size: 256
    .name:           _ZN7rocprim17ROCPRIM_400000_NS6detail17trampoline_kernelINS0_14default_configENS1_27scan_by_key_config_selectorIxxEEZZNS1_16scan_by_key_implILNS1_25lookback_scan_determinismE0ELb0ES3_N6thrust23THRUST_200600_302600_NS6detail15normal_iteratorINS9_10device_ptrIxEEEESE_SE_xNS9_4plusIvEENS9_8equal_toIxEExEE10hipError_tPvRmT2_T3_T4_T5_mT6_T7_P12ihipStream_tbENKUlT_T0_E_clISt17integral_constantIbLb1EESZ_EEDaSU_SV_EUlSU_E_NS1_11comp_targetILNS1_3genE8ELNS1_11target_archE1030ELNS1_3gpuE2ELNS1_3repE0EEENS1_30default_config_static_selectorELNS0_4arch9wavefront6targetE1EEEvT1_
    .private_segment_fixed_size: 0
    .sgpr_count:     6
    .sgpr_spill_count: 0
    .symbol:         _ZN7rocprim17ROCPRIM_400000_NS6detail17trampoline_kernelINS0_14default_configENS1_27scan_by_key_config_selectorIxxEEZZNS1_16scan_by_key_implILNS1_25lookback_scan_determinismE0ELb0ES3_N6thrust23THRUST_200600_302600_NS6detail15normal_iteratorINS9_10device_ptrIxEEEESE_SE_xNS9_4plusIvEENS9_8equal_toIxEExEE10hipError_tPvRmT2_T3_T4_T5_mT6_T7_P12ihipStream_tbENKUlT_T0_E_clISt17integral_constantIbLb1EESZ_EEDaSU_SV_EUlSU_E_NS1_11comp_targetILNS1_3genE8ELNS1_11target_archE1030ELNS1_3gpuE2ELNS1_3repE0EEENS1_30default_config_static_selectorELNS0_4arch9wavefront6targetE1EEEvT1_.kd
    .uniform_work_group_size: 1
    .uses_dynamic_stack: false
    .vgpr_count:     0
    .vgpr_spill_count: 0
    .wavefront_size: 64
  - .agpr_count:     0
    .args:
      - .offset:         0
        .size:           136
        .value_kind:     by_value
    .group_segment_fixed_size: 0
    .kernarg_segment_align: 8
    .kernarg_segment_size: 136
    .language:       OpenCL C
    .language_version:
      - 2
      - 0
    .max_flat_workgroup_size: 256
    .name:           _ZN7rocprim17ROCPRIM_400000_NS6detail17trampoline_kernelINS0_14default_configENS1_27scan_by_key_config_selectorIxxEEZZNS1_16scan_by_key_implILNS1_25lookback_scan_determinismE0ELb0ES3_N6thrust23THRUST_200600_302600_NS6detail15normal_iteratorINS9_10device_ptrIxEEEESE_SE_xNS9_4plusIvEENS9_8equal_toIxEExEE10hipError_tPvRmT2_T3_T4_T5_mT6_T7_P12ihipStream_tbENKUlT_T0_E_clISt17integral_constantIbLb1EESY_IbLb0EEEEDaSU_SV_EUlSU_E_NS1_11comp_targetILNS1_3genE0ELNS1_11target_archE4294967295ELNS1_3gpuE0ELNS1_3repE0EEENS1_30default_config_static_selectorELNS0_4arch9wavefront6targetE1EEEvT1_
    .private_segment_fixed_size: 0
    .sgpr_count:     6
    .sgpr_spill_count: 0
    .symbol:         _ZN7rocprim17ROCPRIM_400000_NS6detail17trampoline_kernelINS0_14default_configENS1_27scan_by_key_config_selectorIxxEEZZNS1_16scan_by_key_implILNS1_25lookback_scan_determinismE0ELb0ES3_N6thrust23THRUST_200600_302600_NS6detail15normal_iteratorINS9_10device_ptrIxEEEESE_SE_xNS9_4plusIvEENS9_8equal_toIxEExEE10hipError_tPvRmT2_T3_T4_T5_mT6_T7_P12ihipStream_tbENKUlT_T0_E_clISt17integral_constantIbLb1EESY_IbLb0EEEEDaSU_SV_EUlSU_E_NS1_11comp_targetILNS1_3genE0ELNS1_11target_archE4294967295ELNS1_3gpuE0ELNS1_3repE0EEENS1_30default_config_static_selectorELNS0_4arch9wavefront6targetE1EEEvT1_.kd
    .uniform_work_group_size: 1
    .uses_dynamic_stack: false
    .vgpr_count:     0
    .vgpr_spill_count: 0
    .wavefront_size: 64
  - .agpr_count:     0
    .args:
      - .offset:         0
        .size:           136
        .value_kind:     by_value
    .group_segment_fixed_size: 0
    .kernarg_segment_align: 8
    .kernarg_segment_size: 136
    .language:       OpenCL C
    .language_version:
      - 2
      - 0
    .max_flat_workgroup_size: 256
    .name:           _ZN7rocprim17ROCPRIM_400000_NS6detail17trampoline_kernelINS0_14default_configENS1_27scan_by_key_config_selectorIxxEEZZNS1_16scan_by_key_implILNS1_25lookback_scan_determinismE0ELb0ES3_N6thrust23THRUST_200600_302600_NS6detail15normal_iteratorINS9_10device_ptrIxEEEESE_SE_xNS9_4plusIvEENS9_8equal_toIxEExEE10hipError_tPvRmT2_T3_T4_T5_mT6_T7_P12ihipStream_tbENKUlT_T0_E_clISt17integral_constantIbLb1EESY_IbLb0EEEEDaSU_SV_EUlSU_E_NS1_11comp_targetILNS1_3genE10ELNS1_11target_archE1201ELNS1_3gpuE5ELNS1_3repE0EEENS1_30default_config_static_selectorELNS0_4arch9wavefront6targetE1EEEvT1_
    .private_segment_fixed_size: 0
    .sgpr_count:     6
    .sgpr_spill_count: 0
    .symbol:         _ZN7rocprim17ROCPRIM_400000_NS6detail17trampoline_kernelINS0_14default_configENS1_27scan_by_key_config_selectorIxxEEZZNS1_16scan_by_key_implILNS1_25lookback_scan_determinismE0ELb0ES3_N6thrust23THRUST_200600_302600_NS6detail15normal_iteratorINS9_10device_ptrIxEEEESE_SE_xNS9_4plusIvEENS9_8equal_toIxEExEE10hipError_tPvRmT2_T3_T4_T5_mT6_T7_P12ihipStream_tbENKUlT_T0_E_clISt17integral_constantIbLb1EESY_IbLb0EEEEDaSU_SV_EUlSU_E_NS1_11comp_targetILNS1_3genE10ELNS1_11target_archE1201ELNS1_3gpuE5ELNS1_3repE0EEENS1_30default_config_static_selectorELNS0_4arch9wavefront6targetE1EEEvT1_.kd
    .uniform_work_group_size: 1
    .uses_dynamic_stack: false
    .vgpr_count:     0
    .vgpr_spill_count: 0
    .wavefront_size: 64
  - .agpr_count:     0
    .args:
      - .offset:         0
        .size:           136
        .value_kind:     by_value
    .group_segment_fixed_size: 32768
    .kernarg_segment_align: 8
    .kernarg_segment_size: 136
    .language:       OpenCL C
    .language_version:
      - 2
      - 0
    .max_flat_workgroup_size: 256
    .name:           _ZN7rocprim17ROCPRIM_400000_NS6detail17trampoline_kernelINS0_14default_configENS1_27scan_by_key_config_selectorIxxEEZZNS1_16scan_by_key_implILNS1_25lookback_scan_determinismE0ELb0ES3_N6thrust23THRUST_200600_302600_NS6detail15normal_iteratorINS9_10device_ptrIxEEEESE_SE_xNS9_4plusIvEENS9_8equal_toIxEExEE10hipError_tPvRmT2_T3_T4_T5_mT6_T7_P12ihipStream_tbENKUlT_T0_E_clISt17integral_constantIbLb1EESY_IbLb0EEEEDaSU_SV_EUlSU_E_NS1_11comp_targetILNS1_3genE5ELNS1_11target_archE942ELNS1_3gpuE9ELNS1_3repE0EEENS1_30default_config_static_selectorELNS0_4arch9wavefront6targetE1EEEvT1_
    .private_segment_fixed_size: 0
    .sgpr_count:     72
    .sgpr_spill_count: 0
    .symbol:         _ZN7rocprim17ROCPRIM_400000_NS6detail17trampoline_kernelINS0_14default_configENS1_27scan_by_key_config_selectorIxxEEZZNS1_16scan_by_key_implILNS1_25lookback_scan_determinismE0ELb0ES3_N6thrust23THRUST_200600_302600_NS6detail15normal_iteratorINS9_10device_ptrIxEEEESE_SE_xNS9_4plusIvEENS9_8equal_toIxEExEE10hipError_tPvRmT2_T3_T4_T5_mT6_T7_P12ihipStream_tbENKUlT_T0_E_clISt17integral_constantIbLb1EESY_IbLb0EEEEDaSU_SV_EUlSU_E_NS1_11comp_targetILNS1_3genE5ELNS1_11target_archE942ELNS1_3gpuE9ELNS1_3repE0EEENS1_30default_config_static_selectorELNS0_4arch9wavefront6targetE1EEEvT1_.kd
    .uniform_work_group_size: 1
    .uses_dynamic_stack: false
    .vgpr_count:     92
    .vgpr_spill_count: 0
    .wavefront_size: 64
  - .agpr_count:     0
    .args:
      - .offset:         0
        .size:           136
        .value_kind:     by_value
    .group_segment_fixed_size: 0
    .kernarg_segment_align: 8
    .kernarg_segment_size: 136
    .language:       OpenCL C
    .language_version:
      - 2
      - 0
    .max_flat_workgroup_size: 64
    .name:           _ZN7rocprim17ROCPRIM_400000_NS6detail17trampoline_kernelINS0_14default_configENS1_27scan_by_key_config_selectorIxxEEZZNS1_16scan_by_key_implILNS1_25lookback_scan_determinismE0ELb0ES3_N6thrust23THRUST_200600_302600_NS6detail15normal_iteratorINS9_10device_ptrIxEEEESE_SE_xNS9_4plusIvEENS9_8equal_toIxEExEE10hipError_tPvRmT2_T3_T4_T5_mT6_T7_P12ihipStream_tbENKUlT_T0_E_clISt17integral_constantIbLb1EESY_IbLb0EEEEDaSU_SV_EUlSU_E_NS1_11comp_targetILNS1_3genE4ELNS1_11target_archE910ELNS1_3gpuE8ELNS1_3repE0EEENS1_30default_config_static_selectorELNS0_4arch9wavefront6targetE1EEEvT1_
    .private_segment_fixed_size: 0
    .sgpr_count:     6
    .sgpr_spill_count: 0
    .symbol:         _ZN7rocprim17ROCPRIM_400000_NS6detail17trampoline_kernelINS0_14default_configENS1_27scan_by_key_config_selectorIxxEEZZNS1_16scan_by_key_implILNS1_25lookback_scan_determinismE0ELb0ES3_N6thrust23THRUST_200600_302600_NS6detail15normal_iteratorINS9_10device_ptrIxEEEESE_SE_xNS9_4plusIvEENS9_8equal_toIxEExEE10hipError_tPvRmT2_T3_T4_T5_mT6_T7_P12ihipStream_tbENKUlT_T0_E_clISt17integral_constantIbLb1EESY_IbLb0EEEEDaSU_SV_EUlSU_E_NS1_11comp_targetILNS1_3genE4ELNS1_11target_archE910ELNS1_3gpuE8ELNS1_3repE0EEENS1_30default_config_static_selectorELNS0_4arch9wavefront6targetE1EEEvT1_.kd
    .uniform_work_group_size: 1
    .uses_dynamic_stack: false
    .vgpr_count:     0
    .vgpr_spill_count: 0
    .wavefront_size: 64
  - .agpr_count:     0
    .args:
      - .offset:         0
        .size:           136
        .value_kind:     by_value
    .group_segment_fixed_size: 0
    .kernarg_segment_align: 8
    .kernarg_segment_size: 136
    .language:       OpenCL C
    .language_version:
      - 2
      - 0
    .max_flat_workgroup_size: 256
    .name:           _ZN7rocprim17ROCPRIM_400000_NS6detail17trampoline_kernelINS0_14default_configENS1_27scan_by_key_config_selectorIxxEEZZNS1_16scan_by_key_implILNS1_25lookback_scan_determinismE0ELb0ES3_N6thrust23THRUST_200600_302600_NS6detail15normal_iteratorINS9_10device_ptrIxEEEESE_SE_xNS9_4plusIvEENS9_8equal_toIxEExEE10hipError_tPvRmT2_T3_T4_T5_mT6_T7_P12ihipStream_tbENKUlT_T0_E_clISt17integral_constantIbLb1EESY_IbLb0EEEEDaSU_SV_EUlSU_E_NS1_11comp_targetILNS1_3genE3ELNS1_11target_archE908ELNS1_3gpuE7ELNS1_3repE0EEENS1_30default_config_static_selectorELNS0_4arch9wavefront6targetE1EEEvT1_
    .private_segment_fixed_size: 0
    .sgpr_count:     6
    .sgpr_spill_count: 0
    .symbol:         _ZN7rocprim17ROCPRIM_400000_NS6detail17trampoline_kernelINS0_14default_configENS1_27scan_by_key_config_selectorIxxEEZZNS1_16scan_by_key_implILNS1_25lookback_scan_determinismE0ELb0ES3_N6thrust23THRUST_200600_302600_NS6detail15normal_iteratorINS9_10device_ptrIxEEEESE_SE_xNS9_4plusIvEENS9_8equal_toIxEExEE10hipError_tPvRmT2_T3_T4_T5_mT6_T7_P12ihipStream_tbENKUlT_T0_E_clISt17integral_constantIbLb1EESY_IbLb0EEEEDaSU_SV_EUlSU_E_NS1_11comp_targetILNS1_3genE3ELNS1_11target_archE908ELNS1_3gpuE7ELNS1_3repE0EEENS1_30default_config_static_selectorELNS0_4arch9wavefront6targetE1EEEvT1_.kd
    .uniform_work_group_size: 1
    .uses_dynamic_stack: false
    .vgpr_count:     0
    .vgpr_spill_count: 0
    .wavefront_size: 64
  - .agpr_count:     0
    .args:
      - .offset:         0
        .size:           136
        .value_kind:     by_value
    .group_segment_fixed_size: 0
    .kernarg_segment_align: 8
    .kernarg_segment_size: 136
    .language:       OpenCL C
    .language_version:
      - 2
      - 0
    .max_flat_workgroup_size: 256
    .name:           _ZN7rocprim17ROCPRIM_400000_NS6detail17trampoline_kernelINS0_14default_configENS1_27scan_by_key_config_selectorIxxEEZZNS1_16scan_by_key_implILNS1_25lookback_scan_determinismE0ELb0ES3_N6thrust23THRUST_200600_302600_NS6detail15normal_iteratorINS9_10device_ptrIxEEEESE_SE_xNS9_4plusIvEENS9_8equal_toIxEExEE10hipError_tPvRmT2_T3_T4_T5_mT6_T7_P12ihipStream_tbENKUlT_T0_E_clISt17integral_constantIbLb1EESY_IbLb0EEEEDaSU_SV_EUlSU_E_NS1_11comp_targetILNS1_3genE2ELNS1_11target_archE906ELNS1_3gpuE6ELNS1_3repE0EEENS1_30default_config_static_selectorELNS0_4arch9wavefront6targetE1EEEvT1_
    .private_segment_fixed_size: 0
    .sgpr_count:     6
    .sgpr_spill_count: 0
    .symbol:         _ZN7rocprim17ROCPRIM_400000_NS6detail17trampoline_kernelINS0_14default_configENS1_27scan_by_key_config_selectorIxxEEZZNS1_16scan_by_key_implILNS1_25lookback_scan_determinismE0ELb0ES3_N6thrust23THRUST_200600_302600_NS6detail15normal_iteratorINS9_10device_ptrIxEEEESE_SE_xNS9_4plusIvEENS9_8equal_toIxEExEE10hipError_tPvRmT2_T3_T4_T5_mT6_T7_P12ihipStream_tbENKUlT_T0_E_clISt17integral_constantIbLb1EESY_IbLb0EEEEDaSU_SV_EUlSU_E_NS1_11comp_targetILNS1_3genE2ELNS1_11target_archE906ELNS1_3gpuE6ELNS1_3repE0EEENS1_30default_config_static_selectorELNS0_4arch9wavefront6targetE1EEEvT1_.kd
    .uniform_work_group_size: 1
    .uses_dynamic_stack: false
    .vgpr_count:     0
    .vgpr_spill_count: 0
    .wavefront_size: 64
  - .agpr_count:     0
    .args:
      - .offset:         0
        .size:           136
        .value_kind:     by_value
    .group_segment_fixed_size: 0
    .kernarg_segment_align: 8
    .kernarg_segment_size: 136
    .language:       OpenCL C
    .language_version:
      - 2
      - 0
    .max_flat_workgroup_size: 256
    .name:           _ZN7rocprim17ROCPRIM_400000_NS6detail17trampoline_kernelINS0_14default_configENS1_27scan_by_key_config_selectorIxxEEZZNS1_16scan_by_key_implILNS1_25lookback_scan_determinismE0ELb0ES3_N6thrust23THRUST_200600_302600_NS6detail15normal_iteratorINS9_10device_ptrIxEEEESE_SE_xNS9_4plusIvEENS9_8equal_toIxEExEE10hipError_tPvRmT2_T3_T4_T5_mT6_T7_P12ihipStream_tbENKUlT_T0_E_clISt17integral_constantIbLb1EESY_IbLb0EEEEDaSU_SV_EUlSU_E_NS1_11comp_targetILNS1_3genE10ELNS1_11target_archE1200ELNS1_3gpuE4ELNS1_3repE0EEENS1_30default_config_static_selectorELNS0_4arch9wavefront6targetE1EEEvT1_
    .private_segment_fixed_size: 0
    .sgpr_count:     6
    .sgpr_spill_count: 0
    .symbol:         _ZN7rocprim17ROCPRIM_400000_NS6detail17trampoline_kernelINS0_14default_configENS1_27scan_by_key_config_selectorIxxEEZZNS1_16scan_by_key_implILNS1_25lookback_scan_determinismE0ELb0ES3_N6thrust23THRUST_200600_302600_NS6detail15normal_iteratorINS9_10device_ptrIxEEEESE_SE_xNS9_4plusIvEENS9_8equal_toIxEExEE10hipError_tPvRmT2_T3_T4_T5_mT6_T7_P12ihipStream_tbENKUlT_T0_E_clISt17integral_constantIbLb1EESY_IbLb0EEEEDaSU_SV_EUlSU_E_NS1_11comp_targetILNS1_3genE10ELNS1_11target_archE1200ELNS1_3gpuE4ELNS1_3repE0EEENS1_30default_config_static_selectorELNS0_4arch9wavefront6targetE1EEEvT1_.kd
    .uniform_work_group_size: 1
    .uses_dynamic_stack: false
    .vgpr_count:     0
    .vgpr_spill_count: 0
    .wavefront_size: 64
  - .agpr_count:     0
    .args:
      - .offset:         0
        .size:           136
        .value_kind:     by_value
    .group_segment_fixed_size: 0
    .kernarg_segment_align: 8
    .kernarg_segment_size: 136
    .language:       OpenCL C
    .language_version:
      - 2
      - 0
    .max_flat_workgroup_size: 256
    .name:           _ZN7rocprim17ROCPRIM_400000_NS6detail17trampoline_kernelINS0_14default_configENS1_27scan_by_key_config_selectorIxxEEZZNS1_16scan_by_key_implILNS1_25lookback_scan_determinismE0ELb0ES3_N6thrust23THRUST_200600_302600_NS6detail15normal_iteratorINS9_10device_ptrIxEEEESE_SE_xNS9_4plusIvEENS9_8equal_toIxEExEE10hipError_tPvRmT2_T3_T4_T5_mT6_T7_P12ihipStream_tbENKUlT_T0_E_clISt17integral_constantIbLb1EESY_IbLb0EEEEDaSU_SV_EUlSU_E_NS1_11comp_targetILNS1_3genE9ELNS1_11target_archE1100ELNS1_3gpuE3ELNS1_3repE0EEENS1_30default_config_static_selectorELNS0_4arch9wavefront6targetE1EEEvT1_
    .private_segment_fixed_size: 0
    .sgpr_count:     6
    .sgpr_spill_count: 0
    .symbol:         _ZN7rocprim17ROCPRIM_400000_NS6detail17trampoline_kernelINS0_14default_configENS1_27scan_by_key_config_selectorIxxEEZZNS1_16scan_by_key_implILNS1_25lookback_scan_determinismE0ELb0ES3_N6thrust23THRUST_200600_302600_NS6detail15normal_iteratorINS9_10device_ptrIxEEEESE_SE_xNS9_4plusIvEENS9_8equal_toIxEExEE10hipError_tPvRmT2_T3_T4_T5_mT6_T7_P12ihipStream_tbENKUlT_T0_E_clISt17integral_constantIbLb1EESY_IbLb0EEEEDaSU_SV_EUlSU_E_NS1_11comp_targetILNS1_3genE9ELNS1_11target_archE1100ELNS1_3gpuE3ELNS1_3repE0EEENS1_30default_config_static_selectorELNS0_4arch9wavefront6targetE1EEEvT1_.kd
    .uniform_work_group_size: 1
    .uses_dynamic_stack: false
    .vgpr_count:     0
    .vgpr_spill_count: 0
    .wavefront_size: 64
  - .agpr_count:     0
    .args:
      - .offset:         0
        .size:           136
        .value_kind:     by_value
    .group_segment_fixed_size: 0
    .kernarg_segment_align: 8
    .kernarg_segment_size: 136
    .language:       OpenCL C
    .language_version:
      - 2
      - 0
    .max_flat_workgroup_size: 256
    .name:           _ZN7rocprim17ROCPRIM_400000_NS6detail17trampoline_kernelINS0_14default_configENS1_27scan_by_key_config_selectorIxxEEZZNS1_16scan_by_key_implILNS1_25lookback_scan_determinismE0ELb0ES3_N6thrust23THRUST_200600_302600_NS6detail15normal_iteratorINS9_10device_ptrIxEEEESE_SE_xNS9_4plusIvEENS9_8equal_toIxEExEE10hipError_tPvRmT2_T3_T4_T5_mT6_T7_P12ihipStream_tbENKUlT_T0_E_clISt17integral_constantIbLb1EESY_IbLb0EEEEDaSU_SV_EUlSU_E_NS1_11comp_targetILNS1_3genE8ELNS1_11target_archE1030ELNS1_3gpuE2ELNS1_3repE0EEENS1_30default_config_static_selectorELNS0_4arch9wavefront6targetE1EEEvT1_
    .private_segment_fixed_size: 0
    .sgpr_count:     6
    .sgpr_spill_count: 0
    .symbol:         _ZN7rocprim17ROCPRIM_400000_NS6detail17trampoline_kernelINS0_14default_configENS1_27scan_by_key_config_selectorIxxEEZZNS1_16scan_by_key_implILNS1_25lookback_scan_determinismE0ELb0ES3_N6thrust23THRUST_200600_302600_NS6detail15normal_iteratorINS9_10device_ptrIxEEEESE_SE_xNS9_4plusIvEENS9_8equal_toIxEExEE10hipError_tPvRmT2_T3_T4_T5_mT6_T7_P12ihipStream_tbENKUlT_T0_E_clISt17integral_constantIbLb1EESY_IbLb0EEEEDaSU_SV_EUlSU_E_NS1_11comp_targetILNS1_3genE8ELNS1_11target_archE1030ELNS1_3gpuE2ELNS1_3repE0EEENS1_30default_config_static_selectorELNS0_4arch9wavefront6targetE1EEEvT1_.kd
    .uniform_work_group_size: 1
    .uses_dynamic_stack: false
    .vgpr_count:     0
    .vgpr_spill_count: 0
    .wavefront_size: 64
  - .agpr_count:     0
    .args:
      - .offset:         0
        .size:           136
        .value_kind:     by_value
    .group_segment_fixed_size: 0
    .kernarg_segment_align: 8
    .kernarg_segment_size: 136
    .language:       OpenCL C
    .language_version:
      - 2
      - 0
    .max_flat_workgroup_size: 256
    .name:           _ZN7rocprim17ROCPRIM_400000_NS6detail17trampoline_kernelINS0_14default_configENS1_27scan_by_key_config_selectorIxxEEZZNS1_16scan_by_key_implILNS1_25lookback_scan_determinismE0ELb0ES3_N6thrust23THRUST_200600_302600_NS6detail15normal_iteratorINS9_10device_ptrIxEEEESE_SE_xNS9_4plusIvEENS9_8equal_toIxEExEE10hipError_tPvRmT2_T3_T4_T5_mT6_T7_P12ihipStream_tbENKUlT_T0_E_clISt17integral_constantIbLb0EESY_IbLb1EEEEDaSU_SV_EUlSU_E_NS1_11comp_targetILNS1_3genE0ELNS1_11target_archE4294967295ELNS1_3gpuE0ELNS1_3repE0EEENS1_30default_config_static_selectorELNS0_4arch9wavefront6targetE1EEEvT1_
    .private_segment_fixed_size: 0
    .sgpr_count:     6
    .sgpr_spill_count: 0
    .symbol:         _ZN7rocprim17ROCPRIM_400000_NS6detail17trampoline_kernelINS0_14default_configENS1_27scan_by_key_config_selectorIxxEEZZNS1_16scan_by_key_implILNS1_25lookback_scan_determinismE0ELb0ES3_N6thrust23THRUST_200600_302600_NS6detail15normal_iteratorINS9_10device_ptrIxEEEESE_SE_xNS9_4plusIvEENS9_8equal_toIxEExEE10hipError_tPvRmT2_T3_T4_T5_mT6_T7_P12ihipStream_tbENKUlT_T0_E_clISt17integral_constantIbLb0EESY_IbLb1EEEEDaSU_SV_EUlSU_E_NS1_11comp_targetILNS1_3genE0ELNS1_11target_archE4294967295ELNS1_3gpuE0ELNS1_3repE0EEENS1_30default_config_static_selectorELNS0_4arch9wavefront6targetE1EEEvT1_.kd
    .uniform_work_group_size: 1
    .uses_dynamic_stack: false
    .vgpr_count:     0
    .vgpr_spill_count: 0
    .wavefront_size: 64
  - .agpr_count:     0
    .args:
      - .offset:         0
        .size:           136
        .value_kind:     by_value
    .group_segment_fixed_size: 0
    .kernarg_segment_align: 8
    .kernarg_segment_size: 136
    .language:       OpenCL C
    .language_version:
      - 2
      - 0
    .max_flat_workgroup_size: 256
    .name:           _ZN7rocprim17ROCPRIM_400000_NS6detail17trampoline_kernelINS0_14default_configENS1_27scan_by_key_config_selectorIxxEEZZNS1_16scan_by_key_implILNS1_25lookback_scan_determinismE0ELb0ES3_N6thrust23THRUST_200600_302600_NS6detail15normal_iteratorINS9_10device_ptrIxEEEESE_SE_xNS9_4plusIvEENS9_8equal_toIxEExEE10hipError_tPvRmT2_T3_T4_T5_mT6_T7_P12ihipStream_tbENKUlT_T0_E_clISt17integral_constantIbLb0EESY_IbLb1EEEEDaSU_SV_EUlSU_E_NS1_11comp_targetILNS1_3genE10ELNS1_11target_archE1201ELNS1_3gpuE5ELNS1_3repE0EEENS1_30default_config_static_selectorELNS0_4arch9wavefront6targetE1EEEvT1_
    .private_segment_fixed_size: 0
    .sgpr_count:     6
    .sgpr_spill_count: 0
    .symbol:         _ZN7rocprim17ROCPRIM_400000_NS6detail17trampoline_kernelINS0_14default_configENS1_27scan_by_key_config_selectorIxxEEZZNS1_16scan_by_key_implILNS1_25lookback_scan_determinismE0ELb0ES3_N6thrust23THRUST_200600_302600_NS6detail15normal_iteratorINS9_10device_ptrIxEEEESE_SE_xNS9_4plusIvEENS9_8equal_toIxEExEE10hipError_tPvRmT2_T3_T4_T5_mT6_T7_P12ihipStream_tbENKUlT_T0_E_clISt17integral_constantIbLb0EESY_IbLb1EEEEDaSU_SV_EUlSU_E_NS1_11comp_targetILNS1_3genE10ELNS1_11target_archE1201ELNS1_3gpuE5ELNS1_3repE0EEENS1_30default_config_static_selectorELNS0_4arch9wavefront6targetE1EEEvT1_.kd
    .uniform_work_group_size: 1
    .uses_dynamic_stack: false
    .vgpr_count:     0
    .vgpr_spill_count: 0
    .wavefront_size: 64
  - .agpr_count:     0
    .args:
      - .offset:         0
        .size:           136
        .value_kind:     by_value
    .group_segment_fixed_size: 32768
    .kernarg_segment_align: 8
    .kernarg_segment_size: 136
    .language:       OpenCL C
    .language_version:
      - 2
      - 0
    .max_flat_workgroup_size: 256
    .name:           _ZN7rocprim17ROCPRIM_400000_NS6detail17trampoline_kernelINS0_14default_configENS1_27scan_by_key_config_selectorIxxEEZZNS1_16scan_by_key_implILNS1_25lookback_scan_determinismE0ELb0ES3_N6thrust23THRUST_200600_302600_NS6detail15normal_iteratorINS9_10device_ptrIxEEEESE_SE_xNS9_4plusIvEENS9_8equal_toIxEExEE10hipError_tPvRmT2_T3_T4_T5_mT6_T7_P12ihipStream_tbENKUlT_T0_E_clISt17integral_constantIbLb0EESY_IbLb1EEEEDaSU_SV_EUlSU_E_NS1_11comp_targetILNS1_3genE5ELNS1_11target_archE942ELNS1_3gpuE9ELNS1_3repE0EEENS1_30default_config_static_selectorELNS0_4arch9wavefront6targetE1EEEvT1_
    .private_segment_fixed_size: 0
    .sgpr_count:     76
    .sgpr_spill_count: 0
    .symbol:         _ZN7rocprim17ROCPRIM_400000_NS6detail17trampoline_kernelINS0_14default_configENS1_27scan_by_key_config_selectorIxxEEZZNS1_16scan_by_key_implILNS1_25lookback_scan_determinismE0ELb0ES3_N6thrust23THRUST_200600_302600_NS6detail15normal_iteratorINS9_10device_ptrIxEEEESE_SE_xNS9_4plusIvEENS9_8equal_toIxEExEE10hipError_tPvRmT2_T3_T4_T5_mT6_T7_P12ihipStream_tbENKUlT_T0_E_clISt17integral_constantIbLb0EESY_IbLb1EEEEDaSU_SV_EUlSU_E_NS1_11comp_targetILNS1_3genE5ELNS1_11target_archE942ELNS1_3gpuE9ELNS1_3repE0EEENS1_30default_config_static_selectorELNS0_4arch9wavefront6targetE1EEEvT1_.kd
    .uniform_work_group_size: 1
    .uses_dynamic_stack: false
    .vgpr_count:     92
    .vgpr_spill_count: 0
    .wavefront_size: 64
  - .agpr_count:     0
    .args:
      - .offset:         0
        .size:           136
        .value_kind:     by_value
    .group_segment_fixed_size: 0
    .kernarg_segment_align: 8
    .kernarg_segment_size: 136
    .language:       OpenCL C
    .language_version:
      - 2
      - 0
    .max_flat_workgroup_size: 64
    .name:           _ZN7rocprim17ROCPRIM_400000_NS6detail17trampoline_kernelINS0_14default_configENS1_27scan_by_key_config_selectorIxxEEZZNS1_16scan_by_key_implILNS1_25lookback_scan_determinismE0ELb0ES3_N6thrust23THRUST_200600_302600_NS6detail15normal_iteratorINS9_10device_ptrIxEEEESE_SE_xNS9_4plusIvEENS9_8equal_toIxEExEE10hipError_tPvRmT2_T3_T4_T5_mT6_T7_P12ihipStream_tbENKUlT_T0_E_clISt17integral_constantIbLb0EESY_IbLb1EEEEDaSU_SV_EUlSU_E_NS1_11comp_targetILNS1_3genE4ELNS1_11target_archE910ELNS1_3gpuE8ELNS1_3repE0EEENS1_30default_config_static_selectorELNS0_4arch9wavefront6targetE1EEEvT1_
    .private_segment_fixed_size: 0
    .sgpr_count:     6
    .sgpr_spill_count: 0
    .symbol:         _ZN7rocprim17ROCPRIM_400000_NS6detail17trampoline_kernelINS0_14default_configENS1_27scan_by_key_config_selectorIxxEEZZNS1_16scan_by_key_implILNS1_25lookback_scan_determinismE0ELb0ES3_N6thrust23THRUST_200600_302600_NS6detail15normal_iteratorINS9_10device_ptrIxEEEESE_SE_xNS9_4plusIvEENS9_8equal_toIxEExEE10hipError_tPvRmT2_T3_T4_T5_mT6_T7_P12ihipStream_tbENKUlT_T0_E_clISt17integral_constantIbLb0EESY_IbLb1EEEEDaSU_SV_EUlSU_E_NS1_11comp_targetILNS1_3genE4ELNS1_11target_archE910ELNS1_3gpuE8ELNS1_3repE0EEENS1_30default_config_static_selectorELNS0_4arch9wavefront6targetE1EEEvT1_.kd
    .uniform_work_group_size: 1
    .uses_dynamic_stack: false
    .vgpr_count:     0
    .vgpr_spill_count: 0
    .wavefront_size: 64
  - .agpr_count:     0
    .args:
      - .offset:         0
        .size:           136
        .value_kind:     by_value
    .group_segment_fixed_size: 0
    .kernarg_segment_align: 8
    .kernarg_segment_size: 136
    .language:       OpenCL C
    .language_version:
      - 2
      - 0
    .max_flat_workgroup_size: 256
    .name:           _ZN7rocprim17ROCPRIM_400000_NS6detail17trampoline_kernelINS0_14default_configENS1_27scan_by_key_config_selectorIxxEEZZNS1_16scan_by_key_implILNS1_25lookback_scan_determinismE0ELb0ES3_N6thrust23THRUST_200600_302600_NS6detail15normal_iteratorINS9_10device_ptrIxEEEESE_SE_xNS9_4plusIvEENS9_8equal_toIxEExEE10hipError_tPvRmT2_T3_T4_T5_mT6_T7_P12ihipStream_tbENKUlT_T0_E_clISt17integral_constantIbLb0EESY_IbLb1EEEEDaSU_SV_EUlSU_E_NS1_11comp_targetILNS1_3genE3ELNS1_11target_archE908ELNS1_3gpuE7ELNS1_3repE0EEENS1_30default_config_static_selectorELNS0_4arch9wavefront6targetE1EEEvT1_
    .private_segment_fixed_size: 0
    .sgpr_count:     6
    .sgpr_spill_count: 0
    .symbol:         _ZN7rocprim17ROCPRIM_400000_NS6detail17trampoline_kernelINS0_14default_configENS1_27scan_by_key_config_selectorIxxEEZZNS1_16scan_by_key_implILNS1_25lookback_scan_determinismE0ELb0ES3_N6thrust23THRUST_200600_302600_NS6detail15normal_iteratorINS9_10device_ptrIxEEEESE_SE_xNS9_4plusIvEENS9_8equal_toIxEExEE10hipError_tPvRmT2_T3_T4_T5_mT6_T7_P12ihipStream_tbENKUlT_T0_E_clISt17integral_constantIbLb0EESY_IbLb1EEEEDaSU_SV_EUlSU_E_NS1_11comp_targetILNS1_3genE3ELNS1_11target_archE908ELNS1_3gpuE7ELNS1_3repE0EEENS1_30default_config_static_selectorELNS0_4arch9wavefront6targetE1EEEvT1_.kd
    .uniform_work_group_size: 1
    .uses_dynamic_stack: false
    .vgpr_count:     0
    .vgpr_spill_count: 0
    .wavefront_size: 64
  - .agpr_count:     0
    .args:
      - .offset:         0
        .size:           136
        .value_kind:     by_value
    .group_segment_fixed_size: 0
    .kernarg_segment_align: 8
    .kernarg_segment_size: 136
    .language:       OpenCL C
    .language_version:
      - 2
      - 0
    .max_flat_workgroup_size: 256
    .name:           _ZN7rocprim17ROCPRIM_400000_NS6detail17trampoline_kernelINS0_14default_configENS1_27scan_by_key_config_selectorIxxEEZZNS1_16scan_by_key_implILNS1_25lookback_scan_determinismE0ELb0ES3_N6thrust23THRUST_200600_302600_NS6detail15normal_iteratorINS9_10device_ptrIxEEEESE_SE_xNS9_4plusIvEENS9_8equal_toIxEExEE10hipError_tPvRmT2_T3_T4_T5_mT6_T7_P12ihipStream_tbENKUlT_T0_E_clISt17integral_constantIbLb0EESY_IbLb1EEEEDaSU_SV_EUlSU_E_NS1_11comp_targetILNS1_3genE2ELNS1_11target_archE906ELNS1_3gpuE6ELNS1_3repE0EEENS1_30default_config_static_selectorELNS0_4arch9wavefront6targetE1EEEvT1_
    .private_segment_fixed_size: 0
    .sgpr_count:     6
    .sgpr_spill_count: 0
    .symbol:         _ZN7rocprim17ROCPRIM_400000_NS6detail17trampoline_kernelINS0_14default_configENS1_27scan_by_key_config_selectorIxxEEZZNS1_16scan_by_key_implILNS1_25lookback_scan_determinismE0ELb0ES3_N6thrust23THRUST_200600_302600_NS6detail15normal_iteratorINS9_10device_ptrIxEEEESE_SE_xNS9_4plusIvEENS9_8equal_toIxEExEE10hipError_tPvRmT2_T3_T4_T5_mT6_T7_P12ihipStream_tbENKUlT_T0_E_clISt17integral_constantIbLb0EESY_IbLb1EEEEDaSU_SV_EUlSU_E_NS1_11comp_targetILNS1_3genE2ELNS1_11target_archE906ELNS1_3gpuE6ELNS1_3repE0EEENS1_30default_config_static_selectorELNS0_4arch9wavefront6targetE1EEEvT1_.kd
    .uniform_work_group_size: 1
    .uses_dynamic_stack: false
    .vgpr_count:     0
    .vgpr_spill_count: 0
    .wavefront_size: 64
  - .agpr_count:     0
    .args:
      - .offset:         0
        .size:           136
        .value_kind:     by_value
    .group_segment_fixed_size: 0
    .kernarg_segment_align: 8
    .kernarg_segment_size: 136
    .language:       OpenCL C
    .language_version:
      - 2
      - 0
    .max_flat_workgroup_size: 256
    .name:           _ZN7rocprim17ROCPRIM_400000_NS6detail17trampoline_kernelINS0_14default_configENS1_27scan_by_key_config_selectorIxxEEZZNS1_16scan_by_key_implILNS1_25lookback_scan_determinismE0ELb0ES3_N6thrust23THRUST_200600_302600_NS6detail15normal_iteratorINS9_10device_ptrIxEEEESE_SE_xNS9_4plusIvEENS9_8equal_toIxEExEE10hipError_tPvRmT2_T3_T4_T5_mT6_T7_P12ihipStream_tbENKUlT_T0_E_clISt17integral_constantIbLb0EESY_IbLb1EEEEDaSU_SV_EUlSU_E_NS1_11comp_targetILNS1_3genE10ELNS1_11target_archE1200ELNS1_3gpuE4ELNS1_3repE0EEENS1_30default_config_static_selectorELNS0_4arch9wavefront6targetE1EEEvT1_
    .private_segment_fixed_size: 0
    .sgpr_count:     6
    .sgpr_spill_count: 0
    .symbol:         _ZN7rocprim17ROCPRIM_400000_NS6detail17trampoline_kernelINS0_14default_configENS1_27scan_by_key_config_selectorIxxEEZZNS1_16scan_by_key_implILNS1_25lookback_scan_determinismE0ELb0ES3_N6thrust23THRUST_200600_302600_NS6detail15normal_iteratorINS9_10device_ptrIxEEEESE_SE_xNS9_4plusIvEENS9_8equal_toIxEExEE10hipError_tPvRmT2_T3_T4_T5_mT6_T7_P12ihipStream_tbENKUlT_T0_E_clISt17integral_constantIbLb0EESY_IbLb1EEEEDaSU_SV_EUlSU_E_NS1_11comp_targetILNS1_3genE10ELNS1_11target_archE1200ELNS1_3gpuE4ELNS1_3repE0EEENS1_30default_config_static_selectorELNS0_4arch9wavefront6targetE1EEEvT1_.kd
    .uniform_work_group_size: 1
    .uses_dynamic_stack: false
    .vgpr_count:     0
    .vgpr_spill_count: 0
    .wavefront_size: 64
  - .agpr_count:     0
    .args:
      - .offset:         0
        .size:           136
        .value_kind:     by_value
    .group_segment_fixed_size: 0
    .kernarg_segment_align: 8
    .kernarg_segment_size: 136
    .language:       OpenCL C
    .language_version:
      - 2
      - 0
    .max_flat_workgroup_size: 256
    .name:           _ZN7rocprim17ROCPRIM_400000_NS6detail17trampoline_kernelINS0_14default_configENS1_27scan_by_key_config_selectorIxxEEZZNS1_16scan_by_key_implILNS1_25lookback_scan_determinismE0ELb0ES3_N6thrust23THRUST_200600_302600_NS6detail15normal_iteratorINS9_10device_ptrIxEEEESE_SE_xNS9_4plusIvEENS9_8equal_toIxEExEE10hipError_tPvRmT2_T3_T4_T5_mT6_T7_P12ihipStream_tbENKUlT_T0_E_clISt17integral_constantIbLb0EESY_IbLb1EEEEDaSU_SV_EUlSU_E_NS1_11comp_targetILNS1_3genE9ELNS1_11target_archE1100ELNS1_3gpuE3ELNS1_3repE0EEENS1_30default_config_static_selectorELNS0_4arch9wavefront6targetE1EEEvT1_
    .private_segment_fixed_size: 0
    .sgpr_count:     6
    .sgpr_spill_count: 0
    .symbol:         _ZN7rocprim17ROCPRIM_400000_NS6detail17trampoline_kernelINS0_14default_configENS1_27scan_by_key_config_selectorIxxEEZZNS1_16scan_by_key_implILNS1_25lookback_scan_determinismE0ELb0ES3_N6thrust23THRUST_200600_302600_NS6detail15normal_iteratorINS9_10device_ptrIxEEEESE_SE_xNS9_4plusIvEENS9_8equal_toIxEExEE10hipError_tPvRmT2_T3_T4_T5_mT6_T7_P12ihipStream_tbENKUlT_T0_E_clISt17integral_constantIbLb0EESY_IbLb1EEEEDaSU_SV_EUlSU_E_NS1_11comp_targetILNS1_3genE9ELNS1_11target_archE1100ELNS1_3gpuE3ELNS1_3repE0EEENS1_30default_config_static_selectorELNS0_4arch9wavefront6targetE1EEEvT1_.kd
    .uniform_work_group_size: 1
    .uses_dynamic_stack: false
    .vgpr_count:     0
    .vgpr_spill_count: 0
    .wavefront_size: 64
  - .agpr_count:     0
    .args:
      - .offset:         0
        .size:           136
        .value_kind:     by_value
    .group_segment_fixed_size: 0
    .kernarg_segment_align: 8
    .kernarg_segment_size: 136
    .language:       OpenCL C
    .language_version:
      - 2
      - 0
    .max_flat_workgroup_size: 256
    .name:           _ZN7rocprim17ROCPRIM_400000_NS6detail17trampoline_kernelINS0_14default_configENS1_27scan_by_key_config_selectorIxxEEZZNS1_16scan_by_key_implILNS1_25lookback_scan_determinismE0ELb0ES3_N6thrust23THRUST_200600_302600_NS6detail15normal_iteratorINS9_10device_ptrIxEEEESE_SE_xNS9_4plusIvEENS9_8equal_toIxEExEE10hipError_tPvRmT2_T3_T4_T5_mT6_T7_P12ihipStream_tbENKUlT_T0_E_clISt17integral_constantIbLb0EESY_IbLb1EEEEDaSU_SV_EUlSU_E_NS1_11comp_targetILNS1_3genE8ELNS1_11target_archE1030ELNS1_3gpuE2ELNS1_3repE0EEENS1_30default_config_static_selectorELNS0_4arch9wavefront6targetE1EEEvT1_
    .private_segment_fixed_size: 0
    .sgpr_count:     6
    .sgpr_spill_count: 0
    .symbol:         _ZN7rocprim17ROCPRIM_400000_NS6detail17trampoline_kernelINS0_14default_configENS1_27scan_by_key_config_selectorIxxEEZZNS1_16scan_by_key_implILNS1_25lookback_scan_determinismE0ELb0ES3_N6thrust23THRUST_200600_302600_NS6detail15normal_iteratorINS9_10device_ptrIxEEEESE_SE_xNS9_4plusIvEENS9_8equal_toIxEExEE10hipError_tPvRmT2_T3_T4_T5_mT6_T7_P12ihipStream_tbENKUlT_T0_E_clISt17integral_constantIbLb0EESY_IbLb1EEEEDaSU_SV_EUlSU_E_NS1_11comp_targetILNS1_3genE8ELNS1_11target_archE1030ELNS1_3gpuE2ELNS1_3repE0EEENS1_30default_config_static_selectorELNS0_4arch9wavefront6targetE1EEEvT1_.kd
    .uniform_work_group_size: 1
    .uses_dynamic_stack: false
    .vgpr_count:     0
    .vgpr_spill_count: 0
    .wavefront_size: 64
  - .agpr_count:     0
    .args:
      - .offset:         0
        .size:           16
        .value_kind:     by_value
      - .offset:         16
        .size:           8
        .value_kind:     by_value
      - .offset:         24
        .size:           8
        .value_kind:     by_value
    .group_segment_fixed_size: 0
    .kernarg_segment_align: 8
    .kernarg_segment_size: 32
    .language:       OpenCL C
    .language_version:
      - 2
      - 0
    .max_flat_workgroup_size: 256
    .name:           _ZN6thrust23THRUST_200600_302600_NS11hip_rocprim14__parallel_for6kernelILj256ENS1_20__uninitialized_fill7functorINS0_10device_ptrIiEEiEEmLj1EEEvT0_T1_SA_
    .private_segment_fixed_size: 0
    .sgpr_count:     14
    .sgpr_spill_count: 0
    .symbol:         _ZN6thrust23THRUST_200600_302600_NS11hip_rocprim14__parallel_for6kernelILj256ENS1_20__uninitialized_fill7functorINS0_10device_ptrIiEEiEEmLj1EEEvT0_T1_SA_.kd
    .uniform_work_group_size: 1
    .uses_dynamic_stack: false
    .vgpr_count:     4
    .vgpr_spill_count: 0
    .wavefront_size: 64
  - .agpr_count:     0
    .args:
      - .address_space:  global
        .offset:         0
        .size:           8
        .value_kind:     global_buffer
      - .offset:         8
        .size:           4
        .value_kind:     by_value
      - .offset:         12
        .size:           4
        .value_kind:     by_value
      - .address_space:  global
        .offset:         16
        .size:           8
        .value_kind:     global_buffer
      - .address_space:  global
        .offset:         24
        .size:           8
        .value_kind:     global_buffer
      - .actual_access:  write_only
        .address_space:  global
        .offset:         32
        .size:           8
        .value_kind:     global_buffer
      - .offset:         40
        .size:           8
        .value_kind:     by_value
      - .offset:         48
        .size:           4
        .value_kind:     by_value
      - .offset:         52
        .size:           1
        .value_kind:     by_value
      - .offset:         56
        .size:           4
        .value_kind:     hidden_block_count_x
      - .offset:         60
        .size:           4
        .value_kind:     hidden_block_count_y
      - .offset:         64
        .size:           4
        .value_kind:     hidden_block_count_z
      - .offset:         68
        .size:           2
        .value_kind:     hidden_group_size_x
      - .offset:         70
        .size:           2
        .value_kind:     hidden_group_size_y
      - .offset:         72
        .size:           2
        .value_kind:     hidden_group_size_z
      - .offset:         74
        .size:           2
        .value_kind:     hidden_remainder_x
      - .offset:         76
        .size:           2
        .value_kind:     hidden_remainder_y
      - .offset:         78
        .size:           2
        .value_kind:     hidden_remainder_z
      - .offset:         96
        .size:           8
        .value_kind:     hidden_global_offset_x
      - .offset:         104
        .size:           8
        .value_kind:     hidden_global_offset_y
      - .offset:         112
        .size:           8
        .value_kind:     hidden_global_offset_z
      - .offset:         120
        .size:           2
        .value_kind:     hidden_grid_dims
    .group_segment_fixed_size: 0
    .kernarg_segment_align: 8
    .kernarg_segment_size: 312
    .language:       OpenCL C
    .language_version:
      - 2
      - 0
    .max_flat_workgroup_size: 256
    .name:           _ZN7rocprim17ROCPRIM_400000_NS6detail30init_device_scan_by_key_kernelINS1_19lookback_scan_stateINS0_5tupleIJibEEELb0ELb1EEEN6thrust23THRUST_200600_302600_NS6detail15normal_iteratorINS8_10device_ptrIiEEEEjNS1_16block_id_wrapperIjLb0EEEEEvT_jjPNSG_10value_typeET0_PNSt15iterator_traitsISJ_E10value_typeEmT1_T2_
    .private_segment_fixed_size: 0
    .sgpr_count:     26
    .sgpr_spill_count: 0
    .symbol:         _ZN7rocprim17ROCPRIM_400000_NS6detail30init_device_scan_by_key_kernelINS1_19lookback_scan_stateINS0_5tupleIJibEEELb0ELb1EEEN6thrust23THRUST_200600_302600_NS6detail15normal_iteratorINS8_10device_ptrIiEEEEjNS1_16block_id_wrapperIjLb0EEEEEvT_jjPNSG_10value_typeET0_PNSt15iterator_traitsISJ_E10value_typeEmT1_T2_.kd
    .uniform_work_group_size: 1
    .uses_dynamic_stack: false
    .vgpr_count:     10
    .vgpr_spill_count: 0
    .wavefront_size: 64
  - .agpr_count:     0
    .args:
      - .address_space:  global
        .offset:         0
        .size:           8
        .value_kind:     global_buffer
      - .offset:         8
        .size:           4
        .value_kind:     by_value
      - .offset:         12
        .size:           4
        .value_kind:     by_value
      - .address_space:  global
        .offset:         16
        .size:           8
        .value_kind:     global_buffer
      - .offset:         24
        .size:           1
        .value_kind:     by_value
      - .offset:         32
        .size:           4
        .value_kind:     hidden_block_count_x
      - .offset:         36
        .size:           4
        .value_kind:     hidden_block_count_y
      - .offset:         40
        .size:           4
        .value_kind:     hidden_block_count_z
      - .offset:         44
        .size:           2
        .value_kind:     hidden_group_size_x
      - .offset:         46
        .size:           2
        .value_kind:     hidden_group_size_y
      - .offset:         48
        .size:           2
        .value_kind:     hidden_group_size_z
      - .offset:         50
        .size:           2
        .value_kind:     hidden_remainder_x
      - .offset:         52
        .size:           2
        .value_kind:     hidden_remainder_y
      - .offset:         54
        .size:           2
        .value_kind:     hidden_remainder_z
      - .offset:         72
        .size:           8
        .value_kind:     hidden_global_offset_x
      - .offset:         80
        .size:           8
        .value_kind:     hidden_global_offset_y
      - .offset:         88
        .size:           8
        .value_kind:     hidden_global_offset_z
      - .offset:         96
        .size:           2
        .value_kind:     hidden_grid_dims
    .group_segment_fixed_size: 0
    .kernarg_segment_align: 8
    .kernarg_segment_size: 288
    .language:       OpenCL C
    .language_version:
      - 2
      - 0
    .max_flat_workgroup_size: 256
    .name:           _ZN7rocprim17ROCPRIM_400000_NS6detail30init_device_scan_by_key_kernelINS1_19lookback_scan_stateINS0_5tupleIJibEEELb0ELb1EEENS1_16block_id_wrapperIjLb0EEEEEvT_jjPNS9_10value_typeET0_
    .private_segment_fixed_size: 0
    .sgpr_count:     20
    .sgpr_spill_count: 0
    .symbol:         _ZN7rocprim17ROCPRIM_400000_NS6detail30init_device_scan_by_key_kernelINS1_19lookback_scan_stateINS0_5tupleIJibEEELb0ELb1EEENS1_16block_id_wrapperIjLb0EEEEEvT_jjPNS9_10value_typeET0_.kd
    .uniform_work_group_size: 1
    .uses_dynamic_stack: false
    .vgpr_count:     10
    .vgpr_spill_count: 0
    .wavefront_size: 64
  - .agpr_count:     0
    .args:
      - .offset:         0
        .size:           112
        .value_kind:     by_value
    .group_segment_fixed_size: 0
    .kernarg_segment_align: 8
    .kernarg_segment_size: 112
    .language:       OpenCL C
    .language_version:
      - 2
      - 0
    .max_flat_workgroup_size: 256
    .name:           _ZN7rocprim17ROCPRIM_400000_NS6detail17trampoline_kernelINS0_14default_configENS1_27scan_by_key_config_selectorIiiEEZZNS1_16scan_by_key_implILNS1_25lookback_scan_determinismE0ELb0ES3_N6thrust23THRUST_200600_302600_NS6detail15normal_iteratorINS9_10device_ptrIiEEEESE_SE_iNS9_4plusIvEENS9_8equal_toIvEEiEE10hipError_tPvRmT2_T3_T4_T5_mT6_T7_P12ihipStream_tbENKUlT_T0_E_clISt17integral_constantIbLb0EESZ_EEDaSU_SV_EUlSU_E_NS1_11comp_targetILNS1_3genE0ELNS1_11target_archE4294967295ELNS1_3gpuE0ELNS1_3repE0EEENS1_30default_config_static_selectorELNS0_4arch9wavefront6targetE1EEEvT1_
    .private_segment_fixed_size: 0
    .sgpr_count:     6
    .sgpr_spill_count: 0
    .symbol:         _ZN7rocprim17ROCPRIM_400000_NS6detail17trampoline_kernelINS0_14default_configENS1_27scan_by_key_config_selectorIiiEEZZNS1_16scan_by_key_implILNS1_25lookback_scan_determinismE0ELb0ES3_N6thrust23THRUST_200600_302600_NS6detail15normal_iteratorINS9_10device_ptrIiEEEESE_SE_iNS9_4plusIvEENS9_8equal_toIvEEiEE10hipError_tPvRmT2_T3_T4_T5_mT6_T7_P12ihipStream_tbENKUlT_T0_E_clISt17integral_constantIbLb0EESZ_EEDaSU_SV_EUlSU_E_NS1_11comp_targetILNS1_3genE0ELNS1_11target_archE4294967295ELNS1_3gpuE0ELNS1_3repE0EEENS1_30default_config_static_selectorELNS0_4arch9wavefront6targetE1EEEvT1_.kd
    .uniform_work_group_size: 1
    .uses_dynamic_stack: false
    .vgpr_count:     0
    .vgpr_spill_count: 0
    .wavefront_size: 64
  - .agpr_count:     0
    .args:
      - .offset:         0
        .size:           112
        .value_kind:     by_value
    .group_segment_fixed_size: 0
    .kernarg_segment_align: 8
    .kernarg_segment_size: 112
    .language:       OpenCL C
    .language_version:
      - 2
      - 0
    .max_flat_workgroup_size: 256
    .name:           _ZN7rocprim17ROCPRIM_400000_NS6detail17trampoline_kernelINS0_14default_configENS1_27scan_by_key_config_selectorIiiEEZZNS1_16scan_by_key_implILNS1_25lookback_scan_determinismE0ELb0ES3_N6thrust23THRUST_200600_302600_NS6detail15normal_iteratorINS9_10device_ptrIiEEEESE_SE_iNS9_4plusIvEENS9_8equal_toIvEEiEE10hipError_tPvRmT2_T3_T4_T5_mT6_T7_P12ihipStream_tbENKUlT_T0_E_clISt17integral_constantIbLb0EESZ_EEDaSU_SV_EUlSU_E_NS1_11comp_targetILNS1_3genE10ELNS1_11target_archE1201ELNS1_3gpuE5ELNS1_3repE0EEENS1_30default_config_static_selectorELNS0_4arch9wavefront6targetE1EEEvT1_
    .private_segment_fixed_size: 0
    .sgpr_count:     6
    .sgpr_spill_count: 0
    .symbol:         _ZN7rocprim17ROCPRIM_400000_NS6detail17trampoline_kernelINS0_14default_configENS1_27scan_by_key_config_selectorIiiEEZZNS1_16scan_by_key_implILNS1_25lookback_scan_determinismE0ELb0ES3_N6thrust23THRUST_200600_302600_NS6detail15normal_iteratorINS9_10device_ptrIiEEEESE_SE_iNS9_4plusIvEENS9_8equal_toIvEEiEE10hipError_tPvRmT2_T3_T4_T5_mT6_T7_P12ihipStream_tbENKUlT_T0_E_clISt17integral_constantIbLb0EESZ_EEDaSU_SV_EUlSU_E_NS1_11comp_targetILNS1_3genE10ELNS1_11target_archE1201ELNS1_3gpuE5ELNS1_3repE0EEENS1_30default_config_static_selectorELNS0_4arch9wavefront6targetE1EEEvT1_.kd
    .uniform_work_group_size: 1
    .uses_dynamic_stack: false
    .vgpr_count:     0
    .vgpr_spill_count: 0
    .wavefront_size: 64
  - .agpr_count:     0
    .args:
      - .offset:         0
        .size:           112
        .value_kind:     by_value
    .group_segment_fixed_size: 25600
    .kernarg_segment_align: 8
    .kernarg_segment_size: 112
    .language:       OpenCL C
    .language_version:
      - 2
      - 0
    .max_flat_workgroup_size: 256
    .name:           _ZN7rocprim17ROCPRIM_400000_NS6detail17trampoline_kernelINS0_14default_configENS1_27scan_by_key_config_selectorIiiEEZZNS1_16scan_by_key_implILNS1_25lookback_scan_determinismE0ELb0ES3_N6thrust23THRUST_200600_302600_NS6detail15normal_iteratorINS9_10device_ptrIiEEEESE_SE_iNS9_4plusIvEENS9_8equal_toIvEEiEE10hipError_tPvRmT2_T3_T4_T5_mT6_T7_P12ihipStream_tbENKUlT_T0_E_clISt17integral_constantIbLb0EESZ_EEDaSU_SV_EUlSU_E_NS1_11comp_targetILNS1_3genE5ELNS1_11target_archE942ELNS1_3gpuE9ELNS1_3repE0EEENS1_30default_config_static_selectorELNS0_4arch9wavefront6targetE1EEEvT1_
    .private_segment_fixed_size: 0
    .sgpr_count:     88
    .sgpr_spill_count: 0
    .symbol:         _ZN7rocprim17ROCPRIM_400000_NS6detail17trampoline_kernelINS0_14default_configENS1_27scan_by_key_config_selectorIiiEEZZNS1_16scan_by_key_implILNS1_25lookback_scan_determinismE0ELb0ES3_N6thrust23THRUST_200600_302600_NS6detail15normal_iteratorINS9_10device_ptrIiEEEESE_SE_iNS9_4plusIvEENS9_8equal_toIvEEiEE10hipError_tPvRmT2_T3_T4_T5_mT6_T7_P12ihipStream_tbENKUlT_T0_E_clISt17integral_constantIbLb0EESZ_EEDaSU_SV_EUlSU_E_NS1_11comp_targetILNS1_3genE5ELNS1_11target_archE942ELNS1_3gpuE9ELNS1_3repE0EEENS1_30default_config_static_selectorELNS0_4arch9wavefront6targetE1EEEvT1_.kd
    .uniform_work_group_size: 1
    .uses_dynamic_stack: false
    .vgpr_count:     81
    .vgpr_spill_count: 0
    .wavefront_size: 64
  - .agpr_count:     0
    .args:
      - .offset:         0
        .size:           112
        .value_kind:     by_value
    .group_segment_fixed_size: 0
    .kernarg_segment_align: 8
    .kernarg_segment_size: 112
    .language:       OpenCL C
    .language_version:
      - 2
      - 0
    .max_flat_workgroup_size: 256
    .name:           _ZN7rocprim17ROCPRIM_400000_NS6detail17trampoline_kernelINS0_14default_configENS1_27scan_by_key_config_selectorIiiEEZZNS1_16scan_by_key_implILNS1_25lookback_scan_determinismE0ELb0ES3_N6thrust23THRUST_200600_302600_NS6detail15normal_iteratorINS9_10device_ptrIiEEEESE_SE_iNS9_4plusIvEENS9_8equal_toIvEEiEE10hipError_tPvRmT2_T3_T4_T5_mT6_T7_P12ihipStream_tbENKUlT_T0_E_clISt17integral_constantIbLb0EESZ_EEDaSU_SV_EUlSU_E_NS1_11comp_targetILNS1_3genE4ELNS1_11target_archE910ELNS1_3gpuE8ELNS1_3repE0EEENS1_30default_config_static_selectorELNS0_4arch9wavefront6targetE1EEEvT1_
    .private_segment_fixed_size: 0
    .sgpr_count:     6
    .sgpr_spill_count: 0
    .symbol:         _ZN7rocprim17ROCPRIM_400000_NS6detail17trampoline_kernelINS0_14default_configENS1_27scan_by_key_config_selectorIiiEEZZNS1_16scan_by_key_implILNS1_25lookback_scan_determinismE0ELb0ES3_N6thrust23THRUST_200600_302600_NS6detail15normal_iteratorINS9_10device_ptrIiEEEESE_SE_iNS9_4plusIvEENS9_8equal_toIvEEiEE10hipError_tPvRmT2_T3_T4_T5_mT6_T7_P12ihipStream_tbENKUlT_T0_E_clISt17integral_constantIbLb0EESZ_EEDaSU_SV_EUlSU_E_NS1_11comp_targetILNS1_3genE4ELNS1_11target_archE910ELNS1_3gpuE8ELNS1_3repE0EEENS1_30default_config_static_selectorELNS0_4arch9wavefront6targetE1EEEvT1_.kd
    .uniform_work_group_size: 1
    .uses_dynamic_stack: false
    .vgpr_count:     0
    .vgpr_spill_count: 0
    .wavefront_size: 64
  - .agpr_count:     0
    .args:
      - .offset:         0
        .size:           112
        .value_kind:     by_value
    .group_segment_fixed_size: 0
    .kernarg_segment_align: 8
    .kernarg_segment_size: 112
    .language:       OpenCL C
    .language_version:
      - 2
      - 0
    .max_flat_workgroup_size: 256
    .name:           _ZN7rocprim17ROCPRIM_400000_NS6detail17trampoline_kernelINS0_14default_configENS1_27scan_by_key_config_selectorIiiEEZZNS1_16scan_by_key_implILNS1_25lookback_scan_determinismE0ELb0ES3_N6thrust23THRUST_200600_302600_NS6detail15normal_iteratorINS9_10device_ptrIiEEEESE_SE_iNS9_4plusIvEENS9_8equal_toIvEEiEE10hipError_tPvRmT2_T3_T4_T5_mT6_T7_P12ihipStream_tbENKUlT_T0_E_clISt17integral_constantIbLb0EESZ_EEDaSU_SV_EUlSU_E_NS1_11comp_targetILNS1_3genE3ELNS1_11target_archE908ELNS1_3gpuE7ELNS1_3repE0EEENS1_30default_config_static_selectorELNS0_4arch9wavefront6targetE1EEEvT1_
    .private_segment_fixed_size: 0
    .sgpr_count:     6
    .sgpr_spill_count: 0
    .symbol:         _ZN7rocprim17ROCPRIM_400000_NS6detail17trampoline_kernelINS0_14default_configENS1_27scan_by_key_config_selectorIiiEEZZNS1_16scan_by_key_implILNS1_25lookback_scan_determinismE0ELb0ES3_N6thrust23THRUST_200600_302600_NS6detail15normal_iteratorINS9_10device_ptrIiEEEESE_SE_iNS9_4plusIvEENS9_8equal_toIvEEiEE10hipError_tPvRmT2_T3_T4_T5_mT6_T7_P12ihipStream_tbENKUlT_T0_E_clISt17integral_constantIbLb0EESZ_EEDaSU_SV_EUlSU_E_NS1_11comp_targetILNS1_3genE3ELNS1_11target_archE908ELNS1_3gpuE7ELNS1_3repE0EEENS1_30default_config_static_selectorELNS0_4arch9wavefront6targetE1EEEvT1_.kd
    .uniform_work_group_size: 1
    .uses_dynamic_stack: false
    .vgpr_count:     0
    .vgpr_spill_count: 0
    .wavefront_size: 64
  - .agpr_count:     0
    .args:
      - .offset:         0
        .size:           112
        .value_kind:     by_value
    .group_segment_fixed_size: 0
    .kernarg_segment_align: 8
    .kernarg_segment_size: 112
    .language:       OpenCL C
    .language_version:
      - 2
      - 0
    .max_flat_workgroup_size: 256
    .name:           _ZN7rocprim17ROCPRIM_400000_NS6detail17trampoline_kernelINS0_14default_configENS1_27scan_by_key_config_selectorIiiEEZZNS1_16scan_by_key_implILNS1_25lookback_scan_determinismE0ELb0ES3_N6thrust23THRUST_200600_302600_NS6detail15normal_iteratorINS9_10device_ptrIiEEEESE_SE_iNS9_4plusIvEENS9_8equal_toIvEEiEE10hipError_tPvRmT2_T3_T4_T5_mT6_T7_P12ihipStream_tbENKUlT_T0_E_clISt17integral_constantIbLb0EESZ_EEDaSU_SV_EUlSU_E_NS1_11comp_targetILNS1_3genE2ELNS1_11target_archE906ELNS1_3gpuE6ELNS1_3repE0EEENS1_30default_config_static_selectorELNS0_4arch9wavefront6targetE1EEEvT1_
    .private_segment_fixed_size: 0
    .sgpr_count:     6
    .sgpr_spill_count: 0
    .symbol:         _ZN7rocprim17ROCPRIM_400000_NS6detail17trampoline_kernelINS0_14default_configENS1_27scan_by_key_config_selectorIiiEEZZNS1_16scan_by_key_implILNS1_25lookback_scan_determinismE0ELb0ES3_N6thrust23THRUST_200600_302600_NS6detail15normal_iteratorINS9_10device_ptrIiEEEESE_SE_iNS9_4plusIvEENS9_8equal_toIvEEiEE10hipError_tPvRmT2_T3_T4_T5_mT6_T7_P12ihipStream_tbENKUlT_T0_E_clISt17integral_constantIbLb0EESZ_EEDaSU_SV_EUlSU_E_NS1_11comp_targetILNS1_3genE2ELNS1_11target_archE906ELNS1_3gpuE6ELNS1_3repE0EEENS1_30default_config_static_selectorELNS0_4arch9wavefront6targetE1EEEvT1_.kd
    .uniform_work_group_size: 1
    .uses_dynamic_stack: false
    .vgpr_count:     0
    .vgpr_spill_count: 0
    .wavefront_size: 64
  - .agpr_count:     0
    .args:
      - .offset:         0
        .size:           112
        .value_kind:     by_value
    .group_segment_fixed_size: 0
    .kernarg_segment_align: 8
    .kernarg_segment_size: 112
    .language:       OpenCL C
    .language_version:
      - 2
      - 0
    .max_flat_workgroup_size: 256
    .name:           _ZN7rocprim17ROCPRIM_400000_NS6detail17trampoline_kernelINS0_14default_configENS1_27scan_by_key_config_selectorIiiEEZZNS1_16scan_by_key_implILNS1_25lookback_scan_determinismE0ELb0ES3_N6thrust23THRUST_200600_302600_NS6detail15normal_iteratorINS9_10device_ptrIiEEEESE_SE_iNS9_4plusIvEENS9_8equal_toIvEEiEE10hipError_tPvRmT2_T3_T4_T5_mT6_T7_P12ihipStream_tbENKUlT_T0_E_clISt17integral_constantIbLb0EESZ_EEDaSU_SV_EUlSU_E_NS1_11comp_targetILNS1_3genE10ELNS1_11target_archE1200ELNS1_3gpuE4ELNS1_3repE0EEENS1_30default_config_static_selectorELNS0_4arch9wavefront6targetE1EEEvT1_
    .private_segment_fixed_size: 0
    .sgpr_count:     6
    .sgpr_spill_count: 0
    .symbol:         _ZN7rocprim17ROCPRIM_400000_NS6detail17trampoline_kernelINS0_14default_configENS1_27scan_by_key_config_selectorIiiEEZZNS1_16scan_by_key_implILNS1_25lookback_scan_determinismE0ELb0ES3_N6thrust23THRUST_200600_302600_NS6detail15normal_iteratorINS9_10device_ptrIiEEEESE_SE_iNS9_4plusIvEENS9_8equal_toIvEEiEE10hipError_tPvRmT2_T3_T4_T5_mT6_T7_P12ihipStream_tbENKUlT_T0_E_clISt17integral_constantIbLb0EESZ_EEDaSU_SV_EUlSU_E_NS1_11comp_targetILNS1_3genE10ELNS1_11target_archE1200ELNS1_3gpuE4ELNS1_3repE0EEENS1_30default_config_static_selectorELNS0_4arch9wavefront6targetE1EEEvT1_.kd
    .uniform_work_group_size: 1
    .uses_dynamic_stack: false
    .vgpr_count:     0
    .vgpr_spill_count: 0
    .wavefront_size: 64
  - .agpr_count:     0
    .args:
      - .offset:         0
        .size:           112
        .value_kind:     by_value
    .group_segment_fixed_size: 0
    .kernarg_segment_align: 8
    .kernarg_segment_size: 112
    .language:       OpenCL C
    .language_version:
      - 2
      - 0
    .max_flat_workgroup_size: 256
    .name:           _ZN7rocprim17ROCPRIM_400000_NS6detail17trampoline_kernelINS0_14default_configENS1_27scan_by_key_config_selectorIiiEEZZNS1_16scan_by_key_implILNS1_25lookback_scan_determinismE0ELb0ES3_N6thrust23THRUST_200600_302600_NS6detail15normal_iteratorINS9_10device_ptrIiEEEESE_SE_iNS9_4plusIvEENS9_8equal_toIvEEiEE10hipError_tPvRmT2_T3_T4_T5_mT6_T7_P12ihipStream_tbENKUlT_T0_E_clISt17integral_constantIbLb0EESZ_EEDaSU_SV_EUlSU_E_NS1_11comp_targetILNS1_3genE9ELNS1_11target_archE1100ELNS1_3gpuE3ELNS1_3repE0EEENS1_30default_config_static_selectorELNS0_4arch9wavefront6targetE1EEEvT1_
    .private_segment_fixed_size: 0
    .sgpr_count:     6
    .sgpr_spill_count: 0
    .symbol:         _ZN7rocprim17ROCPRIM_400000_NS6detail17trampoline_kernelINS0_14default_configENS1_27scan_by_key_config_selectorIiiEEZZNS1_16scan_by_key_implILNS1_25lookback_scan_determinismE0ELb0ES3_N6thrust23THRUST_200600_302600_NS6detail15normal_iteratorINS9_10device_ptrIiEEEESE_SE_iNS9_4plusIvEENS9_8equal_toIvEEiEE10hipError_tPvRmT2_T3_T4_T5_mT6_T7_P12ihipStream_tbENKUlT_T0_E_clISt17integral_constantIbLb0EESZ_EEDaSU_SV_EUlSU_E_NS1_11comp_targetILNS1_3genE9ELNS1_11target_archE1100ELNS1_3gpuE3ELNS1_3repE0EEENS1_30default_config_static_selectorELNS0_4arch9wavefront6targetE1EEEvT1_.kd
    .uniform_work_group_size: 1
    .uses_dynamic_stack: false
    .vgpr_count:     0
    .vgpr_spill_count: 0
    .wavefront_size: 64
  - .agpr_count:     0
    .args:
      - .offset:         0
        .size:           112
        .value_kind:     by_value
    .group_segment_fixed_size: 0
    .kernarg_segment_align: 8
    .kernarg_segment_size: 112
    .language:       OpenCL C
    .language_version:
      - 2
      - 0
    .max_flat_workgroup_size: 256
    .name:           _ZN7rocprim17ROCPRIM_400000_NS6detail17trampoline_kernelINS0_14default_configENS1_27scan_by_key_config_selectorIiiEEZZNS1_16scan_by_key_implILNS1_25lookback_scan_determinismE0ELb0ES3_N6thrust23THRUST_200600_302600_NS6detail15normal_iteratorINS9_10device_ptrIiEEEESE_SE_iNS9_4plusIvEENS9_8equal_toIvEEiEE10hipError_tPvRmT2_T3_T4_T5_mT6_T7_P12ihipStream_tbENKUlT_T0_E_clISt17integral_constantIbLb0EESZ_EEDaSU_SV_EUlSU_E_NS1_11comp_targetILNS1_3genE8ELNS1_11target_archE1030ELNS1_3gpuE2ELNS1_3repE0EEENS1_30default_config_static_selectorELNS0_4arch9wavefront6targetE1EEEvT1_
    .private_segment_fixed_size: 0
    .sgpr_count:     6
    .sgpr_spill_count: 0
    .symbol:         _ZN7rocprim17ROCPRIM_400000_NS6detail17trampoline_kernelINS0_14default_configENS1_27scan_by_key_config_selectorIiiEEZZNS1_16scan_by_key_implILNS1_25lookback_scan_determinismE0ELb0ES3_N6thrust23THRUST_200600_302600_NS6detail15normal_iteratorINS9_10device_ptrIiEEEESE_SE_iNS9_4plusIvEENS9_8equal_toIvEEiEE10hipError_tPvRmT2_T3_T4_T5_mT6_T7_P12ihipStream_tbENKUlT_T0_E_clISt17integral_constantIbLb0EESZ_EEDaSU_SV_EUlSU_E_NS1_11comp_targetILNS1_3genE8ELNS1_11target_archE1030ELNS1_3gpuE2ELNS1_3repE0EEENS1_30default_config_static_selectorELNS0_4arch9wavefront6targetE1EEEvT1_.kd
    .uniform_work_group_size: 1
    .uses_dynamic_stack: false
    .vgpr_count:     0
    .vgpr_spill_count: 0
    .wavefront_size: 64
  - .agpr_count:     0
    .args:
      - .address_space:  global
        .offset:         0
        .size:           8
        .value_kind:     global_buffer
      - .offset:         8
        .size:           4
        .value_kind:     by_value
      - .offset:         12
        .size:           4
        .value_kind:     by_value
      - .address_space:  global
        .offset:         16
        .size:           8
        .value_kind:     global_buffer
      - .address_space:  global
        .offset:         24
        .size:           8
        .value_kind:     global_buffer
      - .actual_access:  write_only
        .address_space:  global
        .offset:         32
        .size:           8
        .value_kind:     global_buffer
      - .offset:         40
        .size:           8
        .value_kind:     by_value
      - .offset:         48
        .size:           4
        .value_kind:     by_value
      - .address_space:  global
        .offset:         56
        .size:           8
        .value_kind:     global_buffer
      - .offset:         64
        .size:           4
        .value_kind:     hidden_block_count_x
      - .offset:         68
        .size:           4
        .value_kind:     hidden_block_count_y
      - .offset:         72
        .size:           4
        .value_kind:     hidden_block_count_z
      - .offset:         76
        .size:           2
        .value_kind:     hidden_group_size_x
      - .offset:         78
        .size:           2
        .value_kind:     hidden_group_size_y
      - .offset:         80
        .size:           2
        .value_kind:     hidden_group_size_z
      - .offset:         82
        .size:           2
        .value_kind:     hidden_remainder_x
      - .offset:         84
        .size:           2
        .value_kind:     hidden_remainder_y
      - .offset:         86
        .size:           2
        .value_kind:     hidden_remainder_z
      - .offset:         104
        .size:           8
        .value_kind:     hidden_global_offset_x
      - .offset:         112
        .size:           8
        .value_kind:     hidden_global_offset_y
      - .offset:         120
        .size:           8
        .value_kind:     hidden_global_offset_z
      - .offset:         128
        .size:           2
        .value_kind:     hidden_grid_dims
    .group_segment_fixed_size: 0
    .kernarg_segment_align: 8
    .kernarg_segment_size: 320
    .language:       OpenCL C
    .language_version:
      - 2
      - 0
    .max_flat_workgroup_size: 256
    .name:           _ZN7rocprim17ROCPRIM_400000_NS6detail30init_device_scan_by_key_kernelINS1_19lookback_scan_stateINS0_5tupleIJibEEELb1ELb1EEEN6thrust23THRUST_200600_302600_NS6detail15normal_iteratorINS8_10device_ptrIiEEEEjNS1_16block_id_wrapperIjLb1EEEEEvT_jjPNSG_10value_typeET0_PNSt15iterator_traitsISJ_E10value_typeEmT1_T2_
    .private_segment_fixed_size: 0
    .sgpr_count:     26
    .sgpr_spill_count: 0
    .symbol:         _ZN7rocprim17ROCPRIM_400000_NS6detail30init_device_scan_by_key_kernelINS1_19lookback_scan_stateINS0_5tupleIJibEEELb1ELb1EEEN6thrust23THRUST_200600_302600_NS6detail15normal_iteratorINS8_10device_ptrIiEEEEjNS1_16block_id_wrapperIjLb1EEEEEvT_jjPNSG_10value_typeET0_PNSt15iterator_traitsISJ_E10value_typeEmT1_T2_.kd
    .uniform_work_group_size: 1
    .uses_dynamic_stack: false
    .vgpr_count:     10
    .vgpr_spill_count: 0
    .wavefront_size: 64
  - .agpr_count:     0
    .args:
      - .address_space:  global
        .offset:         0
        .size:           8
        .value_kind:     global_buffer
      - .offset:         8
        .size:           4
        .value_kind:     by_value
      - .offset:         12
        .size:           4
        .value_kind:     by_value
      - .address_space:  global
        .offset:         16
        .size:           8
        .value_kind:     global_buffer
      - .address_space:  global
        .offset:         24
        .size:           8
        .value_kind:     global_buffer
      - .offset:         32
        .size:           4
        .value_kind:     hidden_block_count_x
      - .offset:         36
        .size:           4
        .value_kind:     hidden_block_count_y
      - .offset:         40
        .size:           4
        .value_kind:     hidden_block_count_z
      - .offset:         44
        .size:           2
        .value_kind:     hidden_group_size_x
      - .offset:         46
        .size:           2
        .value_kind:     hidden_group_size_y
      - .offset:         48
        .size:           2
        .value_kind:     hidden_group_size_z
      - .offset:         50
        .size:           2
        .value_kind:     hidden_remainder_x
      - .offset:         52
        .size:           2
        .value_kind:     hidden_remainder_y
      - .offset:         54
        .size:           2
        .value_kind:     hidden_remainder_z
      - .offset:         72
        .size:           8
        .value_kind:     hidden_global_offset_x
      - .offset:         80
        .size:           8
        .value_kind:     hidden_global_offset_y
      - .offset:         88
        .size:           8
        .value_kind:     hidden_global_offset_z
      - .offset:         96
        .size:           2
        .value_kind:     hidden_grid_dims
    .group_segment_fixed_size: 0
    .kernarg_segment_align: 8
    .kernarg_segment_size: 288
    .language:       OpenCL C
    .language_version:
      - 2
      - 0
    .max_flat_workgroup_size: 256
    .name:           _ZN7rocprim17ROCPRIM_400000_NS6detail30init_device_scan_by_key_kernelINS1_19lookback_scan_stateINS0_5tupleIJibEEELb1ELb1EEENS1_16block_id_wrapperIjLb1EEEEEvT_jjPNS9_10value_typeET0_
    .private_segment_fixed_size: 0
    .sgpr_count:     22
    .sgpr_spill_count: 0
    .symbol:         _ZN7rocprim17ROCPRIM_400000_NS6detail30init_device_scan_by_key_kernelINS1_19lookback_scan_stateINS0_5tupleIJibEEELb1ELb1EEENS1_16block_id_wrapperIjLb1EEEEEvT_jjPNS9_10value_typeET0_.kd
    .uniform_work_group_size: 1
    .uses_dynamic_stack: false
    .vgpr_count:     10
    .vgpr_spill_count: 0
    .wavefront_size: 64
  - .agpr_count:     0
    .args:
      - .offset:         0
        .size:           112
        .value_kind:     by_value
    .group_segment_fixed_size: 0
    .kernarg_segment_align: 8
    .kernarg_segment_size: 112
    .language:       OpenCL C
    .language_version:
      - 2
      - 0
    .max_flat_workgroup_size: 256
    .name:           _ZN7rocprim17ROCPRIM_400000_NS6detail17trampoline_kernelINS0_14default_configENS1_27scan_by_key_config_selectorIiiEEZZNS1_16scan_by_key_implILNS1_25lookback_scan_determinismE0ELb0ES3_N6thrust23THRUST_200600_302600_NS6detail15normal_iteratorINS9_10device_ptrIiEEEESE_SE_iNS9_4plusIvEENS9_8equal_toIvEEiEE10hipError_tPvRmT2_T3_T4_T5_mT6_T7_P12ihipStream_tbENKUlT_T0_E_clISt17integral_constantIbLb1EESZ_EEDaSU_SV_EUlSU_E_NS1_11comp_targetILNS1_3genE0ELNS1_11target_archE4294967295ELNS1_3gpuE0ELNS1_3repE0EEENS1_30default_config_static_selectorELNS0_4arch9wavefront6targetE1EEEvT1_
    .private_segment_fixed_size: 0
    .sgpr_count:     6
    .sgpr_spill_count: 0
    .symbol:         _ZN7rocprim17ROCPRIM_400000_NS6detail17trampoline_kernelINS0_14default_configENS1_27scan_by_key_config_selectorIiiEEZZNS1_16scan_by_key_implILNS1_25lookback_scan_determinismE0ELb0ES3_N6thrust23THRUST_200600_302600_NS6detail15normal_iteratorINS9_10device_ptrIiEEEESE_SE_iNS9_4plusIvEENS9_8equal_toIvEEiEE10hipError_tPvRmT2_T3_T4_T5_mT6_T7_P12ihipStream_tbENKUlT_T0_E_clISt17integral_constantIbLb1EESZ_EEDaSU_SV_EUlSU_E_NS1_11comp_targetILNS1_3genE0ELNS1_11target_archE4294967295ELNS1_3gpuE0ELNS1_3repE0EEENS1_30default_config_static_selectorELNS0_4arch9wavefront6targetE1EEEvT1_.kd
    .uniform_work_group_size: 1
    .uses_dynamic_stack: false
    .vgpr_count:     0
    .vgpr_spill_count: 0
    .wavefront_size: 64
  - .agpr_count:     0
    .args:
      - .offset:         0
        .size:           112
        .value_kind:     by_value
    .group_segment_fixed_size: 0
    .kernarg_segment_align: 8
    .kernarg_segment_size: 112
    .language:       OpenCL C
    .language_version:
      - 2
      - 0
    .max_flat_workgroup_size: 256
    .name:           _ZN7rocprim17ROCPRIM_400000_NS6detail17trampoline_kernelINS0_14default_configENS1_27scan_by_key_config_selectorIiiEEZZNS1_16scan_by_key_implILNS1_25lookback_scan_determinismE0ELb0ES3_N6thrust23THRUST_200600_302600_NS6detail15normal_iteratorINS9_10device_ptrIiEEEESE_SE_iNS9_4plusIvEENS9_8equal_toIvEEiEE10hipError_tPvRmT2_T3_T4_T5_mT6_T7_P12ihipStream_tbENKUlT_T0_E_clISt17integral_constantIbLb1EESZ_EEDaSU_SV_EUlSU_E_NS1_11comp_targetILNS1_3genE10ELNS1_11target_archE1201ELNS1_3gpuE5ELNS1_3repE0EEENS1_30default_config_static_selectorELNS0_4arch9wavefront6targetE1EEEvT1_
    .private_segment_fixed_size: 0
    .sgpr_count:     6
    .sgpr_spill_count: 0
    .symbol:         _ZN7rocprim17ROCPRIM_400000_NS6detail17trampoline_kernelINS0_14default_configENS1_27scan_by_key_config_selectorIiiEEZZNS1_16scan_by_key_implILNS1_25lookback_scan_determinismE0ELb0ES3_N6thrust23THRUST_200600_302600_NS6detail15normal_iteratorINS9_10device_ptrIiEEEESE_SE_iNS9_4plusIvEENS9_8equal_toIvEEiEE10hipError_tPvRmT2_T3_T4_T5_mT6_T7_P12ihipStream_tbENKUlT_T0_E_clISt17integral_constantIbLb1EESZ_EEDaSU_SV_EUlSU_E_NS1_11comp_targetILNS1_3genE10ELNS1_11target_archE1201ELNS1_3gpuE5ELNS1_3repE0EEENS1_30default_config_static_selectorELNS0_4arch9wavefront6targetE1EEEvT1_.kd
    .uniform_work_group_size: 1
    .uses_dynamic_stack: false
    .vgpr_count:     0
    .vgpr_spill_count: 0
    .wavefront_size: 64
  - .agpr_count:     0
    .args:
      - .offset:         0
        .size:           112
        .value_kind:     by_value
    .group_segment_fixed_size: 25600
    .kernarg_segment_align: 8
    .kernarg_segment_size: 112
    .language:       OpenCL C
    .language_version:
      - 2
      - 0
    .max_flat_workgroup_size: 256
    .name:           _ZN7rocprim17ROCPRIM_400000_NS6detail17trampoline_kernelINS0_14default_configENS1_27scan_by_key_config_selectorIiiEEZZNS1_16scan_by_key_implILNS1_25lookback_scan_determinismE0ELb0ES3_N6thrust23THRUST_200600_302600_NS6detail15normal_iteratorINS9_10device_ptrIiEEEESE_SE_iNS9_4plusIvEENS9_8equal_toIvEEiEE10hipError_tPvRmT2_T3_T4_T5_mT6_T7_P12ihipStream_tbENKUlT_T0_E_clISt17integral_constantIbLb1EESZ_EEDaSU_SV_EUlSU_E_NS1_11comp_targetILNS1_3genE5ELNS1_11target_archE942ELNS1_3gpuE9ELNS1_3repE0EEENS1_30default_config_static_selectorELNS0_4arch9wavefront6targetE1EEEvT1_
    .private_segment_fixed_size: 0
    .sgpr_count:     91
    .sgpr_spill_count: 0
    .symbol:         _ZN7rocprim17ROCPRIM_400000_NS6detail17trampoline_kernelINS0_14default_configENS1_27scan_by_key_config_selectorIiiEEZZNS1_16scan_by_key_implILNS1_25lookback_scan_determinismE0ELb0ES3_N6thrust23THRUST_200600_302600_NS6detail15normal_iteratorINS9_10device_ptrIiEEEESE_SE_iNS9_4plusIvEENS9_8equal_toIvEEiEE10hipError_tPvRmT2_T3_T4_T5_mT6_T7_P12ihipStream_tbENKUlT_T0_E_clISt17integral_constantIbLb1EESZ_EEDaSU_SV_EUlSU_E_NS1_11comp_targetILNS1_3genE5ELNS1_11target_archE942ELNS1_3gpuE9ELNS1_3repE0EEENS1_30default_config_static_selectorELNS0_4arch9wavefront6targetE1EEEvT1_.kd
    .uniform_work_group_size: 1
    .uses_dynamic_stack: false
    .vgpr_count:     81
    .vgpr_spill_count: 0
    .wavefront_size: 64
  - .agpr_count:     0
    .args:
      - .offset:         0
        .size:           112
        .value_kind:     by_value
    .group_segment_fixed_size: 0
    .kernarg_segment_align: 8
    .kernarg_segment_size: 112
    .language:       OpenCL C
    .language_version:
      - 2
      - 0
    .max_flat_workgroup_size: 256
    .name:           _ZN7rocprim17ROCPRIM_400000_NS6detail17trampoline_kernelINS0_14default_configENS1_27scan_by_key_config_selectorIiiEEZZNS1_16scan_by_key_implILNS1_25lookback_scan_determinismE0ELb0ES3_N6thrust23THRUST_200600_302600_NS6detail15normal_iteratorINS9_10device_ptrIiEEEESE_SE_iNS9_4plusIvEENS9_8equal_toIvEEiEE10hipError_tPvRmT2_T3_T4_T5_mT6_T7_P12ihipStream_tbENKUlT_T0_E_clISt17integral_constantIbLb1EESZ_EEDaSU_SV_EUlSU_E_NS1_11comp_targetILNS1_3genE4ELNS1_11target_archE910ELNS1_3gpuE8ELNS1_3repE0EEENS1_30default_config_static_selectorELNS0_4arch9wavefront6targetE1EEEvT1_
    .private_segment_fixed_size: 0
    .sgpr_count:     6
    .sgpr_spill_count: 0
    .symbol:         _ZN7rocprim17ROCPRIM_400000_NS6detail17trampoline_kernelINS0_14default_configENS1_27scan_by_key_config_selectorIiiEEZZNS1_16scan_by_key_implILNS1_25lookback_scan_determinismE0ELb0ES3_N6thrust23THRUST_200600_302600_NS6detail15normal_iteratorINS9_10device_ptrIiEEEESE_SE_iNS9_4plusIvEENS9_8equal_toIvEEiEE10hipError_tPvRmT2_T3_T4_T5_mT6_T7_P12ihipStream_tbENKUlT_T0_E_clISt17integral_constantIbLb1EESZ_EEDaSU_SV_EUlSU_E_NS1_11comp_targetILNS1_3genE4ELNS1_11target_archE910ELNS1_3gpuE8ELNS1_3repE0EEENS1_30default_config_static_selectorELNS0_4arch9wavefront6targetE1EEEvT1_.kd
    .uniform_work_group_size: 1
    .uses_dynamic_stack: false
    .vgpr_count:     0
    .vgpr_spill_count: 0
    .wavefront_size: 64
  - .agpr_count:     0
    .args:
      - .offset:         0
        .size:           112
        .value_kind:     by_value
    .group_segment_fixed_size: 0
    .kernarg_segment_align: 8
    .kernarg_segment_size: 112
    .language:       OpenCL C
    .language_version:
      - 2
      - 0
    .max_flat_workgroup_size: 256
    .name:           _ZN7rocprim17ROCPRIM_400000_NS6detail17trampoline_kernelINS0_14default_configENS1_27scan_by_key_config_selectorIiiEEZZNS1_16scan_by_key_implILNS1_25lookback_scan_determinismE0ELb0ES3_N6thrust23THRUST_200600_302600_NS6detail15normal_iteratorINS9_10device_ptrIiEEEESE_SE_iNS9_4plusIvEENS9_8equal_toIvEEiEE10hipError_tPvRmT2_T3_T4_T5_mT6_T7_P12ihipStream_tbENKUlT_T0_E_clISt17integral_constantIbLb1EESZ_EEDaSU_SV_EUlSU_E_NS1_11comp_targetILNS1_3genE3ELNS1_11target_archE908ELNS1_3gpuE7ELNS1_3repE0EEENS1_30default_config_static_selectorELNS0_4arch9wavefront6targetE1EEEvT1_
    .private_segment_fixed_size: 0
    .sgpr_count:     6
    .sgpr_spill_count: 0
    .symbol:         _ZN7rocprim17ROCPRIM_400000_NS6detail17trampoline_kernelINS0_14default_configENS1_27scan_by_key_config_selectorIiiEEZZNS1_16scan_by_key_implILNS1_25lookback_scan_determinismE0ELb0ES3_N6thrust23THRUST_200600_302600_NS6detail15normal_iteratorINS9_10device_ptrIiEEEESE_SE_iNS9_4plusIvEENS9_8equal_toIvEEiEE10hipError_tPvRmT2_T3_T4_T5_mT6_T7_P12ihipStream_tbENKUlT_T0_E_clISt17integral_constantIbLb1EESZ_EEDaSU_SV_EUlSU_E_NS1_11comp_targetILNS1_3genE3ELNS1_11target_archE908ELNS1_3gpuE7ELNS1_3repE0EEENS1_30default_config_static_selectorELNS0_4arch9wavefront6targetE1EEEvT1_.kd
    .uniform_work_group_size: 1
    .uses_dynamic_stack: false
    .vgpr_count:     0
    .vgpr_spill_count: 0
    .wavefront_size: 64
  - .agpr_count:     0
    .args:
      - .offset:         0
        .size:           112
        .value_kind:     by_value
    .group_segment_fixed_size: 0
    .kernarg_segment_align: 8
    .kernarg_segment_size: 112
    .language:       OpenCL C
    .language_version:
      - 2
      - 0
    .max_flat_workgroup_size: 256
    .name:           _ZN7rocprim17ROCPRIM_400000_NS6detail17trampoline_kernelINS0_14default_configENS1_27scan_by_key_config_selectorIiiEEZZNS1_16scan_by_key_implILNS1_25lookback_scan_determinismE0ELb0ES3_N6thrust23THRUST_200600_302600_NS6detail15normal_iteratorINS9_10device_ptrIiEEEESE_SE_iNS9_4plusIvEENS9_8equal_toIvEEiEE10hipError_tPvRmT2_T3_T4_T5_mT6_T7_P12ihipStream_tbENKUlT_T0_E_clISt17integral_constantIbLb1EESZ_EEDaSU_SV_EUlSU_E_NS1_11comp_targetILNS1_3genE2ELNS1_11target_archE906ELNS1_3gpuE6ELNS1_3repE0EEENS1_30default_config_static_selectorELNS0_4arch9wavefront6targetE1EEEvT1_
    .private_segment_fixed_size: 0
    .sgpr_count:     6
    .sgpr_spill_count: 0
    .symbol:         _ZN7rocprim17ROCPRIM_400000_NS6detail17trampoline_kernelINS0_14default_configENS1_27scan_by_key_config_selectorIiiEEZZNS1_16scan_by_key_implILNS1_25lookback_scan_determinismE0ELb0ES3_N6thrust23THRUST_200600_302600_NS6detail15normal_iteratorINS9_10device_ptrIiEEEESE_SE_iNS9_4plusIvEENS9_8equal_toIvEEiEE10hipError_tPvRmT2_T3_T4_T5_mT6_T7_P12ihipStream_tbENKUlT_T0_E_clISt17integral_constantIbLb1EESZ_EEDaSU_SV_EUlSU_E_NS1_11comp_targetILNS1_3genE2ELNS1_11target_archE906ELNS1_3gpuE6ELNS1_3repE0EEENS1_30default_config_static_selectorELNS0_4arch9wavefront6targetE1EEEvT1_.kd
    .uniform_work_group_size: 1
    .uses_dynamic_stack: false
    .vgpr_count:     0
    .vgpr_spill_count: 0
    .wavefront_size: 64
  - .agpr_count:     0
    .args:
      - .offset:         0
        .size:           112
        .value_kind:     by_value
    .group_segment_fixed_size: 0
    .kernarg_segment_align: 8
    .kernarg_segment_size: 112
    .language:       OpenCL C
    .language_version:
      - 2
      - 0
    .max_flat_workgroup_size: 256
    .name:           _ZN7rocprim17ROCPRIM_400000_NS6detail17trampoline_kernelINS0_14default_configENS1_27scan_by_key_config_selectorIiiEEZZNS1_16scan_by_key_implILNS1_25lookback_scan_determinismE0ELb0ES3_N6thrust23THRUST_200600_302600_NS6detail15normal_iteratorINS9_10device_ptrIiEEEESE_SE_iNS9_4plusIvEENS9_8equal_toIvEEiEE10hipError_tPvRmT2_T3_T4_T5_mT6_T7_P12ihipStream_tbENKUlT_T0_E_clISt17integral_constantIbLb1EESZ_EEDaSU_SV_EUlSU_E_NS1_11comp_targetILNS1_3genE10ELNS1_11target_archE1200ELNS1_3gpuE4ELNS1_3repE0EEENS1_30default_config_static_selectorELNS0_4arch9wavefront6targetE1EEEvT1_
    .private_segment_fixed_size: 0
    .sgpr_count:     6
    .sgpr_spill_count: 0
    .symbol:         _ZN7rocprim17ROCPRIM_400000_NS6detail17trampoline_kernelINS0_14default_configENS1_27scan_by_key_config_selectorIiiEEZZNS1_16scan_by_key_implILNS1_25lookback_scan_determinismE0ELb0ES3_N6thrust23THRUST_200600_302600_NS6detail15normal_iteratorINS9_10device_ptrIiEEEESE_SE_iNS9_4plusIvEENS9_8equal_toIvEEiEE10hipError_tPvRmT2_T3_T4_T5_mT6_T7_P12ihipStream_tbENKUlT_T0_E_clISt17integral_constantIbLb1EESZ_EEDaSU_SV_EUlSU_E_NS1_11comp_targetILNS1_3genE10ELNS1_11target_archE1200ELNS1_3gpuE4ELNS1_3repE0EEENS1_30default_config_static_selectorELNS0_4arch9wavefront6targetE1EEEvT1_.kd
    .uniform_work_group_size: 1
    .uses_dynamic_stack: false
    .vgpr_count:     0
    .vgpr_spill_count: 0
    .wavefront_size: 64
  - .agpr_count:     0
    .args:
      - .offset:         0
        .size:           112
        .value_kind:     by_value
    .group_segment_fixed_size: 0
    .kernarg_segment_align: 8
    .kernarg_segment_size: 112
    .language:       OpenCL C
    .language_version:
      - 2
      - 0
    .max_flat_workgroup_size: 256
    .name:           _ZN7rocprim17ROCPRIM_400000_NS6detail17trampoline_kernelINS0_14default_configENS1_27scan_by_key_config_selectorIiiEEZZNS1_16scan_by_key_implILNS1_25lookback_scan_determinismE0ELb0ES3_N6thrust23THRUST_200600_302600_NS6detail15normal_iteratorINS9_10device_ptrIiEEEESE_SE_iNS9_4plusIvEENS9_8equal_toIvEEiEE10hipError_tPvRmT2_T3_T4_T5_mT6_T7_P12ihipStream_tbENKUlT_T0_E_clISt17integral_constantIbLb1EESZ_EEDaSU_SV_EUlSU_E_NS1_11comp_targetILNS1_3genE9ELNS1_11target_archE1100ELNS1_3gpuE3ELNS1_3repE0EEENS1_30default_config_static_selectorELNS0_4arch9wavefront6targetE1EEEvT1_
    .private_segment_fixed_size: 0
    .sgpr_count:     6
    .sgpr_spill_count: 0
    .symbol:         _ZN7rocprim17ROCPRIM_400000_NS6detail17trampoline_kernelINS0_14default_configENS1_27scan_by_key_config_selectorIiiEEZZNS1_16scan_by_key_implILNS1_25lookback_scan_determinismE0ELb0ES3_N6thrust23THRUST_200600_302600_NS6detail15normal_iteratorINS9_10device_ptrIiEEEESE_SE_iNS9_4plusIvEENS9_8equal_toIvEEiEE10hipError_tPvRmT2_T3_T4_T5_mT6_T7_P12ihipStream_tbENKUlT_T0_E_clISt17integral_constantIbLb1EESZ_EEDaSU_SV_EUlSU_E_NS1_11comp_targetILNS1_3genE9ELNS1_11target_archE1100ELNS1_3gpuE3ELNS1_3repE0EEENS1_30default_config_static_selectorELNS0_4arch9wavefront6targetE1EEEvT1_.kd
    .uniform_work_group_size: 1
    .uses_dynamic_stack: false
    .vgpr_count:     0
    .vgpr_spill_count: 0
    .wavefront_size: 64
  - .agpr_count:     0
    .args:
      - .offset:         0
        .size:           112
        .value_kind:     by_value
    .group_segment_fixed_size: 0
    .kernarg_segment_align: 8
    .kernarg_segment_size: 112
    .language:       OpenCL C
    .language_version:
      - 2
      - 0
    .max_flat_workgroup_size: 256
    .name:           _ZN7rocprim17ROCPRIM_400000_NS6detail17trampoline_kernelINS0_14default_configENS1_27scan_by_key_config_selectorIiiEEZZNS1_16scan_by_key_implILNS1_25lookback_scan_determinismE0ELb0ES3_N6thrust23THRUST_200600_302600_NS6detail15normal_iteratorINS9_10device_ptrIiEEEESE_SE_iNS9_4plusIvEENS9_8equal_toIvEEiEE10hipError_tPvRmT2_T3_T4_T5_mT6_T7_P12ihipStream_tbENKUlT_T0_E_clISt17integral_constantIbLb1EESZ_EEDaSU_SV_EUlSU_E_NS1_11comp_targetILNS1_3genE8ELNS1_11target_archE1030ELNS1_3gpuE2ELNS1_3repE0EEENS1_30default_config_static_selectorELNS0_4arch9wavefront6targetE1EEEvT1_
    .private_segment_fixed_size: 0
    .sgpr_count:     6
    .sgpr_spill_count: 0
    .symbol:         _ZN7rocprim17ROCPRIM_400000_NS6detail17trampoline_kernelINS0_14default_configENS1_27scan_by_key_config_selectorIiiEEZZNS1_16scan_by_key_implILNS1_25lookback_scan_determinismE0ELb0ES3_N6thrust23THRUST_200600_302600_NS6detail15normal_iteratorINS9_10device_ptrIiEEEESE_SE_iNS9_4plusIvEENS9_8equal_toIvEEiEE10hipError_tPvRmT2_T3_T4_T5_mT6_T7_P12ihipStream_tbENKUlT_T0_E_clISt17integral_constantIbLb1EESZ_EEDaSU_SV_EUlSU_E_NS1_11comp_targetILNS1_3genE8ELNS1_11target_archE1030ELNS1_3gpuE2ELNS1_3repE0EEENS1_30default_config_static_selectorELNS0_4arch9wavefront6targetE1EEEvT1_.kd
    .uniform_work_group_size: 1
    .uses_dynamic_stack: false
    .vgpr_count:     0
    .vgpr_spill_count: 0
    .wavefront_size: 64
  - .agpr_count:     0
    .args:
      - .address_space:  global
        .offset:         0
        .size:           8
        .value_kind:     global_buffer
      - .offset:         8
        .size:           4
        .value_kind:     by_value
      - .offset:         12
        .size:           4
        .value_kind:     by_value
      - .address_space:  global
        .offset:         16
        .size:           8
        .value_kind:     global_buffer
      - .address_space:  global
        .offset:         24
        .size:           8
        .value_kind:     global_buffer
      - .actual_access:  write_only
        .address_space:  global
        .offset:         32
        .size:           8
        .value_kind:     global_buffer
      - .offset:         40
        .size:           8
        .value_kind:     by_value
      - .offset:         48
        .size:           4
        .value_kind:     by_value
      - .offset:         52
        .size:           1
        .value_kind:     by_value
      - .offset:         56
        .size:           4
        .value_kind:     hidden_block_count_x
      - .offset:         60
        .size:           4
        .value_kind:     hidden_block_count_y
      - .offset:         64
        .size:           4
        .value_kind:     hidden_block_count_z
      - .offset:         68
        .size:           2
        .value_kind:     hidden_group_size_x
      - .offset:         70
        .size:           2
        .value_kind:     hidden_group_size_y
      - .offset:         72
        .size:           2
        .value_kind:     hidden_group_size_z
      - .offset:         74
        .size:           2
        .value_kind:     hidden_remainder_x
      - .offset:         76
        .size:           2
        .value_kind:     hidden_remainder_y
      - .offset:         78
        .size:           2
        .value_kind:     hidden_remainder_z
      - .offset:         96
        .size:           8
        .value_kind:     hidden_global_offset_x
      - .offset:         104
        .size:           8
        .value_kind:     hidden_global_offset_y
      - .offset:         112
        .size:           8
        .value_kind:     hidden_global_offset_z
      - .offset:         120
        .size:           2
        .value_kind:     hidden_grid_dims
    .group_segment_fixed_size: 0
    .kernarg_segment_align: 8
    .kernarg_segment_size: 312
    .language:       OpenCL C
    .language_version:
      - 2
      - 0
    .max_flat_workgroup_size: 256
    .name:           _ZN7rocprim17ROCPRIM_400000_NS6detail30init_device_scan_by_key_kernelINS1_19lookback_scan_stateINS0_5tupleIJibEEELb1ELb1EEEN6thrust23THRUST_200600_302600_NS6detail15normal_iteratorINS8_10device_ptrIiEEEEjNS1_16block_id_wrapperIjLb0EEEEEvT_jjPNSG_10value_typeET0_PNSt15iterator_traitsISJ_E10value_typeEmT1_T2_
    .private_segment_fixed_size: 0
    .sgpr_count:     26
    .sgpr_spill_count: 0
    .symbol:         _ZN7rocprim17ROCPRIM_400000_NS6detail30init_device_scan_by_key_kernelINS1_19lookback_scan_stateINS0_5tupleIJibEEELb1ELb1EEEN6thrust23THRUST_200600_302600_NS6detail15normal_iteratorINS8_10device_ptrIiEEEEjNS1_16block_id_wrapperIjLb0EEEEEvT_jjPNSG_10value_typeET0_PNSt15iterator_traitsISJ_E10value_typeEmT1_T2_.kd
    .uniform_work_group_size: 1
    .uses_dynamic_stack: false
    .vgpr_count:     10
    .vgpr_spill_count: 0
    .wavefront_size: 64
  - .agpr_count:     0
    .args:
      - .address_space:  global
        .offset:         0
        .size:           8
        .value_kind:     global_buffer
      - .offset:         8
        .size:           4
        .value_kind:     by_value
      - .offset:         12
        .size:           4
        .value_kind:     by_value
      - .address_space:  global
        .offset:         16
        .size:           8
        .value_kind:     global_buffer
      - .offset:         24
        .size:           1
        .value_kind:     by_value
      - .offset:         32
        .size:           4
        .value_kind:     hidden_block_count_x
      - .offset:         36
        .size:           4
        .value_kind:     hidden_block_count_y
      - .offset:         40
        .size:           4
        .value_kind:     hidden_block_count_z
      - .offset:         44
        .size:           2
        .value_kind:     hidden_group_size_x
      - .offset:         46
        .size:           2
        .value_kind:     hidden_group_size_y
      - .offset:         48
        .size:           2
        .value_kind:     hidden_group_size_z
      - .offset:         50
        .size:           2
        .value_kind:     hidden_remainder_x
      - .offset:         52
        .size:           2
        .value_kind:     hidden_remainder_y
      - .offset:         54
        .size:           2
        .value_kind:     hidden_remainder_z
      - .offset:         72
        .size:           8
        .value_kind:     hidden_global_offset_x
      - .offset:         80
        .size:           8
        .value_kind:     hidden_global_offset_y
      - .offset:         88
        .size:           8
        .value_kind:     hidden_global_offset_z
      - .offset:         96
        .size:           2
        .value_kind:     hidden_grid_dims
    .group_segment_fixed_size: 0
    .kernarg_segment_align: 8
    .kernarg_segment_size: 288
    .language:       OpenCL C
    .language_version:
      - 2
      - 0
    .max_flat_workgroup_size: 256
    .name:           _ZN7rocprim17ROCPRIM_400000_NS6detail30init_device_scan_by_key_kernelINS1_19lookback_scan_stateINS0_5tupleIJibEEELb1ELb1EEENS1_16block_id_wrapperIjLb0EEEEEvT_jjPNS9_10value_typeET0_
    .private_segment_fixed_size: 0
    .sgpr_count:     20
    .sgpr_spill_count: 0
    .symbol:         _ZN7rocprim17ROCPRIM_400000_NS6detail30init_device_scan_by_key_kernelINS1_19lookback_scan_stateINS0_5tupleIJibEEELb1ELb1EEENS1_16block_id_wrapperIjLb0EEEEEvT_jjPNS9_10value_typeET0_.kd
    .uniform_work_group_size: 1
    .uses_dynamic_stack: false
    .vgpr_count:     10
    .vgpr_spill_count: 0
    .wavefront_size: 64
  - .agpr_count:     0
    .args:
      - .offset:         0
        .size:           112
        .value_kind:     by_value
    .group_segment_fixed_size: 0
    .kernarg_segment_align: 8
    .kernarg_segment_size: 112
    .language:       OpenCL C
    .language_version:
      - 2
      - 0
    .max_flat_workgroup_size: 256
    .name:           _ZN7rocprim17ROCPRIM_400000_NS6detail17trampoline_kernelINS0_14default_configENS1_27scan_by_key_config_selectorIiiEEZZNS1_16scan_by_key_implILNS1_25lookback_scan_determinismE0ELb0ES3_N6thrust23THRUST_200600_302600_NS6detail15normal_iteratorINS9_10device_ptrIiEEEESE_SE_iNS9_4plusIvEENS9_8equal_toIvEEiEE10hipError_tPvRmT2_T3_T4_T5_mT6_T7_P12ihipStream_tbENKUlT_T0_E_clISt17integral_constantIbLb1EESY_IbLb0EEEEDaSU_SV_EUlSU_E_NS1_11comp_targetILNS1_3genE0ELNS1_11target_archE4294967295ELNS1_3gpuE0ELNS1_3repE0EEENS1_30default_config_static_selectorELNS0_4arch9wavefront6targetE1EEEvT1_
    .private_segment_fixed_size: 0
    .sgpr_count:     6
    .sgpr_spill_count: 0
    .symbol:         _ZN7rocprim17ROCPRIM_400000_NS6detail17trampoline_kernelINS0_14default_configENS1_27scan_by_key_config_selectorIiiEEZZNS1_16scan_by_key_implILNS1_25lookback_scan_determinismE0ELb0ES3_N6thrust23THRUST_200600_302600_NS6detail15normal_iteratorINS9_10device_ptrIiEEEESE_SE_iNS9_4plusIvEENS9_8equal_toIvEEiEE10hipError_tPvRmT2_T3_T4_T5_mT6_T7_P12ihipStream_tbENKUlT_T0_E_clISt17integral_constantIbLb1EESY_IbLb0EEEEDaSU_SV_EUlSU_E_NS1_11comp_targetILNS1_3genE0ELNS1_11target_archE4294967295ELNS1_3gpuE0ELNS1_3repE0EEENS1_30default_config_static_selectorELNS0_4arch9wavefront6targetE1EEEvT1_.kd
    .uniform_work_group_size: 1
    .uses_dynamic_stack: false
    .vgpr_count:     0
    .vgpr_spill_count: 0
    .wavefront_size: 64
  - .agpr_count:     0
    .args:
      - .offset:         0
        .size:           112
        .value_kind:     by_value
    .group_segment_fixed_size: 0
    .kernarg_segment_align: 8
    .kernarg_segment_size: 112
    .language:       OpenCL C
    .language_version:
      - 2
      - 0
    .max_flat_workgroup_size: 256
    .name:           _ZN7rocprim17ROCPRIM_400000_NS6detail17trampoline_kernelINS0_14default_configENS1_27scan_by_key_config_selectorIiiEEZZNS1_16scan_by_key_implILNS1_25lookback_scan_determinismE0ELb0ES3_N6thrust23THRUST_200600_302600_NS6detail15normal_iteratorINS9_10device_ptrIiEEEESE_SE_iNS9_4plusIvEENS9_8equal_toIvEEiEE10hipError_tPvRmT2_T3_T4_T5_mT6_T7_P12ihipStream_tbENKUlT_T0_E_clISt17integral_constantIbLb1EESY_IbLb0EEEEDaSU_SV_EUlSU_E_NS1_11comp_targetILNS1_3genE10ELNS1_11target_archE1201ELNS1_3gpuE5ELNS1_3repE0EEENS1_30default_config_static_selectorELNS0_4arch9wavefront6targetE1EEEvT1_
    .private_segment_fixed_size: 0
    .sgpr_count:     6
    .sgpr_spill_count: 0
    .symbol:         _ZN7rocprim17ROCPRIM_400000_NS6detail17trampoline_kernelINS0_14default_configENS1_27scan_by_key_config_selectorIiiEEZZNS1_16scan_by_key_implILNS1_25lookback_scan_determinismE0ELb0ES3_N6thrust23THRUST_200600_302600_NS6detail15normal_iteratorINS9_10device_ptrIiEEEESE_SE_iNS9_4plusIvEENS9_8equal_toIvEEiEE10hipError_tPvRmT2_T3_T4_T5_mT6_T7_P12ihipStream_tbENKUlT_T0_E_clISt17integral_constantIbLb1EESY_IbLb0EEEEDaSU_SV_EUlSU_E_NS1_11comp_targetILNS1_3genE10ELNS1_11target_archE1201ELNS1_3gpuE5ELNS1_3repE0EEENS1_30default_config_static_selectorELNS0_4arch9wavefront6targetE1EEEvT1_.kd
    .uniform_work_group_size: 1
    .uses_dynamic_stack: false
    .vgpr_count:     0
    .vgpr_spill_count: 0
    .wavefront_size: 64
  - .agpr_count:     0
    .args:
      - .offset:         0
        .size:           112
        .value_kind:     by_value
    .group_segment_fixed_size: 25600
    .kernarg_segment_align: 8
    .kernarg_segment_size: 112
    .language:       OpenCL C
    .language_version:
      - 2
      - 0
    .max_flat_workgroup_size: 256
    .name:           _ZN7rocprim17ROCPRIM_400000_NS6detail17trampoline_kernelINS0_14default_configENS1_27scan_by_key_config_selectorIiiEEZZNS1_16scan_by_key_implILNS1_25lookback_scan_determinismE0ELb0ES3_N6thrust23THRUST_200600_302600_NS6detail15normal_iteratorINS9_10device_ptrIiEEEESE_SE_iNS9_4plusIvEENS9_8equal_toIvEEiEE10hipError_tPvRmT2_T3_T4_T5_mT6_T7_P12ihipStream_tbENKUlT_T0_E_clISt17integral_constantIbLb1EESY_IbLb0EEEEDaSU_SV_EUlSU_E_NS1_11comp_targetILNS1_3genE5ELNS1_11target_archE942ELNS1_3gpuE9ELNS1_3repE0EEENS1_30default_config_static_selectorELNS0_4arch9wavefront6targetE1EEEvT1_
    .private_segment_fixed_size: 0
    .sgpr_count:     88
    .sgpr_spill_count: 0
    .symbol:         _ZN7rocprim17ROCPRIM_400000_NS6detail17trampoline_kernelINS0_14default_configENS1_27scan_by_key_config_selectorIiiEEZZNS1_16scan_by_key_implILNS1_25lookback_scan_determinismE0ELb0ES3_N6thrust23THRUST_200600_302600_NS6detail15normal_iteratorINS9_10device_ptrIiEEEESE_SE_iNS9_4plusIvEENS9_8equal_toIvEEiEE10hipError_tPvRmT2_T3_T4_T5_mT6_T7_P12ihipStream_tbENKUlT_T0_E_clISt17integral_constantIbLb1EESY_IbLb0EEEEDaSU_SV_EUlSU_E_NS1_11comp_targetILNS1_3genE5ELNS1_11target_archE942ELNS1_3gpuE9ELNS1_3repE0EEENS1_30default_config_static_selectorELNS0_4arch9wavefront6targetE1EEEvT1_.kd
    .uniform_work_group_size: 1
    .uses_dynamic_stack: false
    .vgpr_count:     81
    .vgpr_spill_count: 0
    .wavefront_size: 64
  - .agpr_count:     0
    .args:
      - .offset:         0
        .size:           112
        .value_kind:     by_value
    .group_segment_fixed_size: 0
    .kernarg_segment_align: 8
    .kernarg_segment_size: 112
    .language:       OpenCL C
    .language_version:
      - 2
      - 0
    .max_flat_workgroup_size: 256
    .name:           _ZN7rocprim17ROCPRIM_400000_NS6detail17trampoline_kernelINS0_14default_configENS1_27scan_by_key_config_selectorIiiEEZZNS1_16scan_by_key_implILNS1_25lookback_scan_determinismE0ELb0ES3_N6thrust23THRUST_200600_302600_NS6detail15normal_iteratorINS9_10device_ptrIiEEEESE_SE_iNS9_4plusIvEENS9_8equal_toIvEEiEE10hipError_tPvRmT2_T3_T4_T5_mT6_T7_P12ihipStream_tbENKUlT_T0_E_clISt17integral_constantIbLb1EESY_IbLb0EEEEDaSU_SV_EUlSU_E_NS1_11comp_targetILNS1_3genE4ELNS1_11target_archE910ELNS1_3gpuE8ELNS1_3repE0EEENS1_30default_config_static_selectorELNS0_4arch9wavefront6targetE1EEEvT1_
    .private_segment_fixed_size: 0
    .sgpr_count:     6
    .sgpr_spill_count: 0
    .symbol:         _ZN7rocprim17ROCPRIM_400000_NS6detail17trampoline_kernelINS0_14default_configENS1_27scan_by_key_config_selectorIiiEEZZNS1_16scan_by_key_implILNS1_25lookback_scan_determinismE0ELb0ES3_N6thrust23THRUST_200600_302600_NS6detail15normal_iteratorINS9_10device_ptrIiEEEESE_SE_iNS9_4plusIvEENS9_8equal_toIvEEiEE10hipError_tPvRmT2_T3_T4_T5_mT6_T7_P12ihipStream_tbENKUlT_T0_E_clISt17integral_constantIbLb1EESY_IbLb0EEEEDaSU_SV_EUlSU_E_NS1_11comp_targetILNS1_3genE4ELNS1_11target_archE910ELNS1_3gpuE8ELNS1_3repE0EEENS1_30default_config_static_selectorELNS0_4arch9wavefront6targetE1EEEvT1_.kd
    .uniform_work_group_size: 1
    .uses_dynamic_stack: false
    .vgpr_count:     0
    .vgpr_spill_count: 0
    .wavefront_size: 64
  - .agpr_count:     0
    .args:
      - .offset:         0
        .size:           112
        .value_kind:     by_value
    .group_segment_fixed_size: 0
    .kernarg_segment_align: 8
    .kernarg_segment_size: 112
    .language:       OpenCL C
    .language_version:
      - 2
      - 0
    .max_flat_workgroup_size: 256
    .name:           _ZN7rocprim17ROCPRIM_400000_NS6detail17trampoline_kernelINS0_14default_configENS1_27scan_by_key_config_selectorIiiEEZZNS1_16scan_by_key_implILNS1_25lookback_scan_determinismE0ELb0ES3_N6thrust23THRUST_200600_302600_NS6detail15normal_iteratorINS9_10device_ptrIiEEEESE_SE_iNS9_4plusIvEENS9_8equal_toIvEEiEE10hipError_tPvRmT2_T3_T4_T5_mT6_T7_P12ihipStream_tbENKUlT_T0_E_clISt17integral_constantIbLb1EESY_IbLb0EEEEDaSU_SV_EUlSU_E_NS1_11comp_targetILNS1_3genE3ELNS1_11target_archE908ELNS1_3gpuE7ELNS1_3repE0EEENS1_30default_config_static_selectorELNS0_4arch9wavefront6targetE1EEEvT1_
    .private_segment_fixed_size: 0
    .sgpr_count:     6
    .sgpr_spill_count: 0
    .symbol:         _ZN7rocprim17ROCPRIM_400000_NS6detail17trampoline_kernelINS0_14default_configENS1_27scan_by_key_config_selectorIiiEEZZNS1_16scan_by_key_implILNS1_25lookback_scan_determinismE0ELb0ES3_N6thrust23THRUST_200600_302600_NS6detail15normal_iteratorINS9_10device_ptrIiEEEESE_SE_iNS9_4plusIvEENS9_8equal_toIvEEiEE10hipError_tPvRmT2_T3_T4_T5_mT6_T7_P12ihipStream_tbENKUlT_T0_E_clISt17integral_constantIbLb1EESY_IbLb0EEEEDaSU_SV_EUlSU_E_NS1_11comp_targetILNS1_3genE3ELNS1_11target_archE908ELNS1_3gpuE7ELNS1_3repE0EEENS1_30default_config_static_selectorELNS0_4arch9wavefront6targetE1EEEvT1_.kd
    .uniform_work_group_size: 1
    .uses_dynamic_stack: false
    .vgpr_count:     0
    .vgpr_spill_count: 0
    .wavefront_size: 64
  - .agpr_count:     0
    .args:
      - .offset:         0
        .size:           112
        .value_kind:     by_value
    .group_segment_fixed_size: 0
    .kernarg_segment_align: 8
    .kernarg_segment_size: 112
    .language:       OpenCL C
    .language_version:
      - 2
      - 0
    .max_flat_workgroup_size: 256
    .name:           _ZN7rocprim17ROCPRIM_400000_NS6detail17trampoline_kernelINS0_14default_configENS1_27scan_by_key_config_selectorIiiEEZZNS1_16scan_by_key_implILNS1_25lookback_scan_determinismE0ELb0ES3_N6thrust23THRUST_200600_302600_NS6detail15normal_iteratorINS9_10device_ptrIiEEEESE_SE_iNS9_4plusIvEENS9_8equal_toIvEEiEE10hipError_tPvRmT2_T3_T4_T5_mT6_T7_P12ihipStream_tbENKUlT_T0_E_clISt17integral_constantIbLb1EESY_IbLb0EEEEDaSU_SV_EUlSU_E_NS1_11comp_targetILNS1_3genE2ELNS1_11target_archE906ELNS1_3gpuE6ELNS1_3repE0EEENS1_30default_config_static_selectorELNS0_4arch9wavefront6targetE1EEEvT1_
    .private_segment_fixed_size: 0
    .sgpr_count:     6
    .sgpr_spill_count: 0
    .symbol:         _ZN7rocprim17ROCPRIM_400000_NS6detail17trampoline_kernelINS0_14default_configENS1_27scan_by_key_config_selectorIiiEEZZNS1_16scan_by_key_implILNS1_25lookback_scan_determinismE0ELb0ES3_N6thrust23THRUST_200600_302600_NS6detail15normal_iteratorINS9_10device_ptrIiEEEESE_SE_iNS9_4plusIvEENS9_8equal_toIvEEiEE10hipError_tPvRmT2_T3_T4_T5_mT6_T7_P12ihipStream_tbENKUlT_T0_E_clISt17integral_constantIbLb1EESY_IbLb0EEEEDaSU_SV_EUlSU_E_NS1_11comp_targetILNS1_3genE2ELNS1_11target_archE906ELNS1_3gpuE6ELNS1_3repE0EEENS1_30default_config_static_selectorELNS0_4arch9wavefront6targetE1EEEvT1_.kd
    .uniform_work_group_size: 1
    .uses_dynamic_stack: false
    .vgpr_count:     0
    .vgpr_spill_count: 0
    .wavefront_size: 64
  - .agpr_count:     0
    .args:
      - .offset:         0
        .size:           112
        .value_kind:     by_value
    .group_segment_fixed_size: 0
    .kernarg_segment_align: 8
    .kernarg_segment_size: 112
    .language:       OpenCL C
    .language_version:
      - 2
      - 0
    .max_flat_workgroup_size: 256
    .name:           _ZN7rocprim17ROCPRIM_400000_NS6detail17trampoline_kernelINS0_14default_configENS1_27scan_by_key_config_selectorIiiEEZZNS1_16scan_by_key_implILNS1_25lookback_scan_determinismE0ELb0ES3_N6thrust23THRUST_200600_302600_NS6detail15normal_iteratorINS9_10device_ptrIiEEEESE_SE_iNS9_4plusIvEENS9_8equal_toIvEEiEE10hipError_tPvRmT2_T3_T4_T5_mT6_T7_P12ihipStream_tbENKUlT_T0_E_clISt17integral_constantIbLb1EESY_IbLb0EEEEDaSU_SV_EUlSU_E_NS1_11comp_targetILNS1_3genE10ELNS1_11target_archE1200ELNS1_3gpuE4ELNS1_3repE0EEENS1_30default_config_static_selectorELNS0_4arch9wavefront6targetE1EEEvT1_
    .private_segment_fixed_size: 0
    .sgpr_count:     6
    .sgpr_spill_count: 0
    .symbol:         _ZN7rocprim17ROCPRIM_400000_NS6detail17trampoline_kernelINS0_14default_configENS1_27scan_by_key_config_selectorIiiEEZZNS1_16scan_by_key_implILNS1_25lookback_scan_determinismE0ELb0ES3_N6thrust23THRUST_200600_302600_NS6detail15normal_iteratorINS9_10device_ptrIiEEEESE_SE_iNS9_4plusIvEENS9_8equal_toIvEEiEE10hipError_tPvRmT2_T3_T4_T5_mT6_T7_P12ihipStream_tbENKUlT_T0_E_clISt17integral_constantIbLb1EESY_IbLb0EEEEDaSU_SV_EUlSU_E_NS1_11comp_targetILNS1_3genE10ELNS1_11target_archE1200ELNS1_3gpuE4ELNS1_3repE0EEENS1_30default_config_static_selectorELNS0_4arch9wavefront6targetE1EEEvT1_.kd
    .uniform_work_group_size: 1
    .uses_dynamic_stack: false
    .vgpr_count:     0
    .vgpr_spill_count: 0
    .wavefront_size: 64
  - .agpr_count:     0
    .args:
      - .offset:         0
        .size:           112
        .value_kind:     by_value
    .group_segment_fixed_size: 0
    .kernarg_segment_align: 8
    .kernarg_segment_size: 112
    .language:       OpenCL C
    .language_version:
      - 2
      - 0
    .max_flat_workgroup_size: 256
    .name:           _ZN7rocprim17ROCPRIM_400000_NS6detail17trampoline_kernelINS0_14default_configENS1_27scan_by_key_config_selectorIiiEEZZNS1_16scan_by_key_implILNS1_25lookback_scan_determinismE0ELb0ES3_N6thrust23THRUST_200600_302600_NS6detail15normal_iteratorINS9_10device_ptrIiEEEESE_SE_iNS9_4plusIvEENS9_8equal_toIvEEiEE10hipError_tPvRmT2_T3_T4_T5_mT6_T7_P12ihipStream_tbENKUlT_T0_E_clISt17integral_constantIbLb1EESY_IbLb0EEEEDaSU_SV_EUlSU_E_NS1_11comp_targetILNS1_3genE9ELNS1_11target_archE1100ELNS1_3gpuE3ELNS1_3repE0EEENS1_30default_config_static_selectorELNS0_4arch9wavefront6targetE1EEEvT1_
    .private_segment_fixed_size: 0
    .sgpr_count:     6
    .sgpr_spill_count: 0
    .symbol:         _ZN7rocprim17ROCPRIM_400000_NS6detail17trampoline_kernelINS0_14default_configENS1_27scan_by_key_config_selectorIiiEEZZNS1_16scan_by_key_implILNS1_25lookback_scan_determinismE0ELb0ES3_N6thrust23THRUST_200600_302600_NS6detail15normal_iteratorINS9_10device_ptrIiEEEESE_SE_iNS9_4plusIvEENS9_8equal_toIvEEiEE10hipError_tPvRmT2_T3_T4_T5_mT6_T7_P12ihipStream_tbENKUlT_T0_E_clISt17integral_constantIbLb1EESY_IbLb0EEEEDaSU_SV_EUlSU_E_NS1_11comp_targetILNS1_3genE9ELNS1_11target_archE1100ELNS1_3gpuE3ELNS1_3repE0EEENS1_30default_config_static_selectorELNS0_4arch9wavefront6targetE1EEEvT1_.kd
    .uniform_work_group_size: 1
    .uses_dynamic_stack: false
    .vgpr_count:     0
    .vgpr_spill_count: 0
    .wavefront_size: 64
  - .agpr_count:     0
    .args:
      - .offset:         0
        .size:           112
        .value_kind:     by_value
    .group_segment_fixed_size: 0
    .kernarg_segment_align: 8
    .kernarg_segment_size: 112
    .language:       OpenCL C
    .language_version:
      - 2
      - 0
    .max_flat_workgroup_size: 256
    .name:           _ZN7rocprim17ROCPRIM_400000_NS6detail17trampoline_kernelINS0_14default_configENS1_27scan_by_key_config_selectorIiiEEZZNS1_16scan_by_key_implILNS1_25lookback_scan_determinismE0ELb0ES3_N6thrust23THRUST_200600_302600_NS6detail15normal_iteratorINS9_10device_ptrIiEEEESE_SE_iNS9_4plusIvEENS9_8equal_toIvEEiEE10hipError_tPvRmT2_T3_T4_T5_mT6_T7_P12ihipStream_tbENKUlT_T0_E_clISt17integral_constantIbLb1EESY_IbLb0EEEEDaSU_SV_EUlSU_E_NS1_11comp_targetILNS1_3genE8ELNS1_11target_archE1030ELNS1_3gpuE2ELNS1_3repE0EEENS1_30default_config_static_selectorELNS0_4arch9wavefront6targetE1EEEvT1_
    .private_segment_fixed_size: 0
    .sgpr_count:     6
    .sgpr_spill_count: 0
    .symbol:         _ZN7rocprim17ROCPRIM_400000_NS6detail17trampoline_kernelINS0_14default_configENS1_27scan_by_key_config_selectorIiiEEZZNS1_16scan_by_key_implILNS1_25lookback_scan_determinismE0ELb0ES3_N6thrust23THRUST_200600_302600_NS6detail15normal_iteratorINS9_10device_ptrIiEEEESE_SE_iNS9_4plusIvEENS9_8equal_toIvEEiEE10hipError_tPvRmT2_T3_T4_T5_mT6_T7_P12ihipStream_tbENKUlT_T0_E_clISt17integral_constantIbLb1EESY_IbLb0EEEEDaSU_SV_EUlSU_E_NS1_11comp_targetILNS1_3genE8ELNS1_11target_archE1030ELNS1_3gpuE2ELNS1_3repE0EEENS1_30default_config_static_selectorELNS0_4arch9wavefront6targetE1EEEvT1_.kd
    .uniform_work_group_size: 1
    .uses_dynamic_stack: false
    .vgpr_count:     0
    .vgpr_spill_count: 0
    .wavefront_size: 64
  - .agpr_count:     0
    .args:
      - .address_space:  global
        .offset:         0
        .size:           8
        .value_kind:     global_buffer
      - .offset:         8
        .size:           4
        .value_kind:     by_value
      - .offset:         12
        .size:           4
        .value_kind:     by_value
      - .address_space:  global
        .offset:         16
        .size:           8
        .value_kind:     global_buffer
      - .address_space:  global
        .offset:         24
        .size:           8
        .value_kind:     global_buffer
      - .actual_access:  write_only
        .address_space:  global
        .offset:         32
        .size:           8
        .value_kind:     global_buffer
      - .offset:         40
        .size:           8
        .value_kind:     by_value
      - .offset:         48
        .size:           4
        .value_kind:     by_value
      - .address_space:  global
        .offset:         56
        .size:           8
        .value_kind:     global_buffer
      - .offset:         64
        .size:           4
        .value_kind:     hidden_block_count_x
      - .offset:         68
        .size:           4
        .value_kind:     hidden_block_count_y
      - .offset:         72
        .size:           4
        .value_kind:     hidden_block_count_z
      - .offset:         76
        .size:           2
        .value_kind:     hidden_group_size_x
      - .offset:         78
        .size:           2
        .value_kind:     hidden_group_size_y
      - .offset:         80
        .size:           2
        .value_kind:     hidden_group_size_z
      - .offset:         82
        .size:           2
        .value_kind:     hidden_remainder_x
      - .offset:         84
        .size:           2
        .value_kind:     hidden_remainder_y
      - .offset:         86
        .size:           2
        .value_kind:     hidden_remainder_z
      - .offset:         104
        .size:           8
        .value_kind:     hidden_global_offset_x
      - .offset:         112
        .size:           8
        .value_kind:     hidden_global_offset_y
      - .offset:         120
        .size:           8
        .value_kind:     hidden_global_offset_z
      - .offset:         128
        .size:           2
        .value_kind:     hidden_grid_dims
    .group_segment_fixed_size: 0
    .kernarg_segment_align: 8
    .kernarg_segment_size: 320
    .language:       OpenCL C
    .language_version:
      - 2
      - 0
    .max_flat_workgroup_size: 256
    .name:           _ZN7rocprim17ROCPRIM_400000_NS6detail30init_device_scan_by_key_kernelINS1_19lookback_scan_stateINS0_5tupleIJibEEELb0ELb1EEEN6thrust23THRUST_200600_302600_NS6detail15normal_iteratorINS8_10device_ptrIiEEEEjNS1_16block_id_wrapperIjLb1EEEEEvT_jjPNSG_10value_typeET0_PNSt15iterator_traitsISJ_E10value_typeEmT1_T2_
    .private_segment_fixed_size: 0
    .sgpr_count:     26
    .sgpr_spill_count: 0
    .symbol:         _ZN7rocprim17ROCPRIM_400000_NS6detail30init_device_scan_by_key_kernelINS1_19lookback_scan_stateINS0_5tupleIJibEEELb0ELb1EEEN6thrust23THRUST_200600_302600_NS6detail15normal_iteratorINS8_10device_ptrIiEEEEjNS1_16block_id_wrapperIjLb1EEEEEvT_jjPNSG_10value_typeET0_PNSt15iterator_traitsISJ_E10value_typeEmT1_T2_.kd
    .uniform_work_group_size: 1
    .uses_dynamic_stack: false
    .vgpr_count:     10
    .vgpr_spill_count: 0
    .wavefront_size: 64
  - .agpr_count:     0
    .args:
      - .address_space:  global
        .offset:         0
        .size:           8
        .value_kind:     global_buffer
      - .offset:         8
        .size:           4
        .value_kind:     by_value
      - .offset:         12
        .size:           4
        .value_kind:     by_value
      - .address_space:  global
        .offset:         16
        .size:           8
        .value_kind:     global_buffer
      - .address_space:  global
        .offset:         24
        .size:           8
        .value_kind:     global_buffer
      - .offset:         32
        .size:           4
        .value_kind:     hidden_block_count_x
      - .offset:         36
        .size:           4
        .value_kind:     hidden_block_count_y
      - .offset:         40
        .size:           4
        .value_kind:     hidden_block_count_z
      - .offset:         44
        .size:           2
        .value_kind:     hidden_group_size_x
      - .offset:         46
        .size:           2
        .value_kind:     hidden_group_size_y
      - .offset:         48
        .size:           2
        .value_kind:     hidden_group_size_z
      - .offset:         50
        .size:           2
        .value_kind:     hidden_remainder_x
      - .offset:         52
        .size:           2
        .value_kind:     hidden_remainder_y
      - .offset:         54
        .size:           2
        .value_kind:     hidden_remainder_z
      - .offset:         72
        .size:           8
        .value_kind:     hidden_global_offset_x
      - .offset:         80
        .size:           8
        .value_kind:     hidden_global_offset_y
      - .offset:         88
        .size:           8
        .value_kind:     hidden_global_offset_z
      - .offset:         96
        .size:           2
        .value_kind:     hidden_grid_dims
    .group_segment_fixed_size: 0
    .kernarg_segment_align: 8
    .kernarg_segment_size: 288
    .language:       OpenCL C
    .language_version:
      - 2
      - 0
    .max_flat_workgroup_size: 256
    .name:           _ZN7rocprim17ROCPRIM_400000_NS6detail30init_device_scan_by_key_kernelINS1_19lookback_scan_stateINS0_5tupleIJibEEELb0ELb1EEENS1_16block_id_wrapperIjLb1EEEEEvT_jjPNS9_10value_typeET0_
    .private_segment_fixed_size: 0
    .sgpr_count:     22
    .sgpr_spill_count: 0
    .symbol:         _ZN7rocprim17ROCPRIM_400000_NS6detail30init_device_scan_by_key_kernelINS1_19lookback_scan_stateINS0_5tupleIJibEEELb0ELb1EEENS1_16block_id_wrapperIjLb1EEEEEvT_jjPNS9_10value_typeET0_.kd
    .uniform_work_group_size: 1
    .uses_dynamic_stack: false
    .vgpr_count:     10
    .vgpr_spill_count: 0
    .wavefront_size: 64
  - .agpr_count:     0
    .args:
      - .offset:         0
        .size:           112
        .value_kind:     by_value
    .group_segment_fixed_size: 0
    .kernarg_segment_align: 8
    .kernarg_segment_size: 112
    .language:       OpenCL C
    .language_version:
      - 2
      - 0
    .max_flat_workgroup_size: 256
    .name:           _ZN7rocprim17ROCPRIM_400000_NS6detail17trampoline_kernelINS0_14default_configENS1_27scan_by_key_config_selectorIiiEEZZNS1_16scan_by_key_implILNS1_25lookback_scan_determinismE0ELb0ES3_N6thrust23THRUST_200600_302600_NS6detail15normal_iteratorINS9_10device_ptrIiEEEESE_SE_iNS9_4plusIvEENS9_8equal_toIvEEiEE10hipError_tPvRmT2_T3_T4_T5_mT6_T7_P12ihipStream_tbENKUlT_T0_E_clISt17integral_constantIbLb0EESY_IbLb1EEEEDaSU_SV_EUlSU_E_NS1_11comp_targetILNS1_3genE0ELNS1_11target_archE4294967295ELNS1_3gpuE0ELNS1_3repE0EEENS1_30default_config_static_selectorELNS0_4arch9wavefront6targetE1EEEvT1_
    .private_segment_fixed_size: 0
    .sgpr_count:     6
    .sgpr_spill_count: 0
    .symbol:         _ZN7rocprim17ROCPRIM_400000_NS6detail17trampoline_kernelINS0_14default_configENS1_27scan_by_key_config_selectorIiiEEZZNS1_16scan_by_key_implILNS1_25lookback_scan_determinismE0ELb0ES3_N6thrust23THRUST_200600_302600_NS6detail15normal_iteratorINS9_10device_ptrIiEEEESE_SE_iNS9_4plusIvEENS9_8equal_toIvEEiEE10hipError_tPvRmT2_T3_T4_T5_mT6_T7_P12ihipStream_tbENKUlT_T0_E_clISt17integral_constantIbLb0EESY_IbLb1EEEEDaSU_SV_EUlSU_E_NS1_11comp_targetILNS1_3genE0ELNS1_11target_archE4294967295ELNS1_3gpuE0ELNS1_3repE0EEENS1_30default_config_static_selectorELNS0_4arch9wavefront6targetE1EEEvT1_.kd
    .uniform_work_group_size: 1
    .uses_dynamic_stack: false
    .vgpr_count:     0
    .vgpr_spill_count: 0
    .wavefront_size: 64
  - .agpr_count:     0
    .args:
      - .offset:         0
        .size:           112
        .value_kind:     by_value
    .group_segment_fixed_size: 0
    .kernarg_segment_align: 8
    .kernarg_segment_size: 112
    .language:       OpenCL C
    .language_version:
      - 2
      - 0
    .max_flat_workgroup_size: 256
    .name:           _ZN7rocprim17ROCPRIM_400000_NS6detail17trampoline_kernelINS0_14default_configENS1_27scan_by_key_config_selectorIiiEEZZNS1_16scan_by_key_implILNS1_25lookback_scan_determinismE0ELb0ES3_N6thrust23THRUST_200600_302600_NS6detail15normal_iteratorINS9_10device_ptrIiEEEESE_SE_iNS9_4plusIvEENS9_8equal_toIvEEiEE10hipError_tPvRmT2_T3_T4_T5_mT6_T7_P12ihipStream_tbENKUlT_T0_E_clISt17integral_constantIbLb0EESY_IbLb1EEEEDaSU_SV_EUlSU_E_NS1_11comp_targetILNS1_3genE10ELNS1_11target_archE1201ELNS1_3gpuE5ELNS1_3repE0EEENS1_30default_config_static_selectorELNS0_4arch9wavefront6targetE1EEEvT1_
    .private_segment_fixed_size: 0
    .sgpr_count:     6
    .sgpr_spill_count: 0
    .symbol:         _ZN7rocprim17ROCPRIM_400000_NS6detail17trampoline_kernelINS0_14default_configENS1_27scan_by_key_config_selectorIiiEEZZNS1_16scan_by_key_implILNS1_25lookback_scan_determinismE0ELb0ES3_N6thrust23THRUST_200600_302600_NS6detail15normal_iteratorINS9_10device_ptrIiEEEESE_SE_iNS9_4plusIvEENS9_8equal_toIvEEiEE10hipError_tPvRmT2_T3_T4_T5_mT6_T7_P12ihipStream_tbENKUlT_T0_E_clISt17integral_constantIbLb0EESY_IbLb1EEEEDaSU_SV_EUlSU_E_NS1_11comp_targetILNS1_3genE10ELNS1_11target_archE1201ELNS1_3gpuE5ELNS1_3repE0EEENS1_30default_config_static_selectorELNS0_4arch9wavefront6targetE1EEEvT1_.kd
    .uniform_work_group_size: 1
    .uses_dynamic_stack: false
    .vgpr_count:     0
    .vgpr_spill_count: 0
    .wavefront_size: 64
  - .agpr_count:     0
    .args:
      - .offset:         0
        .size:           112
        .value_kind:     by_value
    .group_segment_fixed_size: 25600
    .kernarg_segment_align: 8
    .kernarg_segment_size: 112
    .language:       OpenCL C
    .language_version:
      - 2
      - 0
    .max_flat_workgroup_size: 256
    .name:           _ZN7rocprim17ROCPRIM_400000_NS6detail17trampoline_kernelINS0_14default_configENS1_27scan_by_key_config_selectorIiiEEZZNS1_16scan_by_key_implILNS1_25lookback_scan_determinismE0ELb0ES3_N6thrust23THRUST_200600_302600_NS6detail15normal_iteratorINS9_10device_ptrIiEEEESE_SE_iNS9_4plusIvEENS9_8equal_toIvEEiEE10hipError_tPvRmT2_T3_T4_T5_mT6_T7_P12ihipStream_tbENKUlT_T0_E_clISt17integral_constantIbLb0EESY_IbLb1EEEEDaSU_SV_EUlSU_E_NS1_11comp_targetILNS1_3genE5ELNS1_11target_archE942ELNS1_3gpuE9ELNS1_3repE0EEENS1_30default_config_static_selectorELNS0_4arch9wavefront6targetE1EEEvT1_
    .private_segment_fixed_size: 0
    .sgpr_count:     91
    .sgpr_spill_count: 0
    .symbol:         _ZN7rocprim17ROCPRIM_400000_NS6detail17trampoline_kernelINS0_14default_configENS1_27scan_by_key_config_selectorIiiEEZZNS1_16scan_by_key_implILNS1_25lookback_scan_determinismE0ELb0ES3_N6thrust23THRUST_200600_302600_NS6detail15normal_iteratorINS9_10device_ptrIiEEEESE_SE_iNS9_4plusIvEENS9_8equal_toIvEEiEE10hipError_tPvRmT2_T3_T4_T5_mT6_T7_P12ihipStream_tbENKUlT_T0_E_clISt17integral_constantIbLb0EESY_IbLb1EEEEDaSU_SV_EUlSU_E_NS1_11comp_targetILNS1_3genE5ELNS1_11target_archE942ELNS1_3gpuE9ELNS1_3repE0EEENS1_30default_config_static_selectorELNS0_4arch9wavefront6targetE1EEEvT1_.kd
    .uniform_work_group_size: 1
    .uses_dynamic_stack: false
    .vgpr_count:     81
    .vgpr_spill_count: 0
    .wavefront_size: 64
  - .agpr_count:     0
    .args:
      - .offset:         0
        .size:           112
        .value_kind:     by_value
    .group_segment_fixed_size: 0
    .kernarg_segment_align: 8
    .kernarg_segment_size: 112
    .language:       OpenCL C
    .language_version:
      - 2
      - 0
    .max_flat_workgroup_size: 256
    .name:           _ZN7rocprim17ROCPRIM_400000_NS6detail17trampoline_kernelINS0_14default_configENS1_27scan_by_key_config_selectorIiiEEZZNS1_16scan_by_key_implILNS1_25lookback_scan_determinismE0ELb0ES3_N6thrust23THRUST_200600_302600_NS6detail15normal_iteratorINS9_10device_ptrIiEEEESE_SE_iNS9_4plusIvEENS9_8equal_toIvEEiEE10hipError_tPvRmT2_T3_T4_T5_mT6_T7_P12ihipStream_tbENKUlT_T0_E_clISt17integral_constantIbLb0EESY_IbLb1EEEEDaSU_SV_EUlSU_E_NS1_11comp_targetILNS1_3genE4ELNS1_11target_archE910ELNS1_3gpuE8ELNS1_3repE0EEENS1_30default_config_static_selectorELNS0_4arch9wavefront6targetE1EEEvT1_
    .private_segment_fixed_size: 0
    .sgpr_count:     6
    .sgpr_spill_count: 0
    .symbol:         _ZN7rocprim17ROCPRIM_400000_NS6detail17trampoline_kernelINS0_14default_configENS1_27scan_by_key_config_selectorIiiEEZZNS1_16scan_by_key_implILNS1_25lookback_scan_determinismE0ELb0ES3_N6thrust23THRUST_200600_302600_NS6detail15normal_iteratorINS9_10device_ptrIiEEEESE_SE_iNS9_4plusIvEENS9_8equal_toIvEEiEE10hipError_tPvRmT2_T3_T4_T5_mT6_T7_P12ihipStream_tbENKUlT_T0_E_clISt17integral_constantIbLb0EESY_IbLb1EEEEDaSU_SV_EUlSU_E_NS1_11comp_targetILNS1_3genE4ELNS1_11target_archE910ELNS1_3gpuE8ELNS1_3repE0EEENS1_30default_config_static_selectorELNS0_4arch9wavefront6targetE1EEEvT1_.kd
    .uniform_work_group_size: 1
    .uses_dynamic_stack: false
    .vgpr_count:     0
    .vgpr_spill_count: 0
    .wavefront_size: 64
  - .agpr_count:     0
    .args:
      - .offset:         0
        .size:           112
        .value_kind:     by_value
    .group_segment_fixed_size: 0
    .kernarg_segment_align: 8
    .kernarg_segment_size: 112
    .language:       OpenCL C
    .language_version:
      - 2
      - 0
    .max_flat_workgroup_size: 256
    .name:           _ZN7rocprim17ROCPRIM_400000_NS6detail17trampoline_kernelINS0_14default_configENS1_27scan_by_key_config_selectorIiiEEZZNS1_16scan_by_key_implILNS1_25lookback_scan_determinismE0ELb0ES3_N6thrust23THRUST_200600_302600_NS6detail15normal_iteratorINS9_10device_ptrIiEEEESE_SE_iNS9_4plusIvEENS9_8equal_toIvEEiEE10hipError_tPvRmT2_T3_T4_T5_mT6_T7_P12ihipStream_tbENKUlT_T0_E_clISt17integral_constantIbLb0EESY_IbLb1EEEEDaSU_SV_EUlSU_E_NS1_11comp_targetILNS1_3genE3ELNS1_11target_archE908ELNS1_3gpuE7ELNS1_3repE0EEENS1_30default_config_static_selectorELNS0_4arch9wavefront6targetE1EEEvT1_
    .private_segment_fixed_size: 0
    .sgpr_count:     6
    .sgpr_spill_count: 0
    .symbol:         _ZN7rocprim17ROCPRIM_400000_NS6detail17trampoline_kernelINS0_14default_configENS1_27scan_by_key_config_selectorIiiEEZZNS1_16scan_by_key_implILNS1_25lookback_scan_determinismE0ELb0ES3_N6thrust23THRUST_200600_302600_NS6detail15normal_iteratorINS9_10device_ptrIiEEEESE_SE_iNS9_4plusIvEENS9_8equal_toIvEEiEE10hipError_tPvRmT2_T3_T4_T5_mT6_T7_P12ihipStream_tbENKUlT_T0_E_clISt17integral_constantIbLb0EESY_IbLb1EEEEDaSU_SV_EUlSU_E_NS1_11comp_targetILNS1_3genE3ELNS1_11target_archE908ELNS1_3gpuE7ELNS1_3repE0EEENS1_30default_config_static_selectorELNS0_4arch9wavefront6targetE1EEEvT1_.kd
    .uniform_work_group_size: 1
    .uses_dynamic_stack: false
    .vgpr_count:     0
    .vgpr_spill_count: 0
    .wavefront_size: 64
  - .agpr_count:     0
    .args:
      - .offset:         0
        .size:           112
        .value_kind:     by_value
    .group_segment_fixed_size: 0
    .kernarg_segment_align: 8
    .kernarg_segment_size: 112
    .language:       OpenCL C
    .language_version:
      - 2
      - 0
    .max_flat_workgroup_size: 256
    .name:           _ZN7rocprim17ROCPRIM_400000_NS6detail17trampoline_kernelINS0_14default_configENS1_27scan_by_key_config_selectorIiiEEZZNS1_16scan_by_key_implILNS1_25lookback_scan_determinismE0ELb0ES3_N6thrust23THRUST_200600_302600_NS6detail15normal_iteratorINS9_10device_ptrIiEEEESE_SE_iNS9_4plusIvEENS9_8equal_toIvEEiEE10hipError_tPvRmT2_T3_T4_T5_mT6_T7_P12ihipStream_tbENKUlT_T0_E_clISt17integral_constantIbLb0EESY_IbLb1EEEEDaSU_SV_EUlSU_E_NS1_11comp_targetILNS1_3genE2ELNS1_11target_archE906ELNS1_3gpuE6ELNS1_3repE0EEENS1_30default_config_static_selectorELNS0_4arch9wavefront6targetE1EEEvT1_
    .private_segment_fixed_size: 0
    .sgpr_count:     6
    .sgpr_spill_count: 0
    .symbol:         _ZN7rocprim17ROCPRIM_400000_NS6detail17trampoline_kernelINS0_14default_configENS1_27scan_by_key_config_selectorIiiEEZZNS1_16scan_by_key_implILNS1_25lookback_scan_determinismE0ELb0ES3_N6thrust23THRUST_200600_302600_NS6detail15normal_iteratorINS9_10device_ptrIiEEEESE_SE_iNS9_4plusIvEENS9_8equal_toIvEEiEE10hipError_tPvRmT2_T3_T4_T5_mT6_T7_P12ihipStream_tbENKUlT_T0_E_clISt17integral_constantIbLb0EESY_IbLb1EEEEDaSU_SV_EUlSU_E_NS1_11comp_targetILNS1_3genE2ELNS1_11target_archE906ELNS1_3gpuE6ELNS1_3repE0EEENS1_30default_config_static_selectorELNS0_4arch9wavefront6targetE1EEEvT1_.kd
    .uniform_work_group_size: 1
    .uses_dynamic_stack: false
    .vgpr_count:     0
    .vgpr_spill_count: 0
    .wavefront_size: 64
  - .agpr_count:     0
    .args:
      - .offset:         0
        .size:           112
        .value_kind:     by_value
    .group_segment_fixed_size: 0
    .kernarg_segment_align: 8
    .kernarg_segment_size: 112
    .language:       OpenCL C
    .language_version:
      - 2
      - 0
    .max_flat_workgroup_size: 256
    .name:           _ZN7rocprim17ROCPRIM_400000_NS6detail17trampoline_kernelINS0_14default_configENS1_27scan_by_key_config_selectorIiiEEZZNS1_16scan_by_key_implILNS1_25lookback_scan_determinismE0ELb0ES3_N6thrust23THRUST_200600_302600_NS6detail15normal_iteratorINS9_10device_ptrIiEEEESE_SE_iNS9_4plusIvEENS9_8equal_toIvEEiEE10hipError_tPvRmT2_T3_T4_T5_mT6_T7_P12ihipStream_tbENKUlT_T0_E_clISt17integral_constantIbLb0EESY_IbLb1EEEEDaSU_SV_EUlSU_E_NS1_11comp_targetILNS1_3genE10ELNS1_11target_archE1200ELNS1_3gpuE4ELNS1_3repE0EEENS1_30default_config_static_selectorELNS0_4arch9wavefront6targetE1EEEvT1_
    .private_segment_fixed_size: 0
    .sgpr_count:     6
    .sgpr_spill_count: 0
    .symbol:         _ZN7rocprim17ROCPRIM_400000_NS6detail17trampoline_kernelINS0_14default_configENS1_27scan_by_key_config_selectorIiiEEZZNS1_16scan_by_key_implILNS1_25lookback_scan_determinismE0ELb0ES3_N6thrust23THRUST_200600_302600_NS6detail15normal_iteratorINS9_10device_ptrIiEEEESE_SE_iNS9_4plusIvEENS9_8equal_toIvEEiEE10hipError_tPvRmT2_T3_T4_T5_mT6_T7_P12ihipStream_tbENKUlT_T0_E_clISt17integral_constantIbLb0EESY_IbLb1EEEEDaSU_SV_EUlSU_E_NS1_11comp_targetILNS1_3genE10ELNS1_11target_archE1200ELNS1_3gpuE4ELNS1_3repE0EEENS1_30default_config_static_selectorELNS0_4arch9wavefront6targetE1EEEvT1_.kd
    .uniform_work_group_size: 1
    .uses_dynamic_stack: false
    .vgpr_count:     0
    .vgpr_spill_count: 0
    .wavefront_size: 64
  - .agpr_count:     0
    .args:
      - .offset:         0
        .size:           112
        .value_kind:     by_value
    .group_segment_fixed_size: 0
    .kernarg_segment_align: 8
    .kernarg_segment_size: 112
    .language:       OpenCL C
    .language_version:
      - 2
      - 0
    .max_flat_workgroup_size: 256
    .name:           _ZN7rocprim17ROCPRIM_400000_NS6detail17trampoline_kernelINS0_14default_configENS1_27scan_by_key_config_selectorIiiEEZZNS1_16scan_by_key_implILNS1_25lookback_scan_determinismE0ELb0ES3_N6thrust23THRUST_200600_302600_NS6detail15normal_iteratorINS9_10device_ptrIiEEEESE_SE_iNS9_4plusIvEENS9_8equal_toIvEEiEE10hipError_tPvRmT2_T3_T4_T5_mT6_T7_P12ihipStream_tbENKUlT_T0_E_clISt17integral_constantIbLb0EESY_IbLb1EEEEDaSU_SV_EUlSU_E_NS1_11comp_targetILNS1_3genE9ELNS1_11target_archE1100ELNS1_3gpuE3ELNS1_3repE0EEENS1_30default_config_static_selectorELNS0_4arch9wavefront6targetE1EEEvT1_
    .private_segment_fixed_size: 0
    .sgpr_count:     6
    .sgpr_spill_count: 0
    .symbol:         _ZN7rocprim17ROCPRIM_400000_NS6detail17trampoline_kernelINS0_14default_configENS1_27scan_by_key_config_selectorIiiEEZZNS1_16scan_by_key_implILNS1_25lookback_scan_determinismE0ELb0ES3_N6thrust23THRUST_200600_302600_NS6detail15normal_iteratorINS9_10device_ptrIiEEEESE_SE_iNS9_4plusIvEENS9_8equal_toIvEEiEE10hipError_tPvRmT2_T3_T4_T5_mT6_T7_P12ihipStream_tbENKUlT_T0_E_clISt17integral_constantIbLb0EESY_IbLb1EEEEDaSU_SV_EUlSU_E_NS1_11comp_targetILNS1_3genE9ELNS1_11target_archE1100ELNS1_3gpuE3ELNS1_3repE0EEENS1_30default_config_static_selectorELNS0_4arch9wavefront6targetE1EEEvT1_.kd
    .uniform_work_group_size: 1
    .uses_dynamic_stack: false
    .vgpr_count:     0
    .vgpr_spill_count: 0
    .wavefront_size: 64
  - .agpr_count:     0
    .args:
      - .offset:         0
        .size:           112
        .value_kind:     by_value
    .group_segment_fixed_size: 0
    .kernarg_segment_align: 8
    .kernarg_segment_size: 112
    .language:       OpenCL C
    .language_version:
      - 2
      - 0
    .max_flat_workgroup_size: 256
    .name:           _ZN7rocprim17ROCPRIM_400000_NS6detail17trampoline_kernelINS0_14default_configENS1_27scan_by_key_config_selectorIiiEEZZNS1_16scan_by_key_implILNS1_25lookback_scan_determinismE0ELb0ES3_N6thrust23THRUST_200600_302600_NS6detail15normal_iteratorINS9_10device_ptrIiEEEESE_SE_iNS9_4plusIvEENS9_8equal_toIvEEiEE10hipError_tPvRmT2_T3_T4_T5_mT6_T7_P12ihipStream_tbENKUlT_T0_E_clISt17integral_constantIbLb0EESY_IbLb1EEEEDaSU_SV_EUlSU_E_NS1_11comp_targetILNS1_3genE8ELNS1_11target_archE1030ELNS1_3gpuE2ELNS1_3repE0EEENS1_30default_config_static_selectorELNS0_4arch9wavefront6targetE1EEEvT1_
    .private_segment_fixed_size: 0
    .sgpr_count:     6
    .sgpr_spill_count: 0
    .symbol:         _ZN7rocprim17ROCPRIM_400000_NS6detail17trampoline_kernelINS0_14default_configENS1_27scan_by_key_config_selectorIiiEEZZNS1_16scan_by_key_implILNS1_25lookback_scan_determinismE0ELb0ES3_N6thrust23THRUST_200600_302600_NS6detail15normal_iteratorINS9_10device_ptrIiEEEESE_SE_iNS9_4plusIvEENS9_8equal_toIvEEiEE10hipError_tPvRmT2_T3_T4_T5_mT6_T7_P12ihipStream_tbENKUlT_T0_E_clISt17integral_constantIbLb0EESY_IbLb1EEEEDaSU_SV_EUlSU_E_NS1_11comp_targetILNS1_3genE8ELNS1_11target_archE1030ELNS1_3gpuE2ELNS1_3repE0EEENS1_30default_config_static_selectorELNS0_4arch9wavefront6targetE1EEEvT1_.kd
    .uniform_work_group_size: 1
    .uses_dynamic_stack: false
    .vgpr_count:     0
    .vgpr_spill_count: 0
    .wavefront_size: 64
  - .agpr_count:     0
    .args:
      - .offset:         0
        .size:           112
        .value_kind:     by_value
    .group_segment_fixed_size: 0
    .kernarg_segment_align: 8
    .kernarg_segment_size: 112
    .language:       OpenCL C
    .language_version:
      - 2
      - 0
    .max_flat_workgroup_size: 256
    .name:           _ZN7rocprim17ROCPRIM_400000_NS6detail17trampoline_kernelINS0_14default_configENS1_27scan_by_key_config_selectorIiiEEZZNS1_16scan_by_key_implILNS1_25lookback_scan_determinismE0ELb0ES3_N6thrust23THRUST_200600_302600_NS6detail15normal_iteratorINS9_10device_ptrIiEEEESE_SE_iNS9_10multipliesIiEENS9_8equal_toIiEEiEE10hipError_tPvRmT2_T3_T4_T5_mT6_T7_P12ihipStream_tbENKUlT_T0_E_clISt17integral_constantIbLb0EESZ_EEDaSU_SV_EUlSU_E_NS1_11comp_targetILNS1_3genE0ELNS1_11target_archE4294967295ELNS1_3gpuE0ELNS1_3repE0EEENS1_30default_config_static_selectorELNS0_4arch9wavefront6targetE1EEEvT1_
    .private_segment_fixed_size: 0
    .sgpr_count:     6
    .sgpr_spill_count: 0
    .symbol:         _ZN7rocprim17ROCPRIM_400000_NS6detail17trampoline_kernelINS0_14default_configENS1_27scan_by_key_config_selectorIiiEEZZNS1_16scan_by_key_implILNS1_25lookback_scan_determinismE0ELb0ES3_N6thrust23THRUST_200600_302600_NS6detail15normal_iteratorINS9_10device_ptrIiEEEESE_SE_iNS9_10multipliesIiEENS9_8equal_toIiEEiEE10hipError_tPvRmT2_T3_T4_T5_mT6_T7_P12ihipStream_tbENKUlT_T0_E_clISt17integral_constantIbLb0EESZ_EEDaSU_SV_EUlSU_E_NS1_11comp_targetILNS1_3genE0ELNS1_11target_archE4294967295ELNS1_3gpuE0ELNS1_3repE0EEENS1_30default_config_static_selectorELNS0_4arch9wavefront6targetE1EEEvT1_.kd
    .uniform_work_group_size: 1
    .uses_dynamic_stack: false
    .vgpr_count:     0
    .vgpr_spill_count: 0
    .wavefront_size: 64
  - .agpr_count:     0
    .args:
      - .offset:         0
        .size:           112
        .value_kind:     by_value
    .group_segment_fixed_size: 0
    .kernarg_segment_align: 8
    .kernarg_segment_size: 112
    .language:       OpenCL C
    .language_version:
      - 2
      - 0
    .max_flat_workgroup_size: 256
    .name:           _ZN7rocprim17ROCPRIM_400000_NS6detail17trampoline_kernelINS0_14default_configENS1_27scan_by_key_config_selectorIiiEEZZNS1_16scan_by_key_implILNS1_25lookback_scan_determinismE0ELb0ES3_N6thrust23THRUST_200600_302600_NS6detail15normal_iteratorINS9_10device_ptrIiEEEESE_SE_iNS9_10multipliesIiEENS9_8equal_toIiEEiEE10hipError_tPvRmT2_T3_T4_T5_mT6_T7_P12ihipStream_tbENKUlT_T0_E_clISt17integral_constantIbLb0EESZ_EEDaSU_SV_EUlSU_E_NS1_11comp_targetILNS1_3genE10ELNS1_11target_archE1201ELNS1_3gpuE5ELNS1_3repE0EEENS1_30default_config_static_selectorELNS0_4arch9wavefront6targetE1EEEvT1_
    .private_segment_fixed_size: 0
    .sgpr_count:     6
    .sgpr_spill_count: 0
    .symbol:         _ZN7rocprim17ROCPRIM_400000_NS6detail17trampoline_kernelINS0_14default_configENS1_27scan_by_key_config_selectorIiiEEZZNS1_16scan_by_key_implILNS1_25lookback_scan_determinismE0ELb0ES3_N6thrust23THRUST_200600_302600_NS6detail15normal_iteratorINS9_10device_ptrIiEEEESE_SE_iNS9_10multipliesIiEENS9_8equal_toIiEEiEE10hipError_tPvRmT2_T3_T4_T5_mT6_T7_P12ihipStream_tbENKUlT_T0_E_clISt17integral_constantIbLb0EESZ_EEDaSU_SV_EUlSU_E_NS1_11comp_targetILNS1_3genE10ELNS1_11target_archE1201ELNS1_3gpuE5ELNS1_3repE0EEENS1_30default_config_static_selectorELNS0_4arch9wavefront6targetE1EEEvT1_.kd
    .uniform_work_group_size: 1
    .uses_dynamic_stack: false
    .vgpr_count:     0
    .vgpr_spill_count: 0
    .wavefront_size: 64
  - .agpr_count:     0
    .args:
      - .offset:         0
        .size:           112
        .value_kind:     by_value
    .group_segment_fixed_size: 25600
    .kernarg_segment_align: 8
    .kernarg_segment_size: 112
    .language:       OpenCL C
    .language_version:
      - 2
      - 0
    .max_flat_workgroup_size: 256
    .name:           _ZN7rocprim17ROCPRIM_400000_NS6detail17trampoline_kernelINS0_14default_configENS1_27scan_by_key_config_selectorIiiEEZZNS1_16scan_by_key_implILNS1_25lookback_scan_determinismE0ELb0ES3_N6thrust23THRUST_200600_302600_NS6detail15normal_iteratorINS9_10device_ptrIiEEEESE_SE_iNS9_10multipliesIiEENS9_8equal_toIiEEiEE10hipError_tPvRmT2_T3_T4_T5_mT6_T7_P12ihipStream_tbENKUlT_T0_E_clISt17integral_constantIbLb0EESZ_EEDaSU_SV_EUlSU_E_NS1_11comp_targetILNS1_3genE5ELNS1_11target_archE942ELNS1_3gpuE9ELNS1_3repE0EEENS1_30default_config_static_selectorELNS0_4arch9wavefront6targetE1EEEvT1_
    .private_segment_fixed_size: 0
    .sgpr_count:     88
    .sgpr_spill_count: 0
    .symbol:         _ZN7rocprim17ROCPRIM_400000_NS6detail17trampoline_kernelINS0_14default_configENS1_27scan_by_key_config_selectorIiiEEZZNS1_16scan_by_key_implILNS1_25lookback_scan_determinismE0ELb0ES3_N6thrust23THRUST_200600_302600_NS6detail15normal_iteratorINS9_10device_ptrIiEEEESE_SE_iNS9_10multipliesIiEENS9_8equal_toIiEEiEE10hipError_tPvRmT2_T3_T4_T5_mT6_T7_P12ihipStream_tbENKUlT_T0_E_clISt17integral_constantIbLb0EESZ_EEDaSU_SV_EUlSU_E_NS1_11comp_targetILNS1_3genE5ELNS1_11target_archE942ELNS1_3gpuE9ELNS1_3repE0EEENS1_30default_config_static_selectorELNS0_4arch9wavefront6targetE1EEEvT1_.kd
    .uniform_work_group_size: 1
    .uses_dynamic_stack: false
    .vgpr_count:     81
    .vgpr_spill_count: 0
    .wavefront_size: 64
  - .agpr_count:     0
    .args:
      - .offset:         0
        .size:           112
        .value_kind:     by_value
    .group_segment_fixed_size: 0
    .kernarg_segment_align: 8
    .kernarg_segment_size: 112
    .language:       OpenCL C
    .language_version:
      - 2
      - 0
    .max_flat_workgroup_size: 256
    .name:           _ZN7rocprim17ROCPRIM_400000_NS6detail17trampoline_kernelINS0_14default_configENS1_27scan_by_key_config_selectorIiiEEZZNS1_16scan_by_key_implILNS1_25lookback_scan_determinismE0ELb0ES3_N6thrust23THRUST_200600_302600_NS6detail15normal_iteratorINS9_10device_ptrIiEEEESE_SE_iNS9_10multipliesIiEENS9_8equal_toIiEEiEE10hipError_tPvRmT2_T3_T4_T5_mT6_T7_P12ihipStream_tbENKUlT_T0_E_clISt17integral_constantIbLb0EESZ_EEDaSU_SV_EUlSU_E_NS1_11comp_targetILNS1_3genE4ELNS1_11target_archE910ELNS1_3gpuE8ELNS1_3repE0EEENS1_30default_config_static_selectorELNS0_4arch9wavefront6targetE1EEEvT1_
    .private_segment_fixed_size: 0
    .sgpr_count:     6
    .sgpr_spill_count: 0
    .symbol:         _ZN7rocprim17ROCPRIM_400000_NS6detail17trampoline_kernelINS0_14default_configENS1_27scan_by_key_config_selectorIiiEEZZNS1_16scan_by_key_implILNS1_25lookback_scan_determinismE0ELb0ES3_N6thrust23THRUST_200600_302600_NS6detail15normal_iteratorINS9_10device_ptrIiEEEESE_SE_iNS9_10multipliesIiEENS9_8equal_toIiEEiEE10hipError_tPvRmT2_T3_T4_T5_mT6_T7_P12ihipStream_tbENKUlT_T0_E_clISt17integral_constantIbLb0EESZ_EEDaSU_SV_EUlSU_E_NS1_11comp_targetILNS1_3genE4ELNS1_11target_archE910ELNS1_3gpuE8ELNS1_3repE0EEENS1_30default_config_static_selectorELNS0_4arch9wavefront6targetE1EEEvT1_.kd
    .uniform_work_group_size: 1
    .uses_dynamic_stack: false
    .vgpr_count:     0
    .vgpr_spill_count: 0
    .wavefront_size: 64
  - .agpr_count:     0
    .args:
      - .offset:         0
        .size:           112
        .value_kind:     by_value
    .group_segment_fixed_size: 0
    .kernarg_segment_align: 8
    .kernarg_segment_size: 112
    .language:       OpenCL C
    .language_version:
      - 2
      - 0
    .max_flat_workgroup_size: 256
    .name:           _ZN7rocprim17ROCPRIM_400000_NS6detail17trampoline_kernelINS0_14default_configENS1_27scan_by_key_config_selectorIiiEEZZNS1_16scan_by_key_implILNS1_25lookback_scan_determinismE0ELb0ES3_N6thrust23THRUST_200600_302600_NS6detail15normal_iteratorINS9_10device_ptrIiEEEESE_SE_iNS9_10multipliesIiEENS9_8equal_toIiEEiEE10hipError_tPvRmT2_T3_T4_T5_mT6_T7_P12ihipStream_tbENKUlT_T0_E_clISt17integral_constantIbLb0EESZ_EEDaSU_SV_EUlSU_E_NS1_11comp_targetILNS1_3genE3ELNS1_11target_archE908ELNS1_3gpuE7ELNS1_3repE0EEENS1_30default_config_static_selectorELNS0_4arch9wavefront6targetE1EEEvT1_
    .private_segment_fixed_size: 0
    .sgpr_count:     6
    .sgpr_spill_count: 0
    .symbol:         _ZN7rocprim17ROCPRIM_400000_NS6detail17trampoline_kernelINS0_14default_configENS1_27scan_by_key_config_selectorIiiEEZZNS1_16scan_by_key_implILNS1_25lookback_scan_determinismE0ELb0ES3_N6thrust23THRUST_200600_302600_NS6detail15normal_iteratorINS9_10device_ptrIiEEEESE_SE_iNS9_10multipliesIiEENS9_8equal_toIiEEiEE10hipError_tPvRmT2_T3_T4_T5_mT6_T7_P12ihipStream_tbENKUlT_T0_E_clISt17integral_constantIbLb0EESZ_EEDaSU_SV_EUlSU_E_NS1_11comp_targetILNS1_3genE3ELNS1_11target_archE908ELNS1_3gpuE7ELNS1_3repE0EEENS1_30default_config_static_selectorELNS0_4arch9wavefront6targetE1EEEvT1_.kd
    .uniform_work_group_size: 1
    .uses_dynamic_stack: false
    .vgpr_count:     0
    .vgpr_spill_count: 0
    .wavefront_size: 64
  - .agpr_count:     0
    .args:
      - .offset:         0
        .size:           112
        .value_kind:     by_value
    .group_segment_fixed_size: 0
    .kernarg_segment_align: 8
    .kernarg_segment_size: 112
    .language:       OpenCL C
    .language_version:
      - 2
      - 0
    .max_flat_workgroup_size: 256
    .name:           _ZN7rocprim17ROCPRIM_400000_NS6detail17trampoline_kernelINS0_14default_configENS1_27scan_by_key_config_selectorIiiEEZZNS1_16scan_by_key_implILNS1_25lookback_scan_determinismE0ELb0ES3_N6thrust23THRUST_200600_302600_NS6detail15normal_iteratorINS9_10device_ptrIiEEEESE_SE_iNS9_10multipliesIiEENS9_8equal_toIiEEiEE10hipError_tPvRmT2_T3_T4_T5_mT6_T7_P12ihipStream_tbENKUlT_T0_E_clISt17integral_constantIbLb0EESZ_EEDaSU_SV_EUlSU_E_NS1_11comp_targetILNS1_3genE2ELNS1_11target_archE906ELNS1_3gpuE6ELNS1_3repE0EEENS1_30default_config_static_selectorELNS0_4arch9wavefront6targetE1EEEvT1_
    .private_segment_fixed_size: 0
    .sgpr_count:     6
    .sgpr_spill_count: 0
    .symbol:         _ZN7rocprim17ROCPRIM_400000_NS6detail17trampoline_kernelINS0_14default_configENS1_27scan_by_key_config_selectorIiiEEZZNS1_16scan_by_key_implILNS1_25lookback_scan_determinismE0ELb0ES3_N6thrust23THRUST_200600_302600_NS6detail15normal_iteratorINS9_10device_ptrIiEEEESE_SE_iNS9_10multipliesIiEENS9_8equal_toIiEEiEE10hipError_tPvRmT2_T3_T4_T5_mT6_T7_P12ihipStream_tbENKUlT_T0_E_clISt17integral_constantIbLb0EESZ_EEDaSU_SV_EUlSU_E_NS1_11comp_targetILNS1_3genE2ELNS1_11target_archE906ELNS1_3gpuE6ELNS1_3repE0EEENS1_30default_config_static_selectorELNS0_4arch9wavefront6targetE1EEEvT1_.kd
    .uniform_work_group_size: 1
    .uses_dynamic_stack: false
    .vgpr_count:     0
    .vgpr_spill_count: 0
    .wavefront_size: 64
  - .agpr_count:     0
    .args:
      - .offset:         0
        .size:           112
        .value_kind:     by_value
    .group_segment_fixed_size: 0
    .kernarg_segment_align: 8
    .kernarg_segment_size: 112
    .language:       OpenCL C
    .language_version:
      - 2
      - 0
    .max_flat_workgroup_size: 256
    .name:           _ZN7rocprim17ROCPRIM_400000_NS6detail17trampoline_kernelINS0_14default_configENS1_27scan_by_key_config_selectorIiiEEZZNS1_16scan_by_key_implILNS1_25lookback_scan_determinismE0ELb0ES3_N6thrust23THRUST_200600_302600_NS6detail15normal_iteratorINS9_10device_ptrIiEEEESE_SE_iNS9_10multipliesIiEENS9_8equal_toIiEEiEE10hipError_tPvRmT2_T3_T4_T5_mT6_T7_P12ihipStream_tbENKUlT_T0_E_clISt17integral_constantIbLb0EESZ_EEDaSU_SV_EUlSU_E_NS1_11comp_targetILNS1_3genE10ELNS1_11target_archE1200ELNS1_3gpuE4ELNS1_3repE0EEENS1_30default_config_static_selectorELNS0_4arch9wavefront6targetE1EEEvT1_
    .private_segment_fixed_size: 0
    .sgpr_count:     6
    .sgpr_spill_count: 0
    .symbol:         _ZN7rocprim17ROCPRIM_400000_NS6detail17trampoline_kernelINS0_14default_configENS1_27scan_by_key_config_selectorIiiEEZZNS1_16scan_by_key_implILNS1_25lookback_scan_determinismE0ELb0ES3_N6thrust23THRUST_200600_302600_NS6detail15normal_iteratorINS9_10device_ptrIiEEEESE_SE_iNS9_10multipliesIiEENS9_8equal_toIiEEiEE10hipError_tPvRmT2_T3_T4_T5_mT6_T7_P12ihipStream_tbENKUlT_T0_E_clISt17integral_constantIbLb0EESZ_EEDaSU_SV_EUlSU_E_NS1_11comp_targetILNS1_3genE10ELNS1_11target_archE1200ELNS1_3gpuE4ELNS1_3repE0EEENS1_30default_config_static_selectorELNS0_4arch9wavefront6targetE1EEEvT1_.kd
    .uniform_work_group_size: 1
    .uses_dynamic_stack: false
    .vgpr_count:     0
    .vgpr_spill_count: 0
    .wavefront_size: 64
  - .agpr_count:     0
    .args:
      - .offset:         0
        .size:           112
        .value_kind:     by_value
    .group_segment_fixed_size: 0
    .kernarg_segment_align: 8
    .kernarg_segment_size: 112
    .language:       OpenCL C
    .language_version:
      - 2
      - 0
    .max_flat_workgroup_size: 256
    .name:           _ZN7rocprim17ROCPRIM_400000_NS6detail17trampoline_kernelINS0_14default_configENS1_27scan_by_key_config_selectorIiiEEZZNS1_16scan_by_key_implILNS1_25lookback_scan_determinismE0ELb0ES3_N6thrust23THRUST_200600_302600_NS6detail15normal_iteratorINS9_10device_ptrIiEEEESE_SE_iNS9_10multipliesIiEENS9_8equal_toIiEEiEE10hipError_tPvRmT2_T3_T4_T5_mT6_T7_P12ihipStream_tbENKUlT_T0_E_clISt17integral_constantIbLb0EESZ_EEDaSU_SV_EUlSU_E_NS1_11comp_targetILNS1_3genE9ELNS1_11target_archE1100ELNS1_3gpuE3ELNS1_3repE0EEENS1_30default_config_static_selectorELNS0_4arch9wavefront6targetE1EEEvT1_
    .private_segment_fixed_size: 0
    .sgpr_count:     6
    .sgpr_spill_count: 0
    .symbol:         _ZN7rocprim17ROCPRIM_400000_NS6detail17trampoline_kernelINS0_14default_configENS1_27scan_by_key_config_selectorIiiEEZZNS1_16scan_by_key_implILNS1_25lookback_scan_determinismE0ELb0ES3_N6thrust23THRUST_200600_302600_NS6detail15normal_iteratorINS9_10device_ptrIiEEEESE_SE_iNS9_10multipliesIiEENS9_8equal_toIiEEiEE10hipError_tPvRmT2_T3_T4_T5_mT6_T7_P12ihipStream_tbENKUlT_T0_E_clISt17integral_constantIbLb0EESZ_EEDaSU_SV_EUlSU_E_NS1_11comp_targetILNS1_3genE9ELNS1_11target_archE1100ELNS1_3gpuE3ELNS1_3repE0EEENS1_30default_config_static_selectorELNS0_4arch9wavefront6targetE1EEEvT1_.kd
    .uniform_work_group_size: 1
    .uses_dynamic_stack: false
    .vgpr_count:     0
    .vgpr_spill_count: 0
    .wavefront_size: 64
  - .agpr_count:     0
    .args:
      - .offset:         0
        .size:           112
        .value_kind:     by_value
    .group_segment_fixed_size: 0
    .kernarg_segment_align: 8
    .kernarg_segment_size: 112
    .language:       OpenCL C
    .language_version:
      - 2
      - 0
    .max_flat_workgroup_size: 256
    .name:           _ZN7rocprim17ROCPRIM_400000_NS6detail17trampoline_kernelINS0_14default_configENS1_27scan_by_key_config_selectorIiiEEZZNS1_16scan_by_key_implILNS1_25lookback_scan_determinismE0ELb0ES3_N6thrust23THRUST_200600_302600_NS6detail15normal_iteratorINS9_10device_ptrIiEEEESE_SE_iNS9_10multipliesIiEENS9_8equal_toIiEEiEE10hipError_tPvRmT2_T3_T4_T5_mT6_T7_P12ihipStream_tbENKUlT_T0_E_clISt17integral_constantIbLb0EESZ_EEDaSU_SV_EUlSU_E_NS1_11comp_targetILNS1_3genE8ELNS1_11target_archE1030ELNS1_3gpuE2ELNS1_3repE0EEENS1_30default_config_static_selectorELNS0_4arch9wavefront6targetE1EEEvT1_
    .private_segment_fixed_size: 0
    .sgpr_count:     6
    .sgpr_spill_count: 0
    .symbol:         _ZN7rocprim17ROCPRIM_400000_NS6detail17trampoline_kernelINS0_14default_configENS1_27scan_by_key_config_selectorIiiEEZZNS1_16scan_by_key_implILNS1_25lookback_scan_determinismE0ELb0ES3_N6thrust23THRUST_200600_302600_NS6detail15normal_iteratorINS9_10device_ptrIiEEEESE_SE_iNS9_10multipliesIiEENS9_8equal_toIiEEiEE10hipError_tPvRmT2_T3_T4_T5_mT6_T7_P12ihipStream_tbENKUlT_T0_E_clISt17integral_constantIbLb0EESZ_EEDaSU_SV_EUlSU_E_NS1_11comp_targetILNS1_3genE8ELNS1_11target_archE1030ELNS1_3gpuE2ELNS1_3repE0EEENS1_30default_config_static_selectorELNS0_4arch9wavefront6targetE1EEEvT1_.kd
    .uniform_work_group_size: 1
    .uses_dynamic_stack: false
    .vgpr_count:     0
    .vgpr_spill_count: 0
    .wavefront_size: 64
  - .agpr_count:     0
    .args:
      - .offset:         0
        .size:           112
        .value_kind:     by_value
    .group_segment_fixed_size: 0
    .kernarg_segment_align: 8
    .kernarg_segment_size: 112
    .language:       OpenCL C
    .language_version:
      - 2
      - 0
    .max_flat_workgroup_size: 256
    .name:           _ZN7rocprim17ROCPRIM_400000_NS6detail17trampoline_kernelINS0_14default_configENS1_27scan_by_key_config_selectorIiiEEZZNS1_16scan_by_key_implILNS1_25lookback_scan_determinismE0ELb0ES3_N6thrust23THRUST_200600_302600_NS6detail15normal_iteratorINS9_10device_ptrIiEEEESE_SE_iNS9_10multipliesIiEENS9_8equal_toIiEEiEE10hipError_tPvRmT2_T3_T4_T5_mT6_T7_P12ihipStream_tbENKUlT_T0_E_clISt17integral_constantIbLb1EESZ_EEDaSU_SV_EUlSU_E_NS1_11comp_targetILNS1_3genE0ELNS1_11target_archE4294967295ELNS1_3gpuE0ELNS1_3repE0EEENS1_30default_config_static_selectorELNS0_4arch9wavefront6targetE1EEEvT1_
    .private_segment_fixed_size: 0
    .sgpr_count:     6
    .sgpr_spill_count: 0
    .symbol:         _ZN7rocprim17ROCPRIM_400000_NS6detail17trampoline_kernelINS0_14default_configENS1_27scan_by_key_config_selectorIiiEEZZNS1_16scan_by_key_implILNS1_25lookback_scan_determinismE0ELb0ES3_N6thrust23THRUST_200600_302600_NS6detail15normal_iteratorINS9_10device_ptrIiEEEESE_SE_iNS9_10multipliesIiEENS9_8equal_toIiEEiEE10hipError_tPvRmT2_T3_T4_T5_mT6_T7_P12ihipStream_tbENKUlT_T0_E_clISt17integral_constantIbLb1EESZ_EEDaSU_SV_EUlSU_E_NS1_11comp_targetILNS1_3genE0ELNS1_11target_archE4294967295ELNS1_3gpuE0ELNS1_3repE0EEENS1_30default_config_static_selectorELNS0_4arch9wavefront6targetE1EEEvT1_.kd
    .uniform_work_group_size: 1
    .uses_dynamic_stack: false
    .vgpr_count:     0
    .vgpr_spill_count: 0
    .wavefront_size: 64
  - .agpr_count:     0
    .args:
      - .offset:         0
        .size:           112
        .value_kind:     by_value
    .group_segment_fixed_size: 0
    .kernarg_segment_align: 8
    .kernarg_segment_size: 112
    .language:       OpenCL C
    .language_version:
      - 2
      - 0
    .max_flat_workgroup_size: 256
    .name:           _ZN7rocprim17ROCPRIM_400000_NS6detail17trampoline_kernelINS0_14default_configENS1_27scan_by_key_config_selectorIiiEEZZNS1_16scan_by_key_implILNS1_25lookback_scan_determinismE0ELb0ES3_N6thrust23THRUST_200600_302600_NS6detail15normal_iteratorINS9_10device_ptrIiEEEESE_SE_iNS9_10multipliesIiEENS9_8equal_toIiEEiEE10hipError_tPvRmT2_T3_T4_T5_mT6_T7_P12ihipStream_tbENKUlT_T0_E_clISt17integral_constantIbLb1EESZ_EEDaSU_SV_EUlSU_E_NS1_11comp_targetILNS1_3genE10ELNS1_11target_archE1201ELNS1_3gpuE5ELNS1_3repE0EEENS1_30default_config_static_selectorELNS0_4arch9wavefront6targetE1EEEvT1_
    .private_segment_fixed_size: 0
    .sgpr_count:     6
    .sgpr_spill_count: 0
    .symbol:         _ZN7rocprim17ROCPRIM_400000_NS6detail17trampoline_kernelINS0_14default_configENS1_27scan_by_key_config_selectorIiiEEZZNS1_16scan_by_key_implILNS1_25lookback_scan_determinismE0ELb0ES3_N6thrust23THRUST_200600_302600_NS6detail15normal_iteratorINS9_10device_ptrIiEEEESE_SE_iNS9_10multipliesIiEENS9_8equal_toIiEEiEE10hipError_tPvRmT2_T3_T4_T5_mT6_T7_P12ihipStream_tbENKUlT_T0_E_clISt17integral_constantIbLb1EESZ_EEDaSU_SV_EUlSU_E_NS1_11comp_targetILNS1_3genE10ELNS1_11target_archE1201ELNS1_3gpuE5ELNS1_3repE0EEENS1_30default_config_static_selectorELNS0_4arch9wavefront6targetE1EEEvT1_.kd
    .uniform_work_group_size: 1
    .uses_dynamic_stack: false
    .vgpr_count:     0
    .vgpr_spill_count: 0
    .wavefront_size: 64
  - .agpr_count:     0
    .args:
      - .offset:         0
        .size:           112
        .value_kind:     by_value
    .group_segment_fixed_size: 25600
    .kernarg_segment_align: 8
    .kernarg_segment_size: 112
    .language:       OpenCL C
    .language_version:
      - 2
      - 0
    .max_flat_workgroup_size: 256
    .name:           _ZN7rocprim17ROCPRIM_400000_NS6detail17trampoline_kernelINS0_14default_configENS1_27scan_by_key_config_selectorIiiEEZZNS1_16scan_by_key_implILNS1_25lookback_scan_determinismE0ELb0ES3_N6thrust23THRUST_200600_302600_NS6detail15normal_iteratorINS9_10device_ptrIiEEEESE_SE_iNS9_10multipliesIiEENS9_8equal_toIiEEiEE10hipError_tPvRmT2_T3_T4_T5_mT6_T7_P12ihipStream_tbENKUlT_T0_E_clISt17integral_constantIbLb1EESZ_EEDaSU_SV_EUlSU_E_NS1_11comp_targetILNS1_3genE5ELNS1_11target_archE942ELNS1_3gpuE9ELNS1_3repE0EEENS1_30default_config_static_selectorELNS0_4arch9wavefront6targetE1EEEvT1_
    .private_segment_fixed_size: 0
    .sgpr_count:     91
    .sgpr_spill_count: 0
    .symbol:         _ZN7rocprim17ROCPRIM_400000_NS6detail17trampoline_kernelINS0_14default_configENS1_27scan_by_key_config_selectorIiiEEZZNS1_16scan_by_key_implILNS1_25lookback_scan_determinismE0ELb0ES3_N6thrust23THRUST_200600_302600_NS6detail15normal_iteratorINS9_10device_ptrIiEEEESE_SE_iNS9_10multipliesIiEENS9_8equal_toIiEEiEE10hipError_tPvRmT2_T3_T4_T5_mT6_T7_P12ihipStream_tbENKUlT_T0_E_clISt17integral_constantIbLb1EESZ_EEDaSU_SV_EUlSU_E_NS1_11comp_targetILNS1_3genE5ELNS1_11target_archE942ELNS1_3gpuE9ELNS1_3repE0EEENS1_30default_config_static_selectorELNS0_4arch9wavefront6targetE1EEEvT1_.kd
    .uniform_work_group_size: 1
    .uses_dynamic_stack: false
    .vgpr_count:     81
    .vgpr_spill_count: 0
    .wavefront_size: 64
  - .agpr_count:     0
    .args:
      - .offset:         0
        .size:           112
        .value_kind:     by_value
    .group_segment_fixed_size: 0
    .kernarg_segment_align: 8
    .kernarg_segment_size: 112
    .language:       OpenCL C
    .language_version:
      - 2
      - 0
    .max_flat_workgroup_size: 256
    .name:           _ZN7rocprim17ROCPRIM_400000_NS6detail17trampoline_kernelINS0_14default_configENS1_27scan_by_key_config_selectorIiiEEZZNS1_16scan_by_key_implILNS1_25lookback_scan_determinismE0ELb0ES3_N6thrust23THRUST_200600_302600_NS6detail15normal_iteratorINS9_10device_ptrIiEEEESE_SE_iNS9_10multipliesIiEENS9_8equal_toIiEEiEE10hipError_tPvRmT2_T3_T4_T5_mT6_T7_P12ihipStream_tbENKUlT_T0_E_clISt17integral_constantIbLb1EESZ_EEDaSU_SV_EUlSU_E_NS1_11comp_targetILNS1_3genE4ELNS1_11target_archE910ELNS1_3gpuE8ELNS1_3repE0EEENS1_30default_config_static_selectorELNS0_4arch9wavefront6targetE1EEEvT1_
    .private_segment_fixed_size: 0
    .sgpr_count:     6
    .sgpr_spill_count: 0
    .symbol:         _ZN7rocprim17ROCPRIM_400000_NS6detail17trampoline_kernelINS0_14default_configENS1_27scan_by_key_config_selectorIiiEEZZNS1_16scan_by_key_implILNS1_25lookback_scan_determinismE0ELb0ES3_N6thrust23THRUST_200600_302600_NS6detail15normal_iteratorINS9_10device_ptrIiEEEESE_SE_iNS9_10multipliesIiEENS9_8equal_toIiEEiEE10hipError_tPvRmT2_T3_T4_T5_mT6_T7_P12ihipStream_tbENKUlT_T0_E_clISt17integral_constantIbLb1EESZ_EEDaSU_SV_EUlSU_E_NS1_11comp_targetILNS1_3genE4ELNS1_11target_archE910ELNS1_3gpuE8ELNS1_3repE0EEENS1_30default_config_static_selectorELNS0_4arch9wavefront6targetE1EEEvT1_.kd
    .uniform_work_group_size: 1
    .uses_dynamic_stack: false
    .vgpr_count:     0
    .vgpr_spill_count: 0
    .wavefront_size: 64
  - .agpr_count:     0
    .args:
      - .offset:         0
        .size:           112
        .value_kind:     by_value
    .group_segment_fixed_size: 0
    .kernarg_segment_align: 8
    .kernarg_segment_size: 112
    .language:       OpenCL C
    .language_version:
      - 2
      - 0
    .max_flat_workgroup_size: 256
    .name:           _ZN7rocprim17ROCPRIM_400000_NS6detail17trampoline_kernelINS0_14default_configENS1_27scan_by_key_config_selectorIiiEEZZNS1_16scan_by_key_implILNS1_25lookback_scan_determinismE0ELb0ES3_N6thrust23THRUST_200600_302600_NS6detail15normal_iteratorINS9_10device_ptrIiEEEESE_SE_iNS9_10multipliesIiEENS9_8equal_toIiEEiEE10hipError_tPvRmT2_T3_T4_T5_mT6_T7_P12ihipStream_tbENKUlT_T0_E_clISt17integral_constantIbLb1EESZ_EEDaSU_SV_EUlSU_E_NS1_11comp_targetILNS1_3genE3ELNS1_11target_archE908ELNS1_3gpuE7ELNS1_3repE0EEENS1_30default_config_static_selectorELNS0_4arch9wavefront6targetE1EEEvT1_
    .private_segment_fixed_size: 0
    .sgpr_count:     6
    .sgpr_spill_count: 0
    .symbol:         _ZN7rocprim17ROCPRIM_400000_NS6detail17trampoline_kernelINS0_14default_configENS1_27scan_by_key_config_selectorIiiEEZZNS1_16scan_by_key_implILNS1_25lookback_scan_determinismE0ELb0ES3_N6thrust23THRUST_200600_302600_NS6detail15normal_iteratorINS9_10device_ptrIiEEEESE_SE_iNS9_10multipliesIiEENS9_8equal_toIiEEiEE10hipError_tPvRmT2_T3_T4_T5_mT6_T7_P12ihipStream_tbENKUlT_T0_E_clISt17integral_constantIbLb1EESZ_EEDaSU_SV_EUlSU_E_NS1_11comp_targetILNS1_3genE3ELNS1_11target_archE908ELNS1_3gpuE7ELNS1_3repE0EEENS1_30default_config_static_selectorELNS0_4arch9wavefront6targetE1EEEvT1_.kd
    .uniform_work_group_size: 1
    .uses_dynamic_stack: false
    .vgpr_count:     0
    .vgpr_spill_count: 0
    .wavefront_size: 64
  - .agpr_count:     0
    .args:
      - .offset:         0
        .size:           112
        .value_kind:     by_value
    .group_segment_fixed_size: 0
    .kernarg_segment_align: 8
    .kernarg_segment_size: 112
    .language:       OpenCL C
    .language_version:
      - 2
      - 0
    .max_flat_workgroup_size: 256
    .name:           _ZN7rocprim17ROCPRIM_400000_NS6detail17trampoline_kernelINS0_14default_configENS1_27scan_by_key_config_selectorIiiEEZZNS1_16scan_by_key_implILNS1_25lookback_scan_determinismE0ELb0ES3_N6thrust23THRUST_200600_302600_NS6detail15normal_iteratorINS9_10device_ptrIiEEEESE_SE_iNS9_10multipliesIiEENS9_8equal_toIiEEiEE10hipError_tPvRmT2_T3_T4_T5_mT6_T7_P12ihipStream_tbENKUlT_T0_E_clISt17integral_constantIbLb1EESZ_EEDaSU_SV_EUlSU_E_NS1_11comp_targetILNS1_3genE2ELNS1_11target_archE906ELNS1_3gpuE6ELNS1_3repE0EEENS1_30default_config_static_selectorELNS0_4arch9wavefront6targetE1EEEvT1_
    .private_segment_fixed_size: 0
    .sgpr_count:     6
    .sgpr_spill_count: 0
    .symbol:         _ZN7rocprim17ROCPRIM_400000_NS6detail17trampoline_kernelINS0_14default_configENS1_27scan_by_key_config_selectorIiiEEZZNS1_16scan_by_key_implILNS1_25lookback_scan_determinismE0ELb0ES3_N6thrust23THRUST_200600_302600_NS6detail15normal_iteratorINS9_10device_ptrIiEEEESE_SE_iNS9_10multipliesIiEENS9_8equal_toIiEEiEE10hipError_tPvRmT2_T3_T4_T5_mT6_T7_P12ihipStream_tbENKUlT_T0_E_clISt17integral_constantIbLb1EESZ_EEDaSU_SV_EUlSU_E_NS1_11comp_targetILNS1_3genE2ELNS1_11target_archE906ELNS1_3gpuE6ELNS1_3repE0EEENS1_30default_config_static_selectorELNS0_4arch9wavefront6targetE1EEEvT1_.kd
    .uniform_work_group_size: 1
    .uses_dynamic_stack: false
    .vgpr_count:     0
    .vgpr_spill_count: 0
    .wavefront_size: 64
  - .agpr_count:     0
    .args:
      - .offset:         0
        .size:           112
        .value_kind:     by_value
    .group_segment_fixed_size: 0
    .kernarg_segment_align: 8
    .kernarg_segment_size: 112
    .language:       OpenCL C
    .language_version:
      - 2
      - 0
    .max_flat_workgroup_size: 256
    .name:           _ZN7rocprim17ROCPRIM_400000_NS6detail17trampoline_kernelINS0_14default_configENS1_27scan_by_key_config_selectorIiiEEZZNS1_16scan_by_key_implILNS1_25lookback_scan_determinismE0ELb0ES3_N6thrust23THRUST_200600_302600_NS6detail15normal_iteratorINS9_10device_ptrIiEEEESE_SE_iNS9_10multipliesIiEENS9_8equal_toIiEEiEE10hipError_tPvRmT2_T3_T4_T5_mT6_T7_P12ihipStream_tbENKUlT_T0_E_clISt17integral_constantIbLb1EESZ_EEDaSU_SV_EUlSU_E_NS1_11comp_targetILNS1_3genE10ELNS1_11target_archE1200ELNS1_3gpuE4ELNS1_3repE0EEENS1_30default_config_static_selectorELNS0_4arch9wavefront6targetE1EEEvT1_
    .private_segment_fixed_size: 0
    .sgpr_count:     6
    .sgpr_spill_count: 0
    .symbol:         _ZN7rocprim17ROCPRIM_400000_NS6detail17trampoline_kernelINS0_14default_configENS1_27scan_by_key_config_selectorIiiEEZZNS1_16scan_by_key_implILNS1_25lookback_scan_determinismE0ELb0ES3_N6thrust23THRUST_200600_302600_NS6detail15normal_iteratorINS9_10device_ptrIiEEEESE_SE_iNS9_10multipliesIiEENS9_8equal_toIiEEiEE10hipError_tPvRmT2_T3_T4_T5_mT6_T7_P12ihipStream_tbENKUlT_T0_E_clISt17integral_constantIbLb1EESZ_EEDaSU_SV_EUlSU_E_NS1_11comp_targetILNS1_3genE10ELNS1_11target_archE1200ELNS1_3gpuE4ELNS1_3repE0EEENS1_30default_config_static_selectorELNS0_4arch9wavefront6targetE1EEEvT1_.kd
    .uniform_work_group_size: 1
    .uses_dynamic_stack: false
    .vgpr_count:     0
    .vgpr_spill_count: 0
    .wavefront_size: 64
  - .agpr_count:     0
    .args:
      - .offset:         0
        .size:           112
        .value_kind:     by_value
    .group_segment_fixed_size: 0
    .kernarg_segment_align: 8
    .kernarg_segment_size: 112
    .language:       OpenCL C
    .language_version:
      - 2
      - 0
    .max_flat_workgroup_size: 256
    .name:           _ZN7rocprim17ROCPRIM_400000_NS6detail17trampoline_kernelINS0_14default_configENS1_27scan_by_key_config_selectorIiiEEZZNS1_16scan_by_key_implILNS1_25lookback_scan_determinismE0ELb0ES3_N6thrust23THRUST_200600_302600_NS6detail15normal_iteratorINS9_10device_ptrIiEEEESE_SE_iNS9_10multipliesIiEENS9_8equal_toIiEEiEE10hipError_tPvRmT2_T3_T4_T5_mT6_T7_P12ihipStream_tbENKUlT_T0_E_clISt17integral_constantIbLb1EESZ_EEDaSU_SV_EUlSU_E_NS1_11comp_targetILNS1_3genE9ELNS1_11target_archE1100ELNS1_3gpuE3ELNS1_3repE0EEENS1_30default_config_static_selectorELNS0_4arch9wavefront6targetE1EEEvT1_
    .private_segment_fixed_size: 0
    .sgpr_count:     6
    .sgpr_spill_count: 0
    .symbol:         _ZN7rocprim17ROCPRIM_400000_NS6detail17trampoline_kernelINS0_14default_configENS1_27scan_by_key_config_selectorIiiEEZZNS1_16scan_by_key_implILNS1_25lookback_scan_determinismE0ELb0ES3_N6thrust23THRUST_200600_302600_NS6detail15normal_iteratorINS9_10device_ptrIiEEEESE_SE_iNS9_10multipliesIiEENS9_8equal_toIiEEiEE10hipError_tPvRmT2_T3_T4_T5_mT6_T7_P12ihipStream_tbENKUlT_T0_E_clISt17integral_constantIbLb1EESZ_EEDaSU_SV_EUlSU_E_NS1_11comp_targetILNS1_3genE9ELNS1_11target_archE1100ELNS1_3gpuE3ELNS1_3repE0EEENS1_30default_config_static_selectorELNS0_4arch9wavefront6targetE1EEEvT1_.kd
    .uniform_work_group_size: 1
    .uses_dynamic_stack: false
    .vgpr_count:     0
    .vgpr_spill_count: 0
    .wavefront_size: 64
  - .agpr_count:     0
    .args:
      - .offset:         0
        .size:           112
        .value_kind:     by_value
    .group_segment_fixed_size: 0
    .kernarg_segment_align: 8
    .kernarg_segment_size: 112
    .language:       OpenCL C
    .language_version:
      - 2
      - 0
    .max_flat_workgroup_size: 256
    .name:           _ZN7rocprim17ROCPRIM_400000_NS6detail17trampoline_kernelINS0_14default_configENS1_27scan_by_key_config_selectorIiiEEZZNS1_16scan_by_key_implILNS1_25lookback_scan_determinismE0ELb0ES3_N6thrust23THRUST_200600_302600_NS6detail15normal_iteratorINS9_10device_ptrIiEEEESE_SE_iNS9_10multipliesIiEENS9_8equal_toIiEEiEE10hipError_tPvRmT2_T3_T4_T5_mT6_T7_P12ihipStream_tbENKUlT_T0_E_clISt17integral_constantIbLb1EESZ_EEDaSU_SV_EUlSU_E_NS1_11comp_targetILNS1_3genE8ELNS1_11target_archE1030ELNS1_3gpuE2ELNS1_3repE0EEENS1_30default_config_static_selectorELNS0_4arch9wavefront6targetE1EEEvT1_
    .private_segment_fixed_size: 0
    .sgpr_count:     6
    .sgpr_spill_count: 0
    .symbol:         _ZN7rocprim17ROCPRIM_400000_NS6detail17trampoline_kernelINS0_14default_configENS1_27scan_by_key_config_selectorIiiEEZZNS1_16scan_by_key_implILNS1_25lookback_scan_determinismE0ELb0ES3_N6thrust23THRUST_200600_302600_NS6detail15normal_iteratorINS9_10device_ptrIiEEEESE_SE_iNS9_10multipliesIiEENS9_8equal_toIiEEiEE10hipError_tPvRmT2_T3_T4_T5_mT6_T7_P12ihipStream_tbENKUlT_T0_E_clISt17integral_constantIbLb1EESZ_EEDaSU_SV_EUlSU_E_NS1_11comp_targetILNS1_3genE8ELNS1_11target_archE1030ELNS1_3gpuE2ELNS1_3repE0EEENS1_30default_config_static_selectorELNS0_4arch9wavefront6targetE1EEEvT1_.kd
    .uniform_work_group_size: 1
    .uses_dynamic_stack: false
    .vgpr_count:     0
    .vgpr_spill_count: 0
    .wavefront_size: 64
  - .agpr_count:     0
    .args:
      - .offset:         0
        .size:           112
        .value_kind:     by_value
    .group_segment_fixed_size: 0
    .kernarg_segment_align: 8
    .kernarg_segment_size: 112
    .language:       OpenCL C
    .language_version:
      - 2
      - 0
    .max_flat_workgroup_size: 256
    .name:           _ZN7rocprim17ROCPRIM_400000_NS6detail17trampoline_kernelINS0_14default_configENS1_27scan_by_key_config_selectorIiiEEZZNS1_16scan_by_key_implILNS1_25lookback_scan_determinismE0ELb0ES3_N6thrust23THRUST_200600_302600_NS6detail15normal_iteratorINS9_10device_ptrIiEEEESE_SE_iNS9_10multipliesIiEENS9_8equal_toIiEEiEE10hipError_tPvRmT2_T3_T4_T5_mT6_T7_P12ihipStream_tbENKUlT_T0_E_clISt17integral_constantIbLb1EESY_IbLb0EEEEDaSU_SV_EUlSU_E_NS1_11comp_targetILNS1_3genE0ELNS1_11target_archE4294967295ELNS1_3gpuE0ELNS1_3repE0EEENS1_30default_config_static_selectorELNS0_4arch9wavefront6targetE1EEEvT1_
    .private_segment_fixed_size: 0
    .sgpr_count:     6
    .sgpr_spill_count: 0
    .symbol:         _ZN7rocprim17ROCPRIM_400000_NS6detail17trampoline_kernelINS0_14default_configENS1_27scan_by_key_config_selectorIiiEEZZNS1_16scan_by_key_implILNS1_25lookback_scan_determinismE0ELb0ES3_N6thrust23THRUST_200600_302600_NS6detail15normal_iteratorINS9_10device_ptrIiEEEESE_SE_iNS9_10multipliesIiEENS9_8equal_toIiEEiEE10hipError_tPvRmT2_T3_T4_T5_mT6_T7_P12ihipStream_tbENKUlT_T0_E_clISt17integral_constantIbLb1EESY_IbLb0EEEEDaSU_SV_EUlSU_E_NS1_11comp_targetILNS1_3genE0ELNS1_11target_archE4294967295ELNS1_3gpuE0ELNS1_3repE0EEENS1_30default_config_static_selectorELNS0_4arch9wavefront6targetE1EEEvT1_.kd
    .uniform_work_group_size: 1
    .uses_dynamic_stack: false
    .vgpr_count:     0
    .vgpr_spill_count: 0
    .wavefront_size: 64
  - .agpr_count:     0
    .args:
      - .offset:         0
        .size:           112
        .value_kind:     by_value
    .group_segment_fixed_size: 0
    .kernarg_segment_align: 8
    .kernarg_segment_size: 112
    .language:       OpenCL C
    .language_version:
      - 2
      - 0
    .max_flat_workgroup_size: 256
    .name:           _ZN7rocprim17ROCPRIM_400000_NS6detail17trampoline_kernelINS0_14default_configENS1_27scan_by_key_config_selectorIiiEEZZNS1_16scan_by_key_implILNS1_25lookback_scan_determinismE0ELb0ES3_N6thrust23THRUST_200600_302600_NS6detail15normal_iteratorINS9_10device_ptrIiEEEESE_SE_iNS9_10multipliesIiEENS9_8equal_toIiEEiEE10hipError_tPvRmT2_T3_T4_T5_mT6_T7_P12ihipStream_tbENKUlT_T0_E_clISt17integral_constantIbLb1EESY_IbLb0EEEEDaSU_SV_EUlSU_E_NS1_11comp_targetILNS1_3genE10ELNS1_11target_archE1201ELNS1_3gpuE5ELNS1_3repE0EEENS1_30default_config_static_selectorELNS0_4arch9wavefront6targetE1EEEvT1_
    .private_segment_fixed_size: 0
    .sgpr_count:     6
    .sgpr_spill_count: 0
    .symbol:         _ZN7rocprim17ROCPRIM_400000_NS6detail17trampoline_kernelINS0_14default_configENS1_27scan_by_key_config_selectorIiiEEZZNS1_16scan_by_key_implILNS1_25lookback_scan_determinismE0ELb0ES3_N6thrust23THRUST_200600_302600_NS6detail15normal_iteratorINS9_10device_ptrIiEEEESE_SE_iNS9_10multipliesIiEENS9_8equal_toIiEEiEE10hipError_tPvRmT2_T3_T4_T5_mT6_T7_P12ihipStream_tbENKUlT_T0_E_clISt17integral_constantIbLb1EESY_IbLb0EEEEDaSU_SV_EUlSU_E_NS1_11comp_targetILNS1_3genE10ELNS1_11target_archE1201ELNS1_3gpuE5ELNS1_3repE0EEENS1_30default_config_static_selectorELNS0_4arch9wavefront6targetE1EEEvT1_.kd
    .uniform_work_group_size: 1
    .uses_dynamic_stack: false
    .vgpr_count:     0
    .vgpr_spill_count: 0
    .wavefront_size: 64
  - .agpr_count:     0
    .args:
      - .offset:         0
        .size:           112
        .value_kind:     by_value
    .group_segment_fixed_size: 25600
    .kernarg_segment_align: 8
    .kernarg_segment_size: 112
    .language:       OpenCL C
    .language_version:
      - 2
      - 0
    .max_flat_workgroup_size: 256
    .name:           _ZN7rocprim17ROCPRIM_400000_NS6detail17trampoline_kernelINS0_14default_configENS1_27scan_by_key_config_selectorIiiEEZZNS1_16scan_by_key_implILNS1_25lookback_scan_determinismE0ELb0ES3_N6thrust23THRUST_200600_302600_NS6detail15normal_iteratorINS9_10device_ptrIiEEEESE_SE_iNS9_10multipliesIiEENS9_8equal_toIiEEiEE10hipError_tPvRmT2_T3_T4_T5_mT6_T7_P12ihipStream_tbENKUlT_T0_E_clISt17integral_constantIbLb1EESY_IbLb0EEEEDaSU_SV_EUlSU_E_NS1_11comp_targetILNS1_3genE5ELNS1_11target_archE942ELNS1_3gpuE9ELNS1_3repE0EEENS1_30default_config_static_selectorELNS0_4arch9wavefront6targetE1EEEvT1_
    .private_segment_fixed_size: 0
    .sgpr_count:     88
    .sgpr_spill_count: 0
    .symbol:         _ZN7rocprim17ROCPRIM_400000_NS6detail17trampoline_kernelINS0_14default_configENS1_27scan_by_key_config_selectorIiiEEZZNS1_16scan_by_key_implILNS1_25lookback_scan_determinismE0ELb0ES3_N6thrust23THRUST_200600_302600_NS6detail15normal_iteratorINS9_10device_ptrIiEEEESE_SE_iNS9_10multipliesIiEENS9_8equal_toIiEEiEE10hipError_tPvRmT2_T3_T4_T5_mT6_T7_P12ihipStream_tbENKUlT_T0_E_clISt17integral_constantIbLb1EESY_IbLb0EEEEDaSU_SV_EUlSU_E_NS1_11comp_targetILNS1_3genE5ELNS1_11target_archE942ELNS1_3gpuE9ELNS1_3repE0EEENS1_30default_config_static_selectorELNS0_4arch9wavefront6targetE1EEEvT1_.kd
    .uniform_work_group_size: 1
    .uses_dynamic_stack: false
    .vgpr_count:     81
    .vgpr_spill_count: 0
    .wavefront_size: 64
  - .agpr_count:     0
    .args:
      - .offset:         0
        .size:           112
        .value_kind:     by_value
    .group_segment_fixed_size: 0
    .kernarg_segment_align: 8
    .kernarg_segment_size: 112
    .language:       OpenCL C
    .language_version:
      - 2
      - 0
    .max_flat_workgroup_size: 256
    .name:           _ZN7rocprim17ROCPRIM_400000_NS6detail17trampoline_kernelINS0_14default_configENS1_27scan_by_key_config_selectorIiiEEZZNS1_16scan_by_key_implILNS1_25lookback_scan_determinismE0ELb0ES3_N6thrust23THRUST_200600_302600_NS6detail15normal_iteratorINS9_10device_ptrIiEEEESE_SE_iNS9_10multipliesIiEENS9_8equal_toIiEEiEE10hipError_tPvRmT2_T3_T4_T5_mT6_T7_P12ihipStream_tbENKUlT_T0_E_clISt17integral_constantIbLb1EESY_IbLb0EEEEDaSU_SV_EUlSU_E_NS1_11comp_targetILNS1_3genE4ELNS1_11target_archE910ELNS1_3gpuE8ELNS1_3repE0EEENS1_30default_config_static_selectorELNS0_4arch9wavefront6targetE1EEEvT1_
    .private_segment_fixed_size: 0
    .sgpr_count:     6
    .sgpr_spill_count: 0
    .symbol:         _ZN7rocprim17ROCPRIM_400000_NS6detail17trampoline_kernelINS0_14default_configENS1_27scan_by_key_config_selectorIiiEEZZNS1_16scan_by_key_implILNS1_25lookback_scan_determinismE0ELb0ES3_N6thrust23THRUST_200600_302600_NS6detail15normal_iteratorINS9_10device_ptrIiEEEESE_SE_iNS9_10multipliesIiEENS9_8equal_toIiEEiEE10hipError_tPvRmT2_T3_T4_T5_mT6_T7_P12ihipStream_tbENKUlT_T0_E_clISt17integral_constantIbLb1EESY_IbLb0EEEEDaSU_SV_EUlSU_E_NS1_11comp_targetILNS1_3genE4ELNS1_11target_archE910ELNS1_3gpuE8ELNS1_3repE0EEENS1_30default_config_static_selectorELNS0_4arch9wavefront6targetE1EEEvT1_.kd
    .uniform_work_group_size: 1
    .uses_dynamic_stack: false
    .vgpr_count:     0
    .vgpr_spill_count: 0
    .wavefront_size: 64
  - .agpr_count:     0
    .args:
      - .offset:         0
        .size:           112
        .value_kind:     by_value
    .group_segment_fixed_size: 0
    .kernarg_segment_align: 8
    .kernarg_segment_size: 112
    .language:       OpenCL C
    .language_version:
      - 2
      - 0
    .max_flat_workgroup_size: 256
    .name:           _ZN7rocprim17ROCPRIM_400000_NS6detail17trampoline_kernelINS0_14default_configENS1_27scan_by_key_config_selectorIiiEEZZNS1_16scan_by_key_implILNS1_25lookback_scan_determinismE0ELb0ES3_N6thrust23THRUST_200600_302600_NS6detail15normal_iteratorINS9_10device_ptrIiEEEESE_SE_iNS9_10multipliesIiEENS9_8equal_toIiEEiEE10hipError_tPvRmT2_T3_T4_T5_mT6_T7_P12ihipStream_tbENKUlT_T0_E_clISt17integral_constantIbLb1EESY_IbLb0EEEEDaSU_SV_EUlSU_E_NS1_11comp_targetILNS1_3genE3ELNS1_11target_archE908ELNS1_3gpuE7ELNS1_3repE0EEENS1_30default_config_static_selectorELNS0_4arch9wavefront6targetE1EEEvT1_
    .private_segment_fixed_size: 0
    .sgpr_count:     6
    .sgpr_spill_count: 0
    .symbol:         _ZN7rocprim17ROCPRIM_400000_NS6detail17trampoline_kernelINS0_14default_configENS1_27scan_by_key_config_selectorIiiEEZZNS1_16scan_by_key_implILNS1_25lookback_scan_determinismE0ELb0ES3_N6thrust23THRUST_200600_302600_NS6detail15normal_iteratorINS9_10device_ptrIiEEEESE_SE_iNS9_10multipliesIiEENS9_8equal_toIiEEiEE10hipError_tPvRmT2_T3_T4_T5_mT6_T7_P12ihipStream_tbENKUlT_T0_E_clISt17integral_constantIbLb1EESY_IbLb0EEEEDaSU_SV_EUlSU_E_NS1_11comp_targetILNS1_3genE3ELNS1_11target_archE908ELNS1_3gpuE7ELNS1_3repE0EEENS1_30default_config_static_selectorELNS0_4arch9wavefront6targetE1EEEvT1_.kd
    .uniform_work_group_size: 1
    .uses_dynamic_stack: false
    .vgpr_count:     0
    .vgpr_spill_count: 0
    .wavefront_size: 64
  - .agpr_count:     0
    .args:
      - .offset:         0
        .size:           112
        .value_kind:     by_value
    .group_segment_fixed_size: 0
    .kernarg_segment_align: 8
    .kernarg_segment_size: 112
    .language:       OpenCL C
    .language_version:
      - 2
      - 0
    .max_flat_workgroup_size: 256
    .name:           _ZN7rocprim17ROCPRIM_400000_NS6detail17trampoline_kernelINS0_14default_configENS1_27scan_by_key_config_selectorIiiEEZZNS1_16scan_by_key_implILNS1_25lookback_scan_determinismE0ELb0ES3_N6thrust23THRUST_200600_302600_NS6detail15normal_iteratorINS9_10device_ptrIiEEEESE_SE_iNS9_10multipliesIiEENS9_8equal_toIiEEiEE10hipError_tPvRmT2_T3_T4_T5_mT6_T7_P12ihipStream_tbENKUlT_T0_E_clISt17integral_constantIbLb1EESY_IbLb0EEEEDaSU_SV_EUlSU_E_NS1_11comp_targetILNS1_3genE2ELNS1_11target_archE906ELNS1_3gpuE6ELNS1_3repE0EEENS1_30default_config_static_selectorELNS0_4arch9wavefront6targetE1EEEvT1_
    .private_segment_fixed_size: 0
    .sgpr_count:     6
    .sgpr_spill_count: 0
    .symbol:         _ZN7rocprim17ROCPRIM_400000_NS6detail17trampoline_kernelINS0_14default_configENS1_27scan_by_key_config_selectorIiiEEZZNS1_16scan_by_key_implILNS1_25lookback_scan_determinismE0ELb0ES3_N6thrust23THRUST_200600_302600_NS6detail15normal_iteratorINS9_10device_ptrIiEEEESE_SE_iNS9_10multipliesIiEENS9_8equal_toIiEEiEE10hipError_tPvRmT2_T3_T4_T5_mT6_T7_P12ihipStream_tbENKUlT_T0_E_clISt17integral_constantIbLb1EESY_IbLb0EEEEDaSU_SV_EUlSU_E_NS1_11comp_targetILNS1_3genE2ELNS1_11target_archE906ELNS1_3gpuE6ELNS1_3repE0EEENS1_30default_config_static_selectorELNS0_4arch9wavefront6targetE1EEEvT1_.kd
    .uniform_work_group_size: 1
    .uses_dynamic_stack: false
    .vgpr_count:     0
    .vgpr_spill_count: 0
    .wavefront_size: 64
  - .agpr_count:     0
    .args:
      - .offset:         0
        .size:           112
        .value_kind:     by_value
    .group_segment_fixed_size: 0
    .kernarg_segment_align: 8
    .kernarg_segment_size: 112
    .language:       OpenCL C
    .language_version:
      - 2
      - 0
    .max_flat_workgroup_size: 256
    .name:           _ZN7rocprim17ROCPRIM_400000_NS6detail17trampoline_kernelINS0_14default_configENS1_27scan_by_key_config_selectorIiiEEZZNS1_16scan_by_key_implILNS1_25lookback_scan_determinismE0ELb0ES3_N6thrust23THRUST_200600_302600_NS6detail15normal_iteratorINS9_10device_ptrIiEEEESE_SE_iNS9_10multipliesIiEENS9_8equal_toIiEEiEE10hipError_tPvRmT2_T3_T4_T5_mT6_T7_P12ihipStream_tbENKUlT_T0_E_clISt17integral_constantIbLb1EESY_IbLb0EEEEDaSU_SV_EUlSU_E_NS1_11comp_targetILNS1_3genE10ELNS1_11target_archE1200ELNS1_3gpuE4ELNS1_3repE0EEENS1_30default_config_static_selectorELNS0_4arch9wavefront6targetE1EEEvT1_
    .private_segment_fixed_size: 0
    .sgpr_count:     6
    .sgpr_spill_count: 0
    .symbol:         _ZN7rocprim17ROCPRIM_400000_NS6detail17trampoline_kernelINS0_14default_configENS1_27scan_by_key_config_selectorIiiEEZZNS1_16scan_by_key_implILNS1_25lookback_scan_determinismE0ELb0ES3_N6thrust23THRUST_200600_302600_NS6detail15normal_iteratorINS9_10device_ptrIiEEEESE_SE_iNS9_10multipliesIiEENS9_8equal_toIiEEiEE10hipError_tPvRmT2_T3_T4_T5_mT6_T7_P12ihipStream_tbENKUlT_T0_E_clISt17integral_constantIbLb1EESY_IbLb0EEEEDaSU_SV_EUlSU_E_NS1_11comp_targetILNS1_3genE10ELNS1_11target_archE1200ELNS1_3gpuE4ELNS1_3repE0EEENS1_30default_config_static_selectorELNS0_4arch9wavefront6targetE1EEEvT1_.kd
    .uniform_work_group_size: 1
    .uses_dynamic_stack: false
    .vgpr_count:     0
    .vgpr_spill_count: 0
    .wavefront_size: 64
  - .agpr_count:     0
    .args:
      - .offset:         0
        .size:           112
        .value_kind:     by_value
    .group_segment_fixed_size: 0
    .kernarg_segment_align: 8
    .kernarg_segment_size: 112
    .language:       OpenCL C
    .language_version:
      - 2
      - 0
    .max_flat_workgroup_size: 256
    .name:           _ZN7rocprim17ROCPRIM_400000_NS6detail17trampoline_kernelINS0_14default_configENS1_27scan_by_key_config_selectorIiiEEZZNS1_16scan_by_key_implILNS1_25lookback_scan_determinismE0ELb0ES3_N6thrust23THRUST_200600_302600_NS6detail15normal_iteratorINS9_10device_ptrIiEEEESE_SE_iNS9_10multipliesIiEENS9_8equal_toIiEEiEE10hipError_tPvRmT2_T3_T4_T5_mT6_T7_P12ihipStream_tbENKUlT_T0_E_clISt17integral_constantIbLb1EESY_IbLb0EEEEDaSU_SV_EUlSU_E_NS1_11comp_targetILNS1_3genE9ELNS1_11target_archE1100ELNS1_3gpuE3ELNS1_3repE0EEENS1_30default_config_static_selectorELNS0_4arch9wavefront6targetE1EEEvT1_
    .private_segment_fixed_size: 0
    .sgpr_count:     6
    .sgpr_spill_count: 0
    .symbol:         _ZN7rocprim17ROCPRIM_400000_NS6detail17trampoline_kernelINS0_14default_configENS1_27scan_by_key_config_selectorIiiEEZZNS1_16scan_by_key_implILNS1_25lookback_scan_determinismE0ELb0ES3_N6thrust23THRUST_200600_302600_NS6detail15normal_iteratorINS9_10device_ptrIiEEEESE_SE_iNS9_10multipliesIiEENS9_8equal_toIiEEiEE10hipError_tPvRmT2_T3_T4_T5_mT6_T7_P12ihipStream_tbENKUlT_T0_E_clISt17integral_constantIbLb1EESY_IbLb0EEEEDaSU_SV_EUlSU_E_NS1_11comp_targetILNS1_3genE9ELNS1_11target_archE1100ELNS1_3gpuE3ELNS1_3repE0EEENS1_30default_config_static_selectorELNS0_4arch9wavefront6targetE1EEEvT1_.kd
    .uniform_work_group_size: 1
    .uses_dynamic_stack: false
    .vgpr_count:     0
    .vgpr_spill_count: 0
    .wavefront_size: 64
  - .agpr_count:     0
    .args:
      - .offset:         0
        .size:           112
        .value_kind:     by_value
    .group_segment_fixed_size: 0
    .kernarg_segment_align: 8
    .kernarg_segment_size: 112
    .language:       OpenCL C
    .language_version:
      - 2
      - 0
    .max_flat_workgroup_size: 256
    .name:           _ZN7rocprim17ROCPRIM_400000_NS6detail17trampoline_kernelINS0_14default_configENS1_27scan_by_key_config_selectorIiiEEZZNS1_16scan_by_key_implILNS1_25lookback_scan_determinismE0ELb0ES3_N6thrust23THRUST_200600_302600_NS6detail15normal_iteratorINS9_10device_ptrIiEEEESE_SE_iNS9_10multipliesIiEENS9_8equal_toIiEEiEE10hipError_tPvRmT2_T3_T4_T5_mT6_T7_P12ihipStream_tbENKUlT_T0_E_clISt17integral_constantIbLb1EESY_IbLb0EEEEDaSU_SV_EUlSU_E_NS1_11comp_targetILNS1_3genE8ELNS1_11target_archE1030ELNS1_3gpuE2ELNS1_3repE0EEENS1_30default_config_static_selectorELNS0_4arch9wavefront6targetE1EEEvT1_
    .private_segment_fixed_size: 0
    .sgpr_count:     6
    .sgpr_spill_count: 0
    .symbol:         _ZN7rocprim17ROCPRIM_400000_NS6detail17trampoline_kernelINS0_14default_configENS1_27scan_by_key_config_selectorIiiEEZZNS1_16scan_by_key_implILNS1_25lookback_scan_determinismE0ELb0ES3_N6thrust23THRUST_200600_302600_NS6detail15normal_iteratorINS9_10device_ptrIiEEEESE_SE_iNS9_10multipliesIiEENS9_8equal_toIiEEiEE10hipError_tPvRmT2_T3_T4_T5_mT6_T7_P12ihipStream_tbENKUlT_T0_E_clISt17integral_constantIbLb1EESY_IbLb0EEEEDaSU_SV_EUlSU_E_NS1_11comp_targetILNS1_3genE8ELNS1_11target_archE1030ELNS1_3gpuE2ELNS1_3repE0EEENS1_30default_config_static_selectorELNS0_4arch9wavefront6targetE1EEEvT1_.kd
    .uniform_work_group_size: 1
    .uses_dynamic_stack: false
    .vgpr_count:     0
    .vgpr_spill_count: 0
    .wavefront_size: 64
  - .agpr_count:     0
    .args:
      - .offset:         0
        .size:           112
        .value_kind:     by_value
    .group_segment_fixed_size: 0
    .kernarg_segment_align: 8
    .kernarg_segment_size: 112
    .language:       OpenCL C
    .language_version:
      - 2
      - 0
    .max_flat_workgroup_size: 256
    .name:           _ZN7rocprim17ROCPRIM_400000_NS6detail17trampoline_kernelINS0_14default_configENS1_27scan_by_key_config_selectorIiiEEZZNS1_16scan_by_key_implILNS1_25lookback_scan_determinismE0ELb0ES3_N6thrust23THRUST_200600_302600_NS6detail15normal_iteratorINS9_10device_ptrIiEEEESE_SE_iNS9_10multipliesIiEENS9_8equal_toIiEEiEE10hipError_tPvRmT2_T3_T4_T5_mT6_T7_P12ihipStream_tbENKUlT_T0_E_clISt17integral_constantIbLb0EESY_IbLb1EEEEDaSU_SV_EUlSU_E_NS1_11comp_targetILNS1_3genE0ELNS1_11target_archE4294967295ELNS1_3gpuE0ELNS1_3repE0EEENS1_30default_config_static_selectorELNS0_4arch9wavefront6targetE1EEEvT1_
    .private_segment_fixed_size: 0
    .sgpr_count:     6
    .sgpr_spill_count: 0
    .symbol:         _ZN7rocprim17ROCPRIM_400000_NS6detail17trampoline_kernelINS0_14default_configENS1_27scan_by_key_config_selectorIiiEEZZNS1_16scan_by_key_implILNS1_25lookback_scan_determinismE0ELb0ES3_N6thrust23THRUST_200600_302600_NS6detail15normal_iteratorINS9_10device_ptrIiEEEESE_SE_iNS9_10multipliesIiEENS9_8equal_toIiEEiEE10hipError_tPvRmT2_T3_T4_T5_mT6_T7_P12ihipStream_tbENKUlT_T0_E_clISt17integral_constantIbLb0EESY_IbLb1EEEEDaSU_SV_EUlSU_E_NS1_11comp_targetILNS1_3genE0ELNS1_11target_archE4294967295ELNS1_3gpuE0ELNS1_3repE0EEENS1_30default_config_static_selectorELNS0_4arch9wavefront6targetE1EEEvT1_.kd
    .uniform_work_group_size: 1
    .uses_dynamic_stack: false
    .vgpr_count:     0
    .vgpr_spill_count: 0
    .wavefront_size: 64
  - .agpr_count:     0
    .args:
      - .offset:         0
        .size:           112
        .value_kind:     by_value
    .group_segment_fixed_size: 0
    .kernarg_segment_align: 8
    .kernarg_segment_size: 112
    .language:       OpenCL C
    .language_version:
      - 2
      - 0
    .max_flat_workgroup_size: 256
    .name:           _ZN7rocprim17ROCPRIM_400000_NS6detail17trampoline_kernelINS0_14default_configENS1_27scan_by_key_config_selectorIiiEEZZNS1_16scan_by_key_implILNS1_25lookback_scan_determinismE0ELb0ES3_N6thrust23THRUST_200600_302600_NS6detail15normal_iteratorINS9_10device_ptrIiEEEESE_SE_iNS9_10multipliesIiEENS9_8equal_toIiEEiEE10hipError_tPvRmT2_T3_T4_T5_mT6_T7_P12ihipStream_tbENKUlT_T0_E_clISt17integral_constantIbLb0EESY_IbLb1EEEEDaSU_SV_EUlSU_E_NS1_11comp_targetILNS1_3genE10ELNS1_11target_archE1201ELNS1_3gpuE5ELNS1_3repE0EEENS1_30default_config_static_selectorELNS0_4arch9wavefront6targetE1EEEvT1_
    .private_segment_fixed_size: 0
    .sgpr_count:     6
    .sgpr_spill_count: 0
    .symbol:         _ZN7rocprim17ROCPRIM_400000_NS6detail17trampoline_kernelINS0_14default_configENS1_27scan_by_key_config_selectorIiiEEZZNS1_16scan_by_key_implILNS1_25lookback_scan_determinismE0ELb0ES3_N6thrust23THRUST_200600_302600_NS6detail15normal_iteratorINS9_10device_ptrIiEEEESE_SE_iNS9_10multipliesIiEENS9_8equal_toIiEEiEE10hipError_tPvRmT2_T3_T4_T5_mT6_T7_P12ihipStream_tbENKUlT_T0_E_clISt17integral_constantIbLb0EESY_IbLb1EEEEDaSU_SV_EUlSU_E_NS1_11comp_targetILNS1_3genE10ELNS1_11target_archE1201ELNS1_3gpuE5ELNS1_3repE0EEENS1_30default_config_static_selectorELNS0_4arch9wavefront6targetE1EEEvT1_.kd
    .uniform_work_group_size: 1
    .uses_dynamic_stack: false
    .vgpr_count:     0
    .vgpr_spill_count: 0
    .wavefront_size: 64
  - .agpr_count:     0
    .args:
      - .offset:         0
        .size:           112
        .value_kind:     by_value
    .group_segment_fixed_size: 25600
    .kernarg_segment_align: 8
    .kernarg_segment_size: 112
    .language:       OpenCL C
    .language_version:
      - 2
      - 0
    .max_flat_workgroup_size: 256
    .name:           _ZN7rocprim17ROCPRIM_400000_NS6detail17trampoline_kernelINS0_14default_configENS1_27scan_by_key_config_selectorIiiEEZZNS1_16scan_by_key_implILNS1_25lookback_scan_determinismE0ELb0ES3_N6thrust23THRUST_200600_302600_NS6detail15normal_iteratorINS9_10device_ptrIiEEEESE_SE_iNS9_10multipliesIiEENS9_8equal_toIiEEiEE10hipError_tPvRmT2_T3_T4_T5_mT6_T7_P12ihipStream_tbENKUlT_T0_E_clISt17integral_constantIbLb0EESY_IbLb1EEEEDaSU_SV_EUlSU_E_NS1_11comp_targetILNS1_3genE5ELNS1_11target_archE942ELNS1_3gpuE9ELNS1_3repE0EEENS1_30default_config_static_selectorELNS0_4arch9wavefront6targetE1EEEvT1_
    .private_segment_fixed_size: 0
    .sgpr_count:     91
    .sgpr_spill_count: 0
    .symbol:         _ZN7rocprim17ROCPRIM_400000_NS6detail17trampoline_kernelINS0_14default_configENS1_27scan_by_key_config_selectorIiiEEZZNS1_16scan_by_key_implILNS1_25lookback_scan_determinismE0ELb0ES3_N6thrust23THRUST_200600_302600_NS6detail15normal_iteratorINS9_10device_ptrIiEEEESE_SE_iNS9_10multipliesIiEENS9_8equal_toIiEEiEE10hipError_tPvRmT2_T3_T4_T5_mT6_T7_P12ihipStream_tbENKUlT_T0_E_clISt17integral_constantIbLb0EESY_IbLb1EEEEDaSU_SV_EUlSU_E_NS1_11comp_targetILNS1_3genE5ELNS1_11target_archE942ELNS1_3gpuE9ELNS1_3repE0EEENS1_30default_config_static_selectorELNS0_4arch9wavefront6targetE1EEEvT1_.kd
    .uniform_work_group_size: 1
    .uses_dynamic_stack: false
    .vgpr_count:     81
    .vgpr_spill_count: 0
    .wavefront_size: 64
  - .agpr_count:     0
    .args:
      - .offset:         0
        .size:           112
        .value_kind:     by_value
    .group_segment_fixed_size: 0
    .kernarg_segment_align: 8
    .kernarg_segment_size: 112
    .language:       OpenCL C
    .language_version:
      - 2
      - 0
    .max_flat_workgroup_size: 256
    .name:           _ZN7rocprim17ROCPRIM_400000_NS6detail17trampoline_kernelINS0_14default_configENS1_27scan_by_key_config_selectorIiiEEZZNS1_16scan_by_key_implILNS1_25lookback_scan_determinismE0ELb0ES3_N6thrust23THRUST_200600_302600_NS6detail15normal_iteratorINS9_10device_ptrIiEEEESE_SE_iNS9_10multipliesIiEENS9_8equal_toIiEEiEE10hipError_tPvRmT2_T3_T4_T5_mT6_T7_P12ihipStream_tbENKUlT_T0_E_clISt17integral_constantIbLb0EESY_IbLb1EEEEDaSU_SV_EUlSU_E_NS1_11comp_targetILNS1_3genE4ELNS1_11target_archE910ELNS1_3gpuE8ELNS1_3repE0EEENS1_30default_config_static_selectorELNS0_4arch9wavefront6targetE1EEEvT1_
    .private_segment_fixed_size: 0
    .sgpr_count:     6
    .sgpr_spill_count: 0
    .symbol:         _ZN7rocprim17ROCPRIM_400000_NS6detail17trampoline_kernelINS0_14default_configENS1_27scan_by_key_config_selectorIiiEEZZNS1_16scan_by_key_implILNS1_25lookback_scan_determinismE0ELb0ES3_N6thrust23THRUST_200600_302600_NS6detail15normal_iteratorINS9_10device_ptrIiEEEESE_SE_iNS9_10multipliesIiEENS9_8equal_toIiEEiEE10hipError_tPvRmT2_T3_T4_T5_mT6_T7_P12ihipStream_tbENKUlT_T0_E_clISt17integral_constantIbLb0EESY_IbLb1EEEEDaSU_SV_EUlSU_E_NS1_11comp_targetILNS1_3genE4ELNS1_11target_archE910ELNS1_3gpuE8ELNS1_3repE0EEENS1_30default_config_static_selectorELNS0_4arch9wavefront6targetE1EEEvT1_.kd
    .uniform_work_group_size: 1
    .uses_dynamic_stack: false
    .vgpr_count:     0
    .vgpr_spill_count: 0
    .wavefront_size: 64
  - .agpr_count:     0
    .args:
      - .offset:         0
        .size:           112
        .value_kind:     by_value
    .group_segment_fixed_size: 0
    .kernarg_segment_align: 8
    .kernarg_segment_size: 112
    .language:       OpenCL C
    .language_version:
      - 2
      - 0
    .max_flat_workgroup_size: 256
    .name:           _ZN7rocprim17ROCPRIM_400000_NS6detail17trampoline_kernelINS0_14default_configENS1_27scan_by_key_config_selectorIiiEEZZNS1_16scan_by_key_implILNS1_25lookback_scan_determinismE0ELb0ES3_N6thrust23THRUST_200600_302600_NS6detail15normal_iteratorINS9_10device_ptrIiEEEESE_SE_iNS9_10multipliesIiEENS9_8equal_toIiEEiEE10hipError_tPvRmT2_T3_T4_T5_mT6_T7_P12ihipStream_tbENKUlT_T0_E_clISt17integral_constantIbLb0EESY_IbLb1EEEEDaSU_SV_EUlSU_E_NS1_11comp_targetILNS1_3genE3ELNS1_11target_archE908ELNS1_3gpuE7ELNS1_3repE0EEENS1_30default_config_static_selectorELNS0_4arch9wavefront6targetE1EEEvT1_
    .private_segment_fixed_size: 0
    .sgpr_count:     6
    .sgpr_spill_count: 0
    .symbol:         _ZN7rocprim17ROCPRIM_400000_NS6detail17trampoline_kernelINS0_14default_configENS1_27scan_by_key_config_selectorIiiEEZZNS1_16scan_by_key_implILNS1_25lookback_scan_determinismE0ELb0ES3_N6thrust23THRUST_200600_302600_NS6detail15normal_iteratorINS9_10device_ptrIiEEEESE_SE_iNS9_10multipliesIiEENS9_8equal_toIiEEiEE10hipError_tPvRmT2_T3_T4_T5_mT6_T7_P12ihipStream_tbENKUlT_T0_E_clISt17integral_constantIbLb0EESY_IbLb1EEEEDaSU_SV_EUlSU_E_NS1_11comp_targetILNS1_3genE3ELNS1_11target_archE908ELNS1_3gpuE7ELNS1_3repE0EEENS1_30default_config_static_selectorELNS0_4arch9wavefront6targetE1EEEvT1_.kd
    .uniform_work_group_size: 1
    .uses_dynamic_stack: false
    .vgpr_count:     0
    .vgpr_spill_count: 0
    .wavefront_size: 64
  - .agpr_count:     0
    .args:
      - .offset:         0
        .size:           112
        .value_kind:     by_value
    .group_segment_fixed_size: 0
    .kernarg_segment_align: 8
    .kernarg_segment_size: 112
    .language:       OpenCL C
    .language_version:
      - 2
      - 0
    .max_flat_workgroup_size: 256
    .name:           _ZN7rocprim17ROCPRIM_400000_NS6detail17trampoline_kernelINS0_14default_configENS1_27scan_by_key_config_selectorIiiEEZZNS1_16scan_by_key_implILNS1_25lookback_scan_determinismE0ELb0ES3_N6thrust23THRUST_200600_302600_NS6detail15normal_iteratorINS9_10device_ptrIiEEEESE_SE_iNS9_10multipliesIiEENS9_8equal_toIiEEiEE10hipError_tPvRmT2_T3_T4_T5_mT6_T7_P12ihipStream_tbENKUlT_T0_E_clISt17integral_constantIbLb0EESY_IbLb1EEEEDaSU_SV_EUlSU_E_NS1_11comp_targetILNS1_3genE2ELNS1_11target_archE906ELNS1_3gpuE6ELNS1_3repE0EEENS1_30default_config_static_selectorELNS0_4arch9wavefront6targetE1EEEvT1_
    .private_segment_fixed_size: 0
    .sgpr_count:     6
    .sgpr_spill_count: 0
    .symbol:         _ZN7rocprim17ROCPRIM_400000_NS6detail17trampoline_kernelINS0_14default_configENS1_27scan_by_key_config_selectorIiiEEZZNS1_16scan_by_key_implILNS1_25lookback_scan_determinismE0ELb0ES3_N6thrust23THRUST_200600_302600_NS6detail15normal_iteratorINS9_10device_ptrIiEEEESE_SE_iNS9_10multipliesIiEENS9_8equal_toIiEEiEE10hipError_tPvRmT2_T3_T4_T5_mT6_T7_P12ihipStream_tbENKUlT_T0_E_clISt17integral_constantIbLb0EESY_IbLb1EEEEDaSU_SV_EUlSU_E_NS1_11comp_targetILNS1_3genE2ELNS1_11target_archE906ELNS1_3gpuE6ELNS1_3repE0EEENS1_30default_config_static_selectorELNS0_4arch9wavefront6targetE1EEEvT1_.kd
    .uniform_work_group_size: 1
    .uses_dynamic_stack: false
    .vgpr_count:     0
    .vgpr_spill_count: 0
    .wavefront_size: 64
  - .agpr_count:     0
    .args:
      - .offset:         0
        .size:           112
        .value_kind:     by_value
    .group_segment_fixed_size: 0
    .kernarg_segment_align: 8
    .kernarg_segment_size: 112
    .language:       OpenCL C
    .language_version:
      - 2
      - 0
    .max_flat_workgroup_size: 256
    .name:           _ZN7rocprim17ROCPRIM_400000_NS6detail17trampoline_kernelINS0_14default_configENS1_27scan_by_key_config_selectorIiiEEZZNS1_16scan_by_key_implILNS1_25lookback_scan_determinismE0ELb0ES3_N6thrust23THRUST_200600_302600_NS6detail15normal_iteratorINS9_10device_ptrIiEEEESE_SE_iNS9_10multipliesIiEENS9_8equal_toIiEEiEE10hipError_tPvRmT2_T3_T4_T5_mT6_T7_P12ihipStream_tbENKUlT_T0_E_clISt17integral_constantIbLb0EESY_IbLb1EEEEDaSU_SV_EUlSU_E_NS1_11comp_targetILNS1_3genE10ELNS1_11target_archE1200ELNS1_3gpuE4ELNS1_3repE0EEENS1_30default_config_static_selectorELNS0_4arch9wavefront6targetE1EEEvT1_
    .private_segment_fixed_size: 0
    .sgpr_count:     6
    .sgpr_spill_count: 0
    .symbol:         _ZN7rocprim17ROCPRIM_400000_NS6detail17trampoline_kernelINS0_14default_configENS1_27scan_by_key_config_selectorIiiEEZZNS1_16scan_by_key_implILNS1_25lookback_scan_determinismE0ELb0ES3_N6thrust23THRUST_200600_302600_NS6detail15normal_iteratorINS9_10device_ptrIiEEEESE_SE_iNS9_10multipliesIiEENS9_8equal_toIiEEiEE10hipError_tPvRmT2_T3_T4_T5_mT6_T7_P12ihipStream_tbENKUlT_T0_E_clISt17integral_constantIbLb0EESY_IbLb1EEEEDaSU_SV_EUlSU_E_NS1_11comp_targetILNS1_3genE10ELNS1_11target_archE1200ELNS1_3gpuE4ELNS1_3repE0EEENS1_30default_config_static_selectorELNS0_4arch9wavefront6targetE1EEEvT1_.kd
    .uniform_work_group_size: 1
    .uses_dynamic_stack: false
    .vgpr_count:     0
    .vgpr_spill_count: 0
    .wavefront_size: 64
  - .agpr_count:     0
    .args:
      - .offset:         0
        .size:           112
        .value_kind:     by_value
    .group_segment_fixed_size: 0
    .kernarg_segment_align: 8
    .kernarg_segment_size: 112
    .language:       OpenCL C
    .language_version:
      - 2
      - 0
    .max_flat_workgroup_size: 256
    .name:           _ZN7rocprim17ROCPRIM_400000_NS6detail17trampoline_kernelINS0_14default_configENS1_27scan_by_key_config_selectorIiiEEZZNS1_16scan_by_key_implILNS1_25lookback_scan_determinismE0ELb0ES3_N6thrust23THRUST_200600_302600_NS6detail15normal_iteratorINS9_10device_ptrIiEEEESE_SE_iNS9_10multipliesIiEENS9_8equal_toIiEEiEE10hipError_tPvRmT2_T3_T4_T5_mT6_T7_P12ihipStream_tbENKUlT_T0_E_clISt17integral_constantIbLb0EESY_IbLb1EEEEDaSU_SV_EUlSU_E_NS1_11comp_targetILNS1_3genE9ELNS1_11target_archE1100ELNS1_3gpuE3ELNS1_3repE0EEENS1_30default_config_static_selectorELNS0_4arch9wavefront6targetE1EEEvT1_
    .private_segment_fixed_size: 0
    .sgpr_count:     6
    .sgpr_spill_count: 0
    .symbol:         _ZN7rocprim17ROCPRIM_400000_NS6detail17trampoline_kernelINS0_14default_configENS1_27scan_by_key_config_selectorIiiEEZZNS1_16scan_by_key_implILNS1_25lookback_scan_determinismE0ELb0ES3_N6thrust23THRUST_200600_302600_NS6detail15normal_iteratorINS9_10device_ptrIiEEEESE_SE_iNS9_10multipliesIiEENS9_8equal_toIiEEiEE10hipError_tPvRmT2_T3_T4_T5_mT6_T7_P12ihipStream_tbENKUlT_T0_E_clISt17integral_constantIbLb0EESY_IbLb1EEEEDaSU_SV_EUlSU_E_NS1_11comp_targetILNS1_3genE9ELNS1_11target_archE1100ELNS1_3gpuE3ELNS1_3repE0EEENS1_30default_config_static_selectorELNS0_4arch9wavefront6targetE1EEEvT1_.kd
    .uniform_work_group_size: 1
    .uses_dynamic_stack: false
    .vgpr_count:     0
    .vgpr_spill_count: 0
    .wavefront_size: 64
  - .agpr_count:     0
    .args:
      - .offset:         0
        .size:           112
        .value_kind:     by_value
    .group_segment_fixed_size: 0
    .kernarg_segment_align: 8
    .kernarg_segment_size: 112
    .language:       OpenCL C
    .language_version:
      - 2
      - 0
    .max_flat_workgroup_size: 256
    .name:           _ZN7rocprim17ROCPRIM_400000_NS6detail17trampoline_kernelINS0_14default_configENS1_27scan_by_key_config_selectorIiiEEZZNS1_16scan_by_key_implILNS1_25lookback_scan_determinismE0ELb0ES3_N6thrust23THRUST_200600_302600_NS6detail15normal_iteratorINS9_10device_ptrIiEEEESE_SE_iNS9_10multipliesIiEENS9_8equal_toIiEEiEE10hipError_tPvRmT2_T3_T4_T5_mT6_T7_P12ihipStream_tbENKUlT_T0_E_clISt17integral_constantIbLb0EESY_IbLb1EEEEDaSU_SV_EUlSU_E_NS1_11comp_targetILNS1_3genE8ELNS1_11target_archE1030ELNS1_3gpuE2ELNS1_3repE0EEENS1_30default_config_static_selectorELNS0_4arch9wavefront6targetE1EEEvT1_
    .private_segment_fixed_size: 0
    .sgpr_count:     6
    .sgpr_spill_count: 0
    .symbol:         _ZN7rocprim17ROCPRIM_400000_NS6detail17trampoline_kernelINS0_14default_configENS1_27scan_by_key_config_selectorIiiEEZZNS1_16scan_by_key_implILNS1_25lookback_scan_determinismE0ELb0ES3_N6thrust23THRUST_200600_302600_NS6detail15normal_iteratorINS9_10device_ptrIiEEEESE_SE_iNS9_10multipliesIiEENS9_8equal_toIiEEiEE10hipError_tPvRmT2_T3_T4_T5_mT6_T7_P12ihipStream_tbENKUlT_T0_E_clISt17integral_constantIbLb0EESY_IbLb1EEEEDaSU_SV_EUlSU_E_NS1_11comp_targetILNS1_3genE8ELNS1_11target_archE1030ELNS1_3gpuE2ELNS1_3repE0EEENS1_30default_config_static_selectorELNS0_4arch9wavefront6targetE1EEEvT1_.kd
    .uniform_work_group_size: 1
    .uses_dynamic_stack: false
    .vgpr_count:     0
    .vgpr_spill_count: 0
    .wavefront_size: 64
  - .agpr_count:     0
    .args:
      - .offset:         0
        .size:           112
        .value_kind:     by_value
    .group_segment_fixed_size: 0
    .kernarg_segment_align: 8
    .kernarg_segment_size: 112
    .language:       OpenCL C
    .language_version:
      - 2
      - 0
    .max_flat_workgroup_size: 256
    .name:           _ZN7rocprim17ROCPRIM_400000_NS6detail17trampoline_kernelINS0_14default_configENS1_27scan_by_key_config_selectorIiiEEZZNS1_16scan_by_key_implILNS1_25lookback_scan_determinismE0ELb0ES3_N6thrust23THRUST_200600_302600_NS6detail15normal_iteratorINS9_10device_ptrIiEEEESE_SE_iNS9_4plusIvEENS9_8equal_toIiEEiEE10hipError_tPvRmT2_T3_T4_T5_mT6_T7_P12ihipStream_tbENKUlT_T0_E_clISt17integral_constantIbLb0EESZ_EEDaSU_SV_EUlSU_E_NS1_11comp_targetILNS1_3genE0ELNS1_11target_archE4294967295ELNS1_3gpuE0ELNS1_3repE0EEENS1_30default_config_static_selectorELNS0_4arch9wavefront6targetE1EEEvT1_
    .private_segment_fixed_size: 0
    .sgpr_count:     6
    .sgpr_spill_count: 0
    .symbol:         _ZN7rocprim17ROCPRIM_400000_NS6detail17trampoline_kernelINS0_14default_configENS1_27scan_by_key_config_selectorIiiEEZZNS1_16scan_by_key_implILNS1_25lookback_scan_determinismE0ELb0ES3_N6thrust23THRUST_200600_302600_NS6detail15normal_iteratorINS9_10device_ptrIiEEEESE_SE_iNS9_4plusIvEENS9_8equal_toIiEEiEE10hipError_tPvRmT2_T3_T4_T5_mT6_T7_P12ihipStream_tbENKUlT_T0_E_clISt17integral_constantIbLb0EESZ_EEDaSU_SV_EUlSU_E_NS1_11comp_targetILNS1_3genE0ELNS1_11target_archE4294967295ELNS1_3gpuE0ELNS1_3repE0EEENS1_30default_config_static_selectorELNS0_4arch9wavefront6targetE1EEEvT1_.kd
    .uniform_work_group_size: 1
    .uses_dynamic_stack: false
    .vgpr_count:     0
    .vgpr_spill_count: 0
    .wavefront_size: 64
  - .agpr_count:     0
    .args:
      - .offset:         0
        .size:           112
        .value_kind:     by_value
    .group_segment_fixed_size: 0
    .kernarg_segment_align: 8
    .kernarg_segment_size: 112
    .language:       OpenCL C
    .language_version:
      - 2
      - 0
    .max_flat_workgroup_size: 256
    .name:           _ZN7rocprim17ROCPRIM_400000_NS6detail17trampoline_kernelINS0_14default_configENS1_27scan_by_key_config_selectorIiiEEZZNS1_16scan_by_key_implILNS1_25lookback_scan_determinismE0ELb0ES3_N6thrust23THRUST_200600_302600_NS6detail15normal_iteratorINS9_10device_ptrIiEEEESE_SE_iNS9_4plusIvEENS9_8equal_toIiEEiEE10hipError_tPvRmT2_T3_T4_T5_mT6_T7_P12ihipStream_tbENKUlT_T0_E_clISt17integral_constantIbLb0EESZ_EEDaSU_SV_EUlSU_E_NS1_11comp_targetILNS1_3genE10ELNS1_11target_archE1201ELNS1_3gpuE5ELNS1_3repE0EEENS1_30default_config_static_selectorELNS0_4arch9wavefront6targetE1EEEvT1_
    .private_segment_fixed_size: 0
    .sgpr_count:     6
    .sgpr_spill_count: 0
    .symbol:         _ZN7rocprim17ROCPRIM_400000_NS6detail17trampoline_kernelINS0_14default_configENS1_27scan_by_key_config_selectorIiiEEZZNS1_16scan_by_key_implILNS1_25lookback_scan_determinismE0ELb0ES3_N6thrust23THRUST_200600_302600_NS6detail15normal_iteratorINS9_10device_ptrIiEEEESE_SE_iNS9_4plusIvEENS9_8equal_toIiEEiEE10hipError_tPvRmT2_T3_T4_T5_mT6_T7_P12ihipStream_tbENKUlT_T0_E_clISt17integral_constantIbLb0EESZ_EEDaSU_SV_EUlSU_E_NS1_11comp_targetILNS1_3genE10ELNS1_11target_archE1201ELNS1_3gpuE5ELNS1_3repE0EEENS1_30default_config_static_selectorELNS0_4arch9wavefront6targetE1EEEvT1_.kd
    .uniform_work_group_size: 1
    .uses_dynamic_stack: false
    .vgpr_count:     0
    .vgpr_spill_count: 0
    .wavefront_size: 64
  - .agpr_count:     0
    .args:
      - .offset:         0
        .size:           112
        .value_kind:     by_value
    .group_segment_fixed_size: 25600
    .kernarg_segment_align: 8
    .kernarg_segment_size: 112
    .language:       OpenCL C
    .language_version:
      - 2
      - 0
    .max_flat_workgroup_size: 256
    .name:           _ZN7rocprim17ROCPRIM_400000_NS6detail17trampoline_kernelINS0_14default_configENS1_27scan_by_key_config_selectorIiiEEZZNS1_16scan_by_key_implILNS1_25lookback_scan_determinismE0ELb0ES3_N6thrust23THRUST_200600_302600_NS6detail15normal_iteratorINS9_10device_ptrIiEEEESE_SE_iNS9_4plusIvEENS9_8equal_toIiEEiEE10hipError_tPvRmT2_T3_T4_T5_mT6_T7_P12ihipStream_tbENKUlT_T0_E_clISt17integral_constantIbLb0EESZ_EEDaSU_SV_EUlSU_E_NS1_11comp_targetILNS1_3genE5ELNS1_11target_archE942ELNS1_3gpuE9ELNS1_3repE0EEENS1_30default_config_static_selectorELNS0_4arch9wavefront6targetE1EEEvT1_
    .private_segment_fixed_size: 0
    .sgpr_count:     88
    .sgpr_spill_count: 0
    .symbol:         _ZN7rocprim17ROCPRIM_400000_NS6detail17trampoline_kernelINS0_14default_configENS1_27scan_by_key_config_selectorIiiEEZZNS1_16scan_by_key_implILNS1_25lookback_scan_determinismE0ELb0ES3_N6thrust23THRUST_200600_302600_NS6detail15normal_iteratorINS9_10device_ptrIiEEEESE_SE_iNS9_4plusIvEENS9_8equal_toIiEEiEE10hipError_tPvRmT2_T3_T4_T5_mT6_T7_P12ihipStream_tbENKUlT_T0_E_clISt17integral_constantIbLb0EESZ_EEDaSU_SV_EUlSU_E_NS1_11comp_targetILNS1_3genE5ELNS1_11target_archE942ELNS1_3gpuE9ELNS1_3repE0EEENS1_30default_config_static_selectorELNS0_4arch9wavefront6targetE1EEEvT1_.kd
    .uniform_work_group_size: 1
    .uses_dynamic_stack: false
    .vgpr_count:     81
    .vgpr_spill_count: 0
    .wavefront_size: 64
  - .agpr_count:     0
    .args:
      - .offset:         0
        .size:           112
        .value_kind:     by_value
    .group_segment_fixed_size: 0
    .kernarg_segment_align: 8
    .kernarg_segment_size: 112
    .language:       OpenCL C
    .language_version:
      - 2
      - 0
    .max_flat_workgroup_size: 256
    .name:           _ZN7rocprim17ROCPRIM_400000_NS6detail17trampoline_kernelINS0_14default_configENS1_27scan_by_key_config_selectorIiiEEZZNS1_16scan_by_key_implILNS1_25lookback_scan_determinismE0ELb0ES3_N6thrust23THRUST_200600_302600_NS6detail15normal_iteratorINS9_10device_ptrIiEEEESE_SE_iNS9_4plusIvEENS9_8equal_toIiEEiEE10hipError_tPvRmT2_T3_T4_T5_mT6_T7_P12ihipStream_tbENKUlT_T0_E_clISt17integral_constantIbLb0EESZ_EEDaSU_SV_EUlSU_E_NS1_11comp_targetILNS1_3genE4ELNS1_11target_archE910ELNS1_3gpuE8ELNS1_3repE0EEENS1_30default_config_static_selectorELNS0_4arch9wavefront6targetE1EEEvT1_
    .private_segment_fixed_size: 0
    .sgpr_count:     6
    .sgpr_spill_count: 0
    .symbol:         _ZN7rocprim17ROCPRIM_400000_NS6detail17trampoline_kernelINS0_14default_configENS1_27scan_by_key_config_selectorIiiEEZZNS1_16scan_by_key_implILNS1_25lookback_scan_determinismE0ELb0ES3_N6thrust23THRUST_200600_302600_NS6detail15normal_iteratorINS9_10device_ptrIiEEEESE_SE_iNS9_4plusIvEENS9_8equal_toIiEEiEE10hipError_tPvRmT2_T3_T4_T5_mT6_T7_P12ihipStream_tbENKUlT_T0_E_clISt17integral_constantIbLb0EESZ_EEDaSU_SV_EUlSU_E_NS1_11comp_targetILNS1_3genE4ELNS1_11target_archE910ELNS1_3gpuE8ELNS1_3repE0EEENS1_30default_config_static_selectorELNS0_4arch9wavefront6targetE1EEEvT1_.kd
    .uniform_work_group_size: 1
    .uses_dynamic_stack: false
    .vgpr_count:     0
    .vgpr_spill_count: 0
    .wavefront_size: 64
  - .agpr_count:     0
    .args:
      - .offset:         0
        .size:           112
        .value_kind:     by_value
    .group_segment_fixed_size: 0
    .kernarg_segment_align: 8
    .kernarg_segment_size: 112
    .language:       OpenCL C
    .language_version:
      - 2
      - 0
    .max_flat_workgroup_size: 256
    .name:           _ZN7rocprim17ROCPRIM_400000_NS6detail17trampoline_kernelINS0_14default_configENS1_27scan_by_key_config_selectorIiiEEZZNS1_16scan_by_key_implILNS1_25lookback_scan_determinismE0ELb0ES3_N6thrust23THRUST_200600_302600_NS6detail15normal_iteratorINS9_10device_ptrIiEEEESE_SE_iNS9_4plusIvEENS9_8equal_toIiEEiEE10hipError_tPvRmT2_T3_T4_T5_mT6_T7_P12ihipStream_tbENKUlT_T0_E_clISt17integral_constantIbLb0EESZ_EEDaSU_SV_EUlSU_E_NS1_11comp_targetILNS1_3genE3ELNS1_11target_archE908ELNS1_3gpuE7ELNS1_3repE0EEENS1_30default_config_static_selectorELNS0_4arch9wavefront6targetE1EEEvT1_
    .private_segment_fixed_size: 0
    .sgpr_count:     6
    .sgpr_spill_count: 0
    .symbol:         _ZN7rocprim17ROCPRIM_400000_NS6detail17trampoline_kernelINS0_14default_configENS1_27scan_by_key_config_selectorIiiEEZZNS1_16scan_by_key_implILNS1_25lookback_scan_determinismE0ELb0ES3_N6thrust23THRUST_200600_302600_NS6detail15normal_iteratorINS9_10device_ptrIiEEEESE_SE_iNS9_4plusIvEENS9_8equal_toIiEEiEE10hipError_tPvRmT2_T3_T4_T5_mT6_T7_P12ihipStream_tbENKUlT_T0_E_clISt17integral_constantIbLb0EESZ_EEDaSU_SV_EUlSU_E_NS1_11comp_targetILNS1_3genE3ELNS1_11target_archE908ELNS1_3gpuE7ELNS1_3repE0EEENS1_30default_config_static_selectorELNS0_4arch9wavefront6targetE1EEEvT1_.kd
    .uniform_work_group_size: 1
    .uses_dynamic_stack: false
    .vgpr_count:     0
    .vgpr_spill_count: 0
    .wavefront_size: 64
  - .agpr_count:     0
    .args:
      - .offset:         0
        .size:           112
        .value_kind:     by_value
    .group_segment_fixed_size: 0
    .kernarg_segment_align: 8
    .kernarg_segment_size: 112
    .language:       OpenCL C
    .language_version:
      - 2
      - 0
    .max_flat_workgroup_size: 256
    .name:           _ZN7rocprim17ROCPRIM_400000_NS6detail17trampoline_kernelINS0_14default_configENS1_27scan_by_key_config_selectorIiiEEZZNS1_16scan_by_key_implILNS1_25lookback_scan_determinismE0ELb0ES3_N6thrust23THRUST_200600_302600_NS6detail15normal_iteratorINS9_10device_ptrIiEEEESE_SE_iNS9_4plusIvEENS9_8equal_toIiEEiEE10hipError_tPvRmT2_T3_T4_T5_mT6_T7_P12ihipStream_tbENKUlT_T0_E_clISt17integral_constantIbLb0EESZ_EEDaSU_SV_EUlSU_E_NS1_11comp_targetILNS1_3genE2ELNS1_11target_archE906ELNS1_3gpuE6ELNS1_3repE0EEENS1_30default_config_static_selectorELNS0_4arch9wavefront6targetE1EEEvT1_
    .private_segment_fixed_size: 0
    .sgpr_count:     6
    .sgpr_spill_count: 0
    .symbol:         _ZN7rocprim17ROCPRIM_400000_NS6detail17trampoline_kernelINS0_14default_configENS1_27scan_by_key_config_selectorIiiEEZZNS1_16scan_by_key_implILNS1_25lookback_scan_determinismE0ELb0ES3_N6thrust23THRUST_200600_302600_NS6detail15normal_iteratorINS9_10device_ptrIiEEEESE_SE_iNS9_4plusIvEENS9_8equal_toIiEEiEE10hipError_tPvRmT2_T3_T4_T5_mT6_T7_P12ihipStream_tbENKUlT_T0_E_clISt17integral_constantIbLb0EESZ_EEDaSU_SV_EUlSU_E_NS1_11comp_targetILNS1_3genE2ELNS1_11target_archE906ELNS1_3gpuE6ELNS1_3repE0EEENS1_30default_config_static_selectorELNS0_4arch9wavefront6targetE1EEEvT1_.kd
    .uniform_work_group_size: 1
    .uses_dynamic_stack: false
    .vgpr_count:     0
    .vgpr_spill_count: 0
    .wavefront_size: 64
  - .agpr_count:     0
    .args:
      - .offset:         0
        .size:           112
        .value_kind:     by_value
    .group_segment_fixed_size: 0
    .kernarg_segment_align: 8
    .kernarg_segment_size: 112
    .language:       OpenCL C
    .language_version:
      - 2
      - 0
    .max_flat_workgroup_size: 256
    .name:           _ZN7rocprim17ROCPRIM_400000_NS6detail17trampoline_kernelINS0_14default_configENS1_27scan_by_key_config_selectorIiiEEZZNS1_16scan_by_key_implILNS1_25lookback_scan_determinismE0ELb0ES3_N6thrust23THRUST_200600_302600_NS6detail15normal_iteratorINS9_10device_ptrIiEEEESE_SE_iNS9_4plusIvEENS9_8equal_toIiEEiEE10hipError_tPvRmT2_T3_T4_T5_mT6_T7_P12ihipStream_tbENKUlT_T0_E_clISt17integral_constantIbLb0EESZ_EEDaSU_SV_EUlSU_E_NS1_11comp_targetILNS1_3genE10ELNS1_11target_archE1200ELNS1_3gpuE4ELNS1_3repE0EEENS1_30default_config_static_selectorELNS0_4arch9wavefront6targetE1EEEvT1_
    .private_segment_fixed_size: 0
    .sgpr_count:     6
    .sgpr_spill_count: 0
    .symbol:         _ZN7rocprim17ROCPRIM_400000_NS6detail17trampoline_kernelINS0_14default_configENS1_27scan_by_key_config_selectorIiiEEZZNS1_16scan_by_key_implILNS1_25lookback_scan_determinismE0ELb0ES3_N6thrust23THRUST_200600_302600_NS6detail15normal_iteratorINS9_10device_ptrIiEEEESE_SE_iNS9_4plusIvEENS9_8equal_toIiEEiEE10hipError_tPvRmT2_T3_T4_T5_mT6_T7_P12ihipStream_tbENKUlT_T0_E_clISt17integral_constantIbLb0EESZ_EEDaSU_SV_EUlSU_E_NS1_11comp_targetILNS1_3genE10ELNS1_11target_archE1200ELNS1_3gpuE4ELNS1_3repE0EEENS1_30default_config_static_selectorELNS0_4arch9wavefront6targetE1EEEvT1_.kd
    .uniform_work_group_size: 1
    .uses_dynamic_stack: false
    .vgpr_count:     0
    .vgpr_spill_count: 0
    .wavefront_size: 64
  - .agpr_count:     0
    .args:
      - .offset:         0
        .size:           112
        .value_kind:     by_value
    .group_segment_fixed_size: 0
    .kernarg_segment_align: 8
    .kernarg_segment_size: 112
    .language:       OpenCL C
    .language_version:
      - 2
      - 0
    .max_flat_workgroup_size: 256
    .name:           _ZN7rocprim17ROCPRIM_400000_NS6detail17trampoline_kernelINS0_14default_configENS1_27scan_by_key_config_selectorIiiEEZZNS1_16scan_by_key_implILNS1_25lookback_scan_determinismE0ELb0ES3_N6thrust23THRUST_200600_302600_NS6detail15normal_iteratorINS9_10device_ptrIiEEEESE_SE_iNS9_4plusIvEENS9_8equal_toIiEEiEE10hipError_tPvRmT2_T3_T4_T5_mT6_T7_P12ihipStream_tbENKUlT_T0_E_clISt17integral_constantIbLb0EESZ_EEDaSU_SV_EUlSU_E_NS1_11comp_targetILNS1_3genE9ELNS1_11target_archE1100ELNS1_3gpuE3ELNS1_3repE0EEENS1_30default_config_static_selectorELNS0_4arch9wavefront6targetE1EEEvT1_
    .private_segment_fixed_size: 0
    .sgpr_count:     6
    .sgpr_spill_count: 0
    .symbol:         _ZN7rocprim17ROCPRIM_400000_NS6detail17trampoline_kernelINS0_14default_configENS1_27scan_by_key_config_selectorIiiEEZZNS1_16scan_by_key_implILNS1_25lookback_scan_determinismE0ELb0ES3_N6thrust23THRUST_200600_302600_NS6detail15normal_iteratorINS9_10device_ptrIiEEEESE_SE_iNS9_4plusIvEENS9_8equal_toIiEEiEE10hipError_tPvRmT2_T3_T4_T5_mT6_T7_P12ihipStream_tbENKUlT_T0_E_clISt17integral_constantIbLb0EESZ_EEDaSU_SV_EUlSU_E_NS1_11comp_targetILNS1_3genE9ELNS1_11target_archE1100ELNS1_3gpuE3ELNS1_3repE0EEENS1_30default_config_static_selectorELNS0_4arch9wavefront6targetE1EEEvT1_.kd
    .uniform_work_group_size: 1
    .uses_dynamic_stack: false
    .vgpr_count:     0
    .vgpr_spill_count: 0
    .wavefront_size: 64
  - .agpr_count:     0
    .args:
      - .offset:         0
        .size:           112
        .value_kind:     by_value
    .group_segment_fixed_size: 0
    .kernarg_segment_align: 8
    .kernarg_segment_size: 112
    .language:       OpenCL C
    .language_version:
      - 2
      - 0
    .max_flat_workgroup_size: 256
    .name:           _ZN7rocprim17ROCPRIM_400000_NS6detail17trampoline_kernelINS0_14default_configENS1_27scan_by_key_config_selectorIiiEEZZNS1_16scan_by_key_implILNS1_25lookback_scan_determinismE0ELb0ES3_N6thrust23THRUST_200600_302600_NS6detail15normal_iteratorINS9_10device_ptrIiEEEESE_SE_iNS9_4plusIvEENS9_8equal_toIiEEiEE10hipError_tPvRmT2_T3_T4_T5_mT6_T7_P12ihipStream_tbENKUlT_T0_E_clISt17integral_constantIbLb0EESZ_EEDaSU_SV_EUlSU_E_NS1_11comp_targetILNS1_3genE8ELNS1_11target_archE1030ELNS1_3gpuE2ELNS1_3repE0EEENS1_30default_config_static_selectorELNS0_4arch9wavefront6targetE1EEEvT1_
    .private_segment_fixed_size: 0
    .sgpr_count:     6
    .sgpr_spill_count: 0
    .symbol:         _ZN7rocprim17ROCPRIM_400000_NS6detail17trampoline_kernelINS0_14default_configENS1_27scan_by_key_config_selectorIiiEEZZNS1_16scan_by_key_implILNS1_25lookback_scan_determinismE0ELb0ES3_N6thrust23THRUST_200600_302600_NS6detail15normal_iteratorINS9_10device_ptrIiEEEESE_SE_iNS9_4plusIvEENS9_8equal_toIiEEiEE10hipError_tPvRmT2_T3_T4_T5_mT6_T7_P12ihipStream_tbENKUlT_T0_E_clISt17integral_constantIbLb0EESZ_EEDaSU_SV_EUlSU_E_NS1_11comp_targetILNS1_3genE8ELNS1_11target_archE1030ELNS1_3gpuE2ELNS1_3repE0EEENS1_30default_config_static_selectorELNS0_4arch9wavefront6targetE1EEEvT1_.kd
    .uniform_work_group_size: 1
    .uses_dynamic_stack: false
    .vgpr_count:     0
    .vgpr_spill_count: 0
    .wavefront_size: 64
  - .agpr_count:     0
    .args:
      - .offset:         0
        .size:           112
        .value_kind:     by_value
    .group_segment_fixed_size: 0
    .kernarg_segment_align: 8
    .kernarg_segment_size: 112
    .language:       OpenCL C
    .language_version:
      - 2
      - 0
    .max_flat_workgroup_size: 256
    .name:           _ZN7rocprim17ROCPRIM_400000_NS6detail17trampoline_kernelINS0_14default_configENS1_27scan_by_key_config_selectorIiiEEZZNS1_16scan_by_key_implILNS1_25lookback_scan_determinismE0ELb0ES3_N6thrust23THRUST_200600_302600_NS6detail15normal_iteratorINS9_10device_ptrIiEEEESE_SE_iNS9_4plusIvEENS9_8equal_toIiEEiEE10hipError_tPvRmT2_T3_T4_T5_mT6_T7_P12ihipStream_tbENKUlT_T0_E_clISt17integral_constantIbLb1EESZ_EEDaSU_SV_EUlSU_E_NS1_11comp_targetILNS1_3genE0ELNS1_11target_archE4294967295ELNS1_3gpuE0ELNS1_3repE0EEENS1_30default_config_static_selectorELNS0_4arch9wavefront6targetE1EEEvT1_
    .private_segment_fixed_size: 0
    .sgpr_count:     6
    .sgpr_spill_count: 0
    .symbol:         _ZN7rocprim17ROCPRIM_400000_NS6detail17trampoline_kernelINS0_14default_configENS1_27scan_by_key_config_selectorIiiEEZZNS1_16scan_by_key_implILNS1_25lookback_scan_determinismE0ELb0ES3_N6thrust23THRUST_200600_302600_NS6detail15normal_iteratorINS9_10device_ptrIiEEEESE_SE_iNS9_4plusIvEENS9_8equal_toIiEEiEE10hipError_tPvRmT2_T3_T4_T5_mT6_T7_P12ihipStream_tbENKUlT_T0_E_clISt17integral_constantIbLb1EESZ_EEDaSU_SV_EUlSU_E_NS1_11comp_targetILNS1_3genE0ELNS1_11target_archE4294967295ELNS1_3gpuE0ELNS1_3repE0EEENS1_30default_config_static_selectorELNS0_4arch9wavefront6targetE1EEEvT1_.kd
    .uniform_work_group_size: 1
    .uses_dynamic_stack: false
    .vgpr_count:     0
    .vgpr_spill_count: 0
    .wavefront_size: 64
  - .agpr_count:     0
    .args:
      - .offset:         0
        .size:           112
        .value_kind:     by_value
    .group_segment_fixed_size: 0
    .kernarg_segment_align: 8
    .kernarg_segment_size: 112
    .language:       OpenCL C
    .language_version:
      - 2
      - 0
    .max_flat_workgroup_size: 256
    .name:           _ZN7rocprim17ROCPRIM_400000_NS6detail17trampoline_kernelINS0_14default_configENS1_27scan_by_key_config_selectorIiiEEZZNS1_16scan_by_key_implILNS1_25lookback_scan_determinismE0ELb0ES3_N6thrust23THRUST_200600_302600_NS6detail15normal_iteratorINS9_10device_ptrIiEEEESE_SE_iNS9_4plusIvEENS9_8equal_toIiEEiEE10hipError_tPvRmT2_T3_T4_T5_mT6_T7_P12ihipStream_tbENKUlT_T0_E_clISt17integral_constantIbLb1EESZ_EEDaSU_SV_EUlSU_E_NS1_11comp_targetILNS1_3genE10ELNS1_11target_archE1201ELNS1_3gpuE5ELNS1_3repE0EEENS1_30default_config_static_selectorELNS0_4arch9wavefront6targetE1EEEvT1_
    .private_segment_fixed_size: 0
    .sgpr_count:     6
    .sgpr_spill_count: 0
    .symbol:         _ZN7rocprim17ROCPRIM_400000_NS6detail17trampoline_kernelINS0_14default_configENS1_27scan_by_key_config_selectorIiiEEZZNS1_16scan_by_key_implILNS1_25lookback_scan_determinismE0ELb0ES3_N6thrust23THRUST_200600_302600_NS6detail15normal_iteratorINS9_10device_ptrIiEEEESE_SE_iNS9_4plusIvEENS9_8equal_toIiEEiEE10hipError_tPvRmT2_T3_T4_T5_mT6_T7_P12ihipStream_tbENKUlT_T0_E_clISt17integral_constantIbLb1EESZ_EEDaSU_SV_EUlSU_E_NS1_11comp_targetILNS1_3genE10ELNS1_11target_archE1201ELNS1_3gpuE5ELNS1_3repE0EEENS1_30default_config_static_selectorELNS0_4arch9wavefront6targetE1EEEvT1_.kd
    .uniform_work_group_size: 1
    .uses_dynamic_stack: false
    .vgpr_count:     0
    .vgpr_spill_count: 0
    .wavefront_size: 64
  - .agpr_count:     0
    .args:
      - .offset:         0
        .size:           112
        .value_kind:     by_value
    .group_segment_fixed_size: 25600
    .kernarg_segment_align: 8
    .kernarg_segment_size: 112
    .language:       OpenCL C
    .language_version:
      - 2
      - 0
    .max_flat_workgroup_size: 256
    .name:           _ZN7rocprim17ROCPRIM_400000_NS6detail17trampoline_kernelINS0_14default_configENS1_27scan_by_key_config_selectorIiiEEZZNS1_16scan_by_key_implILNS1_25lookback_scan_determinismE0ELb0ES3_N6thrust23THRUST_200600_302600_NS6detail15normal_iteratorINS9_10device_ptrIiEEEESE_SE_iNS9_4plusIvEENS9_8equal_toIiEEiEE10hipError_tPvRmT2_T3_T4_T5_mT6_T7_P12ihipStream_tbENKUlT_T0_E_clISt17integral_constantIbLb1EESZ_EEDaSU_SV_EUlSU_E_NS1_11comp_targetILNS1_3genE5ELNS1_11target_archE942ELNS1_3gpuE9ELNS1_3repE0EEENS1_30default_config_static_selectorELNS0_4arch9wavefront6targetE1EEEvT1_
    .private_segment_fixed_size: 0
    .sgpr_count:     91
    .sgpr_spill_count: 0
    .symbol:         _ZN7rocprim17ROCPRIM_400000_NS6detail17trampoline_kernelINS0_14default_configENS1_27scan_by_key_config_selectorIiiEEZZNS1_16scan_by_key_implILNS1_25lookback_scan_determinismE0ELb0ES3_N6thrust23THRUST_200600_302600_NS6detail15normal_iteratorINS9_10device_ptrIiEEEESE_SE_iNS9_4plusIvEENS9_8equal_toIiEEiEE10hipError_tPvRmT2_T3_T4_T5_mT6_T7_P12ihipStream_tbENKUlT_T0_E_clISt17integral_constantIbLb1EESZ_EEDaSU_SV_EUlSU_E_NS1_11comp_targetILNS1_3genE5ELNS1_11target_archE942ELNS1_3gpuE9ELNS1_3repE0EEENS1_30default_config_static_selectorELNS0_4arch9wavefront6targetE1EEEvT1_.kd
    .uniform_work_group_size: 1
    .uses_dynamic_stack: false
    .vgpr_count:     81
    .vgpr_spill_count: 0
    .wavefront_size: 64
  - .agpr_count:     0
    .args:
      - .offset:         0
        .size:           112
        .value_kind:     by_value
    .group_segment_fixed_size: 0
    .kernarg_segment_align: 8
    .kernarg_segment_size: 112
    .language:       OpenCL C
    .language_version:
      - 2
      - 0
    .max_flat_workgroup_size: 256
    .name:           _ZN7rocprim17ROCPRIM_400000_NS6detail17trampoline_kernelINS0_14default_configENS1_27scan_by_key_config_selectorIiiEEZZNS1_16scan_by_key_implILNS1_25lookback_scan_determinismE0ELb0ES3_N6thrust23THRUST_200600_302600_NS6detail15normal_iteratorINS9_10device_ptrIiEEEESE_SE_iNS9_4plusIvEENS9_8equal_toIiEEiEE10hipError_tPvRmT2_T3_T4_T5_mT6_T7_P12ihipStream_tbENKUlT_T0_E_clISt17integral_constantIbLb1EESZ_EEDaSU_SV_EUlSU_E_NS1_11comp_targetILNS1_3genE4ELNS1_11target_archE910ELNS1_3gpuE8ELNS1_3repE0EEENS1_30default_config_static_selectorELNS0_4arch9wavefront6targetE1EEEvT1_
    .private_segment_fixed_size: 0
    .sgpr_count:     6
    .sgpr_spill_count: 0
    .symbol:         _ZN7rocprim17ROCPRIM_400000_NS6detail17trampoline_kernelINS0_14default_configENS1_27scan_by_key_config_selectorIiiEEZZNS1_16scan_by_key_implILNS1_25lookback_scan_determinismE0ELb0ES3_N6thrust23THRUST_200600_302600_NS6detail15normal_iteratorINS9_10device_ptrIiEEEESE_SE_iNS9_4plusIvEENS9_8equal_toIiEEiEE10hipError_tPvRmT2_T3_T4_T5_mT6_T7_P12ihipStream_tbENKUlT_T0_E_clISt17integral_constantIbLb1EESZ_EEDaSU_SV_EUlSU_E_NS1_11comp_targetILNS1_3genE4ELNS1_11target_archE910ELNS1_3gpuE8ELNS1_3repE0EEENS1_30default_config_static_selectorELNS0_4arch9wavefront6targetE1EEEvT1_.kd
    .uniform_work_group_size: 1
    .uses_dynamic_stack: false
    .vgpr_count:     0
    .vgpr_spill_count: 0
    .wavefront_size: 64
  - .agpr_count:     0
    .args:
      - .offset:         0
        .size:           112
        .value_kind:     by_value
    .group_segment_fixed_size: 0
    .kernarg_segment_align: 8
    .kernarg_segment_size: 112
    .language:       OpenCL C
    .language_version:
      - 2
      - 0
    .max_flat_workgroup_size: 256
    .name:           _ZN7rocprim17ROCPRIM_400000_NS6detail17trampoline_kernelINS0_14default_configENS1_27scan_by_key_config_selectorIiiEEZZNS1_16scan_by_key_implILNS1_25lookback_scan_determinismE0ELb0ES3_N6thrust23THRUST_200600_302600_NS6detail15normal_iteratorINS9_10device_ptrIiEEEESE_SE_iNS9_4plusIvEENS9_8equal_toIiEEiEE10hipError_tPvRmT2_T3_T4_T5_mT6_T7_P12ihipStream_tbENKUlT_T0_E_clISt17integral_constantIbLb1EESZ_EEDaSU_SV_EUlSU_E_NS1_11comp_targetILNS1_3genE3ELNS1_11target_archE908ELNS1_3gpuE7ELNS1_3repE0EEENS1_30default_config_static_selectorELNS0_4arch9wavefront6targetE1EEEvT1_
    .private_segment_fixed_size: 0
    .sgpr_count:     6
    .sgpr_spill_count: 0
    .symbol:         _ZN7rocprim17ROCPRIM_400000_NS6detail17trampoline_kernelINS0_14default_configENS1_27scan_by_key_config_selectorIiiEEZZNS1_16scan_by_key_implILNS1_25lookback_scan_determinismE0ELb0ES3_N6thrust23THRUST_200600_302600_NS6detail15normal_iteratorINS9_10device_ptrIiEEEESE_SE_iNS9_4plusIvEENS9_8equal_toIiEEiEE10hipError_tPvRmT2_T3_T4_T5_mT6_T7_P12ihipStream_tbENKUlT_T0_E_clISt17integral_constantIbLb1EESZ_EEDaSU_SV_EUlSU_E_NS1_11comp_targetILNS1_3genE3ELNS1_11target_archE908ELNS1_3gpuE7ELNS1_3repE0EEENS1_30default_config_static_selectorELNS0_4arch9wavefront6targetE1EEEvT1_.kd
    .uniform_work_group_size: 1
    .uses_dynamic_stack: false
    .vgpr_count:     0
    .vgpr_spill_count: 0
    .wavefront_size: 64
  - .agpr_count:     0
    .args:
      - .offset:         0
        .size:           112
        .value_kind:     by_value
    .group_segment_fixed_size: 0
    .kernarg_segment_align: 8
    .kernarg_segment_size: 112
    .language:       OpenCL C
    .language_version:
      - 2
      - 0
    .max_flat_workgroup_size: 256
    .name:           _ZN7rocprim17ROCPRIM_400000_NS6detail17trampoline_kernelINS0_14default_configENS1_27scan_by_key_config_selectorIiiEEZZNS1_16scan_by_key_implILNS1_25lookback_scan_determinismE0ELb0ES3_N6thrust23THRUST_200600_302600_NS6detail15normal_iteratorINS9_10device_ptrIiEEEESE_SE_iNS9_4plusIvEENS9_8equal_toIiEEiEE10hipError_tPvRmT2_T3_T4_T5_mT6_T7_P12ihipStream_tbENKUlT_T0_E_clISt17integral_constantIbLb1EESZ_EEDaSU_SV_EUlSU_E_NS1_11comp_targetILNS1_3genE2ELNS1_11target_archE906ELNS1_3gpuE6ELNS1_3repE0EEENS1_30default_config_static_selectorELNS0_4arch9wavefront6targetE1EEEvT1_
    .private_segment_fixed_size: 0
    .sgpr_count:     6
    .sgpr_spill_count: 0
    .symbol:         _ZN7rocprim17ROCPRIM_400000_NS6detail17trampoline_kernelINS0_14default_configENS1_27scan_by_key_config_selectorIiiEEZZNS1_16scan_by_key_implILNS1_25lookback_scan_determinismE0ELb0ES3_N6thrust23THRUST_200600_302600_NS6detail15normal_iteratorINS9_10device_ptrIiEEEESE_SE_iNS9_4plusIvEENS9_8equal_toIiEEiEE10hipError_tPvRmT2_T3_T4_T5_mT6_T7_P12ihipStream_tbENKUlT_T0_E_clISt17integral_constantIbLb1EESZ_EEDaSU_SV_EUlSU_E_NS1_11comp_targetILNS1_3genE2ELNS1_11target_archE906ELNS1_3gpuE6ELNS1_3repE0EEENS1_30default_config_static_selectorELNS0_4arch9wavefront6targetE1EEEvT1_.kd
    .uniform_work_group_size: 1
    .uses_dynamic_stack: false
    .vgpr_count:     0
    .vgpr_spill_count: 0
    .wavefront_size: 64
  - .agpr_count:     0
    .args:
      - .offset:         0
        .size:           112
        .value_kind:     by_value
    .group_segment_fixed_size: 0
    .kernarg_segment_align: 8
    .kernarg_segment_size: 112
    .language:       OpenCL C
    .language_version:
      - 2
      - 0
    .max_flat_workgroup_size: 256
    .name:           _ZN7rocprim17ROCPRIM_400000_NS6detail17trampoline_kernelINS0_14default_configENS1_27scan_by_key_config_selectorIiiEEZZNS1_16scan_by_key_implILNS1_25lookback_scan_determinismE0ELb0ES3_N6thrust23THRUST_200600_302600_NS6detail15normal_iteratorINS9_10device_ptrIiEEEESE_SE_iNS9_4plusIvEENS9_8equal_toIiEEiEE10hipError_tPvRmT2_T3_T4_T5_mT6_T7_P12ihipStream_tbENKUlT_T0_E_clISt17integral_constantIbLb1EESZ_EEDaSU_SV_EUlSU_E_NS1_11comp_targetILNS1_3genE10ELNS1_11target_archE1200ELNS1_3gpuE4ELNS1_3repE0EEENS1_30default_config_static_selectorELNS0_4arch9wavefront6targetE1EEEvT1_
    .private_segment_fixed_size: 0
    .sgpr_count:     6
    .sgpr_spill_count: 0
    .symbol:         _ZN7rocprim17ROCPRIM_400000_NS6detail17trampoline_kernelINS0_14default_configENS1_27scan_by_key_config_selectorIiiEEZZNS1_16scan_by_key_implILNS1_25lookback_scan_determinismE0ELb0ES3_N6thrust23THRUST_200600_302600_NS6detail15normal_iteratorINS9_10device_ptrIiEEEESE_SE_iNS9_4plusIvEENS9_8equal_toIiEEiEE10hipError_tPvRmT2_T3_T4_T5_mT6_T7_P12ihipStream_tbENKUlT_T0_E_clISt17integral_constantIbLb1EESZ_EEDaSU_SV_EUlSU_E_NS1_11comp_targetILNS1_3genE10ELNS1_11target_archE1200ELNS1_3gpuE4ELNS1_3repE0EEENS1_30default_config_static_selectorELNS0_4arch9wavefront6targetE1EEEvT1_.kd
    .uniform_work_group_size: 1
    .uses_dynamic_stack: false
    .vgpr_count:     0
    .vgpr_spill_count: 0
    .wavefront_size: 64
  - .agpr_count:     0
    .args:
      - .offset:         0
        .size:           112
        .value_kind:     by_value
    .group_segment_fixed_size: 0
    .kernarg_segment_align: 8
    .kernarg_segment_size: 112
    .language:       OpenCL C
    .language_version:
      - 2
      - 0
    .max_flat_workgroup_size: 256
    .name:           _ZN7rocprim17ROCPRIM_400000_NS6detail17trampoline_kernelINS0_14default_configENS1_27scan_by_key_config_selectorIiiEEZZNS1_16scan_by_key_implILNS1_25lookback_scan_determinismE0ELb0ES3_N6thrust23THRUST_200600_302600_NS6detail15normal_iteratorINS9_10device_ptrIiEEEESE_SE_iNS9_4plusIvEENS9_8equal_toIiEEiEE10hipError_tPvRmT2_T3_T4_T5_mT6_T7_P12ihipStream_tbENKUlT_T0_E_clISt17integral_constantIbLb1EESZ_EEDaSU_SV_EUlSU_E_NS1_11comp_targetILNS1_3genE9ELNS1_11target_archE1100ELNS1_3gpuE3ELNS1_3repE0EEENS1_30default_config_static_selectorELNS0_4arch9wavefront6targetE1EEEvT1_
    .private_segment_fixed_size: 0
    .sgpr_count:     6
    .sgpr_spill_count: 0
    .symbol:         _ZN7rocprim17ROCPRIM_400000_NS6detail17trampoline_kernelINS0_14default_configENS1_27scan_by_key_config_selectorIiiEEZZNS1_16scan_by_key_implILNS1_25lookback_scan_determinismE0ELb0ES3_N6thrust23THRUST_200600_302600_NS6detail15normal_iteratorINS9_10device_ptrIiEEEESE_SE_iNS9_4plusIvEENS9_8equal_toIiEEiEE10hipError_tPvRmT2_T3_T4_T5_mT6_T7_P12ihipStream_tbENKUlT_T0_E_clISt17integral_constantIbLb1EESZ_EEDaSU_SV_EUlSU_E_NS1_11comp_targetILNS1_3genE9ELNS1_11target_archE1100ELNS1_3gpuE3ELNS1_3repE0EEENS1_30default_config_static_selectorELNS0_4arch9wavefront6targetE1EEEvT1_.kd
    .uniform_work_group_size: 1
    .uses_dynamic_stack: false
    .vgpr_count:     0
    .vgpr_spill_count: 0
    .wavefront_size: 64
  - .agpr_count:     0
    .args:
      - .offset:         0
        .size:           112
        .value_kind:     by_value
    .group_segment_fixed_size: 0
    .kernarg_segment_align: 8
    .kernarg_segment_size: 112
    .language:       OpenCL C
    .language_version:
      - 2
      - 0
    .max_flat_workgroup_size: 256
    .name:           _ZN7rocprim17ROCPRIM_400000_NS6detail17trampoline_kernelINS0_14default_configENS1_27scan_by_key_config_selectorIiiEEZZNS1_16scan_by_key_implILNS1_25lookback_scan_determinismE0ELb0ES3_N6thrust23THRUST_200600_302600_NS6detail15normal_iteratorINS9_10device_ptrIiEEEESE_SE_iNS9_4plusIvEENS9_8equal_toIiEEiEE10hipError_tPvRmT2_T3_T4_T5_mT6_T7_P12ihipStream_tbENKUlT_T0_E_clISt17integral_constantIbLb1EESZ_EEDaSU_SV_EUlSU_E_NS1_11comp_targetILNS1_3genE8ELNS1_11target_archE1030ELNS1_3gpuE2ELNS1_3repE0EEENS1_30default_config_static_selectorELNS0_4arch9wavefront6targetE1EEEvT1_
    .private_segment_fixed_size: 0
    .sgpr_count:     6
    .sgpr_spill_count: 0
    .symbol:         _ZN7rocprim17ROCPRIM_400000_NS6detail17trampoline_kernelINS0_14default_configENS1_27scan_by_key_config_selectorIiiEEZZNS1_16scan_by_key_implILNS1_25lookback_scan_determinismE0ELb0ES3_N6thrust23THRUST_200600_302600_NS6detail15normal_iteratorINS9_10device_ptrIiEEEESE_SE_iNS9_4plusIvEENS9_8equal_toIiEEiEE10hipError_tPvRmT2_T3_T4_T5_mT6_T7_P12ihipStream_tbENKUlT_T0_E_clISt17integral_constantIbLb1EESZ_EEDaSU_SV_EUlSU_E_NS1_11comp_targetILNS1_3genE8ELNS1_11target_archE1030ELNS1_3gpuE2ELNS1_3repE0EEENS1_30default_config_static_selectorELNS0_4arch9wavefront6targetE1EEEvT1_.kd
    .uniform_work_group_size: 1
    .uses_dynamic_stack: false
    .vgpr_count:     0
    .vgpr_spill_count: 0
    .wavefront_size: 64
  - .agpr_count:     0
    .args:
      - .offset:         0
        .size:           112
        .value_kind:     by_value
    .group_segment_fixed_size: 0
    .kernarg_segment_align: 8
    .kernarg_segment_size: 112
    .language:       OpenCL C
    .language_version:
      - 2
      - 0
    .max_flat_workgroup_size: 256
    .name:           _ZN7rocprim17ROCPRIM_400000_NS6detail17trampoline_kernelINS0_14default_configENS1_27scan_by_key_config_selectorIiiEEZZNS1_16scan_by_key_implILNS1_25lookback_scan_determinismE0ELb0ES3_N6thrust23THRUST_200600_302600_NS6detail15normal_iteratorINS9_10device_ptrIiEEEESE_SE_iNS9_4plusIvEENS9_8equal_toIiEEiEE10hipError_tPvRmT2_T3_T4_T5_mT6_T7_P12ihipStream_tbENKUlT_T0_E_clISt17integral_constantIbLb1EESY_IbLb0EEEEDaSU_SV_EUlSU_E_NS1_11comp_targetILNS1_3genE0ELNS1_11target_archE4294967295ELNS1_3gpuE0ELNS1_3repE0EEENS1_30default_config_static_selectorELNS0_4arch9wavefront6targetE1EEEvT1_
    .private_segment_fixed_size: 0
    .sgpr_count:     6
    .sgpr_spill_count: 0
    .symbol:         _ZN7rocprim17ROCPRIM_400000_NS6detail17trampoline_kernelINS0_14default_configENS1_27scan_by_key_config_selectorIiiEEZZNS1_16scan_by_key_implILNS1_25lookback_scan_determinismE0ELb0ES3_N6thrust23THRUST_200600_302600_NS6detail15normal_iteratorINS9_10device_ptrIiEEEESE_SE_iNS9_4plusIvEENS9_8equal_toIiEEiEE10hipError_tPvRmT2_T3_T4_T5_mT6_T7_P12ihipStream_tbENKUlT_T0_E_clISt17integral_constantIbLb1EESY_IbLb0EEEEDaSU_SV_EUlSU_E_NS1_11comp_targetILNS1_3genE0ELNS1_11target_archE4294967295ELNS1_3gpuE0ELNS1_3repE0EEENS1_30default_config_static_selectorELNS0_4arch9wavefront6targetE1EEEvT1_.kd
    .uniform_work_group_size: 1
    .uses_dynamic_stack: false
    .vgpr_count:     0
    .vgpr_spill_count: 0
    .wavefront_size: 64
  - .agpr_count:     0
    .args:
      - .offset:         0
        .size:           112
        .value_kind:     by_value
    .group_segment_fixed_size: 0
    .kernarg_segment_align: 8
    .kernarg_segment_size: 112
    .language:       OpenCL C
    .language_version:
      - 2
      - 0
    .max_flat_workgroup_size: 256
    .name:           _ZN7rocprim17ROCPRIM_400000_NS6detail17trampoline_kernelINS0_14default_configENS1_27scan_by_key_config_selectorIiiEEZZNS1_16scan_by_key_implILNS1_25lookback_scan_determinismE0ELb0ES3_N6thrust23THRUST_200600_302600_NS6detail15normal_iteratorINS9_10device_ptrIiEEEESE_SE_iNS9_4plusIvEENS9_8equal_toIiEEiEE10hipError_tPvRmT2_T3_T4_T5_mT6_T7_P12ihipStream_tbENKUlT_T0_E_clISt17integral_constantIbLb1EESY_IbLb0EEEEDaSU_SV_EUlSU_E_NS1_11comp_targetILNS1_3genE10ELNS1_11target_archE1201ELNS1_3gpuE5ELNS1_3repE0EEENS1_30default_config_static_selectorELNS0_4arch9wavefront6targetE1EEEvT1_
    .private_segment_fixed_size: 0
    .sgpr_count:     6
    .sgpr_spill_count: 0
    .symbol:         _ZN7rocprim17ROCPRIM_400000_NS6detail17trampoline_kernelINS0_14default_configENS1_27scan_by_key_config_selectorIiiEEZZNS1_16scan_by_key_implILNS1_25lookback_scan_determinismE0ELb0ES3_N6thrust23THRUST_200600_302600_NS6detail15normal_iteratorINS9_10device_ptrIiEEEESE_SE_iNS9_4plusIvEENS9_8equal_toIiEEiEE10hipError_tPvRmT2_T3_T4_T5_mT6_T7_P12ihipStream_tbENKUlT_T0_E_clISt17integral_constantIbLb1EESY_IbLb0EEEEDaSU_SV_EUlSU_E_NS1_11comp_targetILNS1_3genE10ELNS1_11target_archE1201ELNS1_3gpuE5ELNS1_3repE0EEENS1_30default_config_static_selectorELNS0_4arch9wavefront6targetE1EEEvT1_.kd
    .uniform_work_group_size: 1
    .uses_dynamic_stack: false
    .vgpr_count:     0
    .vgpr_spill_count: 0
    .wavefront_size: 64
  - .agpr_count:     0
    .args:
      - .offset:         0
        .size:           112
        .value_kind:     by_value
    .group_segment_fixed_size: 25600
    .kernarg_segment_align: 8
    .kernarg_segment_size: 112
    .language:       OpenCL C
    .language_version:
      - 2
      - 0
    .max_flat_workgroup_size: 256
    .name:           _ZN7rocprim17ROCPRIM_400000_NS6detail17trampoline_kernelINS0_14default_configENS1_27scan_by_key_config_selectorIiiEEZZNS1_16scan_by_key_implILNS1_25lookback_scan_determinismE0ELb0ES3_N6thrust23THRUST_200600_302600_NS6detail15normal_iteratorINS9_10device_ptrIiEEEESE_SE_iNS9_4plusIvEENS9_8equal_toIiEEiEE10hipError_tPvRmT2_T3_T4_T5_mT6_T7_P12ihipStream_tbENKUlT_T0_E_clISt17integral_constantIbLb1EESY_IbLb0EEEEDaSU_SV_EUlSU_E_NS1_11comp_targetILNS1_3genE5ELNS1_11target_archE942ELNS1_3gpuE9ELNS1_3repE0EEENS1_30default_config_static_selectorELNS0_4arch9wavefront6targetE1EEEvT1_
    .private_segment_fixed_size: 0
    .sgpr_count:     88
    .sgpr_spill_count: 0
    .symbol:         _ZN7rocprim17ROCPRIM_400000_NS6detail17trampoline_kernelINS0_14default_configENS1_27scan_by_key_config_selectorIiiEEZZNS1_16scan_by_key_implILNS1_25lookback_scan_determinismE0ELb0ES3_N6thrust23THRUST_200600_302600_NS6detail15normal_iteratorINS9_10device_ptrIiEEEESE_SE_iNS9_4plusIvEENS9_8equal_toIiEEiEE10hipError_tPvRmT2_T3_T4_T5_mT6_T7_P12ihipStream_tbENKUlT_T0_E_clISt17integral_constantIbLb1EESY_IbLb0EEEEDaSU_SV_EUlSU_E_NS1_11comp_targetILNS1_3genE5ELNS1_11target_archE942ELNS1_3gpuE9ELNS1_3repE0EEENS1_30default_config_static_selectorELNS0_4arch9wavefront6targetE1EEEvT1_.kd
    .uniform_work_group_size: 1
    .uses_dynamic_stack: false
    .vgpr_count:     81
    .vgpr_spill_count: 0
    .wavefront_size: 64
  - .agpr_count:     0
    .args:
      - .offset:         0
        .size:           112
        .value_kind:     by_value
    .group_segment_fixed_size: 0
    .kernarg_segment_align: 8
    .kernarg_segment_size: 112
    .language:       OpenCL C
    .language_version:
      - 2
      - 0
    .max_flat_workgroup_size: 256
    .name:           _ZN7rocprim17ROCPRIM_400000_NS6detail17trampoline_kernelINS0_14default_configENS1_27scan_by_key_config_selectorIiiEEZZNS1_16scan_by_key_implILNS1_25lookback_scan_determinismE0ELb0ES3_N6thrust23THRUST_200600_302600_NS6detail15normal_iteratorINS9_10device_ptrIiEEEESE_SE_iNS9_4plusIvEENS9_8equal_toIiEEiEE10hipError_tPvRmT2_T3_T4_T5_mT6_T7_P12ihipStream_tbENKUlT_T0_E_clISt17integral_constantIbLb1EESY_IbLb0EEEEDaSU_SV_EUlSU_E_NS1_11comp_targetILNS1_3genE4ELNS1_11target_archE910ELNS1_3gpuE8ELNS1_3repE0EEENS1_30default_config_static_selectorELNS0_4arch9wavefront6targetE1EEEvT1_
    .private_segment_fixed_size: 0
    .sgpr_count:     6
    .sgpr_spill_count: 0
    .symbol:         _ZN7rocprim17ROCPRIM_400000_NS6detail17trampoline_kernelINS0_14default_configENS1_27scan_by_key_config_selectorIiiEEZZNS1_16scan_by_key_implILNS1_25lookback_scan_determinismE0ELb0ES3_N6thrust23THRUST_200600_302600_NS6detail15normal_iteratorINS9_10device_ptrIiEEEESE_SE_iNS9_4plusIvEENS9_8equal_toIiEEiEE10hipError_tPvRmT2_T3_T4_T5_mT6_T7_P12ihipStream_tbENKUlT_T0_E_clISt17integral_constantIbLb1EESY_IbLb0EEEEDaSU_SV_EUlSU_E_NS1_11comp_targetILNS1_3genE4ELNS1_11target_archE910ELNS1_3gpuE8ELNS1_3repE0EEENS1_30default_config_static_selectorELNS0_4arch9wavefront6targetE1EEEvT1_.kd
    .uniform_work_group_size: 1
    .uses_dynamic_stack: false
    .vgpr_count:     0
    .vgpr_spill_count: 0
    .wavefront_size: 64
  - .agpr_count:     0
    .args:
      - .offset:         0
        .size:           112
        .value_kind:     by_value
    .group_segment_fixed_size: 0
    .kernarg_segment_align: 8
    .kernarg_segment_size: 112
    .language:       OpenCL C
    .language_version:
      - 2
      - 0
    .max_flat_workgroup_size: 256
    .name:           _ZN7rocprim17ROCPRIM_400000_NS6detail17trampoline_kernelINS0_14default_configENS1_27scan_by_key_config_selectorIiiEEZZNS1_16scan_by_key_implILNS1_25lookback_scan_determinismE0ELb0ES3_N6thrust23THRUST_200600_302600_NS6detail15normal_iteratorINS9_10device_ptrIiEEEESE_SE_iNS9_4plusIvEENS9_8equal_toIiEEiEE10hipError_tPvRmT2_T3_T4_T5_mT6_T7_P12ihipStream_tbENKUlT_T0_E_clISt17integral_constantIbLb1EESY_IbLb0EEEEDaSU_SV_EUlSU_E_NS1_11comp_targetILNS1_3genE3ELNS1_11target_archE908ELNS1_3gpuE7ELNS1_3repE0EEENS1_30default_config_static_selectorELNS0_4arch9wavefront6targetE1EEEvT1_
    .private_segment_fixed_size: 0
    .sgpr_count:     6
    .sgpr_spill_count: 0
    .symbol:         _ZN7rocprim17ROCPRIM_400000_NS6detail17trampoline_kernelINS0_14default_configENS1_27scan_by_key_config_selectorIiiEEZZNS1_16scan_by_key_implILNS1_25lookback_scan_determinismE0ELb0ES3_N6thrust23THRUST_200600_302600_NS6detail15normal_iteratorINS9_10device_ptrIiEEEESE_SE_iNS9_4plusIvEENS9_8equal_toIiEEiEE10hipError_tPvRmT2_T3_T4_T5_mT6_T7_P12ihipStream_tbENKUlT_T0_E_clISt17integral_constantIbLb1EESY_IbLb0EEEEDaSU_SV_EUlSU_E_NS1_11comp_targetILNS1_3genE3ELNS1_11target_archE908ELNS1_3gpuE7ELNS1_3repE0EEENS1_30default_config_static_selectorELNS0_4arch9wavefront6targetE1EEEvT1_.kd
    .uniform_work_group_size: 1
    .uses_dynamic_stack: false
    .vgpr_count:     0
    .vgpr_spill_count: 0
    .wavefront_size: 64
  - .agpr_count:     0
    .args:
      - .offset:         0
        .size:           112
        .value_kind:     by_value
    .group_segment_fixed_size: 0
    .kernarg_segment_align: 8
    .kernarg_segment_size: 112
    .language:       OpenCL C
    .language_version:
      - 2
      - 0
    .max_flat_workgroup_size: 256
    .name:           _ZN7rocprim17ROCPRIM_400000_NS6detail17trampoline_kernelINS0_14default_configENS1_27scan_by_key_config_selectorIiiEEZZNS1_16scan_by_key_implILNS1_25lookback_scan_determinismE0ELb0ES3_N6thrust23THRUST_200600_302600_NS6detail15normal_iteratorINS9_10device_ptrIiEEEESE_SE_iNS9_4plusIvEENS9_8equal_toIiEEiEE10hipError_tPvRmT2_T3_T4_T5_mT6_T7_P12ihipStream_tbENKUlT_T0_E_clISt17integral_constantIbLb1EESY_IbLb0EEEEDaSU_SV_EUlSU_E_NS1_11comp_targetILNS1_3genE2ELNS1_11target_archE906ELNS1_3gpuE6ELNS1_3repE0EEENS1_30default_config_static_selectorELNS0_4arch9wavefront6targetE1EEEvT1_
    .private_segment_fixed_size: 0
    .sgpr_count:     6
    .sgpr_spill_count: 0
    .symbol:         _ZN7rocprim17ROCPRIM_400000_NS6detail17trampoline_kernelINS0_14default_configENS1_27scan_by_key_config_selectorIiiEEZZNS1_16scan_by_key_implILNS1_25lookback_scan_determinismE0ELb0ES3_N6thrust23THRUST_200600_302600_NS6detail15normal_iteratorINS9_10device_ptrIiEEEESE_SE_iNS9_4plusIvEENS9_8equal_toIiEEiEE10hipError_tPvRmT2_T3_T4_T5_mT6_T7_P12ihipStream_tbENKUlT_T0_E_clISt17integral_constantIbLb1EESY_IbLb0EEEEDaSU_SV_EUlSU_E_NS1_11comp_targetILNS1_3genE2ELNS1_11target_archE906ELNS1_3gpuE6ELNS1_3repE0EEENS1_30default_config_static_selectorELNS0_4arch9wavefront6targetE1EEEvT1_.kd
    .uniform_work_group_size: 1
    .uses_dynamic_stack: false
    .vgpr_count:     0
    .vgpr_spill_count: 0
    .wavefront_size: 64
  - .agpr_count:     0
    .args:
      - .offset:         0
        .size:           112
        .value_kind:     by_value
    .group_segment_fixed_size: 0
    .kernarg_segment_align: 8
    .kernarg_segment_size: 112
    .language:       OpenCL C
    .language_version:
      - 2
      - 0
    .max_flat_workgroup_size: 256
    .name:           _ZN7rocprim17ROCPRIM_400000_NS6detail17trampoline_kernelINS0_14default_configENS1_27scan_by_key_config_selectorIiiEEZZNS1_16scan_by_key_implILNS1_25lookback_scan_determinismE0ELb0ES3_N6thrust23THRUST_200600_302600_NS6detail15normal_iteratorINS9_10device_ptrIiEEEESE_SE_iNS9_4plusIvEENS9_8equal_toIiEEiEE10hipError_tPvRmT2_T3_T4_T5_mT6_T7_P12ihipStream_tbENKUlT_T0_E_clISt17integral_constantIbLb1EESY_IbLb0EEEEDaSU_SV_EUlSU_E_NS1_11comp_targetILNS1_3genE10ELNS1_11target_archE1200ELNS1_3gpuE4ELNS1_3repE0EEENS1_30default_config_static_selectorELNS0_4arch9wavefront6targetE1EEEvT1_
    .private_segment_fixed_size: 0
    .sgpr_count:     6
    .sgpr_spill_count: 0
    .symbol:         _ZN7rocprim17ROCPRIM_400000_NS6detail17trampoline_kernelINS0_14default_configENS1_27scan_by_key_config_selectorIiiEEZZNS1_16scan_by_key_implILNS1_25lookback_scan_determinismE0ELb0ES3_N6thrust23THRUST_200600_302600_NS6detail15normal_iteratorINS9_10device_ptrIiEEEESE_SE_iNS9_4plusIvEENS9_8equal_toIiEEiEE10hipError_tPvRmT2_T3_T4_T5_mT6_T7_P12ihipStream_tbENKUlT_T0_E_clISt17integral_constantIbLb1EESY_IbLb0EEEEDaSU_SV_EUlSU_E_NS1_11comp_targetILNS1_3genE10ELNS1_11target_archE1200ELNS1_3gpuE4ELNS1_3repE0EEENS1_30default_config_static_selectorELNS0_4arch9wavefront6targetE1EEEvT1_.kd
    .uniform_work_group_size: 1
    .uses_dynamic_stack: false
    .vgpr_count:     0
    .vgpr_spill_count: 0
    .wavefront_size: 64
  - .agpr_count:     0
    .args:
      - .offset:         0
        .size:           112
        .value_kind:     by_value
    .group_segment_fixed_size: 0
    .kernarg_segment_align: 8
    .kernarg_segment_size: 112
    .language:       OpenCL C
    .language_version:
      - 2
      - 0
    .max_flat_workgroup_size: 256
    .name:           _ZN7rocprim17ROCPRIM_400000_NS6detail17trampoline_kernelINS0_14default_configENS1_27scan_by_key_config_selectorIiiEEZZNS1_16scan_by_key_implILNS1_25lookback_scan_determinismE0ELb0ES3_N6thrust23THRUST_200600_302600_NS6detail15normal_iteratorINS9_10device_ptrIiEEEESE_SE_iNS9_4plusIvEENS9_8equal_toIiEEiEE10hipError_tPvRmT2_T3_T4_T5_mT6_T7_P12ihipStream_tbENKUlT_T0_E_clISt17integral_constantIbLb1EESY_IbLb0EEEEDaSU_SV_EUlSU_E_NS1_11comp_targetILNS1_3genE9ELNS1_11target_archE1100ELNS1_3gpuE3ELNS1_3repE0EEENS1_30default_config_static_selectorELNS0_4arch9wavefront6targetE1EEEvT1_
    .private_segment_fixed_size: 0
    .sgpr_count:     6
    .sgpr_spill_count: 0
    .symbol:         _ZN7rocprim17ROCPRIM_400000_NS6detail17trampoline_kernelINS0_14default_configENS1_27scan_by_key_config_selectorIiiEEZZNS1_16scan_by_key_implILNS1_25lookback_scan_determinismE0ELb0ES3_N6thrust23THRUST_200600_302600_NS6detail15normal_iteratorINS9_10device_ptrIiEEEESE_SE_iNS9_4plusIvEENS9_8equal_toIiEEiEE10hipError_tPvRmT2_T3_T4_T5_mT6_T7_P12ihipStream_tbENKUlT_T0_E_clISt17integral_constantIbLb1EESY_IbLb0EEEEDaSU_SV_EUlSU_E_NS1_11comp_targetILNS1_3genE9ELNS1_11target_archE1100ELNS1_3gpuE3ELNS1_3repE0EEENS1_30default_config_static_selectorELNS0_4arch9wavefront6targetE1EEEvT1_.kd
    .uniform_work_group_size: 1
    .uses_dynamic_stack: false
    .vgpr_count:     0
    .vgpr_spill_count: 0
    .wavefront_size: 64
  - .agpr_count:     0
    .args:
      - .offset:         0
        .size:           112
        .value_kind:     by_value
    .group_segment_fixed_size: 0
    .kernarg_segment_align: 8
    .kernarg_segment_size: 112
    .language:       OpenCL C
    .language_version:
      - 2
      - 0
    .max_flat_workgroup_size: 256
    .name:           _ZN7rocprim17ROCPRIM_400000_NS6detail17trampoline_kernelINS0_14default_configENS1_27scan_by_key_config_selectorIiiEEZZNS1_16scan_by_key_implILNS1_25lookback_scan_determinismE0ELb0ES3_N6thrust23THRUST_200600_302600_NS6detail15normal_iteratorINS9_10device_ptrIiEEEESE_SE_iNS9_4plusIvEENS9_8equal_toIiEEiEE10hipError_tPvRmT2_T3_T4_T5_mT6_T7_P12ihipStream_tbENKUlT_T0_E_clISt17integral_constantIbLb1EESY_IbLb0EEEEDaSU_SV_EUlSU_E_NS1_11comp_targetILNS1_3genE8ELNS1_11target_archE1030ELNS1_3gpuE2ELNS1_3repE0EEENS1_30default_config_static_selectorELNS0_4arch9wavefront6targetE1EEEvT1_
    .private_segment_fixed_size: 0
    .sgpr_count:     6
    .sgpr_spill_count: 0
    .symbol:         _ZN7rocprim17ROCPRIM_400000_NS6detail17trampoline_kernelINS0_14default_configENS1_27scan_by_key_config_selectorIiiEEZZNS1_16scan_by_key_implILNS1_25lookback_scan_determinismE0ELb0ES3_N6thrust23THRUST_200600_302600_NS6detail15normal_iteratorINS9_10device_ptrIiEEEESE_SE_iNS9_4plusIvEENS9_8equal_toIiEEiEE10hipError_tPvRmT2_T3_T4_T5_mT6_T7_P12ihipStream_tbENKUlT_T0_E_clISt17integral_constantIbLb1EESY_IbLb0EEEEDaSU_SV_EUlSU_E_NS1_11comp_targetILNS1_3genE8ELNS1_11target_archE1030ELNS1_3gpuE2ELNS1_3repE0EEENS1_30default_config_static_selectorELNS0_4arch9wavefront6targetE1EEEvT1_.kd
    .uniform_work_group_size: 1
    .uses_dynamic_stack: false
    .vgpr_count:     0
    .vgpr_spill_count: 0
    .wavefront_size: 64
  - .agpr_count:     0
    .args:
      - .offset:         0
        .size:           112
        .value_kind:     by_value
    .group_segment_fixed_size: 0
    .kernarg_segment_align: 8
    .kernarg_segment_size: 112
    .language:       OpenCL C
    .language_version:
      - 2
      - 0
    .max_flat_workgroup_size: 256
    .name:           _ZN7rocprim17ROCPRIM_400000_NS6detail17trampoline_kernelINS0_14default_configENS1_27scan_by_key_config_selectorIiiEEZZNS1_16scan_by_key_implILNS1_25lookback_scan_determinismE0ELb0ES3_N6thrust23THRUST_200600_302600_NS6detail15normal_iteratorINS9_10device_ptrIiEEEESE_SE_iNS9_4plusIvEENS9_8equal_toIiEEiEE10hipError_tPvRmT2_T3_T4_T5_mT6_T7_P12ihipStream_tbENKUlT_T0_E_clISt17integral_constantIbLb0EESY_IbLb1EEEEDaSU_SV_EUlSU_E_NS1_11comp_targetILNS1_3genE0ELNS1_11target_archE4294967295ELNS1_3gpuE0ELNS1_3repE0EEENS1_30default_config_static_selectorELNS0_4arch9wavefront6targetE1EEEvT1_
    .private_segment_fixed_size: 0
    .sgpr_count:     6
    .sgpr_spill_count: 0
    .symbol:         _ZN7rocprim17ROCPRIM_400000_NS6detail17trampoline_kernelINS0_14default_configENS1_27scan_by_key_config_selectorIiiEEZZNS1_16scan_by_key_implILNS1_25lookback_scan_determinismE0ELb0ES3_N6thrust23THRUST_200600_302600_NS6detail15normal_iteratorINS9_10device_ptrIiEEEESE_SE_iNS9_4plusIvEENS9_8equal_toIiEEiEE10hipError_tPvRmT2_T3_T4_T5_mT6_T7_P12ihipStream_tbENKUlT_T0_E_clISt17integral_constantIbLb0EESY_IbLb1EEEEDaSU_SV_EUlSU_E_NS1_11comp_targetILNS1_3genE0ELNS1_11target_archE4294967295ELNS1_3gpuE0ELNS1_3repE0EEENS1_30default_config_static_selectorELNS0_4arch9wavefront6targetE1EEEvT1_.kd
    .uniform_work_group_size: 1
    .uses_dynamic_stack: false
    .vgpr_count:     0
    .vgpr_spill_count: 0
    .wavefront_size: 64
  - .agpr_count:     0
    .args:
      - .offset:         0
        .size:           112
        .value_kind:     by_value
    .group_segment_fixed_size: 0
    .kernarg_segment_align: 8
    .kernarg_segment_size: 112
    .language:       OpenCL C
    .language_version:
      - 2
      - 0
    .max_flat_workgroup_size: 256
    .name:           _ZN7rocprim17ROCPRIM_400000_NS6detail17trampoline_kernelINS0_14default_configENS1_27scan_by_key_config_selectorIiiEEZZNS1_16scan_by_key_implILNS1_25lookback_scan_determinismE0ELb0ES3_N6thrust23THRUST_200600_302600_NS6detail15normal_iteratorINS9_10device_ptrIiEEEESE_SE_iNS9_4plusIvEENS9_8equal_toIiEEiEE10hipError_tPvRmT2_T3_T4_T5_mT6_T7_P12ihipStream_tbENKUlT_T0_E_clISt17integral_constantIbLb0EESY_IbLb1EEEEDaSU_SV_EUlSU_E_NS1_11comp_targetILNS1_3genE10ELNS1_11target_archE1201ELNS1_3gpuE5ELNS1_3repE0EEENS1_30default_config_static_selectorELNS0_4arch9wavefront6targetE1EEEvT1_
    .private_segment_fixed_size: 0
    .sgpr_count:     6
    .sgpr_spill_count: 0
    .symbol:         _ZN7rocprim17ROCPRIM_400000_NS6detail17trampoline_kernelINS0_14default_configENS1_27scan_by_key_config_selectorIiiEEZZNS1_16scan_by_key_implILNS1_25lookback_scan_determinismE0ELb0ES3_N6thrust23THRUST_200600_302600_NS6detail15normal_iteratorINS9_10device_ptrIiEEEESE_SE_iNS9_4plusIvEENS9_8equal_toIiEEiEE10hipError_tPvRmT2_T3_T4_T5_mT6_T7_P12ihipStream_tbENKUlT_T0_E_clISt17integral_constantIbLb0EESY_IbLb1EEEEDaSU_SV_EUlSU_E_NS1_11comp_targetILNS1_3genE10ELNS1_11target_archE1201ELNS1_3gpuE5ELNS1_3repE0EEENS1_30default_config_static_selectorELNS0_4arch9wavefront6targetE1EEEvT1_.kd
    .uniform_work_group_size: 1
    .uses_dynamic_stack: false
    .vgpr_count:     0
    .vgpr_spill_count: 0
    .wavefront_size: 64
  - .agpr_count:     0
    .args:
      - .offset:         0
        .size:           112
        .value_kind:     by_value
    .group_segment_fixed_size: 25600
    .kernarg_segment_align: 8
    .kernarg_segment_size: 112
    .language:       OpenCL C
    .language_version:
      - 2
      - 0
    .max_flat_workgroup_size: 256
    .name:           _ZN7rocprim17ROCPRIM_400000_NS6detail17trampoline_kernelINS0_14default_configENS1_27scan_by_key_config_selectorIiiEEZZNS1_16scan_by_key_implILNS1_25lookback_scan_determinismE0ELb0ES3_N6thrust23THRUST_200600_302600_NS6detail15normal_iteratorINS9_10device_ptrIiEEEESE_SE_iNS9_4plusIvEENS9_8equal_toIiEEiEE10hipError_tPvRmT2_T3_T4_T5_mT6_T7_P12ihipStream_tbENKUlT_T0_E_clISt17integral_constantIbLb0EESY_IbLb1EEEEDaSU_SV_EUlSU_E_NS1_11comp_targetILNS1_3genE5ELNS1_11target_archE942ELNS1_3gpuE9ELNS1_3repE0EEENS1_30default_config_static_selectorELNS0_4arch9wavefront6targetE1EEEvT1_
    .private_segment_fixed_size: 0
    .sgpr_count:     91
    .sgpr_spill_count: 0
    .symbol:         _ZN7rocprim17ROCPRIM_400000_NS6detail17trampoline_kernelINS0_14default_configENS1_27scan_by_key_config_selectorIiiEEZZNS1_16scan_by_key_implILNS1_25lookback_scan_determinismE0ELb0ES3_N6thrust23THRUST_200600_302600_NS6detail15normal_iteratorINS9_10device_ptrIiEEEESE_SE_iNS9_4plusIvEENS9_8equal_toIiEEiEE10hipError_tPvRmT2_T3_T4_T5_mT6_T7_P12ihipStream_tbENKUlT_T0_E_clISt17integral_constantIbLb0EESY_IbLb1EEEEDaSU_SV_EUlSU_E_NS1_11comp_targetILNS1_3genE5ELNS1_11target_archE942ELNS1_3gpuE9ELNS1_3repE0EEENS1_30default_config_static_selectorELNS0_4arch9wavefront6targetE1EEEvT1_.kd
    .uniform_work_group_size: 1
    .uses_dynamic_stack: false
    .vgpr_count:     81
    .vgpr_spill_count: 0
    .wavefront_size: 64
  - .agpr_count:     0
    .args:
      - .offset:         0
        .size:           112
        .value_kind:     by_value
    .group_segment_fixed_size: 0
    .kernarg_segment_align: 8
    .kernarg_segment_size: 112
    .language:       OpenCL C
    .language_version:
      - 2
      - 0
    .max_flat_workgroup_size: 256
    .name:           _ZN7rocprim17ROCPRIM_400000_NS6detail17trampoline_kernelINS0_14default_configENS1_27scan_by_key_config_selectorIiiEEZZNS1_16scan_by_key_implILNS1_25lookback_scan_determinismE0ELb0ES3_N6thrust23THRUST_200600_302600_NS6detail15normal_iteratorINS9_10device_ptrIiEEEESE_SE_iNS9_4plusIvEENS9_8equal_toIiEEiEE10hipError_tPvRmT2_T3_T4_T5_mT6_T7_P12ihipStream_tbENKUlT_T0_E_clISt17integral_constantIbLb0EESY_IbLb1EEEEDaSU_SV_EUlSU_E_NS1_11comp_targetILNS1_3genE4ELNS1_11target_archE910ELNS1_3gpuE8ELNS1_3repE0EEENS1_30default_config_static_selectorELNS0_4arch9wavefront6targetE1EEEvT1_
    .private_segment_fixed_size: 0
    .sgpr_count:     6
    .sgpr_spill_count: 0
    .symbol:         _ZN7rocprim17ROCPRIM_400000_NS6detail17trampoline_kernelINS0_14default_configENS1_27scan_by_key_config_selectorIiiEEZZNS1_16scan_by_key_implILNS1_25lookback_scan_determinismE0ELb0ES3_N6thrust23THRUST_200600_302600_NS6detail15normal_iteratorINS9_10device_ptrIiEEEESE_SE_iNS9_4plusIvEENS9_8equal_toIiEEiEE10hipError_tPvRmT2_T3_T4_T5_mT6_T7_P12ihipStream_tbENKUlT_T0_E_clISt17integral_constantIbLb0EESY_IbLb1EEEEDaSU_SV_EUlSU_E_NS1_11comp_targetILNS1_3genE4ELNS1_11target_archE910ELNS1_3gpuE8ELNS1_3repE0EEENS1_30default_config_static_selectorELNS0_4arch9wavefront6targetE1EEEvT1_.kd
    .uniform_work_group_size: 1
    .uses_dynamic_stack: false
    .vgpr_count:     0
    .vgpr_spill_count: 0
    .wavefront_size: 64
  - .agpr_count:     0
    .args:
      - .offset:         0
        .size:           112
        .value_kind:     by_value
    .group_segment_fixed_size: 0
    .kernarg_segment_align: 8
    .kernarg_segment_size: 112
    .language:       OpenCL C
    .language_version:
      - 2
      - 0
    .max_flat_workgroup_size: 256
    .name:           _ZN7rocprim17ROCPRIM_400000_NS6detail17trampoline_kernelINS0_14default_configENS1_27scan_by_key_config_selectorIiiEEZZNS1_16scan_by_key_implILNS1_25lookback_scan_determinismE0ELb0ES3_N6thrust23THRUST_200600_302600_NS6detail15normal_iteratorINS9_10device_ptrIiEEEESE_SE_iNS9_4plusIvEENS9_8equal_toIiEEiEE10hipError_tPvRmT2_T3_T4_T5_mT6_T7_P12ihipStream_tbENKUlT_T0_E_clISt17integral_constantIbLb0EESY_IbLb1EEEEDaSU_SV_EUlSU_E_NS1_11comp_targetILNS1_3genE3ELNS1_11target_archE908ELNS1_3gpuE7ELNS1_3repE0EEENS1_30default_config_static_selectorELNS0_4arch9wavefront6targetE1EEEvT1_
    .private_segment_fixed_size: 0
    .sgpr_count:     6
    .sgpr_spill_count: 0
    .symbol:         _ZN7rocprim17ROCPRIM_400000_NS6detail17trampoline_kernelINS0_14default_configENS1_27scan_by_key_config_selectorIiiEEZZNS1_16scan_by_key_implILNS1_25lookback_scan_determinismE0ELb0ES3_N6thrust23THRUST_200600_302600_NS6detail15normal_iteratorINS9_10device_ptrIiEEEESE_SE_iNS9_4plusIvEENS9_8equal_toIiEEiEE10hipError_tPvRmT2_T3_T4_T5_mT6_T7_P12ihipStream_tbENKUlT_T0_E_clISt17integral_constantIbLb0EESY_IbLb1EEEEDaSU_SV_EUlSU_E_NS1_11comp_targetILNS1_3genE3ELNS1_11target_archE908ELNS1_3gpuE7ELNS1_3repE0EEENS1_30default_config_static_selectorELNS0_4arch9wavefront6targetE1EEEvT1_.kd
    .uniform_work_group_size: 1
    .uses_dynamic_stack: false
    .vgpr_count:     0
    .vgpr_spill_count: 0
    .wavefront_size: 64
  - .agpr_count:     0
    .args:
      - .offset:         0
        .size:           112
        .value_kind:     by_value
    .group_segment_fixed_size: 0
    .kernarg_segment_align: 8
    .kernarg_segment_size: 112
    .language:       OpenCL C
    .language_version:
      - 2
      - 0
    .max_flat_workgroup_size: 256
    .name:           _ZN7rocprim17ROCPRIM_400000_NS6detail17trampoline_kernelINS0_14default_configENS1_27scan_by_key_config_selectorIiiEEZZNS1_16scan_by_key_implILNS1_25lookback_scan_determinismE0ELb0ES3_N6thrust23THRUST_200600_302600_NS6detail15normal_iteratorINS9_10device_ptrIiEEEESE_SE_iNS9_4plusIvEENS9_8equal_toIiEEiEE10hipError_tPvRmT2_T3_T4_T5_mT6_T7_P12ihipStream_tbENKUlT_T0_E_clISt17integral_constantIbLb0EESY_IbLb1EEEEDaSU_SV_EUlSU_E_NS1_11comp_targetILNS1_3genE2ELNS1_11target_archE906ELNS1_3gpuE6ELNS1_3repE0EEENS1_30default_config_static_selectorELNS0_4arch9wavefront6targetE1EEEvT1_
    .private_segment_fixed_size: 0
    .sgpr_count:     6
    .sgpr_spill_count: 0
    .symbol:         _ZN7rocprim17ROCPRIM_400000_NS6detail17trampoline_kernelINS0_14default_configENS1_27scan_by_key_config_selectorIiiEEZZNS1_16scan_by_key_implILNS1_25lookback_scan_determinismE0ELb0ES3_N6thrust23THRUST_200600_302600_NS6detail15normal_iteratorINS9_10device_ptrIiEEEESE_SE_iNS9_4plusIvEENS9_8equal_toIiEEiEE10hipError_tPvRmT2_T3_T4_T5_mT6_T7_P12ihipStream_tbENKUlT_T0_E_clISt17integral_constantIbLb0EESY_IbLb1EEEEDaSU_SV_EUlSU_E_NS1_11comp_targetILNS1_3genE2ELNS1_11target_archE906ELNS1_3gpuE6ELNS1_3repE0EEENS1_30default_config_static_selectorELNS0_4arch9wavefront6targetE1EEEvT1_.kd
    .uniform_work_group_size: 1
    .uses_dynamic_stack: false
    .vgpr_count:     0
    .vgpr_spill_count: 0
    .wavefront_size: 64
  - .agpr_count:     0
    .args:
      - .offset:         0
        .size:           112
        .value_kind:     by_value
    .group_segment_fixed_size: 0
    .kernarg_segment_align: 8
    .kernarg_segment_size: 112
    .language:       OpenCL C
    .language_version:
      - 2
      - 0
    .max_flat_workgroup_size: 256
    .name:           _ZN7rocprim17ROCPRIM_400000_NS6detail17trampoline_kernelINS0_14default_configENS1_27scan_by_key_config_selectorIiiEEZZNS1_16scan_by_key_implILNS1_25lookback_scan_determinismE0ELb0ES3_N6thrust23THRUST_200600_302600_NS6detail15normal_iteratorINS9_10device_ptrIiEEEESE_SE_iNS9_4plusIvEENS9_8equal_toIiEEiEE10hipError_tPvRmT2_T3_T4_T5_mT6_T7_P12ihipStream_tbENKUlT_T0_E_clISt17integral_constantIbLb0EESY_IbLb1EEEEDaSU_SV_EUlSU_E_NS1_11comp_targetILNS1_3genE10ELNS1_11target_archE1200ELNS1_3gpuE4ELNS1_3repE0EEENS1_30default_config_static_selectorELNS0_4arch9wavefront6targetE1EEEvT1_
    .private_segment_fixed_size: 0
    .sgpr_count:     6
    .sgpr_spill_count: 0
    .symbol:         _ZN7rocprim17ROCPRIM_400000_NS6detail17trampoline_kernelINS0_14default_configENS1_27scan_by_key_config_selectorIiiEEZZNS1_16scan_by_key_implILNS1_25lookback_scan_determinismE0ELb0ES3_N6thrust23THRUST_200600_302600_NS6detail15normal_iteratorINS9_10device_ptrIiEEEESE_SE_iNS9_4plusIvEENS9_8equal_toIiEEiEE10hipError_tPvRmT2_T3_T4_T5_mT6_T7_P12ihipStream_tbENKUlT_T0_E_clISt17integral_constantIbLb0EESY_IbLb1EEEEDaSU_SV_EUlSU_E_NS1_11comp_targetILNS1_3genE10ELNS1_11target_archE1200ELNS1_3gpuE4ELNS1_3repE0EEENS1_30default_config_static_selectorELNS0_4arch9wavefront6targetE1EEEvT1_.kd
    .uniform_work_group_size: 1
    .uses_dynamic_stack: false
    .vgpr_count:     0
    .vgpr_spill_count: 0
    .wavefront_size: 64
  - .agpr_count:     0
    .args:
      - .offset:         0
        .size:           112
        .value_kind:     by_value
    .group_segment_fixed_size: 0
    .kernarg_segment_align: 8
    .kernarg_segment_size: 112
    .language:       OpenCL C
    .language_version:
      - 2
      - 0
    .max_flat_workgroup_size: 256
    .name:           _ZN7rocprim17ROCPRIM_400000_NS6detail17trampoline_kernelINS0_14default_configENS1_27scan_by_key_config_selectorIiiEEZZNS1_16scan_by_key_implILNS1_25lookback_scan_determinismE0ELb0ES3_N6thrust23THRUST_200600_302600_NS6detail15normal_iteratorINS9_10device_ptrIiEEEESE_SE_iNS9_4plusIvEENS9_8equal_toIiEEiEE10hipError_tPvRmT2_T3_T4_T5_mT6_T7_P12ihipStream_tbENKUlT_T0_E_clISt17integral_constantIbLb0EESY_IbLb1EEEEDaSU_SV_EUlSU_E_NS1_11comp_targetILNS1_3genE9ELNS1_11target_archE1100ELNS1_3gpuE3ELNS1_3repE0EEENS1_30default_config_static_selectorELNS0_4arch9wavefront6targetE1EEEvT1_
    .private_segment_fixed_size: 0
    .sgpr_count:     6
    .sgpr_spill_count: 0
    .symbol:         _ZN7rocprim17ROCPRIM_400000_NS6detail17trampoline_kernelINS0_14default_configENS1_27scan_by_key_config_selectorIiiEEZZNS1_16scan_by_key_implILNS1_25lookback_scan_determinismE0ELb0ES3_N6thrust23THRUST_200600_302600_NS6detail15normal_iteratorINS9_10device_ptrIiEEEESE_SE_iNS9_4plusIvEENS9_8equal_toIiEEiEE10hipError_tPvRmT2_T3_T4_T5_mT6_T7_P12ihipStream_tbENKUlT_T0_E_clISt17integral_constantIbLb0EESY_IbLb1EEEEDaSU_SV_EUlSU_E_NS1_11comp_targetILNS1_3genE9ELNS1_11target_archE1100ELNS1_3gpuE3ELNS1_3repE0EEENS1_30default_config_static_selectorELNS0_4arch9wavefront6targetE1EEEvT1_.kd
    .uniform_work_group_size: 1
    .uses_dynamic_stack: false
    .vgpr_count:     0
    .vgpr_spill_count: 0
    .wavefront_size: 64
  - .agpr_count:     0
    .args:
      - .offset:         0
        .size:           112
        .value_kind:     by_value
    .group_segment_fixed_size: 0
    .kernarg_segment_align: 8
    .kernarg_segment_size: 112
    .language:       OpenCL C
    .language_version:
      - 2
      - 0
    .max_flat_workgroup_size: 256
    .name:           _ZN7rocprim17ROCPRIM_400000_NS6detail17trampoline_kernelINS0_14default_configENS1_27scan_by_key_config_selectorIiiEEZZNS1_16scan_by_key_implILNS1_25lookback_scan_determinismE0ELb0ES3_N6thrust23THRUST_200600_302600_NS6detail15normal_iteratorINS9_10device_ptrIiEEEESE_SE_iNS9_4plusIvEENS9_8equal_toIiEEiEE10hipError_tPvRmT2_T3_T4_T5_mT6_T7_P12ihipStream_tbENKUlT_T0_E_clISt17integral_constantIbLb0EESY_IbLb1EEEEDaSU_SV_EUlSU_E_NS1_11comp_targetILNS1_3genE8ELNS1_11target_archE1030ELNS1_3gpuE2ELNS1_3repE0EEENS1_30default_config_static_selectorELNS0_4arch9wavefront6targetE1EEEvT1_
    .private_segment_fixed_size: 0
    .sgpr_count:     6
    .sgpr_spill_count: 0
    .symbol:         _ZN7rocprim17ROCPRIM_400000_NS6detail17trampoline_kernelINS0_14default_configENS1_27scan_by_key_config_selectorIiiEEZZNS1_16scan_by_key_implILNS1_25lookback_scan_determinismE0ELb0ES3_N6thrust23THRUST_200600_302600_NS6detail15normal_iteratorINS9_10device_ptrIiEEEESE_SE_iNS9_4plusIvEENS9_8equal_toIiEEiEE10hipError_tPvRmT2_T3_T4_T5_mT6_T7_P12ihipStream_tbENKUlT_T0_E_clISt17integral_constantIbLb0EESY_IbLb1EEEEDaSU_SV_EUlSU_E_NS1_11comp_targetILNS1_3genE8ELNS1_11target_archE1030ELNS1_3gpuE2ELNS1_3repE0EEENS1_30default_config_static_selectorELNS0_4arch9wavefront6targetE1EEEvT1_.kd
    .uniform_work_group_size: 1
    .uses_dynamic_stack: false
    .vgpr_count:     0
    .vgpr_spill_count: 0
    .wavefront_size: 64
  - .agpr_count:     0
    .args:
      - .offset:         0
        .size:           16
        .value_kind:     by_value
      - .offset:         16
        .size:           8
        .value_kind:     by_value
      - .offset:         24
        .size:           8
        .value_kind:     by_value
    .group_segment_fixed_size: 0
    .kernarg_segment_align: 8
    .kernarg_segment_size: 32
    .language:       OpenCL C
    .language_version:
      - 2
      - 0
    .max_flat_workgroup_size: 256
    .name:           _ZN6thrust23THRUST_200600_302600_NS11hip_rocprim14__parallel_for6kernelILj256ENS1_20__uninitialized_fill7functorINS0_10device_ptrIsEEsEEmLj1EEEvT0_T1_SA_
    .private_segment_fixed_size: 0
    .sgpr_count:     14
    .sgpr_spill_count: 0
    .symbol:         _ZN6thrust23THRUST_200600_302600_NS11hip_rocprim14__parallel_for6kernelILj256ENS1_20__uninitialized_fill7functorINS0_10device_ptrIsEEsEEmLj1EEEvT0_T1_SA_.kd
    .uniform_work_group_size: 1
    .uses_dynamic_stack: false
    .vgpr_count:     4
    .vgpr_spill_count: 0
    .wavefront_size: 64
  - .agpr_count:     0
    .args:
      - .address_space:  global
        .offset:         0
        .size:           8
        .value_kind:     global_buffer
      - .offset:         8
        .size:           4
        .value_kind:     by_value
      - .offset:         12
        .size:           4
        .value_kind:     by_value
      - .address_space:  global
        .offset:         16
        .size:           8
        .value_kind:     global_buffer
      - .address_space:  global
        .offset:         24
        .size:           8
        .value_kind:     global_buffer
      - .actual_access:  write_only
        .address_space:  global
        .offset:         32
        .size:           8
        .value_kind:     global_buffer
      - .offset:         40
        .size:           8
        .value_kind:     by_value
      - .offset:         48
        .size:           4
        .value_kind:     by_value
      - .offset:         52
        .size:           1
        .value_kind:     by_value
      - .offset:         56
        .size:           4
        .value_kind:     hidden_block_count_x
      - .offset:         60
        .size:           4
        .value_kind:     hidden_block_count_y
      - .offset:         64
        .size:           4
        .value_kind:     hidden_block_count_z
      - .offset:         68
        .size:           2
        .value_kind:     hidden_group_size_x
      - .offset:         70
        .size:           2
        .value_kind:     hidden_group_size_y
      - .offset:         72
        .size:           2
        .value_kind:     hidden_group_size_z
      - .offset:         74
        .size:           2
        .value_kind:     hidden_remainder_x
      - .offset:         76
        .size:           2
        .value_kind:     hidden_remainder_y
      - .offset:         78
        .size:           2
        .value_kind:     hidden_remainder_z
      - .offset:         96
        .size:           8
        .value_kind:     hidden_global_offset_x
      - .offset:         104
        .size:           8
        .value_kind:     hidden_global_offset_y
      - .offset:         112
        .size:           8
        .value_kind:     hidden_global_offset_z
      - .offset:         120
        .size:           2
        .value_kind:     hidden_grid_dims
    .group_segment_fixed_size: 0
    .kernarg_segment_align: 8
    .kernarg_segment_size: 312
    .language:       OpenCL C
    .language_version:
      - 2
      - 0
    .max_flat_workgroup_size: 256
    .name:           _ZN7rocprim17ROCPRIM_400000_NS6detail30init_device_scan_by_key_kernelINS1_19lookback_scan_stateINS0_5tupleIJsbEEELb0ELb1EEEN6thrust23THRUST_200600_302600_NS6detail15normal_iteratorINS8_10device_ptrIsEEEEjNS1_16block_id_wrapperIjLb0EEEEEvT_jjPNSG_10value_typeET0_PNSt15iterator_traitsISJ_E10value_typeEmT1_T2_
    .private_segment_fixed_size: 0
    .sgpr_count:     22
    .sgpr_spill_count: 0
    .symbol:         _ZN7rocprim17ROCPRIM_400000_NS6detail30init_device_scan_by_key_kernelINS1_19lookback_scan_stateINS0_5tupleIJsbEEELb0ELb1EEEN6thrust23THRUST_200600_302600_NS6detail15normal_iteratorINS8_10device_ptrIsEEEEjNS1_16block_id_wrapperIjLb0EEEEEvT_jjPNSG_10value_typeET0_PNSt15iterator_traitsISJ_E10value_typeEmT1_T2_.kd
    .uniform_work_group_size: 1
    .uses_dynamic_stack: false
    .vgpr_count:     7
    .vgpr_spill_count: 0
    .wavefront_size: 64
  - .agpr_count:     0
    .args:
      - .address_space:  global
        .offset:         0
        .size:           8
        .value_kind:     global_buffer
      - .offset:         8
        .size:           4
        .value_kind:     by_value
      - .offset:         12
        .size:           4
        .value_kind:     by_value
      - .address_space:  global
        .offset:         16
        .size:           8
        .value_kind:     global_buffer
      - .offset:         24
        .size:           1
        .value_kind:     by_value
      - .offset:         32
        .size:           4
        .value_kind:     hidden_block_count_x
      - .offset:         36
        .size:           4
        .value_kind:     hidden_block_count_y
      - .offset:         40
        .size:           4
        .value_kind:     hidden_block_count_z
      - .offset:         44
        .size:           2
        .value_kind:     hidden_group_size_x
      - .offset:         46
        .size:           2
        .value_kind:     hidden_group_size_y
      - .offset:         48
        .size:           2
        .value_kind:     hidden_group_size_z
      - .offset:         50
        .size:           2
        .value_kind:     hidden_remainder_x
      - .offset:         52
        .size:           2
        .value_kind:     hidden_remainder_y
      - .offset:         54
        .size:           2
        .value_kind:     hidden_remainder_z
      - .offset:         72
        .size:           8
        .value_kind:     hidden_global_offset_x
      - .offset:         80
        .size:           8
        .value_kind:     hidden_global_offset_y
      - .offset:         88
        .size:           8
        .value_kind:     hidden_global_offset_z
      - .offset:         96
        .size:           2
        .value_kind:     hidden_grid_dims
    .group_segment_fixed_size: 0
    .kernarg_segment_align: 8
    .kernarg_segment_size: 288
    .language:       OpenCL C
    .language_version:
      - 2
      - 0
    .max_flat_workgroup_size: 256
    .name:           _ZN7rocprim17ROCPRIM_400000_NS6detail30init_device_scan_by_key_kernelINS1_19lookback_scan_stateINS0_5tupleIJsbEEELb0ELb1EEENS1_16block_id_wrapperIjLb0EEEEEvT_jjPNS9_10value_typeET0_
    .private_segment_fixed_size: 0
    .sgpr_count:     16
    .sgpr_spill_count: 0
    .symbol:         _ZN7rocprim17ROCPRIM_400000_NS6detail30init_device_scan_by_key_kernelINS1_19lookback_scan_stateINS0_5tupleIJsbEEELb0ELb1EEENS1_16block_id_wrapperIjLb0EEEEEvT_jjPNS9_10value_typeET0_.kd
    .uniform_work_group_size: 1
    .uses_dynamic_stack: false
    .vgpr_count:     6
    .vgpr_spill_count: 0
    .wavefront_size: 64
  - .agpr_count:     0
    .args:
      - .offset:         0
        .size:           112
        .value_kind:     by_value
    .group_segment_fixed_size: 0
    .kernarg_segment_align: 8
    .kernarg_segment_size: 112
    .language:       OpenCL C
    .language_version:
      - 2
      - 0
    .max_flat_workgroup_size: 256
    .name:           _ZN7rocprim17ROCPRIM_400000_NS6detail17trampoline_kernelINS0_14default_configENS1_27scan_by_key_config_selectorIssEEZZNS1_16scan_by_key_implILNS1_25lookback_scan_determinismE0ELb0ES3_N6thrust23THRUST_200600_302600_NS6detail15normal_iteratorINS9_10device_ptrIsEEEESE_SE_sNS9_4plusIvEENS9_8equal_toIvEEsEE10hipError_tPvRmT2_T3_T4_T5_mT6_T7_P12ihipStream_tbENKUlT_T0_E_clISt17integral_constantIbLb0EESZ_EEDaSU_SV_EUlSU_E_NS1_11comp_targetILNS1_3genE0ELNS1_11target_archE4294967295ELNS1_3gpuE0ELNS1_3repE0EEENS1_30default_config_static_selectorELNS0_4arch9wavefront6targetE1EEEvT1_
    .private_segment_fixed_size: 0
    .sgpr_count:     6
    .sgpr_spill_count: 0
    .symbol:         _ZN7rocprim17ROCPRIM_400000_NS6detail17trampoline_kernelINS0_14default_configENS1_27scan_by_key_config_selectorIssEEZZNS1_16scan_by_key_implILNS1_25lookback_scan_determinismE0ELb0ES3_N6thrust23THRUST_200600_302600_NS6detail15normal_iteratorINS9_10device_ptrIsEEEESE_SE_sNS9_4plusIvEENS9_8equal_toIvEEsEE10hipError_tPvRmT2_T3_T4_T5_mT6_T7_P12ihipStream_tbENKUlT_T0_E_clISt17integral_constantIbLb0EESZ_EEDaSU_SV_EUlSU_E_NS1_11comp_targetILNS1_3genE0ELNS1_11target_archE4294967295ELNS1_3gpuE0ELNS1_3repE0EEENS1_30default_config_static_selectorELNS0_4arch9wavefront6targetE1EEEvT1_.kd
    .uniform_work_group_size: 1
    .uses_dynamic_stack: false
    .vgpr_count:     0
    .vgpr_spill_count: 0
    .wavefront_size: 64
  - .agpr_count:     0
    .args:
      - .offset:         0
        .size:           112
        .value_kind:     by_value
    .group_segment_fixed_size: 0
    .kernarg_segment_align: 8
    .kernarg_segment_size: 112
    .language:       OpenCL C
    .language_version:
      - 2
      - 0
    .max_flat_workgroup_size: 128
    .name:           _ZN7rocprim17ROCPRIM_400000_NS6detail17trampoline_kernelINS0_14default_configENS1_27scan_by_key_config_selectorIssEEZZNS1_16scan_by_key_implILNS1_25lookback_scan_determinismE0ELb0ES3_N6thrust23THRUST_200600_302600_NS6detail15normal_iteratorINS9_10device_ptrIsEEEESE_SE_sNS9_4plusIvEENS9_8equal_toIvEEsEE10hipError_tPvRmT2_T3_T4_T5_mT6_T7_P12ihipStream_tbENKUlT_T0_E_clISt17integral_constantIbLb0EESZ_EEDaSU_SV_EUlSU_E_NS1_11comp_targetILNS1_3genE10ELNS1_11target_archE1201ELNS1_3gpuE5ELNS1_3repE0EEENS1_30default_config_static_selectorELNS0_4arch9wavefront6targetE1EEEvT1_
    .private_segment_fixed_size: 0
    .sgpr_count:     6
    .sgpr_spill_count: 0
    .symbol:         _ZN7rocprim17ROCPRIM_400000_NS6detail17trampoline_kernelINS0_14default_configENS1_27scan_by_key_config_selectorIssEEZZNS1_16scan_by_key_implILNS1_25lookback_scan_determinismE0ELb0ES3_N6thrust23THRUST_200600_302600_NS6detail15normal_iteratorINS9_10device_ptrIsEEEESE_SE_sNS9_4plusIvEENS9_8equal_toIvEEsEE10hipError_tPvRmT2_T3_T4_T5_mT6_T7_P12ihipStream_tbENKUlT_T0_E_clISt17integral_constantIbLb0EESZ_EEDaSU_SV_EUlSU_E_NS1_11comp_targetILNS1_3genE10ELNS1_11target_archE1201ELNS1_3gpuE5ELNS1_3repE0EEENS1_30default_config_static_selectorELNS0_4arch9wavefront6targetE1EEEvT1_.kd
    .uniform_work_group_size: 1
    .uses_dynamic_stack: false
    .vgpr_count:     0
    .vgpr_spill_count: 0
    .wavefront_size: 64
  - .agpr_count:     0
    .args:
      - .offset:         0
        .size:           112
        .value_kind:     by_value
    .group_segment_fixed_size: 13312
    .kernarg_segment_align: 8
    .kernarg_segment_size: 112
    .language:       OpenCL C
    .language_version:
      - 2
      - 0
    .max_flat_workgroup_size: 256
    .name:           _ZN7rocprim17ROCPRIM_400000_NS6detail17trampoline_kernelINS0_14default_configENS1_27scan_by_key_config_selectorIssEEZZNS1_16scan_by_key_implILNS1_25lookback_scan_determinismE0ELb0ES3_N6thrust23THRUST_200600_302600_NS6detail15normal_iteratorINS9_10device_ptrIsEEEESE_SE_sNS9_4plusIvEENS9_8equal_toIvEEsEE10hipError_tPvRmT2_T3_T4_T5_mT6_T7_P12ihipStream_tbENKUlT_T0_E_clISt17integral_constantIbLb0EESZ_EEDaSU_SV_EUlSU_E_NS1_11comp_targetILNS1_3genE5ELNS1_11target_archE942ELNS1_3gpuE9ELNS1_3repE0EEENS1_30default_config_static_selectorELNS0_4arch9wavefront6targetE1EEEvT1_
    .private_segment_fixed_size: 0
    .sgpr_count:     94
    .sgpr_spill_count: 0
    .symbol:         _ZN7rocprim17ROCPRIM_400000_NS6detail17trampoline_kernelINS0_14default_configENS1_27scan_by_key_config_selectorIssEEZZNS1_16scan_by_key_implILNS1_25lookback_scan_determinismE0ELb0ES3_N6thrust23THRUST_200600_302600_NS6detail15normal_iteratorINS9_10device_ptrIsEEEESE_SE_sNS9_4plusIvEENS9_8equal_toIvEEsEE10hipError_tPvRmT2_T3_T4_T5_mT6_T7_P12ihipStream_tbENKUlT_T0_E_clISt17integral_constantIbLb0EESZ_EEDaSU_SV_EUlSU_E_NS1_11comp_targetILNS1_3genE5ELNS1_11target_archE942ELNS1_3gpuE9ELNS1_3repE0EEENS1_30default_config_static_selectorELNS0_4arch9wavefront6targetE1EEEvT1_.kd
    .uniform_work_group_size: 1
    .uses_dynamic_stack: false
    .vgpr_count:     63
    .vgpr_spill_count: 0
    .wavefront_size: 64
  - .agpr_count:     0
    .args:
      - .offset:         0
        .size:           112
        .value_kind:     by_value
    .group_segment_fixed_size: 0
    .kernarg_segment_align: 8
    .kernarg_segment_size: 112
    .language:       OpenCL C
    .language_version:
      - 2
      - 0
    .max_flat_workgroup_size: 256
    .name:           _ZN7rocprim17ROCPRIM_400000_NS6detail17trampoline_kernelINS0_14default_configENS1_27scan_by_key_config_selectorIssEEZZNS1_16scan_by_key_implILNS1_25lookback_scan_determinismE0ELb0ES3_N6thrust23THRUST_200600_302600_NS6detail15normal_iteratorINS9_10device_ptrIsEEEESE_SE_sNS9_4plusIvEENS9_8equal_toIvEEsEE10hipError_tPvRmT2_T3_T4_T5_mT6_T7_P12ihipStream_tbENKUlT_T0_E_clISt17integral_constantIbLb0EESZ_EEDaSU_SV_EUlSU_E_NS1_11comp_targetILNS1_3genE4ELNS1_11target_archE910ELNS1_3gpuE8ELNS1_3repE0EEENS1_30default_config_static_selectorELNS0_4arch9wavefront6targetE1EEEvT1_
    .private_segment_fixed_size: 0
    .sgpr_count:     6
    .sgpr_spill_count: 0
    .symbol:         _ZN7rocprim17ROCPRIM_400000_NS6detail17trampoline_kernelINS0_14default_configENS1_27scan_by_key_config_selectorIssEEZZNS1_16scan_by_key_implILNS1_25lookback_scan_determinismE0ELb0ES3_N6thrust23THRUST_200600_302600_NS6detail15normal_iteratorINS9_10device_ptrIsEEEESE_SE_sNS9_4plusIvEENS9_8equal_toIvEEsEE10hipError_tPvRmT2_T3_T4_T5_mT6_T7_P12ihipStream_tbENKUlT_T0_E_clISt17integral_constantIbLb0EESZ_EEDaSU_SV_EUlSU_E_NS1_11comp_targetILNS1_3genE4ELNS1_11target_archE910ELNS1_3gpuE8ELNS1_3repE0EEENS1_30default_config_static_selectorELNS0_4arch9wavefront6targetE1EEEvT1_.kd
    .uniform_work_group_size: 1
    .uses_dynamic_stack: false
    .vgpr_count:     0
    .vgpr_spill_count: 0
    .wavefront_size: 64
  - .agpr_count:     0
    .args:
      - .offset:         0
        .size:           112
        .value_kind:     by_value
    .group_segment_fixed_size: 0
    .kernarg_segment_align: 8
    .kernarg_segment_size: 112
    .language:       OpenCL C
    .language_version:
      - 2
      - 0
    .max_flat_workgroup_size: 256
    .name:           _ZN7rocprim17ROCPRIM_400000_NS6detail17trampoline_kernelINS0_14default_configENS1_27scan_by_key_config_selectorIssEEZZNS1_16scan_by_key_implILNS1_25lookback_scan_determinismE0ELb0ES3_N6thrust23THRUST_200600_302600_NS6detail15normal_iteratorINS9_10device_ptrIsEEEESE_SE_sNS9_4plusIvEENS9_8equal_toIvEEsEE10hipError_tPvRmT2_T3_T4_T5_mT6_T7_P12ihipStream_tbENKUlT_T0_E_clISt17integral_constantIbLb0EESZ_EEDaSU_SV_EUlSU_E_NS1_11comp_targetILNS1_3genE3ELNS1_11target_archE908ELNS1_3gpuE7ELNS1_3repE0EEENS1_30default_config_static_selectorELNS0_4arch9wavefront6targetE1EEEvT1_
    .private_segment_fixed_size: 0
    .sgpr_count:     6
    .sgpr_spill_count: 0
    .symbol:         _ZN7rocprim17ROCPRIM_400000_NS6detail17trampoline_kernelINS0_14default_configENS1_27scan_by_key_config_selectorIssEEZZNS1_16scan_by_key_implILNS1_25lookback_scan_determinismE0ELb0ES3_N6thrust23THRUST_200600_302600_NS6detail15normal_iteratorINS9_10device_ptrIsEEEESE_SE_sNS9_4plusIvEENS9_8equal_toIvEEsEE10hipError_tPvRmT2_T3_T4_T5_mT6_T7_P12ihipStream_tbENKUlT_T0_E_clISt17integral_constantIbLb0EESZ_EEDaSU_SV_EUlSU_E_NS1_11comp_targetILNS1_3genE3ELNS1_11target_archE908ELNS1_3gpuE7ELNS1_3repE0EEENS1_30default_config_static_selectorELNS0_4arch9wavefront6targetE1EEEvT1_.kd
    .uniform_work_group_size: 1
    .uses_dynamic_stack: false
    .vgpr_count:     0
    .vgpr_spill_count: 0
    .wavefront_size: 64
  - .agpr_count:     0
    .args:
      - .offset:         0
        .size:           112
        .value_kind:     by_value
    .group_segment_fixed_size: 0
    .kernarg_segment_align: 8
    .kernarg_segment_size: 112
    .language:       OpenCL C
    .language_version:
      - 2
      - 0
    .max_flat_workgroup_size: 64
    .name:           _ZN7rocprim17ROCPRIM_400000_NS6detail17trampoline_kernelINS0_14default_configENS1_27scan_by_key_config_selectorIssEEZZNS1_16scan_by_key_implILNS1_25lookback_scan_determinismE0ELb0ES3_N6thrust23THRUST_200600_302600_NS6detail15normal_iteratorINS9_10device_ptrIsEEEESE_SE_sNS9_4plusIvEENS9_8equal_toIvEEsEE10hipError_tPvRmT2_T3_T4_T5_mT6_T7_P12ihipStream_tbENKUlT_T0_E_clISt17integral_constantIbLb0EESZ_EEDaSU_SV_EUlSU_E_NS1_11comp_targetILNS1_3genE2ELNS1_11target_archE906ELNS1_3gpuE6ELNS1_3repE0EEENS1_30default_config_static_selectorELNS0_4arch9wavefront6targetE1EEEvT1_
    .private_segment_fixed_size: 0
    .sgpr_count:     6
    .sgpr_spill_count: 0
    .symbol:         _ZN7rocprim17ROCPRIM_400000_NS6detail17trampoline_kernelINS0_14default_configENS1_27scan_by_key_config_selectorIssEEZZNS1_16scan_by_key_implILNS1_25lookback_scan_determinismE0ELb0ES3_N6thrust23THRUST_200600_302600_NS6detail15normal_iteratorINS9_10device_ptrIsEEEESE_SE_sNS9_4plusIvEENS9_8equal_toIvEEsEE10hipError_tPvRmT2_T3_T4_T5_mT6_T7_P12ihipStream_tbENKUlT_T0_E_clISt17integral_constantIbLb0EESZ_EEDaSU_SV_EUlSU_E_NS1_11comp_targetILNS1_3genE2ELNS1_11target_archE906ELNS1_3gpuE6ELNS1_3repE0EEENS1_30default_config_static_selectorELNS0_4arch9wavefront6targetE1EEEvT1_.kd
    .uniform_work_group_size: 1
    .uses_dynamic_stack: false
    .vgpr_count:     0
    .vgpr_spill_count: 0
    .wavefront_size: 64
  - .agpr_count:     0
    .args:
      - .offset:         0
        .size:           112
        .value_kind:     by_value
    .group_segment_fixed_size: 0
    .kernarg_segment_align: 8
    .kernarg_segment_size: 112
    .language:       OpenCL C
    .language_version:
      - 2
      - 0
    .max_flat_workgroup_size: 256
    .name:           _ZN7rocprim17ROCPRIM_400000_NS6detail17trampoline_kernelINS0_14default_configENS1_27scan_by_key_config_selectorIssEEZZNS1_16scan_by_key_implILNS1_25lookback_scan_determinismE0ELb0ES3_N6thrust23THRUST_200600_302600_NS6detail15normal_iteratorINS9_10device_ptrIsEEEESE_SE_sNS9_4plusIvEENS9_8equal_toIvEEsEE10hipError_tPvRmT2_T3_T4_T5_mT6_T7_P12ihipStream_tbENKUlT_T0_E_clISt17integral_constantIbLb0EESZ_EEDaSU_SV_EUlSU_E_NS1_11comp_targetILNS1_3genE10ELNS1_11target_archE1200ELNS1_3gpuE4ELNS1_3repE0EEENS1_30default_config_static_selectorELNS0_4arch9wavefront6targetE1EEEvT1_
    .private_segment_fixed_size: 0
    .sgpr_count:     6
    .sgpr_spill_count: 0
    .symbol:         _ZN7rocprim17ROCPRIM_400000_NS6detail17trampoline_kernelINS0_14default_configENS1_27scan_by_key_config_selectorIssEEZZNS1_16scan_by_key_implILNS1_25lookback_scan_determinismE0ELb0ES3_N6thrust23THRUST_200600_302600_NS6detail15normal_iteratorINS9_10device_ptrIsEEEESE_SE_sNS9_4plusIvEENS9_8equal_toIvEEsEE10hipError_tPvRmT2_T3_T4_T5_mT6_T7_P12ihipStream_tbENKUlT_T0_E_clISt17integral_constantIbLb0EESZ_EEDaSU_SV_EUlSU_E_NS1_11comp_targetILNS1_3genE10ELNS1_11target_archE1200ELNS1_3gpuE4ELNS1_3repE0EEENS1_30default_config_static_selectorELNS0_4arch9wavefront6targetE1EEEvT1_.kd
    .uniform_work_group_size: 1
    .uses_dynamic_stack: false
    .vgpr_count:     0
    .vgpr_spill_count: 0
    .wavefront_size: 64
  - .agpr_count:     0
    .args:
      - .offset:         0
        .size:           112
        .value_kind:     by_value
    .group_segment_fixed_size: 0
    .kernarg_segment_align: 8
    .kernarg_segment_size: 112
    .language:       OpenCL C
    .language_version:
      - 2
      - 0
    .max_flat_workgroup_size: 256
    .name:           _ZN7rocprim17ROCPRIM_400000_NS6detail17trampoline_kernelINS0_14default_configENS1_27scan_by_key_config_selectorIssEEZZNS1_16scan_by_key_implILNS1_25lookback_scan_determinismE0ELb0ES3_N6thrust23THRUST_200600_302600_NS6detail15normal_iteratorINS9_10device_ptrIsEEEESE_SE_sNS9_4plusIvEENS9_8equal_toIvEEsEE10hipError_tPvRmT2_T3_T4_T5_mT6_T7_P12ihipStream_tbENKUlT_T0_E_clISt17integral_constantIbLb0EESZ_EEDaSU_SV_EUlSU_E_NS1_11comp_targetILNS1_3genE9ELNS1_11target_archE1100ELNS1_3gpuE3ELNS1_3repE0EEENS1_30default_config_static_selectorELNS0_4arch9wavefront6targetE1EEEvT1_
    .private_segment_fixed_size: 0
    .sgpr_count:     6
    .sgpr_spill_count: 0
    .symbol:         _ZN7rocprim17ROCPRIM_400000_NS6detail17trampoline_kernelINS0_14default_configENS1_27scan_by_key_config_selectorIssEEZZNS1_16scan_by_key_implILNS1_25lookback_scan_determinismE0ELb0ES3_N6thrust23THRUST_200600_302600_NS6detail15normal_iteratorINS9_10device_ptrIsEEEESE_SE_sNS9_4plusIvEENS9_8equal_toIvEEsEE10hipError_tPvRmT2_T3_T4_T5_mT6_T7_P12ihipStream_tbENKUlT_T0_E_clISt17integral_constantIbLb0EESZ_EEDaSU_SV_EUlSU_E_NS1_11comp_targetILNS1_3genE9ELNS1_11target_archE1100ELNS1_3gpuE3ELNS1_3repE0EEENS1_30default_config_static_selectorELNS0_4arch9wavefront6targetE1EEEvT1_.kd
    .uniform_work_group_size: 1
    .uses_dynamic_stack: false
    .vgpr_count:     0
    .vgpr_spill_count: 0
    .wavefront_size: 64
  - .agpr_count:     0
    .args:
      - .offset:         0
        .size:           112
        .value_kind:     by_value
    .group_segment_fixed_size: 0
    .kernarg_segment_align: 8
    .kernarg_segment_size: 112
    .language:       OpenCL C
    .language_version:
      - 2
      - 0
    .max_flat_workgroup_size: 64
    .name:           _ZN7rocprim17ROCPRIM_400000_NS6detail17trampoline_kernelINS0_14default_configENS1_27scan_by_key_config_selectorIssEEZZNS1_16scan_by_key_implILNS1_25lookback_scan_determinismE0ELb0ES3_N6thrust23THRUST_200600_302600_NS6detail15normal_iteratorINS9_10device_ptrIsEEEESE_SE_sNS9_4plusIvEENS9_8equal_toIvEEsEE10hipError_tPvRmT2_T3_T4_T5_mT6_T7_P12ihipStream_tbENKUlT_T0_E_clISt17integral_constantIbLb0EESZ_EEDaSU_SV_EUlSU_E_NS1_11comp_targetILNS1_3genE8ELNS1_11target_archE1030ELNS1_3gpuE2ELNS1_3repE0EEENS1_30default_config_static_selectorELNS0_4arch9wavefront6targetE1EEEvT1_
    .private_segment_fixed_size: 0
    .sgpr_count:     6
    .sgpr_spill_count: 0
    .symbol:         _ZN7rocprim17ROCPRIM_400000_NS6detail17trampoline_kernelINS0_14default_configENS1_27scan_by_key_config_selectorIssEEZZNS1_16scan_by_key_implILNS1_25lookback_scan_determinismE0ELb0ES3_N6thrust23THRUST_200600_302600_NS6detail15normal_iteratorINS9_10device_ptrIsEEEESE_SE_sNS9_4plusIvEENS9_8equal_toIvEEsEE10hipError_tPvRmT2_T3_T4_T5_mT6_T7_P12ihipStream_tbENKUlT_T0_E_clISt17integral_constantIbLb0EESZ_EEDaSU_SV_EUlSU_E_NS1_11comp_targetILNS1_3genE8ELNS1_11target_archE1030ELNS1_3gpuE2ELNS1_3repE0EEENS1_30default_config_static_selectorELNS0_4arch9wavefront6targetE1EEEvT1_.kd
    .uniform_work_group_size: 1
    .uses_dynamic_stack: false
    .vgpr_count:     0
    .vgpr_spill_count: 0
    .wavefront_size: 64
  - .agpr_count:     0
    .args:
      - .address_space:  global
        .offset:         0
        .size:           8
        .value_kind:     global_buffer
      - .offset:         8
        .size:           4
        .value_kind:     by_value
      - .offset:         12
        .size:           4
        .value_kind:     by_value
      - .address_space:  global
        .offset:         16
        .size:           8
        .value_kind:     global_buffer
      - .address_space:  global
        .offset:         24
        .size:           8
        .value_kind:     global_buffer
      - .actual_access:  write_only
        .address_space:  global
        .offset:         32
        .size:           8
        .value_kind:     global_buffer
      - .offset:         40
        .size:           8
        .value_kind:     by_value
      - .offset:         48
        .size:           4
        .value_kind:     by_value
      - .address_space:  global
        .offset:         56
        .size:           8
        .value_kind:     global_buffer
      - .offset:         64
        .size:           4
        .value_kind:     hidden_block_count_x
      - .offset:         68
        .size:           4
        .value_kind:     hidden_block_count_y
      - .offset:         72
        .size:           4
        .value_kind:     hidden_block_count_z
      - .offset:         76
        .size:           2
        .value_kind:     hidden_group_size_x
      - .offset:         78
        .size:           2
        .value_kind:     hidden_group_size_y
      - .offset:         80
        .size:           2
        .value_kind:     hidden_group_size_z
      - .offset:         82
        .size:           2
        .value_kind:     hidden_remainder_x
      - .offset:         84
        .size:           2
        .value_kind:     hidden_remainder_y
      - .offset:         86
        .size:           2
        .value_kind:     hidden_remainder_z
      - .offset:         104
        .size:           8
        .value_kind:     hidden_global_offset_x
      - .offset:         112
        .size:           8
        .value_kind:     hidden_global_offset_y
      - .offset:         120
        .size:           8
        .value_kind:     hidden_global_offset_z
      - .offset:         128
        .size:           2
        .value_kind:     hidden_grid_dims
    .group_segment_fixed_size: 0
    .kernarg_segment_align: 8
    .kernarg_segment_size: 320
    .language:       OpenCL C
    .language_version:
      - 2
      - 0
    .max_flat_workgroup_size: 256
    .name:           _ZN7rocprim17ROCPRIM_400000_NS6detail30init_device_scan_by_key_kernelINS1_19lookback_scan_stateINS0_5tupleIJsbEEELb1ELb1EEEN6thrust23THRUST_200600_302600_NS6detail15normal_iteratorINS8_10device_ptrIsEEEEjNS1_16block_id_wrapperIjLb1EEEEEvT_jjPNSG_10value_typeET0_PNSt15iterator_traitsISJ_E10value_typeEmT1_T2_
    .private_segment_fixed_size: 0
    .sgpr_count:     24
    .sgpr_spill_count: 0
    .symbol:         _ZN7rocprim17ROCPRIM_400000_NS6detail30init_device_scan_by_key_kernelINS1_19lookback_scan_stateINS0_5tupleIJsbEEELb1ELb1EEEN6thrust23THRUST_200600_302600_NS6detail15normal_iteratorINS8_10device_ptrIsEEEEjNS1_16block_id_wrapperIjLb1EEEEEvT_jjPNSG_10value_typeET0_PNSt15iterator_traitsISJ_E10value_typeEmT1_T2_.kd
    .uniform_work_group_size: 1
    .uses_dynamic_stack: false
    .vgpr_count:     7
    .vgpr_spill_count: 0
    .wavefront_size: 64
  - .agpr_count:     0
    .args:
      - .address_space:  global
        .offset:         0
        .size:           8
        .value_kind:     global_buffer
      - .offset:         8
        .size:           4
        .value_kind:     by_value
      - .offset:         12
        .size:           4
        .value_kind:     by_value
      - .address_space:  global
        .offset:         16
        .size:           8
        .value_kind:     global_buffer
      - .address_space:  global
        .offset:         24
        .size:           8
        .value_kind:     global_buffer
      - .offset:         32
        .size:           4
        .value_kind:     hidden_block_count_x
      - .offset:         36
        .size:           4
        .value_kind:     hidden_block_count_y
      - .offset:         40
        .size:           4
        .value_kind:     hidden_block_count_z
      - .offset:         44
        .size:           2
        .value_kind:     hidden_group_size_x
      - .offset:         46
        .size:           2
        .value_kind:     hidden_group_size_y
      - .offset:         48
        .size:           2
        .value_kind:     hidden_group_size_z
      - .offset:         50
        .size:           2
        .value_kind:     hidden_remainder_x
      - .offset:         52
        .size:           2
        .value_kind:     hidden_remainder_y
      - .offset:         54
        .size:           2
        .value_kind:     hidden_remainder_z
      - .offset:         72
        .size:           8
        .value_kind:     hidden_global_offset_x
      - .offset:         80
        .size:           8
        .value_kind:     hidden_global_offset_y
      - .offset:         88
        .size:           8
        .value_kind:     hidden_global_offset_z
      - .offset:         96
        .size:           2
        .value_kind:     hidden_grid_dims
    .group_segment_fixed_size: 0
    .kernarg_segment_align: 8
    .kernarg_segment_size: 288
    .language:       OpenCL C
    .language_version:
      - 2
      - 0
    .max_flat_workgroup_size: 256
    .name:           _ZN7rocprim17ROCPRIM_400000_NS6detail30init_device_scan_by_key_kernelINS1_19lookback_scan_stateINS0_5tupleIJsbEEELb1ELb1EEENS1_16block_id_wrapperIjLb1EEEEEvT_jjPNS9_10value_typeET0_
    .private_segment_fixed_size: 0
    .sgpr_count:     20
    .sgpr_spill_count: 0
    .symbol:         _ZN7rocprim17ROCPRIM_400000_NS6detail30init_device_scan_by_key_kernelINS1_19lookback_scan_stateINS0_5tupleIJsbEEELb1ELb1EEENS1_16block_id_wrapperIjLb1EEEEEvT_jjPNS9_10value_typeET0_.kd
    .uniform_work_group_size: 1
    .uses_dynamic_stack: false
    .vgpr_count:     6
    .vgpr_spill_count: 0
    .wavefront_size: 64
  - .agpr_count:     0
    .args:
      - .offset:         0
        .size:           112
        .value_kind:     by_value
    .group_segment_fixed_size: 0
    .kernarg_segment_align: 8
    .kernarg_segment_size: 112
    .language:       OpenCL C
    .language_version:
      - 2
      - 0
    .max_flat_workgroup_size: 256
    .name:           _ZN7rocprim17ROCPRIM_400000_NS6detail17trampoline_kernelINS0_14default_configENS1_27scan_by_key_config_selectorIssEEZZNS1_16scan_by_key_implILNS1_25lookback_scan_determinismE0ELb0ES3_N6thrust23THRUST_200600_302600_NS6detail15normal_iteratorINS9_10device_ptrIsEEEESE_SE_sNS9_4plusIvEENS9_8equal_toIvEEsEE10hipError_tPvRmT2_T3_T4_T5_mT6_T7_P12ihipStream_tbENKUlT_T0_E_clISt17integral_constantIbLb1EESZ_EEDaSU_SV_EUlSU_E_NS1_11comp_targetILNS1_3genE0ELNS1_11target_archE4294967295ELNS1_3gpuE0ELNS1_3repE0EEENS1_30default_config_static_selectorELNS0_4arch9wavefront6targetE1EEEvT1_
    .private_segment_fixed_size: 0
    .sgpr_count:     6
    .sgpr_spill_count: 0
    .symbol:         _ZN7rocprim17ROCPRIM_400000_NS6detail17trampoline_kernelINS0_14default_configENS1_27scan_by_key_config_selectorIssEEZZNS1_16scan_by_key_implILNS1_25lookback_scan_determinismE0ELb0ES3_N6thrust23THRUST_200600_302600_NS6detail15normal_iteratorINS9_10device_ptrIsEEEESE_SE_sNS9_4plusIvEENS9_8equal_toIvEEsEE10hipError_tPvRmT2_T3_T4_T5_mT6_T7_P12ihipStream_tbENKUlT_T0_E_clISt17integral_constantIbLb1EESZ_EEDaSU_SV_EUlSU_E_NS1_11comp_targetILNS1_3genE0ELNS1_11target_archE4294967295ELNS1_3gpuE0ELNS1_3repE0EEENS1_30default_config_static_selectorELNS0_4arch9wavefront6targetE1EEEvT1_.kd
    .uniform_work_group_size: 1
    .uses_dynamic_stack: false
    .vgpr_count:     0
    .vgpr_spill_count: 0
    .wavefront_size: 64
  - .agpr_count:     0
    .args:
      - .offset:         0
        .size:           112
        .value_kind:     by_value
    .group_segment_fixed_size: 0
    .kernarg_segment_align: 8
    .kernarg_segment_size: 112
    .language:       OpenCL C
    .language_version:
      - 2
      - 0
    .max_flat_workgroup_size: 128
    .name:           _ZN7rocprim17ROCPRIM_400000_NS6detail17trampoline_kernelINS0_14default_configENS1_27scan_by_key_config_selectorIssEEZZNS1_16scan_by_key_implILNS1_25lookback_scan_determinismE0ELb0ES3_N6thrust23THRUST_200600_302600_NS6detail15normal_iteratorINS9_10device_ptrIsEEEESE_SE_sNS9_4plusIvEENS9_8equal_toIvEEsEE10hipError_tPvRmT2_T3_T4_T5_mT6_T7_P12ihipStream_tbENKUlT_T0_E_clISt17integral_constantIbLb1EESZ_EEDaSU_SV_EUlSU_E_NS1_11comp_targetILNS1_3genE10ELNS1_11target_archE1201ELNS1_3gpuE5ELNS1_3repE0EEENS1_30default_config_static_selectorELNS0_4arch9wavefront6targetE1EEEvT1_
    .private_segment_fixed_size: 0
    .sgpr_count:     6
    .sgpr_spill_count: 0
    .symbol:         _ZN7rocprim17ROCPRIM_400000_NS6detail17trampoline_kernelINS0_14default_configENS1_27scan_by_key_config_selectorIssEEZZNS1_16scan_by_key_implILNS1_25lookback_scan_determinismE0ELb0ES3_N6thrust23THRUST_200600_302600_NS6detail15normal_iteratorINS9_10device_ptrIsEEEESE_SE_sNS9_4plusIvEENS9_8equal_toIvEEsEE10hipError_tPvRmT2_T3_T4_T5_mT6_T7_P12ihipStream_tbENKUlT_T0_E_clISt17integral_constantIbLb1EESZ_EEDaSU_SV_EUlSU_E_NS1_11comp_targetILNS1_3genE10ELNS1_11target_archE1201ELNS1_3gpuE5ELNS1_3repE0EEENS1_30default_config_static_selectorELNS0_4arch9wavefront6targetE1EEEvT1_.kd
    .uniform_work_group_size: 1
    .uses_dynamic_stack: false
    .vgpr_count:     0
    .vgpr_spill_count: 0
    .wavefront_size: 64
  - .agpr_count:     0
    .args:
      - .offset:         0
        .size:           112
        .value_kind:     by_value
    .group_segment_fixed_size: 13312
    .kernarg_segment_align: 8
    .kernarg_segment_size: 112
    .language:       OpenCL C
    .language_version:
      - 2
      - 0
    .max_flat_workgroup_size: 256
    .name:           _ZN7rocprim17ROCPRIM_400000_NS6detail17trampoline_kernelINS0_14default_configENS1_27scan_by_key_config_selectorIssEEZZNS1_16scan_by_key_implILNS1_25lookback_scan_determinismE0ELb0ES3_N6thrust23THRUST_200600_302600_NS6detail15normal_iteratorINS9_10device_ptrIsEEEESE_SE_sNS9_4plusIvEENS9_8equal_toIvEEsEE10hipError_tPvRmT2_T3_T4_T5_mT6_T7_P12ihipStream_tbENKUlT_T0_E_clISt17integral_constantIbLb1EESZ_EEDaSU_SV_EUlSU_E_NS1_11comp_targetILNS1_3genE5ELNS1_11target_archE942ELNS1_3gpuE9ELNS1_3repE0EEENS1_30default_config_static_selectorELNS0_4arch9wavefront6targetE1EEEvT1_
    .private_segment_fixed_size: 0
    .sgpr_count:     93
    .sgpr_spill_count: 0
    .symbol:         _ZN7rocprim17ROCPRIM_400000_NS6detail17trampoline_kernelINS0_14default_configENS1_27scan_by_key_config_selectorIssEEZZNS1_16scan_by_key_implILNS1_25lookback_scan_determinismE0ELb0ES3_N6thrust23THRUST_200600_302600_NS6detail15normal_iteratorINS9_10device_ptrIsEEEESE_SE_sNS9_4plusIvEENS9_8equal_toIvEEsEE10hipError_tPvRmT2_T3_T4_T5_mT6_T7_P12ihipStream_tbENKUlT_T0_E_clISt17integral_constantIbLb1EESZ_EEDaSU_SV_EUlSU_E_NS1_11comp_targetILNS1_3genE5ELNS1_11target_archE942ELNS1_3gpuE9ELNS1_3repE0EEENS1_30default_config_static_selectorELNS0_4arch9wavefront6targetE1EEEvT1_.kd
    .uniform_work_group_size: 1
    .uses_dynamic_stack: false
    .vgpr_count:     63
    .vgpr_spill_count: 0
    .wavefront_size: 64
  - .agpr_count:     0
    .args:
      - .offset:         0
        .size:           112
        .value_kind:     by_value
    .group_segment_fixed_size: 0
    .kernarg_segment_align: 8
    .kernarg_segment_size: 112
    .language:       OpenCL C
    .language_version:
      - 2
      - 0
    .max_flat_workgroup_size: 256
    .name:           _ZN7rocprim17ROCPRIM_400000_NS6detail17trampoline_kernelINS0_14default_configENS1_27scan_by_key_config_selectorIssEEZZNS1_16scan_by_key_implILNS1_25lookback_scan_determinismE0ELb0ES3_N6thrust23THRUST_200600_302600_NS6detail15normal_iteratorINS9_10device_ptrIsEEEESE_SE_sNS9_4plusIvEENS9_8equal_toIvEEsEE10hipError_tPvRmT2_T3_T4_T5_mT6_T7_P12ihipStream_tbENKUlT_T0_E_clISt17integral_constantIbLb1EESZ_EEDaSU_SV_EUlSU_E_NS1_11comp_targetILNS1_3genE4ELNS1_11target_archE910ELNS1_3gpuE8ELNS1_3repE0EEENS1_30default_config_static_selectorELNS0_4arch9wavefront6targetE1EEEvT1_
    .private_segment_fixed_size: 0
    .sgpr_count:     6
    .sgpr_spill_count: 0
    .symbol:         _ZN7rocprim17ROCPRIM_400000_NS6detail17trampoline_kernelINS0_14default_configENS1_27scan_by_key_config_selectorIssEEZZNS1_16scan_by_key_implILNS1_25lookback_scan_determinismE0ELb0ES3_N6thrust23THRUST_200600_302600_NS6detail15normal_iteratorINS9_10device_ptrIsEEEESE_SE_sNS9_4plusIvEENS9_8equal_toIvEEsEE10hipError_tPvRmT2_T3_T4_T5_mT6_T7_P12ihipStream_tbENKUlT_T0_E_clISt17integral_constantIbLb1EESZ_EEDaSU_SV_EUlSU_E_NS1_11comp_targetILNS1_3genE4ELNS1_11target_archE910ELNS1_3gpuE8ELNS1_3repE0EEENS1_30default_config_static_selectorELNS0_4arch9wavefront6targetE1EEEvT1_.kd
    .uniform_work_group_size: 1
    .uses_dynamic_stack: false
    .vgpr_count:     0
    .vgpr_spill_count: 0
    .wavefront_size: 64
  - .agpr_count:     0
    .args:
      - .offset:         0
        .size:           112
        .value_kind:     by_value
    .group_segment_fixed_size: 0
    .kernarg_segment_align: 8
    .kernarg_segment_size: 112
    .language:       OpenCL C
    .language_version:
      - 2
      - 0
    .max_flat_workgroup_size: 256
    .name:           _ZN7rocprim17ROCPRIM_400000_NS6detail17trampoline_kernelINS0_14default_configENS1_27scan_by_key_config_selectorIssEEZZNS1_16scan_by_key_implILNS1_25lookback_scan_determinismE0ELb0ES3_N6thrust23THRUST_200600_302600_NS6detail15normal_iteratorINS9_10device_ptrIsEEEESE_SE_sNS9_4plusIvEENS9_8equal_toIvEEsEE10hipError_tPvRmT2_T3_T4_T5_mT6_T7_P12ihipStream_tbENKUlT_T0_E_clISt17integral_constantIbLb1EESZ_EEDaSU_SV_EUlSU_E_NS1_11comp_targetILNS1_3genE3ELNS1_11target_archE908ELNS1_3gpuE7ELNS1_3repE0EEENS1_30default_config_static_selectorELNS0_4arch9wavefront6targetE1EEEvT1_
    .private_segment_fixed_size: 0
    .sgpr_count:     6
    .sgpr_spill_count: 0
    .symbol:         _ZN7rocprim17ROCPRIM_400000_NS6detail17trampoline_kernelINS0_14default_configENS1_27scan_by_key_config_selectorIssEEZZNS1_16scan_by_key_implILNS1_25lookback_scan_determinismE0ELb0ES3_N6thrust23THRUST_200600_302600_NS6detail15normal_iteratorINS9_10device_ptrIsEEEESE_SE_sNS9_4plusIvEENS9_8equal_toIvEEsEE10hipError_tPvRmT2_T3_T4_T5_mT6_T7_P12ihipStream_tbENKUlT_T0_E_clISt17integral_constantIbLb1EESZ_EEDaSU_SV_EUlSU_E_NS1_11comp_targetILNS1_3genE3ELNS1_11target_archE908ELNS1_3gpuE7ELNS1_3repE0EEENS1_30default_config_static_selectorELNS0_4arch9wavefront6targetE1EEEvT1_.kd
    .uniform_work_group_size: 1
    .uses_dynamic_stack: false
    .vgpr_count:     0
    .vgpr_spill_count: 0
    .wavefront_size: 64
  - .agpr_count:     0
    .args:
      - .offset:         0
        .size:           112
        .value_kind:     by_value
    .group_segment_fixed_size: 0
    .kernarg_segment_align: 8
    .kernarg_segment_size: 112
    .language:       OpenCL C
    .language_version:
      - 2
      - 0
    .max_flat_workgroup_size: 64
    .name:           _ZN7rocprim17ROCPRIM_400000_NS6detail17trampoline_kernelINS0_14default_configENS1_27scan_by_key_config_selectorIssEEZZNS1_16scan_by_key_implILNS1_25lookback_scan_determinismE0ELb0ES3_N6thrust23THRUST_200600_302600_NS6detail15normal_iteratorINS9_10device_ptrIsEEEESE_SE_sNS9_4plusIvEENS9_8equal_toIvEEsEE10hipError_tPvRmT2_T3_T4_T5_mT6_T7_P12ihipStream_tbENKUlT_T0_E_clISt17integral_constantIbLb1EESZ_EEDaSU_SV_EUlSU_E_NS1_11comp_targetILNS1_3genE2ELNS1_11target_archE906ELNS1_3gpuE6ELNS1_3repE0EEENS1_30default_config_static_selectorELNS0_4arch9wavefront6targetE1EEEvT1_
    .private_segment_fixed_size: 0
    .sgpr_count:     6
    .sgpr_spill_count: 0
    .symbol:         _ZN7rocprim17ROCPRIM_400000_NS6detail17trampoline_kernelINS0_14default_configENS1_27scan_by_key_config_selectorIssEEZZNS1_16scan_by_key_implILNS1_25lookback_scan_determinismE0ELb0ES3_N6thrust23THRUST_200600_302600_NS6detail15normal_iteratorINS9_10device_ptrIsEEEESE_SE_sNS9_4plusIvEENS9_8equal_toIvEEsEE10hipError_tPvRmT2_T3_T4_T5_mT6_T7_P12ihipStream_tbENKUlT_T0_E_clISt17integral_constantIbLb1EESZ_EEDaSU_SV_EUlSU_E_NS1_11comp_targetILNS1_3genE2ELNS1_11target_archE906ELNS1_3gpuE6ELNS1_3repE0EEENS1_30default_config_static_selectorELNS0_4arch9wavefront6targetE1EEEvT1_.kd
    .uniform_work_group_size: 1
    .uses_dynamic_stack: false
    .vgpr_count:     0
    .vgpr_spill_count: 0
    .wavefront_size: 64
  - .agpr_count:     0
    .args:
      - .offset:         0
        .size:           112
        .value_kind:     by_value
    .group_segment_fixed_size: 0
    .kernarg_segment_align: 8
    .kernarg_segment_size: 112
    .language:       OpenCL C
    .language_version:
      - 2
      - 0
    .max_flat_workgroup_size: 256
    .name:           _ZN7rocprim17ROCPRIM_400000_NS6detail17trampoline_kernelINS0_14default_configENS1_27scan_by_key_config_selectorIssEEZZNS1_16scan_by_key_implILNS1_25lookback_scan_determinismE0ELb0ES3_N6thrust23THRUST_200600_302600_NS6detail15normal_iteratorINS9_10device_ptrIsEEEESE_SE_sNS9_4plusIvEENS9_8equal_toIvEEsEE10hipError_tPvRmT2_T3_T4_T5_mT6_T7_P12ihipStream_tbENKUlT_T0_E_clISt17integral_constantIbLb1EESZ_EEDaSU_SV_EUlSU_E_NS1_11comp_targetILNS1_3genE10ELNS1_11target_archE1200ELNS1_3gpuE4ELNS1_3repE0EEENS1_30default_config_static_selectorELNS0_4arch9wavefront6targetE1EEEvT1_
    .private_segment_fixed_size: 0
    .sgpr_count:     6
    .sgpr_spill_count: 0
    .symbol:         _ZN7rocprim17ROCPRIM_400000_NS6detail17trampoline_kernelINS0_14default_configENS1_27scan_by_key_config_selectorIssEEZZNS1_16scan_by_key_implILNS1_25lookback_scan_determinismE0ELb0ES3_N6thrust23THRUST_200600_302600_NS6detail15normal_iteratorINS9_10device_ptrIsEEEESE_SE_sNS9_4plusIvEENS9_8equal_toIvEEsEE10hipError_tPvRmT2_T3_T4_T5_mT6_T7_P12ihipStream_tbENKUlT_T0_E_clISt17integral_constantIbLb1EESZ_EEDaSU_SV_EUlSU_E_NS1_11comp_targetILNS1_3genE10ELNS1_11target_archE1200ELNS1_3gpuE4ELNS1_3repE0EEENS1_30default_config_static_selectorELNS0_4arch9wavefront6targetE1EEEvT1_.kd
    .uniform_work_group_size: 1
    .uses_dynamic_stack: false
    .vgpr_count:     0
    .vgpr_spill_count: 0
    .wavefront_size: 64
  - .agpr_count:     0
    .args:
      - .offset:         0
        .size:           112
        .value_kind:     by_value
    .group_segment_fixed_size: 0
    .kernarg_segment_align: 8
    .kernarg_segment_size: 112
    .language:       OpenCL C
    .language_version:
      - 2
      - 0
    .max_flat_workgroup_size: 256
    .name:           _ZN7rocprim17ROCPRIM_400000_NS6detail17trampoline_kernelINS0_14default_configENS1_27scan_by_key_config_selectorIssEEZZNS1_16scan_by_key_implILNS1_25lookback_scan_determinismE0ELb0ES3_N6thrust23THRUST_200600_302600_NS6detail15normal_iteratorINS9_10device_ptrIsEEEESE_SE_sNS9_4plusIvEENS9_8equal_toIvEEsEE10hipError_tPvRmT2_T3_T4_T5_mT6_T7_P12ihipStream_tbENKUlT_T0_E_clISt17integral_constantIbLb1EESZ_EEDaSU_SV_EUlSU_E_NS1_11comp_targetILNS1_3genE9ELNS1_11target_archE1100ELNS1_3gpuE3ELNS1_3repE0EEENS1_30default_config_static_selectorELNS0_4arch9wavefront6targetE1EEEvT1_
    .private_segment_fixed_size: 0
    .sgpr_count:     6
    .sgpr_spill_count: 0
    .symbol:         _ZN7rocprim17ROCPRIM_400000_NS6detail17trampoline_kernelINS0_14default_configENS1_27scan_by_key_config_selectorIssEEZZNS1_16scan_by_key_implILNS1_25lookback_scan_determinismE0ELb0ES3_N6thrust23THRUST_200600_302600_NS6detail15normal_iteratorINS9_10device_ptrIsEEEESE_SE_sNS9_4plusIvEENS9_8equal_toIvEEsEE10hipError_tPvRmT2_T3_T4_T5_mT6_T7_P12ihipStream_tbENKUlT_T0_E_clISt17integral_constantIbLb1EESZ_EEDaSU_SV_EUlSU_E_NS1_11comp_targetILNS1_3genE9ELNS1_11target_archE1100ELNS1_3gpuE3ELNS1_3repE0EEENS1_30default_config_static_selectorELNS0_4arch9wavefront6targetE1EEEvT1_.kd
    .uniform_work_group_size: 1
    .uses_dynamic_stack: false
    .vgpr_count:     0
    .vgpr_spill_count: 0
    .wavefront_size: 64
  - .agpr_count:     0
    .args:
      - .offset:         0
        .size:           112
        .value_kind:     by_value
    .group_segment_fixed_size: 0
    .kernarg_segment_align: 8
    .kernarg_segment_size: 112
    .language:       OpenCL C
    .language_version:
      - 2
      - 0
    .max_flat_workgroup_size: 64
    .name:           _ZN7rocprim17ROCPRIM_400000_NS6detail17trampoline_kernelINS0_14default_configENS1_27scan_by_key_config_selectorIssEEZZNS1_16scan_by_key_implILNS1_25lookback_scan_determinismE0ELb0ES3_N6thrust23THRUST_200600_302600_NS6detail15normal_iteratorINS9_10device_ptrIsEEEESE_SE_sNS9_4plusIvEENS9_8equal_toIvEEsEE10hipError_tPvRmT2_T3_T4_T5_mT6_T7_P12ihipStream_tbENKUlT_T0_E_clISt17integral_constantIbLb1EESZ_EEDaSU_SV_EUlSU_E_NS1_11comp_targetILNS1_3genE8ELNS1_11target_archE1030ELNS1_3gpuE2ELNS1_3repE0EEENS1_30default_config_static_selectorELNS0_4arch9wavefront6targetE1EEEvT1_
    .private_segment_fixed_size: 0
    .sgpr_count:     6
    .sgpr_spill_count: 0
    .symbol:         _ZN7rocprim17ROCPRIM_400000_NS6detail17trampoline_kernelINS0_14default_configENS1_27scan_by_key_config_selectorIssEEZZNS1_16scan_by_key_implILNS1_25lookback_scan_determinismE0ELb0ES3_N6thrust23THRUST_200600_302600_NS6detail15normal_iteratorINS9_10device_ptrIsEEEESE_SE_sNS9_4plusIvEENS9_8equal_toIvEEsEE10hipError_tPvRmT2_T3_T4_T5_mT6_T7_P12ihipStream_tbENKUlT_T0_E_clISt17integral_constantIbLb1EESZ_EEDaSU_SV_EUlSU_E_NS1_11comp_targetILNS1_3genE8ELNS1_11target_archE1030ELNS1_3gpuE2ELNS1_3repE0EEENS1_30default_config_static_selectorELNS0_4arch9wavefront6targetE1EEEvT1_.kd
    .uniform_work_group_size: 1
    .uses_dynamic_stack: false
    .vgpr_count:     0
    .vgpr_spill_count: 0
    .wavefront_size: 64
  - .agpr_count:     0
    .args:
      - .address_space:  global
        .offset:         0
        .size:           8
        .value_kind:     global_buffer
      - .offset:         8
        .size:           4
        .value_kind:     by_value
      - .offset:         12
        .size:           4
        .value_kind:     by_value
      - .address_space:  global
        .offset:         16
        .size:           8
        .value_kind:     global_buffer
      - .address_space:  global
        .offset:         24
        .size:           8
        .value_kind:     global_buffer
      - .actual_access:  write_only
        .address_space:  global
        .offset:         32
        .size:           8
        .value_kind:     global_buffer
      - .offset:         40
        .size:           8
        .value_kind:     by_value
      - .offset:         48
        .size:           4
        .value_kind:     by_value
      - .offset:         52
        .size:           1
        .value_kind:     by_value
      - .offset:         56
        .size:           4
        .value_kind:     hidden_block_count_x
      - .offset:         60
        .size:           4
        .value_kind:     hidden_block_count_y
      - .offset:         64
        .size:           4
        .value_kind:     hidden_block_count_z
      - .offset:         68
        .size:           2
        .value_kind:     hidden_group_size_x
      - .offset:         70
        .size:           2
        .value_kind:     hidden_group_size_y
      - .offset:         72
        .size:           2
        .value_kind:     hidden_group_size_z
      - .offset:         74
        .size:           2
        .value_kind:     hidden_remainder_x
      - .offset:         76
        .size:           2
        .value_kind:     hidden_remainder_y
      - .offset:         78
        .size:           2
        .value_kind:     hidden_remainder_z
      - .offset:         96
        .size:           8
        .value_kind:     hidden_global_offset_x
      - .offset:         104
        .size:           8
        .value_kind:     hidden_global_offset_y
      - .offset:         112
        .size:           8
        .value_kind:     hidden_global_offset_z
      - .offset:         120
        .size:           2
        .value_kind:     hidden_grid_dims
    .group_segment_fixed_size: 0
    .kernarg_segment_align: 8
    .kernarg_segment_size: 312
    .language:       OpenCL C
    .language_version:
      - 2
      - 0
    .max_flat_workgroup_size: 256
    .name:           _ZN7rocprim17ROCPRIM_400000_NS6detail30init_device_scan_by_key_kernelINS1_19lookback_scan_stateINS0_5tupleIJsbEEELb1ELb1EEEN6thrust23THRUST_200600_302600_NS6detail15normal_iteratorINS8_10device_ptrIsEEEEjNS1_16block_id_wrapperIjLb0EEEEEvT_jjPNSG_10value_typeET0_PNSt15iterator_traitsISJ_E10value_typeEmT1_T2_
    .private_segment_fixed_size: 0
    .sgpr_count:     24
    .sgpr_spill_count: 0
    .symbol:         _ZN7rocprim17ROCPRIM_400000_NS6detail30init_device_scan_by_key_kernelINS1_19lookback_scan_stateINS0_5tupleIJsbEEELb1ELb1EEEN6thrust23THRUST_200600_302600_NS6detail15normal_iteratorINS8_10device_ptrIsEEEEjNS1_16block_id_wrapperIjLb0EEEEEvT_jjPNSG_10value_typeET0_PNSt15iterator_traitsISJ_E10value_typeEmT1_T2_.kd
    .uniform_work_group_size: 1
    .uses_dynamic_stack: false
    .vgpr_count:     7
    .vgpr_spill_count: 0
    .wavefront_size: 64
  - .agpr_count:     0
    .args:
      - .address_space:  global
        .offset:         0
        .size:           8
        .value_kind:     global_buffer
      - .offset:         8
        .size:           4
        .value_kind:     by_value
      - .offset:         12
        .size:           4
        .value_kind:     by_value
      - .address_space:  global
        .offset:         16
        .size:           8
        .value_kind:     global_buffer
      - .offset:         24
        .size:           1
        .value_kind:     by_value
      - .offset:         32
        .size:           4
        .value_kind:     hidden_block_count_x
      - .offset:         36
        .size:           4
        .value_kind:     hidden_block_count_y
      - .offset:         40
        .size:           4
        .value_kind:     hidden_block_count_z
      - .offset:         44
        .size:           2
        .value_kind:     hidden_group_size_x
      - .offset:         46
        .size:           2
        .value_kind:     hidden_group_size_y
      - .offset:         48
        .size:           2
        .value_kind:     hidden_group_size_z
      - .offset:         50
        .size:           2
        .value_kind:     hidden_remainder_x
      - .offset:         52
        .size:           2
        .value_kind:     hidden_remainder_y
      - .offset:         54
        .size:           2
        .value_kind:     hidden_remainder_z
      - .offset:         72
        .size:           8
        .value_kind:     hidden_global_offset_x
      - .offset:         80
        .size:           8
        .value_kind:     hidden_global_offset_y
      - .offset:         88
        .size:           8
        .value_kind:     hidden_global_offset_z
      - .offset:         96
        .size:           2
        .value_kind:     hidden_grid_dims
    .group_segment_fixed_size: 0
    .kernarg_segment_align: 8
    .kernarg_segment_size: 288
    .language:       OpenCL C
    .language_version:
      - 2
      - 0
    .max_flat_workgroup_size: 256
    .name:           _ZN7rocprim17ROCPRIM_400000_NS6detail30init_device_scan_by_key_kernelINS1_19lookback_scan_stateINS0_5tupleIJsbEEELb1ELb1EEENS1_16block_id_wrapperIjLb0EEEEEvT_jjPNS9_10value_typeET0_
    .private_segment_fixed_size: 0
    .sgpr_count:     18
    .sgpr_spill_count: 0
    .symbol:         _ZN7rocprim17ROCPRIM_400000_NS6detail30init_device_scan_by_key_kernelINS1_19lookback_scan_stateINS0_5tupleIJsbEEELb1ELb1EEENS1_16block_id_wrapperIjLb0EEEEEvT_jjPNS9_10value_typeET0_.kd
    .uniform_work_group_size: 1
    .uses_dynamic_stack: false
    .vgpr_count:     6
    .vgpr_spill_count: 0
    .wavefront_size: 64
  - .agpr_count:     0
    .args:
      - .offset:         0
        .size:           112
        .value_kind:     by_value
    .group_segment_fixed_size: 0
    .kernarg_segment_align: 8
    .kernarg_segment_size: 112
    .language:       OpenCL C
    .language_version:
      - 2
      - 0
    .max_flat_workgroup_size: 256
    .name:           _ZN7rocprim17ROCPRIM_400000_NS6detail17trampoline_kernelINS0_14default_configENS1_27scan_by_key_config_selectorIssEEZZNS1_16scan_by_key_implILNS1_25lookback_scan_determinismE0ELb0ES3_N6thrust23THRUST_200600_302600_NS6detail15normal_iteratorINS9_10device_ptrIsEEEESE_SE_sNS9_4plusIvEENS9_8equal_toIvEEsEE10hipError_tPvRmT2_T3_T4_T5_mT6_T7_P12ihipStream_tbENKUlT_T0_E_clISt17integral_constantIbLb1EESY_IbLb0EEEEDaSU_SV_EUlSU_E_NS1_11comp_targetILNS1_3genE0ELNS1_11target_archE4294967295ELNS1_3gpuE0ELNS1_3repE0EEENS1_30default_config_static_selectorELNS0_4arch9wavefront6targetE1EEEvT1_
    .private_segment_fixed_size: 0
    .sgpr_count:     6
    .sgpr_spill_count: 0
    .symbol:         _ZN7rocprim17ROCPRIM_400000_NS6detail17trampoline_kernelINS0_14default_configENS1_27scan_by_key_config_selectorIssEEZZNS1_16scan_by_key_implILNS1_25lookback_scan_determinismE0ELb0ES3_N6thrust23THRUST_200600_302600_NS6detail15normal_iteratorINS9_10device_ptrIsEEEESE_SE_sNS9_4plusIvEENS9_8equal_toIvEEsEE10hipError_tPvRmT2_T3_T4_T5_mT6_T7_P12ihipStream_tbENKUlT_T0_E_clISt17integral_constantIbLb1EESY_IbLb0EEEEDaSU_SV_EUlSU_E_NS1_11comp_targetILNS1_3genE0ELNS1_11target_archE4294967295ELNS1_3gpuE0ELNS1_3repE0EEENS1_30default_config_static_selectorELNS0_4arch9wavefront6targetE1EEEvT1_.kd
    .uniform_work_group_size: 1
    .uses_dynamic_stack: false
    .vgpr_count:     0
    .vgpr_spill_count: 0
    .wavefront_size: 64
  - .agpr_count:     0
    .args:
      - .offset:         0
        .size:           112
        .value_kind:     by_value
    .group_segment_fixed_size: 0
    .kernarg_segment_align: 8
    .kernarg_segment_size: 112
    .language:       OpenCL C
    .language_version:
      - 2
      - 0
    .max_flat_workgroup_size: 128
    .name:           _ZN7rocprim17ROCPRIM_400000_NS6detail17trampoline_kernelINS0_14default_configENS1_27scan_by_key_config_selectorIssEEZZNS1_16scan_by_key_implILNS1_25lookback_scan_determinismE0ELb0ES3_N6thrust23THRUST_200600_302600_NS6detail15normal_iteratorINS9_10device_ptrIsEEEESE_SE_sNS9_4plusIvEENS9_8equal_toIvEEsEE10hipError_tPvRmT2_T3_T4_T5_mT6_T7_P12ihipStream_tbENKUlT_T0_E_clISt17integral_constantIbLb1EESY_IbLb0EEEEDaSU_SV_EUlSU_E_NS1_11comp_targetILNS1_3genE10ELNS1_11target_archE1201ELNS1_3gpuE5ELNS1_3repE0EEENS1_30default_config_static_selectorELNS0_4arch9wavefront6targetE1EEEvT1_
    .private_segment_fixed_size: 0
    .sgpr_count:     6
    .sgpr_spill_count: 0
    .symbol:         _ZN7rocprim17ROCPRIM_400000_NS6detail17trampoline_kernelINS0_14default_configENS1_27scan_by_key_config_selectorIssEEZZNS1_16scan_by_key_implILNS1_25lookback_scan_determinismE0ELb0ES3_N6thrust23THRUST_200600_302600_NS6detail15normal_iteratorINS9_10device_ptrIsEEEESE_SE_sNS9_4plusIvEENS9_8equal_toIvEEsEE10hipError_tPvRmT2_T3_T4_T5_mT6_T7_P12ihipStream_tbENKUlT_T0_E_clISt17integral_constantIbLb1EESY_IbLb0EEEEDaSU_SV_EUlSU_E_NS1_11comp_targetILNS1_3genE10ELNS1_11target_archE1201ELNS1_3gpuE5ELNS1_3repE0EEENS1_30default_config_static_selectorELNS0_4arch9wavefront6targetE1EEEvT1_.kd
    .uniform_work_group_size: 1
    .uses_dynamic_stack: false
    .vgpr_count:     0
    .vgpr_spill_count: 0
    .wavefront_size: 64
  - .agpr_count:     0
    .args:
      - .offset:         0
        .size:           112
        .value_kind:     by_value
    .group_segment_fixed_size: 13312
    .kernarg_segment_align: 8
    .kernarg_segment_size: 112
    .language:       OpenCL C
    .language_version:
      - 2
      - 0
    .max_flat_workgroup_size: 256
    .name:           _ZN7rocprim17ROCPRIM_400000_NS6detail17trampoline_kernelINS0_14default_configENS1_27scan_by_key_config_selectorIssEEZZNS1_16scan_by_key_implILNS1_25lookback_scan_determinismE0ELb0ES3_N6thrust23THRUST_200600_302600_NS6detail15normal_iteratorINS9_10device_ptrIsEEEESE_SE_sNS9_4plusIvEENS9_8equal_toIvEEsEE10hipError_tPvRmT2_T3_T4_T5_mT6_T7_P12ihipStream_tbENKUlT_T0_E_clISt17integral_constantIbLb1EESY_IbLb0EEEEDaSU_SV_EUlSU_E_NS1_11comp_targetILNS1_3genE5ELNS1_11target_archE942ELNS1_3gpuE9ELNS1_3repE0EEENS1_30default_config_static_selectorELNS0_4arch9wavefront6targetE1EEEvT1_
    .private_segment_fixed_size: 0
    .sgpr_count:     94
    .sgpr_spill_count: 0
    .symbol:         _ZN7rocprim17ROCPRIM_400000_NS6detail17trampoline_kernelINS0_14default_configENS1_27scan_by_key_config_selectorIssEEZZNS1_16scan_by_key_implILNS1_25lookback_scan_determinismE0ELb0ES3_N6thrust23THRUST_200600_302600_NS6detail15normal_iteratorINS9_10device_ptrIsEEEESE_SE_sNS9_4plusIvEENS9_8equal_toIvEEsEE10hipError_tPvRmT2_T3_T4_T5_mT6_T7_P12ihipStream_tbENKUlT_T0_E_clISt17integral_constantIbLb1EESY_IbLb0EEEEDaSU_SV_EUlSU_E_NS1_11comp_targetILNS1_3genE5ELNS1_11target_archE942ELNS1_3gpuE9ELNS1_3repE0EEENS1_30default_config_static_selectorELNS0_4arch9wavefront6targetE1EEEvT1_.kd
    .uniform_work_group_size: 1
    .uses_dynamic_stack: false
    .vgpr_count:     63
    .vgpr_spill_count: 0
    .wavefront_size: 64
  - .agpr_count:     0
    .args:
      - .offset:         0
        .size:           112
        .value_kind:     by_value
    .group_segment_fixed_size: 0
    .kernarg_segment_align: 8
    .kernarg_segment_size: 112
    .language:       OpenCL C
    .language_version:
      - 2
      - 0
    .max_flat_workgroup_size: 256
    .name:           _ZN7rocprim17ROCPRIM_400000_NS6detail17trampoline_kernelINS0_14default_configENS1_27scan_by_key_config_selectorIssEEZZNS1_16scan_by_key_implILNS1_25lookback_scan_determinismE0ELb0ES3_N6thrust23THRUST_200600_302600_NS6detail15normal_iteratorINS9_10device_ptrIsEEEESE_SE_sNS9_4plusIvEENS9_8equal_toIvEEsEE10hipError_tPvRmT2_T3_T4_T5_mT6_T7_P12ihipStream_tbENKUlT_T0_E_clISt17integral_constantIbLb1EESY_IbLb0EEEEDaSU_SV_EUlSU_E_NS1_11comp_targetILNS1_3genE4ELNS1_11target_archE910ELNS1_3gpuE8ELNS1_3repE0EEENS1_30default_config_static_selectorELNS0_4arch9wavefront6targetE1EEEvT1_
    .private_segment_fixed_size: 0
    .sgpr_count:     6
    .sgpr_spill_count: 0
    .symbol:         _ZN7rocprim17ROCPRIM_400000_NS6detail17trampoline_kernelINS0_14default_configENS1_27scan_by_key_config_selectorIssEEZZNS1_16scan_by_key_implILNS1_25lookback_scan_determinismE0ELb0ES3_N6thrust23THRUST_200600_302600_NS6detail15normal_iteratorINS9_10device_ptrIsEEEESE_SE_sNS9_4plusIvEENS9_8equal_toIvEEsEE10hipError_tPvRmT2_T3_T4_T5_mT6_T7_P12ihipStream_tbENKUlT_T0_E_clISt17integral_constantIbLb1EESY_IbLb0EEEEDaSU_SV_EUlSU_E_NS1_11comp_targetILNS1_3genE4ELNS1_11target_archE910ELNS1_3gpuE8ELNS1_3repE0EEENS1_30default_config_static_selectorELNS0_4arch9wavefront6targetE1EEEvT1_.kd
    .uniform_work_group_size: 1
    .uses_dynamic_stack: false
    .vgpr_count:     0
    .vgpr_spill_count: 0
    .wavefront_size: 64
  - .agpr_count:     0
    .args:
      - .offset:         0
        .size:           112
        .value_kind:     by_value
    .group_segment_fixed_size: 0
    .kernarg_segment_align: 8
    .kernarg_segment_size: 112
    .language:       OpenCL C
    .language_version:
      - 2
      - 0
    .max_flat_workgroup_size: 256
    .name:           _ZN7rocprim17ROCPRIM_400000_NS6detail17trampoline_kernelINS0_14default_configENS1_27scan_by_key_config_selectorIssEEZZNS1_16scan_by_key_implILNS1_25lookback_scan_determinismE0ELb0ES3_N6thrust23THRUST_200600_302600_NS6detail15normal_iteratorINS9_10device_ptrIsEEEESE_SE_sNS9_4plusIvEENS9_8equal_toIvEEsEE10hipError_tPvRmT2_T3_T4_T5_mT6_T7_P12ihipStream_tbENKUlT_T0_E_clISt17integral_constantIbLb1EESY_IbLb0EEEEDaSU_SV_EUlSU_E_NS1_11comp_targetILNS1_3genE3ELNS1_11target_archE908ELNS1_3gpuE7ELNS1_3repE0EEENS1_30default_config_static_selectorELNS0_4arch9wavefront6targetE1EEEvT1_
    .private_segment_fixed_size: 0
    .sgpr_count:     6
    .sgpr_spill_count: 0
    .symbol:         _ZN7rocprim17ROCPRIM_400000_NS6detail17trampoline_kernelINS0_14default_configENS1_27scan_by_key_config_selectorIssEEZZNS1_16scan_by_key_implILNS1_25lookback_scan_determinismE0ELb0ES3_N6thrust23THRUST_200600_302600_NS6detail15normal_iteratorINS9_10device_ptrIsEEEESE_SE_sNS9_4plusIvEENS9_8equal_toIvEEsEE10hipError_tPvRmT2_T3_T4_T5_mT6_T7_P12ihipStream_tbENKUlT_T0_E_clISt17integral_constantIbLb1EESY_IbLb0EEEEDaSU_SV_EUlSU_E_NS1_11comp_targetILNS1_3genE3ELNS1_11target_archE908ELNS1_3gpuE7ELNS1_3repE0EEENS1_30default_config_static_selectorELNS0_4arch9wavefront6targetE1EEEvT1_.kd
    .uniform_work_group_size: 1
    .uses_dynamic_stack: false
    .vgpr_count:     0
    .vgpr_spill_count: 0
    .wavefront_size: 64
  - .agpr_count:     0
    .args:
      - .offset:         0
        .size:           112
        .value_kind:     by_value
    .group_segment_fixed_size: 0
    .kernarg_segment_align: 8
    .kernarg_segment_size: 112
    .language:       OpenCL C
    .language_version:
      - 2
      - 0
    .max_flat_workgroup_size: 64
    .name:           _ZN7rocprim17ROCPRIM_400000_NS6detail17trampoline_kernelINS0_14default_configENS1_27scan_by_key_config_selectorIssEEZZNS1_16scan_by_key_implILNS1_25lookback_scan_determinismE0ELb0ES3_N6thrust23THRUST_200600_302600_NS6detail15normal_iteratorINS9_10device_ptrIsEEEESE_SE_sNS9_4plusIvEENS9_8equal_toIvEEsEE10hipError_tPvRmT2_T3_T4_T5_mT6_T7_P12ihipStream_tbENKUlT_T0_E_clISt17integral_constantIbLb1EESY_IbLb0EEEEDaSU_SV_EUlSU_E_NS1_11comp_targetILNS1_3genE2ELNS1_11target_archE906ELNS1_3gpuE6ELNS1_3repE0EEENS1_30default_config_static_selectorELNS0_4arch9wavefront6targetE1EEEvT1_
    .private_segment_fixed_size: 0
    .sgpr_count:     6
    .sgpr_spill_count: 0
    .symbol:         _ZN7rocprim17ROCPRIM_400000_NS6detail17trampoline_kernelINS0_14default_configENS1_27scan_by_key_config_selectorIssEEZZNS1_16scan_by_key_implILNS1_25lookback_scan_determinismE0ELb0ES3_N6thrust23THRUST_200600_302600_NS6detail15normal_iteratorINS9_10device_ptrIsEEEESE_SE_sNS9_4plusIvEENS9_8equal_toIvEEsEE10hipError_tPvRmT2_T3_T4_T5_mT6_T7_P12ihipStream_tbENKUlT_T0_E_clISt17integral_constantIbLb1EESY_IbLb0EEEEDaSU_SV_EUlSU_E_NS1_11comp_targetILNS1_3genE2ELNS1_11target_archE906ELNS1_3gpuE6ELNS1_3repE0EEENS1_30default_config_static_selectorELNS0_4arch9wavefront6targetE1EEEvT1_.kd
    .uniform_work_group_size: 1
    .uses_dynamic_stack: false
    .vgpr_count:     0
    .vgpr_spill_count: 0
    .wavefront_size: 64
  - .agpr_count:     0
    .args:
      - .offset:         0
        .size:           112
        .value_kind:     by_value
    .group_segment_fixed_size: 0
    .kernarg_segment_align: 8
    .kernarg_segment_size: 112
    .language:       OpenCL C
    .language_version:
      - 2
      - 0
    .max_flat_workgroup_size: 256
    .name:           _ZN7rocprim17ROCPRIM_400000_NS6detail17trampoline_kernelINS0_14default_configENS1_27scan_by_key_config_selectorIssEEZZNS1_16scan_by_key_implILNS1_25lookback_scan_determinismE0ELb0ES3_N6thrust23THRUST_200600_302600_NS6detail15normal_iteratorINS9_10device_ptrIsEEEESE_SE_sNS9_4plusIvEENS9_8equal_toIvEEsEE10hipError_tPvRmT2_T3_T4_T5_mT6_T7_P12ihipStream_tbENKUlT_T0_E_clISt17integral_constantIbLb1EESY_IbLb0EEEEDaSU_SV_EUlSU_E_NS1_11comp_targetILNS1_3genE10ELNS1_11target_archE1200ELNS1_3gpuE4ELNS1_3repE0EEENS1_30default_config_static_selectorELNS0_4arch9wavefront6targetE1EEEvT1_
    .private_segment_fixed_size: 0
    .sgpr_count:     6
    .sgpr_spill_count: 0
    .symbol:         _ZN7rocprim17ROCPRIM_400000_NS6detail17trampoline_kernelINS0_14default_configENS1_27scan_by_key_config_selectorIssEEZZNS1_16scan_by_key_implILNS1_25lookback_scan_determinismE0ELb0ES3_N6thrust23THRUST_200600_302600_NS6detail15normal_iteratorINS9_10device_ptrIsEEEESE_SE_sNS9_4plusIvEENS9_8equal_toIvEEsEE10hipError_tPvRmT2_T3_T4_T5_mT6_T7_P12ihipStream_tbENKUlT_T0_E_clISt17integral_constantIbLb1EESY_IbLb0EEEEDaSU_SV_EUlSU_E_NS1_11comp_targetILNS1_3genE10ELNS1_11target_archE1200ELNS1_3gpuE4ELNS1_3repE0EEENS1_30default_config_static_selectorELNS0_4arch9wavefront6targetE1EEEvT1_.kd
    .uniform_work_group_size: 1
    .uses_dynamic_stack: false
    .vgpr_count:     0
    .vgpr_spill_count: 0
    .wavefront_size: 64
  - .agpr_count:     0
    .args:
      - .offset:         0
        .size:           112
        .value_kind:     by_value
    .group_segment_fixed_size: 0
    .kernarg_segment_align: 8
    .kernarg_segment_size: 112
    .language:       OpenCL C
    .language_version:
      - 2
      - 0
    .max_flat_workgroup_size: 256
    .name:           _ZN7rocprim17ROCPRIM_400000_NS6detail17trampoline_kernelINS0_14default_configENS1_27scan_by_key_config_selectorIssEEZZNS1_16scan_by_key_implILNS1_25lookback_scan_determinismE0ELb0ES3_N6thrust23THRUST_200600_302600_NS6detail15normal_iteratorINS9_10device_ptrIsEEEESE_SE_sNS9_4plusIvEENS9_8equal_toIvEEsEE10hipError_tPvRmT2_T3_T4_T5_mT6_T7_P12ihipStream_tbENKUlT_T0_E_clISt17integral_constantIbLb1EESY_IbLb0EEEEDaSU_SV_EUlSU_E_NS1_11comp_targetILNS1_3genE9ELNS1_11target_archE1100ELNS1_3gpuE3ELNS1_3repE0EEENS1_30default_config_static_selectorELNS0_4arch9wavefront6targetE1EEEvT1_
    .private_segment_fixed_size: 0
    .sgpr_count:     6
    .sgpr_spill_count: 0
    .symbol:         _ZN7rocprim17ROCPRIM_400000_NS6detail17trampoline_kernelINS0_14default_configENS1_27scan_by_key_config_selectorIssEEZZNS1_16scan_by_key_implILNS1_25lookback_scan_determinismE0ELb0ES3_N6thrust23THRUST_200600_302600_NS6detail15normal_iteratorINS9_10device_ptrIsEEEESE_SE_sNS9_4plusIvEENS9_8equal_toIvEEsEE10hipError_tPvRmT2_T3_T4_T5_mT6_T7_P12ihipStream_tbENKUlT_T0_E_clISt17integral_constantIbLb1EESY_IbLb0EEEEDaSU_SV_EUlSU_E_NS1_11comp_targetILNS1_3genE9ELNS1_11target_archE1100ELNS1_3gpuE3ELNS1_3repE0EEENS1_30default_config_static_selectorELNS0_4arch9wavefront6targetE1EEEvT1_.kd
    .uniform_work_group_size: 1
    .uses_dynamic_stack: false
    .vgpr_count:     0
    .vgpr_spill_count: 0
    .wavefront_size: 64
  - .agpr_count:     0
    .args:
      - .offset:         0
        .size:           112
        .value_kind:     by_value
    .group_segment_fixed_size: 0
    .kernarg_segment_align: 8
    .kernarg_segment_size: 112
    .language:       OpenCL C
    .language_version:
      - 2
      - 0
    .max_flat_workgroup_size: 64
    .name:           _ZN7rocprim17ROCPRIM_400000_NS6detail17trampoline_kernelINS0_14default_configENS1_27scan_by_key_config_selectorIssEEZZNS1_16scan_by_key_implILNS1_25lookback_scan_determinismE0ELb0ES3_N6thrust23THRUST_200600_302600_NS6detail15normal_iteratorINS9_10device_ptrIsEEEESE_SE_sNS9_4plusIvEENS9_8equal_toIvEEsEE10hipError_tPvRmT2_T3_T4_T5_mT6_T7_P12ihipStream_tbENKUlT_T0_E_clISt17integral_constantIbLb1EESY_IbLb0EEEEDaSU_SV_EUlSU_E_NS1_11comp_targetILNS1_3genE8ELNS1_11target_archE1030ELNS1_3gpuE2ELNS1_3repE0EEENS1_30default_config_static_selectorELNS0_4arch9wavefront6targetE1EEEvT1_
    .private_segment_fixed_size: 0
    .sgpr_count:     6
    .sgpr_spill_count: 0
    .symbol:         _ZN7rocprim17ROCPRIM_400000_NS6detail17trampoline_kernelINS0_14default_configENS1_27scan_by_key_config_selectorIssEEZZNS1_16scan_by_key_implILNS1_25lookback_scan_determinismE0ELb0ES3_N6thrust23THRUST_200600_302600_NS6detail15normal_iteratorINS9_10device_ptrIsEEEESE_SE_sNS9_4plusIvEENS9_8equal_toIvEEsEE10hipError_tPvRmT2_T3_T4_T5_mT6_T7_P12ihipStream_tbENKUlT_T0_E_clISt17integral_constantIbLb1EESY_IbLb0EEEEDaSU_SV_EUlSU_E_NS1_11comp_targetILNS1_3genE8ELNS1_11target_archE1030ELNS1_3gpuE2ELNS1_3repE0EEENS1_30default_config_static_selectorELNS0_4arch9wavefront6targetE1EEEvT1_.kd
    .uniform_work_group_size: 1
    .uses_dynamic_stack: false
    .vgpr_count:     0
    .vgpr_spill_count: 0
    .wavefront_size: 64
  - .agpr_count:     0
    .args:
      - .address_space:  global
        .offset:         0
        .size:           8
        .value_kind:     global_buffer
      - .offset:         8
        .size:           4
        .value_kind:     by_value
      - .offset:         12
        .size:           4
        .value_kind:     by_value
      - .address_space:  global
        .offset:         16
        .size:           8
        .value_kind:     global_buffer
      - .address_space:  global
        .offset:         24
        .size:           8
        .value_kind:     global_buffer
      - .actual_access:  write_only
        .address_space:  global
        .offset:         32
        .size:           8
        .value_kind:     global_buffer
      - .offset:         40
        .size:           8
        .value_kind:     by_value
      - .offset:         48
        .size:           4
        .value_kind:     by_value
      - .address_space:  global
        .offset:         56
        .size:           8
        .value_kind:     global_buffer
      - .offset:         64
        .size:           4
        .value_kind:     hidden_block_count_x
      - .offset:         68
        .size:           4
        .value_kind:     hidden_block_count_y
      - .offset:         72
        .size:           4
        .value_kind:     hidden_block_count_z
      - .offset:         76
        .size:           2
        .value_kind:     hidden_group_size_x
      - .offset:         78
        .size:           2
        .value_kind:     hidden_group_size_y
      - .offset:         80
        .size:           2
        .value_kind:     hidden_group_size_z
      - .offset:         82
        .size:           2
        .value_kind:     hidden_remainder_x
      - .offset:         84
        .size:           2
        .value_kind:     hidden_remainder_y
      - .offset:         86
        .size:           2
        .value_kind:     hidden_remainder_z
      - .offset:         104
        .size:           8
        .value_kind:     hidden_global_offset_x
      - .offset:         112
        .size:           8
        .value_kind:     hidden_global_offset_y
      - .offset:         120
        .size:           8
        .value_kind:     hidden_global_offset_z
      - .offset:         128
        .size:           2
        .value_kind:     hidden_grid_dims
    .group_segment_fixed_size: 0
    .kernarg_segment_align: 8
    .kernarg_segment_size: 320
    .language:       OpenCL C
    .language_version:
      - 2
      - 0
    .max_flat_workgroup_size: 256
    .name:           _ZN7rocprim17ROCPRIM_400000_NS6detail30init_device_scan_by_key_kernelINS1_19lookback_scan_stateINS0_5tupleIJsbEEELb0ELb1EEEN6thrust23THRUST_200600_302600_NS6detail15normal_iteratorINS8_10device_ptrIsEEEEjNS1_16block_id_wrapperIjLb1EEEEEvT_jjPNSG_10value_typeET0_PNSt15iterator_traitsISJ_E10value_typeEmT1_T2_
    .private_segment_fixed_size: 0
    .sgpr_count:     22
    .sgpr_spill_count: 0
    .symbol:         _ZN7rocprim17ROCPRIM_400000_NS6detail30init_device_scan_by_key_kernelINS1_19lookback_scan_stateINS0_5tupleIJsbEEELb0ELb1EEEN6thrust23THRUST_200600_302600_NS6detail15normal_iteratorINS8_10device_ptrIsEEEEjNS1_16block_id_wrapperIjLb1EEEEEvT_jjPNSG_10value_typeET0_PNSt15iterator_traitsISJ_E10value_typeEmT1_T2_.kd
    .uniform_work_group_size: 1
    .uses_dynamic_stack: false
    .vgpr_count:     7
    .vgpr_spill_count: 0
    .wavefront_size: 64
  - .agpr_count:     0
    .args:
      - .address_space:  global
        .offset:         0
        .size:           8
        .value_kind:     global_buffer
      - .offset:         8
        .size:           4
        .value_kind:     by_value
      - .offset:         12
        .size:           4
        .value_kind:     by_value
      - .address_space:  global
        .offset:         16
        .size:           8
        .value_kind:     global_buffer
      - .address_space:  global
        .offset:         24
        .size:           8
        .value_kind:     global_buffer
      - .offset:         32
        .size:           4
        .value_kind:     hidden_block_count_x
      - .offset:         36
        .size:           4
        .value_kind:     hidden_block_count_y
      - .offset:         40
        .size:           4
        .value_kind:     hidden_block_count_z
      - .offset:         44
        .size:           2
        .value_kind:     hidden_group_size_x
      - .offset:         46
        .size:           2
        .value_kind:     hidden_group_size_y
      - .offset:         48
        .size:           2
        .value_kind:     hidden_group_size_z
      - .offset:         50
        .size:           2
        .value_kind:     hidden_remainder_x
      - .offset:         52
        .size:           2
        .value_kind:     hidden_remainder_y
      - .offset:         54
        .size:           2
        .value_kind:     hidden_remainder_z
      - .offset:         72
        .size:           8
        .value_kind:     hidden_global_offset_x
      - .offset:         80
        .size:           8
        .value_kind:     hidden_global_offset_y
      - .offset:         88
        .size:           8
        .value_kind:     hidden_global_offset_z
      - .offset:         96
        .size:           2
        .value_kind:     hidden_grid_dims
    .group_segment_fixed_size: 0
    .kernarg_segment_align: 8
    .kernarg_segment_size: 288
    .language:       OpenCL C
    .language_version:
      - 2
      - 0
    .max_flat_workgroup_size: 256
    .name:           _ZN7rocprim17ROCPRIM_400000_NS6detail30init_device_scan_by_key_kernelINS1_19lookback_scan_stateINS0_5tupleIJsbEEELb0ELb1EEENS1_16block_id_wrapperIjLb1EEEEEvT_jjPNS9_10value_typeET0_
    .private_segment_fixed_size: 0
    .sgpr_count:     18
    .sgpr_spill_count: 0
    .symbol:         _ZN7rocprim17ROCPRIM_400000_NS6detail30init_device_scan_by_key_kernelINS1_19lookback_scan_stateINS0_5tupleIJsbEEELb0ELb1EEENS1_16block_id_wrapperIjLb1EEEEEvT_jjPNS9_10value_typeET0_.kd
    .uniform_work_group_size: 1
    .uses_dynamic_stack: false
    .vgpr_count:     6
    .vgpr_spill_count: 0
    .wavefront_size: 64
  - .agpr_count:     0
    .args:
      - .offset:         0
        .size:           112
        .value_kind:     by_value
    .group_segment_fixed_size: 0
    .kernarg_segment_align: 8
    .kernarg_segment_size: 112
    .language:       OpenCL C
    .language_version:
      - 2
      - 0
    .max_flat_workgroup_size: 256
    .name:           _ZN7rocprim17ROCPRIM_400000_NS6detail17trampoline_kernelINS0_14default_configENS1_27scan_by_key_config_selectorIssEEZZNS1_16scan_by_key_implILNS1_25lookback_scan_determinismE0ELb0ES3_N6thrust23THRUST_200600_302600_NS6detail15normal_iteratorINS9_10device_ptrIsEEEESE_SE_sNS9_4plusIvEENS9_8equal_toIvEEsEE10hipError_tPvRmT2_T3_T4_T5_mT6_T7_P12ihipStream_tbENKUlT_T0_E_clISt17integral_constantIbLb0EESY_IbLb1EEEEDaSU_SV_EUlSU_E_NS1_11comp_targetILNS1_3genE0ELNS1_11target_archE4294967295ELNS1_3gpuE0ELNS1_3repE0EEENS1_30default_config_static_selectorELNS0_4arch9wavefront6targetE1EEEvT1_
    .private_segment_fixed_size: 0
    .sgpr_count:     6
    .sgpr_spill_count: 0
    .symbol:         _ZN7rocprim17ROCPRIM_400000_NS6detail17trampoline_kernelINS0_14default_configENS1_27scan_by_key_config_selectorIssEEZZNS1_16scan_by_key_implILNS1_25lookback_scan_determinismE0ELb0ES3_N6thrust23THRUST_200600_302600_NS6detail15normal_iteratorINS9_10device_ptrIsEEEESE_SE_sNS9_4plusIvEENS9_8equal_toIvEEsEE10hipError_tPvRmT2_T3_T4_T5_mT6_T7_P12ihipStream_tbENKUlT_T0_E_clISt17integral_constantIbLb0EESY_IbLb1EEEEDaSU_SV_EUlSU_E_NS1_11comp_targetILNS1_3genE0ELNS1_11target_archE4294967295ELNS1_3gpuE0ELNS1_3repE0EEENS1_30default_config_static_selectorELNS0_4arch9wavefront6targetE1EEEvT1_.kd
    .uniform_work_group_size: 1
    .uses_dynamic_stack: false
    .vgpr_count:     0
    .vgpr_spill_count: 0
    .wavefront_size: 64
  - .agpr_count:     0
    .args:
      - .offset:         0
        .size:           112
        .value_kind:     by_value
    .group_segment_fixed_size: 0
    .kernarg_segment_align: 8
    .kernarg_segment_size: 112
    .language:       OpenCL C
    .language_version:
      - 2
      - 0
    .max_flat_workgroup_size: 128
    .name:           _ZN7rocprim17ROCPRIM_400000_NS6detail17trampoline_kernelINS0_14default_configENS1_27scan_by_key_config_selectorIssEEZZNS1_16scan_by_key_implILNS1_25lookback_scan_determinismE0ELb0ES3_N6thrust23THRUST_200600_302600_NS6detail15normal_iteratorINS9_10device_ptrIsEEEESE_SE_sNS9_4plusIvEENS9_8equal_toIvEEsEE10hipError_tPvRmT2_T3_T4_T5_mT6_T7_P12ihipStream_tbENKUlT_T0_E_clISt17integral_constantIbLb0EESY_IbLb1EEEEDaSU_SV_EUlSU_E_NS1_11comp_targetILNS1_3genE10ELNS1_11target_archE1201ELNS1_3gpuE5ELNS1_3repE0EEENS1_30default_config_static_selectorELNS0_4arch9wavefront6targetE1EEEvT1_
    .private_segment_fixed_size: 0
    .sgpr_count:     6
    .sgpr_spill_count: 0
    .symbol:         _ZN7rocprim17ROCPRIM_400000_NS6detail17trampoline_kernelINS0_14default_configENS1_27scan_by_key_config_selectorIssEEZZNS1_16scan_by_key_implILNS1_25lookback_scan_determinismE0ELb0ES3_N6thrust23THRUST_200600_302600_NS6detail15normal_iteratorINS9_10device_ptrIsEEEESE_SE_sNS9_4plusIvEENS9_8equal_toIvEEsEE10hipError_tPvRmT2_T3_T4_T5_mT6_T7_P12ihipStream_tbENKUlT_T0_E_clISt17integral_constantIbLb0EESY_IbLb1EEEEDaSU_SV_EUlSU_E_NS1_11comp_targetILNS1_3genE10ELNS1_11target_archE1201ELNS1_3gpuE5ELNS1_3repE0EEENS1_30default_config_static_selectorELNS0_4arch9wavefront6targetE1EEEvT1_.kd
    .uniform_work_group_size: 1
    .uses_dynamic_stack: false
    .vgpr_count:     0
    .vgpr_spill_count: 0
    .wavefront_size: 64
  - .agpr_count:     0
    .args:
      - .offset:         0
        .size:           112
        .value_kind:     by_value
    .group_segment_fixed_size: 13312
    .kernarg_segment_align: 8
    .kernarg_segment_size: 112
    .language:       OpenCL C
    .language_version:
      - 2
      - 0
    .max_flat_workgroup_size: 256
    .name:           _ZN7rocprim17ROCPRIM_400000_NS6detail17trampoline_kernelINS0_14default_configENS1_27scan_by_key_config_selectorIssEEZZNS1_16scan_by_key_implILNS1_25lookback_scan_determinismE0ELb0ES3_N6thrust23THRUST_200600_302600_NS6detail15normal_iteratorINS9_10device_ptrIsEEEESE_SE_sNS9_4plusIvEENS9_8equal_toIvEEsEE10hipError_tPvRmT2_T3_T4_T5_mT6_T7_P12ihipStream_tbENKUlT_T0_E_clISt17integral_constantIbLb0EESY_IbLb1EEEEDaSU_SV_EUlSU_E_NS1_11comp_targetILNS1_3genE5ELNS1_11target_archE942ELNS1_3gpuE9ELNS1_3repE0EEENS1_30default_config_static_selectorELNS0_4arch9wavefront6targetE1EEEvT1_
    .private_segment_fixed_size: 0
    .sgpr_count:     93
    .sgpr_spill_count: 0
    .symbol:         _ZN7rocprim17ROCPRIM_400000_NS6detail17trampoline_kernelINS0_14default_configENS1_27scan_by_key_config_selectorIssEEZZNS1_16scan_by_key_implILNS1_25lookback_scan_determinismE0ELb0ES3_N6thrust23THRUST_200600_302600_NS6detail15normal_iteratorINS9_10device_ptrIsEEEESE_SE_sNS9_4plusIvEENS9_8equal_toIvEEsEE10hipError_tPvRmT2_T3_T4_T5_mT6_T7_P12ihipStream_tbENKUlT_T0_E_clISt17integral_constantIbLb0EESY_IbLb1EEEEDaSU_SV_EUlSU_E_NS1_11comp_targetILNS1_3genE5ELNS1_11target_archE942ELNS1_3gpuE9ELNS1_3repE0EEENS1_30default_config_static_selectorELNS0_4arch9wavefront6targetE1EEEvT1_.kd
    .uniform_work_group_size: 1
    .uses_dynamic_stack: false
    .vgpr_count:     63
    .vgpr_spill_count: 0
    .wavefront_size: 64
  - .agpr_count:     0
    .args:
      - .offset:         0
        .size:           112
        .value_kind:     by_value
    .group_segment_fixed_size: 0
    .kernarg_segment_align: 8
    .kernarg_segment_size: 112
    .language:       OpenCL C
    .language_version:
      - 2
      - 0
    .max_flat_workgroup_size: 256
    .name:           _ZN7rocprim17ROCPRIM_400000_NS6detail17trampoline_kernelINS0_14default_configENS1_27scan_by_key_config_selectorIssEEZZNS1_16scan_by_key_implILNS1_25lookback_scan_determinismE0ELb0ES3_N6thrust23THRUST_200600_302600_NS6detail15normal_iteratorINS9_10device_ptrIsEEEESE_SE_sNS9_4plusIvEENS9_8equal_toIvEEsEE10hipError_tPvRmT2_T3_T4_T5_mT6_T7_P12ihipStream_tbENKUlT_T0_E_clISt17integral_constantIbLb0EESY_IbLb1EEEEDaSU_SV_EUlSU_E_NS1_11comp_targetILNS1_3genE4ELNS1_11target_archE910ELNS1_3gpuE8ELNS1_3repE0EEENS1_30default_config_static_selectorELNS0_4arch9wavefront6targetE1EEEvT1_
    .private_segment_fixed_size: 0
    .sgpr_count:     6
    .sgpr_spill_count: 0
    .symbol:         _ZN7rocprim17ROCPRIM_400000_NS6detail17trampoline_kernelINS0_14default_configENS1_27scan_by_key_config_selectorIssEEZZNS1_16scan_by_key_implILNS1_25lookback_scan_determinismE0ELb0ES3_N6thrust23THRUST_200600_302600_NS6detail15normal_iteratorINS9_10device_ptrIsEEEESE_SE_sNS9_4plusIvEENS9_8equal_toIvEEsEE10hipError_tPvRmT2_T3_T4_T5_mT6_T7_P12ihipStream_tbENKUlT_T0_E_clISt17integral_constantIbLb0EESY_IbLb1EEEEDaSU_SV_EUlSU_E_NS1_11comp_targetILNS1_3genE4ELNS1_11target_archE910ELNS1_3gpuE8ELNS1_3repE0EEENS1_30default_config_static_selectorELNS0_4arch9wavefront6targetE1EEEvT1_.kd
    .uniform_work_group_size: 1
    .uses_dynamic_stack: false
    .vgpr_count:     0
    .vgpr_spill_count: 0
    .wavefront_size: 64
  - .agpr_count:     0
    .args:
      - .offset:         0
        .size:           112
        .value_kind:     by_value
    .group_segment_fixed_size: 0
    .kernarg_segment_align: 8
    .kernarg_segment_size: 112
    .language:       OpenCL C
    .language_version:
      - 2
      - 0
    .max_flat_workgroup_size: 256
    .name:           _ZN7rocprim17ROCPRIM_400000_NS6detail17trampoline_kernelINS0_14default_configENS1_27scan_by_key_config_selectorIssEEZZNS1_16scan_by_key_implILNS1_25lookback_scan_determinismE0ELb0ES3_N6thrust23THRUST_200600_302600_NS6detail15normal_iteratorINS9_10device_ptrIsEEEESE_SE_sNS9_4plusIvEENS9_8equal_toIvEEsEE10hipError_tPvRmT2_T3_T4_T5_mT6_T7_P12ihipStream_tbENKUlT_T0_E_clISt17integral_constantIbLb0EESY_IbLb1EEEEDaSU_SV_EUlSU_E_NS1_11comp_targetILNS1_3genE3ELNS1_11target_archE908ELNS1_3gpuE7ELNS1_3repE0EEENS1_30default_config_static_selectorELNS0_4arch9wavefront6targetE1EEEvT1_
    .private_segment_fixed_size: 0
    .sgpr_count:     6
    .sgpr_spill_count: 0
    .symbol:         _ZN7rocprim17ROCPRIM_400000_NS6detail17trampoline_kernelINS0_14default_configENS1_27scan_by_key_config_selectorIssEEZZNS1_16scan_by_key_implILNS1_25lookback_scan_determinismE0ELb0ES3_N6thrust23THRUST_200600_302600_NS6detail15normal_iteratorINS9_10device_ptrIsEEEESE_SE_sNS9_4plusIvEENS9_8equal_toIvEEsEE10hipError_tPvRmT2_T3_T4_T5_mT6_T7_P12ihipStream_tbENKUlT_T0_E_clISt17integral_constantIbLb0EESY_IbLb1EEEEDaSU_SV_EUlSU_E_NS1_11comp_targetILNS1_3genE3ELNS1_11target_archE908ELNS1_3gpuE7ELNS1_3repE0EEENS1_30default_config_static_selectorELNS0_4arch9wavefront6targetE1EEEvT1_.kd
    .uniform_work_group_size: 1
    .uses_dynamic_stack: false
    .vgpr_count:     0
    .vgpr_spill_count: 0
    .wavefront_size: 64
  - .agpr_count:     0
    .args:
      - .offset:         0
        .size:           112
        .value_kind:     by_value
    .group_segment_fixed_size: 0
    .kernarg_segment_align: 8
    .kernarg_segment_size: 112
    .language:       OpenCL C
    .language_version:
      - 2
      - 0
    .max_flat_workgroup_size: 64
    .name:           _ZN7rocprim17ROCPRIM_400000_NS6detail17trampoline_kernelINS0_14default_configENS1_27scan_by_key_config_selectorIssEEZZNS1_16scan_by_key_implILNS1_25lookback_scan_determinismE0ELb0ES3_N6thrust23THRUST_200600_302600_NS6detail15normal_iteratorINS9_10device_ptrIsEEEESE_SE_sNS9_4plusIvEENS9_8equal_toIvEEsEE10hipError_tPvRmT2_T3_T4_T5_mT6_T7_P12ihipStream_tbENKUlT_T0_E_clISt17integral_constantIbLb0EESY_IbLb1EEEEDaSU_SV_EUlSU_E_NS1_11comp_targetILNS1_3genE2ELNS1_11target_archE906ELNS1_3gpuE6ELNS1_3repE0EEENS1_30default_config_static_selectorELNS0_4arch9wavefront6targetE1EEEvT1_
    .private_segment_fixed_size: 0
    .sgpr_count:     6
    .sgpr_spill_count: 0
    .symbol:         _ZN7rocprim17ROCPRIM_400000_NS6detail17trampoline_kernelINS0_14default_configENS1_27scan_by_key_config_selectorIssEEZZNS1_16scan_by_key_implILNS1_25lookback_scan_determinismE0ELb0ES3_N6thrust23THRUST_200600_302600_NS6detail15normal_iteratorINS9_10device_ptrIsEEEESE_SE_sNS9_4plusIvEENS9_8equal_toIvEEsEE10hipError_tPvRmT2_T3_T4_T5_mT6_T7_P12ihipStream_tbENKUlT_T0_E_clISt17integral_constantIbLb0EESY_IbLb1EEEEDaSU_SV_EUlSU_E_NS1_11comp_targetILNS1_3genE2ELNS1_11target_archE906ELNS1_3gpuE6ELNS1_3repE0EEENS1_30default_config_static_selectorELNS0_4arch9wavefront6targetE1EEEvT1_.kd
    .uniform_work_group_size: 1
    .uses_dynamic_stack: false
    .vgpr_count:     0
    .vgpr_spill_count: 0
    .wavefront_size: 64
  - .agpr_count:     0
    .args:
      - .offset:         0
        .size:           112
        .value_kind:     by_value
    .group_segment_fixed_size: 0
    .kernarg_segment_align: 8
    .kernarg_segment_size: 112
    .language:       OpenCL C
    .language_version:
      - 2
      - 0
    .max_flat_workgroup_size: 256
    .name:           _ZN7rocprim17ROCPRIM_400000_NS6detail17trampoline_kernelINS0_14default_configENS1_27scan_by_key_config_selectorIssEEZZNS1_16scan_by_key_implILNS1_25lookback_scan_determinismE0ELb0ES3_N6thrust23THRUST_200600_302600_NS6detail15normal_iteratorINS9_10device_ptrIsEEEESE_SE_sNS9_4plusIvEENS9_8equal_toIvEEsEE10hipError_tPvRmT2_T3_T4_T5_mT6_T7_P12ihipStream_tbENKUlT_T0_E_clISt17integral_constantIbLb0EESY_IbLb1EEEEDaSU_SV_EUlSU_E_NS1_11comp_targetILNS1_3genE10ELNS1_11target_archE1200ELNS1_3gpuE4ELNS1_3repE0EEENS1_30default_config_static_selectorELNS0_4arch9wavefront6targetE1EEEvT1_
    .private_segment_fixed_size: 0
    .sgpr_count:     6
    .sgpr_spill_count: 0
    .symbol:         _ZN7rocprim17ROCPRIM_400000_NS6detail17trampoline_kernelINS0_14default_configENS1_27scan_by_key_config_selectorIssEEZZNS1_16scan_by_key_implILNS1_25lookback_scan_determinismE0ELb0ES3_N6thrust23THRUST_200600_302600_NS6detail15normal_iteratorINS9_10device_ptrIsEEEESE_SE_sNS9_4plusIvEENS9_8equal_toIvEEsEE10hipError_tPvRmT2_T3_T4_T5_mT6_T7_P12ihipStream_tbENKUlT_T0_E_clISt17integral_constantIbLb0EESY_IbLb1EEEEDaSU_SV_EUlSU_E_NS1_11comp_targetILNS1_3genE10ELNS1_11target_archE1200ELNS1_3gpuE4ELNS1_3repE0EEENS1_30default_config_static_selectorELNS0_4arch9wavefront6targetE1EEEvT1_.kd
    .uniform_work_group_size: 1
    .uses_dynamic_stack: false
    .vgpr_count:     0
    .vgpr_spill_count: 0
    .wavefront_size: 64
  - .agpr_count:     0
    .args:
      - .offset:         0
        .size:           112
        .value_kind:     by_value
    .group_segment_fixed_size: 0
    .kernarg_segment_align: 8
    .kernarg_segment_size: 112
    .language:       OpenCL C
    .language_version:
      - 2
      - 0
    .max_flat_workgroup_size: 256
    .name:           _ZN7rocprim17ROCPRIM_400000_NS6detail17trampoline_kernelINS0_14default_configENS1_27scan_by_key_config_selectorIssEEZZNS1_16scan_by_key_implILNS1_25lookback_scan_determinismE0ELb0ES3_N6thrust23THRUST_200600_302600_NS6detail15normal_iteratorINS9_10device_ptrIsEEEESE_SE_sNS9_4plusIvEENS9_8equal_toIvEEsEE10hipError_tPvRmT2_T3_T4_T5_mT6_T7_P12ihipStream_tbENKUlT_T0_E_clISt17integral_constantIbLb0EESY_IbLb1EEEEDaSU_SV_EUlSU_E_NS1_11comp_targetILNS1_3genE9ELNS1_11target_archE1100ELNS1_3gpuE3ELNS1_3repE0EEENS1_30default_config_static_selectorELNS0_4arch9wavefront6targetE1EEEvT1_
    .private_segment_fixed_size: 0
    .sgpr_count:     6
    .sgpr_spill_count: 0
    .symbol:         _ZN7rocprim17ROCPRIM_400000_NS6detail17trampoline_kernelINS0_14default_configENS1_27scan_by_key_config_selectorIssEEZZNS1_16scan_by_key_implILNS1_25lookback_scan_determinismE0ELb0ES3_N6thrust23THRUST_200600_302600_NS6detail15normal_iteratorINS9_10device_ptrIsEEEESE_SE_sNS9_4plusIvEENS9_8equal_toIvEEsEE10hipError_tPvRmT2_T3_T4_T5_mT6_T7_P12ihipStream_tbENKUlT_T0_E_clISt17integral_constantIbLb0EESY_IbLb1EEEEDaSU_SV_EUlSU_E_NS1_11comp_targetILNS1_3genE9ELNS1_11target_archE1100ELNS1_3gpuE3ELNS1_3repE0EEENS1_30default_config_static_selectorELNS0_4arch9wavefront6targetE1EEEvT1_.kd
    .uniform_work_group_size: 1
    .uses_dynamic_stack: false
    .vgpr_count:     0
    .vgpr_spill_count: 0
    .wavefront_size: 64
  - .agpr_count:     0
    .args:
      - .offset:         0
        .size:           112
        .value_kind:     by_value
    .group_segment_fixed_size: 0
    .kernarg_segment_align: 8
    .kernarg_segment_size: 112
    .language:       OpenCL C
    .language_version:
      - 2
      - 0
    .max_flat_workgroup_size: 64
    .name:           _ZN7rocprim17ROCPRIM_400000_NS6detail17trampoline_kernelINS0_14default_configENS1_27scan_by_key_config_selectorIssEEZZNS1_16scan_by_key_implILNS1_25lookback_scan_determinismE0ELb0ES3_N6thrust23THRUST_200600_302600_NS6detail15normal_iteratorINS9_10device_ptrIsEEEESE_SE_sNS9_4plusIvEENS9_8equal_toIvEEsEE10hipError_tPvRmT2_T3_T4_T5_mT6_T7_P12ihipStream_tbENKUlT_T0_E_clISt17integral_constantIbLb0EESY_IbLb1EEEEDaSU_SV_EUlSU_E_NS1_11comp_targetILNS1_3genE8ELNS1_11target_archE1030ELNS1_3gpuE2ELNS1_3repE0EEENS1_30default_config_static_selectorELNS0_4arch9wavefront6targetE1EEEvT1_
    .private_segment_fixed_size: 0
    .sgpr_count:     6
    .sgpr_spill_count: 0
    .symbol:         _ZN7rocprim17ROCPRIM_400000_NS6detail17trampoline_kernelINS0_14default_configENS1_27scan_by_key_config_selectorIssEEZZNS1_16scan_by_key_implILNS1_25lookback_scan_determinismE0ELb0ES3_N6thrust23THRUST_200600_302600_NS6detail15normal_iteratorINS9_10device_ptrIsEEEESE_SE_sNS9_4plusIvEENS9_8equal_toIvEEsEE10hipError_tPvRmT2_T3_T4_T5_mT6_T7_P12ihipStream_tbENKUlT_T0_E_clISt17integral_constantIbLb0EESY_IbLb1EEEEDaSU_SV_EUlSU_E_NS1_11comp_targetILNS1_3genE8ELNS1_11target_archE1030ELNS1_3gpuE2ELNS1_3repE0EEENS1_30default_config_static_selectorELNS0_4arch9wavefront6targetE1EEEvT1_.kd
    .uniform_work_group_size: 1
    .uses_dynamic_stack: false
    .vgpr_count:     0
    .vgpr_spill_count: 0
    .wavefront_size: 64
  - .agpr_count:     0
    .args:
      - .offset:         0
        .size:           112
        .value_kind:     by_value
    .group_segment_fixed_size: 0
    .kernarg_segment_align: 8
    .kernarg_segment_size: 112
    .language:       OpenCL C
    .language_version:
      - 2
      - 0
    .max_flat_workgroup_size: 256
    .name:           _ZN7rocprim17ROCPRIM_400000_NS6detail17trampoline_kernelINS0_14default_configENS1_27scan_by_key_config_selectorIssEEZZNS1_16scan_by_key_implILNS1_25lookback_scan_determinismE0ELb0ES3_N6thrust23THRUST_200600_302600_NS6detail15normal_iteratorINS9_10device_ptrIsEEEESE_SE_sNS9_10multipliesIsEENS9_8equal_toIsEEsEE10hipError_tPvRmT2_T3_T4_T5_mT6_T7_P12ihipStream_tbENKUlT_T0_E_clISt17integral_constantIbLb0EESZ_EEDaSU_SV_EUlSU_E_NS1_11comp_targetILNS1_3genE0ELNS1_11target_archE4294967295ELNS1_3gpuE0ELNS1_3repE0EEENS1_30default_config_static_selectorELNS0_4arch9wavefront6targetE1EEEvT1_
    .private_segment_fixed_size: 0
    .sgpr_count:     6
    .sgpr_spill_count: 0
    .symbol:         _ZN7rocprim17ROCPRIM_400000_NS6detail17trampoline_kernelINS0_14default_configENS1_27scan_by_key_config_selectorIssEEZZNS1_16scan_by_key_implILNS1_25lookback_scan_determinismE0ELb0ES3_N6thrust23THRUST_200600_302600_NS6detail15normal_iteratorINS9_10device_ptrIsEEEESE_SE_sNS9_10multipliesIsEENS9_8equal_toIsEEsEE10hipError_tPvRmT2_T3_T4_T5_mT6_T7_P12ihipStream_tbENKUlT_T0_E_clISt17integral_constantIbLb0EESZ_EEDaSU_SV_EUlSU_E_NS1_11comp_targetILNS1_3genE0ELNS1_11target_archE4294967295ELNS1_3gpuE0ELNS1_3repE0EEENS1_30default_config_static_selectorELNS0_4arch9wavefront6targetE1EEEvT1_.kd
    .uniform_work_group_size: 1
    .uses_dynamic_stack: false
    .vgpr_count:     0
    .vgpr_spill_count: 0
    .wavefront_size: 64
  - .agpr_count:     0
    .args:
      - .offset:         0
        .size:           112
        .value_kind:     by_value
    .group_segment_fixed_size: 0
    .kernarg_segment_align: 8
    .kernarg_segment_size: 112
    .language:       OpenCL C
    .language_version:
      - 2
      - 0
    .max_flat_workgroup_size: 128
    .name:           _ZN7rocprim17ROCPRIM_400000_NS6detail17trampoline_kernelINS0_14default_configENS1_27scan_by_key_config_selectorIssEEZZNS1_16scan_by_key_implILNS1_25lookback_scan_determinismE0ELb0ES3_N6thrust23THRUST_200600_302600_NS6detail15normal_iteratorINS9_10device_ptrIsEEEESE_SE_sNS9_10multipliesIsEENS9_8equal_toIsEEsEE10hipError_tPvRmT2_T3_T4_T5_mT6_T7_P12ihipStream_tbENKUlT_T0_E_clISt17integral_constantIbLb0EESZ_EEDaSU_SV_EUlSU_E_NS1_11comp_targetILNS1_3genE10ELNS1_11target_archE1201ELNS1_3gpuE5ELNS1_3repE0EEENS1_30default_config_static_selectorELNS0_4arch9wavefront6targetE1EEEvT1_
    .private_segment_fixed_size: 0
    .sgpr_count:     6
    .sgpr_spill_count: 0
    .symbol:         _ZN7rocprim17ROCPRIM_400000_NS6detail17trampoline_kernelINS0_14default_configENS1_27scan_by_key_config_selectorIssEEZZNS1_16scan_by_key_implILNS1_25lookback_scan_determinismE0ELb0ES3_N6thrust23THRUST_200600_302600_NS6detail15normal_iteratorINS9_10device_ptrIsEEEESE_SE_sNS9_10multipliesIsEENS9_8equal_toIsEEsEE10hipError_tPvRmT2_T3_T4_T5_mT6_T7_P12ihipStream_tbENKUlT_T0_E_clISt17integral_constantIbLb0EESZ_EEDaSU_SV_EUlSU_E_NS1_11comp_targetILNS1_3genE10ELNS1_11target_archE1201ELNS1_3gpuE5ELNS1_3repE0EEENS1_30default_config_static_selectorELNS0_4arch9wavefront6targetE1EEEvT1_.kd
    .uniform_work_group_size: 1
    .uses_dynamic_stack: false
    .vgpr_count:     0
    .vgpr_spill_count: 0
    .wavefront_size: 64
  - .agpr_count:     0
    .args:
      - .offset:         0
        .size:           112
        .value_kind:     by_value
    .group_segment_fixed_size: 13312
    .kernarg_segment_align: 8
    .kernarg_segment_size: 112
    .language:       OpenCL C
    .language_version:
      - 2
      - 0
    .max_flat_workgroup_size: 256
    .name:           _ZN7rocprim17ROCPRIM_400000_NS6detail17trampoline_kernelINS0_14default_configENS1_27scan_by_key_config_selectorIssEEZZNS1_16scan_by_key_implILNS1_25lookback_scan_determinismE0ELb0ES3_N6thrust23THRUST_200600_302600_NS6detail15normal_iteratorINS9_10device_ptrIsEEEESE_SE_sNS9_10multipliesIsEENS9_8equal_toIsEEsEE10hipError_tPvRmT2_T3_T4_T5_mT6_T7_P12ihipStream_tbENKUlT_T0_E_clISt17integral_constantIbLb0EESZ_EEDaSU_SV_EUlSU_E_NS1_11comp_targetILNS1_3genE5ELNS1_11target_archE942ELNS1_3gpuE9ELNS1_3repE0EEENS1_30default_config_static_selectorELNS0_4arch9wavefront6targetE1EEEvT1_
    .private_segment_fixed_size: 0
    .sgpr_count:     94
    .sgpr_spill_count: 0
    .symbol:         _ZN7rocprim17ROCPRIM_400000_NS6detail17trampoline_kernelINS0_14default_configENS1_27scan_by_key_config_selectorIssEEZZNS1_16scan_by_key_implILNS1_25lookback_scan_determinismE0ELb0ES3_N6thrust23THRUST_200600_302600_NS6detail15normal_iteratorINS9_10device_ptrIsEEEESE_SE_sNS9_10multipliesIsEENS9_8equal_toIsEEsEE10hipError_tPvRmT2_T3_T4_T5_mT6_T7_P12ihipStream_tbENKUlT_T0_E_clISt17integral_constantIbLb0EESZ_EEDaSU_SV_EUlSU_E_NS1_11comp_targetILNS1_3genE5ELNS1_11target_archE942ELNS1_3gpuE9ELNS1_3repE0EEENS1_30default_config_static_selectorELNS0_4arch9wavefront6targetE1EEEvT1_.kd
    .uniform_work_group_size: 1
    .uses_dynamic_stack: false
    .vgpr_count:     63
    .vgpr_spill_count: 0
    .wavefront_size: 64
  - .agpr_count:     0
    .args:
      - .offset:         0
        .size:           112
        .value_kind:     by_value
    .group_segment_fixed_size: 0
    .kernarg_segment_align: 8
    .kernarg_segment_size: 112
    .language:       OpenCL C
    .language_version:
      - 2
      - 0
    .max_flat_workgroup_size: 256
    .name:           _ZN7rocprim17ROCPRIM_400000_NS6detail17trampoline_kernelINS0_14default_configENS1_27scan_by_key_config_selectorIssEEZZNS1_16scan_by_key_implILNS1_25lookback_scan_determinismE0ELb0ES3_N6thrust23THRUST_200600_302600_NS6detail15normal_iteratorINS9_10device_ptrIsEEEESE_SE_sNS9_10multipliesIsEENS9_8equal_toIsEEsEE10hipError_tPvRmT2_T3_T4_T5_mT6_T7_P12ihipStream_tbENKUlT_T0_E_clISt17integral_constantIbLb0EESZ_EEDaSU_SV_EUlSU_E_NS1_11comp_targetILNS1_3genE4ELNS1_11target_archE910ELNS1_3gpuE8ELNS1_3repE0EEENS1_30default_config_static_selectorELNS0_4arch9wavefront6targetE1EEEvT1_
    .private_segment_fixed_size: 0
    .sgpr_count:     6
    .sgpr_spill_count: 0
    .symbol:         _ZN7rocprim17ROCPRIM_400000_NS6detail17trampoline_kernelINS0_14default_configENS1_27scan_by_key_config_selectorIssEEZZNS1_16scan_by_key_implILNS1_25lookback_scan_determinismE0ELb0ES3_N6thrust23THRUST_200600_302600_NS6detail15normal_iteratorINS9_10device_ptrIsEEEESE_SE_sNS9_10multipliesIsEENS9_8equal_toIsEEsEE10hipError_tPvRmT2_T3_T4_T5_mT6_T7_P12ihipStream_tbENKUlT_T0_E_clISt17integral_constantIbLb0EESZ_EEDaSU_SV_EUlSU_E_NS1_11comp_targetILNS1_3genE4ELNS1_11target_archE910ELNS1_3gpuE8ELNS1_3repE0EEENS1_30default_config_static_selectorELNS0_4arch9wavefront6targetE1EEEvT1_.kd
    .uniform_work_group_size: 1
    .uses_dynamic_stack: false
    .vgpr_count:     0
    .vgpr_spill_count: 0
    .wavefront_size: 64
  - .agpr_count:     0
    .args:
      - .offset:         0
        .size:           112
        .value_kind:     by_value
    .group_segment_fixed_size: 0
    .kernarg_segment_align: 8
    .kernarg_segment_size: 112
    .language:       OpenCL C
    .language_version:
      - 2
      - 0
    .max_flat_workgroup_size: 256
    .name:           _ZN7rocprim17ROCPRIM_400000_NS6detail17trampoline_kernelINS0_14default_configENS1_27scan_by_key_config_selectorIssEEZZNS1_16scan_by_key_implILNS1_25lookback_scan_determinismE0ELb0ES3_N6thrust23THRUST_200600_302600_NS6detail15normal_iteratorINS9_10device_ptrIsEEEESE_SE_sNS9_10multipliesIsEENS9_8equal_toIsEEsEE10hipError_tPvRmT2_T3_T4_T5_mT6_T7_P12ihipStream_tbENKUlT_T0_E_clISt17integral_constantIbLb0EESZ_EEDaSU_SV_EUlSU_E_NS1_11comp_targetILNS1_3genE3ELNS1_11target_archE908ELNS1_3gpuE7ELNS1_3repE0EEENS1_30default_config_static_selectorELNS0_4arch9wavefront6targetE1EEEvT1_
    .private_segment_fixed_size: 0
    .sgpr_count:     6
    .sgpr_spill_count: 0
    .symbol:         _ZN7rocprim17ROCPRIM_400000_NS6detail17trampoline_kernelINS0_14default_configENS1_27scan_by_key_config_selectorIssEEZZNS1_16scan_by_key_implILNS1_25lookback_scan_determinismE0ELb0ES3_N6thrust23THRUST_200600_302600_NS6detail15normal_iteratorINS9_10device_ptrIsEEEESE_SE_sNS9_10multipliesIsEENS9_8equal_toIsEEsEE10hipError_tPvRmT2_T3_T4_T5_mT6_T7_P12ihipStream_tbENKUlT_T0_E_clISt17integral_constantIbLb0EESZ_EEDaSU_SV_EUlSU_E_NS1_11comp_targetILNS1_3genE3ELNS1_11target_archE908ELNS1_3gpuE7ELNS1_3repE0EEENS1_30default_config_static_selectorELNS0_4arch9wavefront6targetE1EEEvT1_.kd
    .uniform_work_group_size: 1
    .uses_dynamic_stack: false
    .vgpr_count:     0
    .vgpr_spill_count: 0
    .wavefront_size: 64
  - .agpr_count:     0
    .args:
      - .offset:         0
        .size:           112
        .value_kind:     by_value
    .group_segment_fixed_size: 0
    .kernarg_segment_align: 8
    .kernarg_segment_size: 112
    .language:       OpenCL C
    .language_version:
      - 2
      - 0
    .max_flat_workgroup_size: 64
    .name:           _ZN7rocprim17ROCPRIM_400000_NS6detail17trampoline_kernelINS0_14default_configENS1_27scan_by_key_config_selectorIssEEZZNS1_16scan_by_key_implILNS1_25lookback_scan_determinismE0ELb0ES3_N6thrust23THRUST_200600_302600_NS6detail15normal_iteratorINS9_10device_ptrIsEEEESE_SE_sNS9_10multipliesIsEENS9_8equal_toIsEEsEE10hipError_tPvRmT2_T3_T4_T5_mT6_T7_P12ihipStream_tbENKUlT_T0_E_clISt17integral_constantIbLb0EESZ_EEDaSU_SV_EUlSU_E_NS1_11comp_targetILNS1_3genE2ELNS1_11target_archE906ELNS1_3gpuE6ELNS1_3repE0EEENS1_30default_config_static_selectorELNS0_4arch9wavefront6targetE1EEEvT1_
    .private_segment_fixed_size: 0
    .sgpr_count:     6
    .sgpr_spill_count: 0
    .symbol:         _ZN7rocprim17ROCPRIM_400000_NS6detail17trampoline_kernelINS0_14default_configENS1_27scan_by_key_config_selectorIssEEZZNS1_16scan_by_key_implILNS1_25lookback_scan_determinismE0ELb0ES3_N6thrust23THRUST_200600_302600_NS6detail15normal_iteratorINS9_10device_ptrIsEEEESE_SE_sNS9_10multipliesIsEENS9_8equal_toIsEEsEE10hipError_tPvRmT2_T3_T4_T5_mT6_T7_P12ihipStream_tbENKUlT_T0_E_clISt17integral_constantIbLb0EESZ_EEDaSU_SV_EUlSU_E_NS1_11comp_targetILNS1_3genE2ELNS1_11target_archE906ELNS1_3gpuE6ELNS1_3repE0EEENS1_30default_config_static_selectorELNS0_4arch9wavefront6targetE1EEEvT1_.kd
    .uniform_work_group_size: 1
    .uses_dynamic_stack: false
    .vgpr_count:     0
    .vgpr_spill_count: 0
    .wavefront_size: 64
  - .agpr_count:     0
    .args:
      - .offset:         0
        .size:           112
        .value_kind:     by_value
    .group_segment_fixed_size: 0
    .kernarg_segment_align: 8
    .kernarg_segment_size: 112
    .language:       OpenCL C
    .language_version:
      - 2
      - 0
    .max_flat_workgroup_size: 256
    .name:           _ZN7rocprim17ROCPRIM_400000_NS6detail17trampoline_kernelINS0_14default_configENS1_27scan_by_key_config_selectorIssEEZZNS1_16scan_by_key_implILNS1_25lookback_scan_determinismE0ELb0ES3_N6thrust23THRUST_200600_302600_NS6detail15normal_iteratorINS9_10device_ptrIsEEEESE_SE_sNS9_10multipliesIsEENS9_8equal_toIsEEsEE10hipError_tPvRmT2_T3_T4_T5_mT6_T7_P12ihipStream_tbENKUlT_T0_E_clISt17integral_constantIbLb0EESZ_EEDaSU_SV_EUlSU_E_NS1_11comp_targetILNS1_3genE10ELNS1_11target_archE1200ELNS1_3gpuE4ELNS1_3repE0EEENS1_30default_config_static_selectorELNS0_4arch9wavefront6targetE1EEEvT1_
    .private_segment_fixed_size: 0
    .sgpr_count:     6
    .sgpr_spill_count: 0
    .symbol:         _ZN7rocprim17ROCPRIM_400000_NS6detail17trampoline_kernelINS0_14default_configENS1_27scan_by_key_config_selectorIssEEZZNS1_16scan_by_key_implILNS1_25lookback_scan_determinismE0ELb0ES3_N6thrust23THRUST_200600_302600_NS6detail15normal_iteratorINS9_10device_ptrIsEEEESE_SE_sNS9_10multipliesIsEENS9_8equal_toIsEEsEE10hipError_tPvRmT2_T3_T4_T5_mT6_T7_P12ihipStream_tbENKUlT_T0_E_clISt17integral_constantIbLb0EESZ_EEDaSU_SV_EUlSU_E_NS1_11comp_targetILNS1_3genE10ELNS1_11target_archE1200ELNS1_3gpuE4ELNS1_3repE0EEENS1_30default_config_static_selectorELNS0_4arch9wavefront6targetE1EEEvT1_.kd
    .uniform_work_group_size: 1
    .uses_dynamic_stack: false
    .vgpr_count:     0
    .vgpr_spill_count: 0
    .wavefront_size: 64
  - .agpr_count:     0
    .args:
      - .offset:         0
        .size:           112
        .value_kind:     by_value
    .group_segment_fixed_size: 0
    .kernarg_segment_align: 8
    .kernarg_segment_size: 112
    .language:       OpenCL C
    .language_version:
      - 2
      - 0
    .max_flat_workgroup_size: 256
    .name:           _ZN7rocprim17ROCPRIM_400000_NS6detail17trampoline_kernelINS0_14default_configENS1_27scan_by_key_config_selectorIssEEZZNS1_16scan_by_key_implILNS1_25lookback_scan_determinismE0ELb0ES3_N6thrust23THRUST_200600_302600_NS6detail15normal_iteratorINS9_10device_ptrIsEEEESE_SE_sNS9_10multipliesIsEENS9_8equal_toIsEEsEE10hipError_tPvRmT2_T3_T4_T5_mT6_T7_P12ihipStream_tbENKUlT_T0_E_clISt17integral_constantIbLb0EESZ_EEDaSU_SV_EUlSU_E_NS1_11comp_targetILNS1_3genE9ELNS1_11target_archE1100ELNS1_3gpuE3ELNS1_3repE0EEENS1_30default_config_static_selectorELNS0_4arch9wavefront6targetE1EEEvT1_
    .private_segment_fixed_size: 0
    .sgpr_count:     6
    .sgpr_spill_count: 0
    .symbol:         _ZN7rocprim17ROCPRIM_400000_NS6detail17trampoline_kernelINS0_14default_configENS1_27scan_by_key_config_selectorIssEEZZNS1_16scan_by_key_implILNS1_25lookback_scan_determinismE0ELb0ES3_N6thrust23THRUST_200600_302600_NS6detail15normal_iteratorINS9_10device_ptrIsEEEESE_SE_sNS9_10multipliesIsEENS9_8equal_toIsEEsEE10hipError_tPvRmT2_T3_T4_T5_mT6_T7_P12ihipStream_tbENKUlT_T0_E_clISt17integral_constantIbLb0EESZ_EEDaSU_SV_EUlSU_E_NS1_11comp_targetILNS1_3genE9ELNS1_11target_archE1100ELNS1_3gpuE3ELNS1_3repE0EEENS1_30default_config_static_selectorELNS0_4arch9wavefront6targetE1EEEvT1_.kd
    .uniform_work_group_size: 1
    .uses_dynamic_stack: false
    .vgpr_count:     0
    .vgpr_spill_count: 0
    .wavefront_size: 64
  - .agpr_count:     0
    .args:
      - .offset:         0
        .size:           112
        .value_kind:     by_value
    .group_segment_fixed_size: 0
    .kernarg_segment_align: 8
    .kernarg_segment_size: 112
    .language:       OpenCL C
    .language_version:
      - 2
      - 0
    .max_flat_workgroup_size: 64
    .name:           _ZN7rocprim17ROCPRIM_400000_NS6detail17trampoline_kernelINS0_14default_configENS1_27scan_by_key_config_selectorIssEEZZNS1_16scan_by_key_implILNS1_25lookback_scan_determinismE0ELb0ES3_N6thrust23THRUST_200600_302600_NS6detail15normal_iteratorINS9_10device_ptrIsEEEESE_SE_sNS9_10multipliesIsEENS9_8equal_toIsEEsEE10hipError_tPvRmT2_T3_T4_T5_mT6_T7_P12ihipStream_tbENKUlT_T0_E_clISt17integral_constantIbLb0EESZ_EEDaSU_SV_EUlSU_E_NS1_11comp_targetILNS1_3genE8ELNS1_11target_archE1030ELNS1_3gpuE2ELNS1_3repE0EEENS1_30default_config_static_selectorELNS0_4arch9wavefront6targetE1EEEvT1_
    .private_segment_fixed_size: 0
    .sgpr_count:     6
    .sgpr_spill_count: 0
    .symbol:         _ZN7rocprim17ROCPRIM_400000_NS6detail17trampoline_kernelINS0_14default_configENS1_27scan_by_key_config_selectorIssEEZZNS1_16scan_by_key_implILNS1_25lookback_scan_determinismE0ELb0ES3_N6thrust23THRUST_200600_302600_NS6detail15normal_iteratorINS9_10device_ptrIsEEEESE_SE_sNS9_10multipliesIsEENS9_8equal_toIsEEsEE10hipError_tPvRmT2_T3_T4_T5_mT6_T7_P12ihipStream_tbENKUlT_T0_E_clISt17integral_constantIbLb0EESZ_EEDaSU_SV_EUlSU_E_NS1_11comp_targetILNS1_3genE8ELNS1_11target_archE1030ELNS1_3gpuE2ELNS1_3repE0EEENS1_30default_config_static_selectorELNS0_4arch9wavefront6targetE1EEEvT1_.kd
    .uniform_work_group_size: 1
    .uses_dynamic_stack: false
    .vgpr_count:     0
    .vgpr_spill_count: 0
    .wavefront_size: 64
  - .agpr_count:     0
    .args:
      - .offset:         0
        .size:           112
        .value_kind:     by_value
    .group_segment_fixed_size: 0
    .kernarg_segment_align: 8
    .kernarg_segment_size: 112
    .language:       OpenCL C
    .language_version:
      - 2
      - 0
    .max_flat_workgroup_size: 256
    .name:           _ZN7rocprim17ROCPRIM_400000_NS6detail17trampoline_kernelINS0_14default_configENS1_27scan_by_key_config_selectorIssEEZZNS1_16scan_by_key_implILNS1_25lookback_scan_determinismE0ELb0ES3_N6thrust23THRUST_200600_302600_NS6detail15normal_iteratorINS9_10device_ptrIsEEEESE_SE_sNS9_10multipliesIsEENS9_8equal_toIsEEsEE10hipError_tPvRmT2_T3_T4_T5_mT6_T7_P12ihipStream_tbENKUlT_T0_E_clISt17integral_constantIbLb1EESZ_EEDaSU_SV_EUlSU_E_NS1_11comp_targetILNS1_3genE0ELNS1_11target_archE4294967295ELNS1_3gpuE0ELNS1_3repE0EEENS1_30default_config_static_selectorELNS0_4arch9wavefront6targetE1EEEvT1_
    .private_segment_fixed_size: 0
    .sgpr_count:     6
    .sgpr_spill_count: 0
    .symbol:         _ZN7rocprim17ROCPRIM_400000_NS6detail17trampoline_kernelINS0_14default_configENS1_27scan_by_key_config_selectorIssEEZZNS1_16scan_by_key_implILNS1_25lookback_scan_determinismE0ELb0ES3_N6thrust23THRUST_200600_302600_NS6detail15normal_iteratorINS9_10device_ptrIsEEEESE_SE_sNS9_10multipliesIsEENS9_8equal_toIsEEsEE10hipError_tPvRmT2_T3_T4_T5_mT6_T7_P12ihipStream_tbENKUlT_T0_E_clISt17integral_constantIbLb1EESZ_EEDaSU_SV_EUlSU_E_NS1_11comp_targetILNS1_3genE0ELNS1_11target_archE4294967295ELNS1_3gpuE0ELNS1_3repE0EEENS1_30default_config_static_selectorELNS0_4arch9wavefront6targetE1EEEvT1_.kd
    .uniform_work_group_size: 1
    .uses_dynamic_stack: false
    .vgpr_count:     0
    .vgpr_spill_count: 0
    .wavefront_size: 64
  - .agpr_count:     0
    .args:
      - .offset:         0
        .size:           112
        .value_kind:     by_value
    .group_segment_fixed_size: 0
    .kernarg_segment_align: 8
    .kernarg_segment_size: 112
    .language:       OpenCL C
    .language_version:
      - 2
      - 0
    .max_flat_workgroup_size: 128
    .name:           _ZN7rocprim17ROCPRIM_400000_NS6detail17trampoline_kernelINS0_14default_configENS1_27scan_by_key_config_selectorIssEEZZNS1_16scan_by_key_implILNS1_25lookback_scan_determinismE0ELb0ES3_N6thrust23THRUST_200600_302600_NS6detail15normal_iteratorINS9_10device_ptrIsEEEESE_SE_sNS9_10multipliesIsEENS9_8equal_toIsEEsEE10hipError_tPvRmT2_T3_T4_T5_mT6_T7_P12ihipStream_tbENKUlT_T0_E_clISt17integral_constantIbLb1EESZ_EEDaSU_SV_EUlSU_E_NS1_11comp_targetILNS1_3genE10ELNS1_11target_archE1201ELNS1_3gpuE5ELNS1_3repE0EEENS1_30default_config_static_selectorELNS0_4arch9wavefront6targetE1EEEvT1_
    .private_segment_fixed_size: 0
    .sgpr_count:     6
    .sgpr_spill_count: 0
    .symbol:         _ZN7rocprim17ROCPRIM_400000_NS6detail17trampoline_kernelINS0_14default_configENS1_27scan_by_key_config_selectorIssEEZZNS1_16scan_by_key_implILNS1_25lookback_scan_determinismE0ELb0ES3_N6thrust23THRUST_200600_302600_NS6detail15normal_iteratorINS9_10device_ptrIsEEEESE_SE_sNS9_10multipliesIsEENS9_8equal_toIsEEsEE10hipError_tPvRmT2_T3_T4_T5_mT6_T7_P12ihipStream_tbENKUlT_T0_E_clISt17integral_constantIbLb1EESZ_EEDaSU_SV_EUlSU_E_NS1_11comp_targetILNS1_3genE10ELNS1_11target_archE1201ELNS1_3gpuE5ELNS1_3repE0EEENS1_30default_config_static_selectorELNS0_4arch9wavefront6targetE1EEEvT1_.kd
    .uniform_work_group_size: 1
    .uses_dynamic_stack: false
    .vgpr_count:     0
    .vgpr_spill_count: 0
    .wavefront_size: 64
  - .agpr_count:     0
    .args:
      - .offset:         0
        .size:           112
        .value_kind:     by_value
    .group_segment_fixed_size: 13312
    .kernarg_segment_align: 8
    .kernarg_segment_size: 112
    .language:       OpenCL C
    .language_version:
      - 2
      - 0
    .max_flat_workgroup_size: 256
    .name:           _ZN7rocprim17ROCPRIM_400000_NS6detail17trampoline_kernelINS0_14default_configENS1_27scan_by_key_config_selectorIssEEZZNS1_16scan_by_key_implILNS1_25lookback_scan_determinismE0ELb0ES3_N6thrust23THRUST_200600_302600_NS6detail15normal_iteratorINS9_10device_ptrIsEEEESE_SE_sNS9_10multipliesIsEENS9_8equal_toIsEEsEE10hipError_tPvRmT2_T3_T4_T5_mT6_T7_P12ihipStream_tbENKUlT_T0_E_clISt17integral_constantIbLb1EESZ_EEDaSU_SV_EUlSU_E_NS1_11comp_targetILNS1_3genE5ELNS1_11target_archE942ELNS1_3gpuE9ELNS1_3repE0EEENS1_30default_config_static_selectorELNS0_4arch9wavefront6targetE1EEEvT1_
    .private_segment_fixed_size: 0
    .sgpr_count:     93
    .sgpr_spill_count: 0
    .symbol:         _ZN7rocprim17ROCPRIM_400000_NS6detail17trampoline_kernelINS0_14default_configENS1_27scan_by_key_config_selectorIssEEZZNS1_16scan_by_key_implILNS1_25lookback_scan_determinismE0ELb0ES3_N6thrust23THRUST_200600_302600_NS6detail15normal_iteratorINS9_10device_ptrIsEEEESE_SE_sNS9_10multipliesIsEENS9_8equal_toIsEEsEE10hipError_tPvRmT2_T3_T4_T5_mT6_T7_P12ihipStream_tbENKUlT_T0_E_clISt17integral_constantIbLb1EESZ_EEDaSU_SV_EUlSU_E_NS1_11comp_targetILNS1_3genE5ELNS1_11target_archE942ELNS1_3gpuE9ELNS1_3repE0EEENS1_30default_config_static_selectorELNS0_4arch9wavefront6targetE1EEEvT1_.kd
    .uniform_work_group_size: 1
    .uses_dynamic_stack: false
    .vgpr_count:     63
    .vgpr_spill_count: 0
    .wavefront_size: 64
  - .agpr_count:     0
    .args:
      - .offset:         0
        .size:           112
        .value_kind:     by_value
    .group_segment_fixed_size: 0
    .kernarg_segment_align: 8
    .kernarg_segment_size: 112
    .language:       OpenCL C
    .language_version:
      - 2
      - 0
    .max_flat_workgroup_size: 256
    .name:           _ZN7rocprim17ROCPRIM_400000_NS6detail17trampoline_kernelINS0_14default_configENS1_27scan_by_key_config_selectorIssEEZZNS1_16scan_by_key_implILNS1_25lookback_scan_determinismE0ELb0ES3_N6thrust23THRUST_200600_302600_NS6detail15normal_iteratorINS9_10device_ptrIsEEEESE_SE_sNS9_10multipliesIsEENS9_8equal_toIsEEsEE10hipError_tPvRmT2_T3_T4_T5_mT6_T7_P12ihipStream_tbENKUlT_T0_E_clISt17integral_constantIbLb1EESZ_EEDaSU_SV_EUlSU_E_NS1_11comp_targetILNS1_3genE4ELNS1_11target_archE910ELNS1_3gpuE8ELNS1_3repE0EEENS1_30default_config_static_selectorELNS0_4arch9wavefront6targetE1EEEvT1_
    .private_segment_fixed_size: 0
    .sgpr_count:     6
    .sgpr_spill_count: 0
    .symbol:         _ZN7rocprim17ROCPRIM_400000_NS6detail17trampoline_kernelINS0_14default_configENS1_27scan_by_key_config_selectorIssEEZZNS1_16scan_by_key_implILNS1_25lookback_scan_determinismE0ELb0ES3_N6thrust23THRUST_200600_302600_NS6detail15normal_iteratorINS9_10device_ptrIsEEEESE_SE_sNS9_10multipliesIsEENS9_8equal_toIsEEsEE10hipError_tPvRmT2_T3_T4_T5_mT6_T7_P12ihipStream_tbENKUlT_T0_E_clISt17integral_constantIbLb1EESZ_EEDaSU_SV_EUlSU_E_NS1_11comp_targetILNS1_3genE4ELNS1_11target_archE910ELNS1_3gpuE8ELNS1_3repE0EEENS1_30default_config_static_selectorELNS0_4arch9wavefront6targetE1EEEvT1_.kd
    .uniform_work_group_size: 1
    .uses_dynamic_stack: false
    .vgpr_count:     0
    .vgpr_spill_count: 0
    .wavefront_size: 64
  - .agpr_count:     0
    .args:
      - .offset:         0
        .size:           112
        .value_kind:     by_value
    .group_segment_fixed_size: 0
    .kernarg_segment_align: 8
    .kernarg_segment_size: 112
    .language:       OpenCL C
    .language_version:
      - 2
      - 0
    .max_flat_workgroup_size: 256
    .name:           _ZN7rocprim17ROCPRIM_400000_NS6detail17trampoline_kernelINS0_14default_configENS1_27scan_by_key_config_selectorIssEEZZNS1_16scan_by_key_implILNS1_25lookback_scan_determinismE0ELb0ES3_N6thrust23THRUST_200600_302600_NS6detail15normal_iteratorINS9_10device_ptrIsEEEESE_SE_sNS9_10multipliesIsEENS9_8equal_toIsEEsEE10hipError_tPvRmT2_T3_T4_T5_mT6_T7_P12ihipStream_tbENKUlT_T0_E_clISt17integral_constantIbLb1EESZ_EEDaSU_SV_EUlSU_E_NS1_11comp_targetILNS1_3genE3ELNS1_11target_archE908ELNS1_3gpuE7ELNS1_3repE0EEENS1_30default_config_static_selectorELNS0_4arch9wavefront6targetE1EEEvT1_
    .private_segment_fixed_size: 0
    .sgpr_count:     6
    .sgpr_spill_count: 0
    .symbol:         _ZN7rocprim17ROCPRIM_400000_NS6detail17trampoline_kernelINS0_14default_configENS1_27scan_by_key_config_selectorIssEEZZNS1_16scan_by_key_implILNS1_25lookback_scan_determinismE0ELb0ES3_N6thrust23THRUST_200600_302600_NS6detail15normal_iteratorINS9_10device_ptrIsEEEESE_SE_sNS9_10multipliesIsEENS9_8equal_toIsEEsEE10hipError_tPvRmT2_T3_T4_T5_mT6_T7_P12ihipStream_tbENKUlT_T0_E_clISt17integral_constantIbLb1EESZ_EEDaSU_SV_EUlSU_E_NS1_11comp_targetILNS1_3genE3ELNS1_11target_archE908ELNS1_3gpuE7ELNS1_3repE0EEENS1_30default_config_static_selectorELNS0_4arch9wavefront6targetE1EEEvT1_.kd
    .uniform_work_group_size: 1
    .uses_dynamic_stack: false
    .vgpr_count:     0
    .vgpr_spill_count: 0
    .wavefront_size: 64
  - .agpr_count:     0
    .args:
      - .offset:         0
        .size:           112
        .value_kind:     by_value
    .group_segment_fixed_size: 0
    .kernarg_segment_align: 8
    .kernarg_segment_size: 112
    .language:       OpenCL C
    .language_version:
      - 2
      - 0
    .max_flat_workgroup_size: 64
    .name:           _ZN7rocprim17ROCPRIM_400000_NS6detail17trampoline_kernelINS0_14default_configENS1_27scan_by_key_config_selectorIssEEZZNS1_16scan_by_key_implILNS1_25lookback_scan_determinismE0ELb0ES3_N6thrust23THRUST_200600_302600_NS6detail15normal_iteratorINS9_10device_ptrIsEEEESE_SE_sNS9_10multipliesIsEENS9_8equal_toIsEEsEE10hipError_tPvRmT2_T3_T4_T5_mT6_T7_P12ihipStream_tbENKUlT_T0_E_clISt17integral_constantIbLb1EESZ_EEDaSU_SV_EUlSU_E_NS1_11comp_targetILNS1_3genE2ELNS1_11target_archE906ELNS1_3gpuE6ELNS1_3repE0EEENS1_30default_config_static_selectorELNS0_4arch9wavefront6targetE1EEEvT1_
    .private_segment_fixed_size: 0
    .sgpr_count:     6
    .sgpr_spill_count: 0
    .symbol:         _ZN7rocprim17ROCPRIM_400000_NS6detail17trampoline_kernelINS0_14default_configENS1_27scan_by_key_config_selectorIssEEZZNS1_16scan_by_key_implILNS1_25lookback_scan_determinismE0ELb0ES3_N6thrust23THRUST_200600_302600_NS6detail15normal_iteratorINS9_10device_ptrIsEEEESE_SE_sNS9_10multipliesIsEENS9_8equal_toIsEEsEE10hipError_tPvRmT2_T3_T4_T5_mT6_T7_P12ihipStream_tbENKUlT_T0_E_clISt17integral_constantIbLb1EESZ_EEDaSU_SV_EUlSU_E_NS1_11comp_targetILNS1_3genE2ELNS1_11target_archE906ELNS1_3gpuE6ELNS1_3repE0EEENS1_30default_config_static_selectorELNS0_4arch9wavefront6targetE1EEEvT1_.kd
    .uniform_work_group_size: 1
    .uses_dynamic_stack: false
    .vgpr_count:     0
    .vgpr_spill_count: 0
    .wavefront_size: 64
  - .agpr_count:     0
    .args:
      - .offset:         0
        .size:           112
        .value_kind:     by_value
    .group_segment_fixed_size: 0
    .kernarg_segment_align: 8
    .kernarg_segment_size: 112
    .language:       OpenCL C
    .language_version:
      - 2
      - 0
    .max_flat_workgroup_size: 256
    .name:           _ZN7rocprim17ROCPRIM_400000_NS6detail17trampoline_kernelINS0_14default_configENS1_27scan_by_key_config_selectorIssEEZZNS1_16scan_by_key_implILNS1_25lookback_scan_determinismE0ELb0ES3_N6thrust23THRUST_200600_302600_NS6detail15normal_iteratorINS9_10device_ptrIsEEEESE_SE_sNS9_10multipliesIsEENS9_8equal_toIsEEsEE10hipError_tPvRmT2_T3_T4_T5_mT6_T7_P12ihipStream_tbENKUlT_T0_E_clISt17integral_constantIbLb1EESZ_EEDaSU_SV_EUlSU_E_NS1_11comp_targetILNS1_3genE10ELNS1_11target_archE1200ELNS1_3gpuE4ELNS1_3repE0EEENS1_30default_config_static_selectorELNS0_4arch9wavefront6targetE1EEEvT1_
    .private_segment_fixed_size: 0
    .sgpr_count:     6
    .sgpr_spill_count: 0
    .symbol:         _ZN7rocprim17ROCPRIM_400000_NS6detail17trampoline_kernelINS0_14default_configENS1_27scan_by_key_config_selectorIssEEZZNS1_16scan_by_key_implILNS1_25lookback_scan_determinismE0ELb0ES3_N6thrust23THRUST_200600_302600_NS6detail15normal_iteratorINS9_10device_ptrIsEEEESE_SE_sNS9_10multipliesIsEENS9_8equal_toIsEEsEE10hipError_tPvRmT2_T3_T4_T5_mT6_T7_P12ihipStream_tbENKUlT_T0_E_clISt17integral_constantIbLb1EESZ_EEDaSU_SV_EUlSU_E_NS1_11comp_targetILNS1_3genE10ELNS1_11target_archE1200ELNS1_3gpuE4ELNS1_3repE0EEENS1_30default_config_static_selectorELNS0_4arch9wavefront6targetE1EEEvT1_.kd
    .uniform_work_group_size: 1
    .uses_dynamic_stack: false
    .vgpr_count:     0
    .vgpr_spill_count: 0
    .wavefront_size: 64
  - .agpr_count:     0
    .args:
      - .offset:         0
        .size:           112
        .value_kind:     by_value
    .group_segment_fixed_size: 0
    .kernarg_segment_align: 8
    .kernarg_segment_size: 112
    .language:       OpenCL C
    .language_version:
      - 2
      - 0
    .max_flat_workgroup_size: 256
    .name:           _ZN7rocprim17ROCPRIM_400000_NS6detail17trampoline_kernelINS0_14default_configENS1_27scan_by_key_config_selectorIssEEZZNS1_16scan_by_key_implILNS1_25lookback_scan_determinismE0ELb0ES3_N6thrust23THRUST_200600_302600_NS6detail15normal_iteratorINS9_10device_ptrIsEEEESE_SE_sNS9_10multipliesIsEENS9_8equal_toIsEEsEE10hipError_tPvRmT2_T3_T4_T5_mT6_T7_P12ihipStream_tbENKUlT_T0_E_clISt17integral_constantIbLb1EESZ_EEDaSU_SV_EUlSU_E_NS1_11comp_targetILNS1_3genE9ELNS1_11target_archE1100ELNS1_3gpuE3ELNS1_3repE0EEENS1_30default_config_static_selectorELNS0_4arch9wavefront6targetE1EEEvT1_
    .private_segment_fixed_size: 0
    .sgpr_count:     6
    .sgpr_spill_count: 0
    .symbol:         _ZN7rocprim17ROCPRIM_400000_NS6detail17trampoline_kernelINS0_14default_configENS1_27scan_by_key_config_selectorIssEEZZNS1_16scan_by_key_implILNS1_25lookback_scan_determinismE0ELb0ES3_N6thrust23THRUST_200600_302600_NS6detail15normal_iteratorINS9_10device_ptrIsEEEESE_SE_sNS9_10multipliesIsEENS9_8equal_toIsEEsEE10hipError_tPvRmT2_T3_T4_T5_mT6_T7_P12ihipStream_tbENKUlT_T0_E_clISt17integral_constantIbLb1EESZ_EEDaSU_SV_EUlSU_E_NS1_11comp_targetILNS1_3genE9ELNS1_11target_archE1100ELNS1_3gpuE3ELNS1_3repE0EEENS1_30default_config_static_selectorELNS0_4arch9wavefront6targetE1EEEvT1_.kd
    .uniform_work_group_size: 1
    .uses_dynamic_stack: false
    .vgpr_count:     0
    .vgpr_spill_count: 0
    .wavefront_size: 64
  - .agpr_count:     0
    .args:
      - .offset:         0
        .size:           112
        .value_kind:     by_value
    .group_segment_fixed_size: 0
    .kernarg_segment_align: 8
    .kernarg_segment_size: 112
    .language:       OpenCL C
    .language_version:
      - 2
      - 0
    .max_flat_workgroup_size: 64
    .name:           _ZN7rocprim17ROCPRIM_400000_NS6detail17trampoline_kernelINS0_14default_configENS1_27scan_by_key_config_selectorIssEEZZNS1_16scan_by_key_implILNS1_25lookback_scan_determinismE0ELb0ES3_N6thrust23THRUST_200600_302600_NS6detail15normal_iteratorINS9_10device_ptrIsEEEESE_SE_sNS9_10multipliesIsEENS9_8equal_toIsEEsEE10hipError_tPvRmT2_T3_T4_T5_mT6_T7_P12ihipStream_tbENKUlT_T0_E_clISt17integral_constantIbLb1EESZ_EEDaSU_SV_EUlSU_E_NS1_11comp_targetILNS1_3genE8ELNS1_11target_archE1030ELNS1_3gpuE2ELNS1_3repE0EEENS1_30default_config_static_selectorELNS0_4arch9wavefront6targetE1EEEvT1_
    .private_segment_fixed_size: 0
    .sgpr_count:     6
    .sgpr_spill_count: 0
    .symbol:         _ZN7rocprim17ROCPRIM_400000_NS6detail17trampoline_kernelINS0_14default_configENS1_27scan_by_key_config_selectorIssEEZZNS1_16scan_by_key_implILNS1_25lookback_scan_determinismE0ELb0ES3_N6thrust23THRUST_200600_302600_NS6detail15normal_iteratorINS9_10device_ptrIsEEEESE_SE_sNS9_10multipliesIsEENS9_8equal_toIsEEsEE10hipError_tPvRmT2_T3_T4_T5_mT6_T7_P12ihipStream_tbENKUlT_T0_E_clISt17integral_constantIbLb1EESZ_EEDaSU_SV_EUlSU_E_NS1_11comp_targetILNS1_3genE8ELNS1_11target_archE1030ELNS1_3gpuE2ELNS1_3repE0EEENS1_30default_config_static_selectorELNS0_4arch9wavefront6targetE1EEEvT1_.kd
    .uniform_work_group_size: 1
    .uses_dynamic_stack: false
    .vgpr_count:     0
    .vgpr_spill_count: 0
    .wavefront_size: 64
  - .agpr_count:     0
    .args:
      - .offset:         0
        .size:           112
        .value_kind:     by_value
    .group_segment_fixed_size: 0
    .kernarg_segment_align: 8
    .kernarg_segment_size: 112
    .language:       OpenCL C
    .language_version:
      - 2
      - 0
    .max_flat_workgroup_size: 256
    .name:           _ZN7rocprim17ROCPRIM_400000_NS6detail17trampoline_kernelINS0_14default_configENS1_27scan_by_key_config_selectorIssEEZZNS1_16scan_by_key_implILNS1_25lookback_scan_determinismE0ELb0ES3_N6thrust23THRUST_200600_302600_NS6detail15normal_iteratorINS9_10device_ptrIsEEEESE_SE_sNS9_10multipliesIsEENS9_8equal_toIsEEsEE10hipError_tPvRmT2_T3_T4_T5_mT6_T7_P12ihipStream_tbENKUlT_T0_E_clISt17integral_constantIbLb1EESY_IbLb0EEEEDaSU_SV_EUlSU_E_NS1_11comp_targetILNS1_3genE0ELNS1_11target_archE4294967295ELNS1_3gpuE0ELNS1_3repE0EEENS1_30default_config_static_selectorELNS0_4arch9wavefront6targetE1EEEvT1_
    .private_segment_fixed_size: 0
    .sgpr_count:     6
    .sgpr_spill_count: 0
    .symbol:         _ZN7rocprim17ROCPRIM_400000_NS6detail17trampoline_kernelINS0_14default_configENS1_27scan_by_key_config_selectorIssEEZZNS1_16scan_by_key_implILNS1_25lookback_scan_determinismE0ELb0ES3_N6thrust23THRUST_200600_302600_NS6detail15normal_iteratorINS9_10device_ptrIsEEEESE_SE_sNS9_10multipliesIsEENS9_8equal_toIsEEsEE10hipError_tPvRmT2_T3_T4_T5_mT6_T7_P12ihipStream_tbENKUlT_T0_E_clISt17integral_constantIbLb1EESY_IbLb0EEEEDaSU_SV_EUlSU_E_NS1_11comp_targetILNS1_3genE0ELNS1_11target_archE4294967295ELNS1_3gpuE0ELNS1_3repE0EEENS1_30default_config_static_selectorELNS0_4arch9wavefront6targetE1EEEvT1_.kd
    .uniform_work_group_size: 1
    .uses_dynamic_stack: false
    .vgpr_count:     0
    .vgpr_spill_count: 0
    .wavefront_size: 64
  - .agpr_count:     0
    .args:
      - .offset:         0
        .size:           112
        .value_kind:     by_value
    .group_segment_fixed_size: 0
    .kernarg_segment_align: 8
    .kernarg_segment_size: 112
    .language:       OpenCL C
    .language_version:
      - 2
      - 0
    .max_flat_workgroup_size: 128
    .name:           _ZN7rocprim17ROCPRIM_400000_NS6detail17trampoline_kernelINS0_14default_configENS1_27scan_by_key_config_selectorIssEEZZNS1_16scan_by_key_implILNS1_25lookback_scan_determinismE0ELb0ES3_N6thrust23THRUST_200600_302600_NS6detail15normal_iteratorINS9_10device_ptrIsEEEESE_SE_sNS9_10multipliesIsEENS9_8equal_toIsEEsEE10hipError_tPvRmT2_T3_T4_T5_mT6_T7_P12ihipStream_tbENKUlT_T0_E_clISt17integral_constantIbLb1EESY_IbLb0EEEEDaSU_SV_EUlSU_E_NS1_11comp_targetILNS1_3genE10ELNS1_11target_archE1201ELNS1_3gpuE5ELNS1_3repE0EEENS1_30default_config_static_selectorELNS0_4arch9wavefront6targetE1EEEvT1_
    .private_segment_fixed_size: 0
    .sgpr_count:     6
    .sgpr_spill_count: 0
    .symbol:         _ZN7rocprim17ROCPRIM_400000_NS6detail17trampoline_kernelINS0_14default_configENS1_27scan_by_key_config_selectorIssEEZZNS1_16scan_by_key_implILNS1_25lookback_scan_determinismE0ELb0ES3_N6thrust23THRUST_200600_302600_NS6detail15normal_iteratorINS9_10device_ptrIsEEEESE_SE_sNS9_10multipliesIsEENS9_8equal_toIsEEsEE10hipError_tPvRmT2_T3_T4_T5_mT6_T7_P12ihipStream_tbENKUlT_T0_E_clISt17integral_constantIbLb1EESY_IbLb0EEEEDaSU_SV_EUlSU_E_NS1_11comp_targetILNS1_3genE10ELNS1_11target_archE1201ELNS1_3gpuE5ELNS1_3repE0EEENS1_30default_config_static_selectorELNS0_4arch9wavefront6targetE1EEEvT1_.kd
    .uniform_work_group_size: 1
    .uses_dynamic_stack: false
    .vgpr_count:     0
    .vgpr_spill_count: 0
    .wavefront_size: 64
  - .agpr_count:     0
    .args:
      - .offset:         0
        .size:           112
        .value_kind:     by_value
    .group_segment_fixed_size: 13312
    .kernarg_segment_align: 8
    .kernarg_segment_size: 112
    .language:       OpenCL C
    .language_version:
      - 2
      - 0
    .max_flat_workgroup_size: 256
    .name:           _ZN7rocprim17ROCPRIM_400000_NS6detail17trampoline_kernelINS0_14default_configENS1_27scan_by_key_config_selectorIssEEZZNS1_16scan_by_key_implILNS1_25lookback_scan_determinismE0ELb0ES3_N6thrust23THRUST_200600_302600_NS6detail15normal_iteratorINS9_10device_ptrIsEEEESE_SE_sNS9_10multipliesIsEENS9_8equal_toIsEEsEE10hipError_tPvRmT2_T3_T4_T5_mT6_T7_P12ihipStream_tbENKUlT_T0_E_clISt17integral_constantIbLb1EESY_IbLb0EEEEDaSU_SV_EUlSU_E_NS1_11comp_targetILNS1_3genE5ELNS1_11target_archE942ELNS1_3gpuE9ELNS1_3repE0EEENS1_30default_config_static_selectorELNS0_4arch9wavefront6targetE1EEEvT1_
    .private_segment_fixed_size: 0
    .sgpr_count:     94
    .sgpr_spill_count: 0
    .symbol:         _ZN7rocprim17ROCPRIM_400000_NS6detail17trampoline_kernelINS0_14default_configENS1_27scan_by_key_config_selectorIssEEZZNS1_16scan_by_key_implILNS1_25lookback_scan_determinismE0ELb0ES3_N6thrust23THRUST_200600_302600_NS6detail15normal_iteratorINS9_10device_ptrIsEEEESE_SE_sNS9_10multipliesIsEENS9_8equal_toIsEEsEE10hipError_tPvRmT2_T3_T4_T5_mT6_T7_P12ihipStream_tbENKUlT_T0_E_clISt17integral_constantIbLb1EESY_IbLb0EEEEDaSU_SV_EUlSU_E_NS1_11comp_targetILNS1_3genE5ELNS1_11target_archE942ELNS1_3gpuE9ELNS1_3repE0EEENS1_30default_config_static_selectorELNS0_4arch9wavefront6targetE1EEEvT1_.kd
    .uniform_work_group_size: 1
    .uses_dynamic_stack: false
    .vgpr_count:     63
    .vgpr_spill_count: 0
    .wavefront_size: 64
  - .agpr_count:     0
    .args:
      - .offset:         0
        .size:           112
        .value_kind:     by_value
    .group_segment_fixed_size: 0
    .kernarg_segment_align: 8
    .kernarg_segment_size: 112
    .language:       OpenCL C
    .language_version:
      - 2
      - 0
    .max_flat_workgroup_size: 256
    .name:           _ZN7rocprim17ROCPRIM_400000_NS6detail17trampoline_kernelINS0_14default_configENS1_27scan_by_key_config_selectorIssEEZZNS1_16scan_by_key_implILNS1_25lookback_scan_determinismE0ELb0ES3_N6thrust23THRUST_200600_302600_NS6detail15normal_iteratorINS9_10device_ptrIsEEEESE_SE_sNS9_10multipliesIsEENS9_8equal_toIsEEsEE10hipError_tPvRmT2_T3_T4_T5_mT6_T7_P12ihipStream_tbENKUlT_T0_E_clISt17integral_constantIbLb1EESY_IbLb0EEEEDaSU_SV_EUlSU_E_NS1_11comp_targetILNS1_3genE4ELNS1_11target_archE910ELNS1_3gpuE8ELNS1_3repE0EEENS1_30default_config_static_selectorELNS0_4arch9wavefront6targetE1EEEvT1_
    .private_segment_fixed_size: 0
    .sgpr_count:     6
    .sgpr_spill_count: 0
    .symbol:         _ZN7rocprim17ROCPRIM_400000_NS6detail17trampoline_kernelINS0_14default_configENS1_27scan_by_key_config_selectorIssEEZZNS1_16scan_by_key_implILNS1_25lookback_scan_determinismE0ELb0ES3_N6thrust23THRUST_200600_302600_NS6detail15normal_iteratorINS9_10device_ptrIsEEEESE_SE_sNS9_10multipliesIsEENS9_8equal_toIsEEsEE10hipError_tPvRmT2_T3_T4_T5_mT6_T7_P12ihipStream_tbENKUlT_T0_E_clISt17integral_constantIbLb1EESY_IbLb0EEEEDaSU_SV_EUlSU_E_NS1_11comp_targetILNS1_3genE4ELNS1_11target_archE910ELNS1_3gpuE8ELNS1_3repE0EEENS1_30default_config_static_selectorELNS0_4arch9wavefront6targetE1EEEvT1_.kd
    .uniform_work_group_size: 1
    .uses_dynamic_stack: false
    .vgpr_count:     0
    .vgpr_spill_count: 0
    .wavefront_size: 64
  - .agpr_count:     0
    .args:
      - .offset:         0
        .size:           112
        .value_kind:     by_value
    .group_segment_fixed_size: 0
    .kernarg_segment_align: 8
    .kernarg_segment_size: 112
    .language:       OpenCL C
    .language_version:
      - 2
      - 0
    .max_flat_workgroup_size: 256
    .name:           _ZN7rocprim17ROCPRIM_400000_NS6detail17trampoline_kernelINS0_14default_configENS1_27scan_by_key_config_selectorIssEEZZNS1_16scan_by_key_implILNS1_25lookback_scan_determinismE0ELb0ES3_N6thrust23THRUST_200600_302600_NS6detail15normal_iteratorINS9_10device_ptrIsEEEESE_SE_sNS9_10multipliesIsEENS9_8equal_toIsEEsEE10hipError_tPvRmT2_T3_T4_T5_mT6_T7_P12ihipStream_tbENKUlT_T0_E_clISt17integral_constantIbLb1EESY_IbLb0EEEEDaSU_SV_EUlSU_E_NS1_11comp_targetILNS1_3genE3ELNS1_11target_archE908ELNS1_3gpuE7ELNS1_3repE0EEENS1_30default_config_static_selectorELNS0_4arch9wavefront6targetE1EEEvT1_
    .private_segment_fixed_size: 0
    .sgpr_count:     6
    .sgpr_spill_count: 0
    .symbol:         _ZN7rocprim17ROCPRIM_400000_NS6detail17trampoline_kernelINS0_14default_configENS1_27scan_by_key_config_selectorIssEEZZNS1_16scan_by_key_implILNS1_25lookback_scan_determinismE0ELb0ES3_N6thrust23THRUST_200600_302600_NS6detail15normal_iteratorINS9_10device_ptrIsEEEESE_SE_sNS9_10multipliesIsEENS9_8equal_toIsEEsEE10hipError_tPvRmT2_T3_T4_T5_mT6_T7_P12ihipStream_tbENKUlT_T0_E_clISt17integral_constantIbLb1EESY_IbLb0EEEEDaSU_SV_EUlSU_E_NS1_11comp_targetILNS1_3genE3ELNS1_11target_archE908ELNS1_3gpuE7ELNS1_3repE0EEENS1_30default_config_static_selectorELNS0_4arch9wavefront6targetE1EEEvT1_.kd
    .uniform_work_group_size: 1
    .uses_dynamic_stack: false
    .vgpr_count:     0
    .vgpr_spill_count: 0
    .wavefront_size: 64
  - .agpr_count:     0
    .args:
      - .offset:         0
        .size:           112
        .value_kind:     by_value
    .group_segment_fixed_size: 0
    .kernarg_segment_align: 8
    .kernarg_segment_size: 112
    .language:       OpenCL C
    .language_version:
      - 2
      - 0
    .max_flat_workgroup_size: 64
    .name:           _ZN7rocprim17ROCPRIM_400000_NS6detail17trampoline_kernelINS0_14default_configENS1_27scan_by_key_config_selectorIssEEZZNS1_16scan_by_key_implILNS1_25lookback_scan_determinismE0ELb0ES3_N6thrust23THRUST_200600_302600_NS6detail15normal_iteratorINS9_10device_ptrIsEEEESE_SE_sNS9_10multipliesIsEENS9_8equal_toIsEEsEE10hipError_tPvRmT2_T3_T4_T5_mT6_T7_P12ihipStream_tbENKUlT_T0_E_clISt17integral_constantIbLb1EESY_IbLb0EEEEDaSU_SV_EUlSU_E_NS1_11comp_targetILNS1_3genE2ELNS1_11target_archE906ELNS1_3gpuE6ELNS1_3repE0EEENS1_30default_config_static_selectorELNS0_4arch9wavefront6targetE1EEEvT1_
    .private_segment_fixed_size: 0
    .sgpr_count:     6
    .sgpr_spill_count: 0
    .symbol:         _ZN7rocprim17ROCPRIM_400000_NS6detail17trampoline_kernelINS0_14default_configENS1_27scan_by_key_config_selectorIssEEZZNS1_16scan_by_key_implILNS1_25lookback_scan_determinismE0ELb0ES3_N6thrust23THRUST_200600_302600_NS6detail15normal_iteratorINS9_10device_ptrIsEEEESE_SE_sNS9_10multipliesIsEENS9_8equal_toIsEEsEE10hipError_tPvRmT2_T3_T4_T5_mT6_T7_P12ihipStream_tbENKUlT_T0_E_clISt17integral_constantIbLb1EESY_IbLb0EEEEDaSU_SV_EUlSU_E_NS1_11comp_targetILNS1_3genE2ELNS1_11target_archE906ELNS1_3gpuE6ELNS1_3repE0EEENS1_30default_config_static_selectorELNS0_4arch9wavefront6targetE1EEEvT1_.kd
    .uniform_work_group_size: 1
    .uses_dynamic_stack: false
    .vgpr_count:     0
    .vgpr_spill_count: 0
    .wavefront_size: 64
  - .agpr_count:     0
    .args:
      - .offset:         0
        .size:           112
        .value_kind:     by_value
    .group_segment_fixed_size: 0
    .kernarg_segment_align: 8
    .kernarg_segment_size: 112
    .language:       OpenCL C
    .language_version:
      - 2
      - 0
    .max_flat_workgroup_size: 256
    .name:           _ZN7rocprim17ROCPRIM_400000_NS6detail17trampoline_kernelINS0_14default_configENS1_27scan_by_key_config_selectorIssEEZZNS1_16scan_by_key_implILNS1_25lookback_scan_determinismE0ELb0ES3_N6thrust23THRUST_200600_302600_NS6detail15normal_iteratorINS9_10device_ptrIsEEEESE_SE_sNS9_10multipliesIsEENS9_8equal_toIsEEsEE10hipError_tPvRmT2_T3_T4_T5_mT6_T7_P12ihipStream_tbENKUlT_T0_E_clISt17integral_constantIbLb1EESY_IbLb0EEEEDaSU_SV_EUlSU_E_NS1_11comp_targetILNS1_3genE10ELNS1_11target_archE1200ELNS1_3gpuE4ELNS1_3repE0EEENS1_30default_config_static_selectorELNS0_4arch9wavefront6targetE1EEEvT1_
    .private_segment_fixed_size: 0
    .sgpr_count:     6
    .sgpr_spill_count: 0
    .symbol:         _ZN7rocprim17ROCPRIM_400000_NS6detail17trampoline_kernelINS0_14default_configENS1_27scan_by_key_config_selectorIssEEZZNS1_16scan_by_key_implILNS1_25lookback_scan_determinismE0ELb0ES3_N6thrust23THRUST_200600_302600_NS6detail15normal_iteratorINS9_10device_ptrIsEEEESE_SE_sNS9_10multipliesIsEENS9_8equal_toIsEEsEE10hipError_tPvRmT2_T3_T4_T5_mT6_T7_P12ihipStream_tbENKUlT_T0_E_clISt17integral_constantIbLb1EESY_IbLb0EEEEDaSU_SV_EUlSU_E_NS1_11comp_targetILNS1_3genE10ELNS1_11target_archE1200ELNS1_3gpuE4ELNS1_3repE0EEENS1_30default_config_static_selectorELNS0_4arch9wavefront6targetE1EEEvT1_.kd
    .uniform_work_group_size: 1
    .uses_dynamic_stack: false
    .vgpr_count:     0
    .vgpr_spill_count: 0
    .wavefront_size: 64
  - .agpr_count:     0
    .args:
      - .offset:         0
        .size:           112
        .value_kind:     by_value
    .group_segment_fixed_size: 0
    .kernarg_segment_align: 8
    .kernarg_segment_size: 112
    .language:       OpenCL C
    .language_version:
      - 2
      - 0
    .max_flat_workgroup_size: 256
    .name:           _ZN7rocprim17ROCPRIM_400000_NS6detail17trampoline_kernelINS0_14default_configENS1_27scan_by_key_config_selectorIssEEZZNS1_16scan_by_key_implILNS1_25lookback_scan_determinismE0ELb0ES3_N6thrust23THRUST_200600_302600_NS6detail15normal_iteratorINS9_10device_ptrIsEEEESE_SE_sNS9_10multipliesIsEENS9_8equal_toIsEEsEE10hipError_tPvRmT2_T3_T4_T5_mT6_T7_P12ihipStream_tbENKUlT_T0_E_clISt17integral_constantIbLb1EESY_IbLb0EEEEDaSU_SV_EUlSU_E_NS1_11comp_targetILNS1_3genE9ELNS1_11target_archE1100ELNS1_3gpuE3ELNS1_3repE0EEENS1_30default_config_static_selectorELNS0_4arch9wavefront6targetE1EEEvT1_
    .private_segment_fixed_size: 0
    .sgpr_count:     6
    .sgpr_spill_count: 0
    .symbol:         _ZN7rocprim17ROCPRIM_400000_NS6detail17trampoline_kernelINS0_14default_configENS1_27scan_by_key_config_selectorIssEEZZNS1_16scan_by_key_implILNS1_25lookback_scan_determinismE0ELb0ES3_N6thrust23THRUST_200600_302600_NS6detail15normal_iteratorINS9_10device_ptrIsEEEESE_SE_sNS9_10multipliesIsEENS9_8equal_toIsEEsEE10hipError_tPvRmT2_T3_T4_T5_mT6_T7_P12ihipStream_tbENKUlT_T0_E_clISt17integral_constantIbLb1EESY_IbLb0EEEEDaSU_SV_EUlSU_E_NS1_11comp_targetILNS1_3genE9ELNS1_11target_archE1100ELNS1_3gpuE3ELNS1_3repE0EEENS1_30default_config_static_selectorELNS0_4arch9wavefront6targetE1EEEvT1_.kd
    .uniform_work_group_size: 1
    .uses_dynamic_stack: false
    .vgpr_count:     0
    .vgpr_spill_count: 0
    .wavefront_size: 64
  - .agpr_count:     0
    .args:
      - .offset:         0
        .size:           112
        .value_kind:     by_value
    .group_segment_fixed_size: 0
    .kernarg_segment_align: 8
    .kernarg_segment_size: 112
    .language:       OpenCL C
    .language_version:
      - 2
      - 0
    .max_flat_workgroup_size: 64
    .name:           _ZN7rocprim17ROCPRIM_400000_NS6detail17trampoline_kernelINS0_14default_configENS1_27scan_by_key_config_selectorIssEEZZNS1_16scan_by_key_implILNS1_25lookback_scan_determinismE0ELb0ES3_N6thrust23THRUST_200600_302600_NS6detail15normal_iteratorINS9_10device_ptrIsEEEESE_SE_sNS9_10multipliesIsEENS9_8equal_toIsEEsEE10hipError_tPvRmT2_T3_T4_T5_mT6_T7_P12ihipStream_tbENKUlT_T0_E_clISt17integral_constantIbLb1EESY_IbLb0EEEEDaSU_SV_EUlSU_E_NS1_11comp_targetILNS1_3genE8ELNS1_11target_archE1030ELNS1_3gpuE2ELNS1_3repE0EEENS1_30default_config_static_selectorELNS0_4arch9wavefront6targetE1EEEvT1_
    .private_segment_fixed_size: 0
    .sgpr_count:     6
    .sgpr_spill_count: 0
    .symbol:         _ZN7rocprim17ROCPRIM_400000_NS6detail17trampoline_kernelINS0_14default_configENS1_27scan_by_key_config_selectorIssEEZZNS1_16scan_by_key_implILNS1_25lookback_scan_determinismE0ELb0ES3_N6thrust23THRUST_200600_302600_NS6detail15normal_iteratorINS9_10device_ptrIsEEEESE_SE_sNS9_10multipliesIsEENS9_8equal_toIsEEsEE10hipError_tPvRmT2_T3_T4_T5_mT6_T7_P12ihipStream_tbENKUlT_T0_E_clISt17integral_constantIbLb1EESY_IbLb0EEEEDaSU_SV_EUlSU_E_NS1_11comp_targetILNS1_3genE8ELNS1_11target_archE1030ELNS1_3gpuE2ELNS1_3repE0EEENS1_30default_config_static_selectorELNS0_4arch9wavefront6targetE1EEEvT1_.kd
    .uniform_work_group_size: 1
    .uses_dynamic_stack: false
    .vgpr_count:     0
    .vgpr_spill_count: 0
    .wavefront_size: 64
  - .agpr_count:     0
    .args:
      - .offset:         0
        .size:           112
        .value_kind:     by_value
    .group_segment_fixed_size: 0
    .kernarg_segment_align: 8
    .kernarg_segment_size: 112
    .language:       OpenCL C
    .language_version:
      - 2
      - 0
    .max_flat_workgroup_size: 256
    .name:           _ZN7rocprim17ROCPRIM_400000_NS6detail17trampoline_kernelINS0_14default_configENS1_27scan_by_key_config_selectorIssEEZZNS1_16scan_by_key_implILNS1_25lookback_scan_determinismE0ELb0ES3_N6thrust23THRUST_200600_302600_NS6detail15normal_iteratorINS9_10device_ptrIsEEEESE_SE_sNS9_10multipliesIsEENS9_8equal_toIsEEsEE10hipError_tPvRmT2_T3_T4_T5_mT6_T7_P12ihipStream_tbENKUlT_T0_E_clISt17integral_constantIbLb0EESY_IbLb1EEEEDaSU_SV_EUlSU_E_NS1_11comp_targetILNS1_3genE0ELNS1_11target_archE4294967295ELNS1_3gpuE0ELNS1_3repE0EEENS1_30default_config_static_selectorELNS0_4arch9wavefront6targetE1EEEvT1_
    .private_segment_fixed_size: 0
    .sgpr_count:     6
    .sgpr_spill_count: 0
    .symbol:         _ZN7rocprim17ROCPRIM_400000_NS6detail17trampoline_kernelINS0_14default_configENS1_27scan_by_key_config_selectorIssEEZZNS1_16scan_by_key_implILNS1_25lookback_scan_determinismE0ELb0ES3_N6thrust23THRUST_200600_302600_NS6detail15normal_iteratorINS9_10device_ptrIsEEEESE_SE_sNS9_10multipliesIsEENS9_8equal_toIsEEsEE10hipError_tPvRmT2_T3_T4_T5_mT6_T7_P12ihipStream_tbENKUlT_T0_E_clISt17integral_constantIbLb0EESY_IbLb1EEEEDaSU_SV_EUlSU_E_NS1_11comp_targetILNS1_3genE0ELNS1_11target_archE4294967295ELNS1_3gpuE0ELNS1_3repE0EEENS1_30default_config_static_selectorELNS0_4arch9wavefront6targetE1EEEvT1_.kd
    .uniform_work_group_size: 1
    .uses_dynamic_stack: false
    .vgpr_count:     0
    .vgpr_spill_count: 0
    .wavefront_size: 64
  - .agpr_count:     0
    .args:
      - .offset:         0
        .size:           112
        .value_kind:     by_value
    .group_segment_fixed_size: 0
    .kernarg_segment_align: 8
    .kernarg_segment_size: 112
    .language:       OpenCL C
    .language_version:
      - 2
      - 0
    .max_flat_workgroup_size: 128
    .name:           _ZN7rocprim17ROCPRIM_400000_NS6detail17trampoline_kernelINS0_14default_configENS1_27scan_by_key_config_selectorIssEEZZNS1_16scan_by_key_implILNS1_25lookback_scan_determinismE0ELb0ES3_N6thrust23THRUST_200600_302600_NS6detail15normal_iteratorINS9_10device_ptrIsEEEESE_SE_sNS9_10multipliesIsEENS9_8equal_toIsEEsEE10hipError_tPvRmT2_T3_T4_T5_mT6_T7_P12ihipStream_tbENKUlT_T0_E_clISt17integral_constantIbLb0EESY_IbLb1EEEEDaSU_SV_EUlSU_E_NS1_11comp_targetILNS1_3genE10ELNS1_11target_archE1201ELNS1_3gpuE5ELNS1_3repE0EEENS1_30default_config_static_selectorELNS0_4arch9wavefront6targetE1EEEvT1_
    .private_segment_fixed_size: 0
    .sgpr_count:     6
    .sgpr_spill_count: 0
    .symbol:         _ZN7rocprim17ROCPRIM_400000_NS6detail17trampoline_kernelINS0_14default_configENS1_27scan_by_key_config_selectorIssEEZZNS1_16scan_by_key_implILNS1_25lookback_scan_determinismE0ELb0ES3_N6thrust23THRUST_200600_302600_NS6detail15normal_iteratorINS9_10device_ptrIsEEEESE_SE_sNS9_10multipliesIsEENS9_8equal_toIsEEsEE10hipError_tPvRmT2_T3_T4_T5_mT6_T7_P12ihipStream_tbENKUlT_T0_E_clISt17integral_constantIbLb0EESY_IbLb1EEEEDaSU_SV_EUlSU_E_NS1_11comp_targetILNS1_3genE10ELNS1_11target_archE1201ELNS1_3gpuE5ELNS1_3repE0EEENS1_30default_config_static_selectorELNS0_4arch9wavefront6targetE1EEEvT1_.kd
    .uniform_work_group_size: 1
    .uses_dynamic_stack: false
    .vgpr_count:     0
    .vgpr_spill_count: 0
    .wavefront_size: 64
  - .agpr_count:     0
    .args:
      - .offset:         0
        .size:           112
        .value_kind:     by_value
    .group_segment_fixed_size: 13312
    .kernarg_segment_align: 8
    .kernarg_segment_size: 112
    .language:       OpenCL C
    .language_version:
      - 2
      - 0
    .max_flat_workgroup_size: 256
    .name:           _ZN7rocprim17ROCPRIM_400000_NS6detail17trampoline_kernelINS0_14default_configENS1_27scan_by_key_config_selectorIssEEZZNS1_16scan_by_key_implILNS1_25lookback_scan_determinismE0ELb0ES3_N6thrust23THRUST_200600_302600_NS6detail15normal_iteratorINS9_10device_ptrIsEEEESE_SE_sNS9_10multipliesIsEENS9_8equal_toIsEEsEE10hipError_tPvRmT2_T3_T4_T5_mT6_T7_P12ihipStream_tbENKUlT_T0_E_clISt17integral_constantIbLb0EESY_IbLb1EEEEDaSU_SV_EUlSU_E_NS1_11comp_targetILNS1_3genE5ELNS1_11target_archE942ELNS1_3gpuE9ELNS1_3repE0EEENS1_30default_config_static_selectorELNS0_4arch9wavefront6targetE1EEEvT1_
    .private_segment_fixed_size: 0
    .sgpr_count:     93
    .sgpr_spill_count: 0
    .symbol:         _ZN7rocprim17ROCPRIM_400000_NS6detail17trampoline_kernelINS0_14default_configENS1_27scan_by_key_config_selectorIssEEZZNS1_16scan_by_key_implILNS1_25lookback_scan_determinismE0ELb0ES3_N6thrust23THRUST_200600_302600_NS6detail15normal_iteratorINS9_10device_ptrIsEEEESE_SE_sNS9_10multipliesIsEENS9_8equal_toIsEEsEE10hipError_tPvRmT2_T3_T4_T5_mT6_T7_P12ihipStream_tbENKUlT_T0_E_clISt17integral_constantIbLb0EESY_IbLb1EEEEDaSU_SV_EUlSU_E_NS1_11comp_targetILNS1_3genE5ELNS1_11target_archE942ELNS1_3gpuE9ELNS1_3repE0EEENS1_30default_config_static_selectorELNS0_4arch9wavefront6targetE1EEEvT1_.kd
    .uniform_work_group_size: 1
    .uses_dynamic_stack: false
    .vgpr_count:     63
    .vgpr_spill_count: 0
    .wavefront_size: 64
  - .agpr_count:     0
    .args:
      - .offset:         0
        .size:           112
        .value_kind:     by_value
    .group_segment_fixed_size: 0
    .kernarg_segment_align: 8
    .kernarg_segment_size: 112
    .language:       OpenCL C
    .language_version:
      - 2
      - 0
    .max_flat_workgroup_size: 256
    .name:           _ZN7rocprim17ROCPRIM_400000_NS6detail17trampoline_kernelINS0_14default_configENS1_27scan_by_key_config_selectorIssEEZZNS1_16scan_by_key_implILNS1_25lookback_scan_determinismE0ELb0ES3_N6thrust23THRUST_200600_302600_NS6detail15normal_iteratorINS9_10device_ptrIsEEEESE_SE_sNS9_10multipliesIsEENS9_8equal_toIsEEsEE10hipError_tPvRmT2_T3_T4_T5_mT6_T7_P12ihipStream_tbENKUlT_T0_E_clISt17integral_constantIbLb0EESY_IbLb1EEEEDaSU_SV_EUlSU_E_NS1_11comp_targetILNS1_3genE4ELNS1_11target_archE910ELNS1_3gpuE8ELNS1_3repE0EEENS1_30default_config_static_selectorELNS0_4arch9wavefront6targetE1EEEvT1_
    .private_segment_fixed_size: 0
    .sgpr_count:     6
    .sgpr_spill_count: 0
    .symbol:         _ZN7rocprim17ROCPRIM_400000_NS6detail17trampoline_kernelINS0_14default_configENS1_27scan_by_key_config_selectorIssEEZZNS1_16scan_by_key_implILNS1_25lookback_scan_determinismE0ELb0ES3_N6thrust23THRUST_200600_302600_NS6detail15normal_iteratorINS9_10device_ptrIsEEEESE_SE_sNS9_10multipliesIsEENS9_8equal_toIsEEsEE10hipError_tPvRmT2_T3_T4_T5_mT6_T7_P12ihipStream_tbENKUlT_T0_E_clISt17integral_constantIbLb0EESY_IbLb1EEEEDaSU_SV_EUlSU_E_NS1_11comp_targetILNS1_3genE4ELNS1_11target_archE910ELNS1_3gpuE8ELNS1_3repE0EEENS1_30default_config_static_selectorELNS0_4arch9wavefront6targetE1EEEvT1_.kd
    .uniform_work_group_size: 1
    .uses_dynamic_stack: false
    .vgpr_count:     0
    .vgpr_spill_count: 0
    .wavefront_size: 64
  - .agpr_count:     0
    .args:
      - .offset:         0
        .size:           112
        .value_kind:     by_value
    .group_segment_fixed_size: 0
    .kernarg_segment_align: 8
    .kernarg_segment_size: 112
    .language:       OpenCL C
    .language_version:
      - 2
      - 0
    .max_flat_workgroup_size: 256
    .name:           _ZN7rocprim17ROCPRIM_400000_NS6detail17trampoline_kernelINS0_14default_configENS1_27scan_by_key_config_selectorIssEEZZNS1_16scan_by_key_implILNS1_25lookback_scan_determinismE0ELb0ES3_N6thrust23THRUST_200600_302600_NS6detail15normal_iteratorINS9_10device_ptrIsEEEESE_SE_sNS9_10multipliesIsEENS9_8equal_toIsEEsEE10hipError_tPvRmT2_T3_T4_T5_mT6_T7_P12ihipStream_tbENKUlT_T0_E_clISt17integral_constantIbLb0EESY_IbLb1EEEEDaSU_SV_EUlSU_E_NS1_11comp_targetILNS1_3genE3ELNS1_11target_archE908ELNS1_3gpuE7ELNS1_3repE0EEENS1_30default_config_static_selectorELNS0_4arch9wavefront6targetE1EEEvT1_
    .private_segment_fixed_size: 0
    .sgpr_count:     6
    .sgpr_spill_count: 0
    .symbol:         _ZN7rocprim17ROCPRIM_400000_NS6detail17trampoline_kernelINS0_14default_configENS1_27scan_by_key_config_selectorIssEEZZNS1_16scan_by_key_implILNS1_25lookback_scan_determinismE0ELb0ES3_N6thrust23THRUST_200600_302600_NS6detail15normal_iteratorINS9_10device_ptrIsEEEESE_SE_sNS9_10multipliesIsEENS9_8equal_toIsEEsEE10hipError_tPvRmT2_T3_T4_T5_mT6_T7_P12ihipStream_tbENKUlT_T0_E_clISt17integral_constantIbLb0EESY_IbLb1EEEEDaSU_SV_EUlSU_E_NS1_11comp_targetILNS1_3genE3ELNS1_11target_archE908ELNS1_3gpuE7ELNS1_3repE0EEENS1_30default_config_static_selectorELNS0_4arch9wavefront6targetE1EEEvT1_.kd
    .uniform_work_group_size: 1
    .uses_dynamic_stack: false
    .vgpr_count:     0
    .vgpr_spill_count: 0
    .wavefront_size: 64
  - .agpr_count:     0
    .args:
      - .offset:         0
        .size:           112
        .value_kind:     by_value
    .group_segment_fixed_size: 0
    .kernarg_segment_align: 8
    .kernarg_segment_size: 112
    .language:       OpenCL C
    .language_version:
      - 2
      - 0
    .max_flat_workgroup_size: 64
    .name:           _ZN7rocprim17ROCPRIM_400000_NS6detail17trampoline_kernelINS0_14default_configENS1_27scan_by_key_config_selectorIssEEZZNS1_16scan_by_key_implILNS1_25lookback_scan_determinismE0ELb0ES3_N6thrust23THRUST_200600_302600_NS6detail15normal_iteratorINS9_10device_ptrIsEEEESE_SE_sNS9_10multipliesIsEENS9_8equal_toIsEEsEE10hipError_tPvRmT2_T3_T4_T5_mT6_T7_P12ihipStream_tbENKUlT_T0_E_clISt17integral_constantIbLb0EESY_IbLb1EEEEDaSU_SV_EUlSU_E_NS1_11comp_targetILNS1_3genE2ELNS1_11target_archE906ELNS1_3gpuE6ELNS1_3repE0EEENS1_30default_config_static_selectorELNS0_4arch9wavefront6targetE1EEEvT1_
    .private_segment_fixed_size: 0
    .sgpr_count:     6
    .sgpr_spill_count: 0
    .symbol:         _ZN7rocprim17ROCPRIM_400000_NS6detail17trampoline_kernelINS0_14default_configENS1_27scan_by_key_config_selectorIssEEZZNS1_16scan_by_key_implILNS1_25lookback_scan_determinismE0ELb0ES3_N6thrust23THRUST_200600_302600_NS6detail15normal_iteratorINS9_10device_ptrIsEEEESE_SE_sNS9_10multipliesIsEENS9_8equal_toIsEEsEE10hipError_tPvRmT2_T3_T4_T5_mT6_T7_P12ihipStream_tbENKUlT_T0_E_clISt17integral_constantIbLb0EESY_IbLb1EEEEDaSU_SV_EUlSU_E_NS1_11comp_targetILNS1_3genE2ELNS1_11target_archE906ELNS1_3gpuE6ELNS1_3repE0EEENS1_30default_config_static_selectorELNS0_4arch9wavefront6targetE1EEEvT1_.kd
    .uniform_work_group_size: 1
    .uses_dynamic_stack: false
    .vgpr_count:     0
    .vgpr_spill_count: 0
    .wavefront_size: 64
  - .agpr_count:     0
    .args:
      - .offset:         0
        .size:           112
        .value_kind:     by_value
    .group_segment_fixed_size: 0
    .kernarg_segment_align: 8
    .kernarg_segment_size: 112
    .language:       OpenCL C
    .language_version:
      - 2
      - 0
    .max_flat_workgroup_size: 256
    .name:           _ZN7rocprim17ROCPRIM_400000_NS6detail17trampoline_kernelINS0_14default_configENS1_27scan_by_key_config_selectorIssEEZZNS1_16scan_by_key_implILNS1_25lookback_scan_determinismE0ELb0ES3_N6thrust23THRUST_200600_302600_NS6detail15normal_iteratorINS9_10device_ptrIsEEEESE_SE_sNS9_10multipliesIsEENS9_8equal_toIsEEsEE10hipError_tPvRmT2_T3_T4_T5_mT6_T7_P12ihipStream_tbENKUlT_T0_E_clISt17integral_constantIbLb0EESY_IbLb1EEEEDaSU_SV_EUlSU_E_NS1_11comp_targetILNS1_3genE10ELNS1_11target_archE1200ELNS1_3gpuE4ELNS1_3repE0EEENS1_30default_config_static_selectorELNS0_4arch9wavefront6targetE1EEEvT1_
    .private_segment_fixed_size: 0
    .sgpr_count:     6
    .sgpr_spill_count: 0
    .symbol:         _ZN7rocprim17ROCPRIM_400000_NS6detail17trampoline_kernelINS0_14default_configENS1_27scan_by_key_config_selectorIssEEZZNS1_16scan_by_key_implILNS1_25lookback_scan_determinismE0ELb0ES3_N6thrust23THRUST_200600_302600_NS6detail15normal_iteratorINS9_10device_ptrIsEEEESE_SE_sNS9_10multipliesIsEENS9_8equal_toIsEEsEE10hipError_tPvRmT2_T3_T4_T5_mT6_T7_P12ihipStream_tbENKUlT_T0_E_clISt17integral_constantIbLb0EESY_IbLb1EEEEDaSU_SV_EUlSU_E_NS1_11comp_targetILNS1_3genE10ELNS1_11target_archE1200ELNS1_3gpuE4ELNS1_3repE0EEENS1_30default_config_static_selectorELNS0_4arch9wavefront6targetE1EEEvT1_.kd
    .uniform_work_group_size: 1
    .uses_dynamic_stack: false
    .vgpr_count:     0
    .vgpr_spill_count: 0
    .wavefront_size: 64
  - .agpr_count:     0
    .args:
      - .offset:         0
        .size:           112
        .value_kind:     by_value
    .group_segment_fixed_size: 0
    .kernarg_segment_align: 8
    .kernarg_segment_size: 112
    .language:       OpenCL C
    .language_version:
      - 2
      - 0
    .max_flat_workgroup_size: 256
    .name:           _ZN7rocprim17ROCPRIM_400000_NS6detail17trampoline_kernelINS0_14default_configENS1_27scan_by_key_config_selectorIssEEZZNS1_16scan_by_key_implILNS1_25lookback_scan_determinismE0ELb0ES3_N6thrust23THRUST_200600_302600_NS6detail15normal_iteratorINS9_10device_ptrIsEEEESE_SE_sNS9_10multipliesIsEENS9_8equal_toIsEEsEE10hipError_tPvRmT2_T3_T4_T5_mT6_T7_P12ihipStream_tbENKUlT_T0_E_clISt17integral_constantIbLb0EESY_IbLb1EEEEDaSU_SV_EUlSU_E_NS1_11comp_targetILNS1_3genE9ELNS1_11target_archE1100ELNS1_3gpuE3ELNS1_3repE0EEENS1_30default_config_static_selectorELNS0_4arch9wavefront6targetE1EEEvT1_
    .private_segment_fixed_size: 0
    .sgpr_count:     6
    .sgpr_spill_count: 0
    .symbol:         _ZN7rocprim17ROCPRIM_400000_NS6detail17trampoline_kernelINS0_14default_configENS1_27scan_by_key_config_selectorIssEEZZNS1_16scan_by_key_implILNS1_25lookback_scan_determinismE0ELb0ES3_N6thrust23THRUST_200600_302600_NS6detail15normal_iteratorINS9_10device_ptrIsEEEESE_SE_sNS9_10multipliesIsEENS9_8equal_toIsEEsEE10hipError_tPvRmT2_T3_T4_T5_mT6_T7_P12ihipStream_tbENKUlT_T0_E_clISt17integral_constantIbLb0EESY_IbLb1EEEEDaSU_SV_EUlSU_E_NS1_11comp_targetILNS1_3genE9ELNS1_11target_archE1100ELNS1_3gpuE3ELNS1_3repE0EEENS1_30default_config_static_selectorELNS0_4arch9wavefront6targetE1EEEvT1_.kd
    .uniform_work_group_size: 1
    .uses_dynamic_stack: false
    .vgpr_count:     0
    .vgpr_spill_count: 0
    .wavefront_size: 64
  - .agpr_count:     0
    .args:
      - .offset:         0
        .size:           112
        .value_kind:     by_value
    .group_segment_fixed_size: 0
    .kernarg_segment_align: 8
    .kernarg_segment_size: 112
    .language:       OpenCL C
    .language_version:
      - 2
      - 0
    .max_flat_workgroup_size: 64
    .name:           _ZN7rocprim17ROCPRIM_400000_NS6detail17trampoline_kernelINS0_14default_configENS1_27scan_by_key_config_selectorIssEEZZNS1_16scan_by_key_implILNS1_25lookback_scan_determinismE0ELb0ES3_N6thrust23THRUST_200600_302600_NS6detail15normal_iteratorINS9_10device_ptrIsEEEESE_SE_sNS9_10multipliesIsEENS9_8equal_toIsEEsEE10hipError_tPvRmT2_T3_T4_T5_mT6_T7_P12ihipStream_tbENKUlT_T0_E_clISt17integral_constantIbLb0EESY_IbLb1EEEEDaSU_SV_EUlSU_E_NS1_11comp_targetILNS1_3genE8ELNS1_11target_archE1030ELNS1_3gpuE2ELNS1_3repE0EEENS1_30default_config_static_selectorELNS0_4arch9wavefront6targetE1EEEvT1_
    .private_segment_fixed_size: 0
    .sgpr_count:     6
    .sgpr_spill_count: 0
    .symbol:         _ZN7rocprim17ROCPRIM_400000_NS6detail17trampoline_kernelINS0_14default_configENS1_27scan_by_key_config_selectorIssEEZZNS1_16scan_by_key_implILNS1_25lookback_scan_determinismE0ELb0ES3_N6thrust23THRUST_200600_302600_NS6detail15normal_iteratorINS9_10device_ptrIsEEEESE_SE_sNS9_10multipliesIsEENS9_8equal_toIsEEsEE10hipError_tPvRmT2_T3_T4_T5_mT6_T7_P12ihipStream_tbENKUlT_T0_E_clISt17integral_constantIbLb0EESY_IbLb1EEEEDaSU_SV_EUlSU_E_NS1_11comp_targetILNS1_3genE8ELNS1_11target_archE1030ELNS1_3gpuE2ELNS1_3repE0EEENS1_30default_config_static_selectorELNS0_4arch9wavefront6targetE1EEEvT1_.kd
    .uniform_work_group_size: 1
    .uses_dynamic_stack: false
    .vgpr_count:     0
    .vgpr_spill_count: 0
    .wavefront_size: 64
  - .agpr_count:     0
    .args:
      - .offset:         0
        .size:           112
        .value_kind:     by_value
    .group_segment_fixed_size: 0
    .kernarg_segment_align: 8
    .kernarg_segment_size: 112
    .language:       OpenCL C
    .language_version:
      - 2
      - 0
    .max_flat_workgroup_size: 256
    .name:           _ZN7rocprim17ROCPRIM_400000_NS6detail17trampoline_kernelINS0_14default_configENS1_27scan_by_key_config_selectorIssEEZZNS1_16scan_by_key_implILNS1_25lookback_scan_determinismE0ELb0ES3_N6thrust23THRUST_200600_302600_NS6detail15normal_iteratorINS9_10device_ptrIsEEEESE_SE_sNS9_4plusIvEENS9_8equal_toIsEEsEE10hipError_tPvRmT2_T3_T4_T5_mT6_T7_P12ihipStream_tbENKUlT_T0_E_clISt17integral_constantIbLb0EESZ_EEDaSU_SV_EUlSU_E_NS1_11comp_targetILNS1_3genE0ELNS1_11target_archE4294967295ELNS1_3gpuE0ELNS1_3repE0EEENS1_30default_config_static_selectorELNS0_4arch9wavefront6targetE1EEEvT1_
    .private_segment_fixed_size: 0
    .sgpr_count:     6
    .sgpr_spill_count: 0
    .symbol:         _ZN7rocprim17ROCPRIM_400000_NS6detail17trampoline_kernelINS0_14default_configENS1_27scan_by_key_config_selectorIssEEZZNS1_16scan_by_key_implILNS1_25lookback_scan_determinismE0ELb0ES3_N6thrust23THRUST_200600_302600_NS6detail15normal_iteratorINS9_10device_ptrIsEEEESE_SE_sNS9_4plusIvEENS9_8equal_toIsEEsEE10hipError_tPvRmT2_T3_T4_T5_mT6_T7_P12ihipStream_tbENKUlT_T0_E_clISt17integral_constantIbLb0EESZ_EEDaSU_SV_EUlSU_E_NS1_11comp_targetILNS1_3genE0ELNS1_11target_archE4294967295ELNS1_3gpuE0ELNS1_3repE0EEENS1_30default_config_static_selectorELNS0_4arch9wavefront6targetE1EEEvT1_.kd
    .uniform_work_group_size: 1
    .uses_dynamic_stack: false
    .vgpr_count:     0
    .vgpr_spill_count: 0
    .wavefront_size: 64
  - .agpr_count:     0
    .args:
      - .offset:         0
        .size:           112
        .value_kind:     by_value
    .group_segment_fixed_size: 0
    .kernarg_segment_align: 8
    .kernarg_segment_size: 112
    .language:       OpenCL C
    .language_version:
      - 2
      - 0
    .max_flat_workgroup_size: 128
    .name:           _ZN7rocprim17ROCPRIM_400000_NS6detail17trampoline_kernelINS0_14default_configENS1_27scan_by_key_config_selectorIssEEZZNS1_16scan_by_key_implILNS1_25lookback_scan_determinismE0ELb0ES3_N6thrust23THRUST_200600_302600_NS6detail15normal_iteratorINS9_10device_ptrIsEEEESE_SE_sNS9_4plusIvEENS9_8equal_toIsEEsEE10hipError_tPvRmT2_T3_T4_T5_mT6_T7_P12ihipStream_tbENKUlT_T0_E_clISt17integral_constantIbLb0EESZ_EEDaSU_SV_EUlSU_E_NS1_11comp_targetILNS1_3genE10ELNS1_11target_archE1201ELNS1_3gpuE5ELNS1_3repE0EEENS1_30default_config_static_selectorELNS0_4arch9wavefront6targetE1EEEvT1_
    .private_segment_fixed_size: 0
    .sgpr_count:     6
    .sgpr_spill_count: 0
    .symbol:         _ZN7rocprim17ROCPRIM_400000_NS6detail17trampoline_kernelINS0_14default_configENS1_27scan_by_key_config_selectorIssEEZZNS1_16scan_by_key_implILNS1_25lookback_scan_determinismE0ELb0ES3_N6thrust23THRUST_200600_302600_NS6detail15normal_iteratorINS9_10device_ptrIsEEEESE_SE_sNS9_4plusIvEENS9_8equal_toIsEEsEE10hipError_tPvRmT2_T3_T4_T5_mT6_T7_P12ihipStream_tbENKUlT_T0_E_clISt17integral_constantIbLb0EESZ_EEDaSU_SV_EUlSU_E_NS1_11comp_targetILNS1_3genE10ELNS1_11target_archE1201ELNS1_3gpuE5ELNS1_3repE0EEENS1_30default_config_static_selectorELNS0_4arch9wavefront6targetE1EEEvT1_.kd
    .uniform_work_group_size: 1
    .uses_dynamic_stack: false
    .vgpr_count:     0
    .vgpr_spill_count: 0
    .wavefront_size: 64
  - .agpr_count:     0
    .args:
      - .offset:         0
        .size:           112
        .value_kind:     by_value
    .group_segment_fixed_size: 13312
    .kernarg_segment_align: 8
    .kernarg_segment_size: 112
    .language:       OpenCL C
    .language_version:
      - 2
      - 0
    .max_flat_workgroup_size: 256
    .name:           _ZN7rocprim17ROCPRIM_400000_NS6detail17trampoline_kernelINS0_14default_configENS1_27scan_by_key_config_selectorIssEEZZNS1_16scan_by_key_implILNS1_25lookback_scan_determinismE0ELb0ES3_N6thrust23THRUST_200600_302600_NS6detail15normal_iteratorINS9_10device_ptrIsEEEESE_SE_sNS9_4plusIvEENS9_8equal_toIsEEsEE10hipError_tPvRmT2_T3_T4_T5_mT6_T7_P12ihipStream_tbENKUlT_T0_E_clISt17integral_constantIbLb0EESZ_EEDaSU_SV_EUlSU_E_NS1_11comp_targetILNS1_3genE5ELNS1_11target_archE942ELNS1_3gpuE9ELNS1_3repE0EEENS1_30default_config_static_selectorELNS0_4arch9wavefront6targetE1EEEvT1_
    .private_segment_fixed_size: 0
    .sgpr_count:     94
    .sgpr_spill_count: 0
    .symbol:         _ZN7rocprim17ROCPRIM_400000_NS6detail17trampoline_kernelINS0_14default_configENS1_27scan_by_key_config_selectorIssEEZZNS1_16scan_by_key_implILNS1_25lookback_scan_determinismE0ELb0ES3_N6thrust23THRUST_200600_302600_NS6detail15normal_iteratorINS9_10device_ptrIsEEEESE_SE_sNS9_4plusIvEENS9_8equal_toIsEEsEE10hipError_tPvRmT2_T3_T4_T5_mT6_T7_P12ihipStream_tbENKUlT_T0_E_clISt17integral_constantIbLb0EESZ_EEDaSU_SV_EUlSU_E_NS1_11comp_targetILNS1_3genE5ELNS1_11target_archE942ELNS1_3gpuE9ELNS1_3repE0EEENS1_30default_config_static_selectorELNS0_4arch9wavefront6targetE1EEEvT1_.kd
    .uniform_work_group_size: 1
    .uses_dynamic_stack: false
    .vgpr_count:     63
    .vgpr_spill_count: 0
    .wavefront_size: 64
  - .agpr_count:     0
    .args:
      - .offset:         0
        .size:           112
        .value_kind:     by_value
    .group_segment_fixed_size: 0
    .kernarg_segment_align: 8
    .kernarg_segment_size: 112
    .language:       OpenCL C
    .language_version:
      - 2
      - 0
    .max_flat_workgroup_size: 256
    .name:           _ZN7rocprim17ROCPRIM_400000_NS6detail17trampoline_kernelINS0_14default_configENS1_27scan_by_key_config_selectorIssEEZZNS1_16scan_by_key_implILNS1_25lookback_scan_determinismE0ELb0ES3_N6thrust23THRUST_200600_302600_NS6detail15normal_iteratorINS9_10device_ptrIsEEEESE_SE_sNS9_4plusIvEENS9_8equal_toIsEEsEE10hipError_tPvRmT2_T3_T4_T5_mT6_T7_P12ihipStream_tbENKUlT_T0_E_clISt17integral_constantIbLb0EESZ_EEDaSU_SV_EUlSU_E_NS1_11comp_targetILNS1_3genE4ELNS1_11target_archE910ELNS1_3gpuE8ELNS1_3repE0EEENS1_30default_config_static_selectorELNS0_4arch9wavefront6targetE1EEEvT1_
    .private_segment_fixed_size: 0
    .sgpr_count:     6
    .sgpr_spill_count: 0
    .symbol:         _ZN7rocprim17ROCPRIM_400000_NS6detail17trampoline_kernelINS0_14default_configENS1_27scan_by_key_config_selectorIssEEZZNS1_16scan_by_key_implILNS1_25lookback_scan_determinismE0ELb0ES3_N6thrust23THRUST_200600_302600_NS6detail15normal_iteratorINS9_10device_ptrIsEEEESE_SE_sNS9_4plusIvEENS9_8equal_toIsEEsEE10hipError_tPvRmT2_T3_T4_T5_mT6_T7_P12ihipStream_tbENKUlT_T0_E_clISt17integral_constantIbLb0EESZ_EEDaSU_SV_EUlSU_E_NS1_11comp_targetILNS1_3genE4ELNS1_11target_archE910ELNS1_3gpuE8ELNS1_3repE0EEENS1_30default_config_static_selectorELNS0_4arch9wavefront6targetE1EEEvT1_.kd
    .uniform_work_group_size: 1
    .uses_dynamic_stack: false
    .vgpr_count:     0
    .vgpr_spill_count: 0
    .wavefront_size: 64
  - .agpr_count:     0
    .args:
      - .offset:         0
        .size:           112
        .value_kind:     by_value
    .group_segment_fixed_size: 0
    .kernarg_segment_align: 8
    .kernarg_segment_size: 112
    .language:       OpenCL C
    .language_version:
      - 2
      - 0
    .max_flat_workgroup_size: 256
    .name:           _ZN7rocprim17ROCPRIM_400000_NS6detail17trampoline_kernelINS0_14default_configENS1_27scan_by_key_config_selectorIssEEZZNS1_16scan_by_key_implILNS1_25lookback_scan_determinismE0ELb0ES3_N6thrust23THRUST_200600_302600_NS6detail15normal_iteratorINS9_10device_ptrIsEEEESE_SE_sNS9_4plusIvEENS9_8equal_toIsEEsEE10hipError_tPvRmT2_T3_T4_T5_mT6_T7_P12ihipStream_tbENKUlT_T0_E_clISt17integral_constantIbLb0EESZ_EEDaSU_SV_EUlSU_E_NS1_11comp_targetILNS1_3genE3ELNS1_11target_archE908ELNS1_3gpuE7ELNS1_3repE0EEENS1_30default_config_static_selectorELNS0_4arch9wavefront6targetE1EEEvT1_
    .private_segment_fixed_size: 0
    .sgpr_count:     6
    .sgpr_spill_count: 0
    .symbol:         _ZN7rocprim17ROCPRIM_400000_NS6detail17trampoline_kernelINS0_14default_configENS1_27scan_by_key_config_selectorIssEEZZNS1_16scan_by_key_implILNS1_25lookback_scan_determinismE0ELb0ES3_N6thrust23THRUST_200600_302600_NS6detail15normal_iteratorINS9_10device_ptrIsEEEESE_SE_sNS9_4plusIvEENS9_8equal_toIsEEsEE10hipError_tPvRmT2_T3_T4_T5_mT6_T7_P12ihipStream_tbENKUlT_T0_E_clISt17integral_constantIbLb0EESZ_EEDaSU_SV_EUlSU_E_NS1_11comp_targetILNS1_3genE3ELNS1_11target_archE908ELNS1_3gpuE7ELNS1_3repE0EEENS1_30default_config_static_selectorELNS0_4arch9wavefront6targetE1EEEvT1_.kd
    .uniform_work_group_size: 1
    .uses_dynamic_stack: false
    .vgpr_count:     0
    .vgpr_spill_count: 0
    .wavefront_size: 64
  - .agpr_count:     0
    .args:
      - .offset:         0
        .size:           112
        .value_kind:     by_value
    .group_segment_fixed_size: 0
    .kernarg_segment_align: 8
    .kernarg_segment_size: 112
    .language:       OpenCL C
    .language_version:
      - 2
      - 0
    .max_flat_workgroup_size: 64
    .name:           _ZN7rocprim17ROCPRIM_400000_NS6detail17trampoline_kernelINS0_14default_configENS1_27scan_by_key_config_selectorIssEEZZNS1_16scan_by_key_implILNS1_25lookback_scan_determinismE0ELb0ES3_N6thrust23THRUST_200600_302600_NS6detail15normal_iteratorINS9_10device_ptrIsEEEESE_SE_sNS9_4plusIvEENS9_8equal_toIsEEsEE10hipError_tPvRmT2_T3_T4_T5_mT6_T7_P12ihipStream_tbENKUlT_T0_E_clISt17integral_constantIbLb0EESZ_EEDaSU_SV_EUlSU_E_NS1_11comp_targetILNS1_3genE2ELNS1_11target_archE906ELNS1_3gpuE6ELNS1_3repE0EEENS1_30default_config_static_selectorELNS0_4arch9wavefront6targetE1EEEvT1_
    .private_segment_fixed_size: 0
    .sgpr_count:     6
    .sgpr_spill_count: 0
    .symbol:         _ZN7rocprim17ROCPRIM_400000_NS6detail17trampoline_kernelINS0_14default_configENS1_27scan_by_key_config_selectorIssEEZZNS1_16scan_by_key_implILNS1_25lookback_scan_determinismE0ELb0ES3_N6thrust23THRUST_200600_302600_NS6detail15normal_iteratorINS9_10device_ptrIsEEEESE_SE_sNS9_4plusIvEENS9_8equal_toIsEEsEE10hipError_tPvRmT2_T3_T4_T5_mT6_T7_P12ihipStream_tbENKUlT_T0_E_clISt17integral_constantIbLb0EESZ_EEDaSU_SV_EUlSU_E_NS1_11comp_targetILNS1_3genE2ELNS1_11target_archE906ELNS1_3gpuE6ELNS1_3repE0EEENS1_30default_config_static_selectorELNS0_4arch9wavefront6targetE1EEEvT1_.kd
    .uniform_work_group_size: 1
    .uses_dynamic_stack: false
    .vgpr_count:     0
    .vgpr_spill_count: 0
    .wavefront_size: 64
  - .agpr_count:     0
    .args:
      - .offset:         0
        .size:           112
        .value_kind:     by_value
    .group_segment_fixed_size: 0
    .kernarg_segment_align: 8
    .kernarg_segment_size: 112
    .language:       OpenCL C
    .language_version:
      - 2
      - 0
    .max_flat_workgroup_size: 256
    .name:           _ZN7rocprim17ROCPRIM_400000_NS6detail17trampoline_kernelINS0_14default_configENS1_27scan_by_key_config_selectorIssEEZZNS1_16scan_by_key_implILNS1_25lookback_scan_determinismE0ELb0ES3_N6thrust23THRUST_200600_302600_NS6detail15normal_iteratorINS9_10device_ptrIsEEEESE_SE_sNS9_4plusIvEENS9_8equal_toIsEEsEE10hipError_tPvRmT2_T3_T4_T5_mT6_T7_P12ihipStream_tbENKUlT_T0_E_clISt17integral_constantIbLb0EESZ_EEDaSU_SV_EUlSU_E_NS1_11comp_targetILNS1_3genE10ELNS1_11target_archE1200ELNS1_3gpuE4ELNS1_3repE0EEENS1_30default_config_static_selectorELNS0_4arch9wavefront6targetE1EEEvT1_
    .private_segment_fixed_size: 0
    .sgpr_count:     6
    .sgpr_spill_count: 0
    .symbol:         _ZN7rocprim17ROCPRIM_400000_NS6detail17trampoline_kernelINS0_14default_configENS1_27scan_by_key_config_selectorIssEEZZNS1_16scan_by_key_implILNS1_25lookback_scan_determinismE0ELb0ES3_N6thrust23THRUST_200600_302600_NS6detail15normal_iteratorINS9_10device_ptrIsEEEESE_SE_sNS9_4plusIvEENS9_8equal_toIsEEsEE10hipError_tPvRmT2_T3_T4_T5_mT6_T7_P12ihipStream_tbENKUlT_T0_E_clISt17integral_constantIbLb0EESZ_EEDaSU_SV_EUlSU_E_NS1_11comp_targetILNS1_3genE10ELNS1_11target_archE1200ELNS1_3gpuE4ELNS1_3repE0EEENS1_30default_config_static_selectorELNS0_4arch9wavefront6targetE1EEEvT1_.kd
    .uniform_work_group_size: 1
    .uses_dynamic_stack: false
    .vgpr_count:     0
    .vgpr_spill_count: 0
    .wavefront_size: 64
  - .agpr_count:     0
    .args:
      - .offset:         0
        .size:           112
        .value_kind:     by_value
    .group_segment_fixed_size: 0
    .kernarg_segment_align: 8
    .kernarg_segment_size: 112
    .language:       OpenCL C
    .language_version:
      - 2
      - 0
    .max_flat_workgroup_size: 256
    .name:           _ZN7rocprim17ROCPRIM_400000_NS6detail17trampoline_kernelINS0_14default_configENS1_27scan_by_key_config_selectorIssEEZZNS1_16scan_by_key_implILNS1_25lookback_scan_determinismE0ELb0ES3_N6thrust23THRUST_200600_302600_NS6detail15normal_iteratorINS9_10device_ptrIsEEEESE_SE_sNS9_4plusIvEENS9_8equal_toIsEEsEE10hipError_tPvRmT2_T3_T4_T5_mT6_T7_P12ihipStream_tbENKUlT_T0_E_clISt17integral_constantIbLb0EESZ_EEDaSU_SV_EUlSU_E_NS1_11comp_targetILNS1_3genE9ELNS1_11target_archE1100ELNS1_3gpuE3ELNS1_3repE0EEENS1_30default_config_static_selectorELNS0_4arch9wavefront6targetE1EEEvT1_
    .private_segment_fixed_size: 0
    .sgpr_count:     6
    .sgpr_spill_count: 0
    .symbol:         _ZN7rocprim17ROCPRIM_400000_NS6detail17trampoline_kernelINS0_14default_configENS1_27scan_by_key_config_selectorIssEEZZNS1_16scan_by_key_implILNS1_25lookback_scan_determinismE0ELb0ES3_N6thrust23THRUST_200600_302600_NS6detail15normal_iteratorINS9_10device_ptrIsEEEESE_SE_sNS9_4plusIvEENS9_8equal_toIsEEsEE10hipError_tPvRmT2_T3_T4_T5_mT6_T7_P12ihipStream_tbENKUlT_T0_E_clISt17integral_constantIbLb0EESZ_EEDaSU_SV_EUlSU_E_NS1_11comp_targetILNS1_3genE9ELNS1_11target_archE1100ELNS1_3gpuE3ELNS1_3repE0EEENS1_30default_config_static_selectorELNS0_4arch9wavefront6targetE1EEEvT1_.kd
    .uniform_work_group_size: 1
    .uses_dynamic_stack: false
    .vgpr_count:     0
    .vgpr_spill_count: 0
    .wavefront_size: 64
  - .agpr_count:     0
    .args:
      - .offset:         0
        .size:           112
        .value_kind:     by_value
    .group_segment_fixed_size: 0
    .kernarg_segment_align: 8
    .kernarg_segment_size: 112
    .language:       OpenCL C
    .language_version:
      - 2
      - 0
    .max_flat_workgroup_size: 64
    .name:           _ZN7rocprim17ROCPRIM_400000_NS6detail17trampoline_kernelINS0_14default_configENS1_27scan_by_key_config_selectorIssEEZZNS1_16scan_by_key_implILNS1_25lookback_scan_determinismE0ELb0ES3_N6thrust23THRUST_200600_302600_NS6detail15normal_iteratorINS9_10device_ptrIsEEEESE_SE_sNS9_4plusIvEENS9_8equal_toIsEEsEE10hipError_tPvRmT2_T3_T4_T5_mT6_T7_P12ihipStream_tbENKUlT_T0_E_clISt17integral_constantIbLb0EESZ_EEDaSU_SV_EUlSU_E_NS1_11comp_targetILNS1_3genE8ELNS1_11target_archE1030ELNS1_3gpuE2ELNS1_3repE0EEENS1_30default_config_static_selectorELNS0_4arch9wavefront6targetE1EEEvT1_
    .private_segment_fixed_size: 0
    .sgpr_count:     6
    .sgpr_spill_count: 0
    .symbol:         _ZN7rocprim17ROCPRIM_400000_NS6detail17trampoline_kernelINS0_14default_configENS1_27scan_by_key_config_selectorIssEEZZNS1_16scan_by_key_implILNS1_25lookback_scan_determinismE0ELb0ES3_N6thrust23THRUST_200600_302600_NS6detail15normal_iteratorINS9_10device_ptrIsEEEESE_SE_sNS9_4plusIvEENS9_8equal_toIsEEsEE10hipError_tPvRmT2_T3_T4_T5_mT6_T7_P12ihipStream_tbENKUlT_T0_E_clISt17integral_constantIbLb0EESZ_EEDaSU_SV_EUlSU_E_NS1_11comp_targetILNS1_3genE8ELNS1_11target_archE1030ELNS1_3gpuE2ELNS1_3repE0EEENS1_30default_config_static_selectorELNS0_4arch9wavefront6targetE1EEEvT1_.kd
    .uniform_work_group_size: 1
    .uses_dynamic_stack: false
    .vgpr_count:     0
    .vgpr_spill_count: 0
    .wavefront_size: 64
  - .agpr_count:     0
    .args:
      - .offset:         0
        .size:           112
        .value_kind:     by_value
    .group_segment_fixed_size: 0
    .kernarg_segment_align: 8
    .kernarg_segment_size: 112
    .language:       OpenCL C
    .language_version:
      - 2
      - 0
    .max_flat_workgroup_size: 256
    .name:           _ZN7rocprim17ROCPRIM_400000_NS6detail17trampoline_kernelINS0_14default_configENS1_27scan_by_key_config_selectorIssEEZZNS1_16scan_by_key_implILNS1_25lookback_scan_determinismE0ELb0ES3_N6thrust23THRUST_200600_302600_NS6detail15normal_iteratorINS9_10device_ptrIsEEEESE_SE_sNS9_4plusIvEENS9_8equal_toIsEEsEE10hipError_tPvRmT2_T3_T4_T5_mT6_T7_P12ihipStream_tbENKUlT_T0_E_clISt17integral_constantIbLb1EESZ_EEDaSU_SV_EUlSU_E_NS1_11comp_targetILNS1_3genE0ELNS1_11target_archE4294967295ELNS1_3gpuE0ELNS1_3repE0EEENS1_30default_config_static_selectorELNS0_4arch9wavefront6targetE1EEEvT1_
    .private_segment_fixed_size: 0
    .sgpr_count:     6
    .sgpr_spill_count: 0
    .symbol:         _ZN7rocprim17ROCPRIM_400000_NS6detail17trampoline_kernelINS0_14default_configENS1_27scan_by_key_config_selectorIssEEZZNS1_16scan_by_key_implILNS1_25lookback_scan_determinismE0ELb0ES3_N6thrust23THRUST_200600_302600_NS6detail15normal_iteratorINS9_10device_ptrIsEEEESE_SE_sNS9_4plusIvEENS9_8equal_toIsEEsEE10hipError_tPvRmT2_T3_T4_T5_mT6_T7_P12ihipStream_tbENKUlT_T0_E_clISt17integral_constantIbLb1EESZ_EEDaSU_SV_EUlSU_E_NS1_11comp_targetILNS1_3genE0ELNS1_11target_archE4294967295ELNS1_3gpuE0ELNS1_3repE0EEENS1_30default_config_static_selectorELNS0_4arch9wavefront6targetE1EEEvT1_.kd
    .uniform_work_group_size: 1
    .uses_dynamic_stack: false
    .vgpr_count:     0
    .vgpr_spill_count: 0
    .wavefront_size: 64
  - .agpr_count:     0
    .args:
      - .offset:         0
        .size:           112
        .value_kind:     by_value
    .group_segment_fixed_size: 0
    .kernarg_segment_align: 8
    .kernarg_segment_size: 112
    .language:       OpenCL C
    .language_version:
      - 2
      - 0
    .max_flat_workgroup_size: 128
    .name:           _ZN7rocprim17ROCPRIM_400000_NS6detail17trampoline_kernelINS0_14default_configENS1_27scan_by_key_config_selectorIssEEZZNS1_16scan_by_key_implILNS1_25lookback_scan_determinismE0ELb0ES3_N6thrust23THRUST_200600_302600_NS6detail15normal_iteratorINS9_10device_ptrIsEEEESE_SE_sNS9_4plusIvEENS9_8equal_toIsEEsEE10hipError_tPvRmT2_T3_T4_T5_mT6_T7_P12ihipStream_tbENKUlT_T0_E_clISt17integral_constantIbLb1EESZ_EEDaSU_SV_EUlSU_E_NS1_11comp_targetILNS1_3genE10ELNS1_11target_archE1201ELNS1_3gpuE5ELNS1_3repE0EEENS1_30default_config_static_selectorELNS0_4arch9wavefront6targetE1EEEvT1_
    .private_segment_fixed_size: 0
    .sgpr_count:     6
    .sgpr_spill_count: 0
    .symbol:         _ZN7rocprim17ROCPRIM_400000_NS6detail17trampoline_kernelINS0_14default_configENS1_27scan_by_key_config_selectorIssEEZZNS1_16scan_by_key_implILNS1_25lookback_scan_determinismE0ELb0ES3_N6thrust23THRUST_200600_302600_NS6detail15normal_iteratorINS9_10device_ptrIsEEEESE_SE_sNS9_4plusIvEENS9_8equal_toIsEEsEE10hipError_tPvRmT2_T3_T4_T5_mT6_T7_P12ihipStream_tbENKUlT_T0_E_clISt17integral_constantIbLb1EESZ_EEDaSU_SV_EUlSU_E_NS1_11comp_targetILNS1_3genE10ELNS1_11target_archE1201ELNS1_3gpuE5ELNS1_3repE0EEENS1_30default_config_static_selectorELNS0_4arch9wavefront6targetE1EEEvT1_.kd
    .uniform_work_group_size: 1
    .uses_dynamic_stack: false
    .vgpr_count:     0
    .vgpr_spill_count: 0
    .wavefront_size: 64
  - .agpr_count:     0
    .args:
      - .offset:         0
        .size:           112
        .value_kind:     by_value
    .group_segment_fixed_size: 13312
    .kernarg_segment_align: 8
    .kernarg_segment_size: 112
    .language:       OpenCL C
    .language_version:
      - 2
      - 0
    .max_flat_workgroup_size: 256
    .name:           _ZN7rocprim17ROCPRIM_400000_NS6detail17trampoline_kernelINS0_14default_configENS1_27scan_by_key_config_selectorIssEEZZNS1_16scan_by_key_implILNS1_25lookback_scan_determinismE0ELb0ES3_N6thrust23THRUST_200600_302600_NS6detail15normal_iteratorINS9_10device_ptrIsEEEESE_SE_sNS9_4plusIvEENS9_8equal_toIsEEsEE10hipError_tPvRmT2_T3_T4_T5_mT6_T7_P12ihipStream_tbENKUlT_T0_E_clISt17integral_constantIbLb1EESZ_EEDaSU_SV_EUlSU_E_NS1_11comp_targetILNS1_3genE5ELNS1_11target_archE942ELNS1_3gpuE9ELNS1_3repE0EEENS1_30default_config_static_selectorELNS0_4arch9wavefront6targetE1EEEvT1_
    .private_segment_fixed_size: 0
    .sgpr_count:     93
    .sgpr_spill_count: 0
    .symbol:         _ZN7rocprim17ROCPRIM_400000_NS6detail17trampoline_kernelINS0_14default_configENS1_27scan_by_key_config_selectorIssEEZZNS1_16scan_by_key_implILNS1_25lookback_scan_determinismE0ELb0ES3_N6thrust23THRUST_200600_302600_NS6detail15normal_iteratorINS9_10device_ptrIsEEEESE_SE_sNS9_4plusIvEENS9_8equal_toIsEEsEE10hipError_tPvRmT2_T3_T4_T5_mT6_T7_P12ihipStream_tbENKUlT_T0_E_clISt17integral_constantIbLb1EESZ_EEDaSU_SV_EUlSU_E_NS1_11comp_targetILNS1_3genE5ELNS1_11target_archE942ELNS1_3gpuE9ELNS1_3repE0EEENS1_30default_config_static_selectorELNS0_4arch9wavefront6targetE1EEEvT1_.kd
    .uniform_work_group_size: 1
    .uses_dynamic_stack: false
    .vgpr_count:     63
    .vgpr_spill_count: 0
    .wavefront_size: 64
  - .agpr_count:     0
    .args:
      - .offset:         0
        .size:           112
        .value_kind:     by_value
    .group_segment_fixed_size: 0
    .kernarg_segment_align: 8
    .kernarg_segment_size: 112
    .language:       OpenCL C
    .language_version:
      - 2
      - 0
    .max_flat_workgroup_size: 256
    .name:           _ZN7rocprim17ROCPRIM_400000_NS6detail17trampoline_kernelINS0_14default_configENS1_27scan_by_key_config_selectorIssEEZZNS1_16scan_by_key_implILNS1_25lookback_scan_determinismE0ELb0ES3_N6thrust23THRUST_200600_302600_NS6detail15normal_iteratorINS9_10device_ptrIsEEEESE_SE_sNS9_4plusIvEENS9_8equal_toIsEEsEE10hipError_tPvRmT2_T3_T4_T5_mT6_T7_P12ihipStream_tbENKUlT_T0_E_clISt17integral_constantIbLb1EESZ_EEDaSU_SV_EUlSU_E_NS1_11comp_targetILNS1_3genE4ELNS1_11target_archE910ELNS1_3gpuE8ELNS1_3repE0EEENS1_30default_config_static_selectorELNS0_4arch9wavefront6targetE1EEEvT1_
    .private_segment_fixed_size: 0
    .sgpr_count:     6
    .sgpr_spill_count: 0
    .symbol:         _ZN7rocprim17ROCPRIM_400000_NS6detail17trampoline_kernelINS0_14default_configENS1_27scan_by_key_config_selectorIssEEZZNS1_16scan_by_key_implILNS1_25lookback_scan_determinismE0ELb0ES3_N6thrust23THRUST_200600_302600_NS6detail15normal_iteratorINS9_10device_ptrIsEEEESE_SE_sNS9_4plusIvEENS9_8equal_toIsEEsEE10hipError_tPvRmT2_T3_T4_T5_mT6_T7_P12ihipStream_tbENKUlT_T0_E_clISt17integral_constantIbLb1EESZ_EEDaSU_SV_EUlSU_E_NS1_11comp_targetILNS1_3genE4ELNS1_11target_archE910ELNS1_3gpuE8ELNS1_3repE0EEENS1_30default_config_static_selectorELNS0_4arch9wavefront6targetE1EEEvT1_.kd
    .uniform_work_group_size: 1
    .uses_dynamic_stack: false
    .vgpr_count:     0
    .vgpr_spill_count: 0
    .wavefront_size: 64
  - .agpr_count:     0
    .args:
      - .offset:         0
        .size:           112
        .value_kind:     by_value
    .group_segment_fixed_size: 0
    .kernarg_segment_align: 8
    .kernarg_segment_size: 112
    .language:       OpenCL C
    .language_version:
      - 2
      - 0
    .max_flat_workgroup_size: 256
    .name:           _ZN7rocprim17ROCPRIM_400000_NS6detail17trampoline_kernelINS0_14default_configENS1_27scan_by_key_config_selectorIssEEZZNS1_16scan_by_key_implILNS1_25lookback_scan_determinismE0ELb0ES3_N6thrust23THRUST_200600_302600_NS6detail15normal_iteratorINS9_10device_ptrIsEEEESE_SE_sNS9_4plusIvEENS9_8equal_toIsEEsEE10hipError_tPvRmT2_T3_T4_T5_mT6_T7_P12ihipStream_tbENKUlT_T0_E_clISt17integral_constantIbLb1EESZ_EEDaSU_SV_EUlSU_E_NS1_11comp_targetILNS1_3genE3ELNS1_11target_archE908ELNS1_3gpuE7ELNS1_3repE0EEENS1_30default_config_static_selectorELNS0_4arch9wavefront6targetE1EEEvT1_
    .private_segment_fixed_size: 0
    .sgpr_count:     6
    .sgpr_spill_count: 0
    .symbol:         _ZN7rocprim17ROCPRIM_400000_NS6detail17trampoline_kernelINS0_14default_configENS1_27scan_by_key_config_selectorIssEEZZNS1_16scan_by_key_implILNS1_25lookback_scan_determinismE0ELb0ES3_N6thrust23THRUST_200600_302600_NS6detail15normal_iteratorINS9_10device_ptrIsEEEESE_SE_sNS9_4plusIvEENS9_8equal_toIsEEsEE10hipError_tPvRmT2_T3_T4_T5_mT6_T7_P12ihipStream_tbENKUlT_T0_E_clISt17integral_constantIbLb1EESZ_EEDaSU_SV_EUlSU_E_NS1_11comp_targetILNS1_3genE3ELNS1_11target_archE908ELNS1_3gpuE7ELNS1_3repE0EEENS1_30default_config_static_selectorELNS0_4arch9wavefront6targetE1EEEvT1_.kd
    .uniform_work_group_size: 1
    .uses_dynamic_stack: false
    .vgpr_count:     0
    .vgpr_spill_count: 0
    .wavefront_size: 64
  - .agpr_count:     0
    .args:
      - .offset:         0
        .size:           112
        .value_kind:     by_value
    .group_segment_fixed_size: 0
    .kernarg_segment_align: 8
    .kernarg_segment_size: 112
    .language:       OpenCL C
    .language_version:
      - 2
      - 0
    .max_flat_workgroup_size: 64
    .name:           _ZN7rocprim17ROCPRIM_400000_NS6detail17trampoline_kernelINS0_14default_configENS1_27scan_by_key_config_selectorIssEEZZNS1_16scan_by_key_implILNS1_25lookback_scan_determinismE0ELb0ES3_N6thrust23THRUST_200600_302600_NS6detail15normal_iteratorINS9_10device_ptrIsEEEESE_SE_sNS9_4plusIvEENS9_8equal_toIsEEsEE10hipError_tPvRmT2_T3_T4_T5_mT6_T7_P12ihipStream_tbENKUlT_T0_E_clISt17integral_constantIbLb1EESZ_EEDaSU_SV_EUlSU_E_NS1_11comp_targetILNS1_3genE2ELNS1_11target_archE906ELNS1_3gpuE6ELNS1_3repE0EEENS1_30default_config_static_selectorELNS0_4arch9wavefront6targetE1EEEvT1_
    .private_segment_fixed_size: 0
    .sgpr_count:     6
    .sgpr_spill_count: 0
    .symbol:         _ZN7rocprim17ROCPRIM_400000_NS6detail17trampoline_kernelINS0_14default_configENS1_27scan_by_key_config_selectorIssEEZZNS1_16scan_by_key_implILNS1_25lookback_scan_determinismE0ELb0ES3_N6thrust23THRUST_200600_302600_NS6detail15normal_iteratorINS9_10device_ptrIsEEEESE_SE_sNS9_4plusIvEENS9_8equal_toIsEEsEE10hipError_tPvRmT2_T3_T4_T5_mT6_T7_P12ihipStream_tbENKUlT_T0_E_clISt17integral_constantIbLb1EESZ_EEDaSU_SV_EUlSU_E_NS1_11comp_targetILNS1_3genE2ELNS1_11target_archE906ELNS1_3gpuE6ELNS1_3repE0EEENS1_30default_config_static_selectorELNS0_4arch9wavefront6targetE1EEEvT1_.kd
    .uniform_work_group_size: 1
    .uses_dynamic_stack: false
    .vgpr_count:     0
    .vgpr_spill_count: 0
    .wavefront_size: 64
  - .agpr_count:     0
    .args:
      - .offset:         0
        .size:           112
        .value_kind:     by_value
    .group_segment_fixed_size: 0
    .kernarg_segment_align: 8
    .kernarg_segment_size: 112
    .language:       OpenCL C
    .language_version:
      - 2
      - 0
    .max_flat_workgroup_size: 256
    .name:           _ZN7rocprim17ROCPRIM_400000_NS6detail17trampoline_kernelINS0_14default_configENS1_27scan_by_key_config_selectorIssEEZZNS1_16scan_by_key_implILNS1_25lookback_scan_determinismE0ELb0ES3_N6thrust23THRUST_200600_302600_NS6detail15normal_iteratorINS9_10device_ptrIsEEEESE_SE_sNS9_4plusIvEENS9_8equal_toIsEEsEE10hipError_tPvRmT2_T3_T4_T5_mT6_T7_P12ihipStream_tbENKUlT_T0_E_clISt17integral_constantIbLb1EESZ_EEDaSU_SV_EUlSU_E_NS1_11comp_targetILNS1_3genE10ELNS1_11target_archE1200ELNS1_3gpuE4ELNS1_3repE0EEENS1_30default_config_static_selectorELNS0_4arch9wavefront6targetE1EEEvT1_
    .private_segment_fixed_size: 0
    .sgpr_count:     6
    .sgpr_spill_count: 0
    .symbol:         _ZN7rocprim17ROCPRIM_400000_NS6detail17trampoline_kernelINS0_14default_configENS1_27scan_by_key_config_selectorIssEEZZNS1_16scan_by_key_implILNS1_25lookback_scan_determinismE0ELb0ES3_N6thrust23THRUST_200600_302600_NS6detail15normal_iteratorINS9_10device_ptrIsEEEESE_SE_sNS9_4plusIvEENS9_8equal_toIsEEsEE10hipError_tPvRmT2_T3_T4_T5_mT6_T7_P12ihipStream_tbENKUlT_T0_E_clISt17integral_constantIbLb1EESZ_EEDaSU_SV_EUlSU_E_NS1_11comp_targetILNS1_3genE10ELNS1_11target_archE1200ELNS1_3gpuE4ELNS1_3repE0EEENS1_30default_config_static_selectorELNS0_4arch9wavefront6targetE1EEEvT1_.kd
    .uniform_work_group_size: 1
    .uses_dynamic_stack: false
    .vgpr_count:     0
    .vgpr_spill_count: 0
    .wavefront_size: 64
  - .agpr_count:     0
    .args:
      - .offset:         0
        .size:           112
        .value_kind:     by_value
    .group_segment_fixed_size: 0
    .kernarg_segment_align: 8
    .kernarg_segment_size: 112
    .language:       OpenCL C
    .language_version:
      - 2
      - 0
    .max_flat_workgroup_size: 256
    .name:           _ZN7rocprim17ROCPRIM_400000_NS6detail17trampoline_kernelINS0_14default_configENS1_27scan_by_key_config_selectorIssEEZZNS1_16scan_by_key_implILNS1_25lookback_scan_determinismE0ELb0ES3_N6thrust23THRUST_200600_302600_NS6detail15normal_iteratorINS9_10device_ptrIsEEEESE_SE_sNS9_4plusIvEENS9_8equal_toIsEEsEE10hipError_tPvRmT2_T3_T4_T5_mT6_T7_P12ihipStream_tbENKUlT_T0_E_clISt17integral_constantIbLb1EESZ_EEDaSU_SV_EUlSU_E_NS1_11comp_targetILNS1_3genE9ELNS1_11target_archE1100ELNS1_3gpuE3ELNS1_3repE0EEENS1_30default_config_static_selectorELNS0_4arch9wavefront6targetE1EEEvT1_
    .private_segment_fixed_size: 0
    .sgpr_count:     6
    .sgpr_spill_count: 0
    .symbol:         _ZN7rocprim17ROCPRIM_400000_NS6detail17trampoline_kernelINS0_14default_configENS1_27scan_by_key_config_selectorIssEEZZNS1_16scan_by_key_implILNS1_25lookback_scan_determinismE0ELb0ES3_N6thrust23THRUST_200600_302600_NS6detail15normal_iteratorINS9_10device_ptrIsEEEESE_SE_sNS9_4plusIvEENS9_8equal_toIsEEsEE10hipError_tPvRmT2_T3_T4_T5_mT6_T7_P12ihipStream_tbENKUlT_T0_E_clISt17integral_constantIbLb1EESZ_EEDaSU_SV_EUlSU_E_NS1_11comp_targetILNS1_3genE9ELNS1_11target_archE1100ELNS1_3gpuE3ELNS1_3repE0EEENS1_30default_config_static_selectorELNS0_4arch9wavefront6targetE1EEEvT1_.kd
    .uniform_work_group_size: 1
    .uses_dynamic_stack: false
    .vgpr_count:     0
    .vgpr_spill_count: 0
    .wavefront_size: 64
  - .agpr_count:     0
    .args:
      - .offset:         0
        .size:           112
        .value_kind:     by_value
    .group_segment_fixed_size: 0
    .kernarg_segment_align: 8
    .kernarg_segment_size: 112
    .language:       OpenCL C
    .language_version:
      - 2
      - 0
    .max_flat_workgroup_size: 64
    .name:           _ZN7rocprim17ROCPRIM_400000_NS6detail17trampoline_kernelINS0_14default_configENS1_27scan_by_key_config_selectorIssEEZZNS1_16scan_by_key_implILNS1_25lookback_scan_determinismE0ELb0ES3_N6thrust23THRUST_200600_302600_NS6detail15normal_iteratorINS9_10device_ptrIsEEEESE_SE_sNS9_4plusIvEENS9_8equal_toIsEEsEE10hipError_tPvRmT2_T3_T4_T5_mT6_T7_P12ihipStream_tbENKUlT_T0_E_clISt17integral_constantIbLb1EESZ_EEDaSU_SV_EUlSU_E_NS1_11comp_targetILNS1_3genE8ELNS1_11target_archE1030ELNS1_3gpuE2ELNS1_3repE0EEENS1_30default_config_static_selectorELNS0_4arch9wavefront6targetE1EEEvT1_
    .private_segment_fixed_size: 0
    .sgpr_count:     6
    .sgpr_spill_count: 0
    .symbol:         _ZN7rocprim17ROCPRIM_400000_NS6detail17trampoline_kernelINS0_14default_configENS1_27scan_by_key_config_selectorIssEEZZNS1_16scan_by_key_implILNS1_25lookback_scan_determinismE0ELb0ES3_N6thrust23THRUST_200600_302600_NS6detail15normal_iteratorINS9_10device_ptrIsEEEESE_SE_sNS9_4plusIvEENS9_8equal_toIsEEsEE10hipError_tPvRmT2_T3_T4_T5_mT6_T7_P12ihipStream_tbENKUlT_T0_E_clISt17integral_constantIbLb1EESZ_EEDaSU_SV_EUlSU_E_NS1_11comp_targetILNS1_3genE8ELNS1_11target_archE1030ELNS1_3gpuE2ELNS1_3repE0EEENS1_30default_config_static_selectorELNS0_4arch9wavefront6targetE1EEEvT1_.kd
    .uniform_work_group_size: 1
    .uses_dynamic_stack: false
    .vgpr_count:     0
    .vgpr_spill_count: 0
    .wavefront_size: 64
  - .agpr_count:     0
    .args:
      - .offset:         0
        .size:           112
        .value_kind:     by_value
    .group_segment_fixed_size: 0
    .kernarg_segment_align: 8
    .kernarg_segment_size: 112
    .language:       OpenCL C
    .language_version:
      - 2
      - 0
    .max_flat_workgroup_size: 256
    .name:           _ZN7rocprim17ROCPRIM_400000_NS6detail17trampoline_kernelINS0_14default_configENS1_27scan_by_key_config_selectorIssEEZZNS1_16scan_by_key_implILNS1_25lookback_scan_determinismE0ELb0ES3_N6thrust23THRUST_200600_302600_NS6detail15normal_iteratorINS9_10device_ptrIsEEEESE_SE_sNS9_4plusIvEENS9_8equal_toIsEEsEE10hipError_tPvRmT2_T3_T4_T5_mT6_T7_P12ihipStream_tbENKUlT_T0_E_clISt17integral_constantIbLb1EESY_IbLb0EEEEDaSU_SV_EUlSU_E_NS1_11comp_targetILNS1_3genE0ELNS1_11target_archE4294967295ELNS1_3gpuE0ELNS1_3repE0EEENS1_30default_config_static_selectorELNS0_4arch9wavefront6targetE1EEEvT1_
    .private_segment_fixed_size: 0
    .sgpr_count:     6
    .sgpr_spill_count: 0
    .symbol:         _ZN7rocprim17ROCPRIM_400000_NS6detail17trampoline_kernelINS0_14default_configENS1_27scan_by_key_config_selectorIssEEZZNS1_16scan_by_key_implILNS1_25lookback_scan_determinismE0ELb0ES3_N6thrust23THRUST_200600_302600_NS6detail15normal_iteratorINS9_10device_ptrIsEEEESE_SE_sNS9_4plusIvEENS9_8equal_toIsEEsEE10hipError_tPvRmT2_T3_T4_T5_mT6_T7_P12ihipStream_tbENKUlT_T0_E_clISt17integral_constantIbLb1EESY_IbLb0EEEEDaSU_SV_EUlSU_E_NS1_11comp_targetILNS1_3genE0ELNS1_11target_archE4294967295ELNS1_3gpuE0ELNS1_3repE0EEENS1_30default_config_static_selectorELNS0_4arch9wavefront6targetE1EEEvT1_.kd
    .uniform_work_group_size: 1
    .uses_dynamic_stack: false
    .vgpr_count:     0
    .vgpr_spill_count: 0
    .wavefront_size: 64
  - .agpr_count:     0
    .args:
      - .offset:         0
        .size:           112
        .value_kind:     by_value
    .group_segment_fixed_size: 0
    .kernarg_segment_align: 8
    .kernarg_segment_size: 112
    .language:       OpenCL C
    .language_version:
      - 2
      - 0
    .max_flat_workgroup_size: 128
    .name:           _ZN7rocprim17ROCPRIM_400000_NS6detail17trampoline_kernelINS0_14default_configENS1_27scan_by_key_config_selectorIssEEZZNS1_16scan_by_key_implILNS1_25lookback_scan_determinismE0ELb0ES3_N6thrust23THRUST_200600_302600_NS6detail15normal_iteratorINS9_10device_ptrIsEEEESE_SE_sNS9_4plusIvEENS9_8equal_toIsEEsEE10hipError_tPvRmT2_T3_T4_T5_mT6_T7_P12ihipStream_tbENKUlT_T0_E_clISt17integral_constantIbLb1EESY_IbLb0EEEEDaSU_SV_EUlSU_E_NS1_11comp_targetILNS1_3genE10ELNS1_11target_archE1201ELNS1_3gpuE5ELNS1_3repE0EEENS1_30default_config_static_selectorELNS0_4arch9wavefront6targetE1EEEvT1_
    .private_segment_fixed_size: 0
    .sgpr_count:     6
    .sgpr_spill_count: 0
    .symbol:         _ZN7rocprim17ROCPRIM_400000_NS6detail17trampoline_kernelINS0_14default_configENS1_27scan_by_key_config_selectorIssEEZZNS1_16scan_by_key_implILNS1_25lookback_scan_determinismE0ELb0ES3_N6thrust23THRUST_200600_302600_NS6detail15normal_iteratorINS9_10device_ptrIsEEEESE_SE_sNS9_4plusIvEENS9_8equal_toIsEEsEE10hipError_tPvRmT2_T3_T4_T5_mT6_T7_P12ihipStream_tbENKUlT_T0_E_clISt17integral_constantIbLb1EESY_IbLb0EEEEDaSU_SV_EUlSU_E_NS1_11comp_targetILNS1_3genE10ELNS1_11target_archE1201ELNS1_3gpuE5ELNS1_3repE0EEENS1_30default_config_static_selectorELNS0_4arch9wavefront6targetE1EEEvT1_.kd
    .uniform_work_group_size: 1
    .uses_dynamic_stack: false
    .vgpr_count:     0
    .vgpr_spill_count: 0
    .wavefront_size: 64
  - .agpr_count:     0
    .args:
      - .offset:         0
        .size:           112
        .value_kind:     by_value
    .group_segment_fixed_size: 13312
    .kernarg_segment_align: 8
    .kernarg_segment_size: 112
    .language:       OpenCL C
    .language_version:
      - 2
      - 0
    .max_flat_workgroup_size: 256
    .name:           _ZN7rocprim17ROCPRIM_400000_NS6detail17trampoline_kernelINS0_14default_configENS1_27scan_by_key_config_selectorIssEEZZNS1_16scan_by_key_implILNS1_25lookback_scan_determinismE0ELb0ES3_N6thrust23THRUST_200600_302600_NS6detail15normal_iteratorINS9_10device_ptrIsEEEESE_SE_sNS9_4plusIvEENS9_8equal_toIsEEsEE10hipError_tPvRmT2_T3_T4_T5_mT6_T7_P12ihipStream_tbENKUlT_T0_E_clISt17integral_constantIbLb1EESY_IbLb0EEEEDaSU_SV_EUlSU_E_NS1_11comp_targetILNS1_3genE5ELNS1_11target_archE942ELNS1_3gpuE9ELNS1_3repE0EEENS1_30default_config_static_selectorELNS0_4arch9wavefront6targetE1EEEvT1_
    .private_segment_fixed_size: 0
    .sgpr_count:     94
    .sgpr_spill_count: 0
    .symbol:         _ZN7rocprim17ROCPRIM_400000_NS6detail17trampoline_kernelINS0_14default_configENS1_27scan_by_key_config_selectorIssEEZZNS1_16scan_by_key_implILNS1_25lookback_scan_determinismE0ELb0ES3_N6thrust23THRUST_200600_302600_NS6detail15normal_iteratorINS9_10device_ptrIsEEEESE_SE_sNS9_4plusIvEENS9_8equal_toIsEEsEE10hipError_tPvRmT2_T3_T4_T5_mT6_T7_P12ihipStream_tbENKUlT_T0_E_clISt17integral_constantIbLb1EESY_IbLb0EEEEDaSU_SV_EUlSU_E_NS1_11comp_targetILNS1_3genE5ELNS1_11target_archE942ELNS1_3gpuE9ELNS1_3repE0EEENS1_30default_config_static_selectorELNS0_4arch9wavefront6targetE1EEEvT1_.kd
    .uniform_work_group_size: 1
    .uses_dynamic_stack: false
    .vgpr_count:     63
    .vgpr_spill_count: 0
    .wavefront_size: 64
  - .agpr_count:     0
    .args:
      - .offset:         0
        .size:           112
        .value_kind:     by_value
    .group_segment_fixed_size: 0
    .kernarg_segment_align: 8
    .kernarg_segment_size: 112
    .language:       OpenCL C
    .language_version:
      - 2
      - 0
    .max_flat_workgroup_size: 256
    .name:           _ZN7rocprim17ROCPRIM_400000_NS6detail17trampoline_kernelINS0_14default_configENS1_27scan_by_key_config_selectorIssEEZZNS1_16scan_by_key_implILNS1_25lookback_scan_determinismE0ELb0ES3_N6thrust23THRUST_200600_302600_NS6detail15normal_iteratorINS9_10device_ptrIsEEEESE_SE_sNS9_4plusIvEENS9_8equal_toIsEEsEE10hipError_tPvRmT2_T3_T4_T5_mT6_T7_P12ihipStream_tbENKUlT_T0_E_clISt17integral_constantIbLb1EESY_IbLb0EEEEDaSU_SV_EUlSU_E_NS1_11comp_targetILNS1_3genE4ELNS1_11target_archE910ELNS1_3gpuE8ELNS1_3repE0EEENS1_30default_config_static_selectorELNS0_4arch9wavefront6targetE1EEEvT1_
    .private_segment_fixed_size: 0
    .sgpr_count:     6
    .sgpr_spill_count: 0
    .symbol:         _ZN7rocprim17ROCPRIM_400000_NS6detail17trampoline_kernelINS0_14default_configENS1_27scan_by_key_config_selectorIssEEZZNS1_16scan_by_key_implILNS1_25lookback_scan_determinismE0ELb0ES3_N6thrust23THRUST_200600_302600_NS6detail15normal_iteratorINS9_10device_ptrIsEEEESE_SE_sNS9_4plusIvEENS9_8equal_toIsEEsEE10hipError_tPvRmT2_T3_T4_T5_mT6_T7_P12ihipStream_tbENKUlT_T0_E_clISt17integral_constantIbLb1EESY_IbLb0EEEEDaSU_SV_EUlSU_E_NS1_11comp_targetILNS1_3genE4ELNS1_11target_archE910ELNS1_3gpuE8ELNS1_3repE0EEENS1_30default_config_static_selectorELNS0_4arch9wavefront6targetE1EEEvT1_.kd
    .uniform_work_group_size: 1
    .uses_dynamic_stack: false
    .vgpr_count:     0
    .vgpr_spill_count: 0
    .wavefront_size: 64
  - .agpr_count:     0
    .args:
      - .offset:         0
        .size:           112
        .value_kind:     by_value
    .group_segment_fixed_size: 0
    .kernarg_segment_align: 8
    .kernarg_segment_size: 112
    .language:       OpenCL C
    .language_version:
      - 2
      - 0
    .max_flat_workgroup_size: 256
    .name:           _ZN7rocprim17ROCPRIM_400000_NS6detail17trampoline_kernelINS0_14default_configENS1_27scan_by_key_config_selectorIssEEZZNS1_16scan_by_key_implILNS1_25lookback_scan_determinismE0ELb0ES3_N6thrust23THRUST_200600_302600_NS6detail15normal_iteratorINS9_10device_ptrIsEEEESE_SE_sNS9_4plusIvEENS9_8equal_toIsEEsEE10hipError_tPvRmT2_T3_T4_T5_mT6_T7_P12ihipStream_tbENKUlT_T0_E_clISt17integral_constantIbLb1EESY_IbLb0EEEEDaSU_SV_EUlSU_E_NS1_11comp_targetILNS1_3genE3ELNS1_11target_archE908ELNS1_3gpuE7ELNS1_3repE0EEENS1_30default_config_static_selectorELNS0_4arch9wavefront6targetE1EEEvT1_
    .private_segment_fixed_size: 0
    .sgpr_count:     6
    .sgpr_spill_count: 0
    .symbol:         _ZN7rocprim17ROCPRIM_400000_NS6detail17trampoline_kernelINS0_14default_configENS1_27scan_by_key_config_selectorIssEEZZNS1_16scan_by_key_implILNS1_25lookback_scan_determinismE0ELb0ES3_N6thrust23THRUST_200600_302600_NS6detail15normal_iteratorINS9_10device_ptrIsEEEESE_SE_sNS9_4plusIvEENS9_8equal_toIsEEsEE10hipError_tPvRmT2_T3_T4_T5_mT6_T7_P12ihipStream_tbENKUlT_T0_E_clISt17integral_constantIbLb1EESY_IbLb0EEEEDaSU_SV_EUlSU_E_NS1_11comp_targetILNS1_3genE3ELNS1_11target_archE908ELNS1_3gpuE7ELNS1_3repE0EEENS1_30default_config_static_selectorELNS0_4arch9wavefront6targetE1EEEvT1_.kd
    .uniform_work_group_size: 1
    .uses_dynamic_stack: false
    .vgpr_count:     0
    .vgpr_spill_count: 0
    .wavefront_size: 64
  - .agpr_count:     0
    .args:
      - .offset:         0
        .size:           112
        .value_kind:     by_value
    .group_segment_fixed_size: 0
    .kernarg_segment_align: 8
    .kernarg_segment_size: 112
    .language:       OpenCL C
    .language_version:
      - 2
      - 0
    .max_flat_workgroup_size: 64
    .name:           _ZN7rocprim17ROCPRIM_400000_NS6detail17trampoline_kernelINS0_14default_configENS1_27scan_by_key_config_selectorIssEEZZNS1_16scan_by_key_implILNS1_25lookback_scan_determinismE0ELb0ES3_N6thrust23THRUST_200600_302600_NS6detail15normal_iteratorINS9_10device_ptrIsEEEESE_SE_sNS9_4plusIvEENS9_8equal_toIsEEsEE10hipError_tPvRmT2_T3_T4_T5_mT6_T7_P12ihipStream_tbENKUlT_T0_E_clISt17integral_constantIbLb1EESY_IbLb0EEEEDaSU_SV_EUlSU_E_NS1_11comp_targetILNS1_3genE2ELNS1_11target_archE906ELNS1_3gpuE6ELNS1_3repE0EEENS1_30default_config_static_selectorELNS0_4arch9wavefront6targetE1EEEvT1_
    .private_segment_fixed_size: 0
    .sgpr_count:     6
    .sgpr_spill_count: 0
    .symbol:         _ZN7rocprim17ROCPRIM_400000_NS6detail17trampoline_kernelINS0_14default_configENS1_27scan_by_key_config_selectorIssEEZZNS1_16scan_by_key_implILNS1_25lookback_scan_determinismE0ELb0ES3_N6thrust23THRUST_200600_302600_NS6detail15normal_iteratorINS9_10device_ptrIsEEEESE_SE_sNS9_4plusIvEENS9_8equal_toIsEEsEE10hipError_tPvRmT2_T3_T4_T5_mT6_T7_P12ihipStream_tbENKUlT_T0_E_clISt17integral_constantIbLb1EESY_IbLb0EEEEDaSU_SV_EUlSU_E_NS1_11comp_targetILNS1_3genE2ELNS1_11target_archE906ELNS1_3gpuE6ELNS1_3repE0EEENS1_30default_config_static_selectorELNS0_4arch9wavefront6targetE1EEEvT1_.kd
    .uniform_work_group_size: 1
    .uses_dynamic_stack: false
    .vgpr_count:     0
    .vgpr_spill_count: 0
    .wavefront_size: 64
  - .agpr_count:     0
    .args:
      - .offset:         0
        .size:           112
        .value_kind:     by_value
    .group_segment_fixed_size: 0
    .kernarg_segment_align: 8
    .kernarg_segment_size: 112
    .language:       OpenCL C
    .language_version:
      - 2
      - 0
    .max_flat_workgroup_size: 256
    .name:           _ZN7rocprim17ROCPRIM_400000_NS6detail17trampoline_kernelINS0_14default_configENS1_27scan_by_key_config_selectorIssEEZZNS1_16scan_by_key_implILNS1_25lookback_scan_determinismE0ELb0ES3_N6thrust23THRUST_200600_302600_NS6detail15normal_iteratorINS9_10device_ptrIsEEEESE_SE_sNS9_4plusIvEENS9_8equal_toIsEEsEE10hipError_tPvRmT2_T3_T4_T5_mT6_T7_P12ihipStream_tbENKUlT_T0_E_clISt17integral_constantIbLb1EESY_IbLb0EEEEDaSU_SV_EUlSU_E_NS1_11comp_targetILNS1_3genE10ELNS1_11target_archE1200ELNS1_3gpuE4ELNS1_3repE0EEENS1_30default_config_static_selectorELNS0_4arch9wavefront6targetE1EEEvT1_
    .private_segment_fixed_size: 0
    .sgpr_count:     6
    .sgpr_spill_count: 0
    .symbol:         _ZN7rocprim17ROCPRIM_400000_NS6detail17trampoline_kernelINS0_14default_configENS1_27scan_by_key_config_selectorIssEEZZNS1_16scan_by_key_implILNS1_25lookback_scan_determinismE0ELb0ES3_N6thrust23THRUST_200600_302600_NS6detail15normal_iteratorINS9_10device_ptrIsEEEESE_SE_sNS9_4plusIvEENS9_8equal_toIsEEsEE10hipError_tPvRmT2_T3_T4_T5_mT6_T7_P12ihipStream_tbENKUlT_T0_E_clISt17integral_constantIbLb1EESY_IbLb0EEEEDaSU_SV_EUlSU_E_NS1_11comp_targetILNS1_3genE10ELNS1_11target_archE1200ELNS1_3gpuE4ELNS1_3repE0EEENS1_30default_config_static_selectorELNS0_4arch9wavefront6targetE1EEEvT1_.kd
    .uniform_work_group_size: 1
    .uses_dynamic_stack: false
    .vgpr_count:     0
    .vgpr_spill_count: 0
    .wavefront_size: 64
  - .agpr_count:     0
    .args:
      - .offset:         0
        .size:           112
        .value_kind:     by_value
    .group_segment_fixed_size: 0
    .kernarg_segment_align: 8
    .kernarg_segment_size: 112
    .language:       OpenCL C
    .language_version:
      - 2
      - 0
    .max_flat_workgroup_size: 256
    .name:           _ZN7rocprim17ROCPRIM_400000_NS6detail17trampoline_kernelINS0_14default_configENS1_27scan_by_key_config_selectorIssEEZZNS1_16scan_by_key_implILNS1_25lookback_scan_determinismE0ELb0ES3_N6thrust23THRUST_200600_302600_NS6detail15normal_iteratorINS9_10device_ptrIsEEEESE_SE_sNS9_4plusIvEENS9_8equal_toIsEEsEE10hipError_tPvRmT2_T3_T4_T5_mT6_T7_P12ihipStream_tbENKUlT_T0_E_clISt17integral_constantIbLb1EESY_IbLb0EEEEDaSU_SV_EUlSU_E_NS1_11comp_targetILNS1_3genE9ELNS1_11target_archE1100ELNS1_3gpuE3ELNS1_3repE0EEENS1_30default_config_static_selectorELNS0_4arch9wavefront6targetE1EEEvT1_
    .private_segment_fixed_size: 0
    .sgpr_count:     6
    .sgpr_spill_count: 0
    .symbol:         _ZN7rocprim17ROCPRIM_400000_NS6detail17trampoline_kernelINS0_14default_configENS1_27scan_by_key_config_selectorIssEEZZNS1_16scan_by_key_implILNS1_25lookback_scan_determinismE0ELb0ES3_N6thrust23THRUST_200600_302600_NS6detail15normal_iteratorINS9_10device_ptrIsEEEESE_SE_sNS9_4plusIvEENS9_8equal_toIsEEsEE10hipError_tPvRmT2_T3_T4_T5_mT6_T7_P12ihipStream_tbENKUlT_T0_E_clISt17integral_constantIbLb1EESY_IbLb0EEEEDaSU_SV_EUlSU_E_NS1_11comp_targetILNS1_3genE9ELNS1_11target_archE1100ELNS1_3gpuE3ELNS1_3repE0EEENS1_30default_config_static_selectorELNS0_4arch9wavefront6targetE1EEEvT1_.kd
    .uniform_work_group_size: 1
    .uses_dynamic_stack: false
    .vgpr_count:     0
    .vgpr_spill_count: 0
    .wavefront_size: 64
  - .agpr_count:     0
    .args:
      - .offset:         0
        .size:           112
        .value_kind:     by_value
    .group_segment_fixed_size: 0
    .kernarg_segment_align: 8
    .kernarg_segment_size: 112
    .language:       OpenCL C
    .language_version:
      - 2
      - 0
    .max_flat_workgroup_size: 64
    .name:           _ZN7rocprim17ROCPRIM_400000_NS6detail17trampoline_kernelINS0_14default_configENS1_27scan_by_key_config_selectorIssEEZZNS1_16scan_by_key_implILNS1_25lookback_scan_determinismE0ELb0ES3_N6thrust23THRUST_200600_302600_NS6detail15normal_iteratorINS9_10device_ptrIsEEEESE_SE_sNS9_4plusIvEENS9_8equal_toIsEEsEE10hipError_tPvRmT2_T3_T4_T5_mT6_T7_P12ihipStream_tbENKUlT_T0_E_clISt17integral_constantIbLb1EESY_IbLb0EEEEDaSU_SV_EUlSU_E_NS1_11comp_targetILNS1_3genE8ELNS1_11target_archE1030ELNS1_3gpuE2ELNS1_3repE0EEENS1_30default_config_static_selectorELNS0_4arch9wavefront6targetE1EEEvT1_
    .private_segment_fixed_size: 0
    .sgpr_count:     6
    .sgpr_spill_count: 0
    .symbol:         _ZN7rocprim17ROCPRIM_400000_NS6detail17trampoline_kernelINS0_14default_configENS1_27scan_by_key_config_selectorIssEEZZNS1_16scan_by_key_implILNS1_25lookback_scan_determinismE0ELb0ES3_N6thrust23THRUST_200600_302600_NS6detail15normal_iteratorINS9_10device_ptrIsEEEESE_SE_sNS9_4plusIvEENS9_8equal_toIsEEsEE10hipError_tPvRmT2_T3_T4_T5_mT6_T7_P12ihipStream_tbENKUlT_T0_E_clISt17integral_constantIbLb1EESY_IbLb0EEEEDaSU_SV_EUlSU_E_NS1_11comp_targetILNS1_3genE8ELNS1_11target_archE1030ELNS1_3gpuE2ELNS1_3repE0EEENS1_30default_config_static_selectorELNS0_4arch9wavefront6targetE1EEEvT1_.kd
    .uniform_work_group_size: 1
    .uses_dynamic_stack: false
    .vgpr_count:     0
    .vgpr_spill_count: 0
    .wavefront_size: 64
  - .agpr_count:     0
    .args:
      - .offset:         0
        .size:           112
        .value_kind:     by_value
    .group_segment_fixed_size: 0
    .kernarg_segment_align: 8
    .kernarg_segment_size: 112
    .language:       OpenCL C
    .language_version:
      - 2
      - 0
    .max_flat_workgroup_size: 256
    .name:           _ZN7rocprim17ROCPRIM_400000_NS6detail17trampoline_kernelINS0_14default_configENS1_27scan_by_key_config_selectorIssEEZZNS1_16scan_by_key_implILNS1_25lookback_scan_determinismE0ELb0ES3_N6thrust23THRUST_200600_302600_NS6detail15normal_iteratorINS9_10device_ptrIsEEEESE_SE_sNS9_4plusIvEENS9_8equal_toIsEEsEE10hipError_tPvRmT2_T3_T4_T5_mT6_T7_P12ihipStream_tbENKUlT_T0_E_clISt17integral_constantIbLb0EESY_IbLb1EEEEDaSU_SV_EUlSU_E_NS1_11comp_targetILNS1_3genE0ELNS1_11target_archE4294967295ELNS1_3gpuE0ELNS1_3repE0EEENS1_30default_config_static_selectorELNS0_4arch9wavefront6targetE1EEEvT1_
    .private_segment_fixed_size: 0
    .sgpr_count:     6
    .sgpr_spill_count: 0
    .symbol:         _ZN7rocprim17ROCPRIM_400000_NS6detail17trampoline_kernelINS0_14default_configENS1_27scan_by_key_config_selectorIssEEZZNS1_16scan_by_key_implILNS1_25lookback_scan_determinismE0ELb0ES3_N6thrust23THRUST_200600_302600_NS6detail15normal_iteratorINS9_10device_ptrIsEEEESE_SE_sNS9_4plusIvEENS9_8equal_toIsEEsEE10hipError_tPvRmT2_T3_T4_T5_mT6_T7_P12ihipStream_tbENKUlT_T0_E_clISt17integral_constantIbLb0EESY_IbLb1EEEEDaSU_SV_EUlSU_E_NS1_11comp_targetILNS1_3genE0ELNS1_11target_archE4294967295ELNS1_3gpuE0ELNS1_3repE0EEENS1_30default_config_static_selectorELNS0_4arch9wavefront6targetE1EEEvT1_.kd
    .uniform_work_group_size: 1
    .uses_dynamic_stack: false
    .vgpr_count:     0
    .vgpr_spill_count: 0
    .wavefront_size: 64
  - .agpr_count:     0
    .args:
      - .offset:         0
        .size:           112
        .value_kind:     by_value
    .group_segment_fixed_size: 0
    .kernarg_segment_align: 8
    .kernarg_segment_size: 112
    .language:       OpenCL C
    .language_version:
      - 2
      - 0
    .max_flat_workgroup_size: 128
    .name:           _ZN7rocprim17ROCPRIM_400000_NS6detail17trampoline_kernelINS0_14default_configENS1_27scan_by_key_config_selectorIssEEZZNS1_16scan_by_key_implILNS1_25lookback_scan_determinismE0ELb0ES3_N6thrust23THRUST_200600_302600_NS6detail15normal_iteratorINS9_10device_ptrIsEEEESE_SE_sNS9_4plusIvEENS9_8equal_toIsEEsEE10hipError_tPvRmT2_T3_T4_T5_mT6_T7_P12ihipStream_tbENKUlT_T0_E_clISt17integral_constantIbLb0EESY_IbLb1EEEEDaSU_SV_EUlSU_E_NS1_11comp_targetILNS1_3genE10ELNS1_11target_archE1201ELNS1_3gpuE5ELNS1_3repE0EEENS1_30default_config_static_selectorELNS0_4arch9wavefront6targetE1EEEvT1_
    .private_segment_fixed_size: 0
    .sgpr_count:     6
    .sgpr_spill_count: 0
    .symbol:         _ZN7rocprim17ROCPRIM_400000_NS6detail17trampoline_kernelINS0_14default_configENS1_27scan_by_key_config_selectorIssEEZZNS1_16scan_by_key_implILNS1_25lookback_scan_determinismE0ELb0ES3_N6thrust23THRUST_200600_302600_NS6detail15normal_iteratorINS9_10device_ptrIsEEEESE_SE_sNS9_4plusIvEENS9_8equal_toIsEEsEE10hipError_tPvRmT2_T3_T4_T5_mT6_T7_P12ihipStream_tbENKUlT_T0_E_clISt17integral_constantIbLb0EESY_IbLb1EEEEDaSU_SV_EUlSU_E_NS1_11comp_targetILNS1_3genE10ELNS1_11target_archE1201ELNS1_3gpuE5ELNS1_3repE0EEENS1_30default_config_static_selectorELNS0_4arch9wavefront6targetE1EEEvT1_.kd
    .uniform_work_group_size: 1
    .uses_dynamic_stack: false
    .vgpr_count:     0
    .vgpr_spill_count: 0
    .wavefront_size: 64
  - .agpr_count:     0
    .args:
      - .offset:         0
        .size:           112
        .value_kind:     by_value
    .group_segment_fixed_size: 13312
    .kernarg_segment_align: 8
    .kernarg_segment_size: 112
    .language:       OpenCL C
    .language_version:
      - 2
      - 0
    .max_flat_workgroup_size: 256
    .name:           _ZN7rocprim17ROCPRIM_400000_NS6detail17trampoline_kernelINS0_14default_configENS1_27scan_by_key_config_selectorIssEEZZNS1_16scan_by_key_implILNS1_25lookback_scan_determinismE0ELb0ES3_N6thrust23THRUST_200600_302600_NS6detail15normal_iteratorINS9_10device_ptrIsEEEESE_SE_sNS9_4plusIvEENS9_8equal_toIsEEsEE10hipError_tPvRmT2_T3_T4_T5_mT6_T7_P12ihipStream_tbENKUlT_T0_E_clISt17integral_constantIbLb0EESY_IbLb1EEEEDaSU_SV_EUlSU_E_NS1_11comp_targetILNS1_3genE5ELNS1_11target_archE942ELNS1_3gpuE9ELNS1_3repE0EEENS1_30default_config_static_selectorELNS0_4arch9wavefront6targetE1EEEvT1_
    .private_segment_fixed_size: 0
    .sgpr_count:     93
    .sgpr_spill_count: 0
    .symbol:         _ZN7rocprim17ROCPRIM_400000_NS6detail17trampoline_kernelINS0_14default_configENS1_27scan_by_key_config_selectorIssEEZZNS1_16scan_by_key_implILNS1_25lookback_scan_determinismE0ELb0ES3_N6thrust23THRUST_200600_302600_NS6detail15normal_iteratorINS9_10device_ptrIsEEEESE_SE_sNS9_4plusIvEENS9_8equal_toIsEEsEE10hipError_tPvRmT2_T3_T4_T5_mT6_T7_P12ihipStream_tbENKUlT_T0_E_clISt17integral_constantIbLb0EESY_IbLb1EEEEDaSU_SV_EUlSU_E_NS1_11comp_targetILNS1_3genE5ELNS1_11target_archE942ELNS1_3gpuE9ELNS1_3repE0EEENS1_30default_config_static_selectorELNS0_4arch9wavefront6targetE1EEEvT1_.kd
    .uniform_work_group_size: 1
    .uses_dynamic_stack: false
    .vgpr_count:     63
    .vgpr_spill_count: 0
    .wavefront_size: 64
  - .agpr_count:     0
    .args:
      - .offset:         0
        .size:           112
        .value_kind:     by_value
    .group_segment_fixed_size: 0
    .kernarg_segment_align: 8
    .kernarg_segment_size: 112
    .language:       OpenCL C
    .language_version:
      - 2
      - 0
    .max_flat_workgroup_size: 256
    .name:           _ZN7rocprim17ROCPRIM_400000_NS6detail17trampoline_kernelINS0_14default_configENS1_27scan_by_key_config_selectorIssEEZZNS1_16scan_by_key_implILNS1_25lookback_scan_determinismE0ELb0ES3_N6thrust23THRUST_200600_302600_NS6detail15normal_iteratorINS9_10device_ptrIsEEEESE_SE_sNS9_4plusIvEENS9_8equal_toIsEEsEE10hipError_tPvRmT2_T3_T4_T5_mT6_T7_P12ihipStream_tbENKUlT_T0_E_clISt17integral_constantIbLb0EESY_IbLb1EEEEDaSU_SV_EUlSU_E_NS1_11comp_targetILNS1_3genE4ELNS1_11target_archE910ELNS1_3gpuE8ELNS1_3repE0EEENS1_30default_config_static_selectorELNS0_4arch9wavefront6targetE1EEEvT1_
    .private_segment_fixed_size: 0
    .sgpr_count:     6
    .sgpr_spill_count: 0
    .symbol:         _ZN7rocprim17ROCPRIM_400000_NS6detail17trampoline_kernelINS0_14default_configENS1_27scan_by_key_config_selectorIssEEZZNS1_16scan_by_key_implILNS1_25lookback_scan_determinismE0ELb0ES3_N6thrust23THRUST_200600_302600_NS6detail15normal_iteratorINS9_10device_ptrIsEEEESE_SE_sNS9_4plusIvEENS9_8equal_toIsEEsEE10hipError_tPvRmT2_T3_T4_T5_mT6_T7_P12ihipStream_tbENKUlT_T0_E_clISt17integral_constantIbLb0EESY_IbLb1EEEEDaSU_SV_EUlSU_E_NS1_11comp_targetILNS1_3genE4ELNS1_11target_archE910ELNS1_3gpuE8ELNS1_3repE0EEENS1_30default_config_static_selectorELNS0_4arch9wavefront6targetE1EEEvT1_.kd
    .uniform_work_group_size: 1
    .uses_dynamic_stack: false
    .vgpr_count:     0
    .vgpr_spill_count: 0
    .wavefront_size: 64
  - .agpr_count:     0
    .args:
      - .offset:         0
        .size:           112
        .value_kind:     by_value
    .group_segment_fixed_size: 0
    .kernarg_segment_align: 8
    .kernarg_segment_size: 112
    .language:       OpenCL C
    .language_version:
      - 2
      - 0
    .max_flat_workgroup_size: 256
    .name:           _ZN7rocprim17ROCPRIM_400000_NS6detail17trampoline_kernelINS0_14default_configENS1_27scan_by_key_config_selectorIssEEZZNS1_16scan_by_key_implILNS1_25lookback_scan_determinismE0ELb0ES3_N6thrust23THRUST_200600_302600_NS6detail15normal_iteratorINS9_10device_ptrIsEEEESE_SE_sNS9_4plusIvEENS9_8equal_toIsEEsEE10hipError_tPvRmT2_T3_T4_T5_mT6_T7_P12ihipStream_tbENKUlT_T0_E_clISt17integral_constantIbLb0EESY_IbLb1EEEEDaSU_SV_EUlSU_E_NS1_11comp_targetILNS1_3genE3ELNS1_11target_archE908ELNS1_3gpuE7ELNS1_3repE0EEENS1_30default_config_static_selectorELNS0_4arch9wavefront6targetE1EEEvT1_
    .private_segment_fixed_size: 0
    .sgpr_count:     6
    .sgpr_spill_count: 0
    .symbol:         _ZN7rocprim17ROCPRIM_400000_NS6detail17trampoline_kernelINS0_14default_configENS1_27scan_by_key_config_selectorIssEEZZNS1_16scan_by_key_implILNS1_25lookback_scan_determinismE0ELb0ES3_N6thrust23THRUST_200600_302600_NS6detail15normal_iteratorINS9_10device_ptrIsEEEESE_SE_sNS9_4plusIvEENS9_8equal_toIsEEsEE10hipError_tPvRmT2_T3_T4_T5_mT6_T7_P12ihipStream_tbENKUlT_T0_E_clISt17integral_constantIbLb0EESY_IbLb1EEEEDaSU_SV_EUlSU_E_NS1_11comp_targetILNS1_3genE3ELNS1_11target_archE908ELNS1_3gpuE7ELNS1_3repE0EEENS1_30default_config_static_selectorELNS0_4arch9wavefront6targetE1EEEvT1_.kd
    .uniform_work_group_size: 1
    .uses_dynamic_stack: false
    .vgpr_count:     0
    .vgpr_spill_count: 0
    .wavefront_size: 64
  - .agpr_count:     0
    .args:
      - .offset:         0
        .size:           112
        .value_kind:     by_value
    .group_segment_fixed_size: 0
    .kernarg_segment_align: 8
    .kernarg_segment_size: 112
    .language:       OpenCL C
    .language_version:
      - 2
      - 0
    .max_flat_workgroup_size: 64
    .name:           _ZN7rocprim17ROCPRIM_400000_NS6detail17trampoline_kernelINS0_14default_configENS1_27scan_by_key_config_selectorIssEEZZNS1_16scan_by_key_implILNS1_25lookback_scan_determinismE0ELb0ES3_N6thrust23THRUST_200600_302600_NS6detail15normal_iteratorINS9_10device_ptrIsEEEESE_SE_sNS9_4plusIvEENS9_8equal_toIsEEsEE10hipError_tPvRmT2_T3_T4_T5_mT6_T7_P12ihipStream_tbENKUlT_T0_E_clISt17integral_constantIbLb0EESY_IbLb1EEEEDaSU_SV_EUlSU_E_NS1_11comp_targetILNS1_3genE2ELNS1_11target_archE906ELNS1_3gpuE6ELNS1_3repE0EEENS1_30default_config_static_selectorELNS0_4arch9wavefront6targetE1EEEvT1_
    .private_segment_fixed_size: 0
    .sgpr_count:     6
    .sgpr_spill_count: 0
    .symbol:         _ZN7rocprim17ROCPRIM_400000_NS6detail17trampoline_kernelINS0_14default_configENS1_27scan_by_key_config_selectorIssEEZZNS1_16scan_by_key_implILNS1_25lookback_scan_determinismE0ELb0ES3_N6thrust23THRUST_200600_302600_NS6detail15normal_iteratorINS9_10device_ptrIsEEEESE_SE_sNS9_4plusIvEENS9_8equal_toIsEEsEE10hipError_tPvRmT2_T3_T4_T5_mT6_T7_P12ihipStream_tbENKUlT_T0_E_clISt17integral_constantIbLb0EESY_IbLb1EEEEDaSU_SV_EUlSU_E_NS1_11comp_targetILNS1_3genE2ELNS1_11target_archE906ELNS1_3gpuE6ELNS1_3repE0EEENS1_30default_config_static_selectorELNS0_4arch9wavefront6targetE1EEEvT1_.kd
    .uniform_work_group_size: 1
    .uses_dynamic_stack: false
    .vgpr_count:     0
    .vgpr_spill_count: 0
    .wavefront_size: 64
  - .agpr_count:     0
    .args:
      - .offset:         0
        .size:           112
        .value_kind:     by_value
    .group_segment_fixed_size: 0
    .kernarg_segment_align: 8
    .kernarg_segment_size: 112
    .language:       OpenCL C
    .language_version:
      - 2
      - 0
    .max_flat_workgroup_size: 256
    .name:           _ZN7rocprim17ROCPRIM_400000_NS6detail17trampoline_kernelINS0_14default_configENS1_27scan_by_key_config_selectorIssEEZZNS1_16scan_by_key_implILNS1_25lookback_scan_determinismE0ELb0ES3_N6thrust23THRUST_200600_302600_NS6detail15normal_iteratorINS9_10device_ptrIsEEEESE_SE_sNS9_4plusIvEENS9_8equal_toIsEEsEE10hipError_tPvRmT2_T3_T4_T5_mT6_T7_P12ihipStream_tbENKUlT_T0_E_clISt17integral_constantIbLb0EESY_IbLb1EEEEDaSU_SV_EUlSU_E_NS1_11comp_targetILNS1_3genE10ELNS1_11target_archE1200ELNS1_3gpuE4ELNS1_3repE0EEENS1_30default_config_static_selectorELNS0_4arch9wavefront6targetE1EEEvT1_
    .private_segment_fixed_size: 0
    .sgpr_count:     6
    .sgpr_spill_count: 0
    .symbol:         _ZN7rocprim17ROCPRIM_400000_NS6detail17trampoline_kernelINS0_14default_configENS1_27scan_by_key_config_selectorIssEEZZNS1_16scan_by_key_implILNS1_25lookback_scan_determinismE0ELb0ES3_N6thrust23THRUST_200600_302600_NS6detail15normal_iteratorINS9_10device_ptrIsEEEESE_SE_sNS9_4plusIvEENS9_8equal_toIsEEsEE10hipError_tPvRmT2_T3_T4_T5_mT6_T7_P12ihipStream_tbENKUlT_T0_E_clISt17integral_constantIbLb0EESY_IbLb1EEEEDaSU_SV_EUlSU_E_NS1_11comp_targetILNS1_3genE10ELNS1_11target_archE1200ELNS1_3gpuE4ELNS1_3repE0EEENS1_30default_config_static_selectorELNS0_4arch9wavefront6targetE1EEEvT1_.kd
    .uniform_work_group_size: 1
    .uses_dynamic_stack: false
    .vgpr_count:     0
    .vgpr_spill_count: 0
    .wavefront_size: 64
  - .agpr_count:     0
    .args:
      - .offset:         0
        .size:           112
        .value_kind:     by_value
    .group_segment_fixed_size: 0
    .kernarg_segment_align: 8
    .kernarg_segment_size: 112
    .language:       OpenCL C
    .language_version:
      - 2
      - 0
    .max_flat_workgroup_size: 256
    .name:           _ZN7rocprim17ROCPRIM_400000_NS6detail17trampoline_kernelINS0_14default_configENS1_27scan_by_key_config_selectorIssEEZZNS1_16scan_by_key_implILNS1_25lookback_scan_determinismE0ELb0ES3_N6thrust23THRUST_200600_302600_NS6detail15normal_iteratorINS9_10device_ptrIsEEEESE_SE_sNS9_4plusIvEENS9_8equal_toIsEEsEE10hipError_tPvRmT2_T3_T4_T5_mT6_T7_P12ihipStream_tbENKUlT_T0_E_clISt17integral_constantIbLb0EESY_IbLb1EEEEDaSU_SV_EUlSU_E_NS1_11comp_targetILNS1_3genE9ELNS1_11target_archE1100ELNS1_3gpuE3ELNS1_3repE0EEENS1_30default_config_static_selectorELNS0_4arch9wavefront6targetE1EEEvT1_
    .private_segment_fixed_size: 0
    .sgpr_count:     6
    .sgpr_spill_count: 0
    .symbol:         _ZN7rocprim17ROCPRIM_400000_NS6detail17trampoline_kernelINS0_14default_configENS1_27scan_by_key_config_selectorIssEEZZNS1_16scan_by_key_implILNS1_25lookback_scan_determinismE0ELb0ES3_N6thrust23THRUST_200600_302600_NS6detail15normal_iteratorINS9_10device_ptrIsEEEESE_SE_sNS9_4plusIvEENS9_8equal_toIsEEsEE10hipError_tPvRmT2_T3_T4_T5_mT6_T7_P12ihipStream_tbENKUlT_T0_E_clISt17integral_constantIbLb0EESY_IbLb1EEEEDaSU_SV_EUlSU_E_NS1_11comp_targetILNS1_3genE9ELNS1_11target_archE1100ELNS1_3gpuE3ELNS1_3repE0EEENS1_30default_config_static_selectorELNS0_4arch9wavefront6targetE1EEEvT1_.kd
    .uniform_work_group_size: 1
    .uses_dynamic_stack: false
    .vgpr_count:     0
    .vgpr_spill_count: 0
    .wavefront_size: 64
  - .agpr_count:     0
    .args:
      - .offset:         0
        .size:           112
        .value_kind:     by_value
    .group_segment_fixed_size: 0
    .kernarg_segment_align: 8
    .kernarg_segment_size: 112
    .language:       OpenCL C
    .language_version:
      - 2
      - 0
    .max_flat_workgroup_size: 64
    .name:           _ZN7rocprim17ROCPRIM_400000_NS6detail17trampoline_kernelINS0_14default_configENS1_27scan_by_key_config_selectorIssEEZZNS1_16scan_by_key_implILNS1_25lookback_scan_determinismE0ELb0ES3_N6thrust23THRUST_200600_302600_NS6detail15normal_iteratorINS9_10device_ptrIsEEEESE_SE_sNS9_4plusIvEENS9_8equal_toIsEEsEE10hipError_tPvRmT2_T3_T4_T5_mT6_T7_P12ihipStream_tbENKUlT_T0_E_clISt17integral_constantIbLb0EESY_IbLb1EEEEDaSU_SV_EUlSU_E_NS1_11comp_targetILNS1_3genE8ELNS1_11target_archE1030ELNS1_3gpuE2ELNS1_3repE0EEENS1_30default_config_static_selectorELNS0_4arch9wavefront6targetE1EEEvT1_
    .private_segment_fixed_size: 0
    .sgpr_count:     6
    .sgpr_spill_count: 0
    .symbol:         _ZN7rocprim17ROCPRIM_400000_NS6detail17trampoline_kernelINS0_14default_configENS1_27scan_by_key_config_selectorIssEEZZNS1_16scan_by_key_implILNS1_25lookback_scan_determinismE0ELb0ES3_N6thrust23THRUST_200600_302600_NS6detail15normal_iteratorINS9_10device_ptrIsEEEESE_SE_sNS9_4plusIvEENS9_8equal_toIsEEsEE10hipError_tPvRmT2_T3_T4_T5_mT6_T7_P12ihipStream_tbENKUlT_T0_E_clISt17integral_constantIbLb0EESY_IbLb1EEEEDaSU_SV_EUlSU_E_NS1_11comp_targetILNS1_3genE8ELNS1_11target_archE1030ELNS1_3gpuE2ELNS1_3repE0EEENS1_30default_config_static_selectorELNS0_4arch9wavefront6targetE1EEEvT1_.kd
    .uniform_work_group_size: 1
    .uses_dynamic_stack: false
    .vgpr_count:     0
    .vgpr_spill_count: 0
    .wavefront_size: 64
  - .agpr_count:     0
    .args:
      - .offset:         0
        .size:           136
        .value_kind:     by_value
    .group_segment_fixed_size: 0
    .kernarg_segment_align: 8
    .kernarg_segment_size: 136
    .language:       OpenCL C
    .language_version:
      - 2
      - 0
    .max_flat_workgroup_size: 256
    .name:           _ZN7rocprim17ROCPRIM_400000_NS6detail17trampoline_kernelINS0_14default_configENS1_27scan_by_key_config_selectorIxxEEZZNS1_16scan_by_key_implILNS1_25lookback_scan_determinismE0ELb1ES3_N6thrust23THRUST_200600_302600_NS6detail15normal_iteratorINS9_10device_ptrIxEEEESE_SE_xNS9_4plusIvEENS9_8equal_toIvEExEE10hipError_tPvRmT2_T3_T4_T5_mT6_T7_P12ihipStream_tbENKUlT_T0_E_clISt17integral_constantIbLb0EESZ_EEDaSU_SV_EUlSU_E_NS1_11comp_targetILNS1_3genE0ELNS1_11target_archE4294967295ELNS1_3gpuE0ELNS1_3repE0EEENS1_30default_config_static_selectorELNS0_4arch9wavefront6targetE1EEEvT1_
    .private_segment_fixed_size: 0
    .sgpr_count:     6
    .sgpr_spill_count: 0
    .symbol:         _ZN7rocprim17ROCPRIM_400000_NS6detail17trampoline_kernelINS0_14default_configENS1_27scan_by_key_config_selectorIxxEEZZNS1_16scan_by_key_implILNS1_25lookback_scan_determinismE0ELb1ES3_N6thrust23THRUST_200600_302600_NS6detail15normal_iteratorINS9_10device_ptrIxEEEESE_SE_xNS9_4plusIvEENS9_8equal_toIvEExEE10hipError_tPvRmT2_T3_T4_T5_mT6_T7_P12ihipStream_tbENKUlT_T0_E_clISt17integral_constantIbLb0EESZ_EEDaSU_SV_EUlSU_E_NS1_11comp_targetILNS1_3genE0ELNS1_11target_archE4294967295ELNS1_3gpuE0ELNS1_3repE0EEENS1_30default_config_static_selectorELNS0_4arch9wavefront6targetE1EEEvT1_.kd
    .uniform_work_group_size: 1
    .uses_dynamic_stack: false
    .vgpr_count:     0
    .vgpr_spill_count: 0
    .wavefront_size: 64
  - .agpr_count:     0
    .args:
      - .offset:         0
        .size:           136
        .value_kind:     by_value
    .group_segment_fixed_size: 0
    .kernarg_segment_align: 8
    .kernarg_segment_size: 136
    .language:       OpenCL C
    .language_version:
      - 2
      - 0
    .max_flat_workgroup_size: 256
    .name:           _ZN7rocprim17ROCPRIM_400000_NS6detail17trampoline_kernelINS0_14default_configENS1_27scan_by_key_config_selectorIxxEEZZNS1_16scan_by_key_implILNS1_25lookback_scan_determinismE0ELb1ES3_N6thrust23THRUST_200600_302600_NS6detail15normal_iteratorINS9_10device_ptrIxEEEESE_SE_xNS9_4plusIvEENS9_8equal_toIvEExEE10hipError_tPvRmT2_T3_T4_T5_mT6_T7_P12ihipStream_tbENKUlT_T0_E_clISt17integral_constantIbLb0EESZ_EEDaSU_SV_EUlSU_E_NS1_11comp_targetILNS1_3genE10ELNS1_11target_archE1201ELNS1_3gpuE5ELNS1_3repE0EEENS1_30default_config_static_selectorELNS0_4arch9wavefront6targetE1EEEvT1_
    .private_segment_fixed_size: 0
    .sgpr_count:     6
    .sgpr_spill_count: 0
    .symbol:         _ZN7rocprim17ROCPRIM_400000_NS6detail17trampoline_kernelINS0_14default_configENS1_27scan_by_key_config_selectorIxxEEZZNS1_16scan_by_key_implILNS1_25lookback_scan_determinismE0ELb1ES3_N6thrust23THRUST_200600_302600_NS6detail15normal_iteratorINS9_10device_ptrIxEEEESE_SE_xNS9_4plusIvEENS9_8equal_toIvEExEE10hipError_tPvRmT2_T3_T4_T5_mT6_T7_P12ihipStream_tbENKUlT_T0_E_clISt17integral_constantIbLb0EESZ_EEDaSU_SV_EUlSU_E_NS1_11comp_targetILNS1_3genE10ELNS1_11target_archE1201ELNS1_3gpuE5ELNS1_3repE0EEENS1_30default_config_static_selectorELNS0_4arch9wavefront6targetE1EEEvT1_.kd
    .uniform_work_group_size: 1
    .uses_dynamic_stack: false
    .vgpr_count:     0
    .vgpr_spill_count: 0
    .wavefront_size: 64
  - .agpr_count:     0
    .args:
      - .offset:         0
        .size:           136
        .value_kind:     by_value
    .group_segment_fixed_size: 32768
    .kernarg_segment_align: 8
    .kernarg_segment_size: 136
    .language:       OpenCL C
    .language_version:
      - 2
      - 0
    .max_flat_workgroup_size: 256
    .name:           _ZN7rocprim17ROCPRIM_400000_NS6detail17trampoline_kernelINS0_14default_configENS1_27scan_by_key_config_selectorIxxEEZZNS1_16scan_by_key_implILNS1_25lookback_scan_determinismE0ELb1ES3_N6thrust23THRUST_200600_302600_NS6detail15normal_iteratorINS9_10device_ptrIxEEEESE_SE_xNS9_4plusIvEENS9_8equal_toIvEExEE10hipError_tPvRmT2_T3_T4_T5_mT6_T7_P12ihipStream_tbENKUlT_T0_E_clISt17integral_constantIbLb0EESZ_EEDaSU_SV_EUlSU_E_NS1_11comp_targetILNS1_3genE5ELNS1_11target_archE942ELNS1_3gpuE9ELNS1_3repE0EEENS1_30default_config_static_selectorELNS0_4arch9wavefront6targetE1EEEvT1_
    .private_segment_fixed_size: 0
    .sgpr_count:     70
    .sgpr_spill_count: 0
    .symbol:         _ZN7rocprim17ROCPRIM_400000_NS6detail17trampoline_kernelINS0_14default_configENS1_27scan_by_key_config_selectorIxxEEZZNS1_16scan_by_key_implILNS1_25lookback_scan_determinismE0ELb1ES3_N6thrust23THRUST_200600_302600_NS6detail15normal_iteratorINS9_10device_ptrIxEEEESE_SE_xNS9_4plusIvEENS9_8equal_toIvEExEE10hipError_tPvRmT2_T3_T4_T5_mT6_T7_P12ihipStream_tbENKUlT_T0_E_clISt17integral_constantIbLb0EESZ_EEDaSU_SV_EUlSU_E_NS1_11comp_targetILNS1_3genE5ELNS1_11target_archE942ELNS1_3gpuE9ELNS1_3repE0EEENS1_30default_config_static_selectorELNS0_4arch9wavefront6targetE1EEEvT1_.kd
    .uniform_work_group_size: 1
    .uses_dynamic_stack: false
    .vgpr_count:     85
    .vgpr_spill_count: 0
    .wavefront_size: 64
  - .agpr_count:     0
    .args:
      - .offset:         0
        .size:           136
        .value_kind:     by_value
    .group_segment_fixed_size: 0
    .kernarg_segment_align: 8
    .kernarg_segment_size: 136
    .language:       OpenCL C
    .language_version:
      - 2
      - 0
    .max_flat_workgroup_size: 64
    .name:           _ZN7rocprim17ROCPRIM_400000_NS6detail17trampoline_kernelINS0_14default_configENS1_27scan_by_key_config_selectorIxxEEZZNS1_16scan_by_key_implILNS1_25lookback_scan_determinismE0ELb1ES3_N6thrust23THRUST_200600_302600_NS6detail15normal_iteratorINS9_10device_ptrIxEEEESE_SE_xNS9_4plusIvEENS9_8equal_toIvEExEE10hipError_tPvRmT2_T3_T4_T5_mT6_T7_P12ihipStream_tbENKUlT_T0_E_clISt17integral_constantIbLb0EESZ_EEDaSU_SV_EUlSU_E_NS1_11comp_targetILNS1_3genE4ELNS1_11target_archE910ELNS1_3gpuE8ELNS1_3repE0EEENS1_30default_config_static_selectorELNS0_4arch9wavefront6targetE1EEEvT1_
    .private_segment_fixed_size: 0
    .sgpr_count:     6
    .sgpr_spill_count: 0
    .symbol:         _ZN7rocprim17ROCPRIM_400000_NS6detail17trampoline_kernelINS0_14default_configENS1_27scan_by_key_config_selectorIxxEEZZNS1_16scan_by_key_implILNS1_25lookback_scan_determinismE0ELb1ES3_N6thrust23THRUST_200600_302600_NS6detail15normal_iteratorINS9_10device_ptrIxEEEESE_SE_xNS9_4plusIvEENS9_8equal_toIvEExEE10hipError_tPvRmT2_T3_T4_T5_mT6_T7_P12ihipStream_tbENKUlT_T0_E_clISt17integral_constantIbLb0EESZ_EEDaSU_SV_EUlSU_E_NS1_11comp_targetILNS1_3genE4ELNS1_11target_archE910ELNS1_3gpuE8ELNS1_3repE0EEENS1_30default_config_static_selectorELNS0_4arch9wavefront6targetE1EEEvT1_.kd
    .uniform_work_group_size: 1
    .uses_dynamic_stack: false
    .vgpr_count:     0
    .vgpr_spill_count: 0
    .wavefront_size: 64
  - .agpr_count:     0
    .args:
      - .offset:         0
        .size:           136
        .value_kind:     by_value
    .group_segment_fixed_size: 0
    .kernarg_segment_align: 8
    .kernarg_segment_size: 136
    .language:       OpenCL C
    .language_version:
      - 2
      - 0
    .max_flat_workgroup_size: 256
    .name:           _ZN7rocprim17ROCPRIM_400000_NS6detail17trampoline_kernelINS0_14default_configENS1_27scan_by_key_config_selectorIxxEEZZNS1_16scan_by_key_implILNS1_25lookback_scan_determinismE0ELb1ES3_N6thrust23THRUST_200600_302600_NS6detail15normal_iteratorINS9_10device_ptrIxEEEESE_SE_xNS9_4plusIvEENS9_8equal_toIvEExEE10hipError_tPvRmT2_T3_T4_T5_mT6_T7_P12ihipStream_tbENKUlT_T0_E_clISt17integral_constantIbLb0EESZ_EEDaSU_SV_EUlSU_E_NS1_11comp_targetILNS1_3genE3ELNS1_11target_archE908ELNS1_3gpuE7ELNS1_3repE0EEENS1_30default_config_static_selectorELNS0_4arch9wavefront6targetE1EEEvT1_
    .private_segment_fixed_size: 0
    .sgpr_count:     6
    .sgpr_spill_count: 0
    .symbol:         _ZN7rocprim17ROCPRIM_400000_NS6detail17trampoline_kernelINS0_14default_configENS1_27scan_by_key_config_selectorIxxEEZZNS1_16scan_by_key_implILNS1_25lookback_scan_determinismE0ELb1ES3_N6thrust23THRUST_200600_302600_NS6detail15normal_iteratorINS9_10device_ptrIxEEEESE_SE_xNS9_4plusIvEENS9_8equal_toIvEExEE10hipError_tPvRmT2_T3_T4_T5_mT6_T7_P12ihipStream_tbENKUlT_T0_E_clISt17integral_constantIbLb0EESZ_EEDaSU_SV_EUlSU_E_NS1_11comp_targetILNS1_3genE3ELNS1_11target_archE908ELNS1_3gpuE7ELNS1_3repE0EEENS1_30default_config_static_selectorELNS0_4arch9wavefront6targetE1EEEvT1_.kd
    .uniform_work_group_size: 1
    .uses_dynamic_stack: false
    .vgpr_count:     0
    .vgpr_spill_count: 0
    .wavefront_size: 64
  - .agpr_count:     0
    .args:
      - .offset:         0
        .size:           136
        .value_kind:     by_value
    .group_segment_fixed_size: 0
    .kernarg_segment_align: 8
    .kernarg_segment_size: 136
    .language:       OpenCL C
    .language_version:
      - 2
      - 0
    .max_flat_workgroup_size: 256
    .name:           _ZN7rocprim17ROCPRIM_400000_NS6detail17trampoline_kernelINS0_14default_configENS1_27scan_by_key_config_selectorIxxEEZZNS1_16scan_by_key_implILNS1_25lookback_scan_determinismE0ELb1ES3_N6thrust23THRUST_200600_302600_NS6detail15normal_iteratorINS9_10device_ptrIxEEEESE_SE_xNS9_4plusIvEENS9_8equal_toIvEExEE10hipError_tPvRmT2_T3_T4_T5_mT6_T7_P12ihipStream_tbENKUlT_T0_E_clISt17integral_constantIbLb0EESZ_EEDaSU_SV_EUlSU_E_NS1_11comp_targetILNS1_3genE2ELNS1_11target_archE906ELNS1_3gpuE6ELNS1_3repE0EEENS1_30default_config_static_selectorELNS0_4arch9wavefront6targetE1EEEvT1_
    .private_segment_fixed_size: 0
    .sgpr_count:     6
    .sgpr_spill_count: 0
    .symbol:         _ZN7rocprim17ROCPRIM_400000_NS6detail17trampoline_kernelINS0_14default_configENS1_27scan_by_key_config_selectorIxxEEZZNS1_16scan_by_key_implILNS1_25lookback_scan_determinismE0ELb1ES3_N6thrust23THRUST_200600_302600_NS6detail15normal_iteratorINS9_10device_ptrIxEEEESE_SE_xNS9_4plusIvEENS9_8equal_toIvEExEE10hipError_tPvRmT2_T3_T4_T5_mT6_T7_P12ihipStream_tbENKUlT_T0_E_clISt17integral_constantIbLb0EESZ_EEDaSU_SV_EUlSU_E_NS1_11comp_targetILNS1_3genE2ELNS1_11target_archE906ELNS1_3gpuE6ELNS1_3repE0EEENS1_30default_config_static_selectorELNS0_4arch9wavefront6targetE1EEEvT1_.kd
    .uniform_work_group_size: 1
    .uses_dynamic_stack: false
    .vgpr_count:     0
    .vgpr_spill_count: 0
    .wavefront_size: 64
  - .agpr_count:     0
    .args:
      - .offset:         0
        .size:           136
        .value_kind:     by_value
    .group_segment_fixed_size: 0
    .kernarg_segment_align: 8
    .kernarg_segment_size: 136
    .language:       OpenCL C
    .language_version:
      - 2
      - 0
    .max_flat_workgroup_size: 256
    .name:           _ZN7rocprim17ROCPRIM_400000_NS6detail17trampoline_kernelINS0_14default_configENS1_27scan_by_key_config_selectorIxxEEZZNS1_16scan_by_key_implILNS1_25lookback_scan_determinismE0ELb1ES3_N6thrust23THRUST_200600_302600_NS6detail15normal_iteratorINS9_10device_ptrIxEEEESE_SE_xNS9_4plusIvEENS9_8equal_toIvEExEE10hipError_tPvRmT2_T3_T4_T5_mT6_T7_P12ihipStream_tbENKUlT_T0_E_clISt17integral_constantIbLb0EESZ_EEDaSU_SV_EUlSU_E_NS1_11comp_targetILNS1_3genE10ELNS1_11target_archE1200ELNS1_3gpuE4ELNS1_3repE0EEENS1_30default_config_static_selectorELNS0_4arch9wavefront6targetE1EEEvT1_
    .private_segment_fixed_size: 0
    .sgpr_count:     6
    .sgpr_spill_count: 0
    .symbol:         _ZN7rocprim17ROCPRIM_400000_NS6detail17trampoline_kernelINS0_14default_configENS1_27scan_by_key_config_selectorIxxEEZZNS1_16scan_by_key_implILNS1_25lookback_scan_determinismE0ELb1ES3_N6thrust23THRUST_200600_302600_NS6detail15normal_iteratorINS9_10device_ptrIxEEEESE_SE_xNS9_4plusIvEENS9_8equal_toIvEExEE10hipError_tPvRmT2_T3_T4_T5_mT6_T7_P12ihipStream_tbENKUlT_T0_E_clISt17integral_constantIbLb0EESZ_EEDaSU_SV_EUlSU_E_NS1_11comp_targetILNS1_3genE10ELNS1_11target_archE1200ELNS1_3gpuE4ELNS1_3repE0EEENS1_30default_config_static_selectorELNS0_4arch9wavefront6targetE1EEEvT1_.kd
    .uniform_work_group_size: 1
    .uses_dynamic_stack: false
    .vgpr_count:     0
    .vgpr_spill_count: 0
    .wavefront_size: 64
  - .agpr_count:     0
    .args:
      - .offset:         0
        .size:           136
        .value_kind:     by_value
    .group_segment_fixed_size: 0
    .kernarg_segment_align: 8
    .kernarg_segment_size: 136
    .language:       OpenCL C
    .language_version:
      - 2
      - 0
    .max_flat_workgroup_size: 256
    .name:           _ZN7rocprim17ROCPRIM_400000_NS6detail17trampoline_kernelINS0_14default_configENS1_27scan_by_key_config_selectorIxxEEZZNS1_16scan_by_key_implILNS1_25lookback_scan_determinismE0ELb1ES3_N6thrust23THRUST_200600_302600_NS6detail15normal_iteratorINS9_10device_ptrIxEEEESE_SE_xNS9_4plusIvEENS9_8equal_toIvEExEE10hipError_tPvRmT2_T3_T4_T5_mT6_T7_P12ihipStream_tbENKUlT_T0_E_clISt17integral_constantIbLb0EESZ_EEDaSU_SV_EUlSU_E_NS1_11comp_targetILNS1_3genE9ELNS1_11target_archE1100ELNS1_3gpuE3ELNS1_3repE0EEENS1_30default_config_static_selectorELNS0_4arch9wavefront6targetE1EEEvT1_
    .private_segment_fixed_size: 0
    .sgpr_count:     6
    .sgpr_spill_count: 0
    .symbol:         _ZN7rocprim17ROCPRIM_400000_NS6detail17trampoline_kernelINS0_14default_configENS1_27scan_by_key_config_selectorIxxEEZZNS1_16scan_by_key_implILNS1_25lookback_scan_determinismE0ELb1ES3_N6thrust23THRUST_200600_302600_NS6detail15normal_iteratorINS9_10device_ptrIxEEEESE_SE_xNS9_4plusIvEENS9_8equal_toIvEExEE10hipError_tPvRmT2_T3_T4_T5_mT6_T7_P12ihipStream_tbENKUlT_T0_E_clISt17integral_constantIbLb0EESZ_EEDaSU_SV_EUlSU_E_NS1_11comp_targetILNS1_3genE9ELNS1_11target_archE1100ELNS1_3gpuE3ELNS1_3repE0EEENS1_30default_config_static_selectorELNS0_4arch9wavefront6targetE1EEEvT1_.kd
    .uniform_work_group_size: 1
    .uses_dynamic_stack: false
    .vgpr_count:     0
    .vgpr_spill_count: 0
    .wavefront_size: 64
  - .agpr_count:     0
    .args:
      - .offset:         0
        .size:           136
        .value_kind:     by_value
    .group_segment_fixed_size: 0
    .kernarg_segment_align: 8
    .kernarg_segment_size: 136
    .language:       OpenCL C
    .language_version:
      - 2
      - 0
    .max_flat_workgroup_size: 256
    .name:           _ZN7rocprim17ROCPRIM_400000_NS6detail17trampoline_kernelINS0_14default_configENS1_27scan_by_key_config_selectorIxxEEZZNS1_16scan_by_key_implILNS1_25lookback_scan_determinismE0ELb1ES3_N6thrust23THRUST_200600_302600_NS6detail15normal_iteratorINS9_10device_ptrIxEEEESE_SE_xNS9_4plusIvEENS9_8equal_toIvEExEE10hipError_tPvRmT2_T3_T4_T5_mT6_T7_P12ihipStream_tbENKUlT_T0_E_clISt17integral_constantIbLb0EESZ_EEDaSU_SV_EUlSU_E_NS1_11comp_targetILNS1_3genE8ELNS1_11target_archE1030ELNS1_3gpuE2ELNS1_3repE0EEENS1_30default_config_static_selectorELNS0_4arch9wavefront6targetE1EEEvT1_
    .private_segment_fixed_size: 0
    .sgpr_count:     6
    .sgpr_spill_count: 0
    .symbol:         _ZN7rocprim17ROCPRIM_400000_NS6detail17trampoline_kernelINS0_14default_configENS1_27scan_by_key_config_selectorIxxEEZZNS1_16scan_by_key_implILNS1_25lookback_scan_determinismE0ELb1ES3_N6thrust23THRUST_200600_302600_NS6detail15normal_iteratorINS9_10device_ptrIxEEEESE_SE_xNS9_4plusIvEENS9_8equal_toIvEExEE10hipError_tPvRmT2_T3_T4_T5_mT6_T7_P12ihipStream_tbENKUlT_T0_E_clISt17integral_constantIbLb0EESZ_EEDaSU_SV_EUlSU_E_NS1_11comp_targetILNS1_3genE8ELNS1_11target_archE1030ELNS1_3gpuE2ELNS1_3repE0EEENS1_30default_config_static_selectorELNS0_4arch9wavefront6targetE1EEEvT1_.kd
    .uniform_work_group_size: 1
    .uses_dynamic_stack: false
    .vgpr_count:     0
    .vgpr_spill_count: 0
    .wavefront_size: 64
  - .agpr_count:     0
    .args:
      - .offset:         0
        .size:           136
        .value_kind:     by_value
    .group_segment_fixed_size: 0
    .kernarg_segment_align: 8
    .kernarg_segment_size: 136
    .language:       OpenCL C
    .language_version:
      - 2
      - 0
    .max_flat_workgroup_size: 256
    .name:           _ZN7rocprim17ROCPRIM_400000_NS6detail17trampoline_kernelINS0_14default_configENS1_27scan_by_key_config_selectorIxxEEZZNS1_16scan_by_key_implILNS1_25lookback_scan_determinismE0ELb1ES3_N6thrust23THRUST_200600_302600_NS6detail15normal_iteratorINS9_10device_ptrIxEEEESE_SE_xNS9_4plusIvEENS9_8equal_toIvEExEE10hipError_tPvRmT2_T3_T4_T5_mT6_T7_P12ihipStream_tbENKUlT_T0_E_clISt17integral_constantIbLb1EESZ_EEDaSU_SV_EUlSU_E_NS1_11comp_targetILNS1_3genE0ELNS1_11target_archE4294967295ELNS1_3gpuE0ELNS1_3repE0EEENS1_30default_config_static_selectorELNS0_4arch9wavefront6targetE1EEEvT1_
    .private_segment_fixed_size: 0
    .sgpr_count:     6
    .sgpr_spill_count: 0
    .symbol:         _ZN7rocprim17ROCPRIM_400000_NS6detail17trampoline_kernelINS0_14default_configENS1_27scan_by_key_config_selectorIxxEEZZNS1_16scan_by_key_implILNS1_25lookback_scan_determinismE0ELb1ES3_N6thrust23THRUST_200600_302600_NS6detail15normal_iteratorINS9_10device_ptrIxEEEESE_SE_xNS9_4plusIvEENS9_8equal_toIvEExEE10hipError_tPvRmT2_T3_T4_T5_mT6_T7_P12ihipStream_tbENKUlT_T0_E_clISt17integral_constantIbLb1EESZ_EEDaSU_SV_EUlSU_E_NS1_11comp_targetILNS1_3genE0ELNS1_11target_archE4294967295ELNS1_3gpuE0ELNS1_3repE0EEENS1_30default_config_static_selectorELNS0_4arch9wavefront6targetE1EEEvT1_.kd
    .uniform_work_group_size: 1
    .uses_dynamic_stack: false
    .vgpr_count:     0
    .vgpr_spill_count: 0
    .wavefront_size: 64
  - .agpr_count:     0
    .args:
      - .offset:         0
        .size:           136
        .value_kind:     by_value
    .group_segment_fixed_size: 0
    .kernarg_segment_align: 8
    .kernarg_segment_size: 136
    .language:       OpenCL C
    .language_version:
      - 2
      - 0
    .max_flat_workgroup_size: 256
    .name:           _ZN7rocprim17ROCPRIM_400000_NS6detail17trampoline_kernelINS0_14default_configENS1_27scan_by_key_config_selectorIxxEEZZNS1_16scan_by_key_implILNS1_25lookback_scan_determinismE0ELb1ES3_N6thrust23THRUST_200600_302600_NS6detail15normal_iteratorINS9_10device_ptrIxEEEESE_SE_xNS9_4plusIvEENS9_8equal_toIvEExEE10hipError_tPvRmT2_T3_T4_T5_mT6_T7_P12ihipStream_tbENKUlT_T0_E_clISt17integral_constantIbLb1EESZ_EEDaSU_SV_EUlSU_E_NS1_11comp_targetILNS1_3genE10ELNS1_11target_archE1201ELNS1_3gpuE5ELNS1_3repE0EEENS1_30default_config_static_selectorELNS0_4arch9wavefront6targetE1EEEvT1_
    .private_segment_fixed_size: 0
    .sgpr_count:     6
    .sgpr_spill_count: 0
    .symbol:         _ZN7rocprim17ROCPRIM_400000_NS6detail17trampoline_kernelINS0_14default_configENS1_27scan_by_key_config_selectorIxxEEZZNS1_16scan_by_key_implILNS1_25lookback_scan_determinismE0ELb1ES3_N6thrust23THRUST_200600_302600_NS6detail15normal_iteratorINS9_10device_ptrIxEEEESE_SE_xNS9_4plusIvEENS9_8equal_toIvEExEE10hipError_tPvRmT2_T3_T4_T5_mT6_T7_P12ihipStream_tbENKUlT_T0_E_clISt17integral_constantIbLb1EESZ_EEDaSU_SV_EUlSU_E_NS1_11comp_targetILNS1_3genE10ELNS1_11target_archE1201ELNS1_3gpuE5ELNS1_3repE0EEENS1_30default_config_static_selectorELNS0_4arch9wavefront6targetE1EEEvT1_.kd
    .uniform_work_group_size: 1
    .uses_dynamic_stack: false
    .vgpr_count:     0
    .vgpr_spill_count: 0
    .wavefront_size: 64
  - .agpr_count:     0
    .args:
      - .offset:         0
        .size:           136
        .value_kind:     by_value
    .group_segment_fixed_size: 32768
    .kernarg_segment_align: 8
    .kernarg_segment_size: 136
    .language:       OpenCL C
    .language_version:
      - 2
      - 0
    .max_flat_workgroup_size: 256
    .name:           _ZN7rocprim17ROCPRIM_400000_NS6detail17trampoline_kernelINS0_14default_configENS1_27scan_by_key_config_selectorIxxEEZZNS1_16scan_by_key_implILNS1_25lookback_scan_determinismE0ELb1ES3_N6thrust23THRUST_200600_302600_NS6detail15normal_iteratorINS9_10device_ptrIxEEEESE_SE_xNS9_4plusIvEENS9_8equal_toIvEExEE10hipError_tPvRmT2_T3_T4_T5_mT6_T7_P12ihipStream_tbENKUlT_T0_E_clISt17integral_constantIbLb1EESZ_EEDaSU_SV_EUlSU_E_NS1_11comp_targetILNS1_3genE5ELNS1_11target_archE942ELNS1_3gpuE9ELNS1_3repE0EEENS1_30default_config_static_selectorELNS0_4arch9wavefront6targetE1EEEvT1_
    .private_segment_fixed_size: 0
    .sgpr_count:     66
    .sgpr_spill_count: 0
    .symbol:         _ZN7rocprim17ROCPRIM_400000_NS6detail17trampoline_kernelINS0_14default_configENS1_27scan_by_key_config_selectorIxxEEZZNS1_16scan_by_key_implILNS1_25lookback_scan_determinismE0ELb1ES3_N6thrust23THRUST_200600_302600_NS6detail15normal_iteratorINS9_10device_ptrIxEEEESE_SE_xNS9_4plusIvEENS9_8equal_toIvEExEE10hipError_tPvRmT2_T3_T4_T5_mT6_T7_P12ihipStream_tbENKUlT_T0_E_clISt17integral_constantIbLb1EESZ_EEDaSU_SV_EUlSU_E_NS1_11comp_targetILNS1_3genE5ELNS1_11target_archE942ELNS1_3gpuE9ELNS1_3repE0EEENS1_30default_config_static_selectorELNS0_4arch9wavefront6targetE1EEEvT1_.kd
    .uniform_work_group_size: 1
    .uses_dynamic_stack: false
    .vgpr_count:     87
    .vgpr_spill_count: 0
    .wavefront_size: 64
  - .agpr_count:     0
    .args:
      - .offset:         0
        .size:           136
        .value_kind:     by_value
    .group_segment_fixed_size: 0
    .kernarg_segment_align: 8
    .kernarg_segment_size: 136
    .language:       OpenCL C
    .language_version:
      - 2
      - 0
    .max_flat_workgroup_size: 64
    .name:           _ZN7rocprim17ROCPRIM_400000_NS6detail17trampoline_kernelINS0_14default_configENS1_27scan_by_key_config_selectorIxxEEZZNS1_16scan_by_key_implILNS1_25lookback_scan_determinismE0ELb1ES3_N6thrust23THRUST_200600_302600_NS6detail15normal_iteratorINS9_10device_ptrIxEEEESE_SE_xNS9_4plusIvEENS9_8equal_toIvEExEE10hipError_tPvRmT2_T3_T4_T5_mT6_T7_P12ihipStream_tbENKUlT_T0_E_clISt17integral_constantIbLb1EESZ_EEDaSU_SV_EUlSU_E_NS1_11comp_targetILNS1_3genE4ELNS1_11target_archE910ELNS1_3gpuE8ELNS1_3repE0EEENS1_30default_config_static_selectorELNS0_4arch9wavefront6targetE1EEEvT1_
    .private_segment_fixed_size: 0
    .sgpr_count:     6
    .sgpr_spill_count: 0
    .symbol:         _ZN7rocprim17ROCPRIM_400000_NS6detail17trampoline_kernelINS0_14default_configENS1_27scan_by_key_config_selectorIxxEEZZNS1_16scan_by_key_implILNS1_25lookback_scan_determinismE0ELb1ES3_N6thrust23THRUST_200600_302600_NS6detail15normal_iteratorINS9_10device_ptrIxEEEESE_SE_xNS9_4plusIvEENS9_8equal_toIvEExEE10hipError_tPvRmT2_T3_T4_T5_mT6_T7_P12ihipStream_tbENKUlT_T0_E_clISt17integral_constantIbLb1EESZ_EEDaSU_SV_EUlSU_E_NS1_11comp_targetILNS1_3genE4ELNS1_11target_archE910ELNS1_3gpuE8ELNS1_3repE0EEENS1_30default_config_static_selectorELNS0_4arch9wavefront6targetE1EEEvT1_.kd
    .uniform_work_group_size: 1
    .uses_dynamic_stack: false
    .vgpr_count:     0
    .vgpr_spill_count: 0
    .wavefront_size: 64
  - .agpr_count:     0
    .args:
      - .offset:         0
        .size:           136
        .value_kind:     by_value
    .group_segment_fixed_size: 0
    .kernarg_segment_align: 8
    .kernarg_segment_size: 136
    .language:       OpenCL C
    .language_version:
      - 2
      - 0
    .max_flat_workgroup_size: 256
    .name:           _ZN7rocprim17ROCPRIM_400000_NS6detail17trampoline_kernelINS0_14default_configENS1_27scan_by_key_config_selectorIxxEEZZNS1_16scan_by_key_implILNS1_25lookback_scan_determinismE0ELb1ES3_N6thrust23THRUST_200600_302600_NS6detail15normal_iteratorINS9_10device_ptrIxEEEESE_SE_xNS9_4plusIvEENS9_8equal_toIvEExEE10hipError_tPvRmT2_T3_T4_T5_mT6_T7_P12ihipStream_tbENKUlT_T0_E_clISt17integral_constantIbLb1EESZ_EEDaSU_SV_EUlSU_E_NS1_11comp_targetILNS1_3genE3ELNS1_11target_archE908ELNS1_3gpuE7ELNS1_3repE0EEENS1_30default_config_static_selectorELNS0_4arch9wavefront6targetE1EEEvT1_
    .private_segment_fixed_size: 0
    .sgpr_count:     6
    .sgpr_spill_count: 0
    .symbol:         _ZN7rocprim17ROCPRIM_400000_NS6detail17trampoline_kernelINS0_14default_configENS1_27scan_by_key_config_selectorIxxEEZZNS1_16scan_by_key_implILNS1_25lookback_scan_determinismE0ELb1ES3_N6thrust23THRUST_200600_302600_NS6detail15normal_iteratorINS9_10device_ptrIxEEEESE_SE_xNS9_4plusIvEENS9_8equal_toIvEExEE10hipError_tPvRmT2_T3_T4_T5_mT6_T7_P12ihipStream_tbENKUlT_T0_E_clISt17integral_constantIbLb1EESZ_EEDaSU_SV_EUlSU_E_NS1_11comp_targetILNS1_3genE3ELNS1_11target_archE908ELNS1_3gpuE7ELNS1_3repE0EEENS1_30default_config_static_selectorELNS0_4arch9wavefront6targetE1EEEvT1_.kd
    .uniform_work_group_size: 1
    .uses_dynamic_stack: false
    .vgpr_count:     0
    .vgpr_spill_count: 0
    .wavefront_size: 64
  - .agpr_count:     0
    .args:
      - .offset:         0
        .size:           136
        .value_kind:     by_value
    .group_segment_fixed_size: 0
    .kernarg_segment_align: 8
    .kernarg_segment_size: 136
    .language:       OpenCL C
    .language_version:
      - 2
      - 0
    .max_flat_workgroup_size: 256
    .name:           _ZN7rocprim17ROCPRIM_400000_NS6detail17trampoline_kernelINS0_14default_configENS1_27scan_by_key_config_selectorIxxEEZZNS1_16scan_by_key_implILNS1_25lookback_scan_determinismE0ELb1ES3_N6thrust23THRUST_200600_302600_NS6detail15normal_iteratorINS9_10device_ptrIxEEEESE_SE_xNS9_4plusIvEENS9_8equal_toIvEExEE10hipError_tPvRmT2_T3_T4_T5_mT6_T7_P12ihipStream_tbENKUlT_T0_E_clISt17integral_constantIbLb1EESZ_EEDaSU_SV_EUlSU_E_NS1_11comp_targetILNS1_3genE2ELNS1_11target_archE906ELNS1_3gpuE6ELNS1_3repE0EEENS1_30default_config_static_selectorELNS0_4arch9wavefront6targetE1EEEvT1_
    .private_segment_fixed_size: 0
    .sgpr_count:     6
    .sgpr_spill_count: 0
    .symbol:         _ZN7rocprim17ROCPRIM_400000_NS6detail17trampoline_kernelINS0_14default_configENS1_27scan_by_key_config_selectorIxxEEZZNS1_16scan_by_key_implILNS1_25lookback_scan_determinismE0ELb1ES3_N6thrust23THRUST_200600_302600_NS6detail15normal_iteratorINS9_10device_ptrIxEEEESE_SE_xNS9_4plusIvEENS9_8equal_toIvEExEE10hipError_tPvRmT2_T3_T4_T5_mT6_T7_P12ihipStream_tbENKUlT_T0_E_clISt17integral_constantIbLb1EESZ_EEDaSU_SV_EUlSU_E_NS1_11comp_targetILNS1_3genE2ELNS1_11target_archE906ELNS1_3gpuE6ELNS1_3repE0EEENS1_30default_config_static_selectorELNS0_4arch9wavefront6targetE1EEEvT1_.kd
    .uniform_work_group_size: 1
    .uses_dynamic_stack: false
    .vgpr_count:     0
    .vgpr_spill_count: 0
    .wavefront_size: 64
  - .agpr_count:     0
    .args:
      - .offset:         0
        .size:           136
        .value_kind:     by_value
    .group_segment_fixed_size: 0
    .kernarg_segment_align: 8
    .kernarg_segment_size: 136
    .language:       OpenCL C
    .language_version:
      - 2
      - 0
    .max_flat_workgroup_size: 256
    .name:           _ZN7rocprim17ROCPRIM_400000_NS6detail17trampoline_kernelINS0_14default_configENS1_27scan_by_key_config_selectorIxxEEZZNS1_16scan_by_key_implILNS1_25lookback_scan_determinismE0ELb1ES3_N6thrust23THRUST_200600_302600_NS6detail15normal_iteratorINS9_10device_ptrIxEEEESE_SE_xNS9_4plusIvEENS9_8equal_toIvEExEE10hipError_tPvRmT2_T3_T4_T5_mT6_T7_P12ihipStream_tbENKUlT_T0_E_clISt17integral_constantIbLb1EESZ_EEDaSU_SV_EUlSU_E_NS1_11comp_targetILNS1_3genE10ELNS1_11target_archE1200ELNS1_3gpuE4ELNS1_3repE0EEENS1_30default_config_static_selectorELNS0_4arch9wavefront6targetE1EEEvT1_
    .private_segment_fixed_size: 0
    .sgpr_count:     6
    .sgpr_spill_count: 0
    .symbol:         _ZN7rocprim17ROCPRIM_400000_NS6detail17trampoline_kernelINS0_14default_configENS1_27scan_by_key_config_selectorIxxEEZZNS1_16scan_by_key_implILNS1_25lookback_scan_determinismE0ELb1ES3_N6thrust23THRUST_200600_302600_NS6detail15normal_iteratorINS9_10device_ptrIxEEEESE_SE_xNS9_4plusIvEENS9_8equal_toIvEExEE10hipError_tPvRmT2_T3_T4_T5_mT6_T7_P12ihipStream_tbENKUlT_T0_E_clISt17integral_constantIbLb1EESZ_EEDaSU_SV_EUlSU_E_NS1_11comp_targetILNS1_3genE10ELNS1_11target_archE1200ELNS1_3gpuE4ELNS1_3repE0EEENS1_30default_config_static_selectorELNS0_4arch9wavefront6targetE1EEEvT1_.kd
    .uniform_work_group_size: 1
    .uses_dynamic_stack: false
    .vgpr_count:     0
    .vgpr_spill_count: 0
    .wavefront_size: 64
  - .agpr_count:     0
    .args:
      - .offset:         0
        .size:           136
        .value_kind:     by_value
    .group_segment_fixed_size: 0
    .kernarg_segment_align: 8
    .kernarg_segment_size: 136
    .language:       OpenCL C
    .language_version:
      - 2
      - 0
    .max_flat_workgroup_size: 256
    .name:           _ZN7rocprim17ROCPRIM_400000_NS6detail17trampoline_kernelINS0_14default_configENS1_27scan_by_key_config_selectorIxxEEZZNS1_16scan_by_key_implILNS1_25lookback_scan_determinismE0ELb1ES3_N6thrust23THRUST_200600_302600_NS6detail15normal_iteratorINS9_10device_ptrIxEEEESE_SE_xNS9_4plusIvEENS9_8equal_toIvEExEE10hipError_tPvRmT2_T3_T4_T5_mT6_T7_P12ihipStream_tbENKUlT_T0_E_clISt17integral_constantIbLb1EESZ_EEDaSU_SV_EUlSU_E_NS1_11comp_targetILNS1_3genE9ELNS1_11target_archE1100ELNS1_3gpuE3ELNS1_3repE0EEENS1_30default_config_static_selectorELNS0_4arch9wavefront6targetE1EEEvT1_
    .private_segment_fixed_size: 0
    .sgpr_count:     6
    .sgpr_spill_count: 0
    .symbol:         _ZN7rocprim17ROCPRIM_400000_NS6detail17trampoline_kernelINS0_14default_configENS1_27scan_by_key_config_selectorIxxEEZZNS1_16scan_by_key_implILNS1_25lookback_scan_determinismE0ELb1ES3_N6thrust23THRUST_200600_302600_NS6detail15normal_iteratorINS9_10device_ptrIxEEEESE_SE_xNS9_4plusIvEENS9_8equal_toIvEExEE10hipError_tPvRmT2_T3_T4_T5_mT6_T7_P12ihipStream_tbENKUlT_T0_E_clISt17integral_constantIbLb1EESZ_EEDaSU_SV_EUlSU_E_NS1_11comp_targetILNS1_3genE9ELNS1_11target_archE1100ELNS1_3gpuE3ELNS1_3repE0EEENS1_30default_config_static_selectorELNS0_4arch9wavefront6targetE1EEEvT1_.kd
    .uniform_work_group_size: 1
    .uses_dynamic_stack: false
    .vgpr_count:     0
    .vgpr_spill_count: 0
    .wavefront_size: 64
  - .agpr_count:     0
    .args:
      - .offset:         0
        .size:           136
        .value_kind:     by_value
    .group_segment_fixed_size: 0
    .kernarg_segment_align: 8
    .kernarg_segment_size: 136
    .language:       OpenCL C
    .language_version:
      - 2
      - 0
    .max_flat_workgroup_size: 256
    .name:           _ZN7rocprim17ROCPRIM_400000_NS6detail17trampoline_kernelINS0_14default_configENS1_27scan_by_key_config_selectorIxxEEZZNS1_16scan_by_key_implILNS1_25lookback_scan_determinismE0ELb1ES3_N6thrust23THRUST_200600_302600_NS6detail15normal_iteratorINS9_10device_ptrIxEEEESE_SE_xNS9_4plusIvEENS9_8equal_toIvEExEE10hipError_tPvRmT2_T3_T4_T5_mT6_T7_P12ihipStream_tbENKUlT_T0_E_clISt17integral_constantIbLb1EESZ_EEDaSU_SV_EUlSU_E_NS1_11comp_targetILNS1_3genE8ELNS1_11target_archE1030ELNS1_3gpuE2ELNS1_3repE0EEENS1_30default_config_static_selectorELNS0_4arch9wavefront6targetE1EEEvT1_
    .private_segment_fixed_size: 0
    .sgpr_count:     6
    .sgpr_spill_count: 0
    .symbol:         _ZN7rocprim17ROCPRIM_400000_NS6detail17trampoline_kernelINS0_14default_configENS1_27scan_by_key_config_selectorIxxEEZZNS1_16scan_by_key_implILNS1_25lookback_scan_determinismE0ELb1ES3_N6thrust23THRUST_200600_302600_NS6detail15normal_iteratorINS9_10device_ptrIxEEEESE_SE_xNS9_4plusIvEENS9_8equal_toIvEExEE10hipError_tPvRmT2_T3_T4_T5_mT6_T7_P12ihipStream_tbENKUlT_T0_E_clISt17integral_constantIbLb1EESZ_EEDaSU_SV_EUlSU_E_NS1_11comp_targetILNS1_3genE8ELNS1_11target_archE1030ELNS1_3gpuE2ELNS1_3repE0EEENS1_30default_config_static_selectorELNS0_4arch9wavefront6targetE1EEEvT1_.kd
    .uniform_work_group_size: 1
    .uses_dynamic_stack: false
    .vgpr_count:     0
    .vgpr_spill_count: 0
    .wavefront_size: 64
  - .agpr_count:     0
    .args:
      - .offset:         0
        .size:           136
        .value_kind:     by_value
    .group_segment_fixed_size: 0
    .kernarg_segment_align: 8
    .kernarg_segment_size: 136
    .language:       OpenCL C
    .language_version:
      - 2
      - 0
    .max_flat_workgroup_size: 256
    .name:           _ZN7rocprim17ROCPRIM_400000_NS6detail17trampoline_kernelINS0_14default_configENS1_27scan_by_key_config_selectorIxxEEZZNS1_16scan_by_key_implILNS1_25lookback_scan_determinismE0ELb1ES3_N6thrust23THRUST_200600_302600_NS6detail15normal_iteratorINS9_10device_ptrIxEEEESE_SE_xNS9_4plusIvEENS9_8equal_toIvEExEE10hipError_tPvRmT2_T3_T4_T5_mT6_T7_P12ihipStream_tbENKUlT_T0_E_clISt17integral_constantIbLb1EESY_IbLb0EEEEDaSU_SV_EUlSU_E_NS1_11comp_targetILNS1_3genE0ELNS1_11target_archE4294967295ELNS1_3gpuE0ELNS1_3repE0EEENS1_30default_config_static_selectorELNS0_4arch9wavefront6targetE1EEEvT1_
    .private_segment_fixed_size: 0
    .sgpr_count:     6
    .sgpr_spill_count: 0
    .symbol:         _ZN7rocprim17ROCPRIM_400000_NS6detail17trampoline_kernelINS0_14default_configENS1_27scan_by_key_config_selectorIxxEEZZNS1_16scan_by_key_implILNS1_25lookback_scan_determinismE0ELb1ES3_N6thrust23THRUST_200600_302600_NS6detail15normal_iteratorINS9_10device_ptrIxEEEESE_SE_xNS9_4plusIvEENS9_8equal_toIvEExEE10hipError_tPvRmT2_T3_T4_T5_mT6_T7_P12ihipStream_tbENKUlT_T0_E_clISt17integral_constantIbLb1EESY_IbLb0EEEEDaSU_SV_EUlSU_E_NS1_11comp_targetILNS1_3genE0ELNS1_11target_archE4294967295ELNS1_3gpuE0ELNS1_3repE0EEENS1_30default_config_static_selectorELNS0_4arch9wavefront6targetE1EEEvT1_.kd
    .uniform_work_group_size: 1
    .uses_dynamic_stack: false
    .vgpr_count:     0
    .vgpr_spill_count: 0
    .wavefront_size: 64
  - .agpr_count:     0
    .args:
      - .offset:         0
        .size:           136
        .value_kind:     by_value
    .group_segment_fixed_size: 0
    .kernarg_segment_align: 8
    .kernarg_segment_size: 136
    .language:       OpenCL C
    .language_version:
      - 2
      - 0
    .max_flat_workgroup_size: 256
    .name:           _ZN7rocprim17ROCPRIM_400000_NS6detail17trampoline_kernelINS0_14default_configENS1_27scan_by_key_config_selectorIxxEEZZNS1_16scan_by_key_implILNS1_25lookback_scan_determinismE0ELb1ES3_N6thrust23THRUST_200600_302600_NS6detail15normal_iteratorINS9_10device_ptrIxEEEESE_SE_xNS9_4plusIvEENS9_8equal_toIvEExEE10hipError_tPvRmT2_T3_T4_T5_mT6_T7_P12ihipStream_tbENKUlT_T0_E_clISt17integral_constantIbLb1EESY_IbLb0EEEEDaSU_SV_EUlSU_E_NS1_11comp_targetILNS1_3genE10ELNS1_11target_archE1201ELNS1_3gpuE5ELNS1_3repE0EEENS1_30default_config_static_selectorELNS0_4arch9wavefront6targetE1EEEvT1_
    .private_segment_fixed_size: 0
    .sgpr_count:     6
    .sgpr_spill_count: 0
    .symbol:         _ZN7rocprim17ROCPRIM_400000_NS6detail17trampoline_kernelINS0_14default_configENS1_27scan_by_key_config_selectorIxxEEZZNS1_16scan_by_key_implILNS1_25lookback_scan_determinismE0ELb1ES3_N6thrust23THRUST_200600_302600_NS6detail15normal_iteratorINS9_10device_ptrIxEEEESE_SE_xNS9_4plusIvEENS9_8equal_toIvEExEE10hipError_tPvRmT2_T3_T4_T5_mT6_T7_P12ihipStream_tbENKUlT_T0_E_clISt17integral_constantIbLb1EESY_IbLb0EEEEDaSU_SV_EUlSU_E_NS1_11comp_targetILNS1_3genE10ELNS1_11target_archE1201ELNS1_3gpuE5ELNS1_3repE0EEENS1_30default_config_static_selectorELNS0_4arch9wavefront6targetE1EEEvT1_.kd
    .uniform_work_group_size: 1
    .uses_dynamic_stack: false
    .vgpr_count:     0
    .vgpr_spill_count: 0
    .wavefront_size: 64
  - .agpr_count:     0
    .args:
      - .offset:         0
        .size:           136
        .value_kind:     by_value
    .group_segment_fixed_size: 32768
    .kernarg_segment_align: 8
    .kernarg_segment_size: 136
    .language:       OpenCL C
    .language_version:
      - 2
      - 0
    .max_flat_workgroup_size: 256
    .name:           _ZN7rocprim17ROCPRIM_400000_NS6detail17trampoline_kernelINS0_14default_configENS1_27scan_by_key_config_selectorIxxEEZZNS1_16scan_by_key_implILNS1_25lookback_scan_determinismE0ELb1ES3_N6thrust23THRUST_200600_302600_NS6detail15normal_iteratorINS9_10device_ptrIxEEEESE_SE_xNS9_4plusIvEENS9_8equal_toIvEExEE10hipError_tPvRmT2_T3_T4_T5_mT6_T7_P12ihipStream_tbENKUlT_T0_E_clISt17integral_constantIbLb1EESY_IbLb0EEEEDaSU_SV_EUlSU_E_NS1_11comp_targetILNS1_3genE5ELNS1_11target_archE942ELNS1_3gpuE9ELNS1_3repE0EEENS1_30default_config_static_selectorELNS0_4arch9wavefront6targetE1EEEvT1_
    .private_segment_fixed_size: 0
    .sgpr_count:     70
    .sgpr_spill_count: 0
    .symbol:         _ZN7rocprim17ROCPRIM_400000_NS6detail17trampoline_kernelINS0_14default_configENS1_27scan_by_key_config_selectorIxxEEZZNS1_16scan_by_key_implILNS1_25lookback_scan_determinismE0ELb1ES3_N6thrust23THRUST_200600_302600_NS6detail15normal_iteratorINS9_10device_ptrIxEEEESE_SE_xNS9_4plusIvEENS9_8equal_toIvEExEE10hipError_tPvRmT2_T3_T4_T5_mT6_T7_P12ihipStream_tbENKUlT_T0_E_clISt17integral_constantIbLb1EESY_IbLb0EEEEDaSU_SV_EUlSU_E_NS1_11comp_targetILNS1_3genE5ELNS1_11target_archE942ELNS1_3gpuE9ELNS1_3repE0EEENS1_30default_config_static_selectorELNS0_4arch9wavefront6targetE1EEEvT1_.kd
    .uniform_work_group_size: 1
    .uses_dynamic_stack: false
    .vgpr_count:     85
    .vgpr_spill_count: 0
    .wavefront_size: 64
  - .agpr_count:     0
    .args:
      - .offset:         0
        .size:           136
        .value_kind:     by_value
    .group_segment_fixed_size: 0
    .kernarg_segment_align: 8
    .kernarg_segment_size: 136
    .language:       OpenCL C
    .language_version:
      - 2
      - 0
    .max_flat_workgroup_size: 64
    .name:           _ZN7rocprim17ROCPRIM_400000_NS6detail17trampoline_kernelINS0_14default_configENS1_27scan_by_key_config_selectorIxxEEZZNS1_16scan_by_key_implILNS1_25lookback_scan_determinismE0ELb1ES3_N6thrust23THRUST_200600_302600_NS6detail15normal_iteratorINS9_10device_ptrIxEEEESE_SE_xNS9_4plusIvEENS9_8equal_toIvEExEE10hipError_tPvRmT2_T3_T4_T5_mT6_T7_P12ihipStream_tbENKUlT_T0_E_clISt17integral_constantIbLb1EESY_IbLb0EEEEDaSU_SV_EUlSU_E_NS1_11comp_targetILNS1_3genE4ELNS1_11target_archE910ELNS1_3gpuE8ELNS1_3repE0EEENS1_30default_config_static_selectorELNS0_4arch9wavefront6targetE1EEEvT1_
    .private_segment_fixed_size: 0
    .sgpr_count:     6
    .sgpr_spill_count: 0
    .symbol:         _ZN7rocprim17ROCPRIM_400000_NS6detail17trampoline_kernelINS0_14default_configENS1_27scan_by_key_config_selectorIxxEEZZNS1_16scan_by_key_implILNS1_25lookback_scan_determinismE0ELb1ES3_N6thrust23THRUST_200600_302600_NS6detail15normal_iteratorINS9_10device_ptrIxEEEESE_SE_xNS9_4plusIvEENS9_8equal_toIvEExEE10hipError_tPvRmT2_T3_T4_T5_mT6_T7_P12ihipStream_tbENKUlT_T0_E_clISt17integral_constantIbLb1EESY_IbLb0EEEEDaSU_SV_EUlSU_E_NS1_11comp_targetILNS1_3genE4ELNS1_11target_archE910ELNS1_3gpuE8ELNS1_3repE0EEENS1_30default_config_static_selectorELNS0_4arch9wavefront6targetE1EEEvT1_.kd
    .uniform_work_group_size: 1
    .uses_dynamic_stack: false
    .vgpr_count:     0
    .vgpr_spill_count: 0
    .wavefront_size: 64
  - .agpr_count:     0
    .args:
      - .offset:         0
        .size:           136
        .value_kind:     by_value
    .group_segment_fixed_size: 0
    .kernarg_segment_align: 8
    .kernarg_segment_size: 136
    .language:       OpenCL C
    .language_version:
      - 2
      - 0
    .max_flat_workgroup_size: 256
    .name:           _ZN7rocprim17ROCPRIM_400000_NS6detail17trampoline_kernelINS0_14default_configENS1_27scan_by_key_config_selectorIxxEEZZNS1_16scan_by_key_implILNS1_25lookback_scan_determinismE0ELb1ES3_N6thrust23THRUST_200600_302600_NS6detail15normal_iteratorINS9_10device_ptrIxEEEESE_SE_xNS9_4plusIvEENS9_8equal_toIvEExEE10hipError_tPvRmT2_T3_T4_T5_mT6_T7_P12ihipStream_tbENKUlT_T0_E_clISt17integral_constantIbLb1EESY_IbLb0EEEEDaSU_SV_EUlSU_E_NS1_11comp_targetILNS1_3genE3ELNS1_11target_archE908ELNS1_3gpuE7ELNS1_3repE0EEENS1_30default_config_static_selectorELNS0_4arch9wavefront6targetE1EEEvT1_
    .private_segment_fixed_size: 0
    .sgpr_count:     6
    .sgpr_spill_count: 0
    .symbol:         _ZN7rocprim17ROCPRIM_400000_NS6detail17trampoline_kernelINS0_14default_configENS1_27scan_by_key_config_selectorIxxEEZZNS1_16scan_by_key_implILNS1_25lookback_scan_determinismE0ELb1ES3_N6thrust23THRUST_200600_302600_NS6detail15normal_iteratorINS9_10device_ptrIxEEEESE_SE_xNS9_4plusIvEENS9_8equal_toIvEExEE10hipError_tPvRmT2_T3_T4_T5_mT6_T7_P12ihipStream_tbENKUlT_T0_E_clISt17integral_constantIbLb1EESY_IbLb0EEEEDaSU_SV_EUlSU_E_NS1_11comp_targetILNS1_3genE3ELNS1_11target_archE908ELNS1_3gpuE7ELNS1_3repE0EEENS1_30default_config_static_selectorELNS0_4arch9wavefront6targetE1EEEvT1_.kd
    .uniform_work_group_size: 1
    .uses_dynamic_stack: false
    .vgpr_count:     0
    .vgpr_spill_count: 0
    .wavefront_size: 64
  - .agpr_count:     0
    .args:
      - .offset:         0
        .size:           136
        .value_kind:     by_value
    .group_segment_fixed_size: 0
    .kernarg_segment_align: 8
    .kernarg_segment_size: 136
    .language:       OpenCL C
    .language_version:
      - 2
      - 0
    .max_flat_workgroup_size: 256
    .name:           _ZN7rocprim17ROCPRIM_400000_NS6detail17trampoline_kernelINS0_14default_configENS1_27scan_by_key_config_selectorIxxEEZZNS1_16scan_by_key_implILNS1_25lookback_scan_determinismE0ELb1ES3_N6thrust23THRUST_200600_302600_NS6detail15normal_iteratorINS9_10device_ptrIxEEEESE_SE_xNS9_4plusIvEENS9_8equal_toIvEExEE10hipError_tPvRmT2_T3_T4_T5_mT6_T7_P12ihipStream_tbENKUlT_T0_E_clISt17integral_constantIbLb1EESY_IbLb0EEEEDaSU_SV_EUlSU_E_NS1_11comp_targetILNS1_3genE2ELNS1_11target_archE906ELNS1_3gpuE6ELNS1_3repE0EEENS1_30default_config_static_selectorELNS0_4arch9wavefront6targetE1EEEvT1_
    .private_segment_fixed_size: 0
    .sgpr_count:     6
    .sgpr_spill_count: 0
    .symbol:         _ZN7rocprim17ROCPRIM_400000_NS6detail17trampoline_kernelINS0_14default_configENS1_27scan_by_key_config_selectorIxxEEZZNS1_16scan_by_key_implILNS1_25lookback_scan_determinismE0ELb1ES3_N6thrust23THRUST_200600_302600_NS6detail15normal_iteratorINS9_10device_ptrIxEEEESE_SE_xNS9_4plusIvEENS9_8equal_toIvEExEE10hipError_tPvRmT2_T3_T4_T5_mT6_T7_P12ihipStream_tbENKUlT_T0_E_clISt17integral_constantIbLb1EESY_IbLb0EEEEDaSU_SV_EUlSU_E_NS1_11comp_targetILNS1_3genE2ELNS1_11target_archE906ELNS1_3gpuE6ELNS1_3repE0EEENS1_30default_config_static_selectorELNS0_4arch9wavefront6targetE1EEEvT1_.kd
    .uniform_work_group_size: 1
    .uses_dynamic_stack: false
    .vgpr_count:     0
    .vgpr_spill_count: 0
    .wavefront_size: 64
  - .agpr_count:     0
    .args:
      - .offset:         0
        .size:           136
        .value_kind:     by_value
    .group_segment_fixed_size: 0
    .kernarg_segment_align: 8
    .kernarg_segment_size: 136
    .language:       OpenCL C
    .language_version:
      - 2
      - 0
    .max_flat_workgroup_size: 256
    .name:           _ZN7rocprim17ROCPRIM_400000_NS6detail17trampoline_kernelINS0_14default_configENS1_27scan_by_key_config_selectorIxxEEZZNS1_16scan_by_key_implILNS1_25lookback_scan_determinismE0ELb1ES3_N6thrust23THRUST_200600_302600_NS6detail15normal_iteratorINS9_10device_ptrIxEEEESE_SE_xNS9_4plusIvEENS9_8equal_toIvEExEE10hipError_tPvRmT2_T3_T4_T5_mT6_T7_P12ihipStream_tbENKUlT_T0_E_clISt17integral_constantIbLb1EESY_IbLb0EEEEDaSU_SV_EUlSU_E_NS1_11comp_targetILNS1_3genE10ELNS1_11target_archE1200ELNS1_3gpuE4ELNS1_3repE0EEENS1_30default_config_static_selectorELNS0_4arch9wavefront6targetE1EEEvT1_
    .private_segment_fixed_size: 0
    .sgpr_count:     6
    .sgpr_spill_count: 0
    .symbol:         _ZN7rocprim17ROCPRIM_400000_NS6detail17trampoline_kernelINS0_14default_configENS1_27scan_by_key_config_selectorIxxEEZZNS1_16scan_by_key_implILNS1_25lookback_scan_determinismE0ELb1ES3_N6thrust23THRUST_200600_302600_NS6detail15normal_iteratorINS9_10device_ptrIxEEEESE_SE_xNS9_4plusIvEENS9_8equal_toIvEExEE10hipError_tPvRmT2_T3_T4_T5_mT6_T7_P12ihipStream_tbENKUlT_T0_E_clISt17integral_constantIbLb1EESY_IbLb0EEEEDaSU_SV_EUlSU_E_NS1_11comp_targetILNS1_3genE10ELNS1_11target_archE1200ELNS1_3gpuE4ELNS1_3repE0EEENS1_30default_config_static_selectorELNS0_4arch9wavefront6targetE1EEEvT1_.kd
    .uniform_work_group_size: 1
    .uses_dynamic_stack: false
    .vgpr_count:     0
    .vgpr_spill_count: 0
    .wavefront_size: 64
  - .agpr_count:     0
    .args:
      - .offset:         0
        .size:           136
        .value_kind:     by_value
    .group_segment_fixed_size: 0
    .kernarg_segment_align: 8
    .kernarg_segment_size: 136
    .language:       OpenCL C
    .language_version:
      - 2
      - 0
    .max_flat_workgroup_size: 256
    .name:           _ZN7rocprim17ROCPRIM_400000_NS6detail17trampoline_kernelINS0_14default_configENS1_27scan_by_key_config_selectorIxxEEZZNS1_16scan_by_key_implILNS1_25lookback_scan_determinismE0ELb1ES3_N6thrust23THRUST_200600_302600_NS6detail15normal_iteratorINS9_10device_ptrIxEEEESE_SE_xNS9_4plusIvEENS9_8equal_toIvEExEE10hipError_tPvRmT2_T3_T4_T5_mT6_T7_P12ihipStream_tbENKUlT_T0_E_clISt17integral_constantIbLb1EESY_IbLb0EEEEDaSU_SV_EUlSU_E_NS1_11comp_targetILNS1_3genE9ELNS1_11target_archE1100ELNS1_3gpuE3ELNS1_3repE0EEENS1_30default_config_static_selectorELNS0_4arch9wavefront6targetE1EEEvT1_
    .private_segment_fixed_size: 0
    .sgpr_count:     6
    .sgpr_spill_count: 0
    .symbol:         _ZN7rocprim17ROCPRIM_400000_NS6detail17trampoline_kernelINS0_14default_configENS1_27scan_by_key_config_selectorIxxEEZZNS1_16scan_by_key_implILNS1_25lookback_scan_determinismE0ELb1ES3_N6thrust23THRUST_200600_302600_NS6detail15normal_iteratorINS9_10device_ptrIxEEEESE_SE_xNS9_4plusIvEENS9_8equal_toIvEExEE10hipError_tPvRmT2_T3_T4_T5_mT6_T7_P12ihipStream_tbENKUlT_T0_E_clISt17integral_constantIbLb1EESY_IbLb0EEEEDaSU_SV_EUlSU_E_NS1_11comp_targetILNS1_3genE9ELNS1_11target_archE1100ELNS1_3gpuE3ELNS1_3repE0EEENS1_30default_config_static_selectorELNS0_4arch9wavefront6targetE1EEEvT1_.kd
    .uniform_work_group_size: 1
    .uses_dynamic_stack: false
    .vgpr_count:     0
    .vgpr_spill_count: 0
    .wavefront_size: 64
  - .agpr_count:     0
    .args:
      - .offset:         0
        .size:           136
        .value_kind:     by_value
    .group_segment_fixed_size: 0
    .kernarg_segment_align: 8
    .kernarg_segment_size: 136
    .language:       OpenCL C
    .language_version:
      - 2
      - 0
    .max_flat_workgroup_size: 256
    .name:           _ZN7rocprim17ROCPRIM_400000_NS6detail17trampoline_kernelINS0_14default_configENS1_27scan_by_key_config_selectorIxxEEZZNS1_16scan_by_key_implILNS1_25lookback_scan_determinismE0ELb1ES3_N6thrust23THRUST_200600_302600_NS6detail15normal_iteratorINS9_10device_ptrIxEEEESE_SE_xNS9_4plusIvEENS9_8equal_toIvEExEE10hipError_tPvRmT2_T3_T4_T5_mT6_T7_P12ihipStream_tbENKUlT_T0_E_clISt17integral_constantIbLb1EESY_IbLb0EEEEDaSU_SV_EUlSU_E_NS1_11comp_targetILNS1_3genE8ELNS1_11target_archE1030ELNS1_3gpuE2ELNS1_3repE0EEENS1_30default_config_static_selectorELNS0_4arch9wavefront6targetE1EEEvT1_
    .private_segment_fixed_size: 0
    .sgpr_count:     6
    .sgpr_spill_count: 0
    .symbol:         _ZN7rocprim17ROCPRIM_400000_NS6detail17trampoline_kernelINS0_14default_configENS1_27scan_by_key_config_selectorIxxEEZZNS1_16scan_by_key_implILNS1_25lookback_scan_determinismE0ELb1ES3_N6thrust23THRUST_200600_302600_NS6detail15normal_iteratorINS9_10device_ptrIxEEEESE_SE_xNS9_4plusIvEENS9_8equal_toIvEExEE10hipError_tPvRmT2_T3_T4_T5_mT6_T7_P12ihipStream_tbENKUlT_T0_E_clISt17integral_constantIbLb1EESY_IbLb0EEEEDaSU_SV_EUlSU_E_NS1_11comp_targetILNS1_3genE8ELNS1_11target_archE1030ELNS1_3gpuE2ELNS1_3repE0EEENS1_30default_config_static_selectorELNS0_4arch9wavefront6targetE1EEEvT1_.kd
    .uniform_work_group_size: 1
    .uses_dynamic_stack: false
    .vgpr_count:     0
    .vgpr_spill_count: 0
    .wavefront_size: 64
  - .agpr_count:     0
    .args:
      - .offset:         0
        .size:           136
        .value_kind:     by_value
    .group_segment_fixed_size: 0
    .kernarg_segment_align: 8
    .kernarg_segment_size: 136
    .language:       OpenCL C
    .language_version:
      - 2
      - 0
    .max_flat_workgroup_size: 256
    .name:           _ZN7rocprim17ROCPRIM_400000_NS6detail17trampoline_kernelINS0_14default_configENS1_27scan_by_key_config_selectorIxxEEZZNS1_16scan_by_key_implILNS1_25lookback_scan_determinismE0ELb1ES3_N6thrust23THRUST_200600_302600_NS6detail15normal_iteratorINS9_10device_ptrIxEEEESE_SE_xNS9_4plusIvEENS9_8equal_toIvEExEE10hipError_tPvRmT2_T3_T4_T5_mT6_T7_P12ihipStream_tbENKUlT_T0_E_clISt17integral_constantIbLb0EESY_IbLb1EEEEDaSU_SV_EUlSU_E_NS1_11comp_targetILNS1_3genE0ELNS1_11target_archE4294967295ELNS1_3gpuE0ELNS1_3repE0EEENS1_30default_config_static_selectorELNS0_4arch9wavefront6targetE1EEEvT1_
    .private_segment_fixed_size: 0
    .sgpr_count:     6
    .sgpr_spill_count: 0
    .symbol:         _ZN7rocprim17ROCPRIM_400000_NS6detail17trampoline_kernelINS0_14default_configENS1_27scan_by_key_config_selectorIxxEEZZNS1_16scan_by_key_implILNS1_25lookback_scan_determinismE0ELb1ES3_N6thrust23THRUST_200600_302600_NS6detail15normal_iteratorINS9_10device_ptrIxEEEESE_SE_xNS9_4plusIvEENS9_8equal_toIvEExEE10hipError_tPvRmT2_T3_T4_T5_mT6_T7_P12ihipStream_tbENKUlT_T0_E_clISt17integral_constantIbLb0EESY_IbLb1EEEEDaSU_SV_EUlSU_E_NS1_11comp_targetILNS1_3genE0ELNS1_11target_archE4294967295ELNS1_3gpuE0ELNS1_3repE0EEENS1_30default_config_static_selectorELNS0_4arch9wavefront6targetE1EEEvT1_.kd
    .uniform_work_group_size: 1
    .uses_dynamic_stack: false
    .vgpr_count:     0
    .vgpr_spill_count: 0
    .wavefront_size: 64
  - .agpr_count:     0
    .args:
      - .offset:         0
        .size:           136
        .value_kind:     by_value
    .group_segment_fixed_size: 0
    .kernarg_segment_align: 8
    .kernarg_segment_size: 136
    .language:       OpenCL C
    .language_version:
      - 2
      - 0
    .max_flat_workgroup_size: 256
    .name:           _ZN7rocprim17ROCPRIM_400000_NS6detail17trampoline_kernelINS0_14default_configENS1_27scan_by_key_config_selectorIxxEEZZNS1_16scan_by_key_implILNS1_25lookback_scan_determinismE0ELb1ES3_N6thrust23THRUST_200600_302600_NS6detail15normal_iteratorINS9_10device_ptrIxEEEESE_SE_xNS9_4plusIvEENS9_8equal_toIvEExEE10hipError_tPvRmT2_T3_T4_T5_mT6_T7_P12ihipStream_tbENKUlT_T0_E_clISt17integral_constantIbLb0EESY_IbLb1EEEEDaSU_SV_EUlSU_E_NS1_11comp_targetILNS1_3genE10ELNS1_11target_archE1201ELNS1_3gpuE5ELNS1_3repE0EEENS1_30default_config_static_selectorELNS0_4arch9wavefront6targetE1EEEvT1_
    .private_segment_fixed_size: 0
    .sgpr_count:     6
    .sgpr_spill_count: 0
    .symbol:         _ZN7rocprim17ROCPRIM_400000_NS6detail17trampoline_kernelINS0_14default_configENS1_27scan_by_key_config_selectorIxxEEZZNS1_16scan_by_key_implILNS1_25lookback_scan_determinismE0ELb1ES3_N6thrust23THRUST_200600_302600_NS6detail15normal_iteratorINS9_10device_ptrIxEEEESE_SE_xNS9_4plusIvEENS9_8equal_toIvEExEE10hipError_tPvRmT2_T3_T4_T5_mT6_T7_P12ihipStream_tbENKUlT_T0_E_clISt17integral_constantIbLb0EESY_IbLb1EEEEDaSU_SV_EUlSU_E_NS1_11comp_targetILNS1_3genE10ELNS1_11target_archE1201ELNS1_3gpuE5ELNS1_3repE0EEENS1_30default_config_static_selectorELNS0_4arch9wavefront6targetE1EEEvT1_.kd
    .uniform_work_group_size: 1
    .uses_dynamic_stack: false
    .vgpr_count:     0
    .vgpr_spill_count: 0
    .wavefront_size: 64
  - .agpr_count:     0
    .args:
      - .offset:         0
        .size:           136
        .value_kind:     by_value
    .group_segment_fixed_size: 32768
    .kernarg_segment_align: 8
    .kernarg_segment_size: 136
    .language:       OpenCL C
    .language_version:
      - 2
      - 0
    .max_flat_workgroup_size: 256
    .name:           _ZN7rocprim17ROCPRIM_400000_NS6detail17trampoline_kernelINS0_14default_configENS1_27scan_by_key_config_selectorIxxEEZZNS1_16scan_by_key_implILNS1_25lookback_scan_determinismE0ELb1ES3_N6thrust23THRUST_200600_302600_NS6detail15normal_iteratorINS9_10device_ptrIxEEEESE_SE_xNS9_4plusIvEENS9_8equal_toIvEExEE10hipError_tPvRmT2_T3_T4_T5_mT6_T7_P12ihipStream_tbENKUlT_T0_E_clISt17integral_constantIbLb0EESY_IbLb1EEEEDaSU_SV_EUlSU_E_NS1_11comp_targetILNS1_3genE5ELNS1_11target_archE942ELNS1_3gpuE9ELNS1_3repE0EEENS1_30default_config_static_selectorELNS0_4arch9wavefront6targetE1EEEvT1_
    .private_segment_fixed_size: 0
    .sgpr_count:     66
    .sgpr_spill_count: 0
    .symbol:         _ZN7rocprim17ROCPRIM_400000_NS6detail17trampoline_kernelINS0_14default_configENS1_27scan_by_key_config_selectorIxxEEZZNS1_16scan_by_key_implILNS1_25lookback_scan_determinismE0ELb1ES3_N6thrust23THRUST_200600_302600_NS6detail15normal_iteratorINS9_10device_ptrIxEEEESE_SE_xNS9_4plusIvEENS9_8equal_toIvEExEE10hipError_tPvRmT2_T3_T4_T5_mT6_T7_P12ihipStream_tbENKUlT_T0_E_clISt17integral_constantIbLb0EESY_IbLb1EEEEDaSU_SV_EUlSU_E_NS1_11comp_targetILNS1_3genE5ELNS1_11target_archE942ELNS1_3gpuE9ELNS1_3repE0EEENS1_30default_config_static_selectorELNS0_4arch9wavefront6targetE1EEEvT1_.kd
    .uniform_work_group_size: 1
    .uses_dynamic_stack: false
    .vgpr_count:     87
    .vgpr_spill_count: 0
    .wavefront_size: 64
  - .agpr_count:     0
    .args:
      - .offset:         0
        .size:           136
        .value_kind:     by_value
    .group_segment_fixed_size: 0
    .kernarg_segment_align: 8
    .kernarg_segment_size: 136
    .language:       OpenCL C
    .language_version:
      - 2
      - 0
    .max_flat_workgroup_size: 64
    .name:           _ZN7rocprim17ROCPRIM_400000_NS6detail17trampoline_kernelINS0_14default_configENS1_27scan_by_key_config_selectorIxxEEZZNS1_16scan_by_key_implILNS1_25lookback_scan_determinismE0ELb1ES3_N6thrust23THRUST_200600_302600_NS6detail15normal_iteratorINS9_10device_ptrIxEEEESE_SE_xNS9_4plusIvEENS9_8equal_toIvEExEE10hipError_tPvRmT2_T3_T4_T5_mT6_T7_P12ihipStream_tbENKUlT_T0_E_clISt17integral_constantIbLb0EESY_IbLb1EEEEDaSU_SV_EUlSU_E_NS1_11comp_targetILNS1_3genE4ELNS1_11target_archE910ELNS1_3gpuE8ELNS1_3repE0EEENS1_30default_config_static_selectorELNS0_4arch9wavefront6targetE1EEEvT1_
    .private_segment_fixed_size: 0
    .sgpr_count:     6
    .sgpr_spill_count: 0
    .symbol:         _ZN7rocprim17ROCPRIM_400000_NS6detail17trampoline_kernelINS0_14default_configENS1_27scan_by_key_config_selectorIxxEEZZNS1_16scan_by_key_implILNS1_25lookback_scan_determinismE0ELb1ES3_N6thrust23THRUST_200600_302600_NS6detail15normal_iteratorINS9_10device_ptrIxEEEESE_SE_xNS9_4plusIvEENS9_8equal_toIvEExEE10hipError_tPvRmT2_T3_T4_T5_mT6_T7_P12ihipStream_tbENKUlT_T0_E_clISt17integral_constantIbLb0EESY_IbLb1EEEEDaSU_SV_EUlSU_E_NS1_11comp_targetILNS1_3genE4ELNS1_11target_archE910ELNS1_3gpuE8ELNS1_3repE0EEENS1_30default_config_static_selectorELNS0_4arch9wavefront6targetE1EEEvT1_.kd
    .uniform_work_group_size: 1
    .uses_dynamic_stack: false
    .vgpr_count:     0
    .vgpr_spill_count: 0
    .wavefront_size: 64
  - .agpr_count:     0
    .args:
      - .offset:         0
        .size:           136
        .value_kind:     by_value
    .group_segment_fixed_size: 0
    .kernarg_segment_align: 8
    .kernarg_segment_size: 136
    .language:       OpenCL C
    .language_version:
      - 2
      - 0
    .max_flat_workgroup_size: 256
    .name:           _ZN7rocprim17ROCPRIM_400000_NS6detail17trampoline_kernelINS0_14default_configENS1_27scan_by_key_config_selectorIxxEEZZNS1_16scan_by_key_implILNS1_25lookback_scan_determinismE0ELb1ES3_N6thrust23THRUST_200600_302600_NS6detail15normal_iteratorINS9_10device_ptrIxEEEESE_SE_xNS9_4plusIvEENS9_8equal_toIvEExEE10hipError_tPvRmT2_T3_T4_T5_mT6_T7_P12ihipStream_tbENKUlT_T0_E_clISt17integral_constantIbLb0EESY_IbLb1EEEEDaSU_SV_EUlSU_E_NS1_11comp_targetILNS1_3genE3ELNS1_11target_archE908ELNS1_3gpuE7ELNS1_3repE0EEENS1_30default_config_static_selectorELNS0_4arch9wavefront6targetE1EEEvT1_
    .private_segment_fixed_size: 0
    .sgpr_count:     6
    .sgpr_spill_count: 0
    .symbol:         _ZN7rocprim17ROCPRIM_400000_NS6detail17trampoline_kernelINS0_14default_configENS1_27scan_by_key_config_selectorIxxEEZZNS1_16scan_by_key_implILNS1_25lookback_scan_determinismE0ELb1ES3_N6thrust23THRUST_200600_302600_NS6detail15normal_iteratorINS9_10device_ptrIxEEEESE_SE_xNS9_4plusIvEENS9_8equal_toIvEExEE10hipError_tPvRmT2_T3_T4_T5_mT6_T7_P12ihipStream_tbENKUlT_T0_E_clISt17integral_constantIbLb0EESY_IbLb1EEEEDaSU_SV_EUlSU_E_NS1_11comp_targetILNS1_3genE3ELNS1_11target_archE908ELNS1_3gpuE7ELNS1_3repE0EEENS1_30default_config_static_selectorELNS0_4arch9wavefront6targetE1EEEvT1_.kd
    .uniform_work_group_size: 1
    .uses_dynamic_stack: false
    .vgpr_count:     0
    .vgpr_spill_count: 0
    .wavefront_size: 64
  - .agpr_count:     0
    .args:
      - .offset:         0
        .size:           136
        .value_kind:     by_value
    .group_segment_fixed_size: 0
    .kernarg_segment_align: 8
    .kernarg_segment_size: 136
    .language:       OpenCL C
    .language_version:
      - 2
      - 0
    .max_flat_workgroup_size: 256
    .name:           _ZN7rocprim17ROCPRIM_400000_NS6detail17trampoline_kernelINS0_14default_configENS1_27scan_by_key_config_selectorIxxEEZZNS1_16scan_by_key_implILNS1_25lookback_scan_determinismE0ELb1ES3_N6thrust23THRUST_200600_302600_NS6detail15normal_iteratorINS9_10device_ptrIxEEEESE_SE_xNS9_4plusIvEENS9_8equal_toIvEExEE10hipError_tPvRmT2_T3_T4_T5_mT6_T7_P12ihipStream_tbENKUlT_T0_E_clISt17integral_constantIbLb0EESY_IbLb1EEEEDaSU_SV_EUlSU_E_NS1_11comp_targetILNS1_3genE2ELNS1_11target_archE906ELNS1_3gpuE6ELNS1_3repE0EEENS1_30default_config_static_selectorELNS0_4arch9wavefront6targetE1EEEvT1_
    .private_segment_fixed_size: 0
    .sgpr_count:     6
    .sgpr_spill_count: 0
    .symbol:         _ZN7rocprim17ROCPRIM_400000_NS6detail17trampoline_kernelINS0_14default_configENS1_27scan_by_key_config_selectorIxxEEZZNS1_16scan_by_key_implILNS1_25lookback_scan_determinismE0ELb1ES3_N6thrust23THRUST_200600_302600_NS6detail15normal_iteratorINS9_10device_ptrIxEEEESE_SE_xNS9_4plusIvEENS9_8equal_toIvEExEE10hipError_tPvRmT2_T3_T4_T5_mT6_T7_P12ihipStream_tbENKUlT_T0_E_clISt17integral_constantIbLb0EESY_IbLb1EEEEDaSU_SV_EUlSU_E_NS1_11comp_targetILNS1_3genE2ELNS1_11target_archE906ELNS1_3gpuE6ELNS1_3repE0EEENS1_30default_config_static_selectorELNS0_4arch9wavefront6targetE1EEEvT1_.kd
    .uniform_work_group_size: 1
    .uses_dynamic_stack: false
    .vgpr_count:     0
    .vgpr_spill_count: 0
    .wavefront_size: 64
  - .agpr_count:     0
    .args:
      - .offset:         0
        .size:           136
        .value_kind:     by_value
    .group_segment_fixed_size: 0
    .kernarg_segment_align: 8
    .kernarg_segment_size: 136
    .language:       OpenCL C
    .language_version:
      - 2
      - 0
    .max_flat_workgroup_size: 256
    .name:           _ZN7rocprim17ROCPRIM_400000_NS6detail17trampoline_kernelINS0_14default_configENS1_27scan_by_key_config_selectorIxxEEZZNS1_16scan_by_key_implILNS1_25lookback_scan_determinismE0ELb1ES3_N6thrust23THRUST_200600_302600_NS6detail15normal_iteratorINS9_10device_ptrIxEEEESE_SE_xNS9_4plusIvEENS9_8equal_toIvEExEE10hipError_tPvRmT2_T3_T4_T5_mT6_T7_P12ihipStream_tbENKUlT_T0_E_clISt17integral_constantIbLb0EESY_IbLb1EEEEDaSU_SV_EUlSU_E_NS1_11comp_targetILNS1_3genE10ELNS1_11target_archE1200ELNS1_3gpuE4ELNS1_3repE0EEENS1_30default_config_static_selectorELNS0_4arch9wavefront6targetE1EEEvT1_
    .private_segment_fixed_size: 0
    .sgpr_count:     6
    .sgpr_spill_count: 0
    .symbol:         _ZN7rocprim17ROCPRIM_400000_NS6detail17trampoline_kernelINS0_14default_configENS1_27scan_by_key_config_selectorIxxEEZZNS1_16scan_by_key_implILNS1_25lookback_scan_determinismE0ELb1ES3_N6thrust23THRUST_200600_302600_NS6detail15normal_iteratorINS9_10device_ptrIxEEEESE_SE_xNS9_4plusIvEENS9_8equal_toIvEExEE10hipError_tPvRmT2_T3_T4_T5_mT6_T7_P12ihipStream_tbENKUlT_T0_E_clISt17integral_constantIbLb0EESY_IbLb1EEEEDaSU_SV_EUlSU_E_NS1_11comp_targetILNS1_3genE10ELNS1_11target_archE1200ELNS1_3gpuE4ELNS1_3repE0EEENS1_30default_config_static_selectorELNS0_4arch9wavefront6targetE1EEEvT1_.kd
    .uniform_work_group_size: 1
    .uses_dynamic_stack: false
    .vgpr_count:     0
    .vgpr_spill_count: 0
    .wavefront_size: 64
  - .agpr_count:     0
    .args:
      - .offset:         0
        .size:           136
        .value_kind:     by_value
    .group_segment_fixed_size: 0
    .kernarg_segment_align: 8
    .kernarg_segment_size: 136
    .language:       OpenCL C
    .language_version:
      - 2
      - 0
    .max_flat_workgroup_size: 256
    .name:           _ZN7rocprim17ROCPRIM_400000_NS6detail17trampoline_kernelINS0_14default_configENS1_27scan_by_key_config_selectorIxxEEZZNS1_16scan_by_key_implILNS1_25lookback_scan_determinismE0ELb1ES3_N6thrust23THRUST_200600_302600_NS6detail15normal_iteratorINS9_10device_ptrIxEEEESE_SE_xNS9_4plusIvEENS9_8equal_toIvEExEE10hipError_tPvRmT2_T3_T4_T5_mT6_T7_P12ihipStream_tbENKUlT_T0_E_clISt17integral_constantIbLb0EESY_IbLb1EEEEDaSU_SV_EUlSU_E_NS1_11comp_targetILNS1_3genE9ELNS1_11target_archE1100ELNS1_3gpuE3ELNS1_3repE0EEENS1_30default_config_static_selectorELNS0_4arch9wavefront6targetE1EEEvT1_
    .private_segment_fixed_size: 0
    .sgpr_count:     6
    .sgpr_spill_count: 0
    .symbol:         _ZN7rocprim17ROCPRIM_400000_NS6detail17trampoline_kernelINS0_14default_configENS1_27scan_by_key_config_selectorIxxEEZZNS1_16scan_by_key_implILNS1_25lookback_scan_determinismE0ELb1ES3_N6thrust23THRUST_200600_302600_NS6detail15normal_iteratorINS9_10device_ptrIxEEEESE_SE_xNS9_4plusIvEENS9_8equal_toIvEExEE10hipError_tPvRmT2_T3_T4_T5_mT6_T7_P12ihipStream_tbENKUlT_T0_E_clISt17integral_constantIbLb0EESY_IbLb1EEEEDaSU_SV_EUlSU_E_NS1_11comp_targetILNS1_3genE9ELNS1_11target_archE1100ELNS1_3gpuE3ELNS1_3repE0EEENS1_30default_config_static_selectorELNS0_4arch9wavefront6targetE1EEEvT1_.kd
    .uniform_work_group_size: 1
    .uses_dynamic_stack: false
    .vgpr_count:     0
    .vgpr_spill_count: 0
    .wavefront_size: 64
  - .agpr_count:     0
    .args:
      - .offset:         0
        .size:           136
        .value_kind:     by_value
    .group_segment_fixed_size: 0
    .kernarg_segment_align: 8
    .kernarg_segment_size: 136
    .language:       OpenCL C
    .language_version:
      - 2
      - 0
    .max_flat_workgroup_size: 256
    .name:           _ZN7rocprim17ROCPRIM_400000_NS6detail17trampoline_kernelINS0_14default_configENS1_27scan_by_key_config_selectorIxxEEZZNS1_16scan_by_key_implILNS1_25lookback_scan_determinismE0ELb1ES3_N6thrust23THRUST_200600_302600_NS6detail15normal_iteratorINS9_10device_ptrIxEEEESE_SE_xNS9_4plusIvEENS9_8equal_toIvEExEE10hipError_tPvRmT2_T3_T4_T5_mT6_T7_P12ihipStream_tbENKUlT_T0_E_clISt17integral_constantIbLb0EESY_IbLb1EEEEDaSU_SV_EUlSU_E_NS1_11comp_targetILNS1_3genE8ELNS1_11target_archE1030ELNS1_3gpuE2ELNS1_3repE0EEENS1_30default_config_static_selectorELNS0_4arch9wavefront6targetE1EEEvT1_
    .private_segment_fixed_size: 0
    .sgpr_count:     6
    .sgpr_spill_count: 0
    .symbol:         _ZN7rocprim17ROCPRIM_400000_NS6detail17trampoline_kernelINS0_14default_configENS1_27scan_by_key_config_selectorIxxEEZZNS1_16scan_by_key_implILNS1_25lookback_scan_determinismE0ELb1ES3_N6thrust23THRUST_200600_302600_NS6detail15normal_iteratorINS9_10device_ptrIxEEEESE_SE_xNS9_4plusIvEENS9_8equal_toIvEExEE10hipError_tPvRmT2_T3_T4_T5_mT6_T7_P12ihipStream_tbENKUlT_T0_E_clISt17integral_constantIbLb0EESY_IbLb1EEEEDaSU_SV_EUlSU_E_NS1_11comp_targetILNS1_3genE8ELNS1_11target_archE1030ELNS1_3gpuE2ELNS1_3repE0EEENS1_30default_config_static_selectorELNS0_4arch9wavefront6targetE1EEEvT1_.kd
    .uniform_work_group_size: 1
    .uses_dynamic_stack: false
    .vgpr_count:     0
    .vgpr_spill_count: 0
    .wavefront_size: 64
  - .agpr_count:     0
    .args:
      - .offset:         0
        .size:           136
        .value_kind:     by_value
    .group_segment_fixed_size: 0
    .kernarg_segment_align: 8
    .kernarg_segment_size: 136
    .language:       OpenCL C
    .language_version:
      - 2
      - 0
    .max_flat_workgroup_size: 256
    .name:           _ZN7rocprim17ROCPRIM_400000_NS6detail17trampoline_kernelINS0_14default_configENS1_27scan_by_key_config_selectorIxxEEZZNS1_16scan_by_key_implILNS1_25lookback_scan_determinismE0ELb1ES3_N6thrust23THRUST_200600_302600_NS6detail15normal_iteratorINS9_10device_ptrIxEEEESE_SE_xNS9_10multipliesIxEENS9_8equal_toIxEExEE10hipError_tPvRmT2_T3_T4_T5_mT6_T7_P12ihipStream_tbENKUlT_T0_E_clISt17integral_constantIbLb0EESZ_EEDaSU_SV_EUlSU_E_NS1_11comp_targetILNS1_3genE0ELNS1_11target_archE4294967295ELNS1_3gpuE0ELNS1_3repE0EEENS1_30default_config_static_selectorELNS0_4arch9wavefront6targetE1EEEvT1_
    .private_segment_fixed_size: 0
    .sgpr_count:     6
    .sgpr_spill_count: 0
    .symbol:         _ZN7rocprim17ROCPRIM_400000_NS6detail17trampoline_kernelINS0_14default_configENS1_27scan_by_key_config_selectorIxxEEZZNS1_16scan_by_key_implILNS1_25lookback_scan_determinismE0ELb1ES3_N6thrust23THRUST_200600_302600_NS6detail15normal_iteratorINS9_10device_ptrIxEEEESE_SE_xNS9_10multipliesIxEENS9_8equal_toIxEExEE10hipError_tPvRmT2_T3_T4_T5_mT6_T7_P12ihipStream_tbENKUlT_T0_E_clISt17integral_constantIbLb0EESZ_EEDaSU_SV_EUlSU_E_NS1_11comp_targetILNS1_3genE0ELNS1_11target_archE4294967295ELNS1_3gpuE0ELNS1_3repE0EEENS1_30default_config_static_selectorELNS0_4arch9wavefront6targetE1EEEvT1_.kd
    .uniform_work_group_size: 1
    .uses_dynamic_stack: false
    .vgpr_count:     0
    .vgpr_spill_count: 0
    .wavefront_size: 64
  - .agpr_count:     0
    .args:
      - .offset:         0
        .size:           136
        .value_kind:     by_value
    .group_segment_fixed_size: 0
    .kernarg_segment_align: 8
    .kernarg_segment_size: 136
    .language:       OpenCL C
    .language_version:
      - 2
      - 0
    .max_flat_workgroup_size: 256
    .name:           _ZN7rocprim17ROCPRIM_400000_NS6detail17trampoline_kernelINS0_14default_configENS1_27scan_by_key_config_selectorIxxEEZZNS1_16scan_by_key_implILNS1_25lookback_scan_determinismE0ELb1ES3_N6thrust23THRUST_200600_302600_NS6detail15normal_iteratorINS9_10device_ptrIxEEEESE_SE_xNS9_10multipliesIxEENS9_8equal_toIxEExEE10hipError_tPvRmT2_T3_T4_T5_mT6_T7_P12ihipStream_tbENKUlT_T0_E_clISt17integral_constantIbLb0EESZ_EEDaSU_SV_EUlSU_E_NS1_11comp_targetILNS1_3genE10ELNS1_11target_archE1201ELNS1_3gpuE5ELNS1_3repE0EEENS1_30default_config_static_selectorELNS0_4arch9wavefront6targetE1EEEvT1_
    .private_segment_fixed_size: 0
    .sgpr_count:     6
    .sgpr_spill_count: 0
    .symbol:         _ZN7rocprim17ROCPRIM_400000_NS6detail17trampoline_kernelINS0_14default_configENS1_27scan_by_key_config_selectorIxxEEZZNS1_16scan_by_key_implILNS1_25lookback_scan_determinismE0ELb1ES3_N6thrust23THRUST_200600_302600_NS6detail15normal_iteratorINS9_10device_ptrIxEEEESE_SE_xNS9_10multipliesIxEENS9_8equal_toIxEExEE10hipError_tPvRmT2_T3_T4_T5_mT6_T7_P12ihipStream_tbENKUlT_T0_E_clISt17integral_constantIbLb0EESZ_EEDaSU_SV_EUlSU_E_NS1_11comp_targetILNS1_3genE10ELNS1_11target_archE1201ELNS1_3gpuE5ELNS1_3repE0EEENS1_30default_config_static_selectorELNS0_4arch9wavefront6targetE1EEEvT1_.kd
    .uniform_work_group_size: 1
    .uses_dynamic_stack: false
    .vgpr_count:     0
    .vgpr_spill_count: 0
    .wavefront_size: 64
  - .agpr_count:     0
    .args:
      - .offset:         0
        .size:           136
        .value_kind:     by_value
    .group_segment_fixed_size: 32768
    .kernarg_segment_align: 8
    .kernarg_segment_size: 136
    .language:       OpenCL C
    .language_version:
      - 2
      - 0
    .max_flat_workgroup_size: 256
    .name:           _ZN7rocprim17ROCPRIM_400000_NS6detail17trampoline_kernelINS0_14default_configENS1_27scan_by_key_config_selectorIxxEEZZNS1_16scan_by_key_implILNS1_25lookback_scan_determinismE0ELb1ES3_N6thrust23THRUST_200600_302600_NS6detail15normal_iteratorINS9_10device_ptrIxEEEESE_SE_xNS9_10multipliesIxEENS9_8equal_toIxEExEE10hipError_tPvRmT2_T3_T4_T5_mT6_T7_P12ihipStream_tbENKUlT_T0_E_clISt17integral_constantIbLb0EESZ_EEDaSU_SV_EUlSU_E_NS1_11comp_targetILNS1_3genE5ELNS1_11target_archE942ELNS1_3gpuE9ELNS1_3repE0EEENS1_30default_config_static_selectorELNS0_4arch9wavefront6targetE1EEEvT1_
    .private_segment_fixed_size: 0
    .sgpr_count:     70
    .sgpr_spill_count: 0
    .symbol:         _ZN7rocprim17ROCPRIM_400000_NS6detail17trampoline_kernelINS0_14default_configENS1_27scan_by_key_config_selectorIxxEEZZNS1_16scan_by_key_implILNS1_25lookback_scan_determinismE0ELb1ES3_N6thrust23THRUST_200600_302600_NS6detail15normal_iteratorINS9_10device_ptrIxEEEESE_SE_xNS9_10multipliesIxEENS9_8equal_toIxEExEE10hipError_tPvRmT2_T3_T4_T5_mT6_T7_P12ihipStream_tbENKUlT_T0_E_clISt17integral_constantIbLb0EESZ_EEDaSU_SV_EUlSU_E_NS1_11comp_targetILNS1_3genE5ELNS1_11target_archE942ELNS1_3gpuE9ELNS1_3repE0EEENS1_30default_config_static_selectorELNS0_4arch9wavefront6targetE1EEEvT1_.kd
    .uniform_work_group_size: 1
    .uses_dynamic_stack: false
    .vgpr_count:     87
    .vgpr_spill_count: 0
    .wavefront_size: 64
  - .agpr_count:     0
    .args:
      - .offset:         0
        .size:           136
        .value_kind:     by_value
    .group_segment_fixed_size: 0
    .kernarg_segment_align: 8
    .kernarg_segment_size: 136
    .language:       OpenCL C
    .language_version:
      - 2
      - 0
    .max_flat_workgroup_size: 64
    .name:           _ZN7rocprim17ROCPRIM_400000_NS6detail17trampoline_kernelINS0_14default_configENS1_27scan_by_key_config_selectorIxxEEZZNS1_16scan_by_key_implILNS1_25lookback_scan_determinismE0ELb1ES3_N6thrust23THRUST_200600_302600_NS6detail15normal_iteratorINS9_10device_ptrIxEEEESE_SE_xNS9_10multipliesIxEENS9_8equal_toIxEExEE10hipError_tPvRmT2_T3_T4_T5_mT6_T7_P12ihipStream_tbENKUlT_T0_E_clISt17integral_constantIbLb0EESZ_EEDaSU_SV_EUlSU_E_NS1_11comp_targetILNS1_3genE4ELNS1_11target_archE910ELNS1_3gpuE8ELNS1_3repE0EEENS1_30default_config_static_selectorELNS0_4arch9wavefront6targetE1EEEvT1_
    .private_segment_fixed_size: 0
    .sgpr_count:     6
    .sgpr_spill_count: 0
    .symbol:         _ZN7rocprim17ROCPRIM_400000_NS6detail17trampoline_kernelINS0_14default_configENS1_27scan_by_key_config_selectorIxxEEZZNS1_16scan_by_key_implILNS1_25lookback_scan_determinismE0ELb1ES3_N6thrust23THRUST_200600_302600_NS6detail15normal_iteratorINS9_10device_ptrIxEEEESE_SE_xNS9_10multipliesIxEENS9_8equal_toIxEExEE10hipError_tPvRmT2_T3_T4_T5_mT6_T7_P12ihipStream_tbENKUlT_T0_E_clISt17integral_constantIbLb0EESZ_EEDaSU_SV_EUlSU_E_NS1_11comp_targetILNS1_3genE4ELNS1_11target_archE910ELNS1_3gpuE8ELNS1_3repE0EEENS1_30default_config_static_selectorELNS0_4arch9wavefront6targetE1EEEvT1_.kd
    .uniform_work_group_size: 1
    .uses_dynamic_stack: false
    .vgpr_count:     0
    .vgpr_spill_count: 0
    .wavefront_size: 64
  - .agpr_count:     0
    .args:
      - .offset:         0
        .size:           136
        .value_kind:     by_value
    .group_segment_fixed_size: 0
    .kernarg_segment_align: 8
    .kernarg_segment_size: 136
    .language:       OpenCL C
    .language_version:
      - 2
      - 0
    .max_flat_workgroup_size: 256
    .name:           _ZN7rocprim17ROCPRIM_400000_NS6detail17trampoline_kernelINS0_14default_configENS1_27scan_by_key_config_selectorIxxEEZZNS1_16scan_by_key_implILNS1_25lookback_scan_determinismE0ELb1ES3_N6thrust23THRUST_200600_302600_NS6detail15normal_iteratorINS9_10device_ptrIxEEEESE_SE_xNS9_10multipliesIxEENS9_8equal_toIxEExEE10hipError_tPvRmT2_T3_T4_T5_mT6_T7_P12ihipStream_tbENKUlT_T0_E_clISt17integral_constantIbLb0EESZ_EEDaSU_SV_EUlSU_E_NS1_11comp_targetILNS1_3genE3ELNS1_11target_archE908ELNS1_3gpuE7ELNS1_3repE0EEENS1_30default_config_static_selectorELNS0_4arch9wavefront6targetE1EEEvT1_
    .private_segment_fixed_size: 0
    .sgpr_count:     6
    .sgpr_spill_count: 0
    .symbol:         _ZN7rocprim17ROCPRIM_400000_NS6detail17trampoline_kernelINS0_14default_configENS1_27scan_by_key_config_selectorIxxEEZZNS1_16scan_by_key_implILNS1_25lookback_scan_determinismE0ELb1ES3_N6thrust23THRUST_200600_302600_NS6detail15normal_iteratorINS9_10device_ptrIxEEEESE_SE_xNS9_10multipliesIxEENS9_8equal_toIxEExEE10hipError_tPvRmT2_T3_T4_T5_mT6_T7_P12ihipStream_tbENKUlT_T0_E_clISt17integral_constantIbLb0EESZ_EEDaSU_SV_EUlSU_E_NS1_11comp_targetILNS1_3genE3ELNS1_11target_archE908ELNS1_3gpuE7ELNS1_3repE0EEENS1_30default_config_static_selectorELNS0_4arch9wavefront6targetE1EEEvT1_.kd
    .uniform_work_group_size: 1
    .uses_dynamic_stack: false
    .vgpr_count:     0
    .vgpr_spill_count: 0
    .wavefront_size: 64
  - .agpr_count:     0
    .args:
      - .offset:         0
        .size:           136
        .value_kind:     by_value
    .group_segment_fixed_size: 0
    .kernarg_segment_align: 8
    .kernarg_segment_size: 136
    .language:       OpenCL C
    .language_version:
      - 2
      - 0
    .max_flat_workgroup_size: 256
    .name:           _ZN7rocprim17ROCPRIM_400000_NS6detail17trampoline_kernelINS0_14default_configENS1_27scan_by_key_config_selectorIxxEEZZNS1_16scan_by_key_implILNS1_25lookback_scan_determinismE0ELb1ES3_N6thrust23THRUST_200600_302600_NS6detail15normal_iteratorINS9_10device_ptrIxEEEESE_SE_xNS9_10multipliesIxEENS9_8equal_toIxEExEE10hipError_tPvRmT2_T3_T4_T5_mT6_T7_P12ihipStream_tbENKUlT_T0_E_clISt17integral_constantIbLb0EESZ_EEDaSU_SV_EUlSU_E_NS1_11comp_targetILNS1_3genE2ELNS1_11target_archE906ELNS1_3gpuE6ELNS1_3repE0EEENS1_30default_config_static_selectorELNS0_4arch9wavefront6targetE1EEEvT1_
    .private_segment_fixed_size: 0
    .sgpr_count:     6
    .sgpr_spill_count: 0
    .symbol:         _ZN7rocprim17ROCPRIM_400000_NS6detail17trampoline_kernelINS0_14default_configENS1_27scan_by_key_config_selectorIxxEEZZNS1_16scan_by_key_implILNS1_25lookback_scan_determinismE0ELb1ES3_N6thrust23THRUST_200600_302600_NS6detail15normal_iteratorINS9_10device_ptrIxEEEESE_SE_xNS9_10multipliesIxEENS9_8equal_toIxEExEE10hipError_tPvRmT2_T3_T4_T5_mT6_T7_P12ihipStream_tbENKUlT_T0_E_clISt17integral_constantIbLb0EESZ_EEDaSU_SV_EUlSU_E_NS1_11comp_targetILNS1_3genE2ELNS1_11target_archE906ELNS1_3gpuE6ELNS1_3repE0EEENS1_30default_config_static_selectorELNS0_4arch9wavefront6targetE1EEEvT1_.kd
    .uniform_work_group_size: 1
    .uses_dynamic_stack: false
    .vgpr_count:     0
    .vgpr_spill_count: 0
    .wavefront_size: 64
  - .agpr_count:     0
    .args:
      - .offset:         0
        .size:           136
        .value_kind:     by_value
    .group_segment_fixed_size: 0
    .kernarg_segment_align: 8
    .kernarg_segment_size: 136
    .language:       OpenCL C
    .language_version:
      - 2
      - 0
    .max_flat_workgroup_size: 256
    .name:           _ZN7rocprim17ROCPRIM_400000_NS6detail17trampoline_kernelINS0_14default_configENS1_27scan_by_key_config_selectorIxxEEZZNS1_16scan_by_key_implILNS1_25lookback_scan_determinismE0ELb1ES3_N6thrust23THRUST_200600_302600_NS6detail15normal_iteratorINS9_10device_ptrIxEEEESE_SE_xNS9_10multipliesIxEENS9_8equal_toIxEExEE10hipError_tPvRmT2_T3_T4_T5_mT6_T7_P12ihipStream_tbENKUlT_T0_E_clISt17integral_constantIbLb0EESZ_EEDaSU_SV_EUlSU_E_NS1_11comp_targetILNS1_3genE10ELNS1_11target_archE1200ELNS1_3gpuE4ELNS1_3repE0EEENS1_30default_config_static_selectorELNS0_4arch9wavefront6targetE1EEEvT1_
    .private_segment_fixed_size: 0
    .sgpr_count:     6
    .sgpr_spill_count: 0
    .symbol:         _ZN7rocprim17ROCPRIM_400000_NS6detail17trampoline_kernelINS0_14default_configENS1_27scan_by_key_config_selectorIxxEEZZNS1_16scan_by_key_implILNS1_25lookback_scan_determinismE0ELb1ES3_N6thrust23THRUST_200600_302600_NS6detail15normal_iteratorINS9_10device_ptrIxEEEESE_SE_xNS9_10multipliesIxEENS9_8equal_toIxEExEE10hipError_tPvRmT2_T3_T4_T5_mT6_T7_P12ihipStream_tbENKUlT_T0_E_clISt17integral_constantIbLb0EESZ_EEDaSU_SV_EUlSU_E_NS1_11comp_targetILNS1_3genE10ELNS1_11target_archE1200ELNS1_3gpuE4ELNS1_3repE0EEENS1_30default_config_static_selectorELNS0_4arch9wavefront6targetE1EEEvT1_.kd
    .uniform_work_group_size: 1
    .uses_dynamic_stack: false
    .vgpr_count:     0
    .vgpr_spill_count: 0
    .wavefront_size: 64
  - .agpr_count:     0
    .args:
      - .offset:         0
        .size:           136
        .value_kind:     by_value
    .group_segment_fixed_size: 0
    .kernarg_segment_align: 8
    .kernarg_segment_size: 136
    .language:       OpenCL C
    .language_version:
      - 2
      - 0
    .max_flat_workgroup_size: 256
    .name:           _ZN7rocprim17ROCPRIM_400000_NS6detail17trampoline_kernelINS0_14default_configENS1_27scan_by_key_config_selectorIxxEEZZNS1_16scan_by_key_implILNS1_25lookback_scan_determinismE0ELb1ES3_N6thrust23THRUST_200600_302600_NS6detail15normal_iteratorINS9_10device_ptrIxEEEESE_SE_xNS9_10multipliesIxEENS9_8equal_toIxEExEE10hipError_tPvRmT2_T3_T4_T5_mT6_T7_P12ihipStream_tbENKUlT_T0_E_clISt17integral_constantIbLb0EESZ_EEDaSU_SV_EUlSU_E_NS1_11comp_targetILNS1_3genE9ELNS1_11target_archE1100ELNS1_3gpuE3ELNS1_3repE0EEENS1_30default_config_static_selectorELNS0_4arch9wavefront6targetE1EEEvT1_
    .private_segment_fixed_size: 0
    .sgpr_count:     6
    .sgpr_spill_count: 0
    .symbol:         _ZN7rocprim17ROCPRIM_400000_NS6detail17trampoline_kernelINS0_14default_configENS1_27scan_by_key_config_selectorIxxEEZZNS1_16scan_by_key_implILNS1_25lookback_scan_determinismE0ELb1ES3_N6thrust23THRUST_200600_302600_NS6detail15normal_iteratorINS9_10device_ptrIxEEEESE_SE_xNS9_10multipliesIxEENS9_8equal_toIxEExEE10hipError_tPvRmT2_T3_T4_T5_mT6_T7_P12ihipStream_tbENKUlT_T0_E_clISt17integral_constantIbLb0EESZ_EEDaSU_SV_EUlSU_E_NS1_11comp_targetILNS1_3genE9ELNS1_11target_archE1100ELNS1_3gpuE3ELNS1_3repE0EEENS1_30default_config_static_selectorELNS0_4arch9wavefront6targetE1EEEvT1_.kd
    .uniform_work_group_size: 1
    .uses_dynamic_stack: false
    .vgpr_count:     0
    .vgpr_spill_count: 0
    .wavefront_size: 64
  - .agpr_count:     0
    .args:
      - .offset:         0
        .size:           136
        .value_kind:     by_value
    .group_segment_fixed_size: 0
    .kernarg_segment_align: 8
    .kernarg_segment_size: 136
    .language:       OpenCL C
    .language_version:
      - 2
      - 0
    .max_flat_workgroup_size: 256
    .name:           _ZN7rocprim17ROCPRIM_400000_NS6detail17trampoline_kernelINS0_14default_configENS1_27scan_by_key_config_selectorIxxEEZZNS1_16scan_by_key_implILNS1_25lookback_scan_determinismE0ELb1ES3_N6thrust23THRUST_200600_302600_NS6detail15normal_iteratorINS9_10device_ptrIxEEEESE_SE_xNS9_10multipliesIxEENS9_8equal_toIxEExEE10hipError_tPvRmT2_T3_T4_T5_mT6_T7_P12ihipStream_tbENKUlT_T0_E_clISt17integral_constantIbLb0EESZ_EEDaSU_SV_EUlSU_E_NS1_11comp_targetILNS1_3genE8ELNS1_11target_archE1030ELNS1_3gpuE2ELNS1_3repE0EEENS1_30default_config_static_selectorELNS0_4arch9wavefront6targetE1EEEvT1_
    .private_segment_fixed_size: 0
    .sgpr_count:     6
    .sgpr_spill_count: 0
    .symbol:         _ZN7rocprim17ROCPRIM_400000_NS6detail17trampoline_kernelINS0_14default_configENS1_27scan_by_key_config_selectorIxxEEZZNS1_16scan_by_key_implILNS1_25lookback_scan_determinismE0ELb1ES3_N6thrust23THRUST_200600_302600_NS6detail15normal_iteratorINS9_10device_ptrIxEEEESE_SE_xNS9_10multipliesIxEENS9_8equal_toIxEExEE10hipError_tPvRmT2_T3_T4_T5_mT6_T7_P12ihipStream_tbENKUlT_T0_E_clISt17integral_constantIbLb0EESZ_EEDaSU_SV_EUlSU_E_NS1_11comp_targetILNS1_3genE8ELNS1_11target_archE1030ELNS1_3gpuE2ELNS1_3repE0EEENS1_30default_config_static_selectorELNS0_4arch9wavefront6targetE1EEEvT1_.kd
    .uniform_work_group_size: 1
    .uses_dynamic_stack: false
    .vgpr_count:     0
    .vgpr_spill_count: 0
    .wavefront_size: 64
  - .agpr_count:     0
    .args:
      - .offset:         0
        .size:           136
        .value_kind:     by_value
    .group_segment_fixed_size: 0
    .kernarg_segment_align: 8
    .kernarg_segment_size: 136
    .language:       OpenCL C
    .language_version:
      - 2
      - 0
    .max_flat_workgroup_size: 256
    .name:           _ZN7rocprim17ROCPRIM_400000_NS6detail17trampoline_kernelINS0_14default_configENS1_27scan_by_key_config_selectorIxxEEZZNS1_16scan_by_key_implILNS1_25lookback_scan_determinismE0ELb1ES3_N6thrust23THRUST_200600_302600_NS6detail15normal_iteratorINS9_10device_ptrIxEEEESE_SE_xNS9_10multipliesIxEENS9_8equal_toIxEExEE10hipError_tPvRmT2_T3_T4_T5_mT6_T7_P12ihipStream_tbENKUlT_T0_E_clISt17integral_constantIbLb1EESZ_EEDaSU_SV_EUlSU_E_NS1_11comp_targetILNS1_3genE0ELNS1_11target_archE4294967295ELNS1_3gpuE0ELNS1_3repE0EEENS1_30default_config_static_selectorELNS0_4arch9wavefront6targetE1EEEvT1_
    .private_segment_fixed_size: 0
    .sgpr_count:     6
    .sgpr_spill_count: 0
    .symbol:         _ZN7rocprim17ROCPRIM_400000_NS6detail17trampoline_kernelINS0_14default_configENS1_27scan_by_key_config_selectorIxxEEZZNS1_16scan_by_key_implILNS1_25lookback_scan_determinismE0ELb1ES3_N6thrust23THRUST_200600_302600_NS6detail15normal_iteratorINS9_10device_ptrIxEEEESE_SE_xNS9_10multipliesIxEENS9_8equal_toIxEExEE10hipError_tPvRmT2_T3_T4_T5_mT6_T7_P12ihipStream_tbENKUlT_T0_E_clISt17integral_constantIbLb1EESZ_EEDaSU_SV_EUlSU_E_NS1_11comp_targetILNS1_3genE0ELNS1_11target_archE4294967295ELNS1_3gpuE0ELNS1_3repE0EEENS1_30default_config_static_selectorELNS0_4arch9wavefront6targetE1EEEvT1_.kd
    .uniform_work_group_size: 1
    .uses_dynamic_stack: false
    .vgpr_count:     0
    .vgpr_spill_count: 0
    .wavefront_size: 64
  - .agpr_count:     0
    .args:
      - .offset:         0
        .size:           136
        .value_kind:     by_value
    .group_segment_fixed_size: 0
    .kernarg_segment_align: 8
    .kernarg_segment_size: 136
    .language:       OpenCL C
    .language_version:
      - 2
      - 0
    .max_flat_workgroup_size: 256
    .name:           _ZN7rocprim17ROCPRIM_400000_NS6detail17trampoline_kernelINS0_14default_configENS1_27scan_by_key_config_selectorIxxEEZZNS1_16scan_by_key_implILNS1_25lookback_scan_determinismE0ELb1ES3_N6thrust23THRUST_200600_302600_NS6detail15normal_iteratorINS9_10device_ptrIxEEEESE_SE_xNS9_10multipliesIxEENS9_8equal_toIxEExEE10hipError_tPvRmT2_T3_T4_T5_mT6_T7_P12ihipStream_tbENKUlT_T0_E_clISt17integral_constantIbLb1EESZ_EEDaSU_SV_EUlSU_E_NS1_11comp_targetILNS1_3genE10ELNS1_11target_archE1201ELNS1_3gpuE5ELNS1_3repE0EEENS1_30default_config_static_selectorELNS0_4arch9wavefront6targetE1EEEvT1_
    .private_segment_fixed_size: 0
    .sgpr_count:     6
    .sgpr_spill_count: 0
    .symbol:         _ZN7rocprim17ROCPRIM_400000_NS6detail17trampoline_kernelINS0_14default_configENS1_27scan_by_key_config_selectorIxxEEZZNS1_16scan_by_key_implILNS1_25lookback_scan_determinismE0ELb1ES3_N6thrust23THRUST_200600_302600_NS6detail15normal_iteratorINS9_10device_ptrIxEEEESE_SE_xNS9_10multipliesIxEENS9_8equal_toIxEExEE10hipError_tPvRmT2_T3_T4_T5_mT6_T7_P12ihipStream_tbENKUlT_T0_E_clISt17integral_constantIbLb1EESZ_EEDaSU_SV_EUlSU_E_NS1_11comp_targetILNS1_3genE10ELNS1_11target_archE1201ELNS1_3gpuE5ELNS1_3repE0EEENS1_30default_config_static_selectorELNS0_4arch9wavefront6targetE1EEEvT1_.kd
    .uniform_work_group_size: 1
    .uses_dynamic_stack: false
    .vgpr_count:     0
    .vgpr_spill_count: 0
    .wavefront_size: 64
  - .agpr_count:     0
    .args:
      - .offset:         0
        .size:           136
        .value_kind:     by_value
    .group_segment_fixed_size: 32768
    .kernarg_segment_align: 8
    .kernarg_segment_size: 136
    .language:       OpenCL C
    .language_version:
      - 2
      - 0
    .max_flat_workgroup_size: 256
    .name:           _ZN7rocprim17ROCPRIM_400000_NS6detail17trampoline_kernelINS0_14default_configENS1_27scan_by_key_config_selectorIxxEEZZNS1_16scan_by_key_implILNS1_25lookback_scan_determinismE0ELb1ES3_N6thrust23THRUST_200600_302600_NS6detail15normal_iteratorINS9_10device_ptrIxEEEESE_SE_xNS9_10multipliesIxEENS9_8equal_toIxEExEE10hipError_tPvRmT2_T3_T4_T5_mT6_T7_P12ihipStream_tbENKUlT_T0_E_clISt17integral_constantIbLb1EESZ_EEDaSU_SV_EUlSU_E_NS1_11comp_targetILNS1_3genE5ELNS1_11target_archE942ELNS1_3gpuE9ELNS1_3repE0EEENS1_30default_config_static_selectorELNS0_4arch9wavefront6targetE1EEEvT1_
    .private_segment_fixed_size: 0
    .sgpr_count:     68
    .sgpr_spill_count: 0
    .symbol:         _ZN7rocprim17ROCPRIM_400000_NS6detail17trampoline_kernelINS0_14default_configENS1_27scan_by_key_config_selectorIxxEEZZNS1_16scan_by_key_implILNS1_25lookback_scan_determinismE0ELb1ES3_N6thrust23THRUST_200600_302600_NS6detail15normal_iteratorINS9_10device_ptrIxEEEESE_SE_xNS9_10multipliesIxEENS9_8equal_toIxEExEE10hipError_tPvRmT2_T3_T4_T5_mT6_T7_P12ihipStream_tbENKUlT_T0_E_clISt17integral_constantIbLb1EESZ_EEDaSU_SV_EUlSU_E_NS1_11comp_targetILNS1_3genE5ELNS1_11target_archE942ELNS1_3gpuE9ELNS1_3repE0EEENS1_30default_config_static_selectorELNS0_4arch9wavefront6targetE1EEEvT1_.kd
    .uniform_work_group_size: 1
    .uses_dynamic_stack: false
    .vgpr_count:     89
    .vgpr_spill_count: 0
    .wavefront_size: 64
  - .agpr_count:     0
    .args:
      - .offset:         0
        .size:           136
        .value_kind:     by_value
    .group_segment_fixed_size: 0
    .kernarg_segment_align: 8
    .kernarg_segment_size: 136
    .language:       OpenCL C
    .language_version:
      - 2
      - 0
    .max_flat_workgroup_size: 64
    .name:           _ZN7rocprim17ROCPRIM_400000_NS6detail17trampoline_kernelINS0_14default_configENS1_27scan_by_key_config_selectorIxxEEZZNS1_16scan_by_key_implILNS1_25lookback_scan_determinismE0ELb1ES3_N6thrust23THRUST_200600_302600_NS6detail15normal_iteratorINS9_10device_ptrIxEEEESE_SE_xNS9_10multipliesIxEENS9_8equal_toIxEExEE10hipError_tPvRmT2_T3_T4_T5_mT6_T7_P12ihipStream_tbENKUlT_T0_E_clISt17integral_constantIbLb1EESZ_EEDaSU_SV_EUlSU_E_NS1_11comp_targetILNS1_3genE4ELNS1_11target_archE910ELNS1_3gpuE8ELNS1_3repE0EEENS1_30default_config_static_selectorELNS0_4arch9wavefront6targetE1EEEvT1_
    .private_segment_fixed_size: 0
    .sgpr_count:     6
    .sgpr_spill_count: 0
    .symbol:         _ZN7rocprim17ROCPRIM_400000_NS6detail17trampoline_kernelINS0_14default_configENS1_27scan_by_key_config_selectorIxxEEZZNS1_16scan_by_key_implILNS1_25lookback_scan_determinismE0ELb1ES3_N6thrust23THRUST_200600_302600_NS6detail15normal_iteratorINS9_10device_ptrIxEEEESE_SE_xNS9_10multipliesIxEENS9_8equal_toIxEExEE10hipError_tPvRmT2_T3_T4_T5_mT6_T7_P12ihipStream_tbENKUlT_T0_E_clISt17integral_constantIbLb1EESZ_EEDaSU_SV_EUlSU_E_NS1_11comp_targetILNS1_3genE4ELNS1_11target_archE910ELNS1_3gpuE8ELNS1_3repE0EEENS1_30default_config_static_selectorELNS0_4arch9wavefront6targetE1EEEvT1_.kd
    .uniform_work_group_size: 1
    .uses_dynamic_stack: false
    .vgpr_count:     0
    .vgpr_spill_count: 0
    .wavefront_size: 64
  - .agpr_count:     0
    .args:
      - .offset:         0
        .size:           136
        .value_kind:     by_value
    .group_segment_fixed_size: 0
    .kernarg_segment_align: 8
    .kernarg_segment_size: 136
    .language:       OpenCL C
    .language_version:
      - 2
      - 0
    .max_flat_workgroup_size: 256
    .name:           _ZN7rocprim17ROCPRIM_400000_NS6detail17trampoline_kernelINS0_14default_configENS1_27scan_by_key_config_selectorIxxEEZZNS1_16scan_by_key_implILNS1_25lookback_scan_determinismE0ELb1ES3_N6thrust23THRUST_200600_302600_NS6detail15normal_iteratorINS9_10device_ptrIxEEEESE_SE_xNS9_10multipliesIxEENS9_8equal_toIxEExEE10hipError_tPvRmT2_T3_T4_T5_mT6_T7_P12ihipStream_tbENKUlT_T0_E_clISt17integral_constantIbLb1EESZ_EEDaSU_SV_EUlSU_E_NS1_11comp_targetILNS1_3genE3ELNS1_11target_archE908ELNS1_3gpuE7ELNS1_3repE0EEENS1_30default_config_static_selectorELNS0_4arch9wavefront6targetE1EEEvT1_
    .private_segment_fixed_size: 0
    .sgpr_count:     6
    .sgpr_spill_count: 0
    .symbol:         _ZN7rocprim17ROCPRIM_400000_NS6detail17trampoline_kernelINS0_14default_configENS1_27scan_by_key_config_selectorIxxEEZZNS1_16scan_by_key_implILNS1_25lookback_scan_determinismE0ELb1ES3_N6thrust23THRUST_200600_302600_NS6detail15normal_iteratorINS9_10device_ptrIxEEEESE_SE_xNS9_10multipliesIxEENS9_8equal_toIxEExEE10hipError_tPvRmT2_T3_T4_T5_mT6_T7_P12ihipStream_tbENKUlT_T0_E_clISt17integral_constantIbLb1EESZ_EEDaSU_SV_EUlSU_E_NS1_11comp_targetILNS1_3genE3ELNS1_11target_archE908ELNS1_3gpuE7ELNS1_3repE0EEENS1_30default_config_static_selectorELNS0_4arch9wavefront6targetE1EEEvT1_.kd
    .uniform_work_group_size: 1
    .uses_dynamic_stack: false
    .vgpr_count:     0
    .vgpr_spill_count: 0
    .wavefront_size: 64
  - .agpr_count:     0
    .args:
      - .offset:         0
        .size:           136
        .value_kind:     by_value
    .group_segment_fixed_size: 0
    .kernarg_segment_align: 8
    .kernarg_segment_size: 136
    .language:       OpenCL C
    .language_version:
      - 2
      - 0
    .max_flat_workgroup_size: 256
    .name:           _ZN7rocprim17ROCPRIM_400000_NS6detail17trampoline_kernelINS0_14default_configENS1_27scan_by_key_config_selectorIxxEEZZNS1_16scan_by_key_implILNS1_25lookback_scan_determinismE0ELb1ES3_N6thrust23THRUST_200600_302600_NS6detail15normal_iteratorINS9_10device_ptrIxEEEESE_SE_xNS9_10multipliesIxEENS9_8equal_toIxEExEE10hipError_tPvRmT2_T3_T4_T5_mT6_T7_P12ihipStream_tbENKUlT_T0_E_clISt17integral_constantIbLb1EESZ_EEDaSU_SV_EUlSU_E_NS1_11comp_targetILNS1_3genE2ELNS1_11target_archE906ELNS1_3gpuE6ELNS1_3repE0EEENS1_30default_config_static_selectorELNS0_4arch9wavefront6targetE1EEEvT1_
    .private_segment_fixed_size: 0
    .sgpr_count:     6
    .sgpr_spill_count: 0
    .symbol:         _ZN7rocprim17ROCPRIM_400000_NS6detail17trampoline_kernelINS0_14default_configENS1_27scan_by_key_config_selectorIxxEEZZNS1_16scan_by_key_implILNS1_25lookback_scan_determinismE0ELb1ES3_N6thrust23THRUST_200600_302600_NS6detail15normal_iteratorINS9_10device_ptrIxEEEESE_SE_xNS9_10multipliesIxEENS9_8equal_toIxEExEE10hipError_tPvRmT2_T3_T4_T5_mT6_T7_P12ihipStream_tbENKUlT_T0_E_clISt17integral_constantIbLb1EESZ_EEDaSU_SV_EUlSU_E_NS1_11comp_targetILNS1_3genE2ELNS1_11target_archE906ELNS1_3gpuE6ELNS1_3repE0EEENS1_30default_config_static_selectorELNS0_4arch9wavefront6targetE1EEEvT1_.kd
    .uniform_work_group_size: 1
    .uses_dynamic_stack: false
    .vgpr_count:     0
    .vgpr_spill_count: 0
    .wavefront_size: 64
  - .agpr_count:     0
    .args:
      - .offset:         0
        .size:           136
        .value_kind:     by_value
    .group_segment_fixed_size: 0
    .kernarg_segment_align: 8
    .kernarg_segment_size: 136
    .language:       OpenCL C
    .language_version:
      - 2
      - 0
    .max_flat_workgroup_size: 256
    .name:           _ZN7rocprim17ROCPRIM_400000_NS6detail17trampoline_kernelINS0_14default_configENS1_27scan_by_key_config_selectorIxxEEZZNS1_16scan_by_key_implILNS1_25lookback_scan_determinismE0ELb1ES3_N6thrust23THRUST_200600_302600_NS6detail15normal_iteratorINS9_10device_ptrIxEEEESE_SE_xNS9_10multipliesIxEENS9_8equal_toIxEExEE10hipError_tPvRmT2_T3_T4_T5_mT6_T7_P12ihipStream_tbENKUlT_T0_E_clISt17integral_constantIbLb1EESZ_EEDaSU_SV_EUlSU_E_NS1_11comp_targetILNS1_3genE10ELNS1_11target_archE1200ELNS1_3gpuE4ELNS1_3repE0EEENS1_30default_config_static_selectorELNS0_4arch9wavefront6targetE1EEEvT1_
    .private_segment_fixed_size: 0
    .sgpr_count:     6
    .sgpr_spill_count: 0
    .symbol:         _ZN7rocprim17ROCPRIM_400000_NS6detail17trampoline_kernelINS0_14default_configENS1_27scan_by_key_config_selectorIxxEEZZNS1_16scan_by_key_implILNS1_25lookback_scan_determinismE0ELb1ES3_N6thrust23THRUST_200600_302600_NS6detail15normal_iteratorINS9_10device_ptrIxEEEESE_SE_xNS9_10multipliesIxEENS9_8equal_toIxEExEE10hipError_tPvRmT2_T3_T4_T5_mT6_T7_P12ihipStream_tbENKUlT_T0_E_clISt17integral_constantIbLb1EESZ_EEDaSU_SV_EUlSU_E_NS1_11comp_targetILNS1_3genE10ELNS1_11target_archE1200ELNS1_3gpuE4ELNS1_3repE0EEENS1_30default_config_static_selectorELNS0_4arch9wavefront6targetE1EEEvT1_.kd
    .uniform_work_group_size: 1
    .uses_dynamic_stack: false
    .vgpr_count:     0
    .vgpr_spill_count: 0
    .wavefront_size: 64
  - .agpr_count:     0
    .args:
      - .offset:         0
        .size:           136
        .value_kind:     by_value
    .group_segment_fixed_size: 0
    .kernarg_segment_align: 8
    .kernarg_segment_size: 136
    .language:       OpenCL C
    .language_version:
      - 2
      - 0
    .max_flat_workgroup_size: 256
    .name:           _ZN7rocprim17ROCPRIM_400000_NS6detail17trampoline_kernelINS0_14default_configENS1_27scan_by_key_config_selectorIxxEEZZNS1_16scan_by_key_implILNS1_25lookback_scan_determinismE0ELb1ES3_N6thrust23THRUST_200600_302600_NS6detail15normal_iteratorINS9_10device_ptrIxEEEESE_SE_xNS9_10multipliesIxEENS9_8equal_toIxEExEE10hipError_tPvRmT2_T3_T4_T5_mT6_T7_P12ihipStream_tbENKUlT_T0_E_clISt17integral_constantIbLb1EESZ_EEDaSU_SV_EUlSU_E_NS1_11comp_targetILNS1_3genE9ELNS1_11target_archE1100ELNS1_3gpuE3ELNS1_3repE0EEENS1_30default_config_static_selectorELNS0_4arch9wavefront6targetE1EEEvT1_
    .private_segment_fixed_size: 0
    .sgpr_count:     6
    .sgpr_spill_count: 0
    .symbol:         _ZN7rocprim17ROCPRIM_400000_NS6detail17trampoline_kernelINS0_14default_configENS1_27scan_by_key_config_selectorIxxEEZZNS1_16scan_by_key_implILNS1_25lookback_scan_determinismE0ELb1ES3_N6thrust23THRUST_200600_302600_NS6detail15normal_iteratorINS9_10device_ptrIxEEEESE_SE_xNS9_10multipliesIxEENS9_8equal_toIxEExEE10hipError_tPvRmT2_T3_T4_T5_mT6_T7_P12ihipStream_tbENKUlT_T0_E_clISt17integral_constantIbLb1EESZ_EEDaSU_SV_EUlSU_E_NS1_11comp_targetILNS1_3genE9ELNS1_11target_archE1100ELNS1_3gpuE3ELNS1_3repE0EEENS1_30default_config_static_selectorELNS0_4arch9wavefront6targetE1EEEvT1_.kd
    .uniform_work_group_size: 1
    .uses_dynamic_stack: false
    .vgpr_count:     0
    .vgpr_spill_count: 0
    .wavefront_size: 64
  - .agpr_count:     0
    .args:
      - .offset:         0
        .size:           136
        .value_kind:     by_value
    .group_segment_fixed_size: 0
    .kernarg_segment_align: 8
    .kernarg_segment_size: 136
    .language:       OpenCL C
    .language_version:
      - 2
      - 0
    .max_flat_workgroup_size: 256
    .name:           _ZN7rocprim17ROCPRIM_400000_NS6detail17trampoline_kernelINS0_14default_configENS1_27scan_by_key_config_selectorIxxEEZZNS1_16scan_by_key_implILNS1_25lookback_scan_determinismE0ELb1ES3_N6thrust23THRUST_200600_302600_NS6detail15normal_iteratorINS9_10device_ptrIxEEEESE_SE_xNS9_10multipliesIxEENS9_8equal_toIxEExEE10hipError_tPvRmT2_T3_T4_T5_mT6_T7_P12ihipStream_tbENKUlT_T0_E_clISt17integral_constantIbLb1EESZ_EEDaSU_SV_EUlSU_E_NS1_11comp_targetILNS1_3genE8ELNS1_11target_archE1030ELNS1_3gpuE2ELNS1_3repE0EEENS1_30default_config_static_selectorELNS0_4arch9wavefront6targetE1EEEvT1_
    .private_segment_fixed_size: 0
    .sgpr_count:     6
    .sgpr_spill_count: 0
    .symbol:         _ZN7rocprim17ROCPRIM_400000_NS6detail17trampoline_kernelINS0_14default_configENS1_27scan_by_key_config_selectorIxxEEZZNS1_16scan_by_key_implILNS1_25lookback_scan_determinismE0ELb1ES3_N6thrust23THRUST_200600_302600_NS6detail15normal_iteratorINS9_10device_ptrIxEEEESE_SE_xNS9_10multipliesIxEENS9_8equal_toIxEExEE10hipError_tPvRmT2_T3_T4_T5_mT6_T7_P12ihipStream_tbENKUlT_T0_E_clISt17integral_constantIbLb1EESZ_EEDaSU_SV_EUlSU_E_NS1_11comp_targetILNS1_3genE8ELNS1_11target_archE1030ELNS1_3gpuE2ELNS1_3repE0EEENS1_30default_config_static_selectorELNS0_4arch9wavefront6targetE1EEEvT1_.kd
    .uniform_work_group_size: 1
    .uses_dynamic_stack: false
    .vgpr_count:     0
    .vgpr_spill_count: 0
    .wavefront_size: 64
  - .agpr_count:     0
    .args:
      - .offset:         0
        .size:           136
        .value_kind:     by_value
    .group_segment_fixed_size: 0
    .kernarg_segment_align: 8
    .kernarg_segment_size: 136
    .language:       OpenCL C
    .language_version:
      - 2
      - 0
    .max_flat_workgroup_size: 256
    .name:           _ZN7rocprim17ROCPRIM_400000_NS6detail17trampoline_kernelINS0_14default_configENS1_27scan_by_key_config_selectorIxxEEZZNS1_16scan_by_key_implILNS1_25lookback_scan_determinismE0ELb1ES3_N6thrust23THRUST_200600_302600_NS6detail15normal_iteratorINS9_10device_ptrIxEEEESE_SE_xNS9_10multipliesIxEENS9_8equal_toIxEExEE10hipError_tPvRmT2_T3_T4_T5_mT6_T7_P12ihipStream_tbENKUlT_T0_E_clISt17integral_constantIbLb1EESY_IbLb0EEEEDaSU_SV_EUlSU_E_NS1_11comp_targetILNS1_3genE0ELNS1_11target_archE4294967295ELNS1_3gpuE0ELNS1_3repE0EEENS1_30default_config_static_selectorELNS0_4arch9wavefront6targetE1EEEvT1_
    .private_segment_fixed_size: 0
    .sgpr_count:     6
    .sgpr_spill_count: 0
    .symbol:         _ZN7rocprim17ROCPRIM_400000_NS6detail17trampoline_kernelINS0_14default_configENS1_27scan_by_key_config_selectorIxxEEZZNS1_16scan_by_key_implILNS1_25lookback_scan_determinismE0ELb1ES3_N6thrust23THRUST_200600_302600_NS6detail15normal_iteratorINS9_10device_ptrIxEEEESE_SE_xNS9_10multipliesIxEENS9_8equal_toIxEExEE10hipError_tPvRmT2_T3_T4_T5_mT6_T7_P12ihipStream_tbENKUlT_T0_E_clISt17integral_constantIbLb1EESY_IbLb0EEEEDaSU_SV_EUlSU_E_NS1_11comp_targetILNS1_3genE0ELNS1_11target_archE4294967295ELNS1_3gpuE0ELNS1_3repE0EEENS1_30default_config_static_selectorELNS0_4arch9wavefront6targetE1EEEvT1_.kd
    .uniform_work_group_size: 1
    .uses_dynamic_stack: false
    .vgpr_count:     0
    .vgpr_spill_count: 0
    .wavefront_size: 64
  - .agpr_count:     0
    .args:
      - .offset:         0
        .size:           136
        .value_kind:     by_value
    .group_segment_fixed_size: 0
    .kernarg_segment_align: 8
    .kernarg_segment_size: 136
    .language:       OpenCL C
    .language_version:
      - 2
      - 0
    .max_flat_workgroup_size: 256
    .name:           _ZN7rocprim17ROCPRIM_400000_NS6detail17trampoline_kernelINS0_14default_configENS1_27scan_by_key_config_selectorIxxEEZZNS1_16scan_by_key_implILNS1_25lookback_scan_determinismE0ELb1ES3_N6thrust23THRUST_200600_302600_NS6detail15normal_iteratorINS9_10device_ptrIxEEEESE_SE_xNS9_10multipliesIxEENS9_8equal_toIxEExEE10hipError_tPvRmT2_T3_T4_T5_mT6_T7_P12ihipStream_tbENKUlT_T0_E_clISt17integral_constantIbLb1EESY_IbLb0EEEEDaSU_SV_EUlSU_E_NS1_11comp_targetILNS1_3genE10ELNS1_11target_archE1201ELNS1_3gpuE5ELNS1_3repE0EEENS1_30default_config_static_selectorELNS0_4arch9wavefront6targetE1EEEvT1_
    .private_segment_fixed_size: 0
    .sgpr_count:     6
    .sgpr_spill_count: 0
    .symbol:         _ZN7rocprim17ROCPRIM_400000_NS6detail17trampoline_kernelINS0_14default_configENS1_27scan_by_key_config_selectorIxxEEZZNS1_16scan_by_key_implILNS1_25lookback_scan_determinismE0ELb1ES3_N6thrust23THRUST_200600_302600_NS6detail15normal_iteratorINS9_10device_ptrIxEEEESE_SE_xNS9_10multipliesIxEENS9_8equal_toIxEExEE10hipError_tPvRmT2_T3_T4_T5_mT6_T7_P12ihipStream_tbENKUlT_T0_E_clISt17integral_constantIbLb1EESY_IbLb0EEEEDaSU_SV_EUlSU_E_NS1_11comp_targetILNS1_3genE10ELNS1_11target_archE1201ELNS1_3gpuE5ELNS1_3repE0EEENS1_30default_config_static_selectorELNS0_4arch9wavefront6targetE1EEEvT1_.kd
    .uniform_work_group_size: 1
    .uses_dynamic_stack: false
    .vgpr_count:     0
    .vgpr_spill_count: 0
    .wavefront_size: 64
  - .agpr_count:     0
    .args:
      - .offset:         0
        .size:           136
        .value_kind:     by_value
    .group_segment_fixed_size: 32768
    .kernarg_segment_align: 8
    .kernarg_segment_size: 136
    .language:       OpenCL C
    .language_version:
      - 2
      - 0
    .max_flat_workgroup_size: 256
    .name:           _ZN7rocprim17ROCPRIM_400000_NS6detail17trampoline_kernelINS0_14default_configENS1_27scan_by_key_config_selectorIxxEEZZNS1_16scan_by_key_implILNS1_25lookback_scan_determinismE0ELb1ES3_N6thrust23THRUST_200600_302600_NS6detail15normal_iteratorINS9_10device_ptrIxEEEESE_SE_xNS9_10multipliesIxEENS9_8equal_toIxEExEE10hipError_tPvRmT2_T3_T4_T5_mT6_T7_P12ihipStream_tbENKUlT_T0_E_clISt17integral_constantIbLb1EESY_IbLb0EEEEDaSU_SV_EUlSU_E_NS1_11comp_targetILNS1_3genE5ELNS1_11target_archE942ELNS1_3gpuE9ELNS1_3repE0EEENS1_30default_config_static_selectorELNS0_4arch9wavefront6targetE1EEEvT1_
    .private_segment_fixed_size: 0
    .sgpr_count:     70
    .sgpr_spill_count: 0
    .symbol:         _ZN7rocprim17ROCPRIM_400000_NS6detail17trampoline_kernelINS0_14default_configENS1_27scan_by_key_config_selectorIxxEEZZNS1_16scan_by_key_implILNS1_25lookback_scan_determinismE0ELb1ES3_N6thrust23THRUST_200600_302600_NS6detail15normal_iteratorINS9_10device_ptrIxEEEESE_SE_xNS9_10multipliesIxEENS9_8equal_toIxEExEE10hipError_tPvRmT2_T3_T4_T5_mT6_T7_P12ihipStream_tbENKUlT_T0_E_clISt17integral_constantIbLb1EESY_IbLb0EEEEDaSU_SV_EUlSU_E_NS1_11comp_targetILNS1_3genE5ELNS1_11target_archE942ELNS1_3gpuE9ELNS1_3repE0EEENS1_30default_config_static_selectorELNS0_4arch9wavefront6targetE1EEEvT1_.kd
    .uniform_work_group_size: 1
    .uses_dynamic_stack: false
    .vgpr_count:     87
    .vgpr_spill_count: 0
    .wavefront_size: 64
  - .agpr_count:     0
    .args:
      - .offset:         0
        .size:           136
        .value_kind:     by_value
    .group_segment_fixed_size: 0
    .kernarg_segment_align: 8
    .kernarg_segment_size: 136
    .language:       OpenCL C
    .language_version:
      - 2
      - 0
    .max_flat_workgroup_size: 64
    .name:           _ZN7rocprim17ROCPRIM_400000_NS6detail17trampoline_kernelINS0_14default_configENS1_27scan_by_key_config_selectorIxxEEZZNS1_16scan_by_key_implILNS1_25lookback_scan_determinismE0ELb1ES3_N6thrust23THRUST_200600_302600_NS6detail15normal_iteratorINS9_10device_ptrIxEEEESE_SE_xNS9_10multipliesIxEENS9_8equal_toIxEExEE10hipError_tPvRmT2_T3_T4_T5_mT6_T7_P12ihipStream_tbENKUlT_T0_E_clISt17integral_constantIbLb1EESY_IbLb0EEEEDaSU_SV_EUlSU_E_NS1_11comp_targetILNS1_3genE4ELNS1_11target_archE910ELNS1_3gpuE8ELNS1_3repE0EEENS1_30default_config_static_selectorELNS0_4arch9wavefront6targetE1EEEvT1_
    .private_segment_fixed_size: 0
    .sgpr_count:     6
    .sgpr_spill_count: 0
    .symbol:         _ZN7rocprim17ROCPRIM_400000_NS6detail17trampoline_kernelINS0_14default_configENS1_27scan_by_key_config_selectorIxxEEZZNS1_16scan_by_key_implILNS1_25lookback_scan_determinismE0ELb1ES3_N6thrust23THRUST_200600_302600_NS6detail15normal_iteratorINS9_10device_ptrIxEEEESE_SE_xNS9_10multipliesIxEENS9_8equal_toIxEExEE10hipError_tPvRmT2_T3_T4_T5_mT6_T7_P12ihipStream_tbENKUlT_T0_E_clISt17integral_constantIbLb1EESY_IbLb0EEEEDaSU_SV_EUlSU_E_NS1_11comp_targetILNS1_3genE4ELNS1_11target_archE910ELNS1_3gpuE8ELNS1_3repE0EEENS1_30default_config_static_selectorELNS0_4arch9wavefront6targetE1EEEvT1_.kd
    .uniform_work_group_size: 1
    .uses_dynamic_stack: false
    .vgpr_count:     0
    .vgpr_spill_count: 0
    .wavefront_size: 64
  - .agpr_count:     0
    .args:
      - .offset:         0
        .size:           136
        .value_kind:     by_value
    .group_segment_fixed_size: 0
    .kernarg_segment_align: 8
    .kernarg_segment_size: 136
    .language:       OpenCL C
    .language_version:
      - 2
      - 0
    .max_flat_workgroup_size: 256
    .name:           _ZN7rocprim17ROCPRIM_400000_NS6detail17trampoline_kernelINS0_14default_configENS1_27scan_by_key_config_selectorIxxEEZZNS1_16scan_by_key_implILNS1_25lookback_scan_determinismE0ELb1ES3_N6thrust23THRUST_200600_302600_NS6detail15normal_iteratorINS9_10device_ptrIxEEEESE_SE_xNS9_10multipliesIxEENS9_8equal_toIxEExEE10hipError_tPvRmT2_T3_T4_T5_mT6_T7_P12ihipStream_tbENKUlT_T0_E_clISt17integral_constantIbLb1EESY_IbLb0EEEEDaSU_SV_EUlSU_E_NS1_11comp_targetILNS1_3genE3ELNS1_11target_archE908ELNS1_3gpuE7ELNS1_3repE0EEENS1_30default_config_static_selectorELNS0_4arch9wavefront6targetE1EEEvT1_
    .private_segment_fixed_size: 0
    .sgpr_count:     6
    .sgpr_spill_count: 0
    .symbol:         _ZN7rocprim17ROCPRIM_400000_NS6detail17trampoline_kernelINS0_14default_configENS1_27scan_by_key_config_selectorIxxEEZZNS1_16scan_by_key_implILNS1_25lookback_scan_determinismE0ELb1ES3_N6thrust23THRUST_200600_302600_NS6detail15normal_iteratorINS9_10device_ptrIxEEEESE_SE_xNS9_10multipliesIxEENS9_8equal_toIxEExEE10hipError_tPvRmT2_T3_T4_T5_mT6_T7_P12ihipStream_tbENKUlT_T0_E_clISt17integral_constantIbLb1EESY_IbLb0EEEEDaSU_SV_EUlSU_E_NS1_11comp_targetILNS1_3genE3ELNS1_11target_archE908ELNS1_3gpuE7ELNS1_3repE0EEENS1_30default_config_static_selectorELNS0_4arch9wavefront6targetE1EEEvT1_.kd
    .uniform_work_group_size: 1
    .uses_dynamic_stack: false
    .vgpr_count:     0
    .vgpr_spill_count: 0
    .wavefront_size: 64
  - .agpr_count:     0
    .args:
      - .offset:         0
        .size:           136
        .value_kind:     by_value
    .group_segment_fixed_size: 0
    .kernarg_segment_align: 8
    .kernarg_segment_size: 136
    .language:       OpenCL C
    .language_version:
      - 2
      - 0
    .max_flat_workgroup_size: 256
    .name:           _ZN7rocprim17ROCPRIM_400000_NS6detail17trampoline_kernelINS0_14default_configENS1_27scan_by_key_config_selectorIxxEEZZNS1_16scan_by_key_implILNS1_25lookback_scan_determinismE0ELb1ES3_N6thrust23THRUST_200600_302600_NS6detail15normal_iteratorINS9_10device_ptrIxEEEESE_SE_xNS9_10multipliesIxEENS9_8equal_toIxEExEE10hipError_tPvRmT2_T3_T4_T5_mT6_T7_P12ihipStream_tbENKUlT_T0_E_clISt17integral_constantIbLb1EESY_IbLb0EEEEDaSU_SV_EUlSU_E_NS1_11comp_targetILNS1_3genE2ELNS1_11target_archE906ELNS1_3gpuE6ELNS1_3repE0EEENS1_30default_config_static_selectorELNS0_4arch9wavefront6targetE1EEEvT1_
    .private_segment_fixed_size: 0
    .sgpr_count:     6
    .sgpr_spill_count: 0
    .symbol:         _ZN7rocprim17ROCPRIM_400000_NS6detail17trampoline_kernelINS0_14default_configENS1_27scan_by_key_config_selectorIxxEEZZNS1_16scan_by_key_implILNS1_25lookback_scan_determinismE0ELb1ES3_N6thrust23THRUST_200600_302600_NS6detail15normal_iteratorINS9_10device_ptrIxEEEESE_SE_xNS9_10multipliesIxEENS9_8equal_toIxEExEE10hipError_tPvRmT2_T3_T4_T5_mT6_T7_P12ihipStream_tbENKUlT_T0_E_clISt17integral_constantIbLb1EESY_IbLb0EEEEDaSU_SV_EUlSU_E_NS1_11comp_targetILNS1_3genE2ELNS1_11target_archE906ELNS1_3gpuE6ELNS1_3repE0EEENS1_30default_config_static_selectorELNS0_4arch9wavefront6targetE1EEEvT1_.kd
    .uniform_work_group_size: 1
    .uses_dynamic_stack: false
    .vgpr_count:     0
    .vgpr_spill_count: 0
    .wavefront_size: 64
  - .agpr_count:     0
    .args:
      - .offset:         0
        .size:           136
        .value_kind:     by_value
    .group_segment_fixed_size: 0
    .kernarg_segment_align: 8
    .kernarg_segment_size: 136
    .language:       OpenCL C
    .language_version:
      - 2
      - 0
    .max_flat_workgroup_size: 256
    .name:           _ZN7rocprim17ROCPRIM_400000_NS6detail17trampoline_kernelINS0_14default_configENS1_27scan_by_key_config_selectorIxxEEZZNS1_16scan_by_key_implILNS1_25lookback_scan_determinismE0ELb1ES3_N6thrust23THRUST_200600_302600_NS6detail15normal_iteratorINS9_10device_ptrIxEEEESE_SE_xNS9_10multipliesIxEENS9_8equal_toIxEExEE10hipError_tPvRmT2_T3_T4_T5_mT6_T7_P12ihipStream_tbENKUlT_T0_E_clISt17integral_constantIbLb1EESY_IbLb0EEEEDaSU_SV_EUlSU_E_NS1_11comp_targetILNS1_3genE10ELNS1_11target_archE1200ELNS1_3gpuE4ELNS1_3repE0EEENS1_30default_config_static_selectorELNS0_4arch9wavefront6targetE1EEEvT1_
    .private_segment_fixed_size: 0
    .sgpr_count:     6
    .sgpr_spill_count: 0
    .symbol:         _ZN7rocprim17ROCPRIM_400000_NS6detail17trampoline_kernelINS0_14default_configENS1_27scan_by_key_config_selectorIxxEEZZNS1_16scan_by_key_implILNS1_25lookback_scan_determinismE0ELb1ES3_N6thrust23THRUST_200600_302600_NS6detail15normal_iteratorINS9_10device_ptrIxEEEESE_SE_xNS9_10multipliesIxEENS9_8equal_toIxEExEE10hipError_tPvRmT2_T3_T4_T5_mT6_T7_P12ihipStream_tbENKUlT_T0_E_clISt17integral_constantIbLb1EESY_IbLb0EEEEDaSU_SV_EUlSU_E_NS1_11comp_targetILNS1_3genE10ELNS1_11target_archE1200ELNS1_3gpuE4ELNS1_3repE0EEENS1_30default_config_static_selectorELNS0_4arch9wavefront6targetE1EEEvT1_.kd
    .uniform_work_group_size: 1
    .uses_dynamic_stack: false
    .vgpr_count:     0
    .vgpr_spill_count: 0
    .wavefront_size: 64
  - .agpr_count:     0
    .args:
      - .offset:         0
        .size:           136
        .value_kind:     by_value
    .group_segment_fixed_size: 0
    .kernarg_segment_align: 8
    .kernarg_segment_size: 136
    .language:       OpenCL C
    .language_version:
      - 2
      - 0
    .max_flat_workgroup_size: 256
    .name:           _ZN7rocprim17ROCPRIM_400000_NS6detail17trampoline_kernelINS0_14default_configENS1_27scan_by_key_config_selectorIxxEEZZNS1_16scan_by_key_implILNS1_25lookback_scan_determinismE0ELb1ES3_N6thrust23THRUST_200600_302600_NS6detail15normal_iteratorINS9_10device_ptrIxEEEESE_SE_xNS9_10multipliesIxEENS9_8equal_toIxEExEE10hipError_tPvRmT2_T3_T4_T5_mT6_T7_P12ihipStream_tbENKUlT_T0_E_clISt17integral_constantIbLb1EESY_IbLb0EEEEDaSU_SV_EUlSU_E_NS1_11comp_targetILNS1_3genE9ELNS1_11target_archE1100ELNS1_3gpuE3ELNS1_3repE0EEENS1_30default_config_static_selectorELNS0_4arch9wavefront6targetE1EEEvT1_
    .private_segment_fixed_size: 0
    .sgpr_count:     6
    .sgpr_spill_count: 0
    .symbol:         _ZN7rocprim17ROCPRIM_400000_NS6detail17trampoline_kernelINS0_14default_configENS1_27scan_by_key_config_selectorIxxEEZZNS1_16scan_by_key_implILNS1_25lookback_scan_determinismE0ELb1ES3_N6thrust23THRUST_200600_302600_NS6detail15normal_iteratorINS9_10device_ptrIxEEEESE_SE_xNS9_10multipliesIxEENS9_8equal_toIxEExEE10hipError_tPvRmT2_T3_T4_T5_mT6_T7_P12ihipStream_tbENKUlT_T0_E_clISt17integral_constantIbLb1EESY_IbLb0EEEEDaSU_SV_EUlSU_E_NS1_11comp_targetILNS1_3genE9ELNS1_11target_archE1100ELNS1_3gpuE3ELNS1_3repE0EEENS1_30default_config_static_selectorELNS0_4arch9wavefront6targetE1EEEvT1_.kd
    .uniform_work_group_size: 1
    .uses_dynamic_stack: false
    .vgpr_count:     0
    .vgpr_spill_count: 0
    .wavefront_size: 64
  - .agpr_count:     0
    .args:
      - .offset:         0
        .size:           136
        .value_kind:     by_value
    .group_segment_fixed_size: 0
    .kernarg_segment_align: 8
    .kernarg_segment_size: 136
    .language:       OpenCL C
    .language_version:
      - 2
      - 0
    .max_flat_workgroup_size: 256
    .name:           _ZN7rocprim17ROCPRIM_400000_NS6detail17trampoline_kernelINS0_14default_configENS1_27scan_by_key_config_selectorIxxEEZZNS1_16scan_by_key_implILNS1_25lookback_scan_determinismE0ELb1ES3_N6thrust23THRUST_200600_302600_NS6detail15normal_iteratorINS9_10device_ptrIxEEEESE_SE_xNS9_10multipliesIxEENS9_8equal_toIxEExEE10hipError_tPvRmT2_T3_T4_T5_mT6_T7_P12ihipStream_tbENKUlT_T0_E_clISt17integral_constantIbLb1EESY_IbLb0EEEEDaSU_SV_EUlSU_E_NS1_11comp_targetILNS1_3genE8ELNS1_11target_archE1030ELNS1_3gpuE2ELNS1_3repE0EEENS1_30default_config_static_selectorELNS0_4arch9wavefront6targetE1EEEvT1_
    .private_segment_fixed_size: 0
    .sgpr_count:     6
    .sgpr_spill_count: 0
    .symbol:         _ZN7rocprim17ROCPRIM_400000_NS6detail17trampoline_kernelINS0_14default_configENS1_27scan_by_key_config_selectorIxxEEZZNS1_16scan_by_key_implILNS1_25lookback_scan_determinismE0ELb1ES3_N6thrust23THRUST_200600_302600_NS6detail15normal_iteratorINS9_10device_ptrIxEEEESE_SE_xNS9_10multipliesIxEENS9_8equal_toIxEExEE10hipError_tPvRmT2_T3_T4_T5_mT6_T7_P12ihipStream_tbENKUlT_T0_E_clISt17integral_constantIbLb1EESY_IbLb0EEEEDaSU_SV_EUlSU_E_NS1_11comp_targetILNS1_3genE8ELNS1_11target_archE1030ELNS1_3gpuE2ELNS1_3repE0EEENS1_30default_config_static_selectorELNS0_4arch9wavefront6targetE1EEEvT1_.kd
    .uniform_work_group_size: 1
    .uses_dynamic_stack: false
    .vgpr_count:     0
    .vgpr_spill_count: 0
    .wavefront_size: 64
  - .agpr_count:     0
    .args:
      - .offset:         0
        .size:           136
        .value_kind:     by_value
    .group_segment_fixed_size: 0
    .kernarg_segment_align: 8
    .kernarg_segment_size: 136
    .language:       OpenCL C
    .language_version:
      - 2
      - 0
    .max_flat_workgroup_size: 256
    .name:           _ZN7rocprim17ROCPRIM_400000_NS6detail17trampoline_kernelINS0_14default_configENS1_27scan_by_key_config_selectorIxxEEZZNS1_16scan_by_key_implILNS1_25lookback_scan_determinismE0ELb1ES3_N6thrust23THRUST_200600_302600_NS6detail15normal_iteratorINS9_10device_ptrIxEEEESE_SE_xNS9_10multipliesIxEENS9_8equal_toIxEExEE10hipError_tPvRmT2_T3_T4_T5_mT6_T7_P12ihipStream_tbENKUlT_T0_E_clISt17integral_constantIbLb0EESY_IbLb1EEEEDaSU_SV_EUlSU_E_NS1_11comp_targetILNS1_3genE0ELNS1_11target_archE4294967295ELNS1_3gpuE0ELNS1_3repE0EEENS1_30default_config_static_selectorELNS0_4arch9wavefront6targetE1EEEvT1_
    .private_segment_fixed_size: 0
    .sgpr_count:     6
    .sgpr_spill_count: 0
    .symbol:         _ZN7rocprim17ROCPRIM_400000_NS6detail17trampoline_kernelINS0_14default_configENS1_27scan_by_key_config_selectorIxxEEZZNS1_16scan_by_key_implILNS1_25lookback_scan_determinismE0ELb1ES3_N6thrust23THRUST_200600_302600_NS6detail15normal_iteratorINS9_10device_ptrIxEEEESE_SE_xNS9_10multipliesIxEENS9_8equal_toIxEExEE10hipError_tPvRmT2_T3_T4_T5_mT6_T7_P12ihipStream_tbENKUlT_T0_E_clISt17integral_constantIbLb0EESY_IbLb1EEEEDaSU_SV_EUlSU_E_NS1_11comp_targetILNS1_3genE0ELNS1_11target_archE4294967295ELNS1_3gpuE0ELNS1_3repE0EEENS1_30default_config_static_selectorELNS0_4arch9wavefront6targetE1EEEvT1_.kd
    .uniform_work_group_size: 1
    .uses_dynamic_stack: false
    .vgpr_count:     0
    .vgpr_spill_count: 0
    .wavefront_size: 64
  - .agpr_count:     0
    .args:
      - .offset:         0
        .size:           136
        .value_kind:     by_value
    .group_segment_fixed_size: 0
    .kernarg_segment_align: 8
    .kernarg_segment_size: 136
    .language:       OpenCL C
    .language_version:
      - 2
      - 0
    .max_flat_workgroup_size: 256
    .name:           _ZN7rocprim17ROCPRIM_400000_NS6detail17trampoline_kernelINS0_14default_configENS1_27scan_by_key_config_selectorIxxEEZZNS1_16scan_by_key_implILNS1_25lookback_scan_determinismE0ELb1ES3_N6thrust23THRUST_200600_302600_NS6detail15normal_iteratorINS9_10device_ptrIxEEEESE_SE_xNS9_10multipliesIxEENS9_8equal_toIxEExEE10hipError_tPvRmT2_T3_T4_T5_mT6_T7_P12ihipStream_tbENKUlT_T0_E_clISt17integral_constantIbLb0EESY_IbLb1EEEEDaSU_SV_EUlSU_E_NS1_11comp_targetILNS1_3genE10ELNS1_11target_archE1201ELNS1_3gpuE5ELNS1_3repE0EEENS1_30default_config_static_selectorELNS0_4arch9wavefront6targetE1EEEvT1_
    .private_segment_fixed_size: 0
    .sgpr_count:     6
    .sgpr_spill_count: 0
    .symbol:         _ZN7rocprim17ROCPRIM_400000_NS6detail17trampoline_kernelINS0_14default_configENS1_27scan_by_key_config_selectorIxxEEZZNS1_16scan_by_key_implILNS1_25lookback_scan_determinismE0ELb1ES3_N6thrust23THRUST_200600_302600_NS6detail15normal_iteratorINS9_10device_ptrIxEEEESE_SE_xNS9_10multipliesIxEENS9_8equal_toIxEExEE10hipError_tPvRmT2_T3_T4_T5_mT6_T7_P12ihipStream_tbENKUlT_T0_E_clISt17integral_constantIbLb0EESY_IbLb1EEEEDaSU_SV_EUlSU_E_NS1_11comp_targetILNS1_3genE10ELNS1_11target_archE1201ELNS1_3gpuE5ELNS1_3repE0EEENS1_30default_config_static_selectorELNS0_4arch9wavefront6targetE1EEEvT1_.kd
    .uniform_work_group_size: 1
    .uses_dynamic_stack: false
    .vgpr_count:     0
    .vgpr_spill_count: 0
    .wavefront_size: 64
  - .agpr_count:     0
    .args:
      - .offset:         0
        .size:           136
        .value_kind:     by_value
    .group_segment_fixed_size: 32768
    .kernarg_segment_align: 8
    .kernarg_segment_size: 136
    .language:       OpenCL C
    .language_version:
      - 2
      - 0
    .max_flat_workgroup_size: 256
    .name:           _ZN7rocprim17ROCPRIM_400000_NS6detail17trampoline_kernelINS0_14default_configENS1_27scan_by_key_config_selectorIxxEEZZNS1_16scan_by_key_implILNS1_25lookback_scan_determinismE0ELb1ES3_N6thrust23THRUST_200600_302600_NS6detail15normal_iteratorINS9_10device_ptrIxEEEESE_SE_xNS9_10multipliesIxEENS9_8equal_toIxEExEE10hipError_tPvRmT2_T3_T4_T5_mT6_T7_P12ihipStream_tbENKUlT_T0_E_clISt17integral_constantIbLb0EESY_IbLb1EEEEDaSU_SV_EUlSU_E_NS1_11comp_targetILNS1_3genE5ELNS1_11target_archE942ELNS1_3gpuE9ELNS1_3repE0EEENS1_30default_config_static_selectorELNS0_4arch9wavefront6targetE1EEEvT1_
    .private_segment_fixed_size: 0
    .sgpr_count:     67
    .sgpr_spill_count: 0
    .symbol:         _ZN7rocprim17ROCPRIM_400000_NS6detail17trampoline_kernelINS0_14default_configENS1_27scan_by_key_config_selectorIxxEEZZNS1_16scan_by_key_implILNS1_25lookback_scan_determinismE0ELb1ES3_N6thrust23THRUST_200600_302600_NS6detail15normal_iteratorINS9_10device_ptrIxEEEESE_SE_xNS9_10multipliesIxEENS9_8equal_toIxEExEE10hipError_tPvRmT2_T3_T4_T5_mT6_T7_P12ihipStream_tbENKUlT_T0_E_clISt17integral_constantIbLb0EESY_IbLb1EEEEDaSU_SV_EUlSU_E_NS1_11comp_targetILNS1_3genE5ELNS1_11target_archE942ELNS1_3gpuE9ELNS1_3repE0EEENS1_30default_config_static_selectorELNS0_4arch9wavefront6targetE1EEEvT1_.kd
    .uniform_work_group_size: 1
    .uses_dynamic_stack: false
    .vgpr_count:     89
    .vgpr_spill_count: 0
    .wavefront_size: 64
  - .agpr_count:     0
    .args:
      - .offset:         0
        .size:           136
        .value_kind:     by_value
    .group_segment_fixed_size: 0
    .kernarg_segment_align: 8
    .kernarg_segment_size: 136
    .language:       OpenCL C
    .language_version:
      - 2
      - 0
    .max_flat_workgroup_size: 64
    .name:           _ZN7rocprim17ROCPRIM_400000_NS6detail17trampoline_kernelINS0_14default_configENS1_27scan_by_key_config_selectorIxxEEZZNS1_16scan_by_key_implILNS1_25lookback_scan_determinismE0ELb1ES3_N6thrust23THRUST_200600_302600_NS6detail15normal_iteratorINS9_10device_ptrIxEEEESE_SE_xNS9_10multipliesIxEENS9_8equal_toIxEExEE10hipError_tPvRmT2_T3_T4_T5_mT6_T7_P12ihipStream_tbENKUlT_T0_E_clISt17integral_constantIbLb0EESY_IbLb1EEEEDaSU_SV_EUlSU_E_NS1_11comp_targetILNS1_3genE4ELNS1_11target_archE910ELNS1_3gpuE8ELNS1_3repE0EEENS1_30default_config_static_selectorELNS0_4arch9wavefront6targetE1EEEvT1_
    .private_segment_fixed_size: 0
    .sgpr_count:     6
    .sgpr_spill_count: 0
    .symbol:         _ZN7rocprim17ROCPRIM_400000_NS6detail17trampoline_kernelINS0_14default_configENS1_27scan_by_key_config_selectorIxxEEZZNS1_16scan_by_key_implILNS1_25lookback_scan_determinismE0ELb1ES3_N6thrust23THRUST_200600_302600_NS6detail15normal_iteratorINS9_10device_ptrIxEEEESE_SE_xNS9_10multipliesIxEENS9_8equal_toIxEExEE10hipError_tPvRmT2_T3_T4_T5_mT6_T7_P12ihipStream_tbENKUlT_T0_E_clISt17integral_constantIbLb0EESY_IbLb1EEEEDaSU_SV_EUlSU_E_NS1_11comp_targetILNS1_3genE4ELNS1_11target_archE910ELNS1_3gpuE8ELNS1_3repE0EEENS1_30default_config_static_selectorELNS0_4arch9wavefront6targetE1EEEvT1_.kd
    .uniform_work_group_size: 1
    .uses_dynamic_stack: false
    .vgpr_count:     0
    .vgpr_spill_count: 0
    .wavefront_size: 64
  - .agpr_count:     0
    .args:
      - .offset:         0
        .size:           136
        .value_kind:     by_value
    .group_segment_fixed_size: 0
    .kernarg_segment_align: 8
    .kernarg_segment_size: 136
    .language:       OpenCL C
    .language_version:
      - 2
      - 0
    .max_flat_workgroup_size: 256
    .name:           _ZN7rocprim17ROCPRIM_400000_NS6detail17trampoline_kernelINS0_14default_configENS1_27scan_by_key_config_selectorIxxEEZZNS1_16scan_by_key_implILNS1_25lookback_scan_determinismE0ELb1ES3_N6thrust23THRUST_200600_302600_NS6detail15normal_iteratorINS9_10device_ptrIxEEEESE_SE_xNS9_10multipliesIxEENS9_8equal_toIxEExEE10hipError_tPvRmT2_T3_T4_T5_mT6_T7_P12ihipStream_tbENKUlT_T0_E_clISt17integral_constantIbLb0EESY_IbLb1EEEEDaSU_SV_EUlSU_E_NS1_11comp_targetILNS1_3genE3ELNS1_11target_archE908ELNS1_3gpuE7ELNS1_3repE0EEENS1_30default_config_static_selectorELNS0_4arch9wavefront6targetE1EEEvT1_
    .private_segment_fixed_size: 0
    .sgpr_count:     6
    .sgpr_spill_count: 0
    .symbol:         _ZN7rocprim17ROCPRIM_400000_NS6detail17trampoline_kernelINS0_14default_configENS1_27scan_by_key_config_selectorIxxEEZZNS1_16scan_by_key_implILNS1_25lookback_scan_determinismE0ELb1ES3_N6thrust23THRUST_200600_302600_NS6detail15normal_iteratorINS9_10device_ptrIxEEEESE_SE_xNS9_10multipliesIxEENS9_8equal_toIxEExEE10hipError_tPvRmT2_T3_T4_T5_mT6_T7_P12ihipStream_tbENKUlT_T0_E_clISt17integral_constantIbLb0EESY_IbLb1EEEEDaSU_SV_EUlSU_E_NS1_11comp_targetILNS1_3genE3ELNS1_11target_archE908ELNS1_3gpuE7ELNS1_3repE0EEENS1_30default_config_static_selectorELNS0_4arch9wavefront6targetE1EEEvT1_.kd
    .uniform_work_group_size: 1
    .uses_dynamic_stack: false
    .vgpr_count:     0
    .vgpr_spill_count: 0
    .wavefront_size: 64
  - .agpr_count:     0
    .args:
      - .offset:         0
        .size:           136
        .value_kind:     by_value
    .group_segment_fixed_size: 0
    .kernarg_segment_align: 8
    .kernarg_segment_size: 136
    .language:       OpenCL C
    .language_version:
      - 2
      - 0
    .max_flat_workgroup_size: 256
    .name:           _ZN7rocprim17ROCPRIM_400000_NS6detail17trampoline_kernelINS0_14default_configENS1_27scan_by_key_config_selectorIxxEEZZNS1_16scan_by_key_implILNS1_25lookback_scan_determinismE0ELb1ES3_N6thrust23THRUST_200600_302600_NS6detail15normal_iteratorINS9_10device_ptrIxEEEESE_SE_xNS9_10multipliesIxEENS9_8equal_toIxEExEE10hipError_tPvRmT2_T3_T4_T5_mT6_T7_P12ihipStream_tbENKUlT_T0_E_clISt17integral_constantIbLb0EESY_IbLb1EEEEDaSU_SV_EUlSU_E_NS1_11comp_targetILNS1_3genE2ELNS1_11target_archE906ELNS1_3gpuE6ELNS1_3repE0EEENS1_30default_config_static_selectorELNS0_4arch9wavefront6targetE1EEEvT1_
    .private_segment_fixed_size: 0
    .sgpr_count:     6
    .sgpr_spill_count: 0
    .symbol:         _ZN7rocprim17ROCPRIM_400000_NS6detail17trampoline_kernelINS0_14default_configENS1_27scan_by_key_config_selectorIxxEEZZNS1_16scan_by_key_implILNS1_25lookback_scan_determinismE0ELb1ES3_N6thrust23THRUST_200600_302600_NS6detail15normal_iteratorINS9_10device_ptrIxEEEESE_SE_xNS9_10multipliesIxEENS9_8equal_toIxEExEE10hipError_tPvRmT2_T3_T4_T5_mT6_T7_P12ihipStream_tbENKUlT_T0_E_clISt17integral_constantIbLb0EESY_IbLb1EEEEDaSU_SV_EUlSU_E_NS1_11comp_targetILNS1_3genE2ELNS1_11target_archE906ELNS1_3gpuE6ELNS1_3repE0EEENS1_30default_config_static_selectorELNS0_4arch9wavefront6targetE1EEEvT1_.kd
    .uniform_work_group_size: 1
    .uses_dynamic_stack: false
    .vgpr_count:     0
    .vgpr_spill_count: 0
    .wavefront_size: 64
  - .agpr_count:     0
    .args:
      - .offset:         0
        .size:           136
        .value_kind:     by_value
    .group_segment_fixed_size: 0
    .kernarg_segment_align: 8
    .kernarg_segment_size: 136
    .language:       OpenCL C
    .language_version:
      - 2
      - 0
    .max_flat_workgroup_size: 256
    .name:           _ZN7rocprim17ROCPRIM_400000_NS6detail17trampoline_kernelINS0_14default_configENS1_27scan_by_key_config_selectorIxxEEZZNS1_16scan_by_key_implILNS1_25lookback_scan_determinismE0ELb1ES3_N6thrust23THRUST_200600_302600_NS6detail15normal_iteratorINS9_10device_ptrIxEEEESE_SE_xNS9_10multipliesIxEENS9_8equal_toIxEExEE10hipError_tPvRmT2_T3_T4_T5_mT6_T7_P12ihipStream_tbENKUlT_T0_E_clISt17integral_constantIbLb0EESY_IbLb1EEEEDaSU_SV_EUlSU_E_NS1_11comp_targetILNS1_3genE10ELNS1_11target_archE1200ELNS1_3gpuE4ELNS1_3repE0EEENS1_30default_config_static_selectorELNS0_4arch9wavefront6targetE1EEEvT1_
    .private_segment_fixed_size: 0
    .sgpr_count:     6
    .sgpr_spill_count: 0
    .symbol:         _ZN7rocprim17ROCPRIM_400000_NS6detail17trampoline_kernelINS0_14default_configENS1_27scan_by_key_config_selectorIxxEEZZNS1_16scan_by_key_implILNS1_25lookback_scan_determinismE0ELb1ES3_N6thrust23THRUST_200600_302600_NS6detail15normal_iteratorINS9_10device_ptrIxEEEESE_SE_xNS9_10multipliesIxEENS9_8equal_toIxEExEE10hipError_tPvRmT2_T3_T4_T5_mT6_T7_P12ihipStream_tbENKUlT_T0_E_clISt17integral_constantIbLb0EESY_IbLb1EEEEDaSU_SV_EUlSU_E_NS1_11comp_targetILNS1_3genE10ELNS1_11target_archE1200ELNS1_3gpuE4ELNS1_3repE0EEENS1_30default_config_static_selectorELNS0_4arch9wavefront6targetE1EEEvT1_.kd
    .uniform_work_group_size: 1
    .uses_dynamic_stack: false
    .vgpr_count:     0
    .vgpr_spill_count: 0
    .wavefront_size: 64
  - .agpr_count:     0
    .args:
      - .offset:         0
        .size:           136
        .value_kind:     by_value
    .group_segment_fixed_size: 0
    .kernarg_segment_align: 8
    .kernarg_segment_size: 136
    .language:       OpenCL C
    .language_version:
      - 2
      - 0
    .max_flat_workgroup_size: 256
    .name:           _ZN7rocprim17ROCPRIM_400000_NS6detail17trampoline_kernelINS0_14default_configENS1_27scan_by_key_config_selectorIxxEEZZNS1_16scan_by_key_implILNS1_25lookback_scan_determinismE0ELb1ES3_N6thrust23THRUST_200600_302600_NS6detail15normal_iteratorINS9_10device_ptrIxEEEESE_SE_xNS9_10multipliesIxEENS9_8equal_toIxEExEE10hipError_tPvRmT2_T3_T4_T5_mT6_T7_P12ihipStream_tbENKUlT_T0_E_clISt17integral_constantIbLb0EESY_IbLb1EEEEDaSU_SV_EUlSU_E_NS1_11comp_targetILNS1_3genE9ELNS1_11target_archE1100ELNS1_3gpuE3ELNS1_3repE0EEENS1_30default_config_static_selectorELNS0_4arch9wavefront6targetE1EEEvT1_
    .private_segment_fixed_size: 0
    .sgpr_count:     6
    .sgpr_spill_count: 0
    .symbol:         _ZN7rocprim17ROCPRIM_400000_NS6detail17trampoline_kernelINS0_14default_configENS1_27scan_by_key_config_selectorIxxEEZZNS1_16scan_by_key_implILNS1_25lookback_scan_determinismE0ELb1ES3_N6thrust23THRUST_200600_302600_NS6detail15normal_iteratorINS9_10device_ptrIxEEEESE_SE_xNS9_10multipliesIxEENS9_8equal_toIxEExEE10hipError_tPvRmT2_T3_T4_T5_mT6_T7_P12ihipStream_tbENKUlT_T0_E_clISt17integral_constantIbLb0EESY_IbLb1EEEEDaSU_SV_EUlSU_E_NS1_11comp_targetILNS1_3genE9ELNS1_11target_archE1100ELNS1_3gpuE3ELNS1_3repE0EEENS1_30default_config_static_selectorELNS0_4arch9wavefront6targetE1EEEvT1_.kd
    .uniform_work_group_size: 1
    .uses_dynamic_stack: false
    .vgpr_count:     0
    .vgpr_spill_count: 0
    .wavefront_size: 64
  - .agpr_count:     0
    .args:
      - .offset:         0
        .size:           136
        .value_kind:     by_value
    .group_segment_fixed_size: 0
    .kernarg_segment_align: 8
    .kernarg_segment_size: 136
    .language:       OpenCL C
    .language_version:
      - 2
      - 0
    .max_flat_workgroup_size: 256
    .name:           _ZN7rocprim17ROCPRIM_400000_NS6detail17trampoline_kernelINS0_14default_configENS1_27scan_by_key_config_selectorIxxEEZZNS1_16scan_by_key_implILNS1_25lookback_scan_determinismE0ELb1ES3_N6thrust23THRUST_200600_302600_NS6detail15normal_iteratorINS9_10device_ptrIxEEEESE_SE_xNS9_10multipliesIxEENS9_8equal_toIxEExEE10hipError_tPvRmT2_T3_T4_T5_mT6_T7_P12ihipStream_tbENKUlT_T0_E_clISt17integral_constantIbLb0EESY_IbLb1EEEEDaSU_SV_EUlSU_E_NS1_11comp_targetILNS1_3genE8ELNS1_11target_archE1030ELNS1_3gpuE2ELNS1_3repE0EEENS1_30default_config_static_selectorELNS0_4arch9wavefront6targetE1EEEvT1_
    .private_segment_fixed_size: 0
    .sgpr_count:     6
    .sgpr_spill_count: 0
    .symbol:         _ZN7rocprim17ROCPRIM_400000_NS6detail17trampoline_kernelINS0_14default_configENS1_27scan_by_key_config_selectorIxxEEZZNS1_16scan_by_key_implILNS1_25lookback_scan_determinismE0ELb1ES3_N6thrust23THRUST_200600_302600_NS6detail15normal_iteratorINS9_10device_ptrIxEEEESE_SE_xNS9_10multipliesIxEENS9_8equal_toIxEExEE10hipError_tPvRmT2_T3_T4_T5_mT6_T7_P12ihipStream_tbENKUlT_T0_E_clISt17integral_constantIbLb0EESY_IbLb1EEEEDaSU_SV_EUlSU_E_NS1_11comp_targetILNS1_3genE8ELNS1_11target_archE1030ELNS1_3gpuE2ELNS1_3repE0EEENS1_30default_config_static_selectorELNS0_4arch9wavefront6targetE1EEEvT1_.kd
    .uniform_work_group_size: 1
    .uses_dynamic_stack: false
    .vgpr_count:     0
    .vgpr_spill_count: 0
    .wavefront_size: 64
  - .agpr_count:     0
    .args:
      - .offset:         0
        .size:           136
        .value_kind:     by_value
    .group_segment_fixed_size: 0
    .kernarg_segment_align: 8
    .kernarg_segment_size: 136
    .language:       OpenCL C
    .language_version:
      - 2
      - 0
    .max_flat_workgroup_size: 256
    .name:           _ZN7rocprim17ROCPRIM_400000_NS6detail17trampoline_kernelINS0_14default_configENS1_27scan_by_key_config_selectorIxxEEZZNS1_16scan_by_key_implILNS1_25lookback_scan_determinismE0ELb1ES3_N6thrust23THRUST_200600_302600_NS6detail15normal_iteratorINS9_10device_ptrIxEEEESE_SE_xNS9_4plusIvEENS9_8equal_toIxEExEE10hipError_tPvRmT2_T3_T4_T5_mT6_T7_P12ihipStream_tbENKUlT_T0_E_clISt17integral_constantIbLb0EESZ_EEDaSU_SV_EUlSU_E_NS1_11comp_targetILNS1_3genE0ELNS1_11target_archE4294967295ELNS1_3gpuE0ELNS1_3repE0EEENS1_30default_config_static_selectorELNS0_4arch9wavefront6targetE1EEEvT1_
    .private_segment_fixed_size: 0
    .sgpr_count:     6
    .sgpr_spill_count: 0
    .symbol:         _ZN7rocprim17ROCPRIM_400000_NS6detail17trampoline_kernelINS0_14default_configENS1_27scan_by_key_config_selectorIxxEEZZNS1_16scan_by_key_implILNS1_25lookback_scan_determinismE0ELb1ES3_N6thrust23THRUST_200600_302600_NS6detail15normal_iteratorINS9_10device_ptrIxEEEESE_SE_xNS9_4plusIvEENS9_8equal_toIxEExEE10hipError_tPvRmT2_T3_T4_T5_mT6_T7_P12ihipStream_tbENKUlT_T0_E_clISt17integral_constantIbLb0EESZ_EEDaSU_SV_EUlSU_E_NS1_11comp_targetILNS1_3genE0ELNS1_11target_archE4294967295ELNS1_3gpuE0ELNS1_3repE0EEENS1_30default_config_static_selectorELNS0_4arch9wavefront6targetE1EEEvT1_.kd
    .uniform_work_group_size: 1
    .uses_dynamic_stack: false
    .vgpr_count:     0
    .vgpr_spill_count: 0
    .wavefront_size: 64
  - .agpr_count:     0
    .args:
      - .offset:         0
        .size:           136
        .value_kind:     by_value
    .group_segment_fixed_size: 0
    .kernarg_segment_align: 8
    .kernarg_segment_size: 136
    .language:       OpenCL C
    .language_version:
      - 2
      - 0
    .max_flat_workgroup_size: 256
    .name:           _ZN7rocprim17ROCPRIM_400000_NS6detail17trampoline_kernelINS0_14default_configENS1_27scan_by_key_config_selectorIxxEEZZNS1_16scan_by_key_implILNS1_25lookback_scan_determinismE0ELb1ES3_N6thrust23THRUST_200600_302600_NS6detail15normal_iteratorINS9_10device_ptrIxEEEESE_SE_xNS9_4plusIvEENS9_8equal_toIxEExEE10hipError_tPvRmT2_T3_T4_T5_mT6_T7_P12ihipStream_tbENKUlT_T0_E_clISt17integral_constantIbLb0EESZ_EEDaSU_SV_EUlSU_E_NS1_11comp_targetILNS1_3genE10ELNS1_11target_archE1201ELNS1_3gpuE5ELNS1_3repE0EEENS1_30default_config_static_selectorELNS0_4arch9wavefront6targetE1EEEvT1_
    .private_segment_fixed_size: 0
    .sgpr_count:     6
    .sgpr_spill_count: 0
    .symbol:         _ZN7rocprim17ROCPRIM_400000_NS6detail17trampoline_kernelINS0_14default_configENS1_27scan_by_key_config_selectorIxxEEZZNS1_16scan_by_key_implILNS1_25lookback_scan_determinismE0ELb1ES3_N6thrust23THRUST_200600_302600_NS6detail15normal_iteratorINS9_10device_ptrIxEEEESE_SE_xNS9_4plusIvEENS9_8equal_toIxEExEE10hipError_tPvRmT2_T3_T4_T5_mT6_T7_P12ihipStream_tbENKUlT_T0_E_clISt17integral_constantIbLb0EESZ_EEDaSU_SV_EUlSU_E_NS1_11comp_targetILNS1_3genE10ELNS1_11target_archE1201ELNS1_3gpuE5ELNS1_3repE0EEENS1_30default_config_static_selectorELNS0_4arch9wavefront6targetE1EEEvT1_.kd
    .uniform_work_group_size: 1
    .uses_dynamic_stack: false
    .vgpr_count:     0
    .vgpr_spill_count: 0
    .wavefront_size: 64
  - .agpr_count:     0
    .args:
      - .offset:         0
        .size:           136
        .value_kind:     by_value
    .group_segment_fixed_size: 32768
    .kernarg_segment_align: 8
    .kernarg_segment_size: 136
    .language:       OpenCL C
    .language_version:
      - 2
      - 0
    .max_flat_workgroup_size: 256
    .name:           _ZN7rocprim17ROCPRIM_400000_NS6detail17trampoline_kernelINS0_14default_configENS1_27scan_by_key_config_selectorIxxEEZZNS1_16scan_by_key_implILNS1_25lookback_scan_determinismE0ELb1ES3_N6thrust23THRUST_200600_302600_NS6detail15normal_iteratorINS9_10device_ptrIxEEEESE_SE_xNS9_4plusIvEENS9_8equal_toIxEExEE10hipError_tPvRmT2_T3_T4_T5_mT6_T7_P12ihipStream_tbENKUlT_T0_E_clISt17integral_constantIbLb0EESZ_EEDaSU_SV_EUlSU_E_NS1_11comp_targetILNS1_3genE5ELNS1_11target_archE942ELNS1_3gpuE9ELNS1_3repE0EEENS1_30default_config_static_selectorELNS0_4arch9wavefront6targetE1EEEvT1_
    .private_segment_fixed_size: 0
    .sgpr_count:     70
    .sgpr_spill_count: 0
    .symbol:         _ZN7rocprim17ROCPRIM_400000_NS6detail17trampoline_kernelINS0_14default_configENS1_27scan_by_key_config_selectorIxxEEZZNS1_16scan_by_key_implILNS1_25lookback_scan_determinismE0ELb1ES3_N6thrust23THRUST_200600_302600_NS6detail15normal_iteratorINS9_10device_ptrIxEEEESE_SE_xNS9_4plusIvEENS9_8equal_toIxEExEE10hipError_tPvRmT2_T3_T4_T5_mT6_T7_P12ihipStream_tbENKUlT_T0_E_clISt17integral_constantIbLb0EESZ_EEDaSU_SV_EUlSU_E_NS1_11comp_targetILNS1_3genE5ELNS1_11target_archE942ELNS1_3gpuE9ELNS1_3repE0EEENS1_30default_config_static_selectorELNS0_4arch9wavefront6targetE1EEEvT1_.kd
    .uniform_work_group_size: 1
    .uses_dynamic_stack: false
    .vgpr_count:     85
    .vgpr_spill_count: 0
    .wavefront_size: 64
  - .agpr_count:     0
    .args:
      - .offset:         0
        .size:           136
        .value_kind:     by_value
    .group_segment_fixed_size: 0
    .kernarg_segment_align: 8
    .kernarg_segment_size: 136
    .language:       OpenCL C
    .language_version:
      - 2
      - 0
    .max_flat_workgroup_size: 64
    .name:           _ZN7rocprim17ROCPRIM_400000_NS6detail17trampoline_kernelINS0_14default_configENS1_27scan_by_key_config_selectorIxxEEZZNS1_16scan_by_key_implILNS1_25lookback_scan_determinismE0ELb1ES3_N6thrust23THRUST_200600_302600_NS6detail15normal_iteratorINS9_10device_ptrIxEEEESE_SE_xNS9_4plusIvEENS9_8equal_toIxEExEE10hipError_tPvRmT2_T3_T4_T5_mT6_T7_P12ihipStream_tbENKUlT_T0_E_clISt17integral_constantIbLb0EESZ_EEDaSU_SV_EUlSU_E_NS1_11comp_targetILNS1_3genE4ELNS1_11target_archE910ELNS1_3gpuE8ELNS1_3repE0EEENS1_30default_config_static_selectorELNS0_4arch9wavefront6targetE1EEEvT1_
    .private_segment_fixed_size: 0
    .sgpr_count:     6
    .sgpr_spill_count: 0
    .symbol:         _ZN7rocprim17ROCPRIM_400000_NS6detail17trampoline_kernelINS0_14default_configENS1_27scan_by_key_config_selectorIxxEEZZNS1_16scan_by_key_implILNS1_25lookback_scan_determinismE0ELb1ES3_N6thrust23THRUST_200600_302600_NS6detail15normal_iteratorINS9_10device_ptrIxEEEESE_SE_xNS9_4plusIvEENS9_8equal_toIxEExEE10hipError_tPvRmT2_T3_T4_T5_mT6_T7_P12ihipStream_tbENKUlT_T0_E_clISt17integral_constantIbLb0EESZ_EEDaSU_SV_EUlSU_E_NS1_11comp_targetILNS1_3genE4ELNS1_11target_archE910ELNS1_3gpuE8ELNS1_3repE0EEENS1_30default_config_static_selectorELNS0_4arch9wavefront6targetE1EEEvT1_.kd
    .uniform_work_group_size: 1
    .uses_dynamic_stack: false
    .vgpr_count:     0
    .vgpr_spill_count: 0
    .wavefront_size: 64
  - .agpr_count:     0
    .args:
      - .offset:         0
        .size:           136
        .value_kind:     by_value
    .group_segment_fixed_size: 0
    .kernarg_segment_align: 8
    .kernarg_segment_size: 136
    .language:       OpenCL C
    .language_version:
      - 2
      - 0
    .max_flat_workgroup_size: 256
    .name:           _ZN7rocprim17ROCPRIM_400000_NS6detail17trampoline_kernelINS0_14default_configENS1_27scan_by_key_config_selectorIxxEEZZNS1_16scan_by_key_implILNS1_25lookback_scan_determinismE0ELb1ES3_N6thrust23THRUST_200600_302600_NS6detail15normal_iteratorINS9_10device_ptrIxEEEESE_SE_xNS9_4plusIvEENS9_8equal_toIxEExEE10hipError_tPvRmT2_T3_T4_T5_mT6_T7_P12ihipStream_tbENKUlT_T0_E_clISt17integral_constantIbLb0EESZ_EEDaSU_SV_EUlSU_E_NS1_11comp_targetILNS1_3genE3ELNS1_11target_archE908ELNS1_3gpuE7ELNS1_3repE0EEENS1_30default_config_static_selectorELNS0_4arch9wavefront6targetE1EEEvT1_
    .private_segment_fixed_size: 0
    .sgpr_count:     6
    .sgpr_spill_count: 0
    .symbol:         _ZN7rocprim17ROCPRIM_400000_NS6detail17trampoline_kernelINS0_14default_configENS1_27scan_by_key_config_selectorIxxEEZZNS1_16scan_by_key_implILNS1_25lookback_scan_determinismE0ELb1ES3_N6thrust23THRUST_200600_302600_NS6detail15normal_iteratorINS9_10device_ptrIxEEEESE_SE_xNS9_4plusIvEENS9_8equal_toIxEExEE10hipError_tPvRmT2_T3_T4_T5_mT6_T7_P12ihipStream_tbENKUlT_T0_E_clISt17integral_constantIbLb0EESZ_EEDaSU_SV_EUlSU_E_NS1_11comp_targetILNS1_3genE3ELNS1_11target_archE908ELNS1_3gpuE7ELNS1_3repE0EEENS1_30default_config_static_selectorELNS0_4arch9wavefront6targetE1EEEvT1_.kd
    .uniform_work_group_size: 1
    .uses_dynamic_stack: false
    .vgpr_count:     0
    .vgpr_spill_count: 0
    .wavefront_size: 64
  - .agpr_count:     0
    .args:
      - .offset:         0
        .size:           136
        .value_kind:     by_value
    .group_segment_fixed_size: 0
    .kernarg_segment_align: 8
    .kernarg_segment_size: 136
    .language:       OpenCL C
    .language_version:
      - 2
      - 0
    .max_flat_workgroup_size: 256
    .name:           _ZN7rocprim17ROCPRIM_400000_NS6detail17trampoline_kernelINS0_14default_configENS1_27scan_by_key_config_selectorIxxEEZZNS1_16scan_by_key_implILNS1_25lookback_scan_determinismE0ELb1ES3_N6thrust23THRUST_200600_302600_NS6detail15normal_iteratorINS9_10device_ptrIxEEEESE_SE_xNS9_4plusIvEENS9_8equal_toIxEExEE10hipError_tPvRmT2_T3_T4_T5_mT6_T7_P12ihipStream_tbENKUlT_T0_E_clISt17integral_constantIbLb0EESZ_EEDaSU_SV_EUlSU_E_NS1_11comp_targetILNS1_3genE2ELNS1_11target_archE906ELNS1_3gpuE6ELNS1_3repE0EEENS1_30default_config_static_selectorELNS0_4arch9wavefront6targetE1EEEvT1_
    .private_segment_fixed_size: 0
    .sgpr_count:     6
    .sgpr_spill_count: 0
    .symbol:         _ZN7rocprim17ROCPRIM_400000_NS6detail17trampoline_kernelINS0_14default_configENS1_27scan_by_key_config_selectorIxxEEZZNS1_16scan_by_key_implILNS1_25lookback_scan_determinismE0ELb1ES3_N6thrust23THRUST_200600_302600_NS6detail15normal_iteratorINS9_10device_ptrIxEEEESE_SE_xNS9_4plusIvEENS9_8equal_toIxEExEE10hipError_tPvRmT2_T3_T4_T5_mT6_T7_P12ihipStream_tbENKUlT_T0_E_clISt17integral_constantIbLb0EESZ_EEDaSU_SV_EUlSU_E_NS1_11comp_targetILNS1_3genE2ELNS1_11target_archE906ELNS1_3gpuE6ELNS1_3repE0EEENS1_30default_config_static_selectorELNS0_4arch9wavefront6targetE1EEEvT1_.kd
    .uniform_work_group_size: 1
    .uses_dynamic_stack: false
    .vgpr_count:     0
    .vgpr_spill_count: 0
    .wavefront_size: 64
  - .agpr_count:     0
    .args:
      - .offset:         0
        .size:           136
        .value_kind:     by_value
    .group_segment_fixed_size: 0
    .kernarg_segment_align: 8
    .kernarg_segment_size: 136
    .language:       OpenCL C
    .language_version:
      - 2
      - 0
    .max_flat_workgroup_size: 256
    .name:           _ZN7rocprim17ROCPRIM_400000_NS6detail17trampoline_kernelINS0_14default_configENS1_27scan_by_key_config_selectorIxxEEZZNS1_16scan_by_key_implILNS1_25lookback_scan_determinismE0ELb1ES3_N6thrust23THRUST_200600_302600_NS6detail15normal_iteratorINS9_10device_ptrIxEEEESE_SE_xNS9_4plusIvEENS9_8equal_toIxEExEE10hipError_tPvRmT2_T3_T4_T5_mT6_T7_P12ihipStream_tbENKUlT_T0_E_clISt17integral_constantIbLb0EESZ_EEDaSU_SV_EUlSU_E_NS1_11comp_targetILNS1_3genE10ELNS1_11target_archE1200ELNS1_3gpuE4ELNS1_3repE0EEENS1_30default_config_static_selectorELNS0_4arch9wavefront6targetE1EEEvT1_
    .private_segment_fixed_size: 0
    .sgpr_count:     6
    .sgpr_spill_count: 0
    .symbol:         _ZN7rocprim17ROCPRIM_400000_NS6detail17trampoline_kernelINS0_14default_configENS1_27scan_by_key_config_selectorIxxEEZZNS1_16scan_by_key_implILNS1_25lookback_scan_determinismE0ELb1ES3_N6thrust23THRUST_200600_302600_NS6detail15normal_iteratorINS9_10device_ptrIxEEEESE_SE_xNS9_4plusIvEENS9_8equal_toIxEExEE10hipError_tPvRmT2_T3_T4_T5_mT6_T7_P12ihipStream_tbENKUlT_T0_E_clISt17integral_constantIbLb0EESZ_EEDaSU_SV_EUlSU_E_NS1_11comp_targetILNS1_3genE10ELNS1_11target_archE1200ELNS1_3gpuE4ELNS1_3repE0EEENS1_30default_config_static_selectorELNS0_4arch9wavefront6targetE1EEEvT1_.kd
    .uniform_work_group_size: 1
    .uses_dynamic_stack: false
    .vgpr_count:     0
    .vgpr_spill_count: 0
    .wavefront_size: 64
  - .agpr_count:     0
    .args:
      - .offset:         0
        .size:           136
        .value_kind:     by_value
    .group_segment_fixed_size: 0
    .kernarg_segment_align: 8
    .kernarg_segment_size: 136
    .language:       OpenCL C
    .language_version:
      - 2
      - 0
    .max_flat_workgroup_size: 256
    .name:           _ZN7rocprim17ROCPRIM_400000_NS6detail17trampoline_kernelINS0_14default_configENS1_27scan_by_key_config_selectorIxxEEZZNS1_16scan_by_key_implILNS1_25lookback_scan_determinismE0ELb1ES3_N6thrust23THRUST_200600_302600_NS6detail15normal_iteratorINS9_10device_ptrIxEEEESE_SE_xNS9_4plusIvEENS9_8equal_toIxEExEE10hipError_tPvRmT2_T3_T4_T5_mT6_T7_P12ihipStream_tbENKUlT_T0_E_clISt17integral_constantIbLb0EESZ_EEDaSU_SV_EUlSU_E_NS1_11comp_targetILNS1_3genE9ELNS1_11target_archE1100ELNS1_3gpuE3ELNS1_3repE0EEENS1_30default_config_static_selectorELNS0_4arch9wavefront6targetE1EEEvT1_
    .private_segment_fixed_size: 0
    .sgpr_count:     6
    .sgpr_spill_count: 0
    .symbol:         _ZN7rocprim17ROCPRIM_400000_NS6detail17trampoline_kernelINS0_14default_configENS1_27scan_by_key_config_selectorIxxEEZZNS1_16scan_by_key_implILNS1_25lookback_scan_determinismE0ELb1ES3_N6thrust23THRUST_200600_302600_NS6detail15normal_iteratorINS9_10device_ptrIxEEEESE_SE_xNS9_4plusIvEENS9_8equal_toIxEExEE10hipError_tPvRmT2_T3_T4_T5_mT6_T7_P12ihipStream_tbENKUlT_T0_E_clISt17integral_constantIbLb0EESZ_EEDaSU_SV_EUlSU_E_NS1_11comp_targetILNS1_3genE9ELNS1_11target_archE1100ELNS1_3gpuE3ELNS1_3repE0EEENS1_30default_config_static_selectorELNS0_4arch9wavefront6targetE1EEEvT1_.kd
    .uniform_work_group_size: 1
    .uses_dynamic_stack: false
    .vgpr_count:     0
    .vgpr_spill_count: 0
    .wavefront_size: 64
  - .agpr_count:     0
    .args:
      - .offset:         0
        .size:           136
        .value_kind:     by_value
    .group_segment_fixed_size: 0
    .kernarg_segment_align: 8
    .kernarg_segment_size: 136
    .language:       OpenCL C
    .language_version:
      - 2
      - 0
    .max_flat_workgroup_size: 256
    .name:           _ZN7rocprim17ROCPRIM_400000_NS6detail17trampoline_kernelINS0_14default_configENS1_27scan_by_key_config_selectorIxxEEZZNS1_16scan_by_key_implILNS1_25lookback_scan_determinismE0ELb1ES3_N6thrust23THRUST_200600_302600_NS6detail15normal_iteratorINS9_10device_ptrIxEEEESE_SE_xNS9_4plusIvEENS9_8equal_toIxEExEE10hipError_tPvRmT2_T3_T4_T5_mT6_T7_P12ihipStream_tbENKUlT_T0_E_clISt17integral_constantIbLb0EESZ_EEDaSU_SV_EUlSU_E_NS1_11comp_targetILNS1_3genE8ELNS1_11target_archE1030ELNS1_3gpuE2ELNS1_3repE0EEENS1_30default_config_static_selectorELNS0_4arch9wavefront6targetE1EEEvT1_
    .private_segment_fixed_size: 0
    .sgpr_count:     6
    .sgpr_spill_count: 0
    .symbol:         _ZN7rocprim17ROCPRIM_400000_NS6detail17trampoline_kernelINS0_14default_configENS1_27scan_by_key_config_selectorIxxEEZZNS1_16scan_by_key_implILNS1_25lookback_scan_determinismE0ELb1ES3_N6thrust23THRUST_200600_302600_NS6detail15normal_iteratorINS9_10device_ptrIxEEEESE_SE_xNS9_4plusIvEENS9_8equal_toIxEExEE10hipError_tPvRmT2_T3_T4_T5_mT6_T7_P12ihipStream_tbENKUlT_T0_E_clISt17integral_constantIbLb0EESZ_EEDaSU_SV_EUlSU_E_NS1_11comp_targetILNS1_3genE8ELNS1_11target_archE1030ELNS1_3gpuE2ELNS1_3repE0EEENS1_30default_config_static_selectorELNS0_4arch9wavefront6targetE1EEEvT1_.kd
    .uniform_work_group_size: 1
    .uses_dynamic_stack: false
    .vgpr_count:     0
    .vgpr_spill_count: 0
    .wavefront_size: 64
  - .agpr_count:     0
    .args:
      - .offset:         0
        .size:           136
        .value_kind:     by_value
    .group_segment_fixed_size: 0
    .kernarg_segment_align: 8
    .kernarg_segment_size: 136
    .language:       OpenCL C
    .language_version:
      - 2
      - 0
    .max_flat_workgroup_size: 256
    .name:           _ZN7rocprim17ROCPRIM_400000_NS6detail17trampoline_kernelINS0_14default_configENS1_27scan_by_key_config_selectorIxxEEZZNS1_16scan_by_key_implILNS1_25lookback_scan_determinismE0ELb1ES3_N6thrust23THRUST_200600_302600_NS6detail15normal_iteratorINS9_10device_ptrIxEEEESE_SE_xNS9_4plusIvEENS9_8equal_toIxEExEE10hipError_tPvRmT2_T3_T4_T5_mT6_T7_P12ihipStream_tbENKUlT_T0_E_clISt17integral_constantIbLb1EESZ_EEDaSU_SV_EUlSU_E_NS1_11comp_targetILNS1_3genE0ELNS1_11target_archE4294967295ELNS1_3gpuE0ELNS1_3repE0EEENS1_30default_config_static_selectorELNS0_4arch9wavefront6targetE1EEEvT1_
    .private_segment_fixed_size: 0
    .sgpr_count:     6
    .sgpr_spill_count: 0
    .symbol:         _ZN7rocprim17ROCPRIM_400000_NS6detail17trampoline_kernelINS0_14default_configENS1_27scan_by_key_config_selectorIxxEEZZNS1_16scan_by_key_implILNS1_25lookback_scan_determinismE0ELb1ES3_N6thrust23THRUST_200600_302600_NS6detail15normal_iteratorINS9_10device_ptrIxEEEESE_SE_xNS9_4plusIvEENS9_8equal_toIxEExEE10hipError_tPvRmT2_T3_T4_T5_mT6_T7_P12ihipStream_tbENKUlT_T0_E_clISt17integral_constantIbLb1EESZ_EEDaSU_SV_EUlSU_E_NS1_11comp_targetILNS1_3genE0ELNS1_11target_archE4294967295ELNS1_3gpuE0ELNS1_3repE0EEENS1_30default_config_static_selectorELNS0_4arch9wavefront6targetE1EEEvT1_.kd
    .uniform_work_group_size: 1
    .uses_dynamic_stack: false
    .vgpr_count:     0
    .vgpr_spill_count: 0
    .wavefront_size: 64
  - .agpr_count:     0
    .args:
      - .offset:         0
        .size:           136
        .value_kind:     by_value
    .group_segment_fixed_size: 0
    .kernarg_segment_align: 8
    .kernarg_segment_size: 136
    .language:       OpenCL C
    .language_version:
      - 2
      - 0
    .max_flat_workgroup_size: 256
    .name:           _ZN7rocprim17ROCPRIM_400000_NS6detail17trampoline_kernelINS0_14default_configENS1_27scan_by_key_config_selectorIxxEEZZNS1_16scan_by_key_implILNS1_25lookback_scan_determinismE0ELb1ES3_N6thrust23THRUST_200600_302600_NS6detail15normal_iteratorINS9_10device_ptrIxEEEESE_SE_xNS9_4plusIvEENS9_8equal_toIxEExEE10hipError_tPvRmT2_T3_T4_T5_mT6_T7_P12ihipStream_tbENKUlT_T0_E_clISt17integral_constantIbLb1EESZ_EEDaSU_SV_EUlSU_E_NS1_11comp_targetILNS1_3genE10ELNS1_11target_archE1201ELNS1_3gpuE5ELNS1_3repE0EEENS1_30default_config_static_selectorELNS0_4arch9wavefront6targetE1EEEvT1_
    .private_segment_fixed_size: 0
    .sgpr_count:     6
    .sgpr_spill_count: 0
    .symbol:         _ZN7rocprim17ROCPRIM_400000_NS6detail17trampoline_kernelINS0_14default_configENS1_27scan_by_key_config_selectorIxxEEZZNS1_16scan_by_key_implILNS1_25lookback_scan_determinismE0ELb1ES3_N6thrust23THRUST_200600_302600_NS6detail15normal_iteratorINS9_10device_ptrIxEEEESE_SE_xNS9_4plusIvEENS9_8equal_toIxEExEE10hipError_tPvRmT2_T3_T4_T5_mT6_T7_P12ihipStream_tbENKUlT_T0_E_clISt17integral_constantIbLb1EESZ_EEDaSU_SV_EUlSU_E_NS1_11comp_targetILNS1_3genE10ELNS1_11target_archE1201ELNS1_3gpuE5ELNS1_3repE0EEENS1_30default_config_static_selectorELNS0_4arch9wavefront6targetE1EEEvT1_.kd
    .uniform_work_group_size: 1
    .uses_dynamic_stack: false
    .vgpr_count:     0
    .vgpr_spill_count: 0
    .wavefront_size: 64
  - .agpr_count:     0
    .args:
      - .offset:         0
        .size:           136
        .value_kind:     by_value
    .group_segment_fixed_size: 32768
    .kernarg_segment_align: 8
    .kernarg_segment_size: 136
    .language:       OpenCL C
    .language_version:
      - 2
      - 0
    .max_flat_workgroup_size: 256
    .name:           _ZN7rocprim17ROCPRIM_400000_NS6detail17trampoline_kernelINS0_14default_configENS1_27scan_by_key_config_selectorIxxEEZZNS1_16scan_by_key_implILNS1_25lookback_scan_determinismE0ELb1ES3_N6thrust23THRUST_200600_302600_NS6detail15normal_iteratorINS9_10device_ptrIxEEEESE_SE_xNS9_4plusIvEENS9_8equal_toIxEExEE10hipError_tPvRmT2_T3_T4_T5_mT6_T7_P12ihipStream_tbENKUlT_T0_E_clISt17integral_constantIbLb1EESZ_EEDaSU_SV_EUlSU_E_NS1_11comp_targetILNS1_3genE5ELNS1_11target_archE942ELNS1_3gpuE9ELNS1_3repE0EEENS1_30default_config_static_selectorELNS0_4arch9wavefront6targetE1EEEvT1_
    .private_segment_fixed_size: 0
    .sgpr_count:     66
    .sgpr_spill_count: 0
    .symbol:         _ZN7rocprim17ROCPRIM_400000_NS6detail17trampoline_kernelINS0_14default_configENS1_27scan_by_key_config_selectorIxxEEZZNS1_16scan_by_key_implILNS1_25lookback_scan_determinismE0ELb1ES3_N6thrust23THRUST_200600_302600_NS6detail15normal_iteratorINS9_10device_ptrIxEEEESE_SE_xNS9_4plusIvEENS9_8equal_toIxEExEE10hipError_tPvRmT2_T3_T4_T5_mT6_T7_P12ihipStream_tbENKUlT_T0_E_clISt17integral_constantIbLb1EESZ_EEDaSU_SV_EUlSU_E_NS1_11comp_targetILNS1_3genE5ELNS1_11target_archE942ELNS1_3gpuE9ELNS1_3repE0EEENS1_30default_config_static_selectorELNS0_4arch9wavefront6targetE1EEEvT1_.kd
    .uniform_work_group_size: 1
    .uses_dynamic_stack: false
    .vgpr_count:     87
    .vgpr_spill_count: 0
    .wavefront_size: 64
  - .agpr_count:     0
    .args:
      - .offset:         0
        .size:           136
        .value_kind:     by_value
    .group_segment_fixed_size: 0
    .kernarg_segment_align: 8
    .kernarg_segment_size: 136
    .language:       OpenCL C
    .language_version:
      - 2
      - 0
    .max_flat_workgroup_size: 64
    .name:           _ZN7rocprim17ROCPRIM_400000_NS6detail17trampoline_kernelINS0_14default_configENS1_27scan_by_key_config_selectorIxxEEZZNS1_16scan_by_key_implILNS1_25lookback_scan_determinismE0ELb1ES3_N6thrust23THRUST_200600_302600_NS6detail15normal_iteratorINS9_10device_ptrIxEEEESE_SE_xNS9_4plusIvEENS9_8equal_toIxEExEE10hipError_tPvRmT2_T3_T4_T5_mT6_T7_P12ihipStream_tbENKUlT_T0_E_clISt17integral_constantIbLb1EESZ_EEDaSU_SV_EUlSU_E_NS1_11comp_targetILNS1_3genE4ELNS1_11target_archE910ELNS1_3gpuE8ELNS1_3repE0EEENS1_30default_config_static_selectorELNS0_4arch9wavefront6targetE1EEEvT1_
    .private_segment_fixed_size: 0
    .sgpr_count:     6
    .sgpr_spill_count: 0
    .symbol:         _ZN7rocprim17ROCPRIM_400000_NS6detail17trampoline_kernelINS0_14default_configENS1_27scan_by_key_config_selectorIxxEEZZNS1_16scan_by_key_implILNS1_25lookback_scan_determinismE0ELb1ES3_N6thrust23THRUST_200600_302600_NS6detail15normal_iteratorINS9_10device_ptrIxEEEESE_SE_xNS9_4plusIvEENS9_8equal_toIxEExEE10hipError_tPvRmT2_T3_T4_T5_mT6_T7_P12ihipStream_tbENKUlT_T0_E_clISt17integral_constantIbLb1EESZ_EEDaSU_SV_EUlSU_E_NS1_11comp_targetILNS1_3genE4ELNS1_11target_archE910ELNS1_3gpuE8ELNS1_3repE0EEENS1_30default_config_static_selectorELNS0_4arch9wavefront6targetE1EEEvT1_.kd
    .uniform_work_group_size: 1
    .uses_dynamic_stack: false
    .vgpr_count:     0
    .vgpr_spill_count: 0
    .wavefront_size: 64
  - .agpr_count:     0
    .args:
      - .offset:         0
        .size:           136
        .value_kind:     by_value
    .group_segment_fixed_size: 0
    .kernarg_segment_align: 8
    .kernarg_segment_size: 136
    .language:       OpenCL C
    .language_version:
      - 2
      - 0
    .max_flat_workgroup_size: 256
    .name:           _ZN7rocprim17ROCPRIM_400000_NS6detail17trampoline_kernelINS0_14default_configENS1_27scan_by_key_config_selectorIxxEEZZNS1_16scan_by_key_implILNS1_25lookback_scan_determinismE0ELb1ES3_N6thrust23THRUST_200600_302600_NS6detail15normal_iteratorINS9_10device_ptrIxEEEESE_SE_xNS9_4plusIvEENS9_8equal_toIxEExEE10hipError_tPvRmT2_T3_T4_T5_mT6_T7_P12ihipStream_tbENKUlT_T0_E_clISt17integral_constantIbLb1EESZ_EEDaSU_SV_EUlSU_E_NS1_11comp_targetILNS1_3genE3ELNS1_11target_archE908ELNS1_3gpuE7ELNS1_3repE0EEENS1_30default_config_static_selectorELNS0_4arch9wavefront6targetE1EEEvT1_
    .private_segment_fixed_size: 0
    .sgpr_count:     6
    .sgpr_spill_count: 0
    .symbol:         _ZN7rocprim17ROCPRIM_400000_NS6detail17trampoline_kernelINS0_14default_configENS1_27scan_by_key_config_selectorIxxEEZZNS1_16scan_by_key_implILNS1_25lookback_scan_determinismE0ELb1ES3_N6thrust23THRUST_200600_302600_NS6detail15normal_iteratorINS9_10device_ptrIxEEEESE_SE_xNS9_4plusIvEENS9_8equal_toIxEExEE10hipError_tPvRmT2_T3_T4_T5_mT6_T7_P12ihipStream_tbENKUlT_T0_E_clISt17integral_constantIbLb1EESZ_EEDaSU_SV_EUlSU_E_NS1_11comp_targetILNS1_3genE3ELNS1_11target_archE908ELNS1_3gpuE7ELNS1_3repE0EEENS1_30default_config_static_selectorELNS0_4arch9wavefront6targetE1EEEvT1_.kd
    .uniform_work_group_size: 1
    .uses_dynamic_stack: false
    .vgpr_count:     0
    .vgpr_spill_count: 0
    .wavefront_size: 64
  - .agpr_count:     0
    .args:
      - .offset:         0
        .size:           136
        .value_kind:     by_value
    .group_segment_fixed_size: 0
    .kernarg_segment_align: 8
    .kernarg_segment_size: 136
    .language:       OpenCL C
    .language_version:
      - 2
      - 0
    .max_flat_workgroup_size: 256
    .name:           _ZN7rocprim17ROCPRIM_400000_NS6detail17trampoline_kernelINS0_14default_configENS1_27scan_by_key_config_selectorIxxEEZZNS1_16scan_by_key_implILNS1_25lookback_scan_determinismE0ELb1ES3_N6thrust23THRUST_200600_302600_NS6detail15normal_iteratorINS9_10device_ptrIxEEEESE_SE_xNS9_4plusIvEENS9_8equal_toIxEExEE10hipError_tPvRmT2_T3_T4_T5_mT6_T7_P12ihipStream_tbENKUlT_T0_E_clISt17integral_constantIbLb1EESZ_EEDaSU_SV_EUlSU_E_NS1_11comp_targetILNS1_3genE2ELNS1_11target_archE906ELNS1_3gpuE6ELNS1_3repE0EEENS1_30default_config_static_selectorELNS0_4arch9wavefront6targetE1EEEvT1_
    .private_segment_fixed_size: 0
    .sgpr_count:     6
    .sgpr_spill_count: 0
    .symbol:         _ZN7rocprim17ROCPRIM_400000_NS6detail17trampoline_kernelINS0_14default_configENS1_27scan_by_key_config_selectorIxxEEZZNS1_16scan_by_key_implILNS1_25lookback_scan_determinismE0ELb1ES3_N6thrust23THRUST_200600_302600_NS6detail15normal_iteratorINS9_10device_ptrIxEEEESE_SE_xNS9_4plusIvEENS9_8equal_toIxEExEE10hipError_tPvRmT2_T3_T4_T5_mT6_T7_P12ihipStream_tbENKUlT_T0_E_clISt17integral_constantIbLb1EESZ_EEDaSU_SV_EUlSU_E_NS1_11comp_targetILNS1_3genE2ELNS1_11target_archE906ELNS1_3gpuE6ELNS1_3repE0EEENS1_30default_config_static_selectorELNS0_4arch9wavefront6targetE1EEEvT1_.kd
    .uniform_work_group_size: 1
    .uses_dynamic_stack: false
    .vgpr_count:     0
    .vgpr_spill_count: 0
    .wavefront_size: 64
  - .agpr_count:     0
    .args:
      - .offset:         0
        .size:           136
        .value_kind:     by_value
    .group_segment_fixed_size: 0
    .kernarg_segment_align: 8
    .kernarg_segment_size: 136
    .language:       OpenCL C
    .language_version:
      - 2
      - 0
    .max_flat_workgroup_size: 256
    .name:           _ZN7rocprim17ROCPRIM_400000_NS6detail17trampoline_kernelINS0_14default_configENS1_27scan_by_key_config_selectorIxxEEZZNS1_16scan_by_key_implILNS1_25lookback_scan_determinismE0ELb1ES3_N6thrust23THRUST_200600_302600_NS6detail15normal_iteratorINS9_10device_ptrIxEEEESE_SE_xNS9_4plusIvEENS9_8equal_toIxEExEE10hipError_tPvRmT2_T3_T4_T5_mT6_T7_P12ihipStream_tbENKUlT_T0_E_clISt17integral_constantIbLb1EESZ_EEDaSU_SV_EUlSU_E_NS1_11comp_targetILNS1_3genE10ELNS1_11target_archE1200ELNS1_3gpuE4ELNS1_3repE0EEENS1_30default_config_static_selectorELNS0_4arch9wavefront6targetE1EEEvT1_
    .private_segment_fixed_size: 0
    .sgpr_count:     6
    .sgpr_spill_count: 0
    .symbol:         _ZN7rocprim17ROCPRIM_400000_NS6detail17trampoline_kernelINS0_14default_configENS1_27scan_by_key_config_selectorIxxEEZZNS1_16scan_by_key_implILNS1_25lookback_scan_determinismE0ELb1ES3_N6thrust23THRUST_200600_302600_NS6detail15normal_iteratorINS9_10device_ptrIxEEEESE_SE_xNS9_4plusIvEENS9_8equal_toIxEExEE10hipError_tPvRmT2_T3_T4_T5_mT6_T7_P12ihipStream_tbENKUlT_T0_E_clISt17integral_constantIbLb1EESZ_EEDaSU_SV_EUlSU_E_NS1_11comp_targetILNS1_3genE10ELNS1_11target_archE1200ELNS1_3gpuE4ELNS1_3repE0EEENS1_30default_config_static_selectorELNS0_4arch9wavefront6targetE1EEEvT1_.kd
    .uniform_work_group_size: 1
    .uses_dynamic_stack: false
    .vgpr_count:     0
    .vgpr_spill_count: 0
    .wavefront_size: 64
  - .agpr_count:     0
    .args:
      - .offset:         0
        .size:           136
        .value_kind:     by_value
    .group_segment_fixed_size: 0
    .kernarg_segment_align: 8
    .kernarg_segment_size: 136
    .language:       OpenCL C
    .language_version:
      - 2
      - 0
    .max_flat_workgroup_size: 256
    .name:           _ZN7rocprim17ROCPRIM_400000_NS6detail17trampoline_kernelINS0_14default_configENS1_27scan_by_key_config_selectorIxxEEZZNS1_16scan_by_key_implILNS1_25lookback_scan_determinismE0ELb1ES3_N6thrust23THRUST_200600_302600_NS6detail15normal_iteratorINS9_10device_ptrIxEEEESE_SE_xNS9_4plusIvEENS9_8equal_toIxEExEE10hipError_tPvRmT2_T3_T4_T5_mT6_T7_P12ihipStream_tbENKUlT_T0_E_clISt17integral_constantIbLb1EESZ_EEDaSU_SV_EUlSU_E_NS1_11comp_targetILNS1_3genE9ELNS1_11target_archE1100ELNS1_3gpuE3ELNS1_3repE0EEENS1_30default_config_static_selectorELNS0_4arch9wavefront6targetE1EEEvT1_
    .private_segment_fixed_size: 0
    .sgpr_count:     6
    .sgpr_spill_count: 0
    .symbol:         _ZN7rocprim17ROCPRIM_400000_NS6detail17trampoline_kernelINS0_14default_configENS1_27scan_by_key_config_selectorIxxEEZZNS1_16scan_by_key_implILNS1_25lookback_scan_determinismE0ELb1ES3_N6thrust23THRUST_200600_302600_NS6detail15normal_iteratorINS9_10device_ptrIxEEEESE_SE_xNS9_4plusIvEENS9_8equal_toIxEExEE10hipError_tPvRmT2_T3_T4_T5_mT6_T7_P12ihipStream_tbENKUlT_T0_E_clISt17integral_constantIbLb1EESZ_EEDaSU_SV_EUlSU_E_NS1_11comp_targetILNS1_3genE9ELNS1_11target_archE1100ELNS1_3gpuE3ELNS1_3repE0EEENS1_30default_config_static_selectorELNS0_4arch9wavefront6targetE1EEEvT1_.kd
    .uniform_work_group_size: 1
    .uses_dynamic_stack: false
    .vgpr_count:     0
    .vgpr_spill_count: 0
    .wavefront_size: 64
  - .agpr_count:     0
    .args:
      - .offset:         0
        .size:           136
        .value_kind:     by_value
    .group_segment_fixed_size: 0
    .kernarg_segment_align: 8
    .kernarg_segment_size: 136
    .language:       OpenCL C
    .language_version:
      - 2
      - 0
    .max_flat_workgroup_size: 256
    .name:           _ZN7rocprim17ROCPRIM_400000_NS6detail17trampoline_kernelINS0_14default_configENS1_27scan_by_key_config_selectorIxxEEZZNS1_16scan_by_key_implILNS1_25lookback_scan_determinismE0ELb1ES3_N6thrust23THRUST_200600_302600_NS6detail15normal_iteratorINS9_10device_ptrIxEEEESE_SE_xNS9_4plusIvEENS9_8equal_toIxEExEE10hipError_tPvRmT2_T3_T4_T5_mT6_T7_P12ihipStream_tbENKUlT_T0_E_clISt17integral_constantIbLb1EESZ_EEDaSU_SV_EUlSU_E_NS1_11comp_targetILNS1_3genE8ELNS1_11target_archE1030ELNS1_3gpuE2ELNS1_3repE0EEENS1_30default_config_static_selectorELNS0_4arch9wavefront6targetE1EEEvT1_
    .private_segment_fixed_size: 0
    .sgpr_count:     6
    .sgpr_spill_count: 0
    .symbol:         _ZN7rocprim17ROCPRIM_400000_NS6detail17trampoline_kernelINS0_14default_configENS1_27scan_by_key_config_selectorIxxEEZZNS1_16scan_by_key_implILNS1_25lookback_scan_determinismE0ELb1ES3_N6thrust23THRUST_200600_302600_NS6detail15normal_iteratorINS9_10device_ptrIxEEEESE_SE_xNS9_4plusIvEENS9_8equal_toIxEExEE10hipError_tPvRmT2_T3_T4_T5_mT6_T7_P12ihipStream_tbENKUlT_T0_E_clISt17integral_constantIbLb1EESZ_EEDaSU_SV_EUlSU_E_NS1_11comp_targetILNS1_3genE8ELNS1_11target_archE1030ELNS1_3gpuE2ELNS1_3repE0EEENS1_30default_config_static_selectorELNS0_4arch9wavefront6targetE1EEEvT1_.kd
    .uniform_work_group_size: 1
    .uses_dynamic_stack: false
    .vgpr_count:     0
    .vgpr_spill_count: 0
    .wavefront_size: 64
  - .agpr_count:     0
    .args:
      - .offset:         0
        .size:           136
        .value_kind:     by_value
    .group_segment_fixed_size: 0
    .kernarg_segment_align: 8
    .kernarg_segment_size: 136
    .language:       OpenCL C
    .language_version:
      - 2
      - 0
    .max_flat_workgroup_size: 256
    .name:           _ZN7rocprim17ROCPRIM_400000_NS6detail17trampoline_kernelINS0_14default_configENS1_27scan_by_key_config_selectorIxxEEZZNS1_16scan_by_key_implILNS1_25lookback_scan_determinismE0ELb1ES3_N6thrust23THRUST_200600_302600_NS6detail15normal_iteratorINS9_10device_ptrIxEEEESE_SE_xNS9_4plusIvEENS9_8equal_toIxEExEE10hipError_tPvRmT2_T3_T4_T5_mT6_T7_P12ihipStream_tbENKUlT_T0_E_clISt17integral_constantIbLb1EESY_IbLb0EEEEDaSU_SV_EUlSU_E_NS1_11comp_targetILNS1_3genE0ELNS1_11target_archE4294967295ELNS1_3gpuE0ELNS1_3repE0EEENS1_30default_config_static_selectorELNS0_4arch9wavefront6targetE1EEEvT1_
    .private_segment_fixed_size: 0
    .sgpr_count:     6
    .sgpr_spill_count: 0
    .symbol:         _ZN7rocprim17ROCPRIM_400000_NS6detail17trampoline_kernelINS0_14default_configENS1_27scan_by_key_config_selectorIxxEEZZNS1_16scan_by_key_implILNS1_25lookback_scan_determinismE0ELb1ES3_N6thrust23THRUST_200600_302600_NS6detail15normal_iteratorINS9_10device_ptrIxEEEESE_SE_xNS9_4plusIvEENS9_8equal_toIxEExEE10hipError_tPvRmT2_T3_T4_T5_mT6_T7_P12ihipStream_tbENKUlT_T0_E_clISt17integral_constantIbLb1EESY_IbLb0EEEEDaSU_SV_EUlSU_E_NS1_11comp_targetILNS1_3genE0ELNS1_11target_archE4294967295ELNS1_3gpuE0ELNS1_3repE0EEENS1_30default_config_static_selectorELNS0_4arch9wavefront6targetE1EEEvT1_.kd
    .uniform_work_group_size: 1
    .uses_dynamic_stack: false
    .vgpr_count:     0
    .vgpr_spill_count: 0
    .wavefront_size: 64
  - .agpr_count:     0
    .args:
      - .offset:         0
        .size:           136
        .value_kind:     by_value
    .group_segment_fixed_size: 0
    .kernarg_segment_align: 8
    .kernarg_segment_size: 136
    .language:       OpenCL C
    .language_version:
      - 2
      - 0
    .max_flat_workgroup_size: 256
    .name:           _ZN7rocprim17ROCPRIM_400000_NS6detail17trampoline_kernelINS0_14default_configENS1_27scan_by_key_config_selectorIxxEEZZNS1_16scan_by_key_implILNS1_25lookback_scan_determinismE0ELb1ES3_N6thrust23THRUST_200600_302600_NS6detail15normal_iteratorINS9_10device_ptrIxEEEESE_SE_xNS9_4plusIvEENS9_8equal_toIxEExEE10hipError_tPvRmT2_T3_T4_T5_mT6_T7_P12ihipStream_tbENKUlT_T0_E_clISt17integral_constantIbLb1EESY_IbLb0EEEEDaSU_SV_EUlSU_E_NS1_11comp_targetILNS1_3genE10ELNS1_11target_archE1201ELNS1_3gpuE5ELNS1_3repE0EEENS1_30default_config_static_selectorELNS0_4arch9wavefront6targetE1EEEvT1_
    .private_segment_fixed_size: 0
    .sgpr_count:     6
    .sgpr_spill_count: 0
    .symbol:         _ZN7rocprim17ROCPRIM_400000_NS6detail17trampoline_kernelINS0_14default_configENS1_27scan_by_key_config_selectorIxxEEZZNS1_16scan_by_key_implILNS1_25lookback_scan_determinismE0ELb1ES3_N6thrust23THRUST_200600_302600_NS6detail15normal_iteratorINS9_10device_ptrIxEEEESE_SE_xNS9_4plusIvEENS9_8equal_toIxEExEE10hipError_tPvRmT2_T3_T4_T5_mT6_T7_P12ihipStream_tbENKUlT_T0_E_clISt17integral_constantIbLb1EESY_IbLb0EEEEDaSU_SV_EUlSU_E_NS1_11comp_targetILNS1_3genE10ELNS1_11target_archE1201ELNS1_3gpuE5ELNS1_3repE0EEENS1_30default_config_static_selectorELNS0_4arch9wavefront6targetE1EEEvT1_.kd
    .uniform_work_group_size: 1
    .uses_dynamic_stack: false
    .vgpr_count:     0
    .vgpr_spill_count: 0
    .wavefront_size: 64
  - .agpr_count:     0
    .args:
      - .offset:         0
        .size:           136
        .value_kind:     by_value
    .group_segment_fixed_size: 32768
    .kernarg_segment_align: 8
    .kernarg_segment_size: 136
    .language:       OpenCL C
    .language_version:
      - 2
      - 0
    .max_flat_workgroup_size: 256
    .name:           _ZN7rocprim17ROCPRIM_400000_NS6detail17trampoline_kernelINS0_14default_configENS1_27scan_by_key_config_selectorIxxEEZZNS1_16scan_by_key_implILNS1_25lookback_scan_determinismE0ELb1ES3_N6thrust23THRUST_200600_302600_NS6detail15normal_iteratorINS9_10device_ptrIxEEEESE_SE_xNS9_4plusIvEENS9_8equal_toIxEExEE10hipError_tPvRmT2_T3_T4_T5_mT6_T7_P12ihipStream_tbENKUlT_T0_E_clISt17integral_constantIbLb1EESY_IbLb0EEEEDaSU_SV_EUlSU_E_NS1_11comp_targetILNS1_3genE5ELNS1_11target_archE942ELNS1_3gpuE9ELNS1_3repE0EEENS1_30default_config_static_selectorELNS0_4arch9wavefront6targetE1EEEvT1_
    .private_segment_fixed_size: 0
    .sgpr_count:     70
    .sgpr_spill_count: 0
    .symbol:         _ZN7rocprim17ROCPRIM_400000_NS6detail17trampoline_kernelINS0_14default_configENS1_27scan_by_key_config_selectorIxxEEZZNS1_16scan_by_key_implILNS1_25lookback_scan_determinismE0ELb1ES3_N6thrust23THRUST_200600_302600_NS6detail15normal_iteratorINS9_10device_ptrIxEEEESE_SE_xNS9_4plusIvEENS9_8equal_toIxEExEE10hipError_tPvRmT2_T3_T4_T5_mT6_T7_P12ihipStream_tbENKUlT_T0_E_clISt17integral_constantIbLb1EESY_IbLb0EEEEDaSU_SV_EUlSU_E_NS1_11comp_targetILNS1_3genE5ELNS1_11target_archE942ELNS1_3gpuE9ELNS1_3repE0EEENS1_30default_config_static_selectorELNS0_4arch9wavefront6targetE1EEEvT1_.kd
    .uniform_work_group_size: 1
    .uses_dynamic_stack: false
    .vgpr_count:     85
    .vgpr_spill_count: 0
    .wavefront_size: 64
  - .agpr_count:     0
    .args:
      - .offset:         0
        .size:           136
        .value_kind:     by_value
    .group_segment_fixed_size: 0
    .kernarg_segment_align: 8
    .kernarg_segment_size: 136
    .language:       OpenCL C
    .language_version:
      - 2
      - 0
    .max_flat_workgroup_size: 64
    .name:           _ZN7rocprim17ROCPRIM_400000_NS6detail17trampoline_kernelINS0_14default_configENS1_27scan_by_key_config_selectorIxxEEZZNS1_16scan_by_key_implILNS1_25lookback_scan_determinismE0ELb1ES3_N6thrust23THRUST_200600_302600_NS6detail15normal_iteratorINS9_10device_ptrIxEEEESE_SE_xNS9_4plusIvEENS9_8equal_toIxEExEE10hipError_tPvRmT2_T3_T4_T5_mT6_T7_P12ihipStream_tbENKUlT_T0_E_clISt17integral_constantIbLb1EESY_IbLb0EEEEDaSU_SV_EUlSU_E_NS1_11comp_targetILNS1_3genE4ELNS1_11target_archE910ELNS1_3gpuE8ELNS1_3repE0EEENS1_30default_config_static_selectorELNS0_4arch9wavefront6targetE1EEEvT1_
    .private_segment_fixed_size: 0
    .sgpr_count:     6
    .sgpr_spill_count: 0
    .symbol:         _ZN7rocprim17ROCPRIM_400000_NS6detail17trampoline_kernelINS0_14default_configENS1_27scan_by_key_config_selectorIxxEEZZNS1_16scan_by_key_implILNS1_25lookback_scan_determinismE0ELb1ES3_N6thrust23THRUST_200600_302600_NS6detail15normal_iteratorINS9_10device_ptrIxEEEESE_SE_xNS9_4plusIvEENS9_8equal_toIxEExEE10hipError_tPvRmT2_T3_T4_T5_mT6_T7_P12ihipStream_tbENKUlT_T0_E_clISt17integral_constantIbLb1EESY_IbLb0EEEEDaSU_SV_EUlSU_E_NS1_11comp_targetILNS1_3genE4ELNS1_11target_archE910ELNS1_3gpuE8ELNS1_3repE0EEENS1_30default_config_static_selectorELNS0_4arch9wavefront6targetE1EEEvT1_.kd
    .uniform_work_group_size: 1
    .uses_dynamic_stack: false
    .vgpr_count:     0
    .vgpr_spill_count: 0
    .wavefront_size: 64
  - .agpr_count:     0
    .args:
      - .offset:         0
        .size:           136
        .value_kind:     by_value
    .group_segment_fixed_size: 0
    .kernarg_segment_align: 8
    .kernarg_segment_size: 136
    .language:       OpenCL C
    .language_version:
      - 2
      - 0
    .max_flat_workgroup_size: 256
    .name:           _ZN7rocprim17ROCPRIM_400000_NS6detail17trampoline_kernelINS0_14default_configENS1_27scan_by_key_config_selectorIxxEEZZNS1_16scan_by_key_implILNS1_25lookback_scan_determinismE0ELb1ES3_N6thrust23THRUST_200600_302600_NS6detail15normal_iteratorINS9_10device_ptrIxEEEESE_SE_xNS9_4plusIvEENS9_8equal_toIxEExEE10hipError_tPvRmT2_T3_T4_T5_mT6_T7_P12ihipStream_tbENKUlT_T0_E_clISt17integral_constantIbLb1EESY_IbLb0EEEEDaSU_SV_EUlSU_E_NS1_11comp_targetILNS1_3genE3ELNS1_11target_archE908ELNS1_3gpuE7ELNS1_3repE0EEENS1_30default_config_static_selectorELNS0_4arch9wavefront6targetE1EEEvT1_
    .private_segment_fixed_size: 0
    .sgpr_count:     6
    .sgpr_spill_count: 0
    .symbol:         _ZN7rocprim17ROCPRIM_400000_NS6detail17trampoline_kernelINS0_14default_configENS1_27scan_by_key_config_selectorIxxEEZZNS1_16scan_by_key_implILNS1_25lookback_scan_determinismE0ELb1ES3_N6thrust23THRUST_200600_302600_NS6detail15normal_iteratorINS9_10device_ptrIxEEEESE_SE_xNS9_4plusIvEENS9_8equal_toIxEExEE10hipError_tPvRmT2_T3_T4_T5_mT6_T7_P12ihipStream_tbENKUlT_T0_E_clISt17integral_constantIbLb1EESY_IbLb0EEEEDaSU_SV_EUlSU_E_NS1_11comp_targetILNS1_3genE3ELNS1_11target_archE908ELNS1_3gpuE7ELNS1_3repE0EEENS1_30default_config_static_selectorELNS0_4arch9wavefront6targetE1EEEvT1_.kd
    .uniform_work_group_size: 1
    .uses_dynamic_stack: false
    .vgpr_count:     0
    .vgpr_spill_count: 0
    .wavefront_size: 64
  - .agpr_count:     0
    .args:
      - .offset:         0
        .size:           136
        .value_kind:     by_value
    .group_segment_fixed_size: 0
    .kernarg_segment_align: 8
    .kernarg_segment_size: 136
    .language:       OpenCL C
    .language_version:
      - 2
      - 0
    .max_flat_workgroup_size: 256
    .name:           _ZN7rocprim17ROCPRIM_400000_NS6detail17trampoline_kernelINS0_14default_configENS1_27scan_by_key_config_selectorIxxEEZZNS1_16scan_by_key_implILNS1_25lookback_scan_determinismE0ELb1ES3_N6thrust23THRUST_200600_302600_NS6detail15normal_iteratorINS9_10device_ptrIxEEEESE_SE_xNS9_4plusIvEENS9_8equal_toIxEExEE10hipError_tPvRmT2_T3_T4_T5_mT6_T7_P12ihipStream_tbENKUlT_T0_E_clISt17integral_constantIbLb1EESY_IbLb0EEEEDaSU_SV_EUlSU_E_NS1_11comp_targetILNS1_3genE2ELNS1_11target_archE906ELNS1_3gpuE6ELNS1_3repE0EEENS1_30default_config_static_selectorELNS0_4arch9wavefront6targetE1EEEvT1_
    .private_segment_fixed_size: 0
    .sgpr_count:     6
    .sgpr_spill_count: 0
    .symbol:         _ZN7rocprim17ROCPRIM_400000_NS6detail17trampoline_kernelINS0_14default_configENS1_27scan_by_key_config_selectorIxxEEZZNS1_16scan_by_key_implILNS1_25lookback_scan_determinismE0ELb1ES3_N6thrust23THRUST_200600_302600_NS6detail15normal_iteratorINS9_10device_ptrIxEEEESE_SE_xNS9_4plusIvEENS9_8equal_toIxEExEE10hipError_tPvRmT2_T3_T4_T5_mT6_T7_P12ihipStream_tbENKUlT_T0_E_clISt17integral_constantIbLb1EESY_IbLb0EEEEDaSU_SV_EUlSU_E_NS1_11comp_targetILNS1_3genE2ELNS1_11target_archE906ELNS1_3gpuE6ELNS1_3repE0EEENS1_30default_config_static_selectorELNS0_4arch9wavefront6targetE1EEEvT1_.kd
    .uniform_work_group_size: 1
    .uses_dynamic_stack: false
    .vgpr_count:     0
    .vgpr_spill_count: 0
    .wavefront_size: 64
  - .agpr_count:     0
    .args:
      - .offset:         0
        .size:           136
        .value_kind:     by_value
    .group_segment_fixed_size: 0
    .kernarg_segment_align: 8
    .kernarg_segment_size: 136
    .language:       OpenCL C
    .language_version:
      - 2
      - 0
    .max_flat_workgroup_size: 256
    .name:           _ZN7rocprim17ROCPRIM_400000_NS6detail17trampoline_kernelINS0_14default_configENS1_27scan_by_key_config_selectorIxxEEZZNS1_16scan_by_key_implILNS1_25lookback_scan_determinismE0ELb1ES3_N6thrust23THRUST_200600_302600_NS6detail15normal_iteratorINS9_10device_ptrIxEEEESE_SE_xNS9_4plusIvEENS9_8equal_toIxEExEE10hipError_tPvRmT2_T3_T4_T5_mT6_T7_P12ihipStream_tbENKUlT_T0_E_clISt17integral_constantIbLb1EESY_IbLb0EEEEDaSU_SV_EUlSU_E_NS1_11comp_targetILNS1_3genE10ELNS1_11target_archE1200ELNS1_3gpuE4ELNS1_3repE0EEENS1_30default_config_static_selectorELNS0_4arch9wavefront6targetE1EEEvT1_
    .private_segment_fixed_size: 0
    .sgpr_count:     6
    .sgpr_spill_count: 0
    .symbol:         _ZN7rocprim17ROCPRIM_400000_NS6detail17trampoline_kernelINS0_14default_configENS1_27scan_by_key_config_selectorIxxEEZZNS1_16scan_by_key_implILNS1_25lookback_scan_determinismE0ELb1ES3_N6thrust23THRUST_200600_302600_NS6detail15normal_iteratorINS9_10device_ptrIxEEEESE_SE_xNS9_4plusIvEENS9_8equal_toIxEExEE10hipError_tPvRmT2_T3_T4_T5_mT6_T7_P12ihipStream_tbENKUlT_T0_E_clISt17integral_constantIbLb1EESY_IbLb0EEEEDaSU_SV_EUlSU_E_NS1_11comp_targetILNS1_3genE10ELNS1_11target_archE1200ELNS1_3gpuE4ELNS1_3repE0EEENS1_30default_config_static_selectorELNS0_4arch9wavefront6targetE1EEEvT1_.kd
    .uniform_work_group_size: 1
    .uses_dynamic_stack: false
    .vgpr_count:     0
    .vgpr_spill_count: 0
    .wavefront_size: 64
  - .agpr_count:     0
    .args:
      - .offset:         0
        .size:           136
        .value_kind:     by_value
    .group_segment_fixed_size: 0
    .kernarg_segment_align: 8
    .kernarg_segment_size: 136
    .language:       OpenCL C
    .language_version:
      - 2
      - 0
    .max_flat_workgroup_size: 256
    .name:           _ZN7rocprim17ROCPRIM_400000_NS6detail17trampoline_kernelINS0_14default_configENS1_27scan_by_key_config_selectorIxxEEZZNS1_16scan_by_key_implILNS1_25lookback_scan_determinismE0ELb1ES3_N6thrust23THRUST_200600_302600_NS6detail15normal_iteratorINS9_10device_ptrIxEEEESE_SE_xNS9_4plusIvEENS9_8equal_toIxEExEE10hipError_tPvRmT2_T3_T4_T5_mT6_T7_P12ihipStream_tbENKUlT_T0_E_clISt17integral_constantIbLb1EESY_IbLb0EEEEDaSU_SV_EUlSU_E_NS1_11comp_targetILNS1_3genE9ELNS1_11target_archE1100ELNS1_3gpuE3ELNS1_3repE0EEENS1_30default_config_static_selectorELNS0_4arch9wavefront6targetE1EEEvT1_
    .private_segment_fixed_size: 0
    .sgpr_count:     6
    .sgpr_spill_count: 0
    .symbol:         _ZN7rocprim17ROCPRIM_400000_NS6detail17trampoline_kernelINS0_14default_configENS1_27scan_by_key_config_selectorIxxEEZZNS1_16scan_by_key_implILNS1_25lookback_scan_determinismE0ELb1ES3_N6thrust23THRUST_200600_302600_NS6detail15normal_iteratorINS9_10device_ptrIxEEEESE_SE_xNS9_4plusIvEENS9_8equal_toIxEExEE10hipError_tPvRmT2_T3_T4_T5_mT6_T7_P12ihipStream_tbENKUlT_T0_E_clISt17integral_constantIbLb1EESY_IbLb0EEEEDaSU_SV_EUlSU_E_NS1_11comp_targetILNS1_3genE9ELNS1_11target_archE1100ELNS1_3gpuE3ELNS1_3repE0EEENS1_30default_config_static_selectorELNS0_4arch9wavefront6targetE1EEEvT1_.kd
    .uniform_work_group_size: 1
    .uses_dynamic_stack: false
    .vgpr_count:     0
    .vgpr_spill_count: 0
    .wavefront_size: 64
  - .agpr_count:     0
    .args:
      - .offset:         0
        .size:           136
        .value_kind:     by_value
    .group_segment_fixed_size: 0
    .kernarg_segment_align: 8
    .kernarg_segment_size: 136
    .language:       OpenCL C
    .language_version:
      - 2
      - 0
    .max_flat_workgroup_size: 256
    .name:           _ZN7rocprim17ROCPRIM_400000_NS6detail17trampoline_kernelINS0_14default_configENS1_27scan_by_key_config_selectorIxxEEZZNS1_16scan_by_key_implILNS1_25lookback_scan_determinismE0ELb1ES3_N6thrust23THRUST_200600_302600_NS6detail15normal_iteratorINS9_10device_ptrIxEEEESE_SE_xNS9_4plusIvEENS9_8equal_toIxEExEE10hipError_tPvRmT2_T3_T4_T5_mT6_T7_P12ihipStream_tbENKUlT_T0_E_clISt17integral_constantIbLb1EESY_IbLb0EEEEDaSU_SV_EUlSU_E_NS1_11comp_targetILNS1_3genE8ELNS1_11target_archE1030ELNS1_3gpuE2ELNS1_3repE0EEENS1_30default_config_static_selectorELNS0_4arch9wavefront6targetE1EEEvT1_
    .private_segment_fixed_size: 0
    .sgpr_count:     6
    .sgpr_spill_count: 0
    .symbol:         _ZN7rocprim17ROCPRIM_400000_NS6detail17trampoline_kernelINS0_14default_configENS1_27scan_by_key_config_selectorIxxEEZZNS1_16scan_by_key_implILNS1_25lookback_scan_determinismE0ELb1ES3_N6thrust23THRUST_200600_302600_NS6detail15normal_iteratorINS9_10device_ptrIxEEEESE_SE_xNS9_4plusIvEENS9_8equal_toIxEExEE10hipError_tPvRmT2_T3_T4_T5_mT6_T7_P12ihipStream_tbENKUlT_T0_E_clISt17integral_constantIbLb1EESY_IbLb0EEEEDaSU_SV_EUlSU_E_NS1_11comp_targetILNS1_3genE8ELNS1_11target_archE1030ELNS1_3gpuE2ELNS1_3repE0EEENS1_30default_config_static_selectorELNS0_4arch9wavefront6targetE1EEEvT1_.kd
    .uniform_work_group_size: 1
    .uses_dynamic_stack: false
    .vgpr_count:     0
    .vgpr_spill_count: 0
    .wavefront_size: 64
  - .agpr_count:     0
    .args:
      - .offset:         0
        .size:           136
        .value_kind:     by_value
    .group_segment_fixed_size: 0
    .kernarg_segment_align: 8
    .kernarg_segment_size: 136
    .language:       OpenCL C
    .language_version:
      - 2
      - 0
    .max_flat_workgroup_size: 256
    .name:           _ZN7rocprim17ROCPRIM_400000_NS6detail17trampoline_kernelINS0_14default_configENS1_27scan_by_key_config_selectorIxxEEZZNS1_16scan_by_key_implILNS1_25lookback_scan_determinismE0ELb1ES3_N6thrust23THRUST_200600_302600_NS6detail15normal_iteratorINS9_10device_ptrIxEEEESE_SE_xNS9_4plusIvEENS9_8equal_toIxEExEE10hipError_tPvRmT2_T3_T4_T5_mT6_T7_P12ihipStream_tbENKUlT_T0_E_clISt17integral_constantIbLb0EESY_IbLb1EEEEDaSU_SV_EUlSU_E_NS1_11comp_targetILNS1_3genE0ELNS1_11target_archE4294967295ELNS1_3gpuE0ELNS1_3repE0EEENS1_30default_config_static_selectorELNS0_4arch9wavefront6targetE1EEEvT1_
    .private_segment_fixed_size: 0
    .sgpr_count:     6
    .sgpr_spill_count: 0
    .symbol:         _ZN7rocprim17ROCPRIM_400000_NS6detail17trampoline_kernelINS0_14default_configENS1_27scan_by_key_config_selectorIxxEEZZNS1_16scan_by_key_implILNS1_25lookback_scan_determinismE0ELb1ES3_N6thrust23THRUST_200600_302600_NS6detail15normal_iteratorINS9_10device_ptrIxEEEESE_SE_xNS9_4plusIvEENS9_8equal_toIxEExEE10hipError_tPvRmT2_T3_T4_T5_mT6_T7_P12ihipStream_tbENKUlT_T0_E_clISt17integral_constantIbLb0EESY_IbLb1EEEEDaSU_SV_EUlSU_E_NS1_11comp_targetILNS1_3genE0ELNS1_11target_archE4294967295ELNS1_3gpuE0ELNS1_3repE0EEENS1_30default_config_static_selectorELNS0_4arch9wavefront6targetE1EEEvT1_.kd
    .uniform_work_group_size: 1
    .uses_dynamic_stack: false
    .vgpr_count:     0
    .vgpr_spill_count: 0
    .wavefront_size: 64
  - .agpr_count:     0
    .args:
      - .offset:         0
        .size:           136
        .value_kind:     by_value
    .group_segment_fixed_size: 0
    .kernarg_segment_align: 8
    .kernarg_segment_size: 136
    .language:       OpenCL C
    .language_version:
      - 2
      - 0
    .max_flat_workgroup_size: 256
    .name:           _ZN7rocprim17ROCPRIM_400000_NS6detail17trampoline_kernelINS0_14default_configENS1_27scan_by_key_config_selectorIxxEEZZNS1_16scan_by_key_implILNS1_25lookback_scan_determinismE0ELb1ES3_N6thrust23THRUST_200600_302600_NS6detail15normal_iteratorINS9_10device_ptrIxEEEESE_SE_xNS9_4plusIvEENS9_8equal_toIxEExEE10hipError_tPvRmT2_T3_T4_T5_mT6_T7_P12ihipStream_tbENKUlT_T0_E_clISt17integral_constantIbLb0EESY_IbLb1EEEEDaSU_SV_EUlSU_E_NS1_11comp_targetILNS1_3genE10ELNS1_11target_archE1201ELNS1_3gpuE5ELNS1_3repE0EEENS1_30default_config_static_selectorELNS0_4arch9wavefront6targetE1EEEvT1_
    .private_segment_fixed_size: 0
    .sgpr_count:     6
    .sgpr_spill_count: 0
    .symbol:         _ZN7rocprim17ROCPRIM_400000_NS6detail17trampoline_kernelINS0_14default_configENS1_27scan_by_key_config_selectorIxxEEZZNS1_16scan_by_key_implILNS1_25lookback_scan_determinismE0ELb1ES3_N6thrust23THRUST_200600_302600_NS6detail15normal_iteratorINS9_10device_ptrIxEEEESE_SE_xNS9_4plusIvEENS9_8equal_toIxEExEE10hipError_tPvRmT2_T3_T4_T5_mT6_T7_P12ihipStream_tbENKUlT_T0_E_clISt17integral_constantIbLb0EESY_IbLb1EEEEDaSU_SV_EUlSU_E_NS1_11comp_targetILNS1_3genE10ELNS1_11target_archE1201ELNS1_3gpuE5ELNS1_3repE0EEENS1_30default_config_static_selectorELNS0_4arch9wavefront6targetE1EEEvT1_.kd
    .uniform_work_group_size: 1
    .uses_dynamic_stack: false
    .vgpr_count:     0
    .vgpr_spill_count: 0
    .wavefront_size: 64
  - .agpr_count:     0
    .args:
      - .offset:         0
        .size:           136
        .value_kind:     by_value
    .group_segment_fixed_size: 32768
    .kernarg_segment_align: 8
    .kernarg_segment_size: 136
    .language:       OpenCL C
    .language_version:
      - 2
      - 0
    .max_flat_workgroup_size: 256
    .name:           _ZN7rocprim17ROCPRIM_400000_NS6detail17trampoline_kernelINS0_14default_configENS1_27scan_by_key_config_selectorIxxEEZZNS1_16scan_by_key_implILNS1_25lookback_scan_determinismE0ELb1ES3_N6thrust23THRUST_200600_302600_NS6detail15normal_iteratorINS9_10device_ptrIxEEEESE_SE_xNS9_4plusIvEENS9_8equal_toIxEExEE10hipError_tPvRmT2_T3_T4_T5_mT6_T7_P12ihipStream_tbENKUlT_T0_E_clISt17integral_constantIbLb0EESY_IbLb1EEEEDaSU_SV_EUlSU_E_NS1_11comp_targetILNS1_3genE5ELNS1_11target_archE942ELNS1_3gpuE9ELNS1_3repE0EEENS1_30default_config_static_selectorELNS0_4arch9wavefront6targetE1EEEvT1_
    .private_segment_fixed_size: 0
    .sgpr_count:     66
    .sgpr_spill_count: 0
    .symbol:         _ZN7rocprim17ROCPRIM_400000_NS6detail17trampoline_kernelINS0_14default_configENS1_27scan_by_key_config_selectorIxxEEZZNS1_16scan_by_key_implILNS1_25lookback_scan_determinismE0ELb1ES3_N6thrust23THRUST_200600_302600_NS6detail15normal_iteratorINS9_10device_ptrIxEEEESE_SE_xNS9_4plusIvEENS9_8equal_toIxEExEE10hipError_tPvRmT2_T3_T4_T5_mT6_T7_P12ihipStream_tbENKUlT_T0_E_clISt17integral_constantIbLb0EESY_IbLb1EEEEDaSU_SV_EUlSU_E_NS1_11comp_targetILNS1_3genE5ELNS1_11target_archE942ELNS1_3gpuE9ELNS1_3repE0EEENS1_30default_config_static_selectorELNS0_4arch9wavefront6targetE1EEEvT1_.kd
    .uniform_work_group_size: 1
    .uses_dynamic_stack: false
    .vgpr_count:     87
    .vgpr_spill_count: 0
    .wavefront_size: 64
  - .agpr_count:     0
    .args:
      - .offset:         0
        .size:           136
        .value_kind:     by_value
    .group_segment_fixed_size: 0
    .kernarg_segment_align: 8
    .kernarg_segment_size: 136
    .language:       OpenCL C
    .language_version:
      - 2
      - 0
    .max_flat_workgroup_size: 64
    .name:           _ZN7rocprim17ROCPRIM_400000_NS6detail17trampoline_kernelINS0_14default_configENS1_27scan_by_key_config_selectorIxxEEZZNS1_16scan_by_key_implILNS1_25lookback_scan_determinismE0ELb1ES3_N6thrust23THRUST_200600_302600_NS6detail15normal_iteratorINS9_10device_ptrIxEEEESE_SE_xNS9_4plusIvEENS9_8equal_toIxEExEE10hipError_tPvRmT2_T3_T4_T5_mT6_T7_P12ihipStream_tbENKUlT_T0_E_clISt17integral_constantIbLb0EESY_IbLb1EEEEDaSU_SV_EUlSU_E_NS1_11comp_targetILNS1_3genE4ELNS1_11target_archE910ELNS1_3gpuE8ELNS1_3repE0EEENS1_30default_config_static_selectorELNS0_4arch9wavefront6targetE1EEEvT1_
    .private_segment_fixed_size: 0
    .sgpr_count:     6
    .sgpr_spill_count: 0
    .symbol:         _ZN7rocprim17ROCPRIM_400000_NS6detail17trampoline_kernelINS0_14default_configENS1_27scan_by_key_config_selectorIxxEEZZNS1_16scan_by_key_implILNS1_25lookback_scan_determinismE0ELb1ES3_N6thrust23THRUST_200600_302600_NS6detail15normal_iteratorINS9_10device_ptrIxEEEESE_SE_xNS9_4plusIvEENS9_8equal_toIxEExEE10hipError_tPvRmT2_T3_T4_T5_mT6_T7_P12ihipStream_tbENKUlT_T0_E_clISt17integral_constantIbLb0EESY_IbLb1EEEEDaSU_SV_EUlSU_E_NS1_11comp_targetILNS1_3genE4ELNS1_11target_archE910ELNS1_3gpuE8ELNS1_3repE0EEENS1_30default_config_static_selectorELNS0_4arch9wavefront6targetE1EEEvT1_.kd
    .uniform_work_group_size: 1
    .uses_dynamic_stack: false
    .vgpr_count:     0
    .vgpr_spill_count: 0
    .wavefront_size: 64
  - .agpr_count:     0
    .args:
      - .offset:         0
        .size:           136
        .value_kind:     by_value
    .group_segment_fixed_size: 0
    .kernarg_segment_align: 8
    .kernarg_segment_size: 136
    .language:       OpenCL C
    .language_version:
      - 2
      - 0
    .max_flat_workgroup_size: 256
    .name:           _ZN7rocprim17ROCPRIM_400000_NS6detail17trampoline_kernelINS0_14default_configENS1_27scan_by_key_config_selectorIxxEEZZNS1_16scan_by_key_implILNS1_25lookback_scan_determinismE0ELb1ES3_N6thrust23THRUST_200600_302600_NS6detail15normal_iteratorINS9_10device_ptrIxEEEESE_SE_xNS9_4plusIvEENS9_8equal_toIxEExEE10hipError_tPvRmT2_T3_T4_T5_mT6_T7_P12ihipStream_tbENKUlT_T0_E_clISt17integral_constantIbLb0EESY_IbLb1EEEEDaSU_SV_EUlSU_E_NS1_11comp_targetILNS1_3genE3ELNS1_11target_archE908ELNS1_3gpuE7ELNS1_3repE0EEENS1_30default_config_static_selectorELNS0_4arch9wavefront6targetE1EEEvT1_
    .private_segment_fixed_size: 0
    .sgpr_count:     6
    .sgpr_spill_count: 0
    .symbol:         _ZN7rocprim17ROCPRIM_400000_NS6detail17trampoline_kernelINS0_14default_configENS1_27scan_by_key_config_selectorIxxEEZZNS1_16scan_by_key_implILNS1_25lookback_scan_determinismE0ELb1ES3_N6thrust23THRUST_200600_302600_NS6detail15normal_iteratorINS9_10device_ptrIxEEEESE_SE_xNS9_4plusIvEENS9_8equal_toIxEExEE10hipError_tPvRmT2_T3_T4_T5_mT6_T7_P12ihipStream_tbENKUlT_T0_E_clISt17integral_constantIbLb0EESY_IbLb1EEEEDaSU_SV_EUlSU_E_NS1_11comp_targetILNS1_3genE3ELNS1_11target_archE908ELNS1_3gpuE7ELNS1_3repE0EEENS1_30default_config_static_selectorELNS0_4arch9wavefront6targetE1EEEvT1_.kd
    .uniform_work_group_size: 1
    .uses_dynamic_stack: false
    .vgpr_count:     0
    .vgpr_spill_count: 0
    .wavefront_size: 64
  - .agpr_count:     0
    .args:
      - .offset:         0
        .size:           136
        .value_kind:     by_value
    .group_segment_fixed_size: 0
    .kernarg_segment_align: 8
    .kernarg_segment_size: 136
    .language:       OpenCL C
    .language_version:
      - 2
      - 0
    .max_flat_workgroup_size: 256
    .name:           _ZN7rocprim17ROCPRIM_400000_NS6detail17trampoline_kernelINS0_14default_configENS1_27scan_by_key_config_selectorIxxEEZZNS1_16scan_by_key_implILNS1_25lookback_scan_determinismE0ELb1ES3_N6thrust23THRUST_200600_302600_NS6detail15normal_iteratorINS9_10device_ptrIxEEEESE_SE_xNS9_4plusIvEENS9_8equal_toIxEExEE10hipError_tPvRmT2_T3_T4_T5_mT6_T7_P12ihipStream_tbENKUlT_T0_E_clISt17integral_constantIbLb0EESY_IbLb1EEEEDaSU_SV_EUlSU_E_NS1_11comp_targetILNS1_3genE2ELNS1_11target_archE906ELNS1_3gpuE6ELNS1_3repE0EEENS1_30default_config_static_selectorELNS0_4arch9wavefront6targetE1EEEvT1_
    .private_segment_fixed_size: 0
    .sgpr_count:     6
    .sgpr_spill_count: 0
    .symbol:         _ZN7rocprim17ROCPRIM_400000_NS6detail17trampoline_kernelINS0_14default_configENS1_27scan_by_key_config_selectorIxxEEZZNS1_16scan_by_key_implILNS1_25lookback_scan_determinismE0ELb1ES3_N6thrust23THRUST_200600_302600_NS6detail15normal_iteratorINS9_10device_ptrIxEEEESE_SE_xNS9_4plusIvEENS9_8equal_toIxEExEE10hipError_tPvRmT2_T3_T4_T5_mT6_T7_P12ihipStream_tbENKUlT_T0_E_clISt17integral_constantIbLb0EESY_IbLb1EEEEDaSU_SV_EUlSU_E_NS1_11comp_targetILNS1_3genE2ELNS1_11target_archE906ELNS1_3gpuE6ELNS1_3repE0EEENS1_30default_config_static_selectorELNS0_4arch9wavefront6targetE1EEEvT1_.kd
    .uniform_work_group_size: 1
    .uses_dynamic_stack: false
    .vgpr_count:     0
    .vgpr_spill_count: 0
    .wavefront_size: 64
  - .agpr_count:     0
    .args:
      - .offset:         0
        .size:           136
        .value_kind:     by_value
    .group_segment_fixed_size: 0
    .kernarg_segment_align: 8
    .kernarg_segment_size: 136
    .language:       OpenCL C
    .language_version:
      - 2
      - 0
    .max_flat_workgroup_size: 256
    .name:           _ZN7rocprim17ROCPRIM_400000_NS6detail17trampoline_kernelINS0_14default_configENS1_27scan_by_key_config_selectorIxxEEZZNS1_16scan_by_key_implILNS1_25lookback_scan_determinismE0ELb1ES3_N6thrust23THRUST_200600_302600_NS6detail15normal_iteratorINS9_10device_ptrIxEEEESE_SE_xNS9_4plusIvEENS9_8equal_toIxEExEE10hipError_tPvRmT2_T3_T4_T5_mT6_T7_P12ihipStream_tbENKUlT_T0_E_clISt17integral_constantIbLb0EESY_IbLb1EEEEDaSU_SV_EUlSU_E_NS1_11comp_targetILNS1_3genE10ELNS1_11target_archE1200ELNS1_3gpuE4ELNS1_3repE0EEENS1_30default_config_static_selectorELNS0_4arch9wavefront6targetE1EEEvT1_
    .private_segment_fixed_size: 0
    .sgpr_count:     6
    .sgpr_spill_count: 0
    .symbol:         _ZN7rocprim17ROCPRIM_400000_NS6detail17trampoline_kernelINS0_14default_configENS1_27scan_by_key_config_selectorIxxEEZZNS1_16scan_by_key_implILNS1_25lookback_scan_determinismE0ELb1ES3_N6thrust23THRUST_200600_302600_NS6detail15normal_iteratorINS9_10device_ptrIxEEEESE_SE_xNS9_4plusIvEENS9_8equal_toIxEExEE10hipError_tPvRmT2_T3_T4_T5_mT6_T7_P12ihipStream_tbENKUlT_T0_E_clISt17integral_constantIbLb0EESY_IbLb1EEEEDaSU_SV_EUlSU_E_NS1_11comp_targetILNS1_3genE10ELNS1_11target_archE1200ELNS1_3gpuE4ELNS1_3repE0EEENS1_30default_config_static_selectorELNS0_4arch9wavefront6targetE1EEEvT1_.kd
    .uniform_work_group_size: 1
    .uses_dynamic_stack: false
    .vgpr_count:     0
    .vgpr_spill_count: 0
    .wavefront_size: 64
  - .agpr_count:     0
    .args:
      - .offset:         0
        .size:           136
        .value_kind:     by_value
    .group_segment_fixed_size: 0
    .kernarg_segment_align: 8
    .kernarg_segment_size: 136
    .language:       OpenCL C
    .language_version:
      - 2
      - 0
    .max_flat_workgroup_size: 256
    .name:           _ZN7rocprim17ROCPRIM_400000_NS6detail17trampoline_kernelINS0_14default_configENS1_27scan_by_key_config_selectorIxxEEZZNS1_16scan_by_key_implILNS1_25lookback_scan_determinismE0ELb1ES3_N6thrust23THRUST_200600_302600_NS6detail15normal_iteratorINS9_10device_ptrIxEEEESE_SE_xNS9_4plusIvEENS9_8equal_toIxEExEE10hipError_tPvRmT2_T3_T4_T5_mT6_T7_P12ihipStream_tbENKUlT_T0_E_clISt17integral_constantIbLb0EESY_IbLb1EEEEDaSU_SV_EUlSU_E_NS1_11comp_targetILNS1_3genE9ELNS1_11target_archE1100ELNS1_3gpuE3ELNS1_3repE0EEENS1_30default_config_static_selectorELNS0_4arch9wavefront6targetE1EEEvT1_
    .private_segment_fixed_size: 0
    .sgpr_count:     6
    .sgpr_spill_count: 0
    .symbol:         _ZN7rocprim17ROCPRIM_400000_NS6detail17trampoline_kernelINS0_14default_configENS1_27scan_by_key_config_selectorIxxEEZZNS1_16scan_by_key_implILNS1_25lookback_scan_determinismE0ELb1ES3_N6thrust23THRUST_200600_302600_NS6detail15normal_iteratorINS9_10device_ptrIxEEEESE_SE_xNS9_4plusIvEENS9_8equal_toIxEExEE10hipError_tPvRmT2_T3_T4_T5_mT6_T7_P12ihipStream_tbENKUlT_T0_E_clISt17integral_constantIbLb0EESY_IbLb1EEEEDaSU_SV_EUlSU_E_NS1_11comp_targetILNS1_3genE9ELNS1_11target_archE1100ELNS1_3gpuE3ELNS1_3repE0EEENS1_30default_config_static_selectorELNS0_4arch9wavefront6targetE1EEEvT1_.kd
    .uniform_work_group_size: 1
    .uses_dynamic_stack: false
    .vgpr_count:     0
    .vgpr_spill_count: 0
    .wavefront_size: 64
  - .agpr_count:     0
    .args:
      - .offset:         0
        .size:           136
        .value_kind:     by_value
    .group_segment_fixed_size: 0
    .kernarg_segment_align: 8
    .kernarg_segment_size: 136
    .language:       OpenCL C
    .language_version:
      - 2
      - 0
    .max_flat_workgroup_size: 256
    .name:           _ZN7rocprim17ROCPRIM_400000_NS6detail17trampoline_kernelINS0_14default_configENS1_27scan_by_key_config_selectorIxxEEZZNS1_16scan_by_key_implILNS1_25lookback_scan_determinismE0ELb1ES3_N6thrust23THRUST_200600_302600_NS6detail15normal_iteratorINS9_10device_ptrIxEEEESE_SE_xNS9_4plusIvEENS9_8equal_toIxEExEE10hipError_tPvRmT2_T3_T4_T5_mT6_T7_P12ihipStream_tbENKUlT_T0_E_clISt17integral_constantIbLb0EESY_IbLb1EEEEDaSU_SV_EUlSU_E_NS1_11comp_targetILNS1_3genE8ELNS1_11target_archE1030ELNS1_3gpuE2ELNS1_3repE0EEENS1_30default_config_static_selectorELNS0_4arch9wavefront6targetE1EEEvT1_
    .private_segment_fixed_size: 0
    .sgpr_count:     6
    .sgpr_spill_count: 0
    .symbol:         _ZN7rocprim17ROCPRIM_400000_NS6detail17trampoline_kernelINS0_14default_configENS1_27scan_by_key_config_selectorIxxEEZZNS1_16scan_by_key_implILNS1_25lookback_scan_determinismE0ELb1ES3_N6thrust23THRUST_200600_302600_NS6detail15normal_iteratorINS9_10device_ptrIxEEEESE_SE_xNS9_4plusIvEENS9_8equal_toIxEExEE10hipError_tPvRmT2_T3_T4_T5_mT6_T7_P12ihipStream_tbENKUlT_T0_E_clISt17integral_constantIbLb0EESY_IbLb1EEEEDaSU_SV_EUlSU_E_NS1_11comp_targetILNS1_3genE8ELNS1_11target_archE1030ELNS1_3gpuE2ELNS1_3repE0EEENS1_30default_config_static_selectorELNS0_4arch9wavefront6targetE1EEEvT1_.kd
    .uniform_work_group_size: 1
    .uses_dynamic_stack: false
    .vgpr_count:     0
    .vgpr_spill_count: 0
    .wavefront_size: 64
  - .agpr_count:     0
    .args:
      - .offset:         0
        .size:           112
        .value_kind:     by_value
    .group_segment_fixed_size: 0
    .kernarg_segment_align: 8
    .kernarg_segment_size: 112
    .language:       OpenCL C
    .language_version:
      - 2
      - 0
    .max_flat_workgroup_size: 256
    .name:           _ZN7rocprim17ROCPRIM_400000_NS6detail17trampoline_kernelINS0_14default_configENS1_27scan_by_key_config_selectorIiiEEZZNS1_16scan_by_key_implILNS1_25lookback_scan_determinismE0ELb1ES3_N6thrust23THRUST_200600_302600_NS6detail15normal_iteratorINS9_10device_ptrIiEEEESE_SE_iNS9_4plusIvEENS9_8equal_toIvEEiEE10hipError_tPvRmT2_T3_T4_T5_mT6_T7_P12ihipStream_tbENKUlT_T0_E_clISt17integral_constantIbLb0EESZ_EEDaSU_SV_EUlSU_E_NS1_11comp_targetILNS1_3genE0ELNS1_11target_archE4294967295ELNS1_3gpuE0ELNS1_3repE0EEENS1_30default_config_static_selectorELNS0_4arch9wavefront6targetE1EEEvT1_
    .private_segment_fixed_size: 0
    .sgpr_count:     6
    .sgpr_spill_count: 0
    .symbol:         _ZN7rocprim17ROCPRIM_400000_NS6detail17trampoline_kernelINS0_14default_configENS1_27scan_by_key_config_selectorIiiEEZZNS1_16scan_by_key_implILNS1_25lookback_scan_determinismE0ELb1ES3_N6thrust23THRUST_200600_302600_NS6detail15normal_iteratorINS9_10device_ptrIiEEEESE_SE_iNS9_4plusIvEENS9_8equal_toIvEEiEE10hipError_tPvRmT2_T3_T4_T5_mT6_T7_P12ihipStream_tbENKUlT_T0_E_clISt17integral_constantIbLb0EESZ_EEDaSU_SV_EUlSU_E_NS1_11comp_targetILNS1_3genE0ELNS1_11target_archE4294967295ELNS1_3gpuE0ELNS1_3repE0EEENS1_30default_config_static_selectorELNS0_4arch9wavefront6targetE1EEEvT1_.kd
    .uniform_work_group_size: 1
    .uses_dynamic_stack: false
    .vgpr_count:     0
    .vgpr_spill_count: 0
    .wavefront_size: 64
  - .agpr_count:     0
    .args:
      - .offset:         0
        .size:           112
        .value_kind:     by_value
    .group_segment_fixed_size: 0
    .kernarg_segment_align: 8
    .kernarg_segment_size: 112
    .language:       OpenCL C
    .language_version:
      - 2
      - 0
    .max_flat_workgroup_size: 256
    .name:           _ZN7rocprim17ROCPRIM_400000_NS6detail17trampoline_kernelINS0_14default_configENS1_27scan_by_key_config_selectorIiiEEZZNS1_16scan_by_key_implILNS1_25lookback_scan_determinismE0ELb1ES3_N6thrust23THRUST_200600_302600_NS6detail15normal_iteratorINS9_10device_ptrIiEEEESE_SE_iNS9_4plusIvEENS9_8equal_toIvEEiEE10hipError_tPvRmT2_T3_T4_T5_mT6_T7_P12ihipStream_tbENKUlT_T0_E_clISt17integral_constantIbLb0EESZ_EEDaSU_SV_EUlSU_E_NS1_11comp_targetILNS1_3genE10ELNS1_11target_archE1201ELNS1_3gpuE5ELNS1_3repE0EEENS1_30default_config_static_selectorELNS0_4arch9wavefront6targetE1EEEvT1_
    .private_segment_fixed_size: 0
    .sgpr_count:     6
    .sgpr_spill_count: 0
    .symbol:         _ZN7rocprim17ROCPRIM_400000_NS6detail17trampoline_kernelINS0_14default_configENS1_27scan_by_key_config_selectorIiiEEZZNS1_16scan_by_key_implILNS1_25lookback_scan_determinismE0ELb1ES3_N6thrust23THRUST_200600_302600_NS6detail15normal_iteratorINS9_10device_ptrIiEEEESE_SE_iNS9_4plusIvEENS9_8equal_toIvEEiEE10hipError_tPvRmT2_T3_T4_T5_mT6_T7_P12ihipStream_tbENKUlT_T0_E_clISt17integral_constantIbLb0EESZ_EEDaSU_SV_EUlSU_E_NS1_11comp_targetILNS1_3genE10ELNS1_11target_archE1201ELNS1_3gpuE5ELNS1_3repE0EEENS1_30default_config_static_selectorELNS0_4arch9wavefront6targetE1EEEvT1_.kd
    .uniform_work_group_size: 1
    .uses_dynamic_stack: false
    .vgpr_count:     0
    .vgpr_spill_count: 0
    .wavefront_size: 64
  - .agpr_count:     0
    .args:
      - .offset:         0
        .size:           112
        .value_kind:     by_value
    .group_segment_fixed_size: 25600
    .kernarg_segment_align: 8
    .kernarg_segment_size: 112
    .language:       OpenCL C
    .language_version:
      - 2
      - 0
    .max_flat_workgroup_size: 256
    .name:           _ZN7rocprim17ROCPRIM_400000_NS6detail17trampoline_kernelINS0_14default_configENS1_27scan_by_key_config_selectorIiiEEZZNS1_16scan_by_key_implILNS1_25lookback_scan_determinismE0ELb1ES3_N6thrust23THRUST_200600_302600_NS6detail15normal_iteratorINS9_10device_ptrIiEEEESE_SE_iNS9_4plusIvEENS9_8equal_toIvEEiEE10hipError_tPvRmT2_T3_T4_T5_mT6_T7_P12ihipStream_tbENKUlT_T0_E_clISt17integral_constantIbLb0EESZ_EEDaSU_SV_EUlSU_E_NS1_11comp_targetILNS1_3genE5ELNS1_11target_archE942ELNS1_3gpuE9ELNS1_3repE0EEENS1_30default_config_static_selectorELNS0_4arch9wavefront6targetE1EEEvT1_
    .private_segment_fixed_size: 0
    .sgpr_count:     86
    .sgpr_spill_count: 0
    .symbol:         _ZN7rocprim17ROCPRIM_400000_NS6detail17trampoline_kernelINS0_14default_configENS1_27scan_by_key_config_selectorIiiEEZZNS1_16scan_by_key_implILNS1_25lookback_scan_determinismE0ELb1ES3_N6thrust23THRUST_200600_302600_NS6detail15normal_iteratorINS9_10device_ptrIiEEEESE_SE_iNS9_4plusIvEENS9_8equal_toIvEEiEE10hipError_tPvRmT2_T3_T4_T5_mT6_T7_P12ihipStream_tbENKUlT_T0_E_clISt17integral_constantIbLb0EESZ_EEDaSU_SV_EUlSU_E_NS1_11comp_targetILNS1_3genE5ELNS1_11target_archE942ELNS1_3gpuE9ELNS1_3repE0EEENS1_30default_config_static_selectorELNS0_4arch9wavefront6targetE1EEEvT1_.kd
    .uniform_work_group_size: 1
    .uses_dynamic_stack: false
    .vgpr_count:     81
    .vgpr_spill_count: 0
    .wavefront_size: 64
  - .agpr_count:     0
    .args:
      - .offset:         0
        .size:           112
        .value_kind:     by_value
    .group_segment_fixed_size: 0
    .kernarg_segment_align: 8
    .kernarg_segment_size: 112
    .language:       OpenCL C
    .language_version:
      - 2
      - 0
    .max_flat_workgroup_size: 256
    .name:           _ZN7rocprim17ROCPRIM_400000_NS6detail17trampoline_kernelINS0_14default_configENS1_27scan_by_key_config_selectorIiiEEZZNS1_16scan_by_key_implILNS1_25lookback_scan_determinismE0ELb1ES3_N6thrust23THRUST_200600_302600_NS6detail15normal_iteratorINS9_10device_ptrIiEEEESE_SE_iNS9_4plusIvEENS9_8equal_toIvEEiEE10hipError_tPvRmT2_T3_T4_T5_mT6_T7_P12ihipStream_tbENKUlT_T0_E_clISt17integral_constantIbLb0EESZ_EEDaSU_SV_EUlSU_E_NS1_11comp_targetILNS1_3genE4ELNS1_11target_archE910ELNS1_3gpuE8ELNS1_3repE0EEENS1_30default_config_static_selectorELNS0_4arch9wavefront6targetE1EEEvT1_
    .private_segment_fixed_size: 0
    .sgpr_count:     6
    .sgpr_spill_count: 0
    .symbol:         _ZN7rocprim17ROCPRIM_400000_NS6detail17trampoline_kernelINS0_14default_configENS1_27scan_by_key_config_selectorIiiEEZZNS1_16scan_by_key_implILNS1_25lookback_scan_determinismE0ELb1ES3_N6thrust23THRUST_200600_302600_NS6detail15normal_iteratorINS9_10device_ptrIiEEEESE_SE_iNS9_4plusIvEENS9_8equal_toIvEEiEE10hipError_tPvRmT2_T3_T4_T5_mT6_T7_P12ihipStream_tbENKUlT_T0_E_clISt17integral_constantIbLb0EESZ_EEDaSU_SV_EUlSU_E_NS1_11comp_targetILNS1_3genE4ELNS1_11target_archE910ELNS1_3gpuE8ELNS1_3repE0EEENS1_30default_config_static_selectorELNS0_4arch9wavefront6targetE1EEEvT1_.kd
    .uniform_work_group_size: 1
    .uses_dynamic_stack: false
    .vgpr_count:     0
    .vgpr_spill_count: 0
    .wavefront_size: 64
  - .agpr_count:     0
    .args:
      - .offset:         0
        .size:           112
        .value_kind:     by_value
    .group_segment_fixed_size: 0
    .kernarg_segment_align: 8
    .kernarg_segment_size: 112
    .language:       OpenCL C
    .language_version:
      - 2
      - 0
    .max_flat_workgroup_size: 256
    .name:           _ZN7rocprim17ROCPRIM_400000_NS6detail17trampoline_kernelINS0_14default_configENS1_27scan_by_key_config_selectorIiiEEZZNS1_16scan_by_key_implILNS1_25lookback_scan_determinismE0ELb1ES3_N6thrust23THRUST_200600_302600_NS6detail15normal_iteratorINS9_10device_ptrIiEEEESE_SE_iNS9_4plusIvEENS9_8equal_toIvEEiEE10hipError_tPvRmT2_T3_T4_T5_mT6_T7_P12ihipStream_tbENKUlT_T0_E_clISt17integral_constantIbLb0EESZ_EEDaSU_SV_EUlSU_E_NS1_11comp_targetILNS1_3genE3ELNS1_11target_archE908ELNS1_3gpuE7ELNS1_3repE0EEENS1_30default_config_static_selectorELNS0_4arch9wavefront6targetE1EEEvT1_
    .private_segment_fixed_size: 0
    .sgpr_count:     6
    .sgpr_spill_count: 0
    .symbol:         _ZN7rocprim17ROCPRIM_400000_NS6detail17trampoline_kernelINS0_14default_configENS1_27scan_by_key_config_selectorIiiEEZZNS1_16scan_by_key_implILNS1_25lookback_scan_determinismE0ELb1ES3_N6thrust23THRUST_200600_302600_NS6detail15normal_iteratorINS9_10device_ptrIiEEEESE_SE_iNS9_4plusIvEENS9_8equal_toIvEEiEE10hipError_tPvRmT2_T3_T4_T5_mT6_T7_P12ihipStream_tbENKUlT_T0_E_clISt17integral_constantIbLb0EESZ_EEDaSU_SV_EUlSU_E_NS1_11comp_targetILNS1_3genE3ELNS1_11target_archE908ELNS1_3gpuE7ELNS1_3repE0EEENS1_30default_config_static_selectorELNS0_4arch9wavefront6targetE1EEEvT1_.kd
    .uniform_work_group_size: 1
    .uses_dynamic_stack: false
    .vgpr_count:     0
    .vgpr_spill_count: 0
    .wavefront_size: 64
  - .agpr_count:     0
    .args:
      - .offset:         0
        .size:           112
        .value_kind:     by_value
    .group_segment_fixed_size: 0
    .kernarg_segment_align: 8
    .kernarg_segment_size: 112
    .language:       OpenCL C
    .language_version:
      - 2
      - 0
    .max_flat_workgroup_size: 256
    .name:           _ZN7rocprim17ROCPRIM_400000_NS6detail17trampoline_kernelINS0_14default_configENS1_27scan_by_key_config_selectorIiiEEZZNS1_16scan_by_key_implILNS1_25lookback_scan_determinismE0ELb1ES3_N6thrust23THRUST_200600_302600_NS6detail15normal_iteratorINS9_10device_ptrIiEEEESE_SE_iNS9_4plusIvEENS9_8equal_toIvEEiEE10hipError_tPvRmT2_T3_T4_T5_mT6_T7_P12ihipStream_tbENKUlT_T0_E_clISt17integral_constantIbLb0EESZ_EEDaSU_SV_EUlSU_E_NS1_11comp_targetILNS1_3genE2ELNS1_11target_archE906ELNS1_3gpuE6ELNS1_3repE0EEENS1_30default_config_static_selectorELNS0_4arch9wavefront6targetE1EEEvT1_
    .private_segment_fixed_size: 0
    .sgpr_count:     6
    .sgpr_spill_count: 0
    .symbol:         _ZN7rocprim17ROCPRIM_400000_NS6detail17trampoline_kernelINS0_14default_configENS1_27scan_by_key_config_selectorIiiEEZZNS1_16scan_by_key_implILNS1_25lookback_scan_determinismE0ELb1ES3_N6thrust23THRUST_200600_302600_NS6detail15normal_iteratorINS9_10device_ptrIiEEEESE_SE_iNS9_4plusIvEENS9_8equal_toIvEEiEE10hipError_tPvRmT2_T3_T4_T5_mT6_T7_P12ihipStream_tbENKUlT_T0_E_clISt17integral_constantIbLb0EESZ_EEDaSU_SV_EUlSU_E_NS1_11comp_targetILNS1_3genE2ELNS1_11target_archE906ELNS1_3gpuE6ELNS1_3repE0EEENS1_30default_config_static_selectorELNS0_4arch9wavefront6targetE1EEEvT1_.kd
    .uniform_work_group_size: 1
    .uses_dynamic_stack: false
    .vgpr_count:     0
    .vgpr_spill_count: 0
    .wavefront_size: 64
  - .agpr_count:     0
    .args:
      - .offset:         0
        .size:           112
        .value_kind:     by_value
    .group_segment_fixed_size: 0
    .kernarg_segment_align: 8
    .kernarg_segment_size: 112
    .language:       OpenCL C
    .language_version:
      - 2
      - 0
    .max_flat_workgroup_size: 256
    .name:           _ZN7rocprim17ROCPRIM_400000_NS6detail17trampoline_kernelINS0_14default_configENS1_27scan_by_key_config_selectorIiiEEZZNS1_16scan_by_key_implILNS1_25lookback_scan_determinismE0ELb1ES3_N6thrust23THRUST_200600_302600_NS6detail15normal_iteratorINS9_10device_ptrIiEEEESE_SE_iNS9_4plusIvEENS9_8equal_toIvEEiEE10hipError_tPvRmT2_T3_T4_T5_mT6_T7_P12ihipStream_tbENKUlT_T0_E_clISt17integral_constantIbLb0EESZ_EEDaSU_SV_EUlSU_E_NS1_11comp_targetILNS1_3genE10ELNS1_11target_archE1200ELNS1_3gpuE4ELNS1_3repE0EEENS1_30default_config_static_selectorELNS0_4arch9wavefront6targetE1EEEvT1_
    .private_segment_fixed_size: 0
    .sgpr_count:     6
    .sgpr_spill_count: 0
    .symbol:         _ZN7rocprim17ROCPRIM_400000_NS6detail17trampoline_kernelINS0_14default_configENS1_27scan_by_key_config_selectorIiiEEZZNS1_16scan_by_key_implILNS1_25lookback_scan_determinismE0ELb1ES3_N6thrust23THRUST_200600_302600_NS6detail15normal_iteratorINS9_10device_ptrIiEEEESE_SE_iNS9_4plusIvEENS9_8equal_toIvEEiEE10hipError_tPvRmT2_T3_T4_T5_mT6_T7_P12ihipStream_tbENKUlT_T0_E_clISt17integral_constantIbLb0EESZ_EEDaSU_SV_EUlSU_E_NS1_11comp_targetILNS1_3genE10ELNS1_11target_archE1200ELNS1_3gpuE4ELNS1_3repE0EEENS1_30default_config_static_selectorELNS0_4arch9wavefront6targetE1EEEvT1_.kd
    .uniform_work_group_size: 1
    .uses_dynamic_stack: false
    .vgpr_count:     0
    .vgpr_spill_count: 0
    .wavefront_size: 64
  - .agpr_count:     0
    .args:
      - .offset:         0
        .size:           112
        .value_kind:     by_value
    .group_segment_fixed_size: 0
    .kernarg_segment_align: 8
    .kernarg_segment_size: 112
    .language:       OpenCL C
    .language_version:
      - 2
      - 0
    .max_flat_workgroup_size: 256
    .name:           _ZN7rocprim17ROCPRIM_400000_NS6detail17trampoline_kernelINS0_14default_configENS1_27scan_by_key_config_selectorIiiEEZZNS1_16scan_by_key_implILNS1_25lookback_scan_determinismE0ELb1ES3_N6thrust23THRUST_200600_302600_NS6detail15normal_iteratorINS9_10device_ptrIiEEEESE_SE_iNS9_4plusIvEENS9_8equal_toIvEEiEE10hipError_tPvRmT2_T3_T4_T5_mT6_T7_P12ihipStream_tbENKUlT_T0_E_clISt17integral_constantIbLb0EESZ_EEDaSU_SV_EUlSU_E_NS1_11comp_targetILNS1_3genE9ELNS1_11target_archE1100ELNS1_3gpuE3ELNS1_3repE0EEENS1_30default_config_static_selectorELNS0_4arch9wavefront6targetE1EEEvT1_
    .private_segment_fixed_size: 0
    .sgpr_count:     6
    .sgpr_spill_count: 0
    .symbol:         _ZN7rocprim17ROCPRIM_400000_NS6detail17trampoline_kernelINS0_14default_configENS1_27scan_by_key_config_selectorIiiEEZZNS1_16scan_by_key_implILNS1_25lookback_scan_determinismE0ELb1ES3_N6thrust23THRUST_200600_302600_NS6detail15normal_iteratorINS9_10device_ptrIiEEEESE_SE_iNS9_4plusIvEENS9_8equal_toIvEEiEE10hipError_tPvRmT2_T3_T4_T5_mT6_T7_P12ihipStream_tbENKUlT_T0_E_clISt17integral_constantIbLb0EESZ_EEDaSU_SV_EUlSU_E_NS1_11comp_targetILNS1_3genE9ELNS1_11target_archE1100ELNS1_3gpuE3ELNS1_3repE0EEENS1_30default_config_static_selectorELNS0_4arch9wavefront6targetE1EEEvT1_.kd
    .uniform_work_group_size: 1
    .uses_dynamic_stack: false
    .vgpr_count:     0
    .vgpr_spill_count: 0
    .wavefront_size: 64
  - .agpr_count:     0
    .args:
      - .offset:         0
        .size:           112
        .value_kind:     by_value
    .group_segment_fixed_size: 0
    .kernarg_segment_align: 8
    .kernarg_segment_size: 112
    .language:       OpenCL C
    .language_version:
      - 2
      - 0
    .max_flat_workgroup_size: 256
    .name:           _ZN7rocprim17ROCPRIM_400000_NS6detail17trampoline_kernelINS0_14default_configENS1_27scan_by_key_config_selectorIiiEEZZNS1_16scan_by_key_implILNS1_25lookback_scan_determinismE0ELb1ES3_N6thrust23THRUST_200600_302600_NS6detail15normal_iteratorINS9_10device_ptrIiEEEESE_SE_iNS9_4plusIvEENS9_8equal_toIvEEiEE10hipError_tPvRmT2_T3_T4_T5_mT6_T7_P12ihipStream_tbENKUlT_T0_E_clISt17integral_constantIbLb0EESZ_EEDaSU_SV_EUlSU_E_NS1_11comp_targetILNS1_3genE8ELNS1_11target_archE1030ELNS1_3gpuE2ELNS1_3repE0EEENS1_30default_config_static_selectorELNS0_4arch9wavefront6targetE1EEEvT1_
    .private_segment_fixed_size: 0
    .sgpr_count:     6
    .sgpr_spill_count: 0
    .symbol:         _ZN7rocprim17ROCPRIM_400000_NS6detail17trampoline_kernelINS0_14default_configENS1_27scan_by_key_config_selectorIiiEEZZNS1_16scan_by_key_implILNS1_25lookback_scan_determinismE0ELb1ES3_N6thrust23THRUST_200600_302600_NS6detail15normal_iteratorINS9_10device_ptrIiEEEESE_SE_iNS9_4plusIvEENS9_8equal_toIvEEiEE10hipError_tPvRmT2_T3_T4_T5_mT6_T7_P12ihipStream_tbENKUlT_T0_E_clISt17integral_constantIbLb0EESZ_EEDaSU_SV_EUlSU_E_NS1_11comp_targetILNS1_3genE8ELNS1_11target_archE1030ELNS1_3gpuE2ELNS1_3repE0EEENS1_30default_config_static_selectorELNS0_4arch9wavefront6targetE1EEEvT1_.kd
    .uniform_work_group_size: 1
    .uses_dynamic_stack: false
    .vgpr_count:     0
    .vgpr_spill_count: 0
    .wavefront_size: 64
  - .agpr_count:     0
    .args:
      - .offset:         0
        .size:           112
        .value_kind:     by_value
    .group_segment_fixed_size: 0
    .kernarg_segment_align: 8
    .kernarg_segment_size: 112
    .language:       OpenCL C
    .language_version:
      - 2
      - 0
    .max_flat_workgroup_size: 256
    .name:           _ZN7rocprim17ROCPRIM_400000_NS6detail17trampoline_kernelINS0_14default_configENS1_27scan_by_key_config_selectorIiiEEZZNS1_16scan_by_key_implILNS1_25lookback_scan_determinismE0ELb1ES3_N6thrust23THRUST_200600_302600_NS6detail15normal_iteratorINS9_10device_ptrIiEEEESE_SE_iNS9_4plusIvEENS9_8equal_toIvEEiEE10hipError_tPvRmT2_T3_T4_T5_mT6_T7_P12ihipStream_tbENKUlT_T0_E_clISt17integral_constantIbLb1EESZ_EEDaSU_SV_EUlSU_E_NS1_11comp_targetILNS1_3genE0ELNS1_11target_archE4294967295ELNS1_3gpuE0ELNS1_3repE0EEENS1_30default_config_static_selectorELNS0_4arch9wavefront6targetE1EEEvT1_
    .private_segment_fixed_size: 0
    .sgpr_count:     6
    .sgpr_spill_count: 0
    .symbol:         _ZN7rocprim17ROCPRIM_400000_NS6detail17trampoline_kernelINS0_14default_configENS1_27scan_by_key_config_selectorIiiEEZZNS1_16scan_by_key_implILNS1_25lookback_scan_determinismE0ELb1ES3_N6thrust23THRUST_200600_302600_NS6detail15normal_iteratorINS9_10device_ptrIiEEEESE_SE_iNS9_4plusIvEENS9_8equal_toIvEEiEE10hipError_tPvRmT2_T3_T4_T5_mT6_T7_P12ihipStream_tbENKUlT_T0_E_clISt17integral_constantIbLb1EESZ_EEDaSU_SV_EUlSU_E_NS1_11comp_targetILNS1_3genE0ELNS1_11target_archE4294967295ELNS1_3gpuE0ELNS1_3repE0EEENS1_30default_config_static_selectorELNS0_4arch9wavefront6targetE1EEEvT1_.kd
    .uniform_work_group_size: 1
    .uses_dynamic_stack: false
    .vgpr_count:     0
    .vgpr_spill_count: 0
    .wavefront_size: 64
  - .agpr_count:     0
    .args:
      - .offset:         0
        .size:           112
        .value_kind:     by_value
    .group_segment_fixed_size: 0
    .kernarg_segment_align: 8
    .kernarg_segment_size: 112
    .language:       OpenCL C
    .language_version:
      - 2
      - 0
    .max_flat_workgroup_size: 256
    .name:           _ZN7rocprim17ROCPRIM_400000_NS6detail17trampoline_kernelINS0_14default_configENS1_27scan_by_key_config_selectorIiiEEZZNS1_16scan_by_key_implILNS1_25lookback_scan_determinismE0ELb1ES3_N6thrust23THRUST_200600_302600_NS6detail15normal_iteratorINS9_10device_ptrIiEEEESE_SE_iNS9_4plusIvEENS9_8equal_toIvEEiEE10hipError_tPvRmT2_T3_T4_T5_mT6_T7_P12ihipStream_tbENKUlT_T0_E_clISt17integral_constantIbLb1EESZ_EEDaSU_SV_EUlSU_E_NS1_11comp_targetILNS1_3genE10ELNS1_11target_archE1201ELNS1_3gpuE5ELNS1_3repE0EEENS1_30default_config_static_selectorELNS0_4arch9wavefront6targetE1EEEvT1_
    .private_segment_fixed_size: 0
    .sgpr_count:     6
    .sgpr_spill_count: 0
    .symbol:         _ZN7rocprim17ROCPRIM_400000_NS6detail17trampoline_kernelINS0_14default_configENS1_27scan_by_key_config_selectorIiiEEZZNS1_16scan_by_key_implILNS1_25lookback_scan_determinismE0ELb1ES3_N6thrust23THRUST_200600_302600_NS6detail15normal_iteratorINS9_10device_ptrIiEEEESE_SE_iNS9_4plusIvEENS9_8equal_toIvEEiEE10hipError_tPvRmT2_T3_T4_T5_mT6_T7_P12ihipStream_tbENKUlT_T0_E_clISt17integral_constantIbLb1EESZ_EEDaSU_SV_EUlSU_E_NS1_11comp_targetILNS1_3genE10ELNS1_11target_archE1201ELNS1_3gpuE5ELNS1_3repE0EEENS1_30default_config_static_selectorELNS0_4arch9wavefront6targetE1EEEvT1_.kd
    .uniform_work_group_size: 1
    .uses_dynamic_stack: false
    .vgpr_count:     0
    .vgpr_spill_count: 0
    .wavefront_size: 64
  - .agpr_count:     0
    .args:
      - .offset:         0
        .size:           112
        .value_kind:     by_value
    .group_segment_fixed_size: 25600
    .kernarg_segment_align: 8
    .kernarg_segment_size: 112
    .language:       OpenCL C
    .language_version:
      - 2
      - 0
    .max_flat_workgroup_size: 256
    .name:           _ZN7rocprim17ROCPRIM_400000_NS6detail17trampoline_kernelINS0_14default_configENS1_27scan_by_key_config_selectorIiiEEZZNS1_16scan_by_key_implILNS1_25lookback_scan_determinismE0ELb1ES3_N6thrust23THRUST_200600_302600_NS6detail15normal_iteratorINS9_10device_ptrIiEEEESE_SE_iNS9_4plusIvEENS9_8equal_toIvEEiEE10hipError_tPvRmT2_T3_T4_T5_mT6_T7_P12ihipStream_tbENKUlT_T0_E_clISt17integral_constantIbLb1EESZ_EEDaSU_SV_EUlSU_E_NS1_11comp_targetILNS1_3genE5ELNS1_11target_archE942ELNS1_3gpuE9ELNS1_3repE0EEENS1_30default_config_static_selectorELNS0_4arch9wavefront6targetE1EEEvT1_
    .private_segment_fixed_size: 0
    .sgpr_count:     86
    .sgpr_spill_count: 0
    .symbol:         _ZN7rocprim17ROCPRIM_400000_NS6detail17trampoline_kernelINS0_14default_configENS1_27scan_by_key_config_selectorIiiEEZZNS1_16scan_by_key_implILNS1_25lookback_scan_determinismE0ELb1ES3_N6thrust23THRUST_200600_302600_NS6detail15normal_iteratorINS9_10device_ptrIiEEEESE_SE_iNS9_4plusIvEENS9_8equal_toIvEEiEE10hipError_tPvRmT2_T3_T4_T5_mT6_T7_P12ihipStream_tbENKUlT_T0_E_clISt17integral_constantIbLb1EESZ_EEDaSU_SV_EUlSU_E_NS1_11comp_targetILNS1_3genE5ELNS1_11target_archE942ELNS1_3gpuE9ELNS1_3repE0EEENS1_30default_config_static_selectorELNS0_4arch9wavefront6targetE1EEEvT1_.kd
    .uniform_work_group_size: 1
    .uses_dynamic_stack: false
    .vgpr_count:     83
    .vgpr_spill_count: 0
    .wavefront_size: 64
  - .agpr_count:     0
    .args:
      - .offset:         0
        .size:           112
        .value_kind:     by_value
    .group_segment_fixed_size: 0
    .kernarg_segment_align: 8
    .kernarg_segment_size: 112
    .language:       OpenCL C
    .language_version:
      - 2
      - 0
    .max_flat_workgroup_size: 256
    .name:           _ZN7rocprim17ROCPRIM_400000_NS6detail17trampoline_kernelINS0_14default_configENS1_27scan_by_key_config_selectorIiiEEZZNS1_16scan_by_key_implILNS1_25lookback_scan_determinismE0ELb1ES3_N6thrust23THRUST_200600_302600_NS6detail15normal_iteratorINS9_10device_ptrIiEEEESE_SE_iNS9_4plusIvEENS9_8equal_toIvEEiEE10hipError_tPvRmT2_T3_T4_T5_mT6_T7_P12ihipStream_tbENKUlT_T0_E_clISt17integral_constantIbLb1EESZ_EEDaSU_SV_EUlSU_E_NS1_11comp_targetILNS1_3genE4ELNS1_11target_archE910ELNS1_3gpuE8ELNS1_3repE0EEENS1_30default_config_static_selectorELNS0_4arch9wavefront6targetE1EEEvT1_
    .private_segment_fixed_size: 0
    .sgpr_count:     6
    .sgpr_spill_count: 0
    .symbol:         _ZN7rocprim17ROCPRIM_400000_NS6detail17trampoline_kernelINS0_14default_configENS1_27scan_by_key_config_selectorIiiEEZZNS1_16scan_by_key_implILNS1_25lookback_scan_determinismE0ELb1ES3_N6thrust23THRUST_200600_302600_NS6detail15normal_iteratorINS9_10device_ptrIiEEEESE_SE_iNS9_4plusIvEENS9_8equal_toIvEEiEE10hipError_tPvRmT2_T3_T4_T5_mT6_T7_P12ihipStream_tbENKUlT_T0_E_clISt17integral_constantIbLb1EESZ_EEDaSU_SV_EUlSU_E_NS1_11comp_targetILNS1_3genE4ELNS1_11target_archE910ELNS1_3gpuE8ELNS1_3repE0EEENS1_30default_config_static_selectorELNS0_4arch9wavefront6targetE1EEEvT1_.kd
    .uniform_work_group_size: 1
    .uses_dynamic_stack: false
    .vgpr_count:     0
    .vgpr_spill_count: 0
    .wavefront_size: 64
  - .agpr_count:     0
    .args:
      - .offset:         0
        .size:           112
        .value_kind:     by_value
    .group_segment_fixed_size: 0
    .kernarg_segment_align: 8
    .kernarg_segment_size: 112
    .language:       OpenCL C
    .language_version:
      - 2
      - 0
    .max_flat_workgroup_size: 256
    .name:           _ZN7rocprim17ROCPRIM_400000_NS6detail17trampoline_kernelINS0_14default_configENS1_27scan_by_key_config_selectorIiiEEZZNS1_16scan_by_key_implILNS1_25lookback_scan_determinismE0ELb1ES3_N6thrust23THRUST_200600_302600_NS6detail15normal_iteratorINS9_10device_ptrIiEEEESE_SE_iNS9_4plusIvEENS9_8equal_toIvEEiEE10hipError_tPvRmT2_T3_T4_T5_mT6_T7_P12ihipStream_tbENKUlT_T0_E_clISt17integral_constantIbLb1EESZ_EEDaSU_SV_EUlSU_E_NS1_11comp_targetILNS1_3genE3ELNS1_11target_archE908ELNS1_3gpuE7ELNS1_3repE0EEENS1_30default_config_static_selectorELNS0_4arch9wavefront6targetE1EEEvT1_
    .private_segment_fixed_size: 0
    .sgpr_count:     6
    .sgpr_spill_count: 0
    .symbol:         _ZN7rocprim17ROCPRIM_400000_NS6detail17trampoline_kernelINS0_14default_configENS1_27scan_by_key_config_selectorIiiEEZZNS1_16scan_by_key_implILNS1_25lookback_scan_determinismE0ELb1ES3_N6thrust23THRUST_200600_302600_NS6detail15normal_iteratorINS9_10device_ptrIiEEEESE_SE_iNS9_4plusIvEENS9_8equal_toIvEEiEE10hipError_tPvRmT2_T3_T4_T5_mT6_T7_P12ihipStream_tbENKUlT_T0_E_clISt17integral_constantIbLb1EESZ_EEDaSU_SV_EUlSU_E_NS1_11comp_targetILNS1_3genE3ELNS1_11target_archE908ELNS1_3gpuE7ELNS1_3repE0EEENS1_30default_config_static_selectorELNS0_4arch9wavefront6targetE1EEEvT1_.kd
    .uniform_work_group_size: 1
    .uses_dynamic_stack: false
    .vgpr_count:     0
    .vgpr_spill_count: 0
    .wavefront_size: 64
  - .agpr_count:     0
    .args:
      - .offset:         0
        .size:           112
        .value_kind:     by_value
    .group_segment_fixed_size: 0
    .kernarg_segment_align: 8
    .kernarg_segment_size: 112
    .language:       OpenCL C
    .language_version:
      - 2
      - 0
    .max_flat_workgroup_size: 256
    .name:           _ZN7rocprim17ROCPRIM_400000_NS6detail17trampoline_kernelINS0_14default_configENS1_27scan_by_key_config_selectorIiiEEZZNS1_16scan_by_key_implILNS1_25lookback_scan_determinismE0ELb1ES3_N6thrust23THRUST_200600_302600_NS6detail15normal_iteratorINS9_10device_ptrIiEEEESE_SE_iNS9_4plusIvEENS9_8equal_toIvEEiEE10hipError_tPvRmT2_T3_T4_T5_mT6_T7_P12ihipStream_tbENKUlT_T0_E_clISt17integral_constantIbLb1EESZ_EEDaSU_SV_EUlSU_E_NS1_11comp_targetILNS1_3genE2ELNS1_11target_archE906ELNS1_3gpuE6ELNS1_3repE0EEENS1_30default_config_static_selectorELNS0_4arch9wavefront6targetE1EEEvT1_
    .private_segment_fixed_size: 0
    .sgpr_count:     6
    .sgpr_spill_count: 0
    .symbol:         _ZN7rocprim17ROCPRIM_400000_NS6detail17trampoline_kernelINS0_14default_configENS1_27scan_by_key_config_selectorIiiEEZZNS1_16scan_by_key_implILNS1_25lookback_scan_determinismE0ELb1ES3_N6thrust23THRUST_200600_302600_NS6detail15normal_iteratorINS9_10device_ptrIiEEEESE_SE_iNS9_4plusIvEENS9_8equal_toIvEEiEE10hipError_tPvRmT2_T3_T4_T5_mT6_T7_P12ihipStream_tbENKUlT_T0_E_clISt17integral_constantIbLb1EESZ_EEDaSU_SV_EUlSU_E_NS1_11comp_targetILNS1_3genE2ELNS1_11target_archE906ELNS1_3gpuE6ELNS1_3repE0EEENS1_30default_config_static_selectorELNS0_4arch9wavefront6targetE1EEEvT1_.kd
    .uniform_work_group_size: 1
    .uses_dynamic_stack: false
    .vgpr_count:     0
    .vgpr_spill_count: 0
    .wavefront_size: 64
  - .agpr_count:     0
    .args:
      - .offset:         0
        .size:           112
        .value_kind:     by_value
    .group_segment_fixed_size: 0
    .kernarg_segment_align: 8
    .kernarg_segment_size: 112
    .language:       OpenCL C
    .language_version:
      - 2
      - 0
    .max_flat_workgroup_size: 256
    .name:           _ZN7rocprim17ROCPRIM_400000_NS6detail17trampoline_kernelINS0_14default_configENS1_27scan_by_key_config_selectorIiiEEZZNS1_16scan_by_key_implILNS1_25lookback_scan_determinismE0ELb1ES3_N6thrust23THRUST_200600_302600_NS6detail15normal_iteratorINS9_10device_ptrIiEEEESE_SE_iNS9_4plusIvEENS9_8equal_toIvEEiEE10hipError_tPvRmT2_T3_T4_T5_mT6_T7_P12ihipStream_tbENKUlT_T0_E_clISt17integral_constantIbLb1EESZ_EEDaSU_SV_EUlSU_E_NS1_11comp_targetILNS1_3genE10ELNS1_11target_archE1200ELNS1_3gpuE4ELNS1_3repE0EEENS1_30default_config_static_selectorELNS0_4arch9wavefront6targetE1EEEvT1_
    .private_segment_fixed_size: 0
    .sgpr_count:     6
    .sgpr_spill_count: 0
    .symbol:         _ZN7rocprim17ROCPRIM_400000_NS6detail17trampoline_kernelINS0_14default_configENS1_27scan_by_key_config_selectorIiiEEZZNS1_16scan_by_key_implILNS1_25lookback_scan_determinismE0ELb1ES3_N6thrust23THRUST_200600_302600_NS6detail15normal_iteratorINS9_10device_ptrIiEEEESE_SE_iNS9_4plusIvEENS9_8equal_toIvEEiEE10hipError_tPvRmT2_T3_T4_T5_mT6_T7_P12ihipStream_tbENKUlT_T0_E_clISt17integral_constantIbLb1EESZ_EEDaSU_SV_EUlSU_E_NS1_11comp_targetILNS1_3genE10ELNS1_11target_archE1200ELNS1_3gpuE4ELNS1_3repE0EEENS1_30default_config_static_selectorELNS0_4arch9wavefront6targetE1EEEvT1_.kd
    .uniform_work_group_size: 1
    .uses_dynamic_stack: false
    .vgpr_count:     0
    .vgpr_spill_count: 0
    .wavefront_size: 64
  - .agpr_count:     0
    .args:
      - .offset:         0
        .size:           112
        .value_kind:     by_value
    .group_segment_fixed_size: 0
    .kernarg_segment_align: 8
    .kernarg_segment_size: 112
    .language:       OpenCL C
    .language_version:
      - 2
      - 0
    .max_flat_workgroup_size: 256
    .name:           _ZN7rocprim17ROCPRIM_400000_NS6detail17trampoline_kernelINS0_14default_configENS1_27scan_by_key_config_selectorIiiEEZZNS1_16scan_by_key_implILNS1_25lookback_scan_determinismE0ELb1ES3_N6thrust23THRUST_200600_302600_NS6detail15normal_iteratorINS9_10device_ptrIiEEEESE_SE_iNS9_4plusIvEENS9_8equal_toIvEEiEE10hipError_tPvRmT2_T3_T4_T5_mT6_T7_P12ihipStream_tbENKUlT_T0_E_clISt17integral_constantIbLb1EESZ_EEDaSU_SV_EUlSU_E_NS1_11comp_targetILNS1_3genE9ELNS1_11target_archE1100ELNS1_3gpuE3ELNS1_3repE0EEENS1_30default_config_static_selectorELNS0_4arch9wavefront6targetE1EEEvT1_
    .private_segment_fixed_size: 0
    .sgpr_count:     6
    .sgpr_spill_count: 0
    .symbol:         _ZN7rocprim17ROCPRIM_400000_NS6detail17trampoline_kernelINS0_14default_configENS1_27scan_by_key_config_selectorIiiEEZZNS1_16scan_by_key_implILNS1_25lookback_scan_determinismE0ELb1ES3_N6thrust23THRUST_200600_302600_NS6detail15normal_iteratorINS9_10device_ptrIiEEEESE_SE_iNS9_4plusIvEENS9_8equal_toIvEEiEE10hipError_tPvRmT2_T3_T4_T5_mT6_T7_P12ihipStream_tbENKUlT_T0_E_clISt17integral_constantIbLb1EESZ_EEDaSU_SV_EUlSU_E_NS1_11comp_targetILNS1_3genE9ELNS1_11target_archE1100ELNS1_3gpuE3ELNS1_3repE0EEENS1_30default_config_static_selectorELNS0_4arch9wavefront6targetE1EEEvT1_.kd
    .uniform_work_group_size: 1
    .uses_dynamic_stack: false
    .vgpr_count:     0
    .vgpr_spill_count: 0
    .wavefront_size: 64
  - .agpr_count:     0
    .args:
      - .offset:         0
        .size:           112
        .value_kind:     by_value
    .group_segment_fixed_size: 0
    .kernarg_segment_align: 8
    .kernarg_segment_size: 112
    .language:       OpenCL C
    .language_version:
      - 2
      - 0
    .max_flat_workgroup_size: 256
    .name:           _ZN7rocprim17ROCPRIM_400000_NS6detail17trampoline_kernelINS0_14default_configENS1_27scan_by_key_config_selectorIiiEEZZNS1_16scan_by_key_implILNS1_25lookback_scan_determinismE0ELb1ES3_N6thrust23THRUST_200600_302600_NS6detail15normal_iteratorINS9_10device_ptrIiEEEESE_SE_iNS9_4plusIvEENS9_8equal_toIvEEiEE10hipError_tPvRmT2_T3_T4_T5_mT6_T7_P12ihipStream_tbENKUlT_T0_E_clISt17integral_constantIbLb1EESZ_EEDaSU_SV_EUlSU_E_NS1_11comp_targetILNS1_3genE8ELNS1_11target_archE1030ELNS1_3gpuE2ELNS1_3repE0EEENS1_30default_config_static_selectorELNS0_4arch9wavefront6targetE1EEEvT1_
    .private_segment_fixed_size: 0
    .sgpr_count:     6
    .sgpr_spill_count: 0
    .symbol:         _ZN7rocprim17ROCPRIM_400000_NS6detail17trampoline_kernelINS0_14default_configENS1_27scan_by_key_config_selectorIiiEEZZNS1_16scan_by_key_implILNS1_25lookback_scan_determinismE0ELb1ES3_N6thrust23THRUST_200600_302600_NS6detail15normal_iteratorINS9_10device_ptrIiEEEESE_SE_iNS9_4plusIvEENS9_8equal_toIvEEiEE10hipError_tPvRmT2_T3_T4_T5_mT6_T7_P12ihipStream_tbENKUlT_T0_E_clISt17integral_constantIbLb1EESZ_EEDaSU_SV_EUlSU_E_NS1_11comp_targetILNS1_3genE8ELNS1_11target_archE1030ELNS1_3gpuE2ELNS1_3repE0EEENS1_30default_config_static_selectorELNS0_4arch9wavefront6targetE1EEEvT1_.kd
    .uniform_work_group_size: 1
    .uses_dynamic_stack: false
    .vgpr_count:     0
    .vgpr_spill_count: 0
    .wavefront_size: 64
  - .agpr_count:     0
    .args:
      - .offset:         0
        .size:           112
        .value_kind:     by_value
    .group_segment_fixed_size: 0
    .kernarg_segment_align: 8
    .kernarg_segment_size: 112
    .language:       OpenCL C
    .language_version:
      - 2
      - 0
    .max_flat_workgroup_size: 256
    .name:           _ZN7rocprim17ROCPRIM_400000_NS6detail17trampoline_kernelINS0_14default_configENS1_27scan_by_key_config_selectorIiiEEZZNS1_16scan_by_key_implILNS1_25lookback_scan_determinismE0ELb1ES3_N6thrust23THRUST_200600_302600_NS6detail15normal_iteratorINS9_10device_ptrIiEEEESE_SE_iNS9_4plusIvEENS9_8equal_toIvEEiEE10hipError_tPvRmT2_T3_T4_T5_mT6_T7_P12ihipStream_tbENKUlT_T0_E_clISt17integral_constantIbLb1EESY_IbLb0EEEEDaSU_SV_EUlSU_E_NS1_11comp_targetILNS1_3genE0ELNS1_11target_archE4294967295ELNS1_3gpuE0ELNS1_3repE0EEENS1_30default_config_static_selectorELNS0_4arch9wavefront6targetE1EEEvT1_
    .private_segment_fixed_size: 0
    .sgpr_count:     6
    .sgpr_spill_count: 0
    .symbol:         _ZN7rocprim17ROCPRIM_400000_NS6detail17trampoline_kernelINS0_14default_configENS1_27scan_by_key_config_selectorIiiEEZZNS1_16scan_by_key_implILNS1_25lookback_scan_determinismE0ELb1ES3_N6thrust23THRUST_200600_302600_NS6detail15normal_iteratorINS9_10device_ptrIiEEEESE_SE_iNS9_4plusIvEENS9_8equal_toIvEEiEE10hipError_tPvRmT2_T3_T4_T5_mT6_T7_P12ihipStream_tbENKUlT_T0_E_clISt17integral_constantIbLb1EESY_IbLb0EEEEDaSU_SV_EUlSU_E_NS1_11comp_targetILNS1_3genE0ELNS1_11target_archE4294967295ELNS1_3gpuE0ELNS1_3repE0EEENS1_30default_config_static_selectorELNS0_4arch9wavefront6targetE1EEEvT1_.kd
    .uniform_work_group_size: 1
    .uses_dynamic_stack: false
    .vgpr_count:     0
    .vgpr_spill_count: 0
    .wavefront_size: 64
  - .agpr_count:     0
    .args:
      - .offset:         0
        .size:           112
        .value_kind:     by_value
    .group_segment_fixed_size: 0
    .kernarg_segment_align: 8
    .kernarg_segment_size: 112
    .language:       OpenCL C
    .language_version:
      - 2
      - 0
    .max_flat_workgroup_size: 256
    .name:           _ZN7rocprim17ROCPRIM_400000_NS6detail17trampoline_kernelINS0_14default_configENS1_27scan_by_key_config_selectorIiiEEZZNS1_16scan_by_key_implILNS1_25lookback_scan_determinismE0ELb1ES3_N6thrust23THRUST_200600_302600_NS6detail15normal_iteratorINS9_10device_ptrIiEEEESE_SE_iNS9_4plusIvEENS9_8equal_toIvEEiEE10hipError_tPvRmT2_T3_T4_T5_mT6_T7_P12ihipStream_tbENKUlT_T0_E_clISt17integral_constantIbLb1EESY_IbLb0EEEEDaSU_SV_EUlSU_E_NS1_11comp_targetILNS1_3genE10ELNS1_11target_archE1201ELNS1_3gpuE5ELNS1_3repE0EEENS1_30default_config_static_selectorELNS0_4arch9wavefront6targetE1EEEvT1_
    .private_segment_fixed_size: 0
    .sgpr_count:     6
    .sgpr_spill_count: 0
    .symbol:         _ZN7rocprim17ROCPRIM_400000_NS6detail17trampoline_kernelINS0_14default_configENS1_27scan_by_key_config_selectorIiiEEZZNS1_16scan_by_key_implILNS1_25lookback_scan_determinismE0ELb1ES3_N6thrust23THRUST_200600_302600_NS6detail15normal_iteratorINS9_10device_ptrIiEEEESE_SE_iNS9_4plusIvEENS9_8equal_toIvEEiEE10hipError_tPvRmT2_T3_T4_T5_mT6_T7_P12ihipStream_tbENKUlT_T0_E_clISt17integral_constantIbLb1EESY_IbLb0EEEEDaSU_SV_EUlSU_E_NS1_11comp_targetILNS1_3genE10ELNS1_11target_archE1201ELNS1_3gpuE5ELNS1_3repE0EEENS1_30default_config_static_selectorELNS0_4arch9wavefront6targetE1EEEvT1_.kd
    .uniform_work_group_size: 1
    .uses_dynamic_stack: false
    .vgpr_count:     0
    .vgpr_spill_count: 0
    .wavefront_size: 64
  - .agpr_count:     0
    .args:
      - .offset:         0
        .size:           112
        .value_kind:     by_value
    .group_segment_fixed_size: 25600
    .kernarg_segment_align: 8
    .kernarg_segment_size: 112
    .language:       OpenCL C
    .language_version:
      - 2
      - 0
    .max_flat_workgroup_size: 256
    .name:           _ZN7rocprim17ROCPRIM_400000_NS6detail17trampoline_kernelINS0_14default_configENS1_27scan_by_key_config_selectorIiiEEZZNS1_16scan_by_key_implILNS1_25lookback_scan_determinismE0ELb1ES3_N6thrust23THRUST_200600_302600_NS6detail15normal_iteratorINS9_10device_ptrIiEEEESE_SE_iNS9_4plusIvEENS9_8equal_toIvEEiEE10hipError_tPvRmT2_T3_T4_T5_mT6_T7_P12ihipStream_tbENKUlT_T0_E_clISt17integral_constantIbLb1EESY_IbLb0EEEEDaSU_SV_EUlSU_E_NS1_11comp_targetILNS1_3genE5ELNS1_11target_archE942ELNS1_3gpuE9ELNS1_3repE0EEENS1_30default_config_static_selectorELNS0_4arch9wavefront6targetE1EEEvT1_
    .private_segment_fixed_size: 0
    .sgpr_count:     86
    .sgpr_spill_count: 0
    .symbol:         _ZN7rocprim17ROCPRIM_400000_NS6detail17trampoline_kernelINS0_14default_configENS1_27scan_by_key_config_selectorIiiEEZZNS1_16scan_by_key_implILNS1_25lookback_scan_determinismE0ELb1ES3_N6thrust23THRUST_200600_302600_NS6detail15normal_iteratorINS9_10device_ptrIiEEEESE_SE_iNS9_4plusIvEENS9_8equal_toIvEEiEE10hipError_tPvRmT2_T3_T4_T5_mT6_T7_P12ihipStream_tbENKUlT_T0_E_clISt17integral_constantIbLb1EESY_IbLb0EEEEDaSU_SV_EUlSU_E_NS1_11comp_targetILNS1_3genE5ELNS1_11target_archE942ELNS1_3gpuE9ELNS1_3repE0EEENS1_30default_config_static_selectorELNS0_4arch9wavefront6targetE1EEEvT1_.kd
    .uniform_work_group_size: 1
    .uses_dynamic_stack: false
    .vgpr_count:     81
    .vgpr_spill_count: 0
    .wavefront_size: 64
  - .agpr_count:     0
    .args:
      - .offset:         0
        .size:           112
        .value_kind:     by_value
    .group_segment_fixed_size: 0
    .kernarg_segment_align: 8
    .kernarg_segment_size: 112
    .language:       OpenCL C
    .language_version:
      - 2
      - 0
    .max_flat_workgroup_size: 256
    .name:           _ZN7rocprim17ROCPRIM_400000_NS6detail17trampoline_kernelINS0_14default_configENS1_27scan_by_key_config_selectorIiiEEZZNS1_16scan_by_key_implILNS1_25lookback_scan_determinismE0ELb1ES3_N6thrust23THRUST_200600_302600_NS6detail15normal_iteratorINS9_10device_ptrIiEEEESE_SE_iNS9_4plusIvEENS9_8equal_toIvEEiEE10hipError_tPvRmT2_T3_T4_T5_mT6_T7_P12ihipStream_tbENKUlT_T0_E_clISt17integral_constantIbLb1EESY_IbLb0EEEEDaSU_SV_EUlSU_E_NS1_11comp_targetILNS1_3genE4ELNS1_11target_archE910ELNS1_3gpuE8ELNS1_3repE0EEENS1_30default_config_static_selectorELNS0_4arch9wavefront6targetE1EEEvT1_
    .private_segment_fixed_size: 0
    .sgpr_count:     6
    .sgpr_spill_count: 0
    .symbol:         _ZN7rocprim17ROCPRIM_400000_NS6detail17trampoline_kernelINS0_14default_configENS1_27scan_by_key_config_selectorIiiEEZZNS1_16scan_by_key_implILNS1_25lookback_scan_determinismE0ELb1ES3_N6thrust23THRUST_200600_302600_NS6detail15normal_iteratorINS9_10device_ptrIiEEEESE_SE_iNS9_4plusIvEENS9_8equal_toIvEEiEE10hipError_tPvRmT2_T3_T4_T5_mT6_T7_P12ihipStream_tbENKUlT_T0_E_clISt17integral_constantIbLb1EESY_IbLb0EEEEDaSU_SV_EUlSU_E_NS1_11comp_targetILNS1_3genE4ELNS1_11target_archE910ELNS1_3gpuE8ELNS1_3repE0EEENS1_30default_config_static_selectorELNS0_4arch9wavefront6targetE1EEEvT1_.kd
    .uniform_work_group_size: 1
    .uses_dynamic_stack: false
    .vgpr_count:     0
    .vgpr_spill_count: 0
    .wavefront_size: 64
  - .agpr_count:     0
    .args:
      - .offset:         0
        .size:           112
        .value_kind:     by_value
    .group_segment_fixed_size: 0
    .kernarg_segment_align: 8
    .kernarg_segment_size: 112
    .language:       OpenCL C
    .language_version:
      - 2
      - 0
    .max_flat_workgroup_size: 256
    .name:           _ZN7rocprim17ROCPRIM_400000_NS6detail17trampoline_kernelINS0_14default_configENS1_27scan_by_key_config_selectorIiiEEZZNS1_16scan_by_key_implILNS1_25lookback_scan_determinismE0ELb1ES3_N6thrust23THRUST_200600_302600_NS6detail15normal_iteratorINS9_10device_ptrIiEEEESE_SE_iNS9_4plusIvEENS9_8equal_toIvEEiEE10hipError_tPvRmT2_T3_T4_T5_mT6_T7_P12ihipStream_tbENKUlT_T0_E_clISt17integral_constantIbLb1EESY_IbLb0EEEEDaSU_SV_EUlSU_E_NS1_11comp_targetILNS1_3genE3ELNS1_11target_archE908ELNS1_3gpuE7ELNS1_3repE0EEENS1_30default_config_static_selectorELNS0_4arch9wavefront6targetE1EEEvT1_
    .private_segment_fixed_size: 0
    .sgpr_count:     6
    .sgpr_spill_count: 0
    .symbol:         _ZN7rocprim17ROCPRIM_400000_NS6detail17trampoline_kernelINS0_14default_configENS1_27scan_by_key_config_selectorIiiEEZZNS1_16scan_by_key_implILNS1_25lookback_scan_determinismE0ELb1ES3_N6thrust23THRUST_200600_302600_NS6detail15normal_iteratorINS9_10device_ptrIiEEEESE_SE_iNS9_4plusIvEENS9_8equal_toIvEEiEE10hipError_tPvRmT2_T3_T4_T5_mT6_T7_P12ihipStream_tbENKUlT_T0_E_clISt17integral_constantIbLb1EESY_IbLb0EEEEDaSU_SV_EUlSU_E_NS1_11comp_targetILNS1_3genE3ELNS1_11target_archE908ELNS1_3gpuE7ELNS1_3repE0EEENS1_30default_config_static_selectorELNS0_4arch9wavefront6targetE1EEEvT1_.kd
    .uniform_work_group_size: 1
    .uses_dynamic_stack: false
    .vgpr_count:     0
    .vgpr_spill_count: 0
    .wavefront_size: 64
  - .agpr_count:     0
    .args:
      - .offset:         0
        .size:           112
        .value_kind:     by_value
    .group_segment_fixed_size: 0
    .kernarg_segment_align: 8
    .kernarg_segment_size: 112
    .language:       OpenCL C
    .language_version:
      - 2
      - 0
    .max_flat_workgroup_size: 256
    .name:           _ZN7rocprim17ROCPRIM_400000_NS6detail17trampoline_kernelINS0_14default_configENS1_27scan_by_key_config_selectorIiiEEZZNS1_16scan_by_key_implILNS1_25lookback_scan_determinismE0ELb1ES3_N6thrust23THRUST_200600_302600_NS6detail15normal_iteratorINS9_10device_ptrIiEEEESE_SE_iNS9_4plusIvEENS9_8equal_toIvEEiEE10hipError_tPvRmT2_T3_T4_T5_mT6_T7_P12ihipStream_tbENKUlT_T0_E_clISt17integral_constantIbLb1EESY_IbLb0EEEEDaSU_SV_EUlSU_E_NS1_11comp_targetILNS1_3genE2ELNS1_11target_archE906ELNS1_3gpuE6ELNS1_3repE0EEENS1_30default_config_static_selectorELNS0_4arch9wavefront6targetE1EEEvT1_
    .private_segment_fixed_size: 0
    .sgpr_count:     6
    .sgpr_spill_count: 0
    .symbol:         _ZN7rocprim17ROCPRIM_400000_NS6detail17trampoline_kernelINS0_14default_configENS1_27scan_by_key_config_selectorIiiEEZZNS1_16scan_by_key_implILNS1_25lookback_scan_determinismE0ELb1ES3_N6thrust23THRUST_200600_302600_NS6detail15normal_iteratorINS9_10device_ptrIiEEEESE_SE_iNS9_4plusIvEENS9_8equal_toIvEEiEE10hipError_tPvRmT2_T3_T4_T5_mT6_T7_P12ihipStream_tbENKUlT_T0_E_clISt17integral_constantIbLb1EESY_IbLb0EEEEDaSU_SV_EUlSU_E_NS1_11comp_targetILNS1_3genE2ELNS1_11target_archE906ELNS1_3gpuE6ELNS1_3repE0EEENS1_30default_config_static_selectorELNS0_4arch9wavefront6targetE1EEEvT1_.kd
    .uniform_work_group_size: 1
    .uses_dynamic_stack: false
    .vgpr_count:     0
    .vgpr_spill_count: 0
    .wavefront_size: 64
  - .agpr_count:     0
    .args:
      - .offset:         0
        .size:           112
        .value_kind:     by_value
    .group_segment_fixed_size: 0
    .kernarg_segment_align: 8
    .kernarg_segment_size: 112
    .language:       OpenCL C
    .language_version:
      - 2
      - 0
    .max_flat_workgroup_size: 256
    .name:           _ZN7rocprim17ROCPRIM_400000_NS6detail17trampoline_kernelINS0_14default_configENS1_27scan_by_key_config_selectorIiiEEZZNS1_16scan_by_key_implILNS1_25lookback_scan_determinismE0ELb1ES3_N6thrust23THRUST_200600_302600_NS6detail15normal_iteratorINS9_10device_ptrIiEEEESE_SE_iNS9_4plusIvEENS9_8equal_toIvEEiEE10hipError_tPvRmT2_T3_T4_T5_mT6_T7_P12ihipStream_tbENKUlT_T0_E_clISt17integral_constantIbLb1EESY_IbLb0EEEEDaSU_SV_EUlSU_E_NS1_11comp_targetILNS1_3genE10ELNS1_11target_archE1200ELNS1_3gpuE4ELNS1_3repE0EEENS1_30default_config_static_selectorELNS0_4arch9wavefront6targetE1EEEvT1_
    .private_segment_fixed_size: 0
    .sgpr_count:     6
    .sgpr_spill_count: 0
    .symbol:         _ZN7rocprim17ROCPRIM_400000_NS6detail17trampoline_kernelINS0_14default_configENS1_27scan_by_key_config_selectorIiiEEZZNS1_16scan_by_key_implILNS1_25lookback_scan_determinismE0ELb1ES3_N6thrust23THRUST_200600_302600_NS6detail15normal_iteratorINS9_10device_ptrIiEEEESE_SE_iNS9_4plusIvEENS9_8equal_toIvEEiEE10hipError_tPvRmT2_T3_T4_T5_mT6_T7_P12ihipStream_tbENKUlT_T0_E_clISt17integral_constantIbLb1EESY_IbLb0EEEEDaSU_SV_EUlSU_E_NS1_11comp_targetILNS1_3genE10ELNS1_11target_archE1200ELNS1_3gpuE4ELNS1_3repE0EEENS1_30default_config_static_selectorELNS0_4arch9wavefront6targetE1EEEvT1_.kd
    .uniform_work_group_size: 1
    .uses_dynamic_stack: false
    .vgpr_count:     0
    .vgpr_spill_count: 0
    .wavefront_size: 64
  - .agpr_count:     0
    .args:
      - .offset:         0
        .size:           112
        .value_kind:     by_value
    .group_segment_fixed_size: 0
    .kernarg_segment_align: 8
    .kernarg_segment_size: 112
    .language:       OpenCL C
    .language_version:
      - 2
      - 0
    .max_flat_workgroup_size: 256
    .name:           _ZN7rocprim17ROCPRIM_400000_NS6detail17trampoline_kernelINS0_14default_configENS1_27scan_by_key_config_selectorIiiEEZZNS1_16scan_by_key_implILNS1_25lookback_scan_determinismE0ELb1ES3_N6thrust23THRUST_200600_302600_NS6detail15normal_iteratorINS9_10device_ptrIiEEEESE_SE_iNS9_4plusIvEENS9_8equal_toIvEEiEE10hipError_tPvRmT2_T3_T4_T5_mT6_T7_P12ihipStream_tbENKUlT_T0_E_clISt17integral_constantIbLb1EESY_IbLb0EEEEDaSU_SV_EUlSU_E_NS1_11comp_targetILNS1_3genE9ELNS1_11target_archE1100ELNS1_3gpuE3ELNS1_3repE0EEENS1_30default_config_static_selectorELNS0_4arch9wavefront6targetE1EEEvT1_
    .private_segment_fixed_size: 0
    .sgpr_count:     6
    .sgpr_spill_count: 0
    .symbol:         _ZN7rocprim17ROCPRIM_400000_NS6detail17trampoline_kernelINS0_14default_configENS1_27scan_by_key_config_selectorIiiEEZZNS1_16scan_by_key_implILNS1_25lookback_scan_determinismE0ELb1ES3_N6thrust23THRUST_200600_302600_NS6detail15normal_iteratorINS9_10device_ptrIiEEEESE_SE_iNS9_4plusIvEENS9_8equal_toIvEEiEE10hipError_tPvRmT2_T3_T4_T5_mT6_T7_P12ihipStream_tbENKUlT_T0_E_clISt17integral_constantIbLb1EESY_IbLb0EEEEDaSU_SV_EUlSU_E_NS1_11comp_targetILNS1_3genE9ELNS1_11target_archE1100ELNS1_3gpuE3ELNS1_3repE0EEENS1_30default_config_static_selectorELNS0_4arch9wavefront6targetE1EEEvT1_.kd
    .uniform_work_group_size: 1
    .uses_dynamic_stack: false
    .vgpr_count:     0
    .vgpr_spill_count: 0
    .wavefront_size: 64
  - .agpr_count:     0
    .args:
      - .offset:         0
        .size:           112
        .value_kind:     by_value
    .group_segment_fixed_size: 0
    .kernarg_segment_align: 8
    .kernarg_segment_size: 112
    .language:       OpenCL C
    .language_version:
      - 2
      - 0
    .max_flat_workgroup_size: 256
    .name:           _ZN7rocprim17ROCPRIM_400000_NS6detail17trampoline_kernelINS0_14default_configENS1_27scan_by_key_config_selectorIiiEEZZNS1_16scan_by_key_implILNS1_25lookback_scan_determinismE0ELb1ES3_N6thrust23THRUST_200600_302600_NS6detail15normal_iteratorINS9_10device_ptrIiEEEESE_SE_iNS9_4plusIvEENS9_8equal_toIvEEiEE10hipError_tPvRmT2_T3_T4_T5_mT6_T7_P12ihipStream_tbENKUlT_T0_E_clISt17integral_constantIbLb1EESY_IbLb0EEEEDaSU_SV_EUlSU_E_NS1_11comp_targetILNS1_3genE8ELNS1_11target_archE1030ELNS1_3gpuE2ELNS1_3repE0EEENS1_30default_config_static_selectorELNS0_4arch9wavefront6targetE1EEEvT1_
    .private_segment_fixed_size: 0
    .sgpr_count:     6
    .sgpr_spill_count: 0
    .symbol:         _ZN7rocprim17ROCPRIM_400000_NS6detail17trampoline_kernelINS0_14default_configENS1_27scan_by_key_config_selectorIiiEEZZNS1_16scan_by_key_implILNS1_25lookback_scan_determinismE0ELb1ES3_N6thrust23THRUST_200600_302600_NS6detail15normal_iteratorINS9_10device_ptrIiEEEESE_SE_iNS9_4plusIvEENS9_8equal_toIvEEiEE10hipError_tPvRmT2_T3_T4_T5_mT6_T7_P12ihipStream_tbENKUlT_T0_E_clISt17integral_constantIbLb1EESY_IbLb0EEEEDaSU_SV_EUlSU_E_NS1_11comp_targetILNS1_3genE8ELNS1_11target_archE1030ELNS1_3gpuE2ELNS1_3repE0EEENS1_30default_config_static_selectorELNS0_4arch9wavefront6targetE1EEEvT1_.kd
    .uniform_work_group_size: 1
    .uses_dynamic_stack: false
    .vgpr_count:     0
    .vgpr_spill_count: 0
    .wavefront_size: 64
  - .agpr_count:     0
    .args:
      - .offset:         0
        .size:           112
        .value_kind:     by_value
    .group_segment_fixed_size: 0
    .kernarg_segment_align: 8
    .kernarg_segment_size: 112
    .language:       OpenCL C
    .language_version:
      - 2
      - 0
    .max_flat_workgroup_size: 256
    .name:           _ZN7rocprim17ROCPRIM_400000_NS6detail17trampoline_kernelINS0_14default_configENS1_27scan_by_key_config_selectorIiiEEZZNS1_16scan_by_key_implILNS1_25lookback_scan_determinismE0ELb1ES3_N6thrust23THRUST_200600_302600_NS6detail15normal_iteratorINS9_10device_ptrIiEEEESE_SE_iNS9_4plusIvEENS9_8equal_toIvEEiEE10hipError_tPvRmT2_T3_T4_T5_mT6_T7_P12ihipStream_tbENKUlT_T0_E_clISt17integral_constantIbLb0EESY_IbLb1EEEEDaSU_SV_EUlSU_E_NS1_11comp_targetILNS1_3genE0ELNS1_11target_archE4294967295ELNS1_3gpuE0ELNS1_3repE0EEENS1_30default_config_static_selectorELNS0_4arch9wavefront6targetE1EEEvT1_
    .private_segment_fixed_size: 0
    .sgpr_count:     6
    .sgpr_spill_count: 0
    .symbol:         _ZN7rocprim17ROCPRIM_400000_NS6detail17trampoline_kernelINS0_14default_configENS1_27scan_by_key_config_selectorIiiEEZZNS1_16scan_by_key_implILNS1_25lookback_scan_determinismE0ELb1ES3_N6thrust23THRUST_200600_302600_NS6detail15normal_iteratorINS9_10device_ptrIiEEEESE_SE_iNS9_4plusIvEENS9_8equal_toIvEEiEE10hipError_tPvRmT2_T3_T4_T5_mT6_T7_P12ihipStream_tbENKUlT_T0_E_clISt17integral_constantIbLb0EESY_IbLb1EEEEDaSU_SV_EUlSU_E_NS1_11comp_targetILNS1_3genE0ELNS1_11target_archE4294967295ELNS1_3gpuE0ELNS1_3repE0EEENS1_30default_config_static_selectorELNS0_4arch9wavefront6targetE1EEEvT1_.kd
    .uniform_work_group_size: 1
    .uses_dynamic_stack: false
    .vgpr_count:     0
    .vgpr_spill_count: 0
    .wavefront_size: 64
  - .agpr_count:     0
    .args:
      - .offset:         0
        .size:           112
        .value_kind:     by_value
    .group_segment_fixed_size: 0
    .kernarg_segment_align: 8
    .kernarg_segment_size: 112
    .language:       OpenCL C
    .language_version:
      - 2
      - 0
    .max_flat_workgroup_size: 256
    .name:           _ZN7rocprim17ROCPRIM_400000_NS6detail17trampoline_kernelINS0_14default_configENS1_27scan_by_key_config_selectorIiiEEZZNS1_16scan_by_key_implILNS1_25lookback_scan_determinismE0ELb1ES3_N6thrust23THRUST_200600_302600_NS6detail15normal_iteratorINS9_10device_ptrIiEEEESE_SE_iNS9_4plusIvEENS9_8equal_toIvEEiEE10hipError_tPvRmT2_T3_T4_T5_mT6_T7_P12ihipStream_tbENKUlT_T0_E_clISt17integral_constantIbLb0EESY_IbLb1EEEEDaSU_SV_EUlSU_E_NS1_11comp_targetILNS1_3genE10ELNS1_11target_archE1201ELNS1_3gpuE5ELNS1_3repE0EEENS1_30default_config_static_selectorELNS0_4arch9wavefront6targetE1EEEvT1_
    .private_segment_fixed_size: 0
    .sgpr_count:     6
    .sgpr_spill_count: 0
    .symbol:         _ZN7rocprim17ROCPRIM_400000_NS6detail17trampoline_kernelINS0_14default_configENS1_27scan_by_key_config_selectorIiiEEZZNS1_16scan_by_key_implILNS1_25lookback_scan_determinismE0ELb1ES3_N6thrust23THRUST_200600_302600_NS6detail15normal_iteratorINS9_10device_ptrIiEEEESE_SE_iNS9_4plusIvEENS9_8equal_toIvEEiEE10hipError_tPvRmT2_T3_T4_T5_mT6_T7_P12ihipStream_tbENKUlT_T0_E_clISt17integral_constantIbLb0EESY_IbLb1EEEEDaSU_SV_EUlSU_E_NS1_11comp_targetILNS1_3genE10ELNS1_11target_archE1201ELNS1_3gpuE5ELNS1_3repE0EEENS1_30default_config_static_selectorELNS0_4arch9wavefront6targetE1EEEvT1_.kd
    .uniform_work_group_size: 1
    .uses_dynamic_stack: false
    .vgpr_count:     0
    .vgpr_spill_count: 0
    .wavefront_size: 64
  - .agpr_count:     0
    .args:
      - .offset:         0
        .size:           112
        .value_kind:     by_value
    .group_segment_fixed_size: 25600
    .kernarg_segment_align: 8
    .kernarg_segment_size: 112
    .language:       OpenCL C
    .language_version:
      - 2
      - 0
    .max_flat_workgroup_size: 256
    .name:           _ZN7rocprim17ROCPRIM_400000_NS6detail17trampoline_kernelINS0_14default_configENS1_27scan_by_key_config_selectorIiiEEZZNS1_16scan_by_key_implILNS1_25lookback_scan_determinismE0ELb1ES3_N6thrust23THRUST_200600_302600_NS6detail15normal_iteratorINS9_10device_ptrIiEEEESE_SE_iNS9_4plusIvEENS9_8equal_toIvEEiEE10hipError_tPvRmT2_T3_T4_T5_mT6_T7_P12ihipStream_tbENKUlT_T0_E_clISt17integral_constantIbLb0EESY_IbLb1EEEEDaSU_SV_EUlSU_E_NS1_11comp_targetILNS1_3genE5ELNS1_11target_archE942ELNS1_3gpuE9ELNS1_3repE0EEENS1_30default_config_static_selectorELNS0_4arch9wavefront6targetE1EEEvT1_
    .private_segment_fixed_size: 0
    .sgpr_count:     86
    .sgpr_spill_count: 0
    .symbol:         _ZN7rocprim17ROCPRIM_400000_NS6detail17trampoline_kernelINS0_14default_configENS1_27scan_by_key_config_selectorIiiEEZZNS1_16scan_by_key_implILNS1_25lookback_scan_determinismE0ELb1ES3_N6thrust23THRUST_200600_302600_NS6detail15normal_iteratorINS9_10device_ptrIiEEEESE_SE_iNS9_4plusIvEENS9_8equal_toIvEEiEE10hipError_tPvRmT2_T3_T4_T5_mT6_T7_P12ihipStream_tbENKUlT_T0_E_clISt17integral_constantIbLb0EESY_IbLb1EEEEDaSU_SV_EUlSU_E_NS1_11comp_targetILNS1_3genE5ELNS1_11target_archE942ELNS1_3gpuE9ELNS1_3repE0EEENS1_30default_config_static_selectorELNS0_4arch9wavefront6targetE1EEEvT1_.kd
    .uniform_work_group_size: 1
    .uses_dynamic_stack: false
    .vgpr_count:     83
    .vgpr_spill_count: 0
    .wavefront_size: 64
  - .agpr_count:     0
    .args:
      - .offset:         0
        .size:           112
        .value_kind:     by_value
    .group_segment_fixed_size: 0
    .kernarg_segment_align: 8
    .kernarg_segment_size: 112
    .language:       OpenCL C
    .language_version:
      - 2
      - 0
    .max_flat_workgroup_size: 256
    .name:           _ZN7rocprim17ROCPRIM_400000_NS6detail17trampoline_kernelINS0_14default_configENS1_27scan_by_key_config_selectorIiiEEZZNS1_16scan_by_key_implILNS1_25lookback_scan_determinismE0ELb1ES3_N6thrust23THRUST_200600_302600_NS6detail15normal_iteratorINS9_10device_ptrIiEEEESE_SE_iNS9_4plusIvEENS9_8equal_toIvEEiEE10hipError_tPvRmT2_T3_T4_T5_mT6_T7_P12ihipStream_tbENKUlT_T0_E_clISt17integral_constantIbLb0EESY_IbLb1EEEEDaSU_SV_EUlSU_E_NS1_11comp_targetILNS1_3genE4ELNS1_11target_archE910ELNS1_3gpuE8ELNS1_3repE0EEENS1_30default_config_static_selectorELNS0_4arch9wavefront6targetE1EEEvT1_
    .private_segment_fixed_size: 0
    .sgpr_count:     6
    .sgpr_spill_count: 0
    .symbol:         _ZN7rocprim17ROCPRIM_400000_NS6detail17trampoline_kernelINS0_14default_configENS1_27scan_by_key_config_selectorIiiEEZZNS1_16scan_by_key_implILNS1_25lookback_scan_determinismE0ELb1ES3_N6thrust23THRUST_200600_302600_NS6detail15normal_iteratorINS9_10device_ptrIiEEEESE_SE_iNS9_4plusIvEENS9_8equal_toIvEEiEE10hipError_tPvRmT2_T3_T4_T5_mT6_T7_P12ihipStream_tbENKUlT_T0_E_clISt17integral_constantIbLb0EESY_IbLb1EEEEDaSU_SV_EUlSU_E_NS1_11comp_targetILNS1_3genE4ELNS1_11target_archE910ELNS1_3gpuE8ELNS1_3repE0EEENS1_30default_config_static_selectorELNS0_4arch9wavefront6targetE1EEEvT1_.kd
    .uniform_work_group_size: 1
    .uses_dynamic_stack: false
    .vgpr_count:     0
    .vgpr_spill_count: 0
    .wavefront_size: 64
  - .agpr_count:     0
    .args:
      - .offset:         0
        .size:           112
        .value_kind:     by_value
    .group_segment_fixed_size: 0
    .kernarg_segment_align: 8
    .kernarg_segment_size: 112
    .language:       OpenCL C
    .language_version:
      - 2
      - 0
    .max_flat_workgroup_size: 256
    .name:           _ZN7rocprim17ROCPRIM_400000_NS6detail17trampoline_kernelINS0_14default_configENS1_27scan_by_key_config_selectorIiiEEZZNS1_16scan_by_key_implILNS1_25lookback_scan_determinismE0ELb1ES3_N6thrust23THRUST_200600_302600_NS6detail15normal_iteratorINS9_10device_ptrIiEEEESE_SE_iNS9_4plusIvEENS9_8equal_toIvEEiEE10hipError_tPvRmT2_T3_T4_T5_mT6_T7_P12ihipStream_tbENKUlT_T0_E_clISt17integral_constantIbLb0EESY_IbLb1EEEEDaSU_SV_EUlSU_E_NS1_11comp_targetILNS1_3genE3ELNS1_11target_archE908ELNS1_3gpuE7ELNS1_3repE0EEENS1_30default_config_static_selectorELNS0_4arch9wavefront6targetE1EEEvT1_
    .private_segment_fixed_size: 0
    .sgpr_count:     6
    .sgpr_spill_count: 0
    .symbol:         _ZN7rocprim17ROCPRIM_400000_NS6detail17trampoline_kernelINS0_14default_configENS1_27scan_by_key_config_selectorIiiEEZZNS1_16scan_by_key_implILNS1_25lookback_scan_determinismE0ELb1ES3_N6thrust23THRUST_200600_302600_NS6detail15normal_iteratorINS9_10device_ptrIiEEEESE_SE_iNS9_4plusIvEENS9_8equal_toIvEEiEE10hipError_tPvRmT2_T3_T4_T5_mT6_T7_P12ihipStream_tbENKUlT_T0_E_clISt17integral_constantIbLb0EESY_IbLb1EEEEDaSU_SV_EUlSU_E_NS1_11comp_targetILNS1_3genE3ELNS1_11target_archE908ELNS1_3gpuE7ELNS1_3repE0EEENS1_30default_config_static_selectorELNS0_4arch9wavefront6targetE1EEEvT1_.kd
    .uniform_work_group_size: 1
    .uses_dynamic_stack: false
    .vgpr_count:     0
    .vgpr_spill_count: 0
    .wavefront_size: 64
  - .agpr_count:     0
    .args:
      - .offset:         0
        .size:           112
        .value_kind:     by_value
    .group_segment_fixed_size: 0
    .kernarg_segment_align: 8
    .kernarg_segment_size: 112
    .language:       OpenCL C
    .language_version:
      - 2
      - 0
    .max_flat_workgroup_size: 256
    .name:           _ZN7rocprim17ROCPRIM_400000_NS6detail17trampoline_kernelINS0_14default_configENS1_27scan_by_key_config_selectorIiiEEZZNS1_16scan_by_key_implILNS1_25lookback_scan_determinismE0ELb1ES3_N6thrust23THRUST_200600_302600_NS6detail15normal_iteratorINS9_10device_ptrIiEEEESE_SE_iNS9_4plusIvEENS9_8equal_toIvEEiEE10hipError_tPvRmT2_T3_T4_T5_mT6_T7_P12ihipStream_tbENKUlT_T0_E_clISt17integral_constantIbLb0EESY_IbLb1EEEEDaSU_SV_EUlSU_E_NS1_11comp_targetILNS1_3genE2ELNS1_11target_archE906ELNS1_3gpuE6ELNS1_3repE0EEENS1_30default_config_static_selectorELNS0_4arch9wavefront6targetE1EEEvT1_
    .private_segment_fixed_size: 0
    .sgpr_count:     6
    .sgpr_spill_count: 0
    .symbol:         _ZN7rocprim17ROCPRIM_400000_NS6detail17trampoline_kernelINS0_14default_configENS1_27scan_by_key_config_selectorIiiEEZZNS1_16scan_by_key_implILNS1_25lookback_scan_determinismE0ELb1ES3_N6thrust23THRUST_200600_302600_NS6detail15normal_iteratorINS9_10device_ptrIiEEEESE_SE_iNS9_4plusIvEENS9_8equal_toIvEEiEE10hipError_tPvRmT2_T3_T4_T5_mT6_T7_P12ihipStream_tbENKUlT_T0_E_clISt17integral_constantIbLb0EESY_IbLb1EEEEDaSU_SV_EUlSU_E_NS1_11comp_targetILNS1_3genE2ELNS1_11target_archE906ELNS1_3gpuE6ELNS1_3repE0EEENS1_30default_config_static_selectorELNS0_4arch9wavefront6targetE1EEEvT1_.kd
    .uniform_work_group_size: 1
    .uses_dynamic_stack: false
    .vgpr_count:     0
    .vgpr_spill_count: 0
    .wavefront_size: 64
  - .agpr_count:     0
    .args:
      - .offset:         0
        .size:           112
        .value_kind:     by_value
    .group_segment_fixed_size: 0
    .kernarg_segment_align: 8
    .kernarg_segment_size: 112
    .language:       OpenCL C
    .language_version:
      - 2
      - 0
    .max_flat_workgroup_size: 256
    .name:           _ZN7rocprim17ROCPRIM_400000_NS6detail17trampoline_kernelINS0_14default_configENS1_27scan_by_key_config_selectorIiiEEZZNS1_16scan_by_key_implILNS1_25lookback_scan_determinismE0ELb1ES3_N6thrust23THRUST_200600_302600_NS6detail15normal_iteratorINS9_10device_ptrIiEEEESE_SE_iNS9_4plusIvEENS9_8equal_toIvEEiEE10hipError_tPvRmT2_T3_T4_T5_mT6_T7_P12ihipStream_tbENKUlT_T0_E_clISt17integral_constantIbLb0EESY_IbLb1EEEEDaSU_SV_EUlSU_E_NS1_11comp_targetILNS1_3genE10ELNS1_11target_archE1200ELNS1_3gpuE4ELNS1_3repE0EEENS1_30default_config_static_selectorELNS0_4arch9wavefront6targetE1EEEvT1_
    .private_segment_fixed_size: 0
    .sgpr_count:     6
    .sgpr_spill_count: 0
    .symbol:         _ZN7rocprim17ROCPRIM_400000_NS6detail17trampoline_kernelINS0_14default_configENS1_27scan_by_key_config_selectorIiiEEZZNS1_16scan_by_key_implILNS1_25lookback_scan_determinismE0ELb1ES3_N6thrust23THRUST_200600_302600_NS6detail15normal_iteratorINS9_10device_ptrIiEEEESE_SE_iNS9_4plusIvEENS9_8equal_toIvEEiEE10hipError_tPvRmT2_T3_T4_T5_mT6_T7_P12ihipStream_tbENKUlT_T0_E_clISt17integral_constantIbLb0EESY_IbLb1EEEEDaSU_SV_EUlSU_E_NS1_11comp_targetILNS1_3genE10ELNS1_11target_archE1200ELNS1_3gpuE4ELNS1_3repE0EEENS1_30default_config_static_selectorELNS0_4arch9wavefront6targetE1EEEvT1_.kd
    .uniform_work_group_size: 1
    .uses_dynamic_stack: false
    .vgpr_count:     0
    .vgpr_spill_count: 0
    .wavefront_size: 64
  - .agpr_count:     0
    .args:
      - .offset:         0
        .size:           112
        .value_kind:     by_value
    .group_segment_fixed_size: 0
    .kernarg_segment_align: 8
    .kernarg_segment_size: 112
    .language:       OpenCL C
    .language_version:
      - 2
      - 0
    .max_flat_workgroup_size: 256
    .name:           _ZN7rocprim17ROCPRIM_400000_NS6detail17trampoline_kernelINS0_14default_configENS1_27scan_by_key_config_selectorIiiEEZZNS1_16scan_by_key_implILNS1_25lookback_scan_determinismE0ELb1ES3_N6thrust23THRUST_200600_302600_NS6detail15normal_iteratorINS9_10device_ptrIiEEEESE_SE_iNS9_4plusIvEENS9_8equal_toIvEEiEE10hipError_tPvRmT2_T3_T4_T5_mT6_T7_P12ihipStream_tbENKUlT_T0_E_clISt17integral_constantIbLb0EESY_IbLb1EEEEDaSU_SV_EUlSU_E_NS1_11comp_targetILNS1_3genE9ELNS1_11target_archE1100ELNS1_3gpuE3ELNS1_3repE0EEENS1_30default_config_static_selectorELNS0_4arch9wavefront6targetE1EEEvT1_
    .private_segment_fixed_size: 0
    .sgpr_count:     6
    .sgpr_spill_count: 0
    .symbol:         _ZN7rocprim17ROCPRIM_400000_NS6detail17trampoline_kernelINS0_14default_configENS1_27scan_by_key_config_selectorIiiEEZZNS1_16scan_by_key_implILNS1_25lookback_scan_determinismE0ELb1ES3_N6thrust23THRUST_200600_302600_NS6detail15normal_iteratorINS9_10device_ptrIiEEEESE_SE_iNS9_4plusIvEENS9_8equal_toIvEEiEE10hipError_tPvRmT2_T3_T4_T5_mT6_T7_P12ihipStream_tbENKUlT_T0_E_clISt17integral_constantIbLb0EESY_IbLb1EEEEDaSU_SV_EUlSU_E_NS1_11comp_targetILNS1_3genE9ELNS1_11target_archE1100ELNS1_3gpuE3ELNS1_3repE0EEENS1_30default_config_static_selectorELNS0_4arch9wavefront6targetE1EEEvT1_.kd
    .uniform_work_group_size: 1
    .uses_dynamic_stack: false
    .vgpr_count:     0
    .vgpr_spill_count: 0
    .wavefront_size: 64
  - .agpr_count:     0
    .args:
      - .offset:         0
        .size:           112
        .value_kind:     by_value
    .group_segment_fixed_size: 0
    .kernarg_segment_align: 8
    .kernarg_segment_size: 112
    .language:       OpenCL C
    .language_version:
      - 2
      - 0
    .max_flat_workgroup_size: 256
    .name:           _ZN7rocprim17ROCPRIM_400000_NS6detail17trampoline_kernelINS0_14default_configENS1_27scan_by_key_config_selectorIiiEEZZNS1_16scan_by_key_implILNS1_25lookback_scan_determinismE0ELb1ES3_N6thrust23THRUST_200600_302600_NS6detail15normal_iteratorINS9_10device_ptrIiEEEESE_SE_iNS9_4plusIvEENS9_8equal_toIvEEiEE10hipError_tPvRmT2_T3_T4_T5_mT6_T7_P12ihipStream_tbENKUlT_T0_E_clISt17integral_constantIbLb0EESY_IbLb1EEEEDaSU_SV_EUlSU_E_NS1_11comp_targetILNS1_3genE8ELNS1_11target_archE1030ELNS1_3gpuE2ELNS1_3repE0EEENS1_30default_config_static_selectorELNS0_4arch9wavefront6targetE1EEEvT1_
    .private_segment_fixed_size: 0
    .sgpr_count:     6
    .sgpr_spill_count: 0
    .symbol:         _ZN7rocprim17ROCPRIM_400000_NS6detail17trampoline_kernelINS0_14default_configENS1_27scan_by_key_config_selectorIiiEEZZNS1_16scan_by_key_implILNS1_25lookback_scan_determinismE0ELb1ES3_N6thrust23THRUST_200600_302600_NS6detail15normal_iteratorINS9_10device_ptrIiEEEESE_SE_iNS9_4plusIvEENS9_8equal_toIvEEiEE10hipError_tPvRmT2_T3_T4_T5_mT6_T7_P12ihipStream_tbENKUlT_T0_E_clISt17integral_constantIbLb0EESY_IbLb1EEEEDaSU_SV_EUlSU_E_NS1_11comp_targetILNS1_3genE8ELNS1_11target_archE1030ELNS1_3gpuE2ELNS1_3repE0EEENS1_30default_config_static_selectorELNS0_4arch9wavefront6targetE1EEEvT1_.kd
    .uniform_work_group_size: 1
    .uses_dynamic_stack: false
    .vgpr_count:     0
    .vgpr_spill_count: 0
    .wavefront_size: 64
  - .agpr_count:     0
    .args:
      - .offset:         0
        .size:           112
        .value_kind:     by_value
    .group_segment_fixed_size: 0
    .kernarg_segment_align: 8
    .kernarg_segment_size: 112
    .language:       OpenCL C
    .language_version:
      - 2
      - 0
    .max_flat_workgroup_size: 256
    .name:           _ZN7rocprim17ROCPRIM_400000_NS6detail17trampoline_kernelINS0_14default_configENS1_27scan_by_key_config_selectorIiiEEZZNS1_16scan_by_key_implILNS1_25lookback_scan_determinismE0ELb1ES3_N6thrust23THRUST_200600_302600_NS6detail15normal_iteratorINS9_10device_ptrIiEEEESE_SE_iNS9_10multipliesIiEENS9_8equal_toIiEEiEE10hipError_tPvRmT2_T3_T4_T5_mT6_T7_P12ihipStream_tbENKUlT_T0_E_clISt17integral_constantIbLb0EESZ_EEDaSU_SV_EUlSU_E_NS1_11comp_targetILNS1_3genE0ELNS1_11target_archE4294967295ELNS1_3gpuE0ELNS1_3repE0EEENS1_30default_config_static_selectorELNS0_4arch9wavefront6targetE1EEEvT1_
    .private_segment_fixed_size: 0
    .sgpr_count:     6
    .sgpr_spill_count: 0
    .symbol:         _ZN7rocprim17ROCPRIM_400000_NS6detail17trampoline_kernelINS0_14default_configENS1_27scan_by_key_config_selectorIiiEEZZNS1_16scan_by_key_implILNS1_25lookback_scan_determinismE0ELb1ES3_N6thrust23THRUST_200600_302600_NS6detail15normal_iteratorINS9_10device_ptrIiEEEESE_SE_iNS9_10multipliesIiEENS9_8equal_toIiEEiEE10hipError_tPvRmT2_T3_T4_T5_mT6_T7_P12ihipStream_tbENKUlT_T0_E_clISt17integral_constantIbLb0EESZ_EEDaSU_SV_EUlSU_E_NS1_11comp_targetILNS1_3genE0ELNS1_11target_archE4294967295ELNS1_3gpuE0ELNS1_3repE0EEENS1_30default_config_static_selectorELNS0_4arch9wavefront6targetE1EEEvT1_.kd
    .uniform_work_group_size: 1
    .uses_dynamic_stack: false
    .vgpr_count:     0
    .vgpr_spill_count: 0
    .wavefront_size: 64
  - .agpr_count:     0
    .args:
      - .offset:         0
        .size:           112
        .value_kind:     by_value
    .group_segment_fixed_size: 0
    .kernarg_segment_align: 8
    .kernarg_segment_size: 112
    .language:       OpenCL C
    .language_version:
      - 2
      - 0
    .max_flat_workgroup_size: 256
    .name:           _ZN7rocprim17ROCPRIM_400000_NS6detail17trampoline_kernelINS0_14default_configENS1_27scan_by_key_config_selectorIiiEEZZNS1_16scan_by_key_implILNS1_25lookback_scan_determinismE0ELb1ES3_N6thrust23THRUST_200600_302600_NS6detail15normal_iteratorINS9_10device_ptrIiEEEESE_SE_iNS9_10multipliesIiEENS9_8equal_toIiEEiEE10hipError_tPvRmT2_T3_T4_T5_mT6_T7_P12ihipStream_tbENKUlT_T0_E_clISt17integral_constantIbLb0EESZ_EEDaSU_SV_EUlSU_E_NS1_11comp_targetILNS1_3genE10ELNS1_11target_archE1201ELNS1_3gpuE5ELNS1_3repE0EEENS1_30default_config_static_selectorELNS0_4arch9wavefront6targetE1EEEvT1_
    .private_segment_fixed_size: 0
    .sgpr_count:     6
    .sgpr_spill_count: 0
    .symbol:         _ZN7rocprim17ROCPRIM_400000_NS6detail17trampoline_kernelINS0_14default_configENS1_27scan_by_key_config_selectorIiiEEZZNS1_16scan_by_key_implILNS1_25lookback_scan_determinismE0ELb1ES3_N6thrust23THRUST_200600_302600_NS6detail15normal_iteratorINS9_10device_ptrIiEEEESE_SE_iNS9_10multipliesIiEENS9_8equal_toIiEEiEE10hipError_tPvRmT2_T3_T4_T5_mT6_T7_P12ihipStream_tbENKUlT_T0_E_clISt17integral_constantIbLb0EESZ_EEDaSU_SV_EUlSU_E_NS1_11comp_targetILNS1_3genE10ELNS1_11target_archE1201ELNS1_3gpuE5ELNS1_3repE0EEENS1_30default_config_static_selectorELNS0_4arch9wavefront6targetE1EEEvT1_.kd
    .uniform_work_group_size: 1
    .uses_dynamic_stack: false
    .vgpr_count:     0
    .vgpr_spill_count: 0
    .wavefront_size: 64
  - .agpr_count:     0
    .args:
      - .offset:         0
        .size:           112
        .value_kind:     by_value
    .group_segment_fixed_size: 25600
    .kernarg_segment_align: 8
    .kernarg_segment_size: 112
    .language:       OpenCL C
    .language_version:
      - 2
      - 0
    .max_flat_workgroup_size: 256
    .name:           _ZN7rocprim17ROCPRIM_400000_NS6detail17trampoline_kernelINS0_14default_configENS1_27scan_by_key_config_selectorIiiEEZZNS1_16scan_by_key_implILNS1_25lookback_scan_determinismE0ELb1ES3_N6thrust23THRUST_200600_302600_NS6detail15normal_iteratorINS9_10device_ptrIiEEEESE_SE_iNS9_10multipliesIiEENS9_8equal_toIiEEiEE10hipError_tPvRmT2_T3_T4_T5_mT6_T7_P12ihipStream_tbENKUlT_T0_E_clISt17integral_constantIbLb0EESZ_EEDaSU_SV_EUlSU_E_NS1_11comp_targetILNS1_3genE5ELNS1_11target_archE942ELNS1_3gpuE9ELNS1_3repE0EEENS1_30default_config_static_selectorELNS0_4arch9wavefront6targetE1EEEvT1_
    .private_segment_fixed_size: 0
    .sgpr_count:     86
    .sgpr_spill_count: 0
    .symbol:         _ZN7rocprim17ROCPRIM_400000_NS6detail17trampoline_kernelINS0_14default_configENS1_27scan_by_key_config_selectorIiiEEZZNS1_16scan_by_key_implILNS1_25lookback_scan_determinismE0ELb1ES3_N6thrust23THRUST_200600_302600_NS6detail15normal_iteratorINS9_10device_ptrIiEEEESE_SE_iNS9_10multipliesIiEENS9_8equal_toIiEEiEE10hipError_tPvRmT2_T3_T4_T5_mT6_T7_P12ihipStream_tbENKUlT_T0_E_clISt17integral_constantIbLb0EESZ_EEDaSU_SV_EUlSU_E_NS1_11comp_targetILNS1_3genE5ELNS1_11target_archE942ELNS1_3gpuE9ELNS1_3repE0EEENS1_30default_config_static_selectorELNS0_4arch9wavefront6targetE1EEEvT1_.kd
    .uniform_work_group_size: 1
    .uses_dynamic_stack: false
    .vgpr_count:     81
    .vgpr_spill_count: 0
    .wavefront_size: 64
  - .agpr_count:     0
    .args:
      - .offset:         0
        .size:           112
        .value_kind:     by_value
    .group_segment_fixed_size: 0
    .kernarg_segment_align: 8
    .kernarg_segment_size: 112
    .language:       OpenCL C
    .language_version:
      - 2
      - 0
    .max_flat_workgroup_size: 256
    .name:           _ZN7rocprim17ROCPRIM_400000_NS6detail17trampoline_kernelINS0_14default_configENS1_27scan_by_key_config_selectorIiiEEZZNS1_16scan_by_key_implILNS1_25lookback_scan_determinismE0ELb1ES3_N6thrust23THRUST_200600_302600_NS6detail15normal_iteratorINS9_10device_ptrIiEEEESE_SE_iNS9_10multipliesIiEENS9_8equal_toIiEEiEE10hipError_tPvRmT2_T3_T4_T5_mT6_T7_P12ihipStream_tbENKUlT_T0_E_clISt17integral_constantIbLb0EESZ_EEDaSU_SV_EUlSU_E_NS1_11comp_targetILNS1_3genE4ELNS1_11target_archE910ELNS1_3gpuE8ELNS1_3repE0EEENS1_30default_config_static_selectorELNS0_4arch9wavefront6targetE1EEEvT1_
    .private_segment_fixed_size: 0
    .sgpr_count:     6
    .sgpr_spill_count: 0
    .symbol:         _ZN7rocprim17ROCPRIM_400000_NS6detail17trampoline_kernelINS0_14default_configENS1_27scan_by_key_config_selectorIiiEEZZNS1_16scan_by_key_implILNS1_25lookback_scan_determinismE0ELb1ES3_N6thrust23THRUST_200600_302600_NS6detail15normal_iteratorINS9_10device_ptrIiEEEESE_SE_iNS9_10multipliesIiEENS9_8equal_toIiEEiEE10hipError_tPvRmT2_T3_T4_T5_mT6_T7_P12ihipStream_tbENKUlT_T0_E_clISt17integral_constantIbLb0EESZ_EEDaSU_SV_EUlSU_E_NS1_11comp_targetILNS1_3genE4ELNS1_11target_archE910ELNS1_3gpuE8ELNS1_3repE0EEENS1_30default_config_static_selectorELNS0_4arch9wavefront6targetE1EEEvT1_.kd
    .uniform_work_group_size: 1
    .uses_dynamic_stack: false
    .vgpr_count:     0
    .vgpr_spill_count: 0
    .wavefront_size: 64
  - .agpr_count:     0
    .args:
      - .offset:         0
        .size:           112
        .value_kind:     by_value
    .group_segment_fixed_size: 0
    .kernarg_segment_align: 8
    .kernarg_segment_size: 112
    .language:       OpenCL C
    .language_version:
      - 2
      - 0
    .max_flat_workgroup_size: 256
    .name:           _ZN7rocprim17ROCPRIM_400000_NS6detail17trampoline_kernelINS0_14default_configENS1_27scan_by_key_config_selectorIiiEEZZNS1_16scan_by_key_implILNS1_25lookback_scan_determinismE0ELb1ES3_N6thrust23THRUST_200600_302600_NS6detail15normal_iteratorINS9_10device_ptrIiEEEESE_SE_iNS9_10multipliesIiEENS9_8equal_toIiEEiEE10hipError_tPvRmT2_T3_T4_T5_mT6_T7_P12ihipStream_tbENKUlT_T0_E_clISt17integral_constantIbLb0EESZ_EEDaSU_SV_EUlSU_E_NS1_11comp_targetILNS1_3genE3ELNS1_11target_archE908ELNS1_3gpuE7ELNS1_3repE0EEENS1_30default_config_static_selectorELNS0_4arch9wavefront6targetE1EEEvT1_
    .private_segment_fixed_size: 0
    .sgpr_count:     6
    .sgpr_spill_count: 0
    .symbol:         _ZN7rocprim17ROCPRIM_400000_NS6detail17trampoline_kernelINS0_14default_configENS1_27scan_by_key_config_selectorIiiEEZZNS1_16scan_by_key_implILNS1_25lookback_scan_determinismE0ELb1ES3_N6thrust23THRUST_200600_302600_NS6detail15normal_iteratorINS9_10device_ptrIiEEEESE_SE_iNS9_10multipliesIiEENS9_8equal_toIiEEiEE10hipError_tPvRmT2_T3_T4_T5_mT6_T7_P12ihipStream_tbENKUlT_T0_E_clISt17integral_constantIbLb0EESZ_EEDaSU_SV_EUlSU_E_NS1_11comp_targetILNS1_3genE3ELNS1_11target_archE908ELNS1_3gpuE7ELNS1_3repE0EEENS1_30default_config_static_selectorELNS0_4arch9wavefront6targetE1EEEvT1_.kd
    .uniform_work_group_size: 1
    .uses_dynamic_stack: false
    .vgpr_count:     0
    .vgpr_spill_count: 0
    .wavefront_size: 64
  - .agpr_count:     0
    .args:
      - .offset:         0
        .size:           112
        .value_kind:     by_value
    .group_segment_fixed_size: 0
    .kernarg_segment_align: 8
    .kernarg_segment_size: 112
    .language:       OpenCL C
    .language_version:
      - 2
      - 0
    .max_flat_workgroup_size: 256
    .name:           _ZN7rocprim17ROCPRIM_400000_NS6detail17trampoline_kernelINS0_14default_configENS1_27scan_by_key_config_selectorIiiEEZZNS1_16scan_by_key_implILNS1_25lookback_scan_determinismE0ELb1ES3_N6thrust23THRUST_200600_302600_NS6detail15normal_iteratorINS9_10device_ptrIiEEEESE_SE_iNS9_10multipliesIiEENS9_8equal_toIiEEiEE10hipError_tPvRmT2_T3_T4_T5_mT6_T7_P12ihipStream_tbENKUlT_T0_E_clISt17integral_constantIbLb0EESZ_EEDaSU_SV_EUlSU_E_NS1_11comp_targetILNS1_3genE2ELNS1_11target_archE906ELNS1_3gpuE6ELNS1_3repE0EEENS1_30default_config_static_selectorELNS0_4arch9wavefront6targetE1EEEvT1_
    .private_segment_fixed_size: 0
    .sgpr_count:     6
    .sgpr_spill_count: 0
    .symbol:         _ZN7rocprim17ROCPRIM_400000_NS6detail17trampoline_kernelINS0_14default_configENS1_27scan_by_key_config_selectorIiiEEZZNS1_16scan_by_key_implILNS1_25lookback_scan_determinismE0ELb1ES3_N6thrust23THRUST_200600_302600_NS6detail15normal_iteratorINS9_10device_ptrIiEEEESE_SE_iNS9_10multipliesIiEENS9_8equal_toIiEEiEE10hipError_tPvRmT2_T3_T4_T5_mT6_T7_P12ihipStream_tbENKUlT_T0_E_clISt17integral_constantIbLb0EESZ_EEDaSU_SV_EUlSU_E_NS1_11comp_targetILNS1_3genE2ELNS1_11target_archE906ELNS1_3gpuE6ELNS1_3repE0EEENS1_30default_config_static_selectorELNS0_4arch9wavefront6targetE1EEEvT1_.kd
    .uniform_work_group_size: 1
    .uses_dynamic_stack: false
    .vgpr_count:     0
    .vgpr_spill_count: 0
    .wavefront_size: 64
  - .agpr_count:     0
    .args:
      - .offset:         0
        .size:           112
        .value_kind:     by_value
    .group_segment_fixed_size: 0
    .kernarg_segment_align: 8
    .kernarg_segment_size: 112
    .language:       OpenCL C
    .language_version:
      - 2
      - 0
    .max_flat_workgroup_size: 256
    .name:           _ZN7rocprim17ROCPRIM_400000_NS6detail17trampoline_kernelINS0_14default_configENS1_27scan_by_key_config_selectorIiiEEZZNS1_16scan_by_key_implILNS1_25lookback_scan_determinismE0ELb1ES3_N6thrust23THRUST_200600_302600_NS6detail15normal_iteratorINS9_10device_ptrIiEEEESE_SE_iNS9_10multipliesIiEENS9_8equal_toIiEEiEE10hipError_tPvRmT2_T3_T4_T5_mT6_T7_P12ihipStream_tbENKUlT_T0_E_clISt17integral_constantIbLb0EESZ_EEDaSU_SV_EUlSU_E_NS1_11comp_targetILNS1_3genE10ELNS1_11target_archE1200ELNS1_3gpuE4ELNS1_3repE0EEENS1_30default_config_static_selectorELNS0_4arch9wavefront6targetE1EEEvT1_
    .private_segment_fixed_size: 0
    .sgpr_count:     6
    .sgpr_spill_count: 0
    .symbol:         _ZN7rocprim17ROCPRIM_400000_NS6detail17trampoline_kernelINS0_14default_configENS1_27scan_by_key_config_selectorIiiEEZZNS1_16scan_by_key_implILNS1_25lookback_scan_determinismE0ELb1ES3_N6thrust23THRUST_200600_302600_NS6detail15normal_iteratorINS9_10device_ptrIiEEEESE_SE_iNS9_10multipliesIiEENS9_8equal_toIiEEiEE10hipError_tPvRmT2_T3_T4_T5_mT6_T7_P12ihipStream_tbENKUlT_T0_E_clISt17integral_constantIbLb0EESZ_EEDaSU_SV_EUlSU_E_NS1_11comp_targetILNS1_3genE10ELNS1_11target_archE1200ELNS1_3gpuE4ELNS1_3repE0EEENS1_30default_config_static_selectorELNS0_4arch9wavefront6targetE1EEEvT1_.kd
    .uniform_work_group_size: 1
    .uses_dynamic_stack: false
    .vgpr_count:     0
    .vgpr_spill_count: 0
    .wavefront_size: 64
  - .agpr_count:     0
    .args:
      - .offset:         0
        .size:           112
        .value_kind:     by_value
    .group_segment_fixed_size: 0
    .kernarg_segment_align: 8
    .kernarg_segment_size: 112
    .language:       OpenCL C
    .language_version:
      - 2
      - 0
    .max_flat_workgroup_size: 256
    .name:           _ZN7rocprim17ROCPRIM_400000_NS6detail17trampoline_kernelINS0_14default_configENS1_27scan_by_key_config_selectorIiiEEZZNS1_16scan_by_key_implILNS1_25lookback_scan_determinismE0ELb1ES3_N6thrust23THRUST_200600_302600_NS6detail15normal_iteratorINS9_10device_ptrIiEEEESE_SE_iNS9_10multipliesIiEENS9_8equal_toIiEEiEE10hipError_tPvRmT2_T3_T4_T5_mT6_T7_P12ihipStream_tbENKUlT_T0_E_clISt17integral_constantIbLb0EESZ_EEDaSU_SV_EUlSU_E_NS1_11comp_targetILNS1_3genE9ELNS1_11target_archE1100ELNS1_3gpuE3ELNS1_3repE0EEENS1_30default_config_static_selectorELNS0_4arch9wavefront6targetE1EEEvT1_
    .private_segment_fixed_size: 0
    .sgpr_count:     6
    .sgpr_spill_count: 0
    .symbol:         _ZN7rocprim17ROCPRIM_400000_NS6detail17trampoline_kernelINS0_14default_configENS1_27scan_by_key_config_selectorIiiEEZZNS1_16scan_by_key_implILNS1_25lookback_scan_determinismE0ELb1ES3_N6thrust23THRUST_200600_302600_NS6detail15normal_iteratorINS9_10device_ptrIiEEEESE_SE_iNS9_10multipliesIiEENS9_8equal_toIiEEiEE10hipError_tPvRmT2_T3_T4_T5_mT6_T7_P12ihipStream_tbENKUlT_T0_E_clISt17integral_constantIbLb0EESZ_EEDaSU_SV_EUlSU_E_NS1_11comp_targetILNS1_3genE9ELNS1_11target_archE1100ELNS1_3gpuE3ELNS1_3repE0EEENS1_30default_config_static_selectorELNS0_4arch9wavefront6targetE1EEEvT1_.kd
    .uniform_work_group_size: 1
    .uses_dynamic_stack: false
    .vgpr_count:     0
    .vgpr_spill_count: 0
    .wavefront_size: 64
  - .agpr_count:     0
    .args:
      - .offset:         0
        .size:           112
        .value_kind:     by_value
    .group_segment_fixed_size: 0
    .kernarg_segment_align: 8
    .kernarg_segment_size: 112
    .language:       OpenCL C
    .language_version:
      - 2
      - 0
    .max_flat_workgroup_size: 256
    .name:           _ZN7rocprim17ROCPRIM_400000_NS6detail17trampoline_kernelINS0_14default_configENS1_27scan_by_key_config_selectorIiiEEZZNS1_16scan_by_key_implILNS1_25lookback_scan_determinismE0ELb1ES3_N6thrust23THRUST_200600_302600_NS6detail15normal_iteratorINS9_10device_ptrIiEEEESE_SE_iNS9_10multipliesIiEENS9_8equal_toIiEEiEE10hipError_tPvRmT2_T3_T4_T5_mT6_T7_P12ihipStream_tbENKUlT_T0_E_clISt17integral_constantIbLb0EESZ_EEDaSU_SV_EUlSU_E_NS1_11comp_targetILNS1_3genE8ELNS1_11target_archE1030ELNS1_3gpuE2ELNS1_3repE0EEENS1_30default_config_static_selectorELNS0_4arch9wavefront6targetE1EEEvT1_
    .private_segment_fixed_size: 0
    .sgpr_count:     6
    .sgpr_spill_count: 0
    .symbol:         _ZN7rocprim17ROCPRIM_400000_NS6detail17trampoline_kernelINS0_14default_configENS1_27scan_by_key_config_selectorIiiEEZZNS1_16scan_by_key_implILNS1_25lookback_scan_determinismE0ELb1ES3_N6thrust23THRUST_200600_302600_NS6detail15normal_iteratorINS9_10device_ptrIiEEEESE_SE_iNS9_10multipliesIiEENS9_8equal_toIiEEiEE10hipError_tPvRmT2_T3_T4_T5_mT6_T7_P12ihipStream_tbENKUlT_T0_E_clISt17integral_constantIbLb0EESZ_EEDaSU_SV_EUlSU_E_NS1_11comp_targetILNS1_3genE8ELNS1_11target_archE1030ELNS1_3gpuE2ELNS1_3repE0EEENS1_30default_config_static_selectorELNS0_4arch9wavefront6targetE1EEEvT1_.kd
    .uniform_work_group_size: 1
    .uses_dynamic_stack: false
    .vgpr_count:     0
    .vgpr_spill_count: 0
    .wavefront_size: 64
  - .agpr_count:     0
    .args:
      - .offset:         0
        .size:           112
        .value_kind:     by_value
    .group_segment_fixed_size: 0
    .kernarg_segment_align: 8
    .kernarg_segment_size: 112
    .language:       OpenCL C
    .language_version:
      - 2
      - 0
    .max_flat_workgroup_size: 256
    .name:           _ZN7rocprim17ROCPRIM_400000_NS6detail17trampoline_kernelINS0_14default_configENS1_27scan_by_key_config_selectorIiiEEZZNS1_16scan_by_key_implILNS1_25lookback_scan_determinismE0ELb1ES3_N6thrust23THRUST_200600_302600_NS6detail15normal_iteratorINS9_10device_ptrIiEEEESE_SE_iNS9_10multipliesIiEENS9_8equal_toIiEEiEE10hipError_tPvRmT2_T3_T4_T5_mT6_T7_P12ihipStream_tbENKUlT_T0_E_clISt17integral_constantIbLb1EESZ_EEDaSU_SV_EUlSU_E_NS1_11comp_targetILNS1_3genE0ELNS1_11target_archE4294967295ELNS1_3gpuE0ELNS1_3repE0EEENS1_30default_config_static_selectorELNS0_4arch9wavefront6targetE1EEEvT1_
    .private_segment_fixed_size: 0
    .sgpr_count:     6
    .sgpr_spill_count: 0
    .symbol:         _ZN7rocprim17ROCPRIM_400000_NS6detail17trampoline_kernelINS0_14default_configENS1_27scan_by_key_config_selectorIiiEEZZNS1_16scan_by_key_implILNS1_25lookback_scan_determinismE0ELb1ES3_N6thrust23THRUST_200600_302600_NS6detail15normal_iteratorINS9_10device_ptrIiEEEESE_SE_iNS9_10multipliesIiEENS9_8equal_toIiEEiEE10hipError_tPvRmT2_T3_T4_T5_mT6_T7_P12ihipStream_tbENKUlT_T0_E_clISt17integral_constantIbLb1EESZ_EEDaSU_SV_EUlSU_E_NS1_11comp_targetILNS1_3genE0ELNS1_11target_archE4294967295ELNS1_3gpuE0ELNS1_3repE0EEENS1_30default_config_static_selectorELNS0_4arch9wavefront6targetE1EEEvT1_.kd
    .uniform_work_group_size: 1
    .uses_dynamic_stack: false
    .vgpr_count:     0
    .vgpr_spill_count: 0
    .wavefront_size: 64
  - .agpr_count:     0
    .args:
      - .offset:         0
        .size:           112
        .value_kind:     by_value
    .group_segment_fixed_size: 0
    .kernarg_segment_align: 8
    .kernarg_segment_size: 112
    .language:       OpenCL C
    .language_version:
      - 2
      - 0
    .max_flat_workgroup_size: 256
    .name:           _ZN7rocprim17ROCPRIM_400000_NS6detail17trampoline_kernelINS0_14default_configENS1_27scan_by_key_config_selectorIiiEEZZNS1_16scan_by_key_implILNS1_25lookback_scan_determinismE0ELb1ES3_N6thrust23THRUST_200600_302600_NS6detail15normal_iteratorINS9_10device_ptrIiEEEESE_SE_iNS9_10multipliesIiEENS9_8equal_toIiEEiEE10hipError_tPvRmT2_T3_T4_T5_mT6_T7_P12ihipStream_tbENKUlT_T0_E_clISt17integral_constantIbLb1EESZ_EEDaSU_SV_EUlSU_E_NS1_11comp_targetILNS1_3genE10ELNS1_11target_archE1201ELNS1_3gpuE5ELNS1_3repE0EEENS1_30default_config_static_selectorELNS0_4arch9wavefront6targetE1EEEvT1_
    .private_segment_fixed_size: 0
    .sgpr_count:     6
    .sgpr_spill_count: 0
    .symbol:         _ZN7rocprim17ROCPRIM_400000_NS6detail17trampoline_kernelINS0_14default_configENS1_27scan_by_key_config_selectorIiiEEZZNS1_16scan_by_key_implILNS1_25lookback_scan_determinismE0ELb1ES3_N6thrust23THRUST_200600_302600_NS6detail15normal_iteratorINS9_10device_ptrIiEEEESE_SE_iNS9_10multipliesIiEENS9_8equal_toIiEEiEE10hipError_tPvRmT2_T3_T4_T5_mT6_T7_P12ihipStream_tbENKUlT_T0_E_clISt17integral_constantIbLb1EESZ_EEDaSU_SV_EUlSU_E_NS1_11comp_targetILNS1_3genE10ELNS1_11target_archE1201ELNS1_3gpuE5ELNS1_3repE0EEENS1_30default_config_static_selectorELNS0_4arch9wavefront6targetE1EEEvT1_.kd
    .uniform_work_group_size: 1
    .uses_dynamic_stack: false
    .vgpr_count:     0
    .vgpr_spill_count: 0
    .wavefront_size: 64
  - .agpr_count:     0
    .args:
      - .offset:         0
        .size:           112
        .value_kind:     by_value
    .group_segment_fixed_size: 25600
    .kernarg_segment_align: 8
    .kernarg_segment_size: 112
    .language:       OpenCL C
    .language_version:
      - 2
      - 0
    .max_flat_workgroup_size: 256
    .name:           _ZN7rocprim17ROCPRIM_400000_NS6detail17trampoline_kernelINS0_14default_configENS1_27scan_by_key_config_selectorIiiEEZZNS1_16scan_by_key_implILNS1_25lookback_scan_determinismE0ELb1ES3_N6thrust23THRUST_200600_302600_NS6detail15normal_iteratorINS9_10device_ptrIiEEEESE_SE_iNS9_10multipliesIiEENS9_8equal_toIiEEiEE10hipError_tPvRmT2_T3_T4_T5_mT6_T7_P12ihipStream_tbENKUlT_T0_E_clISt17integral_constantIbLb1EESZ_EEDaSU_SV_EUlSU_E_NS1_11comp_targetILNS1_3genE5ELNS1_11target_archE942ELNS1_3gpuE9ELNS1_3repE0EEENS1_30default_config_static_selectorELNS0_4arch9wavefront6targetE1EEEvT1_
    .private_segment_fixed_size: 0
    .sgpr_count:     86
    .sgpr_spill_count: 0
    .symbol:         _ZN7rocprim17ROCPRIM_400000_NS6detail17trampoline_kernelINS0_14default_configENS1_27scan_by_key_config_selectorIiiEEZZNS1_16scan_by_key_implILNS1_25lookback_scan_determinismE0ELb1ES3_N6thrust23THRUST_200600_302600_NS6detail15normal_iteratorINS9_10device_ptrIiEEEESE_SE_iNS9_10multipliesIiEENS9_8equal_toIiEEiEE10hipError_tPvRmT2_T3_T4_T5_mT6_T7_P12ihipStream_tbENKUlT_T0_E_clISt17integral_constantIbLb1EESZ_EEDaSU_SV_EUlSU_E_NS1_11comp_targetILNS1_3genE5ELNS1_11target_archE942ELNS1_3gpuE9ELNS1_3repE0EEENS1_30default_config_static_selectorELNS0_4arch9wavefront6targetE1EEEvT1_.kd
    .uniform_work_group_size: 1
    .uses_dynamic_stack: false
    .vgpr_count:     83
    .vgpr_spill_count: 0
    .wavefront_size: 64
  - .agpr_count:     0
    .args:
      - .offset:         0
        .size:           112
        .value_kind:     by_value
    .group_segment_fixed_size: 0
    .kernarg_segment_align: 8
    .kernarg_segment_size: 112
    .language:       OpenCL C
    .language_version:
      - 2
      - 0
    .max_flat_workgroup_size: 256
    .name:           _ZN7rocprim17ROCPRIM_400000_NS6detail17trampoline_kernelINS0_14default_configENS1_27scan_by_key_config_selectorIiiEEZZNS1_16scan_by_key_implILNS1_25lookback_scan_determinismE0ELb1ES3_N6thrust23THRUST_200600_302600_NS6detail15normal_iteratorINS9_10device_ptrIiEEEESE_SE_iNS9_10multipliesIiEENS9_8equal_toIiEEiEE10hipError_tPvRmT2_T3_T4_T5_mT6_T7_P12ihipStream_tbENKUlT_T0_E_clISt17integral_constantIbLb1EESZ_EEDaSU_SV_EUlSU_E_NS1_11comp_targetILNS1_3genE4ELNS1_11target_archE910ELNS1_3gpuE8ELNS1_3repE0EEENS1_30default_config_static_selectorELNS0_4arch9wavefront6targetE1EEEvT1_
    .private_segment_fixed_size: 0
    .sgpr_count:     6
    .sgpr_spill_count: 0
    .symbol:         _ZN7rocprim17ROCPRIM_400000_NS6detail17trampoline_kernelINS0_14default_configENS1_27scan_by_key_config_selectorIiiEEZZNS1_16scan_by_key_implILNS1_25lookback_scan_determinismE0ELb1ES3_N6thrust23THRUST_200600_302600_NS6detail15normal_iteratorINS9_10device_ptrIiEEEESE_SE_iNS9_10multipliesIiEENS9_8equal_toIiEEiEE10hipError_tPvRmT2_T3_T4_T5_mT6_T7_P12ihipStream_tbENKUlT_T0_E_clISt17integral_constantIbLb1EESZ_EEDaSU_SV_EUlSU_E_NS1_11comp_targetILNS1_3genE4ELNS1_11target_archE910ELNS1_3gpuE8ELNS1_3repE0EEENS1_30default_config_static_selectorELNS0_4arch9wavefront6targetE1EEEvT1_.kd
    .uniform_work_group_size: 1
    .uses_dynamic_stack: false
    .vgpr_count:     0
    .vgpr_spill_count: 0
    .wavefront_size: 64
  - .agpr_count:     0
    .args:
      - .offset:         0
        .size:           112
        .value_kind:     by_value
    .group_segment_fixed_size: 0
    .kernarg_segment_align: 8
    .kernarg_segment_size: 112
    .language:       OpenCL C
    .language_version:
      - 2
      - 0
    .max_flat_workgroup_size: 256
    .name:           _ZN7rocprim17ROCPRIM_400000_NS6detail17trampoline_kernelINS0_14default_configENS1_27scan_by_key_config_selectorIiiEEZZNS1_16scan_by_key_implILNS1_25lookback_scan_determinismE0ELb1ES3_N6thrust23THRUST_200600_302600_NS6detail15normal_iteratorINS9_10device_ptrIiEEEESE_SE_iNS9_10multipliesIiEENS9_8equal_toIiEEiEE10hipError_tPvRmT2_T3_T4_T5_mT6_T7_P12ihipStream_tbENKUlT_T0_E_clISt17integral_constantIbLb1EESZ_EEDaSU_SV_EUlSU_E_NS1_11comp_targetILNS1_3genE3ELNS1_11target_archE908ELNS1_3gpuE7ELNS1_3repE0EEENS1_30default_config_static_selectorELNS0_4arch9wavefront6targetE1EEEvT1_
    .private_segment_fixed_size: 0
    .sgpr_count:     6
    .sgpr_spill_count: 0
    .symbol:         _ZN7rocprim17ROCPRIM_400000_NS6detail17trampoline_kernelINS0_14default_configENS1_27scan_by_key_config_selectorIiiEEZZNS1_16scan_by_key_implILNS1_25lookback_scan_determinismE0ELb1ES3_N6thrust23THRUST_200600_302600_NS6detail15normal_iteratorINS9_10device_ptrIiEEEESE_SE_iNS9_10multipliesIiEENS9_8equal_toIiEEiEE10hipError_tPvRmT2_T3_T4_T5_mT6_T7_P12ihipStream_tbENKUlT_T0_E_clISt17integral_constantIbLb1EESZ_EEDaSU_SV_EUlSU_E_NS1_11comp_targetILNS1_3genE3ELNS1_11target_archE908ELNS1_3gpuE7ELNS1_3repE0EEENS1_30default_config_static_selectorELNS0_4arch9wavefront6targetE1EEEvT1_.kd
    .uniform_work_group_size: 1
    .uses_dynamic_stack: false
    .vgpr_count:     0
    .vgpr_spill_count: 0
    .wavefront_size: 64
  - .agpr_count:     0
    .args:
      - .offset:         0
        .size:           112
        .value_kind:     by_value
    .group_segment_fixed_size: 0
    .kernarg_segment_align: 8
    .kernarg_segment_size: 112
    .language:       OpenCL C
    .language_version:
      - 2
      - 0
    .max_flat_workgroup_size: 256
    .name:           _ZN7rocprim17ROCPRIM_400000_NS6detail17trampoline_kernelINS0_14default_configENS1_27scan_by_key_config_selectorIiiEEZZNS1_16scan_by_key_implILNS1_25lookback_scan_determinismE0ELb1ES3_N6thrust23THRUST_200600_302600_NS6detail15normal_iteratorINS9_10device_ptrIiEEEESE_SE_iNS9_10multipliesIiEENS9_8equal_toIiEEiEE10hipError_tPvRmT2_T3_T4_T5_mT6_T7_P12ihipStream_tbENKUlT_T0_E_clISt17integral_constantIbLb1EESZ_EEDaSU_SV_EUlSU_E_NS1_11comp_targetILNS1_3genE2ELNS1_11target_archE906ELNS1_3gpuE6ELNS1_3repE0EEENS1_30default_config_static_selectorELNS0_4arch9wavefront6targetE1EEEvT1_
    .private_segment_fixed_size: 0
    .sgpr_count:     6
    .sgpr_spill_count: 0
    .symbol:         _ZN7rocprim17ROCPRIM_400000_NS6detail17trampoline_kernelINS0_14default_configENS1_27scan_by_key_config_selectorIiiEEZZNS1_16scan_by_key_implILNS1_25lookback_scan_determinismE0ELb1ES3_N6thrust23THRUST_200600_302600_NS6detail15normal_iteratorINS9_10device_ptrIiEEEESE_SE_iNS9_10multipliesIiEENS9_8equal_toIiEEiEE10hipError_tPvRmT2_T3_T4_T5_mT6_T7_P12ihipStream_tbENKUlT_T0_E_clISt17integral_constantIbLb1EESZ_EEDaSU_SV_EUlSU_E_NS1_11comp_targetILNS1_3genE2ELNS1_11target_archE906ELNS1_3gpuE6ELNS1_3repE0EEENS1_30default_config_static_selectorELNS0_4arch9wavefront6targetE1EEEvT1_.kd
    .uniform_work_group_size: 1
    .uses_dynamic_stack: false
    .vgpr_count:     0
    .vgpr_spill_count: 0
    .wavefront_size: 64
  - .agpr_count:     0
    .args:
      - .offset:         0
        .size:           112
        .value_kind:     by_value
    .group_segment_fixed_size: 0
    .kernarg_segment_align: 8
    .kernarg_segment_size: 112
    .language:       OpenCL C
    .language_version:
      - 2
      - 0
    .max_flat_workgroup_size: 256
    .name:           _ZN7rocprim17ROCPRIM_400000_NS6detail17trampoline_kernelINS0_14default_configENS1_27scan_by_key_config_selectorIiiEEZZNS1_16scan_by_key_implILNS1_25lookback_scan_determinismE0ELb1ES3_N6thrust23THRUST_200600_302600_NS6detail15normal_iteratorINS9_10device_ptrIiEEEESE_SE_iNS9_10multipliesIiEENS9_8equal_toIiEEiEE10hipError_tPvRmT2_T3_T4_T5_mT6_T7_P12ihipStream_tbENKUlT_T0_E_clISt17integral_constantIbLb1EESZ_EEDaSU_SV_EUlSU_E_NS1_11comp_targetILNS1_3genE10ELNS1_11target_archE1200ELNS1_3gpuE4ELNS1_3repE0EEENS1_30default_config_static_selectorELNS0_4arch9wavefront6targetE1EEEvT1_
    .private_segment_fixed_size: 0
    .sgpr_count:     6
    .sgpr_spill_count: 0
    .symbol:         _ZN7rocprim17ROCPRIM_400000_NS6detail17trampoline_kernelINS0_14default_configENS1_27scan_by_key_config_selectorIiiEEZZNS1_16scan_by_key_implILNS1_25lookback_scan_determinismE0ELb1ES3_N6thrust23THRUST_200600_302600_NS6detail15normal_iteratorINS9_10device_ptrIiEEEESE_SE_iNS9_10multipliesIiEENS9_8equal_toIiEEiEE10hipError_tPvRmT2_T3_T4_T5_mT6_T7_P12ihipStream_tbENKUlT_T0_E_clISt17integral_constantIbLb1EESZ_EEDaSU_SV_EUlSU_E_NS1_11comp_targetILNS1_3genE10ELNS1_11target_archE1200ELNS1_3gpuE4ELNS1_3repE0EEENS1_30default_config_static_selectorELNS0_4arch9wavefront6targetE1EEEvT1_.kd
    .uniform_work_group_size: 1
    .uses_dynamic_stack: false
    .vgpr_count:     0
    .vgpr_spill_count: 0
    .wavefront_size: 64
  - .agpr_count:     0
    .args:
      - .offset:         0
        .size:           112
        .value_kind:     by_value
    .group_segment_fixed_size: 0
    .kernarg_segment_align: 8
    .kernarg_segment_size: 112
    .language:       OpenCL C
    .language_version:
      - 2
      - 0
    .max_flat_workgroup_size: 256
    .name:           _ZN7rocprim17ROCPRIM_400000_NS6detail17trampoline_kernelINS0_14default_configENS1_27scan_by_key_config_selectorIiiEEZZNS1_16scan_by_key_implILNS1_25lookback_scan_determinismE0ELb1ES3_N6thrust23THRUST_200600_302600_NS6detail15normal_iteratorINS9_10device_ptrIiEEEESE_SE_iNS9_10multipliesIiEENS9_8equal_toIiEEiEE10hipError_tPvRmT2_T3_T4_T5_mT6_T7_P12ihipStream_tbENKUlT_T0_E_clISt17integral_constantIbLb1EESZ_EEDaSU_SV_EUlSU_E_NS1_11comp_targetILNS1_3genE9ELNS1_11target_archE1100ELNS1_3gpuE3ELNS1_3repE0EEENS1_30default_config_static_selectorELNS0_4arch9wavefront6targetE1EEEvT1_
    .private_segment_fixed_size: 0
    .sgpr_count:     6
    .sgpr_spill_count: 0
    .symbol:         _ZN7rocprim17ROCPRIM_400000_NS6detail17trampoline_kernelINS0_14default_configENS1_27scan_by_key_config_selectorIiiEEZZNS1_16scan_by_key_implILNS1_25lookback_scan_determinismE0ELb1ES3_N6thrust23THRUST_200600_302600_NS6detail15normal_iteratorINS9_10device_ptrIiEEEESE_SE_iNS9_10multipliesIiEENS9_8equal_toIiEEiEE10hipError_tPvRmT2_T3_T4_T5_mT6_T7_P12ihipStream_tbENKUlT_T0_E_clISt17integral_constantIbLb1EESZ_EEDaSU_SV_EUlSU_E_NS1_11comp_targetILNS1_3genE9ELNS1_11target_archE1100ELNS1_3gpuE3ELNS1_3repE0EEENS1_30default_config_static_selectorELNS0_4arch9wavefront6targetE1EEEvT1_.kd
    .uniform_work_group_size: 1
    .uses_dynamic_stack: false
    .vgpr_count:     0
    .vgpr_spill_count: 0
    .wavefront_size: 64
  - .agpr_count:     0
    .args:
      - .offset:         0
        .size:           112
        .value_kind:     by_value
    .group_segment_fixed_size: 0
    .kernarg_segment_align: 8
    .kernarg_segment_size: 112
    .language:       OpenCL C
    .language_version:
      - 2
      - 0
    .max_flat_workgroup_size: 256
    .name:           _ZN7rocprim17ROCPRIM_400000_NS6detail17trampoline_kernelINS0_14default_configENS1_27scan_by_key_config_selectorIiiEEZZNS1_16scan_by_key_implILNS1_25lookback_scan_determinismE0ELb1ES3_N6thrust23THRUST_200600_302600_NS6detail15normal_iteratorINS9_10device_ptrIiEEEESE_SE_iNS9_10multipliesIiEENS9_8equal_toIiEEiEE10hipError_tPvRmT2_T3_T4_T5_mT6_T7_P12ihipStream_tbENKUlT_T0_E_clISt17integral_constantIbLb1EESZ_EEDaSU_SV_EUlSU_E_NS1_11comp_targetILNS1_3genE8ELNS1_11target_archE1030ELNS1_3gpuE2ELNS1_3repE0EEENS1_30default_config_static_selectorELNS0_4arch9wavefront6targetE1EEEvT1_
    .private_segment_fixed_size: 0
    .sgpr_count:     6
    .sgpr_spill_count: 0
    .symbol:         _ZN7rocprim17ROCPRIM_400000_NS6detail17trampoline_kernelINS0_14default_configENS1_27scan_by_key_config_selectorIiiEEZZNS1_16scan_by_key_implILNS1_25lookback_scan_determinismE0ELb1ES3_N6thrust23THRUST_200600_302600_NS6detail15normal_iteratorINS9_10device_ptrIiEEEESE_SE_iNS9_10multipliesIiEENS9_8equal_toIiEEiEE10hipError_tPvRmT2_T3_T4_T5_mT6_T7_P12ihipStream_tbENKUlT_T0_E_clISt17integral_constantIbLb1EESZ_EEDaSU_SV_EUlSU_E_NS1_11comp_targetILNS1_3genE8ELNS1_11target_archE1030ELNS1_3gpuE2ELNS1_3repE0EEENS1_30default_config_static_selectorELNS0_4arch9wavefront6targetE1EEEvT1_.kd
    .uniform_work_group_size: 1
    .uses_dynamic_stack: false
    .vgpr_count:     0
    .vgpr_spill_count: 0
    .wavefront_size: 64
  - .agpr_count:     0
    .args:
      - .offset:         0
        .size:           112
        .value_kind:     by_value
    .group_segment_fixed_size: 0
    .kernarg_segment_align: 8
    .kernarg_segment_size: 112
    .language:       OpenCL C
    .language_version:
      - 2
      - 0
    .max_flat_workgroup_size: 256
    .name:           _ZN7rocprim17ROCPRIM_400000_NS6detail17trampoline_kernelINS0_14default_configENS1_27scan_by_key_config_selectorIiiEEZZNS1_16scan_by_key_implILNS1_25lookback_scan_determinismE0ELb1ES3_N6thrust23THRUST_200600_302600_NS6detail15normal_iteratorINS9_10device_ptrIiEEEESE_SE_iNS9_10multipliesIiEENS9_8equal_toIiEEiEE10hipError_tPvRmT2_T3_T4_T5_mT6_T7_P12ihipStream_tbENKUlT_T0_E_clISt17integral_constantIbLb1EESY_IbLb0EEEEDaSU_SV_EUlSU_E_NS1_11comp_targetILNS1_3genE0ELNS1_11target_archE4294967295ELNS1_3gpuE0ELNS1_3repE0EEENS1_30default_config_static_selectorELNS0_4arch9wavefront6targetE1EEEvT1_
    .private_segment_fixed_size: 0
    .sgpr_count:     6
    .sgpr_spill_count: 0
    .symbol:         _ZN7rocprim17ROCPRIM_400000_NS6detail17trampoline_kernelINS0_14default_configENS1_27scan_by_key_config_selectorIiiEEZZNS1_16scan_by_key_implILNS1_25lookback_scan_determinismE0ELb1ES3_N6thrust23THRUST_200600_302600_NS6detail15normal_iteratorINS9_10device_ptrIiEEEESE_SE_iNS9_10multipliesIiEENS9_8equal_toIiEEiEE10hipError_tPvRmT2_T3_T4_T5_mT6_T7_P12ihipStream_tbENKUlT_T0_E_clISt17integral_constantIbLb1EESY_IbLb0EEEEDaSU_SV_EUlSU_E_NS1_11comp_targetILNS1_3genE0ELNS1_11target_archE4294967295ELNS1_3gpuE0ELNS1_3repE0EEENS1_30default_config_static_selectorELNS0_4arch9wavefront6targetE1EEEvT1_.kd
    .uniform_work_group_size: 1
    .uses_dynamic_stack: false
    .vgpr_count:     0
    .vgpr_spill_count: 0
    .wavefront_size: 64
  - .agpr_count:     0
    .args:
      - .offset:         0
        .size:           112
        .value_kind:     by_value
    .group_segment_fixed_size: 0
    .kernarg_segment_align: 8
    .kernarg_segment_size: 112
    .language:       OpenCL C
    .language_version:
      - 2
      - 0
    .max_flat_workgroup_size: 256
    .name:           _ZN7rocprim17ROCPRIM_400000_NS6detail17trampoline_kernelINS0_14default_configENS1_27scan_by_key_config_selectorIiiEEZZNS1_16scan_by_key_implILNS1_25lookback_scan_determinismE0ELb1ES3_N6thrust23THRUST_200600_302600_NS6detail15normal_iteratorINS9_10device_ptrIiEEEESE_SE_iNS9_10multipliesIiEENS9_8equal_toIiEEiEE10hipError_tPvRmT2_T3_T4_T5_mT6_T7_P12ihipStream_tbENKUlT_T0_E_clISt17integral_constantIbLb1EESY_IbLb0EEEEDaSU_SV_EUlSU_E_NS1_11comp_targetILNS1_3genE10ELNS1_11target_archE1201ELNS1_3gpuE5ELNS1_3repE0EEENS1_30default_config_static_selectorELNS0_4arch9wavefront6targetE1EEEvT1_
    .private_segment_fixed_size: 0
    .sgpr_count:     6
    .sgpr_spill_count: 0
    .symbol:         _ZN7rocprim17ROCPRIM_400000_NS6detail17trampoline_kernelINS0_14default_configENS1_27scan_by_key_config_selectorIiiEEZZNS1_16scan_by_key_implILNS1_25lookback_scan_determinismE0ELb1ES3_N6thrust23THRUST_200600_302600_NS6detail15normal_iteratorINS9_10device_ptrIiEEEESE_SE_iNS9_10multipliesIiEENS9_8equal_toIiEEiEE10hipError_tPvRmT2_T3_T4_T5_mT6_T7_P12ihipStream_tbENKUlT_T0_E_clISt17integral_constantIbLb1EESY_IbLb0EEEEDaSU_SV_EUlSU_E_NS1_11comp_targetILNS1_3genE10ELNS1_11target_archE1201ELNS1_3gpuE5ELNS1_3repE0EEENS1_30default_config_static_selectorELNS0_4arch9wavefront6targetE1EEEvT1_.kd
    .uniform_work_group_size: 1
    .uses_dynamic_stack: false
    .vgpr_count:     0
    .vgpr_spill_count: 0
    .wavefront_size: 64
  - .agpr_count:     0
    .args:
      - .offset:         0
        .size:           112
        .value_kind:     by_value
    .group_segment_fixed_size: 25600
    .kernarg_segment_align: 8
    .kernarg_segment_size: 112
    .language:       OpenCL C
    .language_version:
      - 2
      - 0
    .max_flat_workgroup_size: 256
    .name:           _ZN7rocprim17ROCPRIM_400000_NS6detail17trampoline_kernelINS0_14default_configENS1_27scan_by_key_config_selectorIiiEEZZNS1_16scan_by_key_implILNS1_25lookback_scan_determinismE0ELb1ES3_N6thrust23THRUST_200600_302600_NS6detail15normal_iteratorINS9_10device_ptrIiEEEESE_SE_iNS9_10multipliesIiEENS9_8equal_toIiEEiEE10hipError_tPvRmT2_T3_T4_T5_mT6_T7_P12ihipStream_tbENKUlT_T0_E_clISt17integral_constantIbLb1EESY_IbLb0EEEEDaSU_SV_EUlSU_E_NS1_11comp_targetILNS1_3genE5ELNS1_11target_archE942ELNS1_3gpuE9ELNS1_3repE0EEENS1_30default_config_static_selectorELNS0_4arch9wavefront6targetE1EEEvT1_
    .private_segment_fixed_size: 0
    .sgpr_count:     86
    .sgpr_spill_count: 0
    .symbol:         _ZN7rocprim17ROCPRIM_400000_NS6detail17trampoline_kernelINS0_14default_configENS1_27scan_by_key_config_selectorIiiEEZZNS1_16scan_by_key_implILNS1_25lookback_scan_determinismE0ELb1ES3_N6thrust23THRUST_200600_302600_NS6detail15normal_iteratorINS9_10device_ptrIiEEEESE_SE_iNS9_10multipliesIiEENS9_8equal_toIiEEiEE10hipError_tPvRmT2_T3_T4_T5_mT6_T7_P12ihipStream_tbENKUlT_T0_E_clISt17integral_constantIbLb1EESY_IbLb0EEEEDaSU_SV_EUlSU_E_NS1_11comp_targetILNS1_3genE5ELNS1_11target_archE942ELNS1_3gpuE9ELNS1_3repE0EEENS1_30default_config_static_selectorELNS0_4arch9wavefront6targetE1EEEvT1_.kd
    .uniform_work_group_size: 1
    .uses_dynamic_stack: false
    .vgpr_count:     81
    .vgpr_spill_count: 0
    .wavefront_size: 64
  - .agpr_count:     0
    .args:
      - .offset:         0
        .size:           112
        .value_kind:     by_value
    .group_segment_fixed_size: 0
    .kernarg_segment_align: 8
    .kernarg_segment_size: 112
    .language:       OpenCL C
    .language_version:
      - 2
      - 0
    .max_flat_workgroup_size: 256
    .name:           _ZN7rocprim17ROCPRIM_400000_NS6detail17trampoline_kernelINS0_14default_configENS1_27scan_by_key_config_selectorIiiEEZZNS1_16scan_by_key_implILNS1_25lookback_scan_determinismE0ELb1ES3_N6thrust23THRUST_200600_302600_NS6detail15normal_iteratorINS9_10device_ptrIiEEEESE_SE_iNS9_10multipliesIiEENS9_8equal_toIiEEiEE10hipError_tPvRmT2_T3_T4_T5_mT6_T7_P12ihipStream_tbENKUlT_T0_E_clISt17integral_constantIbLb1EESY_IbLb0EEEEDaSU_SV_EUlSU_E_NS1_11comp_targetILNS1_3genE4ELNS1_11target_archE910ELNS1_3gpuE8ELNS1_3repE0EEENS1_30default_config_static_selectorELNS0_4arch9wavefront6targetE1EEEvT1_
    .private_segment_fixed_size: 0
    .sgpr_count:     6
    .sgpr_spill_count: 0
    .symbol:         _ZN7rocprim17ROCPRIM_400000_NS6detail17trampoline_kernelINS0_14default_configENS1_27scan_by_key_config_selectorIiiEEZZNS1_16scan_by_key_implILNS1_25lookback_scan_determinismE0ELb1ES3_N6thrust23THRUST_200600_302600_NS6detail15normal_iteratorINS9_10device_ptrIiEEEESE_SE_iNS9_10multipliesIiEENS9_8equal_toIiEEiEE10hipError_tPvRmT2_T3_T4_T5_mT6_T7_P12ihipStream_tbENKUlT_T0_E_clISt17integral_constantIbLb1EESY_IbLb0EEEEDaSU_SV_EUlSU_E_NS1_11comp_targetILNS1_3genE4ELNS1_11target_archE910ELNS1_3gpuE8ELNS1_3repE0EEENS1_30default_config_static_selectorELNS0_4arch9wavefront6targetE1EEEvT1_.kd
    .uniform_work_group_size: 1
    .uses_dynamic_stack: false
    .vgpr_count:     0
    .vgpr_spill_count: 0
    .wavefront_size: 64
  - .agpr_count:     0
    .args:
      - .offset:         0
        .size:           112
        .value_kind:     by_value
    .group_segment_fixed_size: 0
    .kernarg_segment_align: 8
    .kernarg_segment_size: 112
    .language:       OpenCL C
    .language_version:
      - 2
      - 0
    .max_flat_workgroup_size: 256
    .name:           _ZN7rocprim17ROCPRIM_400000_NS6detail17trampoline_kernelINS0_14default_configENS1_27scan_by_key_config_selectorIiiEEZZNS1_16scan_by_key_implILNS1_25lookback_scan_determinismE0ELb1ES3_N6thrust23THRUST_200600_302600_NS6detail15normal_iteratorINS9_10device_ptrIiEEEESE_SE_iNS9_10multipliesIiEENS9_8equal_toIiEEiEE10hipError_tPvRmT2_T3_T4_T5_mT6_T7_P12ihipStream_tbENKUlT_T0_E_clISt17integral_constantIbLb1EESY_IbLb0EEEEDaSU_SV_EUlSU_E_NS1_11comp_targetILNS1_3genE3ELNS1_11target_archE908ELNS1_3gpuE7ELNS1_3repE0EEENS1_30default_config_static_selectorELNS0_4arch9wavefront6targetE1EEEvT1_
    .private_segment_fixed_size: 0
    .sgpr_count:     6
    .sgpr_spill_count: 0
    .symbol:         _ZN7rocprim17ROCPRIM_400000_NS6detail17trampoline_kernelINS0_14default_configENS1_27scan_by_key_config_selectorIiiEEZZNS1_16scan_by_key_implILNS1_25lookback_scan_determinismE0ELb1ES3_N6thrust23THRUST_200600_302600_NS6detail15normal_iteratorINS9_10device_ptrIiEEEESE_SE_iNS9_10multipliesIiEENS9_8equal_toIiEEiEE10hipError_tPvRmT2_T3_T4_T5_mT6_T7_P12ihipStream_tbENKUlT_T0_E_clISt17integral_constantIbLb1EESY_IbLb0EEEEDaSU_SV_EUlSU_E_NS1_11comp_targetILNS1_3genE3ELNS1_11target_archE908ELNS1_3gpuE7ELNS1_3repE0EEENS1_30default_config_static_selectorELNS0_4arch9wavefront6targetE1EEEvT1_.kd
    .uniform_work_group_size: 1
    .uses_dynamic_stack: false
    .vgpr_count:     0
    .vgpr_spill_count: 0
    .wavefront_size: 64
  - .agpr_count:     0
    .args:
      - .offset:         0
        .size:           112
        .value_kind:     by_value
    .group_segment_fixed_size: 0
    .kernarg_segment_align: 8
    .kernarg_segment_size: 112
    .language:       OpenCL C
    .language_version:
      - 2
      - 0
    .max_flat_workgroup_size: 256
    .name:           _ZN7rocprim17ROCPRIM_400000_NS6detail17trampoline_kernelINS0_14default_configENS1_27scan_by_key_config_selectorIiiEEZZNS1_16scan_by_key_implILNS1_25lookback_scan_determinismE0ELb1ES3_N6thrust23THRUST_200600_302600_NS6detail15normal_iteratorINS9_10device_ptrIiEEEESE_SE_iNS9_10multipliesIiEENS9_8equal_toIiEEiEE10hipError_tPvRmT2_T3_T4_T5_mT6_T7_P12ihipStream_tbENKUlT_T0_E_clISt17integral_constantIbLb1EESY_IbLb0EEEEDaSU_SV_EUlSU_E_NS1_11comp_targetILNS1_3genE2ELNS1_11target_archE906ELNS1_3gpuE6ELNS1_3repE0EEENS1_30default_config_static_selectorELNS0_4arch9wavefront6targetE1EEEvT1_
    .private_segment_fixed_size: 0
    .sgpr_count:     6
    .sgpr_spill_count: 0
    .symbol:         _ZN7rocprim17ROCPRIM_400000_NS6detail17trampoline_kernelINS0_14default_configENS1_27scan_by_key_config_selectorIiiEEZZNS1_16scan_by_key_implILNS1_25lookback_scan_determinismE0ELb1ES3_N6thrust23THRUST_200600_302600_NS6detail15normal_iteratorINS9_10device_ptrIiEEEESE_SE_iNS9_10multipliesIiEENS9_8equal_toIiEEiEE10hipError_tPvRmT2_T3_T4_T5_mT6_T7_P12ihipStream_tbENKUlT_T0_E_clISt17integral_constantIbLb1EESY_IbLb0EEEEDaSU_SV_EUlSU_E_NS1_11comp_targetILNS1_3genE2ELNS1_11target_archE906ELNS1_3gpuE6ELNS1_3repE0EEENS1_30default_config_static_selectorELNS0_4arch9wavefront6targetE1EEEvT1_.kd
    .uniform_work_group_size: 1
    .uses_dynamic_stack: false
    .vgpr_count:     0
    .vgpr_spill_count: 0
    .wavefront_size: 64
  - .agpr_count:     0
    .args:
      - .offset:         0
        .size:           112
        .value_kind:     by_value
    .group_segment_fixed_size: 0
    .kernarg_segment_align: 8
    .kernarg_segment_size: 112
    .language:       OpenCL C
    .language_version:
      - 2
      - 0
    .max_flat_workgroup_size: 256
    .name:           _ZN7rocprim17ROCPRIM_400000_NS6detail17trampoline_kernelINS0_14default_configENS1_27scan_by_key_config_selectorIiiEEZZNS1_16scan_by_key_implILNS1_25lookback_scan_determinismE0ELb1ES3_N6thrust23THRUST_200600_302600_NS6detail15normal_iteratorINS9_10device_ptrIiEEEESE_SE_iNS9_10multipliesIiEENS9_8equal_toIiEEiEE10hipError_tPvRmT2_T3_T4_T5_mT6_T7_P12ihipStream_tbENKUlT_T0_E_clISt17integral_constantIbLb1EESY_IbLb0EEEEDaSU_SV_EUlSU_E_NS1_11comp_targetILNS1_3genE10ELNS1_11target_archE1200ELNS1_3gpuE4ELNS1_3repE0EEENS1_30default_config_static_selectorELNS0_4arch9wavefront6targetE1EEEvT1_
    .private_segment_fixed_size: 0
    .sgpr_count:     6
    .sgpr_spill_count: 0
    .symbol:         _ZN7rocprim17ROCPRIM_400000_NS6detail17trampoline_kernelINS0_14default_configENS1_27scan_by_key_config_selectorIiiEEZZNS1_16scan_by_key_implILNS1_25lookback_scan_determinismE0ELb1ES3_N6thrust23THRUST_200600_302600_NS6detail15normal_iteratorINS9_10device_ptrIiEEEESE_SE_iNS9_10multipliesIiEENS9_8equal_toIiEEiEE10hipError_tPvRmT2_T3_T4_T5_mT6_T7_P12ihipStream_tbENKUlT_T0_E_clISt17integral_constantIbLb1EESY_IbLb0EEEEDaSU_SV_EUlSU_E_NS1_11comp_targetILNS1_3genE10ELNS1_11target_archE1200ELNS1_3gpuE4ELNS1_3repE0EEENS1_30default_config_static_selectorELNS0_4arch9wavefront6targetE1EEEvT1_.kd
    .uniform_work_group_size: 1
    .uses_dynamic_stack: false
    .vgpr_count:     0
    .vgpr_spill_count: 0
    .wavefront_size: 64
  - .agpr_count:     0
    .args:
      - .offset:         0
        .size:           112
        .value_kind:     by_value
    .group_segment_fixed_size: 0
    .kernarg_segment_align: 8
    .kernarg_segment_size: 112
    .language:       OpenCL C
    .language_version:
      - 2
      - 0
    .max_flat_workgroup_size: 256
    .name:           _ZN7rocprim17ROCPRIM_400000_NS6detail17trampoline_kernelINS0_14default_configENS1_27scan_by_key_config_selectorIiiEEZZNS1_16scan_by_key_implILNS1_25lookback_scan_determinismE0ELb1ES3_N6thrust23THRUST_200600_302600_NS6detail15normal_iteratorINS9_10device_ptrIiEEEESE_SE_iNS9_10multipliesIiEENS9_8equal_toIiEEiEE10hipError_tPvRmT2_T3_T4_T5_mT6_T7_P12ihipStream_tbENKUlT_T0_E_clISt17integral_constantIbLb1EESY_IbLb0EEEEDaSU_SV_EUlSU_E_NS1_11comp_targetILNS1_3genE9ELNS1_11target_archE1100ELNS1_3gpuE3ELNS1_3repE0EEENS1_30default_config_static_selectorELNS0_4arch9wavefront6targetE1EEEvT1_
    .private_segment_fixed_size: 0
    .sgpr_count:     6
    .sgpr_spill_count: 0
    .symbol:         _ZN7rocprim17ROCPRIM_400000_NS6detail17trampoline_kernelINS0_14default_configENS1_27scan_by_key_config_selectorIiiEEZZNS1_16scan_by_key_implILNS1_25lookback_scan_determinismE0ELb1ES3_N6thrust23THRUST_200600_302600_NS6detail15normal_iteratorINS9_10device_ptrIiEEEESE_SE_iNS9_10multipliesIiEENS9_8equal_toIiEEiEE10hipError_tPvRmT2_T3_T4_T5_mT6_T7_P12ihipStream_tbENKUlT_T0_E_clISt17integral_constantIbLb1EESY_IbLb0EEEEDaSU_SV_EUlSU_E_NS1_11comp_targetILNS1_3genE9ELNS1_11target_archE1100ELNS1_3gpuE3ELNS1_3repE0EEENS1_30default_config_static_selectorELNS0_4arch9wavefront6targetE1EEEvT1_.kd
    .uniform_work_group_size: 1
    .uses_dynamic_stack: false
    .vgpr_count:     0
    .vgpr_spill_count: 0
    .wavefront_size: 64
  - .agpr_count:     0
    .args:
      - .offset:         0
        .size:           112
        .value_kind:     by_value
    .group_segment_fixed_size: 0
    .kernarg_segment_align: 8
    .kernarg_segment_size: 112
    .language:       OpenCL C
    .language_version:
      - 2
      - 0
    .max_flat_workgroup_size: 256
    .name:           _ZN7rocprim17ROCPRIM_400000_NS6detail17trampoline_kernelINS0_14default_configENS1_27scan_by_key_config_selectorIiiEEZZNS1_16scan_by_key_implILNS1_25lookback_scan_determinismE0ELb1ES3_N6thrust23THRUST_200600_302600_NS6detail15normal_iteratorINS9_10device_ptrIiEEEESE_SE_iNS9_10multipliesIiEENS9_8equal_toIiEEiEE10hipError_tPvRmT2_T3_T4_T5_mT6_T7_P12ihipStream_tbENKUlT_T0_E_clISt17integral_constantIbLb1EESY_IbLb0EEEEDaSU_SV_EUlSU_E_NS1_11comp_targetILNS1_3genE8ELNS1_11target_archE1030ELNS1_3gpuE2ELNS1_3repE0EEENS1_30default_config_static_selectorELNS0_4arch9wavefront6targetE1EEEvT1_
    .private_segment_fixed_size: 0
    .sgpr_count:     6
    .sgpr_spill_count: 0
    .symbol:         _ZN7rocprim17ROCPRIM_400000_NS6detail17trampoline_kernelINS0_14default_configENS1_27scan_by_key_config_selectorIiiEEZZNS1_16scan_by_key_implILNS1_25lookback_scan_determinismE0ELb1ES3_N6thrust23THRUST_200600_302600_NS6detail15normal_iteratorINS9_10device_ptrIiEEEESE_SE_iNS9_10multipliesIiEENS9_8equal_toIiEEiEE10hipError_tPvRmT2_T3_T4_T5_mT6_T7_P12ihipStream_tbENKUlT_T0_E_clISt17integral_constantIbLb1EESY_IbLb0EEEEDaSU_SV_EUlSU_E_NS1_11comp_targetILNS1_3genE8ELNS1_11target_archE1030ELNS1_3gpuE2ELNS1_3repE0EEENS1_30default_config_static_selectorELNS0_4arch9wavefront6targetE1EEEvT1_.kd
    .uniform_work_group_size: 1
    .uses_dynamic_stack: false
    .vgpr_count:     0
    .vgpr_spill_count: 0
    .wavefront_size: 64
  - .agpr_count:     0
    .args:
      - .offset:         0
        .size:           112
        .value_kind:     by_value
    .group_segment_fixed_size: 0
    .kernarg_segment_align: 8
    .kernarg_segment_size: 112
    .language:       OpenCL C
    .language_version:
      - 2
      - 0
    .max_flat_workgroup_size: 256
    .name:           _ZN7rocprim17ROCPRIM_400000_NS6detail17trampoline_kernelINS0_14default_configENS1_27scan_by_key_config_selectorIiiEEZZNS1_16scan_by_key_implILNS1_25lookback_scan_determinismE0ELb1ES3_N6thrust23THRUST_200600_302600_NS6detail15normal_iteratorINS9_10device_ptrIiEEEESE_SE_iNS9_10multipliesIiEENS9_8equal_toIiEEiEE10hipError_tPvRmT2_T3_T4_T5_mT6_T7_P12ihipStream_tbENKUlT_T0_E_clISt17integral_constantIbLb0EESY_IbLb1EEEEDaSU_SV_EUlSU_E_NS1_11comp_targetILNS1_3genE0ELNS1_11target_archE4294967295ELNS1_3gpuE0ELNS1_3repE0EEENS1_30default_config_static_selectorELNS0_4arch9wavefront6targetE1EEEvT1_
    .private_segment_fixed_size: 0
    .sgpr_count:     6
    .sgpr_spill_count: 0
    .symbol:         _ZN7rocprim17ROCPRIM_400000_NS6detail17trampoline_kernelINS0_14default_configENS1_27scan_by_key_config_selectorIiiEEZZNS1_16scan_by_key_implILNS1_25lookback_scan_determinismE0ELb1ES3_N6thrust23THRUST_200600_302600_NS6detail15normal_iteratorINS9_10device_ptrIiEEEESE_SE_iNS9_10multipliesIiEENS9_8equal_toIiEEiEE10hipError_tPvRmT2_T3_T4_T5_mT6_T7_P12ihipStream_tbENKUlT_T0_E_clISt17integral_constantIbLb0EESY_IbLb1EEEEDaSU_SV_EUlSU_E_NS1_11comp_targetILNS1_3genE0ELNS1_11target_archE4294967295ELNS1_3gpuE0ELNS1_3repE0EEENS1_30default_config_static_selectorELNS0_4arch9wavefront6targetE1EEEvT1_.kd
    .uniform_work_group_size: 1
    .uses_dynamic_stack: false
    .vgpr_count:     0
    .vgpr_spill_count: 0
    .wavefront_size: 64
  - .agpr_count:     0
    .args:
      - .offset:         0
        .size:           112
        .value_kind:     by_value
    .group_segment_fixed_size: 0
    .kernarg_segment_align: 8
    .kernarg_segment_size: 112
    .language:       OpenCL C
    .language_version:
      - 2
      - 0
    .max_flat_workgroup_size: 256
    .name:           _ZN7rocprim17ROCPRIM_400000_NS6detail17trampoline_kernelINS0_14default_configENS1_27scan_by_key_config_selectorIiiEEZZNS1_16scan_by_key_implILNS1_25lookback_scan_determinismE0ELb1ES3_N6thrust23THRUST_200600_302600_NS6detail15normal_iteratorINS9_10device_ptrIiEEEESE_SE_iNS9_10multipliesIiEENS9_8equal_toIiEEiEE10hipError_tPvRmT2_T3_T4_T5_mT6_T7_P12ihipStream_tbENKUlT_T0_E_clISt17integral_constantIbLb0EESY_IbLb1EEEEDaSU_SV_EUlSU_E_NS1_11comp_targetILNS1_3genE10ELNS1_11target_archE1201ELNS1_3gpuE5ELNS1_3repE0EEENS1_30default_config_static_selectorELNS0_4arch9wavefront6targetE1EEEvT1_
    .private_segment_fixed_size: 0
    .sgpr_count:     6
    .sgpr_spill_count: 0
    .symbol:         _ZN7rocprim17ROCPRIM_400000_NS6detail17trampoline_kernelINS0_14default_configENS1_27scan_by_key_config_selectorIiiEEZZNS1_16scan_by_key_implILNS1_25lookback_scan_determinismE0ELb1ES3_N6thrust23THRUST_200600_302600_NS6detail15normal_iteratorINS9_10device_ptrIiEEEESE_SE_iNS9_10multipliesIiEENS9_8equal_toIiEEiEE10hipError_tPvRmT2_T3_T4_T5_mT6_T7_P12ihipStream_tbENKUlT_T0_E_clISt17integral_constantIbLb0EESY_IbLb1EEEEDaSU_SV_EUlSU_E_NS1_11comp_targetILNS1_3genE10ELNS1_11target_archE1201ELNS1_3gpuE5ELNS1_3repE0EEENS1_30default_config_static_selectorELNS0_4arch9wavefront6targetE1EEEvT1_.kd
    .uniform_work_group_size: 1
    .uses_dynamic_stack: false
    .vgpr_count:     0
    .vgpr_spill_count: 0
    .wavefront_size: 64
  - .agpr_count:     0
    .args:
      - .offset:         0
        .size:           112
        .value_kind:     by_value
    .group_segment_fixed_size: 25600
    .kernarg_segment_align: 8
    .kernarg_segment_size: 112
    .language:       OpenCL C
    .language_version:
      - 2
      - 0
    .max_flat_workgroup_size: 256
    .name:           _ZN7rocprim17ROCPRIM_400000_NS6detail17trampoline_kernelINS0_14default_configENS1_27scan_by_key_config_selectorIiiEEZZNS1_16scan_by_key_implILNS1_25lookback_scan_determinismE0ELb1ES3_N6thrust23THRUST_200600_302600_NS6detail15normal_iteratorINS9_10device_ptrIiEEEESE_SE_iNS9_10multipliesIiEENS9_8equal_toIiEEiEE10hipError_tPvRmT2_T3_T4_T5_mT6_T7_P12ihipStream_tbENKUlT_T0_E_clISt17integral_constantIbLb0EESY_IbLb1EEEEDaSU_SV_EUlSU_E_NS1_11comp_targetILNS1_3genE5ELNS1_11target_archE942ELNS1_3gpuE9ELNS1_3repE0EEENS1_30default_config_static_selectorELNS0_4arch9wavefront6targetE1EEEvT1_
    .private_segment_fixed_size: 0
    .sgpr_count:     86
    .sgpr_spill_count: 0
    .symbol:         _ZN7rocprim17ROCPRIM_400000_NS6detail17trampoline_kernelINS0_14default_configENS1_27scan_by_key_config_selectorIiiEEZZNS1_16scan_by_key_implILNS1_25lookback_scan_determinismE0ELb1ES3_N6thrust23THRUST_200600_302600_NS6detail15normal_iteratorINS9_10device_ptrIiEEEESE_SE_iNS9_10multipliesIiEENS9_8equal_toIiEEiEE10hipError_tPvRmT2_T3_T4_T5_mT6_T7_P12ihipStream_tbENKUlT_T0_E_clISt17integral_constantIbLb0EESY_IbLb1EEEEDaSU_SV_EUlSU_E_NS1_11comp_targetILNS1_3genE5ELNS1_11target_archE942ELNS1_3gpuE9ELNS1_3repE0EEENS1_30default_config_static_selectorELNS0_4arch9wavefront6targetE1EEEvT1_.kd
    .uniform_work_group_size: 1
    .uses_dynamic_stack: false
    .vgpr_count:     83
    .vgpr_spill_count: 0
    .wavefront_size: 64
  - .agpr_count:     0
    .args:
      - .offset:         0
        .size:           112
        .value_kind:     by_value
    .group_segment_fixed_size: 0
    .kernarg_segment_align: 8
    .kernarg_segment_size: 112
    .language:       OpenCL C
    .language_version:
      - 2
      - 0
    .max_flat_workgroup_size: 256
    .name:           _ZN7rocprim17ROCPRIM_400000_NS6detail17trampoline_kernelINS0_14default_configENS1_27scan_by_key_config_selectorIiiEEZZNS1_16scan_by_key_implILNS1_25lookback_scan_determinismE0ELb1ES3_N6thrust23THRUST_200600_302600_NS6detail15normal_iteratorINS9_10device_ptrIiEEEESE_SE_iNS9_10multipliesIiEENS9_8equal_toIiEEiEE10hipError_tPvRmT2_T3_T4_T5_mT6_T7_P12ihipStream_tbENKUlT_T0_E_clISt17integral_constantIbLb0EESY_IbLb1EEEEDaSU_SV_EUlSU_E_NS1_11comp_targetILNS1_3genE4ELNS1_11target_archE910ELNS1_3gpuE8ELNS1_3repE0EEENS1_30default_config_static_selectorELNS0_4arch9wavefront6targetE1EEEvT1_
    .private_segment_fixed_size: 0
    .sgpr_count:     6
    .sgpr_spill_count: 0
    .symbol:         _ZN7rocprim17ROCPRIM_400000_NS6detail17trampoline_kernelINS0_14default_configENS1_27scan_by_key_config_selectorIiiEEZZNS1_16scan_by_key_implILNS1_25lookback_scan_determinismE0ELb1ES3_N6thrust23THRUST_200600_302600_NS6detail15normal_iteratorINS9_10device_ptrIiEEEESE_SE_iNS9_10multipliesIiEENS9_8equal_toIiEEiEE10hipError_tPvRmT2_T3_T4_T5_mT6_T7_P12ihipStream_tbENKUlT_T0_E_clISt17integral_constantIbLb0EESY_IbLb1EEEEDaSU_SV_EUlSU_E_NS1_11comp_targetILNS1_3genE4ELNS1_11target_archE910ELNS1_3gpuE8ELNS1_3repE0EEENS1_30default_config_static_selectorELNS0_4arch9wavefront6targetE1EEEvT1_.kd
    .uniform_work_group_size: 1
    .uses_dynamic_stack: false
    .vgpr_count:     0
    .vgpr_spill_count: 0
    .wavefront_size: 64
  - .agpr_count:     0
    .args:
      - .offset:         0
        .size:           112
        .value_kind:     by_value
    .group_segment_fixed_size: 0
    .kernarg_segment_align: 8
    .kernarg_segment_size: 112
    .language:       OpenCL C
    .language_version:
      - 2
      - 0
    .max_flat_workgroup_size: 256
    .name:           _ZN7rocprim17ROCPRIM_400000_NS6detail17trampoline_kernelINS0_14default_configENS1_27scan_by_key_config_selectorIiiEEZZNS1_16scan_by_key_implILNS1_25lookback_scan_determinismE0ELb1ES3_N6thrust23THRUST_200600_302600_NS6detail15normal_iteratorINS9_10device_ptrIiEEEESE_SE_iNS9_10multipliesIiEENS9_8equal_toIiEEiEE10hipError_tPvRmT2_T3_T4_T5_mT6_T7_P12ihipStream_tbENKUlT_T0_E_clISt17integral_constantIbLb0EESY_IbLb1EEEEDaSU_SV_EUlSU_E_NS1_11comp_targetILNS1_3genE3ELNS1_11target_archE908ELNS1_3gpuE7ELNS1_3repE0EEENS1_30default_config_static_selectorELNS0_4arch9wavefront6targetE1EEEvT1_
    .private_segment_fixed_size: 0
    .sgpr_count:     6
    .sgpr_spill_count: 0
    .symbol:         _ZN7rocprim17ROCPRIM_400000_NS6detail17trampoline_kernelINS0_14default_configENS1_27scan_by_key_config_selectorIiiEEZZNS1_16scan_by_key_implILNS1_25lookback_scan_determinismE0ELb1ES3_N6thrust23THRUST_200600_302600_NS6detail15normal_iteratorINS9_10device_ptrIiEEEESE_SE_iNS9_10multipliesIiEENS9_8equal_toIiEEiEE10hipError_tPvRmT2_T3_T4_T5_mT6_T7_P12ihipStream_tbENKUlT_T0_E_clISt17integral_constantIbLb0EESY_IbLb1EEEEDaSU_SV_EUlSU_E_NS1_11comp_targetILNS1_3genE3ELNS1_11target_archE908ELNS1_3gpuE7ELNS1_3repE0EEENS1_30default_config_static_selectorELNS0_4arch9wavefront6targetE1EEEvT1_.kd
    .uniform_work_group_size: 1
    .uses_dynamic_stack: false
    .vgpr_count:     0
    .vgpr_spill_count: 0
    .wavefront_size: 64
  - .agpr_count:     0
    .args:
      - .offset:         0
        .size:           112
        .value_kind:     by_value
    .group_segment_fixed_size: 0
    .kernarg_segment_align: 8
    .kernarg_segment_size: 112
    .language:       OpenCL C
    .language_version:
      - 2
      - 0
    .max_flat_workgroup_size: 256
    .name:           _ZN7rocprim17ROCPRIM_400000_NS6detail17trampoline_kernelINS0_14default_configENS1_27scan_by_key_config_selectorIiiEEZZNS1_16scan_by_key_implILNS1_25lookback_scan_determinismE0ELb1ES3_N6thrust23THRUST_200600_302600_NS6detail15normal_iteratorINS9_10device_ptrIiEEEESE_SE_iNS9_10multipliesIiEENS9_8equal_toIiEEiEE10hipError_tPvRmT2_T3_T4_T5_mT6_T7_P12ihipStream_tbENKUlT_T0_E_clISt17integral_constantIbLb0EESY_IbLb1EEEEDaSU_SV_EUlSU_E_NS1_11comp_targetILNS1_3genE2ELNS1_11target_archE906ELNS1_3gpuE6ELNS1_3repE0EEENS1_30default_config_static_selectorELNS0_4arch9wavefront6targetE1EEEvT1_
    .private_segment_fixed_size: 0
    .sgpr_count:     6
    .sgpr_spill_count: 0
    .symbol:         _ZN7rocprim17ROCPRIM_400000_NS6detail17trampoline_kernelINS0_14default_configENS1_27scan_by_key_config_selectorIiiEEZZNS1_16scan_by_key_implILNS1_25lookback_scan_determinismE0ELb1ES3_N6thrust23THRUST_200600_302600_NS6detail15normal_iteratorINS9_10device_ptrIiEEEESE_SE_iNS9_10multipliesIiEENS9_8equal_toIiEEiEE10hipError_tPvRmT2_T3_T4_T5_mT6_T7_P12ihipStream_tbENKUlT_T0_E_clISt17integral_constantIbLb0EESY_IbLb1EEEEDaSU_SV_EUlSU_E_NS1_11comp_targetILNS1_3genE2ELNS1_11target_archE906ELNS1_3gpuE6ELNS1_3repE0EEENS1_30default_config_static_selectorELNS0_4arch9wavefront6targetE1EEEvT1_.kd
    .uniform_work_group_size: 1
    .uses_dynamic_stack: false
    .vgpr_count:     0
    .vgpr_spill_count: 0
    .wavefront_size: 64
  - .agpr_count:     0
    .args:
      - .offset:         0
        .size:           112
        .value_kind:     by_value
    .group_segment_fixed_size: 0
    .kernarg_segment_align: 8
    .kernarg_segment_size: 112
    .language:       OpenCL C
    .language_version:
      - 2
      - 0
    .max_flat_workgroup_size: 256
    .name:           _ZN7rocprim17ROCPRIM_400000_NS6detail17trampoline_kernelINS0_14default_configENS1_27scan_by_key_config_selectorIiiEEZZNS1_16scan_by_key_implILNS1_25lookback_scan_determinismE0ELb1ES3_N6thrust23THRUST_200600_302600_NS6detail15normal_iteratorINS9_10device_ptrIiEEEESE_SE_iNS9_10multipliesIiEENS9_8equal_toIiEEiEE10hipError_tPvRmT2_T3_T4_T5_mT6_T7_P12ihipStream_tbENKUlT_T0_E_clISt17integral_constantIbLb0EESY_IbLb1EEEEDaSU_SV_EUlSU_E_NS1_11comp_targetILNS1_3genE10ELNS1_11target_archE1200ELNS1_3gpuE4ELNS1_3repE0EEENS1_30default_config_static_selectorELNS0_4arch9wavefront6targetE1EEEvT1_
    .private_segment_fixed_size: 0
    .sgpr_count:     6
    .sgpr_spill_count: 0
    .symbol:         _ZN7rocprim17ROCPRIM_400000_NS6detail17trampoline_kernelINS0_14default_configENS1_27scan_by_key_config_selectorIiiEEZZNS1_16scan_by_key_implILNS1_25lookback_scan_determinismE0ELb1ES3_N6thrust23THRUST_200600_302600_NS6detail15normal_iteratorINS9_10device_ptrIiEEEESE_SE_iNS9_10multipliesIiEENS9_8equal_toIiEEiEE10hipError_tPvRmT2_T3_T4_T5_mT6_T7_P12ihipStream_tbENKUlT_T0_E_clISt17integral_constantIbLb0EESY_IbLb1EEEEDaSU_SV_EUlSU_E_NS1_11comp_targetILNS1_3genE10ELNS1_11target_archE1200ELNS1_3gpuE4ELNS1_3repE0EEENS1_30default_config_static_selectorELNS0_4arch9wavefront6targetE1EEEvT1_.kd
    .uniform_work_group_size: 1
    .uses_dynamic_stack: false
    .vgpr_count:     0
    .vgpr_spill_count: 0
    .wavefront_size: 64
  - .agpr_count:     0
    .args:
      - .offset:         0
        .size:           112
        .value_kind:     by_value
    .group_segment_fixed_size: 0
    .kernarg_segment_align: 8
    .kernarg_segment_size: 112
    .language:       OpenCL C
    .language_version:
      - 2
      - 0
    .max_flat_workgroup_size: 256
    .name:           _ZN7rocprim17ROCPRIM_400000_NS6detail17trampoline_kernelINS0_14default_configENS1_27scan_by_key_config_selectorIiiEEZZNS1_16scan_by_key_implILNS1_25lookback_scan_determinismE0ELb1ES3_N6thrust23THRUST_200600_302600_NS6detail15normal_iteratorINS9_10device_ptrIiEEEESE_SE_iNS9_10multipliesIiEENS9_8equal_toIiEEiEE10hipError_tPvRmT2_T3_T4_T5_mT6_T7_P12ihipStream_tbENKUlT_T0_E_clISt17integral_constantIbLb0EESY_IbLb1EEEEDaSU_SV_EUlSU_E_NS1_11comp_targetILNS1_3genE9ELNS1_11target_archE1100ELNS1_3gpuE3ELNS1_3repE0EEENS1_30default_config_static_selectorELNS0_4arch9wavefront6targetE1EEEvT1_
    .private_segment_fixed_size: 0
    .sgpr_count:     6
    .sgpr_spill_count: 0
    .symbol:         _ZN7rocprim17ROCPRIM_400000_NS6detail17trampoline_kernelINS0_14default_configENS1_27scan_by_key_config_selectorIiiEEZZNS1_16scan_by_key_implILNS1_25lookback_scan_determinismE0ELb1ES3_N6thrust23THRUST_200600_302600_NS6detail15normal_iteratorINS9_10device_ptrIiEEEESE_SE_iNS9_10multipliesIiEENS9_8equal_toIiEEiEE10hipError_tPvRmT2_T3_T4_T5_mT6_T7_P12ihipStream_tbENKUlT_T0_E_clISt17integral_constantIbLb0EESY_IbLb1EEEEDaSU_SV_EUlSU_E_NS1_11comp_targetILNS1_3genE9ELNS1_11target_archE1100ELNS1_3gpuE3ELNS1_3repE0EEENS1_30default_config_static_selectorELNS0_4arch9wavefront6targetE1EEEvT1_.kd
    .uniform_work_group_size: 1
    .uses_dynamic_stack: false
    .vgpr_count:     0
    .vgpr_spill_count: 0
    .wavefront_size: 64
  - .agpr_count:     0
    .args:
      - .offset:         0
        .size:           112
        .value_kind:     by_value
    .group_segment_fixed_size: 0
    .kernarg_segment_align: 8
    .kernarg_segment_size: 112
    .language:       OpenCL C
    .language_version:
      - 2
      - 0
    .max_flat_workgroup_size: 256
    .name:           _ZN7rocprim17ROCPRIM_400000_NS6detail17trampoline_kernelINS0_14default_configENS1_27scan_by_key_config_selectorIiiEEZZNS1_16scan_by_key_implILNS1_25lookback_scan_determinismE0ELb1ES3_N6thrust23THRUST_200600_302600_NS6detail15normal_iteratorINS9_10device_ptrIiEEEESE_SE_iNS9_10multipliesIiEENS9_8equal_toIiEEiEE10hipError_tPvRmT2_T3_T4_T5_mT6_T7_P12ihipStream_tbENKUlT_T0_E_clISt17integral_constantIbLb0EESY_IbLb1EEEEDaSU_SV_EUlSU_E_NS1_11comp_targetILNS1_3genE8ELNS1_11target_archE1030ELNS1_3gpuE2ELNS1_3repE0EEENS1_30default_config_static_selectorELNS0_4arch9wavefront6targetE1EEEvT1_
    .private_segment_fixed_size: 0
    .sgpr_count:     6
    .sgpr_spill_count: 0
    .symbol:         _ZN7rocprim17ROCPRIM_400000_NS6detail17trampoline_kernelINS0_14default_configENS1_27scan_by_key_config_selectorIiiEEZZNS1_16scan_by_key_implILNS1_25lookback_scan_determinismE0ELb1ES3_N6thrust23THRUST_200600_302600_NS6detail15normal_iteratorINS9_10device_ptrIiEEEESE_SE_iNS9_10multipliesIiEENS9_8equal_toIiEEiEE10hipError_tPvRmT2_T3_T4_T5_mT6_T7_P12ihipStream_tbENKUlT_T0_E_clISt17integral_constantIbLb0EESY_IbLb1EEEEDaSU_SV_EUlSU_E_NS1_11comp_targetILNS1_3genE8ELNS1_11target_archE1030ELNS1_3gpuE2ELNS1_3repE0EEENS1_30default_config_static_selectorELNS0_4arch9wavefront6targetE1EEEvT1_.kd
    .uniform_work_group_size: 1
    .uses_dynamic_stack: false
    .vgpr_count:     0
    .vgpr_spill_count: 0
    .wavefront_size: 64
  - .agpr_count:     0
    .args:
      - .offset:         0
        .size:           112
        .value_kind:     by_value
    .group_segment_fixed_size: 0
    .kernarg_segment_align: 8
    .kernarg_segment_size: 112
    .language:       OpenCL C
    .language_version:
      - 2
      - 0
    .max_flat_workgroup_size: 256
    .name:           _ZN7rocprim17ROCPRIM_400000_NS6detail17trampoline_kernelINS0_14default_configENS1_27scan_by_key_config_selectorIiiEEZZNS1_16scan_by_key_implILNS1_25lookback_scan_determinismE0ELb1ES3_N6thrust23THRUST_200600_302600_NS6detail15normal_iteratorINS9_10device_ptrIiEEEESE_SE_iNS9_4plusIvEENS9_8equal_toIiEEiEE10hipError_tPvRmT2_T3_T4_T5_mT6_T7_P12ihipStream_tbENKUlT_T0_E_clISt17integral_constantIbLb0EESZ_EEDaSU_SV_EUlSU_E_NS1_11comp_targetILNS1_3genE0ELNS1_11target_archE4294967295ELNS1_3gpuE0ELNS1_3repE0EEENS1_30default_config_static_selectorELNS0_4arch9wavefront6targetE1EEEvT1_
    .private_segment_fixed_size: 0
    .sgpr_count:     6
    .sgpr_spill_count: 0
    .symbol:         _ZN7rocprim17ROCPRIM_400000_NS6detail17trampoline_kernelINS0_14default_configENS1_27scan_by_key_config_selectorIiiEEZZNS1_16scan_by_key_implILNS1_25lookback_scan_determinismE0ELb1ES3_N6thrust23THRUST_200600_302600_NS6detail15normal_iteratorINS9_10device_ptrIiEEEESE_SE_iNS9_4plusIvEENS9_8equal_toIiEEiEE10hipError_tPvRmT2_T3_T4_T5_mT6_T7_P12ihipStream_tbENKUlT_T0_E_clISt17integral_constantIbLb0EESZ_EEDaSU_SV_EUlSU_E_NS1_11comp_targetILNS1_3genE0ELNS1_11target_archE4294967295ELNS1_3gpuE0ELNS1_3repE0EEENS1_30default_config_static_selectorELNS0_4arch9wavefront6targetE1EEEvT1_.kd
    .uniform_work_group_size: 1
    .uses_dynamic_stack: false
    .vgpr_count:     0
    .vgpr_spill_count: 0
    .wavefront_size: 64
  - .agpr_count:     0
    .args:
      - .offset:         0
        .size:           112
        .value_kind:     by_value
    .group_segment_fixed_size: 0
    .kernarg_segment_align: 8
    .kernarg_segment_size: 112
    .language:       OpenCL C
    .language_version:
      - 2
      - 0
    .max_flat_workgroup_size: 256
    .name:           _ZN7rocprim17ROCPRIM_400000_NS6detail17trampoline_kernelINS0_14default_configENS1_27scan_by_key_config_selectorIiiEEZZNS1_16scan_by_key_implILNS1_25lookback_scan_determinismE0ELb1ES3_N6thrust23THRUST_200600_302600_NS6detail15normal_iteratorINS9_10device_ptrIiEEEESE_SE_iNS9_4plusIvEENS9_8equal_toIiEEiEE10hipError_tPvRmT2_T3_T4_T5_mT6_T7_P12ihipStream_tbENKUlT_T0_E_clISt17integral_constantIbLb0EESZ_EEDaSU_SV_EUlSU_E_NS1_11comp_targetILNS1_3genE10ELNS1_11target_archE1201ELNS1_3gpuE5ELNS1_3repE0EEENS1_30default_config_static_selectorELNS0_4arch9wavefront6targetE1EEEvT1_
    .private_segment_fixed_size: 0
    .sgpr_count:     6
    .sgpr_spill_count: 0
    .symbol:         _ZN7rocprim17ROCPRIM_400000_NS6detail17trampoline_kernelINS0_14default_configENS1_27scan_by_key_config_selectorIiiEEZZNS1_16scan_by_key_implILNS1_25lookback_scan_determinismE0ELb1ES3_N6thrust23THRUST_200600_302600_NS6detail15normal_iteratorINS9_10device_ptrIiEEEESE_SE_iNS9_4plusIvEENS9_8equal_toIiEEiEE10hipError_tPvRmT2_T3_T4_T5_mT6_T7_P12ihipStream_tbENKUlT_T0_E_clISt17integral_constantIbLb0EESZ_EEDaSU_SV_EUlSU_E_NS1_11comp_targetILNS1_3genE10ELNS1_11target_archE1201ELNS1_3gpuE5ELNS1_3repE0EEENS1_30default_config_static_selectorELNS0_4arch9wavefront6targetE1EEEvT1_.kd
    .uniform_work_group_size: 1
    .uses_dynamic_stack: false
    .vgpr_count:     0
    .vgpr_spill_count: 0
    .wavefront_size: 64
  - .agpr_count:     0
    .args:
      - .offset:         0
        .size:           112
        .value_kind:     by_value
    .group_segment_fixed_size: 25600
    .kernarg_segment_align: 8
    .kernarg_segment_size: 112
    .language:       OpenCL C
    .language_version:
      - 2
      - 0
    .max_flat_workgroup_size: 256
    .name:           _ZN7rocprim17ROCPRIM_400000_NS6detail17trampoline_kernelINS0_14default_configENS1_27scan_by_key_config_selectorIiiEEZZNS1_16scan_by_key_implILNS1_25lookback_scan_determinismE0ELb1ES3_N6thrust23THRUST_200600_302600_NS6detail15normal_iteratorINS9_10device_ptrIiEEEESE_SE_iNS9_4plusIvEENS9_8equal_toIiEEiEE10hipError_tPvRmT2_T3_T4_T5_mT6_T7_P12ihipStream_tbENKUlT_T0_E_clISt17integral_constantIbLb0EESZ_EEDaSU_SV_EUlSU_E_NS1_11comp_targetILNS1_3genE5ELNS1_11target_archE942ELNS1_3gpuE9ELNS1_3repE0EEENS1_30default_config_static_selectorELNS0_4arch9wavefront6targetE1EEEvT1_
    .private_segment_fixed_size: 0
    .sgpr_count:     86
    .sgpr_spill_count: 0
    .symbol:         _ZN7rocprim17ROCPRIM_400000_NS6detail17trampoline_kernelINS0_14default_configENS1_27scan_by_key_config_selectorIiiEEZZNS1_16scan_by_key_implILNS1_25lookback_scan_determinismE0ELb1ES3_N6thrust23THRUST_200600_302600_NS6detail15normal_iteratorINS9_10device_ptrIiEEEESE_SE_iNS9_4plusIvEENS9_8equal_toIiEEiEE10hipError_tPvRmT2_T3_T4_T5_mT6_T7_P12ihipStream_tbENKUlT_T0_E_clISt17integral_constantIbLb0EESZ_EEDaSU_SV_EUlSU_E_NS1_11comp_targetILNS1_3genE5ELNS1_11target_archE942ELNS1_3gpuE9ELNS1_3repE0EEENS1_30default_config_static_selectorELNS0_4arch9wavefront6targetE1EEEvT1_.kd
    .uniform_work_group_size: 1
    .uses_dynamic_stack: false
    .vgpr_count:     81
    .vgpr_spill_count: 0
    .wavefront_size: 64
  - .agpr_count:     0
    .args:
      - .offset:         0
        .size:           112
        .value_kind:     by_value
    .group_segment_fixed_size: 0
    .kernarg_segment_align: 8
    .kernarg_segment_size: 112
    .language:       OpenCL C
    .language_version:
      - 2
      - 0
    .max_flat_workgroup_size: 256
    .name:           _ZN7rocprim17ROCPRIM_400000_NS6detail17trampoline_kernelINS0_14default_configENS1_27scan_by_key_config_selectorIiiEEZZNS1_16scan_by_key_implILNS1_25lookback_scan_determinismE0ELb1ES3_N6thrust23THRUST_200600_302600_NS6detail15normal_iteratorINS9_10device_ptrIiEEEESE_SE_iNS9_4plusIvEENS9_8equal_toIiEEiEE10hipError_tPvRmT2_T3_T4_T5_mT6_T7_P12ihipStream_tbENKUlT_T0_E_clISt17integral_constantIbLb0EESZ_EEDaSU_SV_EUlSU_E_NS1_11comp_targetILNS1_3genE4ELNS1_11target_archE910ELNS1_3gpuE8ELNS1_3repE0EEENS1_30default_config_static_selectorELNS0_4arch9wavefront6targetE1EEEvT1_
    .private_segment_fixed_size: 0
    .sgpr_count:     6
    .sgpr_spill_count: 0
    .symbol:         _ZN7rocprim17ROCPRIM_400000_NS6detail17trampoline_kernelINS0_14default_configENS1_27scan_by_key_config_selectorIiiEEZZNS1_16scan_by_key_implILNS1_25lookback_scan_determinismE0ELb1ES3_N6thrust23THRUST_200600_302600_NS6detail15normal_iteratorINS9_10device_ptrIiEEEESE_SE_iNS9_4plusIvEENS9_8equal_toIiEEiEE10hipError_tPvRmT2_T3_T4_T5_mT6_T7_P12ihipStream_tbENKUlT_T0_E_clISt17integral_constantIbLb0EESZ_EEDaSU_SV_EUlSU_E_NS1_11comp_targetILNS1_3genE4ELNS1_11target_archE910ELNS1_3gpuE8ELNS1_3repE0EEENS1_30default_config_static_selectorELNS0_4arch9wavefront6targetE1EEEvT1_.kd
    .uniform_work_group_size: 1
    .uses_dynamic_stack: false
    .vgpr_count:     0
    .vgpr_spill_count: 0
    .wavefront_size: 64
  - .agpr_count:     0
    .args:
      - .offset:         0
        .size:           112
        .value_kind:     by_value
    .group_segment_fixed_size: 0
    .kernarg_segment_align: 8
    .kernarg_segment_size: 112
    .language:       OpenCL C
    .language_version:
      - 2
      - 0
    .max_flat_workgroup_size: 256
    .name:           _ZN7rocprim17ROCPRIM_400000_NS6detail17trampoline_kernelINS0_14default_configENS1_27scan_by_key_config_selectorIiiEEZZNS1_16scan_by_key_implILNS1_25lookback_scan_determinismE0ELb1ES3_N6thrust23THRUST_200600_302600_NS6detail15normal_iteratorINS9_10device_ptrIiEEEESE_SE_iNS9_4plusIvEENS9_8equal_toIiEEiEE10hipError_tPvRmT2_T3_T4_T5_mT6_T7_P12ihipStream_tbENKUlT_T0_E_clISt17integral_constantIbLb0EESZ_EEDaSU_SV_EUlSU_E_NS1_11comp_targetILNS1_3genE3ELNS1_11target_archE908ELNS1_3gpuE7ELNS1_3repE0EEENS1_30default_config_static_selectorELNS0_4arch9wavefront6targetE1EEEvT1_
    .private_segment_fixed_size: 0
    .sgpr_count:     6
    .sgpr_spill_count: 0
    .symbol:         _ZN7rocprim17ROCPRIM_400000_NS6detail17trampoline_kernelINS0_14default_configENS1_27scan_by_key_config_selectorIiiEEZZNS1_16scan_by_key_implILNS1_25lookback_scan_determinismE0ELb1ES3_N6thrust23THRUST_200600_302600_NS6detail15normal_iteratorINS9_10device_ptrIiEEEESE_SE_iNS9_4plusIvEENS9_8equal_toIiEEiEE10hipError_tPvRmT2_T3_T4_T5_mT6_T7_P12ihipStream_tbENKUlT_T0_E_clISt17integral_constantIbLb0EESZ_EEDaSU_SV_EUlSU_E_NS1_11comp_targetILNS1_3genE3ELNS1_11target_archE908ELNS1_3gpuE7ELNS1_3repE0EEENS1_30default_config_static_selectorELNS0_4arch9wavefront6targetE1EEEvT1_.kd
    .uniform_work_group_size: 1
    .uses_dynamic_stack: false
    .vgpr_count:     0
    .vgpr_spill_count: 0
    .wavefront_size: 64
  - .agpr_count:     0
    .args:
      - .offset:         0
        .size:           112
        .value_kind:     by_value
    .group_segment_fixed_size: 0
    .kernarg_segment_align: 8
    .kernarg_segment_size: 112
    .language:       OpenCL C
    .language_version:
      - 2
      - 0
    .max_flat_workgroup_size: 256
    .name:           _ZN7rocprim17ROCPRIM_400000_NS6detail17trampoline_kernelINS0_14default_configENS1_27scan_by_key_config_selectorIiiEEZZNS1_16scan_by_key_implILNS1_25lookback_scan_determinismE0ELb1ES3_N6thrust23THRUST_200600_302600_NS6detail15normal_iteratorINS9_10device_ptrIiEEEESE_SE_iNS9_4plusIvEENS9_8equal_toIiEEiEE10hipError_tPvRmT2_T3_T4_T5_mT6_T7_P12ihipStream_tbENKUlT_T0_E_clISt17integral_constantIbLb0EESZ_EEDaSU_SV_EUlSU_E_NS1_11comp_targetILNS1_3genE2ELNS1_11target_archE906ELNS1_3gpuE6ELNS1_3repE0EEENS1_30default_config_static_selectorELNS0_4arch9wavefront6targetE1EEEvT1_
    .private_segment_fixed_size: 0
    .sgpr_count:     6
    .sgpr_spill_count: 0
    .symbol:         _ZN7rocprim17ROCPRIM_400000_NS6detail17trampoline_kernelINS0_14default_configENS1_27scan_by_key_config_selectorIiiEEZZNS1_16scan_by_key_implILNS1_25lookback_scan_determinismE0ELb1ES3_N6thrust23THRUST_200600_302600_NS6detail15normal_iteratorINS9_10device_ptrIiEEEESE_SE_iNS9_4plusIvEENS9_8equal_toIiEEiEE10hipError_tPvRmT2_T3_T4_T5_mT6_T7_P12ihipStream_tbENKUlT_T0_E_clISt17integral_constantIbLb0EESZ_EEDaSU_SV_EUlSU_E_NS1_11comp_targetILNS1_3genE2ELNS1_11target_archE906ELNS1_3gpuE6ELNS1_3repE0EEENS1_30default_config_static_selectorELNS0_4arch9wavefront6targetE1EEEvT1_.kd
    .uniform_work_group_size: 1
    .uses_dynamic_stack: false
    .vgpr_count:     0
    .vgpr_spill_count: 0
    .wavefront_size: 64
  - .agpr_count:     0
    .args:
      - .offset:         0
        .size:           112
        .value_kind:     by_value
    .group_segment_fixed_size: 0
    .kernarg_segment_align: 8
    .kernarg_segment_size: 112
    .language:       OpenCL C
    .language_version:
      - 2
      - 0
    .max_flat_workgroup_size: 256
    .name:           _ZN7rocprim17ROCPRIM_400000_NS6detail17trampoline_kernelINS0_14default_configENS1_27scan_by_key_config_selectorIiiEEZZNS1_16scan_by_key_implILNS1_25lookback_scan_determinismE0ELb1ES3_N6thrust23THRUST_200600_302600_NS6detail15normal_iteratorINS9_10device_ptrIiEEEESE_SE_iNS9_4plusIvEENS9_8equal_toIiEEiEE10hipError_tPvRmT2_T3_T4_T5_mT6_T7_P12ihipStream_tbENKUlT_T0_E_clISt17integral_constantIbLb0EESZ_EEDaSU_SV_EUlSU_E_NS1_11comp_targetILNS1_3genE10ELNS1_11target_archE1200ELNS1_3gpuE4ELNS1_3repE0EEENS1_30default_config_static_selectorELNS0_4arch9wavefront6targetE1EEEvT1_
    .private_segment_fixed_size: 0
    .sgpr_count:     6
    .sgpr_spill_count: 0
    .symbol:         _ZN7rocprim17ROCPRIM_400000_NS6detail17trampoline_kernelINS0_14default_configENS1_27scan_by_key_config_selectorIiiEEZZNS1_16scan_by_key_implILNS1_25lookback_scan_determinismE0ELb1ES3_N6thrust23THRUST_200600_302600_NS6detail15normal_iteratorINS9_10device_ptrIiEEEESE_SE_iNS9_4plusIvEENS9_8equal_toIiEEiEE10hipError_tPvRmT2_T3_T4_T5_mT6_T7_P12ihipStream_tbENKUlT_T0_E_clISt17integral_constantIbLb0EESZ_EEDaSU_SV_EUlSU_E_NS1_11comp_targetILNS1_3genE10ELNS1_11target_archE1200ELNS1_3gpuE4ELNS1_3repE0EEENS1_30default_config_static_selectorELNS0_4arch9wavefront6targetE1EEEvT1_.kd
    .uniform_work_group_size: 1
    .uses_dynamic_stack: false
    .vgpr_count:     0
    .vgpr_spill_count: 0
    .wavefront_size: 64
  - .agpr_count:     0
    .args:
      - .offset:         0
        .size:           112
        .value_kind:     by_value
    .group_segment_fixed_size: 0
    .kernarg_segment_align: 8
    .kernarg_segment_size: 112
    .language:       OpenCL C
    .language_version:
      - 2
      - 0
    .max_flat_workgroup_size: 256
    .name:           _ZN7rocprim17ROCPRIM_400000_NS6detail17trampoline_kernelINS0_14default_configENS1_27scan_by_key_config_selectorIiiEEZZNS1_16scan_by_key_implILNS1_25lookback_scan_determinismE0ELb1ES3_N6thrust23THRUST_200600_302600_NS6detail15normal_iteratorINS9_10device_ptrIiEEEESE_SE_iNS9_4plusIvEENS9_8equal_toIiEEiEE10hipError_tPvRmT2_T3_T4_T5_mT6_T7_P12ihipStream_tbENKUlT_T0_E_clISt17integral_constantIbLb0EESZ_EEDaSU_SV_EUlSU_E_NS1_11comp_targetILNS1_3genE9ELNS1_11target_archE1100ELNS1_3gpuE3ELNS1_3repE0EEENS1_30default_config_static_selectorELNS0_4arch9wavefront6targetE1EEEvT1_
    .private_segment_fixed_size: 0
    .sgpr_count:     6
    .sgpr_spill_count: 0
    .symbol:         _ZN7rocprim17ROCPRIM_400000_NS6detail17trampoline_kernelINS0_14default_configENS1_27scan_by_key_config_selectorIiiEEZZNS1_16scan_by_key_implILNS1_25lookback_scan_determinismE0ELb1ES3_N6thrust23THRUST_200600_302600_NS6detail15normal_iteratorINS9_10device_ptrIiEEEESE_SE_iNS9_4plusIvEENS9_8equal_toIiEEiEE10hipError_tPvRmT2_T3_T4_T5_mT6_T7_P12ihipStream_tbENKUlT_T0_E_clISt17integral_constantIbLb0EESZ_EEDaSU_SV_EUlSU_E_NS1_11comp_targetILNS1_3genE9ELNS1_11target_archE1100ELNS1_3gpuE3ELNS1_3repE0EEENS1_30default_config_static_selectorELNS0_4arch9wavefront6targetE1EEEvT1_.kd
    .uniform_work_group_size: 1
    .uses_dynamic_stack: false
    .vgpr_count:     0
    .vgpr_spill_count: 0
    .wavefront_size: 64
  - .agpr_count:     0
    .args:
      - .offset:         0
        .size:           112
        .value_kind:     by_value
    .group_segment_fixed_size: 0
    .kernarg_segment_align: 8
    .kernarg_segment_size: 112
    .language:       OpenCL C
    .language_version:
      - 2
      - 0
    .max_flat_workgroup_size: 256
    .name:           _ZN7rocprim17ROCPRIM_400000_NS6detail17trampoline_kernelINS0_14default_configENS1_27scan_by_key_config_selectorIiiEEZZNS1_16scan_by_key_implILNS1_25lookback_scan_determinismE0ELb1ES3_N6thrust23THRUST_200600_302600_NS6detail15normal_iteratorINS9_10device_ptrIiEEEESE_SE_iNS9_4plusIvEENS9_8equal_toIiEEiEE10hipError_tPvRmT2_T3_T4_T5_mT6_T7_P12ihipStream_tbENKUlT_T0_E_clISt17integral_constantIbLb0EESZ_EEDaSU_SV_EUlSU_E_NS1_11comp_targetILNS1_3genE8ELNS1_11target_archE1030ELNS1_3gpuE2ELNS1_3repE0EEENS1_30default_config_static_selectorELNS0_4arch9wavefront6targetE1EEEvT1_
    .private_segment_fixed_size: 0
    .sgpr_count:     6
    .sgpr_spill_count: 0
    .symbol:         _ZN7rocprim17ROCPRIM_400000_NS6detail17trampoline_kernelINS0_14default_configENS1_27scan_by_key_config_selectorIiiEEZZNS1_16scan_by_key_implILNS1_25lookback_scan_determinismE0ELb1ES3_N6thrust23THRUST_200600_302600_NS6detail15normal_iteratorINS9_10device_ptrIiEEEESE_SE_iNS9_4plusIvEENS9_8equal_toIiEEiEE10hipError_tPvRmT2_T3_T4_T5_mT6_T7_P12ihipStream_tbENKUlT_T0_E_clISt17integral_constantIbLb0EESZ_EEDaSU_SV_EUlSU_E_NS1_11comp_targetILNS1_3genE8ELNS1_11target_archE1030ELNS1_3gpuE2ELNS1_3repE0EEENS1_30default_config_static_selectorELNS0_4arch9wavefront6targetE1EEEvT1_.kd
    .uniform_work_group_size: 1
    .uses_dynamic_stack: false
    .vgpr_count:     0
    .vgpr_spill_count: 0
    .wavefront_size: 64
  - .agpr_count:     0
    .args:
      - .offset:         0
        .size:           112
        .value_kind:     by_value
    .group_segment_fixed_size: 0
    .kernarg_segment_align: 8
    .kernarg_segment_size: 112
    .language:       OpenCL C
    .language_version:
      - 2
      - 0
    .max_flat_workgroup_size: 256
    .name:           _ZN7rocprim17ROCPRIM_400000_NS6detail17trampoline_kernelINS0_14default_configENS1_27scan_by_key_config_selectorIiiEEZZNS1_16scan_by_key_implILNS1_25lookback_scan_determinismE0ELb1ES3_N6thrust23THRUST_200600_302600_NS6detail15normal_iteratorINS9_10device_ptrIiEEEESE_SE_iNS9_4plusIvEENS9_8equal_toIiEEiEE10hipError_tPvRmT2_T3_T4_T5_mT6_T7_P12ihipStream_tbENKUlT_T0_E_clISt17integral_constantIbLb1EESZ_EEDaSU_SV_EUlSU_E_NS1_11comp_targetILNS1_3genE0ELNS1_11target_archE4294967295ELNS1_3gpuE0ELNS1_3repE0EEENS1_30default_config_static_selectorELNS0_4arch9wavefront6targetE1EEEvT1_
    .private_segment_fixed_size: 0
    .sgpr_count:     6
    .sgpr_spill_count: 0
    .symbol:         _ZN7rocprim17ROCPRIM_400000_NS6detail17trampoline_kernelINS0_14default_configENS1_27scan_by_key_config_selectorIiiEEZZNS1_16scan_by_key_implILNS1_25lookback_scan_determinismE0ELb1ES3_N6thrust23THRUST_200600_302600_NS6detail15normal_iteratorINS9_10device_ptrIiEEEESE_SE_iNS9_4plusIvEENS9_8equal_toIiEEiEE10hipError_tPvRmT2_T3_T4_T5_mT6_T7_P12ihipStream_tbENKUlT_T0_E_clISt17integral_constantIbLb1EESZ_EEDaSU_SV_EUlSU_E_NS1_11comp_targetILNS1_3genE0ELNS1_11target_archE4294967295ELNS1_3gpuE0ELNS1_3repE0EEENS1_30default_config_static_selectorELNS0_4arch9wavefront6targetE1EEEvT1_.kd
    .uniform_work_group_size: 1
    .uses_dynamic_stack: false
    .vgpr_count:     0
    .vgpr_spill_count: 0
    .wavefront_size: 64
  - .agpr_count:     0
    .args:
      - .offset:         0
        .size:           112
        .value_kind:     by_value
    .group_segment_fixed_size: 0
    .kernarg_segment_align: 8
    .kernarg_segment_size: 112
    .language:       OpenCL C
    .language_version:
      - 2
      - 0
    .max_flat_workgroup_size: 256
    .name:           _ZN7rocprim17ROCPRIM_400000_NS6detail17trampoline_kernelINS0_14default_configENS1_27scan_by_key_config_selectorIiiEEZZNS1_16scan_by_key_implILNS1_25lookback_scan_determinismE0ELb1ES3_N6thrust23THRUST_200600_302600_NS6detail15normal_iteratorINS9_10device_ptrIiEEEESE_SE_iNS9_4plusIvEENS9_8equal_toIiEEiEE10hipError_tPvRmT2_T3_T4_T5_mT6_T7_P12ihipStream_tbENKUlT_T0_E_clISt17integral_constantIbLb1EESZ_EEDaSU_SV_EUlSU_E_NS1_11comp_targetILNS1_3genE10ELNS1_11target_archE1201ELNS1_3gpuE5ELNS1_3repE0EEENS1_30default_config_static_selectorELNS0_4arch9wavefront6targetE1EEEvT1_
    .private_segment_fixed_size: 0
    .sgpr_count:     6
    .sgpr_spill_count: 0
    .symbol:         _ZN7rocprim17ROCPRIM_400000_NS6detail17trampoline_kernelINS0_14default_configENS1_27scan_by_key_config_selectorIiiEEZZNS1_16scan_by_key_implILNS1_25lookback_scan_determinismE0ELb1ES3_N6thrust23THRUST_200600_302600_NS6detail15normal_iteratorINS9_10device_ptrIiEEEESE_SE_iNS9_4plusIvEENS9_8equal_toIiEEiEE10hipError_tPvRmT2_T3_T4_T5_mT6_T7_P12ihipStream_tbENKUlT_T0_E_clISt17integral_constantIbLb1EESZ_EEDaSU_SV_EUlSU_E_NS1_11comp_targetILNS1_3genE10ELNS1_11target_archE1201ELNS1_3gpuE5ELNS1_3repE0EEENS1_30default_config_static_selectorELNS0_4arch9wavefront6targetE1EEEvT1_.kd
    .uniform_work_group_size: 1
    .uses_dynamic_stack: false
    .vgpr_count:     0
    .vgpr_spill_count: 0
    .wavefront_size: 64
  - .agpr_count:     0
    .args:
      - .offset:         0
        .size:           112
        .value_kind:     by_value
    .group_segment_fixed_size: 25600
    .kernarg_segment_align: 8
    .kernarg_segment_size: 112
    .language:       OpenCL C
    .language_version:
      - 2
      - 0
    .max_flat_workgroup_size: 256
    .name:           _ZN7rocprim17ROCPRIM_400000_NS6detail17trampoline_kernelINS0_14default_configENS1_27scan_by_key_config_selectorIiiEEZZNS1_16scan_by_key_implILNS1_25lookback_scan_determinismE0ELb1ES3_N6thrust23THRUST_200600_302600_NS6detail15normal_iteratorINS9_10device_ptrIiEEEESE_SE_iNS9_4plusIvEENS9_8equal_toIiEEiEE10hipError_tPvRmT2_T3_T4_T5_mT6_T7_P12ihipStream_tbENKUlT_T0_E_clISt17integral_constantIbLb1EESZ_EEDaSU_SV_EUlSU_E_NS1_11comp_targetILNS1_3genE5ELNS1_11target_archE942ELNS1_3gpuE9ELNS1_3repE0EEENS1_30default_config_static_selectorELNS0_4arch9wavefront6targetE1EEEvT1_
    .private_segment_fixed_size: 0
    .sgpr_count:     86
    .sgpr_spill_count: 0
    .symbol:         _ZN7rocprim17ROCPRIM_400000_NS6detail17trampoline_kernelINS0_14default_configENS1_27scan_by_key_config_selectorIiiEEZZNS1_16scan_by_key_implILNS1_25lookback_scan_determinismE0ELb1ES3_N6thrust23THRUST_200600_302600_NS6detail15normal_iteratorINS9_10device_ptrIiEEEESE_SE_iNS9_4plusIvEENS9_8equal_toIiEEiEE10hipError_tPvRmT2_T3_T4_T5_mT6_T7_P12ihipStream_tbENKUlT_T0_E_clISt17integral_constantIbLb1EESZ_EEDaSU_SV_EUlSU_E_NS1_11comp_targetILNS1_3genE5ELNS1_11target_archE942ELNS1_3gpuE9ELNS1_3repE0EEENS1_30default_config_static_selectorELNS0_4arch9wavefront6targetE1EEEvT1_.kd
    .uniform_work_group_size: 1
    .uses_dynamic_stack: false
    .vgpr_count:     83
    .vgpr_spill_count: 0
    .wavefront_size: 64
  - .agpr_count:     0
    .args:
      - .offset:         0
        .size:           112
        .value_kind:     by_value
    .group_segment_fixed_size: 0
    .kernarg_segment_align: 8
    .kernarg_segment_size: 112
    .language:       OpenCL C
    .language_version:
      - 2
      - 0
    .max_flat_workgroup_size: 256
    .name:           _ZN7rocprim17ROCPRIM_400000_NS6detail17trampoline_kernelINS0_14default_configENS1_27scan_by_key_config_selectorIiiEEZZNS1_16scan_by_key_implILNS1_25lookback_scan_determinismE0ELb1ES3_N6thrust23THRUST_200600_302600_NS6detail15normal_iteratorINS9_10device_ptrIiEEEESE_SE_iNS9_4plusIvEENS9_8equal_toIiEEiEE10hipError_tPvRmT2_T3_T4_T5_mT6_T7_P12ihipStream_tbENKUlT_T0_E_clISt17integral_constantIbLb1EESZ_EEDaSU_SV_EUlSU_E_NS1_11comp_targetILNS1_3genE4ELNS1_11target_archE910ELNS1_3gpuE8ELNS1_3repE0EEENS1_30default_config_static_selectorELNS0_4arch9wavefront6targetE1EEEvT1_
    .private_segment_fixed_size: 0
    .sgpr_count:     6
    .sgpr_spill_count: 0
    .symbol:         _ZN7rocprim17ROCPRIM_400000_NS6detail17trampoline_kernelINS0_14default_configENS1_27scan_by_key_config_selectorIiiEEZZNS1_16scan_by_key_implILNS1_25lookback_scan_determinismE0ELb1ES3_N6thrust23THRUST_200600_302600_NS6detail15normal_iteratorINS9_10device_ptrIiEEEESE_SE_iNS9_4plusIvEENS9_8equal_toIiEEiEE10hipError_tPvRmT2_T3_T4_T5_mT6_T7_P12ihipStream_tbENKUlT_T0_E_clISt17integral_constantIbLb1EESZ_EEDaSU_SV_EUlSU_E_NS1_11comp_targetILNS1_3genE4ELNS1_11target_archE910ELNS1_3gpuE8ELNS1_3repE0EEENS1_30default_config_static_selectorELNS0_4arch9wavefront6targetE1EEEvT1_.kd
    .uniform_work_group_size: 1
    .uses_dynamic_stack: false
    .vgpr_count:     0
    .vgpr_spill_count: 0
    .wavefront_size: 64
  - .agpr_count:     0
    .args:
      - .offset:         0
        .size:           112
        .value_kind:     by_value
    .group_segment_fixed_size: 0
    .kernarg_segment_align: 8
    .kernarg_segment_size: 112
    .language:       OpenCL C
    .language_version:
      - 2
      - 0
    .max_flat_workgroup_size: 256
    .name:           _ZN7rocprim17ROCPRIM_400000_NS6detail17trampoline_kernelINS0_14default_configENS1_27scan_by_key_config_selectorIiiEEZZNS1_16scan_by_key_implILNS1_25lookback_scan_determinismE0ELb1ES3_N6thrust23THRUST_200600_302600_NS6detail15normal_iteratorINS9_10device_ptrIiEEEESE_SE_iNS9_4plusIvEENS9_8equal_toIiEEiEE10hipError_tPvRmT2_T3_T4_T5_mT6_T7_P12ihipStream_tbENKUlT_T0_E_clISt17integral_constantIbLb1EESZ_EEDaSU_SV_EUlSU_E_NS1_11comp_targetILNS1_3genE3ELNS1_11target_archE908ELNS1_3gpuE7ELNS1_3repE0EEENS1_30default_config_static_selectorELNS0_4arch9wavefront6targetE1EEEvT1_
    .private_segment_fixed_size: 0
    .sgpr_count:     6
    .sgpr_spill_count: 0
    .symbol:         _ZN7rocprim17ROCPRIM_400000_NS6detail17trampoline_kernelINS0_14default_configENS1_27scan_by_key_config_selectorIiiEEZZNS1_16scan_by_key_implILNS1_25lookback_scan_determinismE0ELb1ES3_N6thrust23THRUST_200600_302600_NS6detail15normal_iteratorINS9_10device_ptrIiEEEESE_SE_iNS9_4plusIvEENS9_8equal_toIiEEiEE10hipError_tPvRmT2_T3_T4_T5_mT6_T7_P12ihipStream_tbENKUlT_T0_E_clISt17integral_constantIbLb1EESZ_EEDaSU_SV_EUlSU_E_NS1_11comp_targetILNS1_3genE3ELNS1_11target_archE908ELNS1_3gpuE7ELNS1_3repE0EEENS1_30default_config_static_selectorELNS0_4arch9wavefront6targetE1EEEvT1_.kd
    .uniform_work_group_size: 1
    .uses_dynamic_stack: false
    .vgpr_count:     0
    .vgpr_spill_count: 0
    .wavefront_size: 64
  - .agpr_count:     0
    .args:
      - .offset:         0
        .size:           112
        .value_kind:     by_value
    .group_segment_fixed_size: 0
    .kernarg_segment_align: 8
    .kernarg_segment_size: 112
    .language:       OpenCL C
    .language_version:
      - 2
      - 0
    .max_flat_workgroup_size: 256
    .name:           _ZN7rocprim17ROCPRIM_400000_NS6detail17trampoline_kernelINS0_14default_configENS1_27scan_by_key_config_selectorIiiEEZZNS1_16scan_by_key_implILNS1_25lookback_scan_determinismE0ELb1ES3_N6thrust23THRUST_200600_302600_NS6detail15normal_iteratorINS9_10device_ptrIiEEEESE_SE_iNS9_4plusIvEENS9_8equal_toIiEEiEE10hipError_tPvRmT2_T3_T4_T5_mT6_T7_P12ihipStream_tbENKUlT_T0_E_clISt17integral_constantIbLb1EESZ_EEDaSU_SV_EUlSU_E_NS1_11comp_targetILNS1_3genE2ELNS1_11target_archE906ELNS1_3gpuE6ELNS1_3repE0EEENS1_30default_config_static_selectorELNS0_4arch9wavefront6targetE1EEEvT1_
    .private_segment_fixed_size: 0
    .sgpr_count:     6
    .sgpr_spill_count: 0
    .symbol:         _ZN7rocprim17ROCPRIM_400000_NS6detail17trampoline_kernelINS0_14default_configENS1_27scan_by_key_config_selectorIiiEEZZNS1_16scan_by_key_implILNS1_25lookback_scan_determinismE0ELb1ES3_N6thrust23THRUST_200600_302600_NS6detail15normal_iteratorINS9_10device_ptrIiEEEESE_SE_iNS9_4plusIvEENS9_8equal_toIiEEiEE10hipError_tPvRmT2_T3_T4_T5_mT6_T7_P12ihipStream_tbENKUlT_T0_E_clISt17integral_constantIbLb1EESZ_EEDaSU_SV_EUlSU_E_NS1_11comp_targetILNS1_3genE2ELNS1_11target_archE906ELNS1_3gpuE6ELNS1_3repE0EEENS1_30default_config_static_selectorELNS0_4arch9wavefront6targetE1EEEvT1_.kd
    .uniform_work_group_size: 1
    .uses_dynamic_stack: false
    .vgpr_count:     0
    .vgpr_spill_count: 0
    .wavefront_size: 64
  - .agpr_count:     0
    .args:
      - .offset:         0
        .size:           112
        .value_kind:     by_value
    .group_segment_fixed_size: 0
    .kernarg_segment_align: 8
    .kernarg_segment_size: 112
    .language:       OpenCL C
    .language_version:
      - 2
      - 0
    .max_flat_workgroup_size: 256
    .name:           _ZN7rocprim17ROCPRIM_400000_NS6detail17trampoline_kernelINS0_14default_configENS1_27scan_by_key_config_selectorIiiEEZZNS1_16scan_by_key_implILNS1_25lookback_scan_determinismE0ELb1ES3_N6thrust23THRUST_200600_302600_NS6detail15normal_iteratorINS9_10device_ptrIiEEEESE_SE_iNS9_4plusIvEENS9_8equal_toIiEEiEE10hipError_tPvRmT2_T3_T4_T5_mT6_T7_P12ihipStream_tbENKUlT_T0_E_clISt17integral_constantIbLb1EESZ_EEDaSU_SV_EUlSU_E_NS1_11comp_targetILNS1_3genE10ELNS1_11target_archE1200ELNS1_3gpuE4ELNS1_3repE0EEENS1_30default_config_static_selectorELNS0_4arch9wavefront6targetE1EEEvT1_
    .private_segment_fixed_size: 0
    .sgpr_count:     6
    .sgpr_spill_count: 0
    .symbol:         _ZN7rocprim17ROCPRIM_400000_NS6detail17trampoline_kernelINS0_14default_configENS1_27scan_by_key_config_selectorIiiEEZZNS1_16scan_by_key_implILNS1_25lookback_scan_determinismE0ELb1ES3_N6thrust23THRUST_200600_302600_NS6detail15normal_iteratorINS9_10device_ptrIiEEEESE_SE_iNS9_4plusIvEENS9_8equal_toIiEEiEE10hipError_tPvRmT2_T3_T4_T5_mT6_T7_P12ihipStream_tbENKUlT_T0_E_clISt17integral_constantIbLb1EESZ_EEDaSU_SV_EUlSU_E_NS1_11comp_targetILNS1_3genE10ELNS1_11target_archE1200ELNS1_3gpuE4ELNS1_3repE0EEENS1_30default_config_static_selectorELNS0_4arch9wavefront6targetE1EEEvT1_.kd
    .uniform_work_group_size: 1
    .uses_dynamic_stack: false
    .vgpr_count:     0
    .vgpr_spill_count: 0
    .wavefront_size: 64
  - .agpr_count:     0
    .args:
      - .offset:         0
        .size:           112
        .value_kind:     by_value
    .group_segment_fixed_size: 0
    .kernarg_segment_align: 8
    .kernarg_segment_size: 112
    .language:       OpenCL C
    .language_version:
      - 2
      - 0
    .max_flat_workgroup_size: 256
    .name:           _ZN7rocprim17ROCPRIM_400000_NS6detail17trampoline_kernelINS0_14default_configENS1_27scan_by_key_config_selectorIiiEEZZNS1_16scan_by_key_implILNS1_25lookback_scan_determinismE0ELb1ES3_N6thrust23THRUST_200600_302600_NS6detail15normal_iteratorINS9_10device_ptrIiEEEESE_SE_iNS9_4plusIvEENS9_8equal_toIiEEiEE10hipError_tPvRmT2_T3_T4_T5_mT6_T7_P12ihipStream_tbENKUlT_T0_E_clISt17integral_constantIbLb1EESZ_EEDaSU_SV_EUlSU_E_NS1_11comp_targetILNS1_3genE9ELNS1_11target_archE1100ELNS1_3gpuE3ELNS1_3repE0EEENS1_30default_config_static_selectorELNS0_4arch9wavefront6targetE1EEEvT1_
    .private_segment_fixed_size: 0
    .sgpr_count:     6
    .sgpr_spill_count: 0
    .symbol:         _ZN7rocprim17ROCPRIM_400000_NS6detail17trampoline_kernelINS0_14default_configENS1_27scan_by_key_config_selectorIiiEEZZNS1_16scan_by_key_implILNS1_25lookback_scan_determinismE0ELb1ES3_N6thrust23THRUST_200600_302600_NS6detail15normal_iteratorINS9_10device_ptrIiEEEESE_SE_iNS9_4plusIvEENS9_8equal_toIiEEiEE10hipError_tPvRmT2_T3_T4_T5_mT6_T7_P12ihipStream_tbENKUlT_T0_E_clISt17integral_constantIbLb1EESZ_EEDaSU_SV_EUlSU_E_NS1_11comp_targetILNS1_3genE9ELNS1_11target_archE1100ELNS1_3gpuE3ELNS1_3repE0EEENS1_30default_config_static_selectorELNS0_4arch9wavefront6targetE1EEEvT1_.kd
    .uniform_work_group_size: 1
    .uses_dynamic_stack: false
    .vgpr_count:     0
    .vgpr_spill_count: 0
    .wavefront_size: 64
  - .agpr_count:     0
    .args:
      - .offset:         0
        .size:           112
        .value_kind:     by_value
    .group_segment_fixed_size: 0
    .kernarg_segment_align: 8
    .kernarg_segment_size: 112
    .language:       OpenCL C
    .language_version:
      - 2
      - 0
    .max_flat_workgroup_size: 256
    .name:           _ZN7rocprim17ROCPRIM_400000_NS6detail17trampoline_kernelINS0_14default_configENS1_27scan_by_key_config_selectorIiiEEZZNS1_16scan_by_key_implILNS1_25lookback_scan_determinismE0ELb1ES3_N6thrust23THRUST_200600_302600_NS6detail15normal_iteratorINS9_10device_ptrIiEEEESE_SE_iNS9_4plusIvEENS9_8equal_toIiEEiEE10hipError_tPvRmT2_T3_T4_T5_mT6_T7_P12ihipStream_tbENKUlT_T0_E_clISt17integral_constantIbLb1EESZ_EEDaSU_SV_EUlSU_E_NS1_11comp_targetILNS1_3genE8ELNS1_11target_archE1030ELNS1_3gpuE2ELNS1_3repE0EEENS1_30default_config_static_selectorELNS0_4arch9wavefront6targetE1EEEvT1_
    .private_segment_fixed_size: 0
    .sgpr_count:     6
    .sgpr_spill_count: 0
    .symbol:         _ZN7rocprim17ROCPRIM_400000_NS6detail17trampoline_kernelINS0_14default_configENS1_27scan_by_key_config_selectorIiiEEZZNS1_16scan_by_key_implILNS1_25lookback_scan_determinismE0ELb1ES3_N6thrust23THRUST_200600_302600_NS6detail15normal_iteratorINS9_10device_ptrIiEEEESE_SE_iNS9_4plusIvEENS9_8equal_toIiEEiEE10hipError_tPvRmT2_T3_T4_T5_mT6_T7_P12ihipStream_tbENKUlT_T0_E_clISt17integral_constantIbLb1EESZ_EEDaSU_SV_EUlSU_E_NS1_11comp_targetILNS1_3genE8ELNS1_11target_archE1030ELNS1_3gpuE2ELNS1_3repE0EEENS1_30default_config_static_selectorELNS0_4arch9wavefront6targetE1EEEvT1_.kd
    .uniform_work_group_size: 1
    .uses_dynamic_stack: false
    .vgpr_count:     0
    .vgpr_spill_count: 0
    .wavefront_size: 64
  - .agpr_count:     0
    .args:
      - .offset:         0
        .size:           112
        .value_kind:     by_value
    .group_segment_fixed_size: 0
    .kernarg_segment_align: 8
    .kernarg_segment_size: 112
    .language:       OpenCL C
    .language_version:
      - 2
      - 0
    .max_flat_workgroup_size: 256
    .name:           _ZN7rocprim17ROCPRIM_400000_NS6detail17trampoline_kernelINS0_14default_configENS1_27scan_by_key_config_selectorIiiEEZZNS1_16scan_by_key_implILNS1_25lookback_scan_determinismE0ELb1ES3_N6thrust23THRUST_200600_302600_NS6detail15normal_iteratorINS9_10device_ptrIiEEEESE_SE_iNS9_4plusIvEENS9_8equal_toIiEEiEE10hipError_tPvRmT2_T3_T4_T5_mT6_T7_P12ihipStream_tbENKUlT_T0_E_clISt17integral_constantIbLb1EESY_IbLb0EEEEDaSU_SV_EUlSU_E_NS1_11comp_targetILNS1_3genE0ELNS1_11target_archE4294967295ELNS1_3gpuE0ELNS1_3repE0EEENS1_30default_config_static_selectorELNS0_4arch9wavefront6targetE1EEEvT1_
    .private_segment_fixed_size: 0
    .sgpr_count:     6
    .sgpr_spill_count: 0
    .symbol:         _ZN7rocprim17ROCPRIM_400000_NS6detail17trampoline_kernelINS0_14default_configENS1_27scan_by_key_config_selectorIiiEEZZNS1_16scan_by_key_implILNS1_25lookback_scan_determinismE0ELb1ES3_N6thrust23THRUST_200600_302600_NS6detail15normal_iteratorINS9_10device_ptrIiEEEESE_SE_iNS9_4plusIvEENS9_8equal_toIiEEiEE10hipError_tPvRmT2_T3_T4_T5_mT6_T7_P12ihipStream_tbENKUlT_T0_E_clISt17integral_constantIbLb1EESY_IbLb0EEEEDaSU_SV_EUlSU_E_NS1_11comp_targetILNS1_3genE0ELNS1_11target_archE4294967295ELNS1_3gpuE0ELNS1_3repE0EEENS1_30default_config_static_selectorELNS0_4arch9wavefront6targetE1EEEvT1_.kd
    .uniform_work_group_size: 1
    .uses_dynamic_stack: false
    .vgpr_count:     0
    .vgpr_spill_count: 0
    .wavefront_size: 64
  - .agpr_count:     0
    .args:
      - .offset:         0
        .size:           112
        .value_kind:     by_value
    .group_segment_fixed_size: 0
    .kernarg_segment_align: 8
    .kernarg_segment_size: 112
    .language:       OpenCL C
    .language_version:
      - 2
      - 0
    .max_flat_workgroup_size: 256
    .name:           _ZN7rocprim17ROCPRIM_400000_NS6detail17trampoline_kernelINS0_14default_configENS1_27scan_by_key_config_selectorIiiEEZZNS1_16scan_by_key_implILNS1_25lookback_scan_determinismE0ELb1ES3_N6thrust23THRUST_200600_302600_NS6detail15normal_iteratorINS9_10device_ptrIiEEEESE_SE_iNS9_4plusIvEENS9_8equal_toIiEEiEE10hipError_tPvRmT2_T3_T4_T5_mT6_T7_P12ihipStream_tbENKUlT_T0_E_clISt17integral_constantIbLb1EESY_IbLb0EEEEDaSU_SV_EUlSU_E_NS1_11comp_targetILNS1_3genE10ELNS1_11target_archE1201ELNS1_3gpuE5ELNS1_3repE0EEENS1_30default_config_static_selectorELNS0_4arch9wavefront6targetE1EEEvT1_
    .private_segment_fixed_size: 0
    .sgpr_count:     6
    .sgpr_spill_count: 0
    .symbol:         _ZN7rocprim17ROCPRIM_400000_NS6detail17trampoline_kernelINS0_14default_configENS1_27scan_by_key_config_selectorIiiEEZZNS1_16scan_by_key_implILNS1_25lookback_scan_determinismE0ELb1ES3_N6thrust23THRUST_200600_302600_NS6detail15normal_iteratorINS9_10device_ptrIiEEEESE_SE_iNS9_4plusIvEENS9_8equal_toIiEEiEE10hipError_tPvRmT2_T3_T4_T5_mT6_T7_P12ihipStream_tbENKUlT_T0_E_clISt17integral_constantIbLb1EESY_IbLb0EEEEDaSU_SV_EUlSU_E_NS1_11comp_targetILNS1_3genE10ELNS1_11target_archE1201ELNS1_3gpuE5ELNS1_3repE0EEENS1_30default_config_static_selectorELNS0_4arch9wavefront6targetE1EEEvT1_.kd
    .uniform_work_group_size: 1
    .uses_dynamic_stack: false
    .vgpr_count:     0
    .vgpr_spill_count: 0
    .wavefront_size: 64
  - .agpr_count:     0
    .args:
      - .offset:         0
        .size:           112
        .value_kind:     by_value
    .group_segment_fixed_size: 25600
    .kernarg_segment_align: 8
    .kernarg_segment_size: 112
    .language:       OpenCL C
    .language_version:
      - 2
      - 0
    .max_flat_workgroup_size: 256
    .name:           _ZN7rocprim17ROCPRIM_400000_NS6detail17trampoline_kernelINS0_14default_configENS1_27scan_by_key_config_selectorIiiEEZZNS1_16scan_by_key_implILNS1_25lookback_scan_determinismE0ELb1ES3_N6thrust23THRUST_200600_302600_NS6detail15normal_iteratorINS9_10device_ptrIiEEEESE_SE_iNS9_4plusIvEENS9_8equal_toIiEEiEE10hipError_tPvRmT2_T3_T4_T5_mT6_T7_P12ihipStream_tbENKUlT_T0_E_clISt17integral_constantIbLb1EESY_IbLb0EEEEDaSU_SV_EUlSU_E_NS1_11comp_targetILNS1_3genE5ELNS1_11target_archE942ELNS1_3gpuE9ELNS1_3repE0EEENS1_30default_config_static_selectorELNS0_4arch9wavefront6targetE1EEEvT1_
    .private_segment_fixed_size: 0
    .sgpr_count:     86
    .sgpr_spill_count: 0
    .symbol:         _ZN7rocprim17ROCPRIM_400000_NS6detail17trampoline_kernelINS0_14default_configENS1_27scan_by_key_config_selectorIiiEEZZNS1_16scan_by_key_implILNS1_25lookback_scan_determinismE0ELb1ES3_N6thrust23THRUST_200600_302600_NS6detail15normal_iteratorINS9_10device_ptrIiEEEESE_SE_iNS9_4plusIvEENS9_8equal_toIiEEiEE10hipError_tPvRmT2_T3_T4_T5_mT6_T7_P12ihipStream_tbENKUlT_T0_E_clISt17integral_constantIbLb1EESY_IbLb0EEEEDaSU_SV_EUlSU_E_NS1_11comp_targetILNS1_3genE5ELNS1_11target_archE942ELNS1_3gpuE9ELNS1_3repE0EEENS1_30default_config_static_selectorELNS0_4arch9wavefront6targetE1EEEvT1_.kd
    .uniform_work_group_size: 1
    .uses_dynamic_stack: false
    .vgpr_count:     81
    .vgpr_spill_count: 0
    .wavefront_size: 64
  - .agpr_count:     0
    .args:
      - .offset:         0
        .size:           112
        .value_kind:     by_value
    .group_segment_fixed_size: 0
    .kernarg_segment_align: 8
    .kernarg_segment_size: 112
    .language:       OpenCL C
    .language_version:
      - 2
      - 0
    .max_flat_workgroup_size: 256
    .name:           _ZN7rocprim17ROCPRIM_400000_NS6detail17trampoline_kernelINS0_14default_configENS1_27scan_by_key_config_selectorIiiEEZZNS1_16scan_by_key_implILNS1_25lookback_scan_determinismE0ELb1ES3_N6thrust23THRUST_200600_302600_NS6detail15normal_iteratorINS9_10device_ptrIiEEEESE_SE_iNS9_4plusIvEENS9_8equal_toIiEEiEE10hipError_tPvRmT2_T3_T4_T5_mT6_T7_P12ihipStream_tbENKUlT_T0_E_clISt17integral_constantIbLb1EESY_IbLb0EEEEDaSU_SV_EUlSU_E_NS1_11comp_targetILNS1_3genE4ELNS1_11target_archE910ELNS1_3gpuE8ELNS1_3repE0EEENS1_30default_config_static_selectorELNS0_4arch9wavefront6targetE1EEEvT1_
    .private_segment_fixed_size: 0
    .sgpr_count:     6
    .sgpr_spill_count: 0
    .symbol:         _ZN7rocprim17ROCPRIM_400000_NS6detail17trampoline_kernelINS0_14default_configENS1_27scan_by_key_config_selectorIiiEEZZNS1_16scan_by_key_implILNS1_25lookback_scan_determinismE0ELb1ES3_N6thrust23THRUST_200600_302600_NS6detail15normal_iteratorINS9_10device_ptrIiEEEESE_SE_iNS9_4plusIvEENS9_8equal_toIiEEiEE10hipError_tPvRmT2_T3_T4_T5_mT6_T7_P12ihipStream_tbENKUlT_T0_E_clISt17integral_constantIbLb1EESY_IbLb0EEEEDaSU_SV_EUlSU_E_NS1_11comp_targetILNS1_3genE4ELNS1_11target_archE910ELNS1_3gpuE8ELNS1_3repE0EEENS1_30default_config_static_selectorELNS0_4arch9wavefront6targetE1EEEvT1_.kd
    .uniform_work_group_size: 1
    .uses_dynamic_stack: false
    .vgpr_count:     0
    .vgpr_spill_count: 0
    .wavefront_size: 64
  - .agpr_count:     0
    .args:
      - .offset:         0
        .size:           112
        .value_kind:     by_value
    .group_segment_fixed_size: 0
    .kernarg_segment_align: 8
    .kernarg_segment_size: 112
    .language:       OpenCL C
    .language_version:
      - 2
      - 0
    .max_flat_workgroup_size: 256
    .name:           _ZN7rocprim17ROCPRIM_400000_NS6detail17trampoline_kernelINS0_14default_configENS1_27scan_by_key_config_selectorIiiEEZZNS1_16scan_by_key_implILNS1_25lookback_scan_determinismE0ELb1ES3_N6thrust23THRUST_200600_302600_NS6detail15normal_iteratorINS9_10device_ptrIiEEEESE_SE_iNS9_4plusIvEENS9_8equal_toIiEEiEE10hipError_tPvRmT2_T3_T4_T5_mT6_T7_P12ihipStream_tbENKUlT_T0_E_clISt17integral_constantIbLb1EESY_IbLb0EEEEDaSU_SV_EUlSU_E_NS1_11comp_targetILNS1_3genE3ELNS1_11target_archE908ELNS1_3gpuE7ELNS1_3repE0EEENS1_30default_config_static_selectorELNS0_4arch9wavefront6targetE1EEEvT1_
    .private_segment_fixed_size: 0
    .sgpr_count:     6
    .sgpr_spill_count: 0
    .symbol:         _ZN7rocprim17ROCPRIM_400000_NS6detail17trampoline_kernelINS0_14default_configENS1_27scan_by_key_config_selectorIiiEEZZNS1_16scan_by_key_implILNS1_25lookback_scan_determinismE0ELb1ES3_N6thrust23THRUST_200600_302600_NS6detail15normal_iteratorINS9_10device_ptrIiEEEESE_SE_iNS9_4plusIvEENS9_8equal_toIiEEiEE10hipError_tPvRmT2_T3_T4_T5_mT6_T7_P12ihipStream_tbENKUlT_T0_E_clISt17integral_constantIbLb1EESY_IbLb0EEEEDaSU_SV_EUlSU_E_NS1_11comp_targetILNS1_3genE3ELNS1_11target_archE908ELNS1_3gpuE7ELNS1_3repE0EEENS1_30default_config_static_selectorELNS0_4arch9wavefront6targetE1EEEvT1_.kd
    .uniform_work_group_size: 1
    .uses_dynamic_stack: false
    .vgpr_count:     0
    .vgpr_spill_count: 0
    .wavefront_size: 64
  - .agpr_count:     0
    .args:
      - .offset:         0
        .size:           112
        .value_kind:     by_value
    .group_segment_fixed_size: 0
    .kernarg_segment_align: 8
    .kernarg_segment_size: 112
    .language:       OpenCL C
    .language_version:
      - 2
      - 0
    .max_flat_workgroup_size: 256
    .name:           _ZN7rocprim17ROCPRIM_400000_NS6detail17trampoline_kernelINS0_14default_configENS1_27scan_by_key_config_selectorIiiEEZZNS1_16scan_by_key_implILNS1_25lookback_scan_determinismE0ELb1ES3_N6thrust23THRUST_200600_302600_NS6detail15normal_iteratorINS9_10device_ptrIiEEEESE_SE_iNS9_4plusIvEENS9_8equal_toIiEEiEE10hipError_tPvRmT2_T3_T4_T5_mT6_T7_P12ihipStream_tbENKUlT_T0_E_clISt17integral_constantIbLb1EESY_IbLb0EEEEDaSU_SV_EUlSU_E_NS1_11comp_targetILNS1_3genE2ELNS1_11target_archE906ELNS1_3gpuE6ELNS1_3repE0EEENS1_30default_config_static_selectorELNS0_4arch9wavefront6targetE1EEEvT1_
    .private_segment_fixed_size: 0
    .sgpr_count:     6
    .sgpr_spill_count: 0
    .symbol:         _ZN7rocprim17ROCPRIM_400000_NS6detail17trampoline_kernelINS0_14default_configENS1_27scan_by_key_config_selectorIiiEEZZNS1_16scan_by_key_implILNS1_25lookback_scan_determinismE0ELb1ES3_N6thrust23THRUST_200600_302600_NS6detail15normal_iteratorINS9_10device_ptrIiEEEESE_SE_iNS9_4plusIvEENS9_8equal_toIiEEiEE10hipError_tPvRmT2_T3_T4_T5_mT6_T7_P12ihipStream_tbENKUlT_T0_E_clISt17integral_constantIbLb1EESY_IbLb0EEEEDaSU_SV_EUlSU_E_NS1_11comp_targetILNS1_3genE2ELNS1_11target_archE906ELNS1_3gpuE6ELNS1_3repE0EEENS1_30default_config_static_selectorELNS0_4arch9wavefront6targetE1EEEvT1_.kd
    .uniform_work_group_size: 1
    .uses_dynamic_stack: false
    .vgpr_count:     0
    .vgpr_spill_count: 0
    .wavefront_size: 64
  - .agpr_count:     0
    .args:
      - .offset:         0
        .size:           112
        .value_kind:     by_value
    .group_segment_fixed_size: 0
    .kernarg_segment_align: 8
    .kernarg_segment_size: 112
    .language:       OpenCL C
    .language_version:
      - 2
      - 0
    .max_flat_workgroup_size: 256
    .name:           _ZN7rocprim17ROCPRIM_400000_NS6detail17trampoline_kernelINS0_14default_configENS1_27scan_by_key_config_selectorIiiEEZZNS1_16scan_by_key_implILNS1_25lookback_scan_determinismE0ELb1ES3_N6thrust23THRUST_200600_302600_NS6detail15normal_iteratorINS9_10device_ptrIiEEEESE_SE_iNS9_4plusIvEENS9_8equal_toIiEEiEE10hipError_tPvRmT2_T3_T4_T5_mT6_T7_P12ihipStream_tbENKUlT_T0_E_clISt17integral_constantIbLb1EESY_IbLb0EEEEDaSU_SV_EUlSU_E_NS1_11comp_targetILNS1_3genE10ELNS1_11target_archE1200ELNS1_3gpuE4ELNS1_3repE0EEENS1_30default_config_static_selectorELNS0_4arch9wavefront6targetE1EEEvT1_
    .private_segment_fixed_size: 0
    .sgpr_count:     6
    .sgpr_spill_count: 0
    .symbol:         _ZN7rocprim17ROCPRIM_400000_NS6detail17trampoline_kernelINS0_14default_configENS1_27scan_by_key_config_selectorIiiEEZZNS1_16scan_by_key_implILNS1_25lookback_scan_determinismE0ELb1ES3_N6thrust23THRUST_200600_302600_NS6detail15normal_iteratorINS9_10device_ptrIiEEEESE_SE_iNS9_4plusIvEENS9_8equal_toIiEEiEE10hipError_tPvRmT2_T3_T4_T5_mT6_T7_P12ihipStream_tbENKUlT_T0_E_clISt17integral_constantIbLb1EESY_IbLb0EEEEDaSU_SV_EUlSU_E_NS1_11comp_targetILNS1_3genE10ELNS1_11target_archE1200ELNS1_3gpuE4ELNS1_3repE0EEENS1_30default_config_static_selectorELNS0_4arch9wavefront6targetE1EEEvT1_.kd
    .uniform_work_group_size: 1
    .uses_dynamic_stack: false
    .vgpr_count:     0
    .vgpr_spill_count: 0
    .wavefront_size: 64
  - .agpr_count:     0
    .args:
      - .offset:         0
        .size:           112
        .value_kind:     by_value
    .group_segment_fixed_size: 0
    .kernarg_segment_align: 8
    .kernarg_segment_size: 112
    .language:       OpenCL C
    .language_version:
      - 2
      - 0
    .max_flat_workgroup_size: 256
    .name:           _ZN7rocprim17ROCPRIM_400000_NS6detail17trampoline_kernelINS0_14default_configENS1_27scan_by_key_config_selectorIiiEEZZNS1_16scan_by_key_implILNS1_25lookback_scan_determinismE0ELb1ES3_N6thrust23THRUST_200600_302600_NS6detail15normal_iteratorINS9_10device_ptrIiEEEESE_SE_iNS9_4plusIvEENS9_8equal_toIiEEiEE10hipError_tPvRmT2_T3_T4_T5_mT6_T7_P12ihipStream_tbENKUlT_T0_E_clISt17integral_constantIbLb1EESY_IbLb0EEEEDaSU_SV_EUlSU_E_NS1_11comp_targetILNS1_3genE9ELNS1_11target_archE1100ELNS1_3gpuE3ELNS1_3repE0EEENS1_30default_config_static_selectorELNS0_4arch9wavefront6targetE1EEEvT1_
    .private_segment_fixed_size: 0
    .sgpr_count:     6
    .sgpr_spill_count: 0
    .symbol:         _ZN7rocprim17ROCPRIM_400000_NS6detail17trampoline_kernelINS0_14default_configENS1_27scan_by_key_config_selectorIiiEEZZNS1_16scan_by_key_implILNS1_25lookback_scan_determinismE0ELb1ES3_N6thrust23THRUST_200600_302600_NS6detail15normal_iteratorINS9_10device_ptrIiEEEESE_SE_iNS9_4plusIvEENS9_8equal_toIiEEiEE10hipError_tPvRmT2_T3_T4_T5_mT6_T7_P12ihipStream_tbENKUlT_T0_E_clISt17integral_constantIbLb1EESY_IbLb0EEEEDaSU_SV_EUlSU_E_NS1_11comp_targetILNS1_3genE9ELNS1_11target_archE1100ELNS1_3gpuE3ELNS1_3repE0EEENS1_30default_config_static_selectorELNS0_4arch9wavefront6targetE1EEEvT1_.kd
    .uniform_work_group_size: 1
    .uses_dynamic_stack: false
    .vgpr_count:     0
    .vgpr_spill_count: 0
    .wavefront_size: 64
  - .agpr_count:     0
    .args:
      - .offset:         0
        .size:           112
        .value_kind:     by_value
    .group_segment_fixed_size: 0
    .kernarg_segment_align: 8
    .kernarg_segment_size: 112
    .language:       OpenCL C
    .language_version:
      - 2
      - 0
    .max_flat_workgroup_size: 256
    .name:           _ZN7rocprim17ROCPRIM_400000_NS6detail17trampoline_kernelINS0_14default_configENS1_27scan_by_key_config_selectorIiiEEZZNS1_16scan_by_key_implILNS1_25lookback_scan_determinismE0ELb1ES3_N6thrust23THRUST_200600_302600_NS6detail15normal_iteratorINS9_10device_ptrIiEEEESE_SE_iNS9_4plusIvEENS9_8equal_toIiEEiEE10hipError_tPvRmT2_T3_T4_T5_mT6_T7_P12ihipStream_tbENKUlT_T0_E_clISt17integral_constantIbLb1EESY_IbLb0EEEEDaSU_SV_EUlSU_E_NS1_11comp_targetILNS1_3genE8ELNS1_11target_archE1030ELNS1_3gpuE2ELNS1_3repE0EEENS1_30default_config_static_selectorELNS0_4arch9wavefront6targetE1EEEvT1_
    .private_segment_fixed_size: 0
    .sgpr_count:     6
    .sgpr_spill_count: 0
    .symbol:         _ZN7rocprim17ROCPRIM_400000_NS6detail17trampoline_kernelINS0_14default_configENS1_27scan_by_key_config_selectorIiiEEZZNS1_16scan_by_key_implILNS1_25lookback_scan_determinismE0ELb1ES3_N6thrust23THRUST_200600_302600_NS6detail15normal_iteratorINS9_10device_ptrIiEEEESE_SE_iNS9_4plusIvEENS9_8equal_toIiEEiEE10hipError_tPvRmT2_T3_T4_T5_mT6_T7_P12ihipStream_tbENKUlT_T0_E_clISt17integral_constantIbLb1EESY_IbLb0EEEEDaSU_SV_EUlSU_E_NS1_11comp_targetILNS1_3genE8ELNS1_11target_archE1030ELNS1_3gpuE2ELNS1_3repE0EEENS1_30default_config_static_selectorELNS0_4arch9wavefront6targetE1EEEvT1_.kd
    .uniform_work_group_size: 1
    .uses_dynamic_stack: false
    .vgpr_count:     0
    .vgpr_spill_count: 0
    .wavefront_size: 64
  - .agpr_count:     0
    .args:
      - .offset:         0
        .size:           112
        .value_kind:     by_value
    .group_segment_fixed_size: 0
    .kernarg_segment_align: 8
    .kernarg_segment_size: 112
    .language:       OpenCL C
    .language_version:
      - 2
      - 0
    .max_flat_workgroup_size: 256
    .name:           _ZN7rocprim17ROCPRIM_400000_NS6detail17trampoline_kernelINS0_14default_configENS1_27scan_by_key_config_selectorIiiEEZZNS1_16scan_by_key_implILNS1_25lookback_scan_determinismE0ELb1ES3_N6thrust23THRUST_200600_302600_NS6detail15normal_iteratorINS9_10device_ptrIiEEEESE_SE_iNS9_4plusIvEENS9_8equal_toIiEEiEE10hipError_tPvRmT2_T3_T4_T5_mT6_T7_P12ihipStream_tbENKUlT_T0_E_clISt17integral_constantIbLb0EESY_IbLb1EEEEDaSU_SV_EUlSU_E_NS1_11comp_targetILNS1_3genE0ELNS1_11target_archE4294967295ELNS1_3gpuE0ELNS1_3repE0EEENS1_30default_config_static_selectorELNS0_4arch9wavefront6targetE1EEEvT1_
    .private_segment_fixed_size: 0
    .sgpr_count:     6
    .sgpr_spill_count: 0
    .symbol:         _ZN7rocprim17ROCPRIM_400000_NS6detail17trampoline_kernelINS0_14default_configENS1_27scan_by_key_config_selectorIiiEEZZNS1_16scan_by_key_implILNS1_25lookback_scan_determinismE0ELb1ES3_N6thrust23THRUST_200600_302600_NS6detail15normal_iteratorINS9_10device_ptrIiEEEESE_SE_iNS9_4plusIvEENS9_8equal_toIiEEiEE10hipError_tPvRmT2_T3_T4_T5_mT6_T7_P12ihipStream_tbENKUlT_T0_E_clISt17integral_constantIbLb0EESY_IbLb1EEEEDaSU_SV_EUlSU_E_NS1_11comp_targetILNS1_3genE0ELNS1_11target_archE4294967295ELNS1_3gpuE0ELNS1_3repE0EEENS1_30default_config_static_selectorELNS0_4arch9wavefront6targetE1EEEvT1_.kd
    .uniform_work_group_size: 1
    .uses_dynamic_stack: false
    .vgpr_count:     0
    .vgpr_spill_count: 0
    .wavefront_size: 64
  - .agpr_count:     0
    .args:
      - .offset:         0
        .size:           112
        .value_kind:     by_value
    .group_segment_fixed_size: 0
    .kernarg_segment_align: 8
    .kernarg_segment_size: 112
    .language:       OpenCL C
    .language_version:
      - 2
      - 0
    .max_flat_workgroup_size: 256
    .name:           _ZN7rocprim17ROCPRIM_400000_NS6detail17trampoline_kernelINS0_14default_configENS1_27scan_by_key_config_selectorIiiEEZZNS1_16scan_by_key_implILNS1_25lookback_scan_determinismE0ELb1ES3_N6thrust23THRUST_200600_302600_NS6detail15normal_iteratorINS9_10device_ptrIiEEEESE_SE_iNS9_4plusIvEENS9_8equal_toIiEEiEE10hipError_tPvRmT2_T3_T4_T5_mT6_T7_P12ihipStream_tbENKUlT_T0_E_clISt17integral_constantIbLb0EESY_IbLb1EEEEDaSU_SV_EUlSU_E_NS1_11comp_targetILNS1_3genE10ELNS1_11target_archE1201ELNS1_3gpuE5ELNS1_3repE0EEENS1_30default_config_static_selectorELNS0_4arch9wavefront6targetE1EEEvT1_
    .private_segment_fixed_size: 0
    .sgpr_count:     6
    .sgpr_spill_count: 0
    .symbol:         _ZN7rocprim17ROCPRIM_400000_NS6detail17trampoline_kernelINS0_14default_configENS1_27scan_by_key_config_selectorIiiEEZZNS1_16scan_by_key_implILNS1_25lookback_scan_determinismE0ELb1ES3_N6thrust23THRUST_200600_302600_NS6detail15normal_iteratorINS9_10device_ptrIiEEEESE_SE_iNS9_4plusIvEENS9_8equal_toIiEEiEE10hipError_tPvRmT2_T3_T4_T5_mT6_T7_P12ihipStream_tbENKUlT_T0_E_clISt17integral_constantIbLb0EESY_IbLb1EEEEDaSU_SV_EUlSU_E_NS1_11comp_targetILNS1_3genE10ELNS1_11target_archE1201ELNS1_3gpuE5ELNS1_3repE0EEENS1_30default_config_static_selectorELNS0_4arch9wavefront6targetE1EEEvT1_.kd
    .uniform_work_group_size: 1
    .uses_dynamic_stack: false
    .vgpr_count:     0
    .vgpr_spill_count: 0
    .wavefront_size: 64
  - .agpr_count:     0
    .args:
      - .offset:         0
        .size:           112
        .value_kind:     by_value
    .group_segment_fixed_size: 25600
    .kernarg_segment_align: 8
    .kernarg_segment_size: 112
    .language:       OpenCL C
    .language_version:
      - 2
      - 0
    .max_flat_workgroup_size: 256
    .name:           _ZN7rocprim17ROCPRIM_400000_NS6detail17trampoline_kernelINS0_14default_configENS1_27scan_by_key_config_selectorIiiEEZZNS1_16scan_by_key_implILNS1_25lookback_scan_determinismE0ELb1ES3_N6thrust23THRUST_200600_302600_NS6detail15normal_iteratorINS9_10device_ptrIiEEEESE_SE_iNS9_4plusIvEENS9_8equal_toIiEEiEE10hipError_tPvRmT2_T3_T4_T5_mT6_T7_P12ihipStream_tbENKUlT_T0_E_clISt17integral_constantIbLb0EESY_IbLb1EEEEDaSU_SV_EUlSU_E_NS1_11comp_targetILNS1_3genE5ELNS1_11target_archE942ELNS1_3gpuE9ELNS1_3repE0EEENS1_30default_config_static_selectorELNS0_4arch9wavefront6targetE1EEEvT1_
    .private_segment_fixed_size: 0
    .sgpr_count:     86
    .sgpr_spill_count: 0
    .symbol:         _ZN7rocprim17ROCPRIM_400000_NS6detail17trampoline_kernelINS0_14default_configENS1_27scan_by_key_config_selectorIiiEEZZNS1_16scan_by_key_implILNS1_25lookback_scan_determinismE0ELb1ES3_N6thrust23THRUST_200600_302600_NS6detail15normal_iteratorINS9_10device_ptrIiEEEESE_SE_iNS9_4plusIvEENS9_8equal_toIiEEiEE10hipError_tPvRmT2_T3_T4_T5_mT6_T7_P12ihipStream_tbENKUlT_T0_E_clISt17integral_constantIbLb0EESY_IbLb1EEEEDaSU_SV_EUlSU_E_NS1_11comp_targetILNS1_3genE5ELNS1_11target_archE942ELNS1_3gpuE9ELNS1_3repE0EEENS1_30default_config_static_selectorELNS0_4arch9wavefront6targetE1EEEvT1_.kd
    .uniform_work_group_size: 1
    .uses_dynamic_stack: false
    .vgpr_count:     83
    .vgpr_spill_count: 0
    .wavefront_size: 64
  - .agpr_count:     0
    .args:
      - .offset:         0
        .size:           112
        .value_kind:     by_value
    .group_segment_fixed_size: 0
    .kernarg_segment_align: 8
    .kernarg_segment_size: 112
    .language:       OpenCL C
    .language_version:
      - 2
      - 0
    .max_flat_workgroup_size: 256
    .name:           _ZN7rocprim17ROCPRIM_400000_NS6detail17trampoline_kernelINS0_14default_configENS1_27scan_by_key_config_selectorIiiEEZZNS1_16scan_by_key_implILNS1_25lookback_scan_determinismE0ELb1ES3_N6thrust23THRUST_200600_302600_NS6detail15normal_iteratorINS9_10device_ptrIiEEEESE_SE_iNS9_4plusIvEENS9_8equal_toIiEEiEE10hipError_tPvRmT2_T3_T4_T5_mT6_T7_P12ihipStream_tbENKUlT_T0_E_clISt17integral_constantIbLb0EESY_IbLb1EEEEDaSU_SV_EUlSU_E_NS1_11comp_targetILNS1_3genE4ELNS1_11target_archE910ELNS1_3gpuE8ELNS1_3repE0EEENS1_30default_config_static_selectorELNS0_4arch9wavefront6targetE1EEEvT1_
    .private_segment_fixed_size: 0
    .sgpr_count:     6
    .sgpr_spill_count: 0
    .symbol:         _ZN7rocprim17ROCPRIM_400000_NS6detail17trampoline_kernelINS0_14default_configENS1_27scan_by_key_config_selectorIiiEEZZNS1_16scan_by_key_implILNS1_25lookback_scan_determinismE0ELb1ES3_N6thrust23THRUST_200600_302600_NS6detail15normal_iteratorINS9_10device_ptrIiEEEESE_SE_iNS9_4plusIvEENS9_8equal_toIiEEiEE10hipError_tPvRmT2_T3_T4_T5_mT6_T7_P12ihipStream_tbENKUlT_T0_E_clISt17integral_constantIbLb0EESY_IbLb1EEEEDaSU_SV_EUlSU_E_NS1_11comp_targetILNS1_3genE4ELNS1_11target_archE910ELNS1_3gpuE8ELNS1_3repE0EEENS1_30default_config_static_selectorELNS0_4arch9wavefront6targetE1EEEvT1_.kd
    .uniform_work_group_size: 1
    .uses_dynamic_stack: false
    .vgpr_count:     0
    .vgpr_spill_count: 0
    .wavefront_size: 64
  - .agpr_count:     0
    .args:
      - .offset:         0
        .size:           112
        .value_kind:     by_value
    .group_segment_fixed_size: 0
    .kernarg_segment_align: 8
    .kernarg_segment_size: 112
    .language:       OpenCL C
    .language_version:
      - 2
      - 0
    .max_flat_workgroup_size: 256
    .name:           _ZN7rocprim17ROCPRIM_400000_NS6detail17trampoline_kernelINS0_14default_configENS1_27scan_by_key_config_selectorIiiEEZZNS1_16scan_by_key_implILNS1_25lookback_scan_determinismE0ELb1ES3_N6thrust23THRUST_200600_302600_NS6detail15normal_iteratorINS9_10device_ptrIiEEEESE_SE_iNS9_4plusIvEENS9_8equal_toIiEEiEE10hipError_tPvRmT2_T3_T4_T5_mT6_T7_P12ihipStream_tbENKUlT_T0_E_clISt17integral_constantIbLb0EESY_IbLb1EEEEDaSU_SV_EUlSU_E_NS1_11comp_targetILNS1_3genE3ELNS1_11target_archE908ELNS1_3gpuE7ELNS1_3repE0EEENS1_30default_config_static_selectorELNS0_4arch9wavefront6targetE1EEEvT1_
    .private_segment_fixed_size: 0
    .sgpr_count:     6
    .sgpr_spill_count: 0
    .symbol:         _ZN7rocprim17ROCPRIM_400000_NS6detail17trampoline_kernelINS0_14default_configENS1_27scan_by_key_config_selectorIiiEEZZNS1_16scan_by_key_implILNS1_25lookback_scan_determinismE0ELb1ES3_N6thrust23THRUST_200600_302600_NS6detail15normal_iteratorINS9_10device_ptrIiEEEESE_SE_iNS9_4plusIvEENS9_8equal_toIiEEiEE10hipError_tPvRmT2_T3_T4_T5_mT6_T7_P12ihipStream_tbENKUlT_T0_E_clISt17integral_constantIbLb0EESY_IbLb1EEEEDaSU_SV_EUlSU_E_NS1_11comp_targetILNS1_3genE3ELNS1_11target_archE908ELNS1_3gpuE7ELNS1_3repE0EEENS1_30default_config_static_selectorELNS0_4arch9wavefront6targetE1EEEvT1_.kd
    .uniform_work_group_size: 1
    .uses_dynamic_stack: false
    .vgpr_count:     0
    .vgpr_spill_count: 0
    .wavefront_size: 64
  - .agpr_count:     0
    .args:
      - .offset:         0
        .size:           112
        .value_kind:     by_value
    .group_segment_fixed_size: 0
    .kernarg_segment_align: 8
    .kernarg_segment_size: 112
    .language:       OpenCL C
    .language_version:
      - 2
      - 0
    .max_flat_workgroup_size: 256
    .name:           _ZN7rocprim17ROCPRIM_400000_NS6detail17trampoline_kernelINS0_14default_configENS1_27scan_by_key_config_selectorIiiEEZZNS1_16scan_by_key_implILNS1_25lookback_scan_determinismE0ELb1ES3_N6thrust23THRUST_200600_302600_NS6detail15normal_iteratorINS9_10device_ptrIiEEEESE_SE_iNS9_4plusIvEENS9_8equal_toIiEEiEE10hipError_tPvRmT2_T3_T4_T5_mT6_T7_P12ihipStream_tbENKUlT_T0_E_clISt17integral_constantIbLb0EESY_IbLb1EEEEDaSU_SV_EUlSU_E_NS1_11comp_targetILNS1_3genE2ELNS1_11target_archE906ELNS1_3gpuE6ELNS1_3repE0EEENS1_30default_config_static_selectorELNS0_4arch9wavefront6targetE1EEEvT1_
    .private_segment_fixed_size: 0
    .sgpr_count:     6
    .sgpr_spill_count: 0
    .symbol:         _ZN7rocprim17ROCPRIM_400000_NS6detail17trampoline_kernelINS0_14default_configENS1_27scan_by_key_config_selectorIiiEEZZNS1_16scan_by_key_implILNS1_25lookback_scan_determinismE0ELb1ES3_N6thrust23THRUST_200600_302600_NS6detail15normal_iteratorINS9_10device_ptrIiEEEESE_SE_iNS9_4plusIvEENS9_8equal_toIiEEiEE10hipError_tPvRmT2_T3_T4_T5_mT6_T7_P12ihipStream_tbENKUlT_T0_E_clISt17integral_constantIbLb0EESY_IbLb1EEEEDaSU_SV_EUlSU_E_NS1_11comp_targetILNS1_3genE2ELNS1_11target_archE906ELNS1_3gpuE6ELNS1_3repE0EEENS1_30default_config_static_selectorELNS0_4arch9wavefront6targetE1EEEvT1_.kd
    .uniform_work_group_size: 1
    .uses_dynamic_stack: false
    .vgpr_count:     0
    .vgpr_spill_count: 0
    .wavefront_size: 64
  - .agpr_count:     0
    .args:
      - .offset:         0
        .size:           112
        .value_kind:     by_value
    .group_segment_fixed_size: 0
    .kernarg_segment_align: 8
    .kernarg_segment_size: 112
    .language:       OpenCL C
    .language_version:
      - 2
      - 0
    .max_flat_workgroup_size: 256
    .name:           _ZN7rocprim17ROCPRIM_400000_NS6detail17trampoline_kernelINS0_14default_configENS1_27scan_by_key_config_selectorIiiEEZZNS1_16scan_by_key_implILNS1_25lookback_scan_determinismE0ELb1ES3_N6thrust23THRUST_200600_302600_NS6detail15normal_iteratorINS9_10device_ptrIiEEEESE_SE_iNS9_4plusIvEENS9_8equal_toIiEEiEE10hipError_tPvRmT2_T3_T4_T5_mT6_T7_P12ihipStream_tbENKUlT_T0_E_clISt17integral_constantIbLb0EESY_IbLb1EEEEDaSU_SV_EUlSU_E_NS1_11comp_targetILNS1_3genE10ELNS1_11target_archE1200ELNS1_3gpuE4ELNS1_3repE0EEENS1_30default_config_static_selectorELNS0_4arch9wavefront6targetE1EEEvT1_
    .private_segment_fixed_size: 0
    .sgpr_count:     6
    .sgpr_spill_count: 0
    .symbol:         _ZN7rocprim17ROCPRIM_400000_NS6detail17trampoline_kernelINS0_14default_configENS1_27scan_by_key_config_selectorIiiEEZZNS1_16scan_by_key_implILNS1_25lookback_scan_determinismE0ELb1ES3_N6thrust23THRUST_200600_302600_NS6detail15normal_iteratorINS9_10device_ptrIiEEEESE_SE_iNS9_4plusIvEENS9_8equal_toIiEEiEE10hipError_tPvRmT2_T3_T4_T5_mT6_T7_P12ihipStream_tbENKUlT_T0_E_clISt17integral_constantIbLb0EESY_IbLb1EEEEDaSU_SV_EUlSU_E_NS1_11comp_targetILNS1_3genE10ELNS1_11target_archE1200ELNS1_3gpuE4ELNS1_3repE0EEENS1_30default_config_static_selectorELNS0_4arch9wavefront6targetE1EEEvT1_.kd
    .uniform_work_group_size: 1
    .uses_dynamic_stack: false
    .vgpr_count:     0
    .vgpr_spill_count: 0
    .wavefront_size: 64
  - .agpr_count:     0
    .args:
      - .offset:         0
        .size:           112
        .value_kind:     by_value
    .group_segment_fixed_size: 0
    .kernarg_segment_align: 8
    .kernarg_segment_size: 112
    .language:       OpenCL C
    .language_version:
      - 2
      - 0
    .max_flat_workgroup_size: 256
    .name:           _ZN7rocprim17ROCPRIM_400000_NS6detail17trampoline_kernelINS0_14default_configENS1_27scan_by_key_config_selectorIiiEEZZNS1_16scan_by_key_implILNS1_25lookback_scan_determinismE0ELb1ES3_N6thrust23THRUST_200600_302600_NS6detail15normal_iteratorINS9_10device_ptrIiEEEESE_SE_iNS9_4plusIvEENS9_8equal_toIiEEiEE10hipError_tPvRmT2_T3_T4_T5_mT6_T7_P12ihipStream_tbENKUlT_T0_E_clISt17integral_constantIbLb0EESY_IbLb1EEEEDaSU_SV_EUlSU_E_NS1_11comp_targetILNS1_3genE9ELNS1_11target_archE1100ELNS1_3gpuE3ELNS1_3repE0EEENS1_30default_config_static_selectorELNS0_4arch9wavefront6targetE1EEEvT1_
    .private_segment_fixed_size: 0
    .sgpr_count:     6
    .sgpr_spill_count: 0
    .symbol:         _ZN7rocprim17ROCPRIM_400000_NS6detail17trampoline_kernelINS0_14default_configENS1_27scan_by_key_config_selectorIiiEEZZNS1_16scan_by_key_implILNS1_25lookback_scan_determinismE0ELb1ES3_N6thrust23THRUST_200600_302600_NS6detail15normal_iteratorINS9_10device_ptrIiEEEESE_SE_iNS9_4plusIvEENS9_8equal_toIiEEiEE10hipError_tPvRmT2_T3_T4_T5_mT6_T7_P12ihipStream_tbENKUlT_T0_E_clISt17integral_constantIbLb0EESY_IbLb1EEEEDaSU_SV_EUlSU_E_NS1_11comp_targetILNS1_3genE9ELNS1_11target_archE1100ELNS1_3gpuE3ELNS1_3repE0EEENS1_30default_config_static_selectorELNS0_4arch9wavefront6targetE1EEEvT1_.kd
    .uniform_work_group_size: 1
    .uses_dynamic_stack: false
    .vgpr_count:     0
    .vgpr_spill_count: 0
    .wavefront_size: 64
  - .agpr_count:     0
    .args:
      - .offset:         0
        .size:           112
        .value_kind:     by_value
    .group_segment_fixed_size: 0
    .kernarg_segment_align: 8
    .kernarg_segment_size: 112
    .language:       OpenCL C
    .language_version:
      - 2
      - 0
    .max_flat_workgroup_size: 256
    .name:           _ZN7rocprim17ROCPRIM_400000_NS6detail17trampoline_kernelINS0_14default_configENS1_27scan_by_key_config_selectorIiiEEZZNS1_16scan_by_key_implILNS1_25lookback_scan_determinismE0ELb1ES3_N6thrust23THRUST_200600_302600_NS6detail15normal_iteratorINS9_10device_ptrIiEEEESE_SE_iNS9_4plusIvEENS9_8equal_toIiEEiEE10hipError_tPvRmT2_T3_T4_T5_mT6_T7_P12ihipStream_tbENKUlT_T0_E_clISt17integral_constantIbLb0EESY_IbLb1EEEEDaSU_SV_EUlSU_E_NS1_11comp_targetILNS1_3genE8ELNS1_11target_archE1030ELNS1_3gpuE2ELNS1_3repE0EEENS1_30default_config_static_selectorELNS0_4arch9wavefront6targetE1EEEvT1_
    .private_segment_fixed_size: 0
    .sgpr_count:     6
    .sgpr_spill_count: 0
    .symbol:         _ZN7rocprim17ROCPRIM_400000_NS6detail17trampoline_kernelINS0_14default_configENS1_27scan_by_key_config_selectorIiiEEZZNS1_16scan_by_key_implILNS1_25lookback_scan_determinismE0ELb1ES3_N6thrust23THRUST_200600_302600_NS6detail15normal_iteratorINS9_10device_ptrIiEEEESE_SE_iNS9_4plusIvEENS9_8equal_toIiEEiEE10hipError_tPvRmT2_T3_T4_T5_mT6_T7_P12ihipStream_tbENKUlT_T0_E_clISt17integral_constantIbLb0EESY_IbLb1EEEEDaSU_SV_EUlSU_E_NS1_11comp_targetILNS1_3genE8ELNS1_11target_archE1030ELNS1_3gpuE2ELNS1_3repE0EEENS1_30default_config_static_selectorELNS0_4arch9wavefront6targetE1EEEvT1_.kd
    .uniform_work_group_size: 1
    .uses_dynamic_stack: false
    .vgpr_count:     0
    .vgpr_spill_count: 0
    .wavefront_size: 64
  - .agpr_count:     0
    .args:
      - .offset:         0
        .size:           112
        .value_kind:     by_value
    .group_segment_fixed_size: 0
    .kernarg_segment_align: 8
    .kernarg_segment_size: 112
    .language:       OpenCL C
    .language_version:
      - 2
      - 0
    .max_flat_workgroup_size: 256
    .name:           _ZN7rocprim17ROCPRIM_400000_NS6detail17trampoline_kernelINS0_14default_configENS1_27scan_by_key_config_selectorIssEEZZNS1_16scan_by_key_implILNS1_25lookback_scan_determinismE0ELb1ES3_N6thrust23THRUST_200600_302600_NS6detail15normal_iteratorINS9_10device_ptrIsEEEESE_SE_sNS9_4plusIvEENS9_8equal_toIvEEsEE10hipError_tPvRmT2_T3_T4_T5_mT6_T7_P12ihipStream_tbENKUlT_T0_E_clISt17integral_constantIbLb0EESZ_EEDaSU_SV_EUlSU_E_NS1_11comp_targetILNS1_3genE0ELNS1_11target_archE4294967295ELNS1_3gpuE0ELNS1_3repE0EEENS1_30default_config_static_selectorELNS0_4arch9wavefront6targetE1EEEvT1_
    .private_segment_fixed_size: 0
    .sgpr_count:     6
    .sgpr_spill_count: 0
    .symbol:         _ZN7rocprim17ROCPRIM_400000_NS6detail17trampoline_kernelINS0_14default_configENS1_27scan_by_key_config_selectorIssEEZZNS1_16scan_by_key_implILNS1_25lookback_scan_determinismE0ELb1ES3_N6thrust23THRUST_200600_302600_NS6detail15normal_iteratorINS9_10device_ptrIsEEEESE_SE_sNS9_4plusIvEENS9_8equal_toIvEEsEE10hipError_tPvRmT2_T3_T4_T5_mT6_T7_P12ihipStream_tbENKUlT_T0_E_clISt17integral_constantIbLb0EESZ_EEDaSU_SV_EUlSU_E_NS1_11comp_targetILNS1_3genE0ELNS1_11target_archE4294967295ELNS1_3gpuE0ELNS1_3repE0EEENS1_30default_config_static_selectorELNS0_4arch9wavefront6targetE1EEEvT1_.kd
    .uniform_work_group_size: 1
    .uses_dynamic_stack: false
    .vgpr_count:     0
    .vgpr_spill_count: 0
    .wavefront_size: 64
  - .agpr_count:     0
    .args:
      - .offset:         0
        .size:           112
        .value_kind:     by_value
    .group_segment_fixed_size: 0
    .kernarg_segment_align: 8
    .kernarg_segment_size: 112
    .language:       OpenCL C
    .language_version:
      - 2
      - 0
    .max_flat_workgroup_size: 128
    .name:           _ZN7rocprim17ROCPRIM_400000_NS6detail17trampoline_kernelINS0_14default_configENS1_27scan_by_key_config_selectorIssEEZZNS1_16scan_by_key_implILNS1_25lookback_scan_determinismE0ELb1ES3_N6thrust23THRUST_200600_302600_NS6detail15normal_iteratorINS9_10device_ptrIsEEEESE_SE_sNS9_4plusIvEENS9_8equal_toIvEEsEE10hipError_tPvRmT2_T3_T4_T5_mT6_T7_P12ihipStream_tbENKUlT_T0_E_clISt17integral_constantIbLb0EESZ_EEDaSU_SV_EUlSU_E_NS1_11comp_targetILNS1_3genE10ELNS1_11target_archE1201ELNS1_3gpuE5ELNS1_3repE0EEENS1_30default_config_static_selectorELNS0_4arch9wavefront6targetE1EEEvT1_
    .private_segment_fixed_size: 0
    .sgpr_count:     6
    .sgpr_spill_count: 0
    .symbol:         _ZN7rocprim17ROCPRIM_400000_NS6detail17trampoline_kernelINS0_14default_configENS1_27scan_by_key_config_selectorIssEEZZNS1_16scan_by_key_implILNS1_25lookback_scan_determinismE0ELb1ES3_N6thrust23THRUST_200600_302600_NS6detail15normal_iteratorINS9_10device_ptrIsEEEESE_SE_sNS9_4plusIvEENS9_8equal_toIvEEsEE10hipError_tPvRmT2_T3_T4_T5_mT6_T7_P12ihipStream_tbENKUlT_T0_E_clISt17integral_constantIbLb0EESZ_EEDaSU_SV_EUlSU_E_NS1_11comp_targetILNS1_3genE10ELNS1_11target_archE1201ELNS1_3gpuE5ELNS1_3repE0EEENS1_30default_config_static_selectorELNS0_4arch9wavefront6targetE1EEEvT1_.kd
    .uniform_work_group_size: 1
    .uses_dynamic_stack: false
    .vgpr_count:     0
    .vgpr_spill_count: 0
    .wavefront_size: 64
  - .agpr_count:     0
    .args:
      - .offset:         0
        .size:           112
        .value_kind:     by_value
    .group_segment_fixed_size: 13312
    .kernarg_segment_align: 8
    .kernarg_segment_size: 112
    .language:       OpenCL C
    .language_version:
      - 2
      - 0
    .max_flat_workgroup_size: 256
    .name:           _ZN7rocprim17ROCPRIM_400000_NS6detail17trampoline_kernelINS0_14default_configENS1_27scan_by_key_config_selectorIssEEZZNS1_16scan_by_key_implILNS1_25lookback_scan_determinismE0ELb1ES3_N6thrust23THRUST_200600_302600_NS6detail15normal_iteratorINS9_10device_ptrIsEEEESE_SE_sNS9_4plusIvEENS9_8equal_toIvEEsEE10hipError_tPvRmT2_T3_T4_T5_mT6_T7_P12ihipStream_tbENKUlT_T0_E_clISt17integral_constantIbLb0EESZ_EEDaSU_SV_EUlSU_E_NS1_11comp_targetILNS1_3genE5ELNS1_11target_archE942ELNS1_3gpuE9ELNS1_3repE0EEENS1_30default_config_static_selectorELNS0_4arch9wavefront6targetE1EEEvT1_
    .private_segment_fixed_size: 0
    .sgpr_count:     85
    .sgpr_spill_count: 0
    .symbol:         _ZN7rocprim17ROCPRIM_400000_NS6detail17trampoline_kernelINS0_14default_configENS1_27scan_by_key_config_selectorIssEEZZNS1_16scan_by_key_implILNS1_25lookback_scan_determinismE0ELb1ES3_N6thrust23THRUST_200600_302600_NS6detail15normal_iteratorINS9_10device_ptrIsEEEESE_SE_sNS9_4plusIvEENS9_8equal_toIvEEsEE10hipError_tPvRmT2_T3_T4_T5_mT6_T7_P12ihipStream_tbENKUlT_T0_E_clISt17integral_constantIbLb0EESZ_EEDaSU_SV_EUlSU_E_NS1_11comp_targetILNS1_3genE5ELNS1_11target_archE942ELNS1_3gpuE9ELNS1_3repE0EEENS1_30default_config_static_selectorELNS0_4arch9wavefront6targetE1EEEvT1_.kd
    .uniform_work_group_size: 1
    .uses_dynamic_stack: false
    .vgpr_count:     60
    .vgpr_spill_count: 0
    .wavefront_size: 64
  - .agpr_count:     0
    .args:
      - .offset:         0
        .size:           112
        .value_kind:     by_value
    .group_segment_fixed_size: 0
    .kernarg_segment_align: 8
    .kernarg_segment_size: 112
    .language:       OpenCL C
    .language_version:
      - 2
      - 0
    .max_flat_workgroup_size: 256
    .name:           _ZN7rocprim17ROCPRIM_400000_NS6detail17trampoline_kernelINS0_14default_configENS1_27scan_by_key_config_selectorIssEEZZNS1_16scan_by_key_implILNS1_25lookback_scan_determinismE0ELb1ES3_N6thrust23THRUST_200600_302600_NS6detail15normal_iteratorINS9_10device_ptrIsEEEESE_SE_sNS9_4plusIvEENS9_8equal_toIvEEsEE10hipError_tPvRmT2_T3_T4_T5_mT6_T7_P12ihipStream_tbENKUlT_T0_E_clISt17integral_constantIbLb0EESZ_EEDaSU_SV_EUlSU_E_NS1_11comp_targetILNS1_3genE4ELNS1_11target_archE910ELNS1_3gpuE8ELNS1_3repE0EEENS1_30default_config_static_selectorELNS0_4arch9wavefront6targetE1EEEvT1_
    .private_segment_fixed_size: 0
    .sgpr_count:     6
    .sgpr_spill_count: 0
    .symbol:         _ZN7rocprim17ROCPRIM_400000_NS6detail17trampoline_kernelINS0_14default_configENS1_27scan_by_key_config_selectorIssEEZZNS1_16scan_by_key_implILNS1_25lookback_scan_determinismE0ELb1ES3_N6thrust23THRUST_200600_302600_NS6detail15normal_iteratorINS9_10device_ptrIsEEEESE_SE_sNS9_4plusIvEENS9_8equal_toIvEEsEE10hipError_tPvRmT2_T3_T4_T5_mT6_T7_P12ihipStream_tbENKUlT_T0_E_clISt17integral_constantIbLb0EESZ_EEDaSU_SV_EUlSU_E_NS1_11comp_targetILNS1_3genE4ELNS1_11target_archE910ELNS1_3gpuE8ELNS1_3repE0EEENS1_30default_config_static_selectorELNS0_4arch9wavefront6targetE1EEEvT1_.kd
    .uniform_work_group_size: 1
    .uses_dynamic_stack: false
    .vgpr_count:     0
    .vgpr_spill_count: 0
    .wavefront_size: 64
  - .agpr_count:     0
    .args:
      - .offset:         0
        .size:           112
        .value_kind:     by_value
    .group_segment_fixed_size: 0
    .kernarg_segment_align: 8
    .kernarg_segment_size: 112
    .language:       OpenCL C
    .language_version:
      - 2
      - 0
    .max_flat_workgroup_size: 256
    .name:           _ZN7rocprim17ROCPRIM_400000_NS6detail17trampoline_kernelINS0_14default_configENS1_27scan_by_key_config_selectorIssEEZZNS1_16scan_by_key_implILNS1_25lookback_scan_determinismE0ELb1ES3_N6thrust23THRUST_200600_302600_NS6detail15normal_iteratorINS9_10device_ptrIsEEEESE_SE_sNS9_4plusIvEENS9_8equal_toIvEEsEE10hipError_tPvRmT2_T3_T4_T5_mT6_T7_P12ihipStream_tbENKUlT_T0_E_clISt17integral_constantIbLb0EESZ_EEDaSU_SV_EUlSU_E_NS1_11comp_targetILNS1_3genE3ELNS1_11target_archE908ELNS1_3gpuE7ELNS1_3repE0EEENS1_30default_config_static_selectorELNS0_4arch9wavefront6targetE1EEEvT1_
    .private_segment_fixed_size: 0
    .sgpr_count:     6
    .sgpr_spill_count: 0
    .symbol:         _ZN7rocprim17ROCPRIM_400000_NS6detail17trampoline_kernelINS0_14default_configENS1_27scan_by_key_config_selectorIssEEZZNS1_16scan_by_key_implILNS1_25lookback_scan_determinismE0ELb1ES3_N6thrust23THRUST_200600_302600_NS6detail15normal_iteratorINS9_10device_ptrIsEEEESE_SE_sNS9_4plusIvEENS9_8equal_toIvEEsEE10hipError_tPvRmT2_T3_T4_T5_mT6_T7_P12ihipStream_tbENKUlT_T0_E_clISt17integral_constantIbLb0EESZ_EEDaSU_SV_EUlSU_E_NS1_11comp_targetILNS1_3genE3ELNS1_11target_archE908ELNS1_3gpuE7ELNS1_3repE0EEENS1_30default_config_static_selectorELNS0_4arch9wavefront6targetE1EEEvT1_.kd
    .uniform_work_group_size: 1
    .uses_dynamic_stack: false
    .vgpr_count:     0
    .vgpr_spill_count: 0
    .wavefront_size: 64
  - .agpr_count:     0
    .args:
      - .offset:         0
        .size:           112
        .value_kind:     by_value
    .group_segment_fixed_size: 0
    .kernarg_segment_align: 8
    .kernarg_segment_size: 112
    .language:       OpenCL C
    .language_version:
      - 2
      - 0
    .max_flat_workgroup_size: 64
    .name:           _ZN7rocprim17ROCPRIM_400000_NS6detail17trampoline_kernelINS0_14default_configENS1_27scan_by_key_config_selectorIssEEZZNS1_16scan_by_key_implILNS1_25lookback_scan_determinismE0ELb1ES3_N6thrust23THRUST_200600_302600_NS6detail15normal_iteratorINS9_10device_ptrIsEEEESE_SE_sNS9_4plusIvEENS9_8equal_toIvEEsEE10hipError_tPvRmT2_T3_T4_T5_mT6_T7_P12ihipStream_tbENKUlT_T0_E_clISt17integral_constantIbLb0EESZ_EEDaSU_SV_EUlSU_E_NS1_11comp_targetILNS1_3genE2ELNS1_11target_archE906ELNS1_3gpuE6ELNS1_3repE0EEENS1_30default_config_static_selectorELNS0_4arch9wavefront6targetE1EEEvT1_
    .private_segment_fixed_size: 0
    .sgpr_count:     6
    .sgpr_spill_count: 0
    .symbol:         _ZN7rocprim17ROCPRIM_400000_NS6detail17trampoline_kernelINS0_14default_configENS1_27scan_by_key_config_selectorIssEEZZNS1_16scan_by_key_implILNS1_25lookback_scan_determinismE0ELb1ES3_N6thrust23THRUST_200600_302600_NS6detail15normal_iteratorINS9_10device_ptrIsEEEESE_SE_sNS9_4plusIvEENS9_8equal_toIvEEsEE10hipError_tPvRmT2_T3_T4_T5_mT6_T7_P12ihipStream_tbENKUlT_T0_E_clISt17integral_constantIbLb0EESZ_EEDaSU_SV_EUlSU_E_NS1_11comp_targetILNS1_3genE2ELNS1_11target_archE906ELNS1_3gpuE6ELNS1_3repE0EEENS1_30default_config_static_selectorELNS0_4arch9wavefront6targetE1EEEvT1_.kd
    .uniform_work_group_size: 1
    .uses_dynamic_stack: false
    .vgpr_count:     0
    .vgpr_spill_count: 0
    .wavefront_size: 64
  - .agpr_count:     0
    .args:
      - .offset:         0
        .size:           112
        .value_kind:     by_value
    .group_segment_fixed_size: 0
    .kernarg_segment_align: 8
    .kernarg_segment_size: 112
    .language:       OpenCL C
    .language_version:
      - 2
      - 0
    .max_flat_workgroup_size: 256
    .name:           _ZN7rocprim17ROCPRIM_400000_NS6detail17trampoline_kernelINS0_14default_configENS1_27scan_by_key_config_selectorIssEEZZNS1_16scan_by_key_implILNS1_25lookback_scan_determinismE0ELb1ES3_N6thrust23THRUST_200600_302600_NS6detail15normal_iteratorINS9_10device_ptrIsEEEESE_SE_sNS9_4plusIvEENS9_8equal_toIvEEsEE10hipError_tPvRmT2_T3_T4_T5_mT6_T7_P12ihipStream_tbENKUlT_T0_E_clISt17integral_constantIbLb0EESZ_EEDaSU_SV_EUlSU_E_NS1_11comp_targetILNS1_3genE10ELNS1_11target_archE1200ELNS1_3gpuE4ELNS1_3repE0EEENS1_30default_config_static_selectorELNS0_4arch9wavefront6targetE1EEEvT1_
    .private_segment_fixed_size: 0
    .sgpr_count:     6
    .sgpr_spill_count: 0
    .symbol:         _ZN7rocprim17ROCPRIM_400000_NS6detail17trampoline_kernelINS0_14default_configENS1_27scan_by_key_config_selectorIssEEZZNS1_16scan_by_key_implILNS1_25lookback_scan_determinismE0ELb1ES3_N6thrust23THRUST_200600_302600_NS6detail15normal_iteratorINS9_10device_ptrIsEEEESE_SE_sNS9_4plusIvEENS9_8equal_toIvEEsEE10hipError_tPvRmT2_T3_T4_T5_mT6_T7_P12ihipStream_tbENKUlT_T0_E_clISt17integral_constantIbLb0EESZ_EEDaSU_SV_EUlSU_E_NS1_11comp_targetILNS1_3genE10ELNS1_11target_archE1200ELNS1_3gpuE4ELNS1_3repE0EEENS1_30default_config_static_selectorELNS0_4arch9wavefront6targetE1EEEvT1_.kd
    .uniform_work_group_size: 1
    .uses_dynamic_stack: false
    .vgpr_count:     0
    .vgpr_spill_count: 0
    .wavefront_size: 64
  - .agpr_count:     0
    .args:
      - .offset:         0
        .size:           112
        .value_kind:     by_value
    .group_segment_fixed_size: 0
    .kernarg_segment_align: 8
    .kernarg_segment_size: 112
    .language:       OpenCL C
    .language_version:
      - 2
      - 0
    .max_flat_workgroup_size: 256
    .name:           _ZN7rocprim17ROCPRIM_400000_NS6detail17trampoline_kernelINS0_14default_configENS1_27scan_by_key_config_selectorIssEEZZNS1_16scan_by_key_implILNS1_25lookback_scan_determinismE0ELb1ES3_N6thrust23THRUST_200600_302600_NS6detail15normal_iteratorINS9_10device_ptrIsEEEESE_SE_sNS9_4plusIvEENS9_8equal_toIvEEsEE10hipError_tPvRmT2_T3_T4_T5_mT6_T7_P12ihipStream_tbENKUlT_T0_E_clISt17integral_constantIbLb0EESZ_EEDaSU_SV_EUlSU_E_NS1_11comp_targetILNS1_3genE9ELNS1_11target_archE1100ELNS1_3gpuE3ELNS1_3repE0EEENS1_30default_config_static_selectorELNS0_4arch9wavefront6targetE1EEEvT1_
    .private_segment_fixed_size: 0
    .sgpr_count:     6
    .sgpr_spill_count: 0
    .symbol:         _ZN7rocprim17ROCPRIM_400000_NS6detail17trampoline_kernelINS0_14default_configENS1_27scan_by_key_config_selectorIssEEZZNS1_16scan_by_key_implILNS1_25lookback_scan_determinismE0ELb1ES3_N6thrust23THRUST_200600_302600_NS6detail15normal_iteratorINS9_10device_ptrIsEEEESE_SE_sNS9_4plusIvEENS9_8equal_toIvEEsEE10hipError_tPvRmT2_T3_T4_T5_mT6_T7_P12ihipStream_tbENKUlT_T0_E_clISt17integral_constantIbLb0EESZ_EEDaSU_SV_EUlSU_E_NS1_11comp_targetILNS1_3genE9ELNS1_11target_archE1100ELNS1_3gpuE3ELNS1_3repE0EEENS1_30default_config_static_selectorELNS0_4arch9wavefront6targetE1EEEvT1_.kd
    .uniform_work_group_size: 1
    .uses_dynamic_stack: false
    .vgpr_count:     0
    .vgpr_spill_count: 0
    .wavefront_size: 64
  - .agpr_count:     0
    .args:
      - .offset:         0
        .size:           112
        .value_kind:     by_value
    .group_segment_fixed_size: 0
    .kernarg_segment_align: 8
    .kernarg_segment_size: 112
    .language:       OpenCL C
    .language_version:
      - 2
      - 0
    .max_flat_workgroup_size: 64
    .name:           _ZN7rocprim17ROCPRIM_400000_NS6detail17trampoline_kernelINS0_14default_configENS1_27scan_by_key_config_selectorIssEEZZNS1_16scan_by_key_implILNS1_25lookback_scan_determinismE0ELb1ES3_N6thrust23THRUST_200600_302600_NS6detail15normal_iteratorINS9_10device_ptrIsEEEESE_SE_sNS9_4plusIvEENS9_8equal_toIvEEsEE10hipError_tPvRmT2_T3_T4_T5_mT6_T7_P12ihipStream_tbENKUlT_T0_E_clISt17integral_constantIbLb0EESZ_EEDaSU_SV_EUlSU_E_NS1_11comp_targetILNS1_3genE8ELNS1_11target_archE1030ELNS1_3gpuE2ELNS1_3repE0EEENS1_30default_config_static_selectorELNS0_4arch9wavefront6targetE1EEEvT1_
    .private_segment_fixed_size: 0
    .sgpr_count:     6
    .sgpr_spill_count: 0
    .symbol:         _ZN7rocprim17ROCPRIM_400000_NS6detail17trampoline_kernelINS0_14default_configENS1_27scan_by_key_config_selectorIssEEZZNS1_16scan_by_key_implILNS1_25lookback_scan_determinismE0ELb1ES3_N6thrust23THRUST_200600_302600_NS6detail15normal_iteratorINS9_10device_ptrIsEEEESE_SE_sNS9_4plusIvEENS9_8equal_toIvEEsEE10hipError_tPvRmT2_T3_T4_T5_mT6_T7_P12ihipStream_tbENKUlT_T0_E_clISt17integral_constantIbLb0EESZ_EEDaSU_SV_EUlSU_E_NS1_11comp_targetILNS1_3genE8ELNS1_11target_archE1030ELNS1_3gpuE2ELNS1_3repE0EEENS1_30default_config_static_selectorELNS0_4arch9wavefront6targetE1EEEvT1_.kd
    .uniform_work_group_size: 1
    .uses_dynamic_stack: false
    .vgpr_count:     0
    .vgpr_spill_count: 0
    .wavefront_size: 64
  - .agpr_count:     0
    .args:
      - .offset:         0
        .size:           112
        .value_kind:     by_value
    .group_segment_fixed_size: 0
    .kernarg_segment_align: 8
    .kernarg_segment_size: 112
    .language:       OpenCL C
    .language_version:
      - 2
      - 0
    .max_flat_workgroup_size: 256
    .name:           _ZN7rocprim17ROCPRIM_400000_NS6detail17trampoline_kernelINS0_14default_configENS1_27scan_by_key_config_selectorIssEEZZNS1_16scan_by_key_implILNS1_25lookback_scan_determinismE0ELb1ES3_N6thrust23THRUST_200600_302600_NS6detail15normal_iteratorINS9_10device_ptrIsEEEESE_SE_sNS9_4plusIvEENS9_8equal_toIvEEsEE10hipError_tPvRmT2_T3_T4_T5_mT6_T7_P12ihipStream_tbENKUlT_T0_E_clISt17integral_constantIbLb1EESZ_EEDaSU_SV_EUlSU_E_NS1_11comp_targetILNS1_3genE0ELNS1_11target_archE4294967295ELNS1_3gpuE0ELNS1_3repE0EEENS1_30default_config_static_selectorELNS0_4arch9wavefront6targetE1EEEvT1_
    .private_segment_fixed_size: 0
    .sgpr_count:     6
    .sgpr_spill_count: 0
    .symbol:         _ZN7rocprim17ROCPRIM_400000_NS6detail17trampoline_kernelINS0_14default_configENS1_27scan_by_key_config_selectorIssEEZZNS1_16scan_by_key_implILNS1_25lookback_scan_determinismE0ELb1ES3_N6thrust23THRUST_200600_302600_NS6detail15normal_iteratorINS9_10device_ptrIsEEEESE_SE_sNS9_4plusIvEENS9_8equal_toIvEEsEE10hipError_tPvRmT2_T3_T4_T5_mT6_T7_P12ihipStream_tbENKUlT_T0_E_clISt17integral_constantIbLb1EESZ_EEDaSU_SV_EUlSU_E_NS1_11comp_targetILNS1_3genE0ELNS1_11target_archE4294967295ELNS1_3gpuE0ELNS1_3repE0EEENS1_30default_config_static_selectorELNS0_4arch9wavefront6targetE1EEEvT1_.kd
    .uniform_work_group_size: 1
    .uses_dynamic_stack: false
    .vgpr_count:     0
    .vgpr_spill_count: 0
    .wavefront_size: 64
  - .agpr_count:     0
    .args:
      - .offset:         0
        .size:           112
        .value_kind:     by_value
    .group_segment_fixed_size: 0
    .kernarg_segment_align: 8
    .kernarg_segment_size: 112
    .language:       OpenCL C
    .language_version:
      - 2
      - 0
    .max_flat_workgroup_size: 128
    .name:           _ZN7rocprim17ROCPRIM_400000_NS6detail17trampoline_kernelINS0_14default_configENS1_27scan_by_key_config_selectorIssEEZZNS1_16scan_by_key_implILNS1_25lookback_scan_determinismE0ELb1ES3_N6thrust23THRUST_200600_302600_NS6detail15normal_iteratorINS9_10device_ptrIsEEEESE_SE_sNS9_4plusIvEENS9_8equal_toIvEEsEE10hipError_tPvRmT2_T3_T4_T5_mT6_T7_P12ihipStream_tbENKUlT_T0_E_clISt17integral_constantIbLb1EESZ_EEDaSU_SV_EUlSU_E_NS1_11comp_targetILNS1_3genE10ELNS1_11target_archE1201ELNS1_3gpuE5ELNS1_3repE0EEENS1_30default_config_static_selectorELNS0_4arch9wavefront6targetE1EEEvT1_
    .private_segment_fixed_size: 0
    .sgpr_count:     6
    .sgpr_spill_count: 0
    .symbol:         _ZN7rocprim17ROCPRIM_400000_NS6detail17trampoline_kernelINS0_14default_configENS1_27scan_by_key_config_selectorIssEEZZNS1_16scan_by_key_implILNS1_25lookback_scan_determinismE0ELb1ES3_N6thrust23THRUST_200600_302600_NS6detail15normal_iteratorINS9_10device_ptrIsEEEESE_SE_sNS9_4plusIvEENS9_8equal_toIvEEsEE10hipError_tPvRmT2_T3_T4_T5_mT6_T7_P12ihipStream_tbENKUlT_T0_E_clISt17integral_constantIbLb1EESZ_EEDaSU_SV_EUlSU_E_NS1_11comp_targetILNS1_3genE10ELNS1_11target_archE1201ELNS1_3gpuE5ELNS1_3repE0EEENS1_30default_config_static_selectorELNS0_4arch9wavefront6targetE1EEEvT1_.kd
    .uniform_work_group_size: 1
    .uses_dynamic_stack: false
    .vgpr_count:     0
    .vgpr_spill_count: 0
    .wavefront_size: 64
  - .agpr_count:     0
    .args:
      - .offset:         0
        .size:           112
        .value_kind:     by_value
    .group_segment_fixed_size: 13312
    .kernarg_segment_align: 8
    .kernarg_segment_size: 112
    .language:       OpenCL C
    .language_version:
      - 2
      - 0
    .max_flat_workgroup_size: 256
    .name:           _ZN7rocprim17ROCPRIM_400000_NS6detail17trampoline_kernelINS0_14default_configENS1_27scan_by_key_config_selectorIssEEZZNS1_16scan_by_key_implILNS1_25lookback_scan_determinismE0ELb1ES3_N6thrust23THRUST_200600_302600_NS6detail15normal_iteratorINS9_10device_ptrIsEEEESE_SE_sNS9_4plusIvEENS9_8equal_toIvEEsEE10hipError_tPvRmT2_T3_T4_T5_mT6_T7_P12ihipStream_tbENKUlT_T0_E_clISt17integral_constantIbLb1EESZ_EEDaSU_SV_EUlSU_E_NS1_11comp_targetILNS1_3genE5ELNS1_11target_archE942ELNS1_3gpuE9ELNS1_3repE0EEENS1_30default_config_static_selectorELNS0_4arch9wavefront6targetE1EEEvT1_
    .private_segment_fixed_size: 0
    .sgpr_count:     81
    .sgpr_spill_count: 0
    .symbol:         _ZN7rocprim17ROCPRIM_400000_NS6detail17trampoline_kernelINS0_14default_configENS1_27scan_by_key_config_selectorIssEEZZNS1_16scan_by_key_implILNS1_25lookback_scan_determinismE0ELb1ES3_N6thrust23THRUST_200600_302600_NS6detail15normal_iteratorINS9_10device_ptrIsEEEESE_SE_sNS9_4plusIvEENS9_8equal_toIvEEsEE10hipError_tPvRmT2_T3_T4_T5_mT6_T7_P12ihipStream_tbENKUlT_T0_E_clISt17integral_constantIbLb1EESZ_EEDaSU_SV_EUlSU_E_NS1_11comp_targetILNS1_3genE5ELNS1_11target_archE942ELNS1_3gpuE9ELNS1_3repE0EEENS1_30default_config_static_selectorELNS0_4arch9wavefront6targetE1EEEvT1_.kd
    .uniform_work_group_size: 1
    .uses_dynamic_stack: false
    .vgpr_count:     62
    .vgpr_spill_count: 0
    .wavefront_size: 64
  - .agpr_count:     0
    .args:
      - .offset:         0
        .size:           112
        .value_kind:     by_value
    .group_segment_fixed_size: 0
    .kernarg_segment_align: 8
    .kernarg_segment_size: 112
    .language:       OpenCL C
    .language_version:
      - 2
      - 0
    .max_flat_workgroup_size: 256
    .name:           _ZN7rocprim17ROCPRIM_400000_NS6detail17trampoline_kernelINS0_14default_configENS1_27scan_by_key_config_selectorIssEEZZNS1_16scan_by_key_implILNS1_25lookback_scan_determinismE0ELb1ES3_N6thrust23THRUST_200600_302600_NS6detail15normal_iteratorINS9_10device_ptrIsEEEESE_SE_sNS9_4plusIvEENS9_8equal_toIvEEsEE10hipError_tPvRmT2_T3_T4_T5_mT6_T7_P12ihipStream_tbENKUlT_T0_E_clISt17integral_constantIbLb1EESZ_EEDaSU_SV_EUlSU_E_NS1_11comp_targetILNS1_3genE4ELNS1_11target_archE910ELNS1_3gpuE8ELNS1_3repE0EEENS1_30default_config_static_selectorELNS0_4arch9wavefront6targetE1EEEvT1_
    .private_segment_fixed_size: 0
    .sgpr_count:     6
    .sgpr_spill_count: 0
    .symbol:         _ZN7rocprim17ROCPRIM_400000_NS6detail17trampoline_kernelINS0_14default_configENS1_27scan_by_key_config_selectorIssEEZZNS1_16scan_by_key_implILNS1_25lookback_scan_determinismE0ELb1ES3_N6thrust23THRUST_200600_302600_NS6detail15normal_iteratorINS9_10device_ptrIsEEEESE_SE_sNS9_4plusIvEENS9_8equal_toIvEEsEE10hipError_tPvRmT2_T3_T4_T5_mT6_T7_P12ihipStream_tbENKUlT_T0_E_clISt17integral_constantIbLb1EESZ_EEDaSU_SV_EUlSU_E_NS1_11comp_targetILNS1_3genE4ELNS1_11target_archE910ELNS1_3gpuE8ELNS1_3repE0EEENS1_30default_config_static_selectorELNS0_4arch9wavefront6targetE1EEEvT1_.kd
    .uniform_work_group_size: 1
    .uses_dynamic_stack: false
    .vgpr_count:     0
    .vgpr_spill_count: 0
    .wavefront_size: 64
  - .agpr_count:     0
    .args:
      - .offset:         0
        .size:           112
        .value_kind:     by_value
    .group_segment_fixed_size: 0
    .kernarg_segment_align: 8
    .kernarg_segment_size: 112
    .language:       OpenCL C
    .language_version:
      - 2
      - 0
    .max_flat_workgroup_size: 256
    .name:           _ZN7rocprim17ROCPRIM_400000_NS6detail17trampoline_kernelINS0_14default_configENS1_27scan_by_key_config_selectorIssEEZZNS1_16scan_by_key_implILNS1_25lookback_scan_determinismE0ELb1ES3_N6thrust23THRUST_200600_302600_NS6detail15normal_iteratorINS9_10device_ptrIsEEEESE_SE_sNS9_4plusIvEENS9_8equal_toIvEEsEE10hipError_tPvRmT2_T3_T4_T5_mT6_T7_P12ihipStream_tbENKUlT_T0_E_clISt17integral_constantIbLb1EESZ_EEDaSU_SV_EUlSU_E_NS1_11comp_targetILNS1_3genE3ELNS1_11target_archE908ELNS1_3gpuE7ELNS1_3repE0EEENS1_30default_config_static_selectorELNS0_4arch9wavefront6targetE1EEEvT1_
    .private_segment_fixed_size: 0
    .sgpr_count:     6
    .sgpr_spill_count: 0
    .symbol:         _ZN7rocprim17ROCPRIM_400000_NS6detail17trampoline_kernelINS0_14default_configENS1_27scan_by_key_config_selectorIssEEZZNS1_16scan_by_key_implILNS1_25lookback_scan_determinismE0ELb1ES3_N6thrust23THRUST_200600_302600_NS6detail15normal_iteratorINS9_10device_ptrIsEEEESE_SE_sNS9_4plusIvEENS9_8equal_toIvEEsEE10hipError_tPvRmT2_T3_T4_T5_mT6_T7_P12ihipStream_tbENKUlT_T0_E_clISt17integral_constantIbLb1EESZ_EEDaSU_SV_EUlSU_E_NS1_11comp_targetILNS1_3genE3ELNS1_11target_archE908ELNS1_3gpuE7ELNS1_3repE0EEENS1_30default_config_static_selectorELNS0_4arch9wavefront6targetE1EEEvT1_.kd
    .uniform_work_group_size: 1
    .uses_dynamic_stack: false
    .vgpr_count:     0
    .vgpr_spill_count: 0
    .wavefront_size: 64
  - .agpr_count:     0
    .args:
      - .offset:         0
        .size:           112
        .value_kind:     by_value
    .group_segment_fixed_size: 0
    .kernarg_segment_align: 8
    .kernarg_segment_size: 112
    .language:       OpenCL C
    .language_version:
      - 2
      - 0
    .max_flat_workgroup_size: 64
    .name:           _ZN7rocprim17ROCPRIM_400000_NS6detail17trampoline_kernelINS0_14default_configENS1_27scan_by_key_config_selectorIssEEZZNS1_16scan_by_key_implILNS1_25lookback_scan_determinismE0ELb1ES3_N6thrust23THRUST_200600_302600_NS6detail15normal_iteratorINS9_10device_ptrIsEEEESE_SE_sNS9_4plusIvEENS9_8equal_toIvEEsEE10hipError_tPvRmT2_T3_T4_T5_mT6_T7_P12ihipStream_tbENKUlT_T0_E_clISt17integral_constantIbLb1EESZ_EEDaSU_SV_EUlSU_E_NS1_11comp_targetILNS1_3genE2ELNS1_11target_archE906ELNS1_3gpuE6ELNS1_3repE0EEENS1_30default_config_static_selectorELNS0_4arch9wavefront6targetE1EEEvT1_
    .private_segment_fixed_size: 0
    .sgpr_count:     6
    .sgpr_spill_count: 0
    .symbol:         _ZN7rocprim17ROCPRIM_400000_NS6detail17trampoline_kernelINS0_14default_configENS1_27scan_by_key_config_selectorIssEEZZNS1_16scan_by_key_implILNS1_25lookback_scan_determinismE0ELb1ES3_N6thrust23THRUST_200600_302600_NS6detail15normal_iteratorINS9_10device_ptrIsEEEESE_SE_sNS9_4plusIvEENS9_8equal_toIvEEsEE10hipError_tPvRmT2_T3_T4_T5_mT6_T7_P12ihipStream_tbENKUlT_T0_E_clISt17integral_constantIbLb1EESZ_EEDaSU_SV_EUlSU_E_NS1_11comp_targetILNS1_3genE2ELNS1_11target_archE906ELNS1_3gpuE6ELNS1_3repE0EEENS1_30default_config_static_selectorELNS0_4arch9wavefront6targetE1EEEvT1_.kd
    .uniform_work_group_size: 1
    .uses_dynamic_stack: false
    .vgpr_count:     0
    .vgpr_spill_count: 0
    .wavefront_size: 64
  - .agpr_count:     0
    .args:
      - .offset:         0
        .size:           112
        .value_kind:     by_value
    .group_segment_fixed_size: 0
    .kernarg_segment_align: 8
    .kernarg_segment_size: 112
    .language:       OpenCL C
    .language_version:
      - 2
      - 0
    .max_flat_workgroup_size: 256
    .name:           _ZN7rocprim17ROCPRIM_400000_NS6detail17trampoline_kernelINS0_14default_configENS1_27scan_by_key_config_selectorIssEEZZNS1_16scan_by_key_implILNS1_25lookback_scan_determinismE0ELb1ES3_N6thrust23THRUST_200600_302600_NS6detail15normal_iteratorINS9_10device_ptrIsEEEESE_SE_sNS9_4plusIvEENS9_8equal_toIvEEsEE10hipError_tPvRmT2_T3_T4_T5_mT6_T7_P12ihipStream_tbENKUlT_T0_E_clISt17integral_constantIbLb1EESZ_EEDaSU_SV_EUlSU_E_NS1_11comp_targetILNS1_3genE10ELNS1_11target_archE1200ELNS1_3gpuE4ELNS1_3repE0EEENS1_30default_config_static_selectorELNS0_4arch9wavefront6targetE1EEEvT1_
    .private_segment_fixed_size: 0
    .sgpr_count:     6
    .sgpr_spill_count: 0
    .symbol:         _ZN7rocprim17ROCPRIM_400000_NS6detail17trampoline_kernelINS0_14default_configENS1_27scan_by_key_config_selectorIssEEZZNS1_16scan_by_key_implILNS1_25lookback_scan_determinismE0ELb1ES3_N6thrust23THRUST_200600_302600_NS6detail15normal_iteratorINS9_10device_ptrIsEEEESE_SE_sNS9_4plusIvEENS9_8equal_toIvEEsEE10hipError_tPvRmT2_T3_T4_T5_mT6_T7_P12ihipStream_tbENKUlT_T0_E_clISt17integral_constantIbLb1EESZ_EEDaSU_SV_EUlSU_E_NS1_11comp_targetILNS1_3genE10ELNS1_11target_archE1200ELNS1_3gpuE4ELNS1_3repE0EEENS1_30default_config_static_selectorELNS0_4arch9wavefront6targetE1EEEvT1_.kd
    .uniform_work_group_size: 1
    .uses_dynamic_stack: false
    .vgpr_count:     0
    .vgpr_spill_count: 0
    .wavefront_size: 64
  - .agpr_count:     0
    .args:
      - .offset:         0
        .size:           112
        .value_kind:     by_value
    .group_segment_fixed_size: 0
    .kernarg_segment_align: 8
    .kernarg_segment_size: 112
    .language:       OpenCL C
    .language_version:
      - 2
      - 0
    .max_flat_workgroup_size: 256
    .name:           _ZN7rocprim17ROCPRIM_400000_NS6detail17trampoline_kernelINS0_14default_configENS1_27scan_by_key_config_selectorIssEEZZNS1_16scan_by_key_implILNS1_25lookback_scan_determinismE0ELb1ES3_N6thrust23THRUST_200600_302600_NS6detail15normal_iteratorINS9_10device_ptrIsEEEESE_SE_sNS9_4plusIvEENS9_8equal_toIvEEsEE10hipError_tPvRmT2_T3_T4_T5_mT6_T7_P12ihipStream_tbENKUlT_T0_E_clISt17integral_constantIbLb1EESZ_EEDaSU_SV_EUlSU_E_NS1_11comp_targetILNS1_3genE9ELNS1_11target_archE1100ELNS1_3gpuE3ELNS1_3repE0EEENS1_30default_config_static_selectorELNS0_4arch9wavefront6targetE1EEEvT1_
    .private_segment_fixed_size: 0
    .sgpr_count:     6
    .sgpr_spill_count: 0
    .symbol:         _ZN7rocprim17ROCPRIM_400000_NS6detail17trampoline_kernelINS0_14default_configENS1_27scan_by_key_config_selectorIssEEZZNS1_16scan_by_key_implILNS1_25lookback_scan_determinismE0ELb1ES3_N6thrust23THRUST_200600_302600_NS6detail15normal_iteratorINS9_10device_ptrIsEEEESE_SE_sNS9_4plusIvEENS9_8equal_toIvEEsEE10hipError_tPvRmT2_T3_T4_T5_mT6_T7_P12ihipStream_tbENKUlT_T0_E_clISt17integral_constantIbLb1EESZ_EEDaSU_SV_EUlSU_E_NS1_11comp_targetILNS1_3genE9ELNS1_11target_archE1100ELNS1_3gpuE3ELNS1_3repE0EEENS1_30default_config_static_selectorELNS0_4arch9wavefront6targetE1EEEvT1_.kd
    .uniform_work_group_size: 1
    .uses_dynamic_stack: false
    .vgpr_count:     0
    .vgpr_spill_count: 0
    .wavefront_size: 64
  - .agpr_count:     0
    .args:
      - .offset:         0
        .size:           112
        .value_kind:     by_value
    .group_segment_fixed_size: 0
    .kernarg_segment_align: 8
    .kernarg_segment_size: 112
    .language:       OpenCL C
    .language_version:
      - 2
      - 0
    .max_flat_workgroup_size: 64
    .name:           _ZN7rocprim17ROCPRIM_400000_NS6detail17trampoline_kernelINS0_14default_configENS1_27scan_by_key_config_selectorIssEEZZNS1_16scan_by_key_implILNS1_25lookback_scan_determinismE0ELb1ES3_N6thrust23THRUST_200600_302600_NS6detail15normal_iteratorINS9_10device_ptrIsEEEESE_SE_sNS9_4plusIvEENS9_8equal_toIvEEsEE10hipError_tPvRmT2_T3_T4_T5_mT6_T7_P12ihipStream_tbENKUlT_T0_E_clISt17integral_constantIbLb1EESZ_EEDaSU_SV_EUlSU_E_NS1_11comp_targetILNS1_3genE8ELNS1_11target_archE1030ELNS1_3gpuE2ELNS1_3repE0EEENS1_30default_config_static_selectorELNS0_4arch9wavefront6targetE1EEEvT1_
    .private_segment_fixed_size: 0
    .sgpr_count:     6
    .sgpr_spill_count: 0
    .symbol:         _ZN7rocprim17ROCPRIM_400000_NS6detail17trampoline_kernelINS0_14default_configENS1_27scan_by_key_config_selectorIssEEZZNS1_16scan_by_key_implILNS1_25lookback_scan_determinismE0ELb1ES3_N6thrust23THRUST_200600_302600_NS6detail15normal_iteratorINS9_10device_ptrIsEEEESE_SE_sNS9_4plusIvEENS9_8equal_toIvEEsEE10hipError_tPvRmT2_T3_T4_T5_mT6_T7_P12ihipStream_tbENKUlT_T0_E_clISt17integral_constantIbLb1EESZ_EEDaSU_SV_EUlSU_E_NS1_11comp_targetILNS1_3genE8ELNS1_11target_archE1030ELNS1_3gpuE2ELNS1_3repE0EEENS1_30default_config_static_selectorELNS0_4arch9wavefront6targetE1EEEvT1_.kd
    .uniform_work_group_size: 1
    .uses_dynamic_stack: false
    .vgpr_count:     0
    .vgpr_spill_count: 0
    .wavefront_size: 64
  - .agpr_count:     0
    .args:
      - .offset:         0
        .size:           112
        .value_kind:     by_value
    .group_segment_fixed_size: 0
    .kernarg_segment_align: 8
    .kernarg_segment_size: 112
    .language:       OpenCL C
    .language_version:
      - 2
      - 0
    .max_flat_workgroup_size: 256
    .name:           _ZN7rocprim17ROCPRIM_400000_NS6detail17trampoline_kernelINS0_14default_configENS1_27scan_by_key_config_selectorIssEEZZNS1_16scan_by_key_implILNS1_25lookback_scan_determinismE0ELb1ES3_N6thrust23THRUST_200600_302600_NS6detail15normal_iteratorINS9_10device_ptrIsEEEESE_SE_sNS9_4plusIvEENS9_8equal_toIvEEsEE10hipError_tPvRmT2_T3_T4_T5_mT6_T7_P12ihipStream_tbENKUlT_T0_E_clISt17integral_constantIbLb1EESY_IbLb0EEEEDaSU_SV_EUlSU_E_NS1_11comp_targetILNS1_3genE0ELNS1_11target_archE4294967295ELNS1_3gpuE0ELNS1_3repE0EEENS1_30default_config_static_selectorELNS0_4arch9wavefront6targetE1EEEvT1_
    .private_segment_fixed_size: 0
    .sgpr_count:     6
    .sgpr_spill_count: 0
    .symbol:         _ZN7rocprim17ROCPRIM_400000_NS6detail17trampoline_kernelINS0_14default_configENS1_27scan_by_key_config_selectorIssEEZZNS1_16scan_by_key_implILNS1_25lookback_scan_determinismE0ELb1ES3_N6thrust23THRUST_200600_302600_NS6detail15normal_iteratorINS9_10device_ptrIsEEEESE_SE_sNS9_4plusIvEENS9_8equal_toIvEEsEE10hipError_tPvRmT2_T3_T4_T5_mT6_T7_P12ihipStream_tbENKUlT_T0_E_clISt17integral_constantIbLb1EESY_IbLb0EEEEDaSU_SV_EUlSU_E_NS1_11comp_targetILNS1_3genE0ELNS1_11target_archE4294967295ELNS1_3gpuE0ELNS1_3repE0EEENS1_30default_config_static_selectorELNS0_4arch9wavefront6targetE1EEEvT1_.kd
    .uniform_work_group_size: 1
    .uses_dynamic_stack: false
    .vgpr_count:     0
    .vgpr_spill_count: 0
    .wavefront_size: 64
  - .agpr_count:     0
    .args:
      - .offset:         0
        .size:           112
        .value_kind:     by_value
    .group_segment_fixed_size: 0
    .kernarg_segment_align: 8
    .kernarg_segment_size: 112
    .language:       OpenCL C
    .language_version:
      - 2
      - 0
    .max_flat_workgroup_size: 128
    .name:           _ZN7rocprim17ROCPRIM_400000_NS6detail17trampoline_kernelINS0_14default_configENS1_27scan_by_key_config_selectorIssEEZZNS1_16scan_by_key_implILNS1_25lookback_scan_determinismE0ELb1ES3_N6thrust23THRUST_200600_302600_NS6detail15normal_iteratorINS9_10device_ptrIsEEEESE_SE_sNS9_4plusIvEENS9_8equal_toIvEEsEE10hipError_tPvRmT2_T3_T4_T5_mT6_T7_P12ihipStream_tbENKUlT_T0_E_clISt17integral_constantIbLb1EESY_IbLb0EEEEDaSU_SV_EUlSU_E_NS1_11comp_targetILNS1_3genE10ELNS1_11target_archE1201ELNS1_3gpuE5ELNS1_3repE0EEENS1_30default_config_static_selectorELNS0_4arch9wavefront6targetE1EEEvT1_
    .private_segment_fixed_size: 0
    .sgpr_count:     6
    .sgpr_spill_count: 0
    .symbol:         _ZN7rocprim17ROCPRIM_400000_NS6detail17trampoline_kernelINS0_14default_configENS1_27scan_by_key_config_selectorIssEEZZNS1_16scan_by_key_implILNS1_25lookback_scan_determinismE0ELb1ES3_N6thrust23THRUST_200600_302600_NS6detail15normal_iteratorINS9_10device_ptrIsEEEESE_SE_sNS9_4plusIvEENS9_8equal_toIvEEsEE10hipError_tPvRmT2_T3_T4_T5_mT6_T7_P12ihipStream_tbENKUlT_T0_E_clISt17integral_constantIbLb1EESY_IbLb0EEEEDaSU_SV_EUlSU_E_NS1_11comp_targetILNS1_3genE10ELNS1_11target_archE1201ELNS1_3gpuE5ELNS1_3repE0EEENS1_30default_config_static_selectorELNS0_4arch9wavefront6targetE1EEEvT1_.kd
    .uniform_work_group_size: 1
    .uses_dynamic_stack: false
    .vgpr_count:     0
    .vgpr_spill_count: 0
    .wavefront_size: 64
  - .agpr_count:     0
    .args:
      - .offset:         0
        .size:           112
        .value_kind:     by_value
    .group_segment_fixed_size: 13312
    .kernarg_segment_align: 8
    .kernarg_segment_size: 112
    .language:       OpenCL C
    .language_version:
      - 2
      - 0
    .max_flat_workgroup_size: 256
    .name:           _ZN7rocprim17ROCPRIM_400000_NS6detail17trampoline_kernelINS0_14default_configENS1_27scan_by_key_config_selectorIssEEZZNS1_16scan_by_key_implILNS1_25lookback_scan_determinismE0ELb1ES3_N6thrust23THRUST_200600_302600_NS6detail15normal_iteratorINS9_10device_ptrIsEEEESE_SE_sNS9_4plusIvEENS9_8equal_toIvEEsEE10hipError_tPvRmT2_T3_T4_T5_mT6_T7_P12ihipStream_tbENKUlT_T0_E_clISt17integral_constantIbLb1EESY_IbLb0EEEEDaSU_SV_EUlSU_E_NS1_11comp_targetILNS1_3genE5ELNS1_11target_archE942ELNS1_3gpuE9ELNS1_3repE0EEENS1_30default_config_static_selectorELNS0_4arch9wavefront6targetE1EEEvT1_
    .private_segment_fixed_size: 0
    .sgpr_count:     85
    .sgpr_spill_count: 0
    .symbol:         _ZN7rocprim17ROCPRIM_400000_NS6detail17trampoline_kernelINS0_14default_configENS1_27scan_by_key_config_selectorIssEEZZNS1_16scan_by_key_implILNS1_25lookback_scan_determinismE0ELb1ES3_N6thrust23THRUST_200600_302600_NS6detail15normal_iteratorINS9_10device_ptrIsEEEESE_SE_sNS9_4plusIvEENS9_8equal_toIvEEsEE10hipError_tPvRmT2_T3_T4_T5_mT6_T7_P12ihipStream_tbENKUlT_T0_E_clISt17integral_constantIbLb1EESY_IbLb0EEEEDaSU_SV_EUlSU_E_NS1_11comp_targetILNS1_3genE5ELNS1_11target_archE942ELNS1_3gpuE9ELNS1_3repE0EEENS1_30default_config_static_selectorELNS0_4arch9wavefront6targetE1EEEvT1_.kd
    .uniform_work_group_size: 1
    .uses_dynamic_stack: false
    .vgpr_count:     60
    .vgpr_spill_count: 0
    .wavefront_size: 64
  - .agpr_count:     0
    .args:
      - .offset:         0
        .size:           112
        .value_kind:     by_value
    .group_segment_fixed_size: 0
    .kernarg_segment_align: 8
    .kernarg_segment_size: 112
    .language:       OpenCL C
    .language_version:
      - 2
      - 0
    .max_flat_workgroup_size: 256
    .name:           _ZN7rocprim17ROCPRIM_400000_NS6detail17trampoline_kernelINS0_14default_configENS1_27scan_by_key_config_selectorIssEEZZNS1_16scan_by_key_implILNS1_25lookback_scan_determinismE0ELb1ES3_N6thrust23THRUST_200600_302600_NS6detail15normal_iteratorINS9_10device_ptrIsEEEESE_SE_sNS9_4plusIvEENS9_8equal_toIvEEsEE10hipError_tPvRmT2_T3_T4_T5_mT6_T7_P12ihipStream_tbENKUlT_T0_E_clISt17integral_constantIbLb1EESY_IbLb0EEEEDaSU_SV_EUlSU_E_NS1_11comp_targetILNS1_3genE4ELNS1_11target_archE910ELNS1_3gpuE8ELNS1_3repE0EEENS1_30default_config_static_selectorELNS0_4arch9wavefront6targetE1EEEvT1_
    .private_segment_fixed_size: 0
    .sgpr_count:     6
    .sgpr_spill_count: 0
    .symbol:         _ZN7rocprim17ROCPRIM_400000_NS6detail17trampoline_kernelINS0_14default_configENS1_27scan_by_key_config_selectorIssEEZZNS1_16scan_by_key_implILNS1_25lookback_scan_determinismE0ELb1ES3_N6thrust23THRUST_200600_302600_NS6detail15normal_iteratorINS9_10device_ptrIsEEEESE_SE_sNS9_4plusIvEENS9_8equal_toIvEEsEE10hipError_tPvRmT2_T3_T4_T5_mT6_T7_P12ihipStream_tbENKUlT_T0_E_clISt17integral_constantIbLb1EESY_IbLb0EEEEDaSU_SV_EUlSU_E_NS1_11comp_targetILNS1_3genE4ELNS1_11target_archE910ELNS1_3gpuE8ELNS1_3repE0EEENS1_30default_config_static_selectorELNS0_4arch9wavefront6targetE1EEEvT1_.kd
    .uniform_work_group_size: 1
    .uses_dynamic_stack: false
    .vgpr_count:     0
    .vgpr_spill_count: 0
    .wavefront_size: 64
  - .agpr_count:     0
    .args:
      - .offset:         0
        .size:           112
        .value_kind:     by_value
    .group_segment_fixed_size: 0
    .kernarg_segment_align: 8
    .kernarg_segment_size: 112
    .language:       OpenCL C
    .language_version:
      - 2
      - 0
    .max_flat_workgroup_size: 256
    .name:           _ZN7rocprim17ROCPRIM_400000_NS6detail17trampoline_kernelINS0_14default_configENS1_27scan_by_key_config_selectorIssEEZZNS1_16scan_by_key_implILNS1_25lookback_scan_determinismE0ELb1ES3_N6thrust23THRUST_200600_302600_NS6detail15normal_iteratorINS9_10device_ptrIsEEEESE_SE_sNS9_4plusIvEENS9_8equal_toIvEEsEE10hipError_tPvRmT2_T3_T4_T5_mT6_T7_P12ihipStream_tbENKUlT_T0_E_clISt17integral_constantIbLb1EESY_IbLb0EEEEDaSU_SV_EUlSU_E_NS1_11comp_targetILNS1_3genE3ELNS1_11target_archE908ELNS1_3gpuE7ELNS1_3repE0EEENS1_30default_config_static_selectorELNS0_4arch9wavefront6targetE1EEEvT1_
    .private_segment_fixed_size: 0
    .sgpr_count:     6
    .sgpr_spill_count: 0
    .symbol:         _ZN7rocprim17ROCPRIM_400000_NS6detail17trampoline_kernelINS0_14default_configENS1_27scan_by_key_config_selectorIssEEZZNS1_16scan_by_key_implILNS1_25lookback_scan_determinismE0ELb1ES3_N6thrust23THRUST_200600_302600_NS6detail15normal_iteratorINS9_10device_ptrIsEEEESE_SE_sNS9_4plusIvEENS9_8equal_toIvEEsEE10hipError_tPvRmT2_T3_T4_T5_mT6_T7_P12ihipStream_tbENKUlT_T0_E_clISt17integral_constantIbLb1EESY_IbLb0EEEEDaSU_SV_EUlSU_E_NS1_11comp_targetILNS1_3genE3ELNS1_11target_archE908ELNS1_3gpuE7ELNS1_3repE0EEENS1_30default_config_static_selectorELNS0_4arch9wavefront6targetE1EEEvT1_.kd
    .uniform_work_group_size: 1
    .uses_dynamic_stack: false
    .vgpr_count:     0
    .vgpr_spill_count: 0
    .wavefront_size: 64
  - .agpr_count:     0
    .args:
      - .offset:         0
        .size:           112
        .value_kind:     by_value
    .group_segment_fixed_size: 0
    .kernarg_segment_align: 8
    .kernarg_segment_size: 112
    .language:       OpenCL C
    .language_version:
      - 2
      - 0
    .max_flat_workgroup_size: 64
    .name:           _ZN7rocprim17ROCPRIM_400000_NS6detail17trampoline_kernelINS0_14default_configENS1_27scan_by_key_config_selectorIssEEZZNS1_16scan_by_key_implILNS1_25lookback_scan_determinismE0ELb1ES3_N6thrust23THRUST_200600_302600_NS6detail15normal_iteratorINS9_10device_ptrIsEEEESE_SE_sNS9_4plusIvEENS9_8equal_toIvEEsEE10hipError_tPvRmT2_T3_T4_T5_mT6_T7_P12ihipStream_tbENKUlT_T0_E_clISt17integral_constantIbLb1EESY_IbLb0EEEEDaSU_SV_EUlSU_E_NS1_11comp_targetILNS1_3genE2ELNS1_11target_archE906ELNS1_3gpuE6ELNS1_3repE0EEENS1_30default_config_static_selectorELNS0_4arch9wavefront6targetE1EEEvT1_
    .private_segment_fixed_size: 0
    .sgpr_count:     6
    .sgpr_spill_count: 0
    .symbol:         _ZN7rocprim17ROCPRIM_400000_NS6detail17trampoline_kernelINS0_14default_configENS1_27scan_by_key_config_selectorIssEEZZNS1_16scan_by_key_implILNS1_25lookback_scan_determinismE0ELb1ES3_N6thrust23THRUST_200600_302600_NS6detail15normal_iteratorINS9_10device_ptrIsEEEESE_SE_sNS9_4plusIvEENS9_8equal_toIvEEsEE10hipError_tPvRmT2_T3_T4_T5_mT6_T7_P12ihipStream_tbENKUlT_T0_E_clISt17integral_constantIbLb1EESY_IbLb0EEEEDaSU_SV_EUlSU_E_NS1_11comp_targetILNS1_3genE2ELNS1_11target_archE906ELNS1_3gpuE6ELNS1_3repE0EEENS1_30default_config_static_selectorELNS0_4arch9wavefront6targetE1EEEvT1_.kd
    .uniform_work_group_size: 1
    .uses_dynamic_stack: false
    .vgpr_count:     0
    .vgpr_spill_count: 0
    .wavefront_size: 64
  - .agpr_count:     0
    .args:
      - .offset:         0
        .size:           112
        .value_kind:     by_value
    .group_segment_fixed_size: 0
    .kernarg_segment_align: 8
    .kernarg_segment_size: 112
    .language:       OpenCL C
    .language_version:
      - 2
      - 0
    .max_flat_workgroup_size: 256
    .name:           _ZN7rocprim17ROCPRIM_400000_NS6detail17trampoline_kernelINS0_14default_configENS1_27scan_by_key_config_selectorIssEEZZNS1_16scan_by_key_implILNS1_25lookback_scan_determinismE0ELb1ES3_N6thrust23THRUST_200600_302600_NS6detail15normal_iteratorINS9_10device_ptrIsEEEESE_SE_sNS9_4plusIvEENS9_8equal_toIvEEsEE10hipError_tPvRmT2_T3_T4_T5_mT6_T7_P12ihipStream_tbENKUlT_T0_E_clISt17integral_constantIbLb1EESY_IbLb0EEEEDaSU_SV_EUlSU_E_NS1_11comp_targetILNS1_3genE10ELNS1_11target_archE1200ELNS1_3gpuE4ELNS1_3repE0EEENS1_30default_config_static_selectorELNS0_4arch9wavefront6targetE1EEEvT1_
    .private_segment_fixed_size: 0
    .sgpr_count:     6
    .sgpr_spill_count: 0
    .symbol:         _ZN7rocprim17ROCPRIM_400000_NS6detail17trampoline_kernelINS0_14default_configENS1_27scan_by_key_config_selectorIssEEZZNS1_16scan_by_key_implILNS1_25lookback_scan_determinismE0ELb1ES3_N6thrust23THRUST_200600_302600_NS6detail15normal_iteratorINS9_10device_ptrIsEEEESE_SE_sNS9_4plusIvEENS9_8equal_toIvEEsEE10hipError_tPvRmT2_T3_T4_T5_mT6_T7_P12ihipStream_tbENKUlT_T0_E_clISt17integral_constantIbLb1EESY_IbLb0EEEEDaSU_SV_EUlSU_E_NS1_11comp_targetILNS1_3genE10ELNS1_11target_archE1200ELNS1_3gpuE4ELNS1_3repE0EEENS1_30default_config_static_selectorELNS0_4arch9wavefront6targetE1EEEvT1_.kd
    .uniform_work_group_size: 1
    .uses_dynamic_stack: false
    .vgpr_count:     0
    .vgpr_spill_count: 0
    .wavefront_size: 64
  - .agpr_count:     0
    .args:
      - .offset:         0
        .size:           112
        .value_kind:     by_value
    .group_segment_fixed_size: 0
    .kernarg_segment_align: 8
    .kernarg_segment_size: 112
    .language:       OpenCL C
    .language_version:
      - 2
      - 0
    .max_flat_workgroup_size: 256
    .name:           _ZN7rocprim17ROCPRIM_400000_NS6detail17trampoline_kernelINS0_14default_configENS1_27scan_by_key_config_selectorIssEEZZNS1_16scan_by_key_implILNS1_25lookback_scan_determinismE0ELb1ES3_N6thrust23THRUST_200600_302600_NS6detail15normal_iteratorINS9_10device_ptrIsEEEESE_SE_sNS9_4plusIvEENS9_8equal_toIvEEsEE10hipError_tPvRmT2_T3_T4_T5_mT6_T7_P12ihipStream_tbENKUlT_T0_E_clISt17integral_constantIbLb1EESY_IbLb0EEEEDaSU_SV_EUlSU_E_NS1_11comp_targetILNS1_3genE9ELNS1_11target_archE1100ELNS1_3gpuE3ELNS1_3repE0EEENS1_30default_config_static_selectorELNS0_4arch9wavefront6targetE1EEEvT1_
    .private_segment_fixed_size: 0
    .sgpr_count:     6
    .sgpr_spill_count: 0
    .symbol:         _ZN7rocprim17ROCPRIM_400000_NS6detail17trampoline_kernelINS0_14default_configENS1_27scan_by_key_config_selectorIssEEZZNS1_16scan_by_key_implILNS1_25lookback_scan_determinismE0ELb1ES3_N6thrust23THRUST_200600_302600_NS6detail15normal_iteratorINS9_10device_ptrIsEEEESE_SE_sNS9_4plusIvEENS9_8equal_toIvEEsEE10hipError_tPvRmT2_T3_T4_T5_mT6_T7_P12ihipStream_tbENKUlT_T0_E_clISt17integral_constantIbLb1EESY_IbLb0EEEEDaSU_SV_EUlSU_E_NS1_11comp_targetILNS1_3genE9ELNS1_11target_archE1100ELNS1_3gpuE3ELNS1_3repE0EEENS1_30default_config_static_selectorELNS0_4arch9wavefront6targetE1EEEvT1_.kd
    .uniform_work_group_size: 1
    .uses_dynamic_stack: false
    .vgpr_count:     0
    .vgpr_spill_count: 0
    .wavefront_size: 64
  - .agpr_count:     0
    .args:
      - .offset:         0
        .size:           112
        .value_kind:     by_value
    .group_segment_fixed_size: 0
    .kernarg_segment_align: 8
    .kernarg_segment_size: 112
    .language:       OpenCL C
    .language_version:
      - 2
      - 0
    .max_flat_workgroup_size: 64
    .name:           _ZN7rocprim17ROCPRIM_400000_NS6detail17trampoline_kernelINS0_14default_configENS1_27scan_by_key_config_selectorIssEEZZNS1_16scan_by_key_implILNS1_25lookback_scan_determinismE0ELb1ES3_N6thrust23THRUST_200600_302600_NS6detail15normal_iteratorINS9_10device_ptrIsEEEESE_SE_sNS9_4plusIvEENS9_8equal_toIvEEsEE10hipError_tPvRmT2_T3_T4_T5_mT6_T7_P12ihipStream_tbENKUlT_T0_E_clISt17integral_constantIbLb1EESY_IbLb0EEEEDaSU_SV_EUlSU_E_NS1_11comp_targetILNS1_3genE8ELNS1_11target_archE1030ELNS1_3gpuE2ELNS1_3repE0EEENS1_30default_config_static_selectorELNS0_4arch9wavefront6targetE1EEEvT1_
    .private_segment_fixed_size: 0
    .sgpr_count:     6
    .sgpr_spill_count: 0
    .symbol:         _ZN7rocprim17ROCPRIM_400000_NS6detail17trampoline_kernelINS0_14default_configENS1_27scan_by_key_config_selectorIssEEZZNS1_16scan_by_key_implILNS1_25lookback_scan_determinismE0ELb1ES3_N6thrust23THRUST_200600_302600_NS6detail15normal_iteratorINS9_10device_ptrIsEEEESE_SE_sNS9_4plusIvEENS9_8equal_toIvEEsEE10hipError_tPvRmT2_T3_T4_T5_mT6_T7_P12ihipStream_tbENKUlT_T0_E_clISt17integral_constantIbLb1EESY_IbLb0EEEEDaSU_SV_EUlSU_E_NS1_11comp_targetILNS1_3genE8ELNS1_11target_archE1030ELNS1_3gpuE2ELNS1_3repE0EEENS1_30default_config_static_selectorELNS0_4arch9wavefront6targetE1EEEvT1_.kd
    .uniform_work_group_size: 1
    .uses_dynamic_stack: false
    .vgpr_count:     0
    .vgpr_spill_count: 0
    .wavefront_size: 64
  - .agpr_count:     0
    .args:
      - .offset:         0
        .size:           112
        .value_kind:     by_value
    .group_segment_fixed_size: 0
    .kernarg_segment_align: 8
    .kernarg_segment_size: 112
    .language:       OpenCL C
    .language_version:
      - 2
      - 0
    .max_flat_workgroup_size: 256
    .name:           _ZN7rocprim17ROCPRIM_400000_NS6detail17trampoline_kernelINS0_14default_configENS1_27scan_by_key_config_selectorIssEEZZNS1_16scan_by_key_implILNS1_25lookback_scan_determinismE0ELb1ES3_N6thrust23THRUST_200600_302600_NS6detail15normal_iteratorINS9_10device_ptrIsEEEESE_SE_sNS9_4plusIvEENS9_8equal_toIvEEsEE10hipError_tPvRmT2_T3_T4_T5_mT6_T7_P12ihipStream_tbENKUlT_T0_E_clISt17integral_constantIbLb0EESY_IbLb1EEEEDaSU_SV_EUlSU_E_NS1_11comp_targetILNS1_3genE0ELNS1_11target_archE4294967295ELNS1_3gpuE0ELNS1_3repE0EEENS1_30default_config_static_selectorELNS0_4arch9wavefront6targetE1EEEvT1_
    .private_segment_fixed_size: 0
    .sgpr_count:     6
    .sgpr_spill_count: 0
    .symbol:         _ZN7rocprim17ROCPRIM_400000_NS6detail17trampoline_kernelINS0_14default_configENS1_27scan_by_key_config_selectorIssEEZZNS1_16scan_by_key_implILNS1_25lookback_scan_determinismE0ELb1ES3_N6thrust23THRUST_200600_302600_NS6detail15normal_iteratorINS9_10device_ptrIsEEEESE_SE_sNS9_4plusIvEENS9_8equal_toIvEEsEE10hipError_tPvRmT2_T3_T4_T5_mT6_T7_P12ihipStream_tbENKUlT_T0_E_clISt17integral_constantIbLb0EESY_IbLb1EEEEDaSU_SV_EUlSU_E_NS1_11comp_targetILNS1_3genE0ELNS1_11target_archE4294967295ELNS1_3gpuE0ELNS1_3repE0EEENS1_30default_config_static_selectorELNS0_4arch9wavefront6targetE1EEEvT1_.kd
    .uniform_work_group_size: 1
    .uses_dynamic_stack: false
    .vgpr_count:     0
    .vgpr_spill_count: 0
    .wavefront_size: 64
  - .agpr_count:     0
    .args:
      - .offset:         0
        .size:           112
        .value_kind:     by_value
    .group_segment_fixed_size: 0
    .kernarg_segment_align: 8
    .kernarg_segment_size: 112
    .language:       OpenCL C
    .language_version:
      - 2
      - 0
    .max_flat_workgroup_size: 128
    .name:           _ZN7rocprim17ROCPRIM_400000_NS6detail17trampoline_kernelINS0_14default_configENS1_27scan_by_key_config_selectorIssEEZZNS1_16scan_by_key_implILNS1_25lookback_scan_determinismE0ELb1ES3_N6thrust23THRUST_200600_302600_NS6detail15normal_iteratorINS9_10device_ptrIsEEEESE_SE_sNS9_4plusIvEENS9_8equal_toIvEEsEE10hipError_tPvRmT2_T3_T4_T5_mT6_T7_P12ihipStream_tbENKUlT_T0_E_clISt17integral_constantIbLb0EESY_IbLb1EEEEDaSU_SV_EUlSU_E_NS1_11comp_targetILNS1_3genE10ELNS1_11target_archE1201ELNS1_3gpuE5ELNS1_3repE0EEENS1_30default_config_static_selectorELNS0_4arch9wavefront6targetE1EEEvT1_
    .private_segment_fixed_size: 0
    .sgpr_count:     6
    .sgpr_spill_count: 0
    .symbol:         _ZN7rocprim17ROCPRIM_400000_NS6detail17trampoline_kernelINS0_14default_configENS1_27scan_by_key_config_selectorIssEEZZNS1_16scan_by_key_implILNS1_25lookback_scan_determinismE0ELb1ES3_N6thrust23THRUST_200600_302600_NS6detail15normal_iteratorINS9_10device_ptrIsEEEESE_SE_sNS9_4plusIvEENS9_8equal_toIvEEsEE10hipError_tPvRmT2_T3_T4_T5_mT6_T7_P12ihipStream_tbENKUlT_T0_E_clISt17integral_constantIbLb0EESY_IbLb1EEEEDaSU_SV_EUlSU_E_NS1_11comp_targetILNS1_3genE10ELNS1_11target_archE1201ELNS1_3gpuE5ELNS1_3repE0EEENS1_30default_config_static_selectorELNS0_4arch9wavefront6targetE1EEEvT1_.kd
    .uniform_work_group_size: 1
    .uses_dynamic_stack: false
    .vgpr_count:     0
    .vgpr_spill_count: 0
    .wavefront_size: 64
  - .agpr_count:     0
    .args:
      - .offset:         0
        .size:           112
        .value_kind:     by_value
    .group_segment_fixed_size: 13312
    .kernarg_segment_align: 8
    .kernarg_segment_size: 112
    .language:       OpenCL C
    .language_version:
      - 2
      - 0
    .max_flat_workgroup_size: 256
    .name:           _ZN7rocprim17ROCPRIM_400000_NS6detail17trampoline_kernelINS0_14default_configENS1_27scan_by_key_config_selectorIssEEZZNS1_16scan_by_key_implILNS1_25lookback_scan_determinismE0ELb1ES3_N6thrust23THRUST_200600_302600_NS6detail15normal_iteratorINS9_10device_ptrIsEEEESE_SE_sNS9_4plusIvEENS9_8equal_toIvEEsEE10hipError_tPvRmT2_T3_T4_T5_mT6_T7_P12ihipStream_tbENKUlT_T0_E_clISt17integral_constantIbLb0EESY_IbLb1EEEEDaSU_SV_EUlSU_E_NS1_11comp_targetILNS1_3genE5ELNS1_11target_archE942ELNS1_3gpuE9ELNS1_3repE0EEENS1_30default_config_static_selectorELNS0_4arch9wavefront6targetE1EEEvT1_
    .private_segment_fixed_size: 0
    .sgpr_count:     81
    .sgpr_spill_count: 0
    .symbol:         _ZN7rocprim17ROCPRIM_400000_NS6detail17trampoline_kernelINS0_14default_configENS1_27scan_by_key_config_selectorIssEEZZNS1_16scan_by_key_implILNS1_25lookback_scan_determinismE0ELb1ES3_N6thrust23THRUST_200600_302600_NS6detail15normal_iteratorINS9_10device_ptrIsEEEESE_SE_sNS9_4plusIvEENS9_8equal_toIvEEsEE10hipError_tPvRmT2_T3_T4_T5_mT6_T7_P12ihipStream_tbENKUlT_T0_E_clISt17integral_constantIbLb0EESY_IbLb1EEEEDaSU_SV_EUlSU_E_NS1_11comp_targetILNS1_3genE5ELNS1_11target_archE942ELNS1_3gpuE9ELNS1_3repE0EEENS1_30default_config_static_selectorELNS0_4arch9wavefront6targetE1EEEvT1_.kd
    .uniform_work_group_size: 1
    .uses_dynamic_stack: false
    .vgpr_count:     64
    .vgpr_spill_count: 0
    .wavefront_size: 64
  - .agpr_count:     0
    .args:
      - .offset:         0
        .size:           112
        .value_kind:     by_value
    .group_segment_fixed_size: 0
    .kernarg_segment_align: 8
    .kernarg_segment_size: 112
    .language:       OpenCL C
    .language_version:
      - 2
      - 0
    .max_flat_workgroup_size: 256
    .name:           _ZN7rocprim17ROCPRIM_400000_NS6detail17trampoline_kernelINS0_14default_configENS1_27scan_by_key_config_selectorIssEEZZNS1_16scan_by_key_implILNS1_25lookback_scan_determinismE0ELb1ES3_N6thrust23THRUST_200600_302600_NS6detail15normal_iteratorINS9_10device_ptrIsEEEESE_SE_sNS9_4plusIvEENS9_8equal_toIvEEsEE10hipError_tPvRmT2_T3_T4_T5_mT6_T7_P12ihipStream_tbENKUlT_T0_E_clISt17integral_constantIbLb0EESY_IbLb1EEEEDaSU_SV_EUlSU_E_NS1_11comp_targetILNS1_3genE4ELNS1_11target_archE910ELNS1_3gpuE8ELNS1_3repE0EEENS1_30default_config_static_selectorELNS0_4arch9wavefront6targetE1EEEvT1_
    .private_segment_fixed_size: 0
    .sgpr_count:     6
    .sgpr_spill_count: 0
    .symbol:         _ZN7rocprim17ROCPRIM_400000_NS6detail17trampoline_kernelINS0_14default_configENS1_27scan_by_key_config_selectorIssEEZZNS1_16scan_by_key_implILNS1_25lookback_scan_determinismE0ELb1ES3_N6thrust23THRUST_200600_302600_NS6detail15normal_iteratorINS9_10device_ptrIsEEEESE_SE_sNS9_4plusIvEENS9_8equal_toIvEEsEE10hipError_tPvRmT2_T3_T4_T5_mT6_T7_P12ihipStream_tbENKUlT_T0_E_clISt17integral_constantIbLb0EESY_IbLb1EEEEDaSU_SV_EUlSU_E_NS1_11comp_targetILNS1_3genE4ELNS1_11target_archE910ELNS1_3gpuE8ELNS1_3repE0EEENS1_30default_config_static_selectorELNS0_4arch9wavefront6targetE1EEEvT1_.kd
    .uniform_work_group_size: 1
    .uses_dynamic_stack: false
    .vgpr_count:     0
    .vgpr_spill_count: 0
    .wavefront_size: 64
  - .agpr_count:     0
    .args:
      - .offset:         0
        .size:           112
        .value_kind:     by_value
    .group_segment_fixed_size: 0
    .kernarg_segment_align: 8
    .kernarg_segment_size: 112
    .language:       OpenCL C
    .language_version:
      - 2
      - 0
    .max_flat_workgroup_size: 256
    .name:           _ZN7rocprim17ROCPRIM_400000_NS6detail17trampoline_kernelINS0_14default_configENS1_27scan_by_key_config_selectorIssEEZZNS1_16scan_by_key_implILNS1_25lookback_scan_determinismE0ELb1ES3_N6thrust23THRUST_200600_302600_NS6detail15normal_iteratorINS9_10device_ptrIsEEEESE_SE_sNS9_4plusIvEENS9_8equal_toIvEEsEE10hipError_tPvRmT2_T3_T4_T5_mT6_T7_P12ihipStream_tbENKUlT_T0_E_clISt17integral_constantIbLb0EESY_IbLb1EEEEDaSU_SV_EUlSU_E_NS1_11comp_targetILNS1_3genE3ELNS1_11target_archE908ELNS1_3gpuE7ELNS1_3repE0EEENS1_30default_config_static_selectorELNS0_4arch9wavefront6targetE1EEEvT1_
    .private_segment_fixed_size: 0
    .sgpr_count:     6
    .sgpr_spill_count: 0
    .symbol:         _ZN7rocprim17ROCPRIM_400000_NS6detail17trampoline_kernelINS0_14default_configENS1_27scan_by_key_config_selectorIssEEZZNS1_16scan_by_key_implILNS1_25lookback_scan_determinismE0ELb1ES3_N6thrust23THRUST_200600_302600_NS6detail15normal_iteratorINS9_10device_ptrIsEEEESE_SE_sNS9_4plusIvEENS9_8equal_toIvEEsEE10hipError_tPvRmT2_T3_T4_T5_mT6_T7_P12ihipStream_tbENKUlT_T0_E_clISt17integral_constantIbLb0EESY_IbLb1EEEEDaSU_SV_EUlSU_E_NS1_11comp_targetILNS1_3genE3ELNS1_11target_archE908ELNS1_3gpuE7ELNS1_3repE0EEENS1_30default_config_static_selectorELNS0_4arch9wavefront6targetE1EEEvT1_.kd
    .uniform_work_group_size: 1
    .uses_dynamic_stack: false
    .vgpr_count:     0
    .vgpr_spill_count: 0
    .wavefront_size: 64
  - .agpr_count:     0
    .args:
      - .offset:         0
        .size:           112
        .value_kind:     by_value
    .group_segment_fixed_size: 0
    .kernarg_segment_align: 8
    .kernarg_segment_size: 112
    .language:       OpenCL C
    .language_version:
      - 2
      - 0
    .max_flat_workgroup_size: 64
    .name:           _ZN7rocprim17ROCPRIM_400000_NS6detail17trampoline_kernelINS0_14default_configENS1_27scan_by_key_config_selectorIssEEZZNS1_16scan_by_key_implILNS1_25lookback_scan_determinismE0ELb1ES3_N6thrust23THRUST_200600_302600_NS6detail15normal_iteratorINS9_10device_ptrIsEEEESE_SE_sNS9_4plusIvEENS9_8equal_toIvEEsEE10hipError_tPvRmT2_T3_T4_T5_mT6_T7_P12ihipStream_tbENKUlT_T0_E_clISt17integral_constantIbLb0EESY_IbLb1EEEEDaSU_SV_EUlSU_E_NS1_11comp_targetILNS1_3genE2ELNS1_11target_archE906ELNS1_3gpuE6ELNS1_3repE0EEENS1_30default_config_static_selectorELNS0_4arch9wavefront6targetE1EEEvT1_
    .private_segment_fixed_size: 0
    .sgpr_count:     6
    .sgpr_spill_count: 0
    .symbol:         _ZN7rocprim17ROCPRIM_400000_NS6detail17trampoline_kernelINS0_14default_configENS1_27scan_by_key_config_selectorIssEEZZNS1_16scan_by_key_implILNS1_25lookback_scan_determinismE0ELb1ES3_N6thrust23THRUST_200600_302600_NS6detail15normal_iteratorINS9_10device_ptrIsEEEESE_SE_sNS9_4plusIvEENS9_8equal_toIvEEsEE10hipError_tPvRmT2_T3_T4_T5_mT6_T7_P12ihipStream_tbENKUlT_T0_E_clISt17integral_constantIbLb0EESY_IbLb1EEEEDaSU_SV_EUlSU_E_NS1_11comp_targetILNS1_3genE2ELNS1_11target_archE906ELNS1_3gpuE6ELNS1_3repE0EEENS1_30default_config_static_selectorELNS0_4arch9wavefront6targetE1EEEvT1_.kd
    .uniform_work_group_size: 1
    .uses_dynamic_stack: false
    .vgpr_count:     0
    .vgpr_spill_count: 0
    .wavefront_size: 64
  - .agpr_count:     0
    .args:
      - .offset:         0
        .size:           112
        .value_kind:     by_value
    .group_segment_fixed_size: 0
    .kernarg_segment_align: 8
    .kernarg_segment_size: 112
    .language:       OpenCL C
    .language_version:
      - 2
      - 0
    .max_flat_workgroup_size: 256
    .name:           _ZN7rocprim17ROCPRIM_400000_NS6detail17trampoline_kernelINS0_14default_configENS1_27scan_by_key_config_selectorIssEEZZNS1_16scan_by_key_implILNS1_25lookback_scan_determinismE0ELb1ES3_N6thrust23THRUST_200600_302600_NS6detail15normal_iteratorINS9_10device_ptrIsEEEESE_SE_sNS9_4plusIvEENS9_8equal_toIvEEsEE10hipError_tPvRmT2_T3_T4_T5_mT6_T7_P12ihipStream_tbENKUlT_T0_E_clISt17integral_constantIbLb0EESY_IbLb1EEEEDaSU_SV_EUlSU_E_NS1_11comp_targetILNS1_3genE10ELNS1_11target_archE1200ELNS1_3gpuE4ELNS1_3repE0EEENS1_30default_config_static_selectorELNS0_4arch9wavefront6targetE1EEEvT1_
    .private_segment_fixed_size: 0
    .sgpr_count:     6
    .sgpr_spill_count: 0
    .symbol:         _ZN7rocprim17ROCPRIM_400000_NS6detail17trampoline_kernelINS0_14default_configENS1_27scan_by_key_config_selectorIssEEZZNS1_16scan_by_key_implILNS1_25lookback_scan_determinismE0ELb1ES3_N6thrust23THRUST_200600_302600_NS6detail15normal_iteratorINS9_10device_ptrIsEEEESE_SE_sNS9_4plusIvEENS9_8equal_toIvEEsEE10hipError_tPvRmT2_T3_T4_T5_mT6_T7_P12ihipStream_tbENKUlT_T0_E_clISt17integral_constantIbLb0EESY_IbLb1EEEEDaSU_SV_EUlSU_E_NS1_11comp_targetILNS1_3genE10ELNS1_11target_archE1200ELNS1_3gpuE4ELNS1_3repE0EEENS1_30default_config_static_selectorELNS0_4arch9wavefront6targetE1EEEvT1_.kd
    .uniform_work_group_size: 1
    .uses_dynamic_stack: false
    .vgpr_count:     0
    .vgpr_spill_count: 0
    .wavefront_size: 64
  - .agpr_count:     0
    .args:
      - .offset:         0
        .size:           112
        .value_kind:     by_value
    .group_segment_fixed_size: 0
    .kernarg_segment_align: 8
    .kernarg_segment_size: 112
    .language:       OpenCL C
    .language_version:
      - 2
      - 0
    .max_flat_workgroup_size: 256
    .name:           _ZN7rocprim17ROCPRIM_400000_NS6detail17trampoline_kernelINS0_14default_configENS1_27scan_by_key_config_selectorIssEEZZNS1_16scan_by_key_implILNS1_25lookback_scan_determinismE0ELb1ES3_N6thrust23THRUST_200600_302600_NS6detail15normal_iteratorINS9_10device_ptrIsEEEESE_SE_sNS9_4plusIvEENS9_8equal_toIvEEsEE10hipError_tPvRmT2_T3_T4_T5_mT6_T7_P12ihipStream_tbENKUlT_T0_E_clISt17integral_constantIbLb0EESY_IbLb1EEEEDaSU_SV_EUlSU_E_NS1_11comp_targetILNS1_3genE9ELNS1_11target_archE1100ELNS1_3gpuE3ELNS1_3repE0EEENS1_30default_config_static_selectorELNS0_4arch9wavefront6targetE1EEEvT1_
    .private_segment_fixed_size: 0
    .sgpr_count:     6
    .sgpr_spill_count: 0
    .symbol:         _ZN7rocprim17ROCPRIM_400000_NS6detail17trampoline_kernelINS0_14default_configENS1_27scan_by_key_config_selectorIssEEZZNS1_16scan_by_key_implILNS1_25lookback_scan_determinismE0ELb1ES3_N6thrust23THRUST_200600_302600_NS6detail15normal_iteratorINS9_10device_ptrIsEEEESE_SE_sNS9_4plusIvEENS9_8equal_toIvEEsEE10hipError_tPvRmT2_T3_T4_T5_mT6_T7_P12ihipStream_tbENKUlT_T0_E_clISt17integral_constantIbLb0EESY_IbLb1EEEEDaSU_SV_EUlSU_E_NS1_11comp_targetILNS1_3genE9ELNS1_11target_archE1100ELNS1_3gpuE3ELNS1_3repE0EEENS1_30default_config_static_selectorELNS0_4arch9wavefront6targetE1EEEvT1_.kd
    .uniform_work_group_size: 1
    .uses_dynamic_stack: false
    .vgpr_count:     0
    .vgpr_spill_count: 0
    .wavefront_size: 64
  - .agpr_count:     0
    .args:
      - .offset:         0
        .size:           112
        .value_kind:     by_value
    .group_segment_fixed_size: 0
    .kernarg_segment_align: 8
    .kernarg_segment_size: 112
    .language:       OpenCL C
    .language_version:
      - 2
      - 0
    .max_flat_workgroup_size: 64
    .name:           _ZN7rocprim17ROCPRIM_400000_NS6detail17trampoline_kernelINS0_14default_configENS1_27scan_by_key_config_selectorIssEEZZNS1_16scan_by_key_implILNS1_25lookback_scan_determinismE0ELb1ES3_N6thrust23THRUST_200600_302600_NS6detail15normal_iteratorINS9_10device_ptrIsEEEESE_SE_sNS9_4plusIvEENS9_8equal_toIvEEsEE10hipError_tPvRmT2_T3_T4_T5_mT6_T7_P12ihipStream_tbENKUlT_T0_E_clISt17integral_constantIbLb0EESY_IbLb1EEEEDaSU_SV_EUlSU_E_NS1_11comp_targetILNS1_3genE8ELNS1_11target_archE1030ELNS1_3gpuE2ELNS1_3repE0EEENS1_30default_config_static_selectorELNS0_4arch9wavefront6targetE1EEEvT1_
    .private_segment_fixed_size: 0
    .sgpr_count:     6
    .sgpr_spill_count: 0
    .symbol:         _ZN7rocprim17ROCPRIM_400000_NS6detail17trampoline_kernelINS0_14default_configENS1_27scan_by_key_config_selectorIssEEZZNS1_16scan_by_key_implILNS1_25lookback_scan_determinismE0ELb1ES3_N6thrust23THRUST_200600_302600_NS6detail15normal_iteratorINS9_10device_ptrIsEEEESE_SE_sNS9_4plusIvEENS9_8equal_toIvEEsEE10hipError_tPvRmT2_T3_T4_T5_mT6_T7_P12ihipStream_tbENKUlT_T0_E_clISt17integral_constantIbLb0EESY_IbLb1EEEEDaSU_SV_EUlSU_E_NS1_11comp_targetILNS1_3genE8ELNS1_11target_archE1030ELNS1_3gpuE2ELNS1_3repE0EEENS1_30default_config_static_selectorELNS0_4arch9wavefront6targetE1EEEvT1_.kd
    .uniform_work_group_size: 1
    .uses_dynamic_stack: false
    .vgpr_count:     0
    .vgpr_spill_count: 0
    .wavefront_size: 64
  - .agpr_count:     0
    .args:
      - .offset:         0
        .size:           112
        .value_kind:     by_value
    .group_segment_fixed_size: 0
    .kernarg_segment_align: 8
    .kernarg_segment_size: 112
    .language:       OpenCL C
    .language_version:
      - 2
      - 0
    .max_flat_workgroup_size: 256
    .name:           _ZN7rocprim17ROCPRIM_400000_NS6detail17trampoline_kernelINS0_14default_configENS1_27scan_by_key_config_selectorIssEEZZNS1_16scan_by_key_implILNS1_25lookback_scan_determinismE0ELb1ES3_N6thrust23THRUST_200600_302600_NS6detail15normal_iteratorINS9_10device_ptrIsEEEESE_SE_sNS9_10multipliesIsEENS9_8equal_toIsEEsEE10hipError_tPvRmT2_T3_T4_T5_mT6_T7_P12ihipStream_tbENKUlT_T0_E_clISt17integral_constantIbLb0EESZ_EEDaSU_SV_EUlSU_E_NS1_11comp_targetILNS1_3genE0ELNS1_11target_archE4294967295ELNS1_3gpuE0ELNS1_3repE0EEENS1_30default_config_static_selectorELNS0_4arch9wavefront6targetE1EEEvT1_
    .private_segment_fixed_size: 0
    .sgpr_count:     6
    .sgpr_spill_count: 0
    .symbol:         _ZN7rocprim17ROCPRIM_400000_NS6detail17trampoline_kernelINS0_14default_configENS1_27scan_by_key_config_selectorIssEEZZNS1_16scan_by_key_implILNS1_25lookback_scan_determinismE0ELb1ES3_N6thrust23THRUST_200600_302600_NS6detail15normal_iteratorINS9_10device_ptrIsEEEESE_SE_sNS9_10multipliesIsEENS9_8equal_toIsEEsEE10hipError_tPvRmT2_T3_T4_T5_mT6_T7_P12ihipStream_tbENKUlT_T0_E_clISt17integral_constantIbLb0EESZ_EEDaSU_SV_EUlSU_E_NS1_11comp_targetILNS1_3genE0ELNS1_11target_archE4294967295ELNS1_3gpuE0ELNS1_3repE0EEENS1_30default_config_static_selectorELNS0_4arch9wavefront6targetE1EEEvT1_.kd
    .uniform_work_group_size: 1
    .uses_dynamic_stack: false
    .vgpr_count:     0
    .vgpr_spill_count: 0
    .wavefront_size: 64
  - .agpr_count:     0
    .args:
      - .offset:         0
        .size:           112
        .value_kind:     by_value
    .group_segment_fixed_size: 0
    .kernarg_segment_align: 8
    .kernarg_segment_size: 112
    .language:       OpenCL C
    .language_version:
      - 2
      - 0
    .max_flat_workgroup_size: 128
    .name:           _ZN7rocprim17ROCPRIM_400000_NS6detail17trampoline_kernelINS0_14default_configENS1_27scan_by_key_config_selectorIssEEZZNS1_16scan_by_key_implILNS1_25lookback_scan_determinismE0ELb1ES3_N6thrust23THRUST_200600_302600_NS6detail15normal_iteratorINS9_10device_ptrIsEEEESE_SE_sNS9_10multipliesIsEENS9_8equal_toIsEEsEE10hipError_tPvRmT2_T3_T4_T5_mT6_T7_P12ihipStream_tbENKUlT_T0_E_clISt17integral_constantIbLb0EESZ_EEDaSU_SV_EUlSU_E_NS1_11comp_targetILNS1_3genE10ELNS1_11target_archE1201ELNS1_3gpuE5ELNS1_3repE0EEENS1_30default_config_static_selectorELNS0_4arch9wavefront6targetE1EEEvT1_
    .private_segment_fixed_size: 0
    .sgpr_count:     6
    .sgpr_spill_count: 0
    .symbol:         _ZN7rocprim17ROCPRIM_400000_NS6detail17trampoline_kernelINS0_14default_configENS1_27scan_by_key_config_selectorIssEEZZNS1_16scan_by_key_implILNS1_25lookback_scan_determinismE0ELb1ES3_N6thrust23THRUST_200600_302600_NS6detail15normal_iteratorINS9_10device_ptrIsEEEESE_SE_sNS9_10multipliesIsEENS9_8equal_toIsEEsEE10hipError_tPvRmT2_T3_T4_T5_mT6_T7_P12ihipStream_tbENKUlT_T0_E_clISt17integral_constantIbLb0EESZ_EEDaSU_SV_EUlSU_E_NS1_11comp_targetILNS1_3genE10ELNS1_11target_archE1201ELNS1_3gpuE5ELNS1_3repE0EEENS1_30default_config_static_selectorELNS0_4arch9wavefront6targetE1EEEvT1_.kd
    .uniform_work_group_size: 1
    .uses_dynamic_stack: false
    .vgpr_count:     0
    .vgpr_spill_count: 0
    .wavefront_size: 64
  - .agpr_count:     0
    .args:
      - .offset:         0
        .size:           112
        .value_kind:     by_value
    .group_segment_fixed_size: 13312
    .kernarg_segment_align: 8
    .kernarg_segment_size: 112
    .language:       OpenCL C
    .language_version:
      - 2
      - 0
    .max_flat_workgroup_size: 256
    .name:           _ZN7rocprim17ROCPRIM_400000_NS6detail17trampoline_kernelINS0_14default_configENS1_27scan_by_key_config_selectorIssEEZZNS1_16scan_by_key_implILNS1_25lookback_scan_determinismE0ELb1ES3_N6thrust23THRUST_200600_302600_NS6detail15normal_iteratorINS9_10device_ptrIsEEEESE_SE_sNS9_10multipliesIsEENS9_8equal_toIsEEsEE10hipError_tPvRmT2_T3_T4_T5_mT6_T7_P12ihipStream_tbENKUlT_T0_E_clISt17integral_constantIbLb0EESZ_EEDaSU_SV_EUlSU_E_NS1_11comp_targetILNS1_3genE5ELNS1_11target_archE942ELNS1_3gpuE9ELNS1_3repE0EEENS1_30default_config_static_selectorELNS0_4arch9wavefront6targetE1EEEvT1_
    .private_segment_fixed_size: 0
    .sgpr_count:     85
    .sgpr_spill_count: 0
    .symbol:         _ZN7rocprim17ROCPRIM_400000_NS6detail17trampoline_kernelINS0_14default_configENS1_27scan_by_key_config_selectorIssEEZZNS1_16scan_by_key_implILNS1_25lookback_scan_determinismE0ELb1ES3_N6thrust23THRUST_200600_302600_NS6detail15normal_iteratorINS9_10device_ptrIsEEEESE_SE_sNS9_10multipliesIsEENS9_8equal_toIsEEsEE10hipError_tPvRmT2_T3_T4_T5_mT6_T7_P12ihipStream_tbENKUlT_T0_E_clISt17integral_constantIbLb0EESZ_EEDaSU_SV_EUlSU_E_NS1_11comp_targetILNS1_3genE5ELNS1_11target_archE942ELNS1_3gpuE9ELNS1_3repE0EEENS1_30default_config_static_selectorELNS0_4arch9wavefront6targetE1EEEvT1_.kd
    .uniform_work_group_size: 1
    .uses_dynamic_stack: false
    .vgpr_count:     60
    .vgpr_spill_count: 0
    .wavefront_size: 64
  - .agpr_count:     0
    .args:
      - .offset:         0
        .size:           112
        .value_kind:     by_value
    .group_segment_fixed_size: 0
    .kernarg_segment_align: 8
    .kernarg_segment_size: 112
    .language:       OpenCL C
    .language_version:
      - 2
      - 0
    .max_flat_workgroup_size: 256
    .name:           _ZN7rocprim17ROCPRIM_400000_NS6detail17trampoline_kernelINS0_14default_configENS1_27scan_by_key_config_selectorIssEEZZNS1_16scan_by_key_implILNS1_25lookback_scan_determinismE0ELb1ES3_N6thrust23THRUST_200600_302600_NS6detail15normal_iteratorINS9_10device_ptrIsEEEESE_SE_sNS9_10multipliesIsEENS9_8equal_toIsEEsEE10hipError_tPvRmT2_T3_T4_T5_mT6_T7_P12ihipStream_tbENKUlT_T0_E_clISt17integral_constantIbLb0EESZ_EEDaSU_SV_EUlSU_E_NS1_11comp_targetILNS1_3genE4ELNS1_11target_archE910ELNS1_3gpuE8ELNS1_3repE0EEENS1_30default_config_static_selectorELNS0_4arch9wavefront6targetE1EEEvT1_
    .private_segment_fixed_size: 0
    .sgpr_count:     6
    .sgpr_spill_count: 0
    .symbol:         _ZN7rocprim17ROCPRIM_400000_NS6detail17trampoline_kernelINS0_14default_configENS1_27scan_by_key_config_selectorIssEEZZNS1_16scan_by_key_implILNS1_25lookback_scan_determinismE0ELb1ES3_N6thrust23THRUST_200600_302600_NS6detail15normal_iteratorINS9_10device_ptrIsEEEESE_SE_sNS9_10multipliesIsEENS9_8equal_toIsEEsEE10hipError_tPvRmT2_T3_T4_T5_mT6_T7_P12ihipStream_tbENKUlT_T0_E_clISt17integral_constantIbLb0EESZ_EEDaSU_SV_EUlSU_E_NS1_11comp_targetILNS1_3genE4ELNS1_11target_archE910ELNS1_3gpuE8ELNS1_3repE0EEENS1_30default_config_static_selectorELNS0_4arch9wavefront6targetE1EEEvT1_.kd
    .uniform_work_group_size: 1
    .uses_dynamic_stack: false
    .vgpr_count:     0
    .vgpr_spill_count: 0
    .wavefront_size: 64
  - .agpr_count:     0
    .args:
      - .offset:         0
        .size:           112
        .value_kind:     by_value
    .group_segment_fixed_size: 0
    .kernarg_segment_align: 8
    .kernarg_segment_size: 112
    .language:       OpenCL C
    .language_version:
      - 2
      - 0
    .max_flat_workgroup_size: 256
    .name:           _ZN7rocprim17ROCPRIM_400000_NS6detail17trampoline_kernelINS0_14default_configENS1_27scan_by_key_config_selectorIssEEZZNS1_16scan_by_key_implILNS1_25lookback_scan_determinismE0ELb1ES3_N6thrust23THRUST_200600_302600_NS6detail15normal_iteratorINS9_10device_ptrIsEEEESE_SE_sNS9_10multipliesIsEENS9_8equal_toIsEEsEE10hipError_tPvRmT2_T3_T4_T5_mT6_T7_P12ihipStream_tbENKUlT_T0_E_clISt17integral_constantIbLb0EESZ_EEDaSU_SV_EUlSU_E_NS1_11comp_targetILNS1_3genE3ELNS1_11target_archE908ELNS1_3gpuE7ELNS1_3repE0EEENS1_30default_config_static_selectorELNS0_4arch9wavefront6targetE1EEEvT1_
    .private_segment_fixed_size: 0
    .sgpr_count:     6
    .sgpr_spill_count: 0
    .symbol:         _ZN7rocprim17ROCPRIM_400000_NS6detail17trampoline_kernelINS0_14default_configENS1_27scan_by_key_config_selectorIssEEZZNS1_16scan_by_key_implILNS1_25lookback_scan_determinismE0ELb1ES3_N6thrust23THRUST_200600_302600_NS6detail15normal_iteratorINS9_10device_ptrIsEEEESE_SE_sNS9_10multipliesIsEENS9_8equal_toIsEEsEE10hipError_tPvRmT2_T3_T4_T5_mT6_T7_P12ihipStream_tbENKUlT_T0_E_clISt17integral_constantIbLb0EESZ_EEDaSU_SV_EUlSU_E_NS1_11comp_targetILNS1_3genE3ELNS1_11target_archE908ELNS1_3gpuE7ELNS1_3repE0EEENS1_30default_config_static_selectorELNS0_4arch9wavefront6targetE1EEEvT1_.kd
    .uniform_work_group_size: 1
    .uses_dynamic_stack: false
    .vgpr_count:     0
    .vgpr_spill_count: 0
    .wavefront_size: 64
  - .agpr_count:     0
    .args:
      - .offset:         0
        .size:           112
        .value_kind:     by_value
    .group_segment_fixed_size: 0
    .kernarg_segment_align: 8
    .kernarg_segment_size: 112
    .language:       OpenCL C
    .language_version:
      - 2
      - 0
    .max_flat_workgroup_size: 64
    .name:           _ZN7rocprim17ROCPRIM_400000_NS6detail17trampoline_kernelINS0_14default_configENS1_27scan_by_key_config_selectorIssEEZZNS1_16scan_by_key_implILNS1_25lookback_scan_determinismE0ELb1ES3_N6thrust23THRUST_200600_302600_NS6detail15normal_iteratorINS9_10device_ptrIsEEEESE_SE_sNS9_10multipliesIsEENS9_8equal_toIsEEsEE10hipError_tPvRmT2_T3_T4_T5_mT6_T7_P12ihipStream_tbENKUlT_T0_E_clISt17integral_constantIbLb0EESZ_EEDaSU_SV_EUlSU_E_NS1_11comp_targetILNS1_3genE2ELNS1_11target_archE906ELNS1_3gpuE6ELNS1_3repE0EEENS1_30default_config_static_selectorELNS0_4arch9wavefront6targetE1EEEvT1_
    .private_segment_fixed_size: 0
    .sgpr_count:     6
    .sgpr_spill_count: 0
    .symbol:         _ZN7rocprim17ROCPRIM_400000_NS6detail17trampoline_kernelINS0_14default_configENS1_27scan_by_key_config_selectorIssEEZZNS1_16scan_by_key_implILNS1_25lookback_scan_determinismE0ELb1ES3_N6thrust23THRUST_200600_302600_NS6detail15normal_iteratorINS9_10device_ptrIsEEEESE_SE_sNS9_10multipliesIsEENS9_8equal_toIsEEsEE10hipError_tPvRmT2_T3_T4_T5_mT6_T7_P12ihipStream_tbENKUlT_T0_E_clISt17integral_constantIbLb0EESZ_EEDaSU_SV_EUlSU_E_NS1_11comp_targetILNS1_3genE2ELNS1_11target_archE906ELNS1_3gpuE6ELNS1_3repE0EEENS1_30default_config_static_selectorELNS0_4arch9wavefront6targetE1EEEvT1_.kd
    .uniform_work_group_size: 1
    .uses_dynamic_stack: false
    .vgpr_count:     0
    .vgpr_spill_count: 0
    .wavefront_size: 64
  - .agpr_count:     0
    .args:
      - .offset:         0
        .size:           112
        .value_kind:     by_value
    .group_segment_fixed_size: 0
    .kernarg_segment_align: 8
    .kernarg_segment_size: 112
    .language:       OpenCL C
    .language_version:
      - 2
      - 0
    .max_flat_workgroup_size: 256
    .name:           _ZN7rocprim17ROCPRIM_400000_NS6detail17trampoline_kernelINS0_14default_configENS1_27scan_by_key_config_selectorIssEEZZNS1_16scan_by_key_implILNS1_25lookback_scan_determinismE0ELb1ES3_N6thrust23THRUST_200600_302600_NS6detail15normal_iteratorINS9_10device_ptrIsEEEESE_SE_sNS9_10multipliesIsEENS9_8equal_toIsEEsEE10hipError_tPvRmT2_T3_T4_T5_mT6_T7_P12ihipStream_tbENKUlT_T0_E_clISt17integral_constantIbLb0EESZ_EEDaSU_SV_EUlSU_E_NS1_11comp_targetILNS1_3genE10ELNS1_11target_archE1200ELNS1_3gpuE4ELNS1_3repE0EEENS1_30default_config_static_selectorELNS0_4arch9wavefront6targetE1EEEvT1_
    .private_segment_fixed_size: 0
    .sgpr_count:     6
    .sgpr_spill_count: 0
    .symbol:         _ZN7rocprim17ROCPRIM_400000_NS6detail17trampoline_kernelINS0_14default_configENS1_27scan_by_key_config_selectorIssEEZZNS1_16scan_by_key_implILNS1_25lookback_scan_determinismE0ELb1ES3_N6thrust23THRUST_200600_302600_NS6detail15normal_iteratorINS9_10device_ptrIsEEEESE_SE_sNS9_10multipliesIsEENS9_8equal_toIsEEsEE10hipError_tPvRmT2_T3_T4_T5_mT6_T7_P12ihipStream_tbENKUlT_T0_E_clISt17integral_constantIbLb0EESZ_EEDaSU_SV_EUlSU_E_NS1_11comp_targetILNS1_3genE10ELNS1_11target_archE1200ELNS1_3gpuE4ELNS1_3repE0EEENS1_30default_config_static_selectorELNS0_4arch9wavefront6targetE1EEEvT1_.kd
    .uniform_work_group_size: 1
    .uses_dynamic_stack: false
    .vgpr_count:     0
    .vgpr_spill_count: 0
    .wavefront_size: 64
  - .agpr_count:     0
    .args:
      - .offset:         0
        .size:           112
        .value_kind:     by_value
    .group_segment_fixed_size: 0
    .kernarg_segment_align: 8
    .kernarg_segment_size: 112
    .language:       OpenCL C
    .language_version:
      - 2
      - 0
    .max_flat_workgroup_size: 256
    .name:           _ZN7rocprim17ROCPRIM_400000_NS6detail17trampoline_kernelINS0_14default_configENS1_27scan_by_key_config_selectorIssEEZZNS1_16scan_by_key_implILNS1_25lookback_scan_determinismE0ELb1ES3_N6thrust23THRUST_200600_302600_NS6detail15normal_iteratorINS9_10device_ptrIsEEEESE_SE_sNS9_10multipliesIsEENS9_8equal_toIsEEsEE10hipError_tPvRmT2_T3_T4_T5_mT6_T7_P12ihipStream_tbENKUlT_T0_E_clISt17integral_constantIbLb0EESZ_EEDaSU_SV_EUlSU_E_NS1_11comp_targetILNS1_3genE9ELNS1_11target_archE1100ELNS1_3gpuE3ELNS1_3repE0EEENS1_30default_config_static_selectorELNS0_4arch9wavefront6targetE1EEEvT1_
    .private_segment_fixed_size: 0
    .sgpr_count:     6
    .sgpr_spill_count: 0
    .symbol:         _ZN7rocprim17ROCPRIM_400000_NS6detail17trampoline_kernelINS0_14default_configENS1_27scan_by_key_config_selectorIssEEZZNS1_16scan_by_key_implILNS1_25lookback_scan_determinismE0ELb1ES3_N6thrust23THRUST_200600_302600_NS6detail15normal_iteratorINS9_10device_ptrIsEEEESE_SE_sNS9_10multipliesIsEENS9_8equal_toIsEEsEE10hipError_tPvRmT2_T3_T4_T5_mT6_T7_P12ihipStream_tbENKUlT_T0_E_clISt17integral_constantIbLb0EESZ_EEDaSU_SV_EUlSU_E_NS1_11comp_targetILNS1_3genE9ELNS1_11target_archE1100ELNS1_3gpuE3ELNS1_3repE0EEENS1_30default_config_static_selectorELNS0_4arch9wavefront6targetE1EEEvT1_.kd
    .uniform_work_group_size: 1
    .uses_dynamic_stack: false
    .vgpr_count:     0
    .vgpr_spill_count: 0
    .wavefront_size: 64
  - .agpr_count:     0
    .args:
      - .offset:         0
        .size:           112
        .value_kind:     by_value
    .group_segment_fixed_size: 0
    .kernarg_segment_align: 8
    .kernarg_segment_size: 112
    .language:       OpenCL C
    .language_version:
      - 2
      - 0
    .max_flat_workgroup_size: 64
    .name:           _ZN7rocprim17ROCPRIM_400000_NS6detail17trampoline_kernelINS0_14default_configENS1_27scan_by_key_config_selectorIssEEZZNS1_16scan_by_key_implILNS1_25lookback_scan_determinismE0ELb1ES3_N6thrust23THRUST_200600_302600_NS6detail15normal_iteratorINS9_10device_ptrIsEEEESE_SE_sNS9_10multipliesIsEENS9_8equal_toIsEEsEE10hipError_tPvRmT2_T3_T4_T5_mT6_T7_P12ihipStream_tbENKUlT_T0_E_clISt17integral_constantIbLb0EESZ_EEDaSU_SV_EUlSU_E_NS1_11comp_targetILNS1_3genE8ELNS1_11target_archE1030ELNS1_3gpuE2ELNS1_3repE0EEENS1_30default_config_static_selectorELNS0_4arch9wavefront6targetE1EEEvT1_
    .private_segment_fixed_size: 0
    .sgpr_count:     6
    .sgpr_spill_count: 0
    .symbol:         _ZN7rocprim17ROCPRIM_400000_NS6detail17trampoline_kernelINS0_14default_configENS1_27scan_by_key_config_selectorIssEEZZNS1_16scan_by_key_implILNS1_25lookback_scan_determinismE0ELb1ES3_N6thrust23THRUST_200600_302600_NS6detail15normal_iteratorINS9_10device_ptrIsEEEESE_SE_sNS9_10multipliesIsEENS9_8equal_toIsEEsEE10hipError_tPvRmT2_T3_T4_T5_mT6_T7_P12ihipStream_tbENKUlT_T0_E_clISt17integral_constantIbLb0EESZ_EEDaSU_SV_EUlSU_E_NS1_11comp_targetILNS1_3genE8ELNS1_11target_archE1030ELNS1_3gpuE2ELNS1_3repE0EEENS1_30default_config_static_selectorELNS0_4arch9wavefront6targetE1EEEvT1_.kd
    .uniform_work_group_size: 1
    .uses_dynamic_stack: false
    .vgpr_count:     0
    .vgpr_spill_count: 0
    .wavefront_size: 64
  - .agpr_count:     0
    .args:
      - .offset:         0
        .size:           112
        .value_kind:     by_value
    .group_segment_fixed_size: 0
    .kernarg_segment_align: 8
    .kernarg_segment_size: 112
    .language:       OpenCL C
    .language_version:
      - 2
      - 0
    .max_flat_workgroup_size: 256
    .name:           _ZN7rocprim17ROCPRIM_400000_NS6detail17trampoline_kernelINS0_14default_configENS1_27scan_by_key_config_selectorIssEEZZNS1_16scan_by_key_implILNS1_25lookback_scan_determinismE0ELb1ES3_N6thrust23THRUST_200600_302600_NS6detail15normal_iteratorINS9_10device_ptrIsEEEESE_SE_sNS9_10multipliesIsEENS9_8equal_toIsEEsEE10hipError_tPvRmT2_T3_T4_T5_mT6_T7_P12ihipStream_tbENKUlT_T0_E_clISt17integral_constantIbLb1EESZ_EEDaSU_SV_EUlSU_E_NS1_11comp_targetILNS1_3genE0ELNS1_11target_archE4294967295ELNS1_3gpuE0ELNS1_3repE0EEENS1_30default_config_static_selectorELNS0_4arch9wavefront6targetE1EEEvT1_
    .private_segment_fixed_size: 0
    .sgpr_count:     6
    .sgpr_spill_count: 0
    .symbol:         _ZN7rocprim17ROCPRIM_400000_NS6detail17trampoline_kernelINS0_14default_configENS1_27scan_by_key_config_selectorIssEEZZNS1_16scan_by_key_implILNS1_25lookback_scan_determinismE0ELb1ES3_N6thrust23THRUST_200600_302600_NS6detail15normal_iteratorINS9_10device_ptrIsEEEESE_SE_sNS9_10multipliesIsEENS9_8equal_toIsEEsEE10hipError_tPvRmT2_T3_T4_T5_mT6_T7_P12ihipStream_tbENKUlT_T0_E_clISt17integral_constantIbLb1EESZ_EEDaSU_SV_EUlSU_E_NS1_11comp_targetILNS1_3genE0ELNS1_11target_archE4294967295ELNS1_3gpuE0ELNS1_3repE0EEENS1_30default_config_static_selectorELNS0_4arch9wavefront6targetE1EEEvT1_.kd
    .uniform_work_group_size: 1
    .uses_dynamic_stack: false
    .vgpr_count:     0
    .vgpr_spill_count: 0
    .wavefront_size: 64
  - .agpr_count:     0
    .args:
      - .offset:         0
        .size:           112
        .value_kind:     by_value
    .group_segment_fixed_size: 0
    .kernarg_segment_align: 8
    .kernarg_segment_size: 112
    .language:       OpenCL C
    .language_version:
      - 2
      - 0
    .max_flat_workgroup_size: 128
    .name:           _ZN7rocprim17ROCPRIM_400000_NS6detail17trampoline_kernelINS0_14default_configENS1_27scan_by_key_config_selectorIssEEZZNS1_16scan_by_key_implILNS1_25lookback_scan_determinismE0ELb1ES3_N6thrust23THRUST_200600_302600_NS6detail15normal_iteratorINS9_10device_ptrIsEEEESE_SE_sNS9_10multipliesIsEENS9_8equal_toIsEEsEE10hipError_tPvRmT2_T3_T4_T5_mT6_T7_P12ihipStream_tbENKUlT_T0_E_clISt17integral_constantIbLb1EESZ_EEDaSU_SV_EUlSU_E_NS1_11comp_targetILNS1_3genE10ELNS1_11target_archE1201ELNS1_3gpuE5ELNS1_3repE0EEENS1_30default_config_static_selectorELNS0_4arch9wavefront6targetE1EEEvT1_
    .private_segment_fixed_size: 0
    .sgpr_count:     6
    .sgpr_spill_count: 0
    .symbol:         _ZN7rocprim17ROCPRIM_400000_NS6detail17trampoline_kernelINS0_14default_configENS1_27scan_by_key_config_selectorIssEEZZNS1_16scan_by_key_implILNS1_25lookback_scan_determinismE0ELb1ES3_N6thrust23THRUST_200600_302600_NS6detail15normal_iteratorINS9_10device_ptrIsEEEESE_SE_sNS9_10multipliesIsEENS9_8equal_toIsEEsEE10hipError_tPvRmT2_T3_T4_T5_mT6_T7_P12ihipStream_tbENKUlT_T0_E_clISt17integral_constantIbLb1EESZ_EEDaSU_SV_EUlSU_E_NS1_11comp_targetILNS1_3genE10ELNS1_11target_archE1201ELNS1_3gpuE5ELNS1_3repE0EEENS1_30default_config_static_selectorELNS0_4arch9wavefront6targetE1EEEvT1_.kd
    .uniform_work_group_size: 1
    .uses_dynamic_stack: false
    .vgpr_count:     0
    .vgpr_spill_count: 0
    .wavefront_size: 64
  - .agpr_count:     0
    .args:
      - .offset:         0
        .size:           112
        .value_kind:     by_value
    .group_segment_fixed_size: 13312
    .kernarg_segment_align: 8
    .kernarg_segment_size: 112
    .language:       OpenCL C
    .language_version:
      - 2
      - 0
    .max_flat_workgroup_size: 256
    .name:           _ZN7rocprim17ROCPRIM_400000_NS6detail17trampoline_kernelINS0_14default_configENS1_27scan_by_key_config_selectorIssEEZZNS1_16scan_by_key_implILNS1_25lookback_scan_determinismE0ELb1ES3_N6thrust23THRUST_200600_302600_NS6detail15normal_iteratorINS9_10device_ptrIsEEEESE_SE_sNS9_10multipliesIsEENS9_8equal_toIsEEsEE10hipError_tPvRmT2_T3_T4_T5_mT6_T7_P12ihipStream_tbENKUlT_T0_E_clISt17integral_constantIbLb1EESZ_EEDaSU_SV_EUlSU_E_NS1_11comp_targetILNS1_3genE5ELNS1_11target_archE942ELNS1_3gpuE9ELNS1_3repE0EEENS1_30default_config_static_selectorELNS0_4arch9wavefront6targetE1EEEvT1_
    .private_segment_fixed_size: 0
    .sgpr_count:     81
    .sgpr_spill_count: 0
    .symbol:         _ZN7rocprim17ROCPRIM_400000_NS6detail17trampoline_kernelINS0_14default_configENS1_27scan_by_key_config_selectorIssEEZZNS1_16scan_by_key_implILNS1_25lookback_scan_determinismE0ELb1ES3_N6thrust23THRUST_200600_302600_NS6detail15normal_iteratorINS9_10device_ptrIsEEEESE_SE_sNS9_10multipliesIsEENS9_8equal_toIsEEsEE10hipError_tPvRmT2_T3_T4_T5_mT6_T7_P12ihipStream_tbENKUlT_T0_E_clISt17integral_constantIbLb1EESZ_EEDaSU_SV_EUlSU_E_NS1_11comp_targetILNS1_3genE5ELNS1_11target_archE942ELNS1_3gpuE9ELNS1_3repE0EEENS1_30default_config_static_selectorELNS0_4arch9wavefront6targetE1EEEvT1_.kd
    .uniform_work_group_size: 1
    .uses_dynamic_stack: false
    .vgpr_count:     62
    .vgpr_spill_count: 0
    .wavefront_size: 64
  - .agpr_count:     0
    .args:
      - .offset:         0
        .size:           112
        .value_kind:     by_value
    .group_segment_fixed_size: 0
    .kernarg_segment_align: 8
    .kernarg_segment_size: 112
    .language:       OpenCL C
    .language_version:
      - 2
      - 0
    .max_flat_workgroup_size: 256
    .name:           _ZN7rocprim17ROCPRIM_400000_NS6detail17trampoline_kernelINS0_14default_configENS1_27scan_by_key_config_selectorIssEEZZNS1_16scan_by_key_implILNS1_25lookback_scan_determinismE0ELb1ES3_N6thrust23THRUST_200600_302600_NS6detail15normal_iteratorINS9_10device_ptrIsEEEESE_SE_sNS9_10multipliesIsEENS9_8equal_toIsEEsEE10hipError_tPvRmT2_T3_T4_T5_mT6_T7_P12ihipStream_tbENKUlT_T0_E_clISt17integral_constantIbLb1EESZ_EEDaSU_SV_EUlSU_E_NS1_11comp_targetILNS1_3genE4ELNS1_11target_archE910ELNS1_3gpuE8ELNS1_3repE0EEENS1_30default_config_static_selectorELNS0_4arch9wavefront6targetE1EEEvT1_
    .private_segment_fixed_size: 0
    .sgpr_count:     6
    .sgpr_spill_count: 0
    .symbol:         _ZN7rocprim17ROCPRIM_400000_NS6detail17trampoline_kernelINS0_14default_configENS1_27scan_by_key_config_selectorIssEEZZNS1_16scan_by_key_implILNS1_25lookback_scan_determinismE0ELb1ES3_N6thrust23THRUST_200600_302600_NS6detail15normal_iteratorINS9_10device_ptrIsEEEESE_SE_sNS9_10multipliesIsEENS9_8equal_toIsEEsEE10hipError_tPvRmT2_T3_T4_T5_mT6_T7_P12ihipStream_tbENKUlT_T0_E_clISt17integral_constantIbLb1EESZ_EEDaSU_SV_EUlSU_E_NS1_11comp_targetILNS1_3genE4ELNS1_11target_archE910ELNS1_3gpuE8ELNS1_3repE0EEENS1_30default_config_static_selectorELNS0_4arch9wavefront6targetE1EEEvT1_.kd
    .uniform_work_group_size: 1
    .uses_dynamic_stack: false
    .vgpr_count:     0
    .vgpr_spill_count: 0
    .wavefront_size: 64
  - .agpr_count:     0
    .args:
      - .offset:         0
        .size:           112
        .value_kind:     by_value
    .group_segment_fixed_size: 0
    .kernarg_segment_align: 8
    .kernarg_segment_size: 112
    .language:       OpenCL C
    .language_version:
      - 2
      - 0
    .max_flat_workgroup_size: 256
    .name:           _ZN7rocprim17ROCPRIM_400000_NS6detail17trampoline_kernelINS0_14default_configENS1_27scan_by_key_config_selectorIssEEZZNS1_16scan_by_key_implILNS1_25lookback_scan_determinismE0ELb1ES3_N6thrust23THRUST_200600_302600_NS6detail15normal_iteratorINS9_10device_ptrIsEEEESE_SE_sNS9_10multipliesIsEENS9_8equal_toIsEEsEE10hipError_tPvRmT2_T3_T4_T5_mT6_T7_P12ihipStream_tbENKUlT_T0_E_clISt17integral_constantIbLb1EESZ_EEDaSU_SV_EUlSU_E_NS1_11comp_targetILNS1_3genE3ELNS1_11target_archE908ELNS1_3gpuE7ELNS1_3repE0EEENS1_30default_config_static_selectorELNS0_4arch9wavefront6targetE1EEEvT1_
    .private_segment_fixed_size: 0
    .sgpr_count:     6
    .sgpr_spill_count: 0
    .symbol:         _ZN7rocprim17ROCPRIM_400000_NS6detail17trampoline_kernelINS0_14default_configENS1_27scan_by_key_config_selectorIssEEZZNS1_16scan_by_key_implILNS1_25lookback_scan_determinismE0ELb1ES3_N6thrust23THRUST_200600_302600_NS6detail15normal_iteratorINS9_10device_ptrIsEEEESE_SE_sNS9_10multipliesIsEENS9_8equal_toIsEEsEE10hipError_tPvRmT2_T3_T4_T5_mT6_T7_P12ihipStream_tbENKUlT_T0_E_clISt17integral_constantIbLb1EESZ_EEDaSU_SV_EUlSU_E_NS1_11comp_targetILNS1_3genE3ELNS1_11target_archE908ELNS1_3gpuE7ELNS1_3repE0EEENS1_30default_config_static_selectorELNS0_4arch9wavefront6targetE1EEEvT1_.kd
    .uniform_work_group_size: 1
    .uses_dynamic_stack: false
    .vgpr_count:     0
    .vgpr_spill_count: 0
    .wavefront_size: 64
  - .agpr_count:     0
    .args:
      - .offset:         0
        .size:           112
        .value_kind:     by_value
    .group_segment_fixed_size: 0
    .kernarg_segment_align: 8
    .kernarg_segment_size: 112
    .language:       OpenCL C
    .language_version:
      - 2
      - 0
    .max_flat_workgroup_size: 64
    .name:           _ZN7rocprim17ROCPRIM_400000_NS6detail17trampoline_kernelINS0_14default_configENS1_27scan_by_key_config_selectorIssEEZZNS1_16scan_by_key_implILNS1_25lookback_scan_determinismE0ELb1ES3_N6thrust23THRUST_200600_302600_NS6detail15normal_iteratorINS9_10device_ptrIsEEEESE_SE_sNS9_10multipliesIsEENS9_8equal_toIsEEsEE10hipError_tPvRmT2_T3_T4_T5_mT6_T7_P12ihipStream_tbENKUlT_T0_E_clISt17integral_constantIbLb1EESZ_EEDaSU_SV_EUlSU_E_NS1_11comp_targetILNS1_3genE2ELNS1_11target_archE906ELNS1_3gpuE6ELNS1_3repE0EEENS1_30default_config_static_selectorELNS0_4arch9wavefront6targetE1EEEvT1_
    .private_segment_fixed_size: 0
    .sgpr_count:     6
    .sgpr_spill_count: 0
    .symbol:         _ZN7rocprim17ROCPRIM_400000_NS6detail17trampoline_kernelINS0_14default_configENS1_27scan_by_key_config_selectorIssEEZZNS1_16scan_by_key_implILNS1_25lookback_scan_determinismE0ELb1ES3_N6thrust23THRUST_200600_302600_NS6detail15normal_iteratorINS9_10device_ptrIsEEEESE_SE_sNS9_10multipliesIsEENS9_8equal_toIsEEsEE10hipError_tPvRmT2_T3_T4_T5_mT6_T7_P12ihipStream_tbENKUlT_T0_E_clISt17integral_constantIbLb1EESZ_EEDaSU_SV_EUlSU_E_NS1_11comp_targetILNS1_3genE2ELNS1_11target_archE906ELNS1_3gpuE6ELNS1_3repE0EEENS1_30default_config_static_selectorELNS0_4arch9wavefront6targetE1EEEvT1_.kd
    .uniform_work_group_size: 1
    .uses_dynamic_stack: false
    .vgpr_count:     0
    .vgpr_spill_count: 0
    .wavefront_size: 64
  - .agpr_count:     0
    .args:
      - .offset:         0
        .size:           112
        .value_kind:     by_value
    .group_segment_fixed_size: 0
    .kernarg_segment_align: 8
    .kernarg_segment_size: 112
    .language:       OpenCL C
    .language_version:
      - 2
      - 0
    .max_flat_workgroup_size: 256
    .name:           _ZN7rocprim17ROCPRIM_400000_NS6detail17trampoline_kernelINS0_14default_configENS1_27scan_by_key_config_selectorIssEEZZNS1_16scan_by_key_implILNS1_25lookback_scan_determinismE0ELb1ES3_N6thrust23THRUST_200600_302600_NS6detail15normal_iteratorINS9_10device_ptrIsEEEESE_SE_sNS9_10multipliesIsEENS9_8equal_toIsEEsEE10hipError_tPvRmT2_T3_T4_T5_mT6_T7_P12ihipStream_tbENKUlT_T0_E_clISt17integral_constantIbLb1EESZ_EEDaSU_SV_EUlSU_E_NS1_11comp_targetILNS1_3genE10ELNS1_11target_archE1200ELNS1_3gpuE4ELNS1_3repE0EEENS1_30default_config_static_selectorELNS0_4arch9wavefront6targetE1EEEvT1_
    .private_segment_fixed_size: 0
    .sgpr_count:     6
    .sgpr_spill_count: 0
    .symbol:         _ZN7rocprim17ROCPRIM_400000_NS6detail17trampoline_kernelINS0_14default_configENS1_27scan_by_key_config_selectorIssEEZZNS1_16scan_by_key_implILNS1_25lookback_scan_determinismE0ELb1ES3_N6thrust23THRUST_200600_302600_NS6detail15normal_iteratorINS9_10device_ptrIsEEEESE_SE_sNS9_10multipliesIsEENS9_8equal_toIsEEsEE10hipError_tPvRmT2_T3_T4_T5_mT6_T7_P12ihipStream_tbENKUlT_T0_E_clISt17integral_constantIbLb1EESZ_EEDaSU_SV_EUlSU_E_NS1_11comp_targetILNS1_3genE10ELNS1_11target_archE1200ELNS1_3gpuE4ELNS1_3repE0EEENS1_30default_config_static_selectorELNS0_4arch9wavefront6targetE1EEEvT1_.kd
    .uniform_work_group_size: 1
    .uses_dynamic_stack: false
    .vgpr_count:     0
    .vgpr_spill_count: 0
    .wavefront_size: 64
  - .agpr_count:     0
    .args:
      - .offset:         0
        .size:           112
        .value_kind:     by_value
    .group_segment_fixed_size: 0
    .kernarg_segment_align: 8
    .kernarg_segment_size: 112
    .language:       OpenCL C
    .language_version:
      - 2
      - 0
    .max_flat_workgroup_size: 256
    .name:           _ZN7rocprim17ROCPRIM_400000_NS6detail17trampoline_kernelINS0_14default_configENS1_27scan_by_key_config_selectorIssEEZZNS1_16scan_by_key_implILNS1_25lookback_scan_determinismE0ELb1ES3_N6thrust23THRUST_200600_302600_NS6detail15normal_iteratorINS9_10device_ptrIsEEEESE_SE_sNS9_10multipliesIsEENS9_8equal_toIsEEsEE10hipError_tPvRmT2_T3_T4_T5_mT6_T7_P12ihipStream_tbENKUlT_T0_E_clISt17integral_constantIbLb1EESZ_EEDaSU_SV_EUlSU_E_NS1_11comp_targetILNS1_3genE9ELNS1_11target_archE1100ELNS1_3gpuE3ELNS1_3repE0EEENS1_30default_config_static_selectorELNS0_4arch9wavefront6targetE1EEEvT1_
    .private_segment_fixed_size: 0
    .sgpr_count:     6
    .sgpr_spill_count: 0
    .symbol:         _ZN7rocprim17ROCPRIM_400000_NS6detail17trampoline_kernelINS0_14default_configENS1_27scan_by_key_config_selectorIssEEZZNS1_16scan_by_key_implILNS1_25lookback_scan_determinismE0ELb1ES3_N6thrust23THRUST_200600_302600_NS6detail15normal_iteratorINS9_10device_ptrIsEEEESE_SE_sNS9_10multipliesIsEENS9_8equal_toIsEEsEE10hipError_tPvRmT2_T3_T4_T5_mT6_T7_P12ihipStream_tbENKUlT_T0_E_clISt17integral_constantIbLb1EESZ_EEDaSU_SV_EUlSU_E_NS1_11comp_targetILNS1_3genE9ELNS1_11target_archE1100ELNS1_3gpuE3ELNS1_3repE0EEENS1_30default_config_static_selectorELNS0_4arch9wavefront6targetE1EEEvT1_.kd
    .uniform_work_group_size: 1
    .uses_dynamic_stack: false
    .vgpr_count:     0
    .vgpr_spill_count: 0
    .wavefront_size: 64
  - .agpr_count:     0
    .args:
      - .offset:         0
        .size:           112
        .value_kind:     by_value
    .group_segment_fixed_size: 0
    .kernarg_segment_align: 8
    .kernarg_segment_size: 112
    .language:       OpenCL C
    .language_version:
      - 2
      - 0
    .max_flat_workgroup_size: 64
    .name:           _ZN7rocprim17ROCPRIM_400000_NS6detail17trampoline_kernelINS0_14default_configENS1_27scan_by_key_config_selectorIssEEZZNS1_16scan_by_key_implILNS1_25lookback_scan_determinismE0ELb1ES3_N6thrust23THRUST_200600_302600_NS6detail15normal_iteratorINS9_10device_ptrIsEEEESE_SE_sNS9_10multipliesIsEENS9_8equal_toIsEEsEE10hipError_tPvRmT2_T3_T4_T5_mT6_T7_P12ihipStream_tbENKUlT_T0_E_clISt17integral_constantIbLb1EESZ_EEDaSU_SV_EUlSU_E_NS1_11comp_targetILNS1_3genE8ELNS1_11target_archE1030ELNS1_3gpuE2ELNS1_3repE0EEENS1_30default_config_static_selectorELNS0_4arch9wavefront6targetE1EEEvT1_
    .private_segment_fixed_size: 0
    .sgpr_count:     6
    .sgpr_spill_count: 0
    .symbol:         _ZN7rocprim17ROCPRIM_400000_NS6detail17trampoline_kernelINS0_14default_configENS1_27scan_by_key_config_selectorIssEEZZNS1_16scan_by_key_implILNS1_25lookback_scan_determinismE0ELb1ES3_N6thrust23THRUST_200600_302600_NS6detail15normal_iteratorINS9_10device_ptrIsEEEESE_SE_sNS9_10multipliesIsEENS9_8equal_toIsEEsEE10hipError_tPvRmT2_T3_T4_T5_mT6_T7_P12ihipStream_tbENKUlT_T0_E_clISt17integral_constantIbLb1EESZ_EEDaSU_SV_EUlSU_E_NS1_11comp_targetILNS1_3genE8ELNS1_11target_archE1030ELNS1_3gpuE2ELNS1_3repE0EEENS1_30default_config_static_selectorELNS0_4arch9wavefront6targetE1EEEvT1_.kd
    .uniform_work_group_size: 1
    .uses_dynamic_stack: false
    .vgpr_count:     0
    .vgpr_spill_count: 0
    .wavefront_size: 64
  - .agpr_count:     0
    .args:
      - .offset:         0
        .size:           112
        .value_kind:     by_value
    .group_segment_fixed_size: 0
    .kernarg_segment_align: 8
    .kernarg_segment_size: 112
    .language:       OpenCL C
    .language_version:
      - 2
      - 0
    .max_flat_workgroup_size: 256
    .name:           _ZN7rocprim17ROCPRIM_400000_NS6detail17trampoline_kernelINS0_14default_configENS1_27scan_by_key_config_selectorIssEEZZNS1_16scan_by_key_implILNS1_25lookback_scan_determinismE0ELb1ES3_N6thrust23THRUST_200600_302600_NS6detail15normal_iteratorINS9_10device_ptrIsEEEESE_SE_sNS9_10multipliesIsEENS9_8equal_toIsEEsEE10hipError_tPvRmT2_T3_T4_T5_mT6_T7_P12ihipStream_tbENKUlT_T0_E_clISt17integral_constantIbLb1EESY_IbLb0EEEEDaSU_SV_EUlSU_E_NS1_11comp_targetILNS1_3genE0ELNS1_11target_archE4294967295ELNS1_3gpuE0ELNS1_3repE0EEENS1_30default_config_static_selectorELNS0_4arch9wavefront6targetE1EEEvT1_
    .private_segment_fixed_size: 0
    .sgpr_count:     6
    .sgpr_spill_count: 0
    .symbol:         _ZN7rocprim17ROCPRIM_400000_NS6detail17trampoline_kernelINS0_14default_configENS1_27scan_by_key_config_selectorIssEEZZNS1_16scan_by_key_implILNS1_25lookback_scan_determinismE0ELb1ES3_N6thrust23THRUST_200600_302600_NS6detail15normal_iteratorINS9_10device_ptrIsEEEESE_SE_sNS9_10multipliesIsEENS9_8equal_toIsEEsEE10hipError_tPvRmT2_T3_T4_T5_mT6_T7_P12ihipStream_tbENKUlT_T0_E_clISt17integral_constantIbLb1EESY_IbLb0EEEEDaSU_SV_EUlSU_E_NS1_11comp_targetILNS1_3genE0ELNS1_11target_archE4294967295ELNS1_3gpuE0ELNS1_3repE0EEENS1_30default_config_static_selectorELNS0_4arch9wavefront6targetE1EEEvT1_.kd
    .uniform_work_group_size: 1
    .uses_dynamic_stack: false
    .vgpr_count:     0
    .vgpr_spill_count: 0
    .wavefront_size: 64
  - .agpr_count:     0
    .args:
      - .offset:         0
        .size:           112
        .value_kind:     by_value
    .group_segment_fixed_size: 0
    .kernarg_segment_align: 8
    .kernarg_segment_size: 112
    .language:       OpenCL C
    .language_version:
      - 2
      - 0
    .max_flat_workgroup_size: 128
    .name:           _ZN7rocprim17ROCPRIM_400000_NS6detail17trampoline_kernelINS0_14default_configENS1_27scan_by_key_config_selectorIssEEZZNS1_16scan_by_key_implILNS1_25lookback_scan_determinismE0ELb1ES3_N6thrust23THRUST_200600_302600_NS6detail15normal_iteratorINS9_10device_ptrIsEEEESE_SE_sNS9_10multipliesIsEENS9_8equal_toIsEEsEE10hipError_tPvRmT2_T3_T4_T5_mT6_T7_P12ihipStream_tbENKUlT_T0_E_clISt17integral_constantIbLb1EESY_IbLb0EEEEDaSU_SV_EUlSU_E_NS1_11comp_targetILNS1_3genE10ELNS1_11target_archE1201ELNS1_3gpuE5ELNS1_3repE0EEENS1_30default_config_static_selectorELNS0_4arch9wavefront6targetE1EEEvT1_
    .private_segment_fixed_size: 0
    .sgpr_count:     6
    .sgpr_spill_count: 0
    .symbol:         _ZN7rocprim17ROCPRIM_400000_NS6detail17trampoline_kernelINS0_14default_configENS1_27scan_by_key_config_selectorIssEEZZNS1_16scan_by_key_implILNS1_25lookback_scan_determinismE0ELb1ES3_N6thrust23THRUST_200600_302600_NS6detail15normal_iteratorINS9_10device_ptrIsEEEESE_SE_sNS9_10multipliesIsEENS9_8equal_toIsEEsEE10hipError_tPvRmT2_T3_T4_T5_mT6_T7_P12ihipStream_tbENKUlT_T0_E_clISt17integral_constantIbLb1EESY_IbLb0EEEEDaSU_SV_EUlSU_E_NS1_11comp_targetILNS1_3genE10ELNS1_11target_archE1201ELNS1_3gpuE5ELNS1_3repE0EEENS1_30default_config_static_selectorELNS0_4arch9wavefront6targetE1EEEvT1_.kd
    .uniform_work_group_size: 1
    .uses_dynamic_stack: false
    .vgpr_count:     0
    .vgpr_spill_count: 0
    .wavefront_size: 64
  - .agpr_count:     0
    .args:
      - .offset:         0
        .size:           112
        .value_kind:     by_value
    .group_segment_fixed_size: 13312
    .kernarg_segment_align: 8
    .kernarg_segment_size: 112
    .language:       OpenCL C
    .language_version:
      - 2
      - 0
    .max_flat_workgroup_size: 256
    .name:           _ZN7rocprim17ROCPRIM_400000_NS6detail17trampoline_kernelINS0_14default_configENS1_27scan_by_key_config_selectorIssEEZZNS1_16scan_by_key_implILNS1_25lookback_scan_determinismE0ELb1ES3_N6thrust23THRUST_200600_302600_NS6detail15normal_iteratorINS9_10device_ptrIsEEEESE_SE_sNS9_10multipliesIsEENS9_8equal_toIsEEsEE10hipError_tPvRmT2_T3_T4_T5_mT6_T7_P12ihipStream_tbENKUlT_T0_E_clISt17integral_constantIbLb1EESY_IbLb0EEEEDaSU_SV_EUlSU_E_NS1_11comp_targetILNS1_3genE5ELNS1_11target_archE942ELNS1_3gpuE9ELNS1_3repE0EEENS1_30default_config_static_selectorELNS0_4arch9wavefront6targetE1EEEvT1_
    .private_segment_fixed_size: 0
    .sgpr_count:     85
    .sgpr_spill_count: 0
    .symbol:         _ZN7rocprim17ROCPRIM_400000_NS6detail17trampoline_kernelINS0_14default_configENS1_27scan_by_key_config_selectorIssEEZZNS1_16scan_by_key_implILNS1_25lookback_scan_determinismE0ELb1ES3_N6thrust23THRUST_200600_302600_NS6detail15normal_iteratorINS9_10device_ptrIsEEEESE_SE_sNS9_10multipliesIsEENS9_8equal_toIsEEsEE10hipError_tPvRmT2_T3_T4_T5_mT6_T7_P12ihipStream_tbENKUlT_T0_E_clISt17integral_constantIbLb1EESY_IbLb0EEEEDaSU_SV_EUlSU_E_NS1_11comp_targetILNS1_3genE5ELNS1_11target_archE942ELNS1_3gpuE9ELNS1_3repE0EEENS1_30default_config_static_selectorELNS0_4arch9wavefront6targetE1EEEvT1_.kd
    .uniform_work_group_size: 1
    .uses_dynamic_stack: false
    .vgpr_count:     60
    .vgpr_spill_count: 0
    .wavefront_size: 64
  - .agpr_count:     0
    .args:
      - .offset:         0
        .size:           112
        .value_kind:     by_value
    .group_segment_fixed_size: 0
    .kernarg_segment_align: 8
    .kernarg_segment_size: 112
    .language:       OpenCL C
    .language_version:
      - 2
      - 0
    .max_flat_workgroup_size: 256
    .name:           _ZN7rocprim17ROCPRIM_400000_NS6detail17trampoline_kernelINS0_14default_configENS1_27scan_by_key_config_selectorIssEEZZNS1_16scan_by_key_implILNS1_25lookback_scan_determinismE0ELb1ES3_N6thrust23THRUST_200600_302600_NS6detail15normal_iteratorINS9_10device_ptrIsEEEESE_SE_sNS9_10multipliesIsEENS9_8equal_toIsEEsEE10hipError_tPvRmT2_T3_T4_T5_mT6_T7_P12ihipStream_tbENKUlT_T0_E_clISt17integral_constantIbLb1EESY_IbLb0EEEEDaSU_SV_EUlSU_E_NS1_11comp_targetILNS1_3genE4ELNS1_11target_archE910ELNS1_3gpuE8ELNS1_3repE0EEENS1_30default_config_static_selectorELNS0_4arch9wavefront6targetE1EEEvT1_
    .private_segment_fixed_size: 0
    .sgpr_count:     6
    .sgpr_spill_count: 0
    .symbol:         _ZN7rocprim17ROCPRIM_400000_NS6detail17trampoline_kernelINS0_14default_configENS1_27scan_by_key_config_selectorIssEEZZNS1_16scan_by_key_implILNS1_25lookback_scan_determinismE0ELb1ES3_N6thrust23THRUST_200600_302600_NS6detail15normal_iteratorINS9_10device_ptrIsEEEESE_SE_sNS9_10multipliesIsEENS9_8equal_toIsEEsEE10hipError_tPvRmT2_T3_T4_T5_mT6_T7_P12ihipStream_tbENKUlT_T0_E_clISt17integral_constantIbLb1EESY_IbLb0EEEEDaSU_SV_EUlSU_E_NS1_11comp_targetILNS1_3genE4ELNS1_11target_archE910ELNS1_3gpuE8ELNS1_3repE0EEENS1_30default_config_static_selectorELNS0_4arch9wavefront6targetE1EEEvT1_.kd
    .uniform_work_group_size: 1
    .uses_dynamic_stack: false
    .vgpr_count:     0
    .vgpr_spill_count: 0
    .wavefront_size: 64
  - .agpr_count:     0
    .args:
      - .offset:         0
        .size:           112
        .value_kind:     by_value
    .group_segment_fixed_size: 0
    .kernarg_segment_align: 8
    .kernarg_segment_size: 112
    .language:       OpenCL C
    .language_version:
      - 2
      - 0
    .max_flat_workgroup_size: 256
    .name:           _ZN7rocprim17ROCPRIM_400000_NS6detail17trampoline_kernelINS0_14default_configENS1_27scan_by_key_config_selectorIssEEZZNS1_16scan_by_key_implILNS1_25lookback_scan_determinismE0ELb1ES3_N6thrust23THRUST_200600_302600_NS6detail15normal_iteratorINS9_10device_ptrIsEEEESE_SE_sNS9_10multipliesIsEENS9_8equal_toIsEEsEE10hipError_tPvRmT2_T3_T4_T5_mT6_T7_P12ihipStream_tbENKUlT_T0_E_clISt17integral_constantIbLb1EESY_IbLb0EEEEDaSU_SV_EUlSU_E_NS1_11comp_targetILNS1_3genE3ELNS1_11target_archE908ELNS1_3gpuE7ELNS1_3repE0EEENS1_30default_config_static_selectorELNS0_4arch9wavefront6targetE1EEEvT1_
    .private_segment_fixed_size: 0
    .sgpr_count:     6
    .sgpr_spill_count: 0
    .symbol:         _ZN7rocprim17ROCPRIM_400000_NS6detail17trampoline_kernelINS0_14default_configENS1_27scan_by_key_config_selectorIssEEZZNS1_16scan_by_key_implILNS1_25lookback_scan_determinismE0ELb1ES3_N6thrust23THRUST_200600_302600_NS6detail15normal_iteratorINS9_10device_ptrIsEEEESE_SE_sNS9_10multipliesIsEENS9_8equal_toIsEEsEE10hipError_tPvRmT2_T3_T4_T5_mT6_T7_P12ihipStream_tbENKUlT_T0_E_clISt17integral_constantIbLb1EESY_IbLb0EEEEDaSU_SV_EUlSU_E_NS1_11comp_targetILNS1_3genE3ELNS1_11target_archE908ELNS1_3gpuE7ELNS1_3repE0EEENS1_30default_config_static_selectorELNS0_4arch9wavefront6targetE1EEEvT1_.kd
    .uniform_work_group_size: 1
    .uses_dynamic_stack: false
    .vgpr_count:     0
    .vgpr_spill_count: 0
    .wavefront_size: 64
  - .agpr_count:     0
    .args:
      - .offset:         0
        .size:           112
        .value_kind:     by_value
    .group_segment_fixed_size: 0
    .kernarg_segment_align: 8
    .kernarg_segment_size: 112
    .language:       OpenCL C
    .language_version:
      - 2
      - 0
    .max_flat_workgroup_size: 64
    .name:           _ZN7rocprim17ROCPRIM_400000_NS6detail17trampoline_kernelINS0_14default_configENS1_27scan_by_key_config_selectorIssEEZZNS1_16scan_by_key_implILNS1_25lookback_scan_determinismE0ELb1ES3_N6thrust23THRUST_200600_302600_NS6detail15normal_iteratorINS9_10device_ptrIsEEEESE_SE_sNS9_10multipliesIsEENS9_8equal_toIsEEsEE10hipError_tPvRmT2_T3_T4_T5_mT6_T7_P12ihipStream_tbENKUlT_T0_E_clISt17integral_constantIbLb1EESY_IbLb0EEEEDaSU_SV_EUlSU_E_NS1_11comp_targetILNS1_3genE2ELNS1_11target_archE906ELNS1_3gpuE6ELNS1_3repE0EEENS1_30default_config_static_selectorELNS0_4arch9wavefront6targetE1EEEvT1_
    .private_segment_fixed_size: 0
    .sgpr_count:     6
    .sgpr_spill_count: 0
    .symbol:         _ZN7rocprim17ROCPRIM_400000_NS6detail17trampoline_kernelINS0_14default_configENS1_27scan_by_key_config_selectorIssEEZZNS1_16scan_by_key_implILNS1_25lookback_scan_determinismE0ELb1ES3_N6thrust23THRUST_200600_302600_NS6detail15normal_iteratorINS9_10device_ptrIsEEEESE_SE_sNS9_10multipliesIsEENS9_8equal_toIsEEsEE10hipError_tPvRmT2_T3_T4_T5_mT6_T7_P12ihipStream_tbENKUlT_T0_E_clISt17integral_constantIbLb1EESY_IbLb0EEEEDaSU_SV_EUlSU_E_NS1_11comp_targetILNS1_3genE2ELNS1_11target_archE906ELNS1_3gpuE6ELNS1_3repE0EEENS1_30default_config_static_selectorELNS0_4arch9wavefront6targetE1EEEvT1_.kd
    .uniform_work_group_size: 1
    .uses_dynamic_stack: false
    .vgpr_count:     0
    .vgpr_spill_count: 0
    .wavefront_size: 64
  - .agpr_count:     0
    .args:
      - .offset:         0
        .size:           112
        .value_kind:     by_value
    .group_segment_fixed_size: 0
    .kernarg_segment_align: 8
    .kernarg_segment_size: 112
    .language:       OpenCL C
    .language_version:
      - 2
      - 0
    .max_flat_workgroup_size: 256
    .name:           _ZN7rocprim17ROCPRIM_400000_NS6detail17trampoline_kernelINS0_14default_configENS1_27scan_by_key_config_selectorIssEEZZNS1_16scan_by_key_implILNS1_25lookback_scan_determinismE0ELb1ES3_N6thrust23THRUST_200600_302600_NS6detail15normal_iteratorINS9_10device_ptrIsEEEESE_SE_sNS9_10multipliesIsEENS9_8equal_toIsEEsEE10hipError_tPvRmT2_T3_T4_T5_mT6_T7_P12ihipStream_tbENKUlT_T0_E_clISt17integral_constantIbLb1EESY_IbLb0EEEEDaSU_SV_EUlSU_E_NS1_11comp_targetILNS1_3genE10ELNS1_11target_archE1200ELNS1_3gpuE4ELNS1_3repE0EEENS1_30default_config_static_selectorELNS0_4arch9wavefront6targetE1EEEvT1_
    .private_segment_fixed_size: 0
    .sgpr_count:     6
    .sgpr_spill_count: 0
    .symbol:         _ZN7rocprim17ROCPRIM_400000_NS6detail17trampoline_kernelINS0_14default_configENS1_27scan_by_key_config_selectorIssEEZZNS1_16scan_by_key_implILNS1_25lookback_scan_determinismE0ELb1ES3_N6thrust23THRUST_200600_302600_NS6detail15normal_iteratorINS9_10device_ptrIsEEEESE_SE_sNS9_10multipliesIsEENS9_8equal_toIsEEsEE10hipError_tPvRmT2_T3_T4_T5_mT6_T7_P12ihipStream_tbENKUlT_T0_E_clISt17integral_constantIbLb1EESY_IbLb0EEEEDaSU_SV_EUlSU_E_NS1_11comp_targetILNS1_3genE10ELNS1_11target_archE1200ELNS1_3gpuE4ELNS1_3repE0EEENS1_30default_config_static_selectorELNS0_4arch9wavefront6targetE1EEEvT1_.kd
    .uniform_work_group_size: 1
    .uses_dynamic_stack: false
    .vgpr_count:     0
    .vgpr_spill_count: 0
    .wavefront_size: 64
  - .agpr_count:     0
    .args:
      - .offset:         0
        .size:           112
        .value_kind:     by_value
    .group_segment_fixed_size: 0
    .kernarg_segment_align: 8
    .kernarg_segment_size: 112
    .language:       OpenCL C
    .language_version:
      - 2
      - 0
    .max_flat_workgroup_size: 256
    .name:           _ZN7rocprim17ROCPRIM_400000_NS6detail17trampoline_kernelINS0_14default_configENS1_27scan_by_key_config_selectorIssEEZZNS1_16scan_by_key_implILNS1_25lookback_scan_determinismE0ELb1ES3_N6thrust23THRUST_200600_302600_NS6detail15normal_iteratorINS9_10device_ptrIsEEEESE_SE_sNS9_10multipliesIsEENS9_8equal_toIsEEsEE10hipError_tPvRmT2_T3_T4_T5_mT6_T7_P12ihipStream_tbENKUlT_T0_E_clISt17integral_constantIbLb1EESY_IbLb0EEEEDaSU_SV_EUlSU_E_NS1_11comp_targetILNS1_3genE9ELNS1_11target_archE1100ELNS1_3gpuE3ELNS1_3repE0EEENS1_30default_config_static_selectorELNS0_4arch9wavefront6targetE1EEEvT1_
    .private_segment_fixed_size: 0
    .sgpr_count:     6
    .sgpr_spill_count: 0
    .symbol:         _ZN7rocprim17ROCPRIM_400000_NS6detail17trampoline_kernelINS0_14default_configENS1_27scan_by_key_config_selectorIssEEZZNS1_16scan_by_key_implILNS1_25lookback_scan_determinismE0ELb1ES3_N6thrust23THRUST_200600_302600_NS6detail15normal_iteratorINS9_10device_ptrIsEEEESE_SE_sNS9_10multipliesIsEENS9_8equal_toIsEEsEE10hipError_tPvRmT2_T3_T4_T5_mT6_T7_P12ihipStream_tbENKUlT_T0_E_clISt17integral_constantIbLb1EESY_IbLb0EEEEDaSU_SV_EUlSU_E_NS1_11comp_targetILNS1_3genE9ELNS1_11target_archE1100ELNS1_3gpuE3ELNS1_3repE0EEENS1_30default_config_static_selectorELNS0_4arch9wavefront6targetE1EEEvT1_.kd
    .uniform_work_group_size: 1
    .uses_dynamic_stack: false
    .vgpr_count:     0
    .vgpr_spill_count: 0
    .wavefront_size: 64
  - .agpr_count:     0
    .args:
      - .offset:         0
        .size:           112
        .value_kind:     by_value
    .group_segment_fixed_size: 0
    .kernarg_segment_align: 8
    .kernarg_segment_size: 112
    .language:       OpenCL C
    .language_version:
      - 2
      - 0
    .max_flat_workgroup_size: 64
    .name:           _ZN7rocprim17ROCPRIM_400000_NS6detail17trampoline_kernelINS0_14default_configENS1_27scan_by_key_config_selectorIssEEZZNS1_16scan_by_key_implILNS1_25lookback_scan_determinismE0ELb1ES3_N6thrust23THRUST_200600_302600_NS6detail15normal_iteratorINS9_10device_ptrIsEEEESE_SE_sNS9_10multipliesIsEENS9_8equal_toIsEEsEE10hipError_tPvRmT2_T3_T4_T5_mT6_T7_P12ihipStream_tbENKUlT_T0_E_clISt17integral_constantIbLb1EESY_IbLb0EEEEDaSU_SV_EUlSU_E_NS1_11comp_targetILNS1_3genE8ELNS1_11target_archE1030ELNS1_3gpuE2ELNS1_3repE0EEENS1_30default_config_static_selectorELNS0_4arch9wavefront6targetE1EEEvT1_
    .private_segment_fixed_size: 0
    .sgpr_count:     6
    .sgpr_spill_count: 0
    .symbol:         _ZN7rocprim17ROCPRIM_400000_NS6detail17trampoline_kernelINS0_14default_configENS1_27scan_by_key_config_selectorIssEEZZNS1_16scan_by_key_implILNS1_25lookback_scan_determinismE0ELb1ES3_N6thrust23THRUST_200600_302600_NS6detail15normal_iteratorINS9_10device_ptrIsEEEESE_SE_sNS9_10multipliesIsEENS9_8equal_toIsEEsEE10hipError_tPvRmT2_T3_T4_T5_mT6_T7_P12ihipStream_tbENKUlT_T0_E_clISt17integral_constantIbLb1EESY_IbLb0EEEEDaSU_SV_EUlSU_E_NS1_11comp_targetILNS1_3genE8ELNS1_11target_archE1030ELNS1_3gpuE2ELNS1_3repE0EEENS1_30default_config_static_selectorELNS0_4arch9wavefront6targetE1EEEvT1_.kd
    .uniform_work_group_size: 1
    .uses_dynamic_stack: false
    .vgpr_count:     0
    .vgpr_spill_count: 0
    .wavefront_size: 64
  - .agpr_count:     0
    .args:
      - .offset:         0
        .size:           112
        .value_kind:     by_value
    .group_segment_fixed_size: 0
    .kernarg_segment_align: 8
    .kernarg_segment_size: 112
    .language:       OpenCL C
    .language_version:
      - 2
      - 0
    .max_flat_workgroup_size: 256
    .name:           _ZN7rocprim17ROCPRIM_400000_NS6detail17trampoline_kernelINS0_14default_configENS1_27scan_by_key_config_selectorIssEEZZNS1_16scan_by_key_implILNS1_25lookback_scan_determinismE0ELb1ES3_N6thrust23THRUST_200600_302600_NS6detail15normal_iteratorINS9_10device_ptrIsEEEESE_SE_sNS9_10multipliesIsEENS9_8equal_toIsEEsEE10hipError_tPvRmT2_T3_T4_T5_mT6_T7_P12ihipStream_tbENKUlT_T0_E_clISt17integral_constantIbLb0EESY_IbLb1EEEEDaSU_SV_EUlSU_E_NS1_11comp_targetILNS1_3genE0ELNS1_11target_archE4294967295ELNS1_3gpuE0ELNS1_3repE0EEENS1_30default_config_static_selectorELNS0_4arch9wavefront6targetE1EEEvT1_
    .private_segment_fixed_size: 0
    .sgpr_count:     6
    .sgpr_spill_count: 0
    .symbol:         _ZN7rocprim17ROCPRIM_400000_NS6detail17trampoline_kernelINS0_14default_configENS1_27scan_by_key_config_selectorIssEEZZNS1_16scan_by_key_implILNS1_25lookback_scan_determinismE0ELb1ES3_N6thrust23THRUST_200600_302600_NS6detail15normal_iteratorINS9_10device_ptrIsEEEESE_SE_sNS9_10multipliesIsEENS9_8equal_toIsEEsEE10hipError_tPvRmT2_T3_T4_T5_mT6_T7_P12ihipStream_tbENKUlT_T0_E_clISt17integral_constantIbLb0EESY_IbLb1EEEEDaSU_SV_EUlSU_E_NS1_11comp_targetILNS1_3genE0ELNS1_11target_archE4294967295ELNS1_3gpuE0ELNS1_3repE0EEENS1_30default_config_static_selectorELNS0_4arch9wavefront6targetE1EEEvT1_.kd
    .uniform_work_group_size: 1
    .uses_dynamic_stack: false
    .vgpr_count:     0
    .vgpr_spill_count: 0
    .wavefront_size: 64
  - .agpr_count:     0
    .args:
      - .offset:         0
        .size:           112
        .value_kind:     by_value
    .group_segment_fixed_size: 0
    .kernarg_segment_align: 8
    .kernarg_segment_size: 112
    .language:       OpenCL C
    .language_version:
      - 2
      - 0
    .max_flat_workgroup_size: 128
    .name:           _ZN7rocprim17ROCPRIM_400000_NS6detail17trampoline_kernelINS0_14default_configENS1_27scan_by_key_config_selectorIssEEZZNS1_16scan_by_key_implILNS1_25lookback_scan_determinismE0ELb1ES3_N6thrust23THRUST_200600_302600_NS6detail15normal_iteratorINS9_10device_ptrIsEEEESE_SE_sNS9_10multipliesIsEENS9_8equal_toIsEEsEE10hipError_tPvRmT2_T3_T4_T5_mT6_T7_P12ihipStream_tbENKUlT_T0_E_clISt17integral_constantIbLb0EESY_IbLb1EEEEDaSU_SV_EUlSU_E_NS1_11comp_targetILNS1_3genE10ELNS1_11target_archE1201ELNS1_3gpuE5ELNS1_3repE0EEENS1_30default_config_static_selectorELNS0_4arch9wavefront6targetE1EEEvT1_
    .private_segment_fixed_size: 0
    .sgpr_count:     6
    .sgpr_spill_count: 0
    .symbol:         _ZN7rocprim17ROCPRIM_400000_NS6detail17trampoline_kernelINS0_14default_configENS1_27scan_by_key_config_selectorIssEEZZNS1_16scan_by_key_implILNS1_25lookback_scan_determinismE0ELb1ES3_N6thrust23THRUST_200600_302600_NS6detail15normal_iteratorINS9_10device_ptrIsEEEESE_SE_sNS9_10multipliesIsEENS9_8equal_toIsEEsEE10hipError_tPvRmT2_T3_T4_T5_mT6_T7_P12ihipStream_tbENKUlT_T0_E_clISt17integral_constantIbLb0EESY_IbLb1EEEEDaSU_SV_EUlSU_E_NS1_11comp_targetILNS1_3genE10ELNS1_11target_archE1201ELNS1_3gpuE5ELNS1_3repE0EEENS1_30default_config_static_selectorELNS0_4arch9wavefront6targetE1EEEvT1_.kd
    .uniform_work_group_size: 1
    .uses_dynamic_stack: false
    .vgpr_count:     0
    .vgpr_spill_count: 0
    .wavefront_size: 64
  - .agpr_count:     0
    .args:
      - .offset:         0
        .size:           112
        .value_kind:     by_value
    .group_segment_fixed_size: 13312
    .kernarg_segment_align: 8
    .kernarg_segment_size: 112
    .language:       OpenCL C
    .language_version:
      - 2
      - 0
    .max_flat_workgroup_size: 256
    .name:           _ZN7rocprim17ROCPRIM_400000_NS6detail17trampoline_kernelINS0_14default_configENS1_27scan_by_key_config_selectorIssEEZZNS1_16scan_by_key_implILNS1_25lookback_scan_determinismE0ELb1ES3_N6thrust23THRUST_200600_302600_NS6detail15normal_iteratorINS9_10device_ptrIsEEEESE_SE_sNS9_10multipliesIsEENS9_8equal_toIsEEsEE10hipError_tPvRmT2_T3_T4_T5_mT6_T7_P12ihipStream_tbENKUlT_T0_E_clISt17integral_constantIbLb0EESY_IbLb1EEEEDaSU_SV_EUlSU_E_NS1_11comp_targetILNS1_3genE5ELNS1_11target_archE942ELNS1_3gpuE9ELNS1_3repE0EEENS1_30default_config_static_selectorELNS0_4arch9wavefront6targetE1EEEvT1_
    .private_segment_fixed_size: 0
    .sgpr_count:     81
    .sgpr_spill_count: 0
    .symbol:         _ZN7rocprim17ROCPRIM_400000_NS6detail17trampoline_kernelINS0_14default_configENS1_27scan_by_key_config_selectorIssEEZZNS1_16scan_by_key_implILNS1_25lookback_scan_determinismE0ELb1ES3_N6thrust23THRUST_200600_302600_NS6detail15normal_iteratorINS9_10device_ptrIsEEEESE_SE_sNS9_10multipliesIsEENS9_8equal_toIsEEsEE10hipError_tPvRmT2_T3_T4_T5_mT6_T7_P12ihipStream_tbENKUlT_T0_E_clISt17integral_constantIbLb0EESY_IbLb1EEEEDaSU_SV_EUlSU_E_NS1_11comp_targetILNS1_3genE5ELNS1_11target_archE942ELNS1_3gpuE9ELNS1_3repE0EEENS1_30default_config_static_selectorELNS0_4arch9wavefront6targetE1EEEvT1_.kd
    .uniform_work_group_size: 1
    .uses_dynamic_stack: false
    .vgpr_count:     64
    .vgpr_spill_count: 0
    .wavefront_size: 64
  - .agpr_count:     0
    .args:
      - .offset:         0
        .size:           112
        .value_kind:     by_value
    .group_segment_fixed_size: 0
    .kernarg_segment_align: 8
    .kernarg_segment_size: 112
    .language:       OpenCL C
    .language_version:
      - 2
      - 0
    .max_flat_workgroup_size: 256
    .name:           _ZN7rocprim17ROCPRIM_400000_NS6detail17trampoline_kernelINS0_14default_configENS1_27scan_by_key_config_selectorIssEEZZNS1_16scan_by_key_implILNS1_25lookback_scan_determinismE0ELb1ES3_N6thrust23THRUST_200600_302600_NS6detail15normal_iteratorINS9_10device_ptrIsEEEESE_SE_sNS9_10multipliesIsEENS9_8equal_toIsEEsEE10hipError_tPvRmT2_T3_T4_T5_mT6_T7_P12ihipStream_tbENKUlT_T0_E_clISt17integral_constantIbLb0EESY_IbLb1EEEEDaSU_SV_EUlSU_E_NS1_11comp_targetILNS1_3genE4ELNS1_11target_archE910ELNS1_3gpuE8ELNS1_3repE0EEENS1_30default_config_static_selectorELNS0_4arch9wavefront6targetE1EEEvT1_
    .private_segment_fixed_size: 0
    .sgpr_count:     6
    .sgpr_spill_count: 0
    .symbol:         _ZN7rocprim17ROCPRIM_400000_NS6detail17trampoline_kernelINS0_14default_configENS1_27scan_by_key_config_selectorIssEEZZNS1_16scan_by_key_implILNS1_25lookback_scan_determinismE0ELb1ES3_N6thrust23THRUST_200600_302600_NS6detail15normal_iteratorINS9_10device_ptrIsEEEESE_SE_sNS9_10multipliesIsEENS9_8equal_toIsEEsEE10hipError_tPvRmT2_T3_T4_T5_mT6_T7_P12ihipStream_tbENKUlT_T0_E_clISt17integral_constantIbLb0EESY_IbLb1EEEEDaSU_SV_EUlSU_E_NS1_11comp_targetILNS1_3genE4ELNS1_11target_archE910ELNS1_3gpuE8ELNS1_3repE0EEENS1_30default_config_static_selectorELNS0_4arch9wavefront6targetE1EEEvT1_.kd
    .uniform_work_group_size: 1
    .uses_dynamic_stack: false
    .vgpr_count:     0
    .vgpr_spill_count: 0
    .wavefront_size: 64
  - .agpr_count:     0
    .args:
      - .offset:         0
        .size:           112
        .value_kind:     by_value
    .group_segment_fixed_size: 0
    .kernarg_segment_align: 8
    .kernarg_segment_size: 112
    .language:       OpenCL C
    .language_version:
      - 2
      - 0
    .max_flat_workgroup_size: 256
    .name:           _ZN7rocprim17ROCPRIM_400000_NS6detail17trampoline_kernelINS0_14default_configENS1_27scan_by_key_config_selectorIssEEZZNS1_16scan_by_key_implILNS1_25lookback_scan_determinismE0ELb1ES3_N6thrust23THRUST_200600_302600_NS6detail15normal_iteratorINS9_10device_ptrIsEEEESE_SE_sNS9_10multipliesIsEENS9_8equal_toIsEEsEE10hipError_tPvRmT2_T3_T4_T5_mT6_T7_P12ihipStream_tbENKUlT_T0_E_clISt17integral_constantIbLb0EESY_IbLb1EEEEDaSU_SV_EUlSU_E_NS1_11comp_targetILNS1_3genE3ELNS1_11target_archE908ELNS1_3gpuE7ELNS1_3repE0EEENS1_30default_config_static_selectorELNS0_4arch9wavefront6targetE1EEEvT1_
    .private_segment_fixed_size: 0
    .sgpr_count:     6
    .sgpr_spill_count: 0
    .symbol:         _ZN7rocprim17ROCPRIM_400000_NS6detail17trampoline_kernelINS0_14default_configENS1_27scan_by_key_config_selectorIssEEZZNS1_16scan_by_key_implILNS1_25lookback_scan_determinismE0ELb1ES3_N6thrust23THRUST_200600_302600_NS6detail15normal_iteratorINS9_10device_ptrIsEEEESE_SE_sNS9_10multipliesIsEENS9_8equal_toIsEEsEE10hipError_tPvRmT2_T3_T4_T5_mT6_T7_P12ihipStream_tbENKUlT_T0_E_clISt17integral_constantIbLb0EESY_IbLb1EEEEDaSU_SV_EUlSU_E_NS1_11comp_targetILNS1_3genE3ELNS1_11target_archE908ELNS1_3gpuE7ELNS1_3repE0EEENS1_30default_config_static_selectorELNS0_4arch9wavefront6targetE1EEEvT1_.kd
    .uniform_work_group_size: 1
    .uses_dynamic_stack: false
    .vgpr_count:     0
    .vgpr_spill_count: 0
    .wavefront_size: 64
  - .agpr_count:     0
    .args:
      - .offset:         0
        .size:           112
        .value_kind:     by_value
    .group_segment_fixed_size: 0
    .kernarg_segment_align: 8
    .kernarg_segment_size: 112
    .language:       OpenCL C
    .language_version:
      - 2
      - 0
    .max_flat_workgroup_size: 64
    .name:           _ZN7rocprim17ROCPRIM_400000_NS6detail17trampoline_kernelINS0_14default_configENS1_27scan_by_key_config_selectorIssEEZZNS1_16scan_by_key_implILNS1_25lookback_scan_determinismE0ELb1ES3_N6thrust23THRUST_200600_302600_NS6detail15normal_iteratorINS9_10device_ptrIsEEEESE_SE_sNS9_10multipliesIsEENS9_8equal_toIsEEsEE10hipError_tPvRmT2_T3_T4_T5_mT6_T7_P12ihipStream_tbENKUlT_T0_E_clISt17integral_constantIbLb0EESY_IbLb1EEEEDaSU_SV_EUlSU_E_NS1_11comp_targetILNS1_3genE2ELNS1_11target_archE906ELNS1_3gpuE6ELNS1_3repE0EEENS1_30default_config_static_selectorELNS0_4arch9wavefront6targetE1EEEvT1_
    .private_segment_fixed_size: 0
    .sgpr_count:     6
    .sgpr_spill_count: 0
    .symbol:         _ZN7rocprim17ROCPRIM_400000_NS6detail17trampoline_kernelINS0_14default_configENS1_27scan_by_key_config_selectorIssEEZZNS1_16scan_by_key_implILNS1_25lookback_scan_determinismE0ELb1ES3_N6thrust23THRUST_200600_302600_NS6detail15normal_iteratorINS9_10device_ptrIsEEEESE_SE_sNS9_10multipliesIsEENS9_8equal_toIsEEsEE10hipError_tPvRmT2_T3_T4_T5_mT6_T7_P12ihipStream_tbENKUlT_T0_E_clISt17integral_constantIbLb0EESY_IbLb1EEEEDaSU_SV_EUlSU_E_NS1_11comp_targetILNS1_3genE2ELNS1_11target_archE906ELNS1_3gpuE6ELNS1_3repE0EEENS1_30default_config_static_selectorELNS0_4arch9wavefront6targetE1EEEvT1_.kd
    .uniform_work_group_size: 1
    .uses_dynamic_stack: false
    .vgpr_count:     0
    .vgpr_spill_count: 0
    .wavefront_size: 64
  - .agpr_count:     0
    .args:
      - .offset:         0
        .size:           112
        .value_kind:     by_value
    .group_segment_fixed_size: 0
    .kernarg_segment_align: 8
    .kernarg_segment_size: 112
    .language:       OpenCL C
    .language_version:
      - 2
      - 0
    .max_flat_workgroup_size: 256
    .name:           _ZN7rocprim17ROCPRIM_400000_NS6detail17trampoline_kernelINS0_14default_configENS1_27scan_by_key_config_selectorIssEEZZNS1_16scan_by_key_implILNS1_25lookback_scan_determinismE0ELb1ES3_N6thrust23THRUST_200600_302600_NS6detail15normal_iteratorINS9_10device_ptrIsEEEESE_SE_sNS9_10multipliesIsEENS9_8equal_toIsEEsEE10hipError_tPvRmT2_T3_T4_T5_mT6_T7_P12ihipStream_tbENKUlT_T0_E_clISt17integral_constantIbLb0EESY_IbLb1EEEEDaSU_SV_EUlSU_E_NS1_11comp_targetILNS1_3genE10ELNS1_11target_archE1200ELNS1_3gpuE4ELNS1_3repE0EEENS1_30default_config_static_selectorELNS0_4arch9wavefront6targetE1EEEvT1_
    .private_segment_fixed_size: 0
    .sgpr_count:     6
    .sgpr_spill_count: 0
    .symbol:         _ZN7rocprim17ROCPRIM_400000_NS6detail17trampoline_kernelINS0_14default_configENS1_27scan_by_key_config_selectorIssEEZZNS1_16scan_by_key_implILNS1_25lookback_scan_determinismE0ELb1ES3_N6thrust23THRUST_200600_302600_NS6detail15normal_iteratorINS9_10device_ptrIsEEEESE_SE_sNS9_10multipliesIsEENS9_8equal_toIsEEsEE10hipError_tPvRmT2_T3_T4_T5_mT6_T7_P12ihipStream_tbENKUlT_T0_E_clISt17integral_constantIbLb0EESY_IbLb1EEEEDaSU_SV_EUlSU_E_NS1_11comp_targetILNS1_3genE10ELNS1_11target_archE1200ELNS1_3gpuE4ELNS1_3repE0EEENS1_30default_config_static_selectorELNS0_4arch9wavefront6targetE1EEEvT1_.kd
    .uniform_work_group_size: 1
    .uses_dynamic_stack: false
    .vgpr_count:     0
    .vgpr_spill_count: 0
    .wavefront_size: 64
  - .agpr_count:     0
    .args:
      - .offset:         0
        .size:           112
        .value_kind:     by_value
    .group_segment_fixed_size: 0
    .kernarg_segment_align: 8
    .kernarg_segment_size: 112
    .language:       OpenCL C
    .language_version:
      - 2
      - 0
    .max_flat_workgroup_size: 256
    .name:           _ZN7rocprim17ROCPRIM_400000_NS6detail17trampoline_kernelINS0_14default_configENS1_27scan_by_key_config_selectorIssEEZZNS1_16scan_by_key_implILNS1_25lookback_scan_determinismE0ELb1ES3_N6thrust23THRUST_200600_302600_NS6detail15normal_iteratorINS9_10device_ptrIsEEEESE_SE_sNS9_10multipliesIsEENS9_8equal_toIsEEsEE10hipError_tPvRmT2_T3_T4_T5_mT6_T7_P12ihipStream_tbENKUlT_T0_E_clISt17integral_constantIbLb0EESY_IbLb1EEEEDaSU_SV_EUlSU_E_NS1_11comp_targetILNS1_3genE9ELNS1_11target_archE1100ELNS1_3gpuE3ELNS1_3repE0EEENS1_30default_config_static_selectorELNS0_4arch9wavefront6targetE1EEEvT1_
    .private_segment_fixed_size: 0
    .sgpr_count:     6
    .sgpr_spill_count: 0
    .symbol:         _ZN7rocprim17ROCPRIM_400000_NS6detail17trampoline_kernelINS0_14default_configENS1_27scan_by_key_config_selectorIssEEZZNS1_16scan_by_key_implILNS1_25lookback_scan_determinismE0ELb1ES3_N6thrust23THRUST_200600_302600_NS6detail15normal_iteratorINS9_10device_ptrIsEEEESE_SE_sNS9_10multipliesIsEENS9_8equal_toIsEEsEE10hipError_tPvRmT2_T3_T4_T5_mT6_T7_P12ihipStream_tbENKUlT_T0_E_clISt17integral_constantIbLb0EESY_IbLb1EEEEDaSU_SV_EUlSU_E_NS1_11comp_targetILNS1_3genE9ELNS1_11target_archE1100ELNS1_3gpuE3ELNS1_3repE0EEENS1_30default_config_static_selectorELNS0_4arch9wavefront6targetE1EEEvT1_.kd
    .uniform_work_group_size: 1
    .uses_dynamic_stack: false
    .vgpr_count:     0
    .vgpr_spill_count: 0
    .wavefront_size: 64
  - .agpr_count:     0
    .args:
      - .offset:         0
        .size:           112
        .value_kind:     by_value
    .group_segment_fixed_size: 0
    .kernarg_segment_align: 8
    .kernarg_segment_size: 112
    .language:       OpenCL C
    .language_version:
      - 2
      - 0
    .max_flat_workgroup_size: 64
    .name:           _ZN7rocprim17ROCPRIM_400000_NS6detail17trampoline_kernelINS0_14default_configENS1_27scan_by_key_config_selectorIssEEZZNS1_16scan_by_key_implILNS1_25lookback_scan_determinismE0ELb1ES3_N6thrust23THRUST_200600_302600_NS6detail15normal_iteratorINS9_10device_ptrIsEEEESE_SE_sNS9_10multipliesIsEENS9_8equal_toIsEEsEE10hipError_tPvRmT2_T3_T4_T5_mT6_T7_P12ihipStream_tbENKUlT_T0_E_clISt17integral_constantIbLb0EESY_IbLb1EEEEDaSU_SV_EUlSU_E_NS1_11comp_targetILNS1_3genE8ELNS1_11target_archE1030ELNS1_3gpuE2ELNS1_3repE0EEENS1_30default_config_static_selectorELNS0_4arch9wavefront6targetE1EEEvT1_
    .private_segment_fixed_size: 0
    .sgpr_count:     6
    .sgpr_spill_count: 0
    .symbol:         _ZN7rocprim17ROCPRIM_400000_NS6detail17trampoline_kernelINS0_14default_configENS1_27scan_by_key_config_selectorIssEEZZNS1_16scan_by_key_implILNS1_25lookback_scan_determinismE0ELb1ES3_N6thrust23THRUST_200600_302600_NS6detail15normal_iteratorINS9_10device_ptrIsEEEESE_SE_sNS9_10multipliesIsEENS9_8equal_toIsEEsEE10hipError_tPvRmT2_T3_T4_T5_mT6_T7_P12ihipStream_tbENKUlT_T0_E_clISt17integral_constantIbLb0EESY_IbLb1EEEEDaSU_SV_EUlSU_E_NS1_11comp_targetILNS1_3genE8ELNS1_11target_archE1030ELNS1_3gpuE2ELNS1_3repE0EEENS1_30default_config_static_selectorELNS0_4arch9wavefront6targetE1EEEvT1_.kd
    .uniform_work_group_size: 1
    .uses_dynamic_stack: false
    .vgpr_count:     0
    .vgpr_spill_count: 0
    .wavefront_size: 64
  - .agpr_count:     0
    .args:
      - .offset:         0
        .size:           112
        .value_kind:     by_value
    .group_segment_fixed_size: 0
    .kernarg_segment_align: 8
    .kernarg_segment_size: 112
    .language:       OpenCL C
    .language_version:
      - 2
      - 0
    .max_flat_workgroup_size: 256
    .name:           _ZN7rocprim17ROCPRIM_400000_NS6detail17trampoline_kernelINS0_14default_configENS1_27scan_by_key_config_selectorIssEEZZNS1_16scan_by_key_implILNS1_25lookback_scan_determinismE0ELb1ES3_N6thrust23THRUST_200600_302600_NS6detail15normal_iteratorINS9_10device_ptrIsEEEESE_SE_sNS9_4plusIvEENS9_8equal_toIsEEsEE10hipError_tPvRmT2_T3_T4_T5_mT6_T7_P12ihipStream_tbENKUlT_T0_E_clISt17integral_constantIbLb0EESZ_EEDaSU_SV_EUlSU_E_NS1_11comp_targetILNS1_3genE0ELNS1_11target_archE4294967295ELNS1_3gpuE0ELNS1_3repE0EEENS1_30default_config_static_selectorELNS0_4arch9wavefront6targetE1EEEvT1_
    .private_segment_fixed_size: 0
    .sgpr_count:     6
    .sgpr_spill_count: 0
    .symbol:         _ZN7rocprim17ROCPRIM_400000_NS6detail17trampoline_kernelINS0_14default_configENS1_27scan_by_key_config_selectorIssEEZZNS1_16scan_by_key_implILNS1_25lookback_scan_determinismE0ELb1ES3_N6thrust23THRUST_200600_302600_NS6detail15normal_iteratorINS9_10device_ptrIsEEEESE_SE_sNS9_4plusIvEENS9_8equal_toIsEEsEE10hipError_tPvRmT2_T3_T4_T5_mT6_T7_P12ihipStream_tbENKUlT_T0_E_clISt17integral_constantIbLb0EESZ_EEDaSU_SV_EUlSU_E_NS1_11comp_targetILNS1_3genE0ELNS1_11target_archE4294967295ELNS1_3gpuE0ELNS1_3repE0EEENS1_30default_config_static_selectorELNS0_4arch9wavefront6targetE1EEEvT1_.kd
    .uniform_work_group_size: 1
    .uses_dynamic_stack: false
    .vgpr_count:     0
    .vgpr_spill_count: 0
    .wavefront_size: 64
  - .agpr_count:     0
    .args:
      - .offset:         0
        .size:           112
        .value_kind:     by_value
    .group_segment_fixed_size: 0
    .kernarg_segment_align: 8
    .kernarg_segment_size: 112
    .language:       OpenCL C
    .language_version:
      - 2
      - 0
    .max_flat_workgroup_size: 128
    .name:           _ZN7rocprim17ROCPRIM_400000_NS6detail17trampoline_kernelINS0_14default_configENS1_27scan_by_key_config_selectorIssEEZZNS1_16scan_by_key_implILNS1_25lookback_scan_determinismE0ELb1ES3_N6thrust23THRUST_200600_302600_NS6detail15normal_iteratorINS9_10device_ptrIsEEEESE_SE_sNS9_4plusIvEENS9_8equal_toIsEEsEE10hipError_tPvRmT2_T3_T4_T5_mT6_T7_P12ihipStream_tbENKUlT_T0_E_clISt17integral_constantIbLb0EESZ_EEDaSU_SV_EUlSU_E_NS1_11comp_targetILNS1_3genE10ELNS1_11target_archE1201ELNS1_3gpuE5ELNS1_3repE0EEENS1_30default_config_static_selectorELNS0_4arch9wavefront6targetE1EEEvT1_
    .private_segment_fixed_size: 0
    .sgpr_count:     6
    .sgpr_spill_count: 0
    .symbol:         _ZN7rocprim17ROCPRIM_400000_NS6detail17trampoline_kernelINS0_14default_configENS1_27scan_by_key_config_selectorIssEEZZNS1_16scan_by_key_implILNS1_25lookback_scan_determinismE0ELb1ES3_N6thrust23THRUST_200600_302600_NS6detail15normal_iteratorINS9_10device_ptrIsEEEESE_SE_sNS9_4plusIvEENS9_8equal_toIsEEsEE10hipError_tPvRmT2_T3_T4_T5_mT6_T7_P12ihipStream_tbENKUlT_T0_E_clISt17integral_constantIbLb0EESZ_EEDaSU_SV_EUlSU_E_NS1_11comp_targetILNS1_3genE10ELNS1_11target_archE1201ELNS1_3gpuE5ELNS1_3repE0EEENS1_30default_config_static_selectorELNS0_4arch9wavefront6targetE1EEEvT1_.kd
    .uniform_work_group_size: 1
    .uses_dynamic_stack: false
    .vgpr_count:     0
    .vgpr_spill_count: 0
    .wavefront_size: 64
  - .agpr_count:     0
    .args:
      - .offset:         0
        .size:           112
        .value_kind:     by_value
    .group_segment_fixed_size: 13312
    .kernarg_segment_align: 8
    .kernarg_segment_size: 112
    .language:       OpenCL C
    .language_version:
      - 2
      - 0
    .max_flat_workgroup_size: 256
    .name:           _ZN7rocprim17ROCPRIM_400000_NS6detail17trampoline_kernelINS0_14default_configENS1_27scan_by_key_config_selectorIssEEZZNS1_16scan_by_key_implILNS1_25lookback_scan_determinismE0ELb1ES3_N6thrust23THRUST_200600_302600_NS6detail15normal_iteratorINS9_10device_ptrIsEEEESE_SE_sNS9_4plusIvEENS9_8equal_toIsEEsEE10hipError_tPvRmT2_T3_T4_T5_mT6_T7_P12ihipStream_tbENKUlT_T0_E_clISt17integral_constantIbLb0EESZ_EEDaSU_SV_EUlSU_E_NS1_11comp_targetILNS1_3genE5ELNS1_11target_archE942ELNS1_3gpuE9ELNS1_3repE0EEENS1_30default_config_static_selectorELNS0_4arch9wavefront6targetE1EEEvT1_
    .private_segment_fixed_size: 0
    .sgpr_count:     85
    .sgpr_spill_count: 0
    .symbol:         _ZN7rocprim17ROCPRIM_400000_NS6detail17trampoline_kernelINS0_14default_configENS1_27scan_by_key_config_selectorIssEEZZNS1_16scan_by_key_implILNS1_25lookback_scan_determinismE0ELb1ES3_N6thrust23THRUST_200600_302600_NS6detail15normal_iteratorINS9_10device_ptrIsEEEESE_SE_sNS9_4plusIvEENS9_8equal_toIsEEsEE10hipError_tPvRmT2_T3_T4_T5_mT6_T7_P12ihipStream_tbENKUlT_T0_E_clISt17integral_constantIbLb0EESZ_EEDaSU_SV_EUlSU_E_NS1_11comp_targetILNS1_3genE5ELNS1_11target_archE942ELNS1_3gpuE9ELNS1_3repE0EEENS1_30default_config_static_selectorELNS0_4arch9wavefront6targetE1EEEvT1_.kd
    .uniform_work_group_size: 1
    .uses_dynamic_stack: false
    .vgpr_count:     60
    .vgpr_spill_count: 0
    .wavefront_size: 64
  - .agpr_count:     0
    .args:
      - .offset:         0
        .size:           112
        .value_kind:     by_value
    .group_segment_fixed_size: 0
    .kernarg_segment_align: 8
    .kernarg_segment_size: 112
    .language:       OpenCL C
    .language_version:
      - 2
      - 0
    .max_flat_workgroup_size: 256
    .name:           _ZN7rocprim17ROCPRIM_400000_NS6detail17trampoline_kernelINS0_14default_configENS1_27scan_by_key_config_selectorIssEEZZNS1_16scan_by_key_implILNS1_25lookback_scan_determinismE0ELb1ES3_N6thrust23THRUST_200600_302600_NS6detail15normal_iteratorINS9_10device_ptrIsEEEESE_SE_sNS9_4plusIvEENS9_8equal_toIsEEsEE10hipError_tPvRmT2_T3_T4_T5_mT6_T7_P12ihipStream_tbENKUlT_T0_E_clISt17integral_constantIbLb0EESZ_EEDaSU_SV_EUlSU_E_NS1_11comp_targetILNS1_3genE4ELNS1_11target_archE910ELNS1_3gpuE8ELNS1_3repE0EEENS1_30default_config_static_selectorELNS0_4arch9wavefront6targetE1EEEvT1_
    .private_segment_fixed_size: 0
    .sgpr_count:     6
    .sgpr_spill_count: 0
    .symbol:         _ZN7rocprim17ROCPRIM_400000_NS6detail17trampoline_kernelINS0_14default_configENS1_27scan_by_key_config_selectorIssEEZZNS1_16scan_by_key_implILNS1_25lookback_scan_determinismE0ELb1ES3_N6thrust23THRUST_200600_302600_NS6detail15normal_iteratorINS9_10device_ptrIsEEEESE_SE_sNS9_4plusIvEENS9_8equal_toIsEEsEE10hipError_tPvRmT2_T3_T4_T5_mT6_T7_P12ihipStream_tbENKUlT_T0_E_clISt17integral_constantIbLb0EESZ_EEDaSU_SV_EUlSU_E_NS1_11comp_targetILNS1_3genE4ELNS1_11target_archE910ELNS1_3gpuE8ELNS1_3repE0EEENS1_30default_config_static_selectorELNS0_4arch9wavefront6targetE1EEEvT1_.kd
    .uniform_work_group_size: 1
    .uses_dynamic_stack: false
    .vgpr_count:     0
    .vgpr_spill_count: 0
    .wavefront_size: 64
  - .agpr_count:     0
    .args:
      - .offset:         0
        .size:           112
        .value_kind:     by_value
    .group_segment_fixed_size: 0
    .kernarg_segment_align: 8
    .kernarg_segment_size: 112
    .language:       OpenCL C
    .language_version:
      - 2
      - 0
    .max_flat_workgroup_size: 256
    .name:           _ZN7rocprim17ROCPRIM_400000_NS6detail17trampoline_kernelINS0_14default_configENS1_27scan_by_key_config_selectorIssEEZZNS1_16scan_by_key_implILNS1_25lookback_scan_determinismE0ELb1ES3_N6thrust23THRUST_200600_302600_NS6detail15normal_iteratorINS9_10device_ptrIsEEEESE_SE_sNS9_4plusIvEENS9_8equal_toIsEEsEE10hipError_tPvRmT2_T3_T4_T5_mT6_T7_P12ihipStream_tbENKUlT_T0_E_clISt17integral_constantIbLb0EESZ_EEDaSU_SV_EUlSU_E_NS1_11comp_targetILNS1_3genE3ELNS1_11target_archE908ELNS1_3gpuE7ELNS1_3repE0EEENS1_30default_config_static_selectorELNS0_4arch9wavefront6targetE1EEEvT1_
    .private_segment_fixed_size: 0
    .sgpr_count:     6
    .sgpr_spill_count: 0
    .symbol:         _ZN7rocprim17ROCPRIM_400000_NS6detail17trampoline_kernelINS0_14default_configENS1_27scan_by_key_config_selectorIssEEZZNS1_16scan_by_key_implILNS1_25lookback_scan_determinismE0ELb1ES3_N6thrust23THRUST_200600_302600_NS6detail15normal_iteratorINS9_10device_ptrIsEEEESE_SE_sNS9_4plusIvEENS9_8equal_toIsEEsEE10hipError_tPvRmT2_T3_T4_T5_mT6_T7_P12ihipStream_tbENKUlT_T0_E_clISt17integral_constantIbLb0EESZ_EEDaSU_SV_EUlSU_E_NS1_11comp_targetILNS1_3genE3ELNS1_11target_archE908ELNS1_3gpuE7ELNS1_3repE0EEENS1_30default_config_static_selectorELNS0_4arch9wavefront6targetE1EEEvT1_.kd
    .uniform_work_group_size: 1
    .uses_dynamic_stack: false
    .vgpr_count:     0
    .vgpr_spill_count: 0
    .wavefront_size: 64
  - .agpr_count:     0
    .args:
      - .offset:         0
        .size:           112
        .value_kind:     by_value
    .group_segment_fixed_size: 0
    .kernarg_segment_align: 8
    .kernarg_segment_size: 112
    .language:       OpenCL C
    .language_version:
      - 2
      - 0
    .max_flat_workgroup_size: 64
    .name:           _ZN7rocprim17ROCPRIM_400000_NS6detail17trampoline_kernelINS0_14default_configENS1_27scan_by_key_config_selectorIssEEZZNS1_16scan_by_key_implILNS1_25lookback_scan_determinismE0ELb1ES3_N6thrust23THRUST_200600_302600_NS6detail15normal_iteratorINS9_10device_ptrIsEEEESE_SE_sNS9_4plusIvEENS9_8equal_toIsEEsEE10hipError_tPvRmT2_T3_T4_T5_mT6_T7_P12ihipStream_tbENKUlT_T0_E_clISt17integral_constantIbLb0EESZ_EEDaSU_SV_EUlSU_E_NS1_11comp_targetILNS1_3genE2ELNS1_11target_archE906ELNS1_3gpuE6ELNS1_3repE0EEENS1_30default_config_static_selectorELNS0_4arch9wavefront6targetE1EEEvT1_
    .private_segment_fixed_size: 0
    .sgpr_count:     6
    .sgpr_spill_count: 0
    .symbol:         _ZN7rocprim17ROCPRIM_400000_NS6detail17trampoline_kernelINS0_14default_configENS1_27scan_by_key_config_selectorIssEEZZNS1_16scan_by_key_implILNS1_25lookback_scan_determinismE0ELb1ES3_N6thrust23THRUST_200600_302600_NS6detail15normal_iteratorINS9_10device_ptrIsEEEESE_SE_sNS9_4plusIvEENS9_8equal_toIsEEsEE10hipError_tPvRmT2_T3_T4_T5_mT6_T7_P12ihipStream_tbENKUlT_T0_E_clISt17integral_constantIbLb0EESZ_EEDaSU_SV_EUlSU_E_NS1_11comp_targetILNS1_3genE2ELNS1_11target_archE906ELNS1_3gpuE6ELNS1_3repE0EEENS1_30default_config_static_selectorELNS0_4arch9wavefront6targetE1EEEvT1_.kd
    .uniform_work_group_size: 1
    .uses_dynamic_stack: false
    .vgpr_count:     0
    .vgpr_spill_count: 0
    .wavefront_size: 64
  - .agpr_count:     0
    .args:
      - .offset:         0
        .size:           112
        .value_kind:     by_value
    .group_segment_fixed_size: 0
    .kernarg_segment_align: 8
    .kernarg_segment_size: 112
    .language:       OpenCL C
    .language_version:
      - 2
      - 0
    .max_flat_workgroup_size: 256
    .name:           _ZN7rocprim17ROCPRIM_400000_NS6detail17trampoline_kernelINS0_14default_configENS1_27scan_by_key_config_selectorIssEEZZNS1_16scan_by_key_implILNS1_25lookback_scan_determinismE0ELb1ES3_N6thrust23THRUST_200600_302600_NS6detail15normal_iteratorINS9_10device_ptrIsEEEESE_SE_sNS9_4plusIvEENS9_8equal_toIsEEsEE10hipError_tPvRmT2_T3_T4_T5_mT6_T7_P12ihipStream_tbENKUlT_T0_E_clISt17integral_constantIbLb0EESZ_EEDaSU_SV_EUlSU_E_NS1_11comp_targetILNS1_3genE10ELNS1_11target_archE1200ELNS1_3gpuE4ELNS1_3repE0EEENS1_30default_config_static_selectorELNS0_4arch9wavefront6targetE1EEEvT1_
    .private_segment_fixed_size: 0
    .sgpr_count:     6
    .sgpr_spill_count: 0
    .symbol:         _ZN7rocprim17ROCPRIM_400000_NS6detail17trampoline_kernelINS0_14default_configENS1_27scan_by_key_config_selectorIssEEZZNS1_16scan_by_key_implILNS1_25lookback_scan_determinismE0ELb1ES3_N6thrust23THRUST_200600_302600_NS6detail15normal_iteratorINS9_10device_ptrIsEEEESE_SE_sNS9_4plusIvEENS9_8equal_toIsEEsEE10hipError_tPvRmT2_T3_T4_T5_mT6_T7_P12ihipStream_tbENKUlT_T0_E_clISt17integral_constantIbLb0EESZ_EEDaSU_SV_EUlSU_E_NS1_11comp_targetILNS1_3genE10ELNS1_11target_archE1200ELNS1_3gpuE4ELNS1_3repE0EEENS1_30default_config_static_selectorELNS0_4arch9wavefront6targetE1EEEvT1_.kd
    .uniform_work_group_size: 1
    .uses_dynamic_stack: false
    .vgpr_count:     0
    .vgpr_spill_count: 0
    .wavefront_size: 64
  - .agpr_count:     0
    .args:
      - .offset:         0
        .size:           112
        .value_kind:     by_value
    .group_segment_fixed_size: 0
    .kernarg_segment_align: 8
    .kernarg_segment_size: 112
    .language:       OpenCL C
    .language_version:
      - 2
      - 0
    .max_flat_workgroup_size: 256
    .name:           _ZN7rocprim17ROCPRIM_400000_NS6detail17trampoline_kernelINS0_14default_configENS1_27scan_by_key_config_selectorIssEEZZNS1_16scan_by_key_implILNS1_25lookback_scan_determinismE0ELb1ES3_N6thrust23THRUST_200600_302600_NS6detail15normal_iteratorINS9_10device_ptrIsEEEESE_SE_sNS9_4plusIvEENS9_8equal_toIsEEsEE10hipError_tPvRmT2_T3_T4_T5_mT6_T7_P12ihipStream_tbENKUlT_T0_E_clISt17integral_constantIbLb0EESZ_EEDaSU_SV_EUlSU_E_NS1_11comp_targetILNS1_3genE9ELNS1_11target_archE1100ELNS1_3gpuE3ELNS1_3repE0EEENS1_30default_config_static_selectorELNS0_4arch9wavefront6targetE1EEEvT1_
    .private_segment_fixed_size: 0
    .sgpr_count:     6
    .sgpr_spill_count: 0
    .symbol:         _ZN7rocprim17ROCPRIM_400000_NS6detail17trampoline_kernelINS0_14default_configENS1_27scan_by_key_config_selectorIssEEZZNS1_16scan_by_key_implILNS1_25lookback_scan_determinismE0ELb1ES3_N6thrust23THRUST_200600_302600_NS6detail15normal_iteratorINS9_10device_ptrIsEEEESE_SE_sNS9_4plusIvEENS9_8equal_toIsEEsEE10hipError_tPvRmT2_T3_T4_T5_mT6_T7_P12ihipStream_tbENKUlT_T0_E_clISt17integral_constantIbLb0EESZ_EEDaSU_SV_EUlSU_E_NS1_11comp_targetILNS1_3genE9ELNS1_11target_archE1100ELNS1_3gpuE3ELNS1_3repE0EEENS1_30default_config_static_selectorELNS0_4arch9wavefront6targetE1EEEvT1_.kd
    .uniform_work_group_size: 1
    .uses_dynamic_stack: false
    .vgpr_count:     0
    .vgpr_spill_count: 0
    .wavefront_size: 64
  - .agpr_count:     0
    .args:
      - .offset:         0
        .size:           112
        .value_kind:     by_value
    .group_segment_fixed_size: 0
    .kernarg_segment_align: 8
    .kernarg_segment_size: 112
    .language:       OpenCL C
    .language_version:
      - 2
      - 0
    .max_flat_workgroup_size: 64
    .name:           _ZN7rocprim17ROCPRIM_400000_NS6detail17trampoline_kernelINS0_14default_configENS1_27scan_by_key_config_selectorIssEEZZNS1_16scan_by_key_implILNS1_25lookback_scan_determinismE0ELb1ES3_N6thrust23THRUST_200600_302600_NS6detail15normal_iteratorINS9_10device_ptrIsEEEESE_SE_sNS9_4plusIvEENS9_8equal_toIsEEsEE10hipError_tPvRmT2_T3_T4_T5_mT6_T7_P12ihipStream_tbENKUlT_T0_E_clISt17integral_constantIbLb0EESZ_EEDaSU_SV_EUlSU_E_NS1_11comp_targetILNS1_3genE8ELNS1_11target_archE1030ELNS1_3gpuE2ELNS1_3repE0EEENS1_30default_config_static_selectorELNS0_4arch9wavefront6targetE1EEEvT1_
    .private_segment_fixed_size: 0
    .sgpr_count:     6
    .sgpr_spill_count: 0
    .symbol:         _ZN7rocprim17ROCPRIM_400000_NS6detail17trampoline_kernelINS0_14default_configENS1_27scan_by_key_config_selectorIssEEZZNS1_16scan_by_key_implILNS1_25lookback_scan_determinismE0ELb1ES3_N6thrust23THRUST_200600_302600_NS6detail15normal_iteratorINS9_10device_ptrIsEEEESE_SE_sNS9_4plusIvEENS9_8equal_toIsEEsEE10hipError_tPvRmT2_T3_T4_T5_mT6_T7_P12ihipStream_tbENKUlT_T0_E_clISt17integral_constantIbLb0EESZ_EEDaSU_SV_EUlSU_E_NS1_11comp_targetILNS1_3genE8ELNS1_11target_archE1030ELNS1_3gpuE2ELNS1_3repE0EEENS1_30default_config_static_selectorELNS0_4arch9wavefront6targetE1EEEvT1_.kd
    .uniform_work_group_size: 1
    .uses_dynamic_stack: false
    .vgpr_count:     0
    .vgpr_spill_count: 0
    .wavefront_size: 64
  - .agpr_count:     0
    .args:
      - .offset:         0
        .size:           112
        .value_kind:     by_value
    .group_segment_fixed_size: 0
    .kernarg_segment_align: 8
    .kernarg_segment_size: 112
    .language:       OpenCL C
    .language_version:
      - 2
      - 0
    .max_flat_workgroup_size: 256
    .name:           _ZN7rocprim17ROCPRIM_400000_NS6detail17trampoline_kernelINS0_14default_configENS1_27scan_by_key_config_selectorIssEEZZNS1_16scan_by_key_implILNS1_25lookback_scan_determinismE0ELb1ES3_N6thrust23THRUST_200600_302600_NS6detail15normal_iteratorINS9_10device_ptrIsEEEESE_SE_sNS9_4plusIvEENS9_8equal_toIsEEsEE10hipError_tPvRmT2_T3_T4_T5_mT6_T7_P12ihipStream_tbENKUlT_T0_E_clISt17integral_constantIbLb1EESZ_EEDaSU_SV_EUlSU_E_NS1_11comp_targetILNS1_3genE0ELNS1_11target_archE4294967295ELNS1_3gpuE0ELNS1_3repE0EEENS1_30default_config_static_selectorELNS0_4arch9wavefront6targetE1EEEvT1_
    .private_segment_fixed_size: 0
    .sgpr_count:     6
    .sgpr_spill_count: 0
    .symbol:         _ZN7rocprim17ROCPRIM_400000_NS6detail17trampoline_kernelINS0_14default_configENS1_27scan_by_key_config_selectorIssEEZZNS1_16scan_by_key_implILNS1_25lookback_scan_determinismE0ELb1ES3_N6thrust23THRUST_200600_302600_NS6detail15normal_iteratorINS9_10device_ptrIsEEEESE_SE_sNS9_4plusIvEENS9_8equal_toIsEEsEE10hipError_tPvRmT2_T3_T4_T5_mT6_T7_P12ihipStream_tbENKUlT_T0_E_clISt17integral_constantIbLb1EESZ_EEDaSU_SV_EUlSU_E_NS1_11comp_targetILNS1_3genE0ELNS1_11target_archE4294967295ELNS1_3gpuE0ELNS1_3repE0EEENS1_30default_config_static_selectorELNS0_4arch9wavefront6targetE1EEEvT1_.kd
    .uniform_work_group_size: 1
    .uses_dynamic_stack: false
    .vgpr_count:     0
    .vgpr_spill_count: 0
    .wavefront_size: 64
  - .agpr_count:     0
    .args:
      - .offset:         0
        .size:           112
        .value_kind:     by_value
    .group_segment_fixed_size: 0
    .kernarg_segment_align: 8
    .kernarg_segment_size: 112
    .language:       OpenCL C
    .language_version:
      - 2
      - 0
    .max_flat_workgroup_size: 128
    .name:           _ZN7rocprim17ROCPRIM_400000_NS6detail17trampoline_kernelINS0_14default_configENS1_27scan_by_key_config_selectorIssEEZZNS1_16scan_by_key_implILNS1_25lookback_scan_determinismE0ELb1ES3_N6thrust23THRUST_200600_302600_NS6detail15normal_iteratorINS9_10device_ptrIsEEEESE_SE_sNS9_4plusIvEENS9_8equal_toIsEEsEE10hipError_tPvRmT2_T3_T4_T5_mT6_T7_P12ihipStream_tbENKUlT_T0_E_clISt17integral_constantIbLb1EESZ_EEDaSU_SV_EUlSU_E_NS1_11comp_targetILNS1_3genE10ELNS1_11target_archE1201ELNS1_3gpuE5ELNS1_3repE0EEENS1_30default_config_static_selectorELNS0_4arch9wavefront6targetE1EEEvT1_
    .private_segment_fixed_size: 0
    .sgpr_count:     6
    .sgpr_spill_count: 0
    .symbol:         _ZN7rocprim17ROCPRIM_400000_NS6detail17trampoline_kernelINS0_14default_configENS1_27scan_by_key_config_selectorIssEEZZNS1_16scan_by_key_implILNS1_25lookback_scan_determinismE0ELb1ES3_N6thrust23THRUST_200600_302600_NS6detail15normal_iteratorINS9_10device_ptrIsEEEESE_SE_sNS9_4plusIvEENS9_8equal_toIsEEsEE10hipError_tPvRmT2_T3_T4_T5_mT6_T7_P12ihipStream_tbENKUlT_T0_E_clISt17integral_constantIbLb1EESZ_EEDaSU_SV_EUlSU_E_NS1_11comp_targetILNS1_3genE10ELNS1_11target_archE1201ELNS1_3gpuE5ELNS1_3repE0EEENS1_30default_config_static_selectorELNS0_4arch9wavefront6targetE1EEEvT1_.kd
    .uniform_work_group_size: 1
    .uses_dynamic_stack: false
    .vgpr_count:     0
    .vgpr_spill_count: 0
    .wavefront_size: 64
  - .agpr_count:     0
    .args:
      - .offset:         0
        .size:           112
        .value_kind:     by_value
    .group_segment_fixed_size: 13312
    .kernarg_segment_align: 8
    .kernarg_segment_size: 112
    .language:       OpenCL C
    .language_version:
      - 2
      - 0
    .max_flat_workgroup_size: 256
    .name:           _ZN7rocprim17ROCPRIM_400000_NS6detail17trampoline_kernelINS0_14default_configENS1_27scan_by_key_config_selectorIssEEZZNS1_16scan_by_key_implILNS1_25lookback_scan_determinismE0ELb1ES3_N6thrust23THRUST_200600_302600_NS6detail15normal_iteratorINS9_10device_ptrIsEEEESE_SE_sNS9_4plusIvEENS9_8equal_toIsEEsEE10hipError_tPvRmT2_T3_T4_T5_mT6_T7_P12ihipStream_tbENKUlT_T0_E_clISt17integral_constantIbLb1EESZ_EEDaSU_SV_EUlSU_E_NS1_11comp_targetILNS1_3genE5ELNS1_11target_archE942ELNS1_3gpuE9ELNS1_3repE0EEENS1_30default_config_static_selectorELNS0_4arch9wavefront6targetE1EEEvT1_
    .private_segment_fixed_size: 0
    .sgpr_count:     81
    .sgpr_spill_count: 0
    .symbol:         _ZN7rocprim17ROCPRIM_400000_NS6detail17trampoline_kernelINS0_14default_configENS1_27scan_by_key_config_selectorIssEEZZNS1_16scan_by_key_implILNS1_25lookback_scan_determinismE0ELb1ES3_N6thrust23THRUST_200600_302600_NS6detail15normal_iteratorINS9_10device_ptrIsEEEESE_SE_sNS9_4plusIvEENS9_8equal_toIsEEsEE10hipError_tPvRmT2_T3_T4_T5_mT6_T7_P12ihipStream_tbENKUlT_T0_E_clISt17integral_constantIbLb1EESZ_EEDaSU_SV_EUlSU_E_NS1_11comp_targetILNS1_3genE5ELNS1_11target_archE942ELNS1_3gpuE9ELNS1_3repE0EEENS1_30default_config_static_selectorELNS0_4arch9wavefront6targetE1EEEvT1_.kd
    .uniform_work_group_size: 1
    .uses_dynamic_stack: false
    .vgpr_count:     62
    .vgpr_spill_count: 0
    .wavefront_size: 64
  - .agpr_count:     0
    .args:
      - .offset:         0
        .size:           112
        .value_kind:     by_value
    .group_segment_fixed_size: 0
    .kernarg_segment_align: 8
    .kernarg_segment_size: 112
    .language:       OpenCL C
    .language_version:
      - 2
      - 0
    .max_flat_workgroup_size: 256
    .name:           _ZN7rocprim17ROCPRIM_400000_NS6detail17trampoline_kernelINS0_14default_configENS1_27scan_by_key_config_selectorIssEEZZNS1_16scan_by_key_implILNS1_25lookback_scan_determinismE0ELb1ES3_N6thrust23THRUST_200600_302600_NS6detail15normal_iteratorINS9_10device_ptrIsEEEESE_SE_sNS9_4plusIvEENS9_8equal_toIsEEsEE10hipError_tPvRmT2_T3_T4_T5_mT6_T7_P12ihipStream_tbENKUlT_T0_E_clISt17integral_constantIbLb1EESZ_EEDaSU_SV_EUlSU_E_NS1_11comp_targetILNS1_3genE4ELNS1_11target_archE910ELNS1_3gpuE8ELNS1_3repE0EEENS1_30default_config_static_selectorELNS0_4arch9wavefront6targetE1EEEvT1_
    .private_segment_fixed_size: 0
    .sgpr_count:     6
    .sgpr_spill_count: 0
    .symbol:         _ZN7rocprim17ROCPRIM_400000_NS6detail17trampoline_kernelINS0_14default_configENS1_27scan_by_key_config_selectorIssEEZZNS1_16scan_by_key_implILNS1_25lookback_scan_determinismE0ELb1ES3_N6thrust23THRUST_200600_302600_NS6detail15normal_iteratorINS9_10device_ptrIsEEEESE_SE_sNS9_4plusIvEENS9_8equal_toIsEEsEE10hipError_tPvRmT2_T3_T4_T5_mT6_T7_P12ihipStream_tbENKUlT_T0_E_clISt17integral_constantIbLb1EESZ_EEDaSU_SV_EUlSU_E_NS1_11comp_targetILNS1_3genE4ELNS1_11target_archE910ELNS1_3gpuE8ELNS1_3repE0EEENS1_30default_config_static_selectorELNS0_4arch9wavefront6targetE1EEEvT1_.kd
    .uniform_work_group_size: 1
    .uses_dynamic_stack: false
    .vgpr_count:     0
    .vgpr_spill_count: 0
    .wavefront_size: 64
  - .agpr_count:     0
    .args:
      - .offset:         0
        .size:           112
        .value_kind:     by_value
    .group_segment_fixed_size: 0
    .kernarg_segment_align: 8
    .kernarg_segment_size: 112
    .language:       OpenCL C
    .language_version:
      - 2
      - 0
    .max_flat_workgroup_size: 256
    .name:           _ZN7rocprim17ROCPRIM_400000_NS6detail17trampoline_kernelINS0_14default_configENS1_27scan_by_key_config_selectorIssEEZZNS1_16scan_by_key_implILNS1_25lookback_scan_determinismE0ELb1ES3_N6thrust23THRUST_200600_302600_NS6detail15normal_iteratorINS9_10device_ptrIsEEEESE_SE_sNS9_4plusIvEENS9_8equal_toIsEEsEE10hipError_tPvRmT2_T3_T4_T5_mT6_T7_P12ihipStream_tbENKUlT_T0_E_clISt17integral_constantIbLb1EESZ_EEDaSU_SV_EUlSU_E_NS1_11comp_targetILNS1_3genE3ELNS1_11target_archE908ELNS1_3gpuE7ELNS1_3repE0EEENS1_30default_config_static_selectorELNS0_4arch9wavefront6targetE1EEEvT1_
    .private_segment_fixed_size: 0
    .sgpr_count:     6
    .sgpr_spill_count: 0
    .symbol:         _ZN7rocprim17ROCPRIM_400000_NS6detail17trampoline_kernelINS0_14default_configENS1_27scan_by_key_config_selectorIssEEZZNS1_16scan_by_key_implILNS1_25lookback_scan_determinismE0ELb1ES3_N6thrust23THRUST_200600_302600_NS6detail15normal_iteratorINS9_10device_ptrIsEEEESE_SE_sNS9_4plusIvEENS9_8equal_toIsEEsEE10hipError_tPvRmT2_T3_T4_T5_mT6_T7_P12ihipStream_tbENKUlT_T0_E_clISt17integral_constantIbLb1EESZ_EEDaSU_SV_EUlSU_E_NS1_11comp_targetILNS1_3genE3ELNS1_11target_archE908ELNS1_3gpuE7ELNS1_3repE0EEENS1_30default_config_static_selectorELNS0_4arch9wavefront6targetE1EEEvT1_.kd
    .uniform_work_group_size: 1
    .uses_dynamic_stack: false
    .vgpr_count:     0
    .vgpr_spill_count: 0
    .wavefront_size: 64
  - .agpr_count:     0
    .args:
      - .offset:         0
        .size:           112
        .value_kind:     by_value
    .group_segment_fixed_size: 0
    .kernarg_segment_align: 8
    .kernarg_segment_size: 112
    .language:       OpenCL C
    .language_version:
      - 2
      - 0
    .max_flat_workgroup_size: 64
    .name:           _ZN7rocprim17ROCPRIM_400000_NS6detail17trampoline_kernelINS0_14default_configENS1_27scan_by_key_config_selectorIssEEZZNS1_16scan_by_key_implILNS1_25lookback_scan_determinismE0ELb1ES3_N6thrust23THRUST_200600_302600_NS6detail15normal_iteratorINS9_10device_ptrIsEEEESE_SE_sNS9_4plusIvEENS9_8equal_toIsEEsEE10hipError_tPvRmT2_T3_T4_T5_mT6_T7_P12ihipStream_tbENKUlT_T0_E_clISt17integral_constantIbLb1EESZ_EEDaSU_SV_EUlSU_E_NS1_11comp_targetILNS1_3genE2ELNS1_11target_archE906ELNS1_3gpuE6ELNS1_3repE0EEENS1_30default_config_static_selectorELNS0_4arch9wavefront6targetE1EEEvT1_
    .private_segment_fixed_size: 0
    .sgpr_count:     6
    .sgpr_spill_count: 0
    .symbol:         _ZN7rocprim17ROCPRIM_400000_NS6detail17trampoline_kernelINS0_14default_configENS1_27scan_by_key_config_selectorIssEEZZNS1_16scan_by_key_implILNS1_25lookback_scan_determinismE0ELb1ES3_N6thrust23THRUST_200600_302600_NS6detail15normal_iteratorINS9_10device_ptrIsEEEESE_SE_sNS9_4plusIvEENS9_8equal_toIsEEsEE10hipError_tPvRmT2_T3_T4_T5_mT6_T7_P12ihipStream_tbENKUlT_T0_E_clISt17integral_constantIbLb1EESZ_EEDaSU_SV_EUlSU_E_NS1_11comp_targetILNS1_3genE2ELNS1_11target_archE906ELNS1_3gpuE6ELNS1_3repE0EEENS1_30default_config_static_selectorELNS0_4arch9wavefront6targetE1EEEvT1_.kd
    .uniform_work_group_size: 1
    .uses_dynamic_stack: false
    .vgpr_count:     0
    .vgpr_spill_count: 0
    .wavefront_size: 64
  - .agpr_count:     0
    .args:
      - .offset:         0
        .size:           112
        .value_kind:     by_value
    .group_segment_fixed_size: 0
    .kernarg_segment_align: 8
    .kernarg_segment_size: 112
    .language:       OpenCL C
    .language_version:
      - 2
      - 0
    .max_flat_workgroup_size: 256
    .name:           _ZN7rocprim17ROCPRIM_400000_NS6detail17trampoline_kernelINS0_14default_configENS1_27scan_by_key_config_selectorIssEEZZNS1_16scan_by_key_implILNS1_25lookback_scan_determinismE0ELb1ES3_N6thrust23THRUST_200600_302600_NS6detail15normal_iteratorINS9_10device_ptrIsEEEESE_SE_sNS9_4plusIvEENS9_8equal_toIsEEsEE10hipError_tPvRmT2_T3_T4_T5_mT6_T7_P12ihipStream_tbENKUlT_T0_E_clISt17integral_constantIbLb1EESZ_EEDaSU_SV_EUlSU_E_NS1_11comp_targetILNS1_3genE10ELNS1_11target_archE1200ELNS1_3gpuE4ELNS1_3repE0EEENS1_30default_config_static_selectorELNS0_4arch9wavefront6targetE1EEEvT1_
    .private_segment_fixed_size: 0
    .sgpr_count:     6
    .sgpr_spill_count: 0
    .symbol:         _ZN7rocprim17ROCPRIM_400000_NS6detail17trampoline_kernelINS0_14default_configENS1_27scan_by_key_config_selectorIssEEZZNS1_16scan_by_key_implILNS1_25lookback_scan_determinismE0ELb1ES3_N6thrust23THRUST_200600_302600_NS6detail15normal_iteratorINS9_10device_ptrIsEEEESE_SE_sNS9_4plusIvEENS9_8equal_toIsEEsEE10hipError_tPvRmT2_T3_T4_T5_mT6_T7_P12ihipStream_tbENKUlT_T0_E_clISt17integral_constantIbLb1EESZ_EEDaSU_SV_EUlSU_E_NS1_11comp_targetILNS1_3genE10ELNS1_11target_archE1200ELNS1_3gpuE4ELNS1_3repE0EEENS1_30default_config_static_selectorELNS0_4arch9wavefront6targetE1EEEvT1_.kd
    .uniform_work_group_size: 1
    .uses_dynamic_stack: false
    .vgpr_count:     0
    .vgpr_spill_count: 0
    .wavefront_size: 64
  - .agpr_count:     0
    .args:
      - .offset:         0
        .size:           112
        .value_kind:     by_value
    .group_segment_fixed_size: 0
    .kernarg_segment_align: 8
    .kernarg_segment_size: 112
    .language:       OpenCL C
    .language_version:
      - 2
      - 0
    .max_flat_workgroup_size: 256
    .name:           _ZN7rocprim17ROCPRIM_400000_NS6detail17trampoline_kernelINS0_14default_configENS1_27scan_by_key_config_selectorIssEEZZNS1_16scan_by_key_implILNS1_25lookback_scan_determinismE0ELb1ES3_N6thrust23THRUST_200600_302600_NS6detail15normal_iteratorINS9_10device_ptrIsEEEESE_SE_sNS9_4plusIvEENS9_8equal_toIsEEsEE10hipError_tPvRmT2_T3_T4_T5_mT6_T7_P12ihipStream_tbENKUlT_T0_E_clISt17integral_constantIbLb1EESZ_EEDaSU_SV_EUlSU_E_NS1_11comp_targetILNS1_3genE9ELNS1_11target_archE1100ELNS1_3gpuE3ELNS1_3repE0EEENS1_30default_config_static_selectorELNS0_4arch9wavefront6targetE1EEEvT1_
    .private_segment_fixed_size: 0
    .sgpr_count:     6
    .sgpr_spill_count: 0
    .symbol:         _ZN7rocprim17ROCPRIM_400000_NS6detail17trampoline_kernelINS0_14default_configENS1_27scan_by_key_config_selectorIssEEZZNS1_16scan_by_key_implILNS1_25lookback_scan_determinismE0ELb1ES3_N6thrust23THRUST_200600_302600_NS6detail15normal_iteratorINS9_10device_ptrIsEEEESE_SE_sNS9_4plusIvEENS9_8equal_toIsEEsEE10hipError_tPvRmT2_T3_T4_T5_mT6_T7_P12ihipStream_tbENKUlT_T0_E_clISt17integral_constantIbLb1EESZ_EEDaSU_SV_EUlSU_E_NS1_11comp_targetILNS1_3genE9ELNS1_11target_archE1100ELNS1_3gpuE3ELNS1_3repE0EEENS1_30default_config_static_selectorELNS0_4arch9wavefront6targetE1EEEvT1_.kd
    .uniform_work_group_size: 1
    .uses_dynamic_stack: false
    .vgpr_count:     0
    .vgpr_spill_count: 0
    .wavefront_size: 64
  - .agpr_count:     0
    .args:
      - .offset:         0
        .size:           112
        .value_kind:     by_value
    .group_segment_fixed_size: 0
    .kernarg_segment_align: 8
    .kernarg_segment_size: 112
    .language:       OpenCL C
    .language_version:
      - 2
      - 0
    .max_flat_workgroup_size: 64
    .name:           _ZN7rocprim17ROCPRIM_400000_NS6detail17trampoline_kernelINS0_14default_configENS1_27scan_by_key_config_selectorIssEEZZNS1_16scan_by_key_implILNS1_25lookback_scan_determinismE0ELb1ES3_N6thrust23THRUST_200600_302600_NS6detail15normal_iteratorINS9_10device_ptrIsEEEESE_SE_sNS9_4plusIvEENS9_8equal_toIsEEsEE10hipError_tPvRmT2_T3_T4_T5_mT6_T7_P12ihipStream_tbENKUlT_T0_E_clISt17integral_constantIbLb1EESZ_EEDaSU_SV_EUlSU_E_NS1_11comp_targetILNS1_3genE8ELNS1_11target_archE1030ELNS1_3gpuE2ELNS1_3repE0EEENS1_30default_config_static_selectorELNS0_4arch9wavefront6targetE1EEEvT1_
    .private_segment_fixed_size: 0
    .sgpr_count:     6
    .sgpr_spill_count: 0
    .symbol:         _ZN7rocprim17ROCPRIM_400000_NS6detail17trampoline_kernelINS0_14default_configENS1_27scan_by_key_config_selectorIssEEZZNS1_16scan_by_key_implILNS1_25lookback_scan_determinismE0ELb1ES3_N6thrust23THRUST_200600_302600_NS6detail15normal_iteratorINS9_10device_ptrIsEEEESE_SE_sNS9_4plusIvEENS9_8equal_toIsEEsEE10hipError_tPvRmT2_T3_T4_T5_mT6_T7_P12ihipStream_tbENKUlT_T0_E_clISt17integral_constantIbLb1EESZ_EEDaSU_SV_EUlSU_E_NS1_11comp_targetILNS1_3genE8ELNS1_11target_archE1030ELNS1_3gpuE2ELNS1_3repE0EEENS1_30default_config_static_selectorELNS0_4arch9wavefront6targetE1EEEvT1_.kd
    .uniform_work_group_size: 1
    .uses_dynamic_stack: false
    .vgpr_count:     0
    .vgpr_spill_count: 0
    .wavefront_size: 64
  - .agpr_count:     0
    .args:
      - .offset:         0
        .size:           112
        .value_kind:     by_value
    .group_segment_fixed_size: 0
    .kernarg_segment_align: 8
    .kernarg_segment_size: 112
    .language:       OpenCL C
    .language_version:
      - 2
      - 0
    .max_flat_workgroup_size: 256
    .name:           _ZN7rocprim17ROCPRIM_400000_NS6detail17trampoline_kernelINS0_14default_configENS1_27scan_by_key_config_selectorIssEEZZNS1_16scan_by_key_implILNS1_25lookback_scan_determinismE0ELb1ES3_N6thrust23THRUST_200600_302600_NS6detail15normal_iteratorINS9_10device_ptrIsEEEESE_SE_sNS9_4plusIvEENS9_8equal_toIsEEsEE10hipError_tPvRmT2_T3_T4_T5_mT6_T7_P12ihipStream_tbENKUlT_T0_E_clISt17integral_constantIbLb1EESY_IbLb0EEEEDaSU_SV_EUlSU_E_NS1_11comp_targetILNS1_3genE0ELNS1_11target_archE4294967295ELNS1_3gpuE0ELNS1_3repE0EEENS1_30default_config_static_selectorELNS0_4arch9wavefront6targetE1EEEvT1_
    .private_segment_fixed_size: 0
    .sgpr_count:     6
    .sgpr_spill_count: 0
    .symbol:         _ZN7rocprim17ROCPRIM_400000_NS6detail17trampoline_kernelINS0_14default_configENS1_27scan_by_key_config_selectorIssEEZZNS1_16scan_by_key_implILNS1_25lookback_scan_determinismE0ELb1ES3_N6thrust23THRUST_200600_302600_NS6detail15normal_iteratorINS9_10device_ptrIsEEEESE_SE_sNS9_4plusIvEENS9_8equal_toIsEEsEE10hipError_tPvRmT2_T3_T4_T5_mT6_T7_P12ihipStream_tbENKUlT_T0_E_clISt17integral_constantIbLb1EESY_IbLb0EEEEDaSU_SV_EUlSU_E_NS1_11comp_targetILNS1_3genE0ELNS1_11target_archE4294967295ELNS1_3gpuE0ELNS1_3repE0EEENS1_30default_config_static_selectorELNS0_4arch9wavefront6targetE1EEEvT1_.kd
    .uniform_work_group_size: 1
    .uses_dynamic_stack: false
    .vgpr_count:     0
    .vgpr_spill_count: 0
    .wavefront_size: 64
  - .agpr_count:     0
    .args:
      - .offset:         0
        .size:           112
        .value_kind:     by_value
    .group_segment_fixed_size: 0
    .kernarg_segment_align: 8
    .kernarg_segment_size: 112
    .language:       OpenCL C
    .language_version:
      - 2
      - 0
    .max_flat_workgroup_size: 128
    .name:           _ZN7rocprim17ROCPRIM_400000_NS6detail17trampoline_kernelINS0_14default_configENS1_27scan_by_key_config_selectorIssEEZZNS1_16scan_by_key_implILNS1_25lookback_scan_determinismE0ELb1ES3_N6thrust23THRUST_200600_302600_NS6detail15normal_iteratorINS9_10device_ptrIsEEEESE_SE_sNS9_4plusIvEENS9_8equal_toIsEEsEE10hipError_tPvRmT2_T3_T4_T5_mT6_T7_P12ihipStream_tbENKUlT_T0_E_clISt17integral_constantIbLb1EESY_IbLb0EEEEDaSU_SV_EUlSU_E_NS1_11comp_targetILNS1_3genE10ELNS1_11target_archE1201ELNS1_3gpuE5ELNS1_3repE0EEENS1_30default_config_static_selectorELNS0_4arch9wavefront6targetE1EEEvT1_
    .private_segment_fixed_size: 0
    .sgpr_count:     6
    .sgpr_spill_count: 0
    .symbol:         _ZN7rocprim17ROCPRIM_400000_NS6detail17trampoline_kernelINS0_14default_configENS1_27scan_by_key_config_selectorIssEEZZNS1_16scan_by_key_implILNS1_25lookback_scan_determinismE0ELb1ES3_N6thrust23THRUST_200600_302600_NS6detail15normal_iteratorINS9_10device_ptrIsEEEESE_SE_sNS9_4plusIvEENS9_8equal_toIsEEsEE10hipError_tPvRmT2_T3_T4_T5_mT6_T7_P12ihipStream_tbENKUlT_T0_E_clISt17integral_constantIbLb1EESY_IbLb0EEEEDaSU_SV_EUlSU_E_NS1_11comp_targetILNS1_3genE10ELNS1_11target_archE1201ELNS1_3gpuE5ELNS1_3repE0EEENS1_30default_config_static_selectorELNS0_4arch9wavefront6targetE1EEEvT1_.kd
    .uniform_work_group_size: 1
    .uses_dynamic_stack: false
    .vgpr_count:     0
    .vgpr_spill_count: 0
    .wavefront_size: 64
  - .agpr_count:     0
    .args:
      - .offset:         0
        .size:           112
        .value_kind:     by_value
    .group_segment_fixed_size: 13312
    .kernarg_segment_align: 8
    .kernarg_segment_size: 112
    .language:       OpenCL C
    .language_version:
      - 2
      - 0
    .max_flat_workgroup_size: 256
    .name:           _ZN7rocprim17ROCPRIM_400000_NS6detail17trampoline_kernelINS0_14default_configENS1_27scan_by_key_config_selectorIssEEZZNS1_16scan_by_key_implILNS1_25lookback_scan_determinismE0ELb1ES3_N6thrust23THRUST_200600_302600_NS6detail15normal_iteratorINS9_10device_ptrIsEEEESE_SE_sNS9_4plusIvEENS9_8equal_toIsEEsEE10hipError_tPvRmT2_T3_T4_T5_mT6_T7_P12ihipStream_tbENKUlT_T0_E_clISt17integral_constantIbLb1EESY_IbLb0EEEEDaSU_SV_EUlSU_E_NS1_11comp_targetILNS1_3genE5ELNS1_11target_archE942ELNS1_3gpuE9ELNS1_3repE0EEENS1_30default_config_static_selectorELNS0_4arch9wavefront6targetE1EEEvT1_
    .private_segment_fixed_size: 0
    .sgpr_count:     85
    .sgpr_spill_count: 0
    .symbol:         _ZN7rocprim17ROCPRIM_400000_NS6detail17trampoline_kernelINS0_14default_configENS1_27scan_by_key_config_selectorIssEEZZNS1_16scan_by_key_implILNS1_25lookback_scan_determinismE0ELb1ES3_N6thrust23THRUST_200600_302600_NS6detail15normal_iteratorINS9_10device_ptrIsEEEESE_SE_sNS9_4plusIvEENS9_8equal_toIsEEsEE10hipError_tPvRmT2_T3_T4_T5_mT6_T7_P12ihipStream_tbENKUlT_T0_E_clISt17integral_constantIbLb1EESY_IbLb0EEEEDaSU_SV_EUlSU_E_NS1_11comp_targetILNS1_3genE5ELNS1_11target_archE942ELNS1_3gpuE9ELNS1_3repE0EEENS1_30default_config_static_selectorELNS0_4arch9wavefront6targetE1EEEvT1_.kd
    .uniform_work_group_size: 1
    .uses_dynamic_stack: false
    .vgpr_count:     60
    .vgpr_spill_count: 0
    .wavefront_size: 64
  - .agpr_count:     0
    .args:
      - .offset:         0
        .size:           112
        .value_kind:     by_value
    .group_segment_fixed_size: 0
    .kernarg_segment_align: 8
    .kernarg_segment_size: 112
    .language:       OpenCL C
    .language_version:
      - 2
      - 0
    .max_flat_workgroup_size: 256
    .name:           _ZN7rocprim17ROCPRIM_400000_NS6detail17trampoline_kernelINS0_14default_configENS1_27scan_by_key_config_selectorIssEEZZNS1_16scan_by_key_implILNS1_25lookback_scan_determinismE0ELb1ES3_N6thrust23THRUST_200600_302600_NS6detail15normal_iteratorINS9_10device_ptrIsEEEESE_SE_sNS9_4plusIvEENS9_8equal_toIsEEsEE10hipError_tPvRmT2_T3_T4_T5_mT6_T7_P12ihipStream_tbENKUlT_T0_E_clISt17integral_constantIbLb1EESY_IbLb0EEEEDaSU_SV_EUlSU_E_NS1_11comp_targetILNS1_3genE4ELNS1_11target_archE910ELNS1_3gpuE8ELNS1_3repE0EEENS1_30default_config_static_selectorELNS0_4arch9wavefront6targetE1EEEvT1_
    .private_segment_fixed_size: 0
    .sgpr_count:     6
    .sgpr_spill_count: 0
    .symbol:         _ZN7rocprim17ROCPRIM_400000_NS6detail17trampoline_kernelINS0_14default_configENS1_27scan_by_key_config_selectorIssEEZZNS1_16scan_by_key_implILNS1_25lookback_scan_determinismE0ELb1ES3_N6thrust23THRUST_200600_302600_NS6detail15normal_iteratorINS9_10device_ptrIsEEEESE_SE_sNS9_4plusIvEENS9_8equal_toIsEEsEE10hipError_tPvRmT2_T3_T4_T5_mT6_T7_P12ihipStream_tbENKUlT_T0_E_clISt17integral_constantIbLb1EESY_IbLb0EEEEDaSU_SV_EUlSU_E_NS1_11comp_targetILNS1_3genE4ELNS1_11target_archE910ELNS1_3gpuE8ELNS1_3repE0EEENS1_30default_config_static_selectorELNS0_4arch9wavefront6targetE1EEEvT1_.kd
    .uniform_work_group_size: 1
    .uses_dynamic_stack: false
    .vgpr_count:     0
    .vgpr_spill_count: 0
    .wavefront_size: 64
  - .agpr_count:     0
    .args:
      - .offset:         0
        .size:           112
        .value_kind:     by_value
    .group_segment_fixed_size: 0
    .kernarg_segment_align: 8
    .kernarg_segment_size: 112
    .language:       OpenCL C
    .language_version:
      - 2
      - 0
    .max_flat_workgroup_size: 256
    .name:           _ZN7rocprim17ROCPRIM_400000_NS6detail17trampoline_kernelINS0_14default_configENS1_27scan_by_key_config_selectorIssEEZZNS1_16scan_by_key_implILNS1_25lookback_scan_determinismE0ELb1ES3_N6thrust23THRUST_200600_302600_NS6detail15normal_iteratorINS9_10device_ptrIsEEEESE_SE_sNS9_4plusIvEENS9_8equal_toIsEEsEE10hipError_tPvRmT2_T3_T4_T5_mT6_T7_P12ihipStream_tbENKUlT_T0_E_clISt17integral_constantIbLb1EESY_IbLb0EEEEDaSU_SV_EUlSU_E_NS1_11comp_targetILNS1_3genE3ELNS1_11target_archE908ELNS1_3gpuE7ELNS1_3repE0EEENS1_30default_config_static_selectorELNS0_4arch9wavefront6targetE1EEEvT1_
    .private_segment_fixed_size: 0
    .sgpr_count:     6
    .sgpr_spill_count: 0
    .symbol:         _ZN7rocprim17ROCPRIM_400000_NS6detail17trampoline_kernelINS0_14default_configENS1_27scan_by_key_config_selectorIssEEZZNS1_16scan_by_key_implILNS1_25lookback_scan_determinismE0ELb1ES3_N6thrust23THRUST_200600_302600_NS6detail15normal_iteratorINS9_10device_ptrIsEEEESE_SE_sNS9_4plusIvEENS9_8equal_toIsEEsEE10hipError_tPvRmT2_T3_T4_T5_mT6_T7_P12ihipStream_tbENKUlT_T0_E_clISt17integral_constantIbLb1EESY_IbLb0EEEEDaSU_SV_EUlSU_E_NS1_11comp_targetILNS1_3genE3ELNS1_11target_archE908ELNS1_3gpuE7ELNS1_3repE0EEENS1_30default_config_static_selectorELNS0_4arch9wavefront6targetE1EEEvT1_.kd
    .uniform_work_group_size: 1
    .uses_dynamic_stack: false
    .vgpr_count:     0
    .vgpr_spill_count: 0
    .wavefront_size: 64
  - .agpr_count:     0
    .args:
      - .offset:         0
        .size:           112
        .value_kind:     by_value
    .group_segment_fixed_size: 0
    .kernarg_segment_align: 8
    .kernarg_segment_size: 112
    .language:       OpenCL C
    .language_version:
      - 2
      - 0
    .max_flat_workgroup_size: 64
    .name:           _ZN7rocprim17ROCPRIM_400000_NS6detail17trampoline_kernelINS0_14default_configENS1_27scan_by_key_config_selectorIssEEZZNS1_16scan_by_key_implILNS1_25lookback_scan_determinismE0ELb1ES3_N6thrust23THRUST_200600_302600_NS6detail15normal_iteratorINS9_10device_ptrIsEEEESE_SE_sNS9_4plusIvEENS9_8equal_toIsEEsEE10hipError_tPvRmT2_T3_T4_T5_mT6_T7_P12ihipStream_tbENKUlT_T0_E_clISt17integral_constantIbLb1EESY_IbLb0EEEEDaSU_SV_EUlSU_E_NS1_11comp_targetILNS1_3genE2ELNS1_11target_archE906ELNS1_3gpuE6ELNS1_3repE0EEENS1_30default_config_static_selectorELNS0_4arch9wavefront6targetE1EEEvT1_
    .private_segment_fixed_size: 0
    .sgpr_count:     6
    .sgpr_spill_count: 0
    .symbol:         _ZN7rocprim17ROCPRIM_400000_NS6detail17trampoline_kernelINS0_14default_configENS1_27scan_by_key_config_selectorIssEEZZNS1_16scan_by_key_implILNS1_25lookback_scan_determinismE0ELb1ES3_N6thrust23THRUST_200600_302600_NS6detail15normal_iteratorINS9_10device_ptrIsEEEESE_SE_sNS9_4plusIvEENS9_8equal_toIsEEsEE10hipError_tPvRmT2_T3_T4_T5_mT6_T7_P12ihipStream_tbENKUlT_T0_E_clISt17integral_constantIbLb1EESY_IbLb0EEEEDaSU_SV_EUlSU_E_NS1_11comp_targetILNS1_3genE2ELNS1_11target_archE906ELNS1_3gpuE6ELNS1_3repE0EEENS1_30default_config_static_selectorELNS0_4arch9wavefront6targetE1EEEvT1_.kd
    .uniform_work_group_size: 1
    .uses_dynamic_stack: false
    .vgpr_count:     0
    .vgpr_spill_count: 0
    .wavefront_size: 64
  - .agpr_count:     0
    .args:
      - .offset:         0
        .size:           112
        .value_kind:     by_value
    .group_segment_fixed_size: 0
    .kernarg_segment_align: 8
    .kernarg_segment_size: 112
    .language:       OpenCL C
    .language_version:
      - 2
      - 0
    .max_flat_workgroup_size: 256
    .name:           _ZN7rocprim17ROCPRIM_400000_NS6detail17trampoline_kernelINS0_14default_configENS1_27scan_by_key_config_selectorIssEEZZNS1_16scan_by_key_implILNS1_25lookback_scan_determinismE0ELb1ES3_N6thrust23THRUST_200600_302600_NS6detail15normal_iteratorINS9_10device_ptrIsEEEESE_SE_sNS9_4plusIvEENS9_8equal_toIsEEsEE10hipError_tPvRmT2_T3_T4_T5_mT6_T7_P12ihipStream_tbENKUlT_T0_E_clISt17integral_constantIbLb1EESY_IbLb0EEEEDaSU_SV_EUlSU_E_NS1_11comp_targetILNS1_3genE10ELNS1_11target_archE1200ELNS1_3gpuE4ELNS1_3repE0EEENS1_30default_config_static_selectorELNS0_4arch9wavefront6targetE1EEEvT1_
    .private_segment_fixed_size: 0
    .sgpr_count:     6
    .sgpr_spill_count: 0
    .symbol:         _ZN7rocprim17ROCPRIM_400000_NS6detail17trampoline_kernelINS0_14default_configENS1_27scan_by_key_config_selectorIssEEZZNS1_16scan_by_key_implILNS1_25lookback_scan_determinismE0ELb1ES3_N6thrust23THRUST_200600_302600_NS6detail15normal_iteratorINS9_10device_ptrIsEEEESE_SE_sNS9_4plusIvEENS9_8equal_toIsEEsEE10hipError_tPvRmT2_T3_T4_T5_mT6_T7_P12ihipStream_tbENKUlT_T0_E_clISt17integral_constantIbLb1EESY_IbLb0EEEEDaSU_SV_EUlSU_E_NS1_11comp_targetILNS1_3genE10ELNS1_11target_archE1200ELNS1_3gpuE4ELNS1_3repE0EEENS1_30default_config_static_selectorELNS0_4arch9wavefront6targetE1EEEvT1_.kd
    .uniform_work_group_size: 1
    .uses_dynamic_stack: false
    .vgpr_count:     0
    .vgpr_spill_count: 0
    .wavefront_size: 64
  - .agpr_count:     0
    .args:
      - .offset:         0
        .size:           112
        .value_kind:     by_value
    .group_segment_fixed_size: 0
    .kernarg_segment_align: 8
    .kernarg_segment_size: 112
    .language:       OpenCL C
    .language_version:
      - 2
      - 0
    .max_flat_workgroup_size: 256
    .name:           _ZN7rocprim17ROCPRIM_400000_NS6detail17trampoline_kernelINS0_14default_configENS1_27scan_by_key_config_selectorIssEEZZNS1_16scan_by_key_implILNS1_25lookback_scan_determinismE0ELb1ES3_N6thrust23THRUST_200600_302600_NS6detail15normal_iteratorINS9_10device_ptrIsEEEESE_SE_sNS9_4plusIvEENS9_8equal_toIsEEsEE10hipError_tPvRmT2_T3_T4_T5_mT6_T7_P12ihipStream_tbENKUlT_T0_E_clISt17integral_constantIbLb1EESY_IbLb0EEEEDaSU_SV_EUlSU_E_NS1_11comp_targetILNS1_3genE9ELNS1_11target_archE1100ELNS1_3gpuE3ELNS1_3repE0EEENS1_30default_config_static_selectorELNS0_4arch9wavefront6targetE1EEEvT1_
    .private_segment_fixed_size: 0
    .sgpr_count:     6
    .sgpr_spill_count: 0
    .symbol:         _ZN7rocprim17ROCPRIM_400000_NS6detail17trampoline_kernelINS0_14default_configENS1_27scan_by_key_config_selectorIssEEZZNS1_16scan_by_key_implILNS1_25lookback_scan_determinismE0ELb1ES3_N6thrust23THRUST_200600_302600_NS6detail15normal_iteratorINS9_10device_ptrIsEEEESE_SE_sNS9_4plusIvEENS9_8equal_toIsEEsEE10hipError_tPvRmT2_T3_T4_T5_mT6_T7_P12ihipStream_tbENKUlT_T0_E_clISt17integral_constantIbLb1EESY_IbLb0EEEEDaSU_SV_EUlSU_E_NS1_11comp_targetILNS1_3genE9ELNS1_11target_archE1100ELNS1_3gpuE3ELNS1_3repE0EEENS1_30default_config_static_selectorELNS0_4arch9wavefront6targetE1EEEvT1_.kd
    .uniform_work_group_size: 1
    .uses_dynamic_stack: false
    .vgpr_count:     0
    .vgpr_spill_count: 0
    .wavefront_size: 64
  - .agpr_count:     0
    .args:
      - .offset:         0
        .size:           112
        .value_kind:     by_value
    .group_segment_fixed_size: 0
    .kernarg_segment_align: 8
    .kernarg_segment_size: 112
    .language:       OpenCL C
    .language_version:
      - 2
      - 0
    .max_flat_workgroup_size: 64
    .name:           _ZN7rocprim17ROCPRIM_400000_NS6detail17trampoline_kernelINS0_14default_configENS1_27scan_by_key_config_selectorIssEEZZNS1_16scan_by_key_implILNS1_25lookback_scan_determinismE0ELb1ES3_N6thrust23THRUST_200600_302600_NS6detail15normal_iteratorINS9_10device_ptrIsEEEESE_SE_sNS9_4plusIvEENS9_8equal_toIsEEsEE10hipError_tPvRmT2_T3_T4_T5_mT6_T7_P12ihipStream_tbENKUlT_T0_E_clISt17integral_constantIbLb1EESY_IbLb0EEEEDaSU_SV_EUlSU_E_NS1_11comp_targetILNS1_3genE8ELNS1_11target_archE1030ELNS1_3gpuE2ELNS1_3repE0EEENS1_30default_config_static_selectorELNS0_4arch9wavefront6targetE1EEEvT1_
    .private_segment_fixed_size: 0
    .sgpr_count:     6
    .sgpr_spill_count: 0
    .symbol:         _ZN7rocprim17ROCPRIM_400000_NS6detail17trampoline_kernelINS0_14default_configENS1_27scan_by_key_config_selectorIssEEZZNS1_16scan_by_key_implILNS1_25lookback_scan_determinismE0ELb1ES3_N6thrust23THRUST_200600_302600_NS6detail15normal_iteratorINS9_10device_ptrIsEEEESE_SE_sNS9_4plusIvEENS9_8equal_toIsEEsEE10hipError_tPvRmT2_T3_T4_T5_mT6_T7_P12ihipStream_tbENKUlT_T0_E_clISt17integral_constantIbLb1EESY_IbLb0EEEEDaSU_SV_EUlSU_E_NS1_11comp_targetILNS1_3genE8ELNS1_11target_archE1030ELNS1_3gpuE2ELNS1_3repE0EEENS1_30default_config_static_selectorELNS0_4arch9wavefront6targetE1EEEvT1_.kd
    .uniform_work_group_size: 1
    .uses_dynamic_stack: false
    .vgpr_count:     0
    .vgpr_spill_count: 0
    .wavefront_size: 64
  - .agpr_count:     0
    .args:
      - .offset:         0
        .size:           112
        .value_kind:     by_value
    .group_segment_fixed_size: 0
    .kernarg_segment_align: 8
    .kernarg_segment_size: 112
    .language:       OpenCL C
    .language_version:
      - 2
      - 0
    .max_flat_workgroup_size: 256
    .name:           _ZN7rocprim17ROCPRIM_400000_NS6detail17trampoline_kernelINS0_14default_configENS1_27scan_by_key_config_selectorIssEEZZNS1_16scan_by_key_implILNS1_25lookback_scan_determinismE0ELb1ES3_N6thrust23THRUST_200600_302600_NS6detail15normal_iteratorINS9_10device_ptrIsEEEESE_SE_sNS9_4plusIvEENS9_8equal_toIsEEsEE10hipError_tPvRmT2_T3_T4_T5_mT6_T7_P12ihipStream_tbENKUlT_T0_E_clISt17integral_constantIbLb0EESY_IbLb1EEEEDaSU_SV_EUlSU_E_NS1_11comp_targetILNS1_3genE0ELNS1_11target_archE4294967295ELNS1_3gpuE0ELNS1_3repE0EEENS1_30default_config_static_selectorELNS0_4arch9wavefront6targetE1EEEvT1_
    .private_segment_fixed_size: 0
    .sgpr_count:     6
    .sgpr_spill_count: 0
    .symbol:         _ZN7rocprim17ROCPRIM_400000_NS6detail17trampoline_kernelINS0_14default_configENS1_27scan_by_key_config_selectorIssEEZZNS1_16scan_by_key_implILNS1_25lookback_scan_determinismE0ELb1ES3_N6thrust23THRUST_200600_302600_NS6detail15normal_iteratorINS9_10device_ptrIsEEEESE_SE_sNS9_4plusIvEENS9_8equal_toIsEEsEE10hipError_tPvRmT2_T3_T4_T5_mT6_T7_P12ihipStream_tbENKUlT_T0_E_clISt17integral_constantIbLb0EESY_IbLb1EEEEDaSU_SV_EUlSU_E_NS1_11comp_targetILNS1_3genE0ELNS1_11target_archE4294967295ELNS1_3gpuE0ELNS1_3repE0EEENS1_30default_config_static_selectorELNS0_4arch9wavefront6targetE1EEEvT1_.kd
    .uniform_work_group_size: 1
    .uses_dynamic_stack: false
    .vgpr_count:     0
    .vgpr_spill_count: 0
    .wavefront_size: 64
  - .agpr_count:     0
    .args:
      - .offset:         0
        .size:           112
        .value_kind:     by_value
    .group_segment_fixed_size: 0
    .kernarg_segment_align: 8
    .kernarg_segment_size: 112
    .language:       OpenCL C
    .language_version:
      - 2
      - 0
    .max_flat_workgroup_size: 128
    .name:           _ZN7rocprim17ROCPRIM_400000_NS6detail17trampoline_kernelINS0_14default_configENS1_27scan_by_key_config_selectorIssEEZZNS1_16scan_by_key_implILNS1_25lookback_scan_determinismE0ELb1ES3_N6thrust23THRUST_200600_302600_NS6detail15normal_iteratorINS9_10device_ptrIsEEEESE_SE_sNS9_4plusIvEENS9_8equal_toIsEEsEE10hipError_tPvRmT2_T3_T4_T5_mT6_T7_P12ihipStream_tbENKUlT_T0_E_clISt17integral_constantIbLb0EESY_IbLb1EEEEDaSU_SV_EUlSU_E_NS1_11comp_targetILNS1_3genE10ELNS1_11target_archE1201ELNS1_3gpuE5ELNS1_3repE0EEENS1_30default_config_static_selectorELNS0_4arch9wavefront6targetE1EEEvT1_
    .private_segment_fixed_size: 0
    .sgpr_count:     6
    .sgpr_spill_count: 0
    .symbol:         _ZN7rocprim17ROCPRIM_400000_NS6detail17trampoline_kernelINS0_14default_configENS1_27scan_by_key_config_selectorIssEEZZNS1_16scan_by_key_implILNS1_25lookback_scan_determinismE0ELb1ES3_N6thrust23THRUST_200600_302600_NS6detail15normal_iteratorINS9_10device_ptrIsEEEESE_SE_sNS9_4plusIvEENS9_8equal_toIsEEsEE10hipError_tPvRmT2_T3_T4_T5_mT6_T7_P12ihipStream_tbENKUlT_T0_E_clISt17integral_constantIbLb0EESY_IbLb1EEEEDaSU_SV_EUlSU_E_NS1_11comp_targetILNS1_3genE10ELNS1_11target_archE1201ELNS1_3gpuE5ELNS1_3repE0EEENS1_30default_config_static_selectorELNS0_4arch9wavefront6targetE1EEEvT1_.kd
    .uniform_work_group_size: 1
    .uses_dynamic_stack: false
    .vgpr_count:     0
    .vgpr_spill_count: 0
    .wavefront_size: 64
  - .agpr_count:     0
    .args:
      - .offset:         0
        .size:           112
        .value_kind:     by_value
    .group_segment_fixed_size: 13312
    .kernarg_segment_align: 8
    .kernarg_segment_size: 112
    .language:       OpenCL C
    .language_version:
      - 2
      - 0
    .max_flat_workgroup_size: 256
    .name:           _ZN7rocprim17ROCPRIM_400000_NS6detail17trampoline_kernelINS0_14default_configENS1_27scan_by_key_config_selectorIssEEZZNS1_16scan_by_key_implILNS1_25lookback_scan_determinismE0ELb1ES3_N6thrust23THRUST_200600_302600_NS6detail15normal_iteratorINS9_10device_ptrIsEEEESE_SE_sNS9_4plusIvEENS9_8equal_toIsEEsEE10hipError_tPvRmT2_T3_T4_T5_mT6_T7_P12ihipStream_tbENKUlT_T0_E_clISt17integral_constantIbLb0EESY_IbLb1EEEEDaSU_SV_EUlSU_E_NS1_11comp_targetILNS1_3genE5ELNS1_11target_archE942ELNS1_3gpuE9ELNS1_3repE0EEENS1_30default_config_static_selectorELNS0_4arch9wavefront6targetE1EEEvT1_
    .private_segment_fixed_size: 0
    .sgpr_count:     81
    .sgpr_spill_count: 0
    .symbol:         _ZN7rocprim17ROCPRIM_400000_NS6detail17trampoline_kernelINS0_14default_configENS1_27scan_by_key_config_selectorIssEEZZNS1_16scan_by_key_implILNS1_25lookback_scan_determinismE0ELb1ES3_N6thrust23THRUST_200600_302600_NS6detail15normal_iteratorINS9_10device_ptrIsEEEESE_SE_sNS9_4plusIvEENS9_8equal_toIsEEsEE10hipError_tPvRmT2_T3_T4_T5_mT6_T7_P12ihipStream_tbENKUlT_T0_E_clISt17integral_constantIbLb0EESY_IbLb1EEEEDaSU_SV_EUlSU_E_NS1_11comp_targetILNS1_3genE5ELNS1_11target_archE942ELNS1_3gpuE9ELNS1_3repE0EEENS1_30default_config_static_selectorELNS0_4arch9wavefront6targetE1EEEvT1_.kd
    .uniform_work_group_size: 1
    .uses_dynamic_stack: false
    .vgpr_count:     64
    .vgpr_spill_count: 0
    .wavefront_size: 64
  - .agpr_count:     0
    .args:
      - .offset:         0
        .size:           112
        .value_kind:     by_value
    .group_segment_fixed_size: 0
    .kernarg_segment_align: 8
    .kernarg_segment_size: 112
    .language:       OpenCL C
    .language_version:
      - 2
      - 0
    .max_flat_workgroup_size: 256
    .name:           _ZN7rocprim17ROCPRIM_400000_NS6detail17trampoline_kernelINS0_14default_configENS1_27scan_by_key_config_selectorIssEEZZNS1_16scan_by_key_implILNS1_25lookback_scan_determinismE0ELb1ES3_N6thrust23THRUST_200600_302600_NS6detail15normal_iteratorINS9_10device_ptrIsEEEESE_SE_sNS9_4plusIvEENS9_8equal_toIsEEsEE10hipError_tPvRmT2_T3_T4_T5_mT6_T7_P12ihipStream_tbENKUlT_T0_E_clISt17integral_constantIbLb0EESY_IbLb1EEEEDaSU_SV_EUlSU_E_NS1_11comp_targetILNS1_3genE4ELNS1_11target_archE910ELNS1_3gpuE8ELNS1_3repE0EEENS1_30default_config_static_selectorELNS0_4arch9wavefront6targetE1EEEvT1_
    .private_segment_fixed_size: 0
    .sgpr_count:     6
    .sgpr_spill_count: 0
    .symbol:         _ZN7rocprim17ROCPRIM_400000_NS6detail17trampoline_kernelINS0_14default_configENS1_27scan_by_key_config_selectorIssEEZZNS1_16scan_by_key_implILNS1_25lookback_scan_determinismE0ELb1ES3_N6thrust23THRUST_200600_302600_NS6detail15normal_iteratorINS9_10device_ptrIsEEEESE_SE_sNS9_4plusIvEENS9_8equal_toIsEEsEE10hipError_tPvRmT2_T3_T4_T5_mT6_T7_P12ihipStream_tbENKUlT_T0_E_clISt17integral_constantIbLb0EESY_IbLb1EEEEDaSU_SV_EUlSU_E_NS1_11comp_targetILNS1_3genE4ELNS1_11target_archE910ELNS1_3gpuE8ELNS1_3repE0EEENS1_30default_config_static_selectorELNS0_4arch9wavefront6targetE1EEEvT1_.kd
    .uniform_work_group_size: 1
    .uses_dynamic_stack: false
    .vgpr_count:     0
    .vgpr_spill_count: 0
    .wavefront_size: 64
  - .agpr_count:     0
    .args:
      - .offset:         0
        .size:           112
        .value_kind:     by_value
    .group_segment_fixed_size: 0
    .kernarg_segment_align: 8
    .kernarg_segment_size: 112
    .language:       OpenCL C
    .language_version:
      - 2
      - 0
    .max_flat_workgroup_size: 256
    .name:           _ZN7rocprim17ROCPRIM_400000_NS6detail17trampoline_kernelINS0_14default_configENS1_27scan_by_key_config_selectorIssEEZZNS1_16scan_by_key_implILNS1_25lookback_scan_determinismE0ELb1ES3_N6thrust23THRUST_200600_302600_NS6detail15normal_iteratorINS9_10device_ptrIsEEEESE_SE_sNS9_4plusIvEENS9_8equal_toIsEEsEE10hipError_tPvRmT2_T3_T4_T5_mT6_T7_P12ihipStream_tbENKUlT_T0_E_clISt17integral_constantIbLb0EESY_IbLb1EEEEDaSU_SV_EUlSU_E_NS1_11comp_targetILNS1_3genE3ELNS1_11target_archE908ELNS1_3gpuE7ELNS1_3repE0EEENS1_30default_config_static_selectorELNS0_4arch9wavefront6targetE1EEEvT1_
    .private_segment_fixed_size: 0
    .sgpr_count:     6
    .sgpr_spill_count: 0
    .symbol:         _ZN7rocprim17ROCPRIM_400000_NS6detail17trampoline_kernelINS0_14default_configENS1_27scan_by_key_config_selectorIssEEZZNS1_16scan_by_key_implILNS1_25lookback_scan_determinismE0ELb1ES3_N6thrust23THRUST_200600_302600_NS6detail15normal_iteratorINS9_10device_ptrIsEEEESE_SE_sNS9_4plusIvEENS9_8equal_toIsEEsEE10hipError_tPvRmT2_T3_T4_T5_mT6_T7_P12ihipStream_tbENKUlT_T0_E_clISt17integral_constantIbLb0EESY_IbLb1EEEEDaSU_SV_EUlSU_E_NS1_11comp_targetILNS1_3genE3ELNS1_11target_archE908ELNS1_3gpuE7ELNS1_3repE0EEENS1_30default_config_static_selectorELNS0_4arch9wavefront6targetE1EEEvT1_.kd
    .uniform_work_group_size: 1
    .uses_dynamic_stack: false
    .vgpr_count:     0
    .vgpr_spill_count: 0
    .wavefront_size: 64
  - .agpr_count:     0
    .args:
      - .offset:         0
        .size:           112
        .value_kind:     by_value
    .group_segment_fixed_size: 0
    .kernarg_segment_align: 8
    .kernarg_segment_size: 112
    .language:       OpenCL C
    .language_version:
      - 2
      - 0
    .max_flat_workgroup_size: 64
    .name:           _ZN7rocprim17ROCPRIM_400000_NS6detail17trampoline_kernelINS0_14default_configENS1_27scan_by_key_config_selectorIssEEZZNS1_16scan_by_key_implILNS1_25lookback_scan_determinismE0ELb1ES3_N6thrust23THRUST_200600_302600_NS6detail15normal_iteratorINS9_10device_ptrIsEEEESE_SE_sNS9_4plusIvEENS9_8equal_toIsEEsEE10hipError_tPvRmT2_T3_T4_T5_mT6_T7_P12ihipStream_tbENKUlT_T0_E_clISt17integral_constantIbLb0EESY_IbLb1EEEEDaSU_SV_EUlSU_E_NS1_11comp_targetILNS1_3genE2ELNS1_11target_archE906ELNS1_3gpuE6ELNS1_3repE0EEENS1_30default_config_static_selectorELNS0_4arch9wavefront6targetE1EEEvT1_
    .private_segment_fixed_size: 0
    .sgpr_count:     6
    .sgpr_spill_count: 0
    .symbol:         _ZN7rocprim17ROCPRIM_400000_NS6detail17trampoline_kernelINS0_14default_configENS1_27scan_by_key_config_selectorIssEEZZNS1_16scan_by_key_implILNS1_25lookback_scan_determinismE0ELb1ES3_N6thrust23THRUST_200600_302600_NS6detail15normal_iteratorINS9_10device_ptrIsEEEESE_SE_sNS9_4plusIvEENS9_8equal_toIsEEsEE10hipError_tPvRmT2_T3_T4_T5_mT6_T7_P12ihipStream_tbENKUlT_T0_E_clISt17integral_constantIbLb0EESY_IbLb1EEEEDaSU_SV_EUlSU_E_NS1_11comp_targetILNS1_3genE2ELNS1_11target_archE906ELNS1_3gpuE6ELNS1_3repE0EEENS1_30default_config_static_selectorELNS0_4arch9wavefront6targetE1EEEvT1_.kd
    .uniform_work_group_size: 1
    .uses_dynamic_stack: false
    .vgpr_count:     0
    .vgpr_spill_count: 0
    .wavefront_size: 64
  - .agpr_count:     0
    .args:
      - .offset:         0
        .size:           112
        .value_kind:     by_value
    .group_segment_fixed_size: 0
    .kernarg_segment_align: 8
    .kernarg_segment_size: 112
    .language:       OpenCL C
    .language_version:
      - 2
      - 0
    .max_flat_workgroup_size: 256
    .name:           _ZN7rocprim17ROCPRIM_400000_NS6detail17trampoline_kernelINS0_14default_configENS1_27scan_by_key_config_selectorIssEEZZNS1_16scan_by_key_implILNS1_25lookback_scan_determinismE0ELb1ES3_N6thrust23THRUST_200600_302600_NS6detail15normal_iteratorINS9_10device_ptrIsEEEESE_SE_sNS9_4plusIvEENS9_8equal_toIsEEsEE10hipError_tPvRmT2_T3_T4_T5_mT6_T7_P12ihipStream_tbENKUlT_T0_E_clISt17integral_constantIbLb0EESY_IbLb1EEEEDaSU_SV_EUlSU_E_NS1_11comp_targetILNS1_3genE10ELNS1_11target_archE1200ELNS1_3gpuE4ELNS1_3repE0EEENS1_30default_config_static_selectorELNS0_4arch9wavefront6targetE1EEEvT1_
    .private_segment_fixed_size: 0
    .sgpr_count:     6
    .sgpr_spill_count: 0
    .symbol:         _ZN7rocprim17ROCPRIM_400000_NS6detail17trampoline_kernelINS0_14default_configENS1_27scan_by_key_config_selectorIssEEZZNS1_16scan_by_key_implILNS1_25lookback_scan_determinismE0ELb1ES3_N6thrust23THRUST_200600_302600_NS6detail15normal_iteratorINS9_10device_ptrIsEEEESE_SE_sNS9_4plusIvEENS9_8equal_toIsEEsEE10hipError_tPvRmT2_T3_T4_T5_mT6_T7_P12ihipStream_tbENKUlT_T0_E_clISt17integral_constantIbLb0EESY_IbLb1EEEEDaSU_SV_EUlSU_E_NS1_11comp_targetILNS1_3genE10ELNS1_11target_archE1200ELNS1_3gpuE4ELNS1_3repE0EEENS1_30default_config_static_selectorELNS0_4arch9wavefront6targetE1EEEvT1_.kd
    .uniform_work_group_size: 1
    .uses_dynamic_stack: false
    .vgpr_count:     0
    .vgpr_spill_count: 0
    .wavefront_size: 64
  - .agpr_count:     0
    .args:
      - .offset:         0
        .size:           112
        .value_kind:     by_value
    .group_segment_fixed_size: 0
    .kernarg_segment_align: 8
    .kernarg_segment_size: 112
    .language:       OpenCL C
    .language_version:
      - 2
      - 0
    .max_flat_workgroup_size: 256
    .name:           _ZN7rocprim17ROCPRIM_400000_NS6detail17trampoline_kernelINS0_14default_configENS1_27scan_by_key_config_selectorIssEEZZNS1_16scan_by_key_implILNS1_25lookback_scan_determinismE0ELb1ES3_N6thrust23THRUST_200600_302600_NS6detail15normal_iteratorINS9_10device_ptrIsEEEESE_SE_sNS9_4plusIvEENS9_8equal_toIsEEsEE10hipError_tPvRmT2_T3_T4_T5_mT6_T7_P12ihipStream_tbENKUlT_T0_E_clISt17integral_constantIbLb0EESY_IbLb1EEEEDaSU_SV_EUlSU_E_NS1_11comp_targetILNS1_3genE9ELNS1_11target_archE1100ELNS1_3gpuE3ELNS1_3repE0EEENS1_30default_config_static_selectorELNS0_4arch9wavefront6targetE1EEEvT1_
    .private_segment_fixed_size: 0
    .sgpr_count:     6
    .sgpr_spill_count: 0
    .symbol:         _ZN7rocprim17ROCPRIM_400000_NS6detail17trampoline_kernelINS0_14default_configENS1_27scan_by_key_config_selectorIssEEZZNS1_16scan_by_key_implILNS1_25lookback_scan_determinismE0ELb1ES3_N6thrust23THRUST_200600_302600_NS6detail15normal_iteratorINS9_10device_ptrIsEEEESE_SE_sNS9_4plusIvEENS9_8equal_toIsEEsEE10hipError_tPvRmT2_T3_T4_T5_mT6_T7_P12ihipStream_tbENKUlT_T0_E_clISt17integral_constantIbLb0EESY_IbLb1EEEEDaSU_SV_EUlSU_E_NS1_11comp_targetILNS1_3genE9ELNS1_11target_archE1100ELNS1_3gpuE3ELNS1_3repE0EEENS1_30default_config_static_selectorELNS0_4arch9wavefront6targetE1EEEvT1_.kd
    .uniform_work_group_size: 1
    .uses_dynamic_stack: false
    .vgpr_count:     0
    .vgpr_spill_count: 0
    .wavefront_size: 64
  - .agpr_count:     0
    .args:
      - .offset:         0
        .size:           112
        .value_kind:     by_value
    .group_segment_fixed_size: 0
    .kernarg_segment_align: 8
    .kernarg_segment_size: 112
    .language:       OpenCL C
    .language_version:
      - 2
      - 0
    .max_flat_workgroup_size: 64
    .name:           _ZN7rocprim17ROCPRIM_400000_NS6detail17trampoline_kernelINS0_14default_configENS1_27scan_by_key_config_selectorIssEEZZNS1_16scan_by_key_implILNS1_25lookback_scan_determinismE0ELb1ES3_N6thrust23THRUST_200600_302600_NS6detail15normal_iteratorINS9_10device_ptrIsEEEESE_SE_sNS9_4plusIvEENS9_8equal_toIsEEsEE10hipError_tPvRmT2_T3_T4_T5_mT6_T7_P12ihipStream_tbENKUlT_T0_E_clISt17integral_constantIbLb0EESY_IbLb1EEEEDaSU_SV_EUlSU_E_NS1_11comp_targetILNS1_3genE8ELNS1_11target_archE1030ELNS1_3gpuE2ELNS1_3repE0EEENS1_30default_config_static_selectorELNS0_4arch9wavefront6targetE1EEEvT1_
    .private_segment_fixed_size: 0
    .sgpr_count:     6
    .sgpr_spill_count: 0
    .symbol:         _ZN7rocprim17ROCPRIM_400000_NS6detail17trampoline_kernelINS0_14default_configENS1_27scan_by_key_config_selectorIssEEZZNS1_16scan_by_key_implILNS1_25lookback_scan_determinismE0ELb1ES3_N6thrust23THRUST_200600_302600_NS6detail15normal_iteratorINS9_10device_ptrIsEEEESE_SE_sNS9_4plusIvEENS9_8equal_toIsEEsEE10hipError_tPvRmT2_T3_T4_T5_mT6_T7_P12ihipStream_tbENKUlT_T0_E_clISt17integral_constantIbLb0EESY_IbLb1EEEEDaSU_SV_EUlSU_E_NS1_11comp_targetILNS1_3genE8ELNS1_11target_archE1030ELNS1_3gpuE2ELNS1_3repE0EEENS1_30default_config_static_selectorELNS0_4arch9wavefront6targetE1EEEvT1_.kd
    .uniform_work_group_size: 1
    .uses_dynamic_stack: false
    .vgpr_count:     0
    .vgpr_spill_count: 0
    .wavefront_size: 64
  - .agpr_count:     0
    .args:
      - .offset:         0
        .size:           136
        .value_kind:     by_value
    .group_segment_fixed_size: 0
    .kernarg_segment_align: 8
    .kernarg_segment_size: 136
    .language:       OpenCL C
    .language_version:
      - 2
      - 0
    .max_flat_workgroup_size: 256
    .name:           _ZN7rocprim17ROCPRIM_400000_NS6detail17trampoline_kernelINS0_14default_configENS1_27scan_by_key_config_selectorIxxEEZZNS1_16scan_by_key_implILNS1_25lookback_scan_determinismE0ELb0ES3_N6thrust23THRUST_200600_302600_NS6detail15normal_iteratorINS9_10device_ptrIxEEEESE_SE_xNS9_4plusIxEE19head_flag_predicatexEE10hipError_tPvRmT2_T3_T4_T5_mT6_T7_P12ihipStream_tbENKUlT_T0_E_clISt17integral_constantIbLb0EESY_EEDaST_SU_EUlST_E_NS1_11comp_targetILNS1_3genE0ELNS1_11target_archE4294967295ELNS1_3gpuE0ELNS1_3repE0EEENS1_30default_config_static_selectorELNS0_4arch9wavefront6targetE1EEEvT1_
    .private_segment_fixed_size: 0
    .sgpr_count:     6
    .sgpr_spill_count: 0
    .symbol:         _ZN7rocprim17ROCPRIM_400000_NS6detail17trampoline_kernelINS0_14default_configENS1_27scan_by_key_config_selectorIxxEEZZNS1_16scan_by_key_implILNS1_25lookback_scan_determinismE0ELb0ES3_N6thrust23THRUST_200600_302600_NS6detail15normal_iteratorINS9_10device_ptrIxEEEESE_SE_xNS9_4plusIxEE19head_flag_predicatexEE10hipError_tPvRmT2_T3_T4_T5_mT6_T7_P12ihipStream_tbENKUlT_T0_E_clISt17integral_constantIbLb0EESY_EEDaST_SU_EUlST_E_NS1_11comp_targetILNS1_3genE0ELNS1_11target_archE4294967295ELNS1_3gpuE0ELNS1_3repE0EEENS1_30default_config_static_selectorELNS0_4arch9wavefront6targetE1EEEvT1_.kd
    .uniform_work_group_size: 1
    .uses_dynamic_stack: false
    .vgpr_count:     0
    .vgpr_spill_count: 0
    .wavefront_size: 64
  - .agpr_count:     0
    .args:
      - .offset:         0
        .size:           136
        .value_kind:     by_value
    .group_segment_fixed_size: 0
    .kernarg_segment_align: 8
    .kernarg_segment_size: 136
    .language:       OpenCL C
    .language_version:
      - 2
      - 0
    .max_flat_workgroup_size: 256
    .name:           _ZN7rocprim17ROCPRIM_400000_NS6detail17trampoline_kernelINS0_14default_configENS1_27scan_by_key_config_selectorIxxEEZZNS1_16scan_by_key_implILNS1_25lookback_scan_determinismE0ELb0ES3_N6thrust23THRUST_200600_302600_NS6detail15normal_iteratorINS9_10device_ptrIxEEEESE_SE_xNS9_4plusIxEE19head_flag_predicatexEE10hipError_tPvRmT2_T3_T4_T5_mT6_T7_P12ihipStream_tbENKUlT_T0_E_clISt17integral_constantIbLb0EESY_EEDaST_SU_EUlST_E_NS1_11comp_targetILNS1_3genE10ELNS1_11target_archE1201ELNS1_3gpuE5ELNS1_3repE0EEENS1_30default_config_static_selectorELNS0_4arch9wavefront6targetE1EEEvT1_
    .private_segment_fixed_size: 0
    .sgpr_count:     6
    .sgpr_spill_count: 0
    .symbol:         _ZN7rocprim17ROCPRIM_400000_NS6detail17trampoline_kernelINS0_14default_configENS1_27scan_by_key_config_selectorIxxEEZZNS1_16scan_by_key_implILNS1_25lookback_scan_determinismE0ELb0ES3_N6thrust23THRUST_200600_302600_NS6detail15normal_iteratorINS9_10device_ptrIxEEEESE_SE_xNS9_4plusIxEE19head_flag_predicatexEE10hipError_tPvRmT2_T3_T4_T5_mT6_T7_P12ihipStream_tbENKUlT_T0_E_clISt17integral_constantIbLb0EESY_EEDaST_SU_EUlST_E_NS1_11comp_targetILNS1_3genE10ELNS1_11target_archE1201ELNS1_3gpuE5ELNS1_3repE0EEENS1_30default_config_static_selectorELNS0_4arch9wavefront6targetE1EEEvT1_.kd
    .uniform_work_group_size: 1
    .uses_dynamic_stack: false
    .vgpr_count:     0
    .vgpr_spill_count: 0
    .wavefront_size: 64
  - .agpr_count:     0
    .args:
      - .offset:         0
        .size:           136
        .value_kind:     by_value
    .group_segment_fixed_size: 32768
    .kernarg_segment_align: 8
    .kernarg_segment_size: 136
    .language:       OpenCL C
    .language_version:
      - 2
      - 0
    .max_flat_workgroup_size: 256
    .name:           _ZN7rocprim17ROCPRIM_400000_NS6detail17trampoline_kernelINS0_14default_configENS1_27scan_by_key_config_selectorIxxEEZZNS1_16scan_by_key_implILNS1_25lookback_scan_determinismE0ELb0ES3_N6thrust23THRUST_200600_302600_NS6detail15normal_iteratorINS9_10device_ptrIxEEEESE_SE_xNS9_4plusIxEE19head_flag_predicatexEE10hipError_tPvRmT2_T3_T4_T5_mT6_T7_P12ihipStream_tbENKUlT_T0_E_clISt17integral_constantIbLb0EESY_EEDaST_SU_EUlST_E_NS1_11comp_targetILNS1_3genE5ELNS1_11target_archE942ELNS1_3gpuE9ELNS1_3repE0EEENS1_30default_config_static_selectorELNS0_4arch9wavefront6targetE1EEEvT1_
    .private_segment_fixed_size: 0
    .sgpr_count:     66
    .sgpr_spill_count: 0
    .symbol:         _ZN7rocprim17ROCPRIM_400000_NS6detail17trampoline_kernelINS0_14default_configENS1_27scan_by_key_config_selectorIxxEEZZNS1_16scan_by_key_implILNS1_25lookback_scan_determinismE0ELb0ES3_N6thrust23THRUST_200600_302600_NS6detail15normal_iteratorINS9_10device_ptrIxEEEESE_SE_xNS9_4plusIxEE19head_flag_predicatexEE10hipError_tPvRmT2_T3_T4_T5_mT6_T7_P12ihipStream_tbENKUlT_T0_E_clISt17integral_constantIbLb0EESY_EEDaST_SU_EUlST_E_NS1_11comp_targetILNS1_3genE5ELNS1_11target_archE942ELNS1_3gpuE9ELNS1_3repE0EEENS1_30default_config_static_selectorELNS0_4arch9wavefront6targetE1EEEvT1_.kd
    .uniform_work_group_size: 1
    .uses_dynamic_stack: false
    .vgpr_count:     85
    .vgpr_spill_count: 0
    .wavefront_size: 64
  - .agpr_count:     0
    .args:
      - .offset:         0
        .size:           136
        .value_kind:     by_value
    .group_segment_fixed_size: 0
    .kernarg_segment_align: 8
    .kernarg_segment_size: 136
    .language:       OpenCL C
    .language_version:
      - 2
      - 0
    .max_flat_workgroup_size: 64
    .name:           _ZN7rocprim17ROCPRIM_400000_NS6detail17trampoline_kernelINS0_14default_configENS1_27scan_by_key_config_selectorIxxEEZZNS1_16scan_by_key_implILNS1_25lookback_scan_determinismE0ELb0ES3_N6thrust23THRUST_200600_302600_NS6detail15normal_iteratorINS9_10device_ptrIxEEEESE_SE_xNS9_4plusIxEE19head_flag_predicatexEE10hipError_tPvRmT2_T3_T4_T5_mT6_T7_P12ihipStream_tbENKUlT_T0_E_clISt17integral_constantIbLb0EESY_EEDaST_SU_EUlST_E_NS1_11comp_targetILNS1_3genE4ELNS1_11target_archE910ELNS1_3gpuE8ELNS1_3repE0EEENS1_30default_config_static_selectorELNS0_4arch9wavefront6targetE1EEEvT1_
    .private_segment_fixed_size: 0
    .sgpr_count:     6
    .sgpr_spill_count: 0
    .symbol:         _ZN7rocprim17ROCPRIM_400000_NS6detail17trampoline_kernelINS0_14default_configENS1_27scan_by_key_config_selectorIxxEEZZNS1_16scan_by_key_implILNS1_25lookback_scan_determinismE0ELb0ES3_N6thrust23THRUST_200600_302600_NS6detail15normal_iteratorINS9_10device_ptrIxEEEESE_SE_xNS9_4plusIxEE19head_flag_predicatexEE10hipError_tPvRmT2_T3_T4_T5_mT6_T7_P12ihipStream_tbENKUlT_T0_E_clISt17integral_constantIbLb0EESY_EEDaST_SU_EUlST_E_NS1_11comp_targetILNS1_3genE4ELNS1_11target_archE910ELNS1_3gpuE8ELNS1_3repE0EEENS1_30default_config_static_selectorELNS0_4arch9wavefront6targetE1EEEvT1_.kd
    .uniform_work_group_size: 1
    .uses_dynamic_stack: false
    .vgpr_count:     0
    .vgpr_spill_count: 0
    .wavefront_size: 64
  - .agpr_count:     0
    .args:
      - .offset:         0
        .size:           136
        .value_kind:     by_value
    .group_segment_fixed_size: 0
    .kernarg_segment_align: 8
    .kernarg_segment_size: 136
    .language:       OpenCL C
    .language_version:
      - 2
      - 0
    .max_flat_workgroup_size: 256
    .name:           _ZN7rocprim17ROCPRIM_400000_NS6detail17trampoline_kernelINS0_14default_configENS1_27scan_by_key_config_selectorIxxEEZZNS1_16scan_by_key_implILNS1_25lookback_scan_determinismE0ELb0ES3_N6thrust23THRUST_200600_302600_NS6detail15normal_iteratorINS9_10device_ptrIxEEEESE_SE_xNS9_4plusIxEE19head_flag_predicatexEE10hipError_tPvRmT2_T3_T4_T5_mT6_T7_P12ihipStream_tbENKUlT_T0_E_clISt17integral_constantIbLb0EESY_EEDaST_SU_EUlST_E_NS1_11comp_targetILNS1_3genE3ELNS1_11target_archE908ELNS1_3gpuE7ELNS1_3repE0EEENS1_30default_config_static_selectorELNS0_4arch9wavefront6targetE1EEEvT1_
    .private_segment_fixed_size: 0
    .sgpr_count:     6
    .sgpr_spill_count: 0
    .symbol:         _ZN7rocprim17ROCPRIM_400000_NS6detail17trampoline_kernelINS0_14default_configENS1_27scan_by_key_config_selectorIxxEEZZNS1_16scan_by_key_implILNS1_25lookback_scan_determinismE0ELb0ES3_N6thrust23THRUST_200600_302600_NS6detail15normal_iteratorINS9_10device_ptrIxEEEESE_SE_xNS9_4plusIxEE19head_flag_predicatexEE10hipError_tPvRmT2_T3_T4_T5_mT6_T7_P12ihipStream_tbENKUlT_T0_E_clISt17integral_constantIbLb0EESY_EEDaST_SU_EUlST_E_NS1_11comp_targetILNS1_3genE3ELNS1_11target_archE908ELNS1_3gpuE7ELNS1_3repE0EEENS1_30default_config_static_selectorELNS0_4arch9wavefront6targetE1EEEvT1_.kd
    .uniform_work_group_size: 1
    .uses_dynamic_stack: false
    .vgpr_count:     0
    .vgpr_spill_count: 0
    .wavefront_size: 64
  - .agpr_count:     0
    .args:
      - .offset:         0
        .size:           136
        .value_kind:     by_value
    .group_segment_fixed_size: 0
    .kernarg_segment_align: 8
    .kernarg_segment_size: 136
    .language:       OpenCL C
    .language_version:
      - 2
      - 0
    .max_flat_workgroup_size: 256
    .name:           _ZN7rocprim17ROCPRIM_400000_NS6detail17trampoline_kernelINS0_14default_configENS1_27scan_by_key_config_selectorIxxEEZZNS1_16scan_by_key_implILNS1_25lookback_scan_determinismE0ELb0ES3_N6thrust23THRUST_200600_302600_NS6detail15normal_iteratorINS9_10device_ptrIxEEEESE_SE_xNS9_4plusIxEE19head_flag_predicatexEE10hipError_tPvRmT2_T3_T4_T5_mT6_T7_P12ihipStream_tbENKUlT_T0_E_clISt17integral_constantIbLb0EESY_EEDaST_SU_EUlST_E_NS1_11comp_targetILNS1_3genE2ELNS1_11target_archE906ELNS1_3gpuE6ELNS1_3repE0EEENS1_30default_config_static_selectorELNS0_4arch9wavefront6targetE1EEEvT1_
    .private_segment_fixed_size: 0
    .sgpr_count:     6
    .sgpr_spill_count: 0
    .symbol:         _ZN7rocprim17ROCPRIM_400000_NS6detail17trampoline_kernelINS0_14default_configENS1_27scan_by_key_config_selectorIxxEEZZNS1_16scan_by_key_implILNS1_25lookback_scan_determinismE0ELb0ES3_N6thrust23THRUST_200600_302600_NS6detail15normal_iteratorINS9_10device_ptrIxEEEESE_SE_xNS9_4plusIxEE19head_flag_predicatexEE10hipError_tPvRmT2_T3_T4_T5_mT6_T7_P12ihipStream_tbENKUlT_T0_E_clISt17integral_constantIbLb0EESY_EEDaST_SU_EUlST_E_NS1_11comp_targetILNS1_3genE2ELNS1_11target_archE906ELNS1_3gpuE6ELNS1_3repE0EEENS1_30default_config_static_selectorELNS0_4arch9wavefront6targetE1EEEvT1_.kd
    .uniform_work_group_size: 1
    .uses_dynamic_stack: false
    .vgpr_count:     0
    .vgpr_spill_count: 0
    .wavefront_size: 64
  - .agpr_count:     0
    .args:
      - .offset:         0
        .size:           136
        .value_kind:     by_value
    .group_segment_fixed_size: 0
    .kernarg_segment_align: 8
    .kernarg_segment_size: 136
    .language:       OpenCL C
    .language_version:
      - 2
      - 0
    .max_flat_workgroup_size: 256
    .name:           _ZN7rocprim17ROCPRIM_400000_NS6detail17trampoline_kernelINS0_14default_configENS1_27scan_by_key_config_selectorIxxEEZZNS1_16scan_by_key_implILNS1_25lookback_scan_determinismE0ELb0ES3_N6thrust23THRUST_200600_302600_NS6detail15normal_iteratorINS9_10device_ptrIxEEEESE_SE_xNS9_4plusIxEE19head_flag_predicatexEE10hipError_tPvRmT2_T3_T4_T5_mT6_T7_P12ihipStream_tbENKUlT_T0_E_clISt17integral_constantIbLb0EESY_EEDaST_SU_EUlST_E_NS1_11comp_targetILNS1_3genE10ELNS1_11target_archE1200ELNS1_3gpuE4ELNS1_3repE0EEENS1_30default_config_static_selectorELNS0_4arch9wavefront6targetE1EEEvT1_
    .private_segment_fixed_size: 0
    .sgpr_count:     6
    .sgpr_spill_count: 0
    .symbol:         _ZN7rocprim17ROCPRIM_400000_NS6detail17trampoline_kernelINS0_14default_configENS1_27scan_by_key_config_selectorIxxEEZZNS1_16scan_by_key_implILNS1_25lookback_scan_determinismE0ELb0ES3_N6thrust23THRUST_200600_302600_NS6detail15normal_iteratorINS9_10device_ptrIxEEEESE_SE_xNS9_4plusIxEE19head_flag_predicatexEE10hipError_tPvRmT2_T3_T4_T5_mT6_T7_P12ihipStream_tbENKUlT_T0_E_clISt17integral_constantIbLb0EESY_EEDaST_SU_EUlST_E_NS1_11comp_targetILNS1_3genE10ELNS1_11target_archE1200ELNS1_3gpuE4ELNS1_3repE0EEENS1_30default_config_static_selectorELNS0_4arch9wavefront6targetE1EEEvT1_.kd
    .uniform_work_group_size: 1
    .uses_dynamic_stack: false
    .vgpr_count:     0
    .vgpr_spill_count: 0
    .wavefront_size: 64
  - .agpr_count:     0
    .args:
      - .offset:         0
        .size:           136
        .value_kind:     by_value
    .group_segment_fixed_size: 0
    .kernarg_segment_align: 8
    .kernarg_segment_size: 136
    .language:       OpenCL C
    .language_version:
      - 2
      - 0
    .max_flat_workgroup_size: 256
    .name:           _ZN7rocprim17ROCPRIM_400000_NS6detail17trampoline_kernelINS0_14default_configENS1_27scan_by_key_config_selectorIxxEEZZNS1_16scan_by_key_implILNS1_25lookback_scan_determinismE0ELb0ES3_N6thrust23THRUST_200600_302600_NS6detail15normal_iteratorINS9_10device_ptrIxEEEESE_SE_xNS9_4plusIxEE19head_flag_predicatexEE10hipError_tPvRmT2_T3_T4_T5_mT6_T7_P12ihipStream_tbENKUlT_T0_E_clISt17integral_constantIbLb0EESY_EEDaST_SU_EUlST_E_NS1_11comp_targetILNS1_3genE9ELNS1_11target_archE1100ELNS1_3gpuE3ELNS1_3repE0EEENS1_30default_config_static_selectorELNS0_4arch9wavefront6targetE1EEEvT1_
    .private_segment_fixed_size: 0
    .sgpr_count:     6
    .sgpr_spill_count: 0
    .symbol:         _ZN7rocprim17ROCPRIM_400000_NS6detail17trampoline_kernelINS0_14default_configENS1_27scan_by_key_config_selectorIxxEEZZNS1_16scan_by_key_implILNS1_25lookback_scan_determinismE0ELb0ES3_N6thrust23THRUST_200600_302600_NS6detail15normal_iteratorINS9_10device_ptrIxEEEESE_SE_xNS9_4plusIxEE19head_flag_predicatexEE10hipError_tPvRmT2_T3_T4_T5_mT6_T7_P12ihipStream_tbENKUlT_T0_E_clISt17integral_constantIbLb0EESY_EEDaST_SU_EUlST_E_NS1_11comp_targetILNS1_3genE9ELNS1_11target_archE1100ELNS1_3gpuE3ELNS1_3repE0EEENS1_30default_config_static_selectorELNS0_4arch9wavefront6targetE1EEEvT1_.kd
    .uniform_work_group_size: 1
    .uses_dynamic_stack: false
    .vgpr_count:     0
    .vgpr_spill_count: 0
    .wavefront_size: 64
  - .agpr_count:     0
    .args:
      - .offset:         0
        .size:           136
        .value_kind:     by_value
    .group_segment_fixed_size: 0
    .kernarg_segment_align: 8
    .kernarg_segment_size: 136
    .language:       OpenCL C
    .language_version:
      - 2
      - 0
    .max_flat_workgroup_size: 256
    .name:           _ZN7rocprim17ROCPRIM_400000_NS6detail17trampoline_kernelINS0_14default_configENS1_27scan_by_key_config_selectorIxxEEZZNS1_16scan_by_key_implILNS1_25lookback_scan_determinismE0ELb0ES3_N6thrust23THRUST_200600_302600_NS6detail15normal_iteratorINS9_10device_ptrIxEEEESE_SE_xNS9_4plusIxEE19head_flag_predicatexEE10hipError_tPvRmT2_T3_T4_T5_mT6_T7_P12ihipStream_tbENKUlT_T0_E_clISt17integral_constantIbLb0EESY_EEDaST_SU_EUlST_E_NS1_11comp_targetILNS1_3genE8ELNS1_11target_archE1030ELNS1_3gpuE2ELNS1_3repE0EEENS1_30default_config_static_selectorELNS0_4arch9wavefront6targetE1EEEvT1_
    .private_segment_fixed_size: 0
    .sgpr_count:     6
    .sgpr_spill_count: 0
    .symbol:         _ZN7rocprim17ROCPRIM_400000_NS6detail17trampoline_kernelINS0_14default_configENS1_27scan_by_key_config_selectorIxxEEZZNS1_16scan_by_key_implILNS1_25lookback_scan_determinismE0ELb0ES3_N6thrust23THRUST_200600_302600_NS6detail15normal_iteratorINS9_10device_ptrIxEEEESE_SE_xNS9_4plusIxEE19head_flag_predicatexEE10hipError_tPvRmT2_T3_T4_T5_mT6_T7_P12ihipStream_tbENKUlT_T0_E_clISt17integral_constantIbLb0EESY_EEDaST_SU_EUlST_E_NS1_11comp_targetILNS1_3genE8ELNS1_11target_archE1030ELNS1_3gpuE2ELNS1_3repE0EEENS1_30default_config_static_selectorELNS0_4arch9wavefront6targetE1EEEvT1_.kd
    .uniform_work_group_size: 1
    .uses_dynamic_stack: false
    .vgpr_count:     0
    .vgpr_spill_count: 0
    .wavefront_size: 64
  - .agpr_count:     0
    .args:
      - .offset:         0
        .size:           136
        .value_kind:     by_value
    .group_segment_fixed_size: 0
    .kernarg_segment_align: 8
    .kernarg_segment_size: 136
    .language:       OpenCL C
    .language_version:
      - 2
      - 0
    .max_flat_workgroup_size: 256
    .name:           _ZN7rocprim17ROCPRIM_400000_NS6detail17trampoline_kernelINS0_14default_configENS1_27scan_by_key_config_selectorIxxEEZZNS1_16scan_by_key_implILNS1_25lookback_scan_determinismE0ELb0ES3_N6thrust23THRUST_200600_302600_NS6detail15normal_iteratorINS9_10device_ptrIxEEEESE_SE_xNS9_4plusIxEE19head_flag_predicatexEE10hipError_tPvRmT2_T3_T4_T5_mT6_T7_P12ihipStream_tbENKUlT_T0_E_clISt17integral_constantIbLb1EESY_EEDaST_SU_EUlST_E_NS1_11comp_targetILNS1_3genE0ELNS1_11target_archE4294967295ELNS1_3gpuE0ELNS1_3repE0EEENS1_30default_config_static_selectorELNS0_4arch9wavefront6targetE1EEEvT1_
    .private_segment_fixed_size: 0
    .sgpr_count:     6
    .sgpr_spill_count: 0
    .symbol:         _ZN7rocprim17ROCPRIM_400000_NS6detail17trampoline_kernelINS0_14default_configENS1_27scan_by_key_config_selectorIxxEEZZNS1_16scan_by_key_implILNS1_25lookback_scan_determinismE0ELb0ES3_N6thrust23THRUST_200600_302600_NS6detail15normal_iteratorINS9_10device_ptrIxEEEESE_SE_xNS9_4plusIxEE19head_flag_predicatexEE10hipError_tPvRmT2_T3_T4_T5_mT6_T7_P12ihipStream_tbENKUlT_T0_E_clISt17integral_constantIbLb1EESY_EEDaST_SU_EUlST_E_NS1_11comp_targetILNS1_3genE0ELNS1_11target_archE4294967295ELNS1_3gpuE0ELNS1_3repE0EEENS1_30default_config_static_selectorELNS0_4arch9wavefront6targetE1EEEvT1_.kd
    .uniform_work_group_size: 1
    .uses_dynamic_stack: false
    .vgpr_count:     0
    .vgpr_spill_count: 0
    .wavefront_size: 64
  - .agpr_count:     0
    .args:
      - .offset:         0
        .size:           136
        .value_kind:     by_value
    .group_segment_fixed_size: 0
    .kernarg_segment_align: 8
    .kernarg_segment_size: 136
    .language:       OpenCL C
    .language_version:
      - 2
      - 0
    .max_flat_workgroup_size: 256
    .name:           _ZN7rocprim17ROCPRIM_400000_NS6detail17trampoline_kernelINS0_14default_configENS1_27scan_by_key_config_selectorIxxEEZZNS1_16scan_by_key_implILNS1_25lookback_scan_determinismE0ELb0ES3_N6thrust23THRUST_200600_302600_NS6detail15normal_iteratorINS9_10device_ptrIxEEEESE_SE_xNS9_4plusIxEE19head_flag_predicatexEE10hipError_tPvRmT2_T3_T4_T5_mT6_T7_P12ihipStream_tbENKUlT_T0_E_clISt17integral_constantIbLb1EESY_EEDaST_SU_EUlST_E_NS1_11comp_targetILNS1_3genE10ELNS1_11target_archE1201ELNS1_3gpuE5ELNS1_3repE0EEENS1_30default_config_static_selectorELNS0_4arch9wavefront6targetE1EEEvT1_
    .private_segment_fixed_size: 0
    .sgpr_count:     6
    .sgpr_spill_count: 0
    .symbol:         _ZN7rocprim17ROCPRIM_400000_NS6detail17trampoline_kernelINS0_14default_configENS1_27scan_by_key_config_selectorIxxEEZZNS1_16scan_by_key_implILNS1_25lookback_scan_determinismE0ELb0ES3_N6thrust23THRUST_200600_302600_NS6detail15normal_iteratorINS9_10device_ptrIxEEEESE_SE_xNS9_4plusIxEE19head_flag_predicatexEE10hipError_tPvRmT2_T3_T4_T5_mT6_T7_P12ihipStream_tbENKUlT_T0_E_clISt17integral_constantIbLb1EESY_EEDaST_SU_EUlST_E_NS1_11comp_targetILNS1_3genE10ELNS1_11target_archE1201ELNS1_3gpuE5ELNS1_3repE0EEENS1_30default_config_static_selectorELNS0_4arch9wavefront6targetE1EEEvT1_.kd
    .uniform_work_group_size: 1
    .uses_dynamic_stack: false
    .vgpr_count:     0
    .vgpr_spill_count: 0
    .wavefront_size: 64
  - .agpr_count:     0
    .args:
      - .offset:         0
        .size:           136
        .value_kind:     by_value
    .group_segment_fixed_size: 32768
    .kernarg_segment_align: 8
    .kernarg_segment_size: 136
    .language:       OpenCL C
    .language_version:
      - 2
      - 0
    .max_flat_workgroup_size: 256
    .name:           _ZN7rocprim17ROCPRIM_400000_NS6detail17trampoline_kernelINS0_14default_configENS1_27scan_by_key_config_selectorIxxEEZZNS1_16scan_by_key_implILNS1_25lookback_scan_determinismE0ELb0ES3_N6thrust23THRUST_200600_302600_NS6detail15normal_iteratorINS9_10device_ptrIxEEEESE_SE_xNS9_4plusIxEE19head_flag_predicatexEE10hipError_tPvRmT2_T3_T4_T5_mT6_T7_P12ihipStream_tbENKUlT_T0_E_clISt17integral_constantIbLb1EESY_EEDaST_SU_EUlST_E_NS1_11comp_targetILNS1_3genE5ELNS1_11target_archE942ELNS1_3gpuE9ELNS1_3repE0EEENS1_30default_config_static_selectorELNS0_4arch9wavefront6targetE1EEEvT1_
    .private_segment_fixed_size: 0
    .sgpr_count:     70
    .sgpr_spill_count: 0
    .symbol:         _ZN7rocprim17ROCPRIM_400000_NS6detail17trampoline_kernelINS0_14default_configENS1_27scan_by_key_config_selectorIxxEEZZNS1_16scan_by_key_implILNS1_25lookback_scan_determinismE0ELb0ES3_N6thrust23THRUST_200600_302600_NS6detail15normal_iteratorINS9_10device_ptrIxEEEESE_SE_xNS9_4plusIxEE19head_flag_predicatexEE10hipError_tPvRmT2_T3_T4_T5_mT6_T7_P12ihipStream_tbENKUlT_T0_E_clISt17integral_constantIbLb1EESY_EEDaST_SU_EUlST_E_NS1_11comp_targetILNS1_3genE5ELNS1_11target_archE942ELNS1_3gpuE9ELNS1_3repE0EEENS1_30default_config_static_selectorELNS0_4arch9wavefront6targetE1EEEvT1_.kd
    .uniform_work_group_size: 1
    .uses_dynamic_stack: false
    .vgpr_count:     85
    .vgpr_spill_count: 0
    .wavefront_size: 64
  - .agpr_count:     0
    .args:
      - .offset:         0
        .size:           136
        .value_kind:     by_value
    .group_segment_fixed_size: 0
    .kernarg_segment_align: 8
    .kernarg_segment_size: 136
    .language:       OpenCL C
    .language_version:
      - 2
      - 0
    .max_flat_workgroup_size: 64
    .name:           _ZN7rocprim17ROCPRIM_400000_NS6detail17trampoline_kernelINS0_14default_configENS1_27scan_by_key_config_selectorIxxEEZZNS1_16scan_by_key_implILNS1_25lookback_scan_determinismE0ELb0ES3_N6thrust23THRUST_200600_302600_NS6detail15normal_iteratorINS9_10device_ptrIxEEEESE_SE_xNS9_4plusIxEE19head_flag_predicatexEE10hipError_tPvRmT2_T3_T4_T5_mT6_T7_P12ihipStream_tbENKUlT_T0_E_clISt17integral_constantIbLb1EESY_EEDaST_SU_EUlST_E_NS1_11comp_targetILNS1_3genE4ELNS1_11target_archE910ELNS1_3gpuE8ELNS1_3repE0EEENS1_30default_config_static_selectorELNS0_4arch9wavefront6targetE1EEEvT1_
    .private_segment_fixed_size: 0
    .sgpr_count:     6
    .sgpr_spill_count: 0
    .symbol:         _ZN7rocprim17ROCPRIM_400000_NS6detail17trampoline_kernelINS0_14default_configENS1_27scan_by_key_config_selectorIxxEEZZNS1_16scan_by_key_implILNS1_25lookback_scan_determinismE0ELb0ES3_N6thrust23THRUST_200600_302600_NS6detail15normal_iteratorINS9_10device_ptrIxEEEESE_SE_xNS9_4plusIxEE19head_flag_predicatexEE10hipError_tPvRmT2_T3_T4_T5_mT6_T7_P12ihipStream_tbENKUlT_T0_E_clISt17integral_constantIbLb1EESY_EEDaST_SU_EUlST_E_NS1_11comp_targetILNS1_3genE4ELNS1_11target_archE910ELNS1_3gpuE8ELNS1_3repE0EEENS1_30default_config_static_selectorELNS0_4arch9wavefront6targetE1EEEvT1_.kd
    .uniform_work_group_size: 1
    .uses_dynamic_stack: false
    .vgpr_count:     0
    .vgpr_spill_count: 0
    .wavefront_size: 64
  - .agpr_count:     0
    .args:
      - .offset:         0
        .size:           136
        .value_kind:     by_value
    .group_segment_fixed_size: 0
    .kernarg_segment_align: 8
    .kernarg_segment_size: 136
    .language:       OpenCL C
    .language_version:
      - 2
      - 0
    .max_flat_workgroup_size: 256
    .name:           _ZN7rocprim17ROCPRIM_400000_NS6detail17trampoline_kernelINS0_14default_configENS1_27scan_by_key_config_selectorIxxEEZZNS1_16scan_by_key_implILNS1_25lookback_scan_determinismE0ELb0ES3_N6thrust23THRUST_200600_302600_NS6detail15normal_iteratorINS9_10device_ptrIxEEEESE_SE_xNS9_4plusIxEE19head_flag_predicatexEE10hipError_tPvRmT2_T3_T4_T5_mT6_T7_P12ihipStream_tbENKUlT_T0_E_clISt17integral_constantIbLb1EESY_EEDaST_SU_EUlST_E_NS1_11comp_targetILNS1_3genE3ELNS1_11target_archE908ELNS1_3gpuE7ELNS1_3repE0EEENS1_30default_config_static_selectorELNS0_4arch9wavefront6targetE1EEEvT1_
    .private_segment_fixed_size: 0
    .sgpr_count:     6
    .sgpr_spill_count: 0
    .symbol:         _ZN7rocprim17ROCPRIM_400000_NS6detail17trampoline_kernelINS0_14default_configENS1_27scan_by_key_config_selectorIxxEEZZNS1_16scan_by_key_implILNS1_25lookback_scan_determinismE0ELb0ES3_N6thrust23THRUST_200600_302600_NS6detail15normal_iteratorINS9_10device_ptrIxEEEESE_SE_xNS9_4plusIxEE19head_flag_predicatexEE10hipError_tPvRmT2_T3_T4_T5_mT6_T7_P12ihipStream_tbENKUlT_T0_E_clISt17integral_constantIbLb1EESY_EEDaST_SU_EUlST_E_NS1_11comp_targetILNS1_3genE3ELNS1_11target_archE908ELNS1_3gpuE7ELNS1_3repE0EEENS1_30default_config_static_selectorELNS0_4arch9wavefront6targetE1EEEvT1_.kd
    .uniform_work_group_size: 1
    .uses_dynamic_stack: false
    .vgpr_count:     0
    .vgpr_spill_count: 0
    .wavefront_size: 64
  - .agpr_count:     0
    .args:
      - .offset:         0
        .size:           136
        .value_kind:     by_value
    .group_segment_fixed_size: 0
    .kernarg_segment_align: 8
    .kernarg_segment_size: 136
    .language:       OpenCL C
    .language_version:
      - 2
      - 0
    .max_flat_workgroup_size: 256
    .name:           _ZN7rocprim17ROCPRIM_400000_NS6detail17trampoline_kernelINS0_14default_configENS1_27scan_by_key_config_selectorIxxEEZZNS1_16scan_by_key_implILNS1_25lookback_scan_determinismE0ELb0ES3_N6thrust23THRUST_200600_302600_NS6detail15normal_iteratorINS9_10device_ptrIxEEEESE_SE_xNS9_4plusIxEE19head_flag_predicatexEE10hipError_tPvRmT2_T3_T4_T5_mT6_T7_P12ihipStream_tbENKUlT_T0_E_clISt17integral_constantIbLb1EESY_EEDaST_SU_EUlST_E_NS1_11comp_targetILNS1_3genE2ELNS1_11target_archE906ELNS1_3gpuE6ELNS1_3repE0EEENS1_30default_config_static_selectorELNS0_4arch9wavefront6targetE1EEEvT1_
    .private_segment_fixed_size: 0
    .sgpr_count:     6
    .sgpr_spill_count: 0
    .symbol:         _ZN7rocprim17ROCPRIM_400000_NS6detail17trampoline_kernelINS0_14default_configENS1_27scan_by_key_config_selectorIxxEEZZNS1_16scan_by_key_implILNS1_25lookback_scan_determinismE0ELb0ES3_N6thrust23THRUST_200600_302600_NS6detail15normal_iteratorINS9_10device_ptrIxEEEESE_SE_xNS9_4plusIxEE19head_flag_predicatexEE10hipError_tPvRmT2_T3_T4_T5_mT6_T7_P12ihipStream_tbENKUlT_T0_E_clISt17integral_constantIbLb1EESY_EEDaST_SU_EUlST_E_NS1_11comp_targetILNS1_3genE2ELNS1_11target_archE906ELNS1_3gpuE6ELNS1_3repE0EEENS1_30default_config_static_selectorELNS0_4arch9wavefront6targetE1EEEvT1_.kd
    .uniform_work_group_size: 1
    .uses_dynamic_stack: false
    .vgpr_count:     0
    .vgpr_spill_count: 0
    .wavefront_size: 64
  - .agpr_count:     0
    .args:
      - .offset:         0
        .size:           136
        .value_kind:     by_value
    .group_segment_fixed_size: 0
    .kernarg_segment_align: 8
    .kernarg_segment_size: 136
    .language:       OpenCL C
    .language_version:
      - 2
      - 0
    .max_flat_workgroup_size: 256
    .name:           _ZN7rocprim17ROCPRIM_400000_NS6detail17trampoline_kernelINS0_14default_configENS1_27scan_by_key_config_selectorIxxEEZZNS1_16scan_by_key_implILNS1_25lookback_scan_determinismE0ELb0ES3_N6thrust23THRUST_200600_302600_NS6detail15normal_iteratorINS9_10device_ptrIxEEEESE_SE_xNS9_4plusIxEE19head_flag_predicatexEE10hipError_tPvRmT2_T3_T4_T5_mT6_T7_P12ihipStream_tbENKUlT_T0_E_clISt17integral_constantIbLb1EESY_EEDaST_SU_EUlST_E_NS1_11comp_targetILNS1_3genE10ELNS1_11target_archE1200ELNS1_3gpuE4ELNS1_3repE0EEENS1_30default_config_static_selectorELNS0_4arch9wavefront6targetE1EEEvT1_
    .private_segment_fixed_size: 0
    .sgpr_count:     6
    .sgpr_spill_count: 0
    .symbol:         _ZN7rocprim17ROCPRIM_400000_NS6detail17trampoline_kernelINS0_14default_configENS1_27scan_by_key_config_selectorIxxEEZZNS1_16scan_by_key_implILNS1_25lookback_scan_determinismE0ELb0ES3_N6thrust23THRUST_200600_302600_NS6detail15normal_iteratorINS9_10device_ptrIxEEEESE_SE_xNS9_4plusIxEE19head_flag_predicatexEE10hipError_tPvRmT2_T3_T4_T5_mT6_T7_P12ihipStream_tbENKUlT_T0_E_clISt17integral_constantIbLb1EESY_EEDaST_SU_EUlST_E_NS1_11comp_targetILNS1_3genE10ELNS1_11target_archE1200ELNS1_3gpuE4ELNS1_3repE0EEENS1_30default_config_static_selectorELNS0_4arch9wavefront6targetE1EEEvT1_.kd
    .uniform_work_group_size: 1
    .uses_dynamic_stack: false
    .vgpr_count:     0
    .vgpr_spill_count: 0
    .wavefront_size: 64
  - .agpr_count:     0
    .args:
      - .offset:         0
        .size:           136
        .value_kind:     by_value
    .group_segment_fixed_size: 0
    .kernarg_segment_align: 8
    .kernarg_segment_size: 136
    .language:       OpenCL C
    .language_version:
      - 2
      - 0
    .max_flat_workgroup_size: 256
    .name:           _ZN7rocprim17ROCPRIM_400000_NS6detail17trampoline_kernelINS0_14default_configENS1_27scan_by_key_config_selectorIxxEEZZNS1_16scan_by_key_implILNS1_25lookback_scan_determinismE0ELb0ES3_N6thrust23THRUST_200600_302600_NS6detail15normal_iteratorINS9_10device_ptrIxEEEESE_SE_xNS9_4plusIxEE19head_flag_predicatexEE10hipError_tPvRmT2_T3_T4_T5_mT6_T7_P12ihipStream_tbENKUlT_T0_E_clISt17integral_constantIbLb1EESY_EEDaST_SU_EUlST_E_NS1_11comp_targetILNS1_3genE9ELNS1_11target_archE1100ELNS1_3gpuE3ELNS1_3repE0EEENS1_30default_config_static_selectorELNS0_4arch9wavefront6targetE1EEEvT1_
    .private_segment_fixed_size: 0
    .sgpr_count:     6
    .sgpr_spill_count: 0
    .symbol:         _ZN7rocprim17ROCPRIM_400000_NS6detail17trampoline_kernelINS0_14default_configENS1_27scan_by_key_config_selectorIxxEEZZNS1_16scan_by_key_implILNS1_25lookback_scan_determinismE0ELb0ES3_N6thrust23THRUST_200600_302600_NS6detail15normal_iteratorINS9_10device_ptrIxEEEESE_SE_xNS9_4plusIxEE19head_flag_predicatexEE10hipError_tPvRmT2_T3_T4_T5_mT6_T7_P12ihipStream_tbENKUlT_T0_E_clISt17integral_constantIbLb1EESY_EEDaST_SU_EUlST_E_NS1_11comp_targetILNS1_3genE9ELNS1_11target_archE1100ELNS1_3gpuE3ELNS1_3repE0EEENS1_30default_config_static_selectorELNS0_4arch9wavefront6targetE1EEEvT1_.kd
    .uniform_work_group_size: 1
    .uses_dynamic_stack: false
    .vgpr_count:     0
    .vgpr_spill_count: 0
    .wavefront_size: 64
  - .agpr_count:     0
    .args:
      - .offset:         0
        .size:           136
        .value_kind:     by_value
    .group_segment_fixed_size: 0
    .kernarg_segment_align: 8
    .kernarg_segment_size: 136
    .language:       OpenCL C
    .language_version:
      - 2
      - 0
    .max_flat_workgroup_size: 256
    .name:           _ZN7rocprim17ROCPRIM_400000_NS6detail17trampoline_kernelINS0_14default_configENS1_27scan_by_key_config_selectorIxxEEZZNS1_16scan_by_key_implILNS1_25lookback_scan_determinismE0ELb0ES3_N6thrust23THRUST_200600_302600_NS6detail15normal_iteratorINS9_10device_ptrIxEEEESE_SE_xNS9_4plusIxEE19head_flag_predicatexEE10hipError_tPvRmT2_T3_T4_T5_mT6_T7_P12ihipStream_tbENKUlT_T0_E_clISt17integral_constantIbLb1EESY_EEDaST_SU_EUlST_E_NS1_11comp_targetILNS1_3genE8ELNS1_11target_archE1030ELNS1_3gpuE2ELNS1_3repE0EEENS1_30default_config_static_selectorELNS0_4arch9wavefront6targetE1EEEvT1_
    .private_segment_fixed_size: 0
    .sgpr_count:     6
    .sgpr_spill_count: 0
    .symbol:         _ZN7rocprim17ROCPRIM_400000_NS6detail17trampoline_kernelINS0_14default_configENS1_27scan_by_key_config_selectorIxxEEZZNS1_16scan_by_key_implILNS1_25lookback_scan_determinismE0ELb0ES3_N6thrust23THRUST_200600_302600_NS6detail15normal_iteratorINS9_10device_ptrIxEEEESE_SE_xNS9_4plusIxEE19head_flag_predicatexEE10hipError_tPvRmT2_T3_T4_T5_mT6_T7_P12ihipStream_tbENKUlT_T0_E_clISt17integral_constantIbLb1EESY_EEDaST_SU_EUlST_E_NS1_11comp_targetILNS1_3genE8ELNS1_11target_archE1030ELNS1_3gpuE2ELNS1_3repE0EEENS1_30default_config_static_selectorELNS0_4arch9wavefront6targetE1EEEvT1_.kd
    .uniform_work_group_size: 1
    .uses_dynamic_stack: false
    .vgpr_count:     0
    .vgpr_spill_count: 0
    .wavefront_size: 64
  - .agpr_count:     0
    .args:
      - .offset:         0
        .size:           136
        .value_kind:     by_value
    .group_segment_fixed_size: 0
    .kernarg_segment_align: 8
    .kernarg_segment_size: 136
    .language:       OpenCL C
    .language_version:
      - 2
      - 0
    .max_flat_workgroup_size: 256
    .name:           _ZN7rocprim17ROCPRIM_400000_NS6detail17trampoline_kernelINS0_14default_configENS1_27scan_by_key_config_selectorIxxEEZZNS1_16scan_by_key_implILNS1_25lookback_scan_determinismE0ELb0ES3_N6thrust23THRUST_200600_302600_NS6detail15normal_iteratorINS9_10device_ptrIxEEEESE_SE_xNS9_4plusIxEE19head_flag_predicatexEE10hipError_tPvRmT2_T3_T4_T5_mT6_T7_P12ihipStream_tbENKUlT_T0_E_clISt17integral_constantIbLb1EESX_IbLb0EEEEDaST_SU_EUlST_E_NS1_11comp_targetILNS1_3genE0ELNS1_11target_archE4294967295ELNS1_3gpuE0ELNS1_3repE0EEENS1_30default_config_static_selectorELNS0_4arch9wavefront6targetE1EEEvT1_
    .private_segment_fixed_size: 0
    .sgpr_count:     6
    .sgpr_spill_count: 0
    .symbol:         _ZN7rocprim17ROCPRIM_400000_NS6detail17trampoline_kernelINS0_14default_configENS1_27scan_by_key_config_selectorIxxEEZZNS1_16scan_by_key_implILNS1_25lookback_scan_determinismE0ELb0ES3_N6thrust23THRUST_200600_302600_NS6detail15normal_iteratorINS9_10device_ptrIxEEEESE_SE_xNS9_4plusIxEE19head_flag_predicatexEE10hipError_tPvRmT2_T3_T4_T5_mT6_T7_P12ihipStream_tbENKUlT_T0_E_clISt17integral_constantIbLb1EESX_IbLb0EEEEDaST_SU_EUlST_E_NS1_11comp_targetILNS1_3genE0ELNS1_11target_archE4294967295ELNS1_3gpuE0ELNS1_3repE0EEENS1_30default_config_static_selectorELNS0_4arch9wavefront6targetE1EEEvT1_.kd
    .uniform_work_group_size: 1
    .uses_dynamic_stack: false
    .vgpr_count:     0
    .vgpr_spill_count: 0
    .wavefront_size: 64
  - .agpr_count:     0
    .args:
      - .offset:         0
        .size:           136
        .value_kind:     by_value
    .group_segment_fixed_size: 0
    .kernarg_segment_align: 8
    .kernarg_segment_size: 136
    .language:       OpenCL C
    .language_version:
      - 2
      - 0
    .max_flat_workgroup_size: 256
    .name:           _ZN7rocprim17ROCPRIM_400000_NS6detail17trampoline_kernelINS0_14default_configENS1_27scan_by_key_config_selectorIxxEEZZNS1_16scan_by_key_implILNS1_25lookback_scan_determinismE0ELb0ES3_N6thrust23THRUST_200600_302600_NS6detail15normal_iteratorINS9_10device_ptrIxEEEESE_SE_xNS9_4plusIxEE19head_flag_predicatexEE10hipError_tPvRmT2_T3_T4_T5_mT6_T7_P12ihipStream_tbENKUlT_T0_E_clISt17integral_constantIbLb1EESX_IbLb0EEEEDaST_SU_EUlST_E_NS1_11comp_targetILNS1_3genE10ELNS1_11target_archE1201ELNS1_3gpuE5ELNS1_3repE0EEENS1_30default_config_static_selectorELNS0_4arch9wavefront6targetE1EEEvT1_
    .private_segment_fixed_size: 0
    .sgpr_count:     6
    .sgpr_spill_count: 0
    .symbol:         _ZN7rocprim17ROCPRIM_400000_NS6detail17trampoline_kernelINS0_14default_configENS1_27scan_by_key_config_selectorIxxEEZZNS1_16scan_by_key_implILNS1_25lookback_scan_determinismE0ELb0ES3_N6thrust23THRUST_200600_302600_NS6detail15normal_iteratorINS9_10device_ptrIxEEEESE_SE_xNS9_4plusIxEE19head_flag_predicatexEE10hipError_tPvRmT2_T3_T4_T5_mT6_T7_P12ihipStream_tbENKUlT_T0_E_clISt17integral_constantIbLb1EESX_IbLb0EEEEDaST_SU_EUlST_E_NS1_11comp_targetILNS1_3genE10ELNS1_11target_archE1201ELNS1_3gpuE5ELNS1_3repE0EEENS1_30default_config_static_selectorELNS0_4arch9wavefront6targetE1EEEvT1_.kd
    .uniform_work_group_size: 1
    .uses_dynamic_stack: false
    .vgpr_count:     0
    .vgpr_spill_count: 0
    .wavefront_size: 64
  - .agpr_count:     0
    .args:
      - .offset:         0
        .size:           136
        .value_kind:     by_value
    .group_segment_fixed_size: 32768
    .kernarg_segment_align: 8
    .kernarg_segment_size: 136
    .language:       OpenCL C
    .language_version:
      - 2
      - 0
    .max_flat_workgroup_size: 256
    .name:           _ZN7rocprim17ROCPRIM_400000_NS6detail17trampoline_kernelINS0_14default_configENS1_27scan_by_key_config_selectorIxxEEZZNS1_16scan_by_key_implILNS1_25lookback_scan_determinismE0ELb0ES3_N6thrust23THRUST_200600_302600_NS6detail15normal_iteratorINS9_10device_ptrIxEEEESE_SE_xNS9_4plusIxEE19head_flag_predicatexEE10hipError_tPvRmT2_T3_T4_T5_mT6_T7_P12ihipStream_tbENKUlT_T0_E_clISt17integral_constantIbLb1EESX_IbLb0EEEEDaST_SU_EUlST_E_NS1_11comp_targetILNS1_3genE5ELNS1_11target_archE942ELNS1_3gpuE9ELNS1_3repE0EEENS1_30default_config_static_selectorELNS0_4arch9wavefront6targetE1EEEvT1_
    .private_segment_fixed_size: 0
    .sgpr_count:     66
    .sgpr_spill_count: 0
    .symbol:         _ZN7rocprim17ROCPRIM_400000_NS6detail17trampoline_kernelINS0_14default_configENS1_27scan_by_key_config_selectorIxxEEZZNS1_16scan_by_key_implILNS1_25lookback_scan_determinismE0ELb0ES3_N6thrust23THRUST_200600_302600_NS6detail15normal_iteratorINS9_10device_ptrIxEEEESE_SE_xNS9_4plusIxEE19head_flag_predicatexEE10hipError_tPvRmT2_T3_T4_T5_mT6_T7_P12ihipStream_tbENKUlT_T0_E_clISt17integral_constantIbLb1EESX_IbLb0EEEEDaST_SU_EUlST_E_NS1_11comp_targetILNS1_3genE5ELNS1_11target_archE942ELNS1_3gpuE9ELNS1_3repE0EEENS1_30default_config_static_selectorELNS0_4arch9wavefront6targetE1EEEvT1_.kd
    .uniform_work_group_size: 1
    .uses_dynamic_stack: false
    .vgpr_count:     85
    .vgpr_spill_count: 0
    .wavefront_size: 64
  - .agpr_count:     0
    .args:
      - .offset:         0
        .size:           136
        .value_kind:     by_value
    .group_segment_fixed_size: 0
    .kernarg_segment_align: 8
    .kernarg_segment_size: 136
    .language:       OpenCL C
    .language_version:
      - 2
      - 0
    .max_flat_workgroup_size: 64
    .name:           _ZN7rocprim17ROCPRIM_400000_NS6detail17trampoline_kernelINS0_14default_configENS1_27scan_by_key_config_selectorIxxEEZZNS1_16scan_by_key_implILNS1_25lookback_scan_determinismE0ELb0ES3_N6thrust23THRUST_200600_302600_NS6detail15normal_iteratorINS9_10device_ptrIxEEEESE_SE_xNS9_4plusIxEE19head_flag_predicatexEE10hipError_tPvRmT2_T3_T4_T5_mT6_T7_P12ihipStream_tbENKUlT_T0_E_clISt17integral_constantIbLb1EESX_IbLb0EEEEDaST_SU_EUlST_E_NS1_11comp_targetILNS1_3genE4ELNS1_11target_archE910ELNS1_3gpuE8ELNS1_3repE0EEENS1_30default_config_static_selectorELNS0_4arch9wavefront6targetE1EEEvT1_
    .private_segment_fixed_size: 0
    .sgpr_count:     6
    .sgpr_spill_count: 0
    .symbol:         _ZN7rocprim17ROCPRIM_400000_NS6detail17trampoline_kernelINS0_14default_configENS1_27scan_by_key_config_selectorIxxEEZZNS1_16scan_by_key_implILNS1_25lookback_scan_determinismE0ELb0ES3_N6thrust23THRUST_200600_302600_NS6detail15normal_iteratorINS9_10device_ptrIxEEEESE_SE_xNS9_4plusIxEE19head_flag_predicatexEE10hipError_tPvRmT2_T3_T4_T5_mT6_T7_P12ihipStream_tbENKUlT_T0_E_clISt17integral_constantIbLb1EESX_IbLb0EEEEDaST_SU_EUlST_E_NS1_11comp_targetILNS1_3genE4ELNS1_11target_archE910ELNS1_3gpuE8ELNS1_3repE0EEENS1_30default_config_static_selectorELNS0_4arch9wavefront6targetE1EEEvT1_.kd
    .uniform_work_group_size: 1
    .uses_dynamic_stack: false
    .vgpr_count:     0
    .vgpr_spill_count: 0
    .wavefront_size: 64
  - .agpr_count:     0
    .args:
      - .offset:         0
        .size:           136
        .value_kind:     by_value
    .group_segment_fixed_size: 0
    .kernarg_segment_align: 8
    .kernarg_segment_size: 136
    .language:       OpenCL C
    .language_version:
      - 2
      - 0
    .max_flat_workgroup_size: 256
    .name:           _ZN7rocprim17ROCPRIM_400000_NS6detail17trampoline_kernelINS0_14default_configENS1_27scan_by_key_config_selectorIxxEEZZNS1_16scan_by_key_implILNS1_25lookback_scan_determinismE0ELb0ES3_N6thrust23THRUST_200600_302600_NS6detail15normal_iteratorINS9_10device_ptrIxEEEESE_SE_xNS9_4plusIxEE19head_flag_predicatexEE10hipError_tPvRmT2_T3_T4_T5_mT6_T7_P12ihipStream_tbENKUlT_T0_E_clISt17integral_constantIbLb1EESX_IbLb0EEEEDaST_SU_EUlST_E_NS1_11comp_targetILNS1_3genE3ELNS1_11target_archE908ELNS1_3gpuE7ELNS1_3repE0EEENS1_30default_config_static_selectorELNS0_4arch9wavefront6targetE1EEEvT1_
    .private_segment_fixed_size: 0
    .sgpr_count:     6
    .sgpr_spill_count: 0
    .symbol:         _ZN7rocprim17ROCPRIM_400000_NS6detail17trampoline_kernelINS0_14default_configENS1_27scan_by_key_config_selectorIxxEEZZNS1_16scan_by_key_implILNS1_25lookback_scan_determinismE0ELb0ES3_N6thrust23THRUST_200600_302600_NS6detail15normal_iteratorINS9_10device_ptrIxEEEESE_SE_xNS9_4plusIxEE19head_flag_predicatexEE10hipError_tPvRmT2_T3_T4_T5_mT6_T7_P12ihipStream_tbENKUlT_T0_E_clISt17integral_constantIbLb1EESX_IbLb0EEEEDaST_SU_EUlST_E_NS1_11comp_targetILNS1_3genE3ELNS1_11target_archE908ELNS1_3gpuE7ELNS1_3repE0EEENS1_30default_config_static_selectorELNS0_4arch9wavefront6targetE1EEEvT1_.kd
    .uniform_work_group_size: 1
    .uses_dynamic_stack: false
    .vgpr_count:     0
    .vgpr_spill_count: 0
    .wavefront_size: 64
  - .agpr_count:     0
    .args:
      - .offset:         0
        .size:           136
        .value_kind:     by_value
    .group_segment_fixed_size: 0
    .kernarg_segment_align: 8
    .kernarg_segment_size: 136
    .language:       OpenCL C
    .language_version:
      - 2
      - 0
    .max_flat_workgroup_size: 256
    .name:           _ZN7rocprim17ROCPRIM_400000_NS6detail17trampoline_kernelINS0_14default_configENS1_27scan_by_key_config_selectorIxxEEZZNS1_16scan_by_key_implILNS1_25lookback_scan_determinismE0ELb0ES3_N6thrust23THRUST_200600_302600_NS6detail15normal_iteratorINS9_10device_ptrIxEEEESE_SE_xNS9_4plusIxEE19head_flag_predicatexEE10hipError_tPvRmT2_T3_T4_T5_mT6_T7_P12ihipStream_tbENKUlT_T0_E_clISt17integral_constantIbLb1EESX_IbLb0EEEEDaST_SU_EUlST_E_NS1_11comp_targetILNS1_3genE2ELNS1_11target_archE906ELNS1_3gpuE6ELNS1_3repE0EEENS1_30default_config_static_selectorELNS0_4arch9wavefront6targetE1EEEvT1_
    .private_segment_fixed_size: 0
    .sgpr_count:     6
    .sgpr_spill_count: 0
    .symbol:         _ZN7rocprim17ROCPRIM_400000_NS6detail17trampoline_kernelINS0_14default_configENS1_27scan_by_key_config_selectorIxxEEZZNS1_16scan_by_key_implILNS1_25lookback_scan_determinismE0ELb0ES3_N6thrust23THRUST_200600_302600_NS6detail15normal_iteratorINS9_10device_ptrIxEEEESE_SE_xNS9_4plusIxEE19head_flag_predicatexEE10hipError_tPvRmT2_T3_T4_T5_mT6_T7_P12ihipStream_tbENKUlT_T0_E_clISt17integral_constantIbLb1EESX_IbLb0EEEEDaST_SU_EUlST_E_NS1_11comp_targetILNS1_3genE2ELNS1_11target_archE906ELNS1_3gpuE6ELNS1_3repE0EEENS1_30default_config_static_selectorELNS0_4arch9wavefront6targetE1EEEvT1_.kd
    .uniform_work_group_size: 1
    .uses_dynamic_stack: false
    .vgpr_count:     0
    .vgpr_spill_count: 0
    .wavefront_size: 64
  - .agpr_count:     0
    .args:
      - .offset:         0
        .size:           136
        .value_kind:     by_value
    .group_segment_fixed_size: 0
    .kernarg_segment_align: 8
    .kernarg_segment_size: 136
    .language:       OpenCL C
    .language_version:
      - 2
      - 0
    .max_flat_workgroup_size: 256
    .name:           _ZN7rocprim17ROCPRIM_400000_NS6detail17trampoline_kernelINS0_14default_configENS1_27scan_by_key_config_selectorIxxEEZZNS1_16scan_by_key_implILNS1_25lookback_scan_determinismE0ELb0ES3_N6thrust23THRUST_200600_302600_NS6detail15normal_iteratorINS9_10device_ptrIxEEEESE_SE_xNS9_4plusIxEE19head_flag_predicatexEE10hipError_tPvRmT2_T3_T4_T5_mT6_T7_P12ihipStream_tbENKUlT_T0_E_clISt17integral_constantIbLb1EESX_IbLb0EEEEDaST_SU_EUlST_E_NS1_11comp_targetILNS1_3genE10ELNS1_11target_archE1200ELNS1_3gpuE4ELNS1_3repE0EEENS1_30default_config_static_selectorELNS0_4arch9wavefront6targetE1EEEvT1_
    .private_segment_fixed_size: 0
    .sgpr_count:     6
    .sgpr_spill_count: 0
    .symbol:         _ZN7rocprim17ROCPRIM_400000_NS6detail17trampoline_kernelINS0_14default_configENS1_27scan_by_key_config_selectorIxxEEZZNS1_16scan_by_key_implILNS1_25lookback_scan_determinismE0ELb0ES3_N6thrust23THRUST_200600_302600_NS6detail15normal_iteratorINS9_10device_ptrIxEEEESE_SE_xNS9_4plusIxEE19head_flag_predicatexEE10hipError_tPvRmT2_T3_T4_T5_mT6_T7_P12ihipStream_tbENKUlT_T0_E_clISt17integral_constantIbLb1EESX_IbLb0EEEEDaST_SU_EUlST_E_NS1_11comp_targetILNS1_3genE10ELNS1_11target_archE1200ELNS1_3gpuE4ELNS1_3repE0EEENS1_30default_config_static_selectorELNS0_4arch9wavefront6targetE1EEEvT1_.kd
    .uniform_work_group_size: 1
    .uses_dynamic_stack: false
    .vgpr_count:     0
    .vgpr_spill_count: 0
    .wavefront_size: 64
  - .agpr_count:     0
    .args:
      - .offset:         0
        .size:           136
        .value_kind:     by_value
    .group_segment_fixed_size: 0
    .kernarg_segment_align: 8
    .kernarg_segment_size: 136
    .language:       OpenCL C
    .language_version:
      - 2
      - 0
    .max_flat_workgroup_size: 256
    .name:           _ZN7rocprim17ROCPRIM_400000_NS6detail17trampoline_kernelINS0_14default_configENS1_27scan_by_key_config_selectorIxxEEZZNS1_16scan_by_key_implILNS1_25lookback_scan_determinismE0ELb0ES3_N6thrust23THRUST_200600_302600_NS6detail15normal_iteratorINS9_10device_ptrIxEEEESE_SE_xNS9_4plusIxEE19head_flag_predicatexEE10hipError_tPvRmT2_T3_T4_T5_mT6_T7_P12ihipStream_tbENKUlT_T0_E_clISt17integral_constantIbLb1EESX_IbLb0EEEEDaST_SU_EUlST_E_NS1_11comp_targetILNS1_3genE9ELNS1_11target_archE1100ELNS1_3gpuE3ELNS1_3repE0EEENS1_30default_config_static_selectorELNS0_4arch9wavefront6targetE1EEEvT1_
    .private_segment_fixed_size: 0
    .sgpr_count:     6
    .sgpr_spill_count: 0
    .symbol:         _ZN7rocprim17ROCPRIM_400000_NS6detail17trampoline_kernelINS0_14default_configENS1_27scan_by_key_config_selectorIxxEEZZNS1_16scan_by_key_implILNS1_25lookback_scan_determinismE0ELb0ES3_N6thrust23THRUST_200600_302600_NS6detail15normal_iteratorINS9_10device_ptrIxEEEESE_SE_xNS9_4plusIxEE19head_flag_predicatexEE10hipError_tPvRmT2_T3_T4_T5_mT6_T7_P12ihipStream_tbENKUlT_T0_E_clISt17integral_constantIbLb1EESX_IbLb0EEEEDaST_SU_EUlST_E_NS1_11comp_targetILNS1_3genE9ELNS1_11target_archE1100ELNS1_3gpuE3ELNS1_3repE0EEENS1_30default_config_static_selectorELNS0_4arch9wavefront6targetE1EEEvT1_.kd
    .uniform_work_group_size: 1
    .uses_dynamic_stack: false
    .vgpr_count:     0
    .vgpr_spill_count: 0
    .wavefront_size: 64
  - .agpr_count:     0
    .args:
      - .offset:         0
        .size:           136
        .value_kind:     by_value
    .group_segment_fixed_size: 0
    .kernarg_segment_align: 8
    .kernarg_segment_size: 136
    .language:       OpenCL C
    .language_version:
      - 2
      - 0
    .max_flat_workgroup_size: 256
    .name:           _ZN7rocprim17ROCPRIM_400000_NS6detail17trampoline_kernelINS0_14default_configENS1_27scan_by_key_config_selectorIxxEEZZNS1_16scan_by_key_implILNS1_25lookback_scan_determinismE0ELb0ES3_N6thrust23THRUST_200600_302600_NS6detail15normal_iteratorINS9_10device_ptrIxEEEESE_SE_xNS9_4plusIxEE19head_flag_predicatexEE10hipError_tPvRmT2_T3_T4_T5_mT6_T7_P12ihipStream_tbENKUlT_T0_E_clISt17integral_constantIbLb1EESX_IbLb0EEEEDaST_SU_EUlST_E_NS1_11comp_targetILNS1_3genE8ELNS1_11target_archE1030ELNS1_3gpuE2ELNS1_3repE0EEENS1_30default_config_static_selectorELNS0_4arch9wavefront6targetE1EEEvT1_
    .private_segment_fixed_size: 0
    .sgpr_count:     6
    .sgpr_spill_count: 0
    .symbol:         _ZN7rocprim17ROCPRIM_400000_NS6detail17trampoline_kernelINS0_14default_configENS1_27scan_by_key_config_selectorIxxEEZZNS1_16scan_by_key_implILNS1_25lookback_scan_determinismE0ELb0ES3_N6thrust23THRUST_200600_302600_NS6detail15normal_iteratorINS9_10device_ptrIxEEEESE_SE_xNS9_4plusIxEE19head_flag_predicatexEE10hipError_tPvRmT2_T3_T4_T5_mT6_T7_P12ihipStream_tbENKUlT_T0_E_clISt17integral_constantIbLb1EESX_IbLb0EEEEDaST_SU_EUlST_E_NS1_11comp_targetILNS1_3genE8ELNS1_11target_archE1030ELNS1_3gpuE2ELNS1_3repE0EEENS1_30default_config_static_selectorELNS0_4arch9wavefront6targetE1EEEvT1_.kd
    .uniform_work_group_size: 1
    .uses_dynamic_stack: false
    .vgpr_count:     0
    .vgpr_spill_count: 0
    .wavefront_size: 64
  - .agpr_count:     0
    .args:
      - .offset:         0
        .size:           136
        .value_kind:     by_value
    .group_segment_fixed_size: 0
    .kernarg_segment_align: 8
    .kernarg_segment_size: 136
    .language:       OpenCL C
    .language_version:
      - 2
      - 0
    .max_flat_workgroup_size: 256
    .name:           _ZN7rocprim17ROCPRIM_400000_NS6detail17trampoline_kernelINS0_14default_configENS1_27scan_by_key_config_selectorIxxEEZZNS1_16scan_by_key_implILNS1_25lookback_scan_determinismE0ELb0ES3_N6thrust23THRUST_200600_302600_NS6detail15normal_iteratorINS9_10device_ptrIxEEEESE_SE_xNS9_4plusIxEE19head_flag_predicatexEE10hipError_tPvRmT2_T3_T4_T5_mT6_T7_P12ihipStream_tbENKUlT_T0_E_clISt17integral_constantIbLb0EESX_IbLb1EEEEDaST_SU_EUlST_E_NS1_11comp_targetILNS1_3genE0ELNS1_11target_archE4294967295ELNS1_3gpuE0ELNS1_3repE0EEENS1_30default_config_static_selectorELNS0_4arch9wavefront6targetE1EEEvT1_
    .private_segment_fixed_size: 0
    .sgpr_count:     6
    .sgpr_spill_count: 0
    .symbol:         _ZN7rocprim17ROCPRIM_400000_NS6detail17trampoline_kernelINS0_14default_configENS1_27scan_by_key_config_selectorIxxEEZZNS1_16scan_by_key_implILNS1_25lookback_scan_determinismE0ELb0ES3_N6thrust23THRUST_200600_302600_NS6detail15normal_iteratorINS9_10device_ptrIxEEEESE_SE_xNS9_4plusIxEE19head_flag_predicatexEE10hipError_tPvRmT2_T3_T4_T5_mT6_T7_P12ihipStream_tbENKUlT_T0_E_clISt17integral_constantIbLb0EESX_IbLb1EEEEDaST_SU_EUlST_E_NS1_11comp_targetILNS1_3genE0ELNS1_11target_archE4294967295ELNS1_3gpuE0ELNS1_3repE0EEENS1_30default_config_static_selectorELNS0_4arch9wavefront6targetE1EEEvT1_.kd
    .uniform_work_group_size: 1
    .uses_dynamic_stack: false
    .vgpr_count:     0
    .vgpr_spill_count: 0
    .wavefront_size: 64
  - .agpr_count:     0
    .args:
      - .offset:         0
        .size:           136
        .value_kind:     by_value
    .group_segment_fixed_size: 0
    .kernarg_segment_align: 8
    .kernarg_segment_size: 136
    .language:       OpenCL C
    .language_version:
      - 2
      - 0
    .max_flat_workgroup_size: 256
    .name:           _ZN7rocprim17ROCPRIM_400000_NS6detail17trampoline_kernelINS0_14default_configENS1_27scan_by_key_config_selectorIxxEEZZNS1_16scan_by_key_implILNS1_25lookback_scan_determinismE0ELb0ES3_N6thrust23THRUST_200600_302600_NS6detail15normal_iteratorINS9_10device_ptrIxEEEESE_SE_xNS9_4plusIxEE19head_flag_predicatexEE10hipError_tPvRmT2_T3_T4_T5_mT6_T7_P12ihipStream_tbENKUlT_T0_E_clISt17integral_constantIbLb0EESX_IbLb1EEEEDaST_SU_EUlST_E_NS1_11comp_targetILNS1_3genE10ELNS1_11target_archE1201ELNS1_3gpuE5ELNS1_3repE0EEENS1_30default_config_static_selectorELNS0_4arch9wavefront6targetE1EEEvT1_
    .private_segment_fixed_size: 0
    .sgpr_count:     6
    .sgpr_spill_count: 0
    .symbol:         _ZN7rocprim17ROCPRIM_400000_NS6detail17trampoline_kernelINS0_14default_configENS1_27scan_by_key_config_selectorIxxEEZZNS1_16scan_by_key_implILNS1_25lookback_scan_determinismE0ELb0ES3_N6thrust23THRUST_200600_302600_NS6detail15normal_iteratorINS9_10device_ptrIxEEEESE_SE_xNS9_4plusIxEE19head_flag_predicatexEE10hipError_tPvRmT2_T3_T4_T5_mT6_T7_P12ihipStream_tbENKUlT_T0_E_clISt17integral_constantIbLb0EESX_IbLb1EEEEDaST_SU_EUlST_E_NS1_11comp_targetILNS1_3genE10ELNS1_11target_archE1201ELNS1_3gpuE5ELNS1_3repE0EEENS1_30default_config_static_selectorELNS0_4arch9wavefront6targetE1EEEvT1_.kd
    .uniform_work_group_size: 1
    .uses_dynamic_stack: false
    .vgpr_count:     0
    .vgpr_spill_count: 0
    .wavefront_size: 64
  - .agpr_count:     0
    .args:
      - .offset:         0
        .size:           136
        .value_kind:     by_value
    .group_segment_fixed_size: 32768
    .kernarg_segment_align: 8
    .kernarg_segment_size: 136
    .language:       OpenCL C
    .language_version:
      - 2
      - 0
    .max_flat_workgroup_size: 256
    .name:           _ZN7rocprim17ROCPRIM_400000_NS6detail17trampoline_kernelINS0_14default_configENS1_27scan_by_key_config_selectorIxxEEZZNS1_16scan_by_key_implILNS1_25lookback_scan_determinismE0ELb0ES3_N6thrust23THRUST_200600_302600_NS6detail15normal_iteratorINS9_10device_ptrIxEEEESE_SE_xNS9_4plusIxEE19head_flag_predicatexEE10hipError_tPvRmT2_T3_T4_T5_mT6_T7_P12ihipStream_tbENKUlT_T0_E_clISt17integral_constantIbLb0EESX_IbLb1EEEEDaST_SU_EUlST_E_NS1_11comp_targetILNS1_3genE5ELNS1_11target_archE942ELNS1_3gpuE9ELNS1_3repE0EEENS1_30default_config_static_selectorELNS0_4arch9wavefront6targetE1EEEvT1_
    .private_segment_fixed_size: 0
    .sgpr_count:     68
    .sgpr_spill_count: 0
    .symbol:         _ZN7rocprim17ROCPRIM_400000_NS6detail17trampoline_kernelINS0_14default_configENS1_27scan_by_key_config_selectorIxxEEZZNS1_16scan_by_key_implILNS1_25lookback_scan_determinismE0ELb0ES3_N6thrust23THRUST_200600_302600_NS6detail15normal_iteratorINS9_10device_ptrIxEEEESE_SE_xNS9_4plusIxEE19head_flag_predicatexEE10hipError_tPvRmT2_T3_T4_T5_mT6_T7_P12ihipStream_tbENKUlT_T0_E_clISt17integral_constantIbLb0EESX_IbLb1EEEEDaST_SU_EUlST_E_NS1_11comp_targetILNS1_3genE5ELNS1_11target_archE942ELNS1_3gpuE9ELNS1_3repE0EEENS1_30default_config_static_selectorELNS0_4arch9wavefront6targetE1EEEvT1_.kd
    .uniform_work_group_size: 1
    .uses_dynamic_stack: false
    .vgpr_count:     85
    .vgpr_spill_count: 0
    .wavefront_size: 64
  - .agpr_count:     0
    .args:
      - .offset:         0
        .size:           136
        .value_kind:     by_value
    .group_segment_fixed_size: 0
    .kernarg_segment_align: 8
    .kernarg_segment_size: 136
    .language:       OpenCL C
    .language_version:
      - 2
      - 0
    .max_flat_workgroup_size: 64
    .name:           _ZN7rocprim17ROCPRIM_400000_NS6detail17trampoline_kernelINS0_14default_configENS1_27scan_by_key_config_selectorIxxEEZZNS1_16scan_by_key_implILNS1_25lookback_scan_determinismE0ELb0ES3_N6thrust23THRUST_200600_302600_NS6detail15normal_iteratorINS9_10device_ptrIxEEEESE_SE_xNS9_4plusIxEE19head_flag_predicatexEE10hipError_tPvRmT2_T3_T4_T5_mT6_T7_P12ihipStream_tbENKUlT_T0_E_clISt17integral_constantIbLb0EESX_IbLb1EEEEDaST_SU_EUlST_E_NS1_11comp_targetILNS1_3genE4ELNS1_11target_archE910ELNS1_3gpuE8ELNS1_3repE0EEENS1_30default_config_static_selectorELNS0_4arch9wavefront6targetE1EEEvT1_
    .private_segment_fixed_size: 0
    .sgpr_count:     6
    .sgpr_spill_count: 0
    .symbol:         _ZN7rocprim17ROCPRIM_400000_NS6detail17trampoline_kernelINS0_14default_configENS1_27scan_by_key_config_selectorIxxEEZZNS1_16scan_by_key_implILNS1_25lookback_scan_determinismE0ELb0ES3_N6thrust23THRUST_200600_302600_NS6detail15normal_iteratorINS9_10device_ptrIxEEEESE_SE_xNS9_4plusIxEE19head_flag_predicatexEE10hipError_tPvRmT2_T3_T4_T5_mT6_T7_P12ihipStream_tbENKUlT_T0_E_clISt17integral_constantIbLb0EESX_IbLb1EEEEDaST_SU_EUlST_E_NS1_11comp_targetILNS1_3genE4ELNS1_11target_archE910ELNS1_3gpuE8ELNS1_3repE0EEENS1_30default_config_static_selectorELNS0_4arch9wavefront6targetE1EEEvT1_.kd
    .uniform_work_group_size: 1
    .uses_dynamic_stack: false
    .vgpr_count:     0
    .vgpr_spill_count: 0
    .wavefront_size: 64
  - .agpr_count:     0
    .args:
      - .offset:         0
        .size:           136
        .value_kind:     by_value
    .group_segment_fixed_size: 0
    .kernarg_segment_align: 8
    .kernarg_segment_size: 136
    .language:       OpenCL C
    .language_version:
      - 2
      - 0
    .max_flat_workgroup_size: 256
    .name:           _ZN7rocprim17ROCPRIM_400000_NS6detail17trampoline_kernelINS0_14default_configENS1_27scan_by_key_config_selectorIxxEEZZNS1_16scan_by_key_implILNS1_25lookback_scan_determinismE0ELb0ES3_N6thrust23THRUST_200600_302600_NS6detail15normal_iteratorINS9_10device_ptrIxEEEESE_SE_xNS9_4plusIxEE19head_flag_predicatexEE10hipError_tPvRmT2_T3_T4_T5_mT6_T7_P12ihipStream_tbENKUlT_T0_E_clISt17integral_constantIbLb0EESX_IbLb1EEEEDaST_SU_EUlST_E_NS1_11comp_targetILNS1_3genE3ELNS1_11target_archE908ELNS1_3gpuE7ELNS1_3repE0EEENS1_30default_config_static_selectorELNS0_4arch9wavefront6targetE1EEEvT1_
    .private_segment_fixed_size: 0
    .sgpr_count:     6
    .sgpr_spill_count: 0
    .symbol:         _ZN7rocprim17ROCPRIM_400000_NS6detail17trampoline_kernelINS0_14default_configENS1_27scan_by_key_config_selectorIxxEEZZNS1_16scan_by_key_implILNS1_25lookback_scan_determinismE0ELb0ES3_N6thrust23THRUST_200600_302600_NS6detail15normal_iteratorINS9_10device_ptrIxEEEESE_SE_xNS9_4plusIxEE19head_flag_predicatexEE10hipError_tPvRmT2_T3_T4_T5_mT6_T7_P12ihipStream_tbENKUlT_T0_E_clISt17integral_constantIbLb0EESX_IbLb1EEEEDaST_SU_EUlST_E_NS1_11comp_targetILNS1_3genE3ELNS1_11target_archE908ELNS1_3gpuE7ELNS1_3repE0EEENS1_30default_config_static_selectorELNS0_4arch9wavefront6targetE1EEEvT1_.kd
    .uniform_work_group_size: 1
    .uses_dynamic_stack: false
    .vgpr_count:     0
    .vgpr_spill_count: 0
    .wavefront_size: 64
  - .agpr_count:     0
    .args:
      - .offset:         0
        .size:           136
        .value_kind:     by_value
    .group_segment_fixed_size: 0
    .kernarg_segment_align: 8
    .kernarg_segment_size: 136
    .language:       OpenCL C
    .language_version:
      - 2
      - 0
    .max_flat_workgroup_size: 256
    .name:           _ZN7rocprim17ROCPRIM_400000_NS6detail17trampoline_kernelINS0_14default_configENS1_27scan_by_key_config_selectorIxxEEZZNS1_16scan_by_key_implILNS1_25lookback_scan_determinismE0ELb0ES3_N6thrust23THRUST_200600_302600_NS6detail15normal_iteratorINS9_10device_ptrIxEEEESE_SE_xNS9_4plusIxEE19head_flag_predicatexEE10hipError_tPvRmT2_T3_T4_T5_mT6_T7_P12ihipStream_tbENKUlT_T0_E_clISt17integral_constantIbLb0EESX_IbLb1EEEEDaST_SU_EUlST_E_NS1_11comp_targetILNS1_3genE2ELNS1_11target_archE906ELNS1_3gpuE6ELNS1_3repE0EEENS1_30default_config_static_selectorELNS0_4arch9wavefront6targetE1EEEvT1_
    .private_segment_fixed_size: 0
    .sgpr_count:     6
    .sgpr_spill_count: 0
    .symbol:         _ZN7rocprim17ROCPRIM_400000_NS6detail17trampoline_kernelINS0_14default_configENS1_27scan_by_key_config_selectorIxxEEZZNS1_16scan_by_key_implILNS1_25lookback_scan_determinismE0ELb0ES3_N6thrust23THRUST_200600_302600_NS6detail15normal_iteratorINS9_10device_ptrIxEEEESE_SE_xNS9_4plusIxEE19head_flag_predicatexEE10hipError_tPvRmT2_T3_T4_T5_mT6_T7_P12ihipStream_tbENKUlT_T0_E_clISt17integral_constantIbLb0EESX_IbLb1EEEEDaST_SU_EUlST_E_NS1_11comp_targetILNS1_3genE2ELNS1_11target_archE906ELNS1_3gpuE6ELNS1_3repE0EEENS1_30default_config_static_selectorELNS0_4arch9wavefront6targetE1EEEvT1_.kd
    .uniform_work_group_size: 1
    .uses_dynamic_stack: false
    .vgpr_count:     0
    .vgpr_spill_count: 0
    .wavefront_size: 64
  - .agpr_count:     0
    .args:
      - .offset:         0
        .size:           136
        .value_kind:     by_value
    .group_segment_fixed_size: 0
    .kernarg_segment_align: 8
    .kernarg_segment_size: 136
    .language:       OpenCL C
    .language_version:
      - 2
      - 0
    .max_flat_workgroup_size: 256
    .name:           _ZN7rocprim17ROCPRIM_400000_NS6detail17trampoline_kernelINS0_14default_configENS1_27scan_by_key_config_selectorIxxEEZZNS1_16scan_by_key_implILNS1_25lookback_scan_determinismE0ELb0ES3_N6thrust23THRUST_200600_302600_NS6detail15normal_iteratorINS9_10device_ptrIxEEEESE_SE_xNS9_4plusIxEE19head_flag_predicatexEE10hipError_tPvRmT2_T3_T4_T5_mT6_T7_P12ihipStream_tbENKUlT_T0_E_clISt17integral_constantIbLb0EESX_IbLb1EEEEDaST_SU_EUlST_E_NS1_11comp_targetILNS1_3genE10ELNS1_11target_archE1200ELNS1_3gpuE4ELNS1_3repE0EEENS1_30default_config_static_selectorELNS0_4arch9wavefront6targetE1EEEvT1_
    .private_segment_fixed_size: 0
    .sgpr_count:     6
    .sgpr_spill_count: 0
    .symbol:         _ZN7rocprim17ROCPRIM_400000_NS6detail17trampoline_kernelINS0_14default_configENS1_27scan_by_key_config_selectorIxxEEZZNS1_16scan_by_key_implILNS1_25lookback_scan_determinismE0ELb0ES3_N6thrust23THRUST_200600_302600_NS6detail15normal_iteratorINS9_10device_ptrIxEEEESE_SE_xNS9_4plusIxEE19head_flag_predicatexEE10hipError_tPvRmT2_T3_T4_T5_mT6_T7_P12ihipStream_tbENKUlT_T0_E_clISt17integral_constantIbLb0EESX_IbLb1EEEEDaST_SU_EUlST_E_NS1_11comp_targetILNS1_3genE10ELNS1_11target_archE1200ELNS1_3gpuE4ELNS1_3repE0EEENS1_30default_config_static_selectorELNS0_4arch9wavefront6targetE1EEEvT1_.kd
    .uniform_work_group_size: 1
    .uses_dynamic_stack: false
    .vgpr_count:     0
    .vgpr_spill_count: 0
    .wavefront_size: 64
  - .agpr_count:     0
    .args:
      - .offset:         0
        .size:           136
        .value_kind:     by_value
    .group_segment_fixed_size: 0
    .kernarg_segment_align: 8
    .kernarg_segment_size: 136
    .language:       OpenCL C
    .language_version:
      - 2
      - 0
    .max_flat_workgroup_size: 256
    .name:           _ZN7rocprim17ROCPRIM_400000_NS6detail17trampoline_kernelINS0_14default_configENS1_27scan_by_key_config_selectorIxxEEZZNS1_16scan_by_key_implILNS1_25lookback_scan_determinismE0ELb0ES3_N6thrust23THRUST_200600_302600_NS6detail15normal_iteratorINS9_10device_ptrIxEEEESE_SE_xNS9_4plusIxEE19head_flag_predicatexEE10hipError_tPvRmT2_T3_T4_T5_mT6_T7_P12ihipStream_tbENKUlT_T0_E_clISt17integral_constantIbLb0EESX_IbLb1EEEEDaST_SU_EUlST_E_NS1_11comp_targetILNS1_3genE9ELNS1_11target_archE1100ELNS1_3gpuE3ELNS1_3repE0EEENS1_30default_config_static_selectorELNS0_4arch9wavefront6targetE1EEEvT1_
    .private_segment_fixed_size: 0
    .sgpr_count:     6
    .sgpr_spill_count: 0
    .symbol:         _ZN7rocprim17ROCPRIM_400000_NS6detail17trampoline_kernelINS0_14default_configENS1_27scan_by_key_config_selectorIxxEEZZNS1_16scan_by_key_implILNS1_25lookback_scan_determinismE0ELb0ES3_N6thrust23THRUST_200600_302600_NS6detail15normal_iteratorINS9_10device_ptrIxEEEESE_SE_xNS9_4plusIxEE19head_flag_predicatexEE10hipError_tPvRmT2_T3_T4_T5_mT6_T7_P12ihipStream_tbENKUlT_T0_E_clISt17integral_constantIbLb0EESX_IbLb1EEEEDaST_SU_EUlST_E_NS1_11comp_targetILNS1_3genE9ELNS1_11target_archE1100ELNS1_3gpuE3ELNS1_3repE0EEENS1_30default_config_static_selectorELNS0_4arch9wavefront6targetE1EEEvT1_.kd
    .uniform_work_group_size: 1
    .uses_dynamic_stack: false
    .vgpr_count:     0
    .vgpr_spill_count: 0
    .wavefront_size: 64
  - .agpr_count:     0
    .args:
      - .offset:         0
        .size:           136
        .value_kind:     by_value
    .group_segment_fixed_size: 0
    .kernarg_segment_align: 8
    .kernarg_segment_size: 136
    .language:       OpenCL C
    .language_version:
      - 2
      - 0
    .max_flat_workgroup_size: 256
    .name:           _ZN7rocprim17ROCPRIM_400000_NS6detail17trampoline_kernelINS0_14default_configENS1_27scan_by_key_config_selectorIxxEEZZNS1_16scan_by_key_implILNS1_25lookback_scan_determinismE0ELb0ES3_N6thrust23THRUST_200600_302600_NS6detail15normal_iteratorINS9_10device_ptrIxEEEESE_SE_xNS9_4plusIxEE19head_flag_predicatexEE10hipError_tPvRmT2_T3_T4_T5_mT6_T7_P12ihipStream_tbENKUlT_T0_E_clISt17integral_constantIbLb0EESX_IbLb1EEEEDaST_SU_EUlST_E_NS1_11comp_targetILNS1_3genE8ELNS1_11target_archE1030ELNS1_3gpuE2ELNS1_3repE0EEENS1_30default_config_static_selectorELNS0_4arch9wavefront6targetE1EEEvT1_
    .private_segment_fixed_size: 0
    .sgpr_count:     6
    .sgpr_spill_count: 0
    .symbol:         _ZN7rocprim17ROCPRIM_400000_NS6detail17trampoline_kernelINS0_14default_configENS1_27scan_by_key_config_selectorIxxEEZZNS1_16scan_by_key_implILNS1_25lookback_scan_determinismE0ELb0ES3_N6thrust23THRUST_200600_302600_NS6detail15normal_iteratorINS9_10device_ptrIxEEEESE_SE_xNS9_4plusIxEE19head_flag_predicatexEE10hipError_tPvRmT2_T3_T4_T5_mT6_T7_P12ihipStream_tbENKUlT_T0_E_clISt17integral_constantIbLb0EESX_IbLb1EEEEDaST_SU_EUlST_E_NS1_11comp_targetILNS1_3genE8ELNS1_11target_archE1030ELNS1_3gpuE2ELNS1_3repE0EEENS1_30default_config_static_selectorELNS0_4arch9wavefront6targetE1EEEvT1_.kd
    .uniform_work_group_size: 1
    .uses_dynamic_stack: false
    .vgpr_count:     0
    .vgpr_spill_count: 0
    .wavefront_size: 64
  - .agpr_count:     0
    .args:
      - .offset:         0
        .size:           136
        .value_kind:     by_value
    .group_segment_fixed_size: 0
    .kernarg_segment_align: 8
    .kernarg_segment_size: 136
    .language:       OpenCL C
    .language_version:
      - 2
      - 0
    .max_flat_workgroup_size: 256
    .name:           _ZN7rocprim17ROCPRIM_400000_NS6detail17trampoline_kernelINS0_14default_configENS1_27scan_by_key_config_selectorIxxEEZZNS1_16scan_by_key_implILNS1_25lookback_scan_determinismE0ELb1ES3_N6thrust23THRUST_200600_302600_NS6detail15normal_iteratorINS9_10device_ptrIxEEEESE_SE_xNS9_4plusIxEE19head_flag_predicatexEE10hipError_tPvRmT2_T3_T4_T5_mT6_T7_P12ihipStream_tbENKUlT_T0_E_clISt17integral_constantIbLb0EESY_EEDaST_SU_EUlST_E_NS1_11comp_targetILNS1_3genE0ELNS1_11target_archE4294967295ELNS1_3gpuE0ELNS1_3repE0EEENS1_30default_config_static_selectorELNS0_4arch9wavefront6targetE1EEEvT1_
    .private_segment_fixed_size: 0
    .sgpr_count:     6
    .sgpr_spill_count: 0
    .symbol:         _ZN7rocprim17ROCPRIM_400000_NS6detail17trampoline_kernelINS0_14default_configENS1_27scan_by_key_config_selectorIxxEEZZNS1_16scan_by_key_implILNS1_25lookback_scan_determinismE0ELb1ES3_N6thrust23THRUST_200600_302600_NS6detail15normal_iteratorINS9_10device_ptrIxEEEESE_SE_xNS9_4plusIxEE19head_flag_predicatexEE10hipError_tPvRmT2_T3_T4_T5_mT6_T7_P12ihipStream_tbENKUlT_T0_E_clISt17integral_constantIbLb0EESY_EEDaST_SU_EUlST_E_NS1_11comp_targetILNS1_3genE0ELNS1_11target_archE4294967295ELNS1_3gpuE0ELNS1_3repE0EEENS1_30default_config_static_selectorELNS0_4arch9wavefront6targetE1EEEvT1_.kd
    .uniform_work_group_size: 1
    .uses_dynamic_stack: false
    .vgpr_count:     0
    .vgpr_spill_count: 0
    .wavefront_size: 64
  - .agpr_count:     0
    .args:
      - .offset:         0
        .size:           136
        .value_kind:     by_value
    .group_segment_fixed_size: 0
    .kernarg_segment_align: 8
    .kernarg_segment_size: 136
    .language:       OpenCL C
    .language_version:
      - 2
      - 0
    .max_flat_workgroup_size: 256
    .name:           _ZN7rocprim17ROCPRIM_400000_NS6detail17trampoline_kernelINS0_14default_configENS1_27scan_by_key_config_selectorIxxEEZZNS1_16scan_by_key_implILNS1_25lookback_scan_determinismE0ELb1ES3_N6thrust23THRUST_200600_302600_NS6detail15normal_iteratorINS9_10device_ptrIxEEEESE_SE_xNS9_4plusIxEE19head_flag_predicatexEE10hipError_tPvRmT2_T3_T4_T5_mT6_T7_P12ihipStream_tbENKUlT_T0_E_clISt17integral_constantIbLb0EESY_EEDaST_SU_EUlST_E_NS1_11comp_targetILNS1_3genE10ELNS1_11target_archE1201ELNS1_3gpuE5ELNS1_3repE0EEENS1_30default_config_static_selectorELNS0_4arch9wavefront6targetE1EEEvT1_
    .private_segment_fixed_size: 0
    .sgpr_count:     6
    .sgpr_spill_count: 0
    .symbol:         _ZN7rocprim17ROCPRIM_400000_NS6detail17trampoline_kernelINS0_14default_configENS1_27scan_by_key_config_selectorIxxEEZZNS1_16scan_by_key_implILNS1_25lookback_scan_determinismE0ELb1ES3_N6thrust23THRUST_200600_302600_NS6detail15normal_iteratorINS9_10device_ptrIxEEEESE_SE_xNS9_4plusIxEE19head_flag_predicatexEE10hipError_tPvRmT2_T3_T4_T5_mT6_T7_P12ihipStream_tbENKUlT_T0_E_clISt17integral_constantIbLb0EESY_EEDaST_SU_EUlST_E_NS1_11comp_targetILNS1_3genE10ELNS1_11target_archE1201ELNS1_3gpuE5ELNS1_3repE0EEENS1_30default_config_static_selectorELNS0_4arch9wavefront6targetE1EEEvT1_.kd
    .uniform_work_group_size: 1
    .uses_dynamic_stack: false
    .vgpr_count:     0
    .vgpr_spill_count: 0
    .wavefront_size: 64
  - .agpr_count:     0
    .args:
      - .offset:         0
        .size:           136
        .value_kind:     by_value
    .group_segment_fixed_size: 32768
    .kernarg_segment_align: 8
    .kernarg_segment_size: 136
    .language:       OpenCL C
    .language_version:
      - 2
      - 0
    .max_flat_workgroup_size: 256
    .name:           _ZN7rocprim17ROCPRIM_400000_NS6detail17trampoline_kernelINS0_14default_configENS1_27scan_by_key_config_selectorIxxEEZZNS1_16scan_by_key_implILNS1_25lookback_scan_determinismE0ELb1ES3_N6thrust23THRUST_200600_302600_NS6detail15normal_iteratorINS9_10device_ptrIxEEEESE_SE_xNS9_4plusIxEE19head_flag_predicatexEE10hipError_tPvRmT2_T3_T4_T5_mT6_T7_P12ihipStream_tbENKUlT_T0_E_clISt17integral_constantIbLb0EESY_EEDaST_SU_EUlST_E_NS1_11comp_targetILNS1_3genE5ELNS1_11target_archE942ELNS1_3gpuE9ELNS1_3repE0EEENS1_30default_config_static_selectorELNS0_4arch9wavefront6targetE1EEEvT1_
    .private_segment_fixed_size: 0
    .sgpr_count:     70
    .sgpr_spill_count: 0
    .symbol:         _ZN7rocprim17ROCPRIM_400000_NS6detail17trampoline_kernelINS0_14default_configENS1_27scan_by_key_config_selectorIxxEEZZNS1_16scan_by_key_implILNS1_25lookback_scan_determinismE0ELb1ES3_N6thrust23THRUST_200600_302600_NS6detail15normal_iteratorINS9_10device_ptrIxEEEESE_SE_xNS9_4plusIxEE19head_flag_predicatexEE10hipError_tPvRmT2_T3_T4_T5_mT6_T7_P12ihipStream_tbENKUlT_T0_E_clISt17integral_constantIbLb0EESY_EEDaST_SU_EUlST_E_NS1_11comp_targetILNS1_3genE5ELNS1_11target_archE942ELNS1_3gpuE9ELNS1_3repE0EEENS1_30default_config_static_selectorELNS0_4arch9wavefront6targetE1EEEvT1_.kd
    .uniform_work_group_size: 1
    .uses_dynamic_stack: false
    .vgpr_count:     85
    .vgpr_spill_count: 0
    .wavefront_size: 64
  - .agpr_count:     0
    .args:
      - .offset:         0
        .size:           136
        .value_kind:     by_value
    .group_segment_fixed_size: 0
    .kernarg_segment_align: 8
    .kernarg_segment_size: 136
    .language:       OpenCL C
    .language_version:
      - 2
      - 0
    .max_flat_workgroup_size: 64
    .name:           _ZN7rocprim17ROCPRIM_400000_NS6detail17trampoline_kernelINS0_14default_configENS1_27scan_by_key_config_selectorIxxEEZZNS1_16scan_by_key_implILNS1_25lookback_scan_determinismE0ELb1ES3_N6thrust23THRUST_200600_302600_NS6detail15normal_iteratorINS9_10device_ptrIxEEEESE_SE_xNS9_4plusIxEE19head_flag_predicatexEE10hipError_tPvRmT2_T3_T4_T5_mT6_T7_P12ihipStream_tbENKUlT_T0_E_clISt17integral_constantIbLb0EESY_EEDaST_SU_EUlST_E_NS1_11comp_targetILNS1_3genE4ELNS1_11target_archE910ELNS1_3gpuE8ELNS1_3repE0EEENS1_30default_config_static_selectorELNS0_4arch9wavefront6targetE1EEEvT1_
    .private_segment_fixed_size: 0
    .sgpr_count:     6
    .sgpr_spill_count: 0
    .symbol:         _ZN7rocprim17ROCPRIM_400000_NS6detail17trampoline_kernelINS0_14default_configENS1_27scan_by_key_config_selectorIxxEEZZNS1_16scan_by_key_implILNS1_25lookback_scan_determinismE0ELb1ES3_N6thrust23THRUST_200600_302600_NS6detail15normal_iteratorINS9_10device_ptrIxEEEESE_SE_xNS9_4plusIxEE19head_flag_predicatexEE10hipError_tPvRmT2_T3_T4_T5_mT6_T7_P12ihipStream_tbENKUlT_T0_E_clISt17integral_constantIbLb0EESY_EEDaST_SU_EUlST_E_NS1_11comp_targetILNS1_3genE4ELNS1_11target_archE910ELNS1_3gpuE8ELNS1_3repE0EEENS1_30default_config_static_selectorELNS0_4arch9wavefront6targetE1EEEvT1_.kd
    .uniform_work_group_size: 1
    .uses_dynamic_stack: false
    .vgpr_count:     0
    .vgpr_spill_count: 0
    .wavefront_size: 64
  - .agpr_count:     0
    .args:
      - .offset:         0
        .size:           136
        .value_kind:     by_value
    .group_segment_fixed_size: 0
    .kernarg_segment_align: 8
    .kernarg_segment_size: 136
    .language:       OpenCL C
    .language_version:
      - 2
      - 0
    .max_flat_workgroup_size: 256
    .name:           _ZN7rocprim17ROCPRIM_400000_NS6detail17trampoline_kernelINS0_14default_configENS1_27scan_by_key_config_selectorIxxEEZZNS1_16scan_by_key_implILNS1_25lookback_scan_determinismE0ELb1ES3_N6thrust23THRUST_200600_302600_NS6detail15normal_iteratorINS9_10device_ptrIxEEEESE_SE_xNS9_4plusIxEE19head_flag_predicatexEE10hipError_tPvRmT2_T3_T4_T5_mT6_T7_P12ihipStream_tbENKUlT_T0_E_clISt17integral_constantIbLb0EESY_EEDaST_SU_EUlST_E_NS1_11comp_targetILNS1_3genE3ELNS1_11target_archE908ELNS1_3gpuE7ELNS1_3repE0EEENS1_30default_config_static_selectorELNS0_4arch9wavefront6targetE1EEEvT1_
    .private_segment_fixed_size: 0
    .sgpr_count:     6
    .sgpr_spill_count: 0
    .symbol:         _ZN7rocprim17ROCPRIM_400000_NS6detail17trampoline_kernelINS0_14default_configENS1_27scan_by_key_config_selectorIxxEEZZNS1_16scan_by_key_implILNS1_25lookback_scan_determinismE0ELb1ES3_N6thrust23THRUST_200600_302600_NS6detail15normal_iteratorINS9_10device_ptrIxEEEESE_SE_xNS9_4plusIxEE19head_flag_predicatexEE10hipError_tPvRmT2_T3_T4_T5_mT6_T7_P12ihipStream_tbENKUlT_T0_E_clISt17integral_constantIbLb0EESY_EEDaST_SU_EUlST_E_NS1_11comp_targetILNS1_3genE3ELNS1_11target_archE908ELNS1_3gpuE7ELNS1_3repE0EEENS1_30default_config_static_selectorELNS0_4arch9wavefront6targetE1EEEvT1_.kd
    .uniform_work_group_size: 1
    .uses_dynamic_stack: false
    .vgpr_count:     0
    .vgpr_spill_count: 0
    .wavefront_size: 64
  - .agpr_count:     0
    .args:
      - .offset:         0
        .size:           136
        .value_kind:     by_value
    .group_segment_fixed_size: 0
    .kernarg_segment_align: 8
    .kernarg_segment_size: 136
    .language:       OpenCL C
    .language_version:
      - 2
      - 0
    .max_flat_workgroup_size: 256
    .name:           _ZN7rocprim17ROCPRIM_400000_NS6detail17trampoline_kernelINS0_14default_configENS1_27scan_by_key_config_selectorIxxEEZZNS1_16scan_by_key_implILNS1_25lookback_scan_determinismE0ELb1ES3_N6thrust23THRUST_200600_302600_NS6detail15normal_iteratorINS9_10device_ptrIxEEEESE_SE_xNS9_4plusIxEE19head_flag_predicatexEE10hipError_tPvRmT2_T3_T4_T5_mT6_T7_P12ihipStream_tbENKUlT_T0_E_clISt17integral_constantIbLb0EESY_EEDaST_SU_EUlST_E_NS1_11comp_targetILNS1_3genE2ELNS1_11target_archE906ELNS1_3gpuE6ELNS1_3repE0EEENS1_30default_config_static_selectorELNS0_4arch9wavefront6targetE1EEEvT1_
    .private_segment_fixed_size: 0
    .sgpr_count:     6
    .sgpr_spill_count: 0
    .symbol:         _ZN7rocprim17ROCPRIM_400000_NS6detail17trampoline_kernelINS0_14default_configENS1_27scan_by_key_config_selectorIxxEEZZNS1_16scan_by_key_implILNS1_25lookback_scan_determinismE0ELb1ES3_N6thrust23THRUST_200600_302600_NS6detail15normal_iteratorINS9_10device_ptrIxEEEESE_SE_xNS9_4plusIxEE19head_flag_predicatexEE10hipError_tPvRmT2_T3_T4_T5_mT6_T7_P12ihipStream_tbENKUlT_T0_E_clISt17integral_constantIbLb0EESY_EEDaST_SU_EUlST_E_NS1_11comp_targetILNS1_3genE2ELNS1_11target_archE906ELNS1_3gpuE6ELNS1_3repE0EEENS1_30default_config_static_selectorELNS0_4arch9wavefront6targetE1EEEvT1_.kd
    .uniform_work_group_size: 1
    .uses_dynamic_stack: false
    .vgpr_count:     0
    .vgpr_spill_count: 0
    .wavefront_size: 64
  - .agpr_count:     0
    .args:
      - .offset:         0
        .size:           136
        .value_kind:     by_value
    .group_segment_fixed_size: 0
    .kernarg_segment_align: 8
    .kernarg_segment_size: 136
    .language:       OpenCL C
    .language_version:
      - 2
      - 0
    .max_flat_workgroup_size: 256
    .name:           _ZN7rocprim17ROCPRIM_400000_NS6detail17trampoline_kernelINS0_14default_configENS1_27scan_by_key_config_selectorIxxEEZZNS1_16scan_by_key_implILNS1_25lookback_scan_determinismE0ELb1ES3_N6thrust23THRUST_200600_302600_NS6detail15normal_iteratorINS9_10device_ptrIxEEEESE_SE_xNS9_4plusIxEE19head_flag_predicatexEE10hipError_tPvRmT2_T3_T4_T5_mT6_T7_P12ihipStream_tbENKUlT_T0_E_clISt17integral_constantIbLb0EESY_EEDaST_SU_EUlST_E_NS1_11comp_targetILNS1_3genE10ELNS1_11target_archE1200ELNS1_3gpuE4ELNS1_3repE0EEENS1_30default_config_static_selectorELNS0_4arch9wavefront6targetE1EEEvT1_
    .private_segment_fixed_size: 0
    .sgpr_count:     6
    .sgpr_spill_count: 0
    .symbol:         _ZN7rocprim17ROCPRIM_400000_NS6detail17trampoline_kernelINS0_14default_configENS1_27scan_by_key_config_selectorIxxEEZZNS1_16scan_by_key_implILNS1_25lookback_scan_determinismE0ELb1ES3_N6thrust23THRUST_200600_302600_NS6detail15normal_iteratorINS9_10device_ptrIxEEEESE_SE_xNS9_4plusIxEE19head_flag_predicatexEE10hipError_tPvRmT2_T3_T4_T5_mT6_T7_P12ihipStream_tbENKUlT_T0_E_clISt17integral_constantIbLb0EESY_EEDaST_SU_EUlST_E_NS1_11comp_targetILNS1_3genE10ELNS1_11target_archE1200ELNS1_3gpuE4ELNS1_3repE0EEENS1_30default_config_static_selectorELNS0_4arch9wavefront6targetE1EEEvT1_.kd
    .uniform_work_group_size: 1
    .uses_dynamic_stack: false
    .vgpr_count:     0
    .vgpr_spill_count: 0
    .wavefront_size: 64
  - .agpr_count:     0
    .args:
      - .offset:         0
        .size:           136
        .value_kind:     by_value
    .group_segment_fixed_size: 0
    .kernarg_segment_align: 8
    .kernarg_segment_size: 136
    .language:       OpenCL C
    .language_version:
      - 2
      - 0
    .max_flat_workgroup_size: 256
    .name:           _ZN7rocprim17ROCPRIM_400000_NS6detail17trampoline_kernelINS0_14default_configENS1_27scan_by_key_config_selectorIxxEEZZNS1_16scan_by_key_implILNS1_25lookback_scan_determinismE0ELb1ES3_N6thrust23THRUST_200600_302600_NS6detail15normal_iteratorINS9_10device_ptrIxEEEESE_SE_xNS9_4plusIxEE19head_flag_predicatexEE10hipError_tPvRmT2_T3_T4_T5_mT6_T7_P12ihipStream_tbENKUlT_T0_E_clISt17integral_constantIbLb0EESY_EEDaST_SU_EUlST_E_NS1_11comp_targetILNS1_3genE9ELNS1_11target_archE1100ELNS1_3gpuE3ELNS1_3repE0EEENS1_30default_config_static_selectorELNS0_4arch9wavefront6targetE1EEEvT1_
    .private_segment_fixed_size: 0
    .sgpr_count:     6
    .sgpr_spill_count: 0
    .symbol:         _ZN7rocprim17ROCPRIM_400000_NS6detail17trampoline_kernelINS0_14default_configENS1_27scan_by_key_config_selectorIxxEEZZNS1_16scan_by_key_implILNS1_25lookback_scan_determinismE0ELb1ES3_N6thrust23THRUST_200600_302600_NS6detail15normal_iteratorINS9_10device_ptrIxEEEESE_SE_xNS9_4plusIxEE19head_flag_predicatexEE10hipError_tPvRmT2_T3_T4_T5_mT6_T7_P12ihipStream_tbENKUlT_T0_E_clISt17integral_constantIbLb0EESY_EEDaST_SU_EUlST_E_NS1_11comp_targetILNS1_3genE9ELNS1_11target_archE1100ELNS1_3gpuE3ELNS1_3repE0EEENS1_30default_config_static_selectorELNS0_4arch9wavefront6targetE1EEEvT1_.kd
    .uniform_work_group_size: 1
    .uses_dynamic_stack: false
    .vgpr_count:     0
    .vgpr_spill_count: 0
    .wavefront_size: 64
  - .agpr_count:     0
    .args:
      - .offset:         0
        .size:           136
        .value_kind:     by_value
    .group_segment_fixed_size: 0
    .kernarg_segment_align: 8
    .kernarg_segment_size: 136
    .language:       OpenCL C
    .language_version:
      - 2
      - 0
    .max_flat_workgroup_size: 256
    .name:           _ZN7rocprim17ROCPRIM_400000_NS6detail17trampoline_kernelINS0_14default_configENS1_27scan_by_key_config_selectorIxxEEZZNS1_16scan_by_key_implILNS1_25lookback_scan_determinismE0ELb1ES3_N6thrust23THRUST_200600_302600_NS6detail15normal_iteratorINS9_10device_ptrIxEEEESE_SE_xNS9_4plusIxEE19head_flag_predicatexEE10hipError_tPvRmT2_T3_T4_T5_mT6_T7_P12ihipStream_tbENKUlT_T0_E_clISt17integral_constantIbLb0EESY_EEDaST_SU_EUlST_E_NS1_11comp_targetILNS1_3genE8ELNS1_11target_archE1030ELNS1_3gpuE2ELNS1_3repE0EEENS1_30default_config_static_selectorELNS0_4arch9wavefront6targetE1EEEvT1_
    .private_segment_fixed_size: 0
    .sgpr_count:     6
    .sgpr_spill_count: 0
    .symbol:         _ZN7rocprim17ROCPRIM_400000_NS6detail17trampoline_kernelINS0_14default_configENS1_27scan_by_key_config_selectorIxxEEZZNS1_16scan_by_key_implILNS1_25lookback_scan_determinismE0ELb1ES3_N6thrust23THRUST_200600_302600_NS6detail15normal_iteratorINS9_10device_ptrIxEEEESE_SE_xNS9_4plusIxEE19head_flag_predicatexEE10hipError_tPvRmT2_T3_T4_T5_mT6_T7_P12ihipStream_tbENKUlT_T0_E_clISt17integral_constantIbLb0EESY_EEDaST_SU_EUlST_E_NS1_11comp_targetILNS1_3genE8ELNS1_11target_archE1030ELNS1_3gpuE2ELNS1_3repE0EEENS1_30default_config_static_selectorELNS0_4arch9wavefront6targetE1EEEvT1_.kd
    .uniform_work_group_size: 1
    .uses_dynamic_stack: false
    .vgpr_count:     0
    .vgpr_spill_count: 0
    .wavefront_size: 64
  - .agpr_count:     0
    .args:
      - .offset:         0
        .size:           136
        .value_kind:     by_value
    .group_segment_fixed_size: 0
    .kernarg_segment_align: 8
    .kernarg_segment_size: 136
    .language:       OpenCL C
    .language_version:
      - 2
      - 0
    .max_flat_workgroup_size: 256
    .name:           _ZN7rocprim17ROCPRIM_400000_NS6detail17trampoline_kernelINS0_14default_configENS1_27scan_by_key_config_selectorIxxEEZZNS1_16scan_by_key_implILNS1_25lookback_scan_determinismE0ELb1ES3_N6thrust23THRUST_200600_302600_NS6detail15normal_iteratorINS9_10device_ptrIxEEEESE_SE_xNS9_4plusIxEE19head_flag_predicatexEE10hipError_tPvRmT2_T3_T4_T5_mT6_T7_P12ihipStream_tbENKUlT_T0_E_clISt17integral_constantIbLb1EESY_EEDaST_SU_EUlST_E_NS1_11comp_targetILNS1_3genE0ELNS1_11target_archE4294967295ELNS1_3gpuE0ELNS1_3repE0EEENS1_30default_config_static_selectorELNS0_4arch9wavefront6targetE1EEEvT1_
    .private_segment_fixed_size: 0
    .sgpr_count:     6
    .sgpr_spill_count: 0
    .symbol:         _ZN7rocprim17ROCPRIM_400000_NS6detail17trampoline_kernelINS0_14default_configENS1_27scan_by_key_config_selectorIxxEEZZNS1_16scan_by_key_implILNS1_25lookback_scan_determinismE0ELb1ES3_N6thrust23THRUST_200600_302600_NS6detail15normal_iteratorINS9_10device_ptrIxEEEESE_SE_xNS9_4plusIxEE19head_flag_predicatexEE10hipError_tPvRmT2_T3_T4_T5_mT6_T7_P12ihipStream_tbENKUlT_T0_E_clISt17integral_constantIbLb1EESY_EEDaST_SU_EUlST_E_NS1_11comp_targetILNS1_3genE0ELNS1_11target_archE4294967295ELNS1_3gpuE0ELNS1_3repE0EEENS1_30default_config_static_selectorELNS0_4arch9wavefront6targetE1EEEvT1_.kd
    .uniform_work_group_size: 1
    .uses_dynamic_stack: false
    .vgpr_count:     0
    .vgpr_spill_count: 0
    .wavefront_size: 64
  - .agpr_count:     0
    .args:
      - .offset:         0
        .size:           136
        .value_kind:     by_value
    .group_segment_fixed_size: 0
    .kernarg_segment_align: 8
    .kernarg_segment_size: 136
    .language:       OpenCL C
    .language_version:
      - 2
      - 0
    .max_flat_workgroup_size: 256
    .name:           _ZN7rocprim17ROCPRIM_400000_NS6detail17trampoline_kernelINS0_14default_configENS1_27scan_by_key_config_selectorIxxEEZZNS1_16scan_by_key_implILNS1_25lookback_scan_determinismE0ELb1ES3_N6thrust23THRUST_200600_302600_NS6detail15normal_iteratorINS9_10device_ptrIxEEEESE_SE_xNS9_4plusIxEE19head_flag_predicatexEE10hipError_tPvRmT2_T3_T4_T5_mT6_T7_P12ihipStream_tbENKUlT_T0_E_clISt17integral_constantIbLb1EESY_EEDaST_SU_EUlST_E_NS1_11comp_targetILNS1_3genE10ELNS1_11target_archE1201ELNS1_3gpuE5ELNS1_3repE0EEENS1_30default_config_static_selectorELNS0_4arch9wavefront6targetE1EEEvT1_
    .private_segment_fixed_size: 0
    .sgpr_count:     6
    .sgpr_spill_count: 0
    .symbol:         _ZN7rocprim17ROCPRIM_400000_NS6detail17trampoline_kernelINS0_14default_configENS1_27scan_by_key_config_selectorIxxEEZZNS1_16scan_by_key_implILNS1_25lookback_scan_determinismE0ELb1ES3_N6thrust23THRUST_200600_302600_NS6detail15normal_iteratorINS9_10device_ptrIxEEEESE_SE_xNS9_4plusIxEE19head_flag_predicatexEE10hipError_tPvRmT2_T3_T4_T5_mT6_T7_P12ihipStream_tbENKUlT_T0_E_clISt17integral_constantIbLb1EESY_EEDaST_SU_EUlST_E_NS1_11comp_targetILNS1_3genE10ELNS1_11target_archE1201ELNS1_3gpuE5ELNS1_3repE0EEENS1_30default_config_static_selectorELNS0_4arch9wavefront6targetE1EEEvT1_.kd
    .uniform_work_group_size: 1
    .uses_dynamic_stack: false
    .vgpr_count:     0
    .vgpr_spill_count: 0
    .wavefront_size: 64
  - .agpr_count:     0
    .args:
      - .offset:         0
        .size:           136
        .value_kind:     by_value
    .group_segment_fixed_size: 32768
    .kernarg_segment_align: 8
    .kernarg_segment_size: 136
    .language:       OpenCL C
    .language_version:
      - 2
      - 0
    .max_flat_workgroup_size: 256
    .name:           _ZN7rocprim17ROCPRIM_400000_NS6detail17trampoline_kernelINS0_14default_configENS1_27scan_by_key_config_selectorIxxEEZZNS1_16scan_by_key_implILNS1_25lookback_scan_determinismE0ELb1ES3_N6thrust23THRUST_200600_302600_NS6detail15normal_iteratorINS9_10device_ptrIxEEEESE_SE_xNS9_4plusIxEE19head_flag_predicatexEE10hipError_tPvRmT2_T3_T4_T5_mT6_T7_P12ihipStream_tbENKUlT_T0_E_clISt17integral_constantIbLb1EESY_EEDaST_SU_EUlST_E_NS1_11comp_targetILNS1_3genE5ELNS1_11target_archE942ELNS1_3gpuE9ELNS1_3repE0EEENS1_30default_config_static_selectorELNS0_4arch9wavefront6targetE1EEEvT1_
    .private_segment_fixed_size: 0
    .sgpr_count:     66
    .sgpr_spill_count: 0
    .symbol:         _ZN7rocprim17ROCPRIM_400000_NS6detail17trampoline_kernelINS0_14default_configENS1_27scan_by_key_config_selectorIxxEEZZNS1_16scan_by_key_implILNS1_25lookback_scan_determinismE0ELb1ES3_N6thrust23THRUST_200600_302600_NS6detail15normal_iteratorINS9_10device_ptrIxEEEESE_SE_xNS9_4plusIxEE19head_flag_predicatexEE10hipError_tPvRmT2_T3_T4_T5_mT6_T7_P12ihipStream_tbENKUlT_T0_E_clISt17integral_constantIbLb1EESY_EEDaST_SU_EUlST_E_NS1_11comp_targetILNS1_3genE5ELNS1_11target_archE942ELNS1_3gpuE9ELNS1_3repE0EEENS1_30default_config_static_selectorELNS0_4arch9wavefront6targetE1EEEvT1_.kd
    .uniform_work_group_size: 1
    .uses_dynamic_stack: false
    .vgpr_count:     87
    .vgpr_spill_count: 0
    .wavefront_size: 64
  - .agpr_count:     0
    .args:
      - .offset:         0
        .size:           136
        .value_kind:     by_value
    .group_segment_fixed_size: 0
    .kernarg_segment_align: 8
    .kernarg_segment_size: 136
    .language:       OpenCL C
    .language_version:
      - 2
      - 0
    .max_flat_workgroup_size: 64
    .name:           _ZN7rocprim17ROCPRIM_400000_NS6detail17trampoline_kernelINS0_14default_configENS1_27scan_by_key_config_selectorIxxEEZZNS1_16scan_by_key_implILNS1_25lookback_scan_determinismE0ELb1ES3_N6thrust23THRUST_200600_302600_NS6detail15normal_iteratorINS9_10device_ptrIxEEEESE_SE_xNS9_4plusIxEE19head_flag_predicatexEE10hipError_tPvRmT2_T3_T4_T5_mT6_T7_P12ihipStream_tbENKUlT_T0_E_clISt17integral_constantIbLb1EESY_EEDaST_SU_EUlST_E_NS1_11comp_targetILNS1_3genE4ELNS1_11target_archE910ELNS1_3gpuE8ELNS1_3repE0EEENS1_30default_config_static_selectorELNS0_4arch9wavefront6targetE1EEEvT1_
    .private_segment_fixed_size: 0
    .sgpr_count:     6
    .sgpr_spill_count: 0
    .symbol:         _ZN7rocprim17ROCPRIM_400000_NS6detail17trampoline_kernelINS0_14default_configENS1_27scan_by_key_config_selectorIxxEEZZNS1_16scan_by_key_implILNS1_25lookback_scan_determinismE0ELb1ES3_N6thrust23THRUST_200600_302600_NS6detail15normal_iteratorINS9_10device_ptrIxEEEESE_SE_xNS9_4plusIxEE19head_flag_predicatexEE10hipError_tPvRmT2_T3_T4_T5_mT6_T7_P12ihipStream_tbENKUlT_T0_E_clISt17integral_constantIbLb1EESY_EEDaST_SU_EUlST_E_NS1_11comp_targetILNS1_3genE4ELNS1_11target_archE910ELNS1_3gpuE8ELNS1_3repE0EEENS1_30default_config_static_selectorELNS0_4arch9wavefront6targetE1EEEvT1_.kd
    .uniform_work_group_size: 1
    .uses_dynamic_stack: false
    .vgpr_count:     0
    .vgpr_spill_count: 0
    .wavefront_size: 64
  - .agpr_count:     0
    .args:
      - .offset:         0
        .size:           136
        .value_kind:     by_value
    .group_segment_fixed_size: 0
    .kernarg_segment_align: 8
    .kernarg_segment_size: 136
    .language:       OpenCL C
    .language_version:
      - 2
      - 0
    .max_flat_workgroup_size: 256
    .name:           _ZN7rocprim17ROCPRIM_400000_NS6detail17trampoline_kernelINS0_14default_configENS1_27scan_by_key_config_selectorIxxEEZZNS1_16scan_by_key_implILNS1_25lookback_scan_determinismE0ELb1ES3_N6thrust23THRUST_200600_302600_NS6detail15normal_iteratorINS9_10device_ptrIxEEEESE_SE_xNS9_4plusIxEE19head_flag_predicatexEE10hipError_tPvRmT2_T3_T4_T5_mT6_T7_P12ihipStream_tbENKUlT_T0_E_clISt17integral_constantIbLb1EESY_EEDaST_SU_EUlST_E_NS1_11comp_targetILNS1_3genE3ELNS1_11target_archE908ELNS1_3gpuE7ELNS1_3repE0EEENS1_30default_config_static_selectorELNS0_4arch9wavefront6targetE1EEEvT1_
    .private_segment_fixed_size: 0
    .sgpr_count:     6
    .sgpr_spill_count: 0
    .symbol:         _ZN7rocprim17ROCPRIM_400000_NS6detail17trampoline_kernelINS0_14default_configENS1_27scan_by_key_config_selectorIxxEEZZNS1_16scan_by_key_implILNS1_25lookback_scan_determinismE0ELb1ES3_N6thrust23THRUST_200600_302600_NS6detail15normal_iteratorINS9_10device_ptrIxEEEESE_SE_xNS9_4plusIxEE19head_flag_predicatexEE10hipError_tPvRmT2_T3_T4_T5_mT6_T7_P12ihipStream_tbENKUlT_T0_E_clISt17integral_constantIbLb1EESY_EEDaST_SU_EUlST_E_NS1_11comp_targetILNS1_3genE3ELNS1_11target_archE908ELNS1_3gpuE7ELNS1_3repE0EEENS1_30default_config_static_selectorELNS0_4arch9wavefront6targetE1EEEvT1_.kd
    .uniform_work_group_size: 1
    .uses_dynamic_stack: false
    .vgpr_count:     0
    .vgpr_spill_count: 0
    .wavefront_size: 64
  - .agpr_count:     0
    .args:
      - .offset:         0
        .size:           136
        .value_kind:     by_value
    .group_segment_fixed_size: 0
    .kernarg_segment_align: 8
    .kernarg_segment_size: 136
    .language:       OpenCL C
    .language_version:
      - 2
      - 0
    .max_flat_workgroup_size: 256
    .name:           _ZN7rocprim17ROCPRIM_400000_NS6detail17trampoline_kernelINS0_14default_configENS1_27scan_by_key_config_selectorIxxEEZZNS1_16scan_by_key_implILNS1_25lookback_scan_determinismE0ELb1ES3_N6thrust23THRUST_200600_302600_NS6detail15normal_iteratorINS9_10device_ptrIxEEEESE_SE_xNS9_4plusIxEE19head_flag_predicatexEE10hipError_tPvRmT2_T3_T4_T5_mT6_T7_P12ihipStream_tbENKUlT_T0_E_clISt17integral_constantIbLb1EESY_EEDaST_SU_EUlST_E_NS1_11comp_targetILNS1_3genE2ELNS1_11target_archE906ELNS1_3gpuE6ELNS1_3repE0EEENS1_30default_config_static_selectorELNS0_4arch9wavefront6targetE1EEEvT1_
    .private_segment_fixed_size: 0
    .sgpr_count:     6
    .sgpr_spill_count: 0
    .symbol:         _ZN7rocprim17ROCPRIM_400000_NS6detail17trampoline_kernelINS0_14default_configENS1_27scan_by_key_config_selectorIxxEEZZNS1_16scan_by_key_implILNS1_25lookback_scan_determinismE0ELb1ES3_N6thrust23THRUST_200600_302600_NS6detail15normal_iteratorINS9_10device_ptrIxEEEESE_SE_xNS9_4plusIxEE19head_flag_predicatexEE10hipError_tPvRmT2_T3_T4_T5_mT6_T7_P12ihipStream_tbENKUlT_T0_E_clISt17integral_constantIbLb1EESY_EEDaST_SU_EUlST_E_NS1_11comp_targetILNS1_3genE2ELNS1_11target_archE906ELNS1_3gpuE6ELNS1_3repE0EEENS1_30default_config_static_selectorELNS0_4arch9wavefront6targetE1EEEvT1_.kd
    .uniform_work_group_size: 1
    .uses_dynamic_stack: false
    .vgpr_count:     0
    .vgpr_spill_count: 0
    .wavefront_size: 64
  - .agpr_count:     0
    .args:
      - .offset:         0
        .size:           136
        .value_kind:     by_value
    .group_segment_fixed_size: 0
    .kernarg_segment_align: 8
    .kernarg_segment_size: 136
    .language:       OpenCL C
    .language_version:
      - 2
      - 0
    .max_flat_workgroup_size: 256
    .name:           _ZN7rocprim17ROCPRIM_400000_NS6detail17trampoline_kernelINS0_14default_configENS1_27scan_by_key_config_selectorIxxEEZZNS1_16scan_by_key_implILNS1_25lookback_scan_determinismE0ELb1ES3_N6thrust23THRUST_200600_302600_NS6detail15normal_iteratorINS9_10device_ptrIxEEEESE_SE_xNS9_4plusIxEE19head_flag_predicatexEE10hipError_tPvRmT2_T3_T4_T5_mT6_T7_P12ihipStream_tbENKUlT_T0_E_clISt17integral_constantIbLb1EESY_EEDaST_SU_EUlST_E_NS1_11comp_targetILNS1_3genE10ELNS1_11target_archE1200ELNS1_3gpuE4ELNS1_3repE0EEENS1_30default_config_static_selectorELNS0_4arch9wavefront6targetE1EEEvT1_
    .private_segment_fixed_size: 0
    .sgpr_count:     6
    .sgpr_spill_count: 0
    .symbol:         _ZN7rocprim17ROCPRIM_400000_NS6detail17trampoline_kernelINS0_14default_configENS1_27scan_by_key_config_selectorIxxEEZZNS1_16scan_by_key_implILNS1_25lookback_scan_determinismE0ELb1ES3_N6thrust23THRUST_200600_302600_NS6detail15normal_iteratorINS9_10device_ptrIxEEEESE_SE_xNS9_4plusIxEE19head_flag_predicatexEE10hipError_tPvRmT2_T3_T4_T5_mT6_T7_P12ihipStream_tbENKUlT_T0_E_clISt17integral_constantIbLb1EESY_EEDaST_SU_EUlST_E_NS1_11comp_targetILNS1_3genE10ELNS1_11target_archE1200ELNS1_3gpuE4ELNS1_3repE0EEENS1_30default_config_static_selectorELNS0_4arch9wavefront6targetE1EEEvT1_.kd
    .uniform_work_group_size: 1
    .uses_dynamic_stack: false
    .vgpr_count:     0
    .vgpr_spill_count: 0
    .wavefront_size: 64
  - .agpr_count:     0
    .args:
      - .offset:         0
        .size:           136
        .value_kind:     by_value
    .group_segment_fixed_size: 0
    .kernarg_segment_align: 8
    .kernarg_segment_size: 136
    .language:       OpenCL C
    .language_version:
      - 2
      - 0
    .max_flat_workgroup_size: 256
    .name:           _ZN7rocprim17ROCPRIM_400000_NS6detail17trampoline_kernelINS0_14default_configENS1_27scan_by_key_config_selectorIxxEEZZNS1_16scan_by_key_implILNS1_25lookback_scan_determinismE0ELb1ES3_N6thrust23THRUST_200600_302600_NS6detail15normal_iteratorINS9_10device_ptrIxEEEESE_SE_xNS9_4plusIxEE19head_flag_predicatexEE10hipError_tPvRmT2_T3_T4_T5_mT6_T7_P12ihipStream_tbENKUlT_T0_E_clISt17integral_constantIbLb1EESY_EEDaST_SU_EUlST_E_NS1_11comp_targetILNS1_3genE9ELNS1_11target_archE1100ELNS1_3gpuE3ELNS1_3repE0EEENS1_30default_config_static_selectorELNS0_4arch9wavefront6targetE1EEEvT1_
    .private_segment_fixed_size: 0
    .sgpr_count:     6
    .sgpr_spill_count: 0
    .symbol:         _ZN7rocprim17ROCPRIM_400000_NS6detail17trampoline_kernelINS0_14default_configENS1_27scan_by_key_config_selectorIxxEEZZNS1_16scan_by_key_implILNS1_25lookback_scan_determinismE0ELb1ES3_N6thrust23THRUST_200600_302600_NS6detail15normal_iteratorINS9_10device_ptrIxEEEESE_SE_xNS9_4plusIxEE19head_flag_predicatexEE10hipError_tPvRmT2_T3_T4_T5_mT6_T7_P12ihipStream_tbENKUlT_T0_E_clISt17integral_constantIbLb1EESY_EEDaST_SU_EUlST_E_NS1_11comp_targetILNS1_3genE9ELNS1_11target_archE1100ELNS1_3gpuE3ELNS1_3repE0EEENS1_30default_config_static_selectorELNS0_4arch9wavefront6targetE1EEEvT1_.kd
    .uniform_work_group_size: 1
    .uses_dynamic_stack: false
    .vgpr_count:     0
    .vgpr_spill_count: 0
    .wavefront_size: 64
  - .agpr_count:     0
    .args:
      - .offset:         0
        .size:           136
        .value_kind:     by_value
    .group_segment_fixed_size: 0
    .kernarg_segment_align: 8
    .kernarg_segment_size: 136
    .language:       OpenCL C
    .language_version:
      - 2
      - 0
    .max_flat_workgroup_size: 256
    .name:           _ZN7rocprim17ROCPRIM_400000_NS6detail17trampoline_kernelINS0_14default_configENS1_27scan_by_key_config_selectorIxxEEZZNS1_16scan_by_key_implILNS1_25lookback_scan_determinismE0ELb1ES3_N6thrust23THRUST_200600_302600_NS6detail15normal_iteratorINS9_10device_ptrIxEEEESE_SE_xNS9_4plusIxEE19head_flag_predicatexEE10hipError_tPvRmT2_T3_T4_T5_mT6_T7_P12ihipStream_tbENKUlT_T0_E_clISt17integral_constantIbLb1EESY_EEDaST_SU_EUlST_E_NS1_11comp_targetILNS1_3genE8ELNS1_11target_archE1030ELNS1_3gpuE2ELNS1_3repE0EEENS1_30default_config_static_selectorELNS0_4arch9wavefront6targetE1EEEvT1_
    .private_segment_fixed_size: 0
    .sgpr_count:     6
    .sgpr_spill_count: 0
    .symbol:         _ZN7rocprim17ROCPRIM_400000_NS6detail17trampoline_kernelINS0_14default_configENS1_27scan_by_key_config_selectorIxxEEZZNS1_16scan_by_key_implILNS1_25lookback_scan_determinismE0ELb1ES3_N6thrust23THRUST_200600_302600_NS6detail15normal_iteratorINS9_10device_ptrIxEEEESE_SE_xNS9_4plusIxEE19head_flag_predicatexEE10hipError_tPvRmT2_T3_T4_T5_mT6_T7_P12ihipStream_tbENKUlT_T0_E_clISt17integral_constantIbLb1EESY_EEDaST_SU_EUlST_E_NS1_11comp_targetILNS1_3genE8ELNS1_11target_archE1030ELNS1_3gpuE2ELNS1_3repE0EEENS1_30default_config_static_selectorELNS0_4arch9wavefront6targetE1EEEvT1_.kd
    .uniform_work_group_size: 1
    .uses_dynamic_stack: false
    .vgpr_count:     0
    .vgpr_spill_count: 0
    .wavefront_size: 64
  - .agpr_count:     0
    .args:
      - .offset:         0
        .size:           136
        .value_kind:     by_value
    .group_segment_fixed_size: 0
    .kernarg_segment_align: 8
    .kernarg_segment_size: 136
    .language:       OpenCL C
    .language_version:
      - 2
      - 0
    .max_flat_workgroup_size: 256
    .name:           _ZN7rocprim17ROCPRIM_400000_NS6detail17trampoline_kernelINS0_14default_configENS1_27scan_by_key_config_selectorIxxEEZZNS1_16scan_by_key_implILNS1_25lookback_scan_determinismE0ELb1ES3_N6thrust23THRUST_200600_302600_NS6detail15normal_iteratorINS9_10device_ptrIxEEEESE_SE_xNS9_4plusIxEE19head_flag_predicatexEE10hipError_tPvRmT2_T3_T4_T5_mT6_T7_P12ihipStream_tbENKUlT_T0_E_clISt17integral_constantIbLb1EESX_IbLb0EEEEDaST_SU_EUlST_E_NS1_11comp_targetILNS1_3genE0ELNS1_11target_archE4294967295ELNS1_3gpuE0ELNS1_3repE0EEENS1_30default_config_static_selectorELNS0_4arch9wavefront6targetE1EEEvT1_
    .private_segment_fixed_size: 0
    .sgpr_count:     6
    .sgpr_spill_count: 0
    .symbol:         _ZN7rocprim17ROCPRIM_400000_NS6detail17trampoline_kernelINS0_14default_configENS1_27scan_by_key_config_selectorIxxEEZZNS1_16scan_by_key_implILNS1_25lookback_scan_determinismE0ELb1ES3_N6thrust23THRUST_200600_302600_NS6detail15normal_iteratorINS9_10device_ptrIxEEEESE_SE_xNS9_4plusIxEE19head_flag_predicatexEE10hipError_tPvRmT2_T3_T4_T5_mT6_T7_P12ihipStream_tbENKUlT_T0_E_clISt17integral_constantIbLb1EESX_IbLb0EEEEDaST_SU_EUlST_E_NS1_11comp_targetILNS1_3genE0ELNS1_11target_archE4294967295ELNS1_3gpuE0ELNS1_3repE0EEENS1_30default_config_static_selectorELNS0_4arch9wavefront6targetE1EEEvT1_.kd
    .uniform_work_group_size: 1
    .uses_dynamic_stack: false
    .vgpr_count:     0
    .vgpr_spill_count: 0
    .wavefront_size: 64
  - .agpr_count:     0
    .args:
      - .offset:         0
        .size:           136
        .value_kind:     by_value
    .group_segment_fixed_size: 0
    .kernarg_segment_align: 8
    .kernarg_segment_size: 136
    .language:       OpenCL C
    .language_version:
      - 2
      - 0
    .max_flat_workgroup_size: 256
    .name:           _ZN7rocprim17ROCPRIM_400000_NS6detail17trampoline_kernelINS0_14default_configENS1_27scan_by_key_config_selectorIxxEEZZNS1_16scan_by_key_implILNS1_25lookback_scan_determinismE0ELb1ES3_N6thrust23THRUST_200600_302600_NS6detail15normal_iteratorINS9_10device_ptrIxEEEESE_SE_xNS9_4plusIxEE19head_flag_predicatexEE10hipError_tPvRmT2_T3_T4_T5_mT6_T7_P12ihipStream_tbENKUlT_T0_E_clISt17integral_constantIbLb1EESX_IbLb0EEEEDaST_SU_EUlST_E_NS1_11comp_targetILNS1_3genE10ELNS1_11target_archE1201ELNS1_3gpuE5ELNS1_3repE0EEENS1_30default_config_static_selectorELNS0_4arch9wavefront6targetE1EEEvT1_
    .private_segment_fixed_size: 0
    .sgpr_count:     6
    .sgpr_spill_count: 0
    .symbol:         _ZN7rocprim17ROCPRIM_400000_NS6detail17trampoline_kernelINS0_14default_configENS1_27scan_by_key_config_selectorIxxEEZZNS1_16scan_by_key_implILNS1_25lookback_scan_determinismE0ELb1ES3_N6thrust23THRUST_200600_302600_NS6detail15normal_iteratorINS9_10device_ptrIxEEEESE_SE_xNS9_4plusIxEE19head_flag_predicatexEE10hipError_tPvRmT2_T3_T4_T5_mT6_T7_P12ihipStream_tbENKUlT_T0_E_clISt17integral_constantIbLb1EESX_IbLb0EEEEDaST_SU_EUlST_E_NS1_11comp_targetILNS1_3genE10ELNS1_11target_archE1201ELNS1_3gpuE5ELNS1_3repE0EEENS1_30default_config_static_selectorELNS0_4arch9wavefront6targetE1EEEvT1_.kd
    .uniform_work_group_size: 1
    .uses_dynamic_stack: false
    .vgpr_count:     0
    .vgpr_spill_count: 0
    .wavefront_size: 64
  - .agpr_count:     0
    .args:
      - .offset:         0
        .size:           136
        .value_kind:     by_value
    .group_segment_fixed_size: 32768
    .kernarg_segment_align: 8
    .kernarg_segment_size: 136
    .language:       OpenCL C
    .language_version:
      - 2
      - 0
    .max_flat_workgroup_size: 256
    .name:           _ZN7rocprim17ROCPRIM_400000_NS6detail17trampoline_kernelINS0_14default_configENS1_27scan_by_key_config_selectorIxxEEZZNS1_16scan_by_key_implILNS1_25lookback_scan_determinismE0ELb1ES3_N6thrust23THRUST_200600_302600_NS6detail15normal_iteratorINS9_10device_ptrIxEEEESE_SE_xNS9_4plusIxEE19head_flag_predicatexEE10hipError_tPvRmT2_T3_T4_T5_mT6_T7_P12ihipStream_tbENKUlT_T0_E_clISt17integral_constantIbLb1EESX_IbLb0EEEEDaST_SU_EUlST_E_NS1_11comp_targetILNS1_3genE5ELNS1_11target_archE942ELNS1_3gpuE9ELNS1_3repE0EEENS1_30default_config_static_selectorELNS0_4arch9wavefront6targetE1EEEvT1_
    .private_segment_fixed_size: 0
    .sgpr_count:     70
    .sgpr_spill_count: 0
    .symbol:         _ZN7rocprim17ROCPRIM_400000_NS6detail17trampoline_kernelINS0_14default_configENS1_27scan_by_key_config_selectorIxxEEZZNS1_16scan_by_key_implILNS1_25lookback_scan_determinismE0ELb1ES3_N6thrust23THRUST_200600_302600_NS6detail15normal_iteratorINS9_10device_ptrIxEEEESE_SE_xNS9_4plusIxEE19head_flag_predicatexEE10hipError_tPvRmT2_T3_T4_T5_mT6_T7_P12ihipStream_tbENKUlT_T0_E_clISt17integral_constantIbLb1EESX_IbLb0EEEEDaST_SU_EUlST_E_NS1_11comp_targetILNS1_3genE5ELNS1_11target_archE942ELNS1_3gpuE9ELNS1_3repE0EEENS1_30default_config_static_selectorELNS0_4arch9wavefront6targetE1EEEvT1_.kd
    .uniform_work_group_size: 1
    .uses_dynamic_stack: false
    .vgpr_count:     85
    .vgpr_spill_count: 0
    .wavefront_size: 64
  - .agpr_count:     0
    .args:
      - .offset:         0
        .size:           136
        .value_kind:     by_value
    .group_segment_fixed_size: 0
    .kernarg_segment_align: 8
    .kernarg_segment_size: 136
    .language:       OpenCL C
    .language_version:
      - 2
      - 0
    .max_flat_workgroup_size: 64
    .name:           _ZN7rocprim17ROCPRIM_400000_NS6detail17trampoline_kernelINS0_14default_configENS1_27scan_by_key_config_selectorIxxEEZZNS1_16scan_by_key_implILNS1_25lookback_scan_determinismE0ELb1ES3_N6thrust23THRUST_200600_302600_NS6detail15normal_iteratorINS9_10device_ptrIxEEEESE_SE_xNS9_4plusIxEE19head_flag_predicatexEE10hipError_tPvRmT2_T3_T4_T5_mT6_T7_P12ihipStream_tbENKUlT_T0_E_clISt17integral_constantIbLb1EESX_IbLb0EEEEDaST_SU_EUlST_E_NS1_11comp_targetILNS1_3genE4ELNS1_11target_archE910ELNS1_3gpuE8ELNS1_3repE0EEENS1_30default_config_static_selectorELNS0_4arch9wavefront6targetE1EEEvT1_
    .private_segment_fixed_size: 0
    .sgpr_count:     6
    .sgpr_spill_count: 0
    .symbol:         _ZN7rocprim17ROCPRIM_400000_NS6detail17trampoline_kernelINS0_14default_configENS1_27scan_by_key_config_selectorIxxEEZZNS1_16scan_by_key_implILNS1_25lookback_scan_determinismE0ELb1ES3_N6thrust23THRUST_200600_302600_NS6detail15normal_iteratorINS9_10device_ptrIxEEEESE_SE_xNS9_4plusIxEE19head_flag_predicatexEE10hipError_tPvRmT2_T3_T4_T5_mT6_T7_P12ihipStream_tbENKUlT_T0_E_clISt17integral_constantIbLb1EESX_IbLb0EEEEDaST_SU_EUlST_E_NS1_11comp_targetILNS1_3genE4ELNS1_11target_archE910ELNS1_3gpuE8ELNS1_3repE0EEENS1_30default_config_static_selectorELNS0_4arch9wavefront6targetE1EEEvT1_.kd
    .uniform_work_group_size: 1
    .uses_dynamic_stack: false
    .vgpr_count:     0
    .vgpr_spill_count: 0
    .wavefront_size: 64
  - .agpr_count:     0
    .args:
      - .offset:         0
        .size:           136
        .value_kind:     by_value
    .group_segment_fixed_size: 0
    .kernarg_segment_align: 8
    .kernarg_segment_size: 136
    .language:       OpenCL C
    .language_version:
      - 2
      - 0
    .max_flat_workgroup_size: 256
    .name:           _ZN7rocprim17ROCPRIM_400000_NS6detail17trampoline_kernelINS0_14default_configENS1_27scan_by_key_config_selectorIxxEEZZNS1_16scan_by_key_implILNS1_25lookback_scan_determinismE0ELb1ES3_N6thrust23THRUST_200600_302600_NS6detail15normal_iteratorINS9_10device_ptrIxEEEESE_SE_xNS9_4plusIxEE19head_flag_predicatexEE10hipError_tPvRmT2_T3_T4_T5_mT6_T7_P12ihipStream_tbENKUlT_T0_E_clISt17integral_constantIbLb1EESX_IbLb0EEEEDaST_SU_EUlST_E_NS1_11comp_targetILNS1_3genE3ELNS1_11target_archE908ELNS1_3gpuE7ELNS1_3repE0EEENS1_30default_config_static_selectorELNS0_4arch9wavefront6targetE1EEEvT1_
    .private_segment_fixed_size: 0
    .sgpr_count:     6
    .sgpr_spill_count: 0
    .symbol:         _ZN7rocprim17ROCPRIM_400000_NS6detail17trampoline_kernelINS0_14default_configENS1_27scan_by_key_config_selectorIxxEEZZNS1_16scan_by_key_implILNS1_25lookback_scan_determinismE0ELb1ES3_N6thrust23THRUST_200600_302600_NS6detail15normal_iteratorINS9_10device_ptrIxEEEESE_SE_xNS9_4plusIxEE19head_flag_predicatexEE10hipError_tPvRmT2_T3_T4_T5_mT6_T7_P12ihipStream_tbENKUlT_T0_E_clISt17integral_constantIbLb1EESX_IbLb0EEEEDaST_SU_EUlST_E_NS1_11comp_targetILNS1_3genE3ELNS1_11target_archE908ELNS1_3gpuE7ELNS1_3repE0EEENS1_30default_config_static_selectorELNS0_4arch9wavefront6targetE1EEEvT1_.kd
    .uniform_work_group_size: 1
    .uses_dynamic_stack: false
    .vgpr_count:     0
    .vgpr_spill_count: 0
    .wavefront_size: 64
  - .agpr_count:     0
    .args:
      - .offset:         0
        .size:           136
        .value_kind:     by_value
    .group_segment_fixed_size: 0
    .kernarg_segment_align: 8
    .kernarg_segment_size: 136
    .language:       OpenCL C
    .language_version:
      - 2
      - 0
    .max_flat_workgroup_size: 256
    .name:           _ZN7rocprim17ROCPRIM_400000_NS6detail17trampoline_kernelINS0_14default_configENS1_27scan_by_key_config_selectorIxxEEZZNS1_16scan_by_key_implILNS1_25lookback_scan_determinismE0ELb1ES3_N6thrust23THRUST_200600_302600_NS6detail15normal_iteratorINS9_10device_ptrIxEEEESE_SE_xNS9_4plusIxEE19head_flag_predicatexEE10hipError_tPvRmT2_T3_T4_T5_mT6_T7_P12ihipStream_tbENKUlT_T0_E_clISt17integral_constantIbLb1EESX_IbLb0EEEEDaST_SU_EUlST_E_NS1_11comp_targetILNS1_3genE2ELNS1_11target_archE906ELNS1_3gpuE6ELNS1_3repE0EEENS1_30default_config_static_selectorELNS0_4arch9wavefront6targetE1EEEvT1_
    .private_segment_fixed_size: 0
    .sgpr_count:     6
    .sgpr_spill_count: 0
    .symbol:         _ZN7rocprim17ROCPRIM_400000_NS6detail17trampoline_kernelINS0_14default_configENS1_27scan_by_key_config_selectorIxxEEZZNS1_16scan_by_key_implILNS1_25lookback_scan_determinismE0ELb1ES3_N6thrust23THRUST_200600_302600_NS6detail15normal_iteratorINS9_10device_ptrIxEEEESE_SE_xNS9_4plusIxEE19head_flag_predicatexEE10hipError_tPvRmT2_T3_T4_T5_mT6_T7_P12ihipStream_tbENKUlT_T0_E_clISt17integral_constantIbLb1EESX_IbLb0EEEEDaST_SU_EUlST_E_NS1_11comp_targetILNS1_3genE2ELNS1_11target_archE906ELNS1_3gpuE6ELNS1_3repE0EEENS1_30default_config_static_selectorELNS0_4arch9wavefront6targetE1EEEvT1_.kd
    .uniform_work_group_size: 1
    .uses_dynamic_stack: false
    .vgpr_count:     0
    .vgpr_spill_count: 0
    .wavefront_size: 64
  - .agpr_count:     0
    .args:
      - .offset:         0
        .size:           136
        .value_kind:     by_value
    .group_segment_fixed_size: 0
    .kernarg_segment_align: 8
    .kernarg_segment_size: 136
    .language:       OpenCL C
    .language_version:
      - 2
      - 0
    .max_flat_workgroup_size: 256
    .name:           _ZN7rocprim17ROCPRIM_400000_NS6detail17trampoline_kernelINS0_14default_configENS1_27scan_by_key_config_selectorIxxEEZZNS1_16scan_by_key_implILNS1_25lookback_scan_determinismE0ELb1ES3_N6thrust23THRUST_200600_302600_NS6detail15normal_iteratorINS9_10device_ptrIxEEEESE_SE_xNS9_4plusIxEE19head_flag_predicatexEE10hipError_tPvRmT2_T3_T4_T5_mT6_T7_P12ihipStream_tbENKUlT_T0_E_clISt17integral_constantIbLb1EESX_IbLb0EEEEDaST_SU_EUlST_E_NS1_11comp_targetILNS1_3genE10ELNS1_11target_archE1200ELNS1_3gpuE4ELNS1_3repE0EEENS1_30default_config_static_selectorELNS0_4arch9wavefront6targetE1EEEvT1_
    .private_segment_fixed_size: 0
    .sgpr_count:     6
    .sgpr_spill_count: 0
    .symbol:         _ZN7rocprim17ROCPRIM_400000_NS6detail17trampoline_kernelINS0_14default_configENS1_27scan_by_key_config_selectorIxxEEZZNS1_16scan_by_key_implILNS1_25lookback_scan_determinismE0ELb1ES3_N6thrust23THRUST_200600_302600_NS6detail15normal_iteratorINS9_10device_ptrIxEEEESE_SE_xNS9_4plusIxEE19head_flag_predicatexEE10hipError_tPvRmT2_T3_T4_T5_mT6_T7_P12ihipStream_tbENKUlT_T0_E_clISt17integral_constantIbLb1EESX_IbLb0EEEEDaST_SU_EUlST_E_NS1_11comp_targetILNS1_3genE10ELNS1_11target_archE1200ELNS1_3gpuE4ELNS1_3repE0EEENS1_30default_config_static_selectorELNS0_4arch9wavefront6targetE1EEEvT1_.kd
    .uniform_work_group_size: 1
    .uses_dynamic_stack: false
    .vgpr_count:     0
    .vgpr_spill_count: 0
    .wavefront_size: 64
  - .agpr_count:     0
    .args:
      - .offset:         0
        .size:           136
        .value_kind:     by_value
    .group_segment_fixed_size: 0
    .kernarg_segment_align: 8
    .kernarg_segment_size: 136
    .language:       OpenCL C
    .language_version:
      - 2
      - 0
    .max_flat_workgroup_size: 256
    .name:           _ZN7rocprim17ROCPRIM_400000_NS6detail17trampoline_kernelINS0_14default_configENS1_27scan_by_key_config_selectorIxxEEZZNS1_16scan_by_key_implILNS1_25lookback_scan_determinismE0ELb1ES3_N6thrust23THRUST_200600_302600_NS6detail15normal_iteratorINS9_10device_ptrIxEEEESE_SE_xNS9_4plusIxEE19head_flag_predicatexEE10hipError_tPvRmT2_T3_T4_T5_mT6_T7_P12ihipStream_tbENKUlT_T0_E_clISt17integral_constantIbLb1EESX_IbLb0EEEEDaST_SU_EUlST_E_NS1_11comp_targetILNS1_3genE9ELNS1_11target_archE1100ELNS1_3gpuE3ELNS1_3repE0EEENS1_30default_config_static_selectorELNS0_4arch9wavefront6targetE1EEEvT1_
    .private_segment_fixed_size: 0
    .sgpr_count:     6
    .sgpr_spill_count: 0
    .symbol:         _ZN7rocprim17ROCPRIM_400000_NS6detail17trampoline_kernelINS0_14default_configENS1_27scan_by_key_config_selectorIxxEEZZNS1_16scan_by_key_implILNS1_25lookback_scan_determinismE0ELb1ES3_N6thrust23THRUST_200600_302600_NS6detail15normal_iteratorINS9_10device_ptrIxEEEESE_SE_xNS9_4plusIxEE19head_flag_predicatexEE10hipError_tPvRmT2_T3_T4_T5_mT6_T7_P12ihipStream_tbENKUlT_T0_E_clISt17integral_constantIbLb1EESX_IbLb0EEEEDaST_SU_EUlST_E_NS1_11comp_targetILNS1_3genE9ELNS1_11target_archE1100ELNS1_3gpuE3ELNS1_3repE0EEENS1_30default_config_static_selectorELNS0_4arch9wavefront6targetE1EEEvT1_.kd
    .uniform_work_group_size: 1
    .uses_dynamic_stack: false
    .vgpr_count:     0
    .vgpr_spill_count: 0
    .wavefront_size: 64
  - .agpr_count:     0
    .args:
      - .offset:         0
        .size:           136
        .value_kind:     by_value
    .group_segment_fixed_size: 0
    .kernarg_segment_align: 8
    .kernarg_segment_size: 136
    .language:       OpenCL C
    .language_version:
      - 2
      - 0
    .max_flat_workgroup_size: 256
    .name:           _ZN7rocprim17ROCPRIM_400000_NS6detail17trampoline_kernelINS0_14default_configENS1_27scan_by_key_config_selectorIxxEEZZNS1_16scan_by_key_implILNS1_25lookback_scan_determinismE0ELb1ES3_N6thrust23THRUST_200600_302600_NS6detail15normal_iteratorINS9_10device_ptrIxEEEESE_SE_xNS9_4plusIxEE19head_flag_predicatexEE10hipError_tPvRmT2_T3_T4_T5_mT6_T7_P12ihipStream_tbENKUlT_T0_E_clISt17integral_constantIbLb1EESX_IbLb0EEEEDaST_SU_EUlST_E_NS1_11comp_targetILNS1_3genE8ELNS1_11target_archE1030ELNS1_3gpuE2ELNS1_3repE0EEENS1_30default_config_static_selectorELNS0_4arch9wavefront6targetE1EEEvT1_
    .private_segment_fixed_size: 0
    .sgpr_count:     6
    .sgpr_spill_count: 0
    .symbol:         _ZN7rocprim17ROCPRIM_400000_NS6detail17trampoline_kernelINS0_14default_configENS1_27scan_by_key_config_selectorIxxEEZZNS1_16scan_by_key_implILNS1_25lookback_scan_determinismE0ELb1ES3_N6thrust23THRUST_200600_302600_NS6detail15normal_iteratorINS9_10device_ptrIxEEEESE_SE_xNS9_4plusIxEE19head_flag_predicatexEE10hipError_tPvRmT2_T3_T4_T5_mT6_T7_P12ihipStream_tbENKUlT_T0_E_clISt17integral_constantIbLb1EESX_IbLb0EEEEDaST_SU_EUlST_E_NS1_11comp_targetILNS1_3genE8ELNS1_11target_archE1030ELNS1_3gpuE2ELNS1_3repE0EEENS1_30default_config_static_selectorELNS0_4arch9wavefront6targetE1EEEvT1_.kd
    .uniform_work_group_size: 1
    .uses_dynamic_stack: false
    .vgpr_count:     0
    .vgpr_spill_count: 0
    .wavefront_size: 64
  - .agpr_count:     0
    .args:
      - .offset:         0
        .size:           136
        .value_kind:     by_value
    .group_segment_fixed_size: 0
    .kernarg_segment_align: 8
    .kernarg_segment_size: 136
    .language:       OpenCL C
    .language_version:
      - 2
      - 0
    .max_flat_workgroup_size: 256
    .name:           _ZN7rocprim17ROCPRIM_400000_NS6detail17trampoline_kernelINS0_14default_configENS1_27scan_by_key_config_selectorIxxEEZZNS1_16scan_by_key_implILNS1_25lookback_scan_determinismE0ELb1ES3_N6thrust23THRUST_200600_302600_NS6detail15normal_iteratorINS9_10device_ptrIxEEEESE_SE_xNS9_4plusIxEE19head_flag_predicatexEE10hipError_tPvRmT2_T3_T4_T5_mT6_T7_P12ihipStream_tbENKUlT_T0_E_clISt17integral_constantIbLb0EESX_IbLb1EEEEDaST_SU_EUlST_E_NS1_11comp_targetILNS1_3genE0ELNS1_11target_archE4294967295ELNS1_3gpuE0ELNS1_3repE0EEENS1_30default_config_static_selectorELNS0_4arch9wavefront6targetE1EEEvT1_
    .private_segment_fixed_size: 0
    .sgpr_count:     6
    .sgpr_spill_count: 0
    .symbol:         _ZN7rocprim17ROCPRIM_400000_NS6detail17trampoline_kernelINS0_14default_configENS1_27scan_by_key_config_selectorIxxEEZZNS1_16scan_by_key_implILNS1_25lookback_scan_determinismE0ELb1ES3_N6thrust23THRUST_200600_302600_NS6detail15normal_iteratorINS9_10device_ptrIxEEEESE_SE_xNS9_4plusIxEE19head_flag_predicatexEE10hipError_tPvRmT2_T3_T4_T5_mT6_T7_P12ihipStream_tbENKUlT_T0_E_clISt17integral_constantIbLb0EESX_IbLb1EEEEDaST_SU_EUlST_E_NS1_11comp_targetILNS1_3genE0ELNS1_11target_archE4294967295ELNS1_3gpuE0ELNS1_3repE0EEENS1_30default_config_static_selectorELNS0_4arch9wavefront6targetE1EEEvT1_.kd
    .uniform_work_group_size: 1
    .uses_dynamic_stack: false
    .vgpr_count:     0
    .vgpr_spill_count: 0
    .wavefront_size: 64
  - .agpr_count:     0
    .args:
      - .offset:         0
        .size:           136
        .value_kind:     by_value
    .group_segment_fixed_size: 0
    .kernarg_segment_align: 8
    .kernarg_segment_size: 136
    .language:       OpenCL C
    .language_version:
      - 2
      - 0
    .max_flat_workgroup_size: 256
    .name:           _ZN7rocprim17ROCPRIM_400000_NS6detail17trampoline_kernelINS0_14default_configENS1_27scan_by_key_config_selectorIxxEEZZNS1_16scan_by_key_implILNS1_25lookback_scan_determinismE0ELb1ES3_N6thrust23THRUST_200600_302600_NS6detail15normal_iteratorINS9_10device_ptrIxEEEESE_SE_xNS9_4plusIxEE19head_flag_predicatexEE10hipError_tPvRmT2_T3_T4_T5_mT6_T7_P12ihipStream_tbENKUlT_T0_E_clISt17integral_constantIbLb0EESX_IbLb1EEEEDaST_SU_EUlST_E_NS1_11comp_targetILNS1_3genE10ELNS1_11target_archE1201ELNS1_3gpuE5ELNS1_3repE0EEENS1_30default_config_static_selectorELNS0_4arch9wavefront6targetE1EEEvT1_
    .private_segment_fixed_size: 0
    .sgpr_count:     6
    .sgpr_spill_count: 0
    .symbol:         _ZN7rocprim17ROCPRIM_400000_NS6detail17trampoline_kernelINS0_14default_configENS1_27scan_by_key_config_selectorIxxEEZZNS1_16scan_by_key_implILNS1_25lookback_scan_determinismE0ELb1ES3_N6thrust23THRUST_200600_302600_NS6detail15normal_iteratorINS9_10device_ptrIxEEEESE_SE_xNS9_4plusIxEE19head_flag_predicatexEE10hipError_tPvRmT2_T3_T4_T5_mT6_T7_P12ihipStream_tbENKUlT_T0_E_clISt17integral_constantIbLb0EESX_IbLb1EEEEDaST_SU_EUlST_E_NS1_11comp_targetILNS1_3genE10ELNS1_11target_archE1201ELNS1_3gpuE5ELNS1_3repE0EEENS1_30default_config_static_selectorELNS0_4arch9wavefront6targetE1EEEvT1_.kd
    .uniform_work_group_size: 1
    .uses_dynamic_stack: false
    .vgpr_count:     0
    .vgpr_spill_count: 0
    .wavefront_size: 64
  - .agpr_count:     0
    .args:
      - .offset:         0
        .size:           136
        .value_kind:     by_value
    .group_segment_fixed_size: 32768
    .kernarg_segment_align: 8
    .kernarg_segment_size: 136
    .language:       OpenCL C
    .language_version:
      - 2
      - 0
    .max_flat_workgroup_size: 256
    .name:           _ZN7rocprim17ROCPRIM_400000_NS6detail17trampoline_kernelINS0_14default_configENS1_27scan_by_key_config_selectorIxxEEZZNS1_16scan_by_key_implILNS1_25lookback_scan_determinismE0ELb1ES3_N6thrust23THRUST_200600_302600_NS6detail15normal_iteratorINS9_10device_ptrIxEEEESE_SE_xNS9_4plusIxEE19head_flag_predicatexEE10hipError_tPvRmT2_T3_T4_T5_mT6_T7_P12ihipStream_tbENKUlT_T0_E_clISt17integral_constantIbLb0EESX_IbLb1EEEEDaST_SU_EUlST_E_NS1_11comp_targetILNS1_3genE5ELNS1_11target_archE942ELNS1_3gpuE9ELNS1_3repE0EEENS1_30default_config_static_selectorELNS0_4arch9wavefront6targetE1EEEvT1_
    .private_segment_fixed_size: 0
    .sgpr_count:     66
    .sgpr_spill_count: 0
    .symbol:         _ZN7rocprim17ROCPRIM_400000_NS6detail17trampoline_kernelINS0_14default_configENS1_27scan_by_key_config_selectorIxxEEZZNS1_16scan_by_key_implILNS1_25lookback_scan_determinismE0ELb1ES3_N6thrust23THRUST_200600_302600_NS6detail15normal_iteratorINS9_10device_ptrIxEEEESE_SE_xNS9_4plusIxEE19head_flag_predicatexEE10hipError_tPvRmT2_T3_T4_T5_mT6_T7_P12ihipStream_tbENKUlT_T0_E_clISt17integral_constantIbLb0EESX_IbLb1EEEEDaST_SU_EUlST_E_NS1_11comp_targetILNS1_3genE5ELNS1_11target_archE942ELNS1_3gpuE9ELNS1_3repE0EEENS1_30default_config_static_selectorELNS0_4arch9wavefront6targetE1EEEvT1_.kd
    .uniform_work_group_size: 1
    .uses_dynamic_stack: false
    .vgpr_count:     87
    .vgpr_spill_count: 0
    .wavefront_size: 64
  - .agpr_count:     0
    .args:
      - .offset:         0
        .size:           136
        .value_kind:     by_value
    .group_segment_fixed_size: 0
    .kernarg_segment_align: 8
    .kernarg_segment_size: 136
    .language:       OpenCL C
    .language_version:
      - 2
      - 0
    .max_flat_workgroup_size: 64
    .name:           _ZN7rocprim17ROCPRIM_400000_NS6detail17trampoline_kernelINS0_14default_configENS1_27scan_by_key_config_selectorIxxEEZZNS1_16scan_by_key_implILNS1_25lookback_scan_determinismE0ELb1ES3_N6thrust23THRUST_200600_302600_NS6detail15normal_iteratorINS9_10device_ptrIxEEEESE_SE_xNS9_4plusIxEE19head_flag_predicatexEE10hipError_tPvRmT2_T3_T4_T5_mT6_T7_P12ihipStream_tbENKUlT_T0_E_clISt17integral_constantIbLb0EESX_IbLb1EEEEDaST_SU_EUlST_E_NS1_11comp_targetILNS1_3genE4ELNS1_11target_archE910ELNS1_3gpuE8ELNS1_3repE0EEENS1_30default_config_static_selectorELNS0_4arch9wavefront6targetE1EEEvT1_
    .private_segment_fixed_size: 0
    .sgpr_count:     6
    .sgpr_spill_count: 0
    .symbol:         _ZN7rocprim17ROCPRIM_400000_NS6detail17trampoline_kernelINS0_14default_configENS1_27scan_by_key_config_selectorIxxEEZZNS1_16scan_by_key_implILNS1_25lookback_scan_determinismE0ELb1ES3_N6thrust23THRUST_200600_302600_NS6detail15normal_iteratorINS9_10device_ptrIxEEEESE_SE_xNS9_4plusIxEE19head_flag_predicatexEE10hipError_tPvRmT2_T3_T4_T5_mT6_T7_P12ihipStream_tbENKUlT_T0_E_clISt17integral_constantIbLb0EESX_IbLb1EEEEDaST_SU_EUlST_E_NS1_11comp_targetILNS1_3genE4ELNS1_11target_archE910ELNS1_3gpuE8ELNS1_3repE0EEENS1_30default_config_static_selectorELNS0_4arch9wavefront6targetE1EEEvT1_.kd
    .uniform_work_group_size: 1
    .uses_dynamic_stack: false
    .vgpr_count:     0
    .vgpr_spill_count: 0
    .wavefront_size: 64
  - .agpr_count:     0
    .args:
      - .offset:         0
        .size:           136
        .value_kind:     by_value
    .group_segment_fixed_size: 0
    .kernarg_segment_align: 8
    .kernarg_segment_size: 136
    .language:       OpenCL C
    .language_version:
      - 2
      - 0
    .max_flat_workgroup_size: 256
    .name:           _ZN7rocprim17ROCPRIM_400000_NS6detail17trampoline_kernelINS0_14default_configENS1_27scan_by_key_config_selectorIxxEEZZNS1_16scan_by_key_implILNS1_25lookback_scan_determinismE0ELb1ES3_N6thrust23THRUST_200600_302600_NS6detail15normal_iteratorINS9_10device_ptrIxEEEESE_SE_xNS9_4plusIxEE19head_flag_predicatexEE10hipError_tPvRmT2_T3_T4_T5_mT6_T7_P12ihipStream_tbENKUlT_T0_E_clISt17integral_constantIbLb0EESX_IbLb1EEEEDaST_SU_EUlST_E_NS1_11comp_targetILNS1_3genE3ELNS1_11target_archE908ELNS1_3gpuE7ELNS1_3repE0EEENS1_30default_config_static_selectorELNS0_4arch9wavefront6targetE1EEEvT1_
    .private_segment_fixed_size: 0
    .sgpr_count:     6
    .sgpr_spill_count: 0
    .symbol:         _ZN7rocprim17ROCPRIM_400000_NS6detail17trampoline_kernelINS0_14default_configENS1_27scan_by_key_config_selectorIxxEEZZNS1_16scan_by_key_implILNS1_25lookback_scan_determinismE0ELb1ES3_N6thrust23THRUST_200600_302600_NS6detail15normal_iteratorINS9_10device_ptrIxEEEESE_SE_xNS9_4plusIxEE19head_flag_predicatexEE10hipError_tPvRmT2_T3_T4_T5_mT6_T7_P12ihipStream_tbENKUlT_T0_E_clISt17integral_constantIbLb0EESX_IbLb1EEEEDaST_SU_EUlST_E_NS1_11comp_targetILNS1_3genE3ELNS1_11target_archE908ELNS1_3gpuE7ELNS1_3repE0EEENS1_30default_config_static_selectorELNS0_4arch9wavefront6targetE1EEEvT1_.kd
    .uniform_work_group_size: 1
    .uses_dynamic_stack: false
    .vgpr_count:     0
    .vgpr_spill_count: 0
    .wavefront_size: 64
  - .agpr_count:     0
    .args:
      - .offset:         0
        .size:           136
        .value_kind:     by_value
    .group_segment_fixed_size: 0
    .kernarg_segment_align: 8
    .kernarg_segment_size: 136
    .language:       OpenCL C
    .language_version:
      - 2
      - 0
    .max_flat_workgroup_size: 256
    .name:           _ZN7rocprim17ROCPRIM_400000_NS6detail17trampoline_kernelINS0_14default_configENS1_27scan_by_key_config_selectorIxxEEZZNS1_16scan_by_key_implILNS1_25lookback_scan_determinismE0ELb1ES3_N6thrust23THRUST_200600_302600_NS6detail15normal_iteratorINS9_10device_ptrIxEEEESE_SE_xNS9_4plusIxEE19head_flag_predicatexEE10hipError_tPvRmT2_T3_T4_T5_mT6_T7_P12ihipStream_tbENKUlT_T0_E_clISt17integral_constantIbLb0EESX_IbLb1EEEEDaST_SU_EUlST_E_NS1_11comp_targetILNS1_3genE2ELNS1_11target_archE906ELNS1_3gpuE6ELNS1_3repE0EEENS1_30default_config_static_selectorELNS0_4arch9wavefront6targetE1EEEvT1_
    .private_segment_fixed_size: 0
    .sgpr_count:     6
    .sgpr_spill_count: 0
    .symbol:         _ZN7rocprim17ROCPRIM_400000_NS6detail17trampoline_kernelINS0_14default_configENS1_27scan_by_key_config_selectorIxxEEZZNS1_16scan_by_key_implILNS1_25lookback_scan_determinismE0ELb1ES3_N6thrust23THRUST_200600_302600_NS6detail15normal_iteratorINS9_10device_ptrIxEEEESE_SE_xNS9_4plusIxEE19head_flag_predicatexEE10hipError_tPvRmT2_T3_T4_T5_mT6_T7_P12ihipStream_tbENKUlT_T0_E_clISt17integral_constantIbLb0EESX_IbLb1EEEEDaST_SU_EUlST_E_NS1_11comp_targetILNS1_3genE2ELNS1_11target_archE906ELNS1_3gpuE6ELNS1_3repE0EEENS1_30default_config_static_selectorELNS0_4arch9wavefront6targetE1EEEvT1_.kd
    .uniform_work_group_size: 1
    .uses_dynamic_stack: false
    .vgpr_count:     0
    .vgpr_spill_count: 0
    .wavefront_size: 64
  - .agpr_count:     0
    .args:
      - .offset:         0
        .size:           136
        .value_kind:     by_value
    .group_segment_fixed_size: 0
    .kernarg_segment_align: 8
    .kernarg_segment_size: 136
    .language:       OpenCL C
    .language_version:
      - 2
      - 0
    .max_flat_workgroup_size: 256
    .name:           _ZN7rocprim17ROCPRIM_400000_NS6detail17trampoline_kernelINS0_14default_configENS1_27scan_by_key_config_selectorIxxEEZZNS1_16scan_by_key_implILNS1_25lookback_scan_determinismE0ELb1ES3_N6thrust23THRUST_200600_302600_NS6detail15normal_iteratorINS9_10device_ptrIxEEEESE_SE_xNS9_4plusIxEE19head_flag_predicatexEE10hipError_tPvRmT2_T3_T4_T5_mT6_T7_P12ihipStream_tbENKUlT_T0_E_clISt17integral_constantIbLb0EESX_IbLb1EEEEDaST_SU_EUlST_E_NS1_11comp_targetILNS1_3genE10ELNS1_11target_archE1200ELNS1_3gpuE4ELNS1_3repE0EEENS1_30default_config_static_selectorELNS0_4arch9wavefront6targetE1EEEvT1_
    .private_segment_fixed_size: 0
    .sgpr_count:     6
    .sgpr_spill_count: 0
    .symbol:         _ZN7rocprim17ROCPRIM_400000_NS6detail17trampoline_kernelINS0_14default_configENS1_27scan_by_key_config_selectorIxxEEZZNS1_16scan_by_key_implILNS1_25lookback_scan_determinismE0ELb1ES3_N6thrust23THRUST_200600_302600_NS6detail15normal_iteratorINS9_10device_ptrIxEEEESE_SE_xNS9_4plusIxEE19head_flag_predicatexEE10hipError_tPvRmT2_T3_T4_T5_mT6_T7_P12ihipStream_tbENKUlT_T0_E_clISt17integral_constantIbLb0EESX_IbLb1EEEEDaST_SU_EUlST_E_NS1_11comp_targetILNS1_3genE10ELNS1_11target_archE1200ELNS1_3gpuE4ELNS1_3repE0EEENS1_30default_config_static_selectorELNS0_4arch9wavefront6targetE1EEEvT1_.kd
    .uniform_work_group_size: 1
    .uses_dynamic_stack: false
    .vgpr_count:     0
    .vgpr_spill_count: 0
    .wavefront_size: 64
  - .agpr_count:     0
    .args:
      - .offset:         0
        .size:           136
        .value_kind:     by_value
    .group_segment_fixed_size: 0
    .kernarg_segment_align: 8
    .kernarg_segment_size: 136
    .language:       OpenCL C
    .language_version:
      - 2
      - 0
    .max_flat_workgroup_size: 256
    .name:           _ZN7rocprim17ROCPRIM_400000_NS6detail17trampoline_kernelINS0_14default_configENS1_27scan_by_key_config_selectorIxxEEZZNS1_16scan_by_key_implILNS1_25lookback_scan_determinismE0ELb1ES3_N6thrust23THRUST_200600_302600_NS6detail15normal_iteratorINS9_10device_ptrIxEEEESE_SE_xNS9_4plusIxEE19head_flag_predicatexEE10hipError_tPvRmT2_T3_T4_T5_mT6_T7_P12ihipStream_tbENKUlT_T0_E_clISt17integral_constantIbLb0EESX_IbLb1EEEEDaST_SU_EUlST_E_NS1_11comp_targetILNS1_3genE9ELNS1_11target_archE1100ELNS1_3gpuE3ELNS1_3repE0EEENS1_30default_config_static_selectorELNS0_4arch9wavefront6targetE1EEEvT1_
    .private_segment_fixed_size: 0
    .sgpr_count:     6
    .sgpr_spill_count: 0
    .symbol:         _ZN7rocprim17ROCPRIM_400000_NS6detail17trampoline_kernelINS0_14default_configENS1_27scan_by_key_config_selectorIxxEEZZNS1_16scan_by_key_implILNS1_25lookback_scan_determinismE0ELb1ES3_N6thrust23THRUST_200600_302600_NS6detail15normal_iteratorINS9_10device_ptrIxEEEESE_SE_xNS9_4plusIxEE19head_flag_predicatexEE10hipError_tPvRmT2_T3_T4_T5_mT6_T7_P12ihipStream_tbENKUlT_T0_E_clISt17integral_constantIbLb0EESX_IbLb1EEEEDaST_SU_EUlST_E_NS1_11comp_targetILNS1_3genE9ELNS1_11target_archE1100ELNS1_3gpuE3ELNS1_3repE0EEENS1_30default_config_static_selectorELNS0_4arch9wavefront6targetE1EEEvT1_.kd
    .uniform_work_group_size: 1
    .uses_dynamic_stack: false
    .vgpr_count:     0
    .vgpr_spill_count: 0
    .wavefront_size: 64
  - .agpr_count:     0
    .args:
      - .offset:         0
        .size:           136
        .value_kind:     by_value
    .group_segment_fixed_size: 0
    .kernarg_segment_align: 8
    .kernarg_segment_size: 136
    .language:       OpenCL C
    .language_version:
      - 2
      - 0
    .max_flat_workgroup_size: 256
    .name:           _ZN7rocprim17ROCPRIM_400000_NS6detail17trampoline_kernelINS0_14default_configENS1_27scan_by_key_config_selectorIxxEEZZNS1_16scan_by_key_implILNS1_25lookback_scan_determinismE0ELb1ES3_N6thrust23THRUST_200600_302600_NS6detail15normal_iteratorINS9_10device_ptrIxEEEESE_SE_xNS9_4plusIxEE19head_flag_predicatexEE10hipError_tPvRmT2_T3_T4_T5_mT6_T7_P12ihipStream_tbENKUlT_T0_E_clISt17integral_constantIbLb0EESX_IbLb1EEEEDaST_SU_EUlST_E_NS1_11comp_targetILNS1_3genE8ELNS1_11target_archE1030ELNS1_3gpuE2ELNS1_3repE0EEENS1_30default_config_static_selectorELNS0_4arch9wavefront6targetE1EEEvT1_
    .private_segment_fixed_size: 0
    .sgpr_count:     6
    .sgpr_spill_count: 0
    .symbol:         _ZN7rocprim17ROCPRIM_400000_NS6detail17trampoline_kernelINS0_14default_configENS1_27scan_by_key_config_selectorIxxEEZZNS1_16scan_by_key_implILNS1_25lookback_scan_determinismE0ELb1ES3_N6thrust23THRUST_200600_302600_NS6detail15normal_iteratorINS9_10device_ptrIxEEEESE_SE_xNS9_4plusIxEE19head_flag_predicatexEE10hipError_tPvRmT2_T3_T4_T5_mT6_T7_P12ihipStream_tbENKUlT_T0_E_clISt17integral_constantIbLb0EESX_IbLb1EEEEDaST_SU_EUlST_E_NS1_11comp_targetILNS1_3genE8ELNS1_11target_archE1030ELNS1_3gpuE2ELNS1_3repE0EEENS1_30default_config_static_selectorELNS0_4arch9wavefront6targetE1EEEvT1_.kd
    .uniform_work_group_size: 1
    .uses_dynamic_stack: false
    .vgpr_count:     0
    .vgpr_spill_count: 0
    .wavefront_size: 64
  - .agpr_count:     0
    .args:
      - .offset:         0
        .size:           112
        .value_kind:     by_value
    .group_segment_fixed_size: 0
    .kernarg_segment_align: 8
    .kernarg_segment_size: 112
    .language:       OpenCL C
    .language_version:
      - 2
      - 0
    .max_flat_workgroup_size: 256
    .name:           _ZN7rocprim17ROCPRIM_400000_NS6detail17trampoline_kernelINS0_14default_configENS1_27scan_by_key_config_selectorIiiEEZZNS1_16scan_by_key_implILNS1_25lookback_scan_determinismE0ELb0ES3_N6thrust23THRUST_200600_302600_NS6detail15normal_iteratorINS9_10device_ptrIiEEEESE_SE_iNS9_4plusIiEE19head_flag_predicateiEE10hipError_tPvRmT2_T3_T4_T5_mT6_T7_P12ihipStream_tbENKUlT_T0_E_clISt17integral_constantIbLb0EESY_EEDaST_SU_EUlST_E_NS1_11comp_targetILNS1_3genE0ELNS1_11target_archE4294967295ELNS1_3gpuE0ELNS1_3repE0EEENS1_30default_config_static_selectorELNS0_4arch9wavefront6targetE1EEEvT1_
    .private_segment_fixed_size: 0
    .sgpr_count:     6
    .sgpr_spill_count: 0
    .symbol:         _ZN7rocprim17ROCPRIM_400000_NS6detail17trampoline_kernelINS0_14default_configENS1_27scan_by_key_config_selectorIiiEEZZNS1_16scan_by_key_implILNS1_25lookback_scan_determinismE0ELb0ES3_N6thrust23THRUST_200600_302600_NS6detail15normal_iteratorINS9_10device_ptrIiEEEESE_SE_iNS9_4plusIiEE19head_flag_predicateiEE10hipError_tPvRmT2_T3_T4_T5_mT6_T7_P12ihipStream_tbENKUlT_T0_E_clISt17integral_constantIbLb0EESY_EEDaST_SU_EUlST_E_NS1_11comp_targetILNS1_3genE0ELNS1_11target_archE4294967295ELNS1_3gpuE0ELNS1_3repE0EEENS1_30default_config_static_selectorELNS0_4arch9wavefront6targetE1EEEvT1_.kd
    .uniform_work_group_size: 1
    .uses_dynamic_stack: false
    .vgpr_count:     0
    .vgpr_spill_count: 0
    .wavefront_size: 64
  - .agpr_count:     0
    .args:
      - .offset:         0
        .size:           112
        .value_kind:     by_value
    .group_segment_fixed_size: 0
    .kernarg_segment_align: 8
    .kernarg_segment_size: 112
    .language:       OpenCL C
    .language_version:
      - 2
      - 0
    .max_flat_workgroup_size: 256
    .name:           _ZN7rocprim17ROCPRIM_400000_NS6detail17trampoline_kernelINS0_14default_configENS1_27scan_by_key_config_selectorIiiEEZZNS1_16scan_by_key_implILNS1_25lookback_scan_determinismE0ELb0ES3_N6thrust23THRUST_200600_302600_NS6detail15normal_iteratorINS9_10device_ptrIiEEEESE_SE_iNS9_4plusIiEE19head_flag_predicateiEE10hipError_tPvRmT2_T3_T4_T5_mT6_T7_P12ihipStream_tbENKUlT_T0_E_clISt17integral_constantIbLb0EESY_EEDaST_SU_EUlST_E_NS1_11comp_targetILNS1_3genE10ELNS1_11target_archE1201ELNS1_3gpuE5ELNS1_3repE0EEENS1_30default_config_static_selectorELNS0_4arch9wavefront6targetE1EEEvT1_
    .private_segment_fixed_size: 0
    .sgpr_count:     6
    .sgpr_spill_count: 0
    .symbol:         _ZN7rocprim17ROCPRIM_400000_NS6detail17trampoline_kernelINS0_14default_configENS1_27scan_by_key_config_selectorIiiEEZZNS1_16scan_by_key_implILNS1_25lookback_scan_determinismE0ELb0ES3_N6thrust23THRUST_200600_302600_NS6detail15normal_iteratorINS9_10device_ptrIiEEEESE_SE_iNS9_4plusIiEE19head_flag_predicateiEE10hipError_tPvRmT2_T3_T4_T5_mT6_T7_P12ihipStream_tbENKUlT_T0_E_clISt17integral_constantIbLb0EESY_EEDaST_SU_EUlST_E_NS1_11comp_targetILNS1_3genE10ELNS1_11target_archE1201ELNS1_3gpuE5ELNS1_3repE0EEENS1_30default_config_static_selectorELNS0_4arch9wavefront6targetE1EEEvT1_.kd
    .uniform_work_group_size: 1
    .uses_dynamic_stack: false
    .vgpr_count:     0
    .vgpr_spill_count: 0
    .wavefront_size: 64
  - .agpr_count:     0
    .args:
      - .offset:         0
        .size:           112
        .value_kind:     by_value
    .group_segment_fixed_size: 25600
    .kernarg_segment_align: 8
    .kernarg_segment_size: 112
    .language:       OpenCL C
    .language_version:
      - 2
      - 0
    .max_flat_workgroup_size: 256
    .name:           _ZN7rocprim17ROCPRIM_400000_NS6detail17trampoline_kernelINS0_14default_configENS1_27scan_by_key_config_selectorIiiEEZZNS1_16scan_by_key_implILNS1_25lookback_scan_determinismE0ELb0ES3_N6thrust23THRUST_200600_302600_NS6detail15normal_iteratorINS9_10device_ptrIiEEEESE_SE_iNS9_4plusIiEE19head_flag_predicateiEE10hipError_tPvRmT2_T3_T4_T5_mT6_T7_P12ihipStream_tbENKUlT_T0_E_clISt17integral_constantIbLb0EESY_EEDaST_SU_EUlST_E_NS1_11comp_targetILNS1_3genE5ELNS1_11target_archE942ELNS1_3gpuE9ELNS1_3repE0EEENS1_30default_config_static_selectorELNS0_4arch9wavefront6targetE1EEEvT1_
    .private_segment_fixed_size: 0
    .sgpr_count:     86
    .sgpr_spill_count: 0
    .symbol:         _ZN7rocprim17ROCPRIM_400000_NS6detail17trampoline_kernelINS0_14default_configENS1_27scan_by_key_config_selectorIiiEEZZNS1_16scan_by_key_implILNS1_25lookback_scan_determinismE0ELb0ES3_N6thrust23THRUST_200600_302600_NS6detail15normal_iteratorINS9_10device_ptrIiEEEESE_SE_iNS9_4plusIiEE19head_flag_predicateiEE10hipError_tPvRmT2_T3_T4_T5_mT6_T7_P12ihipStream_tbENKUlT_T0_E_clISt17integral_constantIbLb0EESY_EEDaST_SU_EUlST_E_NS1_11comp_targetILNS1_3genE5ELNS1_11target_archE942ELNS1_3gpuE9ELNS1_3repE0EEENS1_30default_config_static_selectorELNS0_4arch9wavefront6targetE1EEEvT1_.kd
    .uniform_work_group_size: 1
    .uses_dynamic_stack: false
    .vgpr_count:     81
    .vgpr_spill_count: 0
    .wavefront_size: 64
  - .agpr_count:     0
    .args:
      - .offset:         0
        .size:           112
        .value_kind:     by_value
    .group_segment_fixed_size: 0
    .kernarg_segment_align: 8
    .kernarg_segment_size: 112
    .language:       OpenCL C
    .language_version:
      - 2
      - 0
    .max_flat_workgroup_size: 256
    .name:           _ZN7rocprim17ROCPRIM_400000_NS6detail17trampoline_kernelINS0_14default_configENS1_27scan_by_key_config_selectorIiiEEZZNS1_16scan_by_key_implILNS1_25lookback_scan_determinismE0ELb0ES3_N6thrust23THRUST_200600_302600_NS6detail15normal_iteratorINS9_10device_ptrIiEEEESE_SE_iNS9_4plusIiEE19head_flag_predicateiEE10hipError_tPvRmT2_T3_T4_T5_mT6_T7_P12ihipStream_tbENKUlT_T0_E_clISt17integral_constantIbLb0EESY_EEDaST_SU_EUlST_E_NS1_11comp_targetILNS1_3genE4ELNS1_11target_archE910ELNS1_3gpuE8ELNS1_3repE0EEENS1_30default_config_static_selectorELNS0_4arch9wavefront6targetE1EEEvT1_
    .private_segment_fixed_size: 0
    .sgpr_count:     6
    .sgpr_spill_count: 0
    .symbol:         _ZN7rocprim17ROCPRIM_400000_NS6detail17trampoline_kernelINS0_14default_configENS1_27scan_by_key_config_selectorIiiEEZZNS1_16scan_by_key_implILNS1_25lookback_scan_determinismE0ELb0ES3_N6thrust23THRUST_200600_302600_NS6detail15normal_iteratorINS9_10device_ptrIiEEEESE_SE_iNS9_4plusIiEE19head_flag_predicateiEE10hipError_tPvRmT2_T3_T4_T5_mT6_T7_P12ihipStream_tbENKUlT_T0_E_clISt17integral_constantIbLb0EESY_EEDaST_SU_EUlST_E_NS1_11comp_targetILNS1_3genE4ELNS1_11target_archE910ELNS1_3gpuE8ELNS1_3repE0EEENS1_30default_config_static_selectorELNS0_4arch9wavefront6targetE1EEEvT1_.kd
    .uniform_work_group_size: 1
    .uses_dynamic_stack: false
    .vgpr_count:     0
    .vgpr_spill_count: 0
    .wavefront_size: 64
  - .agpr_count:     0
    .args:
      - .offset:         0
        .size:           112
        .value_kind:     by_value
    .group_segment_fixed_size: 0
    .kernarg_segment_align: 8
    .kernarg_segment_size: 112
    .language:       OpenCL C
    .language_version:
      - 2
      - 0
    .max_flat_workgroup_size: 256
    .name:           _ZN7rocprim17ROCPRIM_400000_NS6detail17trampoline_kernelINS0_14default_configENS1_27scan_by_key_config_selectorIiiEEZZNS1_16scan_by_key_implILNS1_25lookback_scan_determinismE0ELb0ES3_N6thrust23THRUST_200600_302600_NS6detail15normal_iteratorINS9_10device_ptrIiEEEESE_SE_iNS9_4plusIiEE19head_flag_predicateiEE10hipError_tPvRmT2_T3_T4_T5_mT6_T7_P12ihipStream_tbENKUlT_T0_E_clISt17integral_constantIbLb0EESY_EEDaST_SU_EUlST_E_NS1_11comp_targetILNS1_3genE3ELNS1_11target_archE908ELNS1_3gpuE7ELNS1_3repE0EEENS1_30default_config_static_selectorELNS0_4arch9wavefront6targetE1EEEvT1_
    .private_segment_fixed_size: 0
    .sgpr_count:     6
    .sgpr_spill_count: 0
    .symbol:         _ZN7rocprim17ROCPRIM_400000_NS6detail17trampoline_kernelINS0_14default_configENS1_27scan_by_key_config_selectorIiiEEZZNS1_16scan_by_key_implILNS1_25lookback_scan_determinismE0ELb0ES3_N6thrust23THRUST_200600_302600_NS6detail15normal_iteratorINS9_10device_ptrIiEEEESE_SE_iNS9_4plusIiEE19head_flag_predicateiEE10hipError_tPvRmT2_T3_T4_T5_mT6_T7_P12ihipStream_tbENKUlT_T0_E_clISt17integral_constantIbLb0EESY_EEDaST_SU_EUlST_E_NS1_11comp_targetILNS1_3genE3ELNS1_11target_archE908ELNS1_3gpuE7ELNS1_3repE0EEENS1_30default_config_static_selectorELNS0_4arch9wavefront6targetE1EEEvT1_.kd
    .uniform_work_group_size: 1
    .uses_dynamic_stack: false
    .vgpr_count:     0
    .vgpr_spill_count: 0
    .wavefront_size: 64
  - .agpr_count:     0
    .args:
      - .offset:         0
        .size:           112
        .value_kind:     by_value
    .group_segment_fixed_size: 0
    .kernarg_segment_align: 8
    .kernarg_segment_size: 112
    .language:       OpenCL C
    .language_version:
      - 2
      - 0
    .max_flat_workgroup_size: 256
    .name:           _ZN7rocprim17ROCPRIM_400000_NS6detail17trampoline_kernelINS0_14default_configENS1_27scan_by_key_config_selectorIiiEEZZNS1_16scan_by_key_implILNS1_25lookback_scan_determinismE0ELb0ES3_N6thrust23THRUST_200600_302600_NS6detail15normal_iteratorINS9_10device_ptrIiEEEESE_SE_iNS9_4plusIiEE19head_flag_predicateiEE10hipError_tPvRmT2_T3_T4_T5_mT6_T7_P12ihipStream_tbENKUlT_T0_E_clISt17integral_constantIbLb0EESY_EEDaST_SU_EUlST_E_NS1_11comp_targetILNS1_3genE2ELNS1_11target_archE906ELNS1_3gpuE6ELNS1_3repE0EEENS1_30default_config_static_selectorELNS0_4arch9wavefront6targetE1EEEvT1_
    .private_segment_fixed_size: 0
    .sgpr_count:     6
    .sgpr_spill_count: 0
    .symbol:         _ZN7rocprim17ROCPRIM_400000_NS6detail17trampoline_kernelINS0_14default_configENS1_27scan_by_key_config_selectorIiiEEZZNS1_16scan_by_key_implILNS1_25lookback_scan_determinismE0ELb0ES3_N6thrust23THRUST_200600_302600_NS6detail15normal_iteratorINS9_10device_ptrIiEEEESE_SE_iNS9_4plusIiEE19head_flag_predicateiEE10hipError_tPvRmT2_T3_T4_T5_mT6_T7_P12ihipStream_tbENKUlT_T0_E_clISt17integral_constantIbLb0EESY_EEDaST_SU_EUlST_E_NS1_11comp_targetILNS1_3genE2ELNS1_11target_archE906ELNS1_3gpuE6ELNS1_3repE0EEENS1_30default_config_static_selectorELNS0_4arch9wavefront6targetE1EEEvT1_.kd
    .uniform_work_group_size: 1
    .uses_dynamic_stack: false
    .vgpr_count:     0
    .vgpr_spill_count: 0
    .wavefront_size: 64
  - .agpr_count:     0
    .args:
      - .offset:         0
        .size:           112
        .value_kind:     by_value
    .group_segment_fixed_size: 0
    .kernarg_segment_align: 8
    .kernarg_segment_size: 112
    .language:       OpenCL C
    .language_version:
      - 2
      - 0
    .max_flat_workgroup_size: 256
    .name:           _ZN7rocprim17ROCPRIM_400000_NS6detail17trampoline_kernelINS0_14default_configENS1_27scan_by_key_config_selectorIiiEEZZNS1_16scan_by_key_implILNS1_25lookback_scan_determinismE0ELb0ES3_N6thrust23THRUST_200600_302600_NS6detail15normal_iteratorINS9_10device_ptrIiEEEESE_SE_iNS9_4plusIiEE19head_flag_predicateiEE10hipError_tPvRmT2_T3_T4_T5_mT6_T7_P12ihipStream_tbENKUlT_T0_E_clISt17integral_constantIbLb0EESY_EEDaST_SU_EUlST_E_NS1_11comp_targetILNS1_3genE10ELNS1_11target_archE1200ELNS1_3gpuE4ELNS1_3repE0EEENS1_30default_config_static_selectorELNS0_4arch9wavefront6targetE1EEEvT1_
    .private_segment_fixed_size: 0
    .sgpr_count:     6
    .sgpr_spill_count: 0
    .symbol:         _ZN7rocprim17ROCPRIM_400000_NS6detail17trampoline_kernelINS0_14default_configENS1_27scan_by_key_config_selectorIiiEEZZNS1_16scan_by_key_implILNS1_25lookback_scan_determinismE0ELb0ES3_N6thrust23THRUST_200600_302600_NS6detail15normal_iteratorINS9_10device_ptrIiEEEESE_SE_iNS9_4plusIiEE19head_flag_predicateiEE10hipError_tPvRmT2_T3_T4_T5_mT6_T7_P12ihipStream_tbENKUlT_T0_E_clISt17integral_constantIbLb0EESY_EEDaST_SU_EUlST_E_NS1_11comp_targetILNS1_3genE10ELNS1_11target_archE1200ELNS1_3gpuE4ELNS1_3repE0EEENS1_30default_config_static_selectorELNS0_4arch9wavefront6targetE1EEEvT1_.kd
    .uniform_work_group_size: 1
    .uses_dynamic_stack: false
    .vgpr_count:     0
    .vgpr_spill_count: 0
    .wavefront_size: 64
  - .agpr_count:     0
    .args:
      - .offset:         0
        .size:           112
        .value_kind:     by_value
    .group_segment_fixed_size: 0
    .kernarg_segment_align: 8
    .kernarg_segment_size: 112
    .language:       OpenCL C
    .language_version:
      - 2
      - 0
    .max_flat_workgroup_size: 256
    .name:           _ZN7rocprim17ROCPRIM_400000_NS6detail17trampoline_kernelINS0_14default_configENS1_27scan_by_key_config_selectorIiiEEZZNS1_16scan_by_key_implILNS1_25lookback_scan_determinismE0ELb0ES3_N6thrust23THRUST_200600_302600_NS6detail15normal_iteratorINS9_10device_ptrIiEEEESE_SE_iNS9_4plusIiEE19head_flag_predicateiEE10hipError_tPvRmT2_T3_T4_T5_mT6_T7_P12ihipStream_tbENKUlT_T0_E_clISt17integral_constantIbLb0EESY_EEDaST_SU_EUlST_E_NS1_11comp_targetILNS1_3genE9ELNS1_11target_archE1100ELNS1_3gpuE3ELNS1_3repE0EEENS1_30default_config_static_selectorELNS0_4arch9wavefront6targetE1EEEvT1_
    .private_segment_fixed_size: 0
    .sgpr_count:     6
    .sgpr_spill_count: 0
    .symbol:         _ZN7rocprim17ROCPRIM_400000_NS6detail17trampoline_kernelINS0_14default_configENS1_27scan_by_key_config_selectorIiiEEZZNS1_16scan_by_key_implILNS1_25lookback_scan_determinismE0ELb0ES3_N6thrust23THRUST_200600_302600_NS6detail15normal_iteratorINS9_10device_ptrIiEEEESE_SE_iNS9_4plusIiEE19head_flag_predicateiEE10hipError_tPvRmT2_T3_T4_T5_mT6_T7_P12ihipStream_tbENKUlT_T0_E_clISt17integral_constantIbLb0EESY_EEDaST_SU_EUlST_E_NS1_11comp_targetILNS1_3genE9ELNS1_11target_archE1100ELNS1_3gpuE3ELNS1_3repE0EEENS1_30default_config_static_selectorELNS0_4arch9wavefront6targetE1EEEvT1_.kd
    .uniform_work_group_size: 1
    .uses_dynamic_stack: false
    .vgpr_count:     0
    .vgpr_spill_count: 0
    .wavefront_size: 64
  - .agpr_count:     0
    .args:
      - .offset:         0
        .size:           112
        .value_kind:     by_value
    .group_segment_fixed_size: 0
    .kernarg_segment_align: 8
    .kernarg_segment_size: 112
    .language:       OpenCL C
    .language_version:
      - 2
      - 0
    .max_flat_workgroup_size: 256
    .name:           _ZN7rocprim17ROCPRIM_400000_NS6detail17trampoline_kernelINS0_14default_configENS1_27scan_by_key_config_selectorIiiEEZZNS1_16scan_by_key_implILNS1_25lookback_scan_determinismE0ELb0ES3_N6thrust23THRUST_200600_302600_NS6detail15normal_iteratorINS9_10device_ptrIiEEEESE_SE_iNS9_4plusIiEE19head_flag_predicateiEE10hipError_tPvRmT2_T3_T4_T5_mT6_T7_P12ihipStream_tbENKUlT_T0_E_clISt17integral_constantIbLb0EESY_EEDaST_SU_EUlST_E_NS1_11comp_targetILNS1_3genE8ELNS1_11target_archE1030ELNS1_3gpuE2ELNS1_3repE0EEENS1_30default_config_static_selectorELNS0_4arch9wavefront6targetE1EEEvT1_
    .private_segment_fixed_size: 0
    .sgpr_count:     6
    .sgpr_spill_count: 0
    .symbol:         _ZN7rocprim17ROCPRIM_400000_NS6detail17trampoline_kernelINS0_14default_configENS1_27scan_by_key_config_selectorIiiEEZZNS1_16scan_by_key_implILNS1_25lookback_scan_determinismE0ELb0ES3_N6thrust23THRUST_200600_302600_NS6detail15normal_iteratorINS9_10device_ptrIiEEEESE_SE_iNS9_4plusIiEE19head_flag_predicateiEE10hipError_tPvRmT2_T3_T4_T5_mT6_T7_P12ihipStream_tbENKUlT_T0_E_clISt17integral_constantIbLb0EESY_EEDaST_SU_EUlST_E_NS1_11comp_targetILNS1_3genE8ELNS1_11target_archE1030ELNS1_3gpuE2ELNS1_3repE0EEENS1_30default_config_static_selectorELNS0_4arch9wavefront6targetE1EEEvT1_.kd
    .uniform_work_group_size: 1
    .uses_dynamic_stack: false
    .vgpr_count:     0
    .vgpr_spill_count: 0
    .wavefront_size: 64
  - .agpr_count:     0
    .args:
      - .offset:         0
        .size:           112
        .value_kind:     by_value
    .group_segment_fixed_size: 0
    .kernarg_segment_align: 8
    .kernarg_segment_size: 112
    .language:       OpenCL C
    .language_version:
      - 2
      - 0
    .max_flat_workgroup_size: 256
    .name:           _ZN7rocprim17ROCPRIM_400000_NS6detail17trampoline_kernelINS0_14default_configENS1_27scan_by_key_config_selectorIiiEEZZNS1_16scan_by_key_implILNS1_25lookback_scan_determinismE0ELb0ES3_N6thrust23THRUST_200600_302600_NS6detail15normal_iteratorINS9_10device_ptrIiEEEESE_SE_iNS9_4plusIiEE19head_flag_predicateiEE10hipError_tPvRmT2_T3_T4_T5_mT6_T7_P12ihipStream_tbENKUlT_T0_E_clISt17integral_constantIbLb1EESY_EEDaST_SU_EUlST_E_NS1_11comp_targetILNS1_3genE0ELNS1_11target_archE4294967295ELNS1_3gpuE0ELNS1_3repE0EEENS1_30default_config_static_selectorELNS0_4arch9wavefront6targetE1EEEvT1_
    .private_segment_fixed_size: 0
    .sgpr_count:     6
    .sgpr_spill_count: 0
    .symbol:         _ZN7rocprim17ROCPRIM_400000_NS6detail17trampoline_kernelINS0_14default_configENS1_27scan_by_key_config_selectorIiiEEZZNS1_16scan_by_key_implILNS1_25lookback_scan_determinismE0ELb0ES3_N6thrust23THRUST_200600_302600_NS6detail15normal_iteratorINS9_10device_ptrIiEEEESE_SE_iNS9_4plusIiEE19head_flag_predicateiEE10hipError_tPvRmT2_T3_T4_T5_mT6_T7_P12ihipStream_tbENKUlT_T0_E_clISt17integral_constantIbLb1EESY_EEDaST_SU_EUlST_E_NS1_11comp_targetILNS1_3genE0ELNS1_11target_archE4294967295ELNS1_3gpuE0ELNS1_3repE0EEENS1_30default_config_static_selectorELNS0_4arch9wavefront6targetE1EEEvT1_.kd
    .uniform_work_group_size: 1
    .uses_dynamic_stack: false
    .vgpr_count:     0
    .vgpr_spill_count: 0
    .wavefront_size: 64
  - .agpr_count:     0
    .args:
      - .offset:         0
        .size:           112
        .value_kind:     by_value
    .group_segment_fixed_size: 0
    .kernarg_segment_align: 8
    .kernarg_segment_size: 112
    .language:       OpenCL C
    .language_version:
      - 2
      - 0
    .max_flat_workgroup_size: 256
    .name:           _ZN7rocprim17ROCPRIM_400000_NS6detail17trampoline_kernelINS0_14default_configENS1_27scan_by_key_config_selectorIiiEEZZNS1_16scan_by_key_implILNS1_25lookback_scan_determinismE0ELb0ES3_N6thrust23THRUST_200600_302600_NS6detail15normal_iteratorINS9_10device_ptrIiEEEESE_SE_iNS9_4plusIiEE19head_flag_predicateiEE10hipError_tPvRmT2_T3_T4_T5_mT6_T7_P12ihipStream_tbENKUlT_T0_E_clISt17integral_constantIbLb1EESY_EEDaST_SU_EUlST_E_NS1_11comp_targetILNS1_3genE10ELNS1_11target_archE1201ELNS1_3gpuE5ELNS1_3repE0EEENS1_30default_config_static_selectorELNS0_4arch9wavefront6targetE1EEEvT1_
    .private_segment_fixed_size: 0
    .sgpr_count:     6
    .sgpr_spill_count: 0
    .symbol:         _ZN7rocprim17ROCPRIM_400000_NS6detail17trampoline_kernelINS0_14default_configENS1_27scan_by_key_config_selectorIiiEEZZNS1_16scan_by_key_implILNS1_25lookback_scan_determinismE0ELb0ES3_N6thrust23THRUST_200600_302600_NS6detail15normal_iteratorINS9_10device_ptrIiEEEESE_SE_iNS9_4plusIiEE19head_flag_predicateiEE10hipError_tPvRmT2_T3_T4_T5_mT6_T7_P12ihipStream_tbENKUlT_T0_E_clISt17integral_constantIbLb1EESY_EEDaST_SU_EUlST_E_NS1_11comp_targetILNS1_3genE10ELNS1_11target_archE1201ELNS1_3gpuE5ELNS1_3repE0EEENS1_30default_config_static_selectorELNS0_4arch9wavefront6targetE1EEEvT1_.kd
    .uniform_work_group_size: 1
    .uses_dynamic_stack: false
    .vgpr_count:     0
    .vgpr_spill_count: 0
    .wavefront_size: 64
  - .agpr_count:     0
    .args:
      - .offset:         0
        .size:           112
        .value_kind:     by_value
    .group_segment_fixed_size: 25600
    .kernarg_segment_align: 8
    .kernarg_segment_size: 112
    .language:       OpenCL C
    .language_version:
      - 2
      - 0
    .max_flat_workgroup_size: 256
    .name:           _ZN7rocprim17ROCPRIM_400000_NS6detail17trampoline_kernelINS0_14default_configENS1_27scan_by_key_config_selectorIiiEEZZNS1_16scan_by_key_implILNS1_25lookback_scan_determinismE0ELb0ES3_N6thrust23THRUST_200600_302600_NS6detail15normal_iteratorINS9_10device_ptrIiEEEESE_SE_iNS9_4plusIiEE19head_flag_predicateiEE10hipError_tPvRmT2_T3_T4_T5_mT6_T7_P12ihipStream_tbENKUlT_T0_E_clISt17integral_constantIbLb1EESY_EEDaST_SU_EUlST_E_NS1_11comp_targetILNS1_3genE5ELNS1_11target_archE942ELNS1_3gpuE9ELNS1_3repE0EEENS1_30default_config_static_selectorELNS0_4arch9wavefront6targetE1EEEvT1_
    .private_segment_fixed_size: 0
    .sgpr_count:     88
    .sgpr_spill_count: 0
    .symbol:         _ZN7rocprim17ROCPRIM_400000_NS6detail17trampoline_kernelINS0_14default_configENS1_27scan_by_key_config_selectorIiiEEZZNS1_16scan_by_key_implILNS1_25lookback_scan_determinismE0ELb0ES3_N6thrust23THRUST_200600_302600_NS6detail15normal_iteratorINS9_10device_ptrIiEEEESE_SE_iNS9_4plusIiEE19head_flag_predicateiEE10hipError_tPvRmT2_T3_T4_T5_mT6_T7_P12ihipStream_tbENKUlT_T0_E_clISt17integral_constantIbLb1EESY_EEDaST_SU_EUlST_E_NS1_11comp_targetILNS1_3genE5ELNS1_11target_archE942ELNS1_3gpuE9ELNS1_3repE0EEENS1_30default_config_static_selectorELNS0_4arch9wavefront6targetE1EEEvT1_.kd
    .uniform_work_group_size: 1
    .uses_dynamic_stack: false
    .vgpr_count:     81
    .vgpr_spill_count: 0
    .wavefront_size: 64
  - .agpr_count:     0
    .args:
      - .offset:         0
        .size:           112
        .value_kind:     by_value
    .group_segment_fixed_size: 0
    .kernarg_segment_align: 8
    .kernarg_segment_size: 112
    .language:       OpenCL C
    .language_version:
      - 2
      - 0
    .max_flat_workgroup_size: 256
    .name:           _ZN7rocprim17ROCPRIM_400000_NS6detail17trampoline_kernelINS0_14default_configENS1_27scan_by_key_config_selectorIiiEEZZNS1_16scan_by_key_implILNS1_25lookback_scan_determinismE0ELb0ES3_N6thrust23THRUST_200600_302600_NS6detail15normal_iteratorINS9_10device_ptrIiEEEESE_SE_iNS9_4plusIiEE19head_flag_predicateiEE10hipError_tPvRmT2_T3_T4_T5_mT6_T7_P12ihipStream_tbENKUlT_T0_E_clISt17integral_constantIbLb1EESY_EEDaST_SU_EUlST_E_NS1_11comp_targetILNS1_3genE4ELNS1_11target_archE910ELNS1_3gpuE8ELNS1_3repE0EEENS1_30default_config_static_selectorELNS0_4arch9wavefront6targetE1EEEvT1_
    .private_segment_fixed_size: 0
    .sgpr_count:     6
    .sgpr_spill_count: 0
    .symbol:         _ZN7rocprim17ROCPRIM_400000_NS6detail17trampoline_kernelINS0_14default_configENS1_27scan_by_key_config_selectorIiiEEZZNS1_16scan_by_key_implILNS1_25lookback_scan_determinismE0ELb0ES3_N6thrust23THRUST_200600_302600_NS6detail15normal_iteratorINS9_10device_ptrIiEEEESE_SE_iNS9_4plusIiEE19head_flag_predicateiEE10hipError_tPvRmT2_T3_T4_T5_mT6_T7_P12ihipStream_tbENKUlT_T0_E_clISt17integral_constantIbLb1EESY_EEDaST_SU_EUlST_E_NS1_11comp_targetILNS1_3genE4ELNS1_11target_archE910ELNS1_3gpuE8ELNS1_3repE0EEENS1_30default_config_static_selectorELNS0_4arch9wavefront6targetE1EEEvT1_.kd
    .uniform_work_group_size: 1
    .uses_dynamic_stack: false
    .vgpr_count:     0
    .vgpr_spill_count: 0
    .wavefront_size: 64
  - .agpr_count:     0
    .args:
      - .offset:         0
        .size:           112
        .value_kind:     by_value
    .group_segment_fixed_size: 0
    .kernarg_segment_align: 8
    .kernarg_segment_size: 112
    .language:       OpenCL C
    .language_version:
      - 2
      - 0
    .max_flat_workgroup_size: 256
    .name:           _ZN7rocprim17ROCPRIM_400000_NS6detail17trampoline_kernelINS0_14default_configENS1_27scan_by_key_config_selectorIiiEEZZNS1_16scan_by_key_implILNS1_25lookback_scan_determinismE0ELb0ES3_N6thrust23THRUST_200600_302600_NS6detail15normal_iteratorINS9_10device_ptrIiEEEESE_SE_iNS9_4plusIiEE19head_flag_predicateiEE10hipError_tPvRmT2_T3_T4_T5_mT6_T7_P12ihipStream_tbENKUlT_T0_E_clISt17integral_constantIbLb1EESY_EEDaST_SU_EUlST_E_NS1_11comp_targetILNS1_3genE3ELNS1_11target_archE908ELNS1_3gpuE7ELNS1_3repE0EEENS1_30default_config_static_selectorELNS0_4arch9wavefront6targetE1EEEvT1_
    .private_segment_fixed_size: 0
    .sgpr_count:     6
    .sgpr_spill_count: 0
    .symbol:         _ZN7rocprim17ROCPRIM_400000_NS6detail17trampoline_kernelINS0_14default_configENS1_27scan_by_key_config_selectorIiiEEZZNS1_16scan_by_key_implILNS1_25lookback_scan_determinismE0ELb0ES3_N6thrust23THRUST_200600_302600_NS6detail15normal_iteratorINS9_10device_ptrIiEEEESE_SE_iNS9_4plusIiEE19head_flag_predicateiEE10hipError_tPvRmT2_T3_T4_T5_mT6_T7_P12ihipStream_tbENKUlT_T0_E_clISt17integral_constantIbLb1EESY_EEDaST_SU_EUlST_E_NS1_11comp_targetILNS1_3genE3ELNS1_11target_archE908ELNS1_3gpuE7ELNS1_3repE0EEENS1_30default_config_static_selectorELNS0_4arch9wavefront6targetE1EEEvT1_.kd
    .uniform_work_group_size: 1
    .uses_dynamic_stack: false
    .vgpr_count:     0
    .vgpr_spill_count: 0
    .wavefront_size: 64
  - .agpr_count:     0
    .args:
      - .offset:         0
        .size:           112
        .value_kind:     by_value
    .group_segment_fixed_size: 0
    .kernarg_segment_align: 8
    .kernarg_segment_size: 112
    .language:       OpenCL C
    .language_version:
      - 2
      - 0
    .max_flat_workgroup_size: 256
    .name:           _ZN7rocprim17ROCPRIM_400000_NS6detail17trampoline_kernelINS0_14default_configENS1_27scan_by_key_config_selectorIiiEEZZNS1_16scan_by_key_implILNS1_25lookback_scan_determinismE0ELb0ES3_N6thrust23THRUST_200600_302600_NS6detail15normal_iteratorINS9_10device_ptrIiEEEESE_SE_iNS9_4plusIiEE19head_flag_predicateiEE10hipError_tPvRmT2_T3_T4_T5_mT6_T7_P12ihipStream_tbENKUlT_T0_E_clISt17integral_constantIbLb1EESY_EEDaST_SU_EUlST_E_NS1_11comp_targetILNS1_3genE2ELNS1_11target_archE906ELNS1_3gpuE6ELNS1_3repE0EEENS1_30default_config_static_selectorELNS0_4arch9wavefront6targetE1EEEvT1_
    .private_segment_fixed_size: 0
    .sgpr_count:     6
    .sgpr_spill_count: 0
    .symbol:         _ZN7rocprim17ROCPRIM_400000_NS6detail17trampoline_kernelINS0_14default_configENS1_27scan_by_key_config_selectorIiiEEZZNS1_16scan_by_key_implILNS1_25lookback_scan_determinismE0ELb0ES3_N6thrust23THRUST_200600_302600_NS6detail15normal_iteratorINS9_10device_ptrIiEEEESE_SE_iNS9_4plusIiEE19head_flag_predicateiEE10hipError_tPvRmT2_T3_T4_T5_mT6_T7_P12ihipStream_tbENKUlT_T0_E_clISt17integral_constantIbLb1EESY_EEDaST_SU_EUlST_E_NS1_11comp_targetILNS1_3genE2ELNS1_11target_archE906ELNS1_3gpuE6ELNS1_3repE0EEENS1_30default_config_static_selectorELNS0_4arch9wavefront6targetE1EEEvT1_.kd
    .uniform_work_group_size: 1
    .uses_dynamic_stack: false
    .vgpr_count:     0
    .vgpr_spill_count: 0
    .wavefront_size: 64
  - .agpr_count:     0
    .args:
      - .offset:         0
        .size:           112
        .value_kind:     by_value
    .group_segment_fixed_size: 0
    .kernarg_segment_align: 8
    .kernarg_segment_size: 112
    .language:       OpenCL C
    .language_version:
      - 2
      - 0
    .max_flat_workgroup_size: 256
    .name:           _ZN7rocprim17ROCPRIM_400000_NS6detail17trampoline_kernelINS0_14default_configENS1_27scan_by_key_config_selectorIiiEEZZNS1_16scan_by_key_implILNS1_25lookback_scan_determinismE0ELb0ES3_N6thrust23THRUST_200600_302600_NS6detail15normal_iteratorINS9_10device_ptrIiEEEESE_SE_iNS9_4plusIiEE19head_flag_predicateiEE10hipError_tPvRmT2_T3_T4_T5_mT6_T7_P12ihipStream_tbENKUlT_T0_E_clISt17integral_constantIbLb1EESY_EEDaST_SU_EUlST_E_NS1_11comp_targetILNS1_3genE10ELNS1_11target_archE1200ELNS1_3gpuE4ELNS1_3repE0EEENS1_30default_config_static_selectorELNS0_4arch9wavefront6targetE1EEEvT1_
    .private_segment_fixed_size: 0
    .sgpr_count:     6
    .sgpr_spill_count: 0
    .symbol:         _ZN7rocprim17ROCPRIM_400000_NS6detail17trampoline_kernelINS0_14default_configENS1_27scan_by_key_config_selectorIiiEEZZNS1_16scan_by_key_implILNS1_25lookback_scan_determinismE0ELb0ES3_N6thrust23THRUST_200600_302600_NS6detail15normal_iteratorINS9_10device_ptrIiEEEESE_SE_iNS9_4plusIiEE19head_flag_predicateiEE10hipError_tPvRmT2_T3_T4_T5_mT6_T7_P12ihipStream_tbENKUlT_T0_E_clISt17integral_constantIbLb1EESY_EEDaST_SU_EUlST_E_NS1_11comp_targetILNS1_3genE10ELNS1_11target_archE1200ELNS1_3gpuE4ELNS1_3repE0EEENS1_30default_config_static_selectorELNS0_4arch9wavefront6targetE1EEEvT1_.kd
    .uniform_work_group_size: 1
    .uses_dynamic_stack: false
    .vgpr_count:     0
    .vgpr_spill_count: 0
    .wavefront_size: 64
  - .agpr_count:     0
    .args:
      - .offset:         0
        .size:           112
        .value_kind:     by_value
    .group_segment_fixed_size: 0
    .kernarg_segment_align: 8
    .kernarg_segment_size: 112
    .language:       OpenCL C
    .language_version:
      - 2
      - 0
    .max_flat_workgroup_size: 256
    .name:           _ZN7rocprim17ROCPRIM_400000_NS6detail17trampoline_kernelINS0_14default_configENS1_27scan_by_key_config_selectorIiiEEZZNS1_16scan_by_key_implILNS1_25lookback_scan_determinismE0ELb0ES3_N6thrust23THRUST_200600_302600_NS6detail15normal_iteratorINS9_10device_ptrIiEEEESE_SE_iNS9_4plusIiEE19head_flag_predicateiEE10hipError_tPvRmT2_T3_T4_T5_mT6_T7_P12ihipStream_tbENKUlT_T0_E_clISt17integral_constantIbLb1EESY_EEDaST_SU_EUlST_E_NS1_11comp_targetILNS1_3genE9ELNS1_11target_archE1100ELNS1_3gpuE3ELNS1_3repE0EEENS1_30default_config_static_selectorELNS0_4arch9wavefront6targetE1EEEvT1_
    .private_segment_fixed_size: 0
    .sgpr_count:     6
    .sgpr_spill_count: 0
    .symbol:         _ZN7rocprim17ROCPRIM_400000_NS6detail17trampoline_kernelINS0_14default_configENS1_27scan_by_key_config_selectorIiiEEZZNS1_16scan_by_key_implILNS1_25lookback_scan_determinismE0ELb0ES3_N6thrust23THRUST_200600_302600_NS6detail15normal_iteratorINS9_10device_ptrIiEEEESE_SE_iNS9_4plusIiEE19head_flag_predicateiEE10hipError_tPvRmT2_T3_T4_T5_mT6_T7_P12ihipStream_tbENKUlT_T0_E_clISt17integral_constantIbLb1EESY_EEDaST_SU_EUlST_E_NS1_11comp_targetILNS1_3genE9ELNS1_11target_archE1100ELNS1_3gpuE3ELNS1_3repE0EEENS1_30default_config_static_selectorELNS0_4arch9wavefront6targetE1EEEvT1_.kd
    .uniform_work_group_size: 1
    .uses_dynamic_stack: false
    .vgpr_count:     0
    .vgpr_spill_count: 0
    .wavefront_size: 64
  - .agpr_count:     0
    .args:
      - .offset:         0
        .size:           112
        .value_kind:     by_value
    .group_segment_fixed_size: 0
    .kernarg_segment_align: 8
    .kernarg_segment_size: 112
    .language:       OpenCL C
    .language_version:
      - 2
      - 0
    .max_flat_workgroup_size: 256
    .name:           _ZN7rocprim17ROCPRIM_400000_NS6detail17trampoline_kernelINS0_14default_configENS1_27scan_by_key_config_selectorIiiEEZZNS1_16scan_by_key_implILNS1_25lookback_scan_determinismE0ELb0ES3_N6thrust23THRUST_200600_302600_NS6detail15normal_iteratorINS9_10device_ptrIiEEEESE_SE_iNS9_4plusIiEE19head_flag_predicateiEE10hipError_tPvRmT2_T3_T4_T5_mT6_T7_P12ihipStream_tbENKUlT_T0_E_clISt17integral_constantIbLb1EESY_EEDaST_SU_EUlST_E_NS1_11comp_targetILNS1_3genE8ELNS1_11target_archE1030ELNS1_3gpuE2ELNS1_3repE0EEENS1_30default_config_static_selectorELNS0_4arch9wavefront6targetE1EEEvT1_
    .private_segment_fixed_size: 0
    .sgpr_count:     6
    .sgpr_spill_count: 0
    .symbol:         _ZN7rocprim17ROCPRIM_400000_NS6detail17trampoline_kernelINS0_14default_configENS1_27scan_by_key_config_selectorIiiEEZZNS1_16scan_by_key_implILNS1_25lookback_scan_determinismE0ELb0ES3_N6thrust23THRUST_200600_302600_NS6detail15normal_iteratorINS9_10device_ptrIiEEEESE_SE_iNS9_4plusIiEE19head_flag_predicateiEE10hipError_tPvRmT2_T3_T4_T5_mT6_T7_P12ihipStream_tbENKUlT_T0_E_clISt17integral_constantIbLb1EESY_EEDaST_SU_EUlST_E_NS1_11comp_targetILNS1_3genE8ELNS1_11target_archE1030ELNS1_3gpuE2ELNS1_3repE0EEENS1_30default_config_static_selectorELNS0_4arch9wavefront6targetE1EEEvT1_.kd
    .uniform_work_group_size: 1
    .uses_dynamic_stack: false
    .vgpr_count:     0
    .vgpr_spill_count: 0
    .wavefront_size: 64
  - .agpr_count:     0
    .args:
      - .offset:         0
        .size:           112
        .value_kind:     by_value
    .group_segment_fixed_size: 0
    .kernarg_segment_align: 8
    .kernarg_segment_size: 112
    .language:       OpenCL C
    .language_version:
      - 2
      - 0
    .max_flat_workgroup_size: 256
    .name:           _ZN7rocprim17ROCPRIM_400000_NS6detail17trampoline_kernelINS0_14default_configENS1_27scan_by_key_config_selectorIiiEEZZNS1_16scan_by_key_implILNS1_25lookback_scan_determinismE0ELb0ES3_N6thrust23THRUST_200600_302600_NS6detail15normal_iteratorINS9_10device_ptrIiEEEESE_SE_iNS9_4plusIiEE19head_flag_predicateiEE10hipError_tPvRmT2_T3_T4_T5_mT6_T7_P12ihipStream_tbENKUlT_T0_E_clISt17integral_constantIbLb1EESX_IbLb0EEEEDaST_SU_EUlST_E_NS1_11comp_targetILNS1_3genE0ELNS1_11target_archE4294967295ELNS1_3gpuE0ELNS1_3repE0EEENS1_30default_config_static_selectorELNS0_4arch9wavefront6targetE1EEEvT1_
    .private_segment_fixed_size: 0
    .sgpr_count:     6
    .sgpr_spill_count: 0
    .symbol:         _ZN7rocprim17ROCPRIM_400000_NS6detail17trampoline_kernelINS0_14default_configENS1_27scan_by_key_config_selectorIiiEEZZNS1_16scan_by_key_implILNS1_25lookback_scan_determinismE0ELb0ES3_N6thrust23THRUST_200600_302600_NS6detail15normal_iteratorINS9_10device_ptrIiEEEESE_SE_iNS9_4plusIiEE19head_flag_predicateiEE10hipError_tPvRmT2_T3_T4_T5_mT6_T7_P12ihipStream_tbENKUlT_T0_E_clISt17integral_constantIbLb1EESX_IbLb0EEEEDaST_SU_EUlST_E_NS1_11comp_targetILNS1_3genE0ELNS1_11target_archE4294967295ELNS1_3gpuE0ELNS1_3repE0EEENS1_30default_config_static_selectorELNS0_4arch9wavefront6targetE1EEEvT1_.kd
    .uniform_work_group_size: 1
    .uses_dynamic_stack: false
    .vgpr_count:     0
    .vgpr_spill_count: 0
    .wavefront_size: 64
  - .agpr_count:     0
    .args:
      - .offset:         0
        .size:           112
        .value_kind:     by_value
    .group_segment_fixed_size: 0
    .kernarg_segment_align: 8
    .kernarg_segment_size: 112
    .language:       OpenCL C
    .language_version:
      - 2
      - 0
    .max_flat_workgroup_size: 256
    .name:           _ZN7rocprim17ROCPRIM_400000_NS6detail17trampoline_kernelINS0_14default_configENS1_27scan_by_key_config_selectorIiiEEZZNS1_16scan_by_key_implILNS1_25lookback_scan_determinismE0ELb0ES3_N6thrust23THRUST_200600_302600_NS6detail15normal_iteratorINS9_10device_ptrIiEEEESE_SE_iNS9_4plusIiEE19head_flag_predicateiEE10hipError_tPvRmT2_T3_T4_T5_mT6_T7_P12ihipStream_tbENKUlT_T0_E_clISt17integral_constantIbLb1EESX_IbLb0EEEEDaST_SU_EUlST_E_NS1_11comp_targetILNS1_3genE10ELNS1_11target_archE1201ELNS1_3gpuE5ELNS1_3repE0EEENS1_30default_config_static_selectorELNS0_4arch9wavefront6targetE1EEEvT1_
    .private_segment_fixed_size: 0
    .sgpr_count:     6
    .sgpr_spill_count: 0
    .symbol:         _ZN7rocprim17ROCPRIM_400000_NS6detail17trampoline_kernelINS0_14default_configENS1_27scan_by_key_config_selectorIiiEEZZNS1_16scan_by_key_implILNS1_25lookback_scan_determinismE0ELb0ES3_N6thrust23THRUST_200600_302600_NS6detail15normal_iteratorINS9_10device_ptrIiEEEESE_SE_iNS9_4plusIiEE19head_flag_predicateiEE10hipError_tPvRmT2_T3_T4_T5_mT6_T7_P12ihipStream_tbENKUlT_T0_E_clISt17integral_constantIbLb1EESX_IbLb0EEEEDaST_SU_EUlST_E_NS1_11comp_targetILNS1_3genE10ELNS1_11target_archE1201ELNS1_3gpuE5ELNS1_3repE0EEENS1_30default_config_static_selectorELNS0_4arch9wavefront6targetE1EEEvT1_.kd
    .uniform_work_group_size: 1
    .uses_dynamic_stack: false
    .vgpr_count:     0
    .vgpr_spill_count: 0
    .wavefront_size: 64
  - .agpr_count:     0
    .args:
      - .offset:         0
        .size:           112
        .value_kind:     by_value
    .group_segment_fixed_size: 25600
    .kernarg_segment_align: 8
    .kernarg_segment_size: 112
    .language:       OpenCL C
    .language_version:
      - 2
      - 0
    .max_flat_workgroup_size: 256
    .name:           _ZN7rocprim17ROCPRIM_400000_NS6detail17trampoline_kernelINS0_14default_configENS1_27scan_by_key_config_selectorIiiEEZZNS1_16scan_by_key_implILNS1_25lookback_scan_determinismE0ELb0ES3_N6thrust23THRUST_200600_302600_NS6detail15normal_iteratorINS9_10device_ptrIiEEEESE_SE_iNS9_4plusIiEE19head_flag_predicateiEE10hipError_tPvRmT2_T3_T4_T5_mT6_T7_P12ihipStream_tbENKUlT_T0_E_clISt17integral_constantIbLb1EESX_IbLb0EEEEDaST_SU_EUlST_E_NS1_11comp_targetILNS1_3genE5ELNS1_11target_archE942ELNS1_3gpuE9ELNS1_3repE0EEENS1_30default_config_static_selectorELNS0_4arch9wavefront6targetE1EEEvT1_
    .private_segment_fixed_size: 0
    .sgpr_count:     86
    .sgpr_spill_count: 0
    .symbol:         _ZN7rocprim17ROCPRIM_400000_NS6detail17trampoline_kernelINS0_14default_configENS1_27scan_by_key_config_selectorIiiEEZZNS1_16scan_by_key_implILNS1_25lookback_scan_determinismE0ELb0ES3_N6thrust23THRUST_200600_302600_NS6detail15normal_iteratorINS9_10device_ptrIiEEEESE_SE_iNS9_4plusIiEE19head_flag_predicateiEE10hipError_tPvRmT2_T3_T4_T5_mT6_T7_P12ihipStream_tbENKUlT_T0_E_clISt17integral_constantIbLb1EESX_IbLb0EEEEDaST_SU_EUlST_E_NS1_11comp_targetILNS1_3genE5ELNS1_11target_archE942ELNS1_3gpuE9ELNS1_3repE0EEENS1_30default_config_static_selectorELNS0_4arch9wavefront6targetE1EEEvT1_.kd
    .uniform_work_group_size: 1
    .uses_dynamic_stack: false
    .vgpr_count:     81
    .vgpr_spill_count: 0
    .wavefront_size: 64
  - .agpr_count:     0
    .args:
      - .offset:         0
        .size:           112
        .value_kind:     by_value
    .group_segment_fixed_size: 0
    .kernarg_segment_align: 8
    .kernarg_segment_size: 112
    .language:       OpenCL C
    .language_version:
      - 2
      - 0
    .max_flat_workgroup_size: 256
    .name:           _ZN7rocprim17ROCPRIM_400000_NS6detail17trampoline_kernelINS0_14default_configENS1_27scan_by_key_config_selectorIiiEEZZNS1_16scan_by_key_implILNS1_25lookback_scan_determinismE0ELb0ES3_N6thrust23THRUST_200600_302600_NS6detail15normal_iteratorINS9_10device_ptrIiEEEESE_SE_iNS9_4plusIiEE19head_flag_predicateiEE10hipError_tPvRmT2_T3_T4_T5_mT6_T7_P12ihipStream_tbENKUlT_T0_E_clISt17integral_constantIbLb1EESX_IbLb0EEEEDaST_SU_EUlST_E_NS1_11comp_targetILNS1_3genE4ELNS1_11target_archE910ELNS1_3gpuE8ELNS1_3repE0EEENS1_30default_config_static_selectorELNS0_4arch9wavefront6targetE1EEEvT1_
    .private_segment_fixed_size: 0
    .sgpr_count:     6
    .sgpr_spill_count: 0
    .symbol:         _ZN7rocprim17ROCPRIM_400000_NS6detail17trampoline_kernelINS0_14default_configENS1_27scan_by_key_config_selectorIiiEEZZNS1_16scan_by_key_implILNS1_25lookback_scan_determinismE0ELb0ES3_N6thrust23THRUST_200600_302600_NS6detail15normal_iteratorINS9_10device_ptrIiEEEESE_SE_iNS9_4plusIiEE19head_flag_predicateiEE10hipError_tPvRmT2_T3_T4_T5_mT6_T7_P12ihipStream_tbENKUlT_T0_E_clISt17integral_constantIbLb1EESX_IbLb0EEEEDaST_SU_EUlST_E_NS1_11comp_targetILNS1_3genE4ELNS1_11target_archE910ELNS1_3gpuE8ELNS1_3repE0EEENS1_30default_config_static_selectorELNS0_4arch9wavefront6targetE1EEEvT1_.kd
    .uniform_work_group_size: 1
    .uses_dynamic_stack: false
    .vgpr_count:     0
    .vgpr_spill_count: 0
    .wavefront_size: 64
  - .agpr_count:     0
    .args:
      - .offset:         0
        .size:           112
        .value_kind:     by_value
    .group_segment_fixed_size: 0
    .kernarg_segment_align: 8
    .kernarg_segment_size: 112
    .language:       OpenCL C
    .language_version:
      - 2
      - 0
    .max_flat_workgroup_size: 256
    .name:           _ZN7rocprim17ROCPRIM_400000_NS6detail17trampoline_kernelINS0_14default_configENS1_27scan_by_key_config_selectorIiiEEZZNS1_16scan_by_key_implILNS1_25lookback_scan_determinismE0ELb0ES3_N6thrust23THRUST_200600_302600_NS6detail15normal_iteratorINS9_10device_ptrIiEEEESE_SE_iNS9_4plusIiEE19head_flag_predicateiEE10hipError_tPvRmT2_T3_T4_T5_mT6_T7_P12ihipStream_tbENKUlT_T0_E_clISt17integral_constantIbLb1EESX_IbLb0EEEEDaST_SU_EUlST_E_NS1_11comp_targetILNS1_3genE3ELNS1_11target_archE908ELNS1_3gpuE7ELNS1_3repE0EEENS1_30default_config_static_selectorELNS0_4arch9wavefront6targetE1EEEvT1_
    .private_segment_fixed_size: 0
    .sgpr_count:     6
    .sgpr_spill_count: 0
    .symbol:         _ZN7rocprim17ROCPRIM_400000_NS6detail17trampoline_kernelINS0_14default_configENS1_27scan_by_key_config_selectorIiiEEZZNS1_16scan_by_key_implILNS1_25lookback_scan_determinismE0ELb0ES3_N6thrust23THRUST_200600_302600_NS6detail15normal_iteratorINS9_10device_ptrIiEEEESE_SE_iNS9_4plusIiEE19head_flag_predicateiEE10hipError_tPvRmT2_T3_T4_T5_mT6_T7_P12ihipStream_tbENKUlT_T0_E_clISt17integral_constantIbLb1EESX_IbLb0EEEEDaST_SU_EUlST_E_NS1_11comp_targetILNS1_3genE3ELNS1_11target_archE908ELNS1_3gpuE7ELNS1_3repE0EEENS1_30default_config_static_selectorELNS0_4arch9wavefront6targetE1EEEvT1_.kd
    .uniform_work_group_size: 1
    .uses_dynamic_stack: false
    .vgpr_count:     0
    .vgpr_spill_count: 0
    .wavefront_size: 64
  - .agpr_count:     0
    .args:
      - .offset:         0
        .size:           112
        .value_kind:     by_value
    .group_segment_fixed_size: 0
    .kernarg_segment_align: 8
    .kernarg_segment_size: 112
    .language:       OpenCL C
    .language_version:
      - 2
      - 0
    .max_flat_workgroup_size: 256
    .name:           _ZN7rocprim17ROCPRIM_400000_NS6detail17trampoline_kernelINS0_14default_configENS1_27scan_by_key_config_selectorIiiEEZZNS1_16scan_by_key_implILNS1_25lookback_scan_determinismE0ELb0ES3_N6thrust23THRUST_200600_302600_NS6detail15normal_iteratorINS9_10device_ptrIiEEEESE_SE_iNS9_4plusIiEE19head_flag_predicateiEE10hipError_tPvRmT2_T3_T4_T5_mT6_T7_P12ihipStream_tbENKUlT_T0_E_clISt17integral_constantIbLb1EESX_IbLb0EEEEDaST_SU_EUlST_E_NS1_11comp_targetILNS1_3genE2ELNS1_11target_archE906ELNS1_3gpuE6ELNS1_3repE0EEENS1_30default_config_static_selectorELNS0_4arch9wavefront6targetE1EEEvT1_
    .private_segment_fixed_size: 0
    .sgpr_count:     6
    .sgpr_spill_count: 0
    .symbol:         _ZN7rocprim17ROCPRIM_400000_NS6detail17trampoline_kernelINS0_14default_configENS1_27scan_by_key_config_selectorIiiEEZZNS1_16scan_by_key_implILNS1_25lookback_scan_determinismE0ELb0ES3_N6thrust23THRUST_200600_302600_NS6detail15normal_iteratorINS9_10device_ptrIiEEEESE_SE_iNS9_4plusIiEE19head_flag_predicateiEE10hipError_tPvRmT2_T3_T4_T5_mT6_T7_P12ihipStream_tbENKUlT_T0_E_clISt17integral_constantIbLb1EESX_IbLb0EEEEDaST_SU_EUlST_E_NS1_11comp_targetILNS1_3genE2ELNS1_11target_archE906ELNS1_3gpuE6ELNS1_3repE0EEENS1_30default_config_static_selectorELNS0_4arch9wavefront6targetE1EEEvT1_.kd
    .uniform_work_group_size: 1
    .uses_dynamic_stack: false
    .vgpr_count:     0
    .vgpr_spill_count: 0
    .wavefront_size: 64
  - .agpr_count:     0
    .args:
      - .offset:         0
        .size:           112
        .value_kind:     by_value
    .group_segment_fixed_size: 0
    .kernarg_segment_align: 8
    .kernarg_segment_size: 112
    .language:       OpenCL C
    .language_version:
      - 2
      - 0
    .max_flat_workgroup_size: 256
    .name:           _ZN7rocprim17ROCPRIM_400000_NS6detail17trampoline_kernelINS0_14default_configENS1_27scan_by_key_config_selectorIiiEEZZNS1_16scan_by_key_implILNS1_25lookback_scan_determinismE0ELb0ES3_N6thrust23THRUST_200600_302600_NS6detail15normal_iteratorINS9_10device_ptrIiEEEESE_SE_iNS9_4plusIiEE19head_flag_predicateiEE10hipError_tPvRmT2_T3_T4_T5_mT6_T7_P12ihipStream_tbENKUlT_T0_E_clISt17integral_constantIbLb1EESX_IbLb0EEEEDaST_SU_EUlST_E_NS1_11comp_targetILNS1_3genE10ELNS1_11target_archE1200ELNS1_3gpuE4ELNS1_3repE0EEENS1_30default_config_static_selectorELNS0_4arch9wavefront6targetE1EEEvT1_
    .private_segment_fixed_size: 0
    .sgpr_count:     6
    .sgpr_spill_count: 0
    .symbol:         _ZN7rocprim17ROCPRIM_400000_NS6detail17trampoline_kernelINS0_14default_configENS1_27scan_by_key_config_selectorIiiEEZZNS1_16scan_by_key_implILNS1_25lookback_scan_determinismE0ELb0ES3_N6thrust23THRUST_200600_302600_NS6detail15normal_iteratorINS9_10device_ptrIiEEEESE_SE_iNS9_4plusIiEE19head_flag_predicateiEE10hipError_tPvRmT2_T3_T4_T5_mT6_T7_P12ihipStream_tbENKUlT_T0_E_clISt17integral_constantIbLb1EESX_IbLb0EEEEDaST_SU_EUlST_E_NS1_11comp_targetILNS1_3genE10ELNS1_11target_archE1200ELNS1_3gpuE4ELNS1_3repE0EEENS1_30default_config_static_selectorELNS0_4arch9wavefront6targetE1EEEvT1_.kd
    .uniform_work_group_size: 1
    .uses_dynamic_stack: false
    .vgpr_count:     0
    .vgpr_spill_count: 0
    .wavefront_size: 64
  - .agpr_count:     0
    .args:
      - .offset:         0
        .size:           112
        .value_kind:     by_value
    .group_segment_fixed_size: 0
    .kernarg_segment_align: 8
    .kernarg_segment_size: 112
    .language:       OpenCL C
    .language_version:
      - 2
      - 0
    .max_flat_workgroup_size: 256
    .name:           _ZN7rocprim17ROCPRIM_400000_NS6detail17trampoline_kernelINS0_14default_configENS1_27scan_by_key_config_selectorIiiEEZZNS1_16scan_by_key_implILNS1_25lookback_scan_determinismE0ELb0ES3_N6thrust23THRUST_200600_302600_NS6detail15normal_iteratorINS9_10device_ptrIiEEEESE_SE_iNS9_4plusIiEE19head_flag_predicateiEE10hipError_tPvRmT2_T3_T4_T5_mT6_T7_P12ihipStream_tbENKUlT_T0_E_clISt17integral_constantIbLb1EESX_IbLb0EEEEDaST_SU_EUlST_E_NS1_11comp_targetILNS1_3genE9ELNS1_11target_archE1100ELNS1_3gpuE3ELNS1_3repE0EEENS1_30default_config_static_selectorELNS0_4arch9wavefront6targetE1EEEvT1_
    .private_segment_fixed_size: 0
    .sgpr_count:     6
    .sgpr_spill_count: 0
    .symbol:         _ZN7rocprim17ROCPRIM_400000_NS6detail17trampoline_kernelINS0_14default_configENS1_27scan_by_key_config_selectorIiiEEZZNS1_16scan_by_key_implILNS1_25lookback_scan_determinismE0ELb0ES3_N6thrust23THRUST_200600_302600_NS6detail15normal_iteratorINS9_10device_ptrIiEEEESE_SE_iNS9_4plusIiEE19head_flag_predicateiEE10hipError_tPvRmT2_T3_T4_T5_mT6_T7_P12ihipStream_tbENKUlT_T0_E_clISt17integral_constantIbLb1EESX_IbLb0EEEEDaST_SU_EUlST_E_NS1_11comp_targetILNS1_3genE9ELNS1_11target_archE1100ELNS1_3gpuE3ELNS1_3repE0EEENS1_30default_config_static_selectorELNS0_4arch9wavefront6targetE1EEEvT1_.kd
    .uniform_work_group_size: 1
    .uses_dynamic_stack: false
    .vgpr_count:     0
    .vgpr_spill_count: 0
    .wavefront_size: 64
  - .agpr_count:     0
    .args:
      - .offset:         0
        .size:           112
        .value_kind:     by_value
    .group_segment_fixed_size: 0
    .kernarg_segment_align: 8
    .kernarg_segment_size: 112
    .language:       OpenCL C
    .language_version:
      - 2
      - 0
    .max_flat_workgroup_size: 256
    .name:           _ZN7rocprim17ROCPRIM_400000_NS6detail17trampoline_kernelINS0_14default_configENS1_27scan_by_key_config_selectorIiiEEZZNS1_16scan_by_key_implILNS1_25lookback_scan_determinismE0ELb0ES3_N6thrust23THRUST_200600_302600_NS6detail15normal_iteratorINS9_10device_ptrIiEEEESE_SE_iNS9_4plusIiEE19head_flag_predicateiEE10hipError_tPvRmT2_T3_T4_T5_mT6_T7_P12ihipStream_tbENKUlT_T0_E_clISt17integral_constantIbLb1EESX_IbLb0EEEEDaST_SU_EUlST_E_NS1_11comp_targetILNS1_3genE8ELNS1_11target_archE1030ELNS1_3gpuE2ELNS1_3repE0EEENS1_30default_config_static_selectorELNS0_4arch9wavefront6targetE1EEEvT1_
    .private_segment_fixed_size: 0
    .sgpr_count:     6
    .sgpr_spill_count: 0
    .symbol:         _ZN7rocprim17ROCPRIM_400000_NS6detail17trampoline_kernelINS0_14default_configENS1_27scan_by_key_config_selectorIiiEEZZNS1_16scan_by_key_implILNS1_25lookback_scan_determinismE0ELb0ES3_N6thrust23THRUST_200600_302600_NS6detail15normal_iteratorINS9_10device_ptrIiEEEESE_SE_iNS9_4plusIiEE19head_flag_predicateiEE10hipError_tPvRmT2_T3_T4_T5_mT6_T7_P12ihipStream_tbENKUlT_T0_E_clISt17integral_constantIbLb1EESX_IbLb0EEEEDaST_SU_EUlST_E_NS1_11comp_targetILNS1_3genE8ELNS1_11target_archE1030ELNS1_3gpuE2ELNS1_3repE0EEENS1_30default_config_static_selectorELNS0_4arch9wavefront6targetE1EEEvT1_.kd
    .uniform_work_group_size: 1
    .uses_dynamic_stack: false
    .vgpr_count:     0
    .vgpr_spill_count: 0
    .wavefront_size: 64
  - .agpr_count:     0
    .args:
      - .offset:         0
        .size:           112
        .value_kind:     by_value
    .group_segment_fixed_size: 0
    .kernarg_segment_align: 8
    .kernarg_segment_size: 112
    .language:       OpenCL C
    .language_version:
      - 2
      - 0
    .max_flat_workgroup_size: 256
    .name:           _ZN7rocprim17ROCPRIM_400000_NS6detail17trampoline_kernelINS0_14default_configENS1_27scan_by_key_config_selectorIiiEEZZNS1_16scan_by_key_implILNS1_25lookback_scan_determinismE0ELb0ES3_N6thrust23THRUST_200600_302600_NS6detail15normal_iteratorINS9_10device_ptrIiEEEESE_SE_iNS9_4plusIiEE19head_flag_predicateiEE10hipError_tPvRmT2_T3_T4_T5_mT6_T7_P12ihipStream_tbENKUlT_T0_E_clISt17integral_constantIbLb0EESX_IbLb1EEEEDaST_SU_EUlST_E_NS1_11comp_targetILNS1_3genE0ELNS1_11target_archE4294967295ELNS1_3gpuE0ELNS1_3repE0EEENS1_30default_config_static_selectorELNS0_4arch9wavefront6targetE1EEEvT1_
    .private_segment_fixed_size: 0
    .sgpr_count:     6
    .sgpr_spill_count: 0
    .symbol:         _ZN7rocprim17ROCPRIM_400000_NS6detail17trampoline_kernelINS0_14default_configENS1_27scan_by_key_config_selectorIiiEEZZNS1_16scan_by_key_implILNS1_25lookback_scan_determinismE0ELb0ES3_N6thrust23THRUST_200600_302600_NS6detail15normal_iteratorINS9_10device_ptrIiEEEESE_SE_iNS9_4plusIiEE19head_flag_predicateiEE10hipError_tPvRmT2_T3_T4_T5_mT6_T7_P12ihipStream_tbENKUlT_T0_E_clISt17integral_constantIbLb0EESX_IbLb1EEEEDaST_SU_EUlST_E_NS1_11comp_targetILNS1_3genE0ELNS1_11target_archE4294967295ELNS1_3gpuE0ELNS1_3repE0EEENS1_30default_config_static_selectorELNS0_4arch9wavefront6targetE1EEEvT1_.kd
    .uniform_work_group_size: 1
    .uses_dynamic_stack: false
    .vgpr_count:     0
    .vgpr_spill_count: 0
    .wavefront_size: 64
  - .agpr_count:     0
    .args:
      - .offset:         0
        .size:           112
        .value_kind:     by_value
    .group_segment_fixed_size: 0
    .kernarg_segment_align: 8
    .kernarg_segment_size: 112
    .language:       OpenCL C
    .language_version:
      - 2
      - 0
    .max_flat_workgroup_size: 256
    .name:           _ZN7rocprim17ROCPRIM_400000_NS6detail17trampoline_kernelINS0_14default_configENS1_27scan_by_key_config_selectorIiiEEZZNS1_16scan_by_key_implILNS1_25lookback_scan_determinismE0ELb0ES3_N6thrust23THRUST_200600_302600_NS6detail15normal_iteratorINS9_10device_ptrIiEEEESE_SE_iNS9_4plusIiEE19head_flag_predicateiEE10hipError_tPvRmT2_T3_T4_T5_mT6_T7_P12ihipStream_tbENKUlT_T0_E_clISt17integral_constantIbLb0EESX_IbLb1EEEEDaST_SU_EUlST_E_NS1_11comp_targetILNS1_3genE10ELNS1_11target_archE1201ELNS1_3gpuE5ELNS1_3repE0EEENS1_30default_config_static_selectorELNS0_4arch9wavefront6targetE1EEEvT1_
    .private_segment_fixed_size: 0
    .sgpr_count:     6
    .sgpr_spill_count: 0
    .symbol:         _ZN7rocprim17ROCPRIM_400000_NS6detail17trampoline_kernelINS0_14default_configENS1_27scan_by_key_config_selectorIiiEEZZNS1_16scan_by_key_implILNS1_25lookback_scan_determinismE0ELb0ES3_N6thrust23THRUST_200600_302600_NS6detail15normal_iteratorINS9_10device_ptrIiEEEESE_SE_iNS9_4plusIiEE19head_flag_predicateiEE10hipError_tPvRmT2_T3_T4_T5_mT6_T7_P12ihipStream_tbENKUlT_T0_E_clISt17integral_constantIbLb0EESX_IbLb1EEEEDaST_SU_EUlST_E_NS1_11comp_targetILNS1_3genE10ELNS1_11target_archE1201ELNS1_3gpuE5ELNS1_3repE0EEENS1_30default_config_static_selectorELNS0_4arch9wavefront6targetE1EEEvT1_.kd
    .uniform_work_group_size: 1
    .uses_dynamic_stack: false
    .vgpr_count:     0
    .vgpr_spill_count: 0
    .wavefront_size: 64
  - .agpr_count:     0
    .args:
      - .offset:         0
        .size:           112
        .value_kind:     by_value
    .group_segment_fixed_size: 25600
    .kernarg_segment_align: 8
    .kernarg_segment_size: 112
    .language:       OpenCL C
    .language_version:
      - 2
      - 0
    .max_flat_workgroup_size: 256
    .name:           _ZN7rocprim17ROCPRIM_400000_NS6detail17trampoline_kernelINS0_14default_configENS1_27scan_by_key_config_selectorIiiEEZZNS1_16scan_by_key_implILNS1_25lookback_scan_determinismE0ELb0ES3_N6thrust23THRUST_200600_302600_NS6detail15normal_iteratorINS9_10device_ptrIiEEEESE_SE_iNS9_4plusIiEE19head_flag_predicateiEE10hipError_tPvRmT2_T3_T4_T5_mT6_T7_P12ihipStream_tbENKUlT_T0_E_clISt17integral_constantIbLb0EESX_IbLb1EEEEDaST_SU_EUlST_E_NS1_11comp_targetILNS1_3genE5ELNS1_11target_archE942ELNS1_3gpuE9ELNS1_3repE0EEENS1_30default_config_static_selectorELNS0_4arch9wavefront6targetE1EEEvT1_
    .private_segment_fixed_size: 0
    .sgpr_count:     88
    .sgpr_spill_count: 0
    .symbol:         _ZN7rocprim17ROCPRIM_400000_NS6detail17trampoline_kernelINS0_14default_configENS1_27scan_by_key_config_selectorIiiEEZZNS1_16scan_by_key_implILNS1_25lookback_scan_determinismE0ELb0ES3_N6thrust23THRUST_200600_302600_NS6detail15normal_iteratorINS9_10device_ptrIiEEEESE_SE_iNS9_4plusIiEE19head_flag_predicateiEE10hipError_tPvRmT2_T3_T4_T5_mT6_T7_P12ihipStream_tbENKUlT_T0_E_clISt17integral_constantIbLb0EESX_IbLb1EEEEDaST_SU_EUlST_E_NS1_11comp_targetILNS1_3genE5ELNS1_11target_archE942ELNS1_3gpuE9ELNS1_3repE0EEENS1_30default_config_static_selectorELNS0_4arch9wavefront6targetE1EEEvT1_.kd
    .uniform_work_group_size: 1
    .uses_dynamic_stack: false
    .vgpr_count:     81
    .vgpr_spill_count: 0
    .wavefront_size: 64
  - .agpr_count:     0
    .args:
      - .offset:         0
        .size:           112
        .value_kind:     by_value
    .group_segment_fixed_size: 0
    .kernarg_segment_align: 8
    .kernarg_segment_size: 112
    .language:       OpenCL C
    .language_version:
      - 2
      - 0
    .max_flat_workgroup_size: 256
    .name:           _ZN7rocprim17ROCPRIM_400000_NS6detail17trampoline_kernelINS0_14default_configENS1_27scan_by_key_config_selectorIiiEEZZNS1_16scan_by_key_implILNS1_25lookback_scan_determinismE0ELb0ES3_N6thrust23THRUST_200600_302600_NS6detail15normal_iteratorINS9_10device_ptrIiEEEESE_SE_iNS9_4plusIiEE19head_flag_predicateiEE10hipError_tPvRmT2_T3_T4_T5_mT6_T7_P12ihipStream_tbENKUlT_T0_E_clISt17integral_constantIbLb0EESX_IbLb1EEEEDaST_SU_EUlST_E_NS1_11comp_targetILNS1_3genE4ELNS1_11target_archE910ELNS1_3gpuE8ELNS1_3repE0EEENS1_30default_config_static_selectorELNS0_4arch9wavefront6targetE1EEEvT1_
    .private_segment_fixed_size: 0
    .sgpr_count:     6
    .sgpr_spill_count: 0
    .symbol:         _ZN7rocprim17ROCPRIM_400000_NS6detail17trampoline_kernelINS0_14default_configENS1_27scan_by_key_config_selectorIiiEEZZNS1_16scan_by_key_implILNS1_25lookback_scan_determinismE0ELb0ES3_N6thrust23THRUST_200600_302600_NS6detail15normal_iteratorINS9_10device_ptrIiEEEESE_SE_iNS9_4plusIiEE19head_flag_predicateiEE10hipError_tPvRmT2_T3_T4_T5_mT6_T7_P12ihipStream_tbENKUlT_T0_E_clISt17integral_constantIbLb0EESX_IbLb1EEEEDaST_SU_EUlST_E_NS1_11comp_targetILNS1_3genE4ELNS1_11target_archE910ELNS1_3gpuE8ELNS1_3repE0EEENS1_30default_config_static_selectorELNS0_4arch9wavefront6targetE1EEEvT1_.kd
    .uniform_work_group_size: 1
    .uses_dynamic_stack: false
    .vgpr_count:     0
    .vgpr_spill_count: 0
    .wavefront_size: 64
  - .agpr_count:     0
    .args:
      - .offset:         0
        .size:           112
        .value_kind:     by_value
    .group_segment_fixed_size: 0
    .kernarg_segment_align: 8
    .kernarg_segment_size: 112
    .language:       OpenCL C
    .language_version:
      - 2
      - 0
    .max_flat_workgroup_size: 256
    .name:           _ZN7rocprim17ROCPRIM_400000_NS6detail17trampoline_kernelINS0_14default_configENS1_27scan_by_key_config_selectorIiiEEZZNS1_16scan_by_key_implILNS1_25lookback_scan_determinismE0ELb0ES3_N6thrust23THRUST_200600_302600_NS6detail15normal_iteratorINS9_10device_ptrIiEEEESE_SE_iNS9_4plusIiEE19head_flag_predicateiEE10hipError_tPvRmT2_T3_T4_T5_mT6_T7_P12ihipStream_tbENKUlT_T0_E_clISt17integral_constantIbLb0EESX_IbLb1EEEEDaST_SU_EUlST_E_NS1_11comp_targetILNS1_3genE3ELNS1_11target_archE908ELNS1_3gpuE7ELNS1_3repE0EEENS1_30default_config_static_selectorELNS0_4arch9wavefront6targetE1EEEvT1_
    .private_segment_fixed_size: 0
    .sgpr_count:     6
    .sgpr_spill_count: 0
    .symbol:         _ZN7rocprim17ROCPRIM_400000_NS6detail17trampoline_kernelINS0_14default_configENS1_27scan_by_key_config_selectorIiiEEZZNS1_16scan_by_key_implILNS1_25lookback_scan_determinismE0ELb0ES3_N6thrust23THRUST_200600_302600_NS6detail15normal_iteratorINS9_10device_ptrIiEEEESE_SE_iNS9_4plusIiEE19head_flag_predicateiEE10hipError_tPvRmT2_T3_T4_T5_mT6_T7_P12ihipStream_tbENKUlT_T0_E_clISt17integral_constantIbLb0EESX_IbLb1EEEEDaST_SU_EUlST_E_NS1_11comp_targetILNS1_3genE3ELNS1_11target_archE908ELNS1_3gpuE7ELNS1_3repE0EEENS1_30default_config_static_selectorELNS0_4arch9wavefront6targetE1EEEvT1_.kd
    .uniform_work_group_size: 1
    .uses_dynamic_stack: false
    .vgpr_count:     0
    .vgpr_spill_count: 0
    .wavefront_size: 64
  - .agpr_count:     0
    .args:
      - .offset:         0
        .size:           112
        .value_kind:     by_value
    .group_segment_fixed_size: 0
    .kernarg_segment_align: 8
    .kernarg_segment_size: 112
    .language:       OpenCL C
    .language_version:
      - 2
      - 0
    .max_flat_workgroup_size: 256
    .name:           _ZN7rocprim17ROCPRIM_400000_NS6detail17trampoline_kernelINS0_14default_configENS1_27scan_by_key_config_selectorIiiEEZZNS1_16scan_by_key_implILNS1_25lookback_scan_determinismE0ELb0ES3_N6thrust23THRUST_200600_302600_NS6detail15normal_iteratorINS9_10device_ptrIiEEEESE_SE_iNS9_4plusIiEE19head_flag_predicateiEE10hipError_tPvRmT2_T3_T4_T5_mT6_T7_P12ihipStream_tbENKUlT_T0_E_clISt17integral_constantIbLb0EESX_IbLb1EEEEDaST_SU_EUlST_E_NS1_11comp_targetILNS1_3genE2ELNS1_11target_archE906ELNS1_3gpuE6ELNS1_3repE0EEENS1_30default_config_static_selectorELNS0_4arch9wavefront6targetE1EEEvT1_
    .private_segment_fixed_size: 0
    .sgpr_count:     6
    .sgpr_spill_count: 0
    .symbol:         _ZN7rocprim17ROCPRIM_400000_NS6detail17trampoline_kernelINS0_14default_configENS1_27scan_by_key_config_selectorIiiEEZZNS1_16scan_by_key_implILNS1_25lookback_scan_determinismE0ELb0ES3_N6thrust23THRUST_200600_302600_NS6detail15normal_iteratorINS9_10device_ptrIiEEEESE_SE_iNS9_4plusIiEE19head_flag_predicateiEE10hipError_tPvRmT2_T3_T4_T5_mT6_T7_P12ihipStream_tbENKUlT_T0_E_clISt17integral_constantIbLb0EESX_IbLb1EEEEDaST_SU_EUlST_E_NS1_11comp_targetILNS1_3genE2ELNS1_11target_archE906ELNS1_3gpuE6ELNS1_3repE0EEENS1_30default_config_static_selectorELNS0_4arch9wavefront6targetE1EEEvT1_.kd
    .uniform_work_group_size: 1
    .uses_dynamic_stack: false
    .vgpr_count:     0
    .vgpr_spill_count: 0
    .wavefront_size: 64
  - .agpr_count:     0
    .args:
      - .offset:         0
        .size:           112
        .value_kind:     by_value
    .group_segment_fixed_size: 0
    .kernarg_segment_align: 8
    .kernarg_segment_size: 112
    .language:       OpenCL C
    .language_version:
      - 2
      - 0
    .max_flat_workgroup_size: 256
    .name:           _ZN7rocprim17ROCPRIM_400000_NS6detail17trampoline_kernelINS0_14default_configENS1_27scan_by_key_config_selectorIiiEEZZNS1_16scan_by_key_implILNS1_25lookback_scan_determinismE0ELb0ES3_N6thrust23THRUST_200600_302600_NS6detail15normal_iteratorINS9_10device_ptrIiEEEESE_SE_iNS9_4plusIiEE19head_flag_predicateiEE10hipError_tPvRmT2_T3_T4_T5_mT6_T7_P12ihipStream_tbENKUlT_T0_E_clISt17integral_constantIbLb0EESX_IbLb1EEEEDaST_SU_EUlST_E_NS1_11comp_targetILNS1_3genE10ELNS1_11target_archE1200ELNS1_3gpuE4ELNS1_3repE0EEENS1_30default_config_static_selectorELNS0_4arch9wavefront6targetE1EEEvT1_
    .private_segment_fixed_size: 0
    .sgpr_count:     6
    .sgpr_spill_count: 0
    .symbol:         _ZN7rocprim17ROCPRIM_400000_NS6detail17trampoline_kernelINS0_14default_configENS1_27scan_by_key_config_selectorIiiEEZZNS1_16scan_by_key_implILNS1_25lookback_scan_determinismE0ELb0ES3_N6thrust23THRUST_200600_302600_NS6detail15normal_iteratorINS9_10device_ptrIiEEEESE_SE_iNS9_4plusIiEE19head_flag_predicateiEE10hipError_tPvRmT2_T3_T4_T5_mT6_T7_P12ihipStream_tbENKUlT_T0_E_clISt17integral_constantIbLb0EESX_IbLb1EEEEDaST_SU_EUlST_E_NS1_11comp_targetILNS1_3genE10ELNS1_11target_archE1200ELNS1_3gpuE4ELNS1_3repE0EEENS1_30default_config_static_selectorELNS0_4arch9wavefront6targetE1EEEvT1_.kd
    .uniform_work_group_size: 1
    .uses_dynamic_stack: false
    .vgpr_count:     0
    .vgpr_spill_count: 0
    .wavefront_size: 64
  - .agpr_count:     0
    .args:
      - .offset:         0
        .size:           112
        .value_kind:     by_value
    .group_segment_fixed_size: 0
    .kernarg_segment_align: 8
    .kernarg_segment_size: 112
    .language:       OpenCL C
    .language_version:
      - 2
      - 0
    .max_flat_workgroup_size: 256
    .name:           _ZN7rocprim17ROCPRIM_400000_NS6detail17trampoline_kernelINS0_14default_configENS1_27scan_by_key_config_selectorIiiEEZZNS1_16scan_by_key_implILNS1_25lookback_scan_determinismE0ELb0ES3_N6thrust23THRUST_200600_302600_NS6detail15normal_iteratorINS9_10device_ptrIiEEEESE_SE_iNS9_4plusIiEE19head_flag_predicateiEE10hipError_tPvRmT2_T3_T4_T5_mT6_T7_P12ihipStream_tbENKUlT_T0_E_clISt17integral_constantIbLb0EESX_IbLb1EEEEDaST_SU_EUlST_E_NS1_11comp_targetILNS1_3genE9ELNS1_11target_archE1100ELNS1_3gpuE3ELNS1_3repE0EEENS1_30default_config_static_selectorELNS0_4arch9wavefront6targetE1EEEvT1_
    .private_segment_fixed_size: 0
    .sgpr_count:     6
    .sgpr_spill_count: 0
    .symbol:         _ZN7rocprim17ROCPRIM_400000_NS6detail17trampoline_kernelINS0_14default_configENS1_27scan_by_key_config_selectorIiiEEZZNS1_16scan_by_key_implILNS1_25lookback_scan_determinismE0ELb0ES3_N6thrust23THRUST_200600_302600_NS6detail15normal_iteratorINS9_10device_ptrIiEEEESE_SE_iNS9_4plusIiEE19head_flag_predicateiEE10hipError_tPvRmT2_T3_T4_T5_mT6_T7_P12ihipStream_tbENKUlT_T0_E_clISt17integral_constantIbLb0EESX_IbLb1EEEEDaST_SU_EUlST_E_NS1_11comp_targetILNS1_3genE9ELNS1_11target_archE1100ELNS1_3gpuE3ELNS1_3repE0EEENS1_30default_config_static_selectorELNS0_4arch9wavefront6targetE1EEEvT1_.kd
    .uniform_work_group_size: 1
    .uses_dynamic_stack: false
    .vgpr_count:     0
    .vgpr_spill_count: 0
    .wavefront_size: 64
  - .agpr_count:     0
    .args:
      - .offset:         0
        .size:           112
        .value_kind:     by_value
    .group_segment_fixed_size: 0
    .kernarg_segment_align: 8
    .kernarg_segment_size: 112
    .language:       OpenCL C
    .language_version:
      - 2
      - 0
    .max_flat_workgroup_size: 256
    .name:           _ZN7rocprim17ROCPRIM_400000_NS6detail17trampoline_kernelINS0_14default_configENS1_27scan_by_key_config_selectorIiiEEZZNS1_16scan_by_key_implILNS1_25lookback_scan_determinismE0ELb0ES3_N6thrust23THRUST_200600_302600_NS6detail15normal_iteratorINS9_10device_ptrIiEEEESE_SE_iNS9_4plusIiEE19head_flag_predicateiEE10hipError_tPvRmT2_T3_T4_T5_mT6_T7_P12ihipStream_tbENKUlT_T0_E_clISt17integral_constantIbLb0EESX_IbLb1EEEEDaST_SU_EUlST_E_NS1_11comp_targetILNS1_3genE8ELNS1_11target_archE1030ELNS1_3gpuE2ELNS1_3repE0EEENS1_30default_config_static_selectorELNS0_4arch9wavefront6targetE1EEEvT1_
    .private_segment_fixed_size: 0
    .sgpr_count:     6
    .sgpr_spill_count: 0
    .symbol:         _ZN7rocprim17ROCPRIM_400000_NS6detail17trampoline_kernelINS0_14default_configENS1_27scan_by_key_config_selectorIiiEEZZNS1_16scan_by_key_implILNS1_25lookback_scan_determinismE0ELb0ES3_N6thrust23THRUST_200600_302600_NS6detail15normal_iteratorINS9_10device_ptrIiEEEESE_SE_iNS9_4plusIiEE19head_flag_predicateiEE10hipError_tPvRmT2_T3_T4_T5_mT6_T7_P12ihipStream_tbENKUlT_T0_E_clISt17integral_constantIbLb0EESX_IbLb1EEEEDaST_SU_EUlST_E_NS1_11comp_targetILNS1_3genE8ELNS1_11target_archE1030ELNS1_3gpuE2ELNS1_3repE0EEENS1_30default_config_static_selectorELNS0_4arch9wavefront6targetE1EEEvT1_.kd
    .uniform_work_group_size: 1
    .uses_dynamic_stack: false
    .vgpr_count:     0
    .vgpr_spill_count: 0
    .wavefront_size: 64
  - .agpr_count:     0
    .args:
      - .offset:         0
        .size:           112
        .value_kind:     by_value
    .group_segment_fixed_size: 0
    .kernarg_segment_align: 8
    .kernarg_segment_size: 112
    .language:       OpenCL C
    .language_version:
      - 2
      - 0
    .max_flat_workgroup_size: 256
    .name:           _ZN7rocprim17ROCPRIM_400000_NS6detail17trampoline_kernelINS0_14default_configENS1_27scan_by_key_config_selectorIiiEEZZNS1_16scan_by_key_implILNS1_25lookback_scan_determinismE0ELb1ES3_N6thrust23THRUST_200600_302600_NS6detail15normal_iteratorINS9_10device_ptrIiEEEESE_SE_iNS9_4plusIiEE19head_flag_predicateiEE10hipError_tPvRmT2_T3_T4_T5_mT6_T7_P12ihipStream_tbENKUlT_T0_E_clISt17integral_constantIbLb0EESY_EEDaST_SU_EUlST_E_NS1_11comp_targetILNS1_3genE0ELNS1_11target_archE4294967295ELNS1_3gpuE0ELNS1_3repE0EEENS1_30default_config_static_selectorELNS0_4arch9wavefront6targetE1EEEvT1_
    .private_segment_fixed_size: 0
    .sgpr_count:     6
    .sgpr_spill_count: 0
    .symbol:         _ZN7rocprim17ROCPRIM_400000_NS6detail17trampoline_kernelINS0_14default_configENS1_27scan_by_key_config_selectorIiiEEZZNS1_16scan_by_key_implILNS1_25lookback_scan_determinismE0ELb1ES3_N6thrust23THRUST_200600_302600_NS6detail15normal_iteratorINS9_10device_ptrIiEEEESE_SE_iNS9_4plusIiEE19head_flag_predicateiEE10hipError_tPvRmT2_T3_T4_T5_mT6_T7_P12ihipStream_tbENKUlT_T0_E_clISt17integral_constantIbLb0EESY_EEDaST_SU_EUlST_E_NS1_11comp_targetILNS1_3genE0ELNS1_11target_archE4294967295ELNS1_3gpuE0ELNS1_3repE0EEENS1_30default_config_static_selectorELNS0_4arch9wavefront6targetE1EEEvT1_.kd
    .uniform_work_group_size: 1
    .uses_dynamic_stack: false
    .vgpr_count:     0
    .vgpr_spill_count: 0
    .wavefront_size: 64
  - .agpr_count:     0
    .args:
      - .offset:         0
        .size:           112
        .value_kind:     by_value
    .group_segment_fixed_size: 0
    .kernarg_segment_align: 8
    .kernarg_segment_size: 112
    .language:       OpenCL C
    .language_version:
      - 2
      - 0
    .max_flat_workgroup_size: 256
    .name:           _ZN7rocprim17ROCPRIM_400000_NS6detail17trampoline_kernelINS0_14default_configENS1_27scan_by_key_config_selectorIiiEEZZNS1_16scan_by_key_implILNS1_25lookback_scan_determinismE0ELb1ES3_N6thrust23THRUST_200600_302600_NS6detail15normal_iteratorINS9_10device_ptrIiEEEESE_SE_iNS9_4plusIiEE19head_flag_predicateiEE10hipError_tPvRmT2_T3_T4_T5_mT6_T7_P12ihipStream_tbENKUlT_T0_E_clISt17integral_constantIbLb0EESY_EEDaST_SU_EUlST_E_NS1_11comp_targetILNS1_3genE10ELNS1_11target_archE1201ELNS1_3gpuE5ELNS1_3repE0EEENS1_30default_config_static_selectorELNS0_4arch9wavefront6targetE1EEEvT1_
    .private_segment_fixed_size: 0
    .sgpr_count:     6
    .sgpr_spill_count: 0
    .symbol:         _ZN7rocprim17ROCPRIM_400000_NS6detail17trampoline_kernelINS0_14default_configENS1_27scan_by_key_config_selectorIiiEEZZNS1_16scan_by_key_implILNS1_25lookback_scan_determinismE0ELb1ES3_N6thrust23THRUST_200600_302600_NS6detail15normal_iteratorINS9_10device_ptrIiEEEESE_SE_iNS9_4plusIiEE19head_flag_predicateiEE10hipError_tPvRmT2_T3_T4_T5_mT6_T7_P12ihipStream_tbENKUlT_T0_E_clISt17integral_constantIbLb0EESY_EEDaST_SU_EUlST_E_NS1_11comp_targetILNS1_3genE10ELNS1_11target_archE1201ELNS1_3gpuE5ELNS1_3repE0EEENS1_30default_config_static_selectorELNS0_4arch9wavefront6targetE1EEEvT1_.kd
    .uniform_work_group_size: 1
    .uses_dynamic_stack: false
    .vgpr_count:     0
    .vgpr_spill_count: 0
    .wavefront_size: 64
  - .agpr_count:     0
    .args:
      - .offset:         0
        .size:           112
        .value_kind:     by_value
    .group_segment_fixed_size: 25600
    .kernarg_segment_align: 8
    .kernarg_segment_size: 112
    .language:       OpenCL C
    .language_version:
      - 2
      - 0
    .max_flat_workgroup_size: 256
    .name:           _ZN7rocprim17ROCPRIM_400000_NS6detail17trampoline_kernelINS0_14default_configENS1_27scan_by_key_config_selectorIiiEEZZNS1_16scan_by_key_implILNS1_25lookback_scan_determinismE0ELb1ES3_N6thrust23THRUST_200600_302600_NS6detail15normal_iteratorINS9_10device_ptrIiEEEESE_SE_iNS9_4plusIiEE19head_flag_predicateiEE10hipError_tPvRmT2_T3_T4_T5_mT6_T7_P12ihipStream_tbENKUlT_T0_E_clISt17integral_constantIbLb0EESY_EEDaST_SU_EUlST_E_NS1_11comp_targetILNS1_3genE5ELNS1_11target_archE942ELNS1_3gpuE9ELNS1_3repE0EEENS1_30default_config_static_selectorELNS0_4arch9wavefront6targetE1EEEvT1_
    .private_segment_fixed_size: 0
    .sgpr_count:     86
    .sgpr_spill_count: 0
    .symbol:         _ZN7rocprim17ROCPRIM_400000_NS6detail17trampoline_kernelINS0_14default_configENS1_27scan_by_key_config_selectorIiiEEZZNS1_16scan_by_key_implILNS1_25lookback_scan_determinismE0ELb1ES3_N6thrust23THRUST_200600_302600_NS6detail15normal_iteratorINS9_10device_ptrIiEEEESE_SE_iNS9_4plusIiEE19head_flag_predicateiEE10hipError_tPvRmT2_T3_T4_T5_mT6_T7_P12ihipStream_tbENKUlT_T0_E_clISt17integral_constantIbLb0EESY_EEDaST_SU_EUlST_E_NS1_11comp_targetILNS1_3genE5ELNS1_11target_archE942ELNS1_3gpuE9ELNS1_3repE0EEENS1_30default_config_static_selectorELNS0_4arch9wavefront6targetE1EEEvT1_.kd
    .uniform_work_group_size: 1
    .uses_dynamic_stack: false
    .vgpr_count:     81
    .vgpr_spill_count: 0
    .wavefront_size: 64
  - .agpr_count:     0
    .args:
      - .offset:         0
        .size:           112
        .value_kind:     by_value
    .group_segment_fixed_size: 0
    .kernarg_segment_align: 8
    .kernarg_segment_size: 112
    .language:       OpenCL C
    .language_version:
      - 2
      - 0
    .max_flat_workgroup_size: 256
    .name:           _ZN7rocprim17ROCPRIM_400000_NS6detail17trampoline_kernelINS0_14default_configENS1_27scan_by_key_config_selectorIiiEEZZNS1_16scan_by_key_implILNS1_25lookback_scan_determinismE0ELb1ES3_N6thrust23THRUST_200600_302600_NS6detail15normal_iteratorINS9_10device_ptrIiEEEESE_SE_iNS9_4plusIiEE19head_flag_predicateiEE10hipError_tPvRmT2_T3_T4_T5_mT6_T7_P12ihipStream_tbENKUlT_T0_E_clISt17integral_constantIbLb0EESY_EEDaST_SU_EUlST_E_NS1_11comp_targetILNS1_3genE4ELNS1_11target_archE910ELNS1_3gpuE8ELNS1_3repE0EEENS1_30default_config_static_selectorELNS0_4arch9wavefront6targetE1EEEvT1_
    .private_segment_fixed_size: 0
    .sgpr_count:     6
    .sgpr_spill_count: 0
    .symbol:         _ZN7rocprim17ROCPRIM_400000_NS6detail17trampoline_kernelINS0_14default_configENS1_27scan_by_key_config_selectorIiiEEZZNS1_16scan_by_key_implILNS1_25lookback_scan_determinismE0ELb1ES3_N6thrust23THRUST_200600_302600_NS6detail15normal_iteratorINS9_10device_ptrIiEEEESE_SE_iNS9_4plusIiEE19head_flag_predicateiEE10hipError_tPvRmT2_T3_T4_T5_mT6_T7_P12ihipStream_tbENKUlT_T0_E_clISt17integral_constantIbLb0EESY_EEDaST_SU_EUlST_E_NS1_11comp_targetILNS1_3genE4ELNS1_11target_archE910ELNS1_3gpuE8ELNS1_3repE0EEENS1_30default_config_static_selectorELNS0_4arch9wavefront6targetE1EEEvT1_.kd
    .uniform_work_group_size: 1
    .uses_dynamic_stack: false
    .vgpr_count:     0
    .vgpr_spill_count: 0
    .wavefront_size: 64
  - .agpr_count:     0
    .args:
      - .offset:         0
        .size:           112
        .value_kind:     by_value
    .group_segment_fixed_size: 0
    .kernarg_segment_align: 8
    .kernarg_segment_size: 112
    .language:       OpenCL C
    .language_version:
      - 2
      - 0
    .max_flat_workgroup_size: 256
    .name:           _ZN7rocprim17ROCPRIM_400000_NS6detail17trampoline_kernelINS0_14default_configENS1_27scan_by_key_config_selectorIiiEEZZNS1_16scan_by_key_implILNS1_25lookback_scan_determinismE0ELb1ES3_N6thrust23THRUST_200600_302600_NS6detail15normal_iteratorINS9_10device_ptrIiEEEESE_SE_iNS9_4plusIiEE19head_flag_predicateiEE10hipError_tPvRmT2_T3_T4_T5_mT6_T7_P12ihipStream_tbENKUlT_T0_E_clISt17integral_constantIbLb0EESY_EEDaST_SU_EUlST_E_NS1_11comp_targetILNS1_3genE3ELNS1_11target_archE908ELNS1_3gpuE7ELNS1_3repE0EEENS1_30default_config_static_selectorELNS0_4arch9wavefront6targetE1EEEvT1_
    .private_segment_fixed_size: 0
    .sgpr_count:     6
    .sgpr_spill_count: 0
    .symbol:         _ZN7rocprim17ROCPRIM_400000_NS6detail17trampoline_kernelINS0_14default_configENS1_27scan_by_key_config_selectorIiiEEZZNS1_16scan_by_key_implILNS1_25lookback_scan_determinismE0ELb1ES3_N6thrust23THRUST_200600_302600_NS6detail15normal_iteratorINS9_10device_ptrIiEEEESE_SE_iNS9_4plusIiEE19head_flag_predicateiEE10hipError_tPvRmT2_T3_T4_T5_mT6_T7_P12ihipStream_tbENKUlT_T0_E_clISt17integral_constantIbLb0EESY_EEDaST_SU_EUlST_E_NS1_11comp_targetILNS1_3genE3ELNS1_11target_archE908ELNS1_3gpuE7ELNS1_3repE0EEENS1_30default_config_static_selectorELNS0_4arch9wavefront6targetE1EEEvT1_.kd
    .uniform_work_group_size: 1
    .uses_dynamic_stack: false
    .vgpr_count:     0
    .vgpr_spill_count: 0
    .wavefront_size: 64
  - .agpr_count:     0
    .args:
      - .offset:         0
        .size:           112
        .value_kind:     by_value
    .group_segment_fixed_size: 0
    .kernarg_segment_align: 8
    .kernarg_segment_size: 112
    .language:       OpenCL C
    .language_version:
      - 2
      - 0
    .max_flat_workgroup_size: 256
    .name:           _ZN7rocprim17ROCPRIM_400000_NS6detail17trampoline_kernelINS0_14default_configENS1_27scan_by_key_config_selectorIiiEEZZNS1_16scan_by_key_implILNS1_25lookback_scan_determinismE0ELb1ES3_N6thrust23THRUST_200600_302600_NS6detail15normal_iteratorINS9_10device_ptrIiEEEESE_SE_iNS9_4plusIiEE19head_flag_predicateiEE10hipError_tPvRmT2_T3_T4_T5_mT6_T7_P12ihipStream_tbENKUlT_T0_E_clISt17integral_constantIbLb0EESY_EEDaST_SU_EUlST_E_NS1_11comp_targetILNS1_3genE2ELNS1_11target_archE906ELNS1_3gpuE6ELNS1_3repE0EEENS1_30default_config_static_selectorELNS0_4arch9wavefront6targetE1EEEvT1_
    .private_segment_fixed_size: 0
    .sgpr_count:     6
    .sgpr_spill_count: 0
    .symbol:         _ZN7rocprim17ROCPRIM_400000_NS6detail17trampoline_kernelINS0_14default_configENS1_27scan_by_key_config_selectorIiiEEZZNS1_16scan_by_key_implILNS1_25lookback_scan_determinismE0ELb1ES3_N6thrust23THRUST_200600_302600_NS6detail15normal_iteratorINS9_10device_ptrIiEEEESE_SE_iNS9_4plusIiEE19head_flag_predicateiEE10hipError_tPvRmT2_T3_T4_T5_mT6_T7_P12ihipStream_tbENKUlT_T0_E_clISt17integral_constantIbLb0EESY_EEDaST_SU_EUlST_E_NS1_11comp_targetILNS1_3genE2ELNS1_11target_archE906ELNS1_3gpuE6ELNS1_3repE0EEENS1_30default_config_static_selectorELNS0_4arch9wavefront6targetE1EEEvT1_.kd
    .uniform_work_group_size: 1
    .uses_dynamic_stack: false
    .vgpr_count:     0
    .vgpr_spill_count: 0
    .wavefront_size: 64
  - .agpr_count:     0
    .args:
      - .offset:         0
        .size:           112
        .value_kind:     by_value
    .group_segment_fixed_size: 0
    .kernarg_segment_align: 8
    .kernarg_segment_size: 112
    .language:       OpenCL C
    .language_version:
      - 2
      - 0
    .max_flat_workgroup_size: 256
    .name:           _ZN7rocprim17ROCPRIM_400000_NS6detail17trampoline_kernelINS0_14default_configENS1_27scan_by_key_config_selectorIiiEEZZNS1_16scan_by_key_implILNS1_25lookback_scan_determinismE0ELb1ES3_N6thrust23THRUST_200600_302600_NS6detail15normal_iteratorINS9_10device_ptrIiEEEESE_SE_iNS9_4plusIiEE19head_flag_predicateiEE10hipError_tPvRmT2_T3_T4_T5_mT6_T7_P12ihipStream_tbENKUlT_T0_E_clISt17integral_constantIbLb0EESY_EEDaST_SU_EUlST_E_NS1_11comp_targetILNS1_3genE10ELNS1_11target_archE1200ELNS1_3gpuE4ELNS1_3repE0EEENS1_30default_config_static_selectorELNS0_4arch9wavefront6targetE1EEEvT1_
    .private_segment_fixed_size: 0
    .sgpr_count:     6
    .sgpr_spill_count: 0
    .symbol:         _ZN7rocprim17ROCPRIM_400000_NS6detail17trampoline_kernelINS0_14default_configENS1_27scan_by_key_config_selectorIiiEEZZNS1_16scan_by_key_implILNS1_25lookback_scan_determinismE0ELb1ES3_N6thrust23THRUST_200600_302600_NS6detail15normal_iteratorINS9_10device_ptrIiEEEESE_SE_iNS9_4plusIiEE19head_flag_predicateiEE10hipError_tPvRmT2_T3_T4_T5_mT6_T7_P12ihipStream_tbENKUlT_T0_E_clISt17integral_constantIbLb0EESY_EEDaST_SU_EUlST_E_NS1_11comp_targetILNS1_3genE10ELNS1_11target_archE1200ELNS1_3gpuE4ELNS1_3repE0EEENS1_30default_config_static_selectorELNS0_4arch9wavefront6targetE1EEEvT1_.kd
    .uniform_work_group_size: 1
    .uses_dynamic_stack: false
    .vgpr_count:     0
    .vgpr_spill_count: 0
    .wavefront_size: 64
  - .agpr_count:     0
    .args:
      - .offset:         0
        .size:           112
        .value_kind:     by_value
    .group_segment_fixed_size: 0
    .kernarg_segment_align: 8
    .kernarg_segment_size: 112
    .language:       OpenCL C
    .language_version:
      - 2
      - 0
    .max_flat_workgroup_size: 256
    .name:           _ZN7rocprim17ROCPRIM_400000_NS6detail17trampoline_kernelINS0_14default_configENS1_27scan_by_key_config_selectorIiiEEZZNS1_16scan_by_key_implILNS1_25lookback_scan_determinismE0ELb1ES3_N6thrust23THRUST_200600_302600_NS6detail15normal_iteratorINS9_10device_ptrIiEEEESE_SE_iNS9_4plusIiEE19head_flag_predicateiEE10hipError_tPvRmT2_T3_T4_T5_mT6_T7_P12ihipStream_tbENKUlT_T0_E_clISt17integral_constantIbLb0EESY_EEDaST_SU_EUlST_E_NS1_11comp_targetILNS1_3genE9ELNS1_11target_archE1100ELNS1_3gpuE3ELNS1_3repE0EEENS1_30default_config_static_selectorELNS0_4arch9wavefront6targetE1EEEvT1_
    .private_segment_fixed_size: 0
    .sgpr_count:     6
    .sgpr_spill_count: 0
    .symbol:         _ZN7rocprim17ROCPRIM_400000_NS6detail17trampoline_kernelINS0_14default_configENS1_27scan_by_key_config_selectorIiiEEZZNS1_16scan_by_key_implILNS1_25lookback_scan_determinismE0ELb1ES3_N6thrust23THRUST_200600_302600_NS6detail15normal_iteratorINS9_10device_ptrIiEEEESE_SE_iNS9_4plusIiEE19head_flag_predicateiEE10hipError_tPvRmT2_T3_T4_T5_mT6_T7_P12ihipStream_tbENKUlT_T0_E_clISt17integral_constantIbLb0EESY_EEDaST_SU_EUlST_E_NS1_11comp_targetILNS1_3genE9ELNS1_11target_archE1100ELNS1_3gpuE3ELNS1_3repE0EEENS1_30default_config_static_selectorELNS0_4arch9wavefront6targetE1EEEvT1_.kd
    .uniform_work_group_size: 1
    .uses_dynamic_stack: false
    .vgpr_count:     0
    .vgpr_spill_count: 0
    .wavefront_size: 64
  - .agpr_count:     0
    .args:
      - .offset:         0
        .size:           112
        .value_kind:     by_value
    .group_segment_fixed_size: 0
    .kernarg_segment_align: 8
    .kernarg_segment_size: 112
    .language:       OpenCL C
    .language_version:
      - 2
      - 0
    .max_flat_workgroup_size: 256
    .name:           _ZN7rocprim17ROCPRIM_400000_NS6detail17trampoline_kernelINS0_14default_configENS1_27scan_by_key_config_selectorIiiEEZZNS1_16scan_by_key_implILNS1_25lookback_scan_determinismE0ELb1ES3_N6thrust23THRUST_200600_302600_NS6detail15normal_iteratorINS9_10device_ptrIiEEEESE_SE_iNS9_4plusIiEE19head_flag_predicateiEE10hipError_tPvRmT2_T3_T4_T5_mT6_T7_P12ihipStream_tbENKUlT_T0_E_clISt17integral_constantIbLb0EESY_EEDaST_SU_EUlST_E_NS1_11comp_targetILNS1_3genE8ELNS1_11target_archE1030ELNS1_3gpuE2ELNS1_3repE0EEENS1_30default_config_static_selectorELNS0_4arch9wavefront6targetE1EEEvT1_
    .private_segment_fixed_size: 0
    .sgpr_count:     6
    .sgpr_spill_count: 0
    .symbol:         _ZN7rocprim17ROCPRIM_400000_NS6detail17trampoline_kernelINS0_14default_configENS1_27scan_by_key_config_selectorIiiEEZZNS1_16scan_by_key_implILNS1_25lookback_scan_determinismE0ELb1ES3_N6thrust23THRUST_200600_302600_NS6detail15normal_iteratorINS9_10device_ptrIiEEEESE_SE_iNS9_4plusIiEE19head_flag_predicateiEE10hipError_tPvRmT2_T3_T4_T5_mT6_T7_P12ihipStream_tbENKUlT_T0_E_clISt17integral_constantIbLb0EESY_EEDaST_SU_EUlST_E_NS1_11comp_targetILNS1_3genE8ELNS1_11target_archE1030ELNS1_3gpuE2ELNS1_3repE0EEENS1_30default_config_static_selectorELNS0_4arch9wavefront6targetE1EEEvT1_.kd
    .uniform_work_group_size: 1
    .uses_dynamic_stack: false
    .vgpr_count:     0
    .vgpr_spill_count: 0
    .wavefront_size: 64
  - .agpr_count:     0
    .args:
      - .offset:         0
        .size:           112
        .value_kind:     by_value
    .group_segment_fixed_size: 0
    .kernarg_segment_align: 8
    .kernarg_segment_size: 112
    .language:       OpenCL C
    .language_version:
      - 2
      - 0
    .max_flat_workgroup_size: 256
    .name:           _ZN7rocprim17ROCPRIM_400000_NS6detail17trampoline_kernelINS0_14default_configENS1_27scan_by_key_config_selectorIiiEEZZNS1_16scan_by_key_implILNS1_25lookback_scan_determinismE0ELb1ES3_N6thrust23THRUST_200600_302600_NS6detail15normal_iteratorINS9_10device_ptrIiEEEESE_SE_iNS9_4plusIiEE19head_flag_predicateiEE10hipError_tPvRmT2_T3_T4_T5_mT6_T7_P12ihipStream_tbENKUlT_T0_E_clISt17integral_constantIbLb1EESY_EEDaST_SU_EUlST_E_NS1_11comp_targetILNS1_3genE0ELNS1_11target_archE4294967295ELNS1_3gpuE0ELNS1_3repE0EEENS1_30default_config_static_selectorELNS0_4arch9wavefront6targetE1EEEvT1_
    .private_segment_fixed_size: 0
    .sgpr_count:     6
    .sgpr_spill_count: 0
    .symbol:         _ZN7rocprim17ROCPRIM_400000_NS6detail17trampoline_kernelINS0_14default_configENS1_27scan_by_key_config_selectorIiiEEZZNS1_16scan_by_key_implILNS1_25lookback_scan_determinismE0ELb1ES3_N6thrust23THRUST_200600_302600_NS6detail15normal_iteratorINS9_10device_ptrIiEEEESE_SE_iNS9_4plusIiEE19head_flag_predicateiEE10hipError_tPvRmT2_T3_T4_T5_mT6_T7_P12ihipStream_tbENKUlT_T0_E_clISt17integral_constantIbLb1EESY_EEDaST_SU_EUlST_E_NS1_11comp_targetILNS1_3genE0ELNS1_11target_archE4294967295ELNS1_3gpuE0ELNS1_3repE0EEENS1_30default_config_static_selectorELNS0_4arch9wavefront6targetE1EEEvT1_.kd
    .uniform_work_group_size: 1
    .uses_dynamic_stack: false
    .vgpr_count:     0
    .vgpr_spill_count: 0
    .wavefront_size: 64
  - .agpr_count:     0
    .args:
      - .offset:         0
        .size:           112
        .value_kind:     by_value
    .group_segment_fixed_size: 0
    .kernarg_segment_align: 8
    .kernarg_segment_size: 112
    .language:       OpenCL C
    .language_version:
      - 2
      - 0
    .max_flat_workgroup_size: 256
    .name:           _ZN7rocprim17ROCPRIM_400000_NS6detail17trampoline_kernelINS0_14default_configENS1_27scan_by_key_config_selectorIiiEEZZNS1_16scan_by_key_implILNS1_25lookback_scan_determinismE0ELb1ES3_N6thrust23THRUST_200600_302600_NS6detail15normal_iteratorINS9_10device_ptrIiEEEESE_SE_iNS9_4plusIiEE19head_flag_predicateiEE10hipError_tPvRmT2_T3_T4_T5_mT6_T7_P12ihipStream_tbENKUlT_T0_E_clISt17integral_constantIbLb1EESY_EEDaST_SU_EUlST_E_NS1_11comp_targetILNS1_3genE10ELNS1_11target_archE1201ELNS1_3gpuE5ELNS1_3repE0EEENS1_30default_config_static_selectorELNS0_4arch9wavefront6targetE1EEEvT1_
    .private_segment_fixed_size: 0
    .sgpr_count:     6
    .sgpr_spill_count: 0
    .symbol:         _ZN7rocprim17ROCPRIM_400000_NS6detail17trampoline_kernelINS0_14default_configENS1_27scan_by_key_config_selectorIiiEEZZNS1_16scan_by_key_implILNS1_25lookback_scan_determinismE0ELb1ES3_N6thrust23THRUST_200600_302600_NS6detail15normal_iteratorINS9_10device_ptrIiEEEESE_SE_iNS9_4plusIiEE19head_flag_predicateiEE10hipError_tPvRmT2_T3_T4_T5_mT6_T7_P12ihipStream_tbENKUlT_T0_E_clISt17integral_constantIbLb1EESY_EEDaST_SU_EUlST_E_NS1_11comp_targetILNS1_3genE10ELNS1_11target_archE1201ELNS1_3gpuE5ELNS1_3repE0EEENS1_30default_config_static_selectorELNS0_4arch9wavefront6targetE1EEEvT1_.kd
    .uniform_work_group_size: 1
    .uses_dynamic_stack: false
    .vgpr_count:     0
    .vgpr_spill_count: 0
    .wavefront_size: 64
  - .agpr_count:     0
    .args:
      - .offset:         0
        .size:           112
        .value_kind:     by_value
    .group_segment_fixed_size: 25600
    .kernarg_segment_align: 8
    .kernarg_segment_size: 112
    .language:       OpenCL C
    .language_version:
      - 2
      - 0
    .max_flat_workgroup_size: 256
    .name:           _ZN7rocprim17ROCPRIM_400000_NS6detail17trampoline_kernelINS0_14default_configENS1_27scan_by_key_config_selectorIiiEEZZNS1_16scan_by_key_implILNS1_25lookback_scan_determinismE0ELb1ES3_N6thrust23THRUST_200600_302600_NS6detail15normal_iteratorINS9_10device_ptrIiEEEESE_SE_iNS9_4plusIiEE19head_flag_predicateiEE10hipError_tPvRmT2_T3_T4_T5_mT6_T7_P12ihipStream_tbENKUlT_T0_E_clISt17integral_constantIbLb1EESY_EEDaST_SU_EUlST_E_NS1_11comp_targetILNS1_3genE5ELNS1_11target_archE942ELNS1_3gpuE9ELNS1_3repE0EEENS1_30default_config_static_selectorELNS0_4arch9wavefront6targetE1EEEvT1_
    .private_segment_fixed_size: 0
    .sgpr_count:     86
    .sgpr_spill_count: 0
    .symbol:         _ZN7rocprim17ROCPRIM_400000_NS6detail17trampoline_kernelINS0_14default_configENS1_27scan_by_key_config_selectorIiiEEZZNS1_16scan_by_key_implILNS1_25lookback_scan_determinismE0ELb1ES3_N6thrust23THRUST_200600_302600_NS6detail15normal_iteratorINS9_10device_ptrIiEEEESE_SE_iNS9_4plusIiEE19head_flag_predicateiEE10hipError_tPvRmT2_T3_T4_T5_mT6_T7_P12ihipStream_tbENKUlT_T0_E_clISt17integral_constantIbLb1EESY_EEDaST_SU_EUlST_E_NS1_11comp_targetILNS1_3genE5ELNS1_11target_archE942ELNS1_3gpuE9ELNS1_3repE0EEENS1_30default_config_static_selectorELNS0_4arch9wavefront6targetE1EEEvT1_.kd
    .uniform_work_group_size: 1
    .uses_dynamic_stack: false
    .vgpr_count:     83
    .vgpr_spill_count: 0
    .wavefront_size: 64
  - .agpr_count:     0
    .args:
      - .offset:         0
        .size:           112
        .value_kind:     by_value
    .group_segment_fixed_size: 0
    .kernarg_segment_align: 8
    .kernarg_segment_size: 112
    .language:       OpenCL C
    .language_version:
      - 2
      - 0
    .max_flat_workgroup_size: 256
    .name:           _ZN7rocprim17ROCPRIM_400000_NS6detail17trampoline_kernelINS0_14default_configENS1_27scan_by_key_config_selectorIiiEEZZNS1_16scan_by_key_implILNS1_25lookback_scan_determinismE0ELb1ES3_N6thrust23THRUST_200600_302600_NS6detail15normal_iteratorINS9_10device_ptrIiEEEESE_SE_iNS9_4plusIiEE19head_flag_predicateiEE10hipError_tPvRmT2_T3_T4_T5_mT6_T7_P12ihipStream_tbENKUlT_T0_E_clISt17integral_constantIbLb1EESY_EEDaST_SU_EUlST_E_NS1_11comp_targetILNS1_3genE4ELNS1_11target_archE910ELNS1_3gpuE8ELNS1_3repE0EEENS1_30default_config_static_selectorELNS0_4arch9wavefront6targetE1EEEvT1_
    .private_segment_fixed_size: 0
    .sgpr_count:     6
    .sgpr_spill_count: 0
    .symbol:         _ZN7rocprim17ROCPRIM_400000_NS6detail17trampoline_kernelINS0_14default_configENS1_27scan_by_key_config_selectorIiiEEZZNS1_16scan_by_key_implILNS1_25lookback_scan_determinismE0ELb1ES3_N6thrust23THRUST_200600_302600_NS6detail15normal_iteratorINS9_10device_ptrIiEEEESE_SE_iNS9_4plusIiEE19head_flag_predicateiEE10hipError_tPvRmT2_T3_T4_T5_mT6_T7_P12ihipStream_tbENKUlT_T0_E_clISt17integral_constantIbLb1EESY_EEDaST_SU_EUlST_E_NS1_11comp_targetILNS1_3genE4ELNS1_11target_archE910ELNS1_3gpuE8ELNS1_3repE0EEENS1_30default_config_static_selectorELNS0_4arch9wavefront6targetE1EEEvT1_.kd
    .uniform_work_group_size: 1
    .uses_dynamic_stack: false
    .vgpr_count:     0
    .vgpr_spill_count: 0
    .wavefront_size: 64
  - .agpr_count:     0
    .args:
      - .offset:         0
        .size:           112
        .value_kind:     by_value
    .group_segment_fixed_size: 0
    .kernarg_segment_align: 8
    .kernarg_segment_size: 112
    .language:       OpenCL C
    .language_version:
      - 2
      - 0
    .max_flat_workgroup_size: 256
    .name:           _ZN7rocprim17ROCPRIM_400000_NS6detail17trampoline_kernelINS0_14default_configENS1_27scan_by_key_config_selectorIiiEEZZNS1_16scan_by_key_implILNS1_25lookback_scan_determinismE0ELb1ES3_N6thrust23THRUST_200600_302600_NS6detail15normal_iteratorINS9_10device_ptrIiEEEESE_SE_iNS9_4plusIiEE19head_flag_predicateiEE10hipError_tPvRmT2_T3_T4_T5_mT6_T7_P12ihipStream_tbENKUlT_T0_E_clISt17integral_constantIbLb1EESY_EEDaST_SU_EUlST_E_NS1_11comp_targetILNS1_3genE3ELNS1_11target_archE908ELNS1_3gpuE7ELNS1_3repE0EEENS1_30default_config_static_selectorELNS0_4arch9wavefront6targetE1EEEvT1_
    .private_segment_fixed_size: 0
    .sgpr_count:     6
    .sgpr_spill_count: 0
    .symbol:         _ZN7rocprim17ROCPRIM_400000_NS6detail17trampoline_kernelINS0_14default_configENS1_27scan_by_key_config_selectorIiiEEZZNS1_16scan_by_key_implILNS1_25lookback_scan_determinismE0ELb1ES3_N6thrust23THRUST_200600_302600_NS6detail15normal_iteratorINS9_10device_ptrIiEEEESE_SE_iNS9_4plusIiEE19head_flag_predicateiEE10hipError_tPvRmT2_T3_T4_T5_mT6_T7_P12ihipStream_tbENKUlT_T0_E_clISt17integral_constantIbLb1EESY_EEDaST_SU_EUlST_E_NS1_11comp_targetILNS1_3genE3ELNS1_11target_archE908ELNS1_3gpuE7ELNS1_3repE0EEENS1_30default_config_static_selectorELNS0_4arch9wavefront6targetE1EEEvT1_.kd
    .uniform_work_group_size: 1
    .uses_dynamic_stack: false
    .vgpr_count:     0
    .vgpr_spill_count: 0
    .wavefront_size: 64
  - .agpr_count:     0
    .args:
      - .offset:         0
        .size:           112
        .value_kind:     by_value
    .group_segment_fixed_size: 0
    .kernarg_segment_align: 8
    .kernarg_segment_size: 112
    .language:       OpenCL C
    .language_version:
      - 2
      - 0
    .max_flat_workgroup_size: 256
    .name:           _ZN7rocprim17ROCPRIM_400000_NS6detail17trampoline_kernelINS0_14default_configENS1_27scan_by_key_config_selectorIiiEEZZNS1_16scan_by_key_implILNS1_25lookback_scan_determinismE0ELb1ES3_N6thrust23THRUST_200600_302600_NS6detail15normal_iteratorINS9_10device_ptrIiEEEESE_SE_iNS9_4plusIiEE19head_flag_predicateiEE10hipError_tPvRmT2_T3_T4_T5_mT6_T7_P12ihipStream_tbENKUlT_T0_E_clISt17integral_constantIbLb1EESY_EEDaST_SU_EUlST_E_NS1_11comp_targetILNS1_3genE2ELNS1_11target_archE906ELNS1_3gpuE6ELNS1_3repE0EEENS1_30default_config_static_selectorELNS0_4arch9wavefront6targetE1EEEvT1_
    .private_segment_fixed_size: 0
    .sgpr_count:     6
    .sgpr_spill_count: 0
    .symbol:         _ZN7rocprim17ROCPRIM_400000_NS6detail17trampoline_kernelINS0_14default_configENS1_27scan_by_key_config_selectorIiiEEZZNS1_16scan_by_key_implILNS1_25lookback_scan_determinismE0ELb1ES3_N6thrust23THRUST_200600_302600_NS6detail15normal_iteratorINS9_10device_ptrIiEEEESE_SE_iNS9_4plusIiEE19head_flag_predicateiEE10hipError_tPvRmT2_T3_T4_T5_mT6_T7_P12ihipStream_tbENKUlT_T0_E_clISt17integral_constantIbLb1EESY_EEDaST_SU_EUlST_E_NS1_11comp_targetILNS1_3genE2ELNS1_11target_archE906ELNS1_3gpuE6ELNS1_3repE0EEENS1_30default_config_static_selectorELNS0_4arch9wavefront6targetE1EEEvT1_.kd
    .uniform_work_group_size: 1
    .uses_dynamic_stack: false
    .vgpr_count:     0
    .vgpr_spill_count: 0
    .wavefront_size: 64
  - .agpr_count:     0
    .args:
      - .offset:         0
        .size:           112
        .value_kind:     by_value
    .group_segment_fixed_size: 0
    .kernarg_segment_align: 8
    .kernarg_segment_size: 112
    .language:       OpenCL C
    .language_version:
      - 2
      - 0
    .max_flat_workgroup_size: 256
    .name:           _ZN7rocprim17ROCPRIM_400000_NS6detail17trampoline_kernelINS0_14default_configENS1_27scan_by_key_config_selectorIiiEEZZNS1_16scan_by_key_implILNS1_25lookback_scan_determinismE0ELb1ES3_N6thrust23THRUST_200600_302600_NS6detail15normal_iteratorINS9_10device_ptrIiEEEESE_SE_iNS9_4plusIiEE19head_flag_predicateiEE10hipError_tPvRmT2_T3_T4_T5_mT6_T7_P12ihipStream_tbENKUlT_T0_E_clISt17integral_constantIbLb1EESY_EEDaST_SU_EUlST_E_NS1_11comp_targetILNS1_3genE10ELNS1_11target_archE1200ELNS1_3gpuE4ELNS1_3repE0EEENS1_30default_config_static_selectorELNS0_4arch9wavefront6targetE1EEEvT1_
    .private_segment_fixed_size: 0
    .sgpr_count:     6
    .sgpr_spill_count: 0
    .symbol:         _ZN7rocprim17ROCPRIM_400000_NS6detail17trampoline_kernelINS0_14default_configENS1_27scan_by_key_config_selectorIiiEEZZNS1_16scan_by_key_implILNS1_25lookback_scan_determinismE0ELb1ES3_N6thrust23THRUST_200600_302600_NS6detail15normal_iteratorINS9_10device_ptrIiEEEESE_SE_iNS9_4plusIiEE19head_flag_predicateiEE10hipError_tPvRmT2_T3_T4_T5_mT6_T7_P12ihipStream_tbENKUlT_T0_E_clISt17integral_constantIbLb1EESY_EEDaST_SU_EUlST_E_NS1_11comp_targetILNS1_3genE10ELNS1_11target_archE1200ELNS1_3gpuE4ELNS1_3repE0EEENS1_30default_config_static_selectorELNS0_4arch9wavefront6targetE1EEEvT1_.kd
    .uniform_work_group_size: 1
    .uses_dynamic_stack: false
    .vgpr_count:     0
    .vgpr_spill_count: 0
    .wavefront_size: 64
  - .agpr_count:     0
    .args:
      - .offset:         0
        .size:           112
        .value_kind:     by_value
    .group_segment_fixed_size: 0
    .kernarg_segment_align: 8
    .kernarg_segment_size: 112
    .language:       OpenCL C
    .language_version:
      - 2
      - 0
    .max_flat_workgroup_size: 256
    .name:           _ZN7rocprim17ROCPRIM_400000_NS6detail17trampoline_kernelINS0_14default_configENS1_27scan_by_key_config_selectorIiiEEZZNS1_16scan_by_key_implILNS1_25lookback_scan_determinismE0ELb1ES3_N6thrust23THRUST_200600_302600_NS6detail15normal_iteratorINS9_10device_ptrIiEEEESE_SE_iNS9_4plusIiEE19head_flag_predicateiEE10hipError_tPvRmT2_T3_T4_T5_mT6_T7_P12ihipStream_tbENKUlT_T0_E_clISt17integral_constantIbLb1EESY_EEDaST_SU_EUlST_E_NS1_11comp_targetILNS1_3genE9ELNS1_11target_archE1100ELNS1_3gpuE3ELNS1_3repE0EEENS1_30default_config_static_selectorELNS0_4arch9wavefront6targetE1EEEvT1_
    .private_segment_fixed_size: 0
    .sgpr_count:     6
    .sgpr_spill_count: 0
    .symbol:         _ZN7rocprim17ROCPRIM_400000_NS6detail17trampoline_kernelINS0_14default_configENS1_27scan_by_key_config_selectorIiiEEZZNS1_16scan_by_key_implILNS1_25lookback_scan_determinismE0ELb1ES3_N6thrust23THRUST_200600_302600_NS6detail15normal_iteratorINS9_10device_ptrIiEEEESE_SE_iNS9_4plusIiEE19head_flag_predicateiEE10hipError_tPvRmT2_T3_T4_T5_mT6_T7_P12ihipStream_tbENKUlT_T0_E_clISt17integral_constantIbLb1EESY_EEDaST_SU_EUlST_E_NS1_11comp_targetILNS1_3genE9ELNS1_11target_archE1100ELNS1_3gpuE3ELNS1_3repE0EEENS1_30default_config_static_selectorELNS0_4arch9wavefront6targetE1EEEvT1_.kd
    .uniform_work_group_size: 1
    .uses_dynamic_stack: false
    .vgpr_count:     0
    .vgpr_spill_count: 0
    .wavefront_size: 64
  - .agpr_count:     0
    .args:
      - .offset:         0
        .size:           112
        .value_kind:     by_value
    .group_segment_fixed_size: 0
    .kernarg_segment_align: 8
    .kernarg_segment_size: 112
    .language:       OpenCL C
    .language_version:
      - 2
      - 0
    .max_flat_workgroup_size: 256
    .name:           _ZN7rocprim17ROCPRIM_400000_NS6detail17trampoline_kernelINS0_14default_configENS1_27scan_by_key_config_selectorIiiEEZZNS1_16scan_by_key_implILNS1_25lookback_scan_determinismE0ELb1ES3_N6thrust23THRUST_200600_302600_NS6detail15normal_iteratorINS9_10device_ptrIiEEEESE_SE_iNS9_4plusIiEE19head_flag_predicateiEE10hipError_tPvRmT2_T3_T4_T5_mT6_T7_P12ihipStream_tbENKUlT_T0_E_clISt17integral_constantIbLb1EESY_EEDaST_SU_EUlST_E_NS1_11comp_targetILNS1_3genE8ELNS1_11target_archE1030ELNS1_3gpuE2ELNS1_3repE0EEENS1_30default_config_static_selectorELNS0_4arch9wavefront6targetE1EEEvT1_
    .private_segment_fixed_size: 0
    .sgpr_count:     6
    .sgpr_spill_count: 0
    .symbol:         _ZN7rocprim17ROCPRIM_400000_NS6detail17trampoline_kernelINS0_14default_configENS1_27scan_by_key_config_selectorIiiEEZZNS1_16scan_by_key_implILNS1_25lookback_scan_determinismE0ELb1ES3_N6thrust23THRUST_200600_302600_NS6detail15normal_iteratorINS9_10device_ptrIiEEEESE_SE_iNS9_4plusIiEE19head_flag_predicateiEE10hipError_tPvRmT2_T3_T4_T5_mT6_T7_P12ihipStream_tbENKUlT_T0_E_clISt17integral_constantIbLb1EESY_EEDaST_SU_EUlST_E_NS1_11comp_targetILNS1_3genE8ELNS1_11target_archE1030ELNS1_3gpuE2ELNS1_3repE0EEENS1_30default_config_static_selectorELNS0_4arch9wavefront6targetE1EEEvT1_.kd
    .uniform_work_group_size: 1
    .uses_dynamic_stack: false
    .vgpr_count:     0
    .vgpr_spill_count: 0
    .wavefront_size: 64
  - .agpr_count:     0
    .args:
      - .offset:         0
        .size:           112
        .value_kind:     by_value
    .group_segment_fixed_size: 0
    .kernarg_segment_align: 8
    .kernarg_segment_size: 112
    .language:       OpenCL C
    .language_version:
      - 2
      - 0
    .max_flat_workgroup_size: 256
    .name:           _ZN7rocprim17ROCPRIM_400000_NS6detail17trampoline_kernelINS0_14default_configENS1_27scan_by_key_config_selectorIiiEEZZNS1_16scan_by_key_implILNS1_25lookback_scan_determinismE0ELb1ES3_N6thrust23THRUST_200600_302600_NS6detail15normal_iteratorINS9_10device_ptrIiEEEESE_SE_iNS9_4plusIiEE19head_flag_predicateiEE10hipError_tPvRmT2_T3_T4_T5_mT6_T7_P12ihipStream_tbENKUlT_T0_E_clISt17integral_constantIbLb1EESX_IbLb0EEEEDaST_SU_EUlST_E_NS1_11comp_targetILNS1_3genE0ELNS1_11target_archE4294967295ELNS1_3gpuE0ELNS1_3repE0EEENS1_30default_config_static_selectorELNS0_4arch9wavefront6targetE1EEEvT1_
    .private_segment_fixed_size: 0
    .sgpr_count:     6
    .sgpr_spill_count: 0
    .symbol:         _ZN7rocprim17ROCPRIM_400000_NS6detail17trampoline_kernelINS0_14default_configENS1_27scan_by_key_config_selectorIiiEEZZNS1_16scan_by_key_implILNS1_25lookback_scan_determinismE0ELb1ES3_N6thrust23THRUST_200600_302600_NS6detail15normal_iteratorINS9_10device_ptrIiEEEESE_SE_iNS9_4plusIiEE19head_flag_predicateiEE10hipError_tPvRmT2_T3_T4_T5_mT6_T7_P12ihipStream_tbENKUlT_T0_E_clISt17integral_constantIbLb1EESX_IbLb0EEEEDaST_SU_EUlST_E_NS1_11comp_targetILNS1_3genE0ELNS1_11target_archE4294967295ELNS1_3gpuE0ELNS1_3repE0EEENS1_30default_config_static_selectorELNS0_4arch9wavefront6targetE1EEEvT1_.kd
    .uniform_work_group_size: 1
    .uses_dynamic_stack: false
    .vgpr_count:     0
    .vgpr_spill_count: 0
    .wavefront_size: 64
  - .agpr_count:     0
    .args:
      - .offset:         0
        .size:           112
        .value_kind:     by_value
    .group_segment_fixed_size: 0
    .kernarg_segment_align: 8
    .kernarg_segment_size: 112
    .language:       OpenCL C
    .language_version:
      - 2
      - 0
    .max_flat_workgroup_size: 256
    .name:           _ZN7rocprim17ROCPRIM_400000_NS6detail17trampoline_kernelINS0_14default_configENS1_27scan_by_key_config_selectorIiiEEZZNS1_16scan_by_key_implILNS1_25lookback_scan_determinismE0ELb1ES3_N6thrust23THRUST_200600_302600_NS6detail15normal_iteratorINS9_10device_ptrIiEEEESE_SE_iNS9_4plusIiEE19head_flag_predicateiEE10hipError_tPvRmT2_T3_T4_T5_mT6_T7_P12ihipStream_tbENKUlT_T0_E_clISt17integral_constantIbLb1EESX_IbLb0EEEEDaST_SU_EUlST_E_NS1_11comp_targetILNS1_3genE10ELNS1_11target_archE1201ELNS1_3gpuE5ELNS1_3repE0EEENS1_30default_config_static_selectorELNS0_4arch9wavefront6targetE1EEEvT1_
    .private_segment_fixed_size: 0
    .sgpr_count:     6
    .sgpr_spill_count: 0
    .symbol:         _ZN7rocprim17ROCPRIM_400000_NS6detail17trampoline_kernelINS0_14default_configENS1_27scan_by_key_config_selectorIiiEEZZNS1_16scan_by_key_implILNS1_25lookback_scan_determinismE0ELb1ES3_N6thrust23THRUST_200600_302600_NS6detail15normal_iteratorINS9_10device_ptrIiEEEESE_SE_iNS9_4plusIiEE19head_flag_predicateiEE10hipError_tPvRmT2_T3_T4_T5_mT6_T7_P12ihipStream_tbENKUlT_T0_E_clISt17integral_constantIbLb1EESX_IbLb0EEEEDaST_SU_EUlST_E_NS1_11comp_targetILNS1_3genE10ELNS1_11target_archE1201ELNS1_3gpuE5ELNS1_3repE0EEENS1_30default_config_static_selectorELNS0_4arch9wavefront6targetE1EEEvT1_.kd
    .uniform_work_group_size: 1
    .uses_dynamic_stack: false
    .vgpr_count:     0
    .vgpr_spill_count: 0
    .wavefront_size: 64
  - .agpr_count:     0
    .args:
      - .offset:         0
        .size:           112
        .value_kind:     by_value
    .group_segment_fixed_size: 25600
    .kernarg_segment_align: 8
    .kernarg_segment_size: 112
    .language:       OpenCL C
    .language_version:
      - 2
      - 0
    .max_flat_workgroup_size: 256
    .name:           _ZN7rocprim17ROCPRIM_400000_NS6detail17trampoline_kernelINS0_14default_configENS1_27scan_by_key_config_selectorIiiEEZZNS1_16scan_by_key_implILNS1_25lookback_scan_determinismE0ELb1ES3_N6thrust23THRUST_200600_302600_NS6detail15normal_iteratorINS9_10device_ptrIiEEEESE_SE_iNS9_4plusIiEE19head_flag_predicateiEE10hipError_tPvRmT2_T3_T4_T5_mT6_T7_P12ihipStream_tbENKUlT_T0_E_clISt17integral_constantIbLb1EESX_IbLb0EEEEDaST_SU_EUlST_E_NS1_11comp_targetILNS1_3genE5ELNS1_11target_archE942ELNS1_3gpuE9ELNS1_3repE0EEENS1_30default_config_static_selectorELNS0_4arch9wavefront6targetE1EEEvT1_
    .private_segment_fixed_size: 0
    .sgpr_count:     86
    .sgpr_spill_count: 0
    .symbol:         _ZN7rocprim17ROCPRIM_400000_NS6detail17trampoline_kernelINS0_14default_configENS1_27scan_by_key_config_selectorIiiEEZZNS1_16scan_by_key_implILNS1_25lookback_scan_determinismE0ELb1ES3_N6thrust23THRUST_200600_302600_NS6detail15normal_iteratorINS9_10device_ptrIiEEEESE_SE_iNS9_4plusIiEE19head_flag_predicateiEE10hipError_tPvRmT2_T3_T4_T5_mT6_T7_P12ihipStream_tbENKUlT_T0_E_clISt17integral_constantIbLb1EESX_IbLb0EEEEDaST_SU_EUlST_E_NS1_11comp_targetILNS1_3genE5ELNS1_11target_archE942ELNS1_3gpuE9ELNS1_3repE0EEENS1_30default_config_static_selectorELNS0_4arch9wavefront6targetE1EEEvT1_.kd
    .uniform_work_group_size: 1
    .uses_dynamic_stack: false
    .vgpr_count:     81
    .vgpr_spill_count: 0
    .wavefront_size: 64
  - .agpr_count:     0
    .args:
      - .offset:         0
        .size:           112
        .value_kind:     by_value
    .group_segment_fixed_size: 0
    .kernarg_segment_align: 8
    .kernarg_segment_size: 112
    .language:       OpenCL C
    .language_version:
      - 2
      - 0
    .max_flat_workgroup_size: 256
    .name:           _ZN7rocprim17ROCPRIM_400000_NS6detail17trampoline_kernelINS0_14default_configENS1_27scan_by_key_config_selectorIiiEEZZNS1_16scan_by_key_implILNS1_25lookback_scan_determinismE0ELb1ES3_N6thrust23THRUST_200600_302600_NS6detail15normal_iteratorINS9_10device_ptrIiEEEESE_SE_iNS9_4plusIiEE19head_flag_predicateiEE10hipError_tPvRmT2_T3_T4_T5_mT6_T7_P12ihipStream_tbENKUlT_T0_E_clISt17integral_constantIbLb1EESX_IbLb0EEEEDaST_SU_EUlST_E_NS1_11comp_targetILNS1_3genE4ELNS1_11target_archE910ELNS1_3gpuE8ELNS1_3repE0EEENS1_30default_config_static_selectorELNS0_4arch9wavefront6targetE1EEEvT1_
    .private_segment_fixed_size: 0
    .sgpr_count:     6
    .sgpr_spill_count: 0
    .symbol:         _ZN7rocprim17ROCPRIM_400000_NS6detail17trampoline_kernelINS0_14default_configENS1_27scan_by_key_config_selectorIiiEEZZNS1_16scan_by_key_implILNS1_25lookback_scan_determinismE0ELb1ES3_N6thrust23THRUST_200600_302600_NS6detail15normal_iteratorINS9_10device_ptrIiEEEESE_SE_iNS9_4plusIiEE19head_flag_predicateiEE10hipError_tPvRmT2_T3_T4_T5_mT6_T7_P12ihipStream_tbENKUlT_T0_E_clISt17integral_constantIbLb1EESX_IbLb0EEEEDaST_SU_EUlST_E_NS1_11comp_targetILNS1_3genE4ELNS1_11target_archE910ELNS1_3gpuE8ELNS1_3repE0EEENS1_30default_config_static_selectorELNS0_4arch9wavefront6targetE1EEEvT1_.kd
    .uniform_work_group_size: 1
    .uses_dynamic_stack: false
    .vgpr_count:     0
    .vgpr_spill_count: 0
    .wavefront_size: 64
  - .agpr_count:     0
    .args:
      - .offset:         0
        .size:           112
        .value_kind:     by_value
    .group_segment_fixed_size: 0
    .kernarg_segment_align: 8
    .kernarg_segment_size: 112
    .language:       OpenCL C
    .language_version:
      - 2
      - 0
    .max_flat_workgroup_size: 256
    .name:           _ZN7rocprim17ROCPRIM_400000_NS6detail17trampoline_kernelINS0_14default_configENS1_27scan_by_key_config_selectorIiiEEZZNS1_16scan_by_key_implILNS1_25lookback_scan_determinismE0ELb1ES3_N6thrust23THRUST_200600_302600_NS6detail15normal_iteratorINS9_10device_ptrIiEEEESE_SE_iNS9_4plusIiEE19head_flag_predicateiEE10hipError_tPvRmT2_T3_T4_T5_mT6_T7_P12ihipStream_tbENKUlT_T0_E_clISt17integral_constantIbLb1EESX_IbLb0EEEEDaST_SU_EUlST_E_NS1_11comp_targetILNS1_3genE3ELNS1_11target_archE908ELNS1_3gpuE7ELNS1_3repE0EEENS1_30default_config_static_selectorELNS0_4arch9wavefront6targetE1EEEvT1_
    .private_segment_fixed_size: 0
    .sgpr_count:     6
    .sgpr_spill_count: 0
    .symbol:         _ZN7rocprim17ROCPRIM_400000_NS6detail17trampoline_kernelINS0_14default_configENS1_27scan_by_key_config_selectorIiiEEZZNS1_16scan_by_key_implILNS1_25lookback_scan_determinismE0ELb1ES3_N6thrust23THRUST_200600_302600_NS6detail15normal_iteratorINS9_10device_ptrIiEEEESE_SE_iNS9_4plusIiEE19head_flag_predicateiEE10hipError_tPvRmT2_T3_T4_T5_mT6_T7_P12ihipStream_tbENKUlT_T0_E_clISt17integral_constantIbLb1EESX_IbLb0EEEEDaST_SU_EUlST_E_NS1_11comp_targetILNS1_3genE3ELNS1_11target_archE908ELNS1_3gpuE7ELNS1_3repE0EEENS1_30default_config_static_selectorELNS0_4arch9wavefront6targetE1EEEvT1_.kd
    .uniform_work_group_size: 1
    .uses_dynamic_stack: false
    .vgpr_count:     0
    .vgpr_spill_count: 0
    .wavefront_size: 64
  - .agpr_count:     0
    .args:
      - .offset:         0
        .size:           112
        .value_kind:     by_value
    .group_segment_fixed_size: 0
    .kernarg_segment_align: 8
    .kernarg_segment_size: 112
    .language:       OpenCL C
    .language_version:
      - 2
      - 0
    .max_flat_workgroup_size: 256
    .name:           _ZN7rocprim17ROCPRIM_400000_NS6detail17trampoline_kernelINS0_14default_configENS1_27scan_by_key_config_selectorIiiEEZZNS1_16scan_by_key_implILNS1_25lookback_scan_determinismE0ELb1ES3_N6thrust23THRUST_200600_302600_NS6detail15normal_iteratorINS9_10device_ptrIiEEEESE_SE_iNS9_4plusIiEE19head_flag_predicateiEE10hipError_tPvRmT2_T3_T4_T5_mT6_T7_P12ihipStream_tbENKUlT_T0_E_clISt17integral_constantIbLb1EESX_IbLb0EEEEDaST_SU_EUlST_E_NS1_11comp_targetILNS1_3genE2ELNS1_11target_archE906ELNS1_3gpuE6ELNS1_3repE0EEENS1_30default_config_static_selectorELNS0_4arch9wavefront6targetE1EEEvT1_
    .private_segment_fixed_size: 0
    .sgpr_count:     6
    .sgpr_spill_count: 0
    .symbol:         _ZN7rocprim17ROCPRIM_400000_NS6detail17trampoline_kernelINS0_14default_configENS1_27scan_by_key_config_selectorIiiEEZZNS1_16scan_by_key_implILNS1_25lookback_scan_determinismE0ELb1ES3_N6thrust23THRUST_200600_302600_NS6detail15normal_iteratorINS9_10device_ptrIiEEEESE_SE_iNS9_4plusIiEE19head_flag_predicateiEE10hipError_tPvRmT2_T3_T4_T5_mT6_T7_P12ihipStream_tbENKUlT_T0_E_clISt17integral_constantIbLb1EESX_IbLb0EEEEDaST_SU_EUlST_E_NS1_11comp_targetILNS1_3genE2ELNS1_11target_archE906ELNS1_3gpuE6ELNS1_3repE0EEENS1_30default_config_static_selectorELNS0_4arch9wavefront6targetE1EEEvT1_.kd
    .uniform_work_group_size: 1
    .uses_dynamic_stack: false
    .vgpr_count:     0
    .vgpr_spill_count: 0
    .wavefront_size: 64
  - .agpr_count:     0
    .args:
      - .offset:         0
        .size:           112
        .value_kind:     by_value
    .group_segment_fixed_size: 0
    .kernarg_segment_align: 8
    .kernarg_segment_size: 112
    .language:       OpenCL C
    .language_version:
      - 2
      - 0
    .max_flat_workgroup_size: 256
    .name:           _ZN7rocprim17ROCPRIM_400000_NS6detail17trampoline_kernelINS0_14default_configENS1_27scan_by_key_config_selectorIiiEEZZNS1_16scan_by_key_implILNS1_25lookback_scan_determinismE0ELb1ES3_N6thrust23THRUST_200600_302600_NS6detail15normal_iteratorINS9_10device_ptrIiEEEESE_SE_iNS9_4plusIiEE19head_flag_predicateiEE10hipError_tPvRmT2_T3_T4_T5_mT6_T7_P12ihipStream_tbENKUlT_T0_E_clISt17integral_constantIbLb1EESX_IbLb0EEEEDaST_SU_EUlST_E_NS1_11comp_targetILNS1_3genE10ELNS1_11target_archE1200ELNS1_3gpuE4ELNS1_3repE0EEENS1_30default_config_static_selectorELNS0_4arch9wavefront6targetE1EEEvT1_
    .private_segment_fixed_size: 0
    .sgpr_count:     6
    .sgpr_spill_count: 0
    .symbol:         _ZN7rocprim17ROCPRIM_400000_NS6detail17trampoline_kernelINS0_14default_configENS1_27scan_by_key_config_selectorIiiEEZZNS1_16scan_by_key_implILNS1_25lookback_scan_determinismE0ELb1ES3_N6thrust23THRUST_200600_302600_NS6detail15normal_iteratorINS9_10device_ptrIiEEEESE_SE_iNS9_4plusIiEE19head_flag_predicateiEE10hipError_tPvRmT2_T3_T4_T5_mT6_T7_P12ihipStream_tbENKUlT_T0_E_clISt17integral_constantIbLb1EESX_IbLb0EEEEDaST_SU_EUlST_E_NS1_11comp_targetILNS1_3genE10ELNS1_11target_archE1200ELNS1_3gpuE4ELNS1_3repE0EEENS1_30default_config_static_selectorELNS0_4arch9wavefront6targetE1EEEvT1_.kd
    .uniform_work_group_size: 1
    .uses_dynamic_stack: false
    .vgpr_count:     0
    .vgpr_spill_count: 0
    .wavefront_size: 64
  - .agpr_count:     0
    .args:
      - .offset:         0
        .size:           112
        .value_kind:     by_value
    .group_segment_fixed_size: 0
    .kernarg_segment_align: 8
    .kernarg_segment_size: 112
    .language:       OpenCL C
    .language_version:
      - 2
      - 0
    .max_flat_workgroup_size: 256
    .name:           _ZN7rocprim17ROCPRIM_400000_NS6detail17trampoline_kernelINS0_14default_configENS1_27scan_by_key_config_selectorIiiEEZZNS1_16scan_by_key_implILNS1_25lookback_scan_determinismE0ELb1ES3_N6thrust23THRUST_200600_302600_NS6detail15normal_iteratorINS9_10device_ptrIiEEEESE_SE_iNS9_4plusIiEE19head_flag_predicateiEE10hipError_tPvRmT2_T3_T4_T5_mT6_T7_P12ihipStream_tbENKUlT_T0_E_clISt17integral_constantIbLb1EESX_IbLb0EEEEDaST_SU_EUlST_E_NS1_11comp_targetILNS1_3genE9ELNS1_11target_archE1100ELNS1_3gpuE3ELNS1_3repE0EEENS1_30default_config_static_selectorELNS0_4arch9wavefront6targetE1EEEvT1_
    .private_segment_fixed_size: 0
    .sgpr_count:     6
    .sgpr_spill_count: 0
    .symbol:         _ZN7rocprim17ROCPRIM_400000_NS6detail17trampoline_kernelINS0_14default_configENS1_27scan_by_key_config_selectorIiiEEZZNS1_16scan_by_key_implILNS1_25lookback_scan_determinismE0ELb1ES3_N6thrust23THRUST_200600_302600_NS6detail15normal_iteratorINS9_10device_ptrIiEEEESE_SE_iNS9_4plusIiEE19head_flag_predicateiEE10hipError_tPvRmT2_T3_T4_T5_mT6_T7_P12ihipStream_tbENKUlT_T0_E_clISt17integral_constantIbLb1EESX_IbLb0EEEEDaST_SU_EUlST_E_NS1_11comp_targetILNS1_3genE9ELNS1_11target_archE1100ELNS1_3gpuE3ELNS1_3repE0EEENS1_30default_config_static_selectorELNS0_4arch9wavefront6targetE1EEEvT1_.kd
    .uniform_work_group_size: 1
    .uses_dynamic_stack: false
    .vgpr_count:     0
    .vgpr_spill_count: 0
    .wavefront_size: 64
  - .agpr_count:     0
    .args:
      - .offset:         0
        .size:           112
        .value_kind:     by_value
    .group_segment_fixed_size: 0
    .kernarg_segment_align: 8
    .kernarg_segment_size: 112
    .language:       OpenCL C
    .language_version:
      - 2
      - 0
    .max_flat_workgroup_size: 256
    .name:           _ZN7rocprim17ROCPRIM_400000_NS6detail17trampoline_kernelINS0_14default_configENS1_27scan_by_key_config_selectorIiiEEZZNS1_16scan_by_key_implILNS1_25lookback_scan_determinismE0ELb1ES3_N6thrust23THRUST_200600_302600_NS6detail15normal_iteratorINS9_10device_ptrIiEEEESE_SE_iNS9_4plusIiEE19head_flag_predicateiEE10hipError_tPvRmT2_T3_T4_T5_mT6_T7_P12ihipStream_tbENKUlT_T0_E_clISt17integral_constantIbLb1EESX_IbLb0EEEEDaST_SU_EUlST_E_NS1_11comp_targetILNS1_3genE8ELNS1_11target_archE1030ELNS1_3gpuE2ELNS1_3repE0EEENS1_30default_config_static_selectorELNS0_4arch9wavefront6targetE1EEEvT1_
    .private_segment_fixed_size: 0
    .sgpr_count:     6
    .sgpr_spill_count: 0
    .symbol:         _ZN7rocprim17ROCPRIM_400000_NS6detail17trampoline_kernelINS0_14default_configENS1_27scan_by_key_config_selectorIiiEEZZNS1_16scan_by_key_implILNS1_25lookback_scan_determinismE0ELb1ES3_N6thrust23THRUST_200600_302600_NS6detail15normal_iteratorINS9_10device_ptrIiEEEESE_SE_iNS9_4plusIiEE19head_flag_predicateiEE10hipError_tPvRmT2_T3_T4_T5_mT6_T7_P12ihipStream_tbENKUlT_T0_E_clISt17integral_constantIbLb1EESX_IbLb0EEEEDaST_SU_EUlST_E_NS1_11comp_targetILNS1_3genE8ELNS1_11target_archE1030ELNS1_3gpuE2ELNS1_3repE0EEENS1_30default_config_static_selectorELNS0_4arch9wavefront6targetE1EEEvT1_.kd
    .uniform_work_group_size: 1
    .uses_dynamic_stack: false
    .vgpr_count:     0
    .vgpr_spill_count: 0
    .wavefront_size: 64
  - .agpr_count:     0
    .args:
      - .offset:         0
        .size:           112
        .value_kind:     by_value
    .group_segment_fixed_size: 0
    .kernarg_segment_align: 8
    .kernarg_segment_size: 112
    .language:       OpenCL C
    .language_version:
      - 2
      - 0
    .max_flat_workgroup_size: 256
    .name:           _ZN7rocprim17ROCPRIM_400000_NS6detail17trampoline_kernelINS0_14default_configENS1_27scan_by_key_config_selectorIiiEEZZNS1_16scan_by_key_implILNS1_25lookback_scan_determinismE0ELb1ES3_N6thrust23THRUST_200600_302600_NS6detail15normal_iteratorINS9_10device_ptrIiEEEESE_SE_iNS9_4plusIiEE19head_flag_predicateiEE10hipError_tPvRmT2_T3_T4_T5_mT6_T7_P12ihipStream_tbENKUlT_T0_E_clISt17integral_constantIbLb0EESX_IbLb1EEEEDaST_SU_EUlST_E_NS1_11comp_targetILNS1_3genE0ELNS1_11target_archE4294967295ELNS1_3gpuE0ELNS1_3repE0EEENS1_30default_config_static_selectorELNS0_4arch9wavefront6targetE1EEEvT1_
    .private_segment_fixed_size: 0
    .sgpr_count:     6
    .sgpr_spill_count: 0
    .symbol:         _ZN7rocprim17ROCPRIM_400000_NS6detail17trampoline_kernelINS0_14default_configENS1_27scan_by_key_config_selectorIiiEEZZNS1_16scan_by_key_implILNS1_25lookback_scan_determinismE0ELb1ES3_N6thrust23THRUST_200600_302600_NS6detail15normal_iteratorINS9_10device_ptrIiEEEESE_SE_iNS9_4plusIiEE19head_flag_predicateiEE10hipError_tPvRmT2_T3_T4_T5_mT6_T7_P12ihipStream_tbENKUlT_T0_E_clISt17integral_constantIbLb0EESX_IbLb1EEEEDaST_SU_EUlST_E_NS1_11comp_targetILNS1_3genE0ELNS1_11target_archE4294967295ELNS1_3gpuE0ELNS1_3repE0EEENS1_30default_config_static_selectorELNS0_4arch9wavefront6targetE1EEEvT1_.kd
    .uniform_work_group_size: 1
    .uses_dynamic_stack: false
    .vgpr_count:     0
    .vgpr_spill_count: 0
    .wavefront_size: 64
  - .agpr_count:     0
    .args:
      - .offset:         0
        .size:           112
        .value_kind:     by_value
    .group_segment_fixed_size: 0
    .kernarg_segment_align: 8
    .kernarg_segment_size: 112
    .language:       OpenCL C
    .language_version:
      - 2
      - 0
    .max_flat_workgroup_size: 256
    .name:           _ZN7rocprim17ROCPRIM_400000_NS6detail17trampoline_kernelINS0_14default_configENS1_27scan_by_key_config_selectorIiiEEZZNS1_16scan_by_key_implILNS1_25lookback_scan_determinismE0ELb1ES3_N6thrust23THRUST_200600_302600_NS6detail15normal_iteratorINS9_10device_ptrIiEEEESE_SE_iNS9_4plusIiEE19head_flag_predicateiEE10hipError_tPvRmT2_T3_T4_T5_mT6_T7_P12ihipStream_tbENKUlT_T0_E_clISt17integral_constantIbLb0EESX_IbLb1EEEEDaST_SU_EUlST_E_NS1_11comp_targetILNS1_3genE10ELNS1_11target_archE1201ELNS1_3gpuE5ELNS1_3repE0EEENS1_30default_config_static_selectorELNS0_4arch9wavefront6targetE1EEEvT1_
    .private_segment_fixed_size: 0
    .sgpr_count:     6
    .sgpr_spill_count: 0
    .symbol:         _ZN7rocprim17ROCPRIM_400000_NS6detail17trampoline_kernelINS0_14default_configENS1_27scan_by_key_config_selectorIiiEEZZNS1_16scan_by_key_implILNS1_25lookback_scan_determinismE0ELb1ES3_N6thrust23THRUST_200600_302600_NS6detail15normal_iteratorINS9_10device_ptrIiEEEESE_SE_iNS9_4plusIiEE19head_flag_predicateiEE10hipError_tPvRmT2_T3_T4_T5_mT6_T7_P12ihipStream_tbENKUlT_T0_E_clISt17integral_constantIbLb0EESX_IbLb1EEEEDaST_SU_EUlST_E_NS1_11comp_targetILNS1_3genE10ELNS1_11target_archE1201ELNS1_3gpuE5ELNS1_3repE0EEENS1_30default_config_static_selectorELNS0_4arch9wavefront6targetE1EEEvT1_.kd
    .uniform_work_group_size: 1
    .uses_dynamic_stack: false
    .vgpr_count:     0
    .vgpr_spill_count: 0
    .wavefront_size: 64
  - .agpr_count:     0
    .args:
      - .offset:         0
        .size:           112
        .value_kind:     by_value
    .group_segment_fixed_size: 25600
    .kernarg_segment_align: 8
    .kernarg_segment_size: 112
    .language:       OpenCL C
    .language_version:
      - 2
      - 0
    .max_flat_workgroup_size: 256
    .name:           _ZN7rocprim17ROCPRIM_400000_NS6detail17trampoline_kernelINS0_14default_configENS1_27scan_by_key_config_selectorIiiEEZZNS1_16scan_by_key_implILNS1_25lookback_scan_determinismE0ELb1ES3_N6thrust23THRUST_200600_302600_NS6detail15normal_iteratorINS9_10device_ptrIiEEEESE_SE_iNS9_4plusIiEE19head_flag_predicateiEE10hipError_tPvRmT2_T3_T4_T5_mT6_T7_P12ihipStream_tbENKUlT_T0_E_clISt17integral_constantIbLb0EESX_IbLb1EEEEDaST_SU_EUlST_E_NS1_11comp_targetILNS1_3genE5ELNS1_11target_archE942ELNS1_3gpuE9ELNS1_3repE0EEENS1_30default_config_static_selectorELNS0_4arch9wavefront6targetE1EEEvT1_
    .private_segment_fixed_size: 0
    .sgpr_count:     86
    .sgpr_spill_count: 0
    .symbol:         _ZN7rocprim17ROCPRIM_400000_NS6detail17trampoline_kernelINS0_14default_configENS1_27scan_by_key_config_selectorIiiEEZZNS1_16scan_by_key_implILNS1_25lookback_scan_determinismE0ELb1ES3_N6thrust23THRUST_200600_302600_NS6detail15normal_iteratorINS9_10device_ptrIiEEEESE_SE_iNS9_4plusIiEE19head_flag_predicateiEE10hipError_tPvRmT2_T3_T4_T5_mT6_T7_P12ihipStream_tbENKUlT_T0_E_clISt17integral_constantIbLb0EESX_IbLb1EEEEDaST_SU_EUlST_E_NS1_11comp_targetILNS1_3genE5ELNS1_11target_archE942ELNS1_3gpuE9ELNS1_3repE0EEENS1_30default_config_static_selectorELNS0_4arch9wavefront6targetE1EEEvT1_.kd
    .uniform_work_group_size: 1
    .uses_dynamic_stack: false
    .vgpr_count:     83
    .vgpr_spill_count: 0
    .wavefront_size: 64
  - .agpr_count:     0
    .args:
      - .offset:         0
        .size:           112
        .value_kind:     by_value
    .group_segment_fixed_size: 0
    .kernarg_segment_align: 8
    .kernarg_segment_size: 112
    .language:       OpenCL C
    .language_version:
      - 2
      - 0
    .max_flat_workgroup_size: 256
    .name:           _ZN7rocprim17ROCPRIM_400000_NS6detail17trampoline_kernelINS0_14default_configENS1_27scan_by_key_config_selectorIiiEEZZNS1_16scan_by_key_implILNS1_25lookback_scan_determinismE0ELb1ES3_N6thrust23THRUST_200600_302600_NS6detail15normal_iteratorINS9_10device_ptrIiEEEESE_SE_iNS9_4plusIiEE19head_flag_predicateiEE10hipError_tPvRmT2_T3_T4_T5_mT6_T7_P12ihipStream_tbENKUlT_T0_E_clISt17integral_constantIbLb0EESX_IbLb1EEEEDaST_SU_EUlST_E_NS1_11comp_targetILNS1_3genE4ELNS1_11target_archE910ELNS1_3gpuE8ELNS1_3repE0EEENS1_30default_config_static_selectorELNS0_4arch9wavefront6targetE1EEEvT1_
    .private_segment_fixed_size: 0
    .sgpr_count:     6
    .sgpr_spill_count: 0
    .symbol:         _ZN7rocprim17ROCPRIM_400000_NS6detail17trampoline_kernelINS0_14default_configENS1_27scan_by_key_config_selectorIiiEEZZNS1_16scan_by_key_implILNS1_25lookback_scan_determinismE0ELb1ES3_N6thrust23THRUST_200600_302600_NS6detail15normal_iteratorINS9_10device_ptrIiEEEESE_SE_iNS9_4plusIiEE19head_flag_predicateiEE10hipError_tPvRmT2_T3_T4_T5_mT6_T7_P12ihipStream_tbENKUlT_T0_E_clISt17integral_constantIbLb0EESX_IbLb1EEEEDaST_SU_EUlST_E_NS1_11comp_targetILNS1_3genE4ELNS1_11target_archE910ELNS1_3gpuE8ELNS1_3repE0EEENS1_30default_config_static_selectorELNS0_4arch9wavefront6targetE1EEEvT1_.kd
    .uniform_work_group_size: 1
    .uses_dynamic_stack: false
    .vgpr_count:     0
    .vgpr_spill_count: 0
    .wavefront_size: 64
  - .agpr_count:     0
    .args:
      - .offset:         0
        .size:           112
        .value_kind:     by_value
    .group_segment_fixed_size: 0
    .kernarg_segment_align: 8
    .kernarg_segment_size: 112
    .language:       OpenCL C
    .language_version:
      - 2
      - 0
    .max_flat_workgroup_size: 256
    .name:           _ZN7rocprim17ROCPRIM_400000_NS6detail17trampoline_kernelINS0_14default_configENS1_27scan_by_key_config_selectorIiiEEZZNS1_16scan_by_key_implILNS1_25lookback_scan_determinismE0ELb1ES3_N6thrust23THRUST_200600_302600_NS6detail15normal_iteratorINS9_10device_ptrIiEEEESE_SE_iNS9_4plusIiEE19head_flag_predicateiEE10hipError_tPvRmT2_T3_T4_T5_mT6_T7_P12ihipStream_tbENKUlT_T0_E_clISt17integral_constantIbLb0EESX_IbLb1EEEEDaST_SU_EUlST_E_NS1_11comp_targetILNS1_3genE3ELNS1_11target_archE908ELNS1_3gpuE7ELNS1_3repE0EEENS1_30default_config_static_selectorELNS0_4arch9wavefront6targetE1EEEvT1_
    .private_segment_fixed_size: 0
    .sgpr_count:     6
    .sgpr_spill_count: 0
    .symbol:         _ZN7rocprim17ROCPRIM_400000_NS6detail17trampoline_kernelINS0_14default_configENS1_27scan_by_key_config_selectorIiiEEZZNS1_16scan_by_key_implILNS1_25lookback_scan_determinismE0ELb1ES3_N6thrust23THRUST_200600_302600_NS6detail15normal_iteratorINS9_10device_ptrIiEEEESE_SE_iNS9_4plusIiEE19head_flag_predicateiEE10hipError_tPvRmT2_T3_T4_T5_mT6_T7_P12ihipStream_tbENKUlT_T0_E_clISt17integral_constantIbLb0EESX_IbLb1EEEEDaST_SU_EUlST_E_NS1_11comp_targetILNS1_3genE3ELNS1_11target_archE908ELNS1_3gpuE7ELNS1_3repE0EEENS1_30default_config_static_selectorELNS0_4arch9wavefront6targetE1EEEvT1_.kd
    .uniform_work_group_size: 1
    .uses_dynamic_stack: false
    .vgpr_count:     0
    .vgpr_spill_count: 0
    .wavefront_size: 64
  - .agpr_count:     0
    .args:
      - .offset:         0
        .size:           112
        .value_kind:     by_value
    .group_segment_fixed_size: 0
    .kernarg_segment_align: 8
    .kernarg_segment_size: 112
    .language:       OpenCL C
    .language_version:
      - 2
      - 0
    .max_flat_workgroup_size: 256
    .name:           _ZN7rocprim17ROCPRIM_400000_NS6detail17trampoline_kernelINS0_14default_configENS1_27scan_by_key_config_selectorIiiEEZZNS1_16scan_by_key_implILNS1_25lookback_scan_determinismE0ELb1ES3_N6thrust23THRUST_200600_302600_NS6detail15normal_iteratorINS9_10device_ptrIiEEEESE_SE_iNS9_4plusIiEE19head_flag_predicateiEE10hipError_tPvRmT2_T3_T4_T5_mT6_T7_P12ihipStream_tbENKUlT_T0_E_clISt17integral_constantIbLb0EESX_IbLb1EEEEDaST_SU_EUlST_E_NS1_11comp_targetILNS1_3genE2ELNS1_11target_archE906ELNS1_3gpuE6ELNS1_3repE0EEENS1_30default_config_static_selectorELNS0_4arch9wavefront6targetE1EEEvT1_
    .private_segment_fixed_size: 0
    .sgpr_count:     6
    .sgpr_spill_count: 0
    .symbol:         _ZN7rocprim17ROCPRIM_400000_NS6detail17trampoline_kernelINS0_14default_configENS1_27scan_by_key_config_selectorIiiEEZZNS1_16scan_by_key_implILNS1_25lookback_scan_determinismE0ELb1ES3_N6thrust23THRUST_200600_302600_NS6detail15normal_iteratorINS9_10device_ptrIiEEEESE_SE_iNS9_4plusIiEE19head_flag_predicateiEE10hipError_tPvRmT2_T3_T4_T5_mT6_T7_P12ihipStream_tbENKUlT_T0_E_clISt17integral_constantIbLb0EESX_IbLb1EEEEDaST_SU_EUlST_E_NS1_11comp_targetILNS1_3genE2ELNS1_11target_archE906ELNS1_3gpuE6ELNS1_3repE0EEENS1_30default_config_static_selectorELNS0_4arch9wavefront6targetE1EEEvT1_.kd
    .uniform_work_group_size: 1
    .uses_dynamic_stack: false
    .vgpr_count:     0
    .vgpr_spill_count: 0
    .wavefront_size: 64
  - .agpr_count:     0
    .args:
      - .offset:         0
        .size:           112
        .value_kind:     by_value
    .group_segment_fixed_size: 0
    .kernarg_segment_align: 8
    .kernarg_segment_size: 112
    .language:       OpenCL C
    .language_version:
      - 2
      - 0
    .max_flat_workgroup_size: 256
    .name:           _ZN7rocprim17ROCPRIM_400000_NS6detail17trampoline_kernelINS0_14default_configENS1_27scan_by_key_config_selectorIiiEEZZNS1_16scan_by_key_implILNS1_25lookback_scan_determinismE0ELb1ES3_N6thrust23THRUST_200600_302600_NS6detail15normal_iteratorINS9_10device_ptrIiEEEESE_SE_iNS9_4plusIiEE19head_flag_predicateiEE10hipError_tPvRmT2_T3_T4_T5_mT6_T7_P12ihipStream_tbENKUlT_T0_E_clISt17integral_constantIbLb0EESX_IbLb1EEEEDaST_SU_EUlST_E_NS1_11comp_targetILNS1_3genE10ELNS1_11target_archE1200ELNS1_3gpuE4ELNS1_3repE0EEENS1_30default_config_static_selectorELNS0_4arch9wavefront6targetE1EEEvT1_
    .private_segment_fixed_size: 0
    .sgpr_count:     6
    .sgpr_spill_count: 0
    .symbol:         _ZN7rocprim17ROCPRIM_400000_NS6detail17trampoline_kernelINS0_14default_configENS1_27scan_by_key_config_selectorIiiEEZZNS1_16scan_by_key_implILNS1_25lookback_scan_determinismE0ELb1ES3_N6thrust23THRUST_200600_302600_NS6detail15normal_iteratorINS9_10device_ptrIiEEEESE_SE_iNS9_4plusIiEE19head_flag_predicateiEE10hipError_tPvRmT2_T3_T4_T5_mT6_T7_P12ihipStream_tbENKUlT_T0_E_clISt17integral_constantIbLb0EESX_IbLb1EEEEDaST_SU_EUlST_E_NS1_11comp_targetILNS1_3genE10ELNS1_11target_archE1200ELNS1_3gpuE4ELNS1_3repE0EEENS1_30default_config_static_selectorELNS0_4arch9wavefront6targetE1EEEvT1_.kd
    .uniform_work_group_size: 1
    .uses_dynamic_stack: false
    .vgpr_count:     0
    .vgpr_spill_count: 0
    .wavefront_size: 64
  - .agpr_count:     0
    .args:
      - .offset:         0
        .size:           112
        .value_kind:     by_value
    .group_segment_fixed_size: 0
    .kernarg_segment_align: 8
    .kernarg_segment_size: 112
    .language:       OpenCL C
    .language_version:
      - 2
      - 0
    .max_flat_workgroup_size: 256
    .name:           _ZN7rocprim17ROCPRIM_400000_NS6detail17trampoline_kernelINS0_14default_configENS1_27scan_by_key_config_selectorIiiEEZZNS1_16scan_by_key_implILNS1_25lookback_scan_determinismE0ELb1ES3_N6thrust23THRUST_200600_302600_NS6detail15normal_iteratorINS9_10device_ptrIiEEEESE_SE_iNS9_4plusIiEE19head_flag_predicateiEE10hipError_tPvRmT2_T3_T4_T5_mT6_T7_P12ihipStream_tbENKUlT_T0_E_clISt17integral_constantIbLb0EESX_IbLb1EEEEDaST_SU_EUlST_E_NS1_11comp_targetILNS1_3genE9ELNS1_11target_archE1100ELNS1_3gpuE3ELNS1_3repE0EEENS1_30default_config_static_selectorELNS0_4arch9wavefront6targetE1EEEvT1_
    .private_segment_fixed_size: 0
    .sgpr_count:     6
    .sgpr_spill_count: 0
    .symbol:         _ZN7rocprim17ROCPRIM_400000_NS6detail17trampoline_kernelINS0_14default_configENS1_27scan_by_key_config_selectorIiiEEZZNS1_16scan_by_key_implILNS1_25lookback_scan_determinismE0ELb1ES3_N6thrust23THRUST_200600_302600_NS6detail15normal_iteratorINS9_10device_ptrIiEEEESE_SE_iNS9_4plusIiEE19head_flag_predicateiEE10hipError_tPvRmT2_T3_T4_T5_mT6_T7_P12ihipStream_tbENKUlT_T0_E_clISt17integral_constantIbLb0EESX_IbLb1EEEEDaST_SU_EUlST_E_NS1_11comp_targetILNS1_3genE9ELNS1_11target_archE1100ELNS1_3gpuE3ELNS1_3repE0EEENS1_30default_config_static_selectorELNS0_4arch9wavefront6targetE1EEEvT1_.kd
    .uniform_work_group_size: 1
    .uses_dynamic_stack: false
    .vgpr_count:     0
    .vgpr_spill_count: 0
    .wavefront_size: 64
  - .agpr_count:     0
    .args:
      - .offset:         0
        .size:           112
        .value_kind:     by_value
    .group_segment_fixed_size: 0
    .kernarg_segment_align: 8
    .kernarg_segment_size: 112
    .language:       OpenCL C
    .language_version:
      - 2
      - 0
    .max_flat_workgroup_size: 256
    .name:           _ZN7rocprim17ROCPRIM_400000_NS6detail17trampoline_kernelINS0_14default_configENS1_27scan_by_key_config_selectorIiiEEZZNS1_16scan_by_key_implILNS1_25lookback_scan_determinismE0ELb1ES3_N6thrust23THRUST_200600_302600_NS6detail15normal_iteratorINS9_10device_ptrIiEEEESE_SE_iNS9_4plusIiEE19head_flag_predicateiEE10hipError_tPvRmT2_T3_T4_T5_mT6_T7_P12ihipStream_tbENKUlT_T0_E_clISt17integral_constantIbLb0EESX_IbLb1EEEEDaST_SU_EUlST_E_NS1_11comp_targetILNS1_3genE8ELNS1_11target_archE1030ELNS1_3gpuE2ELNS1_3repE0EEENS1_30default_config_static_selectorELNS0_4arch9wavefront6targetE1EEEvT1_
    .private_segment_fixed_size: 0
    .sgpr_count:     6
    .sgpr_spill_count: 0
    .symbol:         _ZN7rocprim17ROCPRIM_400000_NS6detail17trampoline_kernelINS0_14default_configENS1_27scan_by_key_config_selectorIiiEEZZNS1_16scan_by_key_implILNS1_25lookback_scan_determinismE0ELb1ES3_N6thrust23THRUST_200600_302600_NS6detail15normal_iteratorINS9_10device_ptrIiEEEESE_SE_iNS9_4plusIiEE19head_flag_predicateiEE10hipError_tPvRmT2_T3_T4_T5_mT6_T7_P12ihipStream_tbENKUlT_T0_E_clISt17integral_constantIbLb0EESX_IbLb1EEEEDaST_SU_EUlST_E_NS1_11comp_targetILNS1_3genE8ELNS1_11target_archE1030ELNS1_3gpuE2ELNS1_3repE0EEENS1_30default_config_static_selectorELNS0_4arch9wavefront6targetE1EEEvT1_.kd
    .uniform_work_group_size: 1
    .uses_dynamic_stack: false
    .vgpr_count:     0
    .vgpr_spill_count: 0
    .wavefront_size: 64
  - .agpr_count:     0
    .args:
      - .offset:         0
        .size:           112
        .value_kind:     by_value
    .group_segment_fixed_size: 0
    .kernarg_segment_align: 8
    .kernarg_segment_size: 112
    .language:       OpenCL C
    .language_version:
      - 2
      - 0
    .max_flat_workgroup_size: 256
    .name:           _ZN7rocprim17ROCPRIM_400000_NS6detail17trampoline_kernelINS0_14default_configENS1_27scan_by_key_config_selectorIssEEZZNS1_16scan_by_key_implILNS1_25lookback_scan_determinismE0ELb0ES3_N6thrust23THRUST_200600_302600_NS6detail15normal_iteratorINS9_10device_ptrIsEEEESE_SE_sNS9_4plusIsEE19head_flag_predicatesEE10hipError_tPvRmT2_T3_T4_T5_mT6_T7_P12ihipStream_tbENKUlT_T0_E_clISt17integral_constantIbLb0EESY_EEDaST_SU_EUlST_E_NS1_11comp_targetILNS1_3genE0ELNS1_11target_archE4294967295ELNS1_3gpuE0ELNS1_3repE0EEENS1_30default_config_static_selectorELNS0_4arch9wavefront6targetE1EEEvT1_
    .private_segment_fixed_size: 0
    .sgpr_count:     6
    .sgpr_spill_count: 0
    .symbol:         _ZN7rocprim17ROCPRIM_400000_NS6detail17trampoline_kernelINS0_14default_configENS1_27scan_by_key_config_selectorIssEEZZNS1_16scan_by_key_implILNS1_25lookback_scan_determinismE0ELb0ES3_N6thrust23THRUST_200600_302600_NS6detail15normal_iteratorINS9_10device_ptrIsEEEESE_SE_sNS9_4plusIsEE19head_flag_predicatesEE10hipError_tPvRmT2_T3_T4_T5_mT6_T7_P12ihipStream_tbENKUlT_T0_E_clISt17integral_constantIbLb0EESY_EEDaST_SU_EUlST_E_NS1_11comp_targetILNS1_3genE0ELNS1_11target_archE4294967295ELNS1_3gpuE0ELNS1_3repE0EEENS1_30default_config_static_selectorELNS0_4arch9wavefront6targetE1EEEvT1_.kd
    .uniform_work_group_size: 1
    .uses_dynamic_stack: false
    .vgpr_count:     0
    .vgpr_spill_count: 0
    .wavefront_size: 64
  - .agpr_count:     0
    .args:
      - .offset:         0
        .size:           112
        .value_kind:     by_value
    .group_segment_fixed_size: 0
    .kernarg_segment_align: 8
    .kernarg_segment_size: 112
    .language:       OpenCL C
    .language_version:
      - 2
      - 0
    .max_flat_workgroup_size: 128
    .name:           _ZN7rocprim17ROCPRIM_400000_NS6detail17trampoline_kernelINS0_14default_configENS1_27scan_by_key_config_selectorIssEEZZNS1_16scan_by_key_implILNS1_25lookback_scan_determinismE0ELb0ES3_N6thrust23THRUST_200600_302600_NS6detail15normal_iteratorINS9_10device_ptrIsEEEESE_SE_sNS9_4plusIsEE19head_flag_predicatesEE10hipError_tPvRmT2_T3_T4_T5_mT6_T7_P12ihipStream_tbENKUlT_T0_E_clISt17integral_constantIbLb0EESY_EEDaST_SU_EUlST_E_NS1_11comp_targetILNS1_3genE10ELNS1_11target_archE1201ELNS1_3gpuE5ELNS1_3repE0EEENS1_30default_config_static_selectorELNS0_4arch9wavefront6targetE1EEEvT1_
    .private_segment_fixed_size: 0
    .sgpr_count:     6
    .sgpr_spill_count: 0
    .symbol:         _ZN7rocprim17ROCPRIM_400000_NS6detail17trampoline_kernelINS0_14default_configENS1_27scan_by_key_config_selectorIssEEZZNS1_16scan_by_key_implILNS1_25lookback_scan_determinismE0ELb0ES3_N6thrust23THRUST_200600_302600_NS6detail15normal_iteratorINS9_10device_ptrIsEEEESE_SE_sNS9_4plusIsEE19head_flag_predicatesEE10hipError_tPvRmT2_T3_T4_T5_mT6_T7_P12ihipStream_tbENKUlT_T0_E_clISt17integral_constantIbLb0EESY_EEDaST_SU_EUlST_E_NS1_11comp_targetILNS1_3genE10ELNS1_11target_archE1201ELNS1_3gpuE5ELNS1_3repE0EEENS1_30default_config_static_selectorELNS0_4arch9wavefront6targetE1EEEvT1_.kd
    .uniform_work_group_size: 1
    .uses_dynamic_stack: false
    .vgpr_count:     0
    .vgpr_spill_count: 0
    .wavefront_size: 64
  - .agpr_count:     0
    .args:
      - .offset:         0
        .size:           112
        .value_kind:     by_value
    .group_segment_fixed_size: 13312
    .kernarg_segment_align: 8
    .kernarg_segment_size: 112
    .language:       OpenCL C
    .language_version:
      - 2
      - 0
    .max_flat_workgroup_size: 256
    .name:           _ZN7rocprim17ROCPRIM_400000_NS6detail17trampoline_kernelINS0_14default_configENS1_27scan_by_key_config_selectorIssEEZZNS1_16scan_by_key_implILNS1_25lookback_scan_determinismE0ELb0ES3_N6thrust23THRUST_200600_302600_NS6detail15normal_iteratorINS9_10device_ptrIsEEEESE_SE_sNS9_4plusIsEE19head_flag_predicatesEE10hipError_tPvRmT2_T3_T4_T5_mT6_T7_P12ihipStream_tbENKUlT_T0_E_clISt17integral_constantIbLb0EESY_EEDaST_SU_EUlST_E_NS1_11comp_targetILNS1_3genE5ELNS1_11target_archE942ELNS1_3gpuE9ELNS1_3repE0EEENS1_30default_config_static_selectorELNS0_4arch9wavefront6targetE1EEEvT1_
    .private_segment_fixed_size: 0
    .sgpr_count:     90
    .sgpr_spill_count: 0
    .symbol:         _ZN7rocprim17ROCPRIM_400000_NS6detail17trampoline_kernelINS0_14default_configENS1_27scan_by_key_config_selectorIssEEZZNS1_16scan_by_key_implILNS1_25lookback_scan_determinismE0ELb0ES3_N6thrust23THRUST_200600_302600_NS6detail15normal_iteratorINS9_10device_ptrIsEEEESE_SE_sNS9_4plusIsEE19head_flag_predicatesEE10hipError_tPvRmT2_T3_T4_T5_mT6_T7_P12ihipStream_tbENKUlT_T0_E_clISt17integral_constantIbLb0EESY_EEDaST_SU_EUlST_E_NS1_11comp_targetILNS1_3genE5ELNS1_11target_archE942ELNS1_3gpuE9ELNS1_3repE0EEENS1_30default_config_static_selectorELNS0_4arch9wavefront6targetE1EEEvT1_.kd
    .uniform_work_group_size: 1
    .uses_dynamic_stack: false
    .vgpr_count:     63
    .vgpr_spill_count: 0
    .wavefront_size: 64
  - .agpr_count:     0
    .args:
      - .offset:         0
        .size:           112
        .value_kind:     by_value
    .group_segment_fixed_size: 0
    .kernarg_segment_align: 8
    .kernarg_segment_size: 112
    .language:       OpenCL C
    .language_version:
      - 2
      - 0
    .max_flat_workgroup_size: 256
    .name:           _ZN7rocprim17ROCPRIM_400000_NS6detail17trampoline_kernelINS0_14default_configENS1_27scan_by_key_config_selectorIssEEZZNS1_16scan_by_key_implILNS1_25lookback_scan_determinismE0ELb0ES3_N6thrust23THRUST_200600_302600_NS6detail15normal_iteratorINS9_10device_ptrIsEEEESE_SE_sNS9_4plusIsEE19head_flag_predicatesEE10hipError_tPvRmT2_T3_T4_T5_mT6_T7_P12ihipStream_tbENKUlT_T0_E_clISt17integral_constantIbLb0EESY_EEDaST_SU_EUlST_E_NS1_11comp_targetILNS1_3genE4ELNS1_11target_archE910ELNS1_3gpuE8ELNS1_3repE0EEENS1_30default_config_static_selectorELNS0_4arch9wavefront6targetE1EEEvT1_
    .private_segment_fixed_size: 0
    .sgpr_count:     6
    .sgpr_spill_count: 0
    .symbol:         _ZN7rocprim17ROCPRIM_400000_NS6detail17trampoline_kernelINS0_14default_configENS1_27scan_by_key_config_selectorIssEEZZNS1_16scan_by_key_implILNS1_25lookback_scan_determinismE0ELb0ES3_N6thrust23THRUST_200600_302600_NS6detail15normal_iteratorINS9_10device_ptrIsEEEESE_SE_sNS9_4plusIsEE19head_flag_predicatesEE10hipError_tPvRmT2_T3_T4_T5_mT6_T7_P12ihipStream_tbENKUlT_T0_E_clISt17integral_constantIbLb0EESY_EEDaST_SU_EUlST_E_NS1_11comp_targetILNS1_3genE4ELNS1_11target_archE910ELNS1_3gpuE8ELNS1_3repE0EEENS1_30default_config_static_selectorELNS0_4arch9wavefront6targetE1EEEvT1_.kd
    .uniform_work_group_size: 1
    .uses_dynamic_stack: false
    .vgpr_count:     0
    .vgpr_spill_count: 0
    .wavefront_size: 64
  - .agpr_count:     0
    .args:
      - .offset:         0
        .size:           112
        .value_kind:     by_value
    .group_segment_fixed_size: 0
    .kernarg_segment_align: 8
    .kernarg_segment_size: 112
    .language:       OpenCL C
    .language_version:
      - 2
      - 0
    .max_flat_workgroup_size: 256
    .name:           _ZN7rocprim17ROCPRIM_400000_NS6detail17trampoline_kernelINS0_14default_configENS1_27scan_by_key_config_selectorIssEEZZNS1_16scan_by_key_implILNS1_25lookback_scan_determinismE0ELb0ES3_N6thrust23THRUST_200600_302600_NS6detail15normal_iteratorINS9_10device_ptrIsEEEESE_SE_sNS9_4plusIsEE19head_flag_predicatesEE10hipError_tPvRmT2_T3_T4_T5_mT6_T7_P12ihipStream_tbENKUlT_T0_E_clISt17integral_constantIbLb0EESY_EEDaST_SU_EUlST_E_NS1_11comp_targetILNS1_3genE3ELNS1_11target_archE908ELNS1_3gpuE7ELNS1_3repE0EEENS1_30default_config_static_selectorELNS0_4arch9wavefront6targetE1EEEvT1_
    .private_segment_fixed_size: 0
    .sgpr_count:     6
    .sgpr_spill_count: 0
    .symbol:         _ZN7rocprim17ROCPRIM_400000_NS6detail17trampoline_kernelINS0_14default_configENS1_27scan_by_key_config_selectorIssEEZZNS1_16scan_by_key_implILNS1_25lookback_scan_determinismE0ELb0ES3_N6thrust23THRUST_200600_302600_NS6detail15normal_iteratorINS9_10device_ptrIsEEEESE_SE_sNS9_4plusIsEE19head_flag_predicatesEE10hipError_tPvRmT2_T3_T4_T5_mT6_T7_P12ihipStream_tbENKUlT_T0_E_clISt17integral_constantIbLb0EESY_EEDaST_SU_EUlST_E_NS1_11comp_targetILNS1_3genE3ELNS1_11target_archE908ELNS1_3gpuE7ELNS1_3repE0EEENS1_30default_config_static_selectorELNS0_4arch9wavefront6targetE1EEEvT1_.kd
    .uniform_work_group_size: 1
    .uses_dynamic_stack: false
    .vgpr_count:     0
    .vgpr_spill_count: 0
    .wavefront_size: 64
  - .agpr_count:     0
    .args:
      - .offset:         0
        .size:           112
        .value_kind:     by_value
    .group_segment_fixed_size: 0
    .kernarg_segment_align: 8
    .kernarg_segment_size: 112
    .language:       OpenCL C
    .language_version:
      - 2
      - 0
    .max_flat_workgroup_size: 64
    .name:           _ZN7rocprim17ROCPRIM_400000_NS6detail17trampoline_kernelINS0_14default_configENS1_27scan_by_key_config_selectorIssEEZZNS1_16scan_by_key_implILNS1_25lookback_scan_determinismE0ELb0ES3_N6thrust23THRUST_200600_302600_NS6detail15normal_iteratorINS9_10device_ptrIsEEEESE_SE_sNS9_4plusIsEE19head_flag_predicatesEE10hipError_tPvRmT2_T3_T4_T5_mT6_T7_P12ihipStream_tbENKUlT_T0_E_clISt17integral_constantIbLb0EESY_EEDaST_SU_EUlST_E_NS1_11comp_targetILNS1_3genE2ELNS1_11target_archE906ELNS1_3gpuE6ELNS1_3repE0EEENS1_30default_config_static_selectorELNS0_4arch9wavefront6targetE1EEEvT1_
    .private_segment_fixed_size: 0
    .sgpr_count:     6
    .sgpr_spill_count: 0
    .symbol:         _ZN7rocprim17ROCPRIM_400000_NS6detail17trampoline_kernelINS0_14default_configENS1_27scan_by_key_config_selectorIssEEZZNS1_16scan_by_key_implILNS1_25lookback_scan_determinismE0ELb0ES3_N6thrust23THRUST_200600_302600_NS6detail15normal_iteratorINS9_10device_ptrIsEEEESE_SE_sNS9_4plusIsEE19head_flag_predicatesEE10hipError_tPvRmT2_T3_T4_T5_mT6_T7_P12ihipStream_tbENKUlT_T0_E_clISt17integral_constantIbLb0EESY_EEDaST_SU_EUlST_E_NS1_11comp_targetILNS1_3genE2ELNS1_11target_archE906ELNS1_3gpuE6ELNS1_3repE0EEENS1_30default_config_static_selectorELNS0_4arch9wavefront6targetE1EEEvT1_.kd
    .uniform_work_group_size: 1
    .uses_dynamic_stack: false
    .vgpr_count:     0
    .vgpr_spill_count: 0
    .wavefront_size: 64
  - .agpr_count:     0
    .args:
      - .offset:         0
        .size:           112
        .value_kind:     by_value
    .group_segment_fixed_size: 0
    .kernarg_segment_align: 8
    .kernarg_segment_size: 112
    .language:       OpenCL C
    .language_version:
      - 2
      - 0
    .max_flat_workgroup_size: 256
    .name:           _ZN7rocprim17ROCPRIM_400000_NS6detail17trampoline_kernelINS0_14default_configENS1_27scan_by_key_config_selectorIssEEZZNS1_16scan_by_key_implILNS1_25lookback_scan_determinismE0ELb0ES3_N6thrust23THRUST_200600_302600_NS6detail15normal_iteratorINS9_10device_ptrIsEEEESE_SE_sNS9_4plusIsEE19head_flag_predicatesEE10hipError_tPvRmT2_T3_T4_T5_mT6_T7_P12ihipStream_tbENKUlT_T0_E_clISt17integral_constantIbLb0EESY_EEDaST_SU_EUlST_E_NS1_11comp_targetILNS1_3genE10ELNS1_11target_archE1200ELNS1_3gpuE4ELNS1_3repE0EEENS1_30default_config_static_selectorELNS0_4arch9wavefront6targetE1EEEvT1_
    .private_segment_fixed_size: 0
    .sgpr_count:     6
    .sgpr_spill_count: 0
    .symbol:         _ZN7rocprim17ROCPRIM_400000_NS6detail17trampoline_kernelINS0_14default_configENS1_27scan_by_key_config_selectorIssEEZZNS1_16scan_by_key_implILNS1_25lookback_scan_determinismE0ELb0ES3_N6thrust23THRUST_200600_302600_NS6detail15normal_iteratorINS9_10device_ptrIsEEEESE_SE_sNS9_4plusIsEE19head_flag_predicatesEE10hipError_tPvRmT2_T3_T4_T5_mT6_T7_P12ihipStream_tbENKUlT_T0_E_clISt17integral_constantIbLb0EESY_EEDaST_SU_EUlST_E_NS1_11comp_targetILNS1_3genE10ELNS1_11target_archE1200ELNS1_3gpuE4ELNS1_3repE0EEENS1_30default_config_static_selectorELNS0_4arch9wavefront6targetE1EEEvT1_.kd
    .uniform_work_group_size: 1
    .uses_dynamic_stack: false
    .vgpr_count:     0
    .vgpr_spill_count: 0
    .wavefront_size: 64
  - .agpr_count:     0
    .args:
      - .offset:         0
        .size:           112
        .value_kind:     by_value
    .group_segment_fixed_size: 0
    .kernarg_segment_align: 8
    .kernarg_segment_size: 112
    .language:       OpenCL C
    .language_version:
      - 2
      - 0
    .max_flat_workgroup_size: 256
    .name:           _ZN7rocprim17ROCPRIM_400000_NS6detail17trampoline_kernelINS0_14default_configENS1_27scan_by_key_config_selectorIssEEZZNS1_16scan_by_key_implILNS1_25lookback_scan_determinismE0ELb0ES3_N6thrust23THRUST_200600_302600_NS6detail15normal_iteratorINS9_10device_ptrIsEEEESE_SE_sNS9_4plusIsEE19head_flag_predicatesEE10hipError_tPvRmT2_T3_T4_T5_mT6_T7_P12ihipStream_tbENKUlT_T0_E_clISt17integral_constantIbLb0EESY_EEDaST_SU_EUlST_E_NS1_11comp_targetILNS1_3genE9ELNS1_11target_archE1100ELNS1_3gpuE3ELNS1_3repE0EEENS1_30default_config_static_selectorELNS0_4arch9wavefront6targetE1EEEvT1_
    .private_segment_fixed_size: 0
    .sgpr_count:     6
    .sgpr_spill_count: 0
    .symbol:         _ZN7rocprim17ROCPRIM_400000_NS6detail17trampoline_kernelINS0_14default_configENS1_27scan_by_key_config_selectorIssEEZZNS1_16scan_by_key_implILNS1_25lookback_scan_determinismE0ELb0ES3_N6thrust23THRUST_200600_302600_NS6detail15normal_iteratorINS9_10device_ptrIsEEEESE_SE_sNS9_4plusIsEE19head_flag_predicatesEE10hipError_tPvRmT2_T3_T4_T5_mT6_T7_P12ihipStream_tbENKUlT_T0_E_clISt17integral_constantIbLb0EESY_EEDaST_SU_EUlST_E_NS1_11comp_targetILNS1_3genE9ELNS1_11target_archE1100ELNS1_3gpuE3ELNS1_3repE0EEENS1_30default_config_static_selectorELNS0_4arch9wavefront6targetE1EEEvT1_.kd
    .uniform_work_group_size: 1
    .uses_dynamic_stack: false
    .vgpr_count:     0
    .vgpr_spill_count: 0
    .wavefront_size: 64
  - .agpr_count:     0
    .args:
      - .offset:         0
        .size:           112
        .value_kind:     by_value
    .group_segment_fixed_size: 0
    .kernarg_segment_align: 8
    .kernarg_segment_size: 112
    .language:       OpenCL C
    .language_version:
      - 2
      - 0
    .max_flat_workgroup_size: 64
    .name:           _ZN7rocprim17ROCPRIM_400000_NS6detail17trampoline_kernelINS0_14default_configENS1_27scan_by_key_config_selectorIssEEZZNS1_16scan_by_key_implILNS1_25lookback_scan_determinismE0ELb0ES3_N6thrust23THRUST_200600_302600_NS6detail15normal_iteratorINS9_10device_ptrIsEEEESE_SE_sNS9_4plusIsEE19head_flag_predicatesEE10hipError_tPvRmT2_T3_T4_T5_mT6_T7_P12ihipStream_tbENKUlT_T0_E_clISt17integral_constantIbLb0EESY_EEDaST_SU_EUlST_E_NS1_11comp_targetILNS1_3genE8ELNS1_11target_archE1030ELNS1_3gpuE2ELNS1_3repE0EEENS1_30default_config_static_selectorELNS0_4arch9wavefront6targetE1EEEvT1_
    .private_segment_fixed_size: 0
    .sgpr_count:     6
    .sgpr_spill_count: 0
    .symbol:         _ZN7rocprim17ROCPRIM_400000_NS6detail17trampoline_kernelINS0_14default_configENS1_27scan_by_key_config_selectorIssEEZZNS1_16scan_by_key_implILNS1_25lookback_scan_determinismE0ELb0ES3_N6thrust23THRUST_200600_302600_NS6detail15normal_iteratorINS9_10device_ptrIsEEEESE_SE_sNS9_4plusIsEE19head_flag_predicatesEE10hipError_tPvRmT2_T3_T4_T5_mT6_T7_P12ihipStream_tbENKUlT_T0_E_clISt17integral_constantIbLb0EESY_EEDaST_SU_EUlST_E_NS1_11comp_targetILNS1_3genE8ELNS1_11target_archE1030ELNS1_3gpuE2ELNS1_3repE0EEENS1_30default_config_static_selectorELNS0_4arch9wavefront6targetE1EEEvT1_.kd
    .uniform_work_group_size: 1
    .uses_dynamic_stack: false
    .vgpr_count:     0
    .vgpr_spill_count: 0
    .wavefront_size: 64
  - .agpr_count:     0
    .args:
      - .offset:         0
        .size:           112
        .value_kind:     by_value
    .group_segment_fixed_size: 0
    .kernarg_segment_align: 8
    .kernarg_segment_size: 112
    .language:       OpenCL C
    .language_version:
      - 2
      - 0
    .max_flat_workgroup_size: 256
    .name:           _ZN7rocprim17ROCPRIM_400000_NS6detail17trampoline_kernelINS0_14default_configENS1_27scan_by_key_config_selectorIssEEZZNS1_16scan_by_key_implILNS1_25lookback_scan_determinismE0ELb0ES3_N6thrust23THRUST_200600_302600_NS6detail15normal_iteratorINS9_10device_ptrIsEEEESE_SE_sNS9_4plusIsEE19head_flag_predicatesEE10hipError_tPvRmT2_T3_T4_T5_mT6_T7_P12ihipStream_tbENKUlT_T0_E_clISt17integral_constantIbLb1EESY_EEDaST_SU_EUlST_E_NS1_11comp_targetILNS1_3genE0ELNS1_11target_archE4294967295ELNS1_3gpuE0ELNS1_3repE0EEENS1_30default_config_static_selectorELNS0_4arch9wavefront6targetE1EEEvT1_
    .private_segment_fixed_size: 0
    .sgpr_count:     6
    .sgpr_spill_count: 0
    .symbol:         _ZN7rocprim17ROCPRIM_400000_NS6detail17trampoline_kernelINS0_14default_configENS1_27scan_by_key_config_selectorIssEEZZNS1_16scan_by_key_implILNS1_25lookback_scan_determinismE0ELb0ES3_N6thrust23THRUST_200600_302600_NS6detail15normal_iteratorINS9_10device_ptrIsEEEESE_SE_sNS9_4plusIsEE19head_flag_predicatesEE10hipError_tPvRmT2_T3_T4_T5_mT6_T7_P12ihipStream_tbENKUlT_T0_E_clISt17integral_constantIbLb1EESY_EEDaST_SU_EUlST_E_NS1_11comp_targetILNS1_3genE0ELNS1_11target_archE4294967295ELNS1_3gpuE0ELNS1_3repE0EEENS1_30default_config_static_selectorELNS0_4arch9wavefront6targetE1EEEvT1_.kd
    .uniform_work_group_size: 1
    .uses_dynamic_stack: false
    .vgpr_count:     0
    .vgpr_spill_count: 0
    .wavefront_size: 64
  - .agpr_count:     0
    .args:
      - .offset:         0
        .size:           112
        .value_kind:     by_value
    .group_segment_fixed_size: 0
    .kernarg_segment_align: 8
    .kernarg_segment_size: 112
    .language:       OpenCL C
    .language_version:
      - 2
      - 0
    .max_flat_workgroup_size: 128
    .name:           _ZN7rocprim17ROCPRIM_400000_NS6detail17trampoline_kernelINS0_14default_configENS1_27scan_by_key_config_selectorIssEEZZNS1_16scan_by_key_implILNS1_25lookback_scan_determinismE0ELb0ES3_N6thrust23THRUST_200600_302600_NS6detail15normal_iteratorINS9_10device_ptrIsEEEESE_SE_sNS9_4plusIsEE19head_flag_predicatesEE10hipError_tPvRmT2_T3_T4_T5_mT6_T7_P12ihipStream_tbENKUlT_T0_E_clISt17integral_constantIbLb1EESY_EEDaST_SU_EUlST_E_NS1_11comp_targetILNS1_3genE10ELNS1_11target_archE1201ELNS1_3gpuE5ELNS1_3repE0EEENS1_30default_config_static_selectorELNS0_4arch9wavefront6targetE1EEEvT1_
    .private_segment_fixed_size: 0
    .sgpr_count:     6
    .sgpr_spill_count: 0
    .symbol:         _ZN7rocprim17ROCPRIM_400000_NS6detail17trampoline_kernelINS0_14default_configENS1_27scan_by_key_config_selectorIssEEZZNS1_16scan_by_key_implILNS1_25lookback_scan_determinismE0ELb0ES3_N6thrust23THRUST_200600_302600_NS6detail15normal_iteratorINS9_10device_ptrIsEEEESE_SE_sNS9_4plusIsEE19head_flag_predicatesEE10hipError_tPvRmT2_T3_T4_T5_mT6_T7_P12ihipStream_tbENKUlT_T0_E_clISt17integral_constantIbLb1EESY_EEDaST_SU_EUlST_E_NS1_11comp_targetILNS1_3genE10ELNS1_11target_archE1201ELNS1_3gpuE5ELNS1_3repE0EEENS1_30default_config_static_selectorELNS0_4arch9wavefront6targetE1EEEvT1_.kd
    .uniform_work_group_size: 1
    .uses_dynamic_stack: false
    .vgpr_count:     0
    .vgpr_spill_count: 0
    .wavefront_size: 64
  - .agpr_count:     0
    .args:
      - .offset:         0
        .size:           112
        .value_kind:     by_value
    .group_segment_fixed_size: 13312
    .kernarg_segment_align: 8
    .kernarg_segment_size: 112
    .language:       OpenCL C
    .language_version:
      - 2
      - 0
    .max_flat_workgroup_size: 256
    .name:           _ZN7rocprim17ROCPRIM_400000_NS6detail17trampoline_kernelINS0_14default_configENS1_27scan_by_key_config_selectorIssEEZZNS1_16scan_by_key_implILNS1_25lookback_scan_determinismE0ELb0ES3_N6thrust23THRUST_200600_302600_NS6detail15normal_iteratorINS9_10device_ptrIsEEEESE_SE_sNS9_4plusIsEE19head_flag_predicatesEE10hipError_tPvRmT2_T3_T4_T5_mT6_T7_P12ihipStream_tbENKUlT_T0_E_clISt17integral_constantIbLb1EESY_EEDaST_SU_EUlST_E_NS1_11comp_targetILNS1_3genE5ELNS1_11target_archE942ELNS1_3gpuE9ELNS1_3repE0EEENS1_30default_config_static_selectorELNS0_4arch9wavefront6targetE1EEEvT1_
    .private_segment_fixed_size: 0
    .sgpr_count:     94
    .sgpr_spill_count: 0
    .symbol:         _ZN7rocprim17ROCPRIM_400000_NS6detail17trampoline_kernelINS0_14default_configENS1_27scan_by_key_config_selectorIssEEZZNS1_16scan_by_key_implILNS1_25lookback_scan_determinismE0ELb0ES3_N6thrust23THRUST_200600_302600_NS6detail15normal_iteratorINS9_10device_ptrIsEEEESE_SE_sNS9_4plusIsEE19head_flag_predicatesEE10hipError_tPvRmT2_T3_T4_T5_mT6_T7_P12ihipStream_tbENKUlT_T0_E_clISt17integral_constantIbLb1EESY_EEDaST_SU_EUlST_E_NS1_11comp_targetILNS1_3genE5ELNS1_11target_archE942ELNS1_3gpuE9ELNS1_3repE0EEENS1_30default_config_static_selectorELNS0_4arch9wavefront6targetE1EEEvT1_.kd
    .uniform_work_group_size: 1
    .uses_dynamic_stack: false
    .vgpr_count:     63
    .vgpr_spill_count: 0
    .wavefront_size: 64
  - .agpr_count:     0
    .args:
      - .offset:         0
        .size:           112
        .value_kind:     by_value
    .group_segment_fixed_size: 0
    .kernarg_segment_align: 8
    .kernarg_segment_size: 112
    .language:       OpenCL C
    .language_version:
      - 2
      - 0
    .max_flat_workgroup_size: 256
    .name:           _ZN7rocprim17ROCPRIM_400000_NS6detail17trampoline_kernelINS0_14default_configENS1_27scan_by_key_config_selectorIssEEZZNS1_16scan_by_key_implILNS1_25lookback_scan_determinismE0ELb0ES3_N6thrust23THRUST_200600_302600_NS6detail15normal_iteratorINS9_10device_ptrIsEEEESE_SE_sNS9_4plusIsEE19head_flag_predicatesEE10hipError_tPvRmT2_T3_T4_T5_mT6_T7_P12ihipStream_tbENKUlT_T0_E_clISt17integral_constantIbLb1EESY_EEDaST_SU_EUlST_E_NS1_11comp_targetILNS1_3genE4ELNS1_11target_archE910ELNS1_3gpuE8ELNS1_3repE0EEENS1_30default_config_static_selectorELNS0_4arch9wavefront6targetE1EEEvT1_
    .private_segment_fixed_size: 0
    .sgpr_count:     6
    .sgpr_spill_count: 0
    .symbol:         _ZN7rocprim17ROCPRIM_400000_NS6detail17trampoline_kernelINS0_14default_configENS1_27scan_by_key_config_selectorIssEEZZNS1_16scan_by_key_implILNS1_25lookback_scan_determinismE0ELb0ES3_N6thrust23THRUST_200600_302600_NS6detail15normal_iteratorINS9_10device_ptrIsEEEESE_SE_sNS9_4plusIsEE19head_flag_predicatesEE10hipError_tPvRmT2_T3_T4_T5_mT6_T7_P12ihipStream_tbENKUlT_T0_E_clISt17integral_constantIbLb1EESY_EEDaST_SU_EUlST_E_NS1_11comp_targetILNS1_3genE4ELNS1_11target_archE910ELNS1_3gpuE8ELNS1_3repE0EEENS1_30default_config_static_selectorELNS0_4arch9wavefront6targetE1EEEvT1_.kd
    .uniform_work_group_size: 1
    .uses_dynamic_stack: false
    .vgpr_count:     0
    .vgpr_spill_count: 0
    .wavefront_size: 64
  - .agpr_count:     0
    .args:
      - .offset:         0
        .size:           112
        .value_kind:     by_value
    .group_segment_fixed_size: 0
    .kernarg_segment_align: 8
    .kernarg_segment_size: 112
    .language:       OpenCL C
    .language_version:
      - 2
      - 0
    .max_flat_workgroup_size: 256
    .name:           _ZN7rocprim17ROCPRIM_400000_NS6detail17trampoline_kernelINS0_14default_configENS1_27scan_by_key_config_selectorIssEEZZNS1_16scan_by_key_implILNS1_25lookback_scan_determinismE0ELb0ES3_N6thrust23THRUST_200600_302600_NS6detail15normal_iteratorINS9_10device_ptrIsEEEESE_SE_sNS9_4plusIsEE19head_flag_predicatesEE10hipError_tPvRmT2_T3_T4_T5_mT6_T7_P12ihipStream_tbENKUlT_T0_E_clISt17integral_constantIbLb1EESY_EEDaST_SU_EUlST_E_NS1_11comp_targetILNS1_3genE3ELNS1_11target_archE908ELNS1_3gpuE7ELNS1_3repE0EEENS1_30default_config_static_selectorELNS0_4arch9wavefront6targetE1EEEvT1_
    .private_segment_fixed_size: 0
    .sgpr_count:     6
    .sgpr_spill_count: 0
    .symbol:         _ZN7rocprim17ROCPRIM_400000_NS6detail17trampoline_kernelINS0_14default_configENS1_27scan_by_key_config_selectorIssEEZZNS1_16scan_by_key_implILNS1_25lookback_scan_determinismE0ELb0ES3_N6thrust23THRUST_200600_302600_NS6detail15normal_iteratorINS9_10device_ptrIsEEEESE_SE_sNS9_4plusIsEE19head_flag_predicatesEE10hipError_tPvRmT2_T3_T4_T5_mT6_T7_P12ihipStream_tbENKUlT_T0_E_clISt17integral_constantIbLb1EESY_EEDaST_SU_EUlST_E_NS1_11comp_targetILNS1_3genE3ELNS1_11target_archE908ELNS1_3gpuE7ELNS1_3repE0EEENS1_30default_config_static_selectorELNS0_4arch9wavefront6targetE1EEEvT1_.kd
    .uniform_work_group_size: 1
    .uses_dynamic_stack: false
    .vgpr_count:     0
    .vgpr_spill_count: 0
    .wavefront_size: 64
  - .agpr_count:     0
    .args:
      - .offset:         0
        .size:           112
        .value_kind:     by_value
    .group_segment_fixed_size: 0
    .kernarg_segment_align: 8
    .kernarg_segment_size: 112
    .language:       OpenCL C
    .language_version:
      - 2
      - 0
    .max_flat_workgroup_size: 64
    .name:           _ZN7rocprim17ROCPRIM_400000_NS6detail17trampoline_kernelINS0_14default_configENS1_27scan_by_key_config_selectorIssEEZZNS1_16scan_by_key_implILNS1_25lookback_scan_determinismE0ELb0ES3_N6thrust23THRUST_200600_302600_NS6detail15normal_iteratorINS9_10device_ptrIsEEEESE_SE_sNS9_4plusIsEE19head_flag_predicatesEE10hipError_tPvRmT2_T3_T4_T5_mT6_T7_P12ihipStream_tbENKUlT_T0_E_clISt17integral_constantIbLb1EESY_EEDaST_SU_EUlST_E_NS1_11comp_targetILNS1_3genE2ELNS1_11target_archE906ELNS1_3gpuE6ELNS1_3repE0EEENS1_30default_config_static_selectorELNS0_4arch9wavefront6targetE1EEEvT1_
    .private_segment_fixed_size: 0
    .sgpr_count:     6
    .sgpr_spill_count: 0
    .symbol:         _ZN7rocprim17ROCPRIM_400000_NS6detail17trampoline_kernelINS0_14default_configENS1_27scan_by_key_config_selectorIssEEZZNS1_16scan_by_key_implILNS1_25lookback_scan_determinismE0ELb0ES3_N6thrust23THRUST_200600_302600_NS6detail15normal_iteratorINS9_10device_ptrIsEEEESE_SE_sNS9_4plusIsEE19head_flag_predicatesEE10hipError_tPvRmT2_T3_T4_T5_mT6_T7_P12ihipStream_tbENKUlT_T0_E_clISt17integral_constantIbLb1EESY_EEDaST_SU_EUlST_E_NS1_11comp_targetILNS1_3genE2ELNS1_11target_archE906ELNS1_3gpuE6ELNS1_3repE0EEENS1_30default_config_static_selectorELNS0_4arch9wavefront6targetE1EEEvT1_.kd
    .uniform_work_group_size: 1
    .uses_dynamic_stack: false
    .vgpr_count:     0
    .vgpr_spill_count: 0
    .wavefront_size: 64
  - .agpr_count:     0
    .args:
      - .offset:         0
        .size:           112
        .value_kind:     by_value
    .group_segment_fixed_size: 0
    .kernarg_segment_align: 8
    .kernarg_segment_size: 112
    .language:       OpenCL C
    .language_version:
      - 2
      - 0
    .max_flat_workgroup_size: 256
    .name:           _ZN7rocprim17ROCPRIM_400000_NS6detail17trampoline_kernelINS0_14default_configENS1_27scan_by_key_config_selectorIssEEZZNS1_16scan_by_key_implILNS1_25lookback_scan_determinismE0ELb0ES3_N6thrust23THRUST_200600_302600_NS6detail15normal_iteratorINS9_10device_ptrIsEEEESE_SE_sNS9_4plusIsEE19head_flag_predicatesEE10hipError_tPvRmT2_T3_T4_T5_mT6_T7_P12ihipStream_tbENKUlT_T0_E_clISt17integral_constantIbLb1EESY_EEDaST_SU_EUlST_E_NS1_11comp_targetILNS1_3genE10ELNS1_11target_archE1200ELNS1_3gpuE4ELNS1_3repE0EEENS1_30default_config_static_selectorELNS0_4arch9wavefront6targetE1EEEvT1_
    .private_segment_fixed_size: 0
    .sgpr_count:     6
    .sgpr_spill_count: 0
    .symbol:         _ZN7rocprim17ROCPRIM_400000_NS6detail17trampoline_kernelINS0_14default_configENS1_27scan_by_key_config_selectorIssEEZZNS1_16scan_by_key_implILNS1_25lookback_scan_determinismE0ELb0ES3_N6thrust23THRUST_200600_302600_NS6detail15normal_iteratorINS9_10device_ptrIsEEEESE_SE_sNS9_4plusIsEE19head_flag_predicatesEE10hipError_tPvRmT2_T3_T4_T5_mT6_T7_P12ihipStream_tbENKUlT_T0_E_clISt17integral_constantIbLb1EESY_EEDaST_SU_EUlST_E_NS1_11comp_targetILNS1_3genE10ELNS1_11target_archE1200ELNS1_3gpuE4ELNS1_3repE0EEENS1_30default_config_static_selectorELNS0_4arch9wavefront6targetE1EEEvT1_.kd
    .uniform_work_group_size: 1
    .uses_dynamic_stack: false
    .vgpr_count:     0
    .vgpr_spill_count: 0
    .wavefront_size: 64
  - .agpr_count:     0
    .args:
      - .offset:         0
        .size:           112
        .value_kind:     by_value
    .group_segment_fixed_size: 0
    .kernarg_segment_align: 8
    .kernarg_segment_size: 112
    .language:       OpenCL C
    .language_version:
      - 2
      - 0
    .max_flat_workgroup_size: 256
    .name:           _ZN7rocprim17ROCPRIM_400000_NS6detail17trampoline_kernelINS0_14default_configENS1_27scan_by_key_config_selectorIssEEZZNS1_16scan_by_key_implILNS1_25lookback_scan_determinismE0ELb0ES3_N6thrust23THRUST_200600_302600_NS6detail15normal_iteratorINS9_10device_ptrIsEEEESE_SE_sNS9_4plusIsEE19head_flag_predicatesEE10hipError_tPvRmT2_T3_T4_T5_mT6_T7_P12ihipStream_tbENKUlT_T0_E_clISt17integral_constantIbLb1EESY_EEDaST_SU_EUlST_E_NS1_11comp_targetILNS1_3genE9ELNS1_11target_archE1100ELNS1_3gpuE3ELNS1_3repE0EEENS1_30default_config_static_selectorELNS0_4arch9wavefront6targetE1EEEvT1_
    .private_segment_fixed_size: 0
    .sgpr_count:     6
    .sgpr_spill_count: 0
    .symbol:         _ZN7rocprim17ROCPRIM_400000_NS6detail17trampoline_kernelINS0_14default_configENS1_27scan_by_key_config_selectorIssEEZZNS1_16scan_by_key_implILNS1_25lookback_scan_determinismE0ELb0ES3_N6thrust23THRUST_200600_302600_NS6detail15normal_iteratorINS9_10device_ptrIsEEEESE_SE_sNS9_4plusIsEE19head_flag_predicatesEE10hipError_tPvRmT2_T3_T4_T5_mT6_T7_P12ihipStream_tbENKUlT_T0_E_clISt17integral_constantIbLb1EESY_EEDaST_SU_EUlST_E_NS1_11comp_targetILNS1_3genE9ELNS1_11target_archE1100ELNS1_3gpuE3ELNS1_3repE0EEENS1_30default_config_static_selectorELNS0_4arch9wavefront6targetE1EEEvT1_.kd
    .uniform_work_group_size: 1
    .uses_dynamic_stack: false
    .vgpr_count:     0
    .vgpr_spill_count: 0
    .wavefront_size: 64
  - .agpr_count:     0
    .args:
      - .offset:         0
        .size:           112
        .value_kind:     by_value
    .group_segment_fixed_size: 0
    .kernarg_segment_align: 8
    .kernarg_segment_size: 112
    .language:       OpenCL C
    .language_version:
      - 2
      - 0
    .max_flat_workgroup_size: 64
    .name:           _ZN7rocprim17ROCPRIM_400000_NS6detail17trampoline_kernelINS0_14default_configENS1_27scan_by_key_config_selectorIssEEZZNS1_16scan_by_key_implILNS1_25lookback_scan_determinismE0ELb0ES3_N6thrust23THRUST_200600_302600_NS6detail15normal_iteratorINS9_10device_ptrIsEEEESE_SE_sNS9_4plusIsEE19head_flag_predicatesEE10hipError_tPvRmT2_T3_T4_T5_mT6_T7_P12ihipStream_tbENKUlT_T0_E_clISt17integral_constantIbLb1EESY_EEDaST_SU_EUlST_E_NS1_11comp_targetILNS1_3genE8ELNS1_11target_archE1030ELNS1_3gpuE2ELNS1_3repE0EEENS1_30default_config_static_selectorELNS0_4arch9wavefront6targetE1EEEvT1_
    .private_segment_fixed_size: 0
    .sgpr_count:     6
    .sgpr_spill_count: 0
    .symbol:         _ZN7rocprim17ROCPRIM_400000_NS6detail17trampoline_kernelINS0_14default_configENS1_27scan_by_key_config_selectorIssEEZZNS1_16scan_by_key_implILNS1_25lookback_scan_determinismE0ELb0ES3_N6thrust23THRUST_200600_302600_NS6detail15normal_iteratorINS9_10device_ptrIsEEEESE_SE_sNS9_4plusIsEE19head_flag_predicatesEE10hipError_tPvRmT2_T3_T4_T5_mT6_T7_P12ihipStream_tbENKUlT_T0_E_clISt17integral_constantIbLb1EESY_EEDaST_SU_EUlST_E_NS1_11comp_targetILNS1_3genE8ELNS1_11target_archE1030ELNS1_3gpuE2ELNS1_3repE0EEENS1_30default_config_static_selectorELNS0_4arch9wavefront6targetE1EEEvT1_.kd
    .uniform_work_group_size: 1
    .uses_dynamic_stack: false
    .vgpr_count:     0
    .vgpr_spill_count: 0
    .wavefront_size: 64
  - .agpr_count:     0
    .args:
      - .offset:         0
        .size:           112
        .value_kind:     by_value
    .group_segment_fixed_size: 0
    .kernarg_segment_align: 8
    .kernarg_segment_size: 112
    .language:       OpenCL C
    .language_version:
      - 2
      - 0
    .max_flat_workgroup_size: 256
    .name:           _ZN7rocprim17ROCPRIM_400000_NS6detail17trampoline_kernelINS0_14default_configENS1_27scan_by_key_config_selectorIssEEZZNS1_16scan_by_key_implILNS1_25lookback_scan_determinismE0ELb0ES3_N6thrust23THRUST_200600_302600_NS6detail15normal_iteratorINS9_10device_ptrIsEEEESE_SE_sNS9_4plusIsEE19head_flag_predicatesEE10hipError_tPvRmT2_T3_T4_T5_mT6_T7_P12ihipStream_tbENKUlT_T0_E_clISt17integral_constantIbLb1EESX_IbLb0EEEEDaST_SU_EUlST_E_NS1_11comp_targetILNS1_3genE0ELNS1_11target_archE4294967295ELNS1_3gpuE0ELNS1_3repE0EEENS1_30default_config_static_selectorELNS0_4arch9wavefront6targetE1EEEvT1_
    .private_segment_fixed_size: 0
    .sgpr_count:     6
    .sgpr_spill_count: 0
    .symbol:         _ZN7rocprim17ROCPRIM_400000_NS6detail17trampoline_kernelINS0_14default_configENS1_27scan_by_key_config_selectorIssEEZZNS1_16scan_by_key_implILNS1_25lookback_scan_determinismE0ELb0ES3_N6thrust23THRUST_200600_302600_NS6detail15normal_iteratorINS9_10device_ptrIsEEEESE_SE_sNS9_4plusIsEE19head_flag_predicatesEE10hipError_tPvRmT2_T3_T4_T5_mT6_T7_P12ihipStream_tbENKUlT_T0_E_clISt17integral_constantIbLb1EESX_IbLb0EEEEDaST_SU_EUlST_E_NS1_11comp_targetILNS1_3genE0ELNS1_11target_archE4294967295ELNS1_3gpuE0ELNS1_3repE0EEENS1_30default_config_static_selectorELNS0_4arch9wavefront6targetE1EEEvT1_.kd
    .uniform_work_group_size: 1
    .uses_dynamic_stack: false
    .vgpr_count:     0
    .vgpr_spill_count: 0
    .wavefront_size: 64
  - .agpr_count:     0
    .args:
      - .offset:         0
        .size:           112
        .value_kind:     by_value
    .group_segment_fixed_size: 0
    .kernarg_segment_align: 8
    .kernarg_segment_size: 112
    .language:       OpenCL C
    .language_version:
      - 2
      - 0
    .max_flat_workgroup_size: 128
    .name:           _ZN7rocprim17ROCPRIM_400000_NS6detail17trampoline_kernelINS0_14default_configENS1_27scan_by_key_config_selectorIssEEZZNS1_16scan_by_key_implILNS1_25lookback_scan_determinismE0ELb0ES3_N6thrust23THRUST_200600_302600_NS6detail15normal_iteratorINS9_10device_ptrIsEEEESE_SE_sNS9_4plusIsEE19head_flag_predicatesEE10hipError_tPvRmT2_T3_T4_T5_mT6_T7_P12ihipStream_tbENKUlT_T0_E_clISt17integral_constantIbLb1EESX_IbLb0EEEEDaST_SU_EUlST_E_NS1_11comp_targetILNS1_3genE10ELNS1_11target_archE1201ELNS1_3gpuE5ELNS1_3repE0EEENS1_30default_config_static_selectorELNS0_4arch9wavefront6targetE1EEEvT1_
    .private_segment_fixed_size: 0
    .sgpr_count:     6
    .sgpr_spill_count: 0
    .symbol:         _ZN7rocprim17ROCPRIM_400000_NS6detail17trampoline_kernelINS0_14default_configENS1_27scan_by_key_config_selectorIssEEZZNS1_16scan_by_key_implILNS1_25lookback_scan_determinismE0ELb0ES3_N6thrust23THRUST_200600_302600_NS6detail15normal_iteratorINS9_10device_ptrIsEEEESE_SE_sNS9_4plusIsEE19head_flag_predicatesEE10hipError_tPvRmT2_T3_T4_T5_mT6_T7_P12ihipStream_tbENKUlT_T0_E_clISt17integral_constantIbLb1EESX_IbLb0EEEEDaST_SU_EUlST_E_NS1_11comp_targetILNS1_3genE10ELNS1_11target_archE1201ELNS1_3gpuE5ELNS1_3repE0EEENS1_30default_config_static_selectorELNS0_4arch9wavefront6targetE1EEEvT1_.kd
    .uniform_work_group_size: 1
    .uses_dynamic_stack: false
    .vgpr_count:     0
    .vgpr_spill_count: 0
    .wavefront_size: 64
  - .agpr_count:     0
    .args:
      - .offset:         0
        .size:           112
        .value_kind:     by_value
    .group_segment_fixed_size: 13312
    .kernarg_segment_align: 8
    .kernarg_segment_size: 112
    .language:       OpenCL C
    .language_version:
      - 2
      - 0
    .max_flat_workgroup_size: 256
    .name:           _ZN7rocprim17ROCPRIM_400000_NS6detail17trampoline_kernelINS0_14default_configENS1_27scan_by_key_config_selectorIssEEZZNS1_16scan_by_key_implILNS1_25lookback_scan_determinismE0ELb0ES3_N6thrust23THRUST_200600_302600_NS6detail15normal_iteratorINS9_10device_ptrIsEEEESE_SE_sNS9_4plusIsEE19head_flag_predicatesEE10hipError_tPvRmT2_T3_T4_T5_mT6_T7_P12ihipStream_tbENKUlT_T0_E_clISt17integral_constantIbLb1EESX_IbLb0EEEEDaST_SU_EUlST_E_NS1_11comp_targetILNS1_3genE5ELNS1_11target_archE942ELNS1_3gpuE9ELNS1_3repE0EEENS1_30default_config_static_selectorELNS0_4arch9wavefront6targetE1EEEvT1_
    .private_segment_fixed_size: 0
    .sgpr_count:     90
    .sgpr_spill_count: 0
    .symbol:         _ZN7rocprim17ROCPRIM_400000_NS6detail17trampoline_kernelINS0_14default_configENS1_27scan_by_key_config_selectorIssEEZZNS1_16scan_by_key_implILNS1_25lookback_scan_determinismE0ELb0ES3_N6thrust23THRUST_200600_302600_NS6detail15normal_iteratorINS9_10device_ptrIsEEEESE_SE_sNS9_4plusIsEE19head_flag_predicatesEE10hipError_tPvRmT2_T3_T4_T5_mT6_T7_P12ihipStream_tbENKUlT_T0_E_clISt17integral_constantIbLb1EESX_IbLb0EEEEDaST_SU_EUlST_E_NS1_11comp_targetILNS1_3genE5ELNS1_11target_archE942ELNS1_3gpuE9ELNS1_3repE0EEENS1_30default_config_static_selectorELNS0_4arch9wavefront6targetE1EEEvT1_.kd
    .uniform_work_group_size: 1
    .uses_dynamic_stack: false
    .vgpr_count:     63
    .vgpr_spill_count: 0
    .wavefront_size: 64
  - .agpr_count:     0
    .args:
      - .offset:         0
        .size:           112
        .value_kind:     by_value
    .group_segment_fixed_size: 0
    .kernarg_segment_align: 8
    .kernarg_segment_size: 112
    .language:       OpenCL C
    .language_version:
      - 2
      - 0
    .max_flat_workgroup_size: 256
    .name:           _ZN7rocprim17ROCPRIM_400000_NS6detail17trampoline_kernelINS0_14default_configENS1_27scan_by_key_config_selectorIssEEZZNS1_16scan_by_key_implILNS1_25lookback_scan_determinismE0ELb0ES3_N6thrust23THRUST_200600_302600_NS6detail15normal_iteratorINS9_10device_ptrIsEEEESE_SE_sNS9_4plusIsEE19head_flag_predicatesEE10hipError_tPvRmT2_T3_T4_T5_mT6_T7_P12ihipStream_tbENKUlT_T0_E_clISt17integral_constantIbLb1EESX_IbLb0EEEEDaST_SU_EUlST_E_NS1_11comp_targetILNS1_3genE4ELNS1_11target_archE910ELNS1_3gpuE8ELNS1_3repE0EEENS1_30default_config_static_selectorELNS0_4arch9wavefront6targetE1EEEvT1_
    .private_segment_fixed_size: 0
    .sgpr_count:     6
    .sgpr_spill_count: 0
    .symbol:         _ZN7rocprim17ROCPRIM_400000_NS6detail17trampoline_kernelINS0_14default_configENS1_27scan_by_key_config_selectorIssEEZZNS1_16scan_by_key_implILNS1_25lookback_scan_determinismE0ELb0ES3_N6thrust23THRUST_200600_302600_NS6detail15normal_iteratorINS9_10device_ptrIsEEEESE_SE_sNS9_4plusIsEE19head_flag_predicatesEE10hipError_tPvRmT2_T3_T4_T5_mT6_T7_P12ihipStream_tbENKUlT_T0_E_clISt17integral_constantIbLb1EESX_IbLb0EEEEDaST_SU_EUlST_E_NS1_11comp_targetILNS1_3genE4ELNS1_11target_archE910ELNS1_3gpuE8ELNS1_3repE0EEENS1_30default_config_static_selectorELNS0_4arch9wavefront6targetE1EEEvT1_.kd
    .uniform_work_group_size: 1
    .uses_dynamic_stack: false
    .vgpr_count:     0
    .vgpr_spill_count: 0
    .wavefront_size: 64
  - .agpr_count:     0
    .args:
      - .offset:         0
        .size:           112
        .value_kind:     by_value
    .group_segment_fixed_size: 0
    .kernarg_segment_align: 8
    .kernarg_segment_size: 112
    .language:       OpenCL C
    .language_version:
      - 2
      - 0
    .max_flat_workgroup_size: 256
    .name:           _ZN7rocprim17ROCPRIM_400000_NS6detail17trampoline_kernelINS0_14default_configENS1_27scan_by_key_config_selectorIssEEZZNS1_16scan_by_key_implILNS1_25lookback_scan_determinismE0ELb0ES3_N6thrust23THRUST_200600_302600_NS6detail15normal_iteratorINS9_10device_ptrIsEEEESE_SE_sNS9_4plusIsEE19head_flag_predicatesEE10hipError_tPvRmT2_T3_T4_T5_mT6_T7_P12ihipStream_tbENKUlT_T0_E_clISt17integral_constantIbLb1EESX_IbLb0EEEEDaST_SU_EUlST_E_NS1_11comp_targetILNS1_3genE3ELNS1_11target_archE908ELNS1_3gpuE7ELNS1_3repE0EEENS1_30default_config_static_selectorELNS0_4arch9wavefront6targetE1EEEvT1_
    .private_segment_fixed_size: 0
    .sgpr_count:     6
    .sgpr_spill_count: 0
    .symbol:         _ZN7rocprim17ROCPRIM_400000_NS6detail17trampoline_kernelINS0_14default_configENS1_27scan_by_key_config_selectorIssEEZZNS1_16scan_by_key_implILNS1_25lookback_scan_determinismE0ELb0ES3_N6thrust23THRUST_200600_302600_NS6detail15normal_iteratorINS9_10device_ptrIsEEEESE_SE_sNS9_4plusIsEE19head_flag_predicatesEE10hipError_tPvRmT2_T3_T4_T5_mT6_T7_P12ihipStream_tbENKUlT_T0_E_clISt17integral_constantIbLb1EESX_IbLb0EEEEDaST_SU_EUlST_E_NS1_11comp_targetILNS1_3genE3ELNS1_11target_archE908ELNS1_3gpuE7ELNS1_3repE0EEENS1_30default_config_static_selectorELNS0_4arch9wavefront6targetE1EEEvT1_.kd
    .uniform_work_group_size: 1
    .uses_dynamic_stack: false
    .vgpr_count:     0
    .vgpr_spill_count: 0
    .wavefront_size: 64
  - .agpr_count:     0
    .args:
      - .offset:         0
        .size:           112
        .value_kind:     by_value
    .group_segment_fixed_size: 0
    .kernarg_segment_align: 8
    .kernarg_segment_size: 112
    .language:       OpenCL C
    .language_version:
      - 2
      - 0
    .max_flat_workgroup_size: 64
    .name:           _ZN7rocprim17ROCPRIM_400000_NS6detail17trampoline_kernelINS0_14default_configENS1_27scan_by_key_config_selectorIssEEZZNS1_16scan_by_key_implILNS1_25lookback_scan_determinismE0ELb0ES3_N6thrust23THRUST_200600_302600_NS6detail15normal_iteratorINS9_10device_ptrIsEEEESE_SE_sNS9_4plusIsEE19head_flag_predicatesEE10hipError_tPvRmT2_T3_T4_T5_mT6_T7_P12ihipStream_tbENKUlT_T0_E_clISt17integral_constantIbLb1EESX_IbLb0EEEEDaST_SU_EUlST_E_NS1_11comp_targetILNS1_3genE2ELNS1_11target_archE906ELNS1_3gpuE6ELNS1_3repE0EEENS1_30default_config_static_selectorELNS0_4arch9wavefront6targetE1EEEvT1_
    .private_segment_fixed_size: 0
    .sgpr_count:     6
    .sgpr_spill_count: 0
    .symbol:         _ZN7rocprim17ROCPRIM_400000_NS6detail17trampoline_kernelINS0_14default_configENS1_27scan_by_key_config_selectorIssEEZZNS1_16scan_by_key_implILNS1_25lookback_scan_determinismE0ELb0ES3_N6thrust23THRUST_200600_302600_NS6detail15normal_iteratorINS9_10device_ptrIsEEEESE_SE_sNS9_4plusIsEE19head_flag_predicatesEE10hipError_tPvRmT2_T3_T4_T5_mT6_T7_P12ihipStream_tbENKUlT_T0_E_clISt17integral_constantIbLb1EESX_IbLb0EEEEDaST_SU_EUlST_E_NS1_11comp_targetILNS1_3genE2ELNS1_11target_archE906ELNS1_3gpuE6ELNS1_3repE0EEENS1_30default_config_static_selectorELNS0_4arch9wavefront6targetE1EEEvT1_.kd
    .uniform_work_group_size: 1
    .uses_dynamic_stack: false
    .vgpr_count:     0
    .vgpr_spill_count: 0
    .wavefront_size: 64
  - .agpr_count:     0
    .args:
      - .offset:         0
        .size:           112
        .value_kind:     by_value
    .group_segment_fixed_size: 0
    .kernarg_segment_align: 8
    .kernarg_segment_size: 112
    .language:       OpenCL C
    .language_version:
      - 2
      - 0
    .max_flat_workgroup_size: 256
    .name:           _ZN7rocprim17ROCPRIM_400000_NS6detail17trampoline_kernelINS0_14default_configENS1_27scan_by_key_config_selectorIssEEZZNS1_16scan_by_key_implILNS1_25lookback_scan_determinismE0ELb0ES3_N6thrust23THRUST_200600_302600_NS6detail15normal_iteratorINS9_10device_ptrIsEEEESE_SE_sNS9_4plusIsEE19head_flag_predicatesEE10hipError_tPvRmT2_T3_T4_T5_mT6_T7_P12ihipStream_tbENKUlT_T0_E_clISt17integral_constantIbLb1EESX_IbLb0EEEEDaST_SU_EUlST_E_NS1_11comp_targetILNS1_3genE10ELNS1_11target_archE1200ELNS1_3gpuE4ELNS1_3repE0EEENS1_30default_config_static_selectorELNS0_4arch9wavefront6targetE1EEEvT1_
    .private_segment_fixed_size: 0
    .sgpr_count:     6
    .sgpr_spill_count: 0
    .symbol:         _ZN7rocprim17ROCPRIM_400000_NS6detail17trampoline_kernelINS0_14default_configENS1_27scan_by_key_config_selectorIssEEZZNS1_16scan_by_key_implILNS1_25lookback_scan_determinismE0ELb0ES3_N6thrust23THRUST_200600_302600_NS6detail15normal_iteratorINS9_10device_ptrIsEEEESE_SE_sNS9_4plusIsEE19head_flag_predicatesEE10hipError_tPvRmT2_T3_T4_T5_mT6_T7_P12ihipStream_tbENKUlT_T0_E_clISt17integral_constantIbLb1EESX_IbLb0EEEEDaST_SU_EUlST_E_NS1_11comp_targetILNS1_3genE10ELNS1_11target_archE1200ELNS1_3gpuE4ELNS1_3repE0EEENS1_30default_config_static_selectorELNS0_4arch9wavefront6targetE1EEEvT1_.kd
    .uniform_work_group_size: 1
    .uses_dynamic_stack: false
    .vgpr_count:     0
    .vgpr_spill_count: 0
    .wavefront_size: 64
  - .agpr_count:     0
    .args:
      - .offset:         0
        .size:           112
        .value_kind:     by_value
    .group_segment_fixed_size: 0
    .kernarg_segment_align: 8
    .kernarg_segment_size: 112
    .language:       OpenCL C
    .language_version:
      - 2
      - 0
    .max_flat_workgroup_size: 256
    .name:           _ZN7rocprim17ROCPRIM_400000_NS6detail17trampoline_kernelINS0_14default_configENS1_27scan_by_key_config_selectorIssEEZZNS1_16scan_by_key_implILNS1_25lookback_scan_determinismE0ELb0ES3_N6thrust23THRUST_200600_302600_NS6detail15normal_iteratorINS9_10device_ptrIsEEEESE_SE_sNS9_4plusIsEE19head_flag_predicatesEE10hipError_tPvRmT2_T3_T4_T5_mT6_T7_P12ihipStream_tbENKUlT_T0_E_clISt17integral_constantIbLb1EESX_IbLb0EEEEDaST_SU_EUlST_E_NS1_11comp_targetILNS1_3genE9ELNS1_11target_archE1100ELNS1_3gpuE3ELNS1_3repE0EEENS1_30default_config_static_selectorELNS0_4arch9wavefront6targetE1EEEvT1_
    .private_segment_fixed_size: 0
    .sgpr_count:     6
    .sgpr_spill_count: 0
    .symbol:         _ZN7rocprim17ROCPRIM_400000_NS6detail17trampoline_kernelINS0_14default_configENS1_27scan_by_key_config_selectorIssEEZZNS1_16scan_by_key_implILNS1_25lookback_scan_determinismE0ELb0ES3_N6thrust23THRUST_200600_302600_NS6detail15normal_iteratorINS9_10device_ptrIsEEEESE_SE_sNS9_4plusIsEE19head_flag_predicatesEE10hipError_tPvRmT2_T3_T4_T5_mT6_T7_P12ihipStream_tbENKUlT_T0_E_clISt17integral_constantIbLb1EESX_IbLb0EEEEDaST_SU_EUlST_E_NS1_11comp_targetILNS1_3genE9ELNS1_11target_archE1100ELNS1_3gpuE3ELNS1_3repE0EEENS1_30default_config_static_selectorELNS0_4arch9wavefront6targetE1EEEvT1_.kd
    .uniform_work_group_size: 1
    .uses_dynamic_stack: false
    .vgpr_count:     0
    .vgpr_spill_count: 0
    .wavefront_size: 64
  - .agpr_count:     0
    .args:
      - .offset:         0
        .size:           112
        .value_kind:     by_value
    .group_segment_fixed_size: 0
    .kernarg_segment_align: 8
    .kernarg_segment_size: 112
    .language:       OpenCL C
    .language_version:
      - 2
      - 0
    .max_flat_workgroup_size: 64
    .name:           _ZN7rocprim17ROCPRIM_400000_NS6detail17trampoline_kernelINS0_14default_configENS1_27scan_by_key_config_selectorIssEEZZNS1_16scan_by_key_implILNS1_25lookback_scan_determinismE0ELb0ES3_N6thrust23THRUST_200600_302600_NS6detail15normal_iteratorINS9_10device_ptrIsEEEESE_SE_sNS9_4plusIsEE19head_flag_predicatesEE10hipError_tPvRmT2_T3_T4_T5_mT6_T7_P12ihipStream_tbENKUlT_T0_E_clISt17integral_constantIbLb1EESX_IbLb0EEEEDaST_SU_EUlST_E_NS1_11comp_targetILNS1_3genE8ELNS1_11target_archE1030ELNS1_3gpuE2ELNS1_3repE0EEENS1_30default_config_static_selectorELNS0_4arch9wavefront6targetE1EEEvT1_
    .private_segment_fixed_size: 0
    .sgpr_count:     6
    .sgpr_spill_count: 0
    .symbol:         _ZN7rocprim17ROCPRIM_400000_NS6detail17trampoline_kernelINS0_14default_configENS1_27scan_by_key_config_selectorIssEEZZNS1_16scan_by_key_implILNS1_25lookback_scan_determinismE0ELb0ES3_N6thrust23THRUST_200600_302600_NS6detail15normal_iteratorINS9_10device_ptrIsEEEESE_SE_sNS9_4plusIsEE19head_flag_predicatesEE10hipError_tPvRmT2_T3_T4_T5_mT6_T7_P12ihipStream_tbENKUlT_T0_E_clISt17integral_constantIbLb1EESX_IbLb0EEEEDaST_SU_EUlST_E_NS1_11comp_targetILNS1_3genE8ELNS1_11target_archE1030ELNS1_3gpuE2ELNS1_3repE0EEENS1_30default_config_static_selectorELNS0_4arch9wavefront6targetE1EEEvT1_.kd
    .uniform_work_group_size: 1
    .uses_dynamic_stack: false
    .vgpr_count:     0
    .vgpr_spill_count: 0
    .wavefront_size: 64
  - .agpr_count:     0
    .args:
      - .offset:         0
        .size:           112
        .value_kind:     by_value
    .group_segment_fixed_size: 0
    .kernarg_segment_align: 8
    .kernarg_segment_size: 112
    .language:       OpenCL C
    .language_version:
      - 2
      - 0
    .max_flat_workgroup_size: 256
    .name:           _ZN7rocprim17ROCPRIM_400000_NS6detail17trampoline_kernelINS0_14default_configENS1_27scan_by_key_config_selectorIssEEZZNS1_16scan_by_key_implILNS1_25lookback_scan_determinismE0ELb0ES3_N6thrust23THRUST_200600_302600_NS6detail15normal_iteratorINS9_10device_ptrIsEEEESE_SE_sNS9_4plusIsEE19head_flag_predicatesEE10hipError_tPvRmT2_T3_T4_T5_mT6_T7_P12ihipStream_tbENKUlT_T0_E_clISt17integral_constantIbLb0EESX_IbLb1EEEEDaST_SU_EUlST_E_NS1_11comp_targetILNS1_3genE0ELNS1_11target_archE4294967295ELNS1_3gpuE0ELNS1_3repE0EEENS1_30default_config_static_selectorELNS0_4arch9wavefront6targetE1EEEvT1_
    .private_segment_fixed_size: 0
    .sgpr_count:     6
    .sgpr_spill_count: 0
    .symbol:         _ZN7rocprim17ROCPRIM_400000_NS6detail17trampoline_kernelINS0_14default_configENS1_27scan_by_key_config_selectorIssEEZZNS1_16scan_by_key_implILNS1_25lookback_scan_determinismE0ELb0ES3_N6thrust23THRUST_200600_302600_NS6detail15normal_iteratorINS9_10device_ptrIsEEEESE_SE_sNS9_4plusIsEE19head_flag_predicatesEE10hipError_tPvRmT2_T3_T4_T5_mT6_T7_P12ihipStream_tbENKUlT_T0_E_clISt17integral_constantIbLb0EESX_IbLb1EEEEDaST_SU_EUlST_E_NS1_11comp_targetILNS1_3genE0ELNS1_11target_archE4294967295ELNS1_3gpuE0ELNS1_3repE0EEENS1_30default_config_static_selectorELNS0_4arch9wavefront6targetE1EEEvT1_.kd
    .uniform_work_group_size: 1
    .uses_dynamic_stack: false
    .vgpr_count:     0
    .vgpr_spill_count: 0
    .wavefront_size: 64
  - .agpr_count:     0
    .args:
      - .offset:         0
        .size:           112
        .value_kind:     by_value
    .group_segment_fixed_size: 0
    .kernarg_segment_align: 8
    .kernarg_segment_size: 112
    .language:       OpenCL C
    .language_version:
      - 2
      - 0
    .max_flat_workgroup_size: 128
    .name:           _ZN7rocprim17ROCPRIM_400000_NS6detail17trampoline_kernelINS0_14default_configENS1_27scan_by_key_config_selectorIssEEZZNS1_16scan_by_key_implILNS1_25lookback_scan_determinismE0ELb0ES3_N6thrust23THRUST_200600_302600_NS6detail15normal_iteratorINS9_10device_ptrIsEEEESE_SE_sNS9_4plusIsEE19head_flag_predicatesEE10hipError_tPvRmT2_T3_T4_T5_mT6_T7_P12ihipStream_tbENKUlT_T0_E_clISt17integral_constantIbLb0EESX_IbLb1EEEEDaST_SU_EUlST_E_NS1_11comp_targetILNS1_3genE10ELNS1_11target_archE1201ELNS1_3gpuE5ELNS1_3repE0EEENS1_30default_config_static_selectorELNS0_4arch9wavefront6targetE1EEEvT1_
    .private_segment_fixed_size: 0
    .sgpr_count:     6
    .sgpr_spill_count: 0
    .symbol:         _ZN7rocprim17ROCPRIM_400000_NS6detail17trampoline_kernelINS0_14default_configENS1_27scan_by_key_config_selectorIssEEZZNS1_16scan_by_key_implILNS1_25lookback_scan_determinismE0ELb0ES3_N6thrust23THRUST_200600_302600_NS6detail15normal_iteratorINS9_10device_ptrIsEEEESE_SE_sNS9_4plusIsEE19head_flag_predicatesEE10hipError_tPvRmT2_T3_T4_T5_mT6_T7_P12ihipStream_tbENKUlT_T0_E_clISt17integral_constantIbLb0EESX_IbLb1EEEEDaST_SU_EUlST_E_NS1_11comp_targetILNS1_3genE10ELNS1_11target_archE1201ELNS1_3gpuE5ELNS1_3repE0EEENS1_30default_config_static_selectorELNS0_4arch9wavefront6targetE1EEEvT1_.kd
    .uniform_work_group_size: 1
    .uses_dynamic_stack: false
    .vgpr_count:     0
    .vgpr_spill_count: 0
    .wavefront_size: 64
  - .agpr_count:     0
    .args:
      - .offset:         0
        .size:           112
        .value_kind:     by_value
    .group_segment_fixed_size: 13312
    .kernarg_segment_align: 8
    .kernarg_segment_size: 112
    .language:       OpenCL C
    .language_version:
      - 2
      - 0
    .max_flat_workgroup_size: 256
    .name:           _ZN7rocprim17ROCPRIM_400000_NS6detail17trampoline_kernelINS0_14default_configENS1_27scan_by_key_config_selectorIssEEZZNS1_16scan_by_key_implILNS1_25lookback_scan_determinismE0ELb0ES3_N6thrust23THRUST_200600_302600_NS6detail15normal_iteratorINS9_10device_ptrIsEEEESE_SE_sNS9_4plusIsEE19head_flag_predicatesEE10hipError_tPvRmT2_T3_T4_T5_mT6_T7_P12ihipStream_tbENKUlT_T0_E_clISt17integral_constantIbLb0EESX_IbLb1EEEEDaST_SU_EUlST_E_NS1_11comp_targetILNS1_3genE5ELNS1_11target_archE942ELNS1_3gpuE9ELNS1_3repE0EEENS1_30default_config_static_selectorELNS0_4arch9wavefront6targetE1EEEvT1_
    .private_segment_fixed_size: 0
    .sgpr_count:     94
    .sgpr_spill_count: 0
    .symbol:         _ZN7rocprim17ROCPRIM_400000_NS6detail17trampoline_kernelINS0_14default_configENS1_27scan_by_key_config_selectorIssEEZZNS1_16scan_by_key_implILNS1_25lookback_scan_determinismE0ELb0ES3_N6thrust23THRUST_200600_302600_NS6detail15normal_iteratorINS9_10device_ptrIsEEEESE_SE_sNS9_4plusIsEE19head_flag_predicatesEE10hipError_tPvRmT2_T3_T4_T5_mT6_T7_P12ihipStream_tbENKUlT_T0_E_clISt17integral_constantIbLb0EESX_IbLb1EEEEDaST_SU_EUlST_E_NS1_11comp_targetILNS1_3genE5ELNS1_11target_archE942ELNS1_3gpuE9ELNS1_3repE0EEENS1_30default_config_static_selectorELNS0_4arch9wavefront6targetE1EEEvT1_.kd
    .uniform_work_group_size: 1
    .uses_dynamic_stack: false
    .vgpr_count:     63
    .vgpr_spill_count: 0
    .wavefront_size: 64
  - .agpr_count:     0
    .args:
      - .offset:         0
        .size:           112
        .value_kind:     by_value
    .group_segment_fixed_size: 0
    .kernarg_segment_align: 8
    .kernarg_segment_size: 112
    .language:       OpenCL C
    .language_version:
      - 2
      - 0
    .max_flat_workgroup_size: 256
    .name:           _ZN7rocprim17ROCPRIM_400000_NS6detail17trampoline_kernelINS0_14default_configENS1_27scan_by_key_config_selectorIssEEZZNS1_16scan_by_key_implILNS1_25lookback_scan_determinismE0ELb0ES3_N6thrust23THRUST_200600_302600_NS6detail15normal_iteratorINS9_10device_ptrIsEEEESE_SE_sNS9_4plusIsEE19head_flag_predicatesEE10hipError_tPvRmT2_T3_T4_T5_mT6_T7_P12ihipStream_tbENKUlT_T0_E_clISt17integral_constantIbLb0EESX_IbLb1EEEEDaST_SU_EUlST_E_NS1_11comp_targetILNS1_3genE4ELNS1_11target_archE910ELNS1_3gpuE8ELNS1_3repE0EEENS1_30default_config_static_selectorELNS0_4arch9wavefront6targetE1EEEvT1_
    .private_segment_fixed_size: 0
    .sgpr_count:     6
    .sgpr_spill_count: 0
    .symbol:         _ZN7rocprim17ROCPRIM_400000_NS6detail17trampoline_kernelINS0_14default_configENS1_27scan_by_key_config_selectorIssEEZZNS1_16scan_by_key_implILNS1_25lookback_scan_determinismE0ELb0ES3_N6thrust23THRUST_200600_302600_NS6detail15normal_iteratorINS9_10device_ptrIsEEEESE_SE_sNS9_4plusIsEE19head_flag_predicatesEE10hipError_tPvRmT2_T3_T4_T5_mT6_T7_P12ihipStream_tbENKUlT_T0_E_clISt17integral_constantIbLb0EESX_IbLb1EEEEDaST_SU_EUlST_E_NS1_11comp_targetILNS1_3genE4ELNS1_11target_archE910ELNS1_3gpuE8ELNS1_3repE0EEENS1_30default_config_static_selectorELNS0_4arch9wavefront6targetE1EEEvT1_.kd
    .uniform_work_group_size: 1
    .uses_dynamic_stack: false
    .vgpr_count:     0
    .vgpr_spill_count: 0
    .wavefront_size: 64
  - .agpr_count:     0
    .args:
      - .offset:         0
        .size:           112
        .value_kind:     by_value
    .group_segment_fixed_size: 0
    .kernarg_segment_align: 8
    .kernarg_segment_size: 112
    .language:       OpenCL C
    .language_version:
      - 2
      - 0
    .max_flat_workgroup_size: 256
    .name:           _ZN7rocprim17ROCPRIM_400000_NS6detail17trampoline_kernelINS0_14default_configENS1_27scan_by_key_config_selectorIssEEZZNS1_16scan_by_key_implILNS1_25lookback_scan_determinismE0ELb0ES3_N6thrust23THRUST_200600_302600_NS6detail15normal_iteratorINS9_10device_ptrIsEEEESE_SE_sNS9_4plusIsEE19head_flag_predicatesEE10hipError_tPvRmT2_T3_T4_T5_mT6_T7_P12ihipStream_tbENKUlT_T0_E_clISt17integral_constantIbLb0EESX_IbLb1EEEEDaST_SU_EUlST_E_NS1_11comp_targetILNS1_3genE3ELNS1_11target_archE908ELNS1_3gpuE7ELNS1_3repE0EEENS1_30default_config_static_selectorELNS0_4arch9wavefront6targetE1EEEvT1_
    .private_segment_fixed_size: 0
    .sgpr_count:     6
    .sgpr_spill_count: 0
    .symbol:         _ZN7rocprim17ROCPRIM_400000_NS6detail17trampoline_kernelINS0_14default_configENS1_27scan_by_key_config_selectorIssEEZZNS1_16scan_by_key_implILNS1_25lookback_scan_determinismE0ELb0ES3_N6thrust23THRUST_200600_302600_NS6detail15normal_iteratorINS9_10device_ptrIsEEEESE_SE_sNS9_4plusIsEE19head_flag_predicatesEE10hipError_tPvRmT2_T3_T4_T5_mT6_T7_P12ihipStream_tbENKUlT_T0_E_clISt17integral_constantIbLb0EESX_IbLb1EEEEDaST_SU_EUlST_E_NS1_11comp_targetILNS1_3genE3ELNS1_11target_archE908ELNS1_3gpuE7ELNS1_3repE0EEENS1_30default_config_static_selectorELNS0_4arch9wavefront6targetE1EEEvT1_.kd
    .uniform_work_group_size: 1
    .uses_dynamic_stack: false
    .vgpr_count:     0
    .vgpr_spill_count: 0
    .wavefront_size: 64
  - .agpr_count:     0
    .args:
      - .offset:         0
        .size:           112
        .value_kind:     by_value
    .group_segment_fixed_size: 0
    .kernarg_segment_align: 8
    .kernarg_segment_size: 112
    .language:       OpenCL C
    .language_version:
      - 2
      - 0
    .max_flat_workgroup_size: 64
    .name:           _ZN7rocprim17ROCPRIM_400000_NS6detail17trampoline_kernelINS0_14default_configENS1_27scan_by_key_config_selectorIssEEZZNS1_16scan_by_key_implILNS1_25lookback_scan_determinismE0ELb0ES3_N6thrust23THRUST_200600_302600_NS6detail15normal_iteratorINS9_10device_ptrIsEEEESE_SE_sNS9_4plusIsEE19head_flag_predicatesEE10hipError_tPvRmT2_T3_T4_T5_mT6_T7_P12ihipStream_tbENKUlT_T0_E_clISt17integral_constantIbLb0EESX_IbLb1EEEEDaST_SU_EUlST_E_NS1_11comp_targetILNS1_3genE2ELNS1_11target_archE906ELNS1_3gpuE6ELNS1_3repE0EEENS1_30default_config_static_selectorELNS0_4arch9wavefront6targetE1EEEvT1_
    .private_segment_fixed_size: 0
    .sgpr_count:     6
    .sgpr_spill_count: 0
    .symbol:         _ZN7rocprim17ROCPRIM_400000_NS6detail17trampoline_kernelINS0_14default_configENS1_27scan_by_key_config_selectorIssEEZZNS1_16scan_by_key_implILNS1_25lookback_scan_determinismE0ELb0ES3_N6thrust23THRUST_200600_302600_NS6detail15normal_iteratorINS9_10device_ptrIsEEEESE_SE_sNS9_4plusIsEE19head_flag_predicatesEE10hipError_tPvRmT2_T3_T4_T5_mT6_T7_P12ihipStream_tbENKUlT_T0_E_clISt17integral_constantIbLb0EESX_IbLb1EEEEDaST_SU_EUlST_E_NS1_11comp_targetILNS1_3genE2ELNS1_11target_archE906ELNS1_3gpuE6ELNS1_3repE0EEENS1_30default_config_static_selectorELNS0_4arch9wavefront6targetE1EEEvT1_.kd
    .uniform_work_group_size: 1
    .uses_dynamic_stack: false
    .vgpr_count:     0
    .vgpr_spill_count: 0
    .wavefront_size: 64
  - .agpr_count:     0
    .args:
      - .offset:         0
        .size:           112
        .value_kind:     by_value
    .group_segment_fixed_size: 0
    .kernarg_segment_align: 8
    .kernarg_segment_size: 112
    .language:       OpenCL C
    .language_version:
      - 2
      - 0
    .max_flat_workgroup_size: 256
    .name:           _ZN7rocprim17ROCPRIM_400000_NS6detail17trampoline_kernelINS0_14default_configENS1_27scan_by_key_config_selectorIssEEZZNS1_16scan_by_key_implILNS1_25lookback_scan_determinismE0ELb0ES3_N6thrust23THRUST_200600_302600_NS6detail15normal_iteratorINS9_10device_ptrIsEEEESE_SE_sNS9_4plusIsEE19head_flag_predicatesEE10hipError_tPvRmT2_T3_T4_T5_mT6_T7_P12ihipStream_tbENKUlT_T0_E_clISt17integral_constantIbLb0EESX_IbLb1EEEEDaST_SU_EUlST_E_NS1_11comp_targetILNS1_3genE10ELNS1_11target_archE1200ELNS1_3gpuE4ELNS1_3repE0EEENS1_30default_config_static_selectorELNS0_4arch9wavefront6targetE1EEEvT1_
    .private_segment_fixed_size: 0
    .sgpr_count:     6
    .sgpr_spill_count: 0
    .symbol:         _ZN7rocprim17ROCPRIM_400000_NS6detail17trampoline_kernelINS0_14default_configENS1_27scan_by_key_config_selectorIssEEZZNS1_16scan_by_key_implILNS1_25lookback_scan_determinismE0ELb0ES3_N6thrust23THRUST_200600_302600_NS6detail15normal_iteratorINS9_10device_ptrIsEEEESE_SE_sNS9_4plusIsEE19head_flag_predicatesEE10hipError_tPvRmT2_T3_T4_T5_mT6_T7_P12ihipStream_tbENKUlT_T0_E_clISt17integral_constantIbLb0EESX_IbLb1EEEEDaST_SU_EUlST_E_NS1_11comp_targetILNS1_3genE10ELNS1_11target_archE1200ELNS1_3gpuE4ELNS1_3repE0EEENS1_30default_config_static_selectorELNS0_4arch9wavefront6targetE1EEEvT1_.kd
    .uniform_work_group_size: 1
    .uses_dynamic_stack: false
    .vgpr_count:     0
    .vgpr_spill_count: 0
    .wavefront_size: 64
  - .agpr_count:     0
    .args:
      - .offset:         0
        .size:           112
        .value_kind:     by_value
    .group_segment_fixed_size: 0
    .kernarg_segment_align: 8
    .kernarg_segment_size: 112
    .language:       OpenCL C
    .language_version:
      - 2
      - 0
    .max_flat_workgroup_size: 256
    .name:           _ZN7rocprim17ROCPRIM_400000_NS6detail17trampoline_kernelINS0_14default_configENS1_27scan_by_key_config_selectorIssEEZZNS1_16scan_by_key_implILNS1_25lookback_scan_determinismE0ELb0ES3_N6thrust23THRUST_200600_302600_NS6detail15normal_iteratorINS9_10device_ptrIsEEEESE_SE_sNS9_4plusIsEE19head_flag_predicatesEE10hipError_tPvRmT2_T3_T4_T5_mT6_T7_P12ihipStream_tbENKUlT_T0_E_clISt17integral_constantIbLb0EESX_IbLb1EEEEDaST_SU_EUlST_E_NS1_11comp_targetILNS1_3genE9ELNS1_11target_archE1100ELNS1_3gpuE3ELNS1_3repE0EEENS1_30default_config_static_selectorELNS0_4arch9wavefront6targetE1EEEvT1_
    .private_segment_fixed_size: 0
    .sgpr_count:     6
    .sgpr_spill_count: 0
    .symbol:         _ZN7rocprim17ROCPRIM_400000_NS6detail17trampoline_kernelINS0_14default_configENS1_27scan_by_key_config_selectorIssEEZZNS1_16scan_by_key_implILNS1_25lookback_scan_determinismE0ELb0ES3_N6thrust23THRUST_200600_302600_NS6detail15normal_iteratorINS9_10device_ptrIsEEEESE_SE_sNS9_4plusIsEE19head_flag_predicatesEE10hipError_tPvRmT2_T3_T4_T5_mT6_T7_P12ihipStream_tbENKUlT_T0_E_clISt17integral_constantIbLb0EESX_IbLb1EEEEDaST_SU_EUlST_E_NS1_11comp_targetILNS1_3genE9ELNS1_11target_archE1100ELNS1_3gpuE3ELNS1_3repE0EEENS1_30default_config_static_selectorELNS0_4arch9wavefront6targetE1EEEvT1_.kd
    .uniform_work_group_size: 1
    .uses_dynamic_stack: false
    .vgpr_count:     0
    .vgpr_spill_count: 0
    .wavefront_size: 64
  - .agpr_count:     0
    .args:
      - .offset:         0
        .size:           112
        .value_kind:     by_value
    .group_segment_fixed_size: 0
    .kernarg_segment_align: 8
    .kernarg_segment_size: 112
    .language:       OpenCL C
    .language_version:
      - 2
      - 0
    .max_flat_workgroup_size: 64
    .name:           _ZN7rocprim17ROCPRIM_400000_NS6detail17trampoline_kernelINS0_14default_configENS1_27scan_by_key_config_selectorIssEEZZNS1_16scan_by_key_implILNS1_25lookback_scan_determinismE0ELb0ES3_N6thrust23THRUST_200600_302600_NS6detail15normal_iteratorINS9_10device_ptrIsEEEESE_SE_sNS9_4plusIsEE19head_flag_predicatesEE10hipError_tPvRmT2_T3_T4_T5_mT6_T7_P12ihipStream_tbENKUlT_T0_E_clISt17integral_constantIbLb0EESX_IbLb1EEEEDaST_SU_EUlST_E_NS1_11comp_targetILNS1_3genE8ELNS1_11target_archE1030ELNS1_3gpuE2ELNS1_3repE0EEENS1_30default_config_static_selectorELNS0_4arch9wavefront6targetE1EEEvT1_
    .private_segment_fixed_size: 0
    .sgpr_count:     6
    .sgpr_spill_count: 0
    .symbol:         _ZN7rocprim17ROCPRIM_400000_NS6detail17trampoline_kernelINS0_14default_configENS1_27scan_by_key_config_selectorIssEEZZNS1_16scan_by_key_implILNS1_25lookback_scan_determinismE0ELb0ES3_N6thrust23THRUST_200600_302600_NS6detail15normal_iteratorINS9_10device_ptrIsEEEESE_SE_sNS9_4plusIsEE19head_flag_predicatesEE10hipError_tPvRmT2_T3_T4_T5_mT6_T7_P12ihipStream_tbENKUlT_T0_E_clISt17integral_constantIbLb0EESX_IbLb1EEEEDaST_SU_EUlST_E_NS1_11comp_targetILNS1_3genE8ELNS1_11target_archE1030ELNS1_3gpuE2ELNS1_3repE0EEENS1_30default_config_static_selectorELNS0_4arch9wavefront6targetE1EEEvT1_.kd
    .uniform_work_group_size: 1
    .uses_dynamic_stack: false
    .vgpr_count:     0
    .vgpr_spill_count: 0
    .wavefront_size: 64
  - .agpr_count:     0
    .args:
      - .offset:         0
        .size:           112
        .value_kind:     by_value
    .group_segment_fixed_size: 0
    .kernarg_segment_align: 8
    .kernarg_segment_size: 112
    .language:       OpenCL C
    .language_version:
      - 2
      - 0
    .max_flat_workgroup_size: 256
    .name:           _ZN7rocprim17ROCPRIM_400000_NS6detail17trampoline_kernelINS0_14default_configENS1_27scan_by_key_config_selectorIssEEZZNS1_16scan_by_key_implILNS1_25lookback_scan_determinismE0ELb1ES3_N6thrust23THRUST_200600_302600_NS6detail15normal_iteratorINS9_10device_ptrIsEEEESE_SE_sNS9_4plusIsEE19head_flag_predicatesEE10hipError_tPvRmT2_T3_T4_T5_mT6_T7_P12ihipStream_tbENKUlT_T0_E_clISt17integral_constantIbLb0EESY_EEDaST_SU_EUlST_E_NS1_11comp_targetILNS1_3genE0ELNS1_11target_archE4294967295ELNS1_3gpuE0ELNS1_3repE0EEENS1_30default_config_static_selectorELNS0_4arch9wavefront6targetE1EEEvT1_
    .private_segment_fixed_size: 0
    .sgpr_count:     6
    .sgpr_spill_count: 0
    .symbol:         _ZN7rocprim17ROCPRIM_400000_NS6detail17trampoline_kernelINS0_14default_configENS1_27scan_by_key_config_selectorIssEEZZNS1_16scan_by_key_implILNS1_25lookback_scan_determinismE0ELb1ES3_N6thrust23THRUST_200600_302600_NS6detail15normal_iteratorINS9_10device_ptrIsEEEESE_SE_sNS9_4plusIsEE19head_flag_predicatesEE10hipError_tPvRmT2_T3_T4_T5_mT6_T7_P12ihipStream_tbENKUlT_T0_E_clISt17integral_constantIbLb0EESY_EEDaST_SU_EUlST_E_NS1_11comp_targetILNS1_3genE0ELNS1_11target_archE4294967295ELNS1_3gpuE0ELNS1_3repE0EEENS1_30default_config_static_selectorELNS0_4arch9wavefront6targetE1EEEvT1_.kd
    .uniform_work_group_size: 1
    .uses_dynamic_stack: false
    .vgpr_count:     0
    .vgpr_spill_count: 0
    .wavefront_size: 64
  - .agpr_count:     0
    .args:
      - .offset:         0
        .size:           112
        .value_kind:     by_value
    .group_segment_fixed_size: 0
    .kernarg_segment_align: 8
    .kernarg_segment_size: 112
    .language:       OpenCL C
    .language_version:
      - 2
      - 0
    .max_flat_workgroup_size: 128
    .name:           _ZN7rocprim17ROCPRIM_400000_NS6detail17trampoline_kernelINS0_14default_configENS1_27scan_by_key_config_selectorIssEEZZNS1_16scan_by_key_implILNS1_25lookback_scan_determinismE0ELb1ES3_N6thrust23THRUST_200600_302600_NS6detail15normal_iteratorINS9_10device_ptrIsEEEESE_SE_sNS9_4plusIsEE19head_flag_predicatesEE10hipError_tPvRmT2_T3_T4_T5_mT6_T7_P12ihipStream_tbENKUlT_T0_E_clISt17integral_constantIbLb0EESY_EEDaST_SU_EUlST_E_NS1_11comp_targetILNS1_3genE10ELNS1_11target_archE1201ELNS1_3gpuE5ELNS1_3repE0EEENS1_30default_config_static_selectorELNS0_4arch9wavefront6targetE1EEEvT1_
    .private_segment_fixed_size: 0
    .sgpr_count:     6
    .sgpr_spill_count: 0
    .symbol:         _ZN7rocprim17ROCPRIM_400000_NS6detail17trampoline_kernelINS0_14default_configENS1_27scan_by_key_config_selectorIssEEZZNS1_16scan_by_key_implILNS1_25lookback_scan_determinismE0ELb1ES3_N6thrust23THRUST_200600_302600_NS6detail15normal_iteratorINS9_10device_ptrIsEEEESE_SE_sNS9_4plusIsEE19head_flag_predicatesEE10hipError_tPvRmT2_T3_T4_T5_mT6_T7_P12ihipStream_tbENKUlT_T0_E_clISt17integral_constantIbLb0EESY_EEDaST_SU_EUlST_E_NS1_11comp_targetILNS1_3genE10ELNS1_11target_archE1201ELNS1_3gpuE5ELNS1_3repE0EEENS1_30default_config_static_selectorELNS0_4arch9wavefront6targetE1EEEvT1_.kd
    .uniform_work_group_size: 1
    .uses_dynamic_stack: false
    .vgpr_count:     0
    .vgpr_spill_count: 0
    .wavefront_size: 64
  - .agpr_count:     0
    .args:
      - .offset:         0
        .size:           112
        .value_kind:     by_value
    .group_segment_fixed_size: 13312
    .kernarg_segment_align: 8
    .kernarg_segment_size: 112
    .language:       OpenCL C
    .language_version:
      - 2
      - 0
    .max_flat_workgroup_size: 256
    .name:           _ZN7rocprim17ROCPRIM_400000_NS6detail17trampoline_kernelINS0_14default_configENS1_27scan_by_key_config_selectorIssEEZZNS1_16scan_by_key_implILNS1_25lookback_scan_determinismE0ELb1ES3_N6thrust23THRUST_200600_302600_NS6detail15normal_iteratorINS9_10device_ptrIsEEEESE_SE_sNS9_4plusIsEE19head_flag_predicatesEE10hipError_tPvRmT2_T3_T4_T5_mT6_T7_P12ihipStream_tbENKUlT_T0_E_clISt17integral_constantIbLb0EESY_EEDaST_SU_EUlST_E_NS1_11comp_targetILNS1_3genE5ELNS1_11target_archE942ELNS1_3gpuE9ELNS1_3repE0EEENS1_30default_config_static_selectorELNS0_4arch9wavefront6targetE1EEEvT1_
    .private_segment_fixed_size: 0
    .sgpr_count:     85
    .sgpr_spill_count: 0
    .symbol:         _ZN7rocprim17ROCPRIM_400000_NS6detail17trampoline_kernelINS0_14default_configENS1_27scan_by_key_config_selectorIssEEZZNS1_16scan_by_key_implILNS1_25lookback_scan_determinismE0ELb1ES3_N6thrust23THRUST_200600_302600_NS6detail15normal_iteratorINS9_10device_ptrIsEEEESE_SE_sNS9_4plusIsEE19head_flag_predicatesEE10hipError_tPvRmT2_T3_T4_T5_mT6_T7_P12ihipStream_tbENKUlT_T0_E_clISt17integral_constantIbLb0EESY_EEDaST_SU_EUlST_E_NS1_11comp_targetILNS1_3genE5ELNS1_11target_archE942ELNS1_3gpuE9ELNS1_3repE0EEENS1_30default_config_static_selectorELNS0_4arch9wavefront6targetE1EEEvT1_.kd
    .uniform_work_group_size: 1
    .uses_dynamic_stack: false
    .vgpr_count:     60
    .vgpr_spill_count: 0
    .wavefront_size: 64
  - .agpr_count:     0
    .args:
      - .offset:         0
        .size:           112
        .value_kind:     by_value
    .group_segment_fixed_size: 0
    .kernarg_segment_align: 8
    .kernarg_segment_size: 112
    .language:       OpenCL C
    .language_version:
      - 2
      - 0
    .max_flat_workgroup_size: 256
    .name:           _ZN7rocprim17ROCPRIM_400000_NS6detail17trampoline_kernelINS0_14default_configENS1_27scan_by_key_config_selectorIssEEZZNS1_16scan_by_key_implILNS1_25lookback_scan_determinismE0ELb1ES3_N6thrust23THRUST_200600_302600_NS6detail15normal_iteratorINS9_10device_ptrIsEEEESE_SE_sNS9_4plusIsEE19head_flag_predicatesEE10hipError_tPvRmT2_T3_T4_T5_mT6_T7_P12ihipStream_tbENKUlT_T0_E_clISt17integral_constantIbLb0EESY_EEDaST_SU_EUlST_E_NS1_11comp_targetILNS1_3genE4ELNS1_11target_archE910ELNS1_3gpuE8ELNS1_3repE0EEENS1_30default_config_static_selectorELNS0_4arch9wavefront6targetE1EEEvT1_
    .private_segment_fixed_size: 0
    .sgpr_count:     6
    .sgpr_spill_count: 0
    .symbol:         _ZN7rocprim17ROCPRIM_400000_NS6detail17trampoline_kernelINS0_14default_configENS1_27scan_by_key_config_selectorIssEEZZNS1_16scan_by_key_implILNS1_25lookback_scan_determinismE0ELb1ES3_N6thrust23THRUST_200600_302600_NS6detail15normal_iteratorINS9_10device_ptrIsEEEESE_SE_sNS9_4plusIsEE19head_flag_predicatesEE10hipError_tPvRmT2_T3_T4_T5_mT6_T7_P12ihipStream_tbENKUlT_T0_E_clISt17integral_constantIbLb0EESY_EEDaST_SU_EUlST_E_NS1_11comp_targetILNS1_3genE4ELNS1_11target_archE910ELNS1_3gpuE8ELNS1_3repE0EEENS1_30default_config_static_selectorELNS0_4arch9wavefront6targetE1EEEvT1_.kd
    .uniform_work_group_size: 1
    .uses_dynamic_stack: false
    .vgpr_count:     0
    .vgpr_spill_count: 0
    .wavefront_size: 64
  - .agpr_count:     0
    .args:
      - .offset:         0
        .size:           112
        .value_kind:     by_value
    .group_segment_fixed_size: 0
    .kernarg_segment_align: 8
    .kernarg_segment_size: 112
    .language:       OpenCL C
    .language_version:
      - 2
      - 0
    .max_flat_workgroup_size: 256
    .name:           _ZN7rocprim17ROCPRIM_400000_NS6detail17trampoline_kernelINS0_14default_configENS1_27scan_by_key_config_selectorIssEEZZNS1_16scan_by_key_implILNS1_25lookback_scan_determinismE0ELb1ES3_N6thrust23THRUST_200600_302600_NS6detail15normal_iteratorINS9_10device_ptrIsEEEESE_SE_sNS9_4plusIsEE19head_flag_predicatesEE10hipError_tPvRmT2_T3_T4_T5_mT6_T7_P12ihipStream_tbENKUlT_T0_E_clISt17integral_constantIbLb0EESY_EEDaST_SU_EUlST_E_NS1_11comp_targetILNS1_3genE3ELNS1_11target_archE908ELNS1_3gpuE7ELNS1_3repE0EEENS1_30default_config_static_selectorELNS0_4arch9wavefront6targetE1EEEvT1_
    .private_segment_fixed_size: 0
    .sgpr_count:     6
    .sgpr_spill_count: 0
    .symbol:         _ZN7rocprim17ROCPRIM_400000_NS6detail17trampoline_kernelINS0_14default_configENS1_27scan_by_key_config_selectorIssEEZZNS1_16scan_by_key_implILNS1_25lookback_scan_determinismE0ELb1ES3_N6thrust23THRUST_200600_302600_NS6detail15normal_iteratorINS9_10device_ptrIsEEEESE_SE_sNS9_4plusIsEE19head_flag_predicatesEE10hipError_tPvRmT2_T3_T4_T5_mT6_T7_P12ihipStream_tbENKUlT_T0_E_clISt17integral_constantIbLb0EESY_EEDaST_SU_EUlST_E_NS1_11comp_targetILNS1_3genE3ELNS1_11target_archE908ELNS1_3gpuE7ELNS1_3repE0EEENS1_30default_config_static_selectorELNS0_4arch9wavefront6targetE1EEEvT1_.kd
    .uniform_work_group_size: 1
    .uses_dynamic_stack: false
    .vgpr_count:     0
    .vgpr_spill_count: 0
    .wavefront_size: 64
  - .agpr_count:     0
    .args:
      - .offset:         0
        .size:           112
        .value_kind:     by_value
    .group_segment_fixed_size: 0
    .kernarg_segment_align: 8
    .kernarg_segment_size: 112
    .language:       OpenCL C
    .language_version:
      - 2
      - 0
    .max_flat_workgroup_size: 64
    .name:           _ZN7rocprim17ROCPRIM_400000_NS6detail17trampoline_kernelINS0_14default_configENS1_27scan_by_key_config_selectorIssEEZZNS1_16scan_by_key_implILNS1_25lookback_scan_determinismE0ELb1ES3_N6thrust23THRUST_200600_302600_NS6detail15normal_iteratorINS9_10device_ptrIsEEEESE_SE_sNS9_4plusIsEE19head_flag_predicatesEE10hipError_tPvRmT2_T3_T4_T5_mT6_T7_P12ihipStream_tbENKUlT_T0_E_clISt17integral_constantIbLb0EESY_EEDaST_SU_EUlST_E_NS1_11comp_targetILNS1_3genE2ELNS1_11target_archE906ELNS1_3gpuE6ELNS1_3repE0EEENS1_30default_config_static_selectorELNS0_4arch9wavefront6targetE1EEEvT1_
    .private_segment_fixed_size: 0
    .sgpr_count:     6
    .sgpr_spill_count: 0
    .symbol:         _ZN7rocprim17ROCPRIM_400000_NS6detail17trampoline_kernelINS0_14default_configENS1_27scan_by_key_config_selectorIssEEZZNS1_16scan_by_key_implILNS1_25lookback_scan_determinismE0ELb1ES3_N6thrust23THRUST_200600_302600_NS6detail15normal_iteratorINS9_10device_ptrIsEEEESE_SE_sNS9_4plusIsEE19head_flag_predicatesEE10hipError_tPvRmT2_T3_T4_T5_mT6_T7_P12ihipStream_tbENKUlT_T0_E_clISt17integral_constantIbLb0EESY_EEDaST_SU_EUlST_E_NS1_11comp_targetILNS1_3genE2ELNS1_11target_archE906ELNS1_3gpuE6ELNS1_3repE0EEENS1_30default_config_static_selectorELNS0_4arch9wavefront6targetE1EEEvT1_.kd
    .uniform_work_group_size: 1
    .uses_dynamic_stack: false
    .vgpr_count:     0
    .vgpr_spill_count: 0
    .wavefront_size: 64
  - .agpr_count:     0
    .args:
      - .offset:         0
        .size:           112
        .value_kind:     by_value
    .group_segment_fixed_size: 0
    .kernarg_segment_align: 8
    .kernarg_segment_size: 112
    .language:       OpenCL C
    .language_version:
      - 2
      - 0
    .max_flat_workgroup_size: 256
    .name:           _ZN7rocprim17ROCPRIM_400000_NS6detail17trampoline_kernelINS0_14default_configENS1_27scan_by_key_config_selectorIssEEZZNS1_16scan_by_key_implILNS1_25lookback_scan_determinismE0ELb1ES3_N6thrust23THRUST_200600_302600_NS6detail15normal_iteratorINS9_10device_ptrIsEEEESE_SE_sNS9_4plusIsEE19head_flag_predicatesEE10hipError_tPvRmT2_T3_T4_T5_mT6_T7_P12ihipStream_tbENKUlT_T0_E_clISt17integral_constantIbLb0EESY_EEDaST_SU_EUlST_E_NS1_11comp_targetILNS1_3genE10ELNS1_11target_archE1200ELNS1_3gpuE4ELNS1_3repE0EEENS1_30default_config_static_selectorELNS0_4arch9wavefront6targetE1EEEvT1_
    .private_segment_fixed_size: 0
    .sgpr_count:     6
    .sgpr_spill_count: 0
    .symbol:         _ZN7rocprim17ROCPRIM_400000_NS6detail17trampoline_kernelINS0_14default_configENS1_27scan_by_key_config_selectorIssEEZZNS1_16scan_by_key_implILNS1_25lookback_scan_determinismE0ELb1ES3_N6thrust23THRUST_200600_302600_NS6detail15normal_iteratorINS9_10device_ptrIsEEEESE_SE_sNS9_4plusIsEE19head_flag_predicatesEE10hipError_tPvRmT2_T3_T4_T5_mT6_T7_P12ihipStream_tbENKUlT_T0_E_clISt17integral_constantIbLb0EESY_EEDaST_SU_EUlST_E_NS1_11comp_targetILNS1_3genE10ELNS1_11target_archE1200ELNS1_3gpuE4ELNS1_3repE0EEENS1_30default_config_static_selectorELNS0_4arch9wavefront6targetE1EEEvT1_.kd
    .uniform_work_group_size: 1
    .uses_dynamic_stack: false
    .vgpr_count:     0
    .vgpr_spill_count: 0
    .wavefront_size: 64
  - .agpr_count:     0
    .args:
      - .offset:         0
        .size:           112
        .value_kind:     by_value
    .group_segment_fixed_size: 0
    .kernarg_segment_align: 8
    .kernarg_segment_size: 112
    .language:       OpenCL C
    .language_version:
      - 2
      - 0
    .max_flat_workgroup_size: 256
    .name:           _ZN7rocprim17ROCPRIM_400000_NS6detail17trampoline_kernelINS0_14default_configENS1_27scan_by_key_config_selectorIssEEZZNS1_16scan_by_key_implILNS1_25lookback_scan_determinismE0ELb1ES3_N6thrust23THRUST_200600_302600_NS6detail15normal_iteratorINS9_10device_ptrIsEEEESE_SE_sNS9_4plusIsEE19head_flag_predicatesEE10hipError_tPvRmT2_T3_T4_T5_mT6_T7_P12ihipStream_tbENKUlT_T0_E_clISt17integral_constantIbLb0EESY_EEDaST_SU_EUlST_E_NS1_11comp_targetILNS1_3genE9ELNS1_11target_archE1100ELNS1_3gpuE3ELNS1_3repE0EEENS1_30default_config_static_selectorELNS0_4arch9wavefront6targetE1EEEvT1_
    .private_segment_fixed_size: 0
    .sgpr_count:     6
    .sgpr_spill_count: 0
    .symbol:         _ZN7rocprim17ROCPRIM_400000_NS6detail17trampoline_kernelINS0_14default_configENS1_27scan_by_key_config_selectorIssEEZZNS1_16scan_by_key_implILNS1_25lookback_scan_determinismE0ELb1ES3_N6thrust23THRUST_200600_302600_NS6detail15normal_iteratorINS9_10device_ptrIsEEEESE_SE_sNS9_4plusIsEE19head_flag_predicatesEE10hipError_tPvRmT2_T3_T4_T5_mT6_T7_P12ihipStream_tbENKUlT_T0_E_clISt17integral_constantIbLb0EESY_EEDaST_SU_EUlST_E_NS1_11comp_targetILNS1_3genE9ELNS1_11target_archE1100ELNS1_3gpuE3ELNS1_3repE0EEENS1_30default_config_static_selectorELNS0_4arch9wavefront6targetE1EEEvT1_.kd
    .uniform_work_group_size: 1
    .uses_dynamic_stack: false
    .vgpr_count:     0
    .vgpr_spill_count: 0
    .wavefront_size: 64
  - .agpr_count:     0
    .args:
      - .offset:         0
        .size:           112
        .value_kind:     by_value
    .group_segment_fixed_size: 0
    .kernarg_segment_align: 8
    .kernarg_segment_size: 112
    .language:       OpenCL C
    .language_version:
      - 2
      - 0
    .max_flat_workgroup_size: 64
    .name:           _ZN7rocprim17ROCPRIM_400000_NS6detail17trampoline_kernelINS0_14default_configENS1_27scan_by_key_config_selectorIssEEZZNS1_16scan_by_key_implILNS1_25lookback_scan_determinismE0ELb1ES3_N6thrust23THRUST_200600_302600_NS6detail15normal_iteratorINS9_10device_ptrIsEEEESE_SE_sNS9_4plusIsEE19head_flag_predicatesEE10hipError_tPvRmT2_T3_T4_T5_mT6_T7_P12ihipStream_tbENKUlT_T0_E_clISt17integral_constantIbLb0EESY_EEDaST_SU_EUlST_E_NS1_11comp_targetILNS1_3genE8ELNS1_11target_archE1030ELNS1_3gpuE2ELNS1_3repE0EEENS1_30default_config_static_selectorELNS0_4arch9wavefront6targetE1EEEvT1_
    .private_segment_fixed_size: 0
    .sgpr_count:     6
    .sgpr_spill_count: 0
    .symbol:         _ZN7rocprim17ROCPRIM_400000_NS6detail17trampoline_kernelINS0_14default_configENS1_27scan_by_key_config_selectorIssEEZZNS1_16scan_by_key_implILNS1_25lookback_scan_determinismE0ELb1ES3_N6thrust23THRUST_200600_302600_NS6detail15normal_iteratorINS9_10device_ptrIsEEEESE_SE_sNS9_4plusIsEE19head_flag_predicatesEE10hipError_tPvRmT2_T3_T4_T5_mT6_T7_P12ihipStream_tbENKUlT_T0_E_clISt17integral_constantIbLb0EESY_EEDaST_SU_EUlST_E_NS1_11comp_targetILNS1_3genE8ELNS1_11target_archE1030ELNS1_3gpuE2ELNS1_3repE0EEENS1_30default_config_static_selectorELNS0_4arch9wavefront6targetE1EEEvT1_.kd
    .uniform_work_group_size: 1
    .uses_dynamic_stack: false
    .vgpr_count:     0
    .vgpr_spill_count: 0
    .wavefront_size: 64
  - .agpr_count:     0
    .args:
      - .offset:         0
        .size:           112
        .value_kind:     by_value
    .group_segment_fixed_size: 0
    .kernarg_segment_align: 8
    .kernarg_segment_size: 112
    .language:       OpenCL C
    .language_version:
      - 2
      - 0
    .max_flat_workgroup_size: 256
    .name:           _ZN7rocprim17ROCPRIM_400000_NS6detail17trampoline_kernelINS0_14default_configENS1_27scan_by_key_config_selectorIssEEZZNS1_16scan_by_key_implILNS1_25lookback_scan_determinismE0ELb1ES3_N6thrust23THRUST_200600_302600_NS6detail15normal_iteratorINS9_10device_ptrIsEEEESE_SE_sNS9_4plusIsEE19head_flag_predicatesEE10hipError_tPvRmT2_T3_T4_T5_mT6_T7_P12ihipStream_tbENKUlT_T0_E_clISt17integral_constantIbLb1EESY_EEDaST_SU_EUlST_E_NS1_11comp_targetILNS1_3genE0ELNS1_11target_archE4294967295ELNS1_3gpuE0ELNS1_3repE0EEENS1_30default_config_static_selectorELNS0_4arch9wavefront6targetE1EEEvT1_
    .private_segment_fixed_size: 0
    .sgpr_count:     6
    .sgpr_spill_count: 0
    .symbol:         _ZN7rocprim17ROCPRIM_400000_NS6detail17trampoline_kernelINS0_14default_configENS1_27scan_by_key_config_selectorIssEEZZNS1_16scan_by_key_implILNS1_25lookback_scan_determinismE0ELb1ES3_N6thrust23THRUST_200600_302600_NS6detail15normal_iteratorINS9_10device_ptrIsEEEESE_SE_sNS9_4plusIsEE19head_flag_predicatesEE10hipError_tPvRmT2_T3_T4_T5_mT6_T7_P12ihipStream_tbENKUlT_T0_E_clISt17integral_constantIbLb1EESY_EEDaST_SU_EUlST_E_NS1_11comp_targetILNS1_3genE0ELNS1_11target_archE4294967295ELNS1_3gpuE0ELNS1_3repE0EEENS1_30default_config_static_selectorELNS0_4arch9wavefront6targetE1EEEvT1_.kd
    .uniform_work_group_size: 1
    .uses_dynamic_stack: false
    .vgpr_count:     0
    .vgpr_spill_count: 0
    .wavefront_size: 64
  - .agpr_count:     0
    .args:
      - .offset:         0
        .size:           112
        .value_kind:     by_value
    .group_segment_fixed_size: 0
    .kernarg_segment_align: 8
    .kernarg_segment_size: 112
    .language:       OpenCL C
    .language_version:
      - 2
      - 0
    .max_flat_workgroup_size: 128
    .name:           _ZN7rocprim17ROCPRIM_400000_NS6detail17trampoline_kernelINS0_14default_configENS1_27scan_by_key_config_selectorIssEEZZNS1_16scan_by_key_implILNS1_25lookback_scan_determinismE0ELb1ES3_N6thrust23THRUST_200600_302600_NS6detail15normal_iteratorINS9_10device_ptrIsEEEESE_SE_sNS9_4plusIsEE19head_flag_predicatesEE10hipError_tPvRmT2_T3_T4_T5_mT6_T7_P12ihipStream_tbENKUlT_T0_E_clISt17integral_constantIbLb1EESY_EEDaST_SU_EUlST_E_NS1_11comp_targetILNS1_3genE10ELNS1_11target_archE1201ELNS1_3gpuE5ELNS1_3repE0EEENS1_30default_config_static_selectorELNS0_4arch9wavefront6targetE1EEEvT1_
    .private_segment_fixed_size: 0
    .sgpr_count:     6
    .sgpr_spill_count: 0
    .symbol:         _ZN7rocprim17ROCPRIM_400000_NS6detail17trampoline_kernelINS0_14default_configENS1_27scan_by_key_config_selectorIssEEZZNS1_16scan_by_key_implILNS1_25lookback_scan_determinismE0ELb1ES3_N6thrust23THRUST_200600_302600_NS6detail15normal_iteratorINS9_10device_ptrIsEEEESE_SE_sNS9_4plusIsEE19head_flag_predicatesEE10hipError_tPvRmT2_T3_T4_T5_mT6_T7_P12ihipStream_tbENKUlT_T0_E_clISt17integral_constantIbLb1EESY_EEDaST_SU_EUlST_E_NS1_11comp_targetILNS1_3genE10ELNS1_11target_archE1201ELNS1_3gpuE5ELNS1_3repE0EEENS1_30default_config_static_selectorELNS0_4arch9wavefront6targetE1EEEvT1_.kd
    .uniform_work_group_size: 1
    .uses_dynamic_stack: false
    .vgpr_count:     0
    .vgpr_spill_count: 0
    .wavefront_size: 64
  - .agpr_count:     0
    .args:
      - .offset:         0
        .size:           112
        .value_kind:     by_value
    .group_segment_fixed_size: 13312
    .kernarg_segment_align: 8
    .kernarg_segment_size: 112
    .language:       OpenCL C
    .language_version:
      - 2
      - 0
    .max_flat_workgroup_size: 256
    .name:           _ZN7rocprim17ROCPRIM_400000_NS6detail17trampoline_kernelINS0_14default_configENS1_27scan_by_key_config_selectorIssEEZZNS1_16scan_by_key_implILNS1_25lookback_scan_determinismE0ELb1ES3_N6thrust23THRUST_200600_302600_NS6detail15normal_iteratorINS9_10device_ptrIsEEEESE_SE_sNS9_4plusIsEE19head_flag_predicatesEE10hipError_tPvRmT2_T3_T4_T5_mT6_T7_P12ihipStream_tbENKUlT_T0_E_clISt17integral_constantIbLb1EESY_EEDaST_SU_EUlST_E_NS1_11comp_targetILNS1_3genE5ELNS1_11target_archE942ELNS1_3gpuE9ELNS1_3repE0EEENS1_30default_config_static_selectorELNS0_4arch9wavefront6targetE1EEEvT1_
    .private_segment_fixed_size: 0
    .sgpr_count:     81
    .sgpr_spill_count: 0
    .symbol:         _ZN7rocprim17ROCPRIM_400000_NS6detail17trampoline_kernelINS0_14default_configENS1_27scan_by_key_config_selectorIssEEZZNS1_16scan_by_key_implILNS1_25lookback_scan_determinismE0ELb1ES3_N6thrust23THRUST_200600_302600_NS6detail15normal_iteratorINS9_10device_ptrIsEEEESE_SE_sNS9_4plusIsEE19head_flag_predicatesEE10hipError_tPvRmT2_T3_T4_T5_mT6_T7_P12ihipStream_tbENKUlT_T0_E_clISt17integral_constantIbLb1EESY_EEDaST_SU_EUlST_E_NS1_11comp_targetILNS1_3genE5ELNS1_11target_archE942ELNS1_3gpuE9ELNS1_3repE0EEENS1_30default_config_static_selectorELNS0_4arch9wavefront6targetE1EEEvT1_.kd
    .uniform_work_group_size: 1
    .uses_dynamic_stack: false
    .vgpr_count:     62
    .vgpr_spill_count: 0
    .wavefront_size: 64
  - .agpr_count:     0
    .args:
      - .offset:         0
        .size:           112
        .value_kind:     by_value
    .group_segment_fixed_size: 0
    .kernarg_segment_align: 8
    .kernarg_segment_size: 112
    .language:       OpenCL C
    .language_version:
      - 2
      - 0
    .max_flat_workgroup_size: 256
    .name:           _ZN7rocprim17ROCPRIM_400000_NS6detail17trampoline_kernelINS0_14default_configENS1_27scan_by_key_config_selectorIssEEZZNS1_16scan_by_key_implILNS1_25lookback_scan_determinismE0ELb1ES3_N6thrust23THRUST_200600_302600_NS6detail15normal_iteratorINS9_10device_ptrIsEEEESE_SE_sNS9_4plusIsEE19head_flag_predicatesEE10hipError_tPvRmT2_T3_T4_T5_mT6_T7_P12ihipStream_tbENKUlT_T0_E_clISt17integral_constantIbLb1EESY_EEDaST_SU_EUlST_E_NS1_11comp_targetILNS1_3genE4ELNS1_11target_archE910ELNS1_3gpuE8ELNS1_3repE0EEENS1_30default_config_static_selectorELNS0_4arch9wavefront6targetE1EEEvT1_
    .private_segment_fixed_size: 0
    .sgpr_count:     6
    .sgpr_spill_count: 0
    .symbol:         _ZN7rocprim17ROCPRIM_400000_NS6detail17trampoline_kernelINS0_14default_configENS1_27scan_by_key_config_selectorIssEEZZNS1_16scan_by_key_implILNS1_25lookback_scan_determinismE0ELb1ES3_N6thrust23THRUST_200600_302600_NS6detail15normal_iteratorINS9_10device_ptrIsEEEESE_SE_sNS9_4plusIsEE19head_flag_predicatesEE10hipError_tPvRmT2_T3_T4_T5_mT6_T7_P12ihipStream_tbENKUlT_T0_E_clISt17integral_constantIbLb1EESY_EEDaST_SU_EUlST_E_NS1_11comp_targetILNS1_3genE4ELNS1_11target_archE910ELNS1_3gpuE8ELNS1_3repE0EEENS1_30default_config_static_selectorELNS0_4arch9wavefront6targetE1EEEvT1_.kd
    .uniform_work_group_size: 1
    .uses_dynamic_stack: false
    .vgpr_count:     0
    .vgpr_spill_count: 0
    .wavefront_size: 64
  - .agpr_count:     0
    .args:
      - .offset:         0
        .size:           112
        .value_kind:     by_value
    .group_segment_fixed_size: 0
    .kernarg_segment_align: 8
    .kernarg_segment_size: 112
    .language:       OpenCL C
    .language_version:
      - 2
      - 0
    .max_flat_workgroup_size: 256
    .name:           _ZN7rocprim17ROCPRIM_400000_NS6detail17trampoline_kernelINS0_14default_configENS1_27scan_by_key_config_selectorIssEEZZNS1_16scan_by_key_implILNS1_25lookback_scan_determinismE0ELb1ES3_N6thrust23THRUST_200600_302600_NS6detail15normal_iteratorINS9_10device_ptrIsEEEESE_SE_sNS9_4plusIsEE19head_flag_predicatesEE10hipError_tPvRmT2_T3_T4_T5_mT6_T7_P12ihipStream_tbENKUlT_T0_E_clISt17integral_constantIbLb1EESY_EEDaST_SU_EUlST_E_NS1_11comp_targetILNS1_3genE3ELNS1_11target_archE908ELNS1_3gpuE7ELNS1_3repE0EEENS1_30default_config_static_selectorELNS0_4arch9wavefront6targetE1EEEvT1_
    .private_segment_fixed_size: 0
    .sgpr_count:     6
    .sgpr_spill_count: 0
    .symbol:         _ZN7rocprim17ROCPRIM_400000_NS6detail17trampoline_kernelINS0_14default_configENS1_27scan_by_key_config_selectorIssEEZZNS1_16scan_by_key_implILNS1_25lookback_scan_determinismE0ELb1ES3_N6thrust23THRUST_200600_302600_NS6detail15normal_iteratorINS9_10device_ptrIsEEEESE_SE_sNS9_4plusIsEE19head_flag_predicatesEE10hipError_tPvRmT2_T3_T4_T5_mT6_T7_P12ihipStream_tbENKUlT_T0_E_clISt17integral_constantIbLb1EESY_EEDaST_SU_EUlST_E_NS1_11comp_targetILNS1_3genE3ELNS1_11target_archE908ELNS1_3gpuE7ELNS1_3repE0EEENS1_30default_config_static_selectorELNS0_4arch9wavefront6targetE1EEEvT1_.kd
    .uniform_work_group_size: 1
    .uses_dynamic_stack: false
    .vgpr_count:     0
    .vgpr_spill_count: 0
    .wavefront_size: 64
  - .agpr_count:     0
    .args:
      - .offset:         0
        .size:           112
        .value_kind:     by_value
    .group_segment_fixed_size: 0
    .kernarg_segment_align: 8
    .kernarg_segment_size: 112
    .language:       OpenCL C
    .language_version:
      - 2
      - 0
    .max_flat_workgroup_size: 64
    .name:           _ZN7rocprim17ROCPRIM_400000_NS6detail17trampoline_kernelINS0_14default_configENS1_27scan_by_key_config_selectorIssEEZZNS1_16scan_by_key_implILNS1_25lookback_scan_determinismE0ELb1ES3_N6thrust23THRUST_200600_302600_NS6detail15normal_iteratorINS9_10device_ptrIsEEEESE_SE_sNS9_4plusIsEE19head_flag_predicatesEE10hipError_tPvRmT2_T3_T4_T5_mT6_T7_P12ihipStream_tbENKUlT_T0_E_clISt17integral_constantIbLb1EESY_EEDaST_SU_EUlST_E_NS1_11comp_targetILNS1_3genE2ELNS1_11target_archE906ELNS1_3gpuE6ELNS1_3repE0EEENS1_30default_config_static_selectorELNS0_4arch9wavefront6targetE1EEEvT1_
    .private_segment_fixed_size: 0
    .sgpr_count:     6
    .sgpr_spill_count: 0
    .symbol:         _ZN7rocprim17ROCPRIM_400000_NS6detail17trampoline_kernelINS0_14default_configENS1_27scan_by_key_config_selectorIssEEZZNS1_16scan_by_key_implILNS1_25lookback_scan_determinismE0ELb1ES3_N6thrust23THRUST_200600_302600_NS6detail15normal_iteratorINS9_10device_ptrIsEEEESE_SE_sNS9_4plusIsEE19head_flag_predicatesEE10hipError_tPvRmT2_T3_T4_T5_mT6_T7_P12ihipStream_tbENKUlT_T0_E_clISt17integral_constantIbLb1EESY_EEDaST_SU_EUlST_E_NS1_11comp_targetILNS1_3genE2ELNS1_11target_archE906ELNS1_3gpuE6ELNS1_3repE0EEENS1_30default_config_static_selectorELNS0_4arch9wavefront6targetE1EEEvT1_.kd
    .uniform_work_group_size: 1
    .uses_dynamic_stack: false
    .vgpr_count:     0
    .vgpr_spill_count: 0
    .wavefront_size: 64
  - .agpr_count:     0
    .args:
      - .offset:         0
        .size:           112
        .value_kind:     by_value
    .group_segment_fixed_size: 0
    .kernarg_segment_align: 8
    .kernarg_segment_size: 112
    .language:       OpenCL C
    .language_version:
      - 2
      - 0
    .max_flat_workgroup_size: 256
    .name:           _ZN7rocprim17ROCPRIM_400000_NS6detail17trampoline_kernelINS0_14default_configENS1_27scan_by_key_config_selectorIssEEZZNS1_16scan_by_key_implILNS1_25lookback_scan_determinismE0ELb1ES3_N6thrust23THRUST_200600_302600_NS6detail15normal_iteratorINS9_10device_ptrIsEEEESE_SE_sNS9_4plusIsEE19head_flag_predicatesEE10hipError_tPvRmT2_T3_T4_T5_mT6_T7_P12ihipStream_tbENKUlT_T0_E_clISt17integral_constantIbLb1EESY_EEDaST_SU_EUlST_E_NS1_11comp_targetILNS1_3genE10ELNS1_11target_archE1200ELNS1_3gpuE4ELNS1_3repE0EEENS1_30default_config_static_selectorELNS0_4arch9wavefront6targetE1EEEvT1_
    .private_segment_fixed_size: 0
    .sgpr_count:     6
    .sgpr_spill_count: 0
    .symbol:         _ZN7rocprim17ROCPRIM_400000_NS6detail17trampoline_kernelINS0_14default_configENS1_27scan_by_key_config_selectorIssEEZZNS1_16scan_by_key_implILNS1_25lookback_scan_determinismE0ELb1ES3_N6thrust23THRUST_200600_302600_NS6detail15normal_iteratorINS9_10device_ptrIsEEEESE_SE_sNS9_4plusIsEE19head_flag_predicatesEE10hipError_tPvRmT2_T3_T4_T5_mT6_T7_P12ihipStream_tbENKUlT_T0_E_clISt17integral_constantIbLb1EESY_EEDaST_SU_EUlST_E_NS1_11comp_targetILNS1_3genE10ELNS1_11target_archE1200ELNS1_3gpuE4ELNS1_3repE0EEENS1_30default_config_static_selectorELNS0_4arch9wavefront6targetE1EEEvT1_.kd
    .uniform_work_group_size: 1
    .uses_dynamic_stack: false
    .vgpr_count:     0
    .vgpr_spill_count: 0
    .wavefront_size: 64
  - .agpr_count:     0
    .args:
      - .offset:         0
        .size:           112
        .value_kind:     by_value
    .group_segment_fixed_size: 0
    .kernarg_segment_align: 8
    .kernarg_segment_size: 112
    .language:       OpenCL C
    .language_version:
      - 2
      - 0
    .max_flat_workgroup_size: 256
    .name:           _ZN7rocprim17ROCPRIM_400000_NS6detail17trampoline_kernelINS0_14default_configENS1_27scan_by_key_config_selectorIssEEZZNS1_16scan_by_key_implILNS1_25lookback_scan_determinismE0ELb1ES3_N6thrust23THRUST_200600_302600_NS6detail15normal_iteratorINS9_10device_ptrIsEEEESE_SE_sNS9_4plusIsEE19head_flag_predicatesEE10hipError_tPvRmT2_T3_T4_T5_mT6_T7_P12ihipStream_tbENKUlT_T0_E_clISt17integral_constantIbLb1EESY_EEDaST_SU_EUlST_E_NS1_11comp_targetILNS1_3genE9ELNS1_11target_archE1100ELNS1_3gpuE3ELNS1_3repE0EEENS1_30default_config_static_selectorELNS0_4arch9wavefront6targetE1EEEvT1_
    .private_segment_fixed_size: 0
    .sgpr_count:     6
    .sgpr_spill_count: 0
    .symbol:         _ZN7rocprim17ROCPRIM_400000_NS6detail17trampoline_kernelINS0_14default_configENS1_27scan_by_key_config_selectorIssEEZZNS1_16scan_by_key_implILNS1_25lookback_scan_determinismE0ELb1ES3_N6thrust23THRUST_200600_302600_NS6detail15normal_iteratorINS9_10device_ptrIsEEEESE_SE_sNS9_4plusIsEE19head_flag_predicatesEE10hipError_tPvRmT2_T3_T4_T5_mT6_T7_P12ihipStream_tbENKUlT_T0_E_clISt17integral_constantIbLb1EESY_EEDaST_SU_EUlST_E_NS1_11comp_targetILNS1_3genE9ELNS1_11target_archE1100ELNS1_3gpuE3ELNS1_3repE0EEENS1_30default_config_static_selectorELNS0_4arch9wavefront6targetE1EEEvT1_.kd
    .uniform_work_group_size: 1
    .uses_dynamic_stack: false
    .vgpr_count:     0
    .vgpr_spill_count: 0
    .wavefront_size: 64
  - .agpr_count:     0
    .args:
      - .offset:         0
        .size:           112
        .value_kind:     by_value
    .group_segment_fixed_size: 0
    .kernarg_segment_align: 8
    .kernarg_segment_size: 112
    .language:       OpenCL C
    .language_version:
      - 2
      - 0
    .max_flat_workgroup_size: 64
    .name:           _ZN7rocprim17ROCPRIM_400000_NS6detail17trampoline_kernelINS0_14default_configENS1_27scan_by_key_config_selectorIssEEZZNS1_16scan_by_key_implILNS1_25lookback_scan_determinismE0ELb1ES3_N6thrust23THRUST_200600_302600_NS6detail15normal_iteratorINS9_10device_ptrIsEEEESE_SE_sNS9_4plusIsEE19head_flag_predicatesEE10hipError_tPvRmT2_T3_T4_T5_mT6_T7_P12ihipStream_tbENKUlT_T0_E_clISt17integral_constantIbLb1EESY_EEDaST_SU_EUlST_E_NS1_11comp_targetILNS1_3genE8ELNS1_11target_archE1030ELNS1_3gpuE2ELNS1_3repE0EEENS1_30default_config_static_selectorELNS0_4arch9wavefront6targetE1EEEvT1_
    .private_segment_fixed_size: 0
    .sgpr_count:     6
    .sgpr_spill_count: 0
    .symbol:         _ZN7rocprim17ROCPRIM_400000_NS6detail17trampoline_kernelINS0_14default_configENS1_27scan_by_key_config_selectorIssEEZZNS1_16scan_by_key_implILNS1_25lookback_scan_determinismE0ELb1ES3_N6thrust23THRUST_200600_302600_NS6detail15normal_iteratorINS9_10device_ptrIsEEEESE_SE_sNS9_4plusIsEE19head_flag_predicatesEE10hipError_tPvRmT2_T3_T4_T5_mT6_T7_P12ihipStream_tbENKUlT_T0_E_clISt17integral_constantIbLb1EESY_EEDaST_SU_EUlST_E_NS1_11comp_targetILNS1_3genE8ELNS1_11target_archE1030ELNS1_3gpuE2ELNS1_3repE0EEENS1_30default_config_static_selectorELNS0_4arch9wavefront6targetE1EEEvT1_.kd
    .uniform_work_group_size: 1
    .uses_dynamic_stack: false
    .vgpr_count:     0
    .vgpr_spill_count: 0
    .wavefront_size: 64
  - .agpr_count:     0
    .args:
      - .offset:         0
        .size:           112
        .value_kind:     by_value
    .group_segment_fixed_size: 0
    .kernarg_segment_align: 8
    .kernarg_segment_size: 112
    .language:       OpenCL C
    .language_version:
      - 2
      - 0
    .max_flat_workgroup_size: 256
    .name:           _ZN7rocprim17ROCPRIM_400000_NS6detail17trampoline_kernelINS0_14default_configENS1_27scan_by_key_config_selectorIssEEZZNS1_16scan_by_key_implILNS1_25lookback_scan_determinismE0ELb1ES3_N6thrust23THRUST_200600_302600_NS6detail15normal_iteratorINS9_10device_ptrIsEEEESE_SE_sNS9_4plusIsEE19head_flag_predicatesEE10hipError_tPvRmT2_T3_T4_T5_mT6_T7_P12ihipStream_tbENKUlT_T0_E_clISt17integral_constantIbLb1EESX_IbLb0EEEEDaST_SU_EUlST_E_NS1_11comp_targetILNS1_3genE0ELNS1_11target_archE4294967295ELNS1_3gpuE0ELNS1_3repE0EEENS1_30default_config_static_selectorELNS0_4arch9wavefront6targetE1EEEvT1_
    .private_segment_fixed_size: 0
    .sgpr_count:     6
    .sgpr_spill_count: 0
    .symbol:         _ZN7rocprim17ROCPRIM_400000_NS6detail17trampoline_kernelINS0_14default_configENS1_27scan_by_key_config_selectorIssEEZZNS1_16scan_by_key_implILNS1_25lookback_scan_determinismE0ELb1ES3_N6thrust23THRUST_200600_302600_NS6detail15normal_iteratorINS9_10device_ptrIsEEEESE_SE_sNS9_4plusIsEE19head_flag_predicatesEE10hipError_tPvRmT2_T3_T4_T5_mT6_T7_P12ihipStream_tbENKUlT_T0_E_clISt17integral_constantIbLb1EESX_IbLb0EEEEDaST_SU_EUlST_E_NS1_11comp_targetILNS1_3genE0ELNS1_11target_archE4294967295ELNS1_3gpuE0ELNS1_3repE0EEENS1_30default_config_static_selectorELNS0_4arch9wavefront6targetE1EEEvT1_.kd
    .uniform_work_group_size: 1
    .uses_dynamic_stack: false
    .vgpr_count:     0
    .vgpr_spill_count: 0
    .wavefront_size: 64
  - .agpr_count:     0
    .args:
      - .offset:         0
        .size:           112
        .value_kind:     by_value
    .group_segment_fixed_size: 0
    .kernarg_segment_align: 8
    .kernarg_segment_size: 112
    .language:       OpenCL C
    .language_version:
      - 2
      - 0
    .max_flat_workgroup_size: 128
    .name:           _ZN7rocprim17ROCPRIM_400000_NS6detail17trampoline_kernelINS0_14default_configENS1_27scan_by_key_config_selectorIssEEZZNS1_16scan_by_key_implILNS1_25lookback_scan_determinismE0ELb1ES3_N6thrust23THRUST_200600_302600_NS6detail15normal_iteratorINS9_10device_ptrIsEEEESE_SE_sNS9_4plusIsEE19head_flag_predicatesEE10hipError_tPvRmT2_T3_T4_T5_mT6_T7_P12ihipStream_tbENKUlT_T0_E_clISt17integral_constantIbLb1EESX_IbLb0EEEEDaST_SU_EUlST_E_NS1_11comp_targetILNS1_3genE10ELNS1_11target_archE1201ELNS1_3gpuE5ELNS1_3repE0EEENS1_30default_config_static_selectorELNS0_4arch9wavefront6targetE1EEEvT1_
    .private_segment_fixed_size: 0
    .sgpr_count:     6
    .sgpr_spill_count: 0
    .symbol:         _ZN7rocprim17ROCPRIM_400000_NS6detail17trampoline_kernelINS0_14default_configENS1_27scan_by_key_config_selectorIssEEZZNS1_16scan_by_key_implILNS1_25lookback_scan_determinismE0ELb1ES3_N6thrust23THRUST_200600_302600_NS6detail15normal_iteratorINS9_10device_ptrIsEEEESE_SE_sNS9_4plusIsEE19head_flag_predicatesEE10hipError_tPvRmT2_T3_T4_T5_mT6_T7_P12ihipStream_tbENKUlT_T0_E_clISt17integral_constantIbLb1EESX_IbLb0EEEEDaST_SU_EUlST_E_NS1_11comp_targetILNS1_3genE10ELNS1_11target_archE1201ELNS1_3gpuE5ELNS1_3repE0EEENS1_30default_config_static_selectorELNS0_4arch9wavefront6targetE1EEEvT1_.kd
    .uniform_work_group_size: 1
    .uses_dynamic_stack: false
    .vgpr_count:     0
    .vgpr_spill_count: 0
    .wavefront_size: 64
  - .agpr_count:     0
    .args:
      - .offset:         0
        .size:           112
        .value_kind:     by_value
    .group_segment_fixed_size: 13312
    .kernarg_segment_align: 8
    .kernarg_segment_size: 112
    .language:       OpenCL C
    .language_version:
      - 2
      - 0
    .max_flat_workgroup_size: 256
    .name:           _ZN7rocprim17ROCPRIM_400000_NS6detail17trampoline_kernelINS0_14default_configENS1_27scan_by_key_config_selectorIssEEZZNS1_16scan_by_key_implILNS1_25lookback_scan_determinismE0ELb1ES3_N6thrust23THRUST_200600_302600_NS6detail15normal_iteratorINS9_10device_ptrIsEEEESE_SE_sNS9_4plusIsEE19head_flag_predicatesEE10hipError_tPvRmT2_T3_T4_T5_mT6_T7_P12ihipStream_tbENKUlT_T0_E_clISt17integral_constantIbLb1EESX_IbLb0EEEEDaST_SU_EUlST_E_NS1_11comp_targetILNS1_3genE5ELNS1_11target_archE942ELNS1_3gpuE9ELNS1_3repE0EEENS1_30default_config_static_selectorELNS0_4arch9wavefront6targetE1EEEvT1_
    .private_segment_fixed_size: 0
    .sgpr_count:     85
    .sgpr_spill_count: 0
    .symbol:         _ZN7rocprim17ROCPRIM_400000_NS6detail17trampoline_kernelINS0_14default_configENS1_27scan_by_key_config_selectorIssEEZZNS1_16scan_by_key_implILNS1_25lookback_scan_determinismE0ELb1ES3_N6thrust23THRUST_200600_302600_NS6detail15normal_iteratorINS9_10device_ptrIsEEEESE_SE_sNS9_4plusIsEE19head_flag_predicatesEE10hipError_tPvRmT2_T3_T4_T5_mT6_T7_P12ihipStream_tbENKUlT_T0_E_clISt17integral_constantIbLb1EESX_IbLb0EEEEDaST_SU_EUlST_E_NS1_11comp_targetILNS1_3genE5ELNS1_11target_archE942ELNS1_3gpuE9ELNS1_3repE0EEENS1_30default_config_static_selectorELNS0_4arch9wavefront6targetE1EEEvT1_.kd
    .uniform_work_group_size: 1
    .uses_dynamic_stack: false
    .vgpr_count:     60
    .vgpr_spill_count: 0
    .wavefront_size: 64
  - .agpr_count:     0
    .args:
      - .offset:         0
        .size:           112
        .value_kind:     by_value
    .group_segment_fixed_size: 0
    .kernarg_segment_align: 8
    .kernarg_segment_size: 112
    .language:       OpenCL C
    .language_version:
      - 2
      - 0
    .max_flat_workgroup_size: 256
    .name:           _ZN7rocprim17ROCPRIM_400000_NS6detail17trampoline_kernelINS0_14default_configENS1_27scan_by_key_config_selectorIssEEZZNS1_16scan_by_key_implILNS1_25lookback_scan_determinismE0ELb1ES3_N6thrust23THRUST_200600_302600_NS6detail15normal_iteratorINS9_10device_ptrIsEEEESE_SE_sNS9_4plusIsEE19head_flag_predicatesEE10hipError_tPvRmT2_T3_T4_T5_mT6_T7_P12ihipStream_tbENKUlT_T0_E_clISt17integral_constantIbLb1EESX_IbLb0EEEEDaST_SU_EUlST_E_NS1_11comp_targetILNS1_3genE4ELNS1_11target_archE910ELNS1_3gpuE8ELNS1_3repE0EEENS1_30default_config_static_selectorELNS0_4arch9wavefront6targetE1EEEvT1_
    .private_segment_fixed_size: 0
    .sgpr_count:     6
    .sgpr_spill_count: 0
    .symbol:         _ZN7rocprim17ROCPRIM_400000_NS6detail17trampoline_kernelINS0_14default_configENS1_27scan_by_key_config_selectorIssEEZZNS1_16scan_by_key_implILNS1_25lookback_scan_determinismE0ELb1ES3_N6thrust23THRUST_200600_302600_NS6detail15normal_iteratorINS9_10device_ptrIsEEEESE_SE_sNS9_4plusIsEE19head_flag_predicatesEE10hipError_tPvRmT2_T3_T4_T5_mT6_T7_P12ihipStream_tbENKUlT_T0_E_clISt17integral_constantIbLb1EESX_IbLb0EEEEDaST_SU_EUlST_E_NS1_11comp_targetILNS1_3genE4ELNS1_11target_archE910ELNS1_3gpuE8ELNS1_3repE0EEENS1_30default_config_static_selectorELNS0_4arch9wavefront6targetE1EEEvT1_.kd
    .uniform_work_group_size: 1
    .uses_dynamic_stack: false
    .vgpr_count:     0
    .vgpr_spill_count: 0
    .wavefront_size: 64
  - .agpr_count:     0
    .args:
      - .offset:         0
        .size:           112
        .value_kind:     by_value
    .group_segment_fixed_size: 0
    .kernarg_segment_align: 8
    .kernarg_segment_size: 112
    .language:       OpenCL C
    .language_version:
      - 2
      - 0
    .max_flat_workgroup_size: 256
    .name:           _ZN7rocprim17ROCPRIM_400000_NS6detail17trampoline_kernelINS0_14default_configENS1_27scan_by_key_config_selectorIssEEZZNS1_16scan_by_key_implILNS1_25lookback_scan_determinismE0ELb1ES3_N6thrust23THRUST_200600_302600_NS6detail15normal_iteratorINS9_10device_ptrIsEEEESE_SE_sNS9_4plusIsEE19head_flag_predicatesEE10hipError_tPvRmT2_T3_T4_T5_mT6_T7_P12ihipStream_tbENKUlT_T0_E_clISt17integral_constantIbLb1EESX_IbLb0EEEEDaST_SU_EUlST_E_NS1_11comp_targetILNS1_3genE3ELNS1_11target_archE908ELNS1_3gpuE7ELNS1_3repE0EEENS1_30default_config_static_selectorELNS0_4arch9wavefront6targetE1EEEvT1_
    .private_segment_fixed_size: 0
    .sgpr_count:     6
    .sgpr_spill_count: 0
    .symbol:         _ZN7rocprim17ROCPRIM_400000_NS6detail17trampoline_kernelINS0_14default_configENS1_27scan_by_key_config_selectorIssEEZZNS1_16scan_by_key_implILNS1_25lookback_scan_determinismE0ELb1ES3_N6thrust23THRUST_200600_302600_NS6detail15normal_iteratorINS9_10device_ptrIsEEEESE_SE_sNS9_4plusIsEE19head_flag_predicatesEE10hipError_tPvRmT2_T3_T4_T5_mT6_T7_P12ihipStream_tbENKUlT_T0_E_clISt17integral_constantIbLb1EESX_IbLb0EEEEDaST_SU_EUlST_E_NS1_11comp_targetILNS1_3genE3ELNS1_11target_archE908ELNS1_3gpuE7ELNS1_3repE0EEENS1_30default_config_static_selectorELNS0_4arch9wavefront6targetE1EEEvT1_.kd
    .uniform_work_group_size: 1
    .uses_dynamic_stack: false
    .vgpr_count:     0
    .vgpr_spill_count: 0
    .wavefront_size: 64
  - .agpr_count:     0
    .args:
      - .offset:         0
        .size:           112
        .value_kind:     by_value
    .group_segment_fixed_size: 0
    .kernarg_segment_align: 8
    .kernarg_segment_size: 112
    .language:       OpenCL C
    .language_version:
      - 2
      - 0
    .max_flat_workgroup_size: 64
    .name:           _ZN7rocprim17ROCPRIM_400000_NS6detail17trampoline_kernelINS0_14default_configENS1_27scan_by_key_config_selectorIssEEZZNS1_16scan_by_key_implILNS1_25lookback_scan_determinismE0ELb1ES3_N6thrust23THRUST_200600_302600_NS6detail15normal_iteratorINS9_10device_ptrIsEEEESE_SE_sNS9_4plusIsEE19head_flag_predicatesEE10hipError_tPvRmT2_T3_T4_T5_mT6_T7_P12ihipStream_tbENKUlT_T0_E_clISt17integral_constantIbLb1EESX_IbLb0EEEEDaST_SU_EUlST_E_NS1_11comp_targetILNS1_3genE2ELNS1_11target_archE906ELNS1_3gpuE6ELNS1_3repE0EEENS1_30default_config_static_selectorELNS0_4arch9wavefront6targetE1EEEvT1_
    .private_segment_fixed_size: 0
    .sgpr_count:     6
    .sgpr_spill_count: 0
    .symbol:         _ZN7rocprim17ROCPRIM_400000_NS6detail17trampoline_kernelINS0_14default_configENS1_27scan_by_key_config_selectorIssEEZZNS1_16scan_by_key_implILNS1_25lookback_scan_determinismE0ELb1ES3_N6thrust23THRUST_200600_302600_NS6detail15normal_iteratorINS9_10device_ptrIsEEEESE_SE_sNS9_4plusIsEE19head_flag_predicatesEE10hipError_tPvRmT2_T3_T4_T5_mT6_T7_P12ihipStream_tbENKUlT_T0_E_clISt17integral_constantIbLb1EESX_IbLb0EEEEDaST_SU_EUlST_E_NS1_11comp_targetILNS1_3genE2ELNS1_11target_archE906ELNS1_3gpuE6ELNS1_3repE0EEENS1_30default_config_static_selectorELNS0_4arch9wavefront6targetE1EEEvT1_.kd
    .uniform_work_group_size: 1
    .uses_dynamic_stack: false
    .vgpr_count:     0
    .vgpr_spill_count: 0
    .wavefront_size: 64
  - .agpr_count:     0
    .args:
      - .offset:         0
        .size:           112
        .value_kind:     by_value
    .group_segment_fixed_size: 0
    .kernarg_segment_align: 8
    .kernarg_segment_size: 112
    .language:       OpenCL C
    .language_version:
      - 2
      - 0
    .max_flat_workgroup_size: 256
    .name:           _ZN7rocprim17ROCPRIM_400000_NS6detail17trampoline_kernelINS0_14default_configENS1_27scan_by_key_config_selectorIssEEZZNS1_16scan_by_key_implILNS1_25lookback_scan_determinismE0ELb1ES3_N6thrust23THRUST_200600_302600_NS6detail15normal_iteratorINS9_10device_ptrIsEEEESE_SE_sNS9_4plusIsEE19head_flag_predicatesEE10hipError_tPvRmT2_T3_T4_T5_mT6_T7_P12ihipStream_tbENKUlT_T0_E_clISt17integral_constantIbLb1EESX_IbLb0EEEEDaST_SU_EUlST_E_NS1_11comp_targetILNS1_3genE10ELNS1_11target_archE1200ELNS1_3gpuE4ELNS1_3repE0EEENS1_30default_config_static_selectorELNS0_4arch9wavefront6targetE1EEEvT1_
    .private_segment_fixed_size: 0
    .sgpr_count:     6
    .sgpr_spill_count: 0
    .symbol:         _ZN7rocprim17ROCPRIM_400000_NS6detail17trampoline_kernelINS0_14default_configENS1_27scan_by_key_config_selectorIssEEZZNS1_16scan_by_key_implILNS1_25lookback_scan_determinismE0ELb1ES3_N6thrust23THRUST_200600_302600_NS6detail15normal_iteratorINS9_10device_ptrIsEEEESE_SE_sNS9_4plusIsEE19head_flag_predicatesEE10hipError_tPvRmT2_T3_T4_T5_mT6_T7_P12ihipStream_tbENKUlT_T0_E_clISt17integral_constantIbLb1EESX_IbLb0EEEEDaST_SU_EUlST_E_NS1_11comp_targetILNS1_3genE10ELNS1_11target_archE1200ELNS1_3gpuE4ELNS1_3repE0EEENS1_30default_config_static_selectorELNS0_4arch9wavefront6targetE1EEEvT1_.kd
    .uniform_work_group_size: 1
    .uses_dynamic_stack: false
    .vgpr_count:     0
    .vgpr_spill_count: 0
    .wavefront_size: 64
  - .agpr_count:     0
    .args:
      - .offset:         0
        .size:           112
        .value_kind:     by_value
    .group_segment_fixed_size: 0
    .kernarg_segment_align: 8
    .kernarg_segment_size: 112
    .language:       OpenCL C
    .language_version:
      - 2
      - 0
    .max_flat_workgroup_size: 256
    .name:           _ZN7rocprim17ROCPRIM_400000_NS6detail17trampoline_kernelINS0_14default_configENS1_27scan_by_key_config_selectorIssEEZZNS1_16scan_by_key_implILNS1_25lookback_scan_determinismE0ELb1ES3_N6thrust23THRUST_200600_302600_NS6detail15normal_iteratorINS9_10device_ptrIsEEEESE_SE_sNS9_4plusIsEE19head_flag_predicatesEE10hipError_tPvRmT2_T3_T4_T5_mT6_T7_P12ihipStream_tbENKUlT_T0_E_clISt17integral_constantIbLb1EESX_IbLb0EEEEDaST_SU_EUlST_E_NS1_11comp_targetILNS1_3genE9ELNS1_11target_archE1100ELNS1_3gpuE3ELNS1_3repE0EEENS1_30default_config_static_selectorELNS0_4arch9wavefront6targetE1EEEvT1_
    .private_segment_fixed_size: 0
    .sgpr_count:     6
    .sgpr_spill_count: 0
    .symbol:         _ZN7rocprim17ROCPRIM_400000_NS6detail17trampoline_kernelINS0_14default_configENS1_27scan_by_key_config_selectorIssEEZZNS1_16scan_by_key_implILNS1_25lookback_scan_determinismE0ELb1ES3_N6thrust23THRUST_200600_302600_NS6detail15normal_iteratorINS9_10device_ptrIsEEEESE_SE_sNS9_4plusIsEE19head_flag_predicatesEE10hipError_tPvRmT2_T3_T4_T5_mT6_T7_P12ihipStream_tbENKUlT_T0_E_clISt17integral_constantIbLb1EESX_IbLb0EEEEDaST_SU_EUlST_E_NS1_11comp_targetILNS1_3genE9ELNS1_11target_archE1100ELNS1_3gpuE3ELNS1_3repE0EEENS1_30default_config_static_selectorELNS0_4arch9wavefront6targetE1EEEvT1_.kd
    .uniform_work_group_size: 1
    .uses_dynamic_stack: false
    .vgpr_count:     0
    .vgpr_spill_count: 0
    .wavefront_size: 64
  - .agpr_count:     0
    .args:
      - .offset:         0
        .size:           112
        .value_kind:     by_value
    .group_segment_fixed_size: 0
    .kernarg_segment_align: 8
    .kernarg_segment_size: 112
    .language:       OpenCL C
    .language_version:
      - 2
      - 0
    .max_flat_workgroup_size: 64
    .name:           _ZN7rocprim17ROCPRIM_400000_NS6detail17trampoline_kernelINS0_14default_configENS1_27scan_by_key_config_selectorIssEEZZNS1_16scan_by_key_implILNS1_25lookback_scan_determinismE0ELb1ES3_N6thrust23THRUST_200600_302600_NS6detail15normal_iteratorINS9_10device_ptrIsEEEESE_SE_sNS9_4plusIsEE19head_flag_predicatesEE10hipError_tPvRmT2_T3_T4_T5_mT6_T7_P12ihipStream_tbENKUlT_T0_E_clISt17integral_constantIbLb1EESX_IbLb0EEEEDaST_SU_EUlST_E_NS1_11comp_targetILNS1_3genE8ELNS1_11target_archE1030ELNS1_3gpuE2ELNS1_3repE0EEENS1_30default_config_static_selectorELNS0_4arch9wavefront6targetE1EEEvT1_
    .private_segment_fixed_size: 0
    .sgpr_count:     6
    .sgpr_spill_count: 0
    .symbol:         _ZN7rocprim17ROCPRIM_400000_NS6detail17trampoline_kernelINS0_14default_configENS1_27scan_by_key_config_selectorIssEEZZNS1_16scan_by_key_implILNS1_25lookback_scan_determinismE0ELb1ES3_N6thrust23THRUST_200600_302600_NS6detail15normal_iteratorINS9_10device_ptrIsEEEESE_SE_sNS9_4plusIsEE19head_flag_predicatesEE10hipError_tPvRmT2_T3_T4_T5_mT6_T7_P12ihipStream_tbENKUlT_T0_E_clISt17integral_constantIbLb1EESX_IbLb0EEEEDaST_SU_EUlST_E_NS1_11comp_targetILNS1_3genE8ELNS1_11target_archE1030ELNS1_3gpuE2ELNS1_3repE0EEENS1_30default_config_static_selectorELNS0_4arch9wavefront6targetE1EEEvT1_.kd
    .uniform_work_group_size: 1
    .uses_dynamic_stack: false
    .vgpr_count:     0
    .vgpr_spill_count: 0
    .wavefront_size: 64
  - .agpr_count:     0
    .args:
      - .offset:         0
        .size:           112
        .value_kind:     by_value
    .group_segment_fixed_size: 0
    .kernarg_segment_align: 8
    .kernarg_segment_size: 112
    .language:       OpenCL C
    .language_version:
      - 2
      - 0
    .max_flat_workgroup_size: 256
    .name:           _ZN7rocprim17ROCPRIM_400000_NS6detail17trampoline_kernelINS0_14default_configENS1_27scan_by_key_config_selectorIssEEZZNS1_16scan_by_key_implILNS1_25lookback_scan_determinismE0ELb1ES3_N6thrust23THRUST_200600_302600_NS6detail15normal_iteratorINS9_10device_ptrIsEEEESE_SE_sNS9_4plusIsEE19head_flag_predicatesEE10hipError_tPvRmT2_T3_T4_T5_mT6_T7_P12ihipStream_tbENKUlT_T0_E_clISt17integral_constantIbLb0EESX_IbLb1EEEEDaST_SU_EUlST_E_NS1_11comp_targetILNS1_3genE0ELNS1_11target_archE4294967295ELNS1_3gpuE0ELNS1_3repE0EEENS1_30default_config_static_selectorELNS0_4arch9wavefront6targetE1EEEvT1_
    .private_segment_fixed_size: 0
    .sgpr_count:     6
    .sgpr_spill_count: 0
    .symbol:         _ZN7rocprim17ROCPRIM_400000_NS6detail17trampoline_kernelINS0_14default_configENS1_27scan_by_key_config_selectorIssEEZZNS1_16scan_by_key_implILNS1_25lookback_scan_determinismE0ELb1ES3_N6thrust23THRUST_200600_302600_NS6detail15normal_iteratorINS9_10device_ptrIsEEEESE_SE_sNS9_4plusIsEE19head_flag_predicatesEE10hipError_tPvRmT2_T3_T4_T5_mT6_T7_P12ihipStream_tbENKUlT_T0_E_clISt17integral_constantIbLb0EESX_IbLb1EEEEDaST_SU_EUlST_E_NS1_11comp_targetILNS1_3genE0ELNS1_11target_archE4294967295ELNS1_3gpuE0ELNS1_3repE0EEENS1_30default_config_static_selectorELNS0_4arch9wavefront6targetE1EEEvT1_.kd
    .uniform_work_group_size: 1
    .uses_dynamic_stack: false
    .vgpr_count:     0
    .vgpr_spill_count: 0
    .wavefront_size: 64
  - .agpr_count:     0
    .args:
      - .offset:         0
        .size:           112
        .value_kind:     by_value
    .group_segment_fixed_size: 0
    .kernarg_segment_align: 8
    .kernarg_segment_size: 112
    .language:       OpenCL C
    .language_version:
      - 2
      - 0
    .max_flat_workgroup_size: 128
    .name:           _ZN7rocprim17ROCPRIM_400000_NS6detail17trampoline_kernelINS0_14default_configENS1_27scan_by_key_config_selectorIssEEZZNS1_16scan_by_key_implILNS1_25lookback_scan_determinismE0ELb1ES3_N6thrust23THRUST_200600_302600_NS6detail15normal_iteratorINS9_10device_ptrIsEEEESE_SE_sNS9_4plusIsEE19head_flag_predicatesEE10hipError_tPvRmT2_T3_T4_T5_mT6_T7_P12ihipStream_tbENKUlT_T0_E_clISt17integral_constantIbLb0EESX_IbLb1EEEEDaST_SU_EUlST_E_NS1_11comp_targetILNS1_3genE10ELNS1_11target_archE1201ELNS1_3gpuE5ELNS1_3repE0EEENS1_30default_config_static_selectorELNS0_4arch9wavefront6targetE1EEEvT1_
    .private_segment_fixed_size: 0
    .sgpr_count:     6
    .sgpr_spill_count: 0
    .symbol:         _ZN7rocprim17ROCPRIM_400000_NS6detail17trampoline_kernelINS0_14default_configENS1_27scan_by_key_config_selectorIssEEZZNS1_16scan_by_key_implILNS1_25lookback_scan_determinismE0ELb1ES3_N6thrust23THRUST_200600_302600_NS6detail15normal_iteratorINS9_10device_ptrIsEEEESE_SE_sNS9_4plusIsEE19head_flag_predicatesEE10hipError_tPvRmT2_T3_T4_T5_mT6_T7_P12ihipStream_tbENKUlT_T0_E_clISt17integral_constantIbLb0EESX_IbLb1EEEEDaST_SU_EUlST_E_NS1_11comp_targetILNS1_3genE10ELNS1_11target_archE1201ELNS1_3gpuE5ELNS1_3repE0EEENS1_30default_config_static_selectorELNS0_4arch9wavefront6targetE1EEEvT1_.kd
    .uniform_work_group_size: 1
    .uses_dynamic_stack: false
    .vgpr_count:     0
    .vgpr_spill_count: 0
    .wavefront_size: 64
  - .agpr_count:     0
    .args:
      - .offset:         0
        .size:           112
        .value_kind:     by_value
    .group_segment_fixed_size: 13312
    .kernarg_segment_align: 8
    .kernarg_segment_size: 112
    .language:       OpenCL C
    .language_version:
      - 2
      - 0
    .max_flat_workgroup_size: 256
    .name:           _ZN7rocprim17ROCPRIM_400000_NS6detail17trampoline_kernelINS0_14default_configENS1_27scan_by_key_config_selectorIssEEZZNS1_16scan_by_key_implILNS1_25lookback_scan_determinismE0ELb1ES3_N6thrust23THRUST_200600_302600_NS6detail15normal_iteratorINS9_10device_ptrIsEEEESE_SE_sNS9_4plusIsEE19head_flag_predicatesEE10hipError_tPvRmT2_T3_T4_T5_mT6_T7_P12ihipStream_tbENKUlT_T0_E_clISt17integral_constantIbLb0EESX_IbLb1EEEEDaST_SU_EUlST_E_NS1_11comp_targetILNS1_3genE5ELNS1_11target_archE942ELNS1_3gpuE9ELNS1_3repE0EEENS1_30default_config_static_selectorELNS0_4arch9wavefront6targetE1EEEvT1_
    .private_segment_fixed_size: 0
    .sgpr_count:     81
    .sgpr_spill_count: 0
    .symbol:         _ZN7rocprim17ROCPRIM_400000_NS6detail17trampoline_kernelINS0_14default_configENS1_27scan_by_key_config_selectorIssEEZZNS1_16scan_by_key_implILNS1_25lookback_scan_determinismE0ELb1ES3_N6thrust23THRUST_200600_302600_NS6detail15normal_iteratorINS9_10device_ptrIsEEEESE_SE_sNS9_4plusIsEE19head_flag_predicatesEE10hipError_tPvRmT2_T3_T4_T5_mT6_T7_P12ihipStream_tbENKUlT_T0_E_clISt17integral_constantIbLb0EESX_IbLb1EEEEDaST_SU_EUlST_E_NS1_11comp_targetILNS1_3genE5ELNS1_11target_archE942ELNS1_3gpuE9ELNS1_3repE0EEENS1_30default_config_static_selectorELNS0_4arch9wavefront6targetE1EEEvT1_.kd
    .uniform_work_group_size: 1
    .uses_dynamic_stack: false
    .vgpr_count:     64
    .vgpr_spill_count: 0
    .wavefront_size: 64
  - .agpr_count:     0
    .args:
      - .offset:         0
        .size:           112
        .value_kind:     by_value
    .group_segment_fixed_size: 0
    .kernarg_segment_align: 8
    .kernarg_segment_size: 112
    .language:       OpenCL C
    .language_version:
      - 2
      - 0
    .max_flat_workgroup_size: 256
    .name:           _ZN7rocprim17ROCPRIM_400000_NS6detail17trampoline_kernelINS0_14default_configENS1_27scan_by_key_config_selectorIssEEZZNS1_16scan_by_key_implILNS1_25lookback_scan_determinismE0ELb1ES3_N6thrust23THRUST_200600_302600_NS6detail15normal_iteratorINS9_10device_ptrIsEEEESE_SE_sNS9_4plusIsEE19head_flag_predicatesEE10hipError_tPvRmT2_T3_T4_T5_mT6_T7_P12ihipStream_tbENKUlT_T0_E_clISt17integral_constantIbLb0EESX_IbLb1EEEEDaST_SU_EUlST_E_NS1_11comp_targetILNS1_3genE4ELNS1_11target_archE910ELNS1_3gpuE8ELNS1_3repE0EEENS1_30default_config_static_selectorELNS0_4arch9wavefront6targetE1EEEvT1_
    .private_segment_fixed_size: 0
    .sgpr_count:     6
    .sgpr_spill_count: 0
    .symbol:         _ZN7rocprim17ROCPRIM_400000_NS6detail17trampoline_kernelINS0_14default_configENS1_27scan_by_key_config_selectorIssEEZZNS1_16scan_by_key_implILNS1_25lookback_scan_determinismE0ELb1ES3_N6thrust23THRUST_200600_302600_NS6detail15normal_iteratorINS9_10device_ptrIsEEEESE_SE_sNS9_4plusIsEE19head_flag_predicatesEE10hipError_tPvRmT2_T3_T4_T5_mT6_T7_P12ihipStream_tbENKUlT_T0_E_clISt17integral_constantIbLb0EESX_IbLb1EEEEDaST_SU_EUlST_E_NS1_11comp_targetILNS1_3genE4ELNS1_11target_archE910ELNS1_3gpuE8ELNS1_3repE0EEENS1_30default_config_static_selectorELNS0_4arch9wavefront6targetE1EEEvT1_.kd
    .uniform_work_group_size: 1
    .uses_dynamic_stack: false
    .vgpr_count:     0
    .vgpr_spill_count: 0
    .wavefront_size: 64
  - .agpr_count:     0
    .args:
      - .offset:         0
        .size:           112
        .value_kind:     by_value
    .group_segment_fixed_size: 0
    .kernarg_segment_align: 8
    .kernarg_segment_size: 112
    .language:       OpenCL C
    .language_version:
      - 2
      - 0
    .max_flat_workgroup_size: 256
    .name:           _ZN7rocprim17ROCPRIM_400000_NS6detail17trampoline_kernelINS0_14default_configENS1_27scan_by_key_config_selectorIssEEZZNS1_16scan_by_key_implILNS1_25lookback_scan_determinismE0ELb1ES3_N6thrust23THRUST_200600_302600_NS6detail15normal_iteratorINS9_10device_ptrIsEEEESE_SE_sNS9_4plusIsEE19head_flag_predicatesEE10hipError_tPvRmT2_T3_T4_T5_mT6_T7_P12ihipStream_tbENKUlT_T0_E_clISt17integral_constantIbLb0EESX_IbLb1EEEEDaST_SU_EUlST_E_NS1_11comp_targetILNS1_3genE3ELNS1_11target_archE908ELNS1_3gpuE7ELNS1_3repE0EEENS1_30default_config_static_selectorELNS0_4arch9wavefront6targetE1EEEvT1_
    .private_segment_fixed_size: 0
    .sgpr_count:     6
    .sgpr_spill_count: 0
    .symbol:         _ZN7rocprim17ROCPRIM_400000_NS6detail17trampoline_kernelINS0_14default_configENS1_27scan_by_key_config_selectorIssEEZZNS1_16scan_by_key_implILNS1_25lookback_scan_determinismE0ELb1ES3_N6thrust23THRUST_200600_302600_NS6detail15normal_iteratorINS9_10device_ptrIsEEEESE_SE_sNS9_4plusIsEE19head_flag_predicatesEE10hipError_tPvRmT2_T3_T4_T5_mT6_T7_P12ihipStream_tbENKUlT_T0_E_clISt17integral_constantIbLb0EESX_IbLb1EEEEDaST_SU_EUlST_E_NS1_11comp_targetILNS1_3genE3ELNS1_11target_archE908ELNS1_3gpuE7ELNS1_3repE0EEENS1_30default_config_static_selectorELNS0_4arch9wavefront6targetE1EEEvT1_.kd
    .uniform_work_group_size: 1
    .uses_dynamic_stack: false
    .vgpr_count:     0
    .vgpr_spill_count: 0
    .wavefront_size: 64
  - .agpr_count:     0
    .args:
      - .offset:         0
        .size:           112
        .value_kind:     by_value
    .group_segment_fixed_size: 0
    .kernarg_segment_align: 8
    .kernarg_segment_size: 112
    .language:       OpenCL C
    .language_version:
      - 2
      - 0
    .max_flat_workgroup_size: 64
    .name:           _ZN7rocprim17ROCPRIM_400000_NS6detail17trampoline_kernelINS0_14default_configENS1_27scan_by_key_config_selectorIssEEZZNS1_16scan_by_key_implILNS1_25lookback_scan_determinismE0ELb1ES3_N6thrust23THRUST_200600_302600_NS6detail15normal_iteratorINS9_10device_ptrIsEEEESE_SE_sNS9_4plusIsEE19head_flag_predicatesEE10hipError_tPvRmT2_T3_T4_T5_mT6_T7_P12ihipStream_tbENKUlT_T0_E_clISt17integral_constantIbLb0EESX_IbLb1EEEEDaST_SU_EUlST_E_NS1_11comp_targetILNS1_3genE2ELNS1_11target_archE906ELNS1_3gpuE6ELNS1_3repE0EEENS1_30default_config_static_selectorELNS0_4arch9wavefront6targetE1EEEvT1_
    .private_segment_fixed_size: 0
    .sgpr_count:     6
    .sgpr_spill_count: 0
    .symbol:         _ZN7rocprim17ROCPRIM_400000_NS6detail17trampoline_kernelINS0_14default_configENS1_27scan_by_key_config_selectorIssEEZZNS1_16scan_by_key_implILNS1_25lookback_scan_determinismE0ELb1ES3_N6thrust23THRUST_200600_302600_NS6detail15normal_iteratorINS9_10device_ptrIsEEEESE_SE_sNS9_4plusIsEE19head_flag_predicatesEE10hipError_tPvRmT2_T3_T4_T5_mT6_T7_P12ihipStream_tbENKUlT_T0_E_clISt17integral_constantIbLb0EESX_IbLb1EEEEDaST_SU_EUlST_E_NS1_11comp_targetILNS1_3genE2ELNS1_11target_archE906ELNS1_3gpuE6ELNS1_3repE0EEENS1_30default_config_static_selectorELNS0_4arch9wavefront6targetE1EEEvT1_.kd
    .uniform_work_group_size: 1
    .uses_dynamic_stack: false
    .vgpr_count:     0
    .vgpr_spill_count: 0
    .wavefront_size: 64
  - .agpr_count:     0
    .args:
      - .offset:         0
        .size:           112
        .value_kind:     by_value
    .group_segment_fixed_size: 0
    .kernarg_segment_align: 8
    .kernarg_segment_size: 112
    .language:       OpenCL C
    .language_version:
      - 2
      - 0
    .max_flat_workgroup_size: 256
    .name:           _ZN7rocprim17ROCPRIM_400000_NS6detail17trampoline_kernelINS0_14default_configENS1_27scan_by_key_config_selectorIssEEZZNS1_16scan_by_key_implILNS1_25lookback_scan_determinismE0ELb1ES3_N6thrust23THRUST_200600_302600_NS6detail15normal_iteratorINS9_10device_ptrIsEEEESE_SE_sNS9_4plusIsEE19head_flag_predicatesEE10hipError_tPvRmT2_T3_T4_T5_mT6_T7_P12ihipStream_tbENKUlT_T0_E_clISt17integral_constantIbLb0EESX_IbLb1EEEEDaST_SU_EUlST_E_NS1_11comp_targetILNS1_3genE10ELNS1_11target_archE1200ELNS1_3gpuE4ELNS1_3repE0EEENS1_30default_config_static_selectorELNS0_4arch9wavefront6targetE1EEEvT1_
    .private_segment_fixed_size: 0
    .sgpr_count:     6
    .sgpr_spill_count: 0
    .symbol:         _ZN7rocprim17ROCPRIM_400000_NS6detail17trampoline_kernelINS0_14default_configENS1_27scan_by_key_config_selectorIssEEZZNS1_16scan_by_key_implILNS1_25lookback_scan_determinismE0ELb1ES3_N6thrust23THRUST_200600_302600_NS6detail15normal_iteratorINS9_10device_ptrIsEEEESE_SE_sNS9_4plusIsEE19head_flag_predicatesEE10hipError_tPvRmT2_T3_T4_T5_mT6_T7_P12ihipStream_tbENKUlT_T0_E_clISt17integral_constantIbLb0EESX_IbLb1EEEEDaST_SU_EUlST_E_NS1_11comp_targetILNS1_3genE10ELNS1_11target_archE1200ELNS1_3gpuE4ELNS1_3repE0EEENS1_30default_config_static_selectorELNS0_4arch9wavefront6targetE1EEEvT1_.kd
    .uniform_work_group_size: 1
    .uses_dynamic_stack: false
    .vgpr_count:     0
    .vgpr_spill_count: 0
    .wavefront_size: 64
  - .agpr_count:     0
    .args:
      - .offset:         0
        .size:           112
        .value_kind:     by_value
    .group_segment_fixed_size: 0
    .kernarg_segment_align: 8
    .kernarg_segment_size: 112
    .language:       OpenCL C
    .language_version:
      - 2
      - 0
    .max_flat_workgroup_size: 256
    .name:           _ZN7rocprim17ROCPRIM_400000_NS6detail17trampoline_kernelINS0_14default_configENS1_27scan_by_key_config_selectorIssEEZZNS1_16scan_by_key_implILNS1_25lookback_scan_determinismE0ELb1ES3_N6thrust23THRUST_200600_302600_NS6detail15normal_iteratorINS9_10device_ptrIsEEEESE_SE_sNS9_4plusIsEE19head_flag_predicatesEE10hipError_tPvRmT2_T3_T4_T5_mT6_T7_P12ihipStream_tbENKUlT_T0_E_clISt17integral_constantIbLb0EESX_IbLb1EEEEDaST_SU_EUlST_E_NS1_11comp_targetILNS1_3genE9ELNS1_11target_archE1100ELNS1_3gpuE3ELNS1_3repE0EEENS1_30default_config_static_selectorELNS0_4arch9wavefront6targetE1EEEvT1_
    .private_segment_fixed_size: 0
    .sgpr_count:     6
    .sgpr_spill_count: 0
    .symbol:         _ZN7rocprim17ROCPRIM_400000_NS6detail17trampoline_kernelINS0_14default_configENS1_27scan_by_key_config_selectorIssEEZZNS1_16scan_by_key_implILNS1_25lookback_scan_determinismE0ELb1ES3_N6thrust23THRUST_200600_302600_NS6detail15normal_iteratorINS9_10device_ptrIsEEEESE_SE_sNS9_4plusIsEE19head_flag_predicatesEE10hipError_tPvRmT2_T3_T4_T5_mT6_T7_P12ihipStream_tbENKUlT_T0_E_clISt17integral_constantIbLb0EESX_IbLb1EEEEDaST_SU_EUlST_E_NS1_11comp_targetILNS1_3genE9ELNS1_11target_archE1100ELNS1_3gpuE3ELNS1_3repE0EEENS1_30default_config_static_selectorELNS0_4arch9wavefront6targetE1EEEvT1_.kd
    .uniform_work_group_size: 1
    .uses_dynamic_stack: false
    .vgpr_count:     0
    .vgpr_spill_count: 0
    .wavefront_size: 64
  - .agpr_count:     0
    .args:
      - .offset:         0
        .size:           112
        .value_kind:     by_value
    .group_segment_fixed_size: 0
    .kernarg_segment_align: 8
    .kernarg_segment_size: 112
    .language:       OpenCL C
    .language_version:
      - 2
      - 0
    .max_flat_workgroup_size: 64
    .name:           _ZN7rocprim17ROCPRIM_400000_NS6detail17trampoline_kernelINS0_14default_configENS1_27scan_by_key_config_selectorIssEEZZNS1_16scan_by_key_implILNS1_25lookback_scan_determinismE0ELb1ES3_N6thrust23THRUST_200600_302600_NS6detail15normal_iteratorINS9_10device_ptrIsEEEESE_SE_sNS9_4plusIsEE19head_flag_predicatesEE10hipError_tPvRmT2_T3_T4_T5_mT6_T7_P12ihipStream_tbENKUlT_T0_E_clISt17integral_constantIbLb0EESX_IbLb1EEEEDaST_SU_EUlST_E_NS1_11comp_targetILNS1_3genE8ELNS1_11target_archE1030ELNS1_3gpuE2ELNS1_3repE0EEENS1_30default_config_static_selectorELNS0_4arch9wavefront6targetE1EEEvT1_
    .private_segment_fixed_size: 0
    .sgpr_count:     6
    .sgpr_spill_count: 0
    .symbol:         _ZN7rocprim17ROCPRIM_400000_NS6detail17trampoline_kernelINS0_14default_configENS1_27scan_by_key_config_selectorIssEEZZNS1_16scan_by_key_implILNS1_25lookback_scan_determinismE0ELb1ES3_N6thrust23THRUST_200600_302600_NS6detail15normal_iteratorINS9_10device_ptrIsEEEESE_SE_sNS9_4plusIsEE19head_flag_predicatesEE10hipError_tPvRmT2_T3_T4_T5_mT6_T7_P12ihipStream_tbENKUlT_T0_E_clISt17integral_constantIbLb0EESX_IbLb1EEEEDaST_SU_EUlST_E_NS1_11comp_targetILNS1_3genE8ELNS1_11target_archE1030ELNS1_3gpuE2ELNS1_3repE0EEENS1_30default_config_static_selectorELNS0_4arch9wavefront6targetE1EEEvT1_.kd
    .uniform_work_group_size: 1
    .uses_dynamic_stack: false
    .vgpr_count:     0
    .vgpr_spill_count: 0
    .wavefront_size: 64
  - .agpr_count:     0
    .args:
      - .offset:         0
        .size:           144
        .value_kind:     by_value
    .group_segment_fixed_size: 0
    .kernarg_segment_align: 8
    .kernarg_segment_size: 144
    .language:       OpenCL C
    .language_version:
      - 2
      - 0
    .max_flat_workgroup_size: 256
    .name:           _ZN7rocprim17ROCPRIM_400000_NS6detail17trampoline_kernelINS0_14default_configENS1_27scan_by_key_config_selectorIxxEEZZNS1_16scan_by_key_implILNS1_25lookback_scan_determinismE0ELb0ES3_N6thrust23THRUST_200600_302600_NS6detail15normal_iteratorINS9_10device_ptrIxEEEENS9_18transform_iteratorINS9_6negateIxEESE_NS9_11use_defaultESI_EESE_xNS9_4plusIvEENS9_8equal_toIvEExEE10hipError_tPvRmT2_T3_T4_T5_mT6_T7_P12ihipStream_tbENKUlT_T0_E_clISt17integral_constantIbLb0EES14_EEDaSZ_S10_EUlSZ_E_NS1_11comp_targetILNS1_3genE0ELNS1_11target_archE4294967295ELNS1_3gpuE0ELNS1_3repE0EEENS1_30default_config_static_selectorELNS0_4arch9wavefront6targetE1EEEvT1_
    .private_segment_fixed_size: 0
    .sgpr_count:     6
    .sgpr_spill_count: 0
    .symbol:         _ZN7rocprim17ROCPRIM_400000_NS6detail17trampoline_kernelINS0_14default_configENS1_27scan_by_key_config_selectorIxxEEZZNS1_16scan_by_key_implILNS1_25lookback_scan_determinismE0ELb0ES3_N6thrust23THRUST_200600_302600_NS6detail15normal_iteratorINS9_10device_ptrIxEEEENS9_18transform_iteratorINS9_6negateIxEESE_NS9_11use_defaultESI_EESE_xNS9_4plusIvEENS9_8equal_toIvEExEE10hipError_tPvRmT2_T3_T4_T5_mT6_T7_P12ihipStream_tbENKUlT_T0_E_clISt17integral_constantIbLb0EES14_EEDaSZ_S10_EUlSZ_E_NS1_11comp_targetILNS1_3genE0ELNS1_11target_archE4294967295ELNS1_3gpuE0ELNS1_3repE0EEENS1_30default_config_static_selectorELNS0_4arch9wavefront6targetE1EEEvT1_.kd
    .uniform_work_group_size: 1
    .uses_dynamic_stack: false
    .vgpr_count:     0
    .vgpr_spill_count: 0
    .wavefront_size: 64
  - .agpr_count:     0
    .args:
      - .offset:         0
        .size:           144
        .value_kind:     by_value
    .group_segment_fixed_size: 0
    .kernarg_segment_align: 8
    .kernarg_segment_size: 144
    .language:       OpenCL C
    .language_version:
      - 2
      - 0
    .max_flat_workgroup_size: 256
    .name:           _ZN7rocprim17ROCPRIM_400000_NS6detail17trampoline_kernelINS0_14default_configENS1_27scan_by_key_config_selectorIxxEEZZNS1_16scan_by_key_implILNS1_25lookback_scan_determinismE0ELb0ES3_N6thrust23THRUST_200600_302600_NS6detail15normal_iteratorINS9_10device_ptrIxEEEENS9_18transform_iteratorINS9_6negateIxEESE_NS9_11use_defaultESI_EESE_xNS9_4plusIvEENS9_8equal_toIvEExEE10hipError_tPvRmT2_T3_T4_T5_mT6_T7_P12ihipStream_tbENKUlT_T0_E_clISt17integral_constantIbLb0EES14_EEDaSZ_S10_EUlSZ_E_NS1_11comp_targetILNS1_3genE10ELNS1_11target_archE1201ELNS1_3gpuE5ELNS1_3repE0EEENS1_30default_config_static_selectorELNS0_4arch9wavefront6targetE1EEEvT1_
    .private_segment_fixed_size: 0
    .sgpr_count:     6
    .sgpr_spill_count: 0
    .symbol:         _ZN7rocprim17ROCPRIM_400000_NS6detail17trampoline_kernelINS0_14default_configENS1_27scan_by_key_config_selectorIxxEEZZNS1_16scan_by_key_implILNS1_25lookback_scan_determinismE0ELb0ES3_N6thrust23THRUST_200600_302600_NS6detail15normal_iteratorINS9_10device_ptrIxEEEENS9_18transform_iteratorINS9_6negateIxEESE_NS9_11use_defaultESI_EESE_xNS9_4plusIvEENS9_8equal_toIvEExEE10hipError_tPvRmT2_T3_T4_T5_mT6_T7_P12ihipStream_tbENKUlT_T0_E_clISt17integral_constantIbLb0EES14_EEDaSZ_S10_EUlSZ_E_NS1_11comp_targetILNS1_3genE10ELNS1_11target_archE1201ELNS1_3gpuE5ELNS1_3repE0EEENS1_30default_config_static_selectorELNS0_4arch9wavefront6targetE1EEEvT1_.kd
    .uniform_work_group_size: 1
    .uses_dynamic_stack: false
    .vgpr_count:     0
    .vgpr_spill_count: 0
    .wavefront_size: 64
  - .agpr_count:     0
    .args:
      - .offset:         0
        .size:           144
        .value_kind:     by_value
    .group_segment_fixed_size: 32768
    .kernarg_segment_align: 8
    .kernarg_segment_size: 144
    .language:       OpenCL C
    .language_version:
      - 2
      - 0
    .max_flat_workgroup_size: 256
    .name:           _ZN7rocprim17ROCPRIM_400000_NS6detail17trampoline_kernelINS0_14default_configENS1_27scan_by_key_config_selectorIxxEEZZNS1_16scan_by_key_implILNS1_25lookback_scan_determinismE0ELb0ES3_N6thrust23THRUST_200600_302600_NS6detail15normal_iteratorINS9_10device_ptrIxEEEENS9_18transform_iteratorINS9_6negateIxEESE_NS9_11use_defaultESI_EESE_xNS9_4plusIvEENS9_8equal_toIvEExEE10hipError_tPvRmT2_T3_T4_T5_mT6_T7_P12ihipStream_tbENKUlT_T0_E_clISt17integral_constantIbLb0EES14_EEDaSZ_S10_EUlSZ_E_NS1_11comp_targetILNS1_3genE5ELNS1_11target_archE942ELNS1_3gpuE9ELNS1_3repE0EEENS1_30default_config_static_selectorELNS0_4arch9wavefront6targetE1EEEvT1_
    .private_segment_fixed_size: 0
    .sgpr_count:     72
    .sgpr_spill_count: 0
    .symbol:         _ZN7rocprim17ROCPRIM_400000_NS6detail17trampoline_kernelINS0_14default_configENS1_27scan_by_key_config_selectorIxxEEZZNS1_16scan_by_key_implILNS1_25lookback_scan_determinismE0ELb0ES3_N6thrust23THRUST_200600_302600_NS6detail15normal_iteratorINS9_10device_ptrIxEEEENS9_18transform_iteratorINS9_6negateIxEESE_NS9_11use_defaultESI_EESE_xNS9_4plusIvEENS9_8equal_toIvEExEE10hipError_tPvRmT2_T3_T4_T5_mT6_T7_P12ihipStream_tbENKUlT_T0_E_clISt17integral_constantIbLb0EES14_EEDaSZ_S10_EUlSZ_E_NS1_11comp_targetILNS1_3genE5ELNS1_11target_archE942ELNS1_3gpuE9ELNS1_3repE0EEENS1_30default_config_static_selectorELNS0_4arch9wavefront6targetE1EEEvT1_.kd
    .uniform_work_group_size: 1
    .uses_dynamic_stack: false
    .vgpr_count:     92
    .vgpr_spill_count: 0
    .wavefront_size: 64
  - .agpr_count:     0
    .args:
      - .offset:         0
        .size:           144
        .value_kind:     by_value
    .group_segment_fixed_size: 0
    .kernarg_segment_align: 8
    .kernarg_segment_size: 144
    .language:       OpenCL C
    .language_version:
      - 2
      - 0
    .max_flat_workgroup_size: 64
    .name:           _ZN7rocprim17ROCPRIM_400000_NS6detail17trampoline_kernelINS0_14default_configENS1_27scan_by_key_config_selectorIxxEEZZNS1_16scan_by_key_implILNS1_25lookback_scan_determinismE0ELb0ES3_N6thrust23THRUST_200600_302600_NS6detail15normal_iteratorINS9_10device_ptrIxEEEENS9_18transform_iteratorINS9_6negateIxEESE_NS9_11use_defaultESI_EESE_xNS9_4plusIvEENS9_8equal_toIvEExEE10hipError_tPvRmT2_T3_T4_T5_mT6_T7_P12ihipStream_tbENKUlT_T0_E_clISt17integral_constantIbLb0EES14_EEDaSZ_S10_EUlSZ_E_NS1_11comp_targetILNS1_3genE4ELNS1_11target_archE910ELNS1_3gpuE8ELNS1_3repE0EEENS1_30default_config_static_selectorELNS0_4arch9wavefront6targetE1EEEvT1_
    .private_segment_fixed_size: 0
    .sgpr_count:     6
    .sgpr_spill_count: 0
    .symbol:         _ZN7rocprim17ROCPRIM_400000_NS6detail17trampoline_kernelINS0_14default_configENS1_27scan_by_key_config_selectorIxxEEZZNS1_16scan_by_key_implILNS1_25lookback_scan_determinismE0ELb0ES3_N6thrust23THRUST_200600_302600_NS6detail15normal_iteratorINS9_10device_ptrIxEEEENS9_18transform_iteratorINS9_6negateIxEESE_NS9_11use_defaultESI_EESE_xNS9_4plusIvEENS9_8equal_toIvEExEE10hipError_tPvRmT2_T3_T4_T5_mT6_T7_P12ihipStream_tbENKUlT_T0_E_clISt17integral_constantIbLb0EES14_EEDaSZ_S10_EUlSZ_E_NS1_11comp_targetILNS1_3genE4ELNS1_11target_archE910ELNS1_3gpuE8ELNS1_3repE0EEENS1_30default_config_static_selectorELNS0_4arch9wavefront6targetE1EEEvT1_.kd
    .uniform_work_group_size: 1
    .uses_dynamic_stack: false
    .vgpr_count:     0
    .vgpr_spill_count: 0
    .wavefront_size: 64
  - .agpr_count:     0
    .args:
      - .offset:         0
        .size:           144
        .value_kind:     by_value
    .group_segment_fixed_size: 0
    .kernarg_segment_align: 8
    .kernarg_segment_size: 144
    .language:       OpenCL C
    .language_version:
      - 2
      - 0
    .max_flat_workgroup_size: 256
    .name:           _ZN7rocprim17ROCPRIM_400000_NS6detail17trampoline_kernelINS0_14default_configENS1_27scan_by_key_config_selectorIxxEEZZNS1_16scan_by_key_implILNS1_25lookback_scan_determinismE0ELb0ES3_N6thrust23THRUST_200600_302600_NS6detail15normal_iteratorINS9_10device_ptrIxEEEENS9_18transform_iteratorINS9_6negateIxEESE_NS9_11use_defaultESI_EESE_xNS9_4plusIvEENS9_8equal_toIvEExEE10hipError_tPvRmT2_T3_T4_T5_mT6_T7_P12ihipStream_tbENKUlT_T0_E_clISt17integral_constantIbLb0EES14_EEDaSZ_S10_EUlSZ_E_NS1_11comp_targetILNS1_3genE3ELNS1_11target_archE908ELNS1_3gpuE7ELNS1_3repE0EEENS1_30default_config_static_selectorELNS0_4arch9wavefront6targetE1EEEvT1_
    .private_segment_fixed_size: 0
    .sgpr_count:     6
    .sgpr_spill_count: 0
    .symbol:         _ZN7rocprim17ROCPRIM_400000_NS6detail17trampoline_kernelINS0_14default_configENS1_27scan_by_key_config_selectorIxxEEZZNS1_16scan_by_key_implILNS1_25lookback_scan_determinismE0ELb0ES3_N6thrust23THRUST_200600_302600_NS6detail15normal_iteratorINS9_10device_ptrIxEEEENS9_18transform_iteratorINS9_6negateIxEESE_NS9_11use_defaultESI_EESE_xNS9_4plusIvEENS9_8equal_toIvEExEE10hipError_tPvRmT2_T3_T4_T5_mT6_T7_P12ihipStream_tbENKUlT_T0_E_clISt17integral_constantIbLb0EES14_EEDaSZ_S10_EUlSZ_E_NS1_11comp_targetILNS1_3genE3ELNS1_11target_archE908ELNS1_3gpuE7ELNS1_3repE0EEENS1_30default_config_static_selectorELNS0_4arch9wavefront6targetE1EEEvT1_.kd
    .uniform_work_group_size: 1
    .uses_dynamic_stack: false
    .vgpr_count:     0
    .vgpr_spill_count: 0
    .wavefront_size: 64
  - .agpr_count:     0
    .args:
      - .offset:         0
        .size:           144
        .value_kind:     by_value
    .group_segment_fixed_size: 0
    .kernarg_segment_align: 8
    .kernarg_segment_size: 144
    .language:       OpenCL C
    .language_version:
      - 2
      - 0
    .max_flat_workgroup_size: 256
    .name:           _ZN7rocprim17ROCPRIM_400000_NS6detail17trampoline_kernelINS0_14default_configENS1_27scan_by_key_config_selectorIxxEEZZNS1_16scan_by_key_implILNS1_25lookback_scan_determinismE0ELb0ES3_N6thrust23THRUST_200600_302600_NS6detail15normal_iteratorINS9_10device_ptrIxEEEENS9_18transform_iteratorINS9_6negateIxEESE_NS9_11use_defaultESI_EESE_xNS9_4plusIvEENS9_8equal_toIvEExEE10hipError_tPvRmT2_T3_T4_T5_mT6_T7_P12ihipStream_tbENKUlT_T0_E_clISt17integral_constantIbLb0EES14_EEDaSZ_S10_EUlSZ_E_NS1_11comp_targetILNS1_3genE2ELNS1_11target_archE906ELNS1_3gpuE6ELNS1_3repE0EEENS1_30default_config_static_selectorELNS0_4arch9wavefront6targetE1EEEvT1_
    .private_segment_fixed_size: 0
    .sgpr_count:     6
    .sgpr_spill_count: 0
    .symbol:         _ZN7rocprim17ROCPRIM_400000_NS6detail17trampoline_kernelINS0_14default_configENS1_27scan_by_key_config_selectorIxxEEZZNS1_16scan_by_key_implILNS1_25lookback_scan_determinismE0ELb0ES3_N6thrust23THRUST_200600_302600_NS6detail15normal_iteratorINS9_10device_ptrIxEEEENS9_18transform_iteratorINS9_6negateIxEESE_NS9_11use_defaultESI_EESE_xNS9_4plusIvEENS9_8equal_toIvEExEE10hipError_tPvRmT2_T3_T4_T5_mT6_T7_P12ihipStream_tbENKUlT_T0_E_clISt17integral_constantIbLb0EES14_EEDaSZ_S10_EUlSZ_E_NS1_11comp_targetILNS1_3genE2ELNS1_11target_archE906ELNS1_3gpuE6ELNS1_3repE0EEENS1_30default_config_static_selectorELNS0_4arch9wavefront6targetE1EEEvT1_.kd
    .uniform_work_group_size: 1
    .uses_dynamic_stack: false
    .vgpr_count:     0
    .vgpr_spill_count: 0
    .wavefront_size: 64
  - .agpr_count:     0
    .args:
      - .offset:         0
        .size:           144
        .value_kind:     by_value
    .group_segment_fixed_size: 0
    .kernarg_segment_align: 8
    .kernarg_segment_size: 144
    .language:       OpenCL C
    .language_version:
      - 2
      - 0
    .max_flat_workgroup_size: 256
    .name:           _ZN7rocprim17ROCPRIM_400000_NS6detail17trampoline_kernelINS0_14default_configENS1_27scan_by_key_config_selectorIxxEEZZNS1_16scan_by_key_implILNS1_25lookback_scan_determinismE0ELb0ES3_N6thrust23THRUST_200600_302600_NS6detail15normal_iteratorINS9_10device_ptrIxEEEENS9_18transform_iteratorINS9_6negateIxEESE_NS9_11use_defaultESI_EESE_xNS9_4plusIvEENS9_8equal_toIvEExEE10hipError_tPvRmT2_T3_T4_T5_mT6_T7_P12ihipStream_tbENKUlT_T0_E_clISt17integral_constantIbLb0EES14_EEDaSZ_S10_EUlSZ_E_NS1_11comp_targetILNS1_3genE10ELNS1_11target_archE1200ELNS1_3gpuE4ELNS1_3repE0EEENS1_30default_config_static_selectorELNS0_4arch9wavefront6targetE1EEEvT1_
    .private_segment_fixed_size: 0
    .sgpr_count:     6
    .sgpr_spill_count: 0
    .symbol:         _ZN7rocprim17ROCPRIM_400000_NS6detail17trampoline_kernelINS0_14default_configENS1_27scan_by_key_config_selectorIxxEEZZNS1_16scan_by_key_implILNS1_25lookback_scan_determinismE0ELb0ES3_N6thrust23THRUST_200600_302600_NS6detail15normal_iteratorINS9_10device_ptrIxEEEENS9_18transform_iteratorINS9_6negateIxEESE_NS9_11use_defaultESI_EESE_xNS9_4plusIvEENS9_8equal_toIvEExEE10hipError_tPvRmT2_T3_T4_T5_mT6_T7_P12ihipStream_tbENKUlT_T0_E_clISt17integral_constantIbLb0EES14_EEDaSZ_S10_EUlSZ_E_NS1_11comp_targetILNS1_3genE10ELNS1_11target_archE1200ELNS1_3gpuE4ELNS1_3repE0EEENS1_30default_config_static_selectorELNS0_4arch9wavefront6targetE1EEEvT1_.kd
    .uniform_work_group_size: 1
    .uses_dynamic_stack: false
    .vgpr_count:     0
    .vgpr_spill_count: 0
    .wavefront_size: 64
  - .agpr_count:     0
    .args:
      - .offset:         0
        .size:           144
        .value_kind:     by_value
    .group_segment_fixed_size: 0
    .kernarg_segment_align: 8
    .kernarg_segment_size: 144
    .language:       OpenCL C
    .language_version:
      - 2
      - 0
    .max_flat_workgroup_size: 256
    .name:           _ZN7rocprim17ROCPRIM_400000_NS6detail17trampoline_kernelINS0_14default_configENS1_27scan_by_key_config_selectorIxxEEZZNS1_16scan_by_key_implILNS1_25lookback_scan_determinismE0ELb0ES3_N6thrust23THRUST_200600_302600_NS6detail15normal_iteratorINS9_10device_ptrIxEEEENS9_18transform_iteratorINS9_6negateIxEESE_NS9_11use_defaultESI_EESE_xNS9_4plusIvEENS9_8equal_toIvEExEE10hipError_tPvRmT2_T3_T4_T5_mT6_T7_P12ihipStream_tbENKUlT_T0_E_clISt17integral_constantIbLb0EES14_EEDaSZ_S10_EUlSZ_E_NS1_11comp_targetILNS1_3genE9ELNS1_11target_archE1100ELNS1_3gpuE3ELNS1_3repE0EEENS1_30default_config_static_selectorELNS0_4arch9wavefront6targetE1EEEvT1_
    .private_segment_fixed_size: 0
    .sgpr_count:     6
    .sgpr_spill_count: 0
    .symbol:         _ZN7rocprim17ROCPRIM_400000_NS6detail17trampoline_kernelINS0_14default_configENS1_27scan_by_key_config_selectorIxxEEZZNS1_16scan_by_key_implILNS1_25lookback_scan_determinismE0ELb0ES3_N6thrust23THRUST_200600_302600_NS6detail15normal_iteratorINS9_10device_ptrIxEEEENS9_18transform_iteratorINS9_6negateIxEESE_NS9_11use_defaultESI_EESE_xNS9_4plusIvEENS9_8equal_toIvEExEE10hipError_tPvRmT2_T3_T4_T5_mT6_T7_P12ihipStream_tbENKUlT_T0_E_clISt17integral_constantIbLb0EES14_EEDaSZ_S10_EUlSZ_E_NS1_11comp_targetILNS1_3genE9ELNS1_11target_archE1100ELNS1_3gpuE3ELNS1_3repE0EEENS1_30default_config_static_selectorELNS0_4arch9wavefront6targetE1EEEvT1_.kd
    .uniform_work_group_size: 1
    .uses_dynamic_stack: false
    .vgpr_count:     0
    .vgpr_spill_count: 0
    .wavefront_size: 64
  - .agpr_count:     0
    .args:
      - .offset:         0
        .size:           144
        .value_kind:     by_value
    .group_segment_fixed_size: 0
    .kernarg_segment_align: 8
    .kernarg_segment_size: 144
    .language:       OpenCL C
    .language_version:
      - 2
      - 0
    .max_flat_workgroup_size: 256
    .name:           _ZN7rocprim17ROCPRIM_400000_NS6detail17trampoline_kernelINS0_14default_configENS1_27scan_by_key_config_selectorIxxEEZZNS1_16scan_by_key_implILNS1_25lookback_scan_determinismE0ELb0ES3_N6thrust23THRUST_200600_302600_NS6detail15normal_iteratorINS9_10device_ptrIxEEEENS9_18transform_iteratorINS9_6negateIxEESE_NS9_11use_defaultESI_EESE_xNS9_4plusIvEENS9_8equal_toIvEExEE10hipError_tPvRmT2_T3_T4_T5_mT6_T7_P12ihipStream_tbENKUlT_T0_E_clISt17integral_constantIbLb0EES14_EEDaSZ_S10_EUlSZ_E_NS1_11comp_targetILNS1_3genE8ELNS1_11target_archE1030ELNS1_3gpuE2ELNS1_3repE0EEENS1_30default_config_static_selectorELNS0_4arch9wavefront6targetE1EEEvT1_
    .private_segment_fixed_size: 0
    .sgpr_count:     6
    .sgpr_spill_count: 0
    .symbol:         _ZN7rocprim17ROCPRIM_400000_NS6detail17trampoline_kernelINS0_14default_configENS1_27scan_by_key_config_selectorIxxEEZZNS1_16scan_by_key_implILNS1_25lookback_scan_determinismE0ELb0ES3_N6thrust23THRUST_200600_302600_NS6detail15normal_iteratorINS9_10device_ptrIxEEEENS9_18transform_iteratorINS9_6negateIxEESE_NS9_11use_defaultESI_EESE_xNS9_4plusIvEENS9_8equal_toIvEExEE10hipError_tPvRmT2_T3_T4_T5_mT6_T7_P12ihipStream_tbENKUlT_T0_E_clISt17integral_constantIbLb0EES14_EEDaSZ_S10_EUlSZ_E_NS1_11comp_targetILNS1_3genE8ELNS1_11target_archE1030ELNS1_3gpuE2ELNS1_3repE0EEENS1_30default_config_static_selectorELNS0_4arch9wavefront6targetE1EEEvT1_.kd
    .uniform_work_group_size: 1
    .uses_dynamic_stack: false
    .vgpr_count:     0
    .vgpr_spill_count: 0
    .wavefront_size: 64
  - .agpr_count:     0
    .args:
      - .offset:         0
        .size:           144
        .value_kind:     by_value
    .group_segment_fixed_size: 0
    .kernarg_segment_align: 8
    .kernarg_segment_size: 144
    .language:       OpenCL C
    .language_version:
      - 2
      - 0
    .max_flat_workgroup_size: 256
    .name:           _ZN7rocprim17ROCPRIM_400000_NS6detail17trampoline_kernelINS0_14default_configENS1_27scan_by_key_config_selectorIxxEEZZNS1_16scan_by_key_implILNS1_25lookback_scan_determinismE0ELb0ES3_N6thrust23THRUST_200600_302600_NS6detail15normal_iteratorINS9_10device_ptrIxEEEENS9_18transform_iteratorINS9_6negateIxEESE_NS9_11use_defaultESI_EESE_xNS9_4plusIvEENS9_8equal_toIvEExEE10hipError_tPvRmT2_T3_T4_T5_mT6_T7_P12ihipStream_tbENKUlT_T0_E_clISt17integral_constantIbLb1EES14_EEDaSZ_S10_EUlSZ_E_NS1_11comp_targetILNS1_3genE0ELNS1_11target_archE4294967295ELNS1_3gpuE0ELNS1_3repE0EEENS1_30default_config_static_selectorELNS0_4arch9wavefront6targetE1EEEvT1_
    .private_segment_fixed_size: 0
    .sgpr_count:     6
    .sgpr_spill_count: 0
    .symbol:         _ZN7rocprim17ROCPRIM_400000_NS6detail17trampoline_kernelINS0_14default_configENS1_27scan_by_key_config_selectorIxxEEZZNS1_16scan_by_key_implILNS1_25lookback_scan_determinismE0ELb0ES3_N6thrust23THRUST_200600_302600_NS6detail15normal_iteratorINS9_10device_ptrIxEEEENS9_18transform_iteratorINS9_6negateIxEESE_NS9_11use_defaultESI_EESE_xNS9_4plusIvEENS9_8equal_toIvEExEE10hipError_tPvRmT2_T3_T4_T5_mT6_T7_P12ihipStream_tbENKUlT_T0_E_clISt17integral_constantIbLb1EES14_EEDaSZ_S10_EUlSZ_E_NS1_11comp_targetILNS1_3genE0ELNS1_11target_archE4294967295ELNS1_3gpuE0ELNS1_3repE0EEENS1_30default_config_static_selectorELNS0_4arch9wavefront6targetE1EEEvT1_.kd
    .uniform_work_group_size: 1
    .uses_dynamic_stack: false
    .vgpr_count:     0
    .vgpr_spill_count: 0
    .wavefront_size: 64
  - .agpr_count:     0
    .args:
      - .offset:         0
        .size:           144
        .value_kind:     by_value
    .group_segment_fixed_size: 0
    .kernarg_segment_align: 8
    .kernarg_segment_size: 144
    .language:       OpenCL C
    .language_version:
      - 2
      - 0
    .max_flat_workgroup_size: 256
    .name:           _ZN7rocprim17ROCPRIM_400000_NS6detail17trampoline_kernelINS0_14default_configENS1_27scan_by_key_config_selectorIxxEEZZNS1_16scan_by_key_implILNS1_25lookback_scan_determinismE0ELb0ES3_N6thrust23THRUST_200600_302600_NS6detail15normal_iteratorINS9_10device_ptrIxEEEENS9_18transform_iteratorINS9_6negateIxEESE_NS9_11use_defaultESI_EESE_xNS9_4plusIvEENS9_8equal_toIvEExEE10hipError_tPvRmT2_T3_T4_T5_mT6_T7_P12ihipStream_tbENKUlT_T0_E_clISt17integral_constantIbLb1EES14_EEDaSZ_S10_EUlSZ_E_NS1_11comp_targetILNS1_3genE10ELNS1_11target_archE1201ELNS1_3gpuE5ELNS1_3repE0EEENS1_30default_config_static_selectorELNS0_4arch9wavefront6targetE1EEEvT1_
    .private_segment_fixed_size: 0
    .sgpr_count:     6
    .sgpr_spill_count: 0
    .symbol:         _ZN7rocprim17ROCPRIM_400000_NS6detail17trampoline_kernelINS0_14default_configENS1_27scan_by_key_config_selectorIxxEEZZNS1_16scan_by_key_implILNS1_25lookback_scan_determinismE0ELb0ES3_N6thrust23THRUST_200600_302600_NS6detail15normal_iteratorINS9_10device_ptrIxEEEENS9_18transform_iteratorINS9_6negateIxEESE_NS9_11use_defaultESI_EESE_xNS9_4plusIvEENS9_8equal_toIvEExEE10hipError_tPvRmT2_T3_T4_T5_mT6_T7_P12ihipStream_tbENKUlT_T0_E_clISt17integral_constantIbLb1EES14_EEDaSZ_S10_EUlSZ_E_NS1_11comp_targetILNS1_3genE10ELNS1_11target_archE1201ELNS1_3gpuE5ELNS1_3repE0EEENS1_30default_config_static_selectorELNS0_4arch9wavefront6targetE1EEEvT1_.kd
    .uniform_work_group_size: 1
    .uses_dynamic_stack: false
    .vgpr_count:     0
    .vgpr_spill_count: 0
    .wavefront_size: 64
  - .agpr_count:     0
    .args:
      - .offset:         0
        .size:           144
        .value_kind:     by_value
    .group_segment_fixed_size: 32768
    .kernarg_segment_align: 8
    .kernarg_segment_size: 144
    .language:       OpenCL C
    .language_version:
      - 2
      - 0
    .max_flat_workgroup_size: 256
    .name:           _ZN7rocprim17ROCPRIM_400000_NS6detail17trampoline_kernelINS0_14default_configENS1_27scan_by_key_config_selectorIxxEEZZNS1_16scan_by_key_implILNS1_25lookback_scan_determinismE0ELb0ES3_N6thrust23THRUST_200600_302600_NS6detail15normal_iteratorINS9_10device_ptrIxEEEENS9_18transform_iteratorINS9_6negateIxEESE_NS9_11use_defaultESI_EESE_xNS9_4plusIvEENS9_8equal_toIvEExEE10hipError_tPvRmT2_T3_T4_T5_mT6_T7_P12ihipStream_tbENKUlT_T0_E_clISt17integral_constantIbLb1EES14_EEDaSZ_S10_EUlSZ_E_NS1_11comp_targetILNS1_3genE5ELNS1_11target_archE942ELNS1_3gpuE9ELNS1_3repE0EEENS1_30default_config_static_selectorELNS0_4arch9wavefront6targetE1EEEvT1_
    .private_segment_fixed_size: 0
    .sgpr_count:     76
    .sgpr_spill_count: 0
    .symbol:         _ZN7rocprim17ROCPRIM_400000_NS6detail17trampoline_kernelINS0_14default_configENS1_27scan_by_key_config_selectorIxxEEZZNS1_16scan_by_key_implILNS1_25lookback_scan_determinismE0ELb0ES3_N6thrust23THRUST_200600_302600_NS6detail15normal_iteratorINS9_10device_ptrIxEEEENS9_18transform_iteratorINS9_6negateIxEESE_NS9_11use_defaultESI_EESE_xNS9_4plusIvEENS9_8equal_toIvEExEE10hipError_tPvRmT2_T3_T4_T5_mT6_T7_P12ihipStream_tbENKUlT_T0_E_clISt17integral_constantIbLb1EES14_EEDaSZ_S10_EUlSZ_E_NS1_11comp_targetILNS1_3genE5ELNS1_11target_archE942ELNS1_3gpuE9ELNS1_3repE0EEENS1_30default_config_static_selectorELNS0_4arch9wavefront6targetE1EEEvT1_.kd
    .uniform_work_group_size: 1
    .uses_dynamic_stack: false
    .vgpr_count:     92
    .vgpr_spill_count: 0
    .wavefront_size: 64
  - .agpr_count:     0
    .args:
      - .offset:         0
        .size:           144
        .value_kind:     by_value
    .group_segment_fixed_size: 0
    .kernarg_segment_align: 8
    .kernarg_segment_size: 144
    .language:       OpenCL C
    .language_version:
      - 2
      - 0
    .max_flat_workgroup_size: 64
    .name:           _ZN7rocprim17ROCPRIM_400000_NS6detail17trampoline_kernelINS0_14default_configENS1_27scan_by_key_config_selectorIxxEEZZNS1_16scan_by_key_implILNS1_25lookback_scan_determinismE0ELb0ES3_N6thrust23THRUST_200600_302600_NS6detail15normal_iteratorINS9_10device_ptrIxEEEENS9_18transform_iteratorINS9_6negateIxEESE_NS9_11use_defaultESI_EESE_xNS9_4plusIvEENS9_8equal_toIvEExEE10hipError_tPvRmT2_T3_T4_T5_mT6_T7_P12ihipStream_tbENKUlT_T0_E_clISt17integral_constantIbLb1EES14_EEDaSZ_S10_EUlSZ_E_NS1_11comp_targetILNS1_3genE4ELNS1_11target_archE910ELNS1_3gpuE8ELNS1_3repE0EEENS1_30default_config_static_selectorELNS0_4arch9wavefront6targetE1EEEvT1_
    .private_segment_fixed_size: 0
    .sgpr_count:     6
    .sgpr_spill_count: 0
    .symbol:         _ZN7rocprim17ROCPRIM_400000_NS6detail17trampoline_kernelINS0_14default_configENS1_27scan_by_key_config_selectorIxxEEZZNS1_16scan_by_key_implILNS1_25lookback_scan_determinismE0ELb0ES3_N6thrust23THRUST_200600_302600_NS6detail15normal_iteratorINS9_10device_ptrIxEEEENS9_18transform_iteratorINS9_6negateIxEESE_NS9_11use_defaultESI_EESE_xNS9_4plusIvEENS9_8equal_toIvEExEE10hipError_tPvRmT2_T3_T4_T5_mT6_T7_P12ihipStream_tbENKUlT_T0_E_clISt17integral_constantIbLb1EES14_EEDaSZ_S10_EUlSZ_E_NS1_11comp_targetILNS1_3genE4ELNS1_11target_archE910ELNS1_3gpuE8ELNS1_3repE0EEENS1_30default_config_static_selectorELNS0_4arch9wavefront6targetE1EEEvT1_.kd
    .uniform_work_group_size: 1
    .uses_dynamic_stack: false
    .vgpr_count:     0
    .vgpr_spill_count: 0
    .wavefront_size: 64
  - .agpr_count:     0
    .args:
      - .offset:         0
        .size:           144
        .value_kind:     by_value
    .group_segment_fixed_size: 0
    .kernarg_segment_align: 8
    .kernarg_segment_size: 144
    .language:       OpenCL C
    .language_version:
      - 2
      - 0
    .max_flat_workgroup_size: 256
    .name:           _ZN7rocprim17ROCPRIM_400000_NS6detail17trampoline_kernelINS0_14default_configENS1_27scan_by_key_config_selectorIxxEEZZNS1_16scan_by_key_implILNS1_25lookback_scan_determinismE0ELb0ES3_N6thrust23THRUST_200600_302600_NS6detail15normal_iteratorINS9_10device_ptrIxEEEENS9_18transform_iteratorINS9_6negateIxEESE_NS9_11use_defaultESI_EESE_xNS9_4plusIvEENS9_8equal_toIvEExEE10hipError_tPvRmT2_T3_T4_T5_mT6_T7_P12ihipStream_tbENKUlT_T0_E_clISt17integral_constantIbLb1EES14_EEDaSZ_S10_EUlSZ_E_NS1_11comp_targetILNS1_3genE3ELNS1_11target_archE908ELNS1_3gpuE7ELNS1_3repE0EEENS1_30default_config_static_selectorELNS0_4arch9wavefront6targetE1EEEvT1_
    .private_segment_fixed_size: 0
    .sgpr_count:     6
    .sgpr_spill_count: 0
    .symbol:         _ZN7rocprim17ROCPRIM_400000_NS6detail17trampoline_kernelINS0_14default_configENS1_27scan_by_key_config_selectorIxxEEZZNS1_16scan_by_key_implILNS1_25lookback_scan_determinismE0ELb0ES3_N6thrust23THRUST_200600_302600_NS6detail15normal_iteratorINS9_10device_ptrIxEEEENS9_18transform_iteratorINS9_6negateIxEESE_NS9_11use_defaultESI_EESE_xNS9_4plusIvEENS9_8equal_toIvEExEE10hipError_tPvRmT2_T3_T4_T5_mT6_T7_P12ihipStream_tbENKUlT_T0_E_clISt17integral_constantIbLb1EES14_EEDaSZ_S10_EUlSZ_E_NS1_11comp_targetILNS1_3genE3ELNS1_11target_archE908ELNS1_3gpuE7ELNS1_3repE0EEENS1_30default_config_static_selectorELNS0_4arch9wavefront6targetE1EEEvT1_.kd
    .uniform_work_group_size: 1
    .uses_dynamic_stack: false
    .vgpr_count:     0
    .vgpr_spill_count: 0
    .wavefront_size: 64
  - .agpr_count:     0
    .args:
      - .offset:         0
        .size:           144
        .value_kind:     by_value
    .group_segment_fixed_size: 0
    .kernarg_segment_align: 8
    .kernarg_segment_size: 144
    .language:       OpenCL C
    .language_version:
      - 2
      - 0
    .max_flat_workgroup_size: 256
    .name:           _ZN7rocprim17ROCPRIM_400000_NS6detail17trampoline_kernelINS0_14default_configENS1_27scan_by_key_config_selectorIxxEEZZNS1_16scan_by_key_implILNS1_25lookback_scan_determinismE0ELb0ES3_N6thrust23THRUST_200600_302600_NS6detail15normal_iteratorINS9_10device_ptrIxEEEENS9_18transform_iteratorINS9_6negateIxEESE_NS9_11use_defaultESI_EESE_xNS9_4plusIvEENS9_8equal_toIvEExEE10hipError_tPvRmT2_T3_T4_T5_mT6_T7_P12ihipStream_tbENKUlT_T0_E_clISt17integral_constantIbLb1EES14_EEDaSZ_S10_EUlSZ_E_NS1_11comp_targetILNS1_3genE2ELNS1_11target_archE906ELNS1_3gpuE6ELNS1_3repE0EEENS1_30default_config_static_selectorELNS0_4arch9wavefront6targetE1EEEvT1_
    .private_segment_fixed_size: 0
    .sgpr_count:     6
    .sgpr_spill_count: 0
    .symbol:         _ZN7rocprim17ROCPRIM_400000_NS6detail17trampoline_kernelINS0_14default_configENS1_27scan_by_key_config_selectorIxxEEZZNS1_16scan_by_key_implILNS1_25lookback_scan_determinismE0ELb0ES3_N6thrust23THRUST_200600_302600_NS6detail15normal_iteratorINS9_10device_ptrIxEEEENS9_18transform_iteratorINS9_6negateIxEESE_NS9_11use_defaultESI_EESE_xNS9_4plusIvEENS9_8equal_toIvEExEE10hipError_tPvRmT2_T3_T4_T5_mT6_T7_P12ihipStream_tbENKUlT_T0_E_clISt17integral_constantIbLb1EES14_EEDaSZ_S10_EUlSZ_E_NS1_11comp_targetILNS1_3genE2ELNS1_11target_archE906ELNS1_3gpuE6ELNS1_3repE0EEENS1_30default_config_static_selectorELNS0_4arch9wavefront6targetE1EEEvT1_.kd
    .uniform_work_group_size: 1
    .uses_dynamic_stack: false
    .vgpr_count:     0
    .vgpr_spill_count: 0
    .wavefront_size: 64
  - .agpr_count:     0
    .args:
      - .offset:         0
        .size:           144
        .value_kind:     by_value
    .group_segment_fixed_size: 0
    .kernarg_segment_align: 8
    .kernarg_segment_size: 144
    .language:       OpenCL C
    .language_version:
      - 2
      - 0
    .max_flat_workgroup_size: 256
    .name:           _ZN7rocprim17ROCPRIM_400000_NS6detail17trampoline_kernelINS0_14default_configENS1_27scan_by_key_config_selectorIxxEEZZNS1_16scan_by_key_implILNS1_25lookback_scan_determinismE0ELb0ES3_N6thrust23THRUST_200600_302600_NS6detail15normal_iteratorINS9_10device_ptrIxEEEENS9_18transform_iteratorINS9_6negateIxEESE_NS9_11use_defaultESI_EESE_xNS9_4plusIvEENS9_8equal_toIvEExEE10hipError_tPvRmT2_T3_T4_T5_mT6_T7_P12ihipStream_tbENKUlT_T0_E_clISt17integral_constantIbLb1EES14_EEDaSZ_S10_EUlSZ_E_NS1_11comp_targetILNS1_3genE10ELNS1_11target_archE1200ELNS1_3gpuE4ELNS1_3repE0EEENS1_30default_config_static_selectorELNS0_4arch9wavefront6targetE1EEEvT1_
    .private_segment_fixed_size: 0
    .sgpr_count:     6
    .sgpr_spill_count: 0
    .symbol:         _ZN7rocprim17ROCPRIM_400000_NS6detail17trampoline_kernelINS0_14default_configENS1_27scan_by_key_config_selectorIxxEEZZNS1_16scan_by_key_implILNS1_25lookback_scan_determinismE0ELb0ES3_N6thrust23THRUST_200600_302600_NS6detail15normal_iteratorINS9_10device_ptrIxEEEENS9_18transform_iteratorINS9_6negateIxEESE_NS9_11use_defaultESI_EESE_xNS9_4plusIvEENS9_8equal_toIvEExEE10hipError_tPvRmT2_T3_T4_T5_mT6_T7_P12ihipStream_tbENKUlT_T0_E_clISt17integral_constantIbLb1EES14_EEDaSZ_S10_EUlSZ_E_NS1_11comp_targetILNS1_3genE10ELNS1_11target_archE1200ELNS1_3gpuE4ELNS1_3repE0EEENS1_30default_config_static_selectorELNS0_4arch9wavefront6targetE1EEEvT1_.kd
    .uniform_work_group_size: 1
    .uses_dynamic_stack: false
    .vgpr_count:     0
    .vgpr_spill_count: 0
    .wavefront_size: 64
  - .agpr_count:     0
    .args:
      - .offset:         0
        .size:           144
        .value_kind:     by_value
    .group_segment_fixed_size: 0
    .kernarg_segment_align: 8
    .kernarg_segment_size: 144
    .language:       OpenCL C
    .language_version:
      - 2
      - 0
    .max_flat_workgroup_size: 256
    .name:           _ZN7rocprim17ROCPRIM_400000_NS6detail17trampoline_kernelINS0_14default_configENS1_27scan_by_key_config_selectorIxxEEZZNS1_16scan_by_key_implILNS1_25lookback_scan_determinismE0ELb0ES3_N6thrust23THRUST_200600_302600_NS6detail15normal_iteratorINS9_10device_ptrIxEEEENS9_18transform_iteratorINS9_6negateIxEESE_NS9_11use_defaultESI_EESE_xNS9_4plusIvEENS9_8equal_toIvEExEE10hipError_tPvRmT2_T3_T4_T5_mT6_T7_P12ihipStream_tbENKUlT_T0_E_clISt17integral_constantIbLb1EES14_EEDaSZ_S10_EUlSZ_E_NS1_11comp_targetILNS1_3genE9ELNS1_11target_archE1100ELNS1_3gpuE3ELNS1_3repE0EEENS1_30default_config_static_selectorELNS0_4arch9wavefront6targetE1EEEvT1_
    .private_segment_fixed_size: 0
    .sgpr_count:     6
    .sgpr_spill_count: 0
    .symbol:         _ZN7rocprim17ROCPRIM_400000_NS6detail17trampoline_kernelINS0_14default_configENS1_27scan_by_key_config_selectorIxxEEZZNS1_16scan_by_key_implILNS1_25lookback_scan_determinismE0ELb0ES3_N6thrust23THRUST_200600_302600_NS6detail15normal_iteratorINS9_10device_ptrIxEEEENS9_18transform_iteratorINS9_6negateIxEESE_NS9_11use_defaultESI_EESE_xNS9_4plusIvEENS9_8equal_toIvEExEE10hipError_tPvRmT2_T3_T4_T5_mT6_T7_P12ihipStream_tbENKUlT_T0_E_clISt17integral_constantIbLb1EES14_EEDaSZ_S10_EUlSZ_E_NS1_11comp_targetILNS1_3genE9ELNS1_11target_archE1100ELNS1_3gpuE3ELNS1_3repE0EEENS1_30default_config_static_selectorELNS0_4arch9wavefront6targetE1EEEvT1_.kd
    .uniform_work_group_size: 1
    .uses_dynamic_stack: false
    .vgpr_count:     0
    .vgpr_spill_count: 0
    .wavefront_size: 64
  - .agpr_count:     0
    .args:
      - .offset:         0
        .size:           144
        .value_kind:     by_value
    .group_segment_fixed_size: 0
    .kernarg_segment_align: 8
    .kernarg_segment_size: 144
    .language:       OpenCL C
    .language_version:
      - 2
      - 0
    .max_flat_workgroup_size: 256
    .name:           _ZN7rocprim17ROCPRIM_400000_NS6detail17trampoline_kernelINS0_14default_configENS1_27scan_by_key_config_selectorIxxEEZZNS1_16scan_by_key_implILNS1_25lookback_scan_determinismE0ELb0ES3_N6thrust23THRUST_200600_302600_NS6detail15normal_iteratorINS9_10device_ptrIxEEEENS9_18transform_iteratorINS9_6negateIxEESE_NS9_11use_defaultESI_EESE_xNS9_4plusIvEENS9_8equal_toIvEExEE10hipError_tPvRmT2_T3_T4_T5_mT6_T7_P12ihipStream_tbENKUlT_T0_E_clISt17integral_constantIbLb1EES14_EEDaSZ_S10_EUlSZ_E_NS1_11comp_targetILNS1_3genE8ELNS1_11target_archE1030ELNS1_3gpuE2ELNS1_3repE0EEENS1_30default_config_static_selectorELNS0_4arch9wavefront6targetE1EEEvT1_
    .private_segment_fixed_size: 0
    .sgpr_count:     6
    .sgpr_spill_count: 0
    .symbol:         _ZN7rocprim17ROCPRIM_400000_NS6detail17trampoline_kernelINS0_14default_configENS1_27scan_by_key_config_selectorIxxEEZZNS1_16scan_by_key_implILNS1_25lookback_scan_determinismE0ELb0ES3_N6thrust23THRUST_200600_302600_NS6detail15normal_iteratorINS9_10device_ptrIxEEEENS9_18transform_iteratorINS9_6negateIxEESE_NS9_11use_defaultESI_EESE_xNS9_4plusIvEENS9_8equal_toIvEExEE10hipError_tPvRmT2_T3_T4_T5_mT6_T7_P12ihipStream_tbENKUlT_T0_E_clISt17integral_constantIbLb1EES14_EEDaSZ_S10_EUlSZ_E_NS1_11comp_targetILNS1_3genE8ELNS1_11target_archE1030ELNS1_3gpuE2ELNS1_3repE0EEENS1_30default_config_static_selectorELNS0_4arch9wavefront6targetE1EEEvT1_.kd
    .uniform_work_group_size: 1
    .uses_dynamic_stack: false
    .vgpr_count:     0
    .vgpr_spill_count: 0
    .wavefront_size: 64
  - .agpr_count:     0
    .args:
      - .offset:         0
        .size:           144
        .value_kind:     by_value
    .group_segment_fixed_size: 0
    .kernarg_segment_align: 8
    .kernarg_segment_size: 144
    .language:       OpenCL C
    .language_version:
      - 2
      - 0
    .max_flat_workgroup_size: 256
    .name:           _ZN7rocprim17ROCPRIM_400000_NS6detail17trampoline_kernelINS0_14default_configENS1_27scan_by_key_config_selectorIxxEEZZNS1_16scan_by_key_implILNS1_25lookback_scan_determinismE0ELb0ES3_N6thrust23THRUST_200600_302600_NS6detail15normal_iteratorINS9_10device_ptrIxEEEENS9_18transform_iteratorINS9_6negateIxEESE_NS9_11use_defaultESI_EESE_xNS9_4plusIvEENS9_8equal_toIvEExEE10hipError_tPvRmT2_T3_T4_T5_mT6_T7_P12ihipStream_tbENKUlT_T0_E_clISt17integral_constantIbLb1EES13_IbLb0EEEEDaSZ_S10_EUlSZ_E_NS1_11comp_targetILNS1_3genE0ELNS1_11target_archE4294967295ELNS1_3gpuE0ELNS1_3repE0EEENS1_30default_config_static_selectorELNS0_4arch9wavefront6targetE1EEEvT1_
    .private_segment_fixed_size: 0
    .sgpr_count:     6
    .sgpr_spill_count: 0
    .symbol:         _ZN7rocprim17ROCPRIM_400000_NS6detail17trampoline_kernelINS0_14default_configENS1_27scan_by_key_config_selectorIxxEEZZNS1_16scan_by_key_implILNS1_25lookback_scan_determinismE0ELb0ES3_N6thrust23THRUST_200600_302600_NS6detail15normal_iteratorINS9_10device_ptrIxEEEENS9_18transform_iteratorINS9_6negateIxEESE_NS9_11use_defaultESI_EESE_xNS9_4plusIvEENS9_8equal_toIvEExEE10hipError_tPvRmT2_T3_T4_T5_mT6_T7_P12ihipStream_tbENKUlT_T0_E_clISt17integral_constantIbLb1EES13_IbLb0EEEEDaSZ_S10_EUlSZ_E_NS1_11comp_targetILNS1_3genE0ELNS1_11target_archE4294967295ELNS1_3gpuE0ELNS1_3repE0EEENS1_30default_config_static_selectorELNS0_4arch9wavefront6targetE1EEEvT1_.kd
    .uniform_work_group_size: 1
    .uses_dynamic_stack: false
    .vgpr_count:     0
    .vgpr_spill_count: 0
    .wavefront_size: 64
  - .agpr_count:     0
    .args:
      - .offset:         0
        .size:           144
        .value_kind:     by_value
    .group_segment_fixed_size: 0
    .kernarg_segment_align: 8
    .kernarg_segment_size: 144
    .language:       OpenCL C
    .language_version:
      - 2
      - 0
    .max_flat_workgroup_size: 256
    .name:           _ZN7rocprim17ROCPRIM_400000_NS6detail17trampoline_kernelINS0_14default_configENS1_27scan_by_key_config_selectorIxxEEZZNS1_16scan_by_key_implILNS1_25lookback_scan_determinismE0ELb0ES3_N6thrust23THRUST_200600_302600_NS6detail15normal_iteratorINS9_10device_ptrIxEEEENS9_18transform_iteratorINS9_6negateIxEESE_NS9_11use_defaultESI_EESE_xNS9_4plusIvEENS9_8equal_toIvEExEE10hipError_tPvRmT2_T3_T4_T5_mT6_T7_P12ihipStream_tbENKUlT_T0_E_clISt17integral_constantIbLb1EES13_IbLb0EEEEDaSZ_S10_EUlSZ_E_NS1_11comp_targetILNS1_3genE10ELNS1_11target_archE1201ELNS1_3gpuE5ELNS1_3repE0EEENS1_30default_config_static_selectorELNS0_4arch9wavefront6targetE1EEEvT1_
    .private_segment_fixed_size: 0
    .sgpr_count:     6
    .sgpr_spill_count: 0
    .symbol:         _ZN7rocprim17ROCPRIM_400000_NS6detail17trampoline_kernelINS0_14default_configENS1_27scan_by_key_config_selectorIxxEEZZNS1_16scan_by_key_implILNS1_25lookback_scan_determinismE0ELb0ES3_N6thrust23THRUST_200600_302600_NS6detail15normal_iteratorINS9_10device_ptrIxEEEENS9_18transform_iteratorINS9_6negateIxEESE_NS9_11use_defaultESI_EESE_xNS9_4plusIvEENS9_8equal_toIvEExEE10hipError_tPvRmT2_T3_T4_T5_mT6_T7_P12ihipStream_tbENKUlT_T0_E_clISt17integral_constantIbLb1EES13_IbLb0EEEEDaSZ_S10_EUlSZ_E_NS1_11comp_targetILNS1_3genE10ELNS1_11target_archE1201ELNS1_3gpuE5ELNS1_3repE0EEENS1_30default_config_static_selectorELNS0_4arch9wavefront6targetE1EEEvT1_.kd
    .uniform_work_group_size: 1
    .uses_dynamic_stack: false
    .vgpr_count:     0
    .vgpr_spill_count: 0
    .wavefront_size: 64
  - .agpr_count:     0
    .args:
      - .offset:         0
        .size:           144
        .value_kind:     by_value
    .group_segment_fixed_size: 32768
    .kernarg_segment_align: 8
    .kernarg_segment_size: 144
    .language:       OpenCL C
    .language_version:
      - 2
      - 0
    .max_flat_workgroup_size: 256
    .name:           _ZN7rocprim17ROCPRIM_400000_NS6detail17trampoline_kernelINS0_14default_configENS1_27scan_by_key_config_selectorIxxEEZZNS1_16scan_by_key_implILNS1_25lookback_scan_determinismE0ELb0ES3_N6thrust23THRUST_200600_302600_NS6detail15normal_iteratorINS9_10device_ptrIxEEEENS9_18transform_iteratorINS9_6negateIxEESE_NS9_11use_defaultESI_EESE_xNS9_4plusIvEENS9_8equal_toIvEExEE10hipError_tPvRmT2_T3_T4_T5_mT6_T7_P12ihipStream_tbENKUlT_T0_E_clISt17integral_constantIbLb1EES13_IbLb0EEEEDaSZ_S10_EUlSZ_E_NS1_11comp_targetILNS1_3genE5ELNS1_11target_archE942ELNS1_3gpuE9ELNS1_3repE0EEENS1_30default_config_static_selectorELNS0_4arch9wavefront6targetE1EEEvT1_
    .private_segment_fixed_size: 0
    .sgpr_count:     72
    .sgpr_spill_count: 0
    .symbol:         _ZN7rocprim17ROCPRIM_400000_NS6detail17trampoline_kernelINS0_14default_configENS1_27scan_by_key_config_selectorIxxEEZZNS1_16scan_by_key_implILNS1_25lookback_scan_determinismE0ELb0ES3_N6thrust23THRUST_200600_302600_NS6detail15normal_iteratorINS9_10device_ptrIxEEEENS9_18transform_iteratorINS9_6negateIxEESE_NS9_11use_defaultESI_EESE_xNS9_4plusIvEENS9_8equal_toIvEExEE10hipError_tPvRmT2_T3_T4_T5_mT6_T7_P12ihipStream_tbENKUlT_T0_E_clISt17integral_constantIbLb1EES13_IbLb0EEEEDaSZ_S10_EUlSZ_E_NS1_11comp_targetILNS1_3genE5ELNS1_11target_archE942ELNS1_3gpuE9ELNS1_3repE0EEENS1_30default_config_static_selectorELNS0_4arch9wavefront6targetE1EEEvT1_.kd
    .uniform_work_group_size: 1
    .uses_dynamic_stack: false
    .vgpr_count:     92
    .vgpr_spill_count: 0
    .wavefront_size: 64
  - .agpr_count:     0
    .args:
      - .offset:         0
        .size:           144
        .value_kind:     by_value
    .group_segment_fixed_size: 0
    .kernarg_segment_align: 8
    .kernarg_segment_size: 144
    .language:       OpenCL C
    .language_version:
      - 2
      - 0
    .max_flat_workgroup_size: 64
    .name:           _ZN7rocprim17ROCPRIM_400000_NS6detail17trampoline_kernelINS0_14default_configENS1_27scan_by_key_config_selectorIxxEEZZNS1_16scan_by_key_implILNS1_25lookback_scan_determinismE0ELb0ES3_N6thrust23THRUST_200600_302600_NS6detail15normal_iteratorINS9_10device_ptrIxEEEENS9_18transform_iteratorINS9_6negateIxEESE_NS9_11use_defaultESI_EESE_xNS9_4plusIvEENS9_8equal_toIvEExEE10hipError_tPvRmT2_T3_T4_T5_mT6_T7_P12ihipStream_tbENKUlT_T0_E_clISt17integral_constantIbLb1EES13_IbLb0EEEEDaSZ_S10_EUlSZ_E_NS1_11comp_targetILNS1_3genE4ELNS1_11target_archE910ELNS1_3gpuE8ELNS1_3repE0EEENS1_30default_config_static_selectorELNS0_4arch9wavefront6targetE1EEEvT1_
    .private_segment_fixed_size: 0
    .sgpr_count:     6
    .sgpr_spill_count: 0
    .symbol:         _ZN7rocprim17ROCPRIM_400000_NS6detail17trampoline_kernelINS0_14default_configENS1_27scan_by_key_config_selectorIxxEEZZNS1_16scan_by_key_implILNS1_25lookback_scan_determinismE0ELb0ES3_N6thrust23THRUST_200600_302600_NS6detail15normal_iteratorINS9_10device_ptrIxEEEENS9_18transform_iteratorINS9_6negateIxEESE_NS9_11use_defaultESI_EESE_xNS9_4plusIvEENS9_8equal_toIvEExEE10hipError_tPvRmT2_T3_T4_T5_mT6_T7_P12ihipStream_tbENKUlT_T0_E_clISt17integral_constantIbLb1EES13_IbLb0EEEEDaSZ_S10_EUlSZ_E_NS1_11comp_targetILNS1_3genE4ELNS1_11target_archE910ELNS1_3gpuE8ELNS1_3repE0EEENS1_30default_config_static_selectorELNS0_4arch9wavefront6targetE1EEEvT1_.kd
    .uniform_work_group_size: 1
    .uses_dynamic_stack: false
    .vgpr_count:     0
    .vgpr_spill_count: 0
    .wavefront_size: 64
  - .agpr_count:     0
    .args:
      - .offset:         0
        .size:           144
        .value_kind:     by_value
    .group_segment_fixed_size: 0
    .kernarg_segment_align: 8
    .kernarg_segment_size: 144
    .language:       OpenCL C
    .language_version:
      - 2
      - 0
    .max_flat_workgroup_size: 256
    .name:           _ZN7rocprim17ROCPRIM_400000_NS6detail17trampoline_kernelINS0_14default_configENS1_27scan_by_key_config_selectorIxxEEZZNS1_16scan_by_key_implILNS1_25lookback_scan_determinismE0ELb0ES3_N6thrust23THRUST_200600_302600_NS6detail15normal_iteratorINS9_10device_ptrIxEEEENS9_18transform_iteratorINS9_6negateIxEESE_NS9_11use_defaultESI_EESE_xNS9_4plusIvEENS9_8equal_toIvEExEE10hipError_tPvRmT2_T3_T4_T5_mT6_T7_P12ihipStream_tbENKUlT_T0_E_clISt17integral_constantIbLb1EES13_IbLb0EEEEDaSZ_S10_EUlSZ_E_NS1_11comp_targetILNS1_3genE3ELNS1_11target_archE908ELNS1_3gpuE7ELNS1_3repE0EEENS1_30default_config_static_selectorELNS0_4arch9wavefront6targetE1EEEvT1_
    .private_segment_fixed_size: 0
    .sgpr_count:     6
    .sgpr_spill_count: 0
    .symbol:         _ZN7rocprim17ROCPRIM_400000_NS6detail17trampoline_kernelINS0_14default_configENS1_27scan_by_key_config_selectorIxxEEZZNS1_16scan_by_key_implILNS1_25lookback_scan_determinismE0ELb0ES3_N6thrust23THRUST_200600_302600_NS6detail15normal_iteratorINS9_10device_ptrIxEEEENS9_18transform_iteratorINS9_6negateIxEESE_NS9_11use_defaultESI_EESE_xNS9_4plusIvEENS9_8equal_toIvEExEE10hipError_tPvRmT2_T3_T4_T5_mT6_T7_P12ihipStream_tbENKUlT_T0_E_clISt17integral_constantIbLb1EES13_IbLb0EEEEDaSZ_S10_EUlSZ_E_NS1_11comp_targetILNS1_3genE3ELNS1_11target_archE908ELNS1_3gpuE7ELNS1_3repE0EEENS1_30default_config_static_selectorELNS0_4arch9wavefront6targetE1EEEvT1_.kd
    .uniform_work_group_size: 1
    .uses_dynamic_stack: false
    .vgpr_count:     0
    .vgpr_spill_count: 0
    .wavefront_size: 64
  - .agpr_count:     0
    .args:
      - .offset:         0
        .size:           144
        .value_kind:     by_value
    .group_segment_fixed_size: 0
    .kernarg_segment_align: 8
    .kernarg_segment_size: 144
    .language:       OpenCL C
    .language_version:
      - 2
      - 0
    .max_flat_workgroup_size: 256
    .name:           _ZN7rocprim17ROCPRIM_400000_NS6detail17trampoline_kernelINS0_14default_configENS1_27scan_by_key_config_selectorIxxEEZZNS1_16scan_by_key_implILNS1_25lookback_scan_determinismE0ELb0ES3_N6thrust23THRUST_200600_302600_NS6detail15normal_iteratorINS9_10device_ptrIxEEEENS9_18transform_iteratorINS9_6negateIxEESE_NS9_11use_defaultESI_EESE_xNS9_4plusIvEENS9_8equal_toIvEExEE10hipError_tPvRmT2_T3_T4_T5_mT6_T7_P12ihipStream_tbENKUlT_T0_E_clISt17integral_constantIbLb1EES13_IbLb0EEEEDaSZ_S10_EUlSZ_E_NS1_11comp_targetILNS1_3genE2ELNS1_11target_archE906ELNS1_3gpuE6ELNS1_3repE0EEENS1_30default_config_static_selectorELNS0_4arch9wavefront6targetE1EEEvT1_
    .private_segment_fixed_size: 0
    .sgpr_count:     6
    .sgpr_spill_count: 0
    .symbol:         _ZN7rocprim17ROCPRIM_400000_NS6detail17trampoline_kernelINS0_14default_configENS1_27scan_by_key_config_selectorIxxEEZZNS1_16scan_by_key_implILNS1_25lookback_scan_determinismE0ELb0ES3_N6thrust23THRUST_200600_302600_NS6detail15normal_iteratorINS9_10device_ptrIxEEEENS9_18transform_iteratorINS9_6negateIxEESE_NS9_11use_defaultESI_EESE_xNS9_4plusIvEENS9_8equal_toIvEExEE10hipError_tPvRmT2_T3_T4_T5_mT6_T7_P12ihipStream_tbENKUlT_T0_E_clISt17integral_constantIbLb1EES13_IbLb0EEEEDaSZ_S10_EUlSZ_E_NS1_11comp_targetILNS1_3genE2ELNS1_11target_archE906ELNS1_3gpuE6ELNS1_3repE0EEENS1_30default_config_static_selectorELNS0_4arch9wavefront6targetE1EEEvT1_.kd
    .uniform_work_group_size: 1
    .uses_dynamic_stack: false
    .vgpr_count:     0
    .vgpr_spill_count: 0
    .wavefront_size: 64
  - .agpr_count:     0
    .args:
      - .offset:         0
        .size:           144
        .value_kind:     by_value
    .group_segment_fixed_size: 0
    .kernarg_segment_align: 8
    .kernarg_segment_size: 144
    .language:       OpenCL C
    .language_version:
      - 2
      - 0
    .max_flat_workgroup_size: 256
    .name:           _ZN7rocprim17ROCPRIM_400000_NS6detail17trampoline_kernelINS0_14default_configENS1_27scan_by_key_config_selectorIxxEEZZNS1_16scan_by_key_implILNS1_25lookback_scan_determinismE0ELb0ES3_N6thrust23THRUST_200600_302600_NS6detail15normal_iteratorINS9_10device_ptrIxEEEENS9_18transform_iteratorINS9_6negateIxEESE_NS9_11use_defaultESI_EESE_xNS9_4plusIvEENS9_8equal_toIvEExEE10hipError_tPvRmT2_T3_T4_T5_mT6_T7_P12ihipStream_tbENKUlT_T0_E_clISt17integral_constantIbLb1EES13_IbLb0EEEEDaSZ_S10_EUlSZ_E_NS1_11comp_targetILNS1_3genE10ELNS1_11target_archE1200ELNS1_3gpuE4ELNS1_3repE0EEENS1_30default_config_static_selectorELNS0_4arch9wavefront6targetE1EEEvT1_
    .private_segment_fixed_size: 0
    .sgpr_count:     6
    .sgpr_spill_count: 0
    .symbol:         _ZN7rocprim17ROCPRIM_400000_NS6detail17trampoline_kernelINS0_14default_configENS1_27scan_by_key_config_selectorIxxEEZZNS1_16scan_by_key_implILNS1_25lookback_scan_determinismE0ELb0ES3_N6thrust23THRUST_200600_302600_NS6detail15normal_iteratorINS9_10device_ptrIxEEEENS9_18transform_iteratorINS9_6negateIxEESE_NS9_11use_defaultESI_EESE_xNS9_4plusIvEENS9_8equal_toIvEExEE10hipError_tPvRmT2_T3_T4_T5_mT6_T7_P12ihipStream_tbENKUlT_T0_E_clISt17integral_constantIbLb1EES13_IbLb0EEEEDaSZ_S10_EUlSZ_E_NS1_11comp_targetILNS1_3genE10ELNS1_11target_archE1200ELNS1_3gpuE4ELNS1_3repE0EEENS1_30default_config_static_selectorELNS0_4arch9wavefront6targetE1EEEvT1_.kd
    .uniform_work_group_size: 1
    .uses_dynamic_stack: false
    .vgpr_count:     0
    .vgpr_spill_count: 0
    .wavefront_size: 64
  - .agpr_count:     0
    .args:
      - .offset:         0
        .size:           144
        .value_kind:     by_value
    .group_segment_fixed_size: 0
    .kernarg_segment_align: 8
    .kernarg_segment_size: 144
    .language:       OpenCL C
    .language_version:
      - 2
      - 0
    .max_flat_workgroup_size: 256
    .name:           _ZN7rocprim17ROCPRIM_400000_NS6detail17trampoline_kernelINS0_14default_configENS1_27scan_by_key_config_selectorIxxEEZZNS1_16scan_by_key_implILNS1_25lookback_scan_determinismE0ELb0ES3_N6thrust23THRUST_200600_302600_NS6detail15normal_iteratorINS9_10device_ptrIxEEEENS9_18transform_iteratorINS9_6negateIxEESE_NS9_11use_defaultESI_EESE_xNS9_4plusIvEENS9_8equal_toIvEExEE10hipError_tPvRmT2_T3_T4_T5_mT6_T7_P12ihipStream_tbENKUlT_T0_E_clISt17integral_constantIbLb1EES13_IbLb0EEEEDaSZ_S10_EUlSZ_E_NS1_11comp_targetILNS1_3genE9ELNS1_11target_archE1100ELNS1_3gpuE3ELNS1_3repE0EEENS1_30default_config_static_selectorELNS0_4arch9wavefront6targetE1EEEvT1_
    .private_segment_fixed_size: 0
    .sgpr_count:     6
    .sgpr_spill_count: 0
    .symbol:         _ZN7rocprim17ROCPRIM_400000_NS6detail17trampoline_kernelINS0_14default_configENS1_27scan_by_key_config_selectorIxxEEZZNS1_16scan_by_key_implILNS1_25lookback_scan_determinismE0ELb0ES3_N6thrust23THRUST_200600_302600_NS6detail15normal_iteratorINS9_10device_ptrIxEEEENS9_18transform_iteratorINS9_6negateIxEESE_NS9_11use_defaultESI_EESE_xNS9_4plusIvEENS9_8equal_toIvEExEE10hipError_tPvRmT2_T3_T4_T5_mT6_T7_P12ihipStream_tbENKUlT_T0_E_clISt17integral_constantIbLb1EES13_IbLb0EEEEDaSZ_S10_EUlSZ_E_NS1_11comp_targetILNS1_3genE9ELNS1_11target_archE1100ELNS1_3gpuE3ELNS1_3repE0EEENS1_30default_config_static_selectorELNS0_4arch9wavefront6targetE1EEEvT1_.kd
    .uniform_work_group_size: 1
    .uses_dynamic_stack: false
    .vgpr_count:     0
    .vgpr_spill_count: 0
    .wavefront_size: 64
  - .agpr_count:     0
    .args:
      - .offset:         0
        .size:           144
        .value_kind:     by_value
    .group_segment_fixed_size: 0
    .kernarg_segment_align: 8
    .kernarg_segment_size: 144
    .language:       OpenCL C
    .language_version:
      - 2
      - 0
    .max_flat_workgroup_size: 256
    .name:           _ZN7rocprim17ROCPRIM_400000_NS6detail17trampoline_kernelINS0_14default_configENS1_27scan_by_key_config_selectorIxxEEZZNS1_16scan_by_key_implILNS1_25lookback_scan_determinismE0ELb0ES3_N6thrust23THRUST_200600_302600_NS6detail15normal_iteratorINS9_10device_ptrIxEEEENS9_18transform_iteratorINS9_6negateIxEESE_NS9_11use_defaultESI_EESE_xNS9_4plusIvEENS9_8equal_toIvEExEE10hipError_tPvRmT2_T3_T4_T5_mT6_T7_P12ihipStream_tbENKUlT_T0_E_clISt17integral_constantIbLb1EES13_IbLb0EEEEDaSZ_S10_EUlSZ_E_NS1_11comp_targetILNS1_3genE8ELNS1_11target_archE1030ELNS1_3gpuE2ELNS1_3repE0EEENS1_30default_config_static_selectorELNS0_4arch9wavefront6targetE1EEEvT1_
    .private_segment_fixed_size: 0
    .sgpr_count:     6
    .sgpr_spill_count: 0
    .symbol:         _ZN7rocprim17ROCPRIM_400000_NS6detail17trampoline_kernelINS0_14default_configENS1_27scan_by_key_config_selectorIxxEEZZNS1_16scan_by_key_implILNS1_25lookback_scan_determinismE0ELb0ES3_N6thrust23THRUST_200600_302600_NS6detail15normal_iteratorINS9_10device_ptrIxEEEENS9_18transform_iteratorINS9_6negateIxEESE_NS9_11use_defaultESI_EESE_xNS9_4plusIvEENS9_8equal_toIvEExEE10hipError_tPvRmT2_T3_T4_T5_mT6_T7_P12ihipStream_tbENKUlT_T0_E_clISt17integral_constantIbLb1EES13_IbLb0EEEEDaSZ_S10_EUlSZ_E_NS1_11comp_targetILNS1_3genE8ELNS1_11target_archE1030ELNS1_3gpuE2ELNS1_3repE0EEENS1_30default_config_static_selectorELNS0_4arch9wavefront6targetE1EEEvT1_.kd
    .uniform_work_group_size: 1
    .uses_dynamic_stack: false
    .vgpr_count:     0
    .vgpr_spill_count: 0
    .wavefront_size: 64
  - .agpr_count:     0
    .args:
      - .offset:         0
        .size:           144
        .value_kind:     by_value
    .group_segment_fixed_size: 0
    .kernarg_segment_align: 8
    .kernarg_segment_size: 144
    .language:       OpenCL C
    .language_version:
      - 2
      - 0
    .max_flat_workgroup_size: 256
    .name:           _ZN7rocprim17ROCPRIM_400000_NS6detail17trampoline_kernelINS0_14default_configENS1_27scan_by_key_config_selectorIxxEEZZNS1_16scan_by_key_implILNS1_25lookback_scan_determinismE0ELb0ES3_N6thrust23THRUST_200600_302600_NS6detail15normal_iteratorINS9_10device_ptrIxEEEENS9_18transform_iteratorINS9_6negateIxEESE_NS9_11use_defaultESI_EESE_xNS9_4plusIvEENS9_8equal_toIvEExEE10hipError_tPvRmT2_T3_T4_T5_mT6_T7_P12ihipStream_tbENKUlT_T0_E_clISt17integral_constantIbLb0EES13_IbLb1EEEEDaSZ_S10_EUlSZ_E_NS1_11comp_targetILNS1_3genE0ELNS1_11target_archE4294967295ELNS1_3gpuE0ELNS1_3repE0EEENS1_30default_config_static_selectorELNS0_4arch9wavefront6targetE1EEEvT1_
    .private_segment_fixed_size: 0
    .sgpr_count:     6
    .sgpr_spill_count: 0
    .symbol:         _ZN7rocprim17ROCPRIM_400000_NS6detail17trampoline_kernelINS0_14default_configENS1_27scan_by_key_config_selectorIxxEEZZNS1_16scan_by_key_implILNS1_25lookback_scan_determinismE0ELb0ES3_N6thrust23THRUST_200600_302600_NS6detail15normal_iteratorINS9_10device_ptrIxEEEENS9_18transform_iteratorINS9_6negateIxEESE_NS9_11use_defaultESI_EESE_xNS9_4plusIvEENS9_8equal_toIvEExEE10hipError_tPvRmT2_T3_T4_T5_mT6_T7_P12ihipStream_tbENKUlT_T0_E_clISt17integral_constantIbLb0EES13_IbLb1EEEEDaSZ_S10_EUlSZ_E_NS1_11comp_targetILNS1_3genE0ELNS1_11target_archE4294967295ELNS1_3gpuE0ELNS1_3repE0EEENS1_30default_config_static_selectorELNS0_4arch9wavefront6targetE1EEEvT1_.kd
    .uniform_work_group_size: 1
    .uses_dynamic_stack: false
    .vgpr_count:     0
    .vgpr_spill_count: 0
    .wavefront_size: 64
  - .agpr_count:     0
    .args:
      - .offset:         0
        .size:           144
        .value_kind:     by_value
    .group_segment_fixed_size: 0
    .kernarg_segment_align: 8
    .kernarg_segment_size: 144
    .language:       OpenCL C
    .language_version:
      - 2
      - 0
    .max_flat_workgroup_size: 256
    .name:           _ZN7rocprim17ROCPRIM_400000_NS6detail17trampoline_kernelINS0_14default_configENS1_27scan_by_key_config_selectorIxxEEZZNS1_16scan_by_key_implILNS1_25lookback_scan_determinismE0ELb0ES3_N6thrust23THRUST_200600_302600_NS6detail15normal_iteratorINS9_10device_ptrIxEEEENS9_18transform_iteratorINS9_6negateIxEESE_NS9_11use_defaultESI_EESE_xNS9_4plusIvEENS9_8equal_toIvEExEE10hipError_tPvRmT2_T3_T4_T5_mT6_T7_P12ihipStream_tbENKUlT_T0_E_clISt17integral_constantIbLb0EES13_IbLb1EEEEDaSZ_S10_EUlSZ_E_NS1_11comp_targetILNS1_3genE10ELNS1_11target_archE1201ELNS1_3gpuE5ELNS1_3repE0EEENS1_30default_config_static_selectorELNS0_4arch9wavefront6targetE1EEEvT1_
    .private_segment_fixed_size: 0
    .sgpr_count:     6
    .sgpr_spill_count: 0
    .symbol:         _ZN7rocprim17ROCPRIM_400000_NS6detail17trampoline_kernelINS0_14default_configENS1_27scan_by_key_config_selectorIxxEEZZNS1_16scan_by_key_implILNS1_25lookback_scan_determinismE0ELb0ES3_N6thrust23THRUST_200600_302600_NS6detail15normal_iteratorINS9_10device_ptrIxEEEENS9_18transform_iteratorINS9_6negateIxEESE_NS9_11use_defaultESI_EESE_xNS9_4plusIvEENS9_8equal_toIvEExEE10hipError_tPvRmT2_T3_T4_T5_mT6_T7_P12ihipStream_tbENKUlT_T0_E_clISt17integral_constantIbLb0EES13_IbLb1EEEEDaSZ_S10_EUlSZ_E_NS1_11comp_targetILNS1_3genE10ELNS1_11target_archE1201ELNS1_3gpuE5ELNS1_3repE0EEENS1_30default_config_static_selectorELNS0_4arch9wavefront6targetE1EEEvT1_.kd
    .uniform_work_group_size: 1
    .uses_dynamic_stack: false
    .vgpr_count:     0
    .vgpr_spill_count: 0
    .wavefront_size: 64
  - .agpr_count:     0
    .args:
      - .offset:         0
        .size:           144
        .value_kind:     by_value
    .group_segment_fixed_size: 32768
    .kernarg_segment_align: 8
    .kernarg_segment_size: 144
    .language:       OpenCL C
    .language_version:
      - 2
      - 0
    .max_flat_workgroup_size: 256
    .name:           _ZN7rocprim17ROCPRIM_400000_NS6detail17trampoline_kernelINS0_14default_configENS1_27scan_by_key_config_selectorIxxEEZZNS1_16scan_by_key_implILNS1_25lookback_scan_determinismE0ELb0ES3_N6thrust23THRUST_200600_302600_NS6detail15normal_iteratorINS9_10device_ptrIxEEEENS9_18transform_iteratorINS9_6negateIxEESE_NS9_11use_defaultESI_EESE_xNS9_4plusIvEENS9_8equal_toIvEExEE10hipError_tPvRmT2_T3_T4_T5_mT6_T7_P12ihipStream_tbENKUlT_T0_E_clISt17integral_constantIbLb0EES13_IbLb1EEEEDaSZ_S10_EUlSZ_E_NS1_11comp_targetILNS1_3genE5ELNS1_11target_archE942ELNS1_3gpuE9ELNS1_3repE0EEENS1_30default_config_static_selectorELNS0_4arch9wavefront6targetE1EEEvT1_
    .private_segment_fixed_size: 0
    .sgpr_count:     76
    .sgpr_spill_count: 0
    .symbol:         _ZN7rocprim17ROCPRIM_400000_NS6detail17trampoline_kernelINS0_14default_configENS1_27scan_by_key_config_selectorIxxEEZZNS1_16scan_by_key_implILNS1_25lookback_scan_determinismE0ELb0ES3_N6thrust23THRUST_200600_302600_NS6detail15normal_iteratorINS9_10device_ptrIxEEEENS9_18transform_iteratorINS9_6negateIxEESE_NS9_11use_defaultESI_EESE_xNS9_4plusIvEENS9_8equal_toIvEExEE10hipError_tPvRmT2_T3_T4_T5_mT6_T7_P12ihipStream_tbENKUlT_T0_E_clISt17integral_constantIbLb0EES13_IbLb1EEEEDaSZ_S10_EUlSZ_E_NS1_11comp_targetILNS1_3genE5ELNS1_11target_archE942ELNS1_3gpuE9ELNS1_3repE0EEENS1_30default_config_static_selectorELNS0_4arch9wavefront6targetE1EEEvT1_.kd
    .uniform_work_group_size: 1
    .uses_dynamic_stack: false
    .vgpr_count:     92
    .vgpr_spill_count: 0
    .wavefront_size: 64
  - .agpr_count:     0
    .args:
      - .offset:         0
        .size:           144
        .value_kind:     by_value
    .group_segment_fixed_size: 0
    .kernarg_segment_align: 8
    .kernarg_segment_size: 144
    .language:       OpenCL C
    .language_version:
      - 2
      - 0
    .max_flat_workgroup_size: 64
    .name:           _ZN7rocprim17ROCPRIM_400000_NS6detail17trampoline_kernelINS0_14default_configENS1_27scan_by_key_config_selectorIxxEEZZNS1_16scan_by_key_implILNS1_25lookback_scan_determinismE0ELb0ES3_N6thrust23THRUST_200600_302600_NS6detail15normal_iteratorINS9_10device_ptrIxEEEENS9_18transform_iteratorINS9_6negateIxEESE_NS9_11use_defaultESI_EESE_xNS9_4plusIvEENS9_8equal_toIvEExEE10hipError_tPvRmT2_T3_T4_T5_mT6_T7_P12ihipStream_tbENKUlT_T0_E_clISt17integral_constantIbLb0EES13_IbLb1EEEEDaSZ_S10_EUlSZ_E_NS1_11comp_targetILNS1_3genE4ELNS1_11target_archE910ELNS1_3gpuE8ELNS1_3repE0EEENS1_30default_config_static_selectorELNS0_4arch9wavefront6targetE1EEEvT1_
    .private_segment_fixed_size: 0
    .sgpr_count:     6
    .sgpr_spill_count: 0
    .symbol:         _ZN7rocprim17ROCPRIM_400000_NS6detail17trampoline_kernelINS0_14default_configENS1_27scan_by_key_config_selectorIxxEEZZNS1_16scan_by_key_implILNS1_25lookback_scan_determinismE0ELb0ES3_N6thrust23THRUST_200600_302600_NS6detail15normal_iteratorINS9_10device_ptrIxEEEENS9_18transform_iteratorINS9_6negateIxEESE_NS9_11use_defaultESI_EESE_xNS9_4plusIvEENS9_8equal_toIvEExEE10hipError_tPvRmT2_T3_T4_T5_mT6_T7_P12ihipStream_tbENKUlT_T0_E_clISt17integral_constantIbLb0EES13_IbLb1EEEEDaSZ_S10_EUlSZ_E_NS1_11comp_targetILNS1_3genE4ELNS1_11target_archE910ELNS1_3gpuE8ELNS1_3repE0EEENS1_30default_config_static_selectorELNS0_4arch9wavefront6targetE1EEEvT1_.kd
    .uniform_work_group_size: 1
    .uses_dynamic_stack: false
    .vgpr_count:     0
    .vgpr_spill_count: 0
    .wavefront_size: 64
  - .agpr_count:     0
    .args:
      - .offset:         0
        .size:           144
        .value_kind:     by_value
    .group_segment_fixed_size: 0
    .kernarg_segment_align: 8
    .kernarg_segment_size: 144
    .language:       OpenCL C
    .language_version:
      - 2
      - 0
    .max_flat_workgroup_size: 256
    .name:           _ZN7rocprim17ROCPRIM_400000_NS6detail17trampoline_kernelINS0_14default_configENS1_27scan_by_key_config_selectorIxxEEZZNS1_16scan_by_key_implILNS1_25lookback_scan_determinismE0ELb0ES3_N6thrust23THRUST_200600_302600_NS6detail15normal_iteratorINS9_10device_ptrIxEEEENS9_18transform_iteratorINS9_6negateIxEESE_NS9_11use_defaultESI_EESE_xNS9_4plusIvEENS9_8equal_toIvEExEE10hipError_tPvRmT2_T3_T4_T5_mT6_T7_P12ihipStream_tbENKUlT_T0_E_clISt17integral_constantIbLb0EES13_IbLb1EEEEDaSZ_S10_EUlSZ_E_NS1_11comp_targetILNS1_3genE3ELNS1_11target_archE908ELNS1_3gpuE7ELNS1_3repE0EEENS1_30default_config_static_selectorELNS0_4arch9wavefront6targetE1EEEvT1_
    .private_segment_fixed_size: 0
    .sgpr_count:     6
    .sgpr_spill_count: 0
    .symbol:         _ZN7rocprim17ROCPRIM_400000_NS6detail17trampoline_kernelINS0_14default_configENS1_27scan_by_key_config_selectorIxxEEZZNS1_16scan_by_key_implILNS1_25lookback_scan_determinismE0ELb0ES3_N6thrust23THRUST_200600_302600_NS6detail15normal_iteratorINS9_10device_ptrIxEEEENS9_18transform_iteratorINS9_6negateIxEESE_NS9_11use_defaultESI_EESE_xNS9_4plusIvEENS9_8equal_toIvEExEE10hipError_tPvRmT2_T3_T4_T5_mT6_T7_P12ihipStream_tbENKUlT_T0_E_clISt17integral_constantIbLb0EES13_IbLb1EEEEDaSZ_S10_EUlSZ_E_NS1_11comp_targetILNS1_3genE3ELNS1_11target_archE908ELNS1_3gpuE7ELNS1_3repE0EEENS1_30default_config_static_selectorELNS0_4arch9wavefront6targetE1EEEvT1_.kd
    .uniform_work_group_size: 1
    .uses_dynamic_stack: false
    .vgpr_count:     0
    .vgpr_spill_count: 0
    .wavefront_size: 64
  - .agpr_count:     0
    .args:
      - .offset:         0
        .size:           144
        .value_kind:     by_value
    .group_segment_fixed_size: 0
    .kernarg_segment_align: 8
    .kernarg_segment_size: 144
    .language:       OpenCL C
    .language_version:
      - 2
      - 0
    .max_flat_workgroup_size: 256
    .name:           _ZN7rocprim17ROCPRIM_400000_NS6detail17trampoline_kernelINS0_14default_configENS1_27scan_by_key_config_selectorIxxEEZZNS1_16scan_by_key_implILNS1_25lookback_scan_determinismE0ELb0ES3_N6thrust23THRUST_200600_302600_NS6detail15normal_iteratorINS9_10device_ptrIxEEEENS9_18transform_iteratorINS9_6negateIxEESE_NS9_11use_defaultESI_EESE_xNS9_4plusIvEENS9_8equal_toIvEExEE10hipError_tPvRmT2_T3_T4_T5_mT6_T7_P12ihipStream_tbENKUlT_T0_E_clISt17integral_constantIbLb0EES13_IbLb1EEEEDaSZ_S10_EUlSZ_E_NS1_11comp_targetILNS1_3genE2ELNS1_11target_archE906ELNS1_3gpuE6ELNS1_3repE0EEENS1_30default_config_static_selectorELNS0_4arch9wavefront6targetE1EEEvT1_
    .private_segment_fixed_size: 0
    .sgpr_count:     6
    .sgpr_spill_count: 0
    .symbol:         _ZN7rocprim17ROCPRIM_400000_NS6detail17trampoline_kernelINS0_14default_configENS1_27scan_by_key_config_selectorIxxEEZZNS1_16scan_by_key_implILNS1_25lookback_scan_determinismE0ELb0ES3_N6thrust23THRUST_200600_302600_NS6detail15normal_iteratorINS9_10device_ptrIxEEEENS9_18transform_iteratorINS9_6negateIxEESE_NS9_11use_defaultESI_EESE_xNS9_4plusIvEENS9_8equal_toIvEExEE10hipError_tPvRmT2_T3_T4_T5_mT6_T7_P12ihipStream_tbENKUlT_T0_E_clISt17integral_constantIbLb0EES13_IbLb1EEEEDaSZ_S10_EUlSZ_E_NS1_11comp_targetILNS1_3genE2ELNS1_11target_archE906ELNS1_3gpuE6ELNS1_3repE0EEENS1_30default_config_static_selectorELNS0_4arch9wavefront6targetE1EEEvT1_.kd
    .uniform_work_group_size: 1
    .uses_dynamic_stack: false
    .vgpr_count:     0
    .vgpr_spill_count: 0
    .wavefront_size: 64
  - .agpr_count:     0
    .args:
      - .offset:         0
        .size:           144
        .value_kind:     by_value
    .group_segment_fixed_size: 0
    .kernarg_segment_align: 8
    .kernarg_segment_size: 144
    .language:       OpenCL C
    .language_version:
      - 2
      - 0
    .max_flat_workgroup_size: 256
    .name:           _ZN7rocprim17ROCPRIM_400000_NS6detail17trampoline_kernelINS0_14default_configENS1_27scan_by_key_config_selectorIxxEEZZNS1_16scan_by_key_implILNS1_25lookback_scan_determinismE0ELb0ES3_N6thrust23THRUST_200600_302600_NS6detail15normal_iteratorINS9_10device_ptrIxEEEENS9_18transform_iteratorINS9_6negateIxEESE_NS9_11use_defaultESI_EESE_xNS9_4plusIvEENS9_8equal_toIvEExEE10hipError_tPvRmT2_T3_T4_T5_mT6_T7_P12ihipStream_tbENKUlT_T0_E_clISt17integral_constantIbLb0EES13_IbLb1EEEEDaSZ_S10_EUlSZ_E_NS1_11comp_targetILNS1_3genE10ELNS1_11target_archE1200ELNS1_3gpuE4ELNS1_3repE0EEENS1_30default_config_static_selectorELNS0_4arch9wavefront6targetE1EEEvT1_
    .private_segment_fixed_size: 0
    .sgpr_count:     6
    .sgpr_spill_count: 0
    .symbol:         _ZN7rocprim17ROCPRIM_400000_NS6detail17trampoline_kernelINS0_14default_configENS1_27scan_by_key_config_selectorIxxEEZZNS1_16scan_by_key_implILNS1_25lookback_scan_determinismE0ELb0ES3_N6thrust23THRUST_200600_302600_NS6detail15normal_iteratorINS9_10device_ptrIxEEEENS9_18transform_iteratorINS9_6negateIxEESE_NS9_11use_defaultESI_EESE_xNS9_4plusIvEENS9_8equal_toIvEExEE10hipError_tPvRmT2_T3_T4_T5_mT6_T7_P12ihipStream_tbENKUlT_T0_E_clISt17integral_constantIbLb0EES13_IbLb1EEEEDaSZ_S10_EUlSZ_E_NS1_11comp_targetILNS1_3genE10ELNS1_11target_archE1200ELNS1_3gpuE4ELNS1_3repE0EEENS1_30default_config_static_selectorELNS0_4arch9wavefront6targetE1EEEvT1_.kd
    .uniform_work_group_size: 1
    .uses_dynamic_stack: false
    .vgpr_count:     0
    .vgpr_spill_count: 0
    .wavefront_size: 64
  - .agpr_count:     0
    .args:
      - .offset:         0
        .size:           144
        .value_kind:     by_value
    .group_segment_fixed_size: 0
    .kernarg_segment_align: 8
    .kernarg_segment_size: 144
    .language:       OpenCL C
    .language_version:
      - 2
      - 0
    .max_flat_workgroup_size: 256
    .name:           _ZN7rocprim17ROCPRIM_400000_NS6detail17trampoline_kernelINS0_14default_configENS1_27scan_by_key_config_selectorIxxEEZZNS1_16scan_by_key_implILNS1_25lookback_scan_determinismE0ELb0ES3_N6thrust23THRUST_200600_302600_NS6detail15normal_iteratorINS9_10device_ptrIxEEEENS9_18transform_iteratorINS9_6negateIxEESE_NS9_11use_defaultESI_EESE_xNS9_4plusIvEENS9_8equal_toIvEExEE10hipError_tPvRmT2_T3_T4_T5_mT6_T7_P12ihipStream_tbENKUlT_T0_E_clISt17integral_constantIbLb0EES13_IbLb1EEEEDaSZ_S10_EUlSZ_E_NS1_11comp_targetILNS1_3genE9ELNS1_11target_archE1100ELNS1_3gpuE3ELNS1_3repE0EEENS1_30default_config_static_selectorELNS0_4arch9wavefront6targetE1EEEvT1_
    .private_segment_fixed_size: 0
    .sgpr_count:     6
    .sgpr_spill_count: 0
    .symbol:         _ZN7rocprim17ROCPRIM_400000_NS6detail17trampoline_kernelINS0_14default_configENS1_27scan_by_key_config_selectorIxxEEZZNS1_16scan_by_key_implILNS1_25lookback_scan_determinismE0ELb0ES3_N6thrust23THRUST_200600_302600_NS6detail15normal_iteratorINS9_10device_ptrIxEEEENS9_18transform_iteratorINS9_6negateIxEESE_NS9_11use_defaultESI_EESE_xNS9_4plusIvEENS9_8equal_toIvEExEE10hipError_tPvRmT2_T3_T4_T5_mT6_T7_P12ihipStream_tbENKUlT_T0_E_clISt17integral_constantIbLb0EES13_IbLb1EEEEDaSZ_S10_EUlSZ_E_NS1_11comp_targetILNS1_3genE9ELNS1_11target_archE1100ELNS1_3gpuE3ELNS1_3repE0EEENS1_30default_config_static_selectorELNS0_4arch9wavefront6targetE1EEEvT1_.kd
    .uniform_work_group_size: 1
    .uses_dynamic_stack: false
    .vgpr_count:     0
    .vgpr_spill_count: 0
    .wavefront_size: 64
  - .agpr_count:     0
    .args:
      - .offset:         0
        .size:           144
        .value_kind:     by_value
    .group_segment_fixed_size: 0
    .kernarg_segment_align: 8
    .kernarg_segment_size: 144
    .language:       OpenCL C
    .language_version:
      - 2
      - 0
    .max_flat_workgroup_size: 256
    .name:           _ZN7rocprim17ROCPRIM_400000_NS6detail17trampoline_kernelINS0_14default_configENS1_27scan_by_key_config_selectorIxxEEZZNS1_16scan_by_key_implILNS1_25lookback_scan_determinismE0ELb0ES3_N6thrust23THRUST_200600_302600_NS6detail15normal_iteratorINS9_10device_ptrIxEEEENS9_18transform_iteratorINS9_6negateIxEESE_NS9_11use_defaultESI_EESE_xNS9_4plusIvEENS9_8equal_toIvEExEE10hipError_tPvRmT2_T3_T4_T5_mT6_T7_P12ihipStream_tbENKUlT_T0_E_clISt17integral_constantIbLb0EES13_IbLb1EEEEDaSZ_S10_EUlSZ_E_NS1_11comp_targetILNS1_3genE8ELNS1_11target_archE1030ELNS1_3gpuE2ELNS1_3repE0EEENS1_30default_config_static_selectorELNS0_4arch9wavefront6targetE1EEEvT1_
    .private_segment_fixed_size: 0
    .sgpr_count:     6
    .sgpr_spill_count: 0
    .symbol:         _ZN7rocprim17ROCPRIM_400000_NS6detail17trampoline_kernelINS0_14default_configENS1_27scan_by_key_config_selectorIxxEEZZNS1_16scan_by_key_implILNS1_25lookback_scan_determinismE0ELb0ES3_N6thrust23THRUST_200600_302600_NS6detail15normal_iteratorINS9_10device_ptrIxEEEENS9_18transform_iteratorINS9_6negateIxEESE_NS9_11use_defaultESI_EESE_xNS9_4plusIvEENS9_8equal_toIvEExEE10hipError_tPvRmT2_T3_T4_T5_mT6_T7_P12ihipStream_tbENKUlT_T0_E_clISt17integral_constantIbLb0EES13_IbLb1EEEEDaSZ_S10_EUlSZ_E_NS1_11comp_targetILNS1_3genE8ELNS1_11target_archE1030ELNS1_3gpuE2ELNS1_3repE0EEENS1_30default_config_static_selectorELNS0_4arch9wavefront6targetE1EEEvT1_.kd
    .uniform_work_group_size: 1
    .uses_dynamic_stack: false
    .vgpr_count:     0
    .vgpr_spill_count: 0
    .wavefront_size: 64
  - .agpr_count:     0
    .args:
      - .offset:         0
        .size:           120
        .value_kind:     by_value
    .group_segment_fixed_size: 0
    .kernarg_segment_align: 8
    .kernarg_segment_size: 120
    .language:       OpenCL C
    .language_version:
      - 2
      - 0
    .max_flat_workgroup_size: 256
    .name:           _ZN7rocprim17ROCPRIM_400000_NS6detail17trampoline_kernelINS0_14default_configENS1_27scan_by_key_config_selectorIiiEEZZNS1_16scan_by_key_implILNS1_25lookback_scan_determinismE0ELb0ES3_N6thrust23THRUST_200600_302600_NS6detail15normal_iteratorINS9_10device_ptrIiEEEENS9_18transform_iteratorINS9_6negateIiEESE_NS9_11use_defaultESI_EESE_iNS9_4plusIvEENS9_8equal_toIvEEiEE10hipError_tPvRmT2_T3_T4_T5_mT6_T7_P12ihipStream_tbENKUlT_T0_E_clISt17integral_constantIbLb0EES14_EEDaSZ_S10_EUlSZ_E_NS1_11comp_targetILNS1_3genE0ELNS1_11target_archE4294967295ELNS1_3gpuE0ELNS1_3repE0EEENS1_30default_config_static_selectorELNS0_4arch9wavefront6targetE1EEEvT1_
    .private_segment_fixed_size: 0
    .sgpr_count:     6
    .sgpr_spill_count: 0
    .symbol:         _ZN7rocprim17ROCPRIM_400000_NS6detail17trampoline_kernelINS0_14default_configENS1_27scan_by_key_config_selectorIiiEEZZNS1_16scan_by_key_implILNS1_25lookback_scan_determinismE0ELb0ES3_N6thrust23THRUST_200600_302600_NS6detail15normal_iteratorINS9_10device_ptrIiEEEENS9_18transform_iteratorINS9_6negateIiEESE_NS9_11use_defaultESI_EESE_iNS9_4plusIvEENS9_8equal_toIvEEiEE10hipError_tPvRmT2_T3_T4_T5_mT6_T7_P12ihipStream_tbENKUlT_T0_E_clISt17integral_constantIbLb0EES14_EEDaSZ_S10_EUlSZ_E_NS1_11comp_targetILNS1_3genE0ELNS1_11target_archE4294967295ELNS1_3gpuE0ELNS1_3repE0EEENS1_30default_config_static_selectorELNS0_4arch9wavefront6targetE1EEEvT1_.kd
    .uniform_work_group_size: 1
    .uses_dynamic_stack: false
    .vgpr_count:     0
    .vgpr_spill_count: 0
    .wavefront_size: 64
  - .agpr_count:     0
    .args:
      - .offset:         0
        .size:           120
        .value_kind:     by_value
    .group_segment_fixed_size: 0
    .kernarg_segment_align: 8
    .kernarg_segment_size: 120
    .language:       OpenCL C
    .language_version:
      - 2
      - 0
    .max_flat_workgroup_size: 256
    .name:           _ZN7rocprim17ROCPRIM_400000_NS6detail17trampoline_kernelINS0_14default_configENS1_27scan_by_key_config_selectorIiiEEZZNS1_16scan_by_key_implILNS1_25lookback_scan_determinismE0ELb0ES3_N6thrust23THRUST_200600_302600_NS6detail15normal_iteratorINS9_10device_ptrIiEEEENS9_18transform_iteratorINS9_6negateIiEESE_NS9_11use_defaultESI_EESE_iNS9_4plusIvEENS9_8equal_toIvEEiEE10hipError_tPvRmT2_T3_T4_T5_mT6_T7_P12ihipStream_tbENKUlT_T0_E_clISt17integral_constantIbLb0EES14_EEDaSZ_S10_EUlSZ_E_NS1_11comp_targetILNS1_3genE10ELNS1_11target_archE1201ELNS1_3gpuE5ELNS1_3repE0EEENS1_30default_config_static_selectorELNS0_4arch9wavefront6targetE1EEEvT1_
    .private_segment_fixed_size: 0
    .sgpr_count:     6
    .sgpr_spill_count: 0
    .symbol:         _ZN7rocprim17ROCPRIM_400000_NS6detail17trampoline_kernelINS0_14default_configENS1_27scan_by_key_config_selectorIiiEEZZNS1_16scan_by_key_implILNS1_25lookback_scan_determinismE0ELb0ES3_N6thrust23THRUST_200600_302600_NS6detail15normal_iteratorINS9_10device_ptrIiEEEENS9_18transform_iteratorINS9_6negateIiEESE_NS9_11use_defaultESI_EESE_iNS9_4plusIvEENS9_8equal_toIvEEiEE10hipError_tPvRmT2_T3_T4_T5_mT6_T7_P12ihipStream_tbENKUlT_T0_E_clISt17integral_constantIbLb0EES14_EEDaSZ_S10_EUlSZ_E_NS1_11comp_targetILNS1_3genE10ELNS1_11target_archE1201ELNS1_3gpuE5ELNS1_3repE0EEENS1_30default_config_static_selectorELNS0_4arch9wavefront6targetE1EEEvT1_.kd
    .uniform_work_group_size: 1
    .uses_dynamic_stack: false
    .vgpr_count:     0
    .vgpr_spill_count: 0
    .wavefront_size: 64
  - .agpr_count:     0
    .args:
      - .offset:         0
        .size:           120
        .value_kind:     by_value
    .group_segment_fixed_size: 25600
    .kernarg_segment_align: 8
    .kernarg_segment_size: 120
    .language:       OpenCL C
    .language_version:
      - 2
      - 0
    .max_flat_workgroup_size: 256
    .name:           _ZN7rocprim17ROCPRIM_400000_NS6detail17trampoline_kernelINS0_14default_configENS1_27scan_by_key_config_selectorIiiEEZZNS1_16scan_by_key_implILNS1_25lookback_scan_determinismE0ELb0ES3_N6thrust23THRUST_200600_302600_NS6detail15normal_iteratorINS9_10device_ptrIiEEEENS9_18transform_iteratorINS9_6negateIiEESE_NS9_11use_defaultESI_EESE_iNS9_4plusIvEENS9_8equal_toIvEEiEE10hipError_tPvRmT2_T3_T4_T5_mT6_T7_P12ihipStream_tbENKUlT_T0_E_clISt17integral_constantIbLb0EES14_EEDaSZ_S10_EUlSZ_E_NS1_11comp_targetILNS1_3genE5ELNS1_11target_archE942ELNS1_3gpuE9ELNS1_3repE0EEENS1_30default_config_static_selectorELNS0_4arch9wavefront6targetE1EEEvT1_
    .private_segment_fixed_size: 0
    .sgpr_count:     88
    .sgpr_spill_count: 0
    .symbol:         _ZN7rocprim17ROCPRIM_400000_NS6detail17trampoline_kernelINS0_14default_configENS1_27scan_by_key_config_selectorIiiEEZZNS1_16scan_by_key_implILNS1_25lookback_scan_determinismE0ELb0ES3_N6thrust23THRUST_200600_302600_NS6detail15normal_iteratorINS9_10device_ptrIiEEEENS9_18transform_iteratorINS9_6negateIiEESE_NS9_11use_defaultESI_EESE_iNS9_4plusIvEENS9_8equal_toIvEEiEE10hipError_tPvRmT2_T3_T4_T5_mT6_T7_P12ihipStream_tbENKUlT_T0_E_clISt17integral_constantIbLb0EES14_EEDaSZ_S10_EUlSZ_E_NS1_11comp_targetILNS1_3genE5ELNS1_11target_archE942ELNS1_3gpuE9ELNS1_3repE0EEENS1_30default_config_static_selectorELNS0_4arch9wavefront6targetE1EEEvT1_.kd
    .uniform_work_group_size: 1
    .uses_dynamic_stack: false
    .vgpr_count:     81
    .vgpr_spill_count: 0
    .wavefront_size: 64
  - .agpr_count:     0
    .args:
      - .offset:         0
        .size:           120
        .value_kind:     by_value
    .group_segment_fixed_size: 0
    .kernarg_segment_align: 8
    .kernarg_segment_size: 120
    .language:       OpenCL C
    .language_version:
      - 2
      - 0
    .max_flat_workgroup_size: 256
    .name:           _ZN7rocprim17ROCPRIM_400000_NS6detail17trampoline_kernelINS0_14default_configENS1_27scan_by_key_config_selectorIiiEEZZNS1_16scan_by_key_implILNS1_25lookback_scan_determinismE0ELb0ES3_N6thrust23THRUST_200600_302600_NS6detail15normal_iteratorINS9_10device_ptrIiEEEENS9_18transform_iteratorINS9_6negateIiEESE_NS9_11use_defaultESI_EESE_iNS9_4plusIvEENS9_8equal_toIvEEiEE10hipError_tPvRmT2_T3_T4_T5_mT6_T7_P12ihipStream_tbENKUlT_T0_E_clISt17integral_constantIbLb0EES14_EEDaSZ_S10_EUlSZ_E_NS1_11comp_targetILNS1_3genE4ELNS1_11target_archE910ELNS1_3gpuE8ELNS1_3repE0EEENS1_30default_config_static_selectorELNS0_4arch9wavefront6targetE1EEEvT1_
    .private_segment_fixed_size: 0
    .sgpr_count:     6
    .sgpr_spill_count: 0
    .symbol:         _ZN7rocprim17ROCPRIM_400000_NS6detail17trampoline_kernelINS0_14default_configENS1_27scan_by_key_config_selectorIiiEEZZNS1_16scan_by_key_implILNS1_25lookback_scan_determinismE0ELb0ES3_N6thrust23THRUST_200600_302600_NS6detail15normal_iteratorINS9_10device_ptrIiEEEENS9_18transform_iteratorINS9_6negateIiEESE_NS9_11use_defaultESI_EESE_iNS9_4plusIvEENS9_8equal_toIvEEiEE10hipError_tPvRmT2_T3_T4_T5_mT6_T7_P12ihipStream_tbENKUlT_T0_E_clISt17integral_constantIbLb0EES14_EEDaSZ_S10_EUlSZ_E_NS1_11comp_targetILNS1_3genE4ELNS1_11target_archE910ELNS1_3gpuE8ELNS1_3repE0EEENS1_30default_config_static_selectorELNS0_4arch9wavefront6targetE1EEEvT1_.kd
    .uniform_work_group_size: 1
    .uses_dynamic_stack: false
    .vgpr_count:     0
    .vgpr_spill_count: 0
    .wavefront_size: 64
  - .agpr_count:     0
    .args:
      - .offset:         0
        .size:           120
        .value_kind:     by_value
    .group_segment_fixed_size: 0
    .kernarg_segment_align: 8
    .kernarg_segment_size: 120
    .language:       OpenCL C
    .language_version:
      - 2
      - 0
    .max_flat_workgroup_size: 256
    .name:           _ZN7rocprim17ROCPRIM_400000_NS6detail17trampoline_kernelINS0_14default_configENS1_27scan_by_key_config_selectorIiiEEZZNS1_16scan_by_key_implILNS1_25lookback_scan_determinismE0ELb0ES3_N6thrust23THRUST_200600_302600_NS6detail15normal_iteratorINS9_10device_ptrIiEEEENS9_18transform_iteratorINS9_6negateIiEESE_NS9_11use_defaultESI_EESE_iNS9_4plusIvEENS9_8equal_toIvEEiEE10hipError_tPvRmT2_T3_T4_T5_mT6_T7_P12ihipStream_tbENKUlT_T0_E_clISt17integral_constantIbLb0EES14_EEDaSZ_S10_EUlSZ_E_NS1_11comp_targetILNS1_3genE3ELNS1_11target_archE908ELNS1_3gpuE7ELNS1_3repE0EEENS1_30default_config_static_selectorELNS0_4arch9wavefront6targetE1EEEvT1_
    .private_segment_fixed_size: 0
    .sgpr_count:     6
    .sgpr_spill_count: 0
    .symbol:         _ZN7rocprim17ROCPRIM_400000_NS6detail17trampoline_kernelINS0_14default_configENS1_27scan_by_key_config_selectorIiiEEZZNS1_16scan_by_key_implILNS1_25lookback_scan_determinismE0ELb0ES3_N6thrust23THRUST_200600_302600_NS6detail15normal_iteratorINS9_10device_ptrIiEEEENS9_18transform_iteratorINS9_6negateIiEESE_NS9_11use_defaultESI_EESE_iNS9_4plusIvEENS9_8equal_toIvEEiEE10hipError_tPvRmT2_T3_T4_T5_mT6_T7_P12ihipStream_tbENKUlT_T0_E_clISt17integral_constantIbLb0EES14_EEDaSZ_S10_EUlSZ_E_NS1_11comp_targetILNS1_3genE3ELNS1_11target_archE908ELNS1_3gpuE7ELNS1_3repE0EEENS1_30default_config_static_selectorELNS0_4arch9wavefront6targetE1EEEvT1_.kd
    .uniform_work_group_size: 1
    .uses_dynamic_stack: false
    .vgpr_count:     0
    .vgpr_spill_count: 0
    .wavefront_size: 64
  - .agpr_count:     0
    .args:
      - .offset:         0
        .size:           120
        .value_kind:     by_value
    .group_segment_fixed_size: 0
    .kernarg_segment_align: 8
    .kernarg_segment_size: 120
    .language:       OpenCL C
    .language_version:
      - 2
      - 0
    .max_flat_workgroup_size: 256
    .name:           _ZN7rocprim17ROCPRIM_400000_NS6detail17trampoline_kernelINS0_14default_configENS1_27scan_by_key_config_selectorIiiEEZZNS1_16scan_by_key_implILNS1_25lookback_scan_determinismE0ELb0ES3_N6thrust23THRUST_200600_302600_NS6detail15normal_iteratorINS9_10device_ptrIiEEEENS9_18transform_iteratorINS9_6negateIiEESE_NS9_11use_defaultESI_EESE_iNS9_4plusIvEENS9_8equal_toIvEEiEE10hipError_tPvRmT2_T3_T4_T5_mT6_T7_P12ihipStream_tbENKUlT_T0_E_clISt17integral_constantIbLb0EES14_EEDaSZ_S10_EUlSZ_E_NS1_11comp_targetILNS1_3genE2ELNS1_11target_archE906ELNS1_3gpuE6ELNS1_3repE0EEENS1_30default_config_static_selectorELNS0_4arch9wavefront6targetE1EEEvT1_
    .private_segment_fixed_size: 0
    .sgpr_count:     6
    .sgpr_spill_count: 0
    .symbol:         _ZN7rocprim17ROCPRIM_400000_NS6detail17trampoline_kernelINS0_14default_configENS1_27scan_by_key_config_selectorIiiEEZZNS1_16scan_by_key_implILNS1_25lookback_scan_determinismE0ELb0ES3_N6thrust23THRUST_200600_302600_NS6detail15normal_iteratorINS9_10device_ptrIiEEEENS9_18transform_iteratorINS9_6negateIiEESE_NS9_11use_defaultESI_EESE_iNS9_4plusIvEENS9_8equal_toIvEEiEE10hipError_tPvRmT2_T3_T4_T5_mT6_T7_P12ihipStream_tbENKUlT_T0_E_clISt17integral_constantIbLb0EES14_EEDaSZ_S10_EUlSZ_E_NS1_11comp_targetILNS1_3genE2ELNS1_11target_archE906ELNS1_3gpuE6ELNS1_3repE0EEENS1_30default_config_static_selectorELNS0_4arch9wavefront6targetE1EEEvT1_.kd
    .uniform_work_group_size: 1
    .uses_dynamic_stack: false
    .vgpr_count:     0
    .vgpr_spill_count: 0
    .wavefront_size: 64
  - .agpr_count:     0
    .args:
      - .offset:         0
        .size:           120
        .value_kind:     by_value
    .group_segment_fixed_size: 0
    .kernarg_segment_align: 8
    .kernarg_segment_size: 120
    .language:       OpenCL C
    .language_version:
      - 2
      - 0
    .max_flat_workgroup_size: 256
    .name:           _ZN7rocprim17ROCPRIM_400000_NS6detail17trampoline_kernelINS0_14default_configENS1_27scan_by_key_config_selectorIiiEEZZNS1_16scan_by_key_implILNS1_25lookback_scan_determinismE0ELb0ES3_N6thrust23THRUST_200600_302600_NS6detail15normal_iteratorINS9_10device_ptrIiEEEENS9_18transform_iteratorINS9_6negateIiEESE_NS9_11use_defaultESI_EESE_iNS9_4plusIvEENS9_8equal_toIvEEiEE10hipError_tPvRmT2_T3_T4_T5_mT6_T7_P12ihipStream_tbENKUlT_T0_E_clISt17integral_constantIbLb0EES14_EEDaSZ_S10_EUlSZ_E_NS1_11comp_targetILNS1_3genE10ELNS1_11target_archE1200ELNS1_3gpuE4ELNS1_3repE0EEENS1_30default_config_static_selectorELNS0_4arch9wavefront6targetE1EEEvT1_
    .private_segment_fixed_size: 0
    .sgpr_count:     6
    .sgpr_spill_count: 0
    .symbol:         _ZN7rocprim17ROCPRIM_400000_NS6detail17trampoline_kernelINS0_14default_configENS1_27scan_by_key_config_selectorIiiEEZZNS1_16scan_by_key_implILNS1_25lookback_scan_determinismE0ELb0ES3_N6thrust23THRUST_200600_302600_NS6detail15normal_iteratorINS9_10device_ptrIiEEEENS9_18transform_iteratorINS9_6negateIiEESE_NS9_11use_defaultESI_EESE_iNS9_4plusIvEENS9_8equal_toIvEEiEE10hipError_tPvRmT2_T3_T4_T5_mT6_T7_P12ihipStream_tbENKUlT_T0_E_clISt17integral_constantIbLb0EES14_EEDaSZ_S10_EUlSZ_E_NS1_11comp_targetILNS1_3genE10ELNS1_11target_archE1200ELNS1_3gpuE4ELNS1_3repE0EEENS1_30default_config_static_selectorELNS0_4arch9wavefront6targetE1EEEvT1_.kd
    .uniform_work_group_size: 1
    .uses_dynamic_stack: false
    .vgpr_count:     0
    .vgpr_spill_count: 0
    .wavefront_size: 64
  - .agpr_count:     0
    .args:
      - .offset:         0
        .size:           120
        .value_kind:     by_value
    .group_segment_fixed_size: 0
    .kernarg_segment_align: 8
    .kernarg_segment_size: 120
    .language:       OpenCL C
    .language_version:
      - 2
      - 0
    .max_flat_workgroup_size: 256
    .name:           _ZN7rocprim17ROCPRIM_400000_NS6detail17trampoline_kernelINS0_14default_configENS1_27scan_by_key_config_selectorIiiEEZZNS1_16scan_by_key_implILNS1_25lookback_scan_determinismE0ELb0ES3_N6thrust23THRUST_200600_302600_NS6detail15normal_iteratorINS9_10device_ptrIiEEEENS9_18transform_iteratorINS9_6negateIiEESE_NS9_11use_defaultESI_EESE_iNS9_4plusIvEENS9_8equal_toIvEEiEE10hipError_tPvRmT2_T3_T4_T5_mT6_T7_P12ihipStream_tbENKUlT_T0_E_clISt17integral_constantIbLb0EES14_EEDaSZ_S10_EUlSZ_E_NS1_11comp_targetILNS1_3genE9ELNS1_11target_archE1100ELNS1_3gpuE3ELNS1_3repE0EEENS1_30default_config_static_selectorELNS0_4arch9wavefront6targetE1EEEvT1_
    .private_segment_fixed_size: 0
    .sgpr_count:     6
    .sgpr_spill_count: 0
    .symbol:         _ZN7rocprim17ROCPRIM_400000_NS6detail17trampoline_kernelINS0_14default_configENS1_27scan_by_key_config_selectorIiiEEZZNS1_16scan_by_key_implILNS1_25lookback_scan_determinismE0ELb0ES3_N6thrust23THRUST_200600_302600_NS6detail15normal_iteratorINS9_10device_ptrIiEEEENS9_18transform_iteratorINS9_6negateIiEESE_NS9_11use_defaultESI_EESE_iNS9_4plusIvEENS9_8equal_toIvEEiEE10hipError_tPvRmT2_T3_T4_T5_mT6_T7_P12ihipStream_tbENKUlT_T0_E_clISt17integral_constantIbLb0EES14_EEDaSZ_S10_EUlSZ_E_NS1_11comp_targetILNS1_3genE9ELNS1_11target_archE1100ELNS1_3gpuE3ELNS1_3repE0EEENS1_30default_config_static_selectorELNS0_4arch9wavefront6targetE1EEEvT1_.kd
    .uniform_work_group_size: 1
    .uses_dynamic_stack: false
    .vgpr_count:     0
    .vgpr_spill_count: 0
    .wavefront_size: 64
  - .agpr_count:     0
    .args:
      - .offset:         0
        .size:           120
        .value_kind:     by_value
    .group_segment_fixed_size: 0
    .kernarg_segment_align: 8
    .kernarg_segment_size: 120
    .language:       OpenCL C
    .language_version:
      - 2
      - 0
    .max_flat_workgroup_size: 256
    .name:           _ZN7rocprim17ROCPRIM_400000_NS6detail17trampoline_kernelINS0_14default_configENS1_27scan_by_key_config_selectorIiiEEZZNS1_16scan_by_key_implILNS1_25lookback_scan_determinismE0ELb0ES3_N6thrust23THRUST_200600_302600_NS6detail15normal_iteratorINS9_10device_ptrIiEEEENS9_18transform_iteratorINS9_6negateIiEESE_NS9_11use_defaultESI_EESE_iNS9_4plusIvEENS9_8equal_toIvEEiEE10hipError_tPvRmT2_T3_T4_T5_mT6_T7_P12ihipStream_tbENKUlT_T0_E_clISt17integral_constantIbLb0EES14_EEDaSZ_S10_EUlSZ_E_NS1_11comp_targetILNS1_3genE8ELNS1_11target_archE1030ELNS1_3gpuE2ELNS1_3repE0EEENS1_30default_config_static_selectorELNS0_4arch9wavefront6targetE1EEEvT1_
    .private_segment_fixed_size: 0
    .sgpr_count:     6
    .sgpr_spill_count: 0
    .symbol:         _ZN7rocprim17ROCPRIM_400000_NS6detail17trampoline_kernelINS0_14default_configENS1_27scan_by_key_config_selectorIiiEEZZNS1_16scan_by_key_implILNS1_25lookback_scan_determinismE0ELb0ES3_N6thrust23THRUST_200600_302600_NS6detail15normal_iteratorINS9_10device_ptrIiEEEENS9_18transform_iteratorINS9_6negateIiEESE_NS9_11use_defaultESI_EESE_iNS9_4plusIvEENS9_8equal_toIvEEiEE10hipError_tPvRmT2_T3_T4_T5_mT6_T7_P12ihipStream_tbENKUlT_T0_E_clISt17integral_constantIbLb0EES14_EEDaSZ_S10_EUlSZ_E_NS1_11comp_targetILNS1_3genE8ELNS1_11target_archE1030ELNS1_3gpuE2ELNS1_3repE0EEENS1_30default_config_static_selectorELNS0_4arch9wavefront6targetE1EEEvT1_.kd
    .uniform_work_group_size: 1
    .uses_dynamic_stack: false
    .vgpr_count:     0
    .vgpr_spill_count: 0
    .wavefront_size: 64
  - .agpr_count:     0
    .args:
      - .offset:         0
        .size:           120
        .value_kind:     by_value
    .group_segment_fixed_size: 0
    .kernarg_segment_align: 8
    .kernarg_segment_size: 120
    .language:       OpenCL C
    .language_version:
      - 2
      - 0
    .max_flat_workgroup_size: 256
    .name:           _ZN7rocprim17ROCPRIM_400000_NS6detail17trampoline_kernelINS0_14default_configENS1_27scan_by_key_config_selectorIiiEEZZNS1_16scan_by_key_implILNS1_25lookback_scan_determinismE0ELb0ES3_N6thrust23THRUST_200600_302600_NS6detail15normal_iteratorINS9_10device_ptrIiEEEENS9_18transform_iteratorINS9_6negateIiEESE_NS9_11use_defaultESI_EESE_iNS9_4plusIvEENS9_8equal_toIvEEiEE10hipError_tPvRmT2_T3_T4_T5_mT6_T7_P12ihipStream_tbENKUlT_T0_E_clISt17integral_constantIbLb1EES14_EEDaSZ_S10_EUlSZ_E_NS1_11comp_targetILNS1_3genE0ELNS1_11target_archE4294967295ELNS1_3gpuE0ELNS1_3repE0EEENS1_30default_config_static_selectorELNS0_4arch9wavefront6targetE1EEEvT1_
    .private_segment_fixed_size: 0
    .sgpr_count:     6
    .sgpr_spill_count: 0
    .symbol:         _ZN7rocprim17ROCPRIM_400000_NS6detail17trampoline_kernelINS0_14default_configENS1_27scan_by_key_config_selectorIiiEEZZNS1_16scan_by_key_implILNS1_25lookback_scan_determinismE0ELb0ES3_N6thrust23THRUST_200600_302600_NS6detail15normal_iteratorINS9_10device_ptrIiEEEENS9_18transform_iteratorINS9_6negateIiEESE_NS9_11use_defaultESI_EESE_iNS9_4plusIvEENS9_8equal_toIvEEiEE10hipError_tPvRmT2_T3_T4_T5_mT6_T7_P12ihipStream_tbENKUlT_T0_E_clISt17integral_constantIbLb1EES14_EEDaSZ_S10_EUlSZ_E_NS1_11comp_targetILNS1_3genE0ELNS1_11target_archE4294967295ELNS1_3gpuE0ELNS1_3repE0EEENS1_30default_config_static_selectorELNS0_4arch9wavefront6targetE1EEEvT1_.kd
    .uniform_work_group_size: 1
    .uses_dynamic_stack: false
    .vgpr_count:     0
    .vgpr_spill_count: 0
    .wavefront_size: 64
  - .agpr_count:     0
    .args:
      - .offset:         0
        .size:           120
        .value_kind:     by_value
    .group_segment_fixed_size: 0
    .kernarg_segment_align: 8
    .kernarg_segment_size: 120
    .language:       OpenCL C
    .language_version:
      - 2
      - 0
    .max_flat_workgroup_size: 256
    .name:           _ZN7rocprim17ROCPRIM_400000_NS6detail17trampoline_kernelINS0_14default_configENS1_27scan_by_key_config_selectorIiiEEZZNS1_16scan_by_key_implILNS1_25lookback_scan_determinismE0ELb0ES3_N6thrust23THRUST_200600_302600_NS6detail15normal_iteratorINS9_10device_ptrIiEEEENS9_18transform_iteratorINS9_6negateIiEESE_NS9_11use_defaultESI_EESE_iNS9_4plusIvEENS9_8equal_toIvEEiEE10hipError_tPvRmT2_T3_T4_T5_mT6_T7_P12ihipStream_tbENKUlT_T0_E_clISt17integral_constantIbLb1EES14_EEDaSZ_S10_EUlSZ_E_NS1_11comp_targetILNS1_3genE10ELNS1_11target_archE1201ELNS1_3gpuE5ELNS1_3repE0EEENS1_30default_config_static_selectorELNS0_4arch9wavefront6targetE1EEEvT1_
    .private_segment_fixed_size: 0
    .sgpr_count:     6
    .sgpr_spill_count: 0
    .symbol:         _ZN7rocprim17ROCPRIM_400000_NS6detail17trampoline_kernelINS0_14default_configENS1_27scan_by_key_config_selectorIiiEEZZNS1_16scan_by_key_implILNS1_25lookback_scan_determinismE0ELb0ES3_N6thrust23THRUST_200600_302600_NS6detail15normal_iteratorINS9_10device_ptrIiEEEENS9_18transform_iteratorINS9_6negateIiEESE_NS9_11use_defaultESI_EESE_iNS9_4plusIvEENS9_8equal_toIvEEiEE10hipError_tPvRmT2_T3_T4_T5_mT6_T7_P12ihipStream_tbENKUlT_T0_E_clISt17integral_constantIbLb1EES14_EEDaSZ_S10_EUlSZ_E_NS1_11comp_targetILNS1_3genE10ELNS1_11target_archE1201ELNS1_3gpuE5ELNS1_3repE0EEENS1_30default_config_static_selectorELNS0_4arch9wavefront6targetE1EEEvT1_.kd
    .uniform_work_group_size: 1
    .uses_dynamic_stack: false
    .vgpr_count:     0
    .vgpr_spill_count: 0
    .wavefront_size: 64
  - .agpr_count:     0
    .args:
      - .offset:         0
        .size:           120
        .value_kind:     by_value
    .group_segment_fixed_size: 25600
    .kernarg_segment_align: 8
    .kernarg_segment_size: 120
    .language:       OpenCL C
    .language_version:
      - 2
      - 0
    .max_flat_workgroup_size: 256
    .name:           _ZN7rocprim17ROCPRIM_400000_NS6detail17trampoline_kernelINS0_14default_configENS1_27scan_by_key_config_selectorIiiEEZZNS1_16scan_by_key_implILNS1_25lookback_scan_determinismE0ELb0ES3_N6thrust23THRUST_200600_302600_NS6detail15normal_iteratorINS9_10device_ptrIiEEEENS9_18transform_iteratorINS9_6negateIiEESE_NS9_11use_defaultESI_EESE_iNS9_4plusIvEENS9_8equal_toIvEEiEE10hipError_tPvRmT2_T3_T4_T5_mT6_T7_P12ihipStream_tbENKUlT_T0_E_clISt17integral_constantIbLb1EES14_EEDaSZ_S10_EUlSZ_E_NS1_11comp_targetILNS1_3genE5ELNS1_11target_archE942ELNS1_3gpuE9ELNS1_3repE0EEENS1_30default_config_static_selectorELNS0_4arch9wavefront6targetE1EEEvT1_
    .private_segment_fixed_size: 0
    .sgpr_count:     91
    .sgpr_spill_count: 0
    .symbol:         _ZN7rocprim17ROCPRIM_400000_NS6detail17trampoline_kernelINS0_14default_configENS1_27scan_by_key_config_selectorIiiEEZZNS1_16scan_by_key_implILNS1_25lookback_scan_determinismE0ELb0ES3_N6thrust23THRUST_200600_302600_NS6detail15normal_iteratorINS9_10device_ptrIiEEEENS9_18transform_iteratorINS9_6negateIiEESE_NS9_11use_defaultESI_EESE_iNS9_4plusIvEENS9_8equal_toIvEEiEE10hipError_tPvRmT2_T3_T4_T5_mT6_T7_P12ihipStream_tbENKUlT_T0_E_clISt17integral_constantIbLb1EES14_EEDaSZ_S10_EUlSZ_E_NS1_11comp_targetILNS1_3genE5ELNS1_11target_archE942ELNS1_3gpuE9ELNS1_3repE0EEENS1_30default_config_static_selectorELNS0_4arch9wavefront6targetE1EEEvT1_.kd
    .uniform_work_group_size: 1
    .uses_dynamic_stack: false
    .vgpr_count:     81
    .vgpr_spill_count: 0
    .wavefront_size: 64
  - .agpr_count:     0
    .args:
      - .offset:         0
        .size:           120
        .value_kind:     by_value
    .group_segment_fixed_size: 0
    .kernarg_segment_align: 8
    .kernarg_segment_size: 120
    .language:       OpenCL C
    .language_version:
      - 2
      - 0
    .max_flat_workgroup_size: 256
    .name:           _ZN7rocprim17ROCPRIM_400000_NS6detail17trampoline_kernelINS0_14default_configENS1_27scan_by_key_config_selectorIiiEEZZNS1_16scan_by_key_implILNS1_25lookback_scan_determinismE0ELb0ES3_N6thrust23THRUST_200600_302600_NS6detail15normal_iteratorINS9_10device_ptrIiEEEENS9_18transform_iteratorINS9_6negateIiEESE_NS9_11use_defaultESI_EESE_iNS9_4plusIvEENS9_8equal_toIvEEiEE10hipError_tPvRmT2_T3_T4_T5_mT6_T7_P12ihipStream_tbENKUlT_T0_E_clISt17integral_constantIbLb1EES14_EEDaSZ_S10_EUlSZ_E_NS1_11comp_targetILNS1_3genE4ELNS1_11target_archE910ELNS1_3gpuE8ELNS1_3repE0EEENS1_30default_config_static_selectorELNS0_4arch9wavefront6targetE1EEEvT1_
    .private_segment_fixed_size: 0
    .sgpr_count:     6
    .sgpr_spill_count: 0
    .symbol:         _ZN7rocprim17ROCPRIM_400000_NS6detail17trampoline_kernelINS0_14default_configENS1_27scan_by_key_config_selectorIiiEEZZNS1_16scan_by_key_implILNS1_25lookback_scan_determinismE0ELb0ES3_N6thrust23THRUST_200600_302600_NS6detail15normal_iteratorINS9_10device_ptrIiEEEENS9_18transform_iteratorINS9_6negateIiEESE_NS9_11use_defaultESI_EESE_iNS9_4plusIvEENS9_8equal_toIvEEiEE10hipError_tPvRmT2_T3_T4_T5_mT6_T7_P12ihipStream_tbENKUlT_T0_E_clISt17integral_constantIbLb1EES14_EEDaSZ_S10_EUlSZ_E_NS1_11comp_targetILNS1_3genE4ELNS1_11target_archE910ELNS1_3gpuE8ELNS1_3repE0EEENS1_30default_config_static_selectorELNS0_4arch9wavefront6targetE1EEEvT1_.kd
    .uniform_work_group_size: 1
    .uses_dynamic_stack: false
    .vgpr_count:     0
    .vgpr_spill_count: 0
    .wavefront_size: 64
  - .agpr_count:     0
    .args:
      - .offset:         0
        .size:           120
        .value_kind:     by_value
    .group_segment_fixed_size: 0
    .kernarg_segment_align: 8
    .kernarg_segment_size: 120
    .language:       OpenCL C
    .language_version:
      - 2
      - 0
    .max_flat_workgroup_size: 256
    .name:           _ZN7rocprim17ROCPRIM_400000_NS6detail17trampoline_kernelINS0_14default_configENS1_27scan_by_key_config_selectorIiiEEZZNS1_16scan_by_key_implILNS1_25lookback_scan_determinismE0ELb0ES3_N6thrust23THRUST_200600_302600_NS6detail15normal_iteratorINS9_10device_ptrIiEEEENS9_18transform_iteratorINS9_6negateIiEESE_NS9_11use_defaultESI_EESE_iNS9_4plusIvEENS9_8equal_toIvEEiEE10hipError_tPvRmT2_T3_T4_T5_mT6_T7_P12ihipStream_tbENKUlT_T0_E_clISt17integral_constantIbLb1EES14_EEDaSZ_S10_EUlSZ_E_NS1_11comp_targetILNS1_3genE3ELNS1_11target_archE908ELNS1_3gpuE7ELNS1_3repE0EEENS1_30default_config_static_selectorELNS0_4arch9wavefront6targetE1EEEvT1_
    .private_segment_fixed_size: 0
    .sgpr_count:     6
    .sgpr_spill_count: 0
    .symbol:         _ZN7rocprim17ROCPRIM_400000_NS6detail17trampoline_kernelINS0_14default_configENS1_27scan_by_key_config_selectorIiiEEZZNS1_16scan_by_key_implILNS1_25lookback_scan_determinismE0ELb0ES3_N6thrust23THRUST_200600_302600_NS6detail15normal_iteratorINS9_10device_ptrIiEEEENS9_18transform_iteratorINS9_6negateIiEESE_NS9_11use_defaultESI_EESE_iNS9_4plusIvEENS9_8equal_toIvEEiEE10hipError_tPvRmT2_T3_T4_T5_mT6_T7_P12ihipStream_tbENKUlT_T0_E_clISt17integral_constantIbLb1EES14_EEDaSZ_S10_EUlSZ_E_NS1_11comp_targetILNS1_3genE3ELNS1_11target_archE908ELNS1_3gpuE7ELNS1_3repE0EEENS1_30default_config_static_selectorELNS0_4arch9wavefront6targetE1EEEvT1_.kd
    .uniform_work_group_size: 1
    .uses_dynamic_stack: false
    .vgpr_count:     0
    .vgpr_spill_count: 0
    .wavefront_size: 64
  - .agpr_count:     0
    .args:
      - .offset:         0
        .size:           120
        .value_kind:     by_value
    .group_segment_fixed_size: 0
    .kernarg_segment_align: 8
    .kernarg_segment_size: 120
    .language:       OpenCL C
    .language_version:
      - 2
      - 0
    .max_flat_workgroup_size: 256
    .name:           _ZN7rocprim17ROCPRIM_400000_NS6detail17trampoline_kernelINS0_14default_configENS1_27scan_by_key_config_selectorIiiEEZZNS1_16scan_by_key_implILNS1_25lookback_scan_determinismE0ELb0ES3_N6thrust23THRUST_200600_302600_NS6detail15normal_iteratorINS9_10device_ptrIiEEEENS9_18transform_iteratorINS9_6negateIiEESE_NS9_11use_defaultESI_EESE_iNS9_4plusIvEENS9_8equal_toIvEEiEE10hipError_tPvRmT2_T3_T4_T5_mT6_T7_P12ihipStream_tbENKUlT_T0_E_clISt17integral_constantIbLb1EES14_EEDaSZ_S10_EUlSZ_E_NS1_11comp_targetILNS1_3genE2ELNS1_11target_archE906ELNS1_3gpuE6ELNS1_3repE0EEENS1_30default_config_static_selectorELNS0_4arch9wavefront6targetE1EEEvT1_
    .private_segment_fixed_size: 0
    .sgpr_count:     6
    .sgpr_spill_count: 0
    .symbol:         _ZN7rocprim17ROCPRIM_400000_NS6detail17trampoline_kernelINS0_14default_configENS1_27scan_by_key_config_selectorIiiEEZZNS1_16scan_by_key_implILNS1_25lookback_scan_determinismE0ELb0ES3_N6thrust23THRUST_200600_302600_NS6detail15normal_iteratorINS9_10device_ptrIiEEEENS9_18transform_iteratorINS9_6negateIiEESE_NS9_11use_defaultESI_EESE_iNS9_4plusIvEENS9_8equal_toIvEEiEE10hipError_tPvRmT2_T3_T4_T5_mT6_T7_P12ihipStream_tbENKUlT_T0_E_clISt17integral_constantIbLb1EES14_EEDaSZ_S10_EUlSZ_E_NS1_11comp_targetILNS1_3genE2ELNS1_11target_archE906ELNS1_3gpuE6ELNS1_3repE0EEENS1_30default_config_static_selectorELNS0_4arch9wavefront6targetE1EEEvT1_.kd
    .uniform_work_group_size: 1
    .uses_dynamic_stack: false
    .vgpr_count:     0
    .vgpr_spill_count: 0
    .wavefront_size: 64
  - .agpr_count:     0
    .args:
      - .offset:         0
        .size:           120
        .value_kind:     by_value
    .group_segment_fixed_size: 0
    .kernarg_segment_align: 8
    .kernarg_segment_size: 120
    .language:       OpenCL C
    .language_version:
      - 2
      - 0
    .max_flat_workgroup_size: 256
    .name:           _ZN7rocprim17ROCPRIM_400000_NS6detail17trampoline_kernelINS0_14default_configENS1_27scan_by_key_config_selectorIiiEEZZNS1_16scan_by_key_implILNS1_25lookback_scan_determinismE0ELb0ES3_N6thrust23THRUST_200600_302600_NS6detail15normal_iteratorINS9_10device_ptrIiEEEENS9_18transform_iteratorINS9_6negateIiEESE_NS9_11use_defaultESI_EESE_iNS9_4plusIvEENS9_8equal_toIvEEiEE10hipError_tPvRmT2_T3_T4_T5_mT6_T7_P12ihipStream_tbENKUlT_T0_E_clISt17integral_constantIbLb1EES14_EEDaSZ_S10_EUlSZ_E_NS1_11comp_targetILNS1_3genE10ELNS1_11target_archE1200ELNS1_3gpuE4ELNS1_3repE0EEENS1_30default_config_static_selectorELNS0_4arch9wavefront6targetE1EEEvT1_
    .private_segment_fixed_size: 0
    .sgpr_count:     6
    .sgpr_spill_count: 0
    .symbol:         _ZN7rocprim17ROCPRIM_400000_NS6detail17trampoline_kernelINS0_14default_configENS1_27scan_by_key_config_selectorIiiEEZZNS1_16scan_by_key_implILNS1_25lookback_scan_determinismE0ELb0ES3_N6thrust23THRUST_200600_302600_NS6detail15normal_iteratorINS9_10device_ptrIiEEEENS9_18transform_iteratorINS9_6negateIiEESE_NS9_11use_defaultESI_EESE_iNS9_4plusIvEENS9_8equal_toIvEEiEE10hipError_tPvRmT2_T3_T4_T5_mT6_T7_P12ihipStream_tbENKUlT_T0_E_clISt17integral_constantIbLb1EES14_EEDaSZ_S10_EUlSZ_E_NS1_11comp_targetILNS1_3genE10ELNS1_11target_archE1200ELNS1_3gpuE4ELNS1_3repE0EEENS1_30default_config_static_selectorELNS0_4arch9wavefront6targetE1EEEvT1_.kd
    .uniform_work_group_size: 1
    .uses_dynamic_stack: false
    .vgpr_count:     0
    .vgpr_spill_count: 0
    .wavefront_size: 64
  - .agpr_count:     0
    .args:
      - .offset:         0
        .size:           120
        .value_kind:     by_value
    .group_segment_fixed_size: 0
    .kernarg_segment_align: 8
    .kernarg_segment_size: 120
    .language:       OpenCL C
    .language_version:
      - 2
      - 0
    .max_flat_workgroup_size: 256
    .name:           _ZN7rocprim17ROCPRIM_400000_NS6detail17trampoline_kernelINS0_14default_configENS1_27scan_by_key_config_selectorIiiEEZZNS1_16scan_by_key_implILNS1_25lookback_scan_determinismE0ELb0ES3_N6thrust23THRUST_200600_302600_NS6detail15normal_iteratorINS9_10device_ptrIiEEEENS9_18transform_iteratorINS9_6negateIiEESE_NS9_11use_defaultESI_EESE_iNS9_4plusIvEENS9_8equal_toIvEEiEE10hipError_tPvRmT2_T3_T4_T5_mT6_T7_P12ihipStream_tbENKUlT_T0_E_clISt17integral_constantIbLb1EES14_EEDaSZ_S10_EUlSZ_E_NS1_11comp_targetILNS1_3genE9ELNS1_11target_archE1100ELNS1_3gpuE3ELNS1_3repE0EEENS1_30default_config_static_selectorELNS0_4arch9wavefront6targetE1EEEvT1_
    .private_segment_fixed_size: 0
    .sgpr_count:     6
    .sgpr_spill_count: 0
    .symbol:         _ZN7rocprim17ROCPRIM_400000_NS6detail17trampoline_kernelINS0_14default_configENS1_27scan_by_key_config_selectorIiiEEZZNS1_16scan_by_key_implILNS1_25lookback_scan_determinismE0ELb0ES3_N6thrust23THRUST_200600_302600_NS6detail15normal_iteratorINS9_10device_ptrIiEEEENS9_18transform_iteratorINS9_6negateIiEESE_NS9_11use_defaultESI_EESE_iNS9_4plusIvEENS9_8equal_toIvEEiEE10hipError_tPvRmT2_T3_T4_T5_mT6_T7_P12ihipStream_tbENKUlT_T0_E_clISt17integral_constantIbLb1EES14_EEDaSZ_S10_EUlSZ_E_NS1_11comp_targetILNS1_3genE9ELNS1_11target_archE1100ELNS1_3gpuE3ELNS1_3repE0EEENS1_30default_config_static_selectorELNS0_4arch9wavefront6targetE1EEEvT1_.kd
    .uniform_work_group_size: 1
    .uses_dynamic_stack: false
    .vgpr_count:     0
    .vgpr_spill_count: 0
    .wavefront_size: 64
  - .agpr_count:     0
    .args:
      - .offset:         0
        .size:           120
        .value_kind:     by_value
    .group_segment_fixed_size: 0
    .kernarg_segment_align: 8
    .kernarg_segment_size: 120
    .language:       OpenCL C
    .language_version:
      - 2
      - 0
    .max_flat_workgroup_size: 256
    .name:           _ZN7rocprim17ROCPRIM_400000_NS6detail17trampoline_kernelINS0_14default_configENS1_27scan_by_key_config_selectorIiiEEZZNS1_16scan_by_key_implILNS1_25lookback_scan_determinismE0ELb0ES3_N6thrust23THRUST_200600_302600_NS6detail15normal_iteratorINS9_10device_ptrIiEEEENS9_18transform_iteratorINS9_6negateIiEESE_NS9_11use_defaultESI_EESE_iNS9_4plusIvEENS9_8equal_toIvEEiEE10hipError_tPvRmT2_T3_T4_T5_mT6_T7_P12ihipStream_tbENKUlT_T0_E_clISt17integral_constantIbLb1EES14_EEDaSZ_S10_EUlSZ_E_NS1_11comp_targetILNS1_3genE8ELNS1_11target_archE1030ELNS1_3gpuE2ELNS1_3repE0EEENS1_30default_config_static_selectorELNS0_4arch9wavefront6targetE1EEEvT1_
    .private_segment_fixed_size: 0
    .sgpr_count:     6
    .sgpr_spill_count: 0
    .symbol:         _ZN7rocprim17ROCPRIM_400000_NS6detail17trampoline_kernelINS0_14default_configENS1_27scan_by_key_config_selectorIiiEEZZNS1_16scan_by_key_implILNS1_25lookback_scan_determinismE0ELb0ES3_N6thrust23THRUST_200600_302600_NS6detail15normal_iteratorINS9_10device_ptrIiEEEENS9_18transform_iteratorINS9_6negateIiEESE_NS9_11use_defaultESI_EESE_iNS9_4plusIvEENS9_8equal_toIvEEiEE10hipError_tPvRmT2_T3_T4_T5_mT6_T7_P12ihipStream_tbENKUlT_T0_E_clISt17integral_constantIbLb1EES14_EEDaSZ_S10_EUlSZ_E_NS1_11comp_targetILNS1_3genE8ELNS1_11target_archE1030ELNS1_3gpuE2ELNS1_3repE0EEENS1_30default_config_static_selectorELNS0_4arch9wavefront6targetE1EEEvT1_.kd
    .uniform_work_group_size: 1
    .uses_dynamic_stack: false
    .vgpr_count:     0
    .vgpr_spill_count: 0
    .wavefront_size: 64
  - .agpr_count:     0
    .args:
      - .offset:         0
        .size:           120
        .value_kind:     by_value
    .group_segment_fixed_size: 0
    .kernarg_segment_align: 8
    .kernarg_segment_size: 120
    .language:       OpenCL C
    .language_version:
      - 2
      - 0
    .max_flat_workgroup_size: 256
    .name:           _ZN7rocprim17ROCPRIM_400000_NS6detail17trampoline_kernelINS0_14default_configENS1_27scan_by_key_config_selectorIiiEEZZNS1_16scan_by_key_implILNS1_25lookback_scan_determinismE0ELb0ES3_N6thrust23THRUST_200600_302600_NS6detail15normal_iteratorINS9_10device_ptrIiEEEENS9_18transform_iteratorINS9_6negateIiEESE_NS9_11use_defaultESI_EESE_iNS9_4plusIvEENS9_8equal_toIvEEiEE10hipError_tPvRmT2_T3_T4_T5_mT6_T7_P12ihipStream_tbENKUlT_T0_E_clISt17integral_constantIbLb1EES13_IbLb0EEEEDaSZ_S10_EUlSZ_E_NS1_11comp_targetILNS1_3genE0ELNS1_11target_archE4294967295ELNS1_3gpuE0ELNS1_3repE0EEENS1_30default_config_static_selectorELNS0_4arch9wavefront6targetE1EEEvT1_
    .private_segment_fixed_size: 0
    .sgpr_count:     6
    .sgpr_spill_count: 0
    .symbol:         _ZN7rocprim17ROCPRIM_400000_NS6detail17trampoline_kernelINS0_14default_configENS1_27scan_by_key_config_selectorIiiEEZZNS1_16scan_by_key_implILNS1_25lookback_scan_determinismE0ELb0ES3_N6thrust23THRUST_200600_302600_NS6detail15normal_iteratorINS9_10device_ptrIiEEEENS9_18transform_iteratorINS9_6negateIiEESE_NS9_11use_defaultESI_EESE_iNS9_4plusIvEENS9_8equal_toIvEEiEE10hipError_tPvRmT2_T3_T4_T5_mT6_T7_P12ihipStream_tbENKUlT_T0_E_clISt17integral_constantIbLb1EES13_IbLb0EEEEDaSZ_S10_EUlSZ_E_NS1_11comp_targetILNS1_3genE0ELNS1_11target_archE4294967295ELNS1_3gpuE0ELNS1_3repE0EEENS1_30default_config_static_selectorELNS0_4arch9wavefront6targetE1EEEvT1_.kd
    .uniform_work_group_size: 1
    .uses_dynamic_stack: false
    .vgpr_count:     0
    .vgpr_spill_count: 0
    .wavefront_size: 64
  - .agpr_count:     0
    .args:
      - .offset:         0
        .size:           120
        .value_kind:     by_value
    .group_segment_fixed_size: 0
    .kernarg_segment_align: 8
    .kernarg_segment_size: 120
    .language:       OpenCL C
    .language_version:
      - 2
      - 0
    .max_flat_workgroup_size: 256
    .name:           _ZN7rocprim17ROCPRIM_400000_NS6detail17trampoline_kernelINS0_14default_configENS1_27scan_by_key_config_selectorIiiEEZZNS1_16scan_by_key_implILNS1_25lookback_scan_determinismE0ELb0ES3_N6thrust23THRUST_200600_302600_NS6detail15normal_iteratorINS9_10device_ptrIiEEEENS9_18transform_iteratorINS9_6negateIiEESE_NS9_11use_defaultESI_EESE_iNS9_4plusIvEENS9_8equal_toIvEEiEE10hipError_tPvRmT2_T3_T4_T5_mT6_T7_P12ihipStream_tbENKUlT_T0_E_clISt17integral_constantIbLb1EES13_IbLb0EEEEDaSZ_S10_EUlSZ_E_NS1_11comp_targetILNS1_3genE10ELNS1_11target_archE1201ELNS1_3gpuE5ELNS1_3repE0EEENS1_30default_config_static_selectorELNS0_4arch9wavefront6targetE1EEEvT1_
    .private_segment_fixed_size: 0
    .sgpr_count:     6
    .sgpr_spill_count: 0
    .symbol:         _ZN7rocprim17ROCPRIM_400000_NS6detail17trampoline_kernelINS0_14default_configENS1_27scan_by_key_config_selectorIiiEEZZNS1_16scan_by_key_implILNS1_25lookback_scan_determinismE0ELb0ES3_N6thrust23THRUST_200600_302600_NS6detail15normal_iteratorINS9_10device_ptrIiEEEENS9_18transform_iteratorINS9_6negateIiEESE_NS9_11use_defaultESI_EESE_iNS9_4plusIvEENS9_8equal_toIvEEiEE10hipError_tPvRmT2_T3_T4_T5_mT6_T7_P12ihipStream_tbENKUlT_T0_E_clISt17integral_constantIbLb1EES13_IbLb0EEEEDaSZ_S10_EUlSZ_E_NS1_11comp_targetILNS1_3genE10ELNS1_11target_archE1201ELNS1_3gpuE5ELNS1_3repE0EEENS1_30default_config_static_selectorELNS0_4arch9wavefront6targetE1EEEvT1_.kd
    .uniform_work_group_size: 1
    .uses_dynamic_stack: false
    .vgpr_count:     0
    .vgpr_spill_count: 0
    .wavefront_size: 64
  - .agpr_count:     0
    .args:
      - .offset:         0
        .size:           120
        .value_kind:     by_value
    .group_segment_fixed_size: 25600
    .kernarg_segment_align: 8
    .kernarg_segment_size: 120
    .language:       OpenCL C
    .language_version:
      - 2
      - 0
    .max_flat_workgroup_size: 256
    .name:           _ZN7rocprim17ROCPRIM_400000_NS6detail17trampoline_kernelINS0_14default_configENS1_27scan_by_key_config_selectorIiiEEZZNS1_16scan_by_key_implILNS1_25lookback_scan_determinismE0ELb0ES3_N6thrust23THRUST_200600_302600_NS6detail15normal_iteratorINS9_10device_ptrIiEEEENS9_18transform_iteratorINS9_6negateIiEESE_NS9_11use_defaultESI_EESE_iNS9_4plusIvEENS9_8equal_toIvEEiEE10hipError_tPvRmT2_T3_T4_T5_mT6_T7_P12ihipStream_tbENKUlT_T0_E_clISt17integral_constantIbLb1EES13_IbLb0EEEEDaSZ_S10_EUlSZ_E_NS1_11comp_targetILNS1_3genE5ELNS1_11target_archE942ELNS1_3gpuE9ELNS1_3repE0EEENS1_30default_config_static_selectorELNS0_4arch9wavefront6targetE1EEEvT1_
    .private_segment_fixed_size: 0
    .sgpr_count:     88
    .sgpr_spill_count: 0
    .symbol:         _ZN7rocprim17ROCPRIM_400000_NS6detail17trampoline_kernelINS0_14default_configENS1_27scan_by_key_config_selectorIiiEEZZNS1_16scan_by_key_implILNS1_25lookback_scan_determinismE0ELb0ES3_N6thrust23THRUST_200600_302600_NS6detail15normal_iteratorINS9_10device_ptrIiEEEENS9_18transform_iteratorINS9_6negateIiEESE_NS9_11use_defaultESI_EESE_iNS9_4plusIvEENS9_8equal_toIvEEiEE10hipError_tPvRmT2_T3_T4_T5_mT6_T7_P12ihipStream_tbENKUlT_T0_E_clISt17integral_constantIbLb1EES13_IbLb0EEEEDaSZ_S10_EUlSZ_E_NS1_11comp_targetILNS1_3genE5ELNS1_11target_archE942ELNS1_3gpuE9ELNS1_3repE0EEENS1_30default_config_static_selectorELNS0_4arch9wavefront6targetE1EEEvT1_.kd
    .uniform_work_group_size: 1
    .uses_dynamic_stack: false
    .vgpr_count:     81
    .vgpr_spill_count: 0
    .wavefront_size: 64
  - .agpr_count:     0
    .args:
      - .offset:         0
        .size:           120
        .value_kind:     by_value
    .group_segment_fixed_size: 0
    .kernarg_segment_align: 8
    .kernarg_segment_size: 120
    .language:       OpenCL C
    .language_version:
      - 2
      - 0
    .max_flat_workgroup_size: 256
    .name:           _ZN7rocprim17ROCPRIM_400000_NS6detail17trampoline_kernelINS0_14default_configENS1_27scan_by_key_config_selectorIiiEEZZNS1_16scan_by_key_implILNS1_25lookback_scan_determinismE0ELb0ES3_N6thrust23THRUST_200600_302600_NS6detail15normal_iteratorINS9_10device_ptrIiEEEENS9_18transform_iteratorINS9_6negateIiEESE_NS9_11use_defaultESI_EESE_iNS9_4plusIvEENS9_8equal_toIvEEiEE10hipError_tPvRmT2_T3_T4_T5_mT6_T7_P12ihipStream_tbENKUlT_T0_E_clISt17integral_constantIbLb1EES13_IbLb0EEEEDaSZ_S10_EUlSZ_E_NS1_11comp_targetILNS1_3genE4ELNS1_11target_archE910ELNS1_3gpuE8ELNS1_3repE0EEENS1_30default_config_static_selectorELNS0_4arch9wavefront6targetE1EEEvT1_
    .private_segment_fixed_size: 0
    .sgpr_count:     6
    .sgpr_spill_count: 0
    .symbol:         _ZN7rocprim17ROCPRIM_400000_NS6detail17trampoline_kernelINS0_14default_configENS1_27scan_by_key_config_selectorIiiEEZZNS1_16scan_by_key_implILNS1_25lookback_scan_determinismE0ELb0ES3_N6thrust23THRUST_200600_302600_NS6detail15normal_iteratorINS9_10device_ptrIiEEEENS9_18transform_iteratorINS9_6negateIiEESE_NS9_11use_defaultESI_EESE_iNS9_4plusIvEENS9_8equal_toIvEEiEE10hipError_tPvRmT2_T3_T4_T5_mT6_T7_P12ihipStream_tbENKUlT_T0_E_clISt17integral_constantIbLb1EES13_IbLb0EEEEDaSZ_S10_EUlSZ_E_NS1_11comp_targetILNS1_3genE4ELNS1_11target_archE910ELNS1_3gpuE8ELNS1_3repE0EEENS1_30default_config_static_selectorELNS0_4arch9wavefront6targetE1EEEvT1_.kd
    .uniform_work_group_size: 1
    .uses_dynamic_stack: false
    .vgpr_count:     0
    .vgpr_spill_count: 0
    .wavefront_size: 64
  - .agpr_count:     0
    .args:
      - .offset:         0
        .size:           120
        .value_kind:     by_value
    .group_segment_fixed_size: 0
    .kernarg_segment_align: 8
    .kernarg_segment_size: 120
    .language:       OpenCL C
    .language_version:
      - 2
      - 0
    .max_flat_workgroup_size: 256
    .name:           _ZN7rocprim17ROCPRIM_400000_NS6detail17trampoline_kernelINS0_14default_configENS1_27scan_by_key_config_selectorIiiEEZZNS1_16scan_by_key_implILNS1_25lookback_scan_determinismE0ELb0ES3_N6thrust23THRUST_200600_302600_NS6detail15normal_iteratorINS9_10device_ptrIiEEEENS9_18transform_iteratorINS9_6negateIiEESE_NS9_11use_defaultESI_EESE_iNS9_4plusIvEENS9_8equal_toIvEEiEE10hipError_tPvRmT2_T3_T4_T5_mT6_T7_P12ihipStream_tbENKUlT_T0_E_clISt17integral_constantIbLb1EES13_IbLb0EEEEDaSZ_S10_EUlSZ_E_NS1_11comp_targetILNS1_3genE3ELNS1_11target_archE908ELNS1_3gpuE7ELNS1_3repE0EEENS1_30default_config_static_selectorELNS0_4arch9wavefront6targetE1EEEvT1_
    .private_segment_fixed_size: 0
    .sgpr_count:     6
    .sgpr_spill_count: 0
    .symbol:         _ZN7rocprim17ROCPRIM_400000_NS6detail17trampoline_kernelINS0_14default_configENS1_27scan_by_key_config_selectorIiiEEZZNS1_16scan_by_key_implILNS1_25lookback_scan_determinismE0ELb0ES3_N6thrust23THRUST_200600_302600_NS6detail15normal_iteratorINS9_10device_ptrIiEEEENS9_18transform_iteratorINS9_6negateIiEESE_NS9_11use_defaultESI_EESE_iNS9_4plusIvEENS9_8equal_toIvEEiEE10hipError_tPvRmT2_T3_T4_T5_mT6_T7_P12ihipStream_tbENKUlT_T0_E_clISt17integral_constantIbLb1EES13_IbLb0EEEEDaSZ_S10_EUlSZ_E_NS1_11comp_targetILNS1_3genE3ELNS1_11target_archE908ELNS1_3gpuE7ELNS1_3repE0EEENS1_30default_config_static_selectorELNS0_4arch9wavefront6targetE1EEEvT1_.kd
    .uniform_work_group_size: 1
    .uses_dynamic_stack: false
    .vgpr_count:     0
    .vgpr_spill_count: 0
    .wavefront_size: 64
  - .agpr_count:     0
    .args:
      - .offset:         0
        .size:           120
        .value_kind:     by_value
    .group_segment_fixed_size: 0
    .kernarg_segment_align: 8
    .kernarg_segment_size: 120
    .language:       OpenCL C
    .language_version:
      - 2
      - 0
    .max_flat_workgroup_size: 256
    .name:           _ZN7rocprim17ROCPRIM_400000_NS6detail17trampoline_kernelINS0_14default_configENS1_27scan_by_key_config_selectorIiiEEZZNS1_16scan_by_key_implILNS1_25lookback_scan_determinismE0ELb0ES3_N6thrust23THRUST_200600_302600_NS6detail15normal_iteratorINS9_10device_ptrIiEEEENS9_18transform_iteratorINS9_6negateIiEESE_NS9_11use_defaultESI_EESE_iNS9_4plusIvEENS9_8equal_toIvEEiEE10hipError_tPvRmT2_T3_T4_T5_mT6_T7_P12ihipStream_tbENKUlT_T0_E_clISt17integral_constantIbLb1EES13_IbLb0EEEEDaSZ_S10_EUlSZ_E_NS1_11comp_targetILNS1_3genE2ELNS1_11target_archE906ELNS1_3gpuE6ELNS1_3repE0EEENS1_30default_config_static_selectorELNS0_4arch9wavefront6targetE1EEEvT1_
    .private_segment_fixed_size: 0
    .sgpr_count:     6
    .sgpr_spill_count: 0
    .symbol:         _ZN7rocprim17ROCPRIM_400000_NS6detail17trampoline_kernelINS0_14default_configENS1_27scan_by_key_config_selectorIiiEEZZNS1_16scan_by_key_implILNS1_25lookback_scan_determinismE0ELb0ES3_N6thrust23THRUST_200600_302600_NS6detail15normal_iteratorINS9_10device_ptrIiEEEENS9_18transform_iteratorINS9_6negateIiEESE_NS9_11use_defaultESI_EESE_iNS9_4plusIvEENS9_8equal_toIvEEiEE10hipError_tPvRmT2_T3_T4_T5_mT6_T7_P12ihipStream_tbENKUlT_T0_E_clISt17integral_constantIbLb1EES13_IbLb0EEEEDaSZ_S10_EUlSZ_E_NS1_11comp_targetILNS1_3genE2ELNS1_11target_archE906ELNS1_3gpuE6ELNS1_3repE0EEENS1_30default_config_static_selectorELNS0_4arch9wavefront6targetE1EEEvT1_.kd
    .uniform_work_group_size: 1
    .uses_dynamic_stack: false
    .vgpr_count:     0
    .vgpr_spill_count: 0
    .wavefront_size: 64
  - .agpr_count:     0
    .args:
      - .offset:         0
        .size:           120
        .value_kind:     by_value
    .group_segment_fixed_size: 0
    .kernarg_segment_align: 8
    .kernarg_segment_size: 120
    .language:       OpenCL C
    .language_version:
      - 2
      - 0
    .max_flat_workgroup_size: 256
    .name:           _ZN7rocprim17ROCPRIM_400000_NS6detail17trampoline_kernelINS0_14default_configENS1_27scan_by_key_config_selectorIiiEEZZNS1_16scan_by_key_implILNS1_25lookback_scan_determinismE0ELb0ES3_N6thrust23THRUST_200600_302600_NS6detail15normal_iteratorINS9_10device_ptrIiEEEENS9_18transform_iteratorINS9_6negateIiEESE_NS9_11use_defaultESI_EESE_iNS9_4plusIvEENS9_8equal_toIvEEiEE10hipError_tPvRmT2_T3_T4_T5_mT6_T7_P12ihipStream_tbENKUlT_T0_E_clISt17integral_constantIbLb1EES13_IbLb0EEEEDaSZ_S10_EUlSZ_E_NS1_11comp_targetILNS1_3genE10ELNS1_11target_archE1200ELNS1_3gpuE4ELNS1_3repE0EEENS1_30default_config_static_selectorELNS0_4arch9wavefront6targetE1EEEvT1_
    .private_segment_fixed_size: 0
    .sgpr_count:     6
    .sgpr_spill_count: 0
    .symbol:         _ZN7rocprim17ROCPRIM_400000_NS6detail17trampoline_kernelINS0_14default_configENS1_27scan_by_key_config_selectorIiiEEZZNS1_16scan_by_key_implILNS1_25lookback_scan_determinismE0ELb0ES3_N6thrust23THRUST_200600_302600_NS6detail15normal_iteratorINS9_10device_ptrIiEEEENS9_18transform_iteratorINS9_6negateIiEESE_NS9_11use_defaultESI_EESE_iNS9_4plusIvEENS9_8equal_toIvEEiEE10hipError_tPvRmT2_T3_T4_T5_mT6_T7_P12ihipStream_tbENKUlT_T0_E_clISt17integral_constantIbLb1EES13_IbLb0EEEEDaSZ_S10_EUlSZ_E_NS1_11comp_targetILNS1_3genE10ELNS1_11target_archE1200ELNS1_3gpuE4ELNS1_3repE0EEENS1_30default_config_static_selectorELNS0_4arch9wavefront6targetE1EEEvT1_.kd
    .uniform_work_group_size: 1
    .uses_dynamic_stack: false
    .vgpr_count:     0
    .vgpr_spill_count: 0
    .wavefront_size: 64
  - .agpr_count:     0
    .args:
      - .offset:         0
        .size:           120
        .value_kind:     by_value
    .group_segment_fixed_size: 0
    .kernarg_segment_align: 8
    .kernarg_segment_size: 120
    .language:       OpenCL C
    .language_version:
      - 2
      - 0
    .max_flat_workgroup_size: 256
    .name:           _ZN7rocprim17ROCPRIM_400000_NS6detail17trampoline_kernelINS0_14default_configENS1_27scan_by_key_config_selectorIiiEEZZNS1_16scan_by_key_implILNS1_25lookback_scan_determinismE0ELb0ES3_N6thrust23THRUST_200600_302600_NS6detail15normal_iteratorINS9_10device_ptrIiEEEENS9_18transform_iteratorINS9_6negateIiEESE_NS9_11use_defaultESI_EESE_iNS9_4plusIvEENS9_8equal_toIvEEiEE10hipError_tPvRmT2_T3_T4_T5_mT6_T7_P12ihipStream_tbENKUlT_T0_E_clISt17integral_constantIbLb1EES13_IbLb0EEEEDaSZ_S10_EUlSZ_E_NS1_11comp_targetILNS1_3genE9ELNS1_11target_archE1100ELNS1_3gpuE3ELNS1_3repE0EEENS1_30default_config_static_selectorELNS0_4arch9wavefront6targetE1EEEvT1_
    .private_segment_fixed_size: 0
    .sgpr_count:     6
    .sgpr_spill_count: 0
    .symbol:         _ZN7rocprim17ROCPRIM_400000_NS6detail17trampoline_kernelINS0_14default_configENS1_27scan_by_key_config_selectorIiiEEZZNS1_16scan_by_key_implILNS1_25lookback_scan_determinismE0ELb0ES3_N6thrust23THRUST_200600_302600_NS6detail15normal_iteratorINS9_10device_ptrIiEEEENS9_18transform_iteratorINS9_6negateIiEESE_NS9_11use_defaultESI_EESE_iNS9_4plusIvEENS9_8equal_toIvEEiEE10hipError_tPvRmT2_T3_T4_T5_mT6_T7_P12ihipStream_tbENKUlT_T0_E_clISt17integral_constantIbLb1EES13_IbLb0EEEEDaSZ_S10_EUlSZ_E_NS1_11comp_targetILNS1_3genE9ELNS1_11target_archE1100ELNS1_3gpuE3ELNS1_3repE0EEENS1_30default_config_static_selectorELNS0_4arch9wavefront6targetE1EEEvT1_.kd
    .uniform_work_group_size: 1
    .uses_dynamic_stack: false
    .vgpr_count:     0
    .vgpr_spill_count: 0
    .wavefront_size: 64
  - .agpr_count:     0
    .args:
      - .offset:         0
        .size:           120
        .value_kind:     by_value
    .group_segment_fixed_size: 0
    .kernarg_segment_align: 8
    .kernarg_segment_size: 120
    .language:       OpenCL C
    .language_version:
      - 2
      - 0
    .max_flat_workgroup_size: 256
    .name:           _ZN7rocprim17ROCPRIM_400000_NS6detail17trampoline_kernelINS0_14default_configENS1_27scan_by_key_config_selectorIiiEEZZNS1_16scan_by_key_implILNS1_25lookback_scan_determinismE0ELb0ES3_N6thrust23THRUST_200600_302600_NS6detail15normal_iteratorINS9_10device_ptrIiEEEENS9_18transform_iteratorINS9_6negateIiEESE_NS9_11use_defaultESI_EESE_iNS9_4plusIvEENS9_8equal_toIvEEiEE10hipError_tPvRmT2_T3_T4_T5_mT6_T7_P12ihipStream_tbENKUlT_T0_E_clISt17integral_constantIbLb1EES13_IbLb0EEEEDaSZ_S10_EUlSZ_E_NS1_11comp_targetILNS1_3genE8ELNS1_11target_archE1030ELNS1_3gpuE2ELNS1_3repE0EEENS1_30default_config_static_selectorELNS0_4arch9wavefront6targetE1EEEvT1_
    .private_segment_fixed_size: 0
    .sgpr_count:     6
    .sgpr_spill_count: 0
    .symbol:         _ZN7rocprim17ROCPRIM_400000_NS6detail17trampoline_kernelINS0_14default_configENS1_27scan_by_key_config_selectorIiiEEZZNS1_16scan_by_key_implILNS1_25lookback_scan_determinismE0ELb0ES3_N6thrust23THRUST_200600_302600_NS6detail15normal_iteratorINS9_10device_ptrIiEEEENS9_18transform_iteratorINS9_6negateIiEESE_NS9_11use_defaultESI_EESE_iNS9_4plusIvEENS9_8equal_toIvEEiEE10hipError_tPvRmT2_T3_T4_T5_mT6_T7_P12ihipStream_tbENKUlT_T0_E_clISt17integral_constantIbLb1EES13_IbLb0EEEEDaSZ_S10_EUlSZ_E_NS1_11comp_targetILNS1_3genE8ELNS1_11target_archE1030ELNS1_3gpuE2ELNS1_3repE0EEENS1_30default_config_static_selectorELNS0_4arch9wavefront6targetE1EEEvT1_.kd
    .uniform_work_group_size: 1
    .uses_dynamic_stack: false
    .vgpr_count:     0
    .vgpr_spill_count: 0
    .wavefront_size: 64
  - .agpr_count:     0
    .args:
      - .offset:         0
        .size:           120
        .value_kind:     by_value
    .group_segment_fixed_size: 0
    .kernarg_segment_align: 8
    .kernarg_segment_size: 120
    .language:       OpenCL C
    .language_version:
      - 2
      - 0
    .max_flat_workgroup_size: 256
    .name:           _ZN7rocprim17ROCPRIM_400000_NS6detail17trampoline_kernelINS0_14default_configENS1_27scan_by_key_config_selectorIiiEEZZNS1_16scan_by_key_implILNS1_25lookback_scan_determinismE0ELb0ES3_N6thrust23THRUST_200600_302600_NS6detail15normal_iteratorINS9_10device_ptrIiEEEENS9_18transform_iteratorINS9_6negateIiEESE_NS9_11use_defaultESI_EESE_iNS9_4plusIvEENS9_8equal_toIvEEiEE10hipError_tPvRmT2_T3_T4_T5_mT6_T7_P12ihipStream_tbENKUlT_T0_E_clISt17integral_constantIbLb0EES13_IbLb1EEEEDaSZ_S10_EUlSZ_E_NS1_11comp_targetILNS1_3genE0ELNS1_11target_archE4294967295ELNS1_3gpuE0ELNS1_3repE0EEENS1_30default_config_static_selectorELNS0_4arch9wavefront6targetE1EEEvT1_
    .private_segment_fixed_size: 0
    .sgpr_count:     6
    .sgpr_spill_count: 0
    .symbol:         _ZN7rocprim17ROCPRIM_400000_NS6detail17trampoline_kernelINS0_14default_configENS1_27scan_by_key_config_selectorIiiEEZZNS1_16scan_by_key_implILNS1_25lookback_scan_determinismE0ELb0ES3_N6thrust23THRUST_200600_302600_NS6detail15normal_iteratorINS9_10device_ptrIiEEEENS9_18transform_iteratorINS9_6negateIiEESE_NS9_11use_defaultESI_EESE_iNS9_4plusIvEENS9_8equal_toIvEEiEE10hipError_tPvRmT2_T3_T4_T5_mT6_T7_P12ihipStream_tbENKUlT_T0_E_clISt17integral_constantIbLb0EES13_IbLb1EEEEDaSZ_S10_EUlSZ_E_NS1_11comp_targetILNS1_3genE0ELNS1_11target_archE4294967295ELNS1_3gpuE0ELNS1_3repE0EEENS1_30default_config_static_selectorELNS0_4arch9wavefront6targetE1EEEvT1_.kd
    .uniform_work_group_size: 1
    .uses_dynamic_stack: false
    .vgpr_count:     0
    .vgpr_spill_count: 0
    .wavefront_size: 64
  - .agpr_count:     0
    .args:
      - .offset:         0
        .size:           120
        .value_kind:     by_value
    .group_segment_fixed_size: 0
    .kernarg_segment_align: 8
    .kernarg_segment_size: 120
    .language:       OpenCL C
    .language_version:
      - 2
      - 0
    .max_flat_workgroup_size: 256
    .name:           _ZN7rocprim17ROCPRIM_400000_NS6detail17trampoline_kernelINS0_14default_configENS1_27scan_by_key_config_selectorIiiEEZZNS1_16scan_by_key_implILNS1_25lookback_scan_determinismE0ELb0ES3_N6thrust23THRUST_200600_302600_NS6detail15normal_iteratorINS9_10device_ptrIiEEEENS9_18transform_iteratorINS9_6negateIiEESE_NS9_11use_defaultESI_EESE_iNS9_4plusIvEENS9_8equal_toIvEEiEE10hipError_tPvRmT2_T3_T4_T5_mT6_T7_P12ihipStream_tbENKUlT_T0_E_clISt17integral_constantIbLb0EES13_IbLb1EEEEDaSZ_S10_EUlSZ_E_NS1_11comp_targetILNS1_3genE10ELNS1_11target_archE1201ELNS1_3gpuE5ELNS1_3repE0EEENS1_30default_config_static_selectorELNS0_4arch9wavefront6targetE1EEEvT1_
    .private_segment_fixed_size: 0
    .sgpr_count:     6
    .sgpr_spill_count: 0
    .symbol:         _ZN7rocprim17ROCPRIM_400000_NS6detail17trampoline_kernelINS0_14default_configENS1_27scan_by_key_config_selectorIiiEEZZNS1_16scan_by_key_implILNS1_25lookback_scan_determinismE0ELb0ES3_N6thrust23THRUST_200600_302600_NS6detail15normal_iteratorINS9_10device_ptrIiEEEENS9_18transform_iteratorINS9_6negateIiEESE_NS9_11use_defaultESI_EESE_iNS9_4plusIvEENS9_8equal_toIvEEiEE10hipError_tPvRmT2_T3_T4_T5_mT6_T7_P12ihipStream_tbENKUlT_T0_E_clISt17integral_constantIbLb0EES13_IbLb1EEEEDaSZ_S10_EUlSZ_E_NS1_11comp_targetILNS1_3genE10ELNS1_11target_archE1201ELNS1_3gpuE5ELNS1_3repE0EEENS1_30default_config_static_selectorELNS0_4arch9wavefront6targetE1EEEvT1_.kd
    .uniform_work_group_size: 1
    .uses_dynamic_stack: false
    .vgpr_count:     0
    .vgpr_spill_count: 0
    .wavefront_size: 64
  - .agpr_count:     0
    .args:
      - .offset:         0
        .size:           120
        .value_kind:     by_value
    .group_segment_fixed_size: 25600
    .kernarg_segment_align: 8
    .kernarg_segment_size: 120
    .language:       OpenCL C
    .language_version:
      - 2
      - 0
    .max_flat_workgroup_size: 256
    .name:           _ZN7rocprim17ROCPRIM_400000_NS6detail17trampoline_kernelINS0_14default_configENS1_27scan_by_key_config_selectorIiiEEZZNS1_16scan_by_key_implILNS1_25lookback_scan_determinismE0ELb0ES3_N6thrust23THRUST_200600_302600_NS6detail15normal_iteratorINS9_10device_ptrIiEEEENS9_18transform_iteratorINS9_6negateIiEESE_NS9_11use_defaultESI_EESE_iNS9_4plusIvEENS9_8equal_toIvEEiEE10hipError_tPvRmT2_T3_T4_T5_mT6_T7_P12ihipStream_tbENKUlT_T0_E_clISt17integral_constantIbLb0EES13_IbLb1EEEEDaSZ_S10_EUlSZ_E_NS1_11comp_targetILNS1_3genE5ELNS1_11target_archE942ELNS1_3gpuE9ELNS1_3repE0EEENS1_30default_config_static_selectorELNS0_4arch9wavefront6targetE1EEEvT1_
    .private_segment_fixed_size: 0
    .sgpr_count:     91
    .sgpr_spill_count: 0
    .symbol:         _ZN7rocprim17ROCPRIM_400000_NS6detail17trampoline_kernelINS0_14default_configENS1_27scan_by_key_config_selectorIiiEEZZNS1_16scan_by_key_implILNS1_25lookback_scan_determinismE0ELb0ES3_N6thrust23THRUST_200600_302600_NS6detail15normal_iteratorINS9_10device_ptrIiEEEENS9_18transform_iteratorINS9_6negateIiEESE_NS9_11use_defaultESI_EESE_iNS9_4plusIvEENS9_8equal_toIvEEiEE10hipError_tPvRmT2_T3_T4_T5_mT6_T7_P12ihipStream_tbENKUlT_T0_E_clISt17integral_constantIbLb0EES13_IbLb1EEEEDaSZ_S10_EUlSZ_E_NS1_11comp_targetILNS1_3genE5ELNS1_11target_archE942ELNS1_3gpuE9ELNS1_3repE0EEENS1_30default_config_static_selectorELNS0_4arch9wavefront6targetE1EEEvT1_.kd
    .uniform_work_group_size: 1
    .uses_dynamic_stack: false
    .vgpr_count:     81
    .vgpr_spill_count: 0
    .wavefront_size: 64
  - .agpr_count:     0
    .args:
      - .offset:         0
        .size:           120
        .value_kind:     by_value
    .group_segment_fixed_size: 0
    .kernarg_segment_align: 8
    .kernarg_segment_size: 120
    .language:       OpenCL C
    .language_version:
      - 2
      - 0
    .max_flat_workgroup_size: 256
    .name:           _ZN7rocprim17ROCPRIM_400000_NS6detail17trampoline_kernelINS0_14default_configENS1_27scan_by_key_config_selectorIiiEEZZNS1_16scan_by_key_implILNS1_25lookback_scan_determinismE0ELb0ES3_N6thrust23THRUST_200600_302600_NS6detail15normal_iteratorINS9_10device_ptrIiEEEENS9_18transform_iteratorINS9_6negateIiEESE_NS9_11use_defaultESI_EESE_iNS9_4plusIvEENS9_8equal_toIvEEiEE10hipError_tPvRmT2_T3_T4_T5_mT6_T7_P12ihipStream_tbENKUlT_T0_E_clISt17integral_constantIbLb0EES13_IbLb1EEEEDaSZ_S10_EUlSZ_E_NS1_11comp_targetILNS1_3genE4ELNS1_11target_archE910ELNS1_3gpuE8ELNS1_3repE0EEENS1_30default_config_static_selectorELNS0_4arch9wavefront6targetE1EEEvT1_
    .private_segment_fixed_size: 0
    .sgpr_count:     6
    .sgpr_spill_count: 0
    .symbol:         _ZN7rocprim17ROCPRIM_400000_NS6detail17trampoline_kernelINS0_14default_configENS1_27scan_by_key_config_selectorIiiEEZZNS1_16scan_by_key_implILNS1_25lookback_scan_determinismE0ELb0ES3_N6thrust23THRUST_200600_302600_NS6detail15normal_iteratorINS9_10device_ptrIiEEEENS9_18transform_iteratorINS9_6negateIiEESE_NS9_11use_defaultESI_EESE_iNS9_4plusIvEENS9_8equal_toIvEEiEE10hipError_tPvRmT2_T3_T4_T5_mT6_T7_P12ihipStream_tbENKUlT_T0_E_clISt17integral_constantIbLb0EES13_IbLb1EEEEDaSZ_S10_EUlSZ_E_NS1_11comp_targetILNS1_3genE4ELNS1_11target_archE910ELNS1_3gpuE8ELNS1_3repE0EEENS1_30default_config_static_selectorELNS0_4arch9wavefront6targetE1EEEvT1_.kd
    .uniform_work_group_size: 1
    .uses_dynamic_stack: false
    .vgpr_count:     0
    .vgpr_spill_count: 0
    .wavefront_size: 64
  - .agpr_count:     0
    .args:
      - .offset:         0
        .size:           120
        .value_kind:     by_value
    .group_segment_fixed_size: 0
    .kernarg_segment_align: 8
    .kernarg_segment_size: 120
    .language:       OpenCL C
    .language_version:
      - 2
      - 0
    .max_flat_workgroup_size: 256
    .name:           _ZN7rocprim17ROCPRIM_400000_NS6detail17trampoline_kernelINS0_14default_configENS1_27scan_by_key_config_selectorIiiEEZZNS1_16scan_by_key_implILNS1_25lookback_scan_determinismE0ELb0ES3_N6thrust23THRUST_200600_302600_NS6detail15normal_iteratorINS9_10device_ptrIiEEEENS9_18transform_iteratorINS9_6negateIiEESE_NS9_11use_defaultESI_EESE_iNS9_4plusIvEENS9_8equal_toIvEEiEE10hipError_tPvRmT2_T3_T4_T5_mT6_T7_P12ihipStream_tbENKUlT_T0_E_clISt17integral_constantIbLb0EES13_IbLb1EEEEDaSZ_S10_EUlSZ_E_NS1_11comp_targetILNS1_3genE3ELNS1_11target_archE908ELNS1_3gpuE7ELNS1_3repE0EEENS1_30default_config_static_selectorELNS0_4arch9wavefront6targetE1EEEvT1_
    .private_segment_fixed_size: 0
    .sgpr_count:     6
    .sgpr_spill_count: 0
    .symbol:         _ZN7rocprim17ROCPRIM_400000_NS6detail17trampoline_kernelINS0_14default_configENS1_27scan_by_key_config_selectorIiiEEZZNS1_16scan_by_key_implILNS1_25lookback_scan_determinismE0ELb0ES3_N6thrust23THRUST_200600_302600_NS6detail15normal_iteratorINS9_10device_ptrIiEEEENS9_18transform_iteratorINS9_6negateIiEESE_NS9_11use_defaultESI_EESE_iNS9_4plusIvEENS9_8equal_toIvEEiEE10hipError_tPvRmT2_T3_T4_T5_mT6_T7_P12ihipStream_tbENKUlT_T0_E_clISt17integral_constantIbLb0EES13_IbLb1EEEEDaSZ_S10_EUlSZ_E_NS1_11comp_targetILNS1_3genE3ELNS1_11target_archE908ELNS1_3gpuE7ELNS1_3repE0EEENS1_30default_config_static_selectorELNS0_4arch9wavefront6targetE1EEEvT1_.kd
    .uniform_work_group_size: 1
    .uses_dynamic_stack: false
    .vgpr_count:     0
    .vgpr_spill_count: 0
    .wavefront_size: 64
  - .agpr_count:     0
    .args:
      - .offset:         0
        .size:           120
        .value_kind:     by_value
    .group_segment_fixed_size: 0
    .kernarg_segment_align: 8
    .kernarg_segment_size: 120
    .language:       OpenCL C
    .language_version:
      - 2
      - 0
    .max_flat_workgroup_size: 256
    .name:           _ZN7rocprim17ROCPRIM_400000_NS6detail17trampoline_kernelINS0_14default_configENS1_27scan_by_key_config_selectorIiiEEZZNS1_16scan_by_key_implILNS1_25lookback_scan_determinismE0ELb0ES3_N6thrust23THRUST_200600_302600_NS6detail15normal_iteratorINS9_10device_ptrIiEEEENS9_18transform_iteratorINS9_6negateIiEESE_NS9_11use_defaultESI_EESE_iNS9_4plusIvEENS9_8equal_toIvEEiEE10hipError_tPvRmT2_T3_T4_T5_mT6_T7_P12ihipStream_tbENKUlT_T0_E_clISt17integral_constantIbLb0EES13_IbLb1EEEEDaSZ_S10_EUlSZ_E_NS1_11comp_targetILNS1_3genE2ELNS1_11target_archE906ELNS1_3gpuE6ELNS1_3repE0EEENS1_30default_config_static_selectorELNS0_4arch9wavefront6targetE1EEEvT1_
    .private_segment_fixed_size: 0
    .sgpr_count:     6
    .sgpr_spill_count: 0
    .symbol:         _ZN7rocprim17ROCPRIM_400000_NS6detail17trampoline_kernelINS0_14default_configENS1_27scan_by_key_config_selectorIiiEEZZNS1_16scan_by_key_implILNS1_25lookback_scan_determinismE0ELb0ES3_N6thrust23THRUST_200600_302600_NS6detail15normal_iteratorINS9_10device_ptrIiEEEENS9_18transform_iteratorINS9_6negateIiEESE_NS9_11use_defaultESI_EESE_iNS9_4plusIvEENS9_8equal_toIvEEiEE10hipError_tPvRmT2_T3_T4_T5_mT6_T7_P12ihipStream_tbENKUlT_T0_E_clISt17integral_constantIbLb0EES13_IbLb1EEEEDaSZ_S10_EUlSZ_E_NS1_11comp_targetILNS1_3genE2ELNS1_11target_archE906ELNS1_3gpuE6ELNS1_3repE0EEENS1_30default_config_static_selectorELNS0_4arch9wavefront6targetE1EEEvT1_.kd
    .uniform_work_group_size: 1
    .uses_dynamic_stack: false
    .vgpr_count:     0
    .vgpr_spill_count: 0
    .wavefront_size: 64
  - .agpr_count:     0
    .args:
      - .offset:         0
        .size:           120
        .value_kind:     by_value
    .group_segment_fixed_size: 0
    .kernarg_segment_align: 8
    .kernarg_segment_size: 120
    .language:       OpenCL C
    .language_version:
      - 2
      - 0
    .max_flat_workgroup_size: 256
    .name:           _ZN7rocprim17ROCPRIM_400000_NS6detail17trampoline_kernelINS0_14default_configENS1_27scan_by_key_config_selectorIiiEEZZNS1_16scan_by_key_implILNS1_25lookback_scan_determinismE0ELb0ES3_N6thrust23THRUST_200600_302600_NS6detail15normal_iteratorINS9_10device_ptrIiEEEENS9_18transform_iteratorINS9_6negateIiEESE_NS9_11use_defaultESI_EESE_iNS9_4plusIvEENS9_8equal_toIvEEiEE10hipError_tPvRmT2_T3_T4_T5_mT6_T7_P12ihipStream_tbENKUlT_T0_E_clISt17integral_constantIbLb0EES13_IbLb1EEEEDaSZ_S10_EUlSZ_E_NS1_11comp_targetILNS1_3genE10ELNS1_11target_archE1200ELNS1_3gpuE4ELNS1_3repE0EEENS1_30default_config_static_selectorELNS0_4arch9wavefront6targetE1EEEvT1_
    .private_segment_fixed_size: 0
    .sgpr_count:     6
    .sgpr_spill_count: 0
    .symbol:         _ZN7rocprim17ROCPRIM_400000_NS6detail17trampoline_kernelINS0_14default_configENS1_27scan_by_key_config_selectorIiiEEZZNS1_16scan_by_key_implILNS1_25lookback_scan_determinismE0ELb0ES3_N6thrust23THRUST_200600_302600_NS6detail15normal_iteratorINS9_10device_ptrIiEEEENS9_18transform_iteratorINS9_6negateIiEESE_NS9_11use_defaultESI_EESE_iNS9_4plusIvEENS9_8equal_toIvEEiEE10hipError_tPvRmT2_T3_T4_T5_mT6_T7_P12ihipStream_tbENKUlT_T0_E_clISt17integral_constantIbLb0EES13_IbLb1EEEEDaSZ_S10_EUlSZ_E_NS1_11comp_targetILNS1_3genE10ELNS1_11target_archE1200ELNS1_3gpuE4ELNS1_3repE0EEENS1_30default_config_static_selectorELNS0_4arch9wavefront6targetE1EEEvT1_.kd
    .uniform_work_group_size: 1
    .uses_dynamic_stack: false
    .vgpr_count:     0
    .vgpr_spill_count: 0
    .wavefront_size: 64
  - .agpr_count:     0
    .args:
      - .offset:         0
        .size:           120
        .value_kind:     by_value
    .group_segment_fixed_size: 0
    .kernarg_segment_align: 8
    .kernarg_segment_size: 120
    .language:       OpenCL C
    .language_version:
      - 2
      - 0
    .max_flat_workgroup_size: 256
    .name:           _ZN7rocprim17ROCPRIM_400000_NS6detail17trampoline_kernelINS0_14default_configENS1_27scan_by_key_config_selectorIiiEEZZNS1_16scan_by_key_implILNS1_25lookback_scan_determinismE0ELb0ES3_N6thrust23THRUST_200600_302600_NS6detail15normal_iteratorINS9_10device_ptrIiEEEENS9_18transform_iteratorINS9_6negateIiEESE_NS9_11use_defaultESI_EESE_iNS9_4plusIvEENS9_8equal_toIvEEiEE10hipError_tPvRmT2_T3_T4_T5_mT6_T7_P12ihipStream_tbENKUlT_T0_E_clISt17integral_constantIbLb0EES13_IbLb1EEEEDaSZ_S10_EUlSZ_E_NS1_11comp_targetILNS1_3genE9ELNS1_11target_archE1100ELNS1_3gpuE3ELNS1_3repE0EEENS1_30default_config_static_selectorELNS0_4arch9wavefront6targetE1EEEvT1_
    .private_segment_fixed_size: 0
    .sgpr_count:     6
    .sgpr_spill_count: 0
    .symbol:         _ZN7rocprim17ROCPRIM_400000_NS6detail17trampoline_kernelINS0_14default_configENS1_27scan_by_key_config_selectorIiiEEZZNS1_16scan_by_key_implILNS1_25lookback_scan_determinismE0ELb0ES3_N6thrust23THRUST_200600_302600_NS6detail15normal_iteratorINS9_10device_ptrIiEEEENS9_18transform_iteratorINS9_6negateIiEESE_NS9_11use_defaultESI_EESE_iNS9_4plusIvEENS9_8equal_toIvEEiEE10hipError_tPvRmT2_T3_T4_T5_mT6_T7_P12ihipStream_tbENKUlT_T0_E_clISt17integral_constantIbLb0EES13_IbLb1EEEEDaSZ_S10_EUlSZ_E_NS1_11comp_targetILNS1_3genE9ELNS1_11target_archE1100ELNS1_3gpuE3ELNS1_3repE0EEENS1_30default_config_static_selectorELNS0_4arch9wavefront6targetE1EEEvT1_.kd
    .uniform_work_group_size: 1
    .uses_dynamic_stack: false
    .vgpr_count:     0
    .vgpr_spill_count: 0
    .wavefront_size: 64
  - .agpr_count:     0
    .args:
      - .offset:         0
        .size:           120
        .value_kind:     by_value
    .group_segment_fixed_size: 0
    .kernarg_segment_align: 8
    .kernarg_segment_size: 120
    .language:       OpenCL C
    .language_version:
      - 2
      - 0
    .max_flat_workgroup_size: 256
    .name:           _ZN7rocprim17ROCPRIM_400000_NS6detail17trampoline_kernelINS0_14default_configENS1_27scan_by_key_config_selectorIiiEEZZNS1_16scan_by_key_implILNS1_25lookback_scan_determinismE0ELb0ES3_N6thrust23THRUST_200600_302600_NS6detail15normal_iteratorINS9_10device_ptrIiEEEENS9_18transform_iteratorINS9_6negateIiEESE_NS9_11use_defaultESI_EESE_iNS9_4plusIvEENS9_8equal_toIvEEiEE10hipError_tPvRmT2_T3_T4_T5_mT6_T7_P12ihipStream_tbENKUlT_T0_E_clISt17integral_constantIbLb0EES13_IbLb1EEEEDaSZ_S10_EUlSZ_E_NS1_11comp_targetILNS1_3genE8ELNS1_11target_archE1030ELNS1_3gpuE2ELNS1_3repE0EEENS1_30default_config_static_selectorELNS0_4arch9wavefront6targetE1EEEvT1_
    .private_segment_fixed_size: 0
    .sgpr_count:     6
    .sgpr_spill_count: 0
    .symbol:         _ZN7rocprim17ROCPRIM_400000_NS6detail17trampoline_kernelINS0_14default_configENS1_27scan_by_key_config_selectorIiiEEZZNS1_16scan_by_key_implILNS1_25lookback_scan_determinismE0ELb0ES3_N6thrust23THRUST_200600_302600_NS6detail15normal_iteratorINS9_10device_ptrIiEEEENS9_18transform_iteratorINS9_6negateIiEESE_NS9_11use_defaultESI_EESE_iNS9_4plusIvEENS9_8equal_toIvEEiEE10hipError_tPvRmT2_T3_T4_T5_mT6_T7_P12ihipStream_tbENKUlT_T0_E_clISt17integral_constantIbLb0EES13_IbLb1EEEEDaSZ_S10_EUlSZ_E_NS1_11comp_targetILNS1_3genE8ELNS1_11target_archE1030ELNS1_3gpuE2ELNS1_3repE0EEENS1_30default_config_static_selectorELNS0_4arch9wavefront6targetE1EEEvT1_.kd
    .uniform_work_group_size: 1
    .uses_dynamic_stack: false
    .vgpr_count:     0
    .vgpr_spill_count: 0
    .wavefront_size: 64
  - .agpr_count:     0
    .args:
      - .offset:         0
        .size:           120
        .value_kind:     by_value
    .group_segment_fixed_size: 0
    .kernarg_segment_align: 8
    .kernarg_segment_size: 120
    .language:       OpenCL C
    .language_version:
      - 2
      - 0
    .max_flat_workgroup_size: 256
    .name:           _ZN7rocprim17ROCPRIM_400000_NS6detail17trampoline_kernelINS0_14default_configENS1_27scan_by_key_config_selectorIssEEZZNS1_16scan_by_key_implILNS1_25lookback_scan_determinismE0ELb0ES3_N6thrust23THRUST_200600_302600_NS6detail15normal_iteratorINS9_10device_ptrIsEEEENS9_18transform_iteratorINS9_6negateIsEESE_NS9_11use_defaultESI_EESE_sNS9_4plusIvEENS9_8equal_toIvEEsEE10hipError_tPvRmT2_T3_T4_T5_mT6_T7_P12ihipStream_tbENKUlT_T0_E_clISt17integral_constantIbLb0EES14_EEDaSZ_S10_EUlSZ_E_NS1_11comp_targetILNS1_3genE0ELNS1_11target_archE4294967295ELNS1_3gpuE0ELNS1_3repE0EEENS1_30default_config_static_selectorELNS0_4arch9wavefront6targetE1EEEvT1_
    .private_segment_fixed_size: 0
    .sgpr_count:     6
    .sgpr_spill_count: 0
    .symbol:         _ZN7rocprim17ROCPRIM_400000_NS6detail17trampoline_kernelINS0_14default_configENS1_27scan_by_key_config_selectorIssEEZZNS1_16scan_by_key_implILNS1_25lookback_scan_determinismE0ELb0ES3_N6thrust23THRUST_200600_302600_NS6detail15normal_iteratorINS9_10device_ptrIsEEEENS9_18transform_iteratorINS9_6negateIsEESE_NS9_11use_defaultESI_EESE_sNS9_4plusIvEENS9_8equal_toIvEEsEE10hipError_tPvRmT2_T3_T4_T5_mT6_T7_P12ihipStream_tbENKUlT_T0_E_clISt17integral_constantIbLb0EES14_EEDaSZ_S10_EUlSZ_E_NS1_11comp_targetILNS1_3genE0ELNS1_11target_archE4294967295ELNS1_3gpuE0ELNS1_3repE0EEENS1_30default_config_static_selectorELNS0_4arch9wavefront6targetE1EEEvT1_.kd
    .uniform_work_group_size: 1
    .uses_dynamic_stack: false
    .vgpr_count:     0
    .vgpr_spill_count: 0
    .wavefront_size: 64
  - .agpr_count:     0
    .args:
      - .offset:         0
        .size:           120
        .value_kind:     by_value
    .group_segment_fixed_size: 0
    .kernarg_segment_align: 8
    .kernarg_segment_size: 120
    .language:       OpenCL C
    .language_version:
      - 2
      - 0
    .max_flat_workgroup_size: 128
    .name:           _ZN7rocprim17ROCPRIM_400000_NS6detail17trampoline_kernelINS0_14default_configENS1_27scan_by_key_config_selectorIssEEZZNS1_16scan_by_key_implILNS1_25lookback_scan_determinismE0ELb0ES3_N6thrust23THRUST_200600_302600_NS6detail15normal_iteratorINS9_10device_ptrIsEEEENS9_18transform_iteratorINS9_6negateIsEESE_NS9_11use_defaultESI_EESE_sNS9_4plusIvEENS9_8equal_toIvEEsEE10hipError_tPvRmT2_T3_T4_T5_mT6_T7_P12ihipStream_tbENKUlT_T0_E_clISt17integral_constantIbLb0EES14_EEDaSZ_S10_EUlSZ_E_NS1_11comp_targetILNS1_3genE10ELNS1_11target_archE1201ELNS1_3gpuE5ELNS1_3repE0EEENS1_30default_config_static_selectorELNS0_4arch9wavefront6targetE1EEEvT1_
    .private_segment_fixed_size: 0
    .sgpr_count:     6
    .sgpr_spill_count: 0
    .symbol:         _ZN7rocprim17ROCPRIM_400000_NS6detail17trampoline_kernelINS0_14default_configENS1_27scan_by_key_config_selectorIssEEZZNS1_16scan_by_key_implILNS1_25lookback_scan_determinismE0ELb0ES3_N6thrust23THRUST_200600_302600_NS6detail15normal_iteratorINS9_10device_ptrIsEEEENS9_18transform_iteratorINS9_6negateIsEESE_NS9_11use_defaultESI_EESE_sNS9_4plusIvEENS9_8equal_toIvEEsEE10hipError_tPvRmT2_T3_T4_T5_mT6_T7_P12ihipStream_tbENKUlT_T0_E_clISt17integral_constantIbLb0EES14_EEDaSZ_S10_EUlSZ_E_NS1_11comp_targetILNS1_3genE10ELNS1_11target_archE1201ELNS1_3gpuE5ELNS1_3repE0EEENS1_30default_config_static_selectorELNS0_4arch9wavefront6targetE1EEEvT1_.kd
    .uniform_work_group_size: 1
    .uses_dynamic_stack: false
    .vgpr_count:     0
    .vgpr_spill_count: 0
    .wavefront_size: 64
  - .agpr_count:     0
    .args:
      - .offset:         0
        .size:           120
        .value_kind:     by_value
    .group_segment_fixed_size: 13312
    .kernarg_segment_align: 8
    .kernarg_segment_size: 120
    .language:       OpenCL C
    .language_version:
      - 2
      - 0
    .max_flat_workgroup_size: 256
    .name:           _ZN7rocprim17ROCPRIM_400000_NS6detail17trampoline_kernelINS0_14default_configENS1_27scan_by_key_config_selectorIssEEZZNS1_16scan_by_key_implILNS1_25lookback_scan_determinismE0ELb0ES3_N6thrust23THRUST_200600_302600_NS6detail15normal_iteratorINS9_10device_ptrIsEEEENS9_18transform_iteratorINS9_6negateIsEESE_NS9_11use_defaultESI_EESE_sNS9_4plusIvEENS9_8equal_toIvEEsEE10hipError_tPvRmT2_T3_T4_T5_mT6_T7_P12ihipStream_tbENKUlT_T0_E_clISt17integral_constantIbLb0EES14_EEDaSZ_S10_EUlSZ_E_NS1_11comp_targetILNS1_3genE5ELNS1_11target_archE942ELNS1_3gpuE9ELNS1_3repE0EEENS1_30default_config_static_selectorELNS0_4arch9wavefront6targetE1EEEvT1_
    .private_segment_fixed_size: 0
    .sgpr_count:     94
    .sgpr_spill_count: 0
    .symbol:         _ZN7rocprim17ROCPRIM_400000_NS6detail17trampoline_kernelINS0_14default_configENS1_27scan_by_key_config_selectorIssEEZZNS1_16scan_by_key_implILNS1_25lookback_scan_determinismE0ELb0ES3_N6thrust23THRUST_200600_302600_NS6detail15normal_iteratorINS9_10device_ptrIsEEEENS9_18transform_iteratorINS9_6negateIsEESE_NS9_11use_defaultESI_EESE_sNS9_4plusIvEENS9_8equal_toIvEEsEE10hipError_tPvRmT2_T3_T4_T5_mT6_T7_P12ihipStream_tbENKUlT_T0_E_clISt17integral_constantIbLb0EES14_EEDaSZ_S10_EUlSZ_E_NS1_11comp_targetILNS1_3genE5ELNS1_11target_archE942ELNS1_3gpuE9ELNS1_3repE0EEENS1_30default_config_static_selectorELNS0_4arch9wavefront6targetE1EEEvT1_.kd
    .uniform_work_group_size: 1
    .uses_dynamic_stack: false
    .vgpr_count:     63
    .vgpr_spill_count: 0
    .wavefront_size: 64
  - .agpr_count:     0
    .args:
      - .offset:         0
        .size:           120
        .value_kind:     by_value
    .group_segment_fixed_size: 0
    .kernarg_segment_align: 8
    .kernarg_segment_size: 120
    .language:       OpenCL C
    .language_version:
      - 2
      - 0
    .max_flat_workgroup_size: 256
    .name:           _ZN7rocprim17ROCPRIM_400000_NS6detail17trampoline_kernelINS0_14default_configENS1_27scan_by_key_config_selectorIssEEZZNS1_16scan_by_key_implILNS1_25lookback_scan_determinismE0ELb0ES3_N6thrust23THRUST_200600_302600_NS6detail15normal_iteratorINS9_10device_ptrIsEEEENS9_18transform_iteratorINS9_6negateIsEESE_NS9_11use_defaultESI_EESE_sNS9_4plusIvEENS9_8equal_toIvEEsEE10hipError_tPvRmT2_T3_T4_T5_mT6_T7_P12ihipStream_tbENKUlT_T0_E_clISt17integral_constantIbLb0EES14_EEDaSZ_S10_EUlSZ_E_NS1_11comp_targetILNS1_3genE4ELNS1_11target_archE910ELNS1_3gpuE8ELNS1_3repE0EEENS1_30default_config_static_selectorELNS0_4arch9wavefront6targetE1EEEvT1_
    .private_segment_fixed_size: 0
    .sgpr_count:     6
    .sgpr_spill_count: 0
    .symbol:         _ZN7rocprim17ROCPRIM_400000_NS6detail17trampoline_kernelINS0_14default_configENS1_27scan_by_key_config_selectorIssEEZZNS1_16scan_by_key_implILNS1_25lookback_scan_determinismE0ELb0ES3_N6thrust23THRUST_200600_302600_NS6detail15normal_iteratorINS9_10device_ptrIsEEEENS9_18transform_iteratorINS9_6negateIsEESE_NS9_11use_defaultESI_EESE_sNS9_4plusIvEENS9_8equal_toIvEEsEE10hipError_tPvRmT2_T3_T4_T5_mT6_T7_P12ihipStream_tbENKUlT_T0_E_clISt17integral_constantIbLb0EES14_EEDaSZ_S10_EUlSZ_E_NS1_11comp_targetILNS1_3genE4ELNS1_11target_archE910ELNS1_3gpuE8ELNS1_3repE0EEENS1_30default_config_static_selectorELNS0_4arch9wavefront6targetE1EEEvT1_.kd
    .uniform_work_group_size: 1
    .uses_dynamic_stack: false
    .vgpr_count:     0
    .vgpr_spill_count: 0
    .wavefront_size: 64
  - .agpr_count:     0
    .args:
      - .offset:         0
        .size:           120
        .value_kind:     by_value
    .group_segment_fixed_size: 0
    .kernarg_segment_align: 8
    .kernarg_segment_size: 120
    .language:       OpenCL C
    .language_version:
      - 2
      - 0
    .max_flat_workgroup_size: 256
    .name:           _ZN7rocprim17ROCPRIM_400000_NS6detail17trampoline_kernelINS0_14default_configENS1_27scan_by_key_config_selectorIssEEZZNS1_16scan_by_key_implILNS1_25lookback_scan_determinismE0ELb0ES3_N6thrust23THRUST_200600_302600_NS6detail15normal_iteratorINS9_10device_ptrIsEEEENS9_18transform_iteratorINS9_6negateIsEESE_NS9_11use_defaultESI_EESE_sNS9_4plusIvEENS9_8equal_toIvEEsEE10hipError_tPvRmT2_T3_T4_T5_mT6_T7_P12ihipStream_tbENKUlT_T0_E_clISt17integral_constantIbLb0EES14_EEDaSZ_S10_EUlSZ_E_NS1_11comp_targetILNS1_3genE3ELNS1_11target_archE908ELNS1_3gpuE7ELNS1_3repE0EEENS1_30default_config_static_selectorELNS0_4arch9wavefront6targetE1EEEvT1_
    .private_segment_fixed_size: 0
    .sgpr_count:     6
    .sgpr_spill_count: 0
    .symbol:         _ZN7rocprim17ROCPRIM_400000_NS6detail17trampoline_kernelINS0_14default_configENS1_27scan_by_key_config_selectorIssEEZZNS1_16scan_by_key_implILNS1_25lookback_scan_determinismE0ELb0ES3_N6thrust23THRUST_200600_302600_NS6detail15normal_iteratorINS9_10device_ptrIsEEEENS9_18transform_iteratorINS9_6negateIsEESE_NS9_11use_defaultESI_EESE_sNS9_4plusIvEENS9_8equal_toIvEEsEE10hipError_tPvRmT2_T3_T4_T5_mT6_T7_P12ihipStream_tbENKUlT_T0_E_clISt17integral_constantIbLb0EES14_EEDaSZ_S10_EUlSZ_E_NS1_11comp_targetILNS1_3genE3ELNS1_11target_archE908ELNS1_3gpuE7ELNS1_3repE0EEENS1_30default_config_static_selectorELNS0_4arch9wavefront6targetE1EEEvT1_.kd
    .uniform_work_group_size: 1
    .uses_dynamic_stack: false
    .vgpr_count:     0
    .vgpr_spill_count: 0
    .wavefront_size: 64
  - .agpr_count:     0
    .args:
      - .offset:         0
        .size:           120
        .value_kind:     by_value
    .group_segment_fixed_size: 0
    .kernarg_segment_align: 8
    .kernarg_segment_size: 120
    .language:       OpenCL C
    .language_version:
      - 2
      - 0
    .max_flat_workgroup_size: 64
    .name:           _ZN7rocprim17ROCPRIM_400000_NS6detail17trampoline_kernelINS0_14default_configENS1_27scan_by_key_config_selectorIssEEZZNS1_16scan_by_key_implILNS1_25lookback_scan_determinismE0ELb0ES3_N6thrust23THRUST_200600_302600_NS6detail15normal_iteratorINS9_10device_ptrIsEEEENS9_18transform_iteratorINS9_6negateIsEESE_NS9_11use_defaultESI_EESE_sNS9_4plusIvEENS9_8equal_toIvEEsEE10hipError_tPvRmT2_T3_T4_T5_mT6_T7_P12ihipStream_tbENKUlT_T0_E_clISt17integral_constantIbLb0EES14_EEDaSZ_S10_EUlSZ_E_NS1_11comp_targetILNS1_3genE2ELNS1_11target_archE906ELNS1_3gpuE6ELNS1_3repE0EEENS1_30default_config_static_selectorELNS0_4arch9wavefront6targetE1EEEvT1_
    .private_segment_fixed_size: 0
    .sgpr_count:     6
    .sgpr_spill_count: 0
    .symbol:         _ZN7rocprim17ROCPRIM_400000_NS6detail17trampoline_kernelINS0_14default_configENS1_27scan_by_key_config_selectorIssEEZZNS1_16scan_by_key_implILNS1_25lookback_scan_determinismE0ELb0ES3_N6thrust23THRUST_200600_302600_NS6detail15normal_iteratorINS9_10device_ptrIsEEEENS9_18transform_iteratorINS9_6negateIsEESE_NS9_11use_defaultESI_EESE_sNS9_4plusIvEENS9_8equal_toIvEEsEE10hipError_tPvRmT2_T3_T4_T5_mT6_T7_P12ihipStream_tbENKUlT_T0_E_clISt17integral_constantIbLb0EES14_EEDaSZ_S10_EUlSZ_E_NS1_11comp_targetILNS1_3genE2ELNS1_11target_archE906ELNS1_3gpuE6ELNS1_3repE0EEENS1_30default_config_static_selectorELNS0_4arch9wavefront6targetE1EEEvT1_.kd
    .uniform_work_group_size: 1
    .uses_dynamic_stack: false
    .vgpr_count:     0
    .vgpr_spill_count: 0
    .wavefront_size: 64
  - .agpr_count:     0
    .args:
      - .offset:         0
        .size:           120
        .value_kind:     by_value
    .group_segment_fixed_size: 0
    .kernarg_segment_align: 8
    .kernarg_segment_size: 120
    .language:       OpenCL C
    .language_version:
      - 2
      - 0
    .max_flat_workgroup_size: 256
    .name:           _ZN7rocprim17ROCPRIM_400000_NS6detail17trampoline_kernelINS0_14default_configENS1_27scan_by_key_config_selectorIssEEZZNS1_16scan_by_key_implILNS1_25lookback_scan_determinismE0ELb0ES3_N6thrust23THRUST_200600_302600_NS6detail15normal_iteratorINS9_10device_ptrIsEEEENS9_18transform_iteratorINS9_6negateIsEESE_NS9_11use_defaultESI_EESE_sNS9_4plusIvEENS9_8equal_toIvEEsEE10hipError_tPvRmT2_T3_T4_T5_mT6_T7_P12ihipStream_tbENKUlT_T0_E_clISt17integral_constantIbLb0EES14_EEDaSZ_S10_EUlSZ_E_NS1_11comp_targetILNS1_3genE10ELNS1_11target_archE1200ELNS1_3gpuE4ELNS1_3repE0EEENS1_30default_config_static_selectorELNS0_4arch9wavefront6targetE1EEEvT1_
    .private_segment_fixed_size: 0
    .sgpr_count:     6
    .sgpr_spill_count: 0
    .symbol:         _ZN7rocprim17ROCPRIM_400000_NS6detail17trampoline_kernelINS0_14default_configENS1_27scan_by_key_config_selectorIssEEZZNS1_16scan_by_key_implILNS1_25lookback_scan_determinismE0ELb0ES3_N6thrust23THRUST_200600_302600_NS6detail15normal_iteratorINS9_10device_ptrIsEEEENS9_18transform_iteratorINS9_6negateIsEESE_NS9_11use_defaultESI_EESE_sNS9_4plusIvEENS9_8equal_toIvEEsEE10hipError_tPvRmT2_T3_T4_T5_mT6_T7_P12ihipStream_tbENKUlT_T0_E_clISt17integral_constantIbLb0EES14_EEDaSZ_S10_EUlSZ_E_NS1_11comp_targetILNS1_3genE10ELNS1_11target_archE1200ELNS1_3gpuE4ELNS1_3repE0EEENS1_30default_config_static_selectorELNS0_4arch9wavefront6targetE1EEEvT1_.kd
    .uniform_work_group_size: 1
    .uses_dynamic_stack: false
    .vgpr_count:     0
    .vgpr_spill_count: 0
    .wavefront_size: 64
  - .agpr_count:     0
    .args:
      - .offset:         0
        .size:           120
        .value_kind:     by_value
    .group_segment_fixed_size: 0
    .kernarg_segment_align: 8
    .kernarg_segment_size: 120
    .language:       OpenCL C
    .language_version:
      - 2
      - 0
    .max_flat_workgroup_size: 256
    .name:           _ZN7rocprim17ROCPRIM_400000_NS6detail17trampoline_kernelINS0_14default_configENS1_27scan_by_key_config_selectorIssEEZZNS1_16scan_by_key_implILNS1_25lookback_scan_determinismE0ELb0ES3_N6thrust23THRUST_200600_302600_NS6detail15normal_iteratorINS9_10device_ptrIsEEEENS9_18transform_iteratorINS9_6negateIsEESE_NS9_11use_defaultESI_EESE_sNS9_4plusIvEENS9_8equal_toIvEEsEE10hipError_tPvRmT2_T3_T4_T5_mT6_T7_P12ihipStream_tbENKUlT_T0_E_clISt17integral_constantIbLb0EES14_EEDaSZ_S10_EUlSZ_E_NS1_11comp_targetILNS1_3genE9ELNS1_11target_archE1100ELNS1_3gpuE3ELNS1_3repE0EEENS1_30default_config_static_selectorELNS0_4arch9wavefront6targetE1EEEvT1_
    .private_segment_fixed_size: 0
    .sgpr_count:     6
    .sgpr_spill_count: 0
    .symbol:         _ZN7rocprim17ROCPRIM_400000_NS6detail17trampoline_kernelINS0_14default_configENS1_27scan_by_key_config_selectorIssEEZZNS1_16scan_by_key_implILNS1_25lookback_scan_determinismE0ELb0ES3_N6thrust23THRUST_200600_302600_NS6detail15normal_iteratorINS9_10device_ptrIsEEEENS9_18transform_iteratorINS9_6negateIsEESE_NS9_11use_defaultESI_EESE_sNS9_4plusIvEENS9_8equal_toIvEEsEE10hipError_tPvRmT2_T3_T4_T5_mT6_T7_P12ihipStream_tbENKUlT_T0_E_clISt17integral_constantIbLb0EES14_EEDaSZ_S10_EUlSZ_E_NS1_11comp_targetILNS1_3genE9ELNS1_11target_archE1100ELNS1_3gpuE3ELNS1_3repE0EEENS1_30default_config_static_selectorELNS0_4arch9wavefront6targetE1EEEvT1_.kd
    .uniform_work_group_size: 1
    .uses_dynamic_stack: false
    .vgpr_count:     0
    .vgpr_spill_count: 0
    .wavefront_size: 64
  - .agpr_count:     0
    .args:
      - .offset:         0
        .size:           120
        .value_kind:     by_value
    .group_segment_fixed_size: 0
    .kernarg_segment_align: 8
    .kernarg_segment_size: 120
    .language:       OpenCL C
    .language_version:
      - 2
      - 0
    .max_flat_workgroup_size: 64
    .name:           _ZN7rocprim17ROCPRIM_400000_NS6detail17trampoline_kernelINS0_14default_configENS1_27scan_by_key_config_selectorIssEEZZNS1_16scan_by_key_implILNS1_25lookback_scan_determinismE0ELb0ES3_N6thrust23THRUST_200600_302600_NS6detail15normal_iteratorINS9_10device_ptrIsEEEENS9_18transform_iteratorINS9_6negateIsEESE_NS9_11use_defaultESI_EESE_sNS9_4plusIvEENS9_8equal_toIvEEsEE10hipError_tPvRmT2_T3_T4_T5_mT6_T7_P12ihipStream_tbENKUlT_T0_E_clISt17integral_constantIbLb0EES14_EEDaSZ_S10_EUlSZ_E_NS1_11comp_targetILNS1_3genE8ELNS1_11target_archE1030ELNS1_3gpuE2ELNS1_3repE0EEENS1_30default_config_static_selectorELNS0_4arch9wavefront6targetE1EEEvT1_
    .private_segment_fixed_size: 0
    .sgpr_count:     6
    .sgpr_spill_count: 0
    .symbol:         _ZN7rocprim17ROCPRIM_400000_NS6detail17trampoline_kernelINS0_14default_configENS1_27scan_by_key_config_selectorIssEEZZNS1_16scan_by_key_implILNS1_25lookback_scan_determinismE0ELb0ES3_N6thrust23THRUST_200600_302600_NS6detail15normal_iteratorINS9_10device_ptrIsEEEENS9_18transform_iteratorINS9_6negateIsEESE_NS9_11use_defaultESI_EESE_sNS9_4plusIvEENS9_8equal_toIvEEsEE10hipError_tPvRmT2_T3_T4_T5_mT6_T7_P12ihipStream_tbENKUlT_T0_E_clISt17integral_constantIbLb0EES14_EEDaSZ_S10_EUlSZ_E_NS1_11comp_targetILNS1_3genE8ELNS1_11target_archE1030ELNS1_3gpuE2ELNS1_3repE0EEENS1_30default_config_static_selectorELNS0_4arch9wavefront6targetE1EEEvT1_.kd
    .uniform_work_group_size: 1
    .uses_dynamic_stack: false
    .vgpr_count:     0
    .vgpr_spill_count: 0
    .wavefront_size: 64
  - .agpr_count:     0
    .args:
      - .offset:         0
        .size:           120
        .value_kind:     by_value
    .group_segment_fixed_size: 0
    .kernarg_segment_align: 8
    .kernarg_segment_size: 120
    .language:       OpenCL C
    .language_version:
      - 2
      - 0
    .max_flat_workgroup_size: 256
    .name:           _ZN7rocprim17ROCPRIM_400000_NS6detail17trampoline_kernelINS0_14default_configENS1_27scan_by_key_config_selectorIssEEZZNS1_16scan_by_key_implILNS1_25lookback_scan_determinismE0ELb0ES3_N6thrust23THRUST_200600_302600_NS6detail15normal_iteratorINS9_10device_ptrIsEEEENS9_18transform_iteratorINS9_6negateIsEESE_NS9_11use_defaultESI_EESE_sNS9_4plusIvEENS9_8equal_toIvEEsEE10hipError_tPvRmT2_T3_T4_T5_mT6_T7_P12ihipStream_tbENKUlT_T0_E_clISt17integral_constantIbLb1EES14_EEDaSZ_S10_EUlSZ_E_NS1_11comp_targetILNS1_3genE0ELNS1_11target_archE4294967295ELNS1_3gpuE0ELNS1_3repE0EEENS1_30default_config_static_selectorELNS0_4arch9wavefront6targetE1EEEvT1_
    .private_segment_fixed_size: 0
    .sgpr_count:     6
    .sgpr_spill_count: 0
    .symbol:         _ZN7rocprim17ROCPRIM_400000_NS6detail17trampoline_kernelINS0_14default_configENS1_27scan_by_key_config_selectorIssEEZZNS1_16scan_by_key_implILNS1_25lookback_scan_determinismE0ELb0ES3_N6thrust23THRUST_200600_302600_NS6detail15normal_iteratorINS9_10device_ptrIsEEEENS9_18transform_iteratorINS9_6negateIsEESE_NS9_11use_defaultESI_EESE_sNS9_4plusIvEENS9_8equal_toIvEEsEE10hipError_tPvRmT2_T3_T4_T5_mT6_T7_P12ihipStream_tbENKUlT_T0_E_clISt17integral_constantIbLb1EES14_EEDaSZ_S10_EUlSZ_E_NS1_11comp_targetILNS1_3genE0ELNS1_11target_archE4294967295ELNS1_3gpuE0ELNS1_3repE0EEENS1_30default_config_static_selectorELNS0_4arch9wavefront6targetE1EEEvT1_.kd
    .uniform_work_group_size: 1
    .uses_dynamic_stack: false
    .vgpr_count:     0
    .vgpr_spill_count: 0
    .wavefront_size: 64
  - .agpr_count:     0
    .args:
      - .offset:         0
        .size:           120
        .value_kind:     by_value
    .group_segment_fixed_size: 0
    .kernarg_segment_align: 8
    .kernarg_segment_size: 120
    .language:       OpenCL C
    .language_version:
      - 2
      - 0
    .max_flat_workgroup_size: 128
    .name:           _ZN7rocprim17ROCPRIM_400000_NS6detail17trampoline_kernelINS0_14default_configENS1_27scan_by_key_config_selectorIssEEZZNS1_16scan_by_key_implILNS1_25lookback_scan_determinismE0ELb0ES3_N6thrust23THRUST_200600_302600_NS6detail15normal_iteratorINS9_10device_ptrIsEEEENS9_18transform_iteratorINS9_6negateIsEESE_NS9_11use_defaultESI_EESE_sNS9_4plusIvEENS9_8equal_toIvEEsEE10hipError_tPvRmT2_T3_T4_T5_mT6_T7_P12ihipStream_tbENKUlT_T0_E_clISt17integral_constantIbLb1EES14_EEDaSZ_S10_EUlSZ_E_NS1_11comp_targetILNS1_3genE10ELNS1_11target_archE1201ELNS1_3gpuE5ELNS1_3repE0EEENS1_30default_config_static_selectorELNS0_4arch9wavefront6targetE1EEEvT1_
    .private_segment_fixed_size: 0
    .sgpr_count:     6
    .sgpr_spill_count: 0
    .symbol:         _ZN7rocprim17ROCPRIM_400000_NS6detail17trampoline_kernelINS0_14default_configENS1_27scan_by_key_config_selectorIssEEZZNS1_16scan_by_key_implILNS1_25lookback_scan_determinismE0ELb0ES3_N6thrust23THRUST_200600_302600_NS6detail15normal_iteratorINS9_10device_ptrIsEEEENS9_18transform_iteratorINS9_6negateIsEESE_NS9_11use_defaultESI_EESE_sNS9_4plusIvEENS9_8equal_toIvEEsEE10hipError_tPvRmT2_T3_T4_T5_mT6_T7_P12ihipStream_tbENKUlT_T0_E_clISt17integral_constantIbLb1EES14_EEDaSZ_S10_EUlSZ_E_NS1_11comp_targetILNS1_3genE10ELNS1_11target_archE1201ELNS1_3gpuE5ELNS1_3repE0EEENS1_30default_config_static_selectorELNS0_4arch9wavefront6targetE1EEEvT1_.kd
    .uniform_work_group_size: 1
    .uses_dynamic_stack: false
    .vgpr_count:     0
    .vgpr_spill_count: 0
    .wavefront_size: 64
  - .agpr_count:     0
    .args:
      - .offset:         0
        .size:           120
        .value_kind:     by_value
    .group_segment_fixed_size: 13312
    .kernarg_segment_align: 8
    .kernarg_segment_size: 120
    .language:       OpenCL C
    .language_version:
      - 2
      - 0
    .max_flat_workgroup_size: 256
    .name:           _ZN7rocprim17ROCPRIM_400000_NS6detail17trampoline_kernelINS0_14default_configENS1_27scan_by_key_config_selectorIssEEZZNS1_16scan_by_key_implILNS1_25lookback_scan_determinismE0ELb0ES3_N6thrust23THRUST_200600_302600_NS6detail15normal_iteratorINS9_10device_ptrIsEEEENS9_18transform_iteratorINS9_6negateIsEESE_NS9_11use_defaultESI_EESE_sNS9_4plusIvEENS9_8equal_toIvEEsEE10hipError_tPvRmT2_T3_T4_T5_mT6_T7_P12ihipStream_tbENKUlT_T0_E_clISt17integral_constantIbLb1EES14_EEDaSZ_S10_EUlSZ_E_NS1_11comp_targetILNS1_3genE5ELNS1_11target_archE942ELNS1_3gpuE9ELNS1_3repE0EEENS1_30default_config_static_selectorELNS0_4arch9wavefront6targetE1EEEvT1_
    .private_segment_fixed_size: 0
    .sgpr_count:     93
    .sgpr_spill_count: 0
    .symbol:         _ZN7rocprim17ROCPRIM_400000_NS6detail17trampoline_kernelINS0_14default_configENS1_27scan_by_key_config_selectorIssEEZZNS1_16scan_by_key_implILNS1_25lookback_scan_determinismE0ELb0ES3_N6thrust23THRUST_200600_302600_NS6detail15normal_iteratorINS9_10device_ptrIsEEEENS9_18transform_iteratorINS9_6negateIsEESE_NS9_11use_defaultESI_EESE_sNS9_4plusIvEENS9_8equal_toIvEEsEE10hipError_tPvRmT2_T3_T4_T5_mT6_T7_P12ihipStream_tbENKUlT_T0_E_clISt17integral_constantIbLb1EES14_EEDaSZ_S10_EUlSZ_E_NS1_11comp_targetILNS1_3genE5ELNS1_11target_archE942ELNS1_3gpuE9ELNS1_3repE0EEENS1_30default_config_static_selectorELNS0_4arch9wavefront6targetE1EEEvT1_.kd
    .uniform_work_group_size: 1
    .uses_dynamic_stack: false
    .vgpr_count:     63
    .vgpr_spill_count: 0
    .wavefront_size: 64
  - .agpr_count:     0
    .args:
      - .offset:         0
        .size:           120
        .value_kind:     by_value
    .group_segment_fixed_size: 0
    .kernarg_segment_align: 8
    .kernarg_segment_size: 120
    .language:       OpenCL C
    .language_version:
      - 2
      - 0
    .max_flat_workgroup_size: 256
    .name:           _ZN7rocprim17ROCPRIM_400000_NS6detail17trampoline_kernelINS0_14default_configENS1_27scan_by_key_config_selectorIssEEZZNS1_16scan_by_key_implILNS1_25lookback_scan_determinismE0ELb0ES3_N6thrust23THRUST_200600_302600_NS6detail15normal_iteratorINS9_10device_ptrIsEEEENS9_18transform_iteratorINS9_6negateIsEESE_NS9_11use_defaultESI_EESE_sNS9_4plusIvEENS9_8equal_toIvEEsEE10hipError_tPvRmT2_T3_T4_T5_mT6_T7_P12ihipStream_tbENKUlT_T0_E_clISt17integral_constantIbLb1EES14_EEDaSZ_S10_EUlSZ_E_NS1_11comp_targetILNS1_3genE4ELNS1_11target_archE910ELNS1_3gpuE8ELNS1_3repE0EEENS1_30default_config_static_selectorELNS0_4arch9wavefront6targetE1EEEvT1_
    .private_segment_fixed_size: 0
    .sgpr_count:     6
    .sgpr_spill_count: 0
    .symbol:         _ZN7rocprim17ROCPRIM_400000_NS6detail17trampoline_kernelINS0_14default_configENS1_27scan_by_key_config_selectorIssEEZZNS1_16scan_by_key_implILNS1_25lookback_scan_determinismE0ELb0ES3_N6thrust23THRUST_200600_302600_NS6detail15normal_iteratorINS9_10device_ptrIsEEEENS9_18transform_iteratorINS9_6negateIsEESE_NS9_11use_defaultESI_EESE_sNS9_4plusIvEENS9_8equal_toIvEEsEE10hipError_tPvRmT2_T3_T4_T5_mT6_T7_P12ihipStream_tbENKUlT_T0_E_clISt17integral_constantIbLb1EES14_EEDaSZ_S10_EUlSZ_E_NS1_11comp_targetILNS1_3genE4ELNS1_11target_archE910ELNS1_3gpuE8ELNS1_3repE0EEENS1_30default_config_static_selectorELNS0_4arch9wavefront6targetE1EEEvT1_.kd
    .uniform_work_group_size: 1
    .uses_dynamic_stack: false
    .vgpr_count:     0
    .vgpr_spill_count: 0
    .wavefront_size: 64
  - .agpr_count:     0
    .args:
      - .offset:         0
        .size:           120
        .value_kind:     by_value
    .group_segment_fixed_size: 0
    .kernarg_segment_align: 8
    .kernarg_segment_size: 120
    .language:       OpenCL C
    .language_version:
      - 2
      - 0
    .max_flat_workgroup_size: 256
    .name:           _ZN7rocprim17ROCPRIM_400000_NS6detail17trampoline_kernelINS0_14default_configENS1_27scan_by_key_config_selectorIssEEZZNS1_16scan_by_key_implILNS1_25lookback_scan_determinismE0ELb0ES3_N6thrust23THRUST_200600_302600_NS6detail15normal_iteratorINS9_10device_ptrIsEEEENS9_18transform_iteratorINS9_6negateIsEESE_NS9_11use_defaultESI_EESE_sNS9_4plusIvEENS9_8equal_toIvEEsEE10hipError_tPvRmT2_T3_T4_T5_mT6_T7_P12ihipStream_tbENKUlT_T0_E_clISt17integral_constantIbLb1EES14_EEDaSZ_S10_EUlSZ_E_NS1_11comp_targetILNS1_3genE3ELNS1_11target_archE908ELNS1_3gpuE7ELNS1_3repE0EEENS1_30default_config_static_selectorELNS0_4arch9wavefront6targetE1EEEvT1_
    .private_segment_fixed_size: 0
    .sgpr_count:     6
    .sgpr_spill_count: 0
    .symbol:         _ZN7rocprim17ROCPRIM_400000_NS6detail17trampoline_kernelINS0_14default_configENS1_27scan_by_key_config_selectorIssEEZZNS1_16scan_by_key_implILNS1_25lookback_scan_determinismE0ELb0ES3_N6thrust23THRUST_200600_302600_NS6detail15normal_iteratorINS9_10device_ptrIsEEEENS9_18transform_iteratorINS9_6negateIsEESE_NS9_11use_defaultESI_EESE_sNS9_4plusIvEENS9_8equal_toIvEEsEE10hipError_tPvRmT2_T3_T4_T5_mT6_T7_P12ihipStream_tbENKUlT_T0_E_clISt17integral_constantIbLb1EES14_EEDaSZ_S10_EUlSZ_E_NS1_11comp_targetILNS1_3genE3ELNS1_11target_archE908ELNS1_3gpuE7ELNS1_3repE0EEENS1_30default_config_static_selectorELNS0_4arch9wavefront6targetE1EEEvT1_.kd
    .uniform_work_group_size: 1
    .uses_dynamic_stack: false
    .vgpr_count:     0
    .vgpr_spill_count: 0
    .wavefront_size: 64
  - .agpr_count:     0
    .args:
      - .offset:         0
        .size:           120
        .value_kind:     by_value
    .group_segment_fixed_size: 0
    .kernarg_segment_align: 8
    .kernarg_segment_size: 120
    .language:       OpenCL C
    .language_version:
      - 2
      - 0
    .max_flat_workgroup_size: 64
    .name:           _ZN7rocprim17ROCPRIM_400000_NS6detail17trampoline_kernelINS0_14default_configENS1_27scan_by_key_config_selectorIssEEZZNS1_16scan_by_key_implILNS1_25lookback_scan_determinismE0ELb0ES3_N6thrust23THRUST_200600_302600_NS6detail15normal_iteratorINS9_10device_ptrIsEEEENS9_18transform_iteratorINS9_6negateIsEESE_NS9_11use_defaultESI_EESE_sNS9_4plusIvEENS9_8equal_toIvEEsEE10hipError_tPvRmT2_T3_T4_T5_mT6_T7_P12ihipStream_tbENKUlT_T0_E_clISt17integral_constantIbLb1EES14_EEDaSZ_S10_EUlSZ_E_NS1_11comp_targetILNS1_3genE2ELNS1_11target_archE906ELNS1_3gpuE6ELNS1_3repE0EEENS1_30default_config_static_selectorELNS0_4arch9wavefront6targetE1EEEvT1_
    .private_segment_fixed_size: 0
    .sgpr_count:     6
    .sgpr_spill_count: 0
    .symbol:         _ZN7rocprim17ROCPRIM_400000_NS6detail17trampoline_kernelINS0_14default_configENS1_27scan_by_key_config_selectorIssEEZZNS1_16scan_by_key_implILNS1_25lookback_scan_determinismE0ELb0ES3_N6thrust23THRUST_200600_302600_NS6detail15normal_iteratorINS9_10device_ptrIsEEEENS9_18transform_iteratorINS9_6negateIsEESE_NS9_11use_defaultESI_EESE_sNS9_4plusIvEENS9_8equal_toIvEEsEE10hipError_tPvRmT2_T3_T4_T5_mT6_T7_P12ihipStream_tbENKUlT_T0_E_clISt17integral_constantIbLb1EES14_EEDaSZ_S10_EUlSZ_E_NS1_11comp_targetILNS1_3genE2ELNS1_11target_archE906ELNS1_3gpuE6ELNS1_3repE0EEENS1_30default_config_static_selectorELNS0_4arch9wavefront6targetE1EEEvT1_.kd
    .uniform_work_group_size: 1
    .uses_dynamic_stack: false
    .vgpr_count:     0
    .vgpr_spill_count: 0
    .wavefront_size: 64
  - .agpr_count:     0
    .args:
      - .offset:         0
        .size:           120
        .value_kind:     by_value
    .group_segment_fixed_size: 0
    .kernarg_segment_align: 8
    .kernarg_segment_size: 120
    .language:       OpenCL C
    .language_version:
      - 2
      - 0
    .max_flat_workgroup_size: 256
    .name:           _ZN7rocprim17ROCPRIM_400000_NS6detail17trampoline_kernelINS0_14default_configENS1_27scan_by_key_config_selectorIssEEZZNS1_16scan_by_key_implILNS1_25lookback_scan_determinismE0ELb0ES3_N6thrust23THRUST_200600_302600_NS6detail15normal_iteratorINS9_10device_ptrIsEEEENS9_18transform_iteratorINS9_6negateIsEESE_NS9_11use_defaultESI_EESE_sNS9_4plusIvEENS9_8equal_toIvEEsEE10hipError_tPvRmT2_T3_T4_T5_mT6_T7_P12ihipStream_tbENKUlT_T0_E_clISt17integral_constantIbLb1EES14_EEDaSZ_S10_EUlSZ_E_NS1_11comp_targetILNS1_3genE10ELNS1_11target_archE1200ELNS1_3gpuE4ELNS1_3repE0EEENS1_30default_config_static_selectorELNS0_4arch9wavefront6targetE1EEEvT1_
    .private_segment_fixed_size: 0
    .sgpr_count:     6
    .sgpr_spill_count: 0
    .symbol:         _ZN7rocprim17ROCPRIM_400000_NS6detail17trampoline_kernelINS0_14default_configENS1_27scan_by_key_config_selectorIssEEZZNS1_16scan_by_key_implILNS1_25lookback_scan_determinismE0ELb0ES3_N6thrust23THRUST_200600_302600_NS6detail15normal_iteratorINS9_10device_ptrIsEEEENS9_18transform_iteratorINS9_6negateIsEESE_NS9_11use_defaultESI_EESE_sNS9_4plusIvEENS9_8equal_toIvEEsEE10hipError_tPvRmT2_T3_T4_T5_mT6_T7_P12ihipStream_tbENKUlT_T0_E_clISt17integral_constantIbLb1EES14_EEDaSZ_S10_EUlSZ_E_NS1_11comp_targetILNS1_3genE10ELNS1_11target_archE1200ELNS1_3gpuE4ELNS1_3repE0EEENS1_30default_config_static_selectorELNS0_4arch9wavefront6targetE1EEEvT1_.kd
    .uniform_work_group_size: 1
    .uses_dynamic_stack: false
    .vgpr_count:     0
    .vgpr_spill_count: 0
    .wavefront_size: 64
  - .agpr_count:     0
    .args:
      - .offset:         0
        .size:           120
        .value_kind:     by_value
    .group_segment_fixed_size: 0
    .kernarg_segment_align: 8
    .kernarg_segment_size: 120
    .language:       OpenCL C
    .language_version:
      - 2
      - 0
    .max_flat_workgroup_size: 256
    .name:           _ZN7rocprim17ROCPRIM_400000_NS6detail17trampoline_kernelINS0_14default_configENS1_27scan_by_key_config_selectorIssEEZZNS1_16scan_by_key_implILNS1_25lookback_scan_determinismE0ELb0ES3_N6thrust23THRUST_200600_302600_NS6detail15normal_iteratorINS9_10device_ptrIsEEEENS9_18transform_iteratorINS9_6negateIsEESE_NS9_11use_defaultESI_EESE_sNS9_4plusIvEENS9_8equal_toIvEEsEE10hipError_tPvRmT2_T3_T4_T5_mT6_T7_P12ihipStream_tbENKUlT_T0_E_clISt17integral_constantIbLb1EES14_EEDaSZ_S10_EUlSZ_E_NS1_11comp_targetILNS1_3genE9ELNS1_11target_archE1100ELNS1_3gpuE3ELNS1_3repE0EEENS1_30default_config_static_selectorELNS0_4arch9wavefront6targetE1EEEvT1_
    .private_segment_fixed_size: 0
    .sgpr_count:     6
    .sgpr_spill_count: 0
    .symbol:         _ZN7rocprim17ROCPRIM_400000_NS6detail17trampoline_kernelINS0_14default_configENS1_27scan_by_key_config_selectorIssEEZZNS1_16scan_by_key_implILNS1_25lookback_scan_determinismE0ELb0ES3_N6thrust23THRUST_200600_302600_NS6detail15normal_iteratorINS9_10device_ptrIsEEEENS9_18transform_iteratorINS9_6negateIsEESE_NS9_11use_defaultESI_EESE_sNS9_4plusIvEENS9_8equal_toIvEEsEE10hipError_tPvRmT2_T3_T4_T5_mT6_T7_P12ihipStream_tbENKUlT_T0_E_clISt17integral_constantIbLb1EES14_EEDaSZ_S10_EUlSZ_E_NS1_11comp_targetILNS1_3genE9ELNS1_11target_archE1100ELNS1_3gpuE3ELNS1_3repE0EEENS1_30default_config_static_selectorELNS0_4arch9wavefront6targetE1EEEvT1_.kd
    .uniform_work_group_size: 1
    .uses_dynamic_stack: false
    .vgpr_count:     0
    .vgpr_spill_count: 0
    .wavefront_size: 64
  - .agpr_count:     0
    .args:
      - .offset:         0
        .size:           120
        .value_kind:     by_value
    .group_segment_fixed_size: 0
    .kernarg_segment_align: 8
    .kernarg_segment_size: 120
    .language:       OpenCL C
    .language_version:
      - 2
      - 0
    .max_flat_workgroup_size: 64
    .name:           _ZN7rocprim17ROCPRIM_400000_NS6detail17trampoline_kernelINS0_14default_configENS1_27scan_by_key_config_selectorIssEEZZNS1_16scan_by_key_implILNS1_25lookback_scan_determinismE0ELb0ES3_N6thrust23THRUST_200600_302600_NS6detail15normal_iteratorINS9_10device_ptrIsEEEENS9_18transform_iteratorINS9_6negateIsEESE_NS9_11use_defaultESI_EESE_sNS9_4plusIvEENS9_8equal_toIvEEsEE10hipError_tPvRmT2_T3_T4_T5_mT6_T7_P12ihipStream_tbENKUlT_T0_E_clISt17integral_constantIbLb1EES14_EEDaSZ_S10_EUlSZ_E_NS1_11comp_targetILNS1_3genE8ELNS1_11target_archE1030ELNS1_3gpuE2ELNS1_3repE0EEENS1_30default_config_static_selectorELNS0_4arch9wavefront6targetE1EEEvT1_
    .private_segment_fixed_size: 0
    .sgpr_count:     6
    .sgpr_spill_count: 0
    .symbol:         _ZN7rocprim17ROCPRIM_400000_NS6detail17trampoline_kernelINS0_14default_configENS1_27scan_by_key_config_selectorIssEEZZNS1_16scan_by_key_implILNS1_25lookback_scan_determinismE0ELb0ES3_N6thrust23THRUST_200600_302600_NS6detail15normal_iteratorINS9_10device_ptrIsEEEENS9_18transform_iteratorINS9_6negateIsEESE_NS9_11use_defaultESI_EESE_sNS9_4plusIvEENS9_8equal_toIvEEsEE10hipError_tPvRmT2_T3_T4_T5_mT6_T7_P12ihipStream_tbENKUlT_T0_E_clISt17integral_constantIbLb1EES14_EEDaSZ_S10_EUlSZ_E_NS1_11comp_targetILNS1_3genE8ELNS1_11target_archE1030ELNS1_3gpuE2ELNS1_3repE0EEENS1_30default_config_static_selectorELNS0_4arch9wavefront6targetE1EEEvT1_.kd
    .uniform_work_group_size: 1
    .uses_dynamic_stack: false
    .vgpr_count:     0
    .vgpr_spill_count: 0
    .wavefront_size: 64
  - .agpr_count:     0
    .args:
      - .offset:         0
        .size:           120
        .value_kind:     by_value
    .group_segment_fixed_size: 0
    .kernarg_segment_align: 8
    .kernarg_segment_size: 120
    .language:       OpenCL C
    .language_version:
      - 2
      - 0
    .max_flat_workgroup_size: 256
    .name:           _ZN7rocprim17ROCPRIM_400000_NS6detail17trampoline_kernelINS0_14default_configENS1_27scan_by_key_config_selectorIssEEZZNS1_16scan_by_key_implILNS1_25lookback_scan_determinismE0ELb0ES3_N6thrust23THRUST_200600_302600_NS6detail15normal_iteratorINS9_10device_ptrIsEEEENS9_18transform_iteratorINS9_6negateIsEESE_NS9_11use_defaultESI_EESE_sNS9_4plusIvEENS9_8equal_toIvEEsEE10hipError_tPvRmT2_T3_T4_T5_mT6_T7_P12ihipStream_tbENKUlT_T0_E_clISt17integral_constantIbLb1EES13_IbLb0EEEEDaSZ_S10_EUlSZ_E_NS1_11comp_targetILNS1_3genE0ELNS1_11target_archE4294967295ELNS1_3gpuE0ELNS1_3repE0EEENS1_30default_config_static_selectorELNS0_4arch9wavefront6targetE1EEEvT1_
    .private_segment_fixed_size: 0
    .sgpr_count:     6
    .sgpr_spill_count: 0
    .symbol:         _ZN7rocprim17ROCPRIM_400000_NS6detail17trampoline_kernelINS0_14default_configENS1_27scan_by_key_config_selectorIssEEZZNS1_16scan_by_key_implILNS1_25lookback_scan_determinismE0ELb0ES3_N6thrust23THRUST_200600_302600_NS6detail15normal_iteratorINS9_10device_ptrIsEEEENS9_18transform_iteratorINS9_6negateIsEESE_NS9_11use_defaultESI_EESE_sNS9_4plusIvEENS9_8equal_toIvEEsEE10hipError_tPvRmT2_T3_T4_T5_mT6_T7_P12ihipStream_tbENKUlT_T0_E_clISt17integral_constantIbLb1EES13_IbLb0EEEEDaSZ_S10_EUlSZ_E_NS1_11comp_targetILNS1_3genE0ELNS1_11target_archE4294967295ELNS1_3gpuE0ELNS1_3repE0EEENS1_30default_config_static_selectorELNS0_4arch9wavefront6targetE1EEEvT1_.kd
    .uniform_work_group_size: 1
    .uses_dynamic_stack: false
    .vgpr_count:     0
    .vgpr_spill_count: 0
    .wavefront_size: 64
  - .agpr_count:     0
    .args:
      - .offset:         0
        .size:           120
        .value_kind:     by_value
    .group_segment_fixed_size: 0
    .kernarg_segment_align: 8
    .kernarg_segment_size: 120
    .language:       OpenCL C
    .language_version:
      - 2
      - 0
    .max_flat_workgroup_size: 128
    .name:           _ZN7rocprim17ROCPRIM_400000_NS6detail17trampoline_kernelINS0_14default_configENS1_27scan_by_key_config_selectorIssEEZZNS1_16scan_by_key_implILNS1_25lookback_scan_determinismE0ELb0ES3_N6thrust23THRUST_200600_302600_NS6detail15normal_iteratorINS9_10device_ptrIsEEEENS9_18transform_iteratorINS9_6negateIsEESE_NS9_11use_defaultESI_EESE_sNS9_4plusIvEENS9_8equal_toIvEEsEE10hipError_tPvRmT2_T3_T4_T5_mT6_T7_P12ihipStream_tbENKUlT_T0_E_clISt17integral_constantIbLb1EES13_IbLb0EEEEDaSZ_S10_EUlSZ_E_NS1_11comp_targetILNS1_3genE10ELNS1_11target_archE1201ELNS1_3gpuE5ELNS1_3repE0EEENS1_30default_config_static_selectorELNS0_4arch9wavefront6targetE1EEEvT1_
    .private_segment_fixed_size: 0
    .sgpr_count:     6
    .sgpr_spill_count: 0
    .symbol:         _ZN7rocprim17ROCPRIM_400000_NS6detail17trampoline_kernelINS0_14default_configENS1_27scan_by_key_config_selectorIssEEZZNS1_16scan_by_key_implILNS1_25lookback_scan_determinismE0ELb0ES3_N6thrust23THRUST_200600_302600_NS6detail15normal_iteratorINS9_10device_ptrIsEEEENS9_18transform_iteratorINS9_6negateIsEESE_NS9_11use_defaultESI_EESE_sNS9_4plusIvEENS9_8equal_toIvEEsEE10hipError_tPvRmT2_T3_T4_T5_mT6_T7_P12ihipStream_tbENKUlT_T0_E_clISt17integral_constantIbLb1EES13_IbLb0EEEEDaSZ_S10_EUlSZ_E_NS1_11comp_targetILNS1_3genE10ELNS1_11target_archE1201ELNS1_3gpuE5ELNS1_3repE0EEENS1_30default_config_static_selectorELNS0_4arch9wavefront6targetE1EEEvT1_.kd
    .uniform_work_group_size: 1
    .uses_dynamic_stack: false
    .vgpr_count:     0
    .vgpr_spill_count: 0
    .wavefront_size: 64
  - .agpr_count:     0
    .args:
      - .offset:         0
        .size:           120
        .value_kind:     by_value
    .group_segment_fixed_size: 13312
    .kernarg_segment_align: 8
    .kernarg_segment_size: 120
    .language:       OpenCL C
    .language_version:
      - 2
      - 0
    .max_flat_workgroup_size: 256
    .name:           _ZN7rocprim17ROCPRIM_400000_NS6detail17trampoline_kernelINS0_14default_configENS1_27scan_by_key_config_selectorIssEEZZNS1_16scan_by_key_implILNS1_25lookback_scan_determinismE0ELb0ES3_N6thrust23THRUST_200600_302600_NS6detail15normal_iteratorINS9_10device_ptrIsEEEENS9_18transform_iteratorINS9_6negateIsEESE_NS9_11use_defaultESI_EESE_sNS9_4plusIvEENS9_8equal_toIvEEsEE10hipError_tPvRmT2_T3_T4_T5_mT6_T7_P12ihipStream_tbENKUlT_T0_E_clISt17integral_constantIbLb1EES13_IbLb0EEEEDaSZ_S10_EUlSZ_E_NS1_11comp_targetILNS1_3genE5ELNS1_11target_archE942ELNS1_3gpuE9ELNS1_3repE0EEENS1_30default_config_static_selectorELNS0_4arch9wavefront6targetE1EEEvT1_
    .private_segment_fixed_size: 0
    .sgpr_count:     94
    .sgpr_spill_count: 0
    .symbol:         _ZN7rocprim17ROCPRIM_400000_NS6detail17trampoline_kernelINS0_14default_configENS1_27scan_by_key_config_selectorIssEEZZNS1_16scan_by_key_implILNS1_25lookback_scan_determinismE0ELb0ES3_N6thrust23THRUST_200600_302600_NS6detail15normal_iteratorINS9_10device_ptrIsEEEENS9_18transform_iteratorINS9_6negateIsEESE_NS9_11use_defaultESI_EESE_sNS9_4plusIvEENS9_8equal_toIvEEsEE10hipError_tPvRmT2_T3_T4_T5_mT6_T7_P12ihipStream_tbENKUlT_T0_E_clISt17integral_constantIbLb1EES13_IbLb0EEEEDaSZ_S10_EUlSZ_E_NS1_11comp_targetILNS1_3genE5ELNS1_11target_archE942ELNS1_3gpuE9ELNS1_3repE0EEENS1_30default_config_static_selectorELNS0_4arch9wavefront6targetE1EEEvT1_.kd
    .uniform_work_group_size: 1
    .uses_dynamic_stack: false
    .vgpr_count:     63
    .vgpr_spill_count: 0
    .wavefront_size: 64
  - .agpr_count:     0
    .args:
      - .offset:         0
        .size:           120
        .value_kind:     by_value
    .group_segment_fixed_size: 0
    .kernarg_segment_align: 8
    .kernarg_segment_size: 120
    .language:       OpenCL C
    .language_version:
      - 2
      - 0
    .max_flat_workgroup_size: 256
    .name:           _ZN7rocprim17ROCPRIM_400000_NS6detail17trampoline_kernelINS0_14default_configENS1_27scan_by_key_config_selectorIssEEZZNS1_16scan_by_key_implILNS1_25lookback_scan_determinismE0ELb0ES3_N6thrust23THRUST_200600_302600_NS6detail15normal_iteratorINS9_10device_ptrIsEEEENS9_18transform_iteratorINS9_6negateIsEESE_NS9_11use_defaultESI_EESE_sNS9_4plusIvEENS9_8equal_toIvEEsEE10hipError_tPvRmT2_T3_T4_T5_mT6_T7_P12ihipStream_tbENKUlT_T0_E_clISt17integral_constantIbLb1EES13_IbLb0EEEEDaSZ_S10_EUlSZ_E_NS1_11comp_targetILNS1_3genE4ELNS1_11target_archE910ELNS1_3gpuE8ELNS1_3repE0EEENS1_30default_config_static_selectorELNS0_4arch9wavefront6targetE1EEEvT1_
    .private_segment_fixed_size: 0
    .sgpr_count:     6
    .sgpr_spill_count: 0
    .symbol:         _ZN7rocprim17ROCPRIM_400000_NS6detail17trampoline_kernelINS0_14default_configENS1_27scan_by_key_config_selectorIssEEZZNS1_16scan_by_key_implILNS1_25lookback_scan_determinismE0ELb0ES3_N6thrust23THRUST_200600_302600_NS6detail15normal_iteratorINS9_10device_ptrIsEEEENS9_18transform_iteratorINS9_6negateIsEESE_NS9_11use_defaultESI_EESE_sNS9_4plusIvEENS9_8equal_toIvEEsEE10hipError_tPvRmT2_T3_T4_T5_mT6_T7_P12ihipStream_tbENKUlT_T0_E_clISt17integral_constantIbLb1EES13_IbLb0EEEEDaSZ_S10_EUlSZ_E_NS1_11comp_targetILNS1_3genE4ELNS1_11target_archE910ELNS1_3gpuE8ELNS1_3repE0EEENS1_30default_config_static_selectorELNS0_4arch9wavefront6targetE1EEEvT1_.kd
    .uniform_work_group_size: 1
    .uses_dynamic_stack: false
    .vgpr_count:     0
    .vgpr_spill_count: 0
    .wavefront_size: 64
  - .agpr_count:     0
    .args:
      - .offset:         0
        .size:           120
        .value_kind:     by_value
    .group_segment_fixed_size: 0
    .kernarg_segment_align: 8
    .kernarg_segment_size: 120
    .language:       OpenCL C
    .language_version:
      - 2
      - 0
    .max_flat_workgroup_size: 256
    .name:           _ZN7rocprim17ROCPRIM_400000_NS6detail17trampoline_kernelINS0_14default_configENS1_27scan_by_key_config_selectorIssEEZZNS1_16scan_by_key_implILNS1_25lookback_scan_determinismE0ELb0ES3_N6thrust23THRUST_200600_302600_NS6detail15normal_iteratorINS9_10device_ptrIsEEEENS9_18transform_iteratorINS9_6negateIsEESE_NS9_11use_defaultESI_EESE_sNS9_4plusIvEENS9_8equal_toIvEEsEE10hipError_tPvRmT2_T3_T4_T5_mT6_T7_P12ihipStream_tbENKUlT_T0_E_clISt17integral_constantIbLb1EES13_IbLb0EEEEDaSZ_S10_EUlSZ_E_NS1_11comp_targetILNS1_3genE3ELNS1_11target_archE908ELNS1_3gpuE7ELNS1_3repE0EEENS1_30default_config_static_selectorELNS0_4arch9wavefront6targetE1EEEvT1_
    .private_segment_fixed_size: 0
    .sgpr_count:     6
    .sgpr_spill_count: 0
    .symbol:         _ZN7rocprim17ROCPRIM_400000_NS6detail17trampoline_kernelINS0_14default_configENS1_27scan_by_key_config_selectorIssEEZZNS1_16scan_by_key_implILNS1_25lookback_scan_determinismE0ELb0ES3_N6thrust23THRUST_200600_302600_NS6detail15normal_iteratorINS9_10device_ptrIsEEEENS9_18transform_iteratorINS9_6negateIsEESE_NS9_11use_defaultESI_EESE_sNS9_4plusIvEENS9_8equal_toIvEEsEE10hipError_tPvRmT2_T3_T4_T5_mT6_T7_P12ihipStream_tbENKUlT_T0_E_clISt17integral_constantIbLb1EES13_IbLb0EEEEDaSZ_S10_EUlSZ_E_NS1_11comp_targetILNS1_3genE3ELNS1_11target_archE908ELNS1_3gpuE7ELNS1_3repE0EEENS1_30default_config_static_selectorELNS0_4arch9wavefront6targetE1EEEvT1_.kd
    .uniform_work_group_size: 1
    .uses_dynamic_stack: false
    .vgpr_count:     0
    .vgpr_spill_count: 0
    .wavefront_size: 64
  - .agpr_count:     0
    .args:
      - .offset:         0
        .size:           120
        .value_kind:     by_value
    .group_segment_fixed_size: 0
    .kernarg_segment_align: 8
    .kernarg_segment_size: 120
    .language:       OpenCL C
    .language_version:
      - 2
      - 0
    .max_flat_workgroup_size: 64
    .name:           _ZN7rocprim17ROCPRIM_400000_NS6detail17trampoline_kernelINS0_14default_configENS1_27scan_by_key_config_selectorIssEEZZNS1_16scan_by_key_implILNS1_25lookback_scan_determinismE0ELb0ES3_N6thrust23THRUST_200600_302600_NS6detail15normal_iteratorINS9_10device_ptrIsEEEENS9_18transform_iteratorINS9_6negateIsEESE_NS9_11use_defaultESI_EESE_sNS9_4plusIvEENS9_8equal_toIvEEsEE10hipError_tPvRmT2_T3_T4_T5_mT6_T7_P12ihipStream_tbENKUlT_T0_E_clISt17integral_constantIbLb1EES13_IbLb0EEEEDaSZ_S10_EUlSZ_E_NS1_11comp_targetILNS1_3genE2ELNS1_11target_archE906ELNS1_3gpuE6ELNS1_3repE0EEENS1_30default_config_static_selectorELNS0_4arch9wavefront6targetE1EEEvT1_
    .private_segment_fixed_size: 0
    .sgpr_count:     6
    .sgpr_spill_count: 0
    .symbol:         _ZN7rocprim17ROCPRIM_400000_NS6detail17trampoline_kernelINS0_14default_configENS1_27scan_by_key_config_selectorIssEEZZNS1_16scan_by_key_implILNS1_25lookback_scan_determinismE0ELb0ES3_N6thrust23THRUST_200600_302600_NS6detail15normal_iteratorINS9_10device_ptrIsEEEENS9_18transform_iteratorINS9_6negateIsEESE_NS9_11use_defaultESI_EESE_sNS9_4plusIvEENS9_8equal_toIvEEsEE10hipError_tPvRmT2_T3_T4_T5_mT6_T7_P12ihipStream_tbENKUlT_T0_E_clISt17integral_constantIbLb1EES13_IbLb0EEEEDaSZ_S10_EUlSZ_E_NS1_11comp_targetILNS1_3genE2ELNS1_11target_archE906ELNS1_3gpuE6ELNS1_3repE0EEENS1_30default_config_static_selectorELNS0_4arch9wavefront6targetE1EEEvT1_.kd
    .uniform_work_group_size: 1
    .uses_dynamic_stack: false
    .vgpr_count:     0
    .vgpr_spill_count: 0
    .wavefront_size: 64
  - .agpr_count:     0
    .args:
      - .offset:         0
        .size:           120
        .value_kind:     by_value
    .group_segment_fixed_size: 0
    .kernarg_segment_align: 8
    .kernarg_segment_size: 120
    .language:       OpenCL C
    .language_version:
      - 2
      - 0
    .max_flat_workgroup_size: 256
    .name:           _ZN7rocprim17ROCPRIM_400000_NS6detail17trampoline_kernelINS0_14default_configENS1_27scan_by_key_config_selectorIssEEZZNS1_16scan_by_key_implILNS1_25lookback_scan_determinismE0ELb0ES3_N6thrust23THRUST_200600_302600_NS6detail15normal_iteratorINS9_10device_ptrIsEEEENS9_18transform_iteratorINS9_6negateIsEESE_NS9_11use_defaultESI_EESE_sNS9_4plusIvEENS9_8equal_toIvEEsEE10hipError_tPvRmT2_T3_T4_T5_mT6_T7_P12ihipStream_tbENKUlT_T0_E_clISt17integral_constantIbLb1EES13_IbLb0EEEEDaSZ_S10_EUlSZ_E_NS1_11comp_targetILNS1_3genE10ELNS1_11target_archE1200ELNS1_3gpuE4ELNS1_3repE0EEENS1_30default_config_static_selectorELNS0_4arch9wavefront6targetE1EEEvT1_
    .private_segment_fixed_size: 0
    .sgpr_count:     6
    .sgpr_spill_count: 0
    .symbol:         _ZN7rocprim17ROCPRIM_400000_NS6detail17trampoline_kernelINS0_14default_configENS1_27scan_by_key_config_selectorIssEEZZNS1_16scan_by_key_implILNS1_25lookback_scan_determinismE0ELb0ES3_N6thrust23THRUST_200600_302600_NS6detail15normal_iteratorINS9_10device_ptrIsEEEENS9_18transform_iteratorINS9_6negateIsEESE_NS9_11use_defaultESI_EESE_sNS9_4plusIvEENS9_8equal_toIvEEsEE10hipError_tPvRmT2_T3_T4_T5_mT6_T7_P12ihipStream_tbENKUlT_T0_E_clISt17integral_constantIbLb1EES13_IbLb0EEEEDaSZ_S10_EUlSZ_E_NS1_11comp_targetILNS1_3genE10ELNS1_11target_archE1200ELNS1_3gpuE4ELNS1_3repE0EEENS1_30default_config_static_selectorELNS0_4arch9wavefront6targetE1EEEvT1_.kd
    .uniform_work_group_size: 1
    .uses_dynamic_stack: false
    .vgpr_count:     0
    .vgpr_spill_count: 0
    .wavefront_size: 64
  - .agpr_count:     0
    .args:
      - .offset:         0
        .size:           120
        .value_kind:     by_value
    .group_segment_fixed_size: 0
    .kernarg_segment_align: 8
    .kernarg_segment_size: 120
    .language:       OpenCL C
    .language_version:
      - 2
      - 0
    .max_flat_workgroup_size: 256
    .name:           _ZN7rocprim17ROCPRIM_400000_NS6detail17trampoline_kernelINS0_14default_configENS1_27scan_by_key_config_selectorIssEEZZNS1_16scan_by_key_implILNS1_25lookback_scan_determinismE0ELb0ES3_N6thrust23THRUST_200600_302600_NS6detail15normal_iteratorINS9_10device_ptrIsEEEENS9_18transform_iteratorINS9_6negateIsEESE_NS9_11use_defaultESI_EESE_sNS9_4plusIvEENS9_8equal_toIvEEsEE10hipError_tPvRmT2_T3_T4_T5_mT6_T7_P12ihipStream_tbENKUlT_T0_E_clISt17integral_constantIbLb1EES13_IbLb0EEEEDaSZ_S10_EUlSZ_E_NS1_11comp_targetILNS1_3genE9ELNS1_11target_archE1100ELNS1_3gpuE3ELNS1_3repE0EEENS1_30default_config_static_selectorELNS0_4arch9wavefront6targetE1EEEvT1_
    .private_segment_fixed_size: 0
    .sgpr_count:     6
    .sgpr_spill_count: 0
    .symbol:         _ZN7rocprim17ROCPRIM_400000_NS6detail17trampoline_kernelINS0_14default_configENS1_27scan_by_key_config_selectorIssEEZZNS1_16scan_by_key_implILNS1_25lookback_scan_determinismE0ELb0ES3_N6thrust23THRUST_200600_302600_NS6detail15normal_iteratorINS9_10device_ptrIsEEEENS9_18transform_iteratorINS9_6negateIsEESE_NS9_11use_defaultESI_EESE_sNS9_4plusIvEENS9_8equal_toIvEEsEE10hipError_tPvRmT2_T3_T4_T5_mT6_T7_P12ihipStream_tbENKUlT_T0_E_clISt17integral_constantIbLb1EES13_IbLb0EEEEDaSZ_S10_EUlSZ_E_NS1_11comp_targetILNS1_3genE9ELNS1_11target_archE1100ELNS1_3gpuE3ELNS1_3repE0EEENS1_30default_config_static_selectorELNS0_4arch9wavefront6targetE1EEEvT1_.kd
    .uniform_work_group_size: 1
    .uses_dynamic_stack: false
    .vgpr_count:     0
    .vgpr_spill_count: 0
    .wavefront_size: 64
  - .agpr_count:     0
    .args:
      - .offset:         0
        .size:           120
        .value_kind:     by_value
    .group_segment_fixed_size: 0
    .kernarg_segment_align: 8
    .kernarg_segment_size: 120
    .language:       OpenCL C
    .language_version:
      - 2
      - 0
    .max_flat_workgroup_size: 64
    .name:           _ZN7rocprim17ROCPRIM_400000_NS6detail17trampoline_kernelINS0_14default_configENS1_27scan_by_key_config_selectorIssEEZZNS1_16scan_by_key_implILNS1_25lookback_scan_determinismE0ELb0ES3_N6thrust23THRUST_200600_302600_NS6detail15normal_iteratorINS9_10device_ptrIsEEEENS9_18transform_iteratorINS9_6negateIsEESE_NS9_11use_defaultESI_EESE_sNS9_4plusIvEENS9_8equal_toIvEEsEE10hipError_tPvRmT2_T3_T4_T5_mT6_T7_P12ihipStream_tbENKUlT_T0_E_clISt17integral_constantIbLb1EES13_IbLb0EEEEDaSZ_S10_EUlSZ_E_NS1_11comp_targetILNS1_3genE8ELNS1_11target_archE1030ELNS1_3gpuE2ELNS1_3repE0EEENS1_30default_config_static_selectorELNS0_4arch9wavefront6targetE1EEEvT1_
    .private_segment_fixed_size: 0
    .sgpr_count:     6
    .sgpr_spill_count: 0
    .symbol:         _ZN7rocprim17ROCPRIM_400000_NS6detail17trampoline_kernelINS0_14default_configENS1_27scan_by_key_config_selectorIssEEZZNS1_16scan_by_key_implILNS1_25lookback_scan_determinismE0ELb0ES3_N6thrust23THRUST_200600_302600_NS6detail15normal_iteratorINS9_10device_ptrIsEEEENS9_18transform_iteratorINS9_6negateIsEESE_NS9_11use_defaultESI_EESE_sNS9_4plusIvEENS9_8equal_toIvEEsEE10hipError_tPvRmT2_T3_T4_T5_mT6_T7_P12ihipStream_tbENKUlT_T0_E_clISt17integral_constantIbLb1EES13_IbLb0EEEEDaSZ_S10_EUlSZ_E_NS1_11comp_targetILNS1_3genE8ELNS1_11target_archE1030ELNS1_3gpuE2ELNS1_3repE0EEENS1_30default_config_static_selectorELNS0_4arch9wavefront6targetE1EEEvT1_.kd
    .uniform_work_group_size: 1
    .uses_dynamic_stack: false
    .vgpr_count:     0
    .vgpr_spill_count: 0
    .wavefront_size: 64
  - .agpr_count:     0
    .args:
      - .offset:         0
        .size:           120
        .value_kind:     by_value
    .group_segment_fixed_size: 0
    .kernarg_segment_align: 8
    .kernarg_segment_size: 120
    .language:       OpenCL C
    .language_version:
      - 2
      - 0
    .max_flat_workgroup_size: 256
    .name:           _ZN7rocprim17ROCPRIM_400000_NS6detail17trampoline_kernelINS0_14default_configENS1_27scan_by_key_config_selectorIssEEZZNS1_16scan_by_key_implILNS1_25lookback_scan_determinismE0ELb0ES3_N6thrust23THRUST_200600_302600_NS6detail15normal_iteratorINS9_10device_ptrIsEEEENS9_18transform_iteratorINS9_6negateIsEESE_NS9_11use_defaultESI_EESE_sNS9_4plusIvEENS9_8equal_toIvEEsEE10hipError_tPvRmT2_T3_T4_T5_mT6_T7_P12ihipStream_tbENKUlT_T0_E_clISt17integral_constantIbLb0EES13_IbLb1EEEEDaSZ_S10_EUlSZ_E_NS1_11comp_targetILNS1_3genE0ELNS1_11target_archE4294967295ELNS1_3gpuE0ELNS1_3repE0EEENS1_30default_config_static_selectorELNS0_4arch9wavefront6targetE1EEEvT1_
    .private_segment_fixed_size: 0
    .sgpr_count:     6
    .sgpr_spill_count: 0
    .symbol:         _ZN7rocprim17ROCPRIM_400000_NS6detail17trampoline_kernelINS0_14default_configENS1_27scan_by_key_config_selectorIssEEZZNS1_16scan_by_key_implILNS1_25lookback_scan_determinismE0ELb0ES3_N6thrust23THRUST_200600_302600_NS6detail15normal_iteratorINS9_10device_ptrIsEEEENS9_18transform_iteratorINS9_6negateIsEESE_NS9_11use_defaultESI_EESE_sNS9_4plusIvEENS9_8equal_toIvEEsEE10hipError_tPvRmT2_T3_T4_T5_mT6_T7_P12ihipStream_tbENKUlT_T0_E_clISt17integral_constantIbLb0EES13_IbLb1EEEEDaSZ_S10_EUlSZ_E_NS1_11comp_targetILNS1_3genE0ELNS1_11target_archE4294967295ELNS1_3gpuE0ELNS1_3repE0EEENS1_30default_config_static_selectorELNS0_4arch9wavefront6targetE1EEEvT1_.kd
    .uniform_work_group_size: 1
    .uses_dynamic_stack: false
    .vgpr_count:     0
    .vgpr_spill_count: 0
    .wavefront_size: 64
  - .agpr_count:     0
    .args:
      - .offset:         0
        .size:           120
        .value_kind:     by_value
    .group_segment_fixed_size: 0
    .kernarg_segment_align: 8
    .kernarg_segment_size: 120
    .language:       OpenCL C
    .language_version:
      - 2
      - 0
    .max_flat_workgroup_size: 128
    .name:           _ZN7rocprim17ROCPRIM_400000_NS6detail17trampoline_kernelINS0_14default_configENS1_27scan_by_key_config_selectorIssEEZZNS1_16scan_by_key_implILNS1_25lookback_scan_determinismE0ELb0ES3_N6thrust23THRUST_200600_302600_NS6detail15normal_iteratorINS9_10device_ptrIsEEEENS9_18transform_iteratorINS9_6negateIsEESE_NS9_11use_defaultESI_EESE_sNS9_4plusIvEENS9_8equal_toIvEEsEE10hipError_tPvRmT2_T3_T4_T5_mT6_T7_P12ihipStream_tbENKUlT_T0_E_clISt17integral_constantIbLb0EES13_IbLb1EEEEDaSZ_S10_EUlSZ_E_NS1_11comp_targetILNS1_3genE10ELNS1_11target_archE1201ELNS1_3gpuE5ELNS1_3repE0EEENS1_30default_config_static_selectorELNS0_4arch9wavefront6targetE1EEEvT1_
    .private_segment_fixed_size: 0
    .sgpr_count:     6
    .sgpr_spill_count: 0
    .symbol:         _ZN7rocprim17ROCPRIM_400000_NS6detail17trampoline_kernelINS0_14default_configENS1_27scan_by_key_config_selectorIssEEZZNS1_16scan_by_key_implILNS1_25lookback_scan_determinismE0ELb0ES3_N6thrust23THRUST_200600_302600_NS6detail15normal_iteratorINS9_10device_ptrIsEEEENS9_18transform_iteratorINS9_6negateIsEESE_NS9_11use_defaultESI_EESE_sNS9_4plusIvEENS9_8equal_toIvEEsEE10hipError_tPvRmT2_T3_T4_T5_mT6_T7_P12ihipStream_tbENKUlT_T0_E_clISt17integral_constantIbLb0EES13_IbLb1EEEEDaSZ_S10_EUlSZ_E_NS1_11comp_targetILNS1_3genE10ELNS1_11target_archE1201ELNS1_3gpuE5ELNS1_3repE0EEENS1_30default_config_static_selectorELNS0_4arch9wavefront6targetE1EEEvT1_.kd
    .uniform_work_group_size: 1
    .uses_dynamic_stack: false
    .vgpr_count:     0
    .vgpr_spill_count: 0
    .wavefront_size: 64
  - .agpr_count:     0
    .args:
      - .offset:         0
        .size:           120
        .value_kind:     by_value
    .group_segment_fixed_size: 13312
    .kernarg_segment_align: 8
    .kernarg_segment_size: 120
    .language:       OpenCL C
    .language_version:
      - 2
      - 0
    .max_flat_workgroup_size: 256
    .name:           _ZN7rocprim17ROCPRIM_400000_NS6detail17trampoline_kernelINS0_14default_configENS1_27scan_by_key_config_selectorIssEEZZNS1_16scan_by_key_implILNS1_25lookback_scan_determinismE0ELb0ES3_N6thrust23THRUST_200600_302600_NS6detail15normal_iteratorINS9_10device_ptrIsEEEENS9_18transform_iteratorINS9_6negateIsEESE_NS9_11use_defaultESI_EESE_sNS9_4plusIvEENS9_8equal_toIvEEsEE10hipError_tPvRmT2_T3_T4_T5_mT6_T7_P12ihipStream_tbENKUlT_T0_E_clISt17integral_constantIbLb0EES13_IbLb1EEEEDaSZ_S10_EUlSZ_E_NS1_11comp_targetILNS1_3genE5ELNS1_11target_archE942ELNS1_3gpuE9ELNS1_3repE0EEENS1_30default_config_static_selectorELNS0_4arch9wavefront6targetE1EEEvT1_
    .private_segment_fixed_size: 0
    .sgpr_count:     93
    .sgpr_spill_count: 0
    .symbol:         _ZN7rocprim17ROCPRIM_400000_NS6detail17trampoline_kernelINS0_14default_configENS1_27scan_by_key_config_selectorIssEEZZNS1_16scan_by_key_implILNS1_25lookback_scan_determinismE0ELb0ES3_N6thrust23THRUST_200600_302600_NS6detail15normal_iteratorINS9_10device_ptrIsEEEENS9_18transform_iteratorINS9_6negateIsEESE_NS9_11use_defaultESI_EESE_sNS9_4plusIvEENS9_8equal_toIvEEsEE10hipError_tPvRmT2_T3_T4_T5_mT6_T7_P12ihipStream_tbENKUlT_T0_E_clISt17integral_constantIbLb0EES13_IbLb1EEEEDaSZ_S10_EUlSZ_E_NS1_11comp_targetILNS1_3genE5ELNS1_11target_archE942ELNS1_3gpuE9ELNS1_3repE0EEENS1_30default_config_static_selectorELNS0_4arch9wavefront6targetE1EEEvT1_.kd
    .uniform_work_group_size: 1
    .uses_dynamic_stack: false
    .vgpr_count:     63
    .vgpr_spill_count: 0
    .wavefront_size: 64
  - .agpr_count:     0
    .args:
      - .offset:         0
        .size:           120
        .value_kind:     by_value
    .group_segment_fixed_size: 0
    .kernarg_segment_align: 8
    .kernarg_segment_size: 120
    .language:       OpenCL C
    .language_version:
      - 2
      - 0
    .max_flat_workgroup_size: 256
    .name:           _ZN7rocprim17ROCPRIM_400000_NS6detail17trampoline_kernelINS0_14default_configENS1_27scan_by_key_config_selectorIssEEZZNS1_16scan_by_key_implILNS1_25lookback_scan_determinismE0ELb0ES3_N6thrust23THRUST_200600_302600_NS6detail15normal_iteratorINS9_10device_ptrIsEEEENS9_18transform_iteratorINS9_6negateIsEESE_NS9_11use_defaultESI_EESE_sNS9_4plusIvEENS9_8equal_toIvEEsEE10hipError_tPvRmT2_T3_T4_T5_mT6_T7_P12ihipStream_tbENKUlT_T0_E_clISt17integral_constantIbLb0EES13_IbLb1EEEEDaSZ_S10_EUlSZ_E_NS1_11comp_targetILNS1_3genE4ELNS1_11target_archE910ELNS1_3gpuE8ELNS1_3repE0EEENS1_30default_config_static_selectorELNS0_4arch9wavefront6targetE1EEEvT1_
    .private_segment_fixed_size: 0
    .sgpr_count:     6
    .sgpr_spill_count: 0
    .symbol:         _ZN7rocprim17ROCPRIM_400000_NS6detail17trampoline_kernelINS0_14default_configENS1_27scan_by_key_config_selectorIssEEZZNS1_16scan_by_key_implILNS1_25lookback_scan_determinismE0ELb0ES3_N6thrust23THRUST_200600_302600_NS6detail15normal_iteratorINS9_10device_ptrIsEEEENS9_18transform_iteratorINS9_6negateIsEESE_NS9_11use_defaultESI_EESE_sNS9_4plusIvEENS9_8equal_toIvEEsEE10hipError_tPvRmT2_T3_T4_T5_mT6_T7_P12ihipStream_tbENKUlT_T0_E_clISt17integral_constantIbLb0EES13_IbLb1EEEEDaSZ_S10_EUlSZ_E_NS1_11comp_targetILNS1_3genE4ELNS1_11target_archE910ELNS1_3gpuE8ELNS1_3repE0EEENS1_30default_config_static_selectorELNS0_4arch9wavefront6targetE1EEEvT1_.kd
    .uniform_work_group_size: 1
    .uses_dynamic_stack: false
    .vgpr_count:     0
    .vgpr_spill_count: 0
    .wavefront_size: 64
  - .agpr_count:     0
    .args:
      - .offset:         0
        .size:           120
        .value_kind:     by_value
    .group_segment_fixed_size: 0
    .kernarg_segment_align: 8
    .kernarg_segment_size: 120
    .language:       OpenCL C
    .language_version:
      - 2
      - 0
    .max_flat_workgroup_size: 256
    .name:           _ZN7rocprim17ROCPRIM_400000_NS6detail17trampoline_kernelINS0_14default_configENS1_27scan_by_key_config_selectorIssEEZZNS1_16scan_by_key_implILNS1_25lookback_scan_determinismE0ELb0ES3_N6thrust23THRUST_200600_302600_NS6detail15normal_iteratorINS9_10device_ptrIsEEEENS9_18transform_iteratorINS9_6negateIsEESE_NS9_11use_defaultESI_EESE_sNS9_4plusIvEENS9_8equal_toIvEEsEE10hipError_tPvRmT2_T3_T4_T5_mT6_T7_P12ihipStream_tbENKUlT_T0_E_clISt17integral_constantIbLb0EES13_IbLb1EEEEDaSZ_S10_EUlSZ_E_NS1_11comp_targetILNS1_3genE3ELNS1_11target_archE908ELNS1_3gpuE7ELNS1_3repE0EEENS1_30default_config_static_selectorELNS0_4arch9wavefront6targetE1EEEvT1_
    .private_segment_fixed_size: 0
    .sgpr_count:     6
    .sgpr_spill_count: 0
    .symbol:         _ZN7rocprim17ROCPRIM_400000_NS6detail17trampoline_kernelINS0_14default_configENS1_27scan_by_key_config_selectorIssEEZZNS1_16scan_by_key_implILNS1_25lookback_scan_determinismE0ELb0ES3_N6thrust23THRUST_200600_302600_NS6detail15normal_iteratorINS9_10device_ptrIsEEEENS9_18transform_iteratorINS9_6negateIsEESE_NS9_11use_defaultESI_EESE_sNS9_4plusIvEENS9_8equal_toIvEEsEE10hipError_tPvRmT2_T3_T4_T5_mT6_T7_P12ihipStream_tbENKUlT_T0_E_clISt17integral_constantIbLb0EES13_IbLb1EEEEDaSZ_S10_EUlSZ_E_NS1_11comp_targetILNS1_3genE3ELNS1_11target_archE908ELNS1_3gpuE7ELNS1_3repE0EEENS1_30default_config_static_selectorELNS0_4arch9wavefront6targetE1EEEvT1_.kd
    .uniform_work_group_size: 1
    .uses_dynamic_stack: false
    .vgpr_count:     0
    .vgpr_spill_count: 0
    .wavefront_size: 64
  - .agpr_count:     0
    .args:
      - .offset:         0
        .size:           120
        .value_kind:     by_value
    .group_segment_fixed_size: 0
    .kernarg_segment_align: 8
    .kernarg_segment_size: 120
    .language:       OpenCL C
    .language_version:
      - 2
      - 0
    .max_flat_workgroup_size: 64
    .name:           _ZN7rocprim17ROCPRIM_400000_NS6detail17trampoline_kernelINS0_14default_configENS1_27scan_by_key_config_selectorIssEEZZNS1_16scan_by_key_implILNS1_25lookback_scan_determinismE0ELb0ES3_N6thrust23THRUST_200600_302600_NS6detail15normal_iteratorINS9_10device_ptrIsEEEENS9_18transform_iteratorINS9_6negateIsEESE_NS9_11use_defaultESI_EESE_sNS9_4plusIvEENS9_8equal_toIvEEsEE10hipError_tPvRmT2_T3_T4_T5_mT6_T7_P12ihipStream_tbENKUlT_T0_E_clISt17integral_constantIbLb0EES13_IbLb1EEEEDaSZ_S10_EUlSZ_E_NS1_11comp_targetILNS1_3genE2ELNS1_11target_archE906ELNS1_3gpuE6ELNS1_3repE0EEENS1_30default_config_static_selectorELNS0_4arch9wavefront6targetE1EEEvT1_
    .private_segment_fixed_size: 0
    .sgpr_count:     6
    .sgpr_spill_count: 0
    .symbol:         _ZN7rocprim17ROCPRIM_400000_NS6detail17trampoline_kernelINS0_14default_configENS1_27scan_by_key_config_selectorIssEEZZNS1_16scan_by_key_implILNS1_25lookback_scan_determinismE0ELb0ES3_N6thrust23THRUST_200600_302600_NS6detail15normal_iteratorINS9_10device_ptrIsEEEENS9_18transform_iteratorINS9_6negateIsEESE_NS9_11use_defaultESI_EESE_sNS9_4plusIvEENS9_8equal_toIvEEsEE10hipError_tPvRmT2_T3_T4_T5_mT6_T7_P12ihipStream_tbENKUlT_T0_E_clISt17integral_constantIbLb0EES13_IbLb1EEEEDaSZ_S10_EUlSZ_E_NS1_11comp_targetILNS1_3genE2ELNS1_11target_archE906ELNS1_3gpuE6ELNS1_3repE0EEENS1_30default_config_static_selectorELNS0_4arch9wavefront6targetE1EEEvT1_.kd
    .uniform_work_group_size: 1
    .uses_dynamic_stack: false
    .vgpr_count:     0
    .vgpr_spill_count: 0
    .wavefront_size: 64
  - .agpr_count:     0
    .args:
      - .offset:         0
        .size:           120
        .value_kind:     by_value
    .group_segment_fixed_size: 0
    .kernarg_segment_align: 8
    .kernarg_segment_size: 120
    .language:       OpenCL C
    .language_version:
      - 2
      - 0
    .max_flat_workgroup_size: 256
    .name:           _ZN7rocprim17ROCPRIM_400000_NS6detail17trampoline_kernelINS0_14default_configENS1_27scan_by_key_config_selectorIssEEZZNS1_16scan_by_key_implILNS1_25lookback_scan_determinismE0ELb0ES3_N6thrust23THRUST_200600_302600_NS6detail15normal_iteratorINS9_10device_ptrIsEEEENS9_18transform_iteratorINS9_6negateIsEESE_NS9_11use_defaultESI_EESE_sNS9_4plusIvEENS9_8equal_toIvEEsEE10hipError_tPvRmT2_T3_T4_T5_mT6_T7_P12ihipStream_tbENKUlT_T0_E_clISt17integral_constantIbLb0EES13_IbLb1EEEEDaSZ_S10_EUlSZ_E_NS1_11comp_targetILNS1_3genE10ELNS1_11target_archE1200ELNS1_3gpuE4ELNS1_3repE0EEENS1_30default_config_static_selectorELNS0_4arch9wavefront6targetE1EEEvT1_
    .private_segment_fixed_size: 0
    .sgpr_count:     6
    .sgpr_spill_count: 0
    .symbol:         _ZN7rocprim17ROCPRIM_400000_NS6detail17trampoline_kernelINS0_14default_configENS1_27scan_by_key_config_selectorIssEEZZNS1_16scan_by_key_implILNS1_25lookback_scan_determinismE0ELb0ES3_N6thrust23THRUST_200600_302600_NS6detail15normal_iteratorINS9_10device_ptrIsEEEENS9_18transform_iteratorINS9_6negateIsEESE_NS9_11use_defaultESI_EESE_sNS9_4plusIvEENS9_8equal_toIvEEsEE10hipError_tPvRmT2_T3_T4_T5_mT6_T7_P12ihipStream_tbENKUlT_T0_E_clISt17integral_constantIbLb0EES13_IbLb1EEEEDaSZ_S10_EUlSZ_E_NS1_11comp_targetILNS1_3genE10ELNS1_11target_archE1200ELNS1_3gpuE4ELNS1_3repE0EEENS1_30default_config_static_selectorELNS0_4arch9wavefront6targetE1EEEvT1_.kd
    .uniform_work_group_size: 1
    .uses_dynamic_stack: false
    .vgpr_count:     0
    .vgpr_spill_count: 0
    .wavefront_size: 64
  - .agpr_count:     0
    .args:
      - .offset:         0
        .size:           120
        .value_kind:     by_value
    .group_segment_fixed_size: 0
    .kernarg_segment_align: 8
    .kernarg_segment_size: 120
    .language:       OpenCL C
    .language_version:
      - 2
      - 0
    .max_flat_workgroup_size: 256
    .name:           _ZN7rocprim17ROCPRIM_400000_NS6detail17trampoline_kernelINS0_14default_configENS1_27scan_by_key_config_selectorIssEEZZNS1_16scan_by_key_implILNS1_25lookback_scan_determinismE0ELb0ES3_N6thrust23THRUST_200600_302600_NS6detail15normal_iteratorINS9_10device_ptrIsEEEENS9_18transform_iteratorINS9_6negateIsEESE_NS9_11use_defaultESI_EESE_sNS9_4plusIvEENS9_8equal_toIvEEsEE10hipError_tPvRmT2_T3_T4_T5_mT6_T7_P12ihipStream_tbENKUlT_T0_E_clISt17integral_constantIbLb0EES13_IbLb1EEEEDaSZ_S10_EUlSZ_E_NS1_11comp_targetILNS1_3genE9ELNS1_11target_archE1100ELNS1_3gpuE3ELNS1_3repE0EEENS1_30default_config_static_selectorELNS0_4arch9wavefront6targetE1EEEvT1_
    .private_segment_fixed_size: 0
    .sgpr_count:     6
    .sgpr_spill_count: 0
    .symbol:         _ZN7rocprim17ROCPRIM_400000_NS6detail17trampoline_kernelINS0_14default_configENS1_27scan_by_key_config_selectorIssEEZZNS1_16scan_by_key_implILNS1_25lookback_scan_determinismE0ELb0ES3_N6thrust23THRUST_200600_302600_NS6detail15normal_iteratorINS9_10device_ptrIsEEEENS9_18transform_iteratorINS9_6negateIsEESE_NS9_11use_defaultESI_EESE_sNS9_4plusIvEENS9_8equal_toIvEEsEE10hipError_tPvRmT2_T3_T4_T5_mT6_T7_P12ihipStream_tbENKUlT_T0_E_clISt17integral_constantIbLb0EES13_IbLb1EEEEDaSZ_S10_EUlSZ_E_NS1_11comp_targetILNS1_3genE9ELNS1_11target_archE1100ELNS1_3gpuE3ELNS1_3repE0EEENS1_30default_config_static_selectorELNS0_4arch9wavefront6targetE1EEEvT1_.kd
    .uniform_work_group_size: 1
    .uses_dynamic_stack: false
    .vgpr_count:     0
    .vgpr_spill_count: 0
    .wavefront_size: 64
  - .agpr_count:     0
    .args:
      - .offset:         0
        .size:           120
        .value_kind:     by_value
    .group_segment_fixed_size: 0
    .kernarg_segment_align: 8
    .kernarg_segment_size: 120
    .language:       OpenCL C
    .language_version:
      - 2
      - 0
    .max_flat_workgroup_size: 64
    .name:           _ZN7rocprim17ROCPRIM_400000_NS6detail17trampoline_kernelINS0_14default_configENS1_27scan_by_key_config_selectorIssEEZZNS1_16scan_by_key_implILNS1_25lookback_scan_determinismE0ELb0ES3_N6thrust23THRUST_200600_302600_NS6detail15normal_iteratorINS9_10device_ptrIsEEEENS9_18transform_iteratorINS9_6negateIsEESE_NS9_11use_defaultESI_EESE_sNS9_4plusIvEENS9_8equal_toIvEEsEE10hipError_tPvRmT2_T3_T4_T5_mT6_T7_P12ihipStream_tbENKUlT_T0_E_clISt17integral_constantIbLb0EES13_IbLb1EEEEDaSZ_S10_EUlSZ_E_NS1_11comp_targetILNS1_3genE8ELNS1_11target_archE1030ELNS1_3gpuE2ELNS1_3repE0EEENS1_30default_config_static_selectorELNS0_4arch9wavefront6targetE1EEEvT1_
    .private_segment_fixed_size: 0
    .sgpr_count:     6
    .sgpr_spill_count: 0
    .symbol:         _ZN7rocprim17ROCPRIM_400000_NS6detail17trampoline_kernelINS0_14default_configENS1_27scan_by_key_config_selectorIssEEZZNS1_16scan_by_key_implILNS1_25lookback_scan_determinismE0ELb0ES3_N6thrust23THRUST_200600_302600_NS6detail15normal_iteratorINS9_10device_ptrIsEEEENS9_18transform_iteratorINS9_6negateIsEESE_NS9_11use_defaultESI_EESE_sNS9_4plusIvEENS9_8equal_toIvEEsEE10hipError_tPvRmT2_T3_T4_T5_mT6_T7_P12ihipStream_tbENKUlT_T0_E_clISt17integral_constantIbLb0EES13_IbLb1EEEEDaSZ_S10_EUlSZ_E_NS1_11comp_targetILNS1_3genE8ELNS1_11target_archE1030ELNS1_3gpuE2ELNS1_3repE0EEENS1_30default_config_static_selectorELNS0_4arch9wavefront6targetE1EEEvT1_.kd
    .uniform_work_group_size: 1
    .uses_dynamic_stack: false
    .vgpr_count:     0
    .vgpr_spill_count: 0
    .wavefront_size: 64
  - .agpr_count:     0
    .args:
      - .address_space:  global
        .offset:         0
        .size:           8
        .value_kind:     global_buffer
      - .offset:         8
        .size:           4
        .value_kind:     by_value
      - .offset:         12
        .size:           4
        .value_kind:     by_value
      - .address_space:  global
        .offset:         16
        .size:           8
        .value_kind:     global_buffer
      - .address_space:  global
        .offset:         24
        .size:           8
        .value_kind:     global_buffer
      - .actual_access:  write_only
        .address_space:  global
        .offset:         32
        .size:           8
        .value_kind:     global_buffer
      - .offset:         40
        .size:           8
        .value_kind:     by_value
      - .offset:         48
        .size:           4
        .value_kind:     by_value
      - .offset:         52
        .size:           1
        .value_kind:     by_value
      - .offset:         56
        .size:           4
        .value_kind:     hidden_block_count_x
      - .offset:         60
        .size:           4
        .value_kind:     hidden_block_count_y
      - .offset:         64
        .size:           4
        .value_kind:     hidden_block_count_z
      - .offset:         68
        .size:           2
        .value_kind:     hidden_group_size_x
      - .offset:         70
        .size:           2
        .value_kind:     hidden_group_size_y
      - .offset:         72
        .size:           2
        .value_kind:     hidden_group_size_z
      - .offset:         74
        .size:           2
        .value_kind:     hidden_remainder_x
      - .offset:         76
        .size:           2
        .value_kind:     hidden_remainder_y
      - .offset:         78
        .size:           2
        .value_kind:     hidden_remainder_z
      - .offset:         96
        .size:           8
        .value_kind:     hidden_global_offset_x
      - .offset:         104
        .size:           8
        .value_kind:     hidden_global_offset_y
      - .offset:         112
        .size:           8
        .value_kind:     hidden_global_offset_z
      - .offset:         120
        .size:           2
        .value_kind:     hidden_grid_dims
    .group_segment_fixed_size: 0
    .kernarg_segment_align: 8
    .kernarg_segment_size: 312
    .language:       OpenCL C
    .language_version:
      - 2
      - 0
    .max_flat_workgroup_size: 256
    .name:           _ZN7rocprim17ROCPRIM_400000_NS6detail30init_device_scan_by_key_kernelINS1_19lookback_scan_stateINS0_5tupleIJibEEELb0ELb1EEEN6thrust23THRUST_200600_302600_NS6detail15normal_iteratorINS8_10device_ptrIxEEEEjNS1_16block_id_wrapperIjLb0EEEEEvT_jjPNSG_10value_typeET0_PNSt15iterator_traitsISJ_E10value_typeEmT1_T2_
    .private_segment_fixed_size: 0
    .sgpr_count:     26
    .sgpr_spill_count: 0
    .symbol:         _ZN7rocprim17ROCPRIM_400000_NS6detail30init_device_scan_by_key_kernelINS1_19lookback_scan_stateINS0_5tupleIJibEEELb0ELb1EEEN6thrust23THRUST_200600_302600_NS6detail15normal_iteratorINS8_10device_ptrIxEEEEjNS1_16block_id_wrapperIjLb0EEEEEvT_jjPNSG_10value_typeET0_PNSt15iterator_traitsISJ_E10value_typeEmT1_T2_.kd
    .uniform_work_group_size: 1
    .uses_dynamic_stack: false
    .vgpr_count:     10
    .vgpr_spill_count: 0
    .wavefront_size: 64
  - .agpr_count:     0
    .args:
      - .offset:         0
        .size:           112
        .value_kind:     by_value
    .group_segment_fixed_size: 0
    .kernarg_segment_align: 8
    .kernarg_segment_size: 112
    .language:       OpenCL C
    .language_version:
      - 2
      - 0
    .max_flat_workgroup_size: 256
    .name:           _ZN7rocprim17ROCPRIM_400000_NS6detail17trampoline_kernelINS0_14default_configENS1_27scan_by_key_config_selectorIxiEEZZNS1_16scan_by_key_implILNS1_25lookback_scan_determinismE0ELb1ES3_N6thrust23THRUST_200600_302600_NS6detail15normal_iteratorINS9_10device_ptrIxEEEESE_SE_iNS9_4plusIvEENS9_8equal_toIvEEiEE10hipError_tPvRmT2_T3_T4_T5_mT6_T7_P12ihipStream_tbENKUlT_T0_E_clISt17integral_constantIbLb0EESZ_EEDaSU_SV_EUlSU_E_NS1_11comp_targetILNS1_3genE0ELNS1_11target_archE4294967295ELNS1_3gpuE0ELNS1_3repE0EEENS1_30default_config_static_selectorELNS0_4arch9wavefront6targetE1EEEvT1_
    .private_segment_fixed_size: 0
    .sgpr_count:     6
    .sgpr_spill_count: 0
    .symbol:         _ZN7rocprim17ROCPRIM_400000_NS6detail17trampoline_kernelINS0_14default_configENS1_27scan_by_key_config_selectorIxiEEZZNS1_16scan_by_key_implILNS1_25lookback_scan_determinismE0ELb1ES3_N6thrust23THRUST_200600_302600_NS6detail15normal_iteratorINS9_10device_ptrIxEEEESE_SE_iNS9_4plusIvEENS9_8equal_toIvEEiEE10hipError_tPvRmT2_T3_T4_T5_mT6_T7_P12ihipStream_tbENKUlT_T0_E_clISt17integral_constantIbLb0EESZ_EEDaSU_SV_EUlSU_E_NS1_11comp_targetILNS1_3genE0ELNS1_11target_archE4294967295ELNS1_3gpuE0ELNS1_3repE0EEENS1_30default_config_static_selectorELNS0_4arch9wavefront6targetE1EEEvT1_.kd
    .uniform_work_group_size: 1
    .uses_dynamic_stack: false
    .vgpr_count:     0
    .vgpr_spill_count: 0
    .wavefront_size: 64
  - .agpr_count:     0
    .args:
      - .offset:         0
        .size:           112
        .value_kind:     by_value
    .group_segment_fixed_size: 0
    .kernarg_segment_align: 8
    .kernarg_segment_size: 112
    .language:       OpenCL C
    .language_version:
      - 2
      - 0
    .max_flat_workgroup_size: 256
    .name:           _ZN7rocprim17ROCPRIM_400000_NS6detail17trampoline_kernelINS0_14default_configENS1_27scan_by_key_config_selectorIxiEEZZNS1_16scan_by_key_implILNS1_25lookback_scan_determinismE0ELb1ES3_N6thrust23THRUST_200600_302600_NS6detail15normal_iteratorINS9_10device_ptrIxEEEESE_SE_iNS9_4plusIvEENS9_8equal_toIvEEiEE10hipError_tPvRmT2_T3_T4_T5_mT6_T7_P12ihipStream_tbENKUlT_T0_E_clISt17integral_constantIbLb0EESZ_EEDaSU_SV_EUlSU_E_NS1_11comp_targetILNS1_3genE10ELNS1_11target_archE1201ELNS1_3gpuE5ELNS1_3repE0EEENS1_30default_config_static_selectorELNS0_4arch9wavefront6targetE1EEEvT1_
    .private_segment_fixed_size: 0
    .sgpr_count:     6
    .sgpr_spill_count: 0
    .symbol:         _ZN7rocprim17ROCPRIM_400000_NS6detail17trampoline_kernelINS0_14default_configENS1_27scan_by_key_config_selectorIxiEEZZNS1_16scan_by_key_implILNS1_25lookback_scan_determinismE0ELb1ES3_N6thrust23THRUST_200600_302600_NS6detail15normal_iteratorINS9_10device_ptrIxEEEESE_SE_iNS9_4plusIvEENS9_8equal_toIvEEiEE10hipError_tPvRmT2_T3_T4_T5_mT6_T7_P12ihipStream_tbENKUlT_T0_E_clISt17integral_constantIbLb0EESZ_EEDaSU_SV_EUlSU_E_NS1_11comp_targetILNS1_3genE10ELNS1_11target_archE1201ELNS1_3gpuE5ELNS1_3repE0EEENS1_30default_config_static_selectorELNS0_4arch9wavefront6targetE1EEEvT1_.kd
    .uniform_work_group_size: 1
    .uses_dynamic_stack: false
    .vgpr_count:     0
    .vgpr_spill_count: 0
    .wavefront_size: 64
  - .agpr_count:     0
    .args:
      - .offset:         0
        .size:           112
        .value_kind:     by_value
    .group_segment_fixed_size: 32768
    .kernarg_segment_align: 8
    .kernarg_segment_size: 112
    .language:       OpenCL C
    .language_version:
      - 2
      - 0
    .max_flat_workgroup_size: 256
    .name:           _ZN7rocprim17ROCPRIM_400000_NS6detail17trampoline_kernelINS0_14default_configENS1_27scan_by_key_config_selectorIxiEEZZNS1_16scan_by_key_implILNS1_25lookback_scan_determinismE0ELb1ES3_N6thrust23THRUST_200600_302600_NS6detail15normal_iteratorINS9_10device_ptrIxEEEESE_SE_iNS9_4plusIvEENS9_8equal_toIvEEiEE10hipError_tPvRmT2_T3_T4_T5_mT6_T7_P12ihipStream_tbENKUlT_T0_E_clISt17integral_constantIbLb0EESZ_EEDaSU_SV_EUlSU_E_NS1_11comp_targetILNS1_3genE5ELNS1_11target_archE942ELNS1_3gpuE9ELNS1_3repE0EEENS1_30default_config_static_selectorELNS0_4arch9wavefront6targetE1EEEvT1_
    .private_segment_fixed_size: 0
    .sgpr_count:     68
    .sgpr_spill_count: 0
    .symbol:         _ZN7rocprim17ROCPRIM_400000_NS6detail17trampoline_kernelINS0_14default_configENS1_27scan_by_key_config_selectorIxiEEZZNS1_16scan_by_key_implILNS1_25lookback_scan_determinismE0ELb1ES3_N6thrust23THRUST_200600_302600_NS6detail15normal_iteratorINS9_10device_ptrIxEEEESE_SE_iNS9_4plusIvEENS9_8equal_toIvEEiEE10hipError_tPvRmT2_T3_T4_T5_mT6_T7_P12ihipStream_tbENKUlT_T0_E_clISt17integral_constantIbLb0EESZ_EEDaSU_SV_EUlSU_E_NS1_11comp_targetILNS1_3genE5ELNS1_11target_archE942ELNS1_3gpuE9ELNS1_3repE0EEENS1_30default_config_static_selectorELNS0_4arch9wavefront6targetE1EEEvT1_.kd
    .uniform_work_group_size: 1
    .uses_dynamic_stack: false
    .vgpr_count:     62
    .vgpr_spill_count: 0
    .wavefront_size: 64
  - .agpr_count:     0
    .args:
      - .offset:         0
        .size:           112
        .value_kind:     by_value
    .group_segment_fixed_size: 0
    .kernarg_segment_align: 8
    .kernarg_segment_size: 112
    .language:       OpenCL C
    .language_version:
      - 2
      - 0
    .max_flat_workgroup_size: 256
    .name:           _ZN7rocprim17ROCPRIM_400000_NS6detail17trampoline_kernelINS0_14default_configENS1_27scan_by_key_config_selectorIxiEEZZNS1_16scan_by_key_implILNS1_25lookback_scan_determinismE0ELb1ES3_N6thrust23THRUST_200600_302600_NS6detail15normal_iteratorINS9_10device_ptrIxEEEESE_SE_iNS9_4plusIvEENS9_8equal_toIvEEiEE10hipError_tPvRmT2_T3_T4_T5_mT6_T7_P12ihipStream_tbENKUlT_T0_E_clISt17integral_constantIbLb0EESZ_EEDaSU_SV_EUlSU_E_NS1_11comp_targetILNS1_3genE4ELNS1_11target_archE910ELNS1_3gpuE8ELNS1_3repE0EEENS1_30default_config_static_selectorELNS0_4arch9wavefront6targetE1EEEvT1_
    .private_segment_fixed_size: 0
    .sgpr_count:     6
    .sgpr_spill_count: 0
    .symbol:         _ZN7rocprim17ROCPRIM_400000_NS6detail17trampoline_kernelINS0_14default_configENS1_27scan_by_key_config_selectorIxiEEZZNS1_16scan_by_key_implILNS1_25lookback_scan_determinismE0ELb1ES3_N6thrust23THRUST_200600_302600_NS6detail15normal_iteratorINS9_10device_ptrIxEEEESE_SE_iNS9_4plusIvEENS9_8equal_toIvEEiEE10hipError_tPvRmT2_T3_T4_T5_mT6_T7_P12ihipStream_tbENKUlT_T0_E_clISt17integral_constantIbLb0EESZ_EEDaSU_SV_EUlSU_E_NS1_11comp_targetILNS1_3genE4ELNS1_11target_archE910ELNS1_3gpuE8ELNS1_3repE0EEENS1_30default_config_static_selectorELNS0_4arch9wavefront6targetE1EEEvT1_.kd
    .uniform_work_group_size: 1
    .uses_dynamic_stack: false
    .vgpr_count:     0
    .vgpr_spill_count: 0
    .wavefront_size: 64
  - .agpr_count:     0
    .args:
      - .offset:         0
        .size:           112
        .value_kind:     by_value
    .group_segment_fixed_size: 0
    .kernarg_segment_align: 8
    .kernarg_segment_size: 112
    .language:       OpenCL C
    .language_version:
      - 2
      - 0
    .max_flat_workgroup_size: 256
    .name:           _ZN7rocprim17ROCPRIM_400000_NS6detail17trampoline_kernelINS0_14default_configENS1_27scan_by_key_config_selectorIxiEEZZNS1_16scan_by_key_implILNS1_25lookback_scan_determinismE0ELb1ES3_N6thrust23THRUST_200600_302600_NS6detail15normal_iteratorINS9_10device_ptrIxEEEESE_SE_iNS9_4plusIvEENS9_8equal_toIvEEiEE10hipError_tPvRmT2_T3_T4_T5_mT6_T7_P12ihipStream_tbENKUlT_T0_E_clISt17integral_constantIbLb0EESZ_EEDaSU_SV_EUlSU_E_NS1_11comp_targetILNS1_3genE3ELNS1_11target_archE908ELNS1_3gpuE7ELNS1_3repE0EEENS1_30default_config_static_selectorELNS0_4arch9wavefront6targetE1EEEvT1_
    .private_segment_fixed_size: 0
    .sgpr_count:     6
    .sgpr_spill_count: 0
    .symbol:         _ZN7rocprim17ROCPRIM_400000_NS6detail17trampoline_kernelINS0_14default_configENS1_27scan_by_key_config_selectorIxiEEZZNS1_16scan_by_key_implILNS1_25lookback_scan_determinismE0ELb1ES3_N6thrust23THRUST_200600_302600_NS6detail15normal_iteratorINS9_10device_ptrIxEEEESE_SE_iNS9_4plusIvEENS9_8equal_toIvEEiEE10hipError_tPvRmT2_T3_T4_T5_mT6_T7_P12ihipStream_tbENKUlT_T0_E_clISt17integral_constantIbLb0EESZ_EEDaSU_SV_EUlSU_E_NS1_11comp_targetILNS1_3genE3ELNS1_11target_archE908ELNS1_3gpuE7ELNS1_3repE0EEENS1_30default_config_static_selectorELNS0_4arch9wavefront6targetE1EEEvT1_.kd
    .uniform_work_group_size: 1
    .uses_dynamic_stack: false
    .vgpr_count:     0
    .vgpr_spill_count: 0
    .wavefront_size: 64
  - .agpr_count:     0
    .args:
      - .offset:         0
        .size:           112
        .value_kind:     by_value
    .group_segment_fixed_size: 0
    .kernarg_segment_align: 8
    .kernarg_segment_size: 112
    .language:       OpenCL C
    .language_version:
      - 2
      - 0
    .max_flat_workgroup_size: 256
    .name:           _ZN7rocprim17ROCPRIM_400000_NS6detail17trampoline_kernelINS0_14default_configENS1_27scan_by_key_config_selectorIxiEEZZNS1_16scan_by_key_implILNS1_25lookback_scan_determinismE0ELb1ES3_N6thrust23THRUST_200600_302600_NS6detail15normal_iteratorINS9_10device_ptrIxEEEESE_SE_iNS9_4plusIvEENS9_8equal_toIvEEiEE10hipError_tPvRmT2_T3_T4_T5_mT6_T7_P12ihipStream_tbENKUlT_T0_E_clISt17integral_constantIbLb0EESZ_EEDaSU_SV_EUlSU_E_NS1_11comp_targetILNS1_3genE2ELNS1_11target_archE906ELNS1_3gpuE6ELNS1_3repE0EEENS1_30default_config_static_selectorELNS0_4arch9wavefront6targetE1EEEvT1_
    .private_segment_fixed_size: 0
    .sgpr_count:     6
    .sgpr_spill_count: 0
    .symbol:         _ZN7rocprim17ROCPRIM_400000_NS6detail17trampoline_kernelINS0_14default_configENS1_27scan_by_key_config_selectorIxiEEZZNS1_16scan_by_key_implILNS1_25lookback_scan_determinismE0ELb1ES3_N6thrust23THRUST_200600_302600_NS6detail15normal_iteratorINS9_10device_ptrIxEEEESE_SE_iNS9_4plusIvEENS9_8equal_toIvEEiEE10hipError_tPvRmT2_T3_T4_T5_mT6_T7_P12ihipStream_tbENKUlT_T0_E_clISt17integral_constantIbLb0EESZ_EEDaSU_SV_EUlSU_E_NS1_11comp_targetILNS1_3genE2ELNS1_11target_archE906ELNS1_3gpuE6ELNS1_3repE0EEENS1_30default_config_static_selectorELNS0_4arch9wavefront6targetE1EEEvT1_.kd
    .uniform_work_group_size: 1
    .uses_dynamic_stack: false
    .vgpr_count:     0
    .vgpr_spill_count: 0
    .wavefront_size: 64
  - .agpr_count:     0
    .args:
      - .offset:         0
        .size:           112
        .value_kind:     by_value
    .group_segment_fixed_size: 0
    .kernarg_segment_align: 8
    .kernarg_segment_size: 112
    .language:       OpenCL C
    .language_version:
      - 2
      - 0
    .max_flat_workgroup_size: 256
    .name:           _ZN7rocprim17ROCPRIM_400000_NS6detail17trampoline_kernelINS0_14default_configENS1_27scan_by_key_config_selectorIxiEEZZNS1_16scan_by_key_implILNS1_25lookback_scan_determinismE0ELb1ES3_N6thrust23THRUST_200600_302600_NS6detail15normal_iteratorINS9_10device_ptrIxEEEESE_SE_iNS9_4plusIvEENS9_8equal_toIvEEiEE10hipError_tPvRmT2_T3_T4_T5_mT6_T7_P12ihipStream_tbENKUlT_T0_E_clISt17integral_constantIbLb0EESZ_EEDaSU_SV_EUlSU_E_NS1_11comp_targetILNS1_3genE10ELNS1_11target_archE1200ELNS1_3gpuE4ELNS1_3repE0EEENS1_30default_config_static_selectorELNS0_4arch9wavefront6targetE1EEEvT1_
    .private_segment_fixed_size: 0
    .sgpr_count:     6
    .sgpr_spill_count: 0
    .symbol:         _ZN7rocprim17ROCPRIM_400000_NS6detail17trampoline_kernelINS0_14default_configENS1_27scan_by_key_config_selectorIxiEEZZNS1_16scan_by_key_implILNS1_25lookback_scan_determinismE0ELb1ES3_N6thrust23THRUST_200600_302600_NS6detail15normal_iteratorINS9_10device_ptrIxEEEESE_SE_iNS9_4plusIvEENS9_8equal_toIvEEiEE10hipError_tPvRmT2_T3_T4_T5_mT6_T7_P12ihipStream_tbENKUlT_T0_E_clISt17integral_constantIbLb0EESZ_EEDaSU_SV_EUlSU_E_NS1_11comp_targetILNS1_3genE10ELNS1_11target_archE1200ELNS1_3gpuE4ELNS1_3repE0EEENS1_30default_config_static_selectorELNS0_4arch9wavefront6targetE1EEEvT1_.kd
    .uniform_work_group_size: 1
    .uses_dynamic_stack: false
    .vgpr_count:     0
    .vgpr_spill_count: 0
    .wavefront_size: 64
  - .agpr_count:     0
    .args:
      - .offset:         0
        .size:           112
        .value_kind:     by_value
    .group_segment_fixed_size: 0
    .kernarg_segment_align: 8
    .kernarg_segment_size: 112
    .language:       OpenCL C
    .language_version:
      - 2
      - 0
    .max_flat_workgroup_size: 256
    .name:           _ZN7rocprim17ROCPRIM_400000_NS6detail17trampoline_kernelINS0_14default_configENS1_27scan_by_key_config_selectorIxiEEZZNS1_16scan_by_key_implILNS1_25lookback_scan_determinismE0ELb1ES3_N6thrust23THRUST_200600_302600_NS6detail15normal_iteratorINS9_10device_ptrIxEEEESE_SE_iNS9_4plusIvEENS9_8equal_toIvEEiEE10hipError_tPvRmT2_T3_T4_T5_mT6_T7_P12ihipStream_tbENKUlT_T0_E_clISt17integral_constantIbLb0EESZ_EEDaSU_SV_EUlSU_E_NS1_11comp_targetILNS1_3genE9ELNS1_11target_archE1100ELNS1_3gpuE3ELNS1_3repE0EEENS1_30default_config_static_selectorELNS0_4arch9wavefront6targetE1EEEvT1_
    .private_segment_fixed_size: 0
    .sgpr_count:     6
    .sgpr_spill_count: 0
    .symbol:         _ZN7rocprim17ROCPRIM_400000_NS6detail17trampoline_kernelINS0_14default_configENS1_27scan_by_key_config_selectorIxiEEZZNS1_16scan_by_key_implILNS1_25lookback_scan_determinismE0ELb1ES3_N6thrust23THRUST_200600_302600_NS6detail15normal_iteratorINS9_10device_ptrIxEEEESE_SE_iNS9_4plusIvEENS9_8equal_toIvEEiEE10hipError_tPvRmT2_T3_T4_T5_mT6_T7_P12ihipStream_tbENKUlT_T0_E_clISt17integral_constantIbLb0EESZ_EEDaSU_SV_EUlSU_E_NS1_11comp_targetILNS1_3genE9ELNS1_11target_archE1100ELNS1_3gpuE3ELNS1_3repE0EEENS1_30default_config_static_selectorELNS0_4arch9wavefront6targetE1EEEvT1_.kd
    .uniform_work_group_size: 1
    .uses_dynamic_stack: false
    .vgpr_count:     0
    .vgpr_spill_count: 0
    .wavefront_size: 64
  - .agpr_count:     0
    .args:
      - .offset:         0
        .size:           112
        .value_kind:     by_value
    .group_segment_fixed_size: 0
    .kernarg_segment_align: 8
    .kernarg_segment_size: 112
    .language:       OpenCL C
    .language_version:
      - 2
      - 0
    .max_flat_workgroup_size: 256
    .name:           _ZN7rocprim17ROCPRIM_400000_NS6detail17trampoline_kernelINS0_14default_configENS1_27scan_by_key_config_selectorIxiEEZZNS1_16scan_by_key_implILNS1_25lookback_scan_determinismE0ELb1ES3_N6thrust23THRUST_200600_302600_NS6detail15normal_iteratorINS9_10device_ptrIxEEEESE_SE_iNS9_4plusIvEENS9_8equal_toIvEEiEE10hipError_tPvRmT2_T3_T4_T5_mT6_T7_P12ihipStream_tbENKUlT_T0_E_clISt17integral_constantIbLb0EESZ_EEDaSU_SV_EUlSU_E_NS1_11comp_targetILNS1_3genE8ELNS1_11target_archE1030ELNS1_3gpuE2ELNS1_3repE0EEENS1_30default_config_static_selectorELNS0_4arch9wavefront6targetE1EEEvT1_
    .private_segment_fixed_size: 0
    .sgpr_count:     6
    .sgpr_spill_count: 0
    .symbol:         _ZN7rocprim17ROCPRIM_400000_NS6detail17trampoline_kernelINS0_14default_configENS1_27scan_by_key_config_selectorIxiEEZZNS1_16scan_by_key_implILNS1_25lookback_scan_determinismE0ELb1ES3_N6thrust23THRUST_200600_302600_NS6detail15normal_iteratorINS9_10device_ptrIxEEEESE_SE_iNS9_4plusIvEENS9_8equal_toIvEEiEE10hipError_tPvRmT2_T3_T4_T5_mT6_T7_P12ihipStream_tbENKUlT_T0_E_clISt17integral_constantIbLb0EESZ_EEDaSU_SV_EUlSU_E_NS1_11comp_targetILNS1_3genE8ELNS1_11target_archE1030ELNS1_3gpuE2ELNS1_3repE0EEENS1_30default_config_static_selectorELNS0_4arch9wavefront6targetE1EEEvT1_.kd
    .uniform_work_group_size: 1
    .uses_dynamic_stack: false
    .vgpr_count:     0
    .vgpr_spill_count: 0
    .wavefront_size: 64
  - .agpr_count:     0
    .args:
      - .address_space:  global
        .offset:         0
        .size:           8
        .value_kind:     global_buffer
      - .offset:         8
        .size:           4
        .value_kind:     by_value
      - .offset:         12
        .size:           4
        .value_kind:     by_value
      - .address_space:  global
        .offset:         16
        .size:           8
        .value_kind:     global_buffer
      - .address_space:  global
        .offset:         24
        .size:           8
        .value_kind:     global_buffer
      - .actual_access:  write_only
        .address_space:  global
        .offset:         32
        .size:           8
        .value_kind:     global_buffer
      - .offset:         40
        .size:           8
        .value_kind:     by_value
      - .offset:         48
        .size:           4
        .value_kind:     by_value
      - .address_space:  global
        .offset:         56
        .size:           8
        .value_kind:     global_buffer
      - .offset:         64
        .size:           4
        .value_kind:     hidden_block_count_x
      - .offset:         68
        .size:           4
        .value_kind:     hidden_block_count_y
      - .offset:         72
        .size:           4
        .value_kind:     hidden_block_count_z
      - .offset:         76
        .size:           2
        .value_kind:     hidden_group_size_x
      - .offset:         78
        .size:           2
        .value_kind:     hidden_group_size_y
      - .offset:         80
        .size:           2
        .value_kind:     hidden_group_size_z
      - .offset:         82
        .size:           2
        .value_kind:     hidden_remainder_x
      - .offset:         84
        .size:           2
        .value_kind:     hidden_remainder_y
      - .offset:         86
        .size:           2
        .value_kind:     hidden_remainder_z
      - .offset:         104
        .size:           8
        .value_kind:     hidden_global_offset_x
      - .offset:         112
        .size:           8
        .value_kind:     hidden_global_offset_y
      - .offset:         120
        .size:           8
        .value_kind:     hidden_global_offset_z
      - .offset:         128
        .size:           2
        .value_kind:     hidden_grid_dims
    .group_segment_fixed_size: 0
    .kernarg_segment_align: 8
    .kernarg_segment_size: 320
    .language:       OpenCL C
    .language_version:
      - 2
      - 0
    .max_flat_workgroup_size: 256
    .name:           _ZN7rocprim17ROCPRIM_400000_NS6detail30init_device_scan_by_key_kernelINS1_19lookback_scan_stateINS0_5tupleIJibEEELb1ELb1EEEN6thrust23THRUST_200600_302600_NS6detail15normal_iteratorINS8_10device_ptrIxEEEEjNS1_16block_id_wrapperIjLb1EEEEEvT_jjPNSG_10value_typeET0_PNSt15iterator_traitsISJ_E10value_typeEmT1_T2_
    .private_segment_fixed_size: 0
    .sgpr_count:     26
    .sgpr_spill_count: 0
    .symbol:         _ZN7rocprim17ROCPRIM_400000_NS6detail30init_device_scan_by_key_kernelINS1_19lookback_scan_stateINS0_5tupleIJibEEELb1ELb1EEEN6thrust23THRUST_200600_302600_NS6detail15normal_iteratorINS8_10device_ptrIxEEEEjNS1_16block_id_wrapperIjLb1EEEEEvT_jjPNSG_10value_typeET0_PNSt15iterator_traitsISJ_E10value_typeEmT1_T2_.kd
    .uniform_work_group_size: 1
    .uses_dynamic_stack: false
    .vgpr_count:     10
    .vgpr_spill_count: 0
    .wavefront_size: 64
  - .agpr_count:     0
    .args:
      - .offset:         0
        .size:           112
        .value_kind:     by_value
    .group_segment_fixed_size: 0
    .kernarg_segment_align: 8
    .kernarg_segment_size: 112
    .language:       OpenCL C
    .language_version:
      - 2
      - 0
    .max_flat_workgroup_size: 256
    .name:           _ZN7rocprim17ROCPRIM_400000_NS6detail17trampoline_kernelINS0_14default_configENS1_27scan_by_key_config_selectorIxiEEZZNS1_16scan_by_key_implILNS1_25lookback_scan_determinismE0ELb1ES3_N6thrust23THRUST_200600_302600_NS6detail15normal_iteratorINS9_10device_ptrIxEEEESE_SE_iNS9_4plusIvEENS9_8equal_toIvEEiEE10hipError_tPvRmT2_T3_T4_T5_mT6_T7_P12ihipStream_tbENKUlT_T0_E_clISt17integral_constantIbLb1EESZ_EEDaSU_SV_EUlSU_E_NS1_11comp_targetILNS1_3genE0ELNS1_11target_archE4294967295ELNS1_3gpuE0ELNS1_3repE0EEENS1_30default_config_static_selectorELNS0_4arch9wavefront6targetE1EEEvT1_
    .private_segment_fixed_size: 0
    .sgpr_count:     6
    .sgpr_spill_count: 0
    .symbol:         _ZN7rocprim17ROCPRIM_400000_NS6detail17trampoline_kernelINS0_14default_configENS1_27scan_by_key_config_selectorIxiEEZZNS1_16scan_by_key_implILNS1_25lookback_scan_determinismE0ELb1ES3_N6thrust23THRUST_200600_302600_NS6detail15normal_iteratorINS9_10device_ptrIxEEEESE_SE_iNS9_4plusIvEENS9_8equal_toIvEEiEE10hipError_tPvRmT2_T3_T4_T5_mT6_T7_P12ihipStream_tbENKUlT_T0_E_clISt17integral_constantIbLb1EESZ_EEDaSU_SV_EUlSU_E_NS1_11comp_targetILNS1_3genE0ELNS1_11target_archE4294967295ELNS1_3gpuE0ELNS1_3repE0EEENS1_30default_config_static_selectorELNS0_4arch9wavefront6targetE1EEEvT1_.kd
    .uniform_work_group_size: 1
    .uses_dynamic_stack: false
    .vgpr_count:     0
    .vgpr_spill_count: 0
    .wavefront_size: 64
  - .agpr_count:     0
    .args:
      - .offset:         0
        .size:           112
        .value_kind:     by_value
    .group_segment_fixed_size: 0
    .kernarg_segment_align: 8
    .kernarg_segment_size: 112
    .language:       OpenCL C
    .language_version:
      - 2
      - 0
    .max_flat_workgroup_size: 256
    .name:           _ZN7rocprim17ROCPRIM_400000_NS6detail17trampoline_kernelINS0_14default_configENS1_27scan_by_key_config_selectorIxiEEZZNS1_16scan_by_key_implILNS1_25lookback_scan_determinismE0ELb1ES3_N6thrust23THRUST_200600_302600_NS6detail15normal_iteratorINS9_10device_ptrIxEEEESE_SE_iNS9_4plusIvEENS9_8equal_toIvEEiEE10hipError_tPvRmT2_T3_T4_T5_mT6_T7_P12ihipStream_tbENKUlT_T0_E_clISt17integral_constantIbLb1EESZ_EEDaSU_SV_EUlSU_E_NS1_11comp_targetILNS1_3genE10ELNS1_11target_archE1201ELNS1_3gpuE5ELNS1_3repE0EEENS1_30default_config_static_selectorELNS0_4arch9wavefront6targetE1EEEvT1_
    .private_segment_fixed_size: 0
    .sgpr_count:     6
    .sgpr_spill_count: 0
    .symbol:         _ZN7rocprim17ROCPRIM_400000_NS6detail17trampoline_kernelINS0_14default_configENS1_27scan_by_key_config_selectorIxiEEZZNS1_16scan_by_key_implILNS1_25lookback_scan_determinismE0ELb1ES3_N6thrust23THRUST_200600_302600_NS6detail15normal_iteratorINS9_10device_ptrIxEEEESE_SE_iNS9_4plusIvEENS9_8equal_toIvEEiEE10hipError_tPvRmT2_T3_T4_T5_mT6_T7_P12ihipStream_tbENKUlT_T0_E_clISt17integral_constantIbLb1EESZ_EEDaSU_SV_EUlSU_E_NS1_11comp_targetILNS1_3genE10ELNS1_11target_archE1201ELNS1_3gpuE5ELNS1_3repE0EEENS1_30default_config_static_selectorELNS0_4arch9wavefront6targetE1EEEvT1_.kd
    .uniform_work_group_size: 1
    .uses_dynamic_stack: false
    .vgpr_count:     0
    .vgpr_spill_count: 0
    .wavefront_size: 64
  - .agpr_count:     0
    .args:
      - .offset:         0
        .size:           112
        .value_kind:     by_value
    .group_segment_fixed_size: 32768
    .kernarg_segment_align: 8
    .kernarg_segment_size: 112
    .language:       OpenCL C
    .language_version:
      - 2
      - 0
    .max_flat_workgroup_size: 256
    .name:           _ZN7rocprim17ROCPRIM_400000_NS6detail17trampoline_kernelINS0_14default_configENS1_27scan_by_key_config_selectorIxiEEZZNS1_16scan_by_key_implILNS1_25lookback_scan_determinismE0ELb1ES3_N6thrust23THRUST_200600_302600_NS6detail15normal_iteratorINS9_10device_ptrIxEEEESE_SE_iNS9_4plusIvEENS9_8equal_toIvEEiEE10hipError_tPvRmT2_T3_T4_T5_mT6_T7_P12ihipStream_tbENKUlT_T0_E_clISt17integral_constantIbLb1EESZ_EEDaSU_SV_EUlSU_E_NS1_11comp_targetILNS1_3genE5ELNS1_11target_archE942ELNS1_3gpuE9ELNS1_3repE0EEENS1_30default_config_static_selectorELNS0_4arch9wavefront6targetE1EEEvT1_
    .private_segment_fixed_size: 0
    .sgpr_count:     66
    .sgpr_spill_count: 0
    .symbol:         _ZN7rocprim17ROCPRIM_400000_NS6detail17trampoline_kernelINS0_14default_configENS1_27scan_by_key_config_selectorIxiEEZZNS1_16scan_by_key_implILNS1_25lookback_scan_determinismE0ELb1ES3_N6thrust23THRUST_200600_302600_NS6detail15normal_iteratorINS9_10device_ptrIxEEEESE_SE_iNS9_4plusIvEENS9_8equal_toIvEEiEE10hipError_tPvRmT2_T3_T4_T5_mT6_T7_P12ihipStream_tbENKUlT_T0_E_clISt17integral_constantIbLb1EESZ_EEDaSU_SV_EUlSU_E_NS1_11comp_targetILNS1_3genE5ELNS1_11target_archE942ELNS1_3gpuE9ELNS1_3repE0EEENS1_30default_config_static_selectorELNS0_4arch9wavefront6targetE1EEEvT1_.kd
    .uniform_work_group_size: 1
    .uses_dynamic_stack: false
    .vgpr_count:     66
    .vgpr_spill_count: 0
    .wavefront_size: 64
  - .agpr_count:     0
    .args:
      - .offset:         0
        .size:           112
        .value_kind:     by_value
    .group_segment_fixed_size: 0
    .kernarg_segment_align: 8
    .kernarg_segment_size: 112
    .language:       OpenCL C
    .language_version:
      - 2
      - 0
    .max_flat_workgroup_size: 256
    .name:           _ZN7rocprim17ROCPRIM_400000_NS6detail17trampoline_kernelINS0_14default_configENS1_27scan_by_key_config_selectorIxiEEZZNS1_16scan_by_key_implILNS1_25lookback_scan_determinismE0ELb1ES3_N6thrust23THRUST_200600_302600_NS6detail15normal_iteratorINS9_10device_ptrIxEEEESE_SE_iNS9_4plusIvEENS9_8equal_toIvEEiEE10hipError_tPvRmT2_T3_T4_T5_mT6_T7_P12ihipStream_tbENKUlT_T0_E_clISt17integral_constantIbLb1EESZ_EEDaSU_SV_EUlSU_E_NS1_11comp_targetILNS1_3genE4ELNS1_11target_archE910ELNS1_3gpuE8ELNS1_3repE0EEENS1_30default_config_static_selectorELNS0_4arch9wavefront6targetE1EEEvT1_
    .private_segment_fixed_size: 0
    .sgpr_count:     6
    .sgpr_spill_count: 0
    .symbol:         _ZN7rocprim17ROCPRIM_400000_NS6detail17trampoline_kernelINS0_14default_configENS1_27scan_by_key_config_selectorIxiEEZZNS1_16scan_by_key_implILNS1_25lookback_scan_determinismE0ELb1ES3_N6thrust23THRUST_200600_302600_NS6detail15normal_iteratorINS9_10device_ptrIxEEEESE_SE_iNS9_4plusIvEENS9_8equal_toIvEEiEE10hipError_tPvRmT2_T3_T4_T5_mT6_T7_P12ihipStream_tbENKUlT_T0_E_clISt17integral_constantIbLb1EESZ_EEDaSU_SV_EUlSU_E_NS1_11comp_targetILNS1_3genE4ELNS1_11target_archE910ELNS1_3gpuE8ELNS1_3repE0EEENS1_30default_config_static_selectorELNS0_4arch9wavefront6targetE1EEEvT1_.kd
    .uniform_work_group_size: 1
    .uses_dynamic_stack: false
    .vgpr_count:     0
    .vgpr_spill_count: 0
    .wavefront_size: 64
  - .agpr_count:     0
    .args:
      - .offset:         0
        .size:           112
        .value_kind:     by_value
    .group_segment_fixed_size: 0
    .kernarg_segment_align: 8
    .kernarg_segment_size: 112
    .language:       OpenCL C
    .language_version:
      - 2
      - 0
    .max_flat_workgroup_size: 256
    .name:           _ZN7rocprim17ROCPRIM_400000_NS6detail17trampoline_kernelINS0_14default_configENS1_27scan_by_key_config_selectorIxiEEZZNS1_16scan_by_key_implILNS1_25lookback_scan_determinismE0ELb1ES3_N6thrust23THRUST_200600_302600_NS6detail15normal_iteratorINS9_10device_ptrIxEEEESE_SE_iNS9_4plusIvEENS9_8equal_toIvEEiEE10hipError_tPvRmT2_T3_T4_T5_mT6_T7_P12ihipStream_tbENKUlT_T0_E_clISt17integral_constantIbLb1EESZ_EEDaSU_SV_EUlSU_E_NS1_11comp_targetILNS1_3genE3ELNS1_11target_archE908ELNS1_3gpuE7ELNS1_3repE0EEENS1_30default_config_static_selectorELNS0_4arch9wavefront6targetE1EEEvT1_
    .private_segment_fixed_size: 0
    .sgpr_count:     6
    .sgpr_spill_count: 0
    .symbol:         _ZN7rocprim17ROCPRIM_400000_NS6detail17trampoline_kernelINS0_14default_configENS1_27scan_by_key_config_selectorIxiEEZZNS1_16scan_by_key_implILNS1_25lookback_scan_determinismE0ELb1ES3_N6thrust23THRUST_200600_302600_NS6detail15normal_iteratorINS9_10device_ptrIxEEEESE_SE_iNS9_4plusIvEENS9_8equal_toIvEEiEE10hipError_tPvRmT2_T3_T4_T5_mT6_T7_P12ihipStream_tbENKUlT_T0_E_clISt17integral_constantIbLb1EESZ_EEDaSU_SV_EUlSU_E_NS1_11comp_targetILNS1_3genE3ELNS1_11target_archE908ELNS1_3gpuE7ELNS1_3repE0EEENS1_30default_config_static_selectorELNS0_4arch9wavefront6targetE1EEEvT1_.kd
    .uniform_work_group_size: 1
    .uses_dynamic_stack: false
    .vgpr_count:     0
    .vgpr_spill_count: 0
    .wavefront_size: 64
  - .agpr_count:     0
    .args:
      - .offset:         0
        .size:           112
        .value_kind:     by_value
    .group_segment_fixed_size: 0
    .kernarg_segment_align: 8
    .kernarg_segment_size: 112
    .language:       OpenCL C
    .language_version:
      - 2
      - 0
    .max_flat_workgroup_size: 256
    .name:           _ZN7rocprim17ROCPRIM_400000_NS6detail17trampoline_kernelINS0_14default_configENS1_27scan_by_key_config_selectorIxiEEZZNS1_16scan_by_key_implILNS1_25lookback_scan_determinismE0ELb1ES3_N6thrust23THRUST_200600_302600_NS6detail15normal_iteratorINS9_10device_ptrIxEEEESE_SE_iNS9_4plusIvEENS9_8equal_toIvEEiEE10hipError_tPvRmT2_T3_T4_T5_mT6_T7_P12ihipStream_tbENKUlT_T0_E_clISt17integral_constantIbLb1EESZ_EEDaSU_SV_EUlSU_E_NS1_11comp_targetILNS1_3genE2ELNS1_11target_archE906ELNS1_3gpuE6ELNS1_3repE0EEENS1_30default_config_static_selectorELNS0_4arch9wavefront6targetE1EEEvT1_
    .private_segment_fixed_size: 0
    .sgpr_count:     6
    .sgpr_spill_count: 0
    .symbol:         _ZN7rocprim17ROCPRIM_400000_NS6detail17trampoline_kernelINS0_14default_configENS1_27scan_by_key_config_selectorIxiEEZZNS1_16scan_by_key_implILNS1_25lookback_scan_determinismE0ELb1ES3_N6thrust23THRUST_200600_302600_NS6detail15normal_iteratorINS9_10device_ptrIxEEEESE_SE_iNS9_4plusIvEENS9_8equal_toIvEEiEE10hipError_tPvRmT2_T3_T4_T5_mT6_T7_P12ihipStream_tbENKUlT_T0_E_clISt17integral_constantIbLb1EESZ_EEDaSU_SV_EUlSU_E_NS1_11comp_targetILNS1_3genE2ELNS1_11target_archE906ELNS1_3gpuE6ELNS1_3repE0EEENS1_30default_config_static_selectorELNS0_4arch9wavefront6targetE1EEEvT1_.kd
    .uniform_work_group_size: 1
    .uses_dynamic_stack: false
    .vgpr_count:     0
    .vgpr_spill_count: 0
    .wavefront_size: 64
  - .agpr_count:     0
    .args:
      - .offset:         0
        .size:           112
        .value_kind:     by_value
    .group_segment_fixed_size: 0
    .kernarg_segment_align: 8
    .kernarg_segment_size: 112
    .language:       OpenCL C
    .language_version:
      - 2
      - 0
    .max_flat_workgroup_size: 256
    .name:           _ZN7rocprim17ROCPRIM_400000_NS6detail17trampoline_kernelINS0_14default_configENS1_27scan_by_key_config_selectorIxiEEZZNS1_16scan_by_key_implILNS1_25lookback_scan_determinismE0ELb1ES3_N6thrust23THRUST_200600_302600_NS6detail15normal_iteratorINS9_10device_ptrIxEEEESE_SE_iNS9_4plusIvEENS9_8equal_toIvEEiEE10hipError_tPvRmT2_T3_T4_T5_mT6_T7_P12ihipStream_tbENKUlT_T0_E_clISt17integral_constantIbLb1EESZ_EEDaSU_SV_EUlSU_E_NS1_11comp_targetILNS1_3genE10ELNS1_11target_archE1200ELNS1_3gpuE4ELNS1_3repE0EEENS1_30default_config_static_selectorELNS0_4arch9wavefront6targetE1EEEvT1_
    .private_segment_fixed_size: 0
    .sgpr_count:     6
    .sgpr_spill_count: 0
    .symbol:         _ZN7rocprim17ROCPRIM_400000_NS6detail17trampoline_kernelINS0_14default_configENS1_27scan_by_key_config_selectorIxiEEZZNS1_16scan_by_key_implILNS1_25lookback_scan_determinismE0ELb1ES3_N6thrust23THRUST_200600_302600_NS6detail15normal_iteratorINS9_10device_ptrIxEEEESE_SE_iNS9_4plusIvEENS9_8equal_toIvEEiEE10hipError_tPvRmT2_T3_T4_T5_mT6_T7_P12ihipStream_tbENKUlT_T0_E_clISt17integral_constantIbLb1EESZ_EEDaSU_SV_EUlSU_E_NS1_11comp_targetILNS1_3genE10ELNS1_11target_archE1200ELNS1_3gpuE4ELNS1_3repE0EEENS1_30default_config_static_selectorELNS0_4arch9wavefront6targetE1EEEvT1_.kd
    .uniform_work_group_size: 1
    .uses_dynamic_stack: false
    .vgpr_count:     0
    .vgpr_spill_count: 0
    .wavefront_size: 64
  - .agpr_count:     0
    .args:
      - .offset:         0
        .size:           112
        .value_kind:     by_value
    .group_segment_fixed_size: 0
    .kernarg_segment_align: 8
    .kernarg_segment_size: 112
    .language:       OpenCL C
    .language_version:
      - 2
      - 0
    .max_flat_workgroup_size: 256
    .name:           _ZN7rocprim17ROCPRIM_400000_NS6detail17trampoline_kernelINS0_14default_configENS1_27scan_by_key_config_selectorIxiEEZZNS1_16scan_by_key_implILNS1_25lookback_scan_determinismE0ELb1ES3_N6thrust23THRUST_200600_302600_NS6detail15normal_iteratorINS9_10device_ptrIxEEEESE_SE_iNS9_4plusIvEENS9_8equal_toIvEEiEE10hipError_tPvRmT2_T3_T4_T5_mT6_T7_P12ihipStream_tbENKUlT_T0_E_clISt17integral_constantIbLb1EESZ_EEDaSU_SV_EUlSU_E_NS1_11comp_targetILNS1_3genE9ELNS1_11target_archE1100ELNS1_3gpuE3ELNS1_3repE0EEENS1_30default_config_static_selectorELNS0_4arch9wavefront6targetE1EEEvT1_
    .private_segment_fixed_size: 0
    .sgpr_count:     6
    .sgpr_spill_count: 0
    .symbol:         _ZN7rocprim17ROCPRIM_400000_NS6detail17trampoline_kernelINS0_14default_configENS1_27scan_by_key_config_selectorIxiEEZZNS1_16scan_by_key_implILNS1_25lookback_scan_determinismE0ELb1ES3_N6thrust23THRUST_200600_302600_NS6detail15normal_iteratorINS9_10device_ptrIxEEEESE_SE_iNS9_4plusIvEENS9_8equal_toIvEEiEE10hipError_tPvRmT2_T3_T4_T5_mT6_T7_P12ihipStream_tbENKUlT_T0_E_clISt17integral_constantIbLb1EESZ_EEDaSU_SV_EUlSU_E_NS1_11comp_targetILNS1_3genE9ELNS1_11target_archE1100ELNS1_3gpuE3ELNS1_3repE0EEENS1_30default_config_static_selectorELNS0_4arch9wavefront6targetE1EEEvT1_.kd
    .uniform_work_group_size: 1
    .uses_dynamic_stack: false
    .vgpr_count:     0
    .vgpr_spill_count: 0
    .wavefront_size: 64
  - .agpr_count:     0
    .args:
      - .offset:         0
        .size:           112
        .value_kind:     by_value
    .group_segment_fixed_size: 0
    .kernarg_segment_align: 8
    .kernarg_segment_size: 112
    .language:       OpenCL C
    .language_version:
      - 2
      - 0
    .max_flat_workgroup_size: 256
    .name:           _ZN7rocprim17ROCPRIM_400000_NS6detail17trampoline_kernelINS0_14default_configENS1_27scan_by_key_config_selectorIxiEEZZNS1_16scan_by_key_implILNS1_25lookback_scan_determinismE0ELb1ES3_N6thrust23THRUST_200600_302600_NS6detail15normal_iteratorINS9_10device_ptrIxEEEESE_SE_iNS9_4plusIvEENS9_8equal_toIvEEiEE10hipError_tPvRmT2_T3_T4_T5_mT6_T7_P12ihipStream_tbENKUlT_T0_E_clISt17integral_constantIbLb1EESZ_EEDaSU_SV_EUlSU_E_NS1_11comp_targetILNS1_3genE8ELNS1_11target_archE1030ELNS1_3gpuE2ELNS1_3repE0EEENS1_30default_config_static_selectorELNS0_4arch9wavefront6targetE1EEEvT1_
    .private_segment_fixed_size: 0
    .sgpr_count:     6
    .sgpr_spill_count: 0
    .symbol:         _ZN7rocprim17ROCPRIM_400000_NS6detail17trampoline_kernelINS0_14default_configENS1_27scan_by_key_config_selectorIxiEEZZNS1_16scan_by_key_implILNS1_25lookback_scan_determinismE0ELb1ES3_N6thrust23THRUST_200600_302600_NS6detail15normal_iteratorINS9_10device_ptrIxEEEESE_SE_iNS9_4plusIvEENS9_8equal_toIvEEiEE10hipError_tPvRmT2_T3_T4_T5_mT6_T7_P12ihipStream_tbENKUlT_T0_E_clISt17integral_constantIbLb1EESZ_EEDaSU_SV_EUlSU_E_NS1_11comp_targetILNS1_3genE8ELNS1_11target_archE1030ELNS1_3gpuE2ELNS1_3repE0EEENS1_30default_config_static_selectorELNS0_4arch9wavefront6targetE1EEEvT1_.kd
    .uniform_work_group_size: 1
    .uses_dynamic_stack: false
    .vgpr_count:     0
    .vgpr_spill_count: 0
    .wavefront_size: 64
  - .agpr_count:     0
    .args:
      - .address_space:  global
        .offset:         0
        .size:           8
        .value_kind:     global_buffer
      - .offset:         8
        .size:           4
        .value_kind:     by_value
      - .offset:         12
        .size:           4
        .value_kind:     by_value
      - .address_space:  global
        .offset:         16
        .size:           8
        .value_kind:     global_buffer
      - .address_space:  global
        .offset:         24
        .size:           8
        .value_kind:     global_buffer
      - .actual_access:  write_only
        .address_space:  global
        .offset:         32
        .size:           8
        .value_kind:     global_buffer
      - .offset:         40
        .size:           8
        .value_kind:     by_value
      - .offset:         48
        .size:           4
        .value_kind:     by_value
      - .offset:         52
        .size:           1
        .value_kind:     by_value
      - .offset:         56
        .size:           4
        .value_kind:     hidden_block_count_x
      - .offset:         60
        .size:           4
        .value_kind:     hidden_block_count_y
      - .offset:         64
        .size:           4
        .value_kind:     hidden_block_count_z
      - .offset:         68
        .size:           2
        .value_kind:     hidden_group_size_x
      - .offset:         70
        .size:           2
        .value_kind:     hidden_group_size_y
      - .offset:         72
        .size:           2
        .value_kind:     hidden_group_size_z
      - .offset:         74
        .size:           2
        .value_kind:     hidden_remainder_x
      - .offset:         76
        .size:           2
        .value_kind:     hidden_remainder_y
      - .offset:         78
        .size:           2
        .value_kind:     hidden_remainder_z
      - .offset:         96
        .size:           8
        .value_kind:     hidden_global_offset_x
      - .offset:         104
        .size:           8
        .value_kind:     hidden_global_offset_y
      - .offset:         112
        .size:           8
        .value_kind:     hidden_global_offset_z
      - .offset:         120
        .size:           2
        .value_kind:     hidden_grid_dims
    .group_segment_fixed_size: 0
    .kernarg_segment_align: 8
    .kernarg_segment_size: 312
    .language:       OpenCL C
    .language_version:
      - 2
      - 0
    .max_flat_workgroup_size: 256
    .name:           _ZN7rocprim17ROCPRIM_400000_NS6detail30init_device_scan_by_key_kernelINS1_19lookback_scan_stateINS0_5tupleIJibEEELb1ELb1EEEN6thrust23THRUST_200600_302600_NS6detail15normal_iteratorINS8_10device_ptrIxEEEEjNS1_16block_id_wrapperIjLb0EEEEEvT_jjPNSG_10value_typeET0_PNSt15iterator_traitsISJ_E10value_typeEmT1_T2_
    .private_segment_fixed_size: 0
    .sgpr_count:     26
    .sgpr_spill_count: 0
    .symbol:         _ZN7rocprim17ROCPRIM_400000_NS6detail30init_device_scan_by_key_kernelINS1_19lookback_scan_stateINS0_5tupleIJibEEELb1ELb1EEEN6thrust23THRUST_200600_302600_NS6detail15normal_iteratorINS8_10device_ptrIxEEEEjNS1_16block_id_wrapperIjLb0EEEEEvT_jjPNSG_10value_typeET0_PNSt15iterator_traitsISJ_E10value_typeEmT1_T2_.kd
    .uniform_work_group_size: 1
    .uses_dynamic_stack: false
    .vgpr_count:     10
    .vgpr_spill_count: 0
    .wavefront_size: 64
  - .agpr_count:     0
    .args:
      - .offset:         0
        .size:           112
        .value_kind:     by_value
    .group_segment_fixed_size: 0
    .kernarg_segment_align: 8
    .kernarg_segment_size: 112
    .language:       OpenCL C
    .language_version:
      - 2
      - 0
    .max_flat_workgroup_size: 256
    .name:           _ZN7rocprim17ROCPRIM_400000_NS6detail17trampoline_kernelINS0_14default_configENS1_27scan_by_key_config_selectorIxiEEZZNS1_16scan_by_key_implILNS1_25lookback_scan_determinismE0ELb1ES3_N6thrust23THRUST_200600_302600_NS6detail15normal_iteratorINS9_10device_ptrIxEEEESE_SE_iNS9_4plusIvEENS9_8equal_toIvEEiEE10hipError_tPvRmT2_T3_T4_T5_mT6_T7_P12ihipStream_tbENKUlT_T0_E_clISt17integral_constantIbLb1EESY_IbLb0EEEEDaSU_SV_EUlSU_E_NS1_11comp_targetILNS1_3genE0ELNS1_11target_archE4294967295ELNS1_3gpuE0ELNS1_3repE0EEENS1_30default_config_static_selectorELNS0_4arch9wavefront6targetE1EEEvT1_
    .private_segment_fixed_size: 0
    .sgpr_count:     6
    .sgpr_spill_count: 0
    .symbol:         _ZN7rocprim17ROCPRIM_400000_NS6detail17trampoline_kernelINS0_14default_configENS1_27scan_by_key_config_selectorIxiEEZZNS1_16scan_by_key_implILNS1_25lookback_scan_determinismE0ELb1ES3_N6thrust23THRUST_200600_302600_NS6detail15normal_iteratorINS9_10device_ptrIxEEEESE_SE_iNS9_4plusIvEENS9_8equal_toIvEEiEE10hipError_tPvRmT2_T3_T4_T5_mT6_T7_P12ihipStream_tbENKUlT_T0_E_clISt17integral_constantIbLb1EESY_IbLb0EEEEDaSU_SV_EUlSU_E_NS1_11comp_targetILNS1_3genE0ELNS1_11target_archE4294967295ELNS1_3gpuE0ELNS1_3repE0EEENS1_30default_config_static_selectorELNS0_4arch9wavefront6targetE1EEEvT1_.kd
    .uniform_work_group_size: 1
    .uses_dynamic_stack: false
    .vgpr_count:     0
    .vgpr_spill_count: 0
    .wavefront_size: 64
  - .agpr_count:     0
    .args:
      - .offset:         0
        .size:           112
        .value_kind:     by_value
    .group_segment_fixed_size: 0
    .kernarg_segment_align: 8
    .kernarg_segment_size: 112
    .language:       OpenCL C
    .language_version:
      - 2
      - 0
    .max_flat_workgroup_size: 256
    .name:           _ZN7rocprim17ROCPRIM_400000_NS6detail17trampoline_kernelINS0_14default_configENS1_27scan_by_key_config_selectorIxiEEZZNS1_16scan_by_key_implILNS1_25lookback_scan_determinismE0ELb1ES3_N6thrust23THRUST_200600_302600_NS6detail15normal_iteratorINS9_10device_ptrIxEEEESE_SE_iNS9_4plusIvEENS9_8equal_toIvEEiEE10hipError_tPvRmT2_T3_T4_T5_mT6_T7_P12ihipStream_tbENKUlT_T0_E_clISt17integral_constantIbLb1EESY_IbLb0EEEEDaSU_SV_EUlSU_E_NS1_11comp_targetILNS1_3genE10ELNS1_11target_archE1201ELNS1_3gpuE5ELNS1_3repE0EEENS1_30default_config_static_selectorELNS0_4arch9wavefront6targetE1EEEvT1_
    .private_segment_fixed_size: 0
    .sgpr_count:     6
    .sgpr_spill_count: 0
    .symbol:         _ZN7rocprim17ROCPRIM_400000_NS6detail17trampoline_kernelINS0_14default_configENS1_27scan_by_key_config_selectorIxiEEZZNS1_16scan_by_key_implILNS1_25lookback_scan_determinismE0ELb1ES3_N6thrust23THRUST_200600_302600_NS6detail15normal_iteratorINS9_10device_ptrIxEEEESE_SE_iNS9_4plusIvEENS9_8equal_toIvEEiEE10hipError_tPvRmT2_T3_T4_T5_mT6_T7_P12ihipStream_tbENKUlT_T0_E_clISt17integral_constantIbLb1EESY_IbLb0EEEEDaSU_SV_EUlSU_E_NS1_11comp_targetILNS1_3genE10ELNS1_11target_archE1201ELNS1_3gpuE5ELNS1_3repE0EEENS1_30default_config_static_selectorELNS0_4arch9wavefront6targetE1EEEvT1_.kd
    .uniform_work_group_size: 1
    .uses_dynamic_stack: false
    .vgpr_count:     0
    .vgpr_spill_count: 0
    .wavefront_size: 64
  - .agpr_count:     0
    .args:
      - .offset:         0
        .size:           112
        .value_kind:     by_value
    .group_segment_fixed_size: 32768
    .kernarg_segment_align: 8
    .kernarg_segment_size: 112
    .language:       OpenCL C
    .language_version:
      - 2
      - 0
    .max_flat_workgroup_size: 256
    .name:           _ZN7rocprim17ROCPRIM_400000_NS6detail17trampoline_kernelINS0_14default_configENS1_27scan_by_key_config_selectorIxiEEZZNS1_16scan_by_key_implILNS1_25lookback_scan_determinismE0ELb1ES3_N6thrust23THRUST_200600_302600_NS6detail15normal_iteratorINS9_10device_ptrIxEEEESE_SE_iNS9_4plusIvEENS9_8equal_toIvEEiEE10hipError_tPvRmT2_T3_T4_T5_mT6_T7_P12ihipStream_tbENKUlT_T0_E_clISt17integral_constantIbLb1EESY_IbLb0EEEEDaSU_SV_EUlSU_E_NS1_11comp_targetILNS1_3genE5ELNS1_11target_archE942ELNS1_3gpuE9ELNS1_3repE0EEENS1_30default_config_static_selectorELNS0_4arch9wavefront6targetE1EEEvT1_
    .private_segment_fixed_size: 0
    .sgpr_count:     68
    .sgpr_spill_count: 0
    .symbol:         _ZN7rocprim17ROCPRIM_400000_NS6detail17trampoline_kernelINS0_14default_configENS1_27scan_by_key_config_selectorIxiEEZZNS1_16scan_by_key_implILNS1_25lookback_scan_determinismE0ELb1ES3_N6thrust23THRUST_200600_302600_NS6detail15normal_iteratorINS9_10device_ptrIxEEEESE_SE_iNS9_4plusIvEENS9_8equal_toIvEEiEE10hipError_tPvRmT2_T3_T4_T5_mT6_T7_P12ihipStream_tbENKUlT_T0_E_clISt17integral_constantIbLb1EESY_IbLb0EEEEDaSU_SV_EUlSU_E_NS1_11comp_targetILNS1_3genE5ELNS1_11target_archE942ELNS1_3gpuE9ELNS1_3repE0EEENS1_30default_config_static_selectorELNS0_4arch9wavefront6targetE1EEEvT1_.kd
    .uniform_work_group_size: 1
    .uses_dynamic_stack: false
    .vgpr_count:     62
    .vgpr_spill_count: 0
    .wavefront_size: 64
  - .agpr_count:     0
    .args:
      - .offset:         0
        .size:           112
        .value_kind:     by_value
    .group_segment_fixed_size: 0
    .kernarg_segment_align: 8
    .kernarg_segment_size: 112
    .language:       OpenCL C
    .language_version:
      - 2
      - 0
    .max_flat_workgroup_size: 256
    .name:           _ZN7rocprim17ROCPRIM_400000_NS6detail17trampoline_kernelINS0_14default_configENS1_27scan_by_key_config_selectorIxiEEZZNS1_16scan_by_key_implILNS1_25lookback_scan_determinismE0ELb1ES3_N6thrust23THRUST_200600_302600_NS6detail15normal_iteratorINS9_10device_ptrIxEEEESE_SE_iNS9_4plusIvEENS9_8equal_toIvEEiEE10hipError_tPvRmT2_T3_T4_T5_mT6_T7_P12ihipStream_tbENKUlT_T0_E_clISt17integral_constantIbLb1EESY_IbLb0EEEEDaSU_SV_EUlSU_E_NS1_11comp_targetILNS1_3genE4ELNS1_11target_archE910ELNS1_3gpuE8ELNS1_3repE0EEENS1_30default_config_static_selectorELNS0_4arch9wavefront6targetE1EEEvT1_
    .private_segment_fixed_size: 0
    .sgpr_count:     6
    .sgpr_spill_count: 0
    .symbol:         _ZN7rocprim17ROCPRIM_400000_NS6detail17trampoline_kernelINS0_14default_configENS1_27scan_by_key_config_selectorIxiEEZZNS1_16scan_by_key_implILNS1_25lookback_scan_determinismE0ELb1ES3_N6thrust23THRUST_200600_302600_NS6detail15normal_iteratorINS9_10device_ptrIxEEEESE_SE_iNS9_4plusIvEENS9_8equal_toIvEEiEE10hipError_tPvRmT2_T3_T4_T5_mT6_T7_P12ihipStream_tbENKUlT_T0_E_clISt17integral_constantIbLb1EESY_IbLb0EEEEDaSU_SV_EUlSU_E_NS1_11comp_targetILNS1_3genE4ELNS1_11target_archE910ELNS1_3gpuE8ELNS1_3repE0EEENS1_30default_config_static_selectorELNS0_4arch9wavefront6targetE1EEEvT1_.kd
    .uniform_work_group_size: 1
    .uses_dynamic_stack: false
    .vgpr_count:     0
    .vgpr_spill_count: 0
    .wavefront_size: 64
  - .agpr_count:     0
    .args:
      - .offset:         0
        .size:           112
        .value_kind:     by_value
    .group_segment_fixed_size: 0
    .kernarg_segment_align: 8
    .kernarg_segment_size: 112
    .language:       OpenCL C
    .language_version:
      - 2
      - 0
    .max_flat_workgroup_size: 256
    .name:           _ZN7rocprim17ROCPRIM_400000_NS6detail17trampoline_kernelINS0_14default_configENS1_27scan_by_key_config_selectorIxiEEZZNS1_16scan_by_key_implILNS1_25lookback_scan_determinismE0ELb1ES3_N6thrust23THRUST_200600_302600_NS6detail15normal_iteratorINS9_10device_ptrIxEEEESE_SE_iNS9_4plusIvEENS9_8equal_toIvEEiEE10hipError_tPvRmT2_T3_T4_T5_mT6_T7_P12ihipStream_tbENKUlT_T0_E_clISt17integral_constantIbLb1EESY_IbLb0EEEEDaSU_SV_EUlSU_E_NS1_11comp_targetILNS1_3genE3ELNS1_11target_archE908ELNS1_3gpuE7ELNS1_3repE0EEENS1_30default_config_static_selectorELNS0_4arch9wavefront6targetE1EEEvT1_
    .private_segment_fixed_size: 0
    .sgpr_count:     6
    .sgpr_spill_count: 0
    .symbol:         _ZN7rocprim17ROCPRIM_400000_NS6detail17trampoline_kernelINS0_14default_configENS1_27scan_by_key_config_selectorIxiEEZZNS1_16scan_by_key_implILNS1_25lookback_scan_determinismE0ELb1ES3_N6thrust23THRUST_200600_302600_NS6detail15normal_iteratorINS9_10device_ptrIxEEEESE_SE_iNS9_4plusIvEENS9_8equal_toIvEEiEE10hipError_tPvRmT2_T3_T4_T5_mT6_T7_P12ihipStream_tbENKUlT_T0_E_clISt17integral_constantIbLb1EESY_IbLb0EEEEDaSU_SV_EUlSU_E_NS1_11comp_targetILNS1_3genE3ELNS1_11target_archE908ELNS1_3gpuE7ELNS1_3repE0EEENS1_30default_config_static_selectorELNS0_4arch9wavefront6targetE1EEEvT1_.kd
    .uniform_work_group_size: 1
    .uses_dynamic_stack: false
    .vgpr_count:     0
    .vgpr_spill_count: 0
    .wavefront_size: 64
  - .agpr_count:     0
    .args:
      - .offset:         0
        .size:           112
        .value_kind:     by_value
    .group_segment_fixed_size: 0
    .kernarg_segment_align: 8
    .kernarg_segment_size: 112
    .language:       OpenCL C
    .language_version:
      - 2
      - 0
    .max_flat_workgroup_size: 256
    .name:           _ZN7rocprim17ROCPRIM_400000_NS6detail17trampoline_kernelINS0_14default_configENS1_27scan_by_key_config_selectorIxiEEZZNS1_16scan_by_key_implILNS1_25lookback_scan_determinismE0ELb1ES3_N6thrust23THRUST_200600_302600_NS6detail15normal_iteratorINS9_10device_ptrIxEEEESE_SE_iNS9_4plusIvEENS9_8equal_toIvEEiEE10hipError_tPvRmT2_T3_T4_T5_mT6_T7_P12ihipStream_tbENKUlT_T0_E_clISt17integral_constantIbLb1EESY_IbLb0EEEEDaSU_SV_EUlSU_E_NS1_11comp_targetILNS1_3genE2ELNS1_11target_archE906ELNS1_3gpuE6ELNS1_3repE0EEENS1_30default_config_static_selectorELNS0_4arch9wavefront6targetE1EEEvT1_
    .private_segment_fixed_size: 0
    .sgpr_count:     6
    .sgpr_spill_count: 0
    .symbol:         _ZN7rocprim17ROCPRIM_400000_NS6detail17trampoline_kernelINS0_14default_configENS1_27scan_by_key_config_selectorIxiEEZZNS1_16scan_by_key_implILNS1_25lookback_scan_determinismE0ELb1ES3_N6thrust23THRUST_200600_302600_NS6detail15normal_iteratorINS9_10device_ptrIxEEEESE_SE_iNS9_4plusIvEENS9_8equal_toIvEEiEE10hipError_tPvRmT2_T3_T4_T5_mT6_T7_P12ihipStream_tbENKUlT_T0_E_clISt17integral_constantIbLb1EESY_IbLb0EEEEDaSU_SV_EUlSU_E_NS1_11comp_targetILNS1_3genE2ELNS1_11target_archE906ELNS1_3gpuE6ELNS1_3repE0EEENS1_30default_config_static_selectorELNS0_4arch9wavefront6targetE1EEEvT1_.kd
    .uniform_work_group_size: 1
    .uses_dynamic_stack: false
    .vgpr_count:     0
    .vgpr_spill_count: 0
    .wavefront_size: 64
  - .agpr_count:     0
    .args:
      - .offset:         0
        .size:           112
        .value_kind:     by_value
    .group_segment_fixed_size: 0
    .kernarg_segment_align: 8
    .kernarg_segment_size: 112
    .language:       OpenCL C
    .language_version:
      - 2
      - 0
    .max_flat_workgroup_size: 256
    .name:           _ZN7rocprim17ROCPRIM_400000_NS6detail17trampoline_kernelINS0_14default_configENS1_27scan_by_key_config_selectorIxiEEZZNS1_16scan_by_key_implILNS1_25lookback_scan_determinismE0ELb1ES3_N6thrust23THRUST_200600_302600_NS6detail15normal_iteratorINS9_10device_ptrIxEEEESE_SE_iNS9_4plusIvEENS9_8equal_toIvEEiEE10hipError_tPvRmT2_T3_T4_T5_mT6_T7_P12ihipStream_tbENKUlT_T0_E_clISt17integral_constantIbLb1EESY_IbLb0EEEEDaSU_SV_EUlSU_E_NS1_11comp_targetILNS1_3genE10ELNS1_11target_archE1200ELNS1_3gpuE4ELNS1_3repE0EEENS1_30default_config_static_selectorELNS0_4arch9wavefront6targetE1EEEvT1_
    .private_segment_fixed_size: 0
    .sgpr_count:     6
    .sgpr_spill_count: 0
    .symbol:         _ZN7rocprim17ROCPRIM_400000_NS6detail17trampoline_kernelINS0_14default_configENS1_27scan_by_key_config_selectorIxiEEZZNS1_16scan_by_key_implILNS1_25lookback_scan_determinismE0ELb1ES3_N6thrust23THRUST_200600_302600_NS6detail15normal_iteratorINS9_10device_ptrIxEEEESE_SE_iNS9_4plusIvEENS9_8equal_toIvEEiEE10hipError_tPvRmT2_T3_T4_T5_mT6_T7_P12ihipStream_tbENKUlT_T0_E_clISt17integral_constantIbLb1EESY_IbLb0EEEEDaSU_SV_EUlSU_E_NS1_11comp_targetILNS1_3genE10ELNS1_11target_archE1200ELNS1_3gpuE4ELNS1_3repE0EEENS1_30default_config_static_selectorELNS0_4arch9wavefront6targetE1EEEvT1_.kd
    .uniform_work_group_size: 1
    .uses_dynamic_stack: false
    .vgpr_count:     0
    .vgpr_spill_count: 0
    .wavefront_size: 64
  - .agpr_count:     0
    .args:
      - .offset:         0
        .size:           112
        .value_kind:     by_value
    .group_segment_fixed_size: 0
    .kernarg_segment_align: 8
    .kernarg_segment_size: 112
    .language:       OpenCL C
    .language_version:
      - 2
      - 0
    .max_flat_workgroup_size: 256
    .name:           _ZN7rocprim17ROCPRIM_400000_NS6detail17trampoline_kernelINS0_14default_configENS1_27scan_by_key_config_selectorIxiEEZZNS1_16scan_by_key_implILNS1_25lookback_scan_determinismE0ELb1ES3_N6thrust23THRUST_200600_302600_NS6detail15normal_iteratorINS9_10device_ptrIxEEEESE_SE_iNS9_4plusIvEENS9_8equal_toIvEEiEE10hipError_tPvRmT2_T3_T4_T5_mT6_T7_P12ihipStream_tbENKUlT_T0_E_clISt17integral_constantIbLb1EESY_IbLb0EEEEDaSU_SV_EUlSU_E_NS1_11comp_targetILNS1_3genE9ELNS1_11target_archE1100ELNS1_3gpuE3ELNS1_3repE0EEENS1_30default_config_static_selectorELNS0_4arch9wavefront6targetE1EEEvT1_
    .private_segment_fixed_size: 0
    .sgpr_count:     6
    .sgpr_spill_count: 0
    .symbol:         _ZN7rocprim17ROCPRIM_400000_NS6detail17trampoline_kernelINS0_14default_configENS1_27scan_by_key_config_selectorIxiEEZZNS1_16scan_by_key_implILNS1_25lookback_scan_determinismE0ELb1ES3_N6thrust23THRUST_200600_302600_NS6detail15normal_iteratorINS9_10device_ptrIxEEEESE_SE_iNS9_4plusIvEENS9_8equal_toIvEEiEE10hipError_tPvRmT2_T3_T4_T5_mT6_T7_P12ihipStream_tbENKUlT_T0_E_clISt17integral_constantIbLb1EESY_IbLb0EEEEDaSU_SV_EUlSU_E_NS1_11comp_targetILNS1_3genE9ELNS1_11target_archE1100ELNS1_3gpuE3ELNS1_3repE0EEENS1_30default_config_static_selectorELNS0_4arch9wavefront6targetE1EEEvT1_.kd
    .uniform_work_group_size: 1
    .uses_dynamic_stack: false
    .vgpr_count:     0
    .vgpr_spill_count: 0
    .wavefront_size: 64
  - .agpr_count:     0
    .args:
      - .offset:         0
        .size:           112
        .value_kind:     by_value
    .group_segment_fixed_size: 0
    .kernarg_segment_align: 8
    .kernarg_segment_size: 112
    .language:       OpenCL C
    .language_version:
      - 2
      - 0
    .max_flat_workgroup_size: 256
    .name:           _ZN7rocprim17ROCPRIM_400000_NS6detail17trampoline_kernelINS0_14default_configENS1_27scan_by_key_config_selectorIxiEEZZNS1_16scan_by_key_implILNS1_25lookback_scan_determinismE0ELb1ES3_N6thrust23THRUST_200600_302600_NS6detail15normal_iteratorINS9_10device_ptrIxEEEESE_SE_iNS9_4plusIvEENS9_8equal_toIvEEiEE10hipError_tPvRmT2_T3_T4_T5_mT6_T7_P12ihipStream_tbENKUlT_T0_E_clISt17integral_constantIbLb1EESY_IbLb0EEEEDaSU_SV_EUlSU_E_NS1_11comp_targetILNS1_3genE8ELNS1_11target_archE1030ELNS1_3gpuE2ELNS1_3repE0EEENS1_30default_config_static_selectorELNS0_4arch9wavefront6targetE1EEEvT1_
    .private_segment_fixed_size: 0
    .sgpr_count:     6
    .sgpr_spill_count: 0
    .symbol:         _ZN7rocprim17ROCPRIM_400000_NS6detail17trampoline_kernelINS0_14default_configENS1_27scan_by_key_config_selectorIxiEEZZNS1_16scan_by_key_implILNS1_25lookback_scan_determinismE0ELb1ES3_N6thrust23THRUST_200600_302600_NS6detail15normal_iteratorINS9_10device_ptrIxEEEESE_SE_iNS9_4plusIvEENS9_8equal_toIvEEiEE10hipError_tPvRmT2_T3_T4_T5_mT6_T7_P12ihipStream_tbENKUlT_T0_E_clISt17integral_constantIbLb1EESY_IbLb0EEEEDaSU_SV_EUlSU_E_NS1_11comp_targetILNS1_3genE8ELNS1_11target_archE1030ELNS1_3gpuE2ELNS1_3repE0EEENS1_30default_config_static_selectorELNS0_4arch9wavefront6targetE1EEEvT1_.kd
    .uniform_work_group_size: 1
    .uses_dynamic_stack: false
    .vgpr_count:     0
    .vgpr_spill_count: 0
    .wavefront_size: 64
  - .agpr_count:     0
    .args:
      - .address_space:  global
        .offset:         0
        .size:           8
        .value_kind:     global_buffer
      - .offset:         8
        .size:           4
        .value_kind:     by_value
      - .offset:         12
        .size:           4
        .value_kind:     by_value
      - .address_space:  global
        .offset:         16
        .size:           8
        .value_kind:     global_buffer
      - .address_space:  global
        .offset:         24
        .size:           8
        .value_kind:     global_buffer
      - .actual_access:  write_only
        .address_space:  global
        .offset:         32
        .size:           8
        .value_kind:     global_buffer
      - .offset:         40
        .size:           8
        .value_kind:     by_value
      - .offset:         48
        .size:           4
        .value_kind:     by_value
      - .address_space:  global
        .offset:         56
        .size:           8
        .value_kind:     global_buffer
      - .offset:         64
        .size:           4
        .value_kind:     hidden_block_count_x
      - .offset:         68
        .size:           4
        .value_kind:     hidden_block_count_y
      - .offset:         72
        .size:           4
        .value_kind:     hidden_block_count_z
      - .offset:         76
        .size:           2
        .value_kind:     hidden_group_size_x
      - .offset:         78
        .size:           2
        .value_kind:     hidden_group_size_y
      - .offset:         80
        .size:           2
        .value_kind:     hidden_group_size_z
      - .offset:         82
        .size:           2
        .value_kind:     hidden_remainder_x
      - .offset:         84
        .size:           2
        .value_kind:     hidden_remainder_y
      - .offset:         86
        .size:           2
        .value_kind:     hidden_remainder_z
      - .offset:         104
        .size:           8
        .value_kind:     hidden_global_offset_x
      - .offset:         112
        .size:           8
        .value_kind:     hidden_global_offset_y
      - .offset:         120
        .size:           8
        .value_kind:     hidden_global_offset_z
      - .offset:         128
        .size:           2
        .value_kind:     hidden_grid_dims
    .group_segment_fixed_size: 0
    .kernarg_segment_align: 8
    .kernarg_segment_size: 320
    .language:       OpenCL C
    .language_version:
      - 2
      - 0
    .max_flat_workgroup_size: 256
    .name:           _ZN7rocprim17ROCPRIM_400000_NS6detail30init_device_scan_by_key_kernelINS1_19lookback_scan_stateINS0_5tupleIJibEEELb0ELb1EEEN6thrust23THRUST_200600_302600_NS6detail15normal_iteratorINS8_10device_ptrIxEEEEjNS1_16block_id_wrapperIjLb1EEEEEvT_jjPNSG_10value_typeET0_PNSt15iterator_traitsISJ_E10value_typeEmT1_T2_
    .private_segment_fixed_size: 0
    .sgpr_count:     26
    .sgpr_spill_count: 0
    .symbol:         _ZN7rocprim17ROCPRIM_400000_NS6detail30init_device_scan_by_key_kernelINS1_19lookback_scan_stateINS0_5tupleIJibEEELb0ELb1EEEN6thrust23THRUST_200600_302600_NS6detail15normal_iteratorINS8_10device_ptrIxEEEEjNS1_16block_id_wrapperIjLb1EEEEEvT_jjPNSG_10value_typeET0_PNSt15iterator_traitsISJ_E10value_typeEmT1_T2_.kd
    .uniform_work_group_size: 1
    .uses_dynamic_stack: false
    .vgpr_count:     10
    .vgpr_spill_count: 0
    .wavefront_size: 64
  - .agpr_count:     0
    .args:
      - .offset:         0
        .size:           112
        .value_kind:     by_value
    .group_segment_fixed_size: 0
    .kernarg_segment_align: 8
    .kernarg_segment_size: 112
    .language:       OpenCL C
    .language_version:
      - 2
      - 0
    .max_flat_workgroup_size: 256
    .name:           _ZN7rocprim17ROCPRIM_400000_NS6detail17trampoline_kernelINS0_14default_configENS1_27scan_by_key_config_selectorIxiEEZZNS1_16scan_by_key_implILNS1_25lookback_scan_determinismE0ELb1ES3_N6thrust23THRUST_200600_302600_NS6detail15normal_iteratorINS9_10device_ptrIxEEEESE_SE_iNS9_4plusIvEENS9_8equal_toIvEEiEE10hipError_tPvRmT2_T3_T4_T5_mT6_T7_P12ihipStream_tbENKUlT_T0_E_clISt17integral_constantIbLb0EESY_IbLb1EEEEDaSU_SV_EUlSU_E_NS1_11comp_targetILNS1_3genE0ELNS1_11target_archE4294967295ELNS1_3gpuE0ELNS1_3repE0EEENS1_30default_config_static_selectorELNS0_4arch9wavefront6targetE1EEEvT1_
    .private_segment_fixed_size: 0
    .sgpr_count:     6
    .sgpr_spill_count: 0
    .symbol:         _ZN7rocprim17ROCPRIM_400000_NS6detail17trampoline_kernelINS0_14default_configENS1_27scan_by_key_config_selectorIxiEEZZNS1_16scan_by_key_implILNS1_25lookback_scan_determinismE0ELb1ES3_N6thrust23THRUST_200600_302600_NS6detail15normal_iteratorINS9_10device_ptrIxEEEESE_SE_iNS9_4plusIvEENS9_8equal_toIvEEiEE10hipError_tPvRmT2_T3_T4_T5_mT6_T7_P12ihipStream_tbENKUlT_T0_E_clISt17integral_constantIbLb0EESY_IbLb1EEEEDaSU_SV_EUlSU_E_NS1_11comp_targetILNS1_3genE0ELNS1_11target_archE4294967295ELNS1_3gpuE0ELNS1_3repE0EEENS1_30default_config_static_selectorELNS0_4arch9wavefront6targetE1EEEvT1_.kd
    .uniform_work_group_size: 1
    .uses_dynamic_stack: false
    .vgpr_count:     0
    .vgpr_spill_count: 0
    .wavefront_size: 64
  - .agpr_count:     0
    .args:
      - .offset:         0
        .size:           112
        .value_kind:     by_value
    .group_segment_fixed_size: 0
    .kernarg_segment_align: 8
    .kernarg_segment_size: 112
    .language:       OpenCL C
    .language_version:
      - 2
      - 0
    .max_flat_workgroup_size: 256
    .name:           _ZN7rocprim17ROCPRIM_400000_NS6detail17trampoline_kernelINS0_14default_configENS1_27scan_by_key_config_selectorIxiEEZZNS1_16scan_by_key_implILNS1_25lookback_scan_determinismE0ELb1ES3_N6thrust23THRUST_200600_302600_NS6detail15normal_iteratorINS9_10device_ptrIxEEEESE_SE_iNS9_4plusIvEENS9_8equal_toIvEEiEE10hipError_tPvRmT2_T3_T4_T5_mT6_T7_P12ihipStream_tbENKUlT_T0_E_clISt17integral_constantIbLb0EESY_IbLb1EEEEDaSU_SV_EUlSU_E_NS1_11comp_targetILNS1_3genE10ELNS1_11target_archE1201ELNS1_3gpuE5ELNS1_3repE0EEENS1_30default_config_static_selectorELNS0_4arch9wavefront6targetE1EEEvT1_
    .private_segment_fixed_size: 0
    .sgpr_count:     6
    .sgpr_spill_count: 0
    .symbol:         _ZN7rocprim17ROCPRIM_400000_NS6detail17trampoline_kernelINS0_14default_configENS1_27scan_by_key_config_selectorIxiEEZZNS1_16scan_by_key_implILNS1_25lookback_scan_determinismE0ELb1ES3_N6thrust23THRUST_200600_302600_NS6detail15normal_iteratorINS9_10device_ptrIxEEEESE_SE_iNS9_4plusIvEENS9_8equal_toIvEEiEE10hipError_tPvRmT2_T3_T4_T5_mT6_T7_P12ihipStream_tbENKUlT_T0_E_clISt17integral_constantIbLb0EESY_IbLb1EEEEDaSU_SV_EUlSU_E_NS1_11comp_targetILNS1_3genE10ELNS1_11target_archE1201ELNS1_3gpuE5ELNS1_3repE0EEENS1_30default_config_static_selectorELNS0_4arch9wavefront6targetE1EEEvT1_.kd
    .uniform_work_group_size: 1
    .uses_dynamic_stack: false
    .vgpr_count:     0
    .vgpr_spill_count: 0
    .wavefront_size: 64
  - .agpr_count:     0
    .args:
      - .offset:         0
        .size:           112
        .value_kind:     by_value
    .group_segment_fixed_size: 32768
    .kernarg_segment_align: 8
    .kernarg_segment_size: 112
    .language:       OpenCL C
    .language_version:
      - 2
      - 0
    .max_flat_workgroup_size: 256
    .name:           _ZN7rocprim17ROCPRIM_400000_NS6detail17trampoline_kernelINS0_14default_configENS1_27scan_by_key_config_selectorIxiEEZZNS1_16scan_by_key_implILNS1_25lookback_scan_determinismE0ELb1ES3_N6thrust23THRUST_200600_302600_NS6detail15normal_iteratorINS9_10device_ptrIxEEEESE_SE_iNS9_4plusIvEENS9_8equal_toIvEEiEE10hipError_tPvRmT2_T3_T4_T5_mT6_T7_P12ihipStream_tbENKUlT_T0_E_clISt17integral_constantIbLb0EESY_IbLb1EEEEDaSU_SV_EUlSU_E_NS1_11comp_targetILNS1_3genE5ELNS1_11target_archE942ELNS1_3gpuE9ELNS1_3repE0EEENS1_30default_config_static_selectorELNS0_4arch9wavefront6targetE1EEEvT1_
    .private_segment_fixed_size: 0
    .sgpr_count:     66
    .sgpr_spill_count: 0
    .symbol:         _ZN7rocprim17ROCPRIM_400000_NS6detail17trampoline_kernelINS0_14default_configENS1_27scan_by_key_config_selectorIxiEEZZNS1_16scan_by_key_implILNS1_25lookback_scan_determinismE0ELb1ES3_N6thrust23THRUST_200600_302600_NS6detail15normal_iteratorINS9_10device_ptrIxEEEESE_SE_iNS9_4plusIvEENS9_8equal_toIvEEiEE10hipError_tPvRmT2_T3_T4_T5_mT6_T7_P12ihipStream_tbENKUlT_T0_E_clISt17integral_constantIbLb0EESY_IbLb1EEEEDaSU_SV_EUlSU_E_NS1_11comp_targetILNS1_3genE5ELNS1_11target_archE942ELNS1_3gpuE9ELNS1_3repE0EEENS1_30default_config_static_selectorELNS0_4arch9wavefront6targetE1EEEvT1_.kd
    .uniform_work_group_size: 1
    .uses_dynamic_stack: false
    .vgpr_count:     68
    .vgpr_spill_count: 0
    .wavefront_size: 64
  - .agpr_count:     0
    .args:
      - .offset:         0
        .size:           112
        .value_kind:     by_value
    .group_segment_fixed_size: 0
    .kernarg_segment_align: 8
    .kernarg_segment_size: 112
    .language:       OpenCL C
    .language_version:
      - 2
      - 0
    .max_flat_workgroup_size: 256
    .name:           _ZN7rocprim17ROCPRIM_400000_NS6detail17trampoline_kernelINS0_14default_configENS1_27scan_by_key_config_selectorIxiEEZZNS1_16scan_by_key_implILNS1_25lookback_scan_determinismE0ELb1ES3_N6thrust23THRUST_200600_302600_NS6detail15normal_iteratorINS9_10device_ptrIxEEEESE_SE_iNS9_4plusIvEENS9_8equal_toIvEEiEE10hipError_tPvRmT2_T3_T4_T5_mT6_T7_P12ihipStream_tbENKUlT_T0_E_clISt17integral_constantIbLb0EESY_IbLb1EEEEDaSU_SV_EUlSU_E_NS1_11comp_targetILNS1_3genE4ELNS1_11target_archE910ELNS1_3gpuE8ELNS1_3repE0EEENS1_30default_config_static_selectorELNS0_4arch9wavefront6targetE1EEEvT1_
    .private_segment_fixed_size: 0
    .sgpr_count:     6
    .sgpr_spill_count: 0
    .symbol:         _ZN7rocprim17ROCPRIM_400000_NS6detail17trampoline_kernelINS0_14default_configENS1_27scan_by_key_config_selectorIxiEEZZNS1_16scan_by_key_implILNS1_25lookback_scan_determinismE0ELb1ES3_N6thrust23THRUST_200600_302600_NS6detail15normal_iteratorINS9_10device_ptrIxEEEESE_SE_iNS9_4plusIvEENS9_8equal_toIvEEiEE10hipError_tPvRmT2_T3_T4_T5_mT6_T7_P12ihipStream_tbENKUlT_T0_E_clISt17integral_constantIbLb0EESY_IbLb1EEEEDaSU_SV_EUlSU_E_NS1_11comp_targetILNS1_3genE4ELNS1_11target_archE910ELNS1_3gpuE8ELNS1_3repE0EEENS1_30default_config_static_selectorELNS0_4arch9wavefront6targetE1EEEvT1_.kd
    .uniform_work_group_size: 1
    .uses_dynamic_stack: false
    .vgpr_count:     0
    .vgpr_spill_count: 0
    .wavefront_size: 64
  - .agpr_count:     0
    .args:
      - .offset:         0
        .size:           112
        .value_kind:     by_value
    .group_segment_fixed_size: 0
    .kernarg_segment_align: 8
    .kernarg_segment_size: 112
    .language:       OpenCL C
    .language_version:
      - 2
      - 0
    .max_flat_workgroup_size: 256
    .name:           _ZN7rocprim17ROCPRIM_400000_NS6detail17trampoline_kernelINS0_14default_configENS1_27scan_by_key_config_selectorIxiEEZZNS1_16scan_by_key_implILNS1_25lookback_scan_determinismE0ELb1ES3_N6thrust23THRUST_200600_302600_NS6detail15normal_iteratorINS9_10device_ptrIxEEEESE_SE_iNS9_4plusIvEENS9_8equal_toIvEEiEE10hipError_tPvRmT2_T3_T4_T5_mT6_T7_P12ihipStream_tbENKUlT_T0_E_clISt17integral_constantIbLb0EESY_IbLb1EEEEDaSU_SV_EUlSU_E_NS1_11comp_targetILNS1_3genE3ELNS1_11target_archE908ELNS1_3gpuE7ELNS1_3repE0EEENS1_30default_config_static_selectorELNS0_4arch9wavefront6targetE1EEEvT1_
    .private_segment_fixed_size: 0
    .sgpr_count:     6
    .sgpr_spill_count: 0
    .symbol:         _ZN7rocprim17ROCPRIM_400000_NS6detail17trampoline_kernelINS0_14default_configENS1_27scan_by_key_config_selectorIxiEEZZNS1_16scan_by_key_implILNS1_25lookback_scan_determinismE0ELb1ES3_N6thrust23THRUST_200600_302600_NS6detail15normal_iteratorINS9_10device_ptrIxEEEESE_SE_iNS9_4plusIvEENS9_8equal_toIvEEiEE10hipError_tPvRmT2_T3_T4_T5_mT6_T7_P12ihipStream_tbENKUlT_T0_E_clISt17integral_constantIbLb0EESY_IbLb1EEEEDaSU_SV_EUlSU_E_NS1_11comp_targetILNS1_3genE3ELNS1_11target_archE908ELNS1_3gpuE7ELNS1_3repE0EEENS1_30default_config_static_selectorELNS0_4arch9wavefront6targetE1EEEvT1_.kd
    .uniform_work_group_size: 1
    .uses_dynamic_stack: false
    .vgpr_count:     0
    .vgpr_spill_count: 0
    .wavefront_size: 64
  - .agpr_count:     0
    .args:
      - .offset:         0
        .size:           112
        .value_kind:     by_value
    .group_segment_fixed_size: 0
    .kernarg_segment_align: 8
    .kernarg_segment_size: 112
    .language:       OpenCL C
    .language_version:
      - 2
      - 0
    .max_flat_workgroup_size: 256
    .name:           _ZN7rocprim17ROCPRIM_400000_NS6detail17trampoline_kernelINS0_14default_configENS1_27scan_by_key_config_selectorIxiEEZZNS1_16scan_by_key_implILNS1_25lookback_scan_determinismE0ELb1ES3_N6thrust23THRUST_200600_302600_NS6detail15normal_iteratorINS9_10device_ptrIxEEEESE_SE_iNS9_4plusIvEENS9_8equal_toIvEEiEE10hipError_tPvRmT2_T3_T4_T5_mT6_T7_P12ihipStream_tbENKUlT_T0_E_clISt17integral_constantIbLb0EESY_IbLb1EEEEDaSU_SV_EUlSU_E_NS1_11comp_targetILNS1_3genE2ELNS1_11target_archE906ELNS1_3gpuE6ELNS1_3repE0EEENS1_30default_config_static_selectorELNS0_4arch9wavefront6targetE1EEEvT1_
    .private_segment_fixed_size: 0
    .sgpr_count:     6
    .sgpr_spill_count: 0
    .symbol:         _ZN7rocprim17ROCPRIM_400000_NS6detail17trampoline_kernelINS0_14default_configENS1_27scan_by_key_config_selectorIxiEEZZNS1_16scan_by_key_implILNS1_25lookback_scan_determinismE0ELb1ES3_N6thrust23THRUST_200600_302600_NS6detail15normal_iteratorINS9_10device_ptrIxEEEESE_SE_iNS9_4plusIvEENS9_8equal_toIvEEiEE10hipError_tPvRmT2_T3_T4_T5_mT6_T7_P12ihipStream_tbENKUlT_T0_E_clISt17integral_constantIbLb0EESY_IbLb1EEEEDaSU_SV_EUlSU_E_NS1_11comp_targetILNS1_3genE2ELNS1_11target_archE906ELNS1_3gpuE6ELNS1_3repE0EEENS1_30default_config_static_selectorELNS0_4arch9wavefront6targetE1EEEvT1_.kd
    .uniform_work_group_size: 1
    .uses_dynamic_stack: false
    .vgpr_count:     0
    .vgpr_spill_count: 0
    .wavefront_size: 64
  - .agpr_count:     0
    .args:
      - .offset:         0
        .size:           112
        .value_kind:     by_value
    .group_segment_fixed_size: 0
    .kernarg_segment_align: 8
    .kernarg_segment_size: 112
    .language:       OpenCL C
    .language_version:
      - 2
      - 0
    .max_flat_workgroup_size: 256
    .name:           _ZN7rocprim17ROCPRIM_400000_NS6detail17trampoline_kernelINS0_14default_configENS1_27scan_by_key_config_selectorIxiEEZZNS1_16scan_by_key_implILNS1_25lookback_scan_determinismE0ELb1ES3_N6thrust23THRUST_200600_302600_NS6detail15normal_iteratorINS9_10device_ptrIxEEEESE_SE_iNS9_4plusIvEENS9_8equal_toIvEEiEE10hipError_tPvRmT2_T3_T4_T5_mT6_T7_P12ihipStream_tbENKUlT_T0_E_clISt17integral_constantIbLb0EESY_IbLb1EEEEDaSU_SV_EUlSU_E_NS1_11comp_targetILNS1_3genE10ELNS1_11target_archE1200ELNS1_3gpuE4ELNS1_3repE0EEENS1_30default_config_static_selectorELNS0_4arch9wavefront6targetE1EEEvT1_
    .private_segment_fixed_size: 0
    .sgpr_count:     6
    .sgpr_spill_count: 0
    .symbol:         _ZN7rocprim17ROCPRIM_400000_NS6detail17trampoline_kernelINS0_14default_configENS1_27scan_by_key_config_selectorIxiEEZZNS1_16scan_by_key_implILNS1_25lookback_scan_determinismE0ELb1ES3_N6thrust23THRUST_200600_302600_NS6detail15normal_iteratorINS9_10device_ptrIxEEEESE_SE_iNS9_4plusIvEENS9_8equal_toIvEEiEE10hipError_tPvRmT2_T3_T4_T5_mT6_T7_P12ihipStream_tbENKUlT_T0_E_clISt17integral_constantIbLb0EESY_IbLb1EEEEDaSU_SV_EUlSU_E_NS1_11comp_targetILNS1_3genE10ELNS1_11target_archE1200ELNS1_3gpuE4ELNS1_3repE0EEENS1_30default_config_static_selectorELNS0_4arch9wavefront6targetE1EEEvT1_.kd
    .uniform_work_group_size: 1
    .uses_dynamic_stack: false
    .vgpr_count:     0
    .vgpr_spill_count: 0
    .wavefront_size: 64
  - .agpr_count:     0
    .args:
      - .offset:         0
        .size:           112
        .value_kind:     by_value
    .group_segment_fixed_size: 0
    .kernarg_segment_align: 8
    .kernarg_segment_size: 112
    .language:       OpenCL C
    .language_version:
      - 2
      - 0
    .max_flat_workgroup_size: 256
    .name:           _ZN7rocprim17ROCPRIM_400000_NS6detail17trampoline_kernelINS0_14default_configENS1_27scan_by_key_config_selectorIxiEEZZNS1_16scan_by_key_implILNS1_25lookback_scan_determinismE0ELb1ES3_N6thrust23THRUST_200600_302600_NS6detail15normal_iteratorINS9_10device_ptrIxEEEESE_SE_iNS9_4plusIvEENS9_8equal_toIvEEiEE10hipError_tPvRmT2_T3_T4_T5_mT6_T7_P12ihipStream_tbENKUlT_T0_E_clISt17integral_constantIbLb0EESY_IbLb1EEEEDaSU_SV_EUlSU_E_NS1_11comp_targetILNS1_3genE9ELNS1_11target_archE1100ELNS1_3gpuE3ELNS1_3repE0EEENS1_30default_config_static_selectorELNS0_4arch9wavefront6targetE1EEEvT1_
    .private_segment_fixed_size: 0
    .sgpr_count:     6
    .sgpr_spill_count: 0
    .symbol:         _ZN7rocprim17ROCPRIM_400000_NS6detail17trampoline_kernelINS0_14default_configENS1_27scan_by_key_config_selectorIxiEEZZNS1_16scan_by_key_implILNS1_25lookback_scan_determinismE0ELb1ES3_N6thrust23THRUST_200600_302600_NS6detail15normal_iteratorINS9_10device_ptrIxEEEESE_SE_iNS9_4plusIvEENS9_8equal_toIvEEiEE10hipError_tPvRmT2_T3_T4_T5_mT6_T7_P12ihipStream_tbENKUlT_T0_E_clISt17integral_constantIbLb0EESY_IbLb1EEEEDaSU_SV_EUlSU_E_NS1_11comp_targetILNS1_3genE9ELNS1_11target_archE1100ELNS1_3gpuE3ELNS1_3repE0EEENS1_30default_config_static_selectorELNS0_4arch9wavefront6targetE1EEEvT1_.kd
    .uniform_work_group_size: 1
    .uses_dynamic_stack: false
    .vgpr_count:     0
    .vgpr_spill_count: 0
    .wavefront_size: 64
  - .agpr_count:     0
    .args:
      - .offset:         0
        .size:           112
        .value_kind:     by_value
    .group_segment_fixed_size: 0
    .kernarg_segment_align: 8
    .kernarg_segment_size: 112
    .language:       OpenCL C
    .language_version:
      - 2
      - 0
    .max_flat_workgroup_size: 256
    .name:           _ZN7rocprim17ROCPRIM_400000_NS6detail17trampoline_kernelINS0_14default_configENS1_27scan_by_key_config_selectorIxiEEZZNS1_16scan_by_key_implILNS1_25lookback_scan_determinismE0ELb1ES3_N6thrust23THRUST_200600_302600_NS6detail15normal_iteratorINS9_10device_ptrIxEEEESE_SE_iNS9_4plusIvEENS9_8equal_toIvEEiEE10hipError_tPvRmT2_T3_T4_T5_mT6_T7_P12ihipStream_tbENKUlT_T0_E_clISt17integral_constantIbLb0EESY_IbLb1EEEEDaSU_SV_EUlSU_E_NS1_11comp_targetILNS1_3genE8ELNS1_11target_archE1030ELNS1_3gpuE2ELNS1_3repE0EEENS1_30default_config_static_selectorELNS0_4arch9wavefront6targetE1EEEvT1_
    .private_segment_fixed_size: 0
    .sgpr_count:     6
    .sgpr_spill_count: 0
    .symbol:         _ZN7rocprim17ROCPRIM_400000_NS6detail17trampoline_kernelINS0_14default_configENS1_27scan_by_key_config_selectorIxiEEZZNS1_16scan_by_key_implILNS1_25lookback_scan_determinismE0ELb1ES3_N6thrust23THRUST_200600_302600_NS6detail15normal_iteratorINS9_10device_ptrIxEEEESE_SE_iNS9_4plusIvEENS9_8equal_toIvEEiEE10hipError_tPvRmT2_T3_T4_T5_mT6_T7_P12ihipStream_tbENKUlT_T0_E_clISt17integral_constantIbLb0EESY_IbLb1EEEEDaSU_SV_EUlSU_E_NS1_11comp_targetILNS1_3genE8ELNS1_11target_archE1030ELNS1_3gpuE2ELNS1_3repE0EEENS1_30default_config_static_selectorELNS0_4arch9wavefront6targetE1EEEvT1_.kd
    .uniform_work_group_size: 1
    .uses_dynamic_stack: false
    .vgpr_count:     0
    .vgpr_spill_count: 0
    .wavefront_size: 64
  - .agpr_count:     0
    .args:
      - .address_space:  global
        .offset:         0
        .size:           8
        .value_kind:     global_buffer
      - .offset:         8
        .size:           4
        .value_kind:     by_value
      - .offset:         12
        .size:           4
        .value_kind:     by_value
      - .address_space:  global
        .offset:         16
        .size:           8
        .value_kind:     global_buffer
      - .address_space:  global
        .offset:         24
        .size:           8
        .value_kind:     global_buffer
      - .actual_access:  write_only
        .address_space:  global
        .offset:         32
        .size:           8
        .value_kind:     global_buffer
      - .offset:         40
        .size:           8
        .value_kind:     by_value
      - .offset:         48
        .size:           4
        .value_kind:     by_value
      - .offset:         52
        .size:           1
        .value_kind:     by_value
      - .offset:         56
        .size:           4
        .value_kind:     hidden_block_count_x
      - .offset:         60
        .size:           4
        .value_kind:     hidden_block_count_y
      - .offset:         64
        .size:           4
        .value_kind:     hidden_block_count_z
      - .offset:         68
        .size:           2
        .value_kind:     hidden_group_size_x
      - .offset:         70
        .size:           2
        .value_kind:     hidden_group_size_y
      - .offset:         72
        .size:           2
        .value_kind:     hidden_group_size_z
      - .offset:         74
        .size:           2
        .value_kind:     hidden_remainder_x
      - .offset:         76
        .size:           2
        .value_kind:     hidden_remainder_y
      - .offset:         78
        .size:           2
        .value_kind:     hidden_remainder_z
      - .offset:         96
        .size:           8
        .value_kind:     hidden_global_offset_x
      - .offset:         104
        .size:           8
        .value_kind:     hidden_global_offset_y
      - .offset:         112
        .size:           8
        .value_kind:     hidden_global_offset_z
      - .offset:         120
        .size:           2
        .value_kind:     hidden_grid_dims
    .group_segment_fixed_size: 0
    .kernarg_segment_align: 8
    .kernarg_segment_size: 312
    .language:       OpenCL C
    .language_version:
      - 2
      - 0
    .max_flat_workgroup_size: 256
    .name:           _ZN7rocprim17ROCPRIM_400000_NS6detail30init_device_scan_by_key_kernelINS1_19lookback_scan_stateINS0_5tupleIJibEEELb0ELb1EEEN6thrust23THRUST_200600_302600_NS6detail15normal_iteratorINS8_10device_ptrIsEEEEjNS1_16block_id_wrapperIjLb0EEEEEvT_jjPNSG_10value_typeET0_PNSt15iterator_traitsISJ_E10value_typeEmT1_T2_
    .private_segment_fixed_size: 0
    .sgpr_count:     26
    .sgpr_spill_count: 0
    .symbol:         _ZN7rocprim17ROCPRIM_400000_NS6detail30init_device_scan_by_key_kernelINS1_19lookback_scan_stateINS0_5tupleIJibEEELb0ELb1EEEN6thrust23THRUST_200600_302600_NS6detail15normal_iteratorINS8_10device_ptrIsEEEEjNS1_16block_id_wrapperIjLb0EEEEEvT_jjPNSG_10value_typeET0_PNSt15iterator_traitsISJ_E10value_typeEmT1_T2_.kd
    .uniform_work_group_size: 1
    .uses_dynamic_stack: false
    .vgpr_count:     10
    .vgpr_spill_count: 0
    .wavefront_size: 64
  - .agpr_count:     0
    .args:
      - .offset:         0
        .size:           112
        .value_kind:     by_value
    .group_segment_fixed_size: 0
    .kernarg_segment_align: 8
    .kernarg_segment_size: 112
    .language:       OpenCL C
    .language_version:
      - 2
      - 0
    .max_flat_workgroup_size: 256
    .name:           _ZN7rocprim17ROCPRIM_400000_NS6detail17trampoline_kernelINS0_14default_configENS1_27scan_by_key_config_selectorIsiEEZZNS1_16scan_by_key_implILNS1_25lookback_scan_determinismE0ELb1ES3_N6thrust23THRUST_200600_302600_NS6detail15normal_iteratorINS9_10device_ptrIsEEEESE_SE_iNS9_4plusIvEENS9_8equal_toIvEEiEE10hipError_tPvRmT2_T3_T4_T5_mT6_T7_P12ihipStream_tbENKUlT_T0_E_clISt17integral_constantIbLb0EESZ_EEDaSU_SV_EUlSU_E_NS1_11comp_targetILNS1_3genE0ELNS1_11target_archE4294967295ELNS1_3gpuE0ELNS1_3repE0EEENS1_30default_config_static_selectorELNS0_4arch9wavefront6targetE1EEEvT1_
    .private_segment_fixed_size: 0
    .sgpr_count:     6
    .sgpr_spill_count: 0
    .symbol:         _ZN7rocprim17ROCPRIM_400000_NS6detail17trampoline_kernelINS0_14default_configENS1_27scan_by_key_config_selectorIsiEEZZNS1_16scan_by_key_implILNS1_25lookback_scan_determinismE0ELb1ES3_N6thrust23THRUST_200600_302600_NS6detail15normal_iteratorINS9_10device_ptrIsEEEESE_SE_iNS9_4plusIvEENS9_8equal_toIvEEiEE10hipError_tPvRmT2_T3_T4_T5_mT6_T7_P12ihipStream_tbENKUlT_T0_E_clISt17integral_constantIbLb0EESZ_EEDaSU_SV_EUlSU_E_NS1_11comp_targetILNS1_3genE0ELNS1_11target_archE4294967295ELNS1_3gpuE0ELNS1_3repE0EEENS1_30default_config_static_selectorELNS0_4arch9wavefront6targetE1EEEvT1_.kd
    .uniform_work_group_size: 1
    .uses_dynamic_stack: false
    .vgpr_count:     0
    .vgpr_spill_count: 0
    .wavefront_size: 64
  - .agpr_count:     0
    .args:
      - .offset:         0
        .size:           112
        .value_kind:     by_value
    .group_segment_fixed_size: 0
    .kernarg_segment_align: 8
    .kernarg_segment_size: 112
    .language:       OpenCL C
    .language_version:
      - 2
      - 0
    .max_flat_workgroup_size: 256
    .name:           _ZN7rocprim17ROCPRIM_400000_NS6detail17trampoline_kernelINS0_14default_configENS1_27scan_by_key_config_selectorIsiEEZZNS1_16scan_by_key_implILNS1_25lookback_scan_determinismE0ELb1ES3_N6thrust23THRUST_200600_302600_NS6detail15normal_iteratorINS9_10device_ptrIsEEEESE_SE_iNS9_4plusIvEENS9_8equal_toIvEEiEE10hipError_tPvRmT2_T3_T4_T5_mT6_T7_P12ihipStream_tbENKUlT_T0_E_clISt17integral_constantIbLb0EESZ_EEDaSU_SV_EUlSU_E_NS1_11comp_targetILNS1_3genE10ELNS1_11target_archE1201ELNS1_3gpuE5ELNS1_3repE0EEENS1_30default_config_static_selectorELNS0_4arch9wavefront6targetE1EEEvT1_
    .private_segment_fixed_size: 0
    .sgpr_count:     6
    .sgpr_spill_count: 0
    .symbol:         _ZN7rocprim17ROCPRIM_400000_NS6detail17trampoline_kernelINS0_14default_configENS1_27scan_by_key_config_selectorIsiEEZZNS1_16scan_by_key_implILNS1_25lookback_scan_determinismE0ELb1ES3_N6thrust23THRUST_200600_302600_NS6detail15normal_iteratorINS9_10device_ptrIsEEEESE_SE_iNS9_4plusIvEENS9_8equal_toIvEEiEE10hipError_tPvRmT2_T3_T4_T5_mT6_T7_P12ihipStream_tbENKUlT_T0_E_clISt17integral_constantIbLb0EESZ_EEDaSU_SV_EUlSU_E_NS1_11comp_targetILNS1_3genE10ELNS1_11target_archE1201ELNS1_3gpuE5ELNS1_3repE0EEENS1_30default_config_static_selectorELNS0_4arch9wavefront6targetE1EEEvT1_.kd
    .uniform_work_group_size: 1
    .uses_dynamic_stack: false
    .vgpr_count:     0
    .vgpr_spill_count: 0
    .wavefront_size: 64
  - .agpr_count:     0
    .args:
      - .offset:         0
        .size:           112
        .value_kind:     by_value
    .group_segment_fixed_size: 21504
    .kernarg_segment_align: 8
    .kernarg_segment_size: 112
    .language:       OpenCL C
    .language_version:
      - 2
      - 0
    .max_flat_workgroup_size: 256
    .name:           _ZN7rocprim17ROCPRIM_400000_NS6detail17trampoline_kernelINS0_14default_configENS1_27scan_by_key_config_selectorIsiEEZZNS1_16scan_by_key_implILNS1_25lookback_scan_determinismE0ELb1ES3_N6thrust23THRUST_200600_302600_NS6detail15normal_iteratorINS9_10device_ptrIsEEEESE_SE_iNS9_4plusIvEENS9_8equal_toIvEEiEE10hipError_tPvRmT2_T3_T4_T5_mT6_T7_P12ihipStream_tbENKUlT_T0_E_clISt17integral_constantIbLb0EESZ_EEDaSU_SV_EUlSU_E_NS1_11comp_targetILNS1_3genE5ELNS1_11target_archE942ELNS1_3gpuE9ELNS1_3repE0EEENS1_30default_config_static_selectorELNS0_4arch9wavefront6targetE1EEEvT1_
    .private_segment_fixed_size: 0
    .sgpr_count:     90
    .sgpr_spill_count: 0
    .symbol:         _ZN7rocprim17ROCPRIM_400000_NS6detail17trampoline_kernelINS0_14default_configENS1_27scan_by_key_config_selectorIsiEEZZNS1_16scan_by_key_implILNS1_25lookback_scan_determinismE0ELb1ES3_N6thrust23THRUST_200600_302600_NS6detail15normal_iteratorINS9_10device_ptrIsEEEESE_SE_iNS9_4plusIvEENS9_8equal_toIvEEiEE10hipError_tPvRmT2_T3_T4_T5_mT6_T7_P12ihipStream_tbENKUlT_T0_E_clISt17integral_constantIbLb0EESZ_EEDaSU_SV_EUlSU_E_NS1_11comp_targetILNS1_3genE5ELNS1_11target_archE942ELNS1_3gpuE9ELNS1_3repE0EEENS1_30default_config_static_selectorELNS0_4arch9wavefront6targetE1EEEvT1_.kd
    .uniform_work_group_size: 1
    .uses_dynamic_stack: false
    .vgpr_count:     79
    .vgpr_spill_count: 0
    .wavefront_size: 64
  - .agpr_count:     0
    .args:
      - .offset:         0
        .size:           112
        .value_kind:     by_value
    .group_segment_fixed_size: 0
    .kernarg_segment_align: 8
    .kernarg_segment_size: 112
    .language:       OpenCL C
    .language_version:
      - 2
      - 0
    .max_flat_workgroup_size: 256
    .name:           _ZN7rocprim17ROCPRIM_400000_NS6detail17trampoline_kernelINS0_14default_configENS1_27scan_by_key_config_selectorIsiEEZZNS1_16scan_by_key_implILNS1_25lookback_scan_determinismE0ELb1ES3_N6thrust23THRUST_200600_302600_NS6detail15normal_iteratorINS9_10device_ptrIsEEEESE_SE_iNS9_4plusIvEENS9_8equal_toIvEEiEE10hipError_tPvRmT2_T3_T4_T5_mT6_T7_P12ihipStream_tbENKUlT_T0_E_clISt17integral_constantIbLb0EESZ_EEDaSU_SV_EUlSU_E_NS1_11comp_targetILNS1_3genE4ELNS1_11target_archE910ELNS1_3gpuE8ELNS1_3repE0EEENS1_30default_config_static_selectorELNS0_4arch9wavefront6targetE1EEEvT1_
    .private_segment_fixed_size: 0
    .sgpr_count:     6
    .sgpr_spill_count: 0
    .symbol:         _ZN7rocprim17ROCPRIM_400000_NS6detail17trampoline_kernelINS0_14default_configENS1_27scan_by_key_config_selectorIsiEEZZNS1_16scan_by_key_implILNS1_25lookback_scan_determinismE0ELb1ES3_N6thrust23THRUST_200600_302600_NS6detail15normal_iteratorINS9_10device_ptrIsEEEESE_SE_iNS9_4plusIvEENS9_8equal_toIvEEiEE10hipError_tPvRmT2_T3_T4_T5_mT6_T7_P12ihipStream_tbENKUlT_T0_E_clISt17integral_constantIbLb0EESZ_EEDaSU_SV_EUlSU_E_NS1_11comp_targetILNS1_3genE4ELNS1_11target_archE910ELNS1_3gpuE8ELNS1_3repE0EEENS1_30default_config_static_selectorELNS0_4arch9wavefront6targetE1EEEvT1_.kd
    .uniform_work_group_size: 1
    .uses_dynamic_stack: false
    .vgpr_count:     0
    .vgpr_spill_count: 0
    .wavefront_size: 64
  - .agpr_count:     0
    .args:
      - .offset:         0
        .size:           112
        .value_kind:     by_value
    .group_segment_fixed_size: 0
    .kernarg_segment_align: 8
    .kernarg_segment_size: 112
    .language:       OpenCL C
    .language_version:
      - 2
      - 0
    .max_flat_workgroup_size: 256
    .name:           _ZN7rocprim17ROCPRIM_400000_NS6detail17trampoline_kernelINS0_14default_configENS1_27scan_by_key_config_selectorIsiEEZZNS1_16scan_by_key_implILNS1_25lookback_scan_determinismE0ELb1ES3_N6thrust23THRUST_200600_302600_NS6detail15normal_iteratorINS9_10device_ptrIsEEEESE_SE_iNS9_4plusIvEENS9_8equal_toIvEEiEE10hipError_tPvRmT2_T3_T4_T5_mT6_T7_P12ihipStream_tbENKUlT_T0_E_clISt17integral_constantIbLb0EESZ_EEDaSU_SV_EUlSU_E_NS1_11comp_targetILNS1_3genE3ELNS1_11target_archE908ELNS1_3gpuE7ELNS1_3repE0EEENS1_30default_config_static_selectorELNS0_4arch9wavefront6targetE1EEEvT1_
    .private_segment_fixed_size: 0
    .sgpr_count:     6
    .sgpr_spill_count: 0
    .symbol:         _ZN7rocprim17ROCPRIM_400000_NS6detail17trampoline_kernelINS0_14default_configENS1_27scan_by_key_config_selectorIsiEEZZNS1_16scan_by_key_implILNS1_25lookback_scan_determinismE0ELb1ES3_N6thrust23THRUST_200600_302600_NS6detail15normal_iteratorINS9_10device_ptrIsEEEESE_SE_iNS9_4plusIvEENS9_8equal_toIvEEiEE10hipError_tPvRmT2_T3_T4_T5_mT6_T7_P12ihipStream_tbENKUlT_T0_E_clISt17integral_constantIbLb0EESZ_EEDaSU_SV_EUlSU_E_NS1_11comp_targetILNS1_3genE3ELNS1_11target_archE908ELNS1_3gpuE7ELNS1_3repE0EEENS1_30default_config_static_selectorELNS0_4arch9wavefront6targetE1EEEvT1_.kd
    .uniform_work_group_size: 1
    .uses_dynamic_stack: false
    .vgpr_count:     0
    .vgpr_spill_count: 0
    .wavefront_size: 64
  - .agpr_count:     0
    .args:
      - .offset:         0
        .size:           112
        .value_kind:     by_value
    .group_segment_fixed_size: 0
    .kernarg_segment_align: 8
    .kernarg_segment_size: 112
    .language:       OpenCL C
    .language_version:
      - 2
      - 0
    .max_flat_workgroup_size: 256
    .name:           _ZN7rocprim17ROCPRIM_400000_NS6detail17trampoline_kernelINS0_14default_configENS1_27scan_by_key_config_selectorIsiEEZZNS1_16scan_by_key_implILNS1_25lookback_scan_determinismE0ELb1ES3_N6thrust23THRUST_200600_302600_NS6detail15normal_iteratorINS9_10device_ptrIsEEEESE_SE_iNS9_4plusIvEENS9_8equal_toIvEEiEE10hipError_tPvRmT2_T3_T4_T5_mT6_T7_P12ihipStream_tbENKUlT_T0_E_clISt17integral_constantIbLb0EESZ_EEDaSU_SV_EUlSU_E_NS1_11comp_targetILNS1_3genE2ELNS1_11target_archE906ELNS1_3gpuE6ELNS1_3repE0EEENS1_30default_config_static_selectorELNS0_4arch9wavefront6targetE1EEEvT1_
    .private_segment_fixed_size: 0
    .sgpr_count:     6
    .sgpr_spill_count: 0
    .symbol:         _ZN7rocprim17ROCPRIM_400000_NS6detail17trampoline_kernelINS0_14default_configENS1_27scan_by_key_config_selectorIsiEEZZNS1_16scan_by_key_implILNS1_25lookback_scan_determinismE0ELb1ES3_N6thrust23THRUST_200600_302600_NS6detail15normal_iteratorINS9_10device_ptrIsEEEESE_SE_iNS9_4plusIvEENS9_8equal_toIvEEiEE10hipError_tPvRmT2_T3_T4_T5_mT6_T7_P12ihipStream_tbENKUlT_T0_E_clISt17integral_constantIbLb0EESZ_EEDaSU_SV_EUlSU_E_NS1_11comp_targetILNS1_3genE2ELNS1_11target_archE906ELNS1_3gpuE6ELNS1_3repE0EEENS1_30default_config_static_selectorELNS0_4arch9wavefront6targetE1EEEvT1_.kd
    .uniform_work_group_size: 1
    .uses_dynamic_stack: false
    .vgpr_count:     0
    .vgpr_spill_count: 0
    .wavefront_size: 64
  - .agpr_count:     0
    .args:
      - .offset:         0
        .size:           112
        .value_kind:     by_value
    .group_segment_fixed_size: 0
    .kernarg_segment_align: 8
    .kernarg_segment_size: 112
    .language:       OpenCL C
    .language_version:
      - 2
      - 0
    .max_flat_workgroup_size: 256
    .name:           _ZN7rocprim17ROCPRIM_400000_NS6detail17trampoline_kernelINS0_14default_configENS1_27scan_by_key_config_selectorIsiEEZZNS1_16scan_by_key_implILNS1_25lookback_scan_determinismE0ELb1ES3_N6thrust23THRUST_200600_302600_NS6detail15normal_iteratorINS9_10device_ptrIsEEEESE_SE_iNS9_4plusIvEENS9_8equal_toIvEEiEE10hipError_tPvRmT2_T3_T4_T5_mT6_T7_P12ihipStream_tbENKUlT_T0_E_clISt17integral_constantIbLb0EESZ_EEDaSU_SV_EUlSU_E_NS1_11comp_targetILNS1_3genE10ELNS1_11target_archE1200ELNS1_3gpuE4ELNS1_3repE0EEENS1_30default_config_static_selectorELNS0_4arch9wavefront6targetE1EEEvT1_
    .private_segment_fixed_size: 0
    .sgpr_count:     6
    .sgpr_spill_count: 0
    .symbol:         _ZN7rocprim17ROCPRIM_400000_NS6detail17trampoline_kernelINS0_14default_configENS1_27scan_by_key_config_selectorIsiEEZZNS1_16scan_by_key_implILNS1_25lookback_scan_determinismE0ELb1ES3_N6thrust23THRUST_200600_302600_NS6detail15normal_iteratorINS9_10device_ptrIsEEEESE_SE_iNS9_4plusIvEENS9_8equal_toIvEEiEE10hipError_tPvRmT2_T3_T4_T5_mT6_T7_P12ihipStream_tbENKUlT_T0_E_clISt17integral_constantIbLb0EESZ_EEDaSU_SV_EUlSU_E_NS1_11comp_targetILNS1_3genE10ELNS1_11target_archE1200ELNS1_3gpuE4ELNS1_3repE0EEENS1_30default_config_static_selectorELNS0_4arch9wavefront6targetE1EEEvT1_.kd
    .uniform_work_group_size: 1
    .uses_dynamic_stack: false
    .vgpr_count:     0
    .vgpr_spill_count: 0
    .wavefront_size: 64
  - .agpr_count:     0
    .args:
      - .offset:         0
        .size:           112
        .value_kind:     by_value
    .group_segment_fixed_size: 0
    .kernarg_segment_align: 8
    .kernarg_segment_size: 112
    .language:       OpenCL C
    .language_version:
      - 2
      - 0
    .max_flat_workgroup_size: 256
    .name:           _ZN7rocprim17ROCPRIM_400000_NS6detail17trampoline_kernelINS0_14default_configENS1_27scan_by_key_config_selectorIsiEEZZNS1_16scan_by_key_implILNS1_25lookback_scan_determinismE0ELb1ES3_N6thrust23THRUST_200600_302600_NS6detail15normal_iteratorINS9_10device_ptrIsEEEESE_SE_iNS9_4plusIvEENS9_8equal_toIvEEiEE10hipError_tPvRmT2_T3_T4_T5_mT6_T7_P12ihipStream_tbENKUlT_T0_E_clISt17integral_constantIbLb0EESZ_EEDaSU_SV_EUlSU_E_NS1_11comp_targetILNS1_3genE9ELNS1_11target_archE1100ELNS1_3gpuE3ELNS1_3repE0EEENS1_30default_config_static_selectorELNS0_4arch9wavefront6targetE1EEEvT1_
    .private_segment_fixed_size: 0
    .sgpr_count:     6
    .sgpr_spill_count: 0
    .symbol:         _ZN7rocprim17ROCPRIM_400000_NS6detail17trampoline_kernelINS0_14default_configENS1_27scan_by_key_config_selectorIsiEEZZNS1_16scan_by_key_implILNS1_25lookback_scan_determinismE0ELb1ES3_N6thrust23THRUST_200600_302600_NS6detail15normal_iteratorINS9_10device_ptrIsEEEESE_SE_iNS9_4plusIvEENS9_8equal_toIvEEiEE10hipError_tPvRmT2_T3_T4_T5_mT6_T7_P12ihipStream_tbENKUlT_T0_E_clISt17integral_constantIbLb0EESZ_EEDaSU_SV_EUlSU_E_NS1_11comp_targetILNS1_3genE9ELNS1_11target_archE1100ELNS1_3gpuE3ELNS1_3repE0EEENS1_30default_config_static_selectorELNS0_4arch9wavefront6targetE1EEEvT1_.kd
    .uniform_work_group_size: 1
    .uses_dynamic_stack: false
    .vgpr_count:     0
    .vgpr_spill_count: 0
    .wavefront_size: 64
  - .agpr_count:     0
    .args:
      - .offset:         0
        .size:           112
        .value_kind:     by_value
    .group_segment_fixed_size: 0
    .kernarg_segment_align: 8
    .kernarg_segment_size: 112
    .language:       OpenCL C
    .language_version:
      - 2
      - 0
    .max_flat_workgroup_size: 64
    .name:           _ZN7rocprim17ROCPRIM_400000_NS6detail17trampoline_kernelINS0_14default_configENS1_27scan_by_key_config_selectorIsiEEZZNS1_16scan_by_key_implILNS1_25lookback_scan_determinismE0ELb1ES3_N6thrust23THRUST_200600_302600_NS6detail15normal_iteratorINS9_10device_ptrIsEEEESE_SE_iNS9_4plusIvEENS9_8equal_toIvEEiEE10hipError_tPvRmT2_T3_T4_T5_mT6_T7_P12ihipStream_tbENKUlT_T0_E_clISt17integral_constantIbLb0EESZ_EEDaSU_SV_EUlSU_E_NS1_11comp_targetILNS1_3genE8ELNS1_11target_archE1030ELNS1_3gpuE2ELNS1_3repE0EEENS1_30default_config_static_selectorELNS0_4arch9wavefront6targetE1EEEvT1_
    .private_segment_fixed_size: 0
    .sgpr_count:     6
    .sgpr_spill_count: 0
    .symbol:         _ZN7rocprim17ROCPRIM_400000_NS6detail17trampoline_kernelINS0_14default_configENS1_27scan_by_key_config_selectorIsiEEZZNS1_16scan_by_key_implILNS1_25lookback_scan_determinismE0ELb1ES3_N6thrust23THRUST_200600_302600_NS6detail15normal_iteratorINS9_10device_ptrIsEEEESE_SE_iNS9_4plusIvEENS9_8equal_toIvEEiEE10hipError_tPvRmT2_T3_T4_T5_mT6_T7_P12ihipStream_tbENKUlT_T0_E_clISt17integral_constantIbLb0EESZ_EEDaSU_SV_EUlSU_E_NS1_11comp_targetILNS1_3genE8ELNS1_11target_archE1030ELNS1_3gpuE2ELNS1_3repE0EEENS1_30default_config_static_selectorELNS0_4arch9wavefront6targetE1EEEvT1_.kd
    .uniform_work_group_size: 1
    .uses_dynamic_stack: false
    .vgpr_count:     0
    .vgpr_spill_count: 0
    .wavefront_size: 64
  - .agpr_count:     0
    .args:
      - .address_space:  global
        .offset:         0
        .size:           8
        .value_kind:     global_buffer
      - .offset:         8
        .size:           4
        .value_kind:     by_value
      - .offset:         12
        .size:           4
        .value_kind:     by_value
      - .address_space:  global
        .offset:         16
        .size:           8
        .value_kind:     global_buffer
      - .address_space:  global
        .offset:         24
        .size:           8
        .value_kind:     global_buffer
      - .actual_access:  write_only
        .address_space:  global
        .offset:         32
        .size:           8
        .value_kind:     global_buffer
      - .offset:         40
        .size:           8
        .value_kind:     by_value
      - .offset:         48
        .size:           4
        .value_kind:     by_value
      - .address_space:  global
        .offset:         56
        .size:           8
        .value_kind:     global_buffer
      - .offset:         64
        .size:           4
        .value_kind:     hidden_block_count_x
      - .offset:         68
        .size:           4
        .value_kind:     hidden_block_count_y
      - .offset:         72
        .size:           4
        .value_kind:     hidden_block_count_z
      - .offset:         76
        .size:           2
        .value_kind:     hidden_group_size_x
      - .offset:         78
        .size:           2
        .value_kind:     hidden_group_size_y
      - .offset:         80
        .size:           2
        .value_kind:     hidden_group_size_z
      - .offset:         82
        .size:           2
        .value_kind:     hidden_remainder_x
      - .offset:         84
        .size:           2
        .value_kind:     hidden_remainder_y
      - .offset:         86
        .size:           2
        .value_kind:     hidden_remainder_z
      - .offset:         104
        .size:           8
        .value_kind:     hidden_global_offset_x
      - .offset:         112
        .size:           8
        .value_kind:     hidden_global_offset_y
      - .offset:         120
        .size:           8
        .value_kind:     hidden_global_offset_z
      - .offset:         128
        .size:           2
        .value_kind:     hidden_grid_dims
    .group_segment_fixed_size: 0
    .kernarg_segment_align: 8
    .kernarg_segment_size: 320
    .language:       OpenCL C
    .language_version:
      - 2
      - 0
    .max_flat_workgroup_size: 256
    .name:           _ZN7rocprim17ROCPRIM_400000_NS6detail30init_device_scan_by_key_kernelINS1_19lookback_scan_stateINS0_5tupleIJibEEELb1ELb1EEEN6thrust23THRUST_200600_302600_NS6detail15normal_iteratorINS8_10device_ptrIsEEEEjNS1_16block_id_wrapperIjLb1EEEEEvT_jjPNSG_10value_typeET0_PNSt15iterator_traitsISJ_E10value_typeEmT1_T2_
    .private_segment_fixed_size: 0
    .sgpr_count:     26
    .sgpr_spill_count: 0
    .symbol:         _ZN7rocprim17ROCPRIM_400000_NS6detail30init_device_scan_by_key_kernelINS1_19lookback_scan_stateINS0_5tupleIJibEEELb1ELb1EEEN6thrust23THRUST_200600_302600_NS6detail15normal_iteratorINS8_10device_ptrIsEEEEjNS1_16block_id_wrapperIjLb1EEEEEvT_jjPNSG_10value_typeET0_PNSt15iterator_traitsISJ_E10value_typeEmT1_T2_.kd
    .uniform_work_group_size: 1
    .uses_dynamic_stack: false
    .vgpr_count:     10
    .vgpr_spill_count: 0
    .wavefront_size: 64
  - .agpr_count:     0
    .args:
      - .offset:         0
        .size:           112
        .value_kind:     by_value
    .group_segment_fixed_size: 0
    .kernarg_segment_align: 8
    .kernarg_segment_size: 112
    .language:       OpenCL C
    .language_version:
      - 2
      - 0
    .max_flat_workgroup_size: 256
    .name:           _ZN7rocprim17ROCPRIM_400000_NS6detail17trampoline_kernelINS0_14default_configENS1_27scan_by_key_config_selectorIsiEEZZNS1_16scan_by_key_implILNS1_25lookback_scan_determinismE0ELb1ES3_N6thrust23THRUST_200600_302600_NS6detail15normal_iteratorINS9_10device_ptrIsEEEESE_SE_iNS9_4plusIvEENS9_8equal_toIvEEiEE10hipError_tPvRmT2_T3_T4_T5_mT6_T7_P12ihipStream_tbENKUlT_T0_E_clISt17integral_constantIbLb1EESZ_EEDaSU_SV_EUlSU_E_NS1_11comp_targetILNS1_3genE0ELNS1_11target_archE4294967295ELNS1_3gpuE0ELNS1_3repE0EEENS1_30default_config_static_selectorELNS0_4arch9wavefront6targetE1EEEvT1_
    .private_segment_fixed_size: 0
    .sgpr_count:     6
    .sgpr_spill_count: 0
    .symbol:         _ZN7rocprim17ROCPRIM_400000_NS6detail17trampoline_kernelINS0_14default_configENS1_27scan_by_key_config_selectorIsiEEZZNS1_16scan_by_key_implILNS1_25lookback_scan_determinismE0ELb1ES3_N6thrust23THRUST_200600_302600_NS6detail15normal_iteratorINS9_10device_ptrIsEEEESE_SE_iNS9_4plusIvEENS9_8equal_toIvEEiEE10hipError_tPvRmT2_T3_T4_T5_mT6_T7_P12ihipStream_tbENKUlT_T0_E_clISt17integral_constantIbLb1EESZ_EEDaSU_SV_EUlSU_E_NS1_11comp_targetILNS1_3genE0ELNS1_11target_archE4294967295ELNS1_3gpuE0ELNS1_3repE0EEENS1_30default_config_static_selectorELNS0_4arch9wavefront6targetE1EEEvT1_.kd
    .uniform_work_group_size: 1
    .uses_dynamic_stack: false
    .vgpr_count:     0
    .vgpr_spill_count: 0
    .wavefront_size: 64
  - .agpr_count:     0
    .args:
      - .offset:         0
        .size:           112
        .value_kind:     by_value
    .group_segment_fixed_size: 0
    .kernarg_segment_align: 8
    .kernarg_segment_size: 112
    .language:       OpenCL C
    .language_version:
      - 2
      - 0
    .max_flat_workgroup_size: 256
    .name:           _ZN7rocprim17ROCPRIM_400000_NS6detail17trampoline_kernelINS0_14default_configENS1_27scan_by_key_config_selectorIsiEEZZNS1_16scan_by_key_implILNS1_25lookback_scan_determinismE0ELb1ES3_N6thrust23THRUST_200600_302600_NS6detail15normal_iteratorINS9_10device_ptrIsEEEESE_SE_iNS9_4plusIvEENS9_8equal_toIvEEiEE10hipError_tPvRmT2_T3_T4_T5_mT6_T7_P12ihipStream_tbENKUlT_T0_E_clISt17integral_constantIbLb1EESZ_EEDaSU_SV_EUlSU_E_NS1_11comp_targetILNS1_3genE10ELNS1_11target_archE1201ELNS1_3gpuE5ELNS1_3repE0EEENS1_30default_config_static_selectorELNS0_4arch9wavefront6targetE1EEEvT1_
    .private_segment_fixed_size: 0
    .sgpr_count:     6
    .sgpr_spill_count: 0
    .symbol:         _ZN7rocprim17ROCPRIM_400000_NS6detail17trampoline_kernelINS0_14default_configENS1_27scan_by_key_config_selectorIsiEEZZNS1_16scan_by_key_implILNS1_25lookback_scan_determinismE0ELb1ES3_N6thrust23THRUST_200600_302600_NS6detail15normal_iteratorINS9_10device_ptrIsEEEESE_SE_iNS9_4plusIvEENS9_8equal_toIvEEiEE10hipError_tPvRmT2_T3_T4_T5_mT6_T7_P12ihipStream_tbENKUlT_T0_E_clISt17integral_constantIbLb1EESZ_EEDaSU_SV_EUlSU_E_NS1_11comp_targetILNS1_3genE10ELNS1_11target_archE1201ELNS1_3gpuE5ELNS1_3repE0EEENS1_30default_config_static_selectorELNS0_4arch9wavefront6targetE1EEEvT1_.kd
    .uniform_work_group_size: 1
    .uses_dynamic_stack: false
    .vgpr_count:     0
    .vgpr_spill_count: 0
    .wavefront_size: 64
  - .agpr_count:     0
    .args:
      - .offset:         0
        .size:           112
        .value_kind:     by_value
    .group_segment_fixed_size: 21504
    .kernarg_segment_align: 8
    .kernarg_segment_size: 112
    .language:       OpenCL C
    .language_version:
      - 2
      - 0
    .max_flat_workgroup_size: 256
    .name:           _ZN7rocprim17ROCPRIM_400000_NS6detail17trampoline_kernelINS0_14default_configENS1_27scan_by_key_config_selectorIsiEEZZNS1_16scan_by_key_implILNS1_25lookback_scan_determinismE0ELb1ES3_N6thrust23THRUST_200600_302600_NS6detail15normal_iteratorINS9_10device_ptrIsEEEESE_SE_iNS9_4plusIvEENS9_8equal_toIvEEiEE10hipError_tPvRmT2_T3_T4_T5_mT6_T7_P12ihipStream_tbENKUlT_T0_E_clISt17integral_constantIbLb1EESZ_EEDaSU_SV_EUlSU_E_NS1_11comp_targetILNS1_3genE5ELNS1_11target_archE942ELNS1_3gpuE9ELNS1_3repE0EEENS1_30default_config_static_selectorELNS0_4arch9wavefront6targetE1EEEvT1_
    .private_segment_fixed_size: 0
    .sgpr_count:     82
    .sgpr_spill_count: 0
    .symbol:         _ZN7rocprim17ROCPRIM_400000_NS6detail17trampoline_kernelINS0_14default_configENS1_27scan_by_key_config_selectorIsiEEZZNS1_16scan_by_key_implILNS1_25lookback_scan_determinismE0ELb1ES3_N6thrust23THRUST_200600_302600_NS6detail15normal_iteratorINS9_10device_ptrIsEEEESE_SE_iNS9_4plusIvEENS9_8equal_toIvEEiEE10hipError_tPvRmT2_T3_T4_T5_mT6_T7_P12ihipStream_tbENKUlT_T0_E_clISt17integral_constantIbLb1EESZ_EEDaSU_SV_EUlSU_E_NS1_11comp_targetILNS1_3genE5ELNS1_11target_archE942ELNS1_3gpuE9ELNS1_3repE0EEENS1_30default_config_static_selectorELNS0_4arch9wavefront6targetE1EEEvT1_.kd
    .uniform_work_group_size: 1
    .uses_dynamic_stack: false
    .vgpr_count:     81
    .vgpr_spill_count: 0
    .wavefront_size: 64
  - .agpr_count:     0
    .args:
      - .offset:         0
        .size:           112
        .value_kind:     by_value
    .group_segment_fixed_size: 0
    .kernarg_segment_align: 8
    .kernarg_segment_size: 112
    .language:       OpenCL C
    .language_version:
      - 2
      - 0
    .max_flat_workgroup_size: 256
    .name:           _ZN7rocprim17ROCPRIM_400000_NS6detail17trampoline_kernelINS0_14default_configENS1_27scan_by_key_config_selectorIsiEEZZNS1_16scan_by_key_implILNS1_25lookback_scan_determinismE0ELb1ES3_N6thrust23THRUST_200600_302600_NS6detail15normal_iteratorINS9_10device_ptrIsEEEESE_SE_iNS9_4plusIvEENS9_8equal_toIvEEiEE10hipError_tPvRmT2_T3_T4_T5_mT6_T7_P12ihipStream_tbENKUlT_T0_E_clISt17integral_constantIbLb1EESZ_EEDaSU_SV_EUlSU_E_NS1_11comp_targetILNS1_3genE4ELNS1_11target_archE910ELNS1_3gpuE8ELNS1_3repE0EEENS1_30default_config_static_selectorELNS0_4arch9wavefront6targetE1EEEvT1_
    .private_segment_fixed_size: 0
    .sgpr_count:     6
    .sgpr_spill_count: 0
    .symbol:         _ZN7rocprim17ROCPRIM_400000_NS6detail17trampoline_kernelINS0_14default_configENS1_27scan_by_key_config_selectorIsiEEZZNS1_16scan_by_key_implILNS1_25lookback_scan_determinismE0ELb1ES3_N6thrust23THRUST_200600_302600_NS6detail15normal_iteratorINS9_10device_ptrIsEEEESE_SE_iNS9_4plusIvEENS9_8equal_toIvEEiEE10hipError_tPvRmT2_T3_T4_T5_mT6_T7_P12ihipStream_tbENKUlT_T0_E_clISt17integral_constantIbLb1EESZ_EEDaSU_SV_EUlSU_E_NS1_11comp_targetILNS1_3genE4ELNS1_11target_archE910ELNS1_3gpuE8ELNS1_3repE0EEENS1_30default_config_static_selectorELNS0_4arch9wavefront6targetE1EEEvT1_.kd
    .uniform_work_group_size: 1
    .uses_dynamic_stack: false
    .vgpr_count:     0
    .vgpr_spill_count: 0
    .wavefront_size: 64
  - .agpr_count:     0
    .args:
      - .offset:         0
        .size:           112
        .value_kind:     by_value
    .group_segment_fixed_size: 0
    .kernarg_segment_align: 8
    .kernarg_segment_size: 112
    .language:       OpenCL C
    .language_version:
      - 2
      - 0
    .max_flat_workgroup_size: 256
    .name:           _ZN7rocprim17ROCPRIM_400000_NS6detail17trampoline_kernelINS0_14default_configENS1_27scan_by_key_config_selectorIsiEEZZNS1_16scan_by_key_implILNS1_25lookback_scan_determinismE0ELb1ES3_N6thrust23THRUST_200600_302600_NS6detail15normal_iteratorINS9_10device_ptrIsEEEESE_SE_iNS9_4plusIvEENS9_8equal_toIvEEiEE10hipError_tPvRmT2_T3_T4_T5_mT6_T7_P12ihipStream_tbENKUlT_T0_E_clISt17integral_constantIbLb1EESZ_EEDaSU_SV_EUlSU_E_NS1_11comp_targetILNS1_3genE3ELNS1_11target_archE908ELNS1_3gpuE7ELNS1_3repE0EEENS1_30default_config_static_selectorELNS0_4arch9wavefront6targetE1EEEvT1_
    .private_segment_fixed_size: 0
    .sgpr_count:     6
    .sgpr_spill_count: 0
    .symbol:         _ZN7rocprim17ROCPRIM_400000_NS6detail17trampoline_kernelINS0_14default_configENS1_27scan_by_key_config_selectorIsiEEZZNS1_16scan_by_key_implILNS1_25lookback_scan_determinismE0ELb1ES3_N6thrust23THRUST_200600_302600_NS6detail15normal_iteratorINS9_10device_ptrIsEEEESE_SE_iNS9_4plusIvEENS9_8equal_toIvEEiEE10hipError_tPvRmT2_T3_T4_T5_mT6_T7_P12ihipStream_tbENKUlT_T0_E_clISt17integral_constantIbLb1EESZ_EEDaSU_SV_EUlSU_E_NS1_11comp_targetILNS1_3genE3ELNS1_11target_archE908ELNS1_3gpuE7ELNS1_3repE0EEENS1_30default_config_static_selectorELNS0_4arch9wavefront6targetE1EEEvT1_.kd
    .uniform_work_group_size: 1
    .uses_dynamic_stack: false
    .vgpr_count:     0
    .vgpr_spill_count: 0
    .wavefront_size: 64
  - .agpr_count:     0
    .args:
      - .offset:         0
        .size:           112
        .value_kind:     by_value
    .group_segment_fixed_size: 0
    .kernarg_segment_align: 8
    .kernarg_segment_size: 112
    .language:       OpenCL C
    .language_version:
      - 2
      - 0
    .max_flat_workgroup_size: 256
    .name:           _ZN7rocprim17ROCPRIM_400000_NS6detail17trampoline_kernelINS0_14default_configENS1_27scan_by_key_config_selectorIsiEEZZNS1_16scan_by_key_implILNS1_25lookback_scan_determinismE0ELb1ES3_N6thrust23THRUST_200600_302600_NS6detail15normal_iteratorINS9_10device_ptrIsEEEESE_SE_iNS9_4plusIvEENS9_8equal_toIvEEiEE10hipError_tPvRmT2_T3_T4_T5_mT6_T7_P12ihipStream_tbENKUlT_T0_E_clISt17integral_constantIbLb1EESZ_EEDaSU_SV_EUlSU_E_NS1_11comp_targetILNS1_3genE2ELNS1_11target_archE906ELNS1_3gpuE6ELNS1_3repE0EEENS1_30default_config_static_selectorELNS0_4arch9wavefront6targetE1EEEvT1_
    .private_segment_fixed_size: 0
    .sgpr_count:     6
    .sgpr_spill_count: 0
    .symbol:         _ZN7rocprim17ROCPRIM_400000_NS6detail17trampoline_kernelINS0_14default_configENS1_27scan_by_key_config_selectorIsiEEZZNS1_16scan_by_key_implILNS1_25lookback_scan_determinismE0ELb1ES3_N6thrust23THRUST_200600_302600_NS6detail15normal_iteratorINS9_10device_ptrIsEEEESE_SE_iNS9_4plusIvEENS9_8equal_toIvEEiEE10hipError_tPvRmT2_T3_T4_T5_mT6_T7_P12ihipStream_tbENKUlT_T0_E_clISt17integral_constantIbLb1EESZ_EEDaSU_SV_EUlSU_E_NS1_11comp_targetILNS1_3genE2ELNS1_11target_archE906ELNS1_3gpuE6ELNS1_3repE0EEENS1_30default_config_static_selectorELNS0_4arch9wavefront6targetE1EEEvT1_.kd
    .uniform_work_group_size: 1
    .uses_dynamic_stack: false
    .vgpr_count:     0
    .vgpr_spill_count: 0
    .wavefront_size: 64
  - .agpr_count:     0
    .args:
      - .offset:         0
        .size:           112
        .value_kind:     by_value
    .group_segment_fixed_size: 0
    .kernarg_segment_align: 8
    .kernarg_segment_size: 112
    .language:       OpenCL C
    .language_version:
      - 2
      - 0
    .max_flat_workgroup_size: 256
    .name:           _ZN7rocprim17ROCPRIM_400000_NS6detail17trampoline_kernelINS0_14default_configENS1_27scan_by_key_config_selectorIsiEEZZNS1_16scan_by_key_implILNS1_25lookback_scan_determinismE0ELb1ES3_N6thrust23THRUST_200600_302600_NS6detail15normal_iteratorINS9_10device_ptrIsEEEESE_SE_iNS9_4plusIvEENS9_8equal_toIvEEiEE10hipError_tPvRmT2_T3_T4_T5_mT6_T7_P12ihipStream_tbENKUlT_T0_E_clISt17integral_constantIbLb1EESZ_EEDaSU_SV_EUlSU_E_NS1_11comp_targetILNS1_3genE10ELNS1_11target_archE1200ELNS1_3gpuE4ELNS1_3repE0EEENS1_30default_config_static_selectorELNS0_4arch9wavefront6targetE1EEEvT1_
    .private_segment_fixed_size: 0
    .sgpr_count:     6
    .sgpr_spill_count: 0
    .symbol:         _ZN7rocprim17ROCPRIM_400000_NS6detail17trampoline_kernelINS0_14default_configENS1_27scan_by_key_config_selectorIsiEEZZNS1_16scan_by_key_implILNS1_25lookback_scan_determinismE0ELb1ES3_N6thrust23THRUST_200600_302600_NS6detail15normal_iteratorINS9_10device_ptrIsEEEESE_SE_iNS9_4plusIvEENS9_8equal_toIvEEiEE10hipError_tPvRmT2_T3_T4_T5_mT6_T7_P12ihipStream_tbENKUlT_T0_E_clISt17integral_constantIbLb1EESZ_EEDaSU_SV_EUlSU_E_NS1_11comp_targetILNS1_3genE10ELNS1_11target_archE1200ELNS1_3gpuE4ELNS1_3repE0EEENS1_30default_config_static_selectorELNS0_4arch9wavefront6targetE1EEEvT1_.kd
    .uniform_work_group_size: 1
    .uses_dynamic_stack: false
    .vgpr_count:     0
    .vgpr_spill_count: 0
    .wavefront_size: 64
  - .agpr_count:     0
    .args:
      - .offset:         0
        .size:           112
        .value_kind:     by_value
    .group_segment_fixed_size: 0
    .kernarg_segment_align: 8
    .kernarg_segment_size: 112
    .language:       OpenCL C
    .language_version:
      - 2
      - 0
    .max_flat_workgroup_size: 256
    .name:           _ZN7rocprim17ROCPRIM_400000_NS6detail17trampoline_kernelINS0_14default_configENS1_27scan_by_key_config_selectorIsiEEZZNS1_16scan_by_key_implILNS1_25lookback_scan_determinismE0ELb1ES3_N6thrust23THRUST_200600_302600_NS6detail15normal_iteratorINS9_10device_ptrIsEEEESE_SE_iNS9_4plusIvEENS9_8equal_toIvEEiEE10hipError_tPvRmT2_T3_T4_T5_mT6_T7_P12ihipStream_tbENKUlT_T0_E_clISt17integral_constantIbLb1EESZ_EEDaSU_SV_EUlSU_E_NS1_11comp_targetILNS1_3genE9ELNS1_11target_archE1100ELNS1_3gpuE3ELNS1_3repE0EEENS1_30default_config_static_selectorELNS0_4arch9wavefront6targetE1EEEvT1_
    .private_segment_fixed_size: 0
    .sgpr_count:     6
    .sgpr_spill_count: 0
    .symbol:         _ZN7rocprim17ROCPRIM_400000_NS6detail17trampoline_kernelINS0_14default_configENS1_27scan_by_key_config_selectorIsiEEZZNS1_16scan_by_key_implILNS1_25lookback_scan_determinismE0ELb1ES3_N6thrust23THRUST_200600_302600_NS6detail15normal_iteratorINS9_10device_ptrIsEEEESE_SE_iNS9_4plusIvEENS9_8equal_toIvEEiEE10hipError_tPvRmT2_T3_T4_T5_mT6_T7_P12ihipStream_tbENKUlT_T0_E_clISt17integral_constantIbLb1EESZ_EEDaSU_SV_EUlSU_E_NS1_11comp_targetILNS1_3genE9ELNS1_11target_archE1100ELNS1_3gpuE3ELNS1_3repE0EEENS1_30default_config_static_selectorELNS0_4arch9wavefront6targetE1EEEvT1_.kd
    .uniform_work_group_size: 1
    .uses_dynamic_stack: false
    .vgpr_count:     0
    .vgpr_spill_count: 0
    .wavefront_size: 64
  - .agpr_count:     0
    .args:
      - .offset:         0
        .size:           112
        .value_kind:     by_value
    .group_segment_fixed_size: 0
    .kernarg_segment_align: 8
    .kernarg_segment_size: 112
    .language:       OpenCL C
    .language_version:
      - 2
      - 0
    .max_flat_workgroup_size: 64
    .name:           _ZN7rocprim17ROCPRIM_400000_NS6detail17trampoline_kernelINS0_14default_configENS1_27scan_by_key_config_selectorIsiEEZZNS1_16scan_by_key_implILNS1_25lookback_scan_determinismE0ELb1ES3_N6thrust23THRUST_200600_302600_NS6detail15normal_iteratorINS9_10device_ptrIsEEEESE_SE_iNS9_4plusIvEENS9_8equal_toIvEEiEE10hipError_tPvRmT2_T3_T4_T5_mT6_T7_P12ihipStream_tbENKUlT_T0_E_clISt17integral_constantIbLb1EESZ_EEDaSU_SV_EUlSU_E_NS1_11comp_targetILNS1_3genE8ELNS1_11target_archE1030ELNS1_3gpuE2ELNS1_3repE0EEENS1_30default_config_static_selectorELNS0_4arch9wavefront6targetE1EEEvT1_
    .private_segment_fixed_size: 0
    .sgpr_count:     6
    .sgpr_spill_count: 0
    .symbol:         _ZN7rocprim17ROCPRIM_400000_NS6detail17trampoline_kernelINS0_14default_configENS1_27scan_by_key_config_selectorIsiEEZZNS1_16scan_by_key_implILNS1_25lookback_scan_determinismE0ELb1ES3_N6thrust23THRUST_200600_302600_NS6detail15normal_iteratorINS9_10device_ptrIsEEEESE_SE_iNS9_4plusIvEENS9_8equal_toIvEEiEE10hipError_tPvRmT2_T3_T4_T5_mT6_T7_P12ihipStream_tbENKUlT_T0_E_clISt17integral_constantIbLb1EESZ_EEDaSU_SV_EUlSU_E_NS1_11comp_targetILNS1_3genE8ELNS1_11target_archE1030ELNS1_3gpuE2ELNS1_3repE0EEENS1_30default_config_static_selectorELNS0_4arch9wavefront6targetE1EEEvT1_.kd
    .uniform_work_group_size: 1
    .uses_dynamic_stack: false
    .vgpr_count:     0
    .vgpr_spill_count: 0
    .wavefront_size: 64
  - .agpr_count:     0
    .args:
      - .address_space:  global
        .offset:         0
        .size:           8
        .value_kind:     global_buffer
      - .offset:         8
        .size:           4
        .value_kind:     by_value
      - .offset:         12
        .size:           4
        .value_kind:     by_value
      - .address_space:  global
        .offset:         16
        .size:           8
        .value_kind:     global_buffer
      - .address_space:  global
        .offset:         24
        .size:           8
        .value_kind:     global_buffer
      - .actual_access:  write_only
        .address_space:  global
        .offset:         32
        .size:           8
        .value_kind:     global_buffer
      - .offset:         40
        .size:           8
        .value_kind:     by_value
      - .offset:         48
        .size:           4
        .value_kind:     by_value
      - .offset:         52
        .size:           1
        .value_kind:     by_value
      - .offset:         56
        .size:           4
        .value_kind:     hidden_block_count_x
      - .offset:         60
        .size:           4
        .value_kind:     hidden_block_count_y
      - .offset:         64
        .size:           4
        .value_kind:     hidden_block_count_z
      - .offset:         68
        .size:           2
        .value_kind:     hidden_group_size_x
      - .offset:         70
        .size:           2
        .value_kind:     hidden_group_size_y
      - .offset:         72
        .size:           2
        .value_kind:     hidden_group_size_z
      - .offset:         74
        .size:           2
        .value_kind:     hidden_remainder_x
      - .offset:         76
        .size:           2
        .value_kind:     hidden_remainder_y
      - .offset:         78
        .size:           2
        .value_kind:     hidden_remainder_z
      - .offset:         96
        .size:           8
        .value_kind:     hidden_global_offset_x
      - .offset:         104
        .size:           8
        .value_kind:     hidden_global_offset_y
      - .offset:         112
        .size:           8
        .value_kind:     hidden_global_offset_z
      - .offset:         120
        .size:           2
        .value_kind:     hidden_grid_dims
    .group_segment_fixed_size: 0
    .kernarg_segment_align: 8
    .kernarg_segment_size: 312
    .language:       OpenCL C
    .language_version:
      - 2
      - 0
    .max_flat_workgroup_size: 256
    .name:           _ZN7rocprim17ROCPRIM_400000_NS6detail30init_device_scan_by_key_kernelINS1_19lookback_scan_stateINS0_5tupleIJibEEELb1ELb1EEEN6thrust23THRUST_200600_302600_NS6detail15normal_iteratorINS8_10device_ptrIsEEEEjNS1_16block_id_wrapperIjLb0EEEEEvT_jjPNSG_10value_typeET0_PNSt15iterator_traitsISJ_E10value_typeEmT1_T2_
    .private_segment_fixed_size: 0
    .sgpr_count:     26
    .sgpr_spill_count: 0
    .symbol:         _ZN7rocprim17ROCPRIM_400000_NS6detail30init_device_scan_by_key_kernelINS1_19lookback_scan_stateINS0_5tupleIJibEEELb1ELb1EEEN6thrust23THRUST_200600_302600_NS6detail15normal_iteratorINS8_10device_ptrIsEEEEjNS1_16block_id_wrapperIjLb0EEEEEvT_jjPNSG_10value_typeET0_PNSt15iterator_traitsISJ_E10value_typeEmT1_T2_.kd
    .uniform_work_group_size: 1
    .uses_dynamic_stack: false
    .vgpr_count:     10
    .vgpr_spill_count: 0
    .wavefront_size: 64
  - .agpr_count:     0
    .args:
      - .offset:         0
        .size:           112
        .value_kind:     by_value
    .group_segment_fixed_size: 0
    .kernarg_segment_align: 8
    .kernarg_segment_size: 112
    .language:       OpenCL C
    .language_version:
      - 2
      - 0
    .max_flat_workgroup_size: 256
    .name:           _ZN7rocprim17ROCPRIM_400000_NS6detail17trampoline_kernelINS0_14default_configENS1_27scan_by_key_config_selectorIsiEEZZNS1_16scan_by_key_implILNS1_25lookback_scan_determinismE0ELb1ES3_N6thrust23THRUST_200600_302600_NS6detail15normal_iteratorINS9_10device_ptrIsEEEESE_SE_iNS9_4plusIvEENS9_8equal_toIvEEiEE10hipError_tPvRmT2_T3_T4_T5_mT6_T7_P12ihipStream_tbENKUlT_T0_E_clISt17integral_constantIbLb1EESY_IbLb0EEEEDaSU_SV_EUlSU_E_NS1_11comp_targetILNS1_3genE0ELNS1_11target_archE4294967295ELNS1_3gpuE0ELNS1_3repE0EEENS1_30default_config_static_selectorELNS0_4arch9wavefront6targetE1EEEvT1_
    .private_segment_fixed_size: 0
    .sgpr_count:     6
    .sgpr_spill_count: 0
    .symbol:         _ZN7rocprim17ROCPRIM_400000_NS6detail17trampoline_kernelINS0_14default_configENS1_27scan_by_key_config_selectorIsiEEZZNS1_16scan_by_key_implILNS1_25lookback_scan_determinismE0ELb1ES3_N6thrust23THRUST_200600_302600_NS6detail15normal_iteratorINS9_10device_ptrIsEEEESE_SE_iNS9_4plusIvEENS9_8equal_toIvEEiEE10hipError_tPvRmT2_T3_T4_T5_mT6_T7_P12ihipStream_tbENKUlT_T0_E_clISt17integral_constantIbLb1EESY_IbLb0EEEEDaSU_SV_EUlSU_E_NS1_11comp_targetILNS1_3genE0ELNS1_11target_archE4294967295ELNS1_3gpuE0ELNS1_3repE0EEENS1_30default_config_static_selectorELNS0_4arch9wavefront6targetE1EEEvT1_.kd
    .uniform_work_group_size: 1
    .uses_dynamic_stack: false
    .vgpr_count:     0
    .vgpr_spill_count: 0
    .wavefront_size: 64
  - .agpr_count:     0
    .args:
      - .offset:         0
        .size:           112
        .value_kind:     by_value
    .group_segment_fixed_size: 0
    .kernarg_segment_align: 8
    .kernarg_segment_size: 112
    .language:       OpenCL C
    .language_version:
      - 2
      - 0
    .max_flat_workgroup_size: 256
    .name:           _ZN7rocprim17ROCPRIM_400000_NS6detail17trampoline_kernelINS0_14default_configENS1_27scan_by_key_config_selectorIsiEEZZNS1_16scan_by_key_implILNS1_25lookback_scan_determinismE0ELb1ES3_N6thrust23THRUST_200600_302600_NS6detail15normal_iteratorINS9_10device_ptrIsEEEESE_SE_iNS9_4plusIvEENS9_8equal_toIvEEiEE10hipError_tPvRmT2_T3_T4_T5_mT6_T7_P12ihipStream_tbENKUlT_T0_E_clISt17integral_constantIbLb1EESY_IbLb0EEEEDaSU_SV_EUlSU_E_NS1_11comp_targetILNS1_3genE10ELNS1_11target_archE1201ELNS1_3gpuE5ELNS1_3repE0EEENS1_30default_config_static_selectorELNS0_4arch9wavefront6targetE1EEEvT1_
    .private_segment_fixed_size: 0
    .sgpr_count:     6
    .sgpr_spill_count: 0
    .symbol:         _ZN7rocprim17ROCPRIM_400000_NS6detail17trampoline_kernelINS0_14default_configENS1_27scan_by_key_config_selectorIsiEEZZNS1_16scan_by_key_implILNS1_25lookback_scan_determinismE0ELb1ES3_N6thrust23THRUST_200600_302600_NS6detail15normal_iteratorINS9_10device_ptrIsEEEESE_SE_iNS9_4plusIvEENS9_8equal_toIvEEiEE10hipError_tPvRmT2_T3_T4_T5_mT6_T7_P12ihipStream_tbENKUlT_T0_E_clISt17integral_constantIbLb1EESY_IbLb0EEEEDaSU_SV_EUlSU_E_NS1_11comp_targetILNS1_3genE10ELNS1_11target_archE1201ELNS1_3gpuE5ELNS1_3repE0EEENS1_30default_config_static_selectorELNS0_4arch9wavefront6targetE1EEEvT1_.kd
    .uniform_work_group_size: 1
    .uses_dynamic_stack: false
    .vgpr_count:     0
    .vgpr_spill_count: 0
    .wavefront_size: 64
  - .agpr_count:     0
    .args:
      - .offset:         0
        .size:           112
        .value_kind:     by_value
    .group_segment_fixed_size: 21504
    .kernarg_segment_align: 8
    .kernarg_segment_size: 112
    .language:       OpenCL C
    .language_version:
      - 2
      - 0
    .max_flat_workgroup_size: 256
    .name:           _ZN7rocprim17ROCPRIM_400000_NS6detail17trampoline_kernelINS0_14default_configENS1_27scan_by_key_config_selectorIsiEEZZNS1_16scan_by_key_implILNS1_25lookback_scan_determinismE0ELb1ES3_N6thrust23THRUST_200600_302600_NS6detail15normal_iteratorINS9_10device_ptrIsEEEESE_SE_iNS9_4plusIvEENS9_8equal_toIvEEiEE10hipError_tPvRmT2_T3_T4_T5_mT6_T7_P12ihipStream_tbENKUlT_T0_E_clISt17integral_constantIbLb1EESY_IbLb0EEEEDaSU_SV_EUlSU_E_NS1_11comp_targetILNS1_3genE5ELNS1_11target_archE942ELNS1_3gpuE9ELNS1_3repE0EEENS1_30default_config_static_selectorELNS0_4arch9wavefront6targetE1EEEvT1_
    .private_segment_fixed_size: 0
    .sgpr_count:     90
    .sgpr_spill_count: 0
    .symbol:         _ZN7rocprim17ROCPRIM_400000_NS6detail17trampoline_kernelINS0_14default_configENS1_27scan_by_key_config_selectorIsiEEZZNS1_16scan_by_key_implILNS1_25lookback_scan_determinismE0ELb1ES3_N6thrust23THRUST_200600_302600_NS6detail15normal_iteratorINS9_10device_ptrIsEEEESE_SE_iNS9_4plusIvEENS9_8equal_toIvEEiEE10hipError_tPvRmT2_T3_T4_T5_mT6_T7_P12ihipStream_tbENKUlT_T0_E_clISt17integral_constantIbLb1EESY_IbLb0EEEEDaSU_SV_EUlSU_E_NS1_11comp_targetILNS1_3genE5ELNS1_11target_archE942ELNS1_3gpuE9ELNS1_3repE0EEENS1_30default_config_static_selectorELNS0_4arch9wavefront6targetE1EEEvT1_.kd
    .uniform_work_group_size: 1
    .uses_dynamic_stack: false
    .vgpr_count:     79
    .vgpr_spill_count: 0
    .wavefront_size: 64
  - .agpr_count:     0
    .args:
      - .offset:         0
        .size:           112
        .value_kind:     by_value
    .group_segment_fixed_size: 0
    .kernarg_segment_align: 8
    .kernarg_segment_size: 112
    .language:       OpenCL C
    .language_version:
      - 2
      - 0
    .max_flat_workgroup_size: 256
    .name:           _ZN7rocprim17ROCPRIM_400000_NS6detail17trampoline_kernelINS0_14default_configENS1_27scan_by_key_config_selectorIsiEEZZNS1_16scan_by_key_implILNS1_25lookback_scan_determinismE0ELb1ES3_N6thrust23THRUST_200600_302600_NS6detail15normal_iteratorINS9_10device_ptrIsEEEESE_SE_iNS9_4plusIvEENS9_8equal_toIvEEiEE10hipError_tPvRmT2_T3_T4_T5_mT6_T7_P12ihipStream_tbENKUlT_T0_E_clISt17integral_constantIbLb1EESY_IbLb0EEEEDaSU_SV_EUlSU_E_NS1_11comp_targetILNS1_3genE4ELNS1_11target_archE910ELNS1_3gpuE8ELNS1_3repE0EEENS1_30default_config_static_selectorELNS0_4arch9wavefront6targetE1EEEvT1_
    .private_segment_fixed_size: 0
    .sgpr_count:     6
    .sgpr_spill_count: 0
    .symbol:         _ZN7rocprim17ROCPRIM_400000_NS6detail17trampoline_kernelINS0_14default_configENS1_27scan_by_key_config_selectorIsiEEZZNS1_16scan_by_key_implILNS1_25lookback_scan_determinismE0ELb1ES3_N6thrust23THRUST_200600_302600_NS6detail15normal_iteratorINS9_10device_ptrIsEEEESE_SE_iNS9_4plusIvEENS9_8equal_toIvEEiEE10hipError_tPvRmT2_T3_T4_T5_mT6_T7_P12ihipStream_tbENKUlT_T0_E_clISt17integral_constantIbLb1EESY_IbLb0EEEEDaSU_SV_EUlSU_E_NS1_11comp_targetILNS1_3genE4ELNS1_11target_archE910ELNS1_3gpuE8ELNS1_3repE0EEENS1_30default_config_static_selectorELNS0_4arch9wavefront6targetE1EEEvT1_.kd
    .uniform_work_group_size: 1
    .uses_dynamic_stack: false
    .vgpr_count:     0
    .vgpr_spill_count: 0
    .wavefront_size: 64
  - .agpr_count:     0
    .args:
      - .offset:         0
        .size:           112
        .value_kind:     by_value
    .group_segment_fixed_size: 0
    .kernarg_segment_align: 8
    .kernarg_segment_size: 112
    .language:       OpenCL C
    .language_version:
      - 2
      - 0
    .max_flat_workgroup_size: 256
    .name:           _ZN7rocprim17ROCPRIM_400000_NS6detail17trampoline_kernelINS0_14default_configENS1_27scan_by_key_config_selectorIsiEEZZNS1_16scan_by_key_implILNS1_25lookback_scan_determinismE0ELb1ES3_N6thrust23THRUST_200600_302600_NS6detail15normal_iteratorINS9_10device_ptrIsEEEESE_SE_iNS9_4plusIvEENS9_8equal_toIvEEiEE10hipError_tPvRmT2_T3_T4_T5_mT6_T7_P12ihipStream_tbENKUlT_T0_E_clISt17integral_constantIbLb1EESY_IbLb0EEEEDaSU_SV_EUlSU_E_NS1_11comp_targetILNS1_3genE3ELNS1_11target_archE908ELNS1_3gpuE7ELNS1_3repE0EEENS1_30default_config_static_selectorELNS0_4arch9wavefront6targetE1EEEvT1_
    .private_segment_fixed_size: 0
    .sgpr_count:     6
    .sgpr_spill_count: 0
    .symbol:         _ZN7rocprim17ROCPRIM_400000_NS6detail17trampoline_kernelINS0_14default_configENS1_27scan_by_key_config_selectorIsiEEZZNS1_16scan_by_key_implILNS1_25lookback_scan_determinismE0ELb1ES3_N6thrust23THRUST_200600_302600_NS6detail15normal_iteratorINS9_10device_ptrIsEEEESE_SE_iNS9_4plusIvEENS9_8equal_toIvEEiEE10hipError_tPvRmT2_T3_T4_T5_mT6_T7_P12ihipStream_tbENKUlT_T0_E_clISt17integral_constantIbLb1EESY_IbLb0EEEEDaSU_SV_EUlSU_E_NS1_11comp_targetILNS1_3genE3ELNS1_11target_archE908ELNS1_3gpuE7ELNS1_3repE0EEENS1_30default_config_static_selectorELNS0_4arch9wavefront6targetE1EEEvT1_.kd
    .uniform_work_group_size: 1
    .uses_dynamic_stack: false
    .vgpr_count:     0
    .vgpr_spill_count: 0
    .wavefront_size: 64
  - .agpr_count:     0
    .args:
      - .offset:         0
        .size:           112
        .value_kind:     by_value
    .group_segment_fixed_size: 0
    .kernarg_segment_align: 8
    .kernarg_segment_size: 112
    .language:       OpenCL C
    .language_version:
      - 2
      - 0
    .max_flat_workgroup_size: 256
    .name:           _ZN7rocprim17ROCPRIM_400000_NS6detail17trampoline_kernelINS0_14default_configENS1_27scan_by_key_config_selectorIsiEEZZNS1_16scan_by_key_implILNS1_25lookback_scan_determinismE0ELb1ES3_N6thrust23THRUST_200600_302600_NS6detail15normal_iteratorINS9_10device_ptrIsEEEESE_SE_iNS9_4plusIvEENS9_8equal_toIvEEiEE10hipError_tPvRmT2_T3_T4_T5_mT6_T7_P12ihipStream_tbENKUlT_T0_E_clISt17integral_constantIbLb1EESY_IbLb0EEEEDaSU_SV_EUlSU_E_NS1_11comp_targetILNS1_3genE2ELNS1_11target_archE906ELNS1_3gpuE6ELNS1_3repE0EEENS1_30default_config_static_selectorELNS0_4arch9wavefront6targetE1EEEvT1_
    .private_segment_fixed_size: 0
    .sgpr_count:     6
    .sgpr_spill_count: 0
    .symbol:         _ZN7rocprim17ROCPRIM_400000_NS6detail17trampoline_kernelINS0_14default_configENS1_27scan_by_key_config_selectorIsiEEZZNS1_16scan_by_key_implILNS1_25lookback_scan_determinismE0ELb1ES3_N6thrust23THRUST_200600_302600_NS6detail15normal_iteratorINS9_10device_ptrIsEEEESE_SE_iNS9_4plusIvEENS9_8equal_toIvEEiEE10hipError_tPvRmT2_T3_T4_T5_mT6_T7_P12ihipStream_tbENKUlT_T0_E_clISt17integral_constantIbLb1EESY_IbLb0EEEEDaSU_SV_EUlSU_E_NS1_11comp_targetILNS1_3genE2ELNS1_11target_archE906ELNS1_3gpuE6ELNS1_3repE0EEENS1_30default_config_static_selectorELNS0_4arch9wavefront6targetE1EEEvT1_.kd
    .uniform_work_group_size: 1
    .uses_dynamic_stack: false
    .vgpr_count:     0
    .vgpr_spill_count: 0
    .wavefront_size: 64
  - .agpr_count:     0
    .args:
      - .offset:         0
        .size:           112
        .value_kind:     by_value
    .group_segment_fixed_size: 0
    .kernarg_segment_align: 8
    .kernarg_segment_size: 112
    .language:       OpenCL C
    .language_version:
      - 2
      - 0
    .max_flat_workgroup_size: 256
    .name:           _ZN7rocprim17ROCPRIM_400000_NS6detail17trampoline_kernelINS0_14default_configENS1_27scan_by_key_config_selectorIsiEEZZNS1_16scan_by_key_implILNS1_25lookback_scan_determinismE0ELb1ES3_N6thrust23THRUST_200600_302600_NS6detail15normal_iteratorINS9_10device_ptrIsEEEESE_SE_iNS9_4plusIvEENS9_8equal_toIvEEiEE10hipError_tPvRmT2_T3_T4_T5_mT6_T7_P12ihipStream_tbENKUlT_T0_E_clISt17integral_constantIbLb1EESY_IbLb0EEEEDaSU_SV_EUlSU_E_NS1_11comp_targetILNS1_3genE10ELNS1_11target_archE1200ELNS1_3gpuE4ELNS1_3repE0EEENS1_30default_config_static_selectorELNS0_4arch9wavefront6targetE1EEEvT1_
    .private_segment_fixed_size: 0
    .sgpr_count:     6
    .sgpr_spill_count: 0
    .symbol:         _ZN7rocprim17ROCPRIM_400000_NS6detail17trampoline_kernelINS0_14default_configENS1_27scan_by_key_config_selectorIsiEEZZNS1_16scan_by_key_implILNS1_25lookback_scan_determinismE0ELb1ES3_N6thrust23THRUST_200600_302600_NS6detail15normal_iteratorINS9_10device_ptrIsEEEESE_SE_iNS9_4plusIvEENS9_8equal_toIvEEiEE10hipError_tPvRmT2_T3_T4_T5_mT6_T7_P12ihipStream_tbENKUlT_T0_E_clISt17integral_constantIbLb1EESY_IbLb0EEEEDaSU_SV_EUlSU_E_NS1_11comp_targetILNS1_3genE10ELNS1_11target_archE1200ELNS1_3gpuE4ELNS1_3repE0EEENS1_30default_config_static_selectorELNS0_4arch9wavefront6targetE1EEEvT1_.kd
    .uniform_work_group_size: 1
    .uses_dynamic_stack: false
    .vgpr_count:     0
    .vgpr_spill_count: 0
    .wavefront_size: 64
  - .agpr_count:     0
    .args:
      - .offset:         0
        .size:           112
        .value_kind:     by_value
    .group_segment_fixed_size: 0
    .kernarg_segment_align: 8
    .kernarg_segment_size: 112
    .language:       OpenCL C
    .language_version:
      - 2
      - 0
    .max_flat_workgroup_size: 256
    .name:           _ZN7rocprim17ROCPRIM_400000_NS6detail17trampoline_kernelINS0_14default_configENS1_27scan_by_key_config_selectorIsiEEZZNS1_16scan_by_key_implILNS1_25lookback_scan_determinismE0ELb1ES3_N6thrust23THRUST_200600_302600_NS6detail15normal_iteratorINS9_10device_ptrIsEEEESE_SE_iNS9_4plusIvEENS9_8equal_toIvEEiEE10hipError_tPvRmT2_T3_T4_T5_mT6_T7_P12ihipStream_tbENKUlT_T0_E_clISt17integral_constantIbLb1EESY_IbLb0EEEEDaSU_SV_EUlSU_E_NS1_11comp_targetILNS1_3genE9ELNS1_11target_archE1100ELNS1_3gpuE3ELNS1_3repE0EEENS1_30default_config_static_selectorELNS0_4arch9wavefront6targetE1EEEvT1_
    .private_segment_fixed_size: 0
    .sgpr_count:     6
    .sgpr_spill_count: 0
    .symbol:         _ZN7rocprim17ROCPRIM_400000_NS6detail17trampoline_kernelINS0_14default_configENS1_27scan_by_key_config_selectorIsiEEZZNS1_16scan_by_key_implILNS1_25lookback_scan_determinismE0ELb1ES3_N6thrust23THRUST_200600_302600_NS6detail15normal_iteratorINS9_10device_ptrIsEEEESE_SE_iNS9_4plusIvEENS9_8equal_toIvEEiEE10hipError_tPvRmT2_T3_T4_T5_mT6_T7_P12ihipStream_tbENKUlT_T0_E_clISt17integral_constantIbLb1EESY_IbLb0EEEEDaSU_SV_EUlSU_E_NS1_11comp_targetILNS1_3genE9ELNS1_11target_archE1100ELNS1_3gpuE3ELNS1_3repE0EEENS1_30default_config_static_selectorELNS0_4arch9wavefront6targetE1EEEvT1_.kd
    .uniform_work_group_size: 1
    .uses_dynamic_stack: false
    .vgpr_count:     0
    .vgpr_spill_count: 0
    .wavefront_size: 64
  - .agpr_count:     0
    .args:
      - .offset:         0
        .size:           112
        .value_kind:     by_value
    .group_segment_fixed_size: 0
    .kernarg_segment_align: 8
    .kernarg_segment_size: 112
    .language:       OpenCL C
    .language_version:
      - 2
      - 0
    .max_flat_workgroup_size: 64
    .name:           _ZN7rocprim17ROCPRIM_400000_NS6detail17trampoline_kernelINS0_14default_configENS1_27scan_by_key_config_selectorIsiEEZZNS1_16scan_by_key_implILNS1_25lookback_scan_determinismE0ELb1ES3_N6thrust23THRUST_200600_302600_NS6detail15normal_iteratorINS9_10device_ptrIsEEEESE_SE_iNS9_4plusIvEENS9_8equal_toIvEEiEE10hipError_tPvRmT2_T3_T4_T5_mT6_T7_P12ihipStream_tbENKUlT_T0_E_clISt17integral_constantIbLb1EESY_IbLb0EEEEDaSU_SV_EUlSU_E_NS1_11comp_targetILNS1_3genE8ELNS1_11target_archE1030ELNS1_3gpuE2ELNS1_3repE0EEENS1_30default_config_static_selectorELNS0_4arch9wavefront6targetE1EEEvT1_
    .private_segment_fixed_size: 0
    .sgpr_count:     6
    .sgpr_spill_count: 0
    .symbol:         _ZN7rocprim17ROCPRIM_400000_NS6detail17trampoline_kernelINS0_14default_configENS1_27scan_by_key_config_selectorIsiEEZZNS1_16scan_by_key_implILNS1_25lookback_scan_determinismE0ELb1ES3_N6thrust23THRUST_200600_302600_NS6detail15normal_iteratorINS9_10device_ptrIsEEEESE_SE_iNS9_4plusIvEENS9_8equal_toIvEEiEE10hipError_tPvRmT2_T3_T4_T5_mT6_T7_P12ihipStream_tbENKUlT_T0_E_clISt17integral_constantIbLb1EESY_IbLb0EEEEDaSU_SV_EUlSU_E_NS1_11comp_targetILNS1_3genE8ELNS1_11target_archE1030ELNS1_3gpuE2ELNS1_3repE0EEENS1_30default_config_static_selectorELNS0_4arch9wavefront6targetE1EEEvT1_.kd
    .uniform_work_group_size: 1
    .uses_dynamic_stack: false
    .vgpr_count:     0
    .vgpr_spill_count: 0
    .wavefront_size: 64
  - .agpr_count:     0
    .args:
      - .address_space:  global
        .offset:         0
        .size:           8
        .value_kind:     global_buffer
      - .offset:         8
        .size:           4
        .value_kind:     by_value
      - .offset:         12
        .size:           4
        .value_kind:     by_value
      - .address_space:  global
        .offset:         16
        .size:           8
        .value_kind:     global_buffer
      - .address_space:  global
        .offset:         24
        .size:           8
        .value_kind:     global_buffer
      - .actual_access:  write_only
        .address_space:  global
        .offset:         32
        .size:           8
        .value_kind:     global_buffer
      - .offset:         40
        .size:           8
        .value_kind:     by_value
      - .offset:         48
        .size:           4
        .value_kind:     by_value
      - .address_space:  global
        .offset:         56
        .size:           8
        .value_kind:     global_buffer
      - .offset:         64
        .size:           4
        .value_kind:     hidden_block_count_x
      - .offset:         68
        .size:           4
        .value_kind:     hidden_block_count_y
      - .offset:         72
        .size:           4
        .value_kind:     hidden_block_count_z
      - .offset:         76
        .size:           2
        .value_kind:     hidden_group_size_x
      - .offset:         78
        .size:           2
        .value_kind:     hidden_group_size_y
      - .offset:         80
        .size:           2
        .value_kind:     hidden_group_size_z
      - .offset:         82
        .size:           2
        .value_kind:     hidden_remainder_x
      - .offset:         84
        .size:           2
        .value_kind:     hidden_remainder_y
      - .offset:         86
        .size:           2
        .value_kind:     hidden_remainder_z
      - .offset:         104
        .size:           8
        .value_kind:     hidden_global_offset_x
      - .offset:         112
        .size:           8
        .value_kind:     hidden_global_offset_y
      - .offset:         120
        .size:           8
        .value_kind:     hidden_global_offset_z
      - .offset:         128
        .size:           2
        .value_kind:     hidden_grid_dims
    .group_segment_fixed_size: 0
    .kernarg_segment_align: 8
    .kernarg_segment_size: 320
    .language:       OpenCL C
    .language_version:
      - 2
      - 0
    .max_flat_workgroup_size: 256
    .name:           _ZN7rocprim17ROCPRIM_400000_NS6detail30init_device_scan_by_key_kernelINS1_19lookback_scan_stateINS0_5tupleIJibEEELb0ELb1EEEN6thrust23THRUST_200600_302600_NS6detail15normal_iteratorINS8_10device_ptrIsEEEEjNS1_16block_id_wrapperIjLb1EEEEEvT_jjPNSG_10value_typeET0_PNSt15iterator_traitsISJ_E10value_typeEmT1_T2_
    .private_segment_fixed_size: 0
    .sgpr_count:     26
    .sgpr_spill_count: 0
    .symbol:         _ZN7rocprim17ROCPRIM_400000_NS6detail30init_device_scan_by_key_kernelINS1_19lookback_scan_stateINS0_5tupleIJibEEELb0ELb1EEEN6thrust23THRUST_200600_302600_NS6detail15normal_iteratorINS8_10device_ptrIsEEEEjNS1_16block_id_wrapperIjLb1EEEEEvT_jjPNSG_10value_typeET0_PNSt15iterator_traitsISJ_E10value_typeEmT1_T2_.kd
    .uniform_work_group_size: 1
    .uses_dynamic_stack: false
    .vgpr_count:     10
    .vgpr_spill_count: 0
    .wavefront_size: 64
  - .agpr_count:     0
    .args:
      - .offset:         0
        .size:           112
        .value_kind:     by_value
    .group_segment_fixed_size: 0
    .kernarg_segment_align: 8
    .kernarg_segment_size: 112
    .language:       OpenCL C
    .language_version:
      - 2
      - 0
    .max_flat_workgroup_size: 256
    .name:           _ZN7rocprim17ROCPRIM_400000_NS6detail17trampoline_kernelINS0_14default_configENS1_27scan_by_key_config_selectorIsiEEZZNS1_16scan_by_key_implILNS1_25lookback_scan_determinismE0ELb1ES3_N6thrust23THRUST_200600_302600_NS6detail15normal_iteratorINS9_10device_ptrIsEEEESE_SE_iNS9_4plusIvEENS9_8equal_toIvEEiEE10hipError_tPvRmT2_T3_T4_T5_mT6_T7_P12ihipStream_tbENKUlT_T0_E_clISt17integral_constantIbLb0EESY_IbLb1EEEEDaSU_SV_EUlSU_E_NS1_11comp_targetILNS1_3genE0ELNS1_11target_archE4294967295ELNS1_3gpuE0ELNS1_3repE0EEENS1_30default_config_static_selectorELNS0_4arch9wavefront6targetE1EEEvT1_
    .private_segment_fixed_size: 0
    .sgpr_count:     6
    .sgpr_spill_count: 0
    .symbol:         _ZN7rocprim17ROCPRIM_400000_NS6detail17trampoline_kernelINS0_14default_configENS1_27scan_by_key_config_selectorIsiEEZZNS1_16scan_by_key_implILNS1_25lookback_scan_determinismE0ELb1ES3_N6thrust23THRUST_200600_302600_NS6detail15normal_iteratorINS9_10device_ptrIsEEEESE_SE_iNS9_4plusIvEENS9_8equal_toIvEEiEE10hipError_tPvRmT2_T3_T4_T5_mT6_T7_P12ihipStream_tbENKUlT_T0_E_clISt17integral_constantIbLb0EESY_IbLb1EEEEDaSU_SV_EUlSU_E_NS1_11comp_targetILNS1_3genE0ELNS1_11target_archE4294967295ELNS1_3gpuE0ELNS1_3repE0EEENS1_30default_config_static_selectorELNS0_4arch9wavefront6targetE1EEEvT1_.kd
    .uniform_work_group_size: 1
    .uses_dynamic_stack: false
    .vgpr_count:     0
    .vgpr_spill_count: 0
    .wavefront_size: 64
  - .agpr_count:     0
    .args:
      - .offset:         0
        .size:           112
        .value_kind:     by_value
    .group_segment_fixed_size: 0
    .kernarg_segment_align: 8
    .kernarg_segment_size: 112
    .language:       OpenCL C
    .language_version:
      - 2
      - 0
    .max_flat_workgroup_size: 256
    .name:           _ZN7rocprim17ROCPRIM_400000_NS6detail17trampoline_kernelINS0_14default_configENS1_27scan_by_key_config_selectorIsiEEZZNS1_16scan_by_key_implILNS1_25lookback_scan_determinismE0ELb1ES3_N6thrust23THRUST_200600_302600_NS6detail15normal_iteratorINS9_10device_ptrIsEEEESE_SE_iNS9_4plusIvEENS9_8equal_toIvEEiEE10hipError_tPvRmT2_T3_T4_T5_mT6_T7_P12ihipStream_tbENKUlT_T0_E_clISt17integral_constantIbLb0EESY_IbLb1EEEEDaSU_SV_EUlSU_E_NS1_11comp_targetILNS1_3genE10ELNS1_11target_archE1201ELNS1_3gpuE5ELNS1_3repE0EEENS1_30default_config_static_selectorELNS0_4arch9wavefront6targetE1EEEvT1_
    .private_segment_fixed_size: 0
    .sgpr_count:     6
    .sgpr_spill_count: 0
    .symbol:         _ZN7rocprim17ROCPRIM_400000_NS6detail17trampoline_kernelINS0_14default_configENS1_27scan_by_key_config_selectorIsiEEZZNS1_16scan_by_key_implILNS1_25lookback_scan_determinismE0ELb1ES3_N6thrust23THRUST_200600_302600_NS6detail15normal_iteratorINS9_10device_ptrIsEEEESE_SE_iNS9_4plusIvEENS9_8equal_toIvEEiEE10hipError_tPvRmT2_T3_T4_T5_mT6_T7_P12ihipStream_tbENKUlT_T0_E_clISt17integral_constantIbLb0EESY_IbLb1EEEEDaSU_SV_EUlSU_E_NS1_11comp_targetILNS1_3genE10ELNS1_11target_archE1201ELNS1_3gpuE5ELNS1_3repE0EEENS1_30default_config_static_selectorELNS0_4arch9wavefront6targetE1EEEvT1_.kd
    .uniform_work_group_size: 1
    .uses_dynamic_stack: false
    .vgpr_count:     0
    .vgpr_spill_count: 0
    .wavefront_size: 64
  - .agpr_count:     0
    .args:
      - .offset:         0
        .size:           112
        .value_kind:     by_value
    .group_segment_fixed_size: 21504
    .kernarg_segment_align: 8
    .kernarg_segment_size: 112
    .language:       OpenCL C
    .language_version:
      - 2
      - 0
    .max_flat_workgroup_size: 256
    .name:           _ZN7rocprim17ROCPRIM_400000_NS6detail17trampoline_kernelINS0_14default_configENS1_27scan_by_key_config_selectorIsiEEZZNS1_16scan_by_key_implILNS1_25lookback_scan_determinismE0ELb1ES3_N6thrust23THRUST_200600_302600_NS6detail15normal_iteratorINS9_10device_ptrIsEEEESE_SE_iNS9_4plusIvEENS9_8equal_toIvEEiEE10hipError_tPvRmT2_T3_T4_T5_mT6_T7_P12ihipStream_tbENKUlT_T0_E_clISt17integral_constantIbLb0EESY_IbLb1EEEEDaSU_SV_EUlSU_E_NS1_11comp_targetILNS1_3genE5ELNS1_11target_archE942ELNS1_3gpuE9ELNS1_3repE0EEENS1_30default_config_static_selectorELNS0_4arch9wavefront6targetE1EEEvT1_
    .private_segment_fixed_size: 0
    .sgpr_count:     82
    .sgpr_spill_count: 0
    .symbol:         _ZN7rocprim17ROCPRIM_400000_NS6detail17trampoline_kernelINS0_14default_configENS1_27scan_by_key_config_selectorIsiEEZZNS1_16scan_by_key_implILNS1_25lookback_scan_determinismE0ELb1ES3_N6thrust23THRUST_200600_302600_NS6detail15normal_iteratorINS9_10device_ptrIsEEEESE_SE_iNS9_4plusIvEENS9_8equal_toIvEEiEE10hipError_tPvRmT2_T3_T4_T5_mT6_T7_P12ihipStream_tbENKUlT_T0_E_clISt17integral_constantIbLb0EESY_IbLb1EEEEDaSU_SV_EUlSU_E_NS1_11comp_targetILNS1_3genE5ELNS1_11target_archE942ELNS1_3gpuE9ELNS1_3repE0EEENS1_30default_config_static_selectorELNS0_4arch9wavefront6targetE1EEEvT1_.kd
    .uniform_work_group_size: 1
    .uses_dynamic_stack: false
    .vgpr_count:     81
    .vgpr_spill_count: 0
    .wavefront_size: 64
  - .agpr_count:     0
    .args:
      - .offset:         0
        .size:           112
        .value_kind:     by_value
    .group_segment_fixed_size: 0
    .kernarg_segment_align: 8
    .kernarg_segment_size: 112
    .language:       OpenCL C
    .language_version:
      - 2
      - 0
    .max_flat_workgroup_size: 256
    .name:           _ZN7rocprim17ROCPRIM_400000_NS6detail17trampoline_kernelINS0_14default_configENS1_27scan_by_key_config_selectorIsiEEZZNS1_16scan_by_key_implILNS1_25lookback_scan_determinismE0ELb1ES3_N6thrust23THRUST_200600_302600_NS6detail15normal_iteratorINS9_10device_ptrIsEEEESE_SE_iNS9_4plusIvEENS9_8equal_toIvEEiEE10hipError_tPvRmT2_T3_T4_T5_mT6_T7_P12ihipStream_tbENKUlT_T0_E_clISt17integral_constantIbLb0EESY_IbLb1EEEEDaSU_SV_EUlSU_E_NS1_11comp_targetILNS1_3genE4ELNS1_11target_archE910ELNS1_3gpuE8ELNS1_3repE0EEENS1_30default_config_static_selectorELNS0_4arch9wavefront6targetE1EEEvT1_
    .private_segment_fixed_size: 0
    .sgpr_count:     6
    .sgpr_spill_count: 0
    .symbol:         _ZN7rocprim17ROCPRIM_400000_NS6detail17trampoline_kernelINS0_14default_configENS1_27scan_by_key_config_selectorIsiEEZZNS1_16scan_by_key_implILNS1_25lookback_scan_determinismE0ELb1ES3_N6thrust23THRUST_200600_302600_NS6detail15normal_iteratorINS9_10device_ptrIsEEEESE_SE_iNS9_4plusIvEENS9_8equal_toIvEEiEE10hipError_tPvRmT2_T3_T4_T5_mT6_T7_P12ihipStream_tbENKUlT_T0_E_clISt17integral_constantIbLb0EESY_IbLb1EEEEDaSU_SV_EUlSU_E_NS1_11comp_targetILNS1_3genE4ELNS1_11target_archE910ELNS1_3gpuE8ELNS1_3repE0EEENS1_30default_config_static_selectorELNS0_4arch9wavefront6targetE1EEEvT1_.kd
    .uniform_work_group_size: 1
    .uses_dynamic_stack: false
    .vgpr_count:     0
    .vgpr_spill_count: 0
    .wavefront_size: 64
  - .agpr_count:     0
    .args:
      - .offset:         0
        .size:           112
        .value_kind:     by_value
    .group_segment_fixed_size: 0
    .kernarg_segment_align: 8
    .kernarg_segment_size: 112
    .language:       OpenCL C
    .language_version:
      - 2
      - 0
    .max_flat_workgroup_size: 256
    .name:           _ZN7rocprim17ROCPRIM_400000_NS6detail17trampoline_kernelINS0_14default_configENS1_27scan_by_key_config_selectorIsiEEZZNS1_16scan_by_key_implILNS1_25lookback_scan_determinismE0ELb1ES3_N6thrust23THRUST_200600_302600_NS6detail15normal_iteratorINS9_10device_ptrIsEEEESE_SE_iNS9_4plusIvEENS9_8equal_toIvEEiEE10hipError_tPvRmT2_T3_T4_T5_mT6_T7_P12ihipStream_tbENKUlT_T0_E_clISt17integral_constantIbLb0EESY_IbLb1EEEEDaSU_SV_EUlSU_E_NS1_11comp_targetILNS1_3genE3ELNS1_11target_archE908ELNS1_3gpuE7ELNS1_3repE0EEENS1_30default_config_static_selectorELNS0_4arch9wavefront6targetE1EEEvT1_
    .private_segment_fixed_size: 0
    .sgpr_count:     6
    .sgpr_spill_count: 0
    .symbol:         _ZN7rocprim17ROCPRIM_400000_NS6detail17trampoline_kernelINS0_14default_configENS1_27scan_by_key_config_selectorIsiEEZZNS1_16scan_by_key_implILNS1_25lookback_scan_determinismE0ELb1ES3_N6thrust23THRUST_200600_302600_NS6detail15normal_iteratorINS9_10device_ptrIsEEEESE_SE_iNS9_4plusIvEENS9_8equal_toIvEEiEE10hipError_tPvRmT2_T3_T4_T5_mT6_T7_P12ihipStream_tbENKUlT_T0_E_clISt17integral_constantIbLb0EESY_IbLb1EEEEDaSU_SV_EUlSU_E_NS1_11comp_targetILNS1_3genE3ELNS1_11target_archE908ELNS1_3gpuE7ELNS1_3repE0EEENS1_30default_config_static_selectorELNS0_4arch9wavefront6targetE1EEEvT1_.kd
    .uniform_work_group_size: 1
    .uses_dynamic_stack: false
    .vgpr_count:     0
    .vgpr_spill_count: 0
    .wavefront_size: 64
  - .agpr_count:     0
    .args:
      - .offset:         0
        .size:           112
        .value_kind:     by_value
    .group_segment_fixed_size: 0
    .kernarg_segment_align: 8
    .kernarg_segment_size: 112
    .language:       OpenCL C
    .language_version:
      - 2
      - 0
    .max_flat_workgroup_size: 256
    .name:           _ZN7rocprim17ROCPRIM_400000_NS6detail17trampoline_kernelINS0_14default_configENS1_27scan_by_key_config_selectorIsiEEZZNS1_16scan_by_key_implILNS1_25lookback_scan_determinismE0ELb1ES3_N6thrust23THRUST_200600_302600_NS6detail15normal_iteratorINS9_10device_ptrIsEEEESE_SE_iNS9_4plusIvEENS9_8equal_toIvEEiEE10hipError_tPvRmT2_T3_T4_T5_mT6_T7_P12ihipStream_tbENKUlT_T0_E_clISt17integral_constantIbLb0EESY_IbLb1EEEEDaSU_SV_EUlSU_E_NS1_11comp_targetILNS1_3genE2ELNS1_11target_archE906ELNS1_3gpuE6ELNS1_3repE0EEENS1_30default_config_static_selectorELNS0_4arch9wavefront6targetE1EEEvT1_
    .private_segment_fixed_size: 0
    .sgpr_count:     6
    .sgpr_spill_count: 0
    .symbol:         _ZN7rocprim17ROCPRIM_400000_NS6detail17trampoline_kernelINS0_14default_configENS1_27scan_by_key_config_selectorIsiEEZZNS1_16scan_by_key_implILNS1_25lookback_scan_determinismE0ELb1ES3_N6thrust23THRUST_200600_302600_NS6detail15normal_iteratorINS9_10device_ptrIsEEEESE_SE_iNS9_4plusIvEENS9_8equal_toIvEEiEE10hipError_tPvRmT2_T3_T4_T5_mT6_T7_P12ihipStream_tbENKUlT_T0_E_clISt17integral_constantIbLb0EESY_IbLb1EEEEDaSU_SV_EUlSU_E_NS1_11comp_targetILNS1_3genE2ELNS1_11target_archE906ELNS1_3gpuE6ELNS1_3repE0EEENS1_30default_config_static_selectorELNS0_4arch9wavefront6targetE1EEEvT1_.kd
    .uniform_work_group_size: 1
    .uses_dynamic_stack: false
    .vgpr_count:     0
    .vgpr_spill_count: 0
    .wavefront_size: 64
  - .agpr_count:     0
    .args:
      - .offset:         0
        .size:           112
        .value_kind:     by_value
    .group_segment_fixed_size: 0
    .kernarg_segment_align: 8
    .kernarg_segment_size: 112
    .language:       OpenCL C
    .language_version:
      - 2
      - 0
    .max_flat_workgroup_size: 256
    .name:           _ZN7rocprim17ROCPRIM_400000_NS6detail17trampoline_kernelINS0_14default_configENS1_27scan_by_key_config_selectorIsiEEZZNS1_16scan_by_key_implILNS1_25lookback_scan_determinismE0ELb1ES3_N6thrust23THRUST_200600_302600_NS6detail15normal_iteratorINS9_10device_ptrIsEEEESE_SE_iNS9_4plusIvEENS9_8equal_toIvEEiEE10hipError_tPvRmT2_T3_T4_T5_mT6_T7_P12ihipStream_tbENKUlT_T0_E_clISt17integral_constantIbLb0EESY_IbLb1EEEEDaSU_SV_EUlSU_E_NS1_11comp_targetILNS1_3genE10ELNS1_11target_archE1200ELNS1_3gpuE4ELNS1_3repE0EEENS1_30default_config_static_selectorELNS0_4arch9wavefront6targetE1EEEvT1_
    .private_segment_fixed_size: 0
    .sgpr_count:     6
    .sgpr_spill_count: 0
    .symbol:         _ZN7rocprim17ROCPRIM_400000_NS6detail17trampoline_kernelINS0_14default_configENS1_27scan_by_key_config_selectorIsiEEZZNS1_16scan_by_key_implILNS1_25lookback_scan_determinismE0ELb1ES3_N6thrust23THRUST_200600_302600_NS6detail15normal_iteratorINS9_10device_ptrIsEEEESE_SE_iNS9_4plusIvEENS9_8equal_toIvEEiEE10hipError_tPvRmT2_T3_T4_T5_mT6_T7_P12ihipStream_tbENKUlT_T0_E_clISt17integral_constantIbLb0EESY_IbLb1EEEEDaSU_SV_EUlSU_E_NS1_11comp_targetILNS1_3genE10ELNS1_11target_archE1200ELNS1_3gpuE4ELNS1_3repE0EEENS1_30default_config_static_selectorELNS0_4arch9wavefront6targetE1EEEvT1_.kd
    .uniform_work_group_size: 1
    .uses_dynamic_stack: false
    .vgpr_count:     0
    .vgpr_spill_count: 0
    .wavefront_size: 64
  - .agpr_count:     0
    .args:
      - .offset:         0
        .size:           112
        .value_kind:     by_value
    .group_segment_fixed_size: 0
    .kernarg_segment_align: 8
    .kernarg_segment_size: 112
    .language:       OpenCL C
    .language_version:
      - 2
      - 0
    .max_flat_workgroup_size: 256
    .name:           _ZN7rocprim17ROCPRIM_400000_NS6detail17trampoline_kernelINS0_14default_configENS1_27scan_by_key_config_selectorIsiEEZZNS1_16scan_by_key_implILNS1_25lookback_scan_determinismE0ELb1ES3_N6thrust23THRUST_200600_302600_NS6detail15normal_iteratorINS9_10device_ptrIsEEEESE_SE_iNS9_4plusIvEENS9_8equal_toIvEEiEE10hipError_tPvRmT2_T3_T4_T5_mT6_T7_P12ihipStream_tbENKUlT_T0_E_clISt17integral_constantIbLb0EESY_IbLb1EEEEDaSU_SV_EUlSU_E_NS1_11comp_targetILNS1_3genE9ELNS1_11target_archE1100ELNS1_3gpuE3ELNS1_3repE0EEENS1_30default_config_static_selectorELNS0_4arch9wavefront6targetE1EEEvT1_
    .private_segment_fixed_size: 0
    .sgpr_count:     6
    .sgpr_spill_count: 0
    .symbol:         _ZN7rocprim17ROCPRIM_400000_NS6detail17trampoline_kernelINS0_14default_configENS1_27scan_by_key_config_selectorIsiEEZZNS1_16scan_by_key_implILNS1_25lookback_scan_determinismE0ELb1ES3_N6thrust23THRUST_200600_302600_NS6detail15normal_iteratorINS9_10device_ptrIsEEEESE_SE_iNS9_4plusIvEENS9_8equal_toIvEEiEE10hipError_tPvRmT2_T3_T4_T5_mT6_T7_P12ihipStream_tbENKUlT_T0_E_clISt17integral_constantIbLb0EESY_IbLb1EEEEDaSU_SV_EUlSU_E_NS1_11comp_targetILNS1_3genE9ELNS1_11target_archE1100ELNS1_3gpuE3ELNS1_3repE0EEENS1_30default_config_static_selectorELNS0_4arch9wavefront6targetE1EEEvT1_.kd
    .uniform_work_group_size: 1
    .uses_dynamic_stack: false
    .vgpr_count:     0
    .vgpr_spill_count: 0
    .wavefront_size: 64
  - .agpr_count:     0
    .args:
      - .offset:         0
        .size:           112
        .value_kind:     by_value
    .group_segment_fixed_size: 0
    .kernarg_segment_align: 8
    .kernarg_segment_size: 112
    .language:       OpenCL C
    .language_version:
      - 2
      - 0
    .max_flat_workgroup_size: 64
    .name:           _ZN7rocprim17ROCPRIM_400000_NS6detail17trampoline_kernelINS0_14default_configENS1_27scan_by_key_config_selectorIsiEEZZNS1_16scan_by_key_implILNS1_25lookback_scan_determinismE0ELb1ES3_N6thrust23THRUST_200600_302600_NS6detail15normal_iteratorINS9_10device_ptrIsEEEESE_SE_iNS9_4plusIvEENS9_8equal_toIvEEiEE10hipError_tPvRmT2_T3_T4_T5_mT6_T7_P12ihipStream_tbENKUlT_T0_E_clISt17integral_constantIbLb0EESY_IbLb1EEEEDaSU_SV_EUlSU_E_NS1_11comp_targetILNS1_3genE8ELNS1_11target_archE1030ELNS1_3gpuE2ELNS1_3repE0EEENS1_30default_config_static_selectorELNS0_4arch9wavefront6targetE1EEEvT1_
    .private_segment_fixed_size: 0
    .sgpr_count:     6
    .sgpr_spill_count: 0
    .symbol:         _ZN7rocprim17ROCPRIM_400000_NS6detail17trampoline_kernelINS0_14default_configENS1_27scan_by_key_config_selectorIsiEEZZNS1_16scan_by_key_implILNS1_25lookback_scan_determinismE0ELb1ES3_N6thrust23THRUST_200600_302600_NS6detail15normal_iteratorINS9_10device_ptrIsEEEESE_SE_iNS9_4plusIvEENS9_8equal_toIvEEiEE10hipError_tPvRmT2_T3_T4_T5_mT6_T7_P12ihipStream_tbENKUlT_T0_E_clISt17integral_constantIbLb0EESY_IbLb1EEEEDaSU_SV_EUlSU_E_NS1_11comp_targetILNS1_3genE8ELNS1_11target_archE1030ELNS1_3gpuE2ELNS1_3repE0EEENS1_30default_config_static_selectorELNS0_4arch9wavefront6targetE1EEEvT1_.kd
    .uniform_work_group_size: 1
    .uses_dynamic_stack: false
    .vgpr_count:     0
    .vgpr_spill_count: 0
    .wavefront_size: 64
  - .agpr_count:     0
    .args:
      - .offset:         0
        .size:           24
        .value_kind:     by_value
      - .offset:         24
        .size:           8
        .value_kind:     by_value
      - .offset:         32
        .size:           8
        .value_kind:     by_value
    .group_segment_fixed_size: 0
    .kernarg_segment_align: 8
    .kernarg_segment_size: 40
    .language:       OpenCL C
    .language_version:
      - 2
      - 0
    .max_flat_workgroup_size: 256
    .name:           _ZN6thrust23THRUST_200600_302600_NS11hip_rocprim14__parallel_for6kernelILj256ENS1_11__transform17unary_transform_fINS0_7pointerIiNS1_3tagENS0_11use_defaultES8_EENS0_10device_ptrIdEENS4_14no_stencil_tagENS0_8identityIiEENS4_21always_true_predicateEEElLj1EEEvT0_T1_SI_
    .private_segment_fixed_size: 0
    .sgpr_count:     18
    .sgpr_spill_count: 0
    .symbol:         _ZN6thrust23THRUST_200600_302600_NS11hip_rocprim14__parallel_for6kernelILj256ENS1_11__transform17unary_transform_fINS0_7pointerIiNS1_3tagENS0_11use_defaultES8_EENS0_10device_ptrIdEENS4_14no_stencil_tagENS0_8identityIiEENS4_21always_true_predicateEEElLj1EEEvT0_T1_SI_.kd
    .uniform_work_group_size: 1
    .uses_dynamic_stack: false
    .vgpr_count:     6
    .vgpr_spill_count: 0
    .wavefront_size: 64
  - .agpr_count:     0
    .args:
      - .offset:         0
        .size:           16
        .value_kind:     by_value
      - .offset:         16
        .size:           8
        .value_kind:     by_value
      - .offset:         24
        .size:           8
        .value_kind:     by_value
    .group_segment_fixed_size: 0
    .kernarg_segment_align: 8
    .kernarg_segment_size: 32
    .language:       OpenCL C
    .language_version:
      - 2
      - 0
    .max_flat_workgroup_size: 256
    .name:           _ZN6thrust23THRUST_200600_302600_NS11hip_rocprim14__parallel_for6kernelILj256ENS1_20__uninitialized_fill7functorINS0_10device_ptrIdEEdEEmLj1EEEvT0_T1_SA_
    .private_segment_fixed_size: 0
    .sgpr_count:     18
    .sgpr_spill_count: 0
    .symbol:         _ZN6thrust23THRUST_200600_302600_NS11hip_rocprim14__parallel_for6kernelILj256ENS1_20__uninitialized_fill7functorINS0_10device_ptrIdEEdEEmLj1EEEvT0_T1_SA_.kd
    .uniform_work_group_size: 1
    .uses_dynamic_stack: false
    .vgpr_count:     4
    .vgpr_spill_count: 0
    .wavefront_size: 64
  - .agpr_count:     0
    .args:
      - .offset:         0
        .size:           24
        .value_kind:     by_value
      - .offset:         24
        .size:           4
        .value_kind:     by_value
      - .offset:         28
        .size:           4
        .value_kind:     by_value
      - .address_space:  global
        .offset:         32
        .size:           8
        .value_kind:     global_buffer
      - .address_space:  global
        .offset:         40
        .size:           8
        .value_kind:     global_buffer
      - .actual_access:  write_only
        .address_space:  global
        .offset:         48
        .size:           8
        .value_kind:     global_buffer
      - .offset:         56
        .size:           8
        .value_kind:     by_value
      - .offset:         64
        .size:           4
        .value_kind:     by_value
      - .offset:         68
        .size:           1
        .value_kind:     by_value
      - .offset:         72
        .size:           4
        .value_kind:     hidden_block_count_x
      - .offset:         76
        .size:           4
        .value_kind:     hidden_block_count_y
      - .offset:         80
        .size:           4
        .value_kind:     hidden_block_count_z
      - .offset:         84
        .size:           2
        .value_kind:     hidden_group_size_x
      - .offset:         86
        .size:           2
        .value_kind:     hidden_group_size_y
      - .offset:         88
        .size:           2
        .value_kind:     hidden_group_size_z
      - .offset:         90
        .size:           2
        .value_kind:     hidden_remainder_x
      - .offset:         92
        .size:           2
        .value_kind:     hidden_remainder_y
      - .offset:         94
        .size:           2
        .value_kind:     hidden_remainder_z
      - .offset:         112
        .size:           8
        .value_kind:     hidden_global_offset_x
      - .offset:         120
        .size:           8
        .value_kind:     hidden_global_offset_y
      - .offset:         128
        .size:           8
        .value_kind:     hidden_global_offset_z
      - .offset:         136
        .size:           2
        .value_kind:     hidden_grid_dims
    .group_segment_fixed_size: 0
    .kernarg_segment_align: 8
    .kernarg_segment_size: 328
    .language:       OpenCL C
    .language_version:
      - 2
      - 0
    .max_flat_workgroup_size: 256
    .name:           _ZN7rocprim17ROCPRIM_400000_NS6detail30init_device_scan_by_key_kernelINS1_19lookback_scan_stateINS0_5tupleIJdbEEELb0ELb0EEEN6thrust23THRUST_200600_302600_NS6detail15normal_iteratorINS8_10device_ptrIiEEEEjNS1_16block_id_wrapperIjLb0EEEEEvT_jjPNSG_10value_typeET0_PNSt15iterator_traitsISJ_E10value_typeEmT1_T2_
    .private_segment_fixed_size: 0
    .sgpr_count:     28
    .sgpr_spill_count: 0
    .symbol:         _ZN7rocprim17ROCPRIM_400000_NS6detail30init_device_scan_by_key_kernelINS1_19lookback_scan_stateINS0_5tupleIJdbEEELb0ELb0EEEN6thrust23THRUST_200600_302600_NS6detail15normal_iteratorINS8_10device_ptrIiEEEEjNS1_16block_id_wrapperIjLb0EEEEEvT_jjPNSG_10value_typeET0_PNSt15iterator_traitsISJ_E10value_typeEmT1_T2_.kd
    .uniform_work_group_size: 1
    .uses_dynamic_stack: false
    .vgpr_count:     7
    .vgpr_spill_count: 0
    .wavefront_size: 64
  - .agpr_count:     0
    .args:
      - .offset:         0
        .size:           24
        .value_kind:     by_value
      - .offset:         24
        .size:           4
        .value_kind:     by_value
      - .offset:         28
        .size:           4
        .value_kind:     by_value
      - .address_space:  global
        .offset:         32
        .size:           8
        .value_kind:     global_buffer
      - .offset:         40
        .size:           1
        .value_kind:     by_value
      - .offset:         48
        .size:           4
        .value_kind:     hidden_block_count_x
      - .offset:         52
        .size:           4
        .value_kind:     hidden_block_count_y
      - .offset:         56
        .size:           4
        .value_kind:     hidden_block_count_z
      - .offset:         60
        .size:           2
        .value_kind:     hidden_group_size_x
      - .offset:         62
        .size:           2
        .value_kind:     hidden_group_size_y
      - .offset:         64
        .size:           2
        .value_kind:     hidden_group_size_z
      - .offset:         66
        .size:           2
        .value_kind:     hidden_remainder_x
      - .offset:         68
        .size:           2
        .value_kind:     hidden_remainder_y
      - .offset:         70
        .size:           2
        .value_kind:     hidden_remainder_z
      - .offset:         88
        .size:           8
        .value_kind:     hidden_global_offset_x
      - .offset:         96
        .size:           8
        .value_kind:     hidden_global_offset_y
      - .offset:         104
        .size:           8
        .value_kind:     hidden_global_offset_z
      - .offset:         112
        .size:           2
        .value_kind:     hidden_grid_dims
    .group_segment_fixed_size: 0
    .kernarg_segment_align: 8
    .kernarg_segment_size: 304
    .language:       OpenCL C
    .language_version:
      - 2
      - 0
    .max_flat_workgroup_size: 256
    .name:           _ZN7rocprim17ROCPRIM_400000_NS6detail30init_device_scan_by_key_kernelINS1_19lookback_scan_stateINS0_5tupleIJdbEEELb0ELb0EEENS1_16block_id_wrapperIjLb0EEEEEvT_jjPNS9_10value_typeET0_
    .private_segment_fixed_size: 0
    .sgpr_count:     22
    .sgpr_spill_count: 0
    .symbol:         _ZN7rocprim17ROCPRIM_400000_NS6detail30init_device_scan_by_key_kernelINS1_19lookback_scan_stateINS0_5tupleIJdbEEELb0ELb0EEENS1_16block_id_wrapperIjLb0EEEEEvT_jjPNS9_10value_typeET0_.kd
    .uniform_work_group_size: 1
    .uses_dynamic_stack: false
    .vgpr_count:     6
    .vgpr_spill_count: 0
    .wavefront_size: 64
  - .agpr_count:     0
    .args:
      - .offset:         0
        .size:           136
        .value_kind:     by_value
    .group_segment_fixed_size: 0
    .kernarg_segment_align: 8
    .kernarg_segment_size: 136
    .language:       OpenCL C
    .language_version:
      - 2
      - 0
    .max_flat_workgroup_size: 128
    .name:           _ZN7rocprim17ROCPRIM_400000_NS6detail17trampoline_kernelINS0_14default_configENS1_27scan_by_key_config_selectorIidEEZZNS1_16scan_by_key_implILNS1_25lookback_scan_determinismE0ELb0ES3_N6thrust23THRUST_200600_302600_NS6detail15normal_iteratorINS9_10device_ptrIiEEEENSB_INSC_IdEEEESG_dNS9_4plusIvEENS9_8equal_toIvEEdEE10hipError_tPvRmT2_T3_T4_T5_mT6_T7_P12ihipStream_tbENKUlT_T0_E_clISt17integral_constantIbLb0EES11_EEDaSW_SX_EUlSW_E_NS1_11comp_targetILNS1_3genE0ELNS1_11target_archE4294967295ELNS1_3gpuE0ELNS1_3repE0EEENS1_30default_config_static_selectorELNS0_4arch9wavefront6targetE1EEEvT1_
    .private_segment_fixed_size: 0
    .sgpr_count:     6
    .sgpr_spill_count: 0
    .symbol:         _ZN7rocprim17ROCPRIM_400000_NS6detail17trampoline_kernelINS0_14default_configENS1_27scan_by_key_config_selectorIidEEZZNS1_16scan_by_key_implILNS1_25lookback_scan_determinismE0ELb0ES3_N6thrust23THRUST_200600_302600_NS6detail15normal_iteratorINS9_10device_ptrIiEEEENSB_INSC_IdEEEESG_dNS9_4plusIvEENS9_8equal_toIvEEdEE10hipError_tPvRmT2_T3_T4_T5_mT6_T7_P12ihipStream_tbENKUlT_T0_E_clISt17integral_constantIbLb0EES11_EEDaSW_SX_EUlSW_E_NS1_11comp_targetILNS1_3genE0ELNS1_11target_archE4294967295ELNS1_3gpuE0ELNS1_3repE0EEENS1_30default_config_static_selectorELNS0_4arch9wavefront6targetE1EEEvT1_.kd
    .uniform_work_group_size: 1
    .uses_dynamic_stack: false
    .vgpr_count:     0
    .vgpr_spill_count: 0
    .wavefront_size: 64
  - .agpr_count:     0
    .args:
      - .offset:         0
        .size:           136
        .value_kind:     by_value
    .group_segment_fixed_size: 0
    .kernarg_segment_align: 8
    .kernarg_segment_size: 136
    .language:       OpenCL C
    .language_version:
      - 2
      - 0
    .max_flat_workgroup_size: 256
    .name:           _ZN7rocprim17ROCPRIM_400000_NS6detail17trampoline_kernelINS0_14default_configENS1_27scan_by_key_config_selectorIidEEZZNS1_16scan_by_key_implILNS1_25lookback_scan_determinismE0ELb0ES3_N6thrust23THRUST_200600_302600_NS6detail15normal_iteratorINS9_10device_ptrIiEEEENSB_INSC_IdEEEESG_dNS9_4plusIvEENS9_8equal_toIvEEdEE10hipError_tPvRmT2_T3_T4_T5_mT6_T7_P12ihipStream_tbENKUlT_T0_E_clISt17integral_constantIbLb0EES11_EEDaSW_SX_EUlSW_E_NS1_11comp_targetILNS1_3genE10ELNS1_11target_archE1201ELNS1_3gpuE5ELNS1_3repE0EEENS1_30default_config_static_selectorELNS0_4arch9wavefront6targetE1EEEvT1_
    .private_segment_fixed_size: 0
    .sgpr_count:     6
    .sgpr_spill_count: 0
    .symbol:         _ZN7rocprim17ROCPRIM_400000_NS6detail17trampoline_kernelINS0_14default_configENS1_27scan_by_key_config_selectorIidEEZZNS1_16scan_by_key_implILNS1_25lookback_scan_determinismE0ELb0ES3_N6thrust23THRUST_200600_302600_NS6detail15normal_iteratorINS9_10device_ptrIiEEEENSB_INSC_IdEEEESG_dNS9_4plusIvEENS9_8equal_toIvEEdEE10hipError_tPvRmT2_T3_T4_T5_mT6_T7_P12ihipStream_tbENKUlT_T0_E_clISt17integral_constantIbLb0EES11_EEDaSW_SX_EUlSW_E_NS1_11comp_targetILNS1_3genE10ELNS1_11target_archE1201ELNS1_3gpuE5ELNS1_3repE0EEENS1_30default_config_static_selectorELNS0_4arch9wavefront6targetE1EEEvT1_.kd
    .uniform_work_group_size: 1
    .uses_dynamic_stack: false
    .vgpr_count:     0
    .vgpr_spill_count: 0
    .wavefront_size: 64
  - .agpr_count:     0
    .args:
      - .offset:         0
        .size:           136
        .value_kind:     by_value
    .group_segment_fixed_size: 43008
    .kernarg_segment_align: 8
    .kernarg_segment_size: 136
    .language:       OpenCL C
    .language_version:
      - 2
      - 0
    .max_flat_workgroup_size: 256
    .name:           _ZN7rocprim17ROCPRIM_400000_NS6detail17trampoline_kernelINS0_14default_configENS1_27scan_by_key_config_selectorIidEEZZNS1_16scan_by_key_implILNS1_25lookback_scan_determinismE0ELb0ES3_N6thrust23THRUST_200600_302600_NS6detail15normal_iteratorINS9_10device_ptrIiEEEENSB_INSC_IdEEEESG_dNS9_4plusIvEENS9_8equal_toIvEEdEE10hipError_tPvRmT2_T3_T4_T5_mT6_T7_P12ihipStream_tbENKUlT_T0_E_clISt17integral_constantIbLb0EES11_EEDaSW_SX_EUlSW_E_NS1_11comp_targetILNS1_3genE5ELNS1_11target_archE942ELNS1_3gpuE9ELNS1_3repE0EEENS1_30default_config_static_selectorELNS0_4arch9wavefront6targetE1EEEvT1_
    .private_segment_fixed_size: 0
    .sgpr_count:     106
    .sgpr_spill_count: 8
    .symbol:         _ZN7rocprim17ROCPRIM_400000_NS6detail17trampoline_kernelINS0_14default_configENS1_27scan_by_key_config_selectorIidEEZZNS1_16scan_by_key_implILNS1_25lookback_scan_determinismE0ELb0ES3_N6thrust23THRUST_200600_302600_NS6detail15normal_iteratorINS9_10device_ptrIiEEEENSB_INSC_IdEEEESG_dNS9_4plusIvEENS9_8equal_toIvEEdEE10hipError_tPvRmT2_T3_T4_T5_mT6_T7_P12ihipStream_tbENKUlT_T0_E_clISt17integral_constantIbLb0EES11_EEDaSW_SX_EUlSW_E_NS1_11comp_targetILNS1_3genE5ELNS1_11target_archE942ELNS1_3gpuE9ELNS1_3repE0EEENS1_30default_config_static_selectorELNS0_4arch9wavefront6targetE1EEEvT1_.kd
    .uniform_work_group_size: 1
    .uses_dynamic_stack: false
    .vgpr_count:     134
    .vgpr_spill_count: 0
    .wavefront_size: 64
  - .agpr_count:     0
    .args:
      - .offset:         0
        .size:           136
        .value_kind:     by_value
    .group_segment_fixed_size: 0
    .kernarg_segment_align: 8
    .kernarg_segment_size: 136
    .language:       OpenCL C
    .language_version:
      - 2
      - 0
    .max_flat_workgroup_size: 64
    .name:           _ZN7rocprim17ROCPRIM_400000_NS6detail17trampoline_kernelINS0_14default_configENS1_27scan_by_key_config_selectorIidEEZZNS1_16scan_by_key_implILNS1_25lookback_scan_determinismE0ELb0ES3_N6thrust23THRUST_200600_302600_NS6detail15normal_iteratorINS9_10device_ptrIiEEEENSB_INSC_IdEEEESG_dNS9_4plusIvEENS9_8equal_toIvEEdEE10hipError_tPvRmT2_T3_T4_T5_mT6_T7_P12ihipStream_tbENKUlT_T0_E_clISt17integral_constantIbLb0EES11_EEDaSW_SX_EUlSW_E_NS1_11comp_targetILNS1_3genE4ELNS1_11target_archE910ELNS1_3gpuE8ELNS1_3repE0EEENS1_30default_config_static_selectorELNS0_4arch9wavefront6targetE1EEEvT1_
    .private_segment_fixed_size: 0
    .sgpr_count:     6
    .sgpr_spill_count: 0
    .symbol:         _ZN7rocprim17ROCPRIM_400000_NS6detail17trampoline_kernelINS0_14default_configENS1_27scan_by_key_config_selectorIidEEZZNS1_16scan_by_key_implILNS1_25lookback_scan_determinismE0ELb0ES3_N6thrust23THRUST_200600_302600_NS6detail15normal_iteratorINS9_10device_ptrIiEEEENSB_INSC_IdEEEESG_dNS9_4plusIvEENS9_8equal_toIvEEdEE10hipError_tPvRmT2_T3_T4_T5_mT6_T7_P12ihipStream_tbENKUlT_T0_E_clISt17integral_constantIbLb0EES11_EEDaSW_SX_EUlSW_E_NS1_11comp_targetILNS1_3genE4ELNS1_11target_archE910ELNS1_3gpuE8ELNS1_3repE0EEENS1_30default_config_static_selectorELNS0_4arch9wavefront6targetE1EEEvT1_.kd
    .uniform_work_group_size: 1
    .uses_dynamic_stack: false
    .vgpr_count:     0
    .vgpr_spill_count: 0
    .wavefront_size: 64
  - .agpr_count:     0
    .args:
      - .offset:         0
        .size:           136
        .value_kind:     by_value
    .group_segment_fixed_size: 0
    .kernarg_segment_align: 8
    .kernarg_segment_size: 136
    .language:       OpenCL C
    .language_version:
      - 2
      - 0
    .max_flat_workgroup_size: 128
    .name:           _ZN7rocprim17ROCPRIM_400000_NS6detail17trampoline_kernelINS0_14default_configENS1_27scan_by_key_config_selectorIidEEZZNS1_16scan_by_key_implILNS1_25lookback_scan_determinismE0ELb0ES3_N6thrust23THRUST_200600_302600_NS6detail15normal_iteratorINS9_10device_ptrIiEEEENSB_INSC_IdEEEESG_dNS9_4plusIvEENS9_8equal_toIvEEdEE10hipError_tPvRmT2_T3_T4_T5_mT6_T7_P12ihipStream_tbENKUlT_T0_E_clISt17integral_constantIbLb0EES11_EEDaSW_SX_EUlSW_E_NS1_11comp_targetILNS1_3genE3ELNS1_11target_archE908ELNS1_3gpuE7ELNS1_3repE0EEENS1_30default_config_static_selectorELNS0_4arch9wavefront6targetE1EEEvT1_
    .private_segment_fixed_size: 0
    .sgpr_count:     6
    .sgpr_spill_count: 0
    .symbol:         _ZN7rocprim17ROCPRIM_400000_NS6detail17trampoline_kernelINS0_14default_configENS1_27scan_by_key_config_selectorIidEEZZNS1_16scan_by_key_implILNS1_25lookback_scan_determinismE0ELb0ES3_N6thrust23THRUST_200600_302600_NS6detail15normal_iteratorINS9_10device_ptrIiEEEENSB_INSC_IdEEEESG_dNS9_4plusIvEENS9_8equal_toIvEEdEE10hipError_tPvRmT2_T3_T4_T5_mT6_T7_P12ihipStream_tbENKUlT_T0_E_clISt17integral_constantIbLb0EES11_EEDaSW_SX_EUlSW_E_NS1_11comp_targetILNS1_3genE3ELNS1_11target_archE908ELNS1_3gpuE7ELNS1_3repE0EEENS1_30default_config_static_selectorELNS0_4arch9wavefront6targetE1EEEvT1_.kd
    .uniform_work_group_size: 1
    .uses_dynamic_stack: false
    .vgpr_count:     0
    .vgpr_spill_count: 0
    .wavefront_size: 64
  - .agpr_count:     0
    .args:
      - .offset:         0
        .size:           136
        .value_kind:     by_value
    .group_segment_fixed_size: 0
    .kernarg_segment_align: 8
    .kernarg_segment_size: 136
    .language:       OpenCL C
    .language_version:
      - 2
      - 0
    .max_flat_workgroup_size: 64
    .name:           _ZN7rocprim17ROCPRIM_400000_NS6detail17trampoline_kernelINS0_14default_configENS1_27scan_by_key_config_selectorIidEEZZNS1_16scan_by_key_implILNS1_25lookback_scan_determinismE0ELb0ES3_N6thrust23THRUST_200600_302600_NS6detail15normal_iteratorINS9_10device_ptrIiEEEENSB_INSC_IdEEEESG_dNS9_4plusIvEENS9_8equal_toIvEEdEE10hipError_tPvRmT2_T3_T4_T5_mT6_T7_P12ihipStream_tbENKUlT_T0_E_clISt17integral_constantIbLb0EES11_EEDaSW_SX_EUlSW_E_NS1_11comp_targetILNS1_3genE2ELNS1_11target_archE906ELNS1_3gpuE6ELNS1_3repE0EEENS1_30default_config_static_selectorELNS0_4arch9wavefront6targetE1EEEvT1_
    .private_segment_fixed_size: 0
    .sgpr_count:     6
    .sgpr_spill_count: 0
    .symbol:         _ZN7rocprim17ROCPRIM_400000_NS6detail17trampoline_kernelINS0_14default_configENS1_27scan_by_key_config_selectorIidEEZZNS1_16scan_by_key_implILNS1_25lookback_scan_determinismE0ELb0ES3_N6thrust23THRUST_200600_302600_NS6detail15normal_iteratorINS9_10device_ptrIiEEEENSB_INSC_IdEEEESG_dNS9_4plusIvEENS9_8equal_toIvEEdEE10hipError_tPvRmT2_T3_T4_T5_mT6_T7_P12ihipStream_tbENKUlT_T0_E_clISt17integral_constantIbLb0EES11_EEDaSW_SX_EUlSW_E_NS1_11comp_targetILNS1_3genE2ELNS1_11target_archE906ELNS1_3gpuE6ELNS1_3repE0EEENS1_30default_config_static_selectorELNS0_4arch9wavefront6targetE1EEEvT1_.kd
    .uniform_work_group_size: 1
    .uses_dynamic_stack: false
    .vgpr_count:     0
    .vgpr_spill_count: 0
    .wavefront_size: 64
  - .agpr_count:     0
    .args:
      - .offset:         0
        .size:           136
        .value_kind:     by_value
    .group_segment_fixed_size: 0
    .kernarg_segment_align: 8
    .kernarg_segment_size: 136
    .language:       OpenCL C
    .language_version:
      - 2
      - 0
    .max_flat_workgroup_size: 256
    .name:           _ZN7rocprim17ROCPRIM_400000_NS6detail17trampoline_kernelINS0_14default_configENS1_27scan_by_key_config_selectorIidEEZZNS1_16scan_by_key_implILNS1_25lookback_scan_determinismE0ELb0ES3_N6thrust23THRUST_200600_302600_NS6detail15normal_iteratorINS9_10device_ptrIiEEEENSB_INSC_IdEEEESG_dNS9_4plusIvEENS9_8equal_toIvEEdEE10hipError_tPvRmT2_T3_T4_T5_mT6_T7_P12ihipStream_tbENKUlT_T0_E_clISt17integral_constantIbLb0EES11_EEDaSW_SX_EUlSW_E_NS1_11comp_targetILNS1_3genE10ELNS1_11target_archE1200ELNS1_3gpuE4ELNS1_3repE0EEENS1_30default_config_static_selectorELNS0_4arch9wavefront6targetE1EEEvT1_
    .private_segment_fixed_size: 0
    .sgpr_count:     6
    .sgpr_spill_count: 0
    .symbol:         _ZN7rocprim17ROCPRIM_400000_NS6detail17trampoline_kernelINS0_14default_configENS1_27scan_by_key_config_selectorIidEEZZNS1_16scan_by_key_implILNS1_25lookback_scan_determinismE0ELb0ES3_N6thrust23THRUST_200600_302600_NS6detail15normal_iteratorINS9_10device_ptrIiEEEENSB_INSC_IdEEEESG_dNS9_4plusIvEENS9_8equal_toIvEEdEE10hipError_tPvRmT2_T3_T4_T5_mT6_T7_P12ihipStream_tbENKUlT_T0_E_clISt17integral_constantIbLb0EES11_EEDaSW_SX_EUlSW_E_NS1_11comp_targetILNS1_3genE10ELNS1_11target_archE1200ELNS1_3gpuE4ELNS1_3repE0EEENS1_30default_config_static_selectorELNS0_4arch9wavefront6targetE1EEEvT1_.kd
    .uniform_work_group_size: 1
    .uses_dynamic_stack: false
    .vgpr_count:     0
    .vgpr_spill_count: 0
    .wavefront_size: 64
  - .agpr_count:     0
    .args:
      - .offset:         0
        .size:           136
        .value_kind:     by_value
    .group_segment_fixed_size: 0
    .kernarg_segment_align: 8
    .kernarg_segment_size: 136
    .language:       OpenCL C
    .language_version:
      - 2
      - 0
    .max_flat_workgroup_size: 256
    .name:           _ZN7rocprim17ROCPRIM_400000_NS6detail17trampoline_kernelINS0_14default_configENS1_27scan_by_key_config_selectorIidEEZZNS1_16scan_by_key_implILNS1_25lookback_scan_determinismE0ELb0ES3_N6thrust23THRUST_200600_302600_NS6detail15normal_iteratorINS9_10device_ptrIiEEEENSB_INSC_IdEEEESG_dNS9_4plusIvEENS9_8equal_toIvEEdEE10hipError_tPvRmT2_T3_T4_T5_mT6_T7_P12ihipStream_tbENKUlT_T0_E_clISt17integral_constantIbLb0EES11_EEDaSW_SX_EUlSW_E_NS1_11comp_targetILNS1_3genE9ELNS1_11target_archE1100ELNS1_3gpuE3ELNS1_3repE0EEENS1_30default_config_static_selectorELNS0_4arch9wavefront6targetE1EEEvT1_
    .private_segment_fixed_size: 0
    .sgpr_count:     6
    .sgpr_spill_count: 0
    .symbol:         _ZN7rocprim17ROCPRIM_400000_NS6detail17trampoline_kernelINS0_14default_configENS1_27scan_by_key_config_selectorIidEEZZNS1_16scan_by_key_implILNS1_25lookback_scan_determinismE0ELb0ES3_N6thrust23THRUST_200600_302600_NS6detail15normal_iteratorINS9_10device_ptrIiEEEENSB_INSC_IdEEEESG_dNS9_4plusIvEENS9_8equal_toIvEEdEE10hipError_tPvRmT2_T3_T4_T5_mT6_T7_P12ihipStream_tbENKUlT_T0_E_clISt17integral_constantIbLb0EES11_EEDaSW_SX_EUlSW_E_NS1_11comp_targetILNS1_3genE9ELNS1_11target_archE1100ELNS1_3gpuE3ELNS1_3repE0EEENS1_30default_config_static_selectorELNS0_4arch9wavefront6targetE1EEEvT1_.kd
    .uniform_work_group_size: 1
    .uses_dynamic_stack: false
    .vgpr_count:     0
    .vgpr_spill_count: 0
    .wavefront_size: 64
  - .agpr_count:     0
    .args:
      - .offset:         0
        .size:           136
        .value_kind:     by_value
    .group_segment_fixed_size: 0
    .kernarg_segment_align: 8
    .kernarg_segment_size: 136
    .language:       OpenCL C
    .language_version:
      - 2
      - 0
    .max_flat_workgroup_size: 256
    .name:           _ZN7rocprim17ROCPRIM_400000_NS6detail17trampoline_kernelINS0_14default_configENS1_27scan_by_key_config_selectorIidEEZZNS1_16scan_by_key_implILNS1_25lookback_scan_determinismE0ELb0ES3_N6thrust23THRUST_200600_302600_NS6detail15normal_iteratorINS9_10device_ptrIiEEEENSB_INSC_IdEEEESG_dNS9_4plusIvEENS9_8equal_toIvEEdEE10hipError_tPvRmT2_T3_T4_T5_mT6_T7_P12ihipStream_tbENKUlT_T0_E_clISt17integral_constantIbLb0EES11_EEDaSW_SX_EUlSW_E_NS1_11comp_targetILNS1_3genE8ELNS1_11target_archE1030ELNS1_3gpuE2ELNS1_3repE0EEENS1_30default_config_static_selectorELNS0_4arch9wavefront6targetE1EEEvT1_
    .private_segment_fixed_size: 0
    .sgpr_count:     6
    .sgpr_spill_count: 0
    .symbol:         _ZN7rocprim17ROCPRIM_400000_NS6detail17trampoline_kernelINS0_14default_configENS1_27scan_by_key_config_selectorIidEEZZNS1_16scan_by_key_implILNS1_25lookback_scan_determinismE0ELb0ES3_N6thrust23THRUST_200600_302600_NS6detail15normal_iteratorINS9_10device_ptrIiEEEENSB_INSC_IdEEEESG_dNS9_4plusIvEENS9_8equal_toIvEEdEE10hipError_tPvRmT2_T3_T4_T5_mT6_T7_P12ihipStream_tbENKUlT_T0_E_clISt17integral_constantIbLb0EES11_EEDaSW_SX_EUlSW_E_NS1_11comp_targetILNS1_3genE8ELNS1_11target_archE1030ELNS1_3gpuE2ELNS1_3repE0EEENS1_30default_config_static_selectorELNS0_4arch9wavefront6targetE1EEEvT1_.kd
    .uniform_work_group_size: 1
    .uses_dynamic_stack: false
    .vgpr_count:     0
    .vgpr_spill_count: 0
    .wavefront_size: 64
  - .agpr_count:     0
    .args:
      - .offset:         0
        .size:           24
        .value_kind:     by_value
      - .offset:         24
        .size:           4
        .value_kind:     by_value
      - .offset:         28
        .size:           4
        .value_kind:     by_value
      - .address_space:  global
        .offset:         32
        .size:           8
        .value_kind:     global_buffer
      - .address_space:  global
        .offset:         40
        .size:           8
        .value_kind:     global_buffer
      - .actual_access:  write_only
        .address_space:  global
        .offset:         48
        .size:           8
        .value_kind:     global_buffer
      - .offset:         56
        .size:           8
        .value_kind:     by_value
      - .offset:         64
        .size:           4
        .value_kind:     by_value
      - .address_space:  global
        .offset:         72
        .size:           8
        .value_kind:     global_buffer
      - .offset:         80
        .size:           4
        .value_kind:     hidden_block_count_x
      - .offset:         84
        .size:           4
        .value_kind:     hidden_block_count_y
      - .offset:         88
        .size:           4
        .value_kind:     hidden_block_count_z
      - .offset:         92
        .size:           2
        .value_kind:     hidden_group_size_x
      - .offset:         94
        .size:           2
        .value_kind:     hidden_group_size_y
      - .offset:         96
        .size:           2
        .value_kind:     hidden_group_size_z
      - .offset:         98
        .size:           2
        .value_kind:     hidden_remainder_x
      - .offset:         100
        .size:           2
        .value_kind:     hidden_remainder_y
      - .offset:         102
        .size:           2
        .value_kind:     hidden_remainder_z
      - .offset:         120
        .size:           8
        .value_kind:     hidden_global_offset_x
      - .offset:         128
        .size:           8
        .value_kind:     hidden_global_offset_y
      - .offset:         136
        .size:           8
        .value_kind:     hidden_global_offset_z
      - .offset:         144
        .size:           2
        .value_kind:     hidden_grid_dims
    .group_segment_fixed_size: 0
    .kernarg_segment_align: 8
    .kernarg_segment_size: 336
    .language:       OpenCL C
    .language_version:
      - 2
      - 0
    .max_flat_workgroup_size: 256
    .name:           _ZN7rocprim17ROCPRIM_400000_NS6detail30init_device_scan_by_key_kernelINS1_19lookback_scan_stateINS0_5tupleIJdbEEELb1ELb0EEEN6thrust23THRUST_200600_302600_NS6detail15normal_iteratorINS8_10device_ptrIiEEEEjNS1_16block_id_wrapperIjLb1EEEEEvT_jjPNSG_10value_typeET0_PNSt15iterator_traitsISJ_E10value_typeEmT1_T2_
    .private_segment_fixed_size: 0
    .sgpr_count:     30
    .sgpr_spill_count: 0
    .symbol:         _ZN7rocprim17ROCPRIM_400000_NS6detail30init_device_scan_by_key_kernelINS1_19lookback_scan_stateINS0_5tupleIJdbEEELb1ELb0EEEN6thrust23THRUST_200600_302600_NS6detail15normal_iteratorINS8_10device_ptrIiEEEEjNS1_16block_id_wrapperIjLb1EEEEEvT_jjPNSG_10value_typeET0_PNSt15iterator_traitsISJ_E10value_typeEmT1_T2_.kd
    .uniform_work_group_size: 1
    .uses_dynamic_stack: false
    .vgpr_count:     7
    .vgpr_spill_count: 0
    .wavefront_size: 64
  - .agpr_count:     0
    .args:
      - .offset:         0
        .size:           24
        .value_kind:     by_value
      - .offset:         24
        .size:           4
        .value_kind:     by_value
      - .offset:         28
        .size:           4
        .value_kind:     by_value
      - .address_space:  global
        .offset:         32
        .size:           8
        .value_kind:     global_buffer
      - .address_space:  global
        .offset:         40
        .size:           8
        .value_kind:     global_buffer
      - .offset:         48
        .size:           4
        .value_kind:     hidden_block_count_x
      - .offset:         52
        .size:           4
        .value_kind:     hidden_block_count_y
      - .offset:         56
        .size:           4
        .value_kind:     hidden_block_count_z
      - .offset:         60
        .size:           2
        .value_kind:     hidden_group_size_x
      - .offset:         62
        .size:           2
        .value_kind:     hidden_group_size_y
      - .offset:         64
        .size:           2
        .value_kind:     hidden_group_size_z
      - .offset:         66
        .size:           2
        .value_kind:     hidden_remainder_x
      - .offset:         68
        .size:           2
        .value_kind:     hidden_remainder_y
      - .offset:         70
        .size:           2
        .value_kind:     hidden_remainder_z
      - .offset:         88
        .size:           8
        .value_kind:     hidden_global_offset_x
      - .offset:         96
        .size:           8
        .value_kind:     hidden_global_offset_y
      - .offset:         104
        .size:           8
        .value_kind:     hidden_global_offset_z
      - .offset:         112
        .size:           2
        .value_kind:     hidden_grid_dims
    .group_segment_fixed_size: 0
    .kernarg_segment_align: 8
    .kernarg_segment_size: 304
    .language:       OpenCL C
    .language_version:
      - 2
      - 0
    .max_flat_workgroup_size: 256
    .name:           _ZN7rocprim17ROCPRIM_400000_NS6detail30init_device_scan_by_key_kernelINS1_19lookback_scan_stateINS0_5tupleIJdbEEELb1ELb0EEENS1_16block_id_wrapperIjLb1EEEEEvT_jjPNS9_10value_typeET0_
    .private_segment_fixed_size: 0
    .sgpr_count:     26
    .sgpr_spill_count: 0
    .symbol:         _ZN7rocprim17ROCPRIM_400000_NS6detail30init_device_scan_by_key_kernelINS1_19lookback_scan_stateINS0_5tupleIJdbEEELb1ELb0EEENS1_16block_id_wrapperIjLb1EEEEEvT_jjPNS9_10value_typeET0_.kd
    .uniform_work_group_size: 1
    .uses_dynamic_stack: false
    .vgpr_count:     6
    .vgpr_spill_count: 0
    .wavefront_size: 64
  - .agpr_count:     0
    .args:
      - .offset:         0
        .size:           136
        .value_kind:     by_value
    .group_segment_fixed_size: 0
    .kernarg_segment_align: 8
    .kernarg_segment_size: 136
    .language:       OpenCL C
    .language_version:
      - 2
      - 0
    .max_flat_workgroup_size: 128
    .name:           _ZN7rocprim17ROCPRIM_400000_NS6detail17trampoline_kernelINS0_14default_configENS1_27scan_by_key_config_selectorIidEEZZNS1_16scan_by_key_implILNS1_25lookback_scan_determinismE0ELb0ES3_N6thrust23THRUST_200600_302600_NS6detail15normal_iteratorINS9_10device_ptrIiEEEENSB_INSC_IdEEEESG_dNS9_4plusIvEENS9_8equal_toIvEEdEE10hipError_tPvRmT2_T3_T4_T5_mT6_T7_P12ihipStream_tbENKUlT_T0_E_clISt17integral_constantIbLb1EES11_EEDaSW_SX_EUlSW_E_NS1_11comp_targetILNS1_3genE0ELNS1_11target_archE4294967295ELNS1_3gpuE0ELNS1_3repE0EEENS1_30default_config_static_selectorELNS0_4arch9wavefront6targetE1EEEvT1_
    .private_segment_fixed_size: 0
    .sgpr_count:     6
    .sgpr_spill_count: 0
    .symbol:         _ZN7rocprim17ROCPRIM_400000_NS6detail17trampoline_kernelINS0_14default_configENS1_27scan_by_key_config_selectorIidEEZZNS1_16scan_by_key_implILNS1_25lookback_scan_determinismE0ELb0ES3_N6thrust23THRUST_200600_302600_NS6detail15normal_iteratorINS9_10device_ptrIiEEEENSB_INSC_IdEEEESG_dNS9_4plusIvEENS9_8equal_toIvEEdEE10hipError_tPvRmT2_T3_T4_T5_mT6_T7_P12ihipStream_tbENKUlT_T0_E_clISt17integral_constantIbLb1EES11_EEDaSW_SX_EUlSW_E_NS1_11comp_targetILNS1_3genE0ELNS1_11target_archE4294967295ELNS1_3gpuE0ELNS1_3repE0EEENS1_30default_config_static_selectorELNS0_4arch9wavefront6targetE1EEEvT1_.kd
    .uniform_work_group_size: 1
    .uses_dynamic_stack: false
    .vgpr_count:     0
    .vgpr_spill_count: 0
    .wavefront_size: 64
  - .agpr_count:     0
    .args:
      - .offset:         0
        .size:           136
        .value_kind:     by_value
    .group_segment_fixed_size: 0
    .kernarg_segment_align: 8
    .kernarg_segment_size: 136
    .language:       OpenCL C
    .language_version:
      - 2
      - 0
    .max_flat_workgroup_size: 256
    .name:           _ZN7rocprim17ROCPRIM_400000_NS6detail17trampoline_kernelINS0_14default_configENS1_27scan_by_key_config_selectorIidEEZZNS1_16scan_by_key_implILNS1_25lookback_scan_determinismE0ELb0ES3_N6thrust23THRUST_200600_302600_NS6detail15normal_iteratorINS9_10device_ptrIiEEEENSB_INSC_IdEEEESG_dNS9_4plusIvEENS9_8equal_toIvEEdEE10hipError_tPvRmT2_T3_T4_T5_mT6_T7_P12ihipStream_tbENKUlT_T0_E_clISt17integral_constantIbLb1EES11_EEDaSW_SX_EUlSW_E_NS1_11comp_targetILNS1_3genE10ELNS1_11target_archE1201ELNS1_3gpuE5ELNS1_3repE0EEENS1_30default_config_static_selectorELNS0_4arch9wavefront6targetE1EEEvT1_
    .private_segment_fixed_size: 0
    .sgpr_count:     6
    .sgpr_spill_count: 0
    .symbol:         _ZN7rocprim17ROCPRIM_400000_NS6detail17trampoline_kernelINS0_14default_configENS1_27scan_by_key_config_selectorIidEEZZNS1_16scan_by_key_implILNS1_25lookback_scan_determinismE0ELb0ES3_N6thrust23THRUST_200600_302600_NS6detail15normal_iteratorINS9_10device_ptrIiEEEENSB_INSC_IdEEEESG_dNS9_4plusIvEENS9_8equal_toIvEEdEE10hipError_tPvRmT2_T3_T4_T5_mT6_T7_P12ihipStream_tbENKUlT_T0_E_clISt17integral_constantIbLb1EES11_EEDaSW_SX_EUlSW_E_NS1_11comp_targetILNS1_3genE10ELNS1_11target_archE1201ELNS1_3gpuE5ELNS1_3repE0EEENS1_30default_config_static_selectorELNS0_4arch9wavefront6targetE1EEEvT1_.kd
    .uniform_work_group_size: 1
    .uses_dynamic_stack: false
    .vgpr_count:     0
    .vgpr_spill_count: 0
    .wavefront_size: 64
  - .agpr_count:     0
    .args:
      - .offset:         0
        .size:           136
        .value_kind:     by_value
    .group_segment_fixed_size: 43008
    .kernarg_segment_align: 8
    .kernarg_segment_size: 136
    .language:       OpenCL C
    .language_version:
      - 2
      - 0
    .max_flat_workgroup_size: 256
    .name:           _ZN7rocprim17ROCPRIM_400000_NS6detail17trampoline_kernelINS0_14default_configENS1_27scan_by_key_config_selectorIidEEZZNS1_16scan_by_key_implILNS1_25lookback_scan_determinismE0ELb0ES3_N6thrust23THRUST_200600_302600_NS6detail15normal_iteratorINS9_10device_ptrIiEEEENSB_INSC_IdEEEESG_dNS9_4plusIvEENS9_8equal_toIvEEdEE10hipError_tPvRmT2_T3_T4_T5_mT6_T7_P12ihipStream_tbENKUlT_T0_E_clISt17integral_constantIbLb1EES11_EEDaSW_SX_EUlSW_E_NS1_11comp_targetILNS1_3genE5ELNS1_11target_archE942ELNS1_3gpuE9ELNS1_3repE0EEENS1_30default_config_static_selectorELNS0_4arch9wavefront6targetE1EEEvT1_
    .private_segment_fixed_size: 0
    .sgpr_count:     106
    .sgpr_spill_count: 10
    .symbol:         _ZN7rocprim17ROCPRIM_400000_NS6detail17trampoline_kernelINS0_14default_configENS1_27scan_by_key_config_selectorIidEEZZNS1_16scan_by_key_implILNS1_25lookback_scan_determinismE0ELb0ES3_N6thrust23THRUST_200600_302600_NS6detail15normal_iteratorINS9_10device_ptrIiEEEENSB_INSC_IdEEEESG_dNS9_4plusIvEENS9_8equal_toIvEEdEE10hipError_tPvRmT2_T3_T4_T5_mT6_T7_P12ihipStream_tbENKUlT_T0_E_clISt17integral_constantIbLb1EES11_EEDaSW_SX_EUlSW_E_NS1_11comp_targetILNS1_3genE5ELNS1_11target_archE942ELNS1_3gpuE9ELNS1_3repE0EEENS1_30default_config_static_selectorELNS0_4arch9wavefront6targetE1EEEvT1_.kd
    .uniform_work_group_size: 1
    .uses_dynamic_stack: false
    .vgpr_count:     134
    .vgpr_spill_count: 0
    .wavefront_size: 64
  - .agpr_count:     0
    .args:
      - .offset:         0
        .size:           136
        .value_kind:     by_value
    .group_segment_fixed_size: 0
    .kernarg_segment_align: 8
    .kernarg_segment_size: 136
    .language:       OpenCL C
    .language_version:
      - 2
      - 0
    .max_flat_workgroup_size: 64
    .name:           _ZN7rocprim17ROCPRIM_400000_NS6detail17trampoline_kernelINS0_14default_configENS1_27scan_by_key_config_selectorIidEEZZNS1_16scan_by_key_implILNS1_25lookback_scan_determinismE0ELb0ES3_N6thrust23THRUST_200600_302600_NS6detail15normal_iteratorINS9_10device_ptrIiEEEENSB_INSC_IdEEEESG_dNS9_4plusIvEENS9_8equal_toIvEEdEE10hipError_tPvRmT2_T3_T4_T5_mT6_T7_P12ihipStream_tbENKUlT_T0_E_clISt17integral_constantIbLb1EES11_EEDaSW_SX_EUlSW_E_NS1_11comp_targetILNS1_3genE4ELNS1_11target_archE910ELNS1_3gpuE8ELNS1_3repE0EEENS1_30default_config_static_selectorELNS0_4arch9wavefront6targetE1EEEvT1_
    .private_segment_fixed_size: 0
    .sgpr_count:     6
    .sgpr_spill_count: 0
    .symbol:         _ZN7rocprim17ROCPRIM_400000_NS6detail17trampoline_kernelINS0_14default_configENS1_27scan_by_key_config_selectorIidEEZZNS1_16scan_by_key_implILNS1_25lookback_scan_determinismE0ELb0ES3_N6thrust23THRUST_200600_302600_NS6detail15normal_iteratorINS9_10device_ptrIiEEEENSB_INSC_IdEEEESG_dNS9_4plusIvEENS9_8equal_toIvEEdEE10hipError_tPvRmT2_T3_T4_T5_mT6_T7_P12ihipStream_tbENKUlT_T0_E_clISt17integral_constantIbLb1EES11_EEDaSW_SX_EUlSW_E_NS1_11comp_targetILNS1_3genE4ELNS1_11target_archE910ELNS1_3gpuE8ELNS1_3repE0EEENS1_30default_config_static_selectorELNS0_4arch9wavefront6targetE1EEEvT1_.kd
    .uniform_work_group_size: 1
    .uses_dynamic_stack: false
    .vgpr_count:     0
    .vgpr_spill_count: 0
    .wavefront_size: 64
  - .agpr_count:     0
    .args:
      - .offset:         0
        .size:           136
        .value_kind:     by_value
    .group_segment_fixed_size: 0
    .kernarg_segment_align: 8
    .kernarg_segment_size: 136
    .language:       OpenCL C
    .language_version:
      - 2
      - 0
    .max_flat_workgroup_size: 128
    .name:           _ZN7rocprim17ROCPRIM_400000_NS6detail17trampoline_kernelINS0_14default_configENS1_27scan_by_key_config_selectorIidEEZZNS1_16scan_by_key_implILNS1_25lookback_scan_determinismE0ELb0ES3_N6thrust23THRUST_200600_302600_NS6detail15normal_iteratorINS9_10device_ptrIiEEEENSB_INSC_IdEEEESG_dNS9_4plusIvEENS9_8equal_toIvEEdEE10hipError_tPvRmT2_T3_T4_T5_mT6_T7_P12ihipStream_tbENKUlT_T0_E_clISt17integral_constantIbLb1EES11_EEDaSW_SX_EUlSW_E_NS1_11comp_targetILNS1_3genE3ELNS1_11target_archE908ELNS1_3gpuE7ELNS1_3repE0EEENS1_30default_config_static_selectorELNS0_4arch9wavefront6targetE1EEEvT1_
    .private_segment_fixed_size: 0
    .sgpr_count:     6
    .sgpr_spill_count: 0
    .symbol:         _ZN7rocprim17ROCPRIM_400000_NS6detail17trampoline_kernelINS0_14default_configENS1_27scan_by_key_config_selectorIidEEZZNS1_16scan_by_key_implILNS1_25lookback_scan_determinismE0ELb0ES3_N6thrust23THRUST_200600_302600_NS6detail15normal_iteratorINS9_10device_ptrIiEEEENSB_INSC_IdEEEESG_dNS9_4plusIvEENS9_8equal_toIvEEdEE10hipError_tPvRmT2_T3_T4_T5_mT6_T7_P12ihipStream_tbENKUlT_T0_E_clISt17integral_constantIbLb1EES11_EEDaSW_SX_EUlSW_E_NS1_11comp_targetILNS1_3genE3ELNS1_11target_archE908ELNS1_3gpuE7ELNS1_3repE0EEENS1_30default_config_static_selectorELNS0_4arch9wavefront6targetE1EEEvT1_.kd
    .uniform_work_group_size: 1
    .uses_dynamic_stack: false
    .vgpr_count:     0
    .vgpr_spill_count: 0
    .wavefront_size: 64
  - .agpr_count:     0
    .args:
      - .offset:         0
        .size:           136
        .value_kind:     by_value
    .group_segment_fixed_size: 0
    .kernarg_segment_align: 8
    .kernarg_segment_size: 136
    .language:       OpenCL C
    .language_version:
      - 2
      - 0
    .max_flat_workgroup_size: 64
    .name:           _ZN7rocprim17ROCPRIM_400000_NS6detail17trampoline_kernelINS0_14default_configENS1_27scan_by_key_config_selectorIidEEZZNS1_16scan_by_key_implILNS1_25lookback_scan_determinismE0ELb0ES3_N6thrust23THRUST_200600_302600_NS6detail15normal_iteratorINS9_10device_ptrIiEEEENSB_INSC_IdEEEESG_dNS9_4plusIvEENS9_8equal_toIvEEdEE10hipError_tPvRmT2_T3_T4_T5_mT6_T7_P12ihipStream_tbENKUlT_T0_E_clISt17integral_constantIbLb1EES11_EEDaSW_SX_EUlSW_E_NS1_11comp_targetILNS1_3genE2ELNS1_11target_archE906ELNS1_3gpuE6ELNS1_3repE0EEENS1_30default_config_static_selectorELNS0_4arch9wavefront6targetE1EEEvT1_
    .private_segment_fixed_size: 0
    .sgpr_count:     6
    .sgpr_spill_count: 0
    .symbol:         _ZN7rocprim17ROCPRIM_400000_NS6detail17trampoline_kernelINS0_14default_configENS1_27scan_by_key_config_selectorIidEEZZNS1_16scan_by_key_implILNS1_25lookback_scan_determinismE0ELb0ES3_N6thrust23THRUST_200600_302600_NS6detail15normal_iteratorINS9_10device_ptrIiEEEENSB_INSC_IdEEEESG_dNS9_4plusIvEENS9_8equal_toIvEEdEE10hipError_tPvRmT2_T3_T4_T5_mT6_T7_P12ihipStream_tbENKUlT_T0_E_clISt17integral_constantIbLb1EES11_EEDaSW_SX_EUlSW_E_NS1_11comp_targetILNS1_3genE2ELNS1_11target_archE906ELNS1_3gpuE6ELNS1_3repE0EEENS1_30default_config_static_selectorELNS0_4arch9wavefront6targetE1EEEvT1_.kd
    .uniform_work_group_size: 1
    .uses_dynamic_stack: false
    .vgpr_count:     0
    .vgpr_spill_count: 0
    .wavefront_size: 64
  - .agpr_count:     0
    .args:
      - .offset:         0
        .size:           136
        .value_kind:     by_value
    .group_segment_fixed_size: 0
    .kernarg_segment_align: 8
    .kernarg_segment_size: 136
    .language:       OpenCL C
    .language_version:
      - 2
      - 0
    .max_flat_workgroup_size: 256
    .name:           _ZN7rocprim17ROCPRIM_400000_NS6detail17trampoline_kernelINS0_14default_configENS1_27scan_by_key_config_selectorIidEEZZNS1_16scan_by_key_implILNS1_25lookback_scan_determinismE0ELb0ES3_N6thrust23THRUST_200600_302600_NS6detail15normal_iteratorINS9_10device_ptrIiEEEENSB_INSC_IdEEEESG_dNS9_4plusIvEENS9_8equal_toIvEEdEE10hipError_tPvRmT2_T3_T4_T5_mT6_T7_P12ihipStream_tbENKUlT_T0_E_clISt17integral_constantIbLb1EES11_EEDaSW_SX_EUlSW_E_NS1_11comp_targetILNS1_3genE10ELNS1_11target_archE1200ELNS1_3gpuE4ELNS1_3repE0EEENS1_30default_config_static_selectorELNS0_4arch9wavefront6targetE1EEEvT1_
    .private_segment_fixed_size: 0
    .sgpr_count:     6
    .sgpr_spill_count: 0
    .symbol:         _ZN7rocprim17ROCPRIM_400000_NS6detail17trampoline_kernelINS0_14default_configENS1_27scan_by_key_config_selectorIidEEZZNS1_16scan_by_key_implILNS1_25lookback_scan_determinismE0ELb0ES3_N6thrust23THRUST_200600_302600_NS6detail15normal_iteratorINS9_10device_ptrIiEEEENSB_INSC_IdEEEESG_dNS9_4plusIvEENS9_8equal_toIvEEdEE10hipError_tPvRmT2_T3_T4_T5_mT6_T7_P12ihipStream_tbENKUlT_T0_E_clISt17integral_constantIbLb1EES11_EEDaSW_SX_EUlSW_E_NS1_11comp_targetILNS1_3genE10ELNS1_11target_archE1200ELNS1_3gpuE4ELNS1_3repE0EEENS1_30default_config_static_selectorELNS0_4arch9wavefront6targetE1EEEvT1_.kd
    .uniform_work_group_size: 1
    .uses_dynamic_stack: false
    .vgpr_count:     0
    .vgpr_spill_count: 0
    .wavefront_size: 64
  - .agpr_count:     0
    .args:
      - .offset:         0
        .size:           136
        .value_kind:     by_value
    .group_segment_fixed_size: 0
    .kernarg_segment_align: 8
    .kernarg_segment_size: 136
    .language:       OpenCL C
    .language_version:
      - 2
      - 0
    .max_flat_workgroup_size: 256
    .name:           _ZN7rocprim17ROCPRIM_400000_NS6detail17trampoline_kernelINS0_14default_configENS1_27scan_by_key_config_selectorIidEEZZNS1_16scan_by_key_implILNS1_25lookback_scan_determinismE0ELb0ES3_N6thrust23THRUST_200600_302600_NS6detail15normal_iteratorINS9_10device_ptrIiEEEENSB_INSC_IdEEEESG_dNS9_4plusIvEENS9_8equal_toIvEEdEE10hipError_tPvRmT2_T3_T4_T5_mT6_T7_P12ihipStream_tbENKUlT_T0_E_clISt17integral_constantIbLb1EES11_EEDaSW_SX_EUlSW_E_NS1_11comp_targetILNS1_3genE9ELNS1_11target_archE1100ELNS1_3gpuE3ELNS1_3repE0EEENS1_30default_config_static_selectorELNS0_4arch9wavefront6targetE1EEEvT1_
    .private_segment_fixed_size: 0
    .sgpr_count:     6
    .sgpr_spill_count: 0
    .symbol:         _ZN7rocprim17ROCPRIM_400000_NS6detail17trampoline_kernelINS0_14default_configENS1_27scan_by_key_config_selectorIidEEZZNS1_16scan_by_key_implILNS1_25lookback_scan_determinismE0ELb0ES3_N6thrust23THRUST_200600_302600_NS6detail15normal_iteratorINS9_10device_ptrIiEEEENSB_INSC_IdEEEESG_dNS9_4plusIvEENS9_8equal_toIvEEdEE10hipError_tPvRmT2_T3_T4_T5_mT6_T7_P12ihipStream_tbENKUlT_T0_E_clISt17integral_constantIbLb1EES11_EEDaSW_SX_EUlSW_E_NS1_11comp_targetILNS1_3genE9ELNS1_11target_archE1100ELNS1_3gpuE3ELNS1_3repE0EEENS1_30default_config_static_selectorELNS0_4arch9wavefront6targetE1EEEvT1_.kd
    .uniform_work_group_size: 1
    .uses_dynamic_stack: false
    .vgpr_count:     0
    .vgpr_spill_count: 0
    .wavefront_size: 64
  - .agpr_count:     0
    .args:
      - .offset:         0
        .size:           136
        .value_kind:     by_value
    .group_segment_fixed_size: 0
    .kernarg_segment_align: 8
    .kernarg_segment_size: 136
    .language:       OpenCL C
    .language_version:
      - 2
      - 0
    .max_flat_workgroup_size: 256
    .name:           _ZN7rocprim17ROCPRIM_400000_NS6detail17trampoline_kernelINS0_14default_configENS1_27scan_by_key_config_selectorIidEEZZNS1_16scan_by_key_implILNS1_25lookback_scan_determinismE0ELb0ES3_N6thrust23THRUST_200600_302600_NS6detail15normal_iteratorINS9_10device_ptrIiEEEENSB_INSC_IdEEEESG_dNS9_4plusIvEENS9_8equal_toIvEEdEE10hipError_tPvRmT2_T3_T4_T5_mT6_T7_P12ihipStream_tbENKUlT_T0_E_clISt17integral_constantIbLb1EES11_EEDaSW_SX_EUlSW_E_NS1_11comp_targetILNS1_3genE8ELNS1_11target_archE1030ELNS1_3gpuE2ELNS1_3repE0EEENS1_30default_config_static_selectorELNS0_4arch9wavefront6targetE1EEEvT1_
    .private_segment_fixed_size: 0
    .sgpr_count:     6
    .sgpr_spill_count: 0
    .symbol:         _ZN7rocprim17ROCPRIM_400000_NS6detail17trampoline_kernelINS0_14default_configENS1_27scan_by_key_config_selectorIidEEZZNS1_16scan_by_key_implILNS1_25lookback_scan_determinismE0ELb0ES3_N6thrust23THRUST_200600_302600_NS6detail15normal_iteratorINS9_10device_ptrIiEEEENSB_INSC_IdEEEESG_dNS9_4plusIvEENS9_8equal_toIvEEdEE10hipError_tPvRmT2_T3_T4_T5_mT6_T7_P12ihipStream_tbENKUlT_T0_E_clISt17integral_constantIbLb1EES11_EEDaSW_SX_EUlSW_E_NS1_11comp_targetILNS1_3genE8ELNS1_11target_archE1030ELNS1_3gpuE2ELNS1_3repE0EEENS1_30default_config_static_selectorELNS0_4arch9wavefront6targetE1EEEvT1_.kd
    .uniform_work_group_size: 1
    .uses_dynamic_stack: false
    .vgpr_count:     0
    .vgpr_spill_count: 0
    .wavefront_size: 64
  - .agpr_count:     0
    .args:
      - .offset:         0
        .size:           24
        .value_kind:     by_value
      - .offset:         24
        .size:           4
        .value_kind:     by_value
      - .offset:         28
        .size:           4
        .value_kind:     by_value
      - .address_space:  global
        .offset:         32
        .size:           8
        .value_kind:     global_buffer
      - .address_space:  global
        .offset:         40
        .size:           8
        .value_kind:     global_buffer
      - .actual_access:  write_only
        .address_space:  global
        .offset:         48
        .size:           8
        .value_kind:     global_buffer
      - .offset:         56
        .size:           8
        .value_kind:     by_value
      - .offset:         64
        .size:           4
        .value_kind:     by_value
      - .offset:         68
        .size:           1
        .value_kind:     by_value
      - .offset:         72
        .size:           4
        .value_kind:     hidden_block_count_x
      - .offset:         76
        .size:           4
        .value_kind:     hidden_block_count_y
      - .offset:         80
        .size:           4
        .value_kind:     hidden_block_count_z
      - .offset:         84
        .size:           2
        .value_kind:     hidden_group_size_x
      - .offset:         86
        .size:           2
        .value_kind:     hidden_group_size_y
      - .offset:         88
        .size:           2
        .value_kind:     hidden_group_size_z
      - .offset:         90
        .size:           2
        .value_kind:     hidden_remainder_x
      - .offset:         92
        .size:           2
        .value_kind:     hidden_remainder_y
      - .offset:         94
        .size:           2
        .value_kind:     hidden_remainder_z
      - .offset:         112
        .size:           8
        .value_kind:     hidden_global_offset_x
      - .offset:         120
        .size:           8
        .value_kind:     hidden_global_offset_y
      - .offset:         128
        .size:           8
        .value_kind:     hidden_global_offset_z
      - .offset:         136
        .size:           2
        .value_kind:     hidden_grid_dims
    .group_segment_fixed_size: 0
    .kernarg_segment_align: 8
    .kernarg_segment_size: 328
    .language:       OpenCL C
    .language_version:
      - 2
      - 0
    .max_flat_workgroup_size: 256
    .name:           _ZN7rocprim17ROCPRIM_400000_NS6detail30init_device_scan_by_key_kernelINS1_19lookback_scan_stateINS0_5tupleIJdbEEELb1ELb0EEEN6thrust23THRUST_200600_302600_NS6detail15normal_iteratorINS8_10device_ptrIiEEEEjNS1_16block_id_wrapperIjLb0EEEEEvT_jjPNSG_10value_typeET0_PNSt15iterator_traitsISJ_E10value_typeEmT1_T2_
    .private_segment_fixed_size: 0
    .sgpr_count:     30
    .sgpr_spill_count: 0
    .symbol:         _ZN7rocprim17ROCPRIM_400000_NS6detail30init_device_scan_by_key_kernelINS1_19lookback_scan_stateINS0_5tupleIJdbEEELb1ELb0EEEN6thrust23THRUST_200600_302600_NS6detail15normal_iteratorINS8_10device_ptrIiEEEEjNS1_16block_id_wrapperIjLb0EEEEEvT_jjPNSG_10value_typeET0_PNSt15iterator_traitsISJ_E10value_typeEmT1_T2_.kd
    .uniform_work_group_size: 1
    .uses_dynamic_stack: false
    .vgpr_count:     7
    .vgpr_spill_count: 0
    .wavefront_size: 64
  - .agpr_count:     0
    .args:
      - .offset:         0
        .size:           24
        .value_kind:     by_value
      - .offset:         24
        .size:           4
        .value_kind:     by_value
      - .offset:         28
        .size:           4
        .value_kind:     by_value
      - .address_space:  global
        .offset:         32
        .size:           8
        .value_kind:     global_buffer
      - .offset:         40
        .size:           1
        .value_kind:     by_value
      - .offset:         48
        .size:           4
        .value_kind:     hidden_block_count_x
      - .offset:         52
        .size:           4
        .value_kind:     hidden_block_count_y
      - .offset:         56
        .size:           4
        .value_kind:     hidden_block_count_z
      - .offset:         60
        .size:           2
        .value_kind:     hidden_group_size_x
      - .offset:         62
        .size:           2
        .value_kind:     hidden_group_size_y
      - .offset:         64
        .size:           2
        .value_kind:     hidden_group_size_z
      - .offset:         66
        .size:           2
        .value_kind:     hidden_remainder_x
      - .offset:         68
        .size:           2
        .value_kind:     hidden_remainder_y
      - .offset:         70
        .size:           2
        .value_kind:     hidden_remainder_z
      - .offset:         88
        .size:           8
        .value_kind:     hidden_global_offset_x
      - .offset:         96
        .size:           8
        .value_kind:     hidden_global_offset_y
      - .offset:         104
        .size:           8
        .value_kind:     hidden_global_offset_z
      - .offset:         112
        .size:           2
        .value_kind:     hidden_grid_dims
    .group_segment_fixed_size: 0
    .kernarg_segment_align: 8
    .kernarg_segment_size: 304
    .language:       OpenCL C
    .language_version:
      - 2
      - 0
    .max_flat_workgroup_size: 256
    .name:           _ZN7rocprim17ROCPRIM_400000_NS6detail30init_device_scan_by_key_kernelINS1_19lookback_scan_stateINS0_5tupleIJdbEEELb1ELb0EEENS1_16block_id_wrapperIjLb0EEEEEvT_jjPNS9_10value_typeET0_
    .private_segment_fixed_size: 0
    .sgpr_count:     24
    .sgpr_spill_count: 0
    .symbol:         _ZN7rocprim17ROCPRIM_400000_NS6detail30init_device_scan_by_key_kernelINS1_19lookback_scan_stateINS0_5tupleIJdbEEELb1ELb0EEENS1_16block_id_wrapperIjLb0EEEEEvT_jjPNS9_10value_typeET0_.kd
    .uniform_work_group_size: 1
    .uses_dynamic_stack: false
    .vgpr_count:     6
    .vgpr_spill_count: 0
    .wavefront_size: 64
  - .agpr_count:     0
    .args:
      - .offset:         0
        .size:           136
        .value_kind:     by_value
    .group_segment_fixed_size: 0
    .kernarg_segment_align: 8
    .kernarg_segment_size: 136
    .language:       OpenCL C
    .language_version:
      - 2
      - 0
    .max_flat_workgroup_size: 128
    .name:           _ZN7rocprim17ROCPRIM_400000_NS6detail17trampoline_kernelINS0_14default_configENS1_27scan_by_key_config_selectorIidEEZZNS1_16scan_by_key_implILNS1_25lookback_scan_determinismE0ELb0ES3_N6thrust23THRUST_200600_302600_NS6detail15normal_iteratorINS9_10device_ptrIiEEEENSB_INSC_IdEEEESG_dNS9_4plusIvEENS9_8equal_toIvEEdEE10hipError_tPvRmT2_T3_T4_T5_mT6_T7_P12ihipStream_tbENKUlT_T0_E_clISt17integral_constantIbLb1EES10_IbLb0EEEEDaSW_SX_EUlSW_E_NS1_11comp_targetILNS1_3genE0ELNS1_11target_archE4294967295ELNS1_3gpuE0ELNS1_3repE0EEENS1_30default_config_static_selectorELNS0_4arch9wavefront6targetE1EEEvT1_
    .private_segment_fixed_size: 0
    .sgpr_count:     6
    .sgpr_spill_count: 0
    .symbol:         _ZN7rocprim17ROCPRIM_400000_NS6detail17trampoline_kernelINS0_14default_configENS1_27scan_by_key_config_selectorIidEEZZNS1_16scan_by_key_implILNS1_25lookback_scan_determinismE0ELb0ES3_N6thrust23THRUST_200600_302600_NS6detail15normal_iteratorINS9_10device_ptrIiEEEENSB_INSC_IdEEEESG_dNS9_4plusIvEENS9_8equal_toIvEEdEE10hipError_tPvRmT2_T3_T4_T5_mT6_T7_P12ihipStream_tbENKUlT_T0_E_clISt17integral_constantIbLb1EES10_IbLb0EEEEDaSW_SX_EUlSW_E_NS1_11comp_targetILNS1_3genE0ELNS1_11target_archE4294967295ELNS1_3gpuE0ELNS1_3repE0EEENS1_30default_config_static_selectorELNS0_4arch9wavefront6targetE1EEEvT1_.kd
    .uniform_work_group_size: 1
    .uses_dynamic_stack: false
    .vgpr_count:     0
    .vgpr_spill_count: 0
    .wavefront_size: 64
  - .agpr_count:     0
    .args:
      - .offset:         0
        .size:           136
        .value_kind:     by_value
    .group_segment_fixed_size: 0
    .kernarg_segment_align: 8
    .kernarg_segment_size: 136
    .language:       OpenCL C
    .language_version:
      - 2
      - 0
    .max_flat_workgroup_size: 256
    .name:           _ZN7rocprim17ROCPRIM_400000_NS6detail17trampoline_kernelINS0_14default_configENS1_27scan_by_key_config_selectorIidEEZZNS1_16scan_by_key_implILNS1_25lookback_scan_determinismE0ELb0ES3_N6thrust23THRUST_200600_302600_NS6detail15normal_iteratorINS9_10device_ptrIiEEEENSB_INSC_IdEEEESG_dNS9_4plusIvEENS9_8equal_toIvEEdEE10hipError_tPvRmT2_T3_T4_T5_mT6_T7_P12ihipStream_tbENKUlT_T0_E_clISt17integral_constantIbLb1EES10_IbLb0EEEEDaSW_SX_EUlSW_E_NS1_11comp_targetILNS1_3genE10ELNS1_11target_archE1201ELNS1_3gpuE5ELNS1_3repE0EEENS1_30default_config_static_selectorELNS0_4arch9wavefront6targetE1EEEvT1_
    .private_segment_fixed_size: 0
    .sgpr_count:     6
    .sgpr_spill_count: 0
    .symbol:         _ZN7rocprim17ROCPRIM_400000_NS6detail17trampoline_kernelINS0_14default_configENS1_27scan_by_key_config_selectorIidEEZZNS1_16scan_by_key_implILNS1_25lookback_scan_determinismE0ELb0ES3_N6thrust23THRUST_200600_302600_NS6detail15normal_iteratorINS9_10device_ptrIiEEEENSB_INSC_IdEEEESG_dNS9_4plusIvEENS9_8equal_toIvEEdEE10hipError_tPvRmT2_T3_T4_T5_mT6_T7_P12ihipStream_tbENKUlT_T0_E_clISt17integral_constantIbLb1EES10_IbLb0EEEEDaSW_SX_EUlSW_E_NS1_11comp_targetILNS1_3genE10ELNS1_11target_archE1201ELNS1_3gpuE5ELNS1_3repE0EEENS1_30default_config_static_selectorELNS0_4arch9wavefront6targetE1EEEvT1_.kd
    .uniform_work_group_size: 1
    .uses_dynamic_stack: false
    .vgpr_count:     0
    .vgpr_spill_count: 0
    .wavefront_size: 64
  - .agpr_count:     0
    .args:
      - .offset:         0
        .size:           136
        .value_kind:     by_value
    .group_segment_fixed_size: 43008
    .kernarg_segment_align: 8
    .kernarg_segment_size: 136
    .language:       OpenCL C
    .language_version:
      - 2
      - 0
    .max_flat_workgroup_size: 256
    .name:           _ZN7rocprim17ROCPRIM_400000_NS6detail17trampoline_kernelINS0_14default_configENS1_27scan_by_key_config_selectorIidEEZZNS1_16scan_by_key_implILNS1_25lookback_scan_determinismE0ELb0ES3_N6thrust23THRUST_200600_302600_NS6detail15normal_iteratorINS9_10device_ptrIiEEEENSB_INSC_IdEEEESG_dNS9_4plusIvEENS9_8equal_toIvEEdEE10hipError_tPvRmT2_T3_T4_T5_mT6_T7_P12ihipStream_tbENKUlT_T0_E_clISt17integral_constantIbLb1EES10_IbLb0EEEEDaSW_SX_EUlSW_E_NS1_11comp_targetILNS1_3genE5ELNS1_11target_archE942ELNS1_3gpuE9ELNS1_3repE0EEENS1_30default_config_static_selectorELNS0_4arch9wavefront6targetE1EEEvT1_
    .private_segment_fixed_size: 0
    .sgpr_count:     106
    .sgpr_spill_count: 8
    .symbol:         _ZN7rocprim17ROCPRIM_400000_NS6detail17trampoline_kernelINS0_14default_configENS1_27scan_by_key_config_selectorIidEEZZNS1_16scan_by_key_implILNS1_25lookback_scan_determinismE0ELb0ES3_N6thrust23THRUST_200600_302600_NS6detail15normal_iteratorINS9_10device_ptrIiEEEENSB_INSC_IdEEEESG_dNS9_4plusIvEENS9_8equal_toIvEEdEE10hipError_tPvRmT2_T3_T4_T5_mT6_T7_P12ihipStream_tbENKUlT_T0_E_clISt17integral_constantIbLb1EES10_IbLb0EEEEDaSW_SX_EUlSW_E_NS1_11comp_targetILNS1_3genE5ELNS1_11target_archE942ELNS1_3gpuE9ELNS1_3repE0EEENS1_30default_config_static_selectorELNS0_4arch9wavefront6targetE1EEEvT1_.kd
    .uniform_work_group_size: 1
    .uses_dynamic_stack: false
    .vgpr_count:     134
    .vgpr_spill_count: 0
    .wavefront_size: 64
  - .agpr_count:     0
    .args:
      - .offset:         0
        .size:           136
        .value_kind:     by_value
    .group_segment_fixed_size: 0
    .kernarg_segment_align: 8
    .kernarg_segment_size: 136
    .language:       OpenCL C
    .language_version:
      - 2
      - 0
    .max_flat_workgroup_size: 64
    .name:           _ZN7rocprim17ROCPRIM_400000_NS6detail17trampoline_kernelINS0_14default_configENS1_27scan_by_key_config_selectorIidEEZZNS1_16scan_by_key_implILNS1_25lookback_scan_determinismE0ELb0ES3_N6thrust23THRUST_200600_302600_NS6detail15normal_iteratorINS9_10device_ptrIiEEEENSB_INSC_IdEEEESG_dNS9_4plusIvEENS9_8equal_toIvEEdEE10hipError_tPvRmT2_T3_T4_T5_mT6_T7_P12ihipStream_tbENKUlT_T0_E_clISt17integral_constantIbLb1EES10_IbLb0EEEEDaSW_SX_EUlSW_E_NS1_11comp_targetILNS1_3genE4ELNS1_11target_archE910ELNS1_3gpuE8ELNS1_3repE0EEENS1_30default_config_static_selectorELNS0_4arch9wavefront6targetE1EEEvT1_
    .private_segment_fixed_size: 0
    .sgpr_count:     6
    .sgpr_spill_count: 0
    .symbol:         _ZN7rocprim17ROCPRIM_400000_NS6detail17trampoline_kernelINS0_14default_configENS1_27scan_by_key_config_selectorIidEEZZNS1_16scan_by_key_implILNS1_25lookback_scan_determinismE0ELb0ES3_N6thrust23THRUST_200600_302600_NS6detail15normal_iteratorINS9_10device_ptrIiEEEENSB_INSC_IdEEEESG_dNS9_4plusIvEENS9_8equal_toIvEEdEE10hipError_tPvRmT2_T3_T4_T5_mT6_T7_P12ihipStream_tbENKUlT_T0_E_clISt17integral_constantIbLb1EES10_IbLb0EEEEDaSW_SX_EUlSW_E_NS1_11comp_targetILNS1_3genE4ELNS1_11target_archE910ELNS1_3gpuE8ELNS1_3repE0EEENS1_30default_config_static_selectorELNS0_4arch9wavefront6targetE1EEEvT1_.kd
    .uniform_work_group_size: 1
    .uses_dynamic_stack: false
    .vgpr_count:     0
    .vgpr_spill_count: 0
    .wavefront_size: 64
  - .agpr_count:     0
    .args:
      - .offset:         0
        .size:           136
        .value_kind:     by_value
    .group_segment_fixed_size: 0
    .kernarg_segment_align: 8
    .kernarg_segment_size: 136
    .language:       OpenCL C
    .language_version:
      - 2
      - 0
    .max_flat_workgroup_size: 128
    .name:           _ZN7rocprim17ROCPRIM_400000_NS6detail17trampoline_kernelINS0_14default_configENS1_27scan_by_key_config_selectorIidEEZZNS1_16scan_by_key_implILNS1_25lookback_scan_determinismE0ELb0ES3_N6thrust23THRUST_200600_302600_NS6detail15normal_iteratorINS9_10device_ptrIiEEEENSB_INSC_IdEEEESG_dNS9_4plusIvEENS9_8equal_toIvEEdEE10hipError_tPvRmT2_T3_T4_T5_mT6_T7_P12ihipStream_tbENKUlT_T0_E_clISt17integral_constantIbLb1EES10_IbLb0EEEEDaSW_SX_EUlSW_E_NS1_11comp_targetILNS1_3genE3ELNS1_11target_archE908ELNS1_3gpuE7ELNS1_3repE0EEENS1_30default_config_static_selectorELNS0_4arch9wavefront6targetE1EEEvT1_
    .private_segment_fixed_size: 0
    .sgpr_count:     6
    .sgpr_spill_count: 0
    .symbol:         _ZN7rocprim17ROCPRIM_400000_NS6detail17trampoline_kernelINS0_14default_configENS1_27scan_by_key_config_selectorIidEEZZNS1_16scan_by_key_implILNS1_25lookback_scan_determinismE0ELb0ES3_N6thrust23THRUST_200600_302600_NS6detail15normal_iteratorINS9_10device_ptrIiEEEENSB_INSC_IdEEEESG_dNS9_4plusIvEENS9_8equal_toIvEEdEE10hipError_tPvRmT2_T3_T4_T5_mT6_T7_P12ihipStream_tbENKUlT_T0_E_clISt17integral_constantIbLb1EES10_IbLb0EEEEDaSW_SX_EUlSW_E_NS1_11comp_targetILNS1_3genE3ELNS1_11target_archE908ELNS1_3gpuE7ELNS1_3repE0EEENS1_30default_config_static_selectorELNS0_4arch9wavefront6targetE1EEEvT1_.kd
    .uniform_work_group_size: 1
    .uses_dynamic_stack: false
    .vgpr_count:     0
    .vgpr_spill_count: 0
    .wavefront_size: 64
  - .agpr_count:     0
    .args:
      - .offset:         0
        .size:           136
        .value_kind:     by_value
    .group_segment_fixed_size: 0
    .kernarg_segment_align: 8
    .kernarg_segment_size: 136
    .language:       OpenCL C
    .language_version:
      - 2
      - 0
    .max_flat_workgroup_size: 64
    .name:           _ZN7rocprim17ROCPRIM_400000_NS6detail17trampoline_kernelINS0_14default_configENS1_27scan_by_key_config_selectorIidEEZZNS1_16scan_by_key_implILNS1_25lookback_scan_determinismE0ELb0ES3_N6thrust23THRUST_200600_302600_NS6detail15normal_iteratorINS9_10device_ptrIiEEEENSB_INSC_IdEEEESG_dNS9_4plusIvEENS9_8equal_toIvEEdEE10hipError_tPvRmT2_T3_T4_T5_mT6_T7_P12ihipStream_tbENKUlT_T0_E_clISt17integral_constantIbLb1EES10_IbLb0EEEEDaSW_SX_EUlSW_E_NS1_11comp_targetILNS1_3genE2ELNS1_11target_archE906ELNS1_3gpuE6ELNS1_3repE0EEENS1_30default_config_static_selectorELNS0_4arch9wavefront6targetE1EEEvT1_
    .private_segment_fixed_size: 0
    .sgpr_count:     6
    .sgpr_spill_count: 0
    .symbol:         _ZN7rocprim17ROCPRIM_400000_NS6detail17trampoline_kernelINS0_14default_configENS1_27scan_by_key_config_selectorIidEEZZNS1_16scan_by_key_implILNS1_25lookback_scan_determinismE0ELb0ES3_N6thrust23THRUST_200600_302600_NS6detail15normal_iteratorINS9_10device_ptrIiEEEENSB_INSC_IdEEEESG_dNS9_4plusIvEENS9_8equal_toIvEEdEE10hipError_tPvRmT2_T3_T4_T5_mT6_T7_P12ihipStream_tbENKUlT_T0_E_clISt17integral_constantIbLb1EES10_IbLb0EEEEDaSW_SX_EUlSW_E_NS1_11comp_targetILNS1_3genE2ELNS1_11target_archE906ELNS1_3gpuE6ELNS1_3repE0EEENS1_30default_config_static_selectorELNS0_4arch9wavefront6targetE1EEEvT1_.kd
    .uniform_work_group_size: 1
    .uses_dynamic_stack: false
    .vgpr_count:     0
    .vgpr_spill_count: 0
    .wavefront_size: 64
  - .agpr_count:     0
    .args:
      - .offset:         0
        .size:           136
        .value_kind:     by_value
    .group_segment_fixed_size: 0
    .kernarg_segment_align: 8
    .kernarg_segment_size: 136
    .language:       OpenCL C
    .language_version:
      - 2
      - 0
    .max_flat_workgroup_size: 256
    .name:           _ZN7rocprim17ROCPRIM_400000_NS6detail17trampoline_kernelINS0_14default_configENS1_27scan_by_key_config_selectorIidEEZZNS1_16scan_by_key_implILNS1_25lookback_scan_determinismE0ELb0ES3_N6thrust23THRUST_200600_302600_NS6detail15normal_iteratorINS9_10device_ptrIiEEEENSB_INSC_IdEEEESG_dNS9_4plusIvEENS9_8equal_toIvEEdEE10hipError_tPvRmT2_T3_T4_T5_mT6_T7_P12ihipStream_tbENKUlT_T0_E_clISt17integral_constantIbLb1EES10_IbLb0EEEEDaSW_SX_EUlSW_E_NS1_11comp_targetILNS1_3genE10ELNS1_11target_archE1200ELNS1_3gpuE4ELNS1_3repE0EEENS1_30default_config_static_selectorELNS0_4arch9wavefront6targetE1EEEvT1_
    .private_segment_fixed_size: 0
    .sgpr_count:     6
    .sgpr_spill_count: 0
    .symbol:         _ZN7rocprim17ROCPRIM_400000_NS6detail17trampoline_kernelINS0_14default_configENS1_27scan_by_key_config_selectorIidEEZZNS1_16scan_by_key_implILNS1_25lookback_scan_determinismE0ELb0ES3_N6thrust23THRUST_200600_302600_NS6detail15normal_iteratorINS9_10device_ptrIiEEEENSB_INSC_IdEEEESG_dNS9_4plusIvEENS9_8equal_toIvEEdEE10hipError_tPvRmT2_T3_T4_T5_mT6_T7_P12ihipStream_tbENKUlT_T0_E_clISt17integral_constantIbLb1EES10_IbLb0EEEEDaSW_SX_EUlSW_E_NS1_11comp_targetILNS1_3genE10ELNS1_11target_archE1200ELNS1_3gpuE4ELNS1_3repE0EEENS1_30default_config_static_selectorELNS0_4arch9wavefront6targetE1EEEvT1_.kd
    .uniform_work_group_size: 1
    .uses_dynamic_stack: false
    .vgpr_count:     0
    .vgpr_spill_count: 0
    .wavefront_size: 64
  - .agpr_count:     0
    .args:
      - .offset:         0
        .size:           136
        .value_kind:     by_value
    .group_segment_fixed_size: 0
    .kernarg_segment_align: 8
    .kernarg_segment_size: 136
    .language:       OpenCL C
    .language_version:
      - 2
      - 0
    .max_flat_workgroup_size: 256
    .name:           _ZN7rocprim17ROCPRIM_400000_NS6detail17trampoline_kernelINS0_14default_configENS1_27scan_by_key_config_selectorIidEEZZNS1_16scan_by_key_implILNS1_25lookback_scan_determinismE0ELb0ES3_N6thrust23THRUST_200600_302600_NS6detail15normal_iteratorINS9_10device_ptrIiEEEENSB_INSC_IdEEEESG_dNS9_4plusIvEENS9_8equal_toIvEEdEE10hipError_tPvRmT2_T3_T4_T5_mT6_T7_P12ihipStream_tbENKUlT_T0_E_clISt17integral_constantIbLb1EES10_IbLb0EEEEDaSW_SX_EUlSW_E_NS1_11comp_targetILNS1_3genE9ELNS1_11target_archE1100ELNS1_3gpuE3ELNS1_3repE0EEENS1_30default_config_static_selectorELNS0_4arch9wavefront6targetE1EEEvT1_
    .private_segment_fixed_size: 0
    .sgpr_count:     6
    .sgpr_spill_count: 0
    .symbol:         _ZN7rocprim17ROCPRIM_400000_NS6detail17trampoline_kernelINS0_14default_configENS1_27scan_by_key_config_selectorIidEEZZNS1_16scan_by_key_implILNS1_25lookback_scan_determinismE0ELb0ES3_N6thrust23THRUST_200600_302600_NS6detail15normal_iteratorINS9_10device_ptrIiEEEENSB_INSC_IdEEEESG_dNS9_4plusIvEENS9_8equal_toIvEEdEE10hipError_tPvRmT2_T3_T4_T5_mT6_T7_P12ihipStream_tbENKUlT_T0_E_clISt17integral_constantIbLb1EES10_IbLb0EEEEDaSW_SX_EUlSW_E_NS1_11comp_targetILNS1_3genE9ELNS1_11target_archE1100ELNS1_3gpuE3ELNS1_3repE0EEENS1_30default_config_static_selectorELNS0_4arch9wavefront6targetE1EEEvT1_.kd
    .uniform_work_group_size: 1
    .uses_dynamic_stack: false
    .vgpr_count:     0
    .vgpr_spill_count: 0
    .wavefront_size: 64
  - .agpr_count:     0
    .args:
      - .offset:         0
        .size:           136
        .value_kind:     by_value
    .group_segment_fixed_size: 0
    .kernarg_segment_align: 8
    .kernarg_segment_size: 136
    .language:       OpenCL C
    .language_version:
      - 2
      - 0
    .max_flat_workgroup_size: 256
    .name:           _ZN7rocprim17ROCPRIM_400000_NS6detail17trampoline_kernelINS0_14default_configENS1_27scan_by_key_config_selectorIidEEZZNS1_16scan_by_key_implILNS1_25lookback_scan_determinismE0ELb0ES3_N6thrust23THRUST_200600_302600_NS6detail15normal_iteratorINS9_10device_ptrIiEEEENSB_INSC_IdEEEESG_dNS9_4plusIvEENS9_8equal_toIvEEdEE10hipError_tPvRmT2_T3_T4_T5_mT6_T7_P12ihipStream_tbENKUlT_T0_E_clISt17integral_constantIbLb1EES10_IbLb0EEEEDaSW_SX_EUlSW_E_NS1_11comp_targetILNS1_3genE8ELNS1_11target_archE1030ELNS1_3gpuE2ELNS1_3repE0EEENS1_30default_config_static_selectorELNS0_4arch9wavefront6targetE1EEEvT1_
    .private_segment_fixed_size: 0
    .sgpr_count:     6
    .sgpr_spill_count: 0
    .symbol:         _ZN7rocprim17ROCPRIM_400000_NS6detail17trampoline_kernelINS0_14default_configENS1_27scan_by_key_config_selectorIidEEZZNS1_16scan_by_key_implILNS1_25lookback_scan_determinismE0ELb0ES3_N6thrust23THRUST_200600_302600_NS6detail15normal_iteratorINS9_10device_ptrIiEEEENSB_INSC_IdEEEESG_dNS9_4plusIvEENS9_8equal_toIvEEdEE10hipError_tPvRmT2_T3_T4_T5_mT6_T7_P12ihipStream_tbENKUlT_T0_E_clISt17integral_constantIbLb1EES10_IbLb0EEEEDaSW_SX_EUlSW_E_NS1_11comp_targetILNS1_3genE8ELNS1_11target_archE1030ELNS1_3gpuE2ELNS1_3repE0EEENS1_30default_config_static_selectorELNS0_4arch9wavefront6targetE1EEEvT1_.kd
    .uniform_work_group_size: 1
    .uses_dynamic_stack: false
    .vgpr_count:     0
    .vgpr_spill_count: 0
    .wavefront_size: 64
  - .agpr_count:     0
    .args:
      - .offset:         0
        .size:           24
        .value_kind:     by_value
      - .offset:         24
        .size:           4
        .value_kind:     by_value
      - .offset:         28
        .size:           4
        .value_kind:     by_value
      - .address_space:  global
        .offset:         32
        .size:           8
        .value_kind:     global_buffer
      - .address_space:  global
        .offset:         40
        .size:           8
        .value_kind:     global_buffer
      - .actual_access:  write_only
        .address_space:  global
        .offset:         48
        .size:           8
        .value_kind:     global_buffer
      - .offset:         56
        .size:           8
        .value_kind:     by_value
      - .offset:         64
        .size:           4
        .value_kind:     by_value
      - .address_space:  global
        .offset:         72
        .size:           8
        .value_kind:     global_buffer
      - .offset:         80
        .size:           4
        .value_kind:     hidden_block_count_x
      - .offset:         84
        .size:           4
        .value_kind:     hidden_block_count_y
      - .offset:         88
        .size:           4
        .value_kind:     hidden_block_count_z
      - .offset:         92
        .size:           2
        .value_kind:     hidden_group_size_x
      - .offset:         94
        .size:           2
        .value_kind:     hidden_group_size_y
      - .offset:         96
        .size:           2
        .value_kind:     hidden_group_size_z
      - .offset:         98
        .size:           2
        .value_kind:     hidden_remainder_x
      - .offset:         100
        .size:           2
        .value_kind:     hidden_remainder_y
      - .offset:         102
        .size:           2
        .value_kind:     hidden_remainder_z
      - .offset:         120
        .size:           8
        .value_kind:     hidden_global_offset_x
      - .offset:         128
        .size:           8
        .value_kind:     hidden_global_offset_y
      - .offset:         136
        .size:           8
        .value_kind:     hidden_global_offset_z
      - .offset:         144
        .size:           2
        .value_kind:     hidden_grid_dims
    .group_segment_fixed_size: 0
    .kernarg_segment_align: 8
    .kernarg_segment_size: 336
    .language:       OpenCL C
    .language_version:
      - 2
      - 0
    .max_flat_workgroup_size: 256
    .name:           _ZN7rocprim17ROCPRIM_400000_NS6detail30init_device_scan_by_key_kernelINS1_19lookback_scan_stateINS0_5tupleIJdbEEELb0ELb0EEEN6thrust23THRUST_200600_302600_NS6detail15normal_iteratorINS8_10device_ptrIiEEEEjNS1_16block_id_wrapperIjLb1EEEEEvT_jjPNSG_10value_typeET0_PNSt15iterator_traitsISJ_E10value_typeEmT1_T2_
    .private_segment_fixed_size: 0
    .sgpr_count:     28
    .sgpr_spill_count: 0
    .symbol:         _ZN7rocprim17ROCPRIM_400000_NS6detail30init_device_scan_by_key_kernelINS1_19lookback_scan_stateINS0_5tupleIJdbEEELb0ELb0EEEN6thrust23THRUST_200600_302600_NS6detail15normal_iteratorINS8_10device_ptrIiEEEEjNS1_16block_id_wrapperIjLb1EEEEEvT_jjPNSG_10value_typeET0_PNSt15iterator_traitsISJ_E10value_typeEmT1_T2_.kd
    .uniform_work_group_size: 1
    .uses_dynamic_stack: false
    .vgpr_count:     7
    .vgpr_spill_count: 0
    .wavefront_size: 64
  - .agpr_count:     0
    .args:
      - .offset:         0
        .size:           24
        .value_kind:     by_value
      - .offset:         24
        .size:           4
        .value_kind:     by_value
      - .offset:         28
        .size:           4
        .value_kind:     by_value
      - .address_space:  global
        .offset:         32
        .size:           8
        .value_kind:     global_buffer
      - .address_space:  global
        .offset:         40
        .size:           8
        .value_kind:     global_buffer
      - .offset:         48
        .size:           4
        .value_kind:     hidden_block_count_x
      - .offset:         52
        .size:           4
        .value_kind:     hidden_block_count_y
      - .offset:         56
        .size:           4
        .value_kind:     hidden_block_count_z
      - .offset:         60
        .size:           2
        .value_kind:     hidden_group_size_x
      - .offset:         62
        .size:           2
        .value_kind:     hidden_group_size_y
      - .offset:         64
        .size:           2
        .value_kind:     hidden_group_size_z
      - .offset:         66
        .size:           2
        .value_kind:     hidden_remainder_x
      - .offset:         68
        .size:           2
        .value_kind:     hidden_remainder_y
      - .offset:         70
        .size:           2
        .value_kind:     hidden_remainder_z
      - .offset:         88
        .size:           8
        .value_kind:     hidden_global_offset_x
      - .offset:         96
        .size:           8
        .value_kind:     hidden_global_offset_y
      - .offset:         104
        .size:           8
        .value_kind:     hidden_global_offset_z
      - .offset:         112
        .size:           2
        .value_kind:     hidden_grid_dims
    .group_segment_fixed_size: 0
    .kernarg_segment_align: 8
    .kernarg_segment_size: 304
    .language:       OpenCL C
    .language_version:
      - 2
      - 0
    .max_flat_workgroup_size: 256
    .name:           _ZN7rocprim17ROCPRIM_400000_NS6detail30init_device_scan_by_key_kernelINS1_19lookback_scan_stateINS0_5tupleIJdbEEELb0ELb0EEENS1_16block_id_wrapperIjLb1EEEEEvT_jjPNS9_10value_typeET0_
    .private_segment_fixed_size: 0
    .sgpr_count:     24
    .sgpr_spill_count: 0
    .symbol:         _ZN7rocprim17ROCPRIM_400000_NS6detail30init_device_scan_by_key_kernelINS1_19lookback_scan_stateINS0_5tupleIJdbEEELb0ELb0EEENS1_16block_id_wrapperIjLb1EEEEEvT_jjPNS9_10value_typeET0_.kd
    .uniform_work_group_size: 1
    .uses_dynamic_stack: false
    .vgpr_count:     6
    .vgpr_spill_count: 0
    .wavefront_size: 64
  - .agpr_count:     0
    .args:
      - .offset:         0
        .size:           136
        .value_kind:     by_value
    .group_segment_fixed_size: 0
    .kernarg_segment_align: 8
    .kernarg_segment_size: 136
    .language:       OpenCL C
    .language_version:
      - 2
      - 0
    .max_flat_workgroup_size: 128
    .name:           _ZN7rocprim17ROCPRIM_400000_NS6detail17trampoline_kernelINS0_14default_configENS1_27scan_by_key_config_selectorIidEEZZNS1_16scan_by_key_implILNS1_25lookback_scan_determinismE0ELb0ES3_N6thrust23THRUST_200600_302600_NS6detail15normal_iteratorINS9_10device_ptrIiEEEENSB_INSC_IdEEEESG_dNS9_4plusIvEENS9_8equal_toIvEEdEE10hipError_tPvRmT2_T3_T4_T5_mT6_T7_P12ihipStream_tbENKUlT_T0_E_clISt17integral_constantIbLb0EES10_IbLb1EEEEDaSW_SX_EUlSW_E_NS1_11comp_targetILNS1_3genE0ELNS1_11target_archE4294967295ELNS1_3gpuE0ELNS1_3repE0EEENS1_30default_config_static_selectorELNS0_4arch9wavefront6targetE1EEEvT1_
    .private_segment_fixed_size: 0
    .sgpr_count:     6
    .sgpr_spill_count: 0
    .symbol:         _ZN7rocprim17ROCPRIM_400000_NS6detail17trampoline_kernelINS0_14default_configENS1_27scan_by_key_config_selectorIidEEZZNS1_16scan_by_key_implILNS1_25lookback_scan_determinismE0ELb0ES3_N6thrust23THRUST_200600_302600_NS6detail15normal_iteratorINS9_10device_ptrIiEEEENSB_INSC_IdEEEESG_dNS9_4plusIvEENS9_8equal_toIvEEdEE10hipError_tPvRmT2_T3_T4_T5_mT6_T7_P12ihipStream_tbENKUlT_T0_E_clISt17integral_constantIbLb0EES10_IbLb1EEEEDaSW_SX_EUlSW_E_NS1_11comp_targetILNS1_3genE0ELNS1_11target_archE4294967295ELNS1_3gpuE0ELNS1_3repE0EEENS1_30default_config_static_selectorELNS0_4arch9wavefront6targetE1EEEvT1_.kd
    .uniform_work_group_size: 1
    .uses_dynamic_stack: false
    .vgpr_count:     0
    .vgpr_spill_count: 0
    .wavefront_size: 64
  - .agpr_count:     0
    .args:
      - .offset:         0
        .size:           136
        .value_kind:     by_value
    .group_segment_fixed_size: 0
    .kernarg_segment_align: 8
    .kernarg_segment_size: 136
    .language:       OpenCL C
    .language_version:
      - 2
      - 0
    .max_flat_workgroup_size: 256
    .name:           _ZN7rocprim17ROCPRIM_400000_NS6detail17trampoline_kernelINS0_14default_configENS1_27scan_by_key_config_selectorIidEEZZNS1_16scan_by_key_implILNS1_25lookback_scan_determinismE0ELb0ES3_N6thrust23THRUST_200600_302600_NS6detail15normal_iteratorINS9_10device_ptrIiEEEENSB_INSC_IdEEEESG_dNS9_4plusIvEENS9_8equal_toIvEEdEE10hipError_tPvRmT2_T3_T4_T5_mT6_T7_P12ihipStream_tbENKUlT_T0_E_clISt17integral_constantIbLb0EES10_IbLb1EEEEDaSW_SX_EUlSW_E_NS1_11comp_targetILNS1_3genE10ELNS1_11target_archE1201ELNS1_3gpuE5ELNS1_3repE0EEENS1_30default_config_static_selectorELNS0_4arch9wavefront6targetE1EEEvT1_
    .private_segment_fixed_size: 0
    .sgpr_count:     6
    .sgpr_spill_count: 0
    .symbol:         _ZN7rocprim17ROCPRIM_400000_NS6detail17trampoline_kernelINS0_14default_configENS1_27scan_by_key_config_selectorIidEEZZNS1_16scan_by_key_implILNS1_25lookback_scan_determinismE0ELb0ES3_N6thrust23THRUST_200600_302600_NS6detail15normal_iteratorINS9_10device_ptrIiEEEENSB_INSC_IdEEEESG_dNS9_4plusIvEENS9_8equal_toIvEEdEE10hipError_tPvRmT2_T3_T4_T5_mT6_T7_P12ihipStream_tbENKUlT_T0_E_clISt17integral_constantIbLb0EES10_IbLb1EEEEDaSW_SX_EUlSW_E_NS1_11comp_targetILNS1_3genE10ELNS1_11target_archE1201ELNS1_3gpuE5ELNS1_3repE0EEENS1_30default_config_static_selectorELNS0_4arch9wavefront6targetE1EEEvT1_.kd
    .uniform_work_group_size: 1
    .uses_dynamic_stack: false
    .vgpr_count:     0
    .vgpr_spill_count: 0
    .wavefront_size: 64
  - .agpr_count:     0
    .args:
      - .offset:         0
        .size:           136
        .value_kind:     by_value
    .group_segment_fixed_size: 43008
    .kernarg_segment_align: 8
    .kernarg_segment_size: 136
    .language:       OpenCL C
    .language_version:
      - 2
      - 0
    .max_flat_workgroup_size: 256
    .name:           _ZN7rocprim17ROCPRIM_400000_NS6detail17trampoline_kernelINS0_14default_configENS1_27scan_by_key_config_selectorIidEEZZNS1_16scan_by_key_implILNS1_25lookback_scan_determinismE0ELb0ES3_N6thrust23THRUST_200600_302600_NS6detail15normal_iteratorINS9_10device_ptrIiEEEENSB_INSC_IdEEEESG_dNS9_4plusIvEENS9_8equal_toIvEEdEE10hipError_tPvRmT2_T3_T4_T5_mT6_T7_P12ihipStream_tbENKUlT_T0_E_clISt17integral_constantIbLb0EES10_IbLb1EEEEDaSW_SX_EUlSW_E_NS1_11comp_targetILNS1_3genE5ELNS1_11target_archE942ELNS1_3gpuE9ELNS1_3repE0EEENS1_30default_config_static_selectorELNS0_4arch9wavefront6targetE1EEEvT1_
    .private_segment_fixed_size: 0
    .sgpr_count:     106
    .sgpr_spill_count: 10
    .symbol:         _ZN7rocprim17ROCPRIM_400000_NS6detail17trampoline_kernelINS0_14default_configENS1_27scan_by_key_config_selectorIidEEZZNS1_16scan_by_key_implILNS1_25lookback_scan_determinismE0ELb0ES3_N6thrust23THRUST_200600_302600_NS6detail15normal_iteratorINS9_10device_ptrIiEEEENSB_INSC_IdEEEESG_dNS9_4plusIvEENS9_8equal_toIvEEdEE10hipError_tPvRmT2_T3_T4_T5_mT6_T7_P12ihipStream_tbENKUlT_T0_E_clISt17integral_constantIbLb0EES10_IbLb1EEEEDaSW_SX_EUlSW_E_NS1_11comp_targetILNS1_3genE5ELNS1_11target_archE942ELNS1_3gpuE9ELNS1_3repE0EEENS1_30default_config_static_selectorELNS0_4arch9wavefront6targetE1EEEvT1_.kd
    .uniform_work_group_size: 1
    .uses_dynamic_stack: false
    .vgpr_count:     134
    .vgpr_spill_count: 0
    .wavefront_size: 64
  - .agpr_count:     0
    .args:
      - .offset:         0
        .size:           136
        .value_kind:     by_value
    .group_segment_fixed_size: 0
    .kernarg_segment_align: 8
    .kernarg_segment_size: 136
    .language:       OpenCL C
    .language_version:
      - 2
      - 0
    .max_flat_workgroup_size: 64
    .name:           _ZN7rocprim17ROCPRIM_400000_NS6detail17trampoline_kernelINS0_14default_configENS1_27scan_by_key_config_selectorIidEEZZNS1_16scan_by_key_implILNS1_25lookback_scan_determinismE0ELb0ES3_N6thrust23THRUST_200600_302600_NS6detail15normal_iteratorINS9_10device_ptrIiEEEENSB_INSC_IdEEEESG_dNS9_4plusIvEENS9_8equal_toIvEEdEE10hipError_tPvRmT2_T3_T4_T5_mT6_T7_P12ihipStream_tbENKUlT_T0_E_clISt17integral_constantIbLb0EES10_IbLb1EEEEDaSW_SX_EUlSW_E_NS1_11comp_targetILNS1_3genE4ELNS1_11target_archE910ELNS1_3gpuE8ELNS1_3repE0EEENS1_30default_config_static_selectorELNS0_4arch9wavefront6targetE1EEEvT1_
    .private_segment_fixed_size: 0
    .sgpr_count:     6
    .sgpr_spill_count: 0
    .symbol:         _ZN7rocprim17ROCPRIM_400000_NS6detail17trampoline_kernelINS0_14default_configENS1_27scan_by_key_config_selectorIidEEZZNS1_16scan_by_key_implILNS1_25lookback_scan_determinismE0ELb0ES3_N6thrust23THRUST_200600_302600_NS6detail15normal_iteratorINS9_10device_ptrIiEEEENSB_INSC_IdEEEESG_dNS9_4plusIvEENS9_8equal_toIvEEdEE10hipError_tPvRmT2_T3_T4_T5_mT6_T7_P12ihipStream_tbENKUlT_T0_E_clISt17integral_constantIbLb0EES10_IbLb1EEEEDaSW_SX_EUlSW_E_NS1_11comp_targetILNS1_3genE4ELNS1_11target_archE910ELNS1_3gpuE8ELNS1_3repE0EEENS1_30default_config_static_selectorELNS0_4arch9wavefront6targetE1EEEvT1_.kd
    .uniform_work_group_size: 1
    .uses_dynamic_stack: false
    .vgpr_count:     0
    .vgpr_spill_count: 0
    .wavefront_size: 64
  - .agpr_count:     0
    .args:
      - .offset:         0
        .size:           136
        .value_kind:     by_value
    .group_segment_fixed_size: 0
    .kernarg_segment_align: 8
    .kernarg_segment_size: 136
    .language:       OpenCL C
    .language_version:
      - 2
      - 0
    .max_flat_workgroup_size: 128
    .name:           _ZN7rocprim17ROCPRIM_400000_NS6detail17trampoline_kernelINS0_14default_configENS1_27scan_by_key_config_selectorIidEEZZNS1_16scan_by_key_implILNS1_25lookback_scan_determinismE0ELb0ES3_N6thrust23THRUST_200600_302600_NS6detail15normal_iteratorINS9_10device_ptrIiEEEENSB_INSC_IdEEEESG_dNS9_4plusIvEENS9_8equal_toIvEEdEE10hipError_tPvRmT2_T3_T4_T5_mT6_T7_P12ihipStream_tbENKUlT_T0_E_clISt17integral_constantIbLb0EES10_IbLb1EEEEDaSW_SX_EUlSW_E_NS1_11comp_targetILNS1_3genE3ELNS1_11target_archE908ELNS1_3gpuE7ELNS1_3repE0EEENS1_30default_config_static_selectorELNS0_4arch9wavefront6targetE1EEEvT1_
    .private_segment_fixed_size: 0
    .sgpr_count:     6
    .sgpr_spill_count: 0
    .symbol:         _ZN7rocprim17ROCPRIM_400000_NS6detail17trampoline_kernelINS0_14default_configENS1_27scan_by_key_config_selectorIidEEZZNS1_16scan_by_key_implILNS1_25lookback_scan_determinismE0ELb0ES3_N6thrust23THRUST_200600_302600_NS6detail15normal_iteratorINS9_10device_ptrIiEEEENSB_INSC_IdEEEESG_dNS9_4plusIvEENS9_8equal_toIvEEdEE10hipError_tPvRmT2_T3_T4_T5_mT6_T7_P12ihipStream_tbENKUlT_T0_E_clISt17integral_constantIbLb0EES10_IbLb1EEEEDaSW_SX_EUlSW_E_NS1_11comp_targetILNS1_3genE3ELNS1_11target_archE908ELNS1_3gpuE7ELNS1_3repE0EEENS1_30default_config_static_selectorELNS0_4arch9wavefront6targetE1EEEvT1_.kd
    .uniform_work_group_size: 1
    .uses_dynamic_stack: false
    .vgpr_count:     0
    .vgpr_spill_count: 0
    .wavefront_size: 64
  - .agpr_count:     0
    .args:
      - .offset:         0
        .size:           136
        .value_kind:     by_value
    .group_segment_fixed_size: 0
    .kernarg_segment_align: 8
    .kernarg_segment_size: 136
    .language:       OpenCL C
    .language_version:
      - 2
      - 0
    .max_flat_workgroup_size: 64
    .name:           _ZN7rocprim17ROCPRIM_400000_NS6detail17trampoline_kernelINS0_14default_configENS1_27scan_by_key_config_selectorIidEEZZNS1_16scan_by_key_implILNS1_25lookback_scan_determinismE0ELb0ES3_N6thrust23THRUST_200600_302600_NS6detail15normal_iteratorINS9_10device_ptrIiEEEENSB_INSC_IdEEEESG_dNS9_4plusIvEENS9_8equal_toIvEEdEE10hipError_tPvRmT2_T3_T4_T5_mT6_T7_P12ihipStream_tbENKUlT_T0_E_clISt17integral_constantIbLb0EES10_IbLb1EEEEDaSW_SX_EUlSW_E_NS1_11comp_targetILNS1_3genE2ELNS1_11target_archE906ELNS1_3gpuE6ELNS1_3repE0EEENS1_30default_config_static_selectorELNS0_4arch9wavefront6targetE1EEEvT1_
    .private_segment_fixed_size: 0
    .sgpr_count:     6
    .sgpr_spill_count: 0
    .symbol:         _ZN7rocprim17ROCPRIM_400000_NS6detail17trampoline_kernelINS0_14default_configENS1_27scan_by_key_config_selectorIidEEZZNS1_16scan_by_key_implILNS1_25lookback_scan_determinismE0ELb0ES3_N6thrust23THRUST_200600_302600_NS6detail15normal_iteratorINS9_10device_ptrIiEEEENSB_INSC_IdEEEESG_dNS9_4plusIvEENS9_8equal_toIvEEdEE10hipError_tPvRmT2_T3_T4_T5_mT6_T7_P12ihipStream_tbENKUlT_T0_E_clISt17integral_constantIbLb0EES10_IbLb1EEEEDaSW_SX_EUlSW_E_NS1_11comp_targetILNS1_3genE2ELNS1_11target_archE906ELNS1_3gpuE6ELNS1_3repE0EEENS1_30default_config_static_selectorELNS0_4arch9wavefront6targetE1EEEvT1_.kd
    .uniform_work_group_size: 1
    .uses_dynamic_stack: false
    .vgpr_count:     0
    .vgpr_spill_count: 0
    .wavefront_size: 64
  - .agpr_count:     0
    .args:
      - .offset:         0
        .size:           136
        .value_kind:     by_value
    .group_segment_fixed_size: 0
    .kernarg_segment_align: 8
    .kernarg_segment_size: 136
    .language:       OpenCL C
    .language_version:
      - 2
      - 0
    .max_flat_workgroup_size: 256
    .name:           _ZN7rocprim17ROCPRIM_400000_NS6detail17trampoline_kernelINS0_14default_configENS1_27scan_by_key_config_selectorIidEEZZNS1_16scan_by_key_implILNS1_25lookback_scan_determinismE0ELb0ES3_N6thrust23THRUST_200600_302600_NS6detail15normal_iteratorINS9_10device_ptrIiEEEENSB_INSC_IdEEEESG_dNS9_4plusIvEENS9_8equal_toIvEEdEE10hipError_tPvRmT2_T3_T4_T5_mT6_T7_P12ihipStream_tbENKUlT_T0_E_clISt17integral_constantIbLb0EES10_IbLb1EEEEDaSW_SX_EUlSW_E_NS1_11comp_targetILNS1_3genE10ELNS1_11target_archE1200ELNS1_3gpuE4ELNS1_3repE0EEENS1_30default_config_static_selectorELNS0_4arch9wavefront6targetE1EEEvT1_
    .private_segment_fixed_size: 0
    .sgpr_count:     6
    .sgpr_spill_count: 0
    .symbol:         _ZN7rocprim17ROCPRIM_400000_NS6detail17trampoline_kernelINS0_14default_configENS1_27scan_by_key_config_selectorIidEEZZNS1_16scan_by_key_implILNS1_25lookback_scan_determinismE0ELb0ES3_N6thrust23THRUST_200600_302600_NS6detail15normal_iteratorINS9_10device_ptrIiEEEENSB_INSC_IdEEEESG_dNS9_4plusIvEENS9_8equal_toIvEEdEE10hipError_tPvRmT2_T3_T4_T5_mT6_T7_P12ihipStream_tbENKUlT_T0_E_clISt17integral_constantIbLb0EES10_IbLb1EEEEDaSW_SX_EUlSW_E_NS1_11comp_targetILNS1_3genE10ELNS1_11target_archE1200ELNS1_3gpuE4ELNS1_3repE0EEENS1_30default_config_static_selectorELNS0_4arch9wavefront6targetE1EEEvT1_.kd
    .uniform_work_group_size: 1
    .uses_dynamic_stack: false
    .vgpr_count:     0
    .vgpr_spill_count: 0
    .wavefront_size: 64
  - .agpr_count:     0
    .args:
      - .offset:         0
        .size:           136
        .value_kind:     by_value
    .group_segment_fixed_size: 0
    .kernarg_segment_align: 8
    .kernarg_segment_size: 136
    .language:       OpenCL C
    .language_version:
      - 2
      - 0
    .max_flat_workgroup_size: 256
    .name:           _ZN7rocprim17ROCPRIM_400000_NS6detail17trampoline_kernelINS0_14default_configENS1_27scan_by_key_config_selectorIidEEZZNS1_16scan_by_key_implILNS1_25lookback_scan_determinismE0ELb0ES3_N6thrust23THRUST_200600_302600_NS6detail15normal_iteratorINS9_10device_ptrIiEEEENSB_INSC_IdEEEESG_dNS9_4plusIvEENS9_8equal_toIvEEdEE10hipError_tPvRmT2_T3_T4_T5_mT6_T7_P12ihipStream_tbENKUlT_T0_E_clISt17integral_constantIbLb0EES10_IbLb1EEEEDaSW_SX_EUlSW_E_NS1_11comp_targetILNS1_3genE9ELNS1_11target_archE1100ELNS1_3gpuE3ELNS1_3repE0EEENS1_30default_config_static_selectorELNS0_4arch9wavefront6targetE1EEEvT1_
    .private_segment_fixed_size: 0
    .sgpr_count:     6
    .sgpr_spill_count: 0
    .symbol:         _ZN7rocprim17ROCPRIM_400000_NS6detail17trampoline_kernelINS0_14default_configENS1_27scan_by_key_config_selectorIidEEZZNS1_16scan_by_key_implILNS1_25lookback_scan_determinismE0ELb0ES3_N6thrust23THRUST_200600_302600_NS6detail15normal_iteratorINS9_10device_ptrIiEEEENSB_INSC_IdEEEESG_dNS9_4plusIvEENS9_8equal_toIvEEdEE10hipError_tPvRmT2_T3_T4_T5_mT6_T7_P12ihipStream_tbENKUlT_T0_E_clISt17integral_constantIbLb0EES10_IbLb1EEEEDaSW_SX_EUlSW_E_NS1_11comp_targetILNS1_3genE9ELNS1_11target_archE1100ELNS1_3gpuE3ELNS1_3repE0EEENS1_30default_config_static_selectorELNS0_4arch9wavefront6targetE1EEEvT1_.kd
    .uniform_work_group_size: 1
    .uses_dynamic_stack: false
    .vgpr_count:     0
    .vgpr_spill_count: 0
    .wavefront_size: 64
  - .agpr_count:     0
    .args:
      - .offset:         0
        .size:           136
        .value_kind:     by_value
    .group_segment_fixed_size: 0
    .kernarg_segment_align: 8
    .kernarg_segment_size: 136
    .language:       OpenCL C
    .language_version:
      - 2
      - 0
    .max_flat_workgroup_size: 256
    .name:           _ZN7rocprim17ROCPRIM_400000_NS6detail17trampoline_kernelINS0_14default_configENS1_27scan_by_key_config_selectorIidEEZZNS1_16scan_by_key_implILNS1_25lookback_scan_determinismE0ELb0ES3_N6thrust23THRUST_200600_302600_NS6detail15normal_iteratorINS9_10device_ptrIiEEEENSB_INSC_IdEEEESG_dNS9_4plusIvEENS9_8equal_toIvEEdEE10hipError_tPvRmT2_T3_T4_T5_mT6_T7_P12ihipStream_tbENKUlT_T0_E_clISt17integral_constantIbLb0EES10_IbLb1EEEEDaSW_SX_EUlSW_E_NS1_11comp_targetILNS1_3genE8ELNS1_11target_archE1030ELNS1_3gpuE2ELNS1_3repE0EEENS1_30default_config_static_selectorELNS0_4arch9wavefront6targetE1EEEvT1_
    .private_segment_fixed_size: 0
    .sgpr_count:     6
    .sgpr_spill_count: 0
    .symbol:         _ZN7rocprim17ROCPRIM_400000_NS6detail17trampoline_kernelINS0_14default_configENS1_27scan_by_key_config_selectorIidEEZZNS1_16scan_by_key_implILNS1_25lookback_scan_determinismE0ELb0ES3_N6thrust23THRUST_200600_302600_NS6detail15normal_iteratorINS9_10device_ptrIiEEEENSB_INSC_IdEEEESG_dNS9_4plusIvEENS9_8equal_toIvEEdEE10hipError_tPvRmT2_T3_T4_T5_mT6_T7_P12ihipStream_tbENKUlT_T0_E_clISt17integral_constantIbLb0EES10_IbLb1EEEEDaSW_SX_EUlSW_E_NS1_11comp_targetILNS1_3genE8ELNS1_11target_archE1030ELNS1_3gpuE2ELNS1_3repE0EEENS1_30default_config_static_selectorELNS0_4arch9wavefront6targetE1EEEvT1_.kd
    .uniform_work_group_size: 1
    .uses_dynamic_stack: false
    .vgpr_count:     0
    .vgpr_spill_count: 0
    .wavefront_size: 64
  - .agpr_count:     0
    .args:
      - .offset:         0
        .size:           24
        .value_kind:     by_value
      - .offset:         24
        .size:           8
        .value_kind:     by_value
      - .offset:         32
        .size:           8
        .value_kind:     by_value
    .group_segment_fixed_size: 0
    .kernarg_segment_align: 8
    .kernarg_segment_size: 40
    .language:       OpenCL C
    .language_version:
      - 2
      - 0
    .max_flat_workgroup_size: 256
    .name:           _ZN6thrust23THRUST_200600_302600_NS11hip_rocprim14__parallel_for6kernelILj256ENS1_11__transform17unary_transform_fINS0_7pointerIiNS1_3tagENS0_11use_defaultES8_EENS0_10device_ptrIfEENS4_14no_stencil_tagENS0_8identityIiEENS4_21always_true_predicateEEElLj1EEEvT0_T1_SI_
    .private_segment_fixed_size: 0
    .sgpr_count:     18
    .sgpr_spill_count: 0
    .symbol:         _ZN6thrust23THRUST_200600_302600_NS11hip_rocprim14__parallel_for6kernelILj256ENS1_11__transform17unary_transform_fINS0_7pointerIiNS1_3tagENS0_11use_defaultES8_EENS0_10device_ptrIfEENS4_14no_stencil_tagENS0_8identityIiEENS4_21always_true_predicateEEElLj1EEEvT0_T1_SI_.kd
    .uniform_work_group_size: 1
    .uses_dynamic_stack: false
    .vgpr_count:     6
    .vgpr_spill_count: 0
    .wavefront_size: 64
  - .agpr_count:     0
    .args:
      - .address_space:  global
        .offset:         0
        .size:           8
        .value_kind:     global_buffer
      - .offset:         8
        .size:           4
        .value_kind:     by_value
      - .offset:         12
        .size:           4
        .value_kind:     by_value
      - .address_space:  global
        .offset:         16
        .size:           8
        .value_kind:     global_buffer
      - .address_space:  global
        .offset:         24
        .size:           8
        .value_kind:     global_buffer
      - .actual_access:  write_only
        .address_space:  global
        .offset:         32
        .size:           8
        .value_kind:     global_buffer
      - .offset:         40
        .size:           8
        .value_kind:     by_value
      - .offset:         48
        .size:           4
        .value_kind:     by_value
      - .offset:         52
        .size:           1
        .value_kind:     by_value
      - .offset:         56
        .size:           4
        .value_kind:     hidden_block_count_x
      - .offset:         60
        .size:           4
        .value_kind:     hidden_block_count_y
      - .offset:         64
        .size:           4
        .value_kind:     hidden_block_count_z
      - .offset:         68
        .size:           2
        .value_kind:     hidden_group_size_x
      - .offset:         70
        .size:           2
        .value_kind:     hidden_group_size_y
      - .offset:         72
        .size:           2
        .value_kind:     hidden_group_size_z
      - .offset:         74
        .size:           2
        .value_kind:     hidden_remainder_x
      - .offset:         76
        .size:           2
        .value_kind:     hidden_remainder_y
      - .offset:         78
        .size:           2
        .value_kind:     hidden_remainder_z
      - .offset:         96
        .size:           8
        .value_kind:     hidden_global_offset_x
      - .offset:         104
        .size:           8
        .value_kind:     hidden_global_offset_y
      - .offset:         112
        .size:           8
        .value_kind:     hidden_global_offset_z
      - .offset:         120
        .size:           2
        .value_kind:     hidden_grid_dims
    .group_segment_fixed_size: 0
    .kernarg_segment_align: 8
    .kernarg_segment_size: 312
    .language:       OpenCL C
    .language_version:
      - 2
      - 0
    .max_flat_workgroup_size: 256
    .name:           _ZN7rocprim17ROCPRIM_400000_NS6detail30init_device_scan_by_key_kernelINS1_19lookback_scan_stateINS0_5tupleIJfbEEELb0ELb1EEEN6thrust23THRUST_200600_302600_NS6detail15normal_iteratorINS8_10device_ptrIiEEEEjNS1_16block_id_wrapperIjLb0EEEEEvT_jjPNSG_10value_typeET0_PNSt15iterator_traitsISJ_E10value_typeEmT1_T2_
    .private_segment_fixed_size: 0
    .sgpr_count:     26
    .sgpr_spill_count: 0
    .symbol:         _ZN7rocprim17ROCPRIM_400000_NS6detail30init_device_scan_by_key_kernelINS1_19lookback_scan_stateINS0_5tupleIJfbEEELb0ELb1EEEN6thrust23THRUST_200600_302600_NS6detail15normal_iteratorINS8_10device_ptrIiEEEEjNS1_16block_id_wrapperIjLb0EEEEEvT_jjPNSG_10value_typeET0_PNSt15iterator_traitsISJ_E10value_typeEmT1_T2_.kd
    .uniform_work_group_size: 1
    .uses_dynamic_stack: false
    .vgpr_count:     10
    .vgpr_spill_count: 0
    .wavefront_size: 64
  - .agpr_count:     0
    .args:
      - .address_space:  global
        .offset:         0
        .size:           8
        .value_kind:     global_buffer
      - .offset:         8
        .size:           4
        .value_kind:     by_value
      - .offset:         12
        .size:           4
        .value_kind:     by_value
      - .address_space:  global
        .offset:         16
        .size:           8
        .value_kind:     global_buffer
      - .offset:         24
        .size:           1
        .value_kind:     by_value
      - .offset:         32
        .size:           4
        .value_kind:     hidden_block_count_x
      - .offset:         36
        .size:           4
        .value_kind:     hidden_block_count_y
      - .offset:         40
        .size:           4
        .value_kind:     hidden_block_count_z
      - .offset:         44
        .size:           2
        .value_kind:     hidden_group_size_x
      - .offset:         46
        .size:           2
        .value_kind:     hidden_group_size_y
      - .offset:         48
        .size:           2
        .value_kind:     hidden_group_size_z
      - .offset:         50
        .size:           2
        .value_kind:     hidden_remainder_x
      - .offset:         52
        .size:           2
        .value_kind:     hidden_remainder_y
      - .offset:         54
        .size:           2
        .value_kind:     hidden_remainder_z
      - .offset:         72
        .size:           8
        .value_kind:     hidden_global_offset_x
      - .offset:         80
        .size:           8
        .value_kind:     hidden_global_offset_y
      - .offset:         88
        .size:           8
        .value_kind:     hidden_global_offset_z
      - .offset:         96
        .size:           2
        .value_kind:     hidden_grid_dims
    .group_segment_fixed_size: 0
    .kernarg_segment_align: 8
    .kernarg_segment_size: 288
    .language:       OpenCL C
    .language_version:
      - 2
      - 0
    .max_flat_workgroup_size: 256
    .name:           _ZN7rocprim17ROCPRIM_400000_NS6detail30init_device_scan_by_key_kernelINS1_19lookback_scan_stateINS0_5tupleIJfbEEELb0ELb1EEENS1_16block_id_wrapperIjLb0EEEEEvT_jjPNS9_10value_typeET0_
    .private_segment_fixed_size: 0
    .sgpr_count:     20
    .sgpr_spill_count: 0
    .symbol:         _ZN7rocprim17ROCPRIM_400000_NS6detail30init_device_scan_by_key_kernelINS1_19lookback_scan_stateINS0_5tupleIJfbEEELb0ELb1EEENS1_16block_id_wrapperIjLb0EEEEEvT_jjPNS9_10value_typeET0_.kd
    .uniform_work_group_size: 1
    .uses_dynamic_stack: false
    .vgpr_count:     10
    .vgpr_spill_count: 0
    .wavefront_size: 64
  - .agpr_count:     0
    .args:
      - .offset:         0
        .size:           112
        .value_kind:     by_value
    .group_segment_fixed_size: 0
    .kernarg_segment_align: 8
    .kernarg_segment_size: 112
    .language:       OpenCL C
    .language_version:
      - 2
      - 0
    .max_flat_workgroup_size: 256
    .name:           _ZN7rocprim17ROCPRIM_400000_NS6detail17trampoline_kernelINS0_14default_configENS1_27scan_by_key_config_selectorIifEEZZNS1_16scan_by_key_implILNS1_25lookback_scan_determinismE0ELb0ES3_N6thrust23THRUST_200600_302600_NS6detail15normal_iteratorINS9_10device_ptrIiEEEENSB_INSC_IfEEEESG_fNS9_4plusIvEENS9_8equal_toIvEEfEE10hipError_tPvRmT2_T3_T4_T5_mT6_T7_P12ihipStream_tbENKUlT_T0_E_clISt17integral_constantIbLb0EES11_EEDaSW_SX_EUlSW_E_NS1_11comp_targetILNS1_3genE0ELNS1_11target_archE4294967295ELNS1_3gpuE0ELNS1_3repE0EEENS1_30default_config_static_selectorELNS0_4arch9wavefront6targetE1EEEvT1_
    .private_segment_fixed_size: 0
    .sgpr_count:     6
    .sgpr_spill_count: 0
    .symbol:         _ZN7rocprim17ROCPRIM_400000_NS6detail17trampoline_kernelINS0_14default_configENS1_27scan_by_key_config_selectorIifEEZZNS1_16scan_by_key_implILNS1_25lookback_scan_determinismE0ELb0ES3_N6thrust23THRUST_200600_302600_NS6detail15normal_iteratorINS9_10device_ptrIiEEEENSB_INSC_IfEEEESG_fNS9_4plusIvEENS9_8equal_toIvEEfEE10hipError_tPvRmT2_T3_T4_T5_mT6_T7_P12ihipStream_tbENKUlT_T0_E_clISt17integral_constantIbLb0EES11_EEDaSW_SX_EUlSW_E_NS1_11comp_targetILNS1_3genE0ELNS1_11target_archE4294967295ELNS1_3gpuE0ELNS1_3repE0EEENS1_30default_config_static_selectorELNS0_4arch9wavefront6targetE1EEEvT1_.kd
    .uniform_work_group_size: 1
    .uses_dynamic_stack: false
    .vgpr_count:     0
    .vgpr_spill_count: 0
    .wavefront_size: 64
  - .agpr_count:     0
    .args:
      - .offset:         0
        .size:           112
        .value_kind:     by_value
    .group_segment_fixed_size: 0
    .kernarg_segment_align: 8
    .kernarg_segment_size: 112
    .language:       OpenCL C
    .language_version:
      - 2
      - 0
    .max_flat_workgroup_size: 256
    .name:           _ZN7rocprim17ROCPRIM_400000_NS6detail17trampoline_kernelINS0_14default_configENS1_27scan_by_key_config_selectorIifEEZZNS1_16scan_by_key_implILNS1_25lookback_scan_determinismE0ELb0ES3_N6thrust23THRUST_200600_302600_NS6detail15normal_iteratorINS9_10device_ptrIiEEEENSB_INSC_IfEEEESG_fNS9_4plusIvEENS9_8equal_toIvEEfEE10hipError_tPvRmT2_T3_T4_T5_mT6_T7_P12ihipStream_tbENKUlT_T0_E_clISt17integral_constantIbLb0EES11_EEDaSW_SX_EUlSW_E_NS1_11comp_targetILNS1_3genE10ELNS1_11target_archE1201ELNS1_3gpuE5ELNS1_3repE0EEENS1_30default_config_static_selectorELNS0_4arch9wavefront6targetE1EEEvT1_
    .private_segment_fixed_size: 0
    .sgpr_count:     6
    .sgpr_spill_count: 0
    .symbol:         _ZN7rocprim17ROCPRIM_400000_NS6detail17trampoline_kernelINS0_14default_configENS1_27scan_by_key_config_selectorIifEEZZNS1_16scan_by_key_implILNS1_25lookback_scan_determinismE0ELb0ES3_N6thrust23THRUST_200600_302600_NS6detail15normal_iteratorINS9_10device_ptrIiEEEENSB_INSC_IfEEEESG_fNS9_4plusIvEENS9_8equal_toIvEEfEE10hipError_tPvRmT2_T3_T4_T5_mT6_T7_P12ihipStream_tbENKUlT_T0_E_clISt17integral_constantIbLb0EES11_EEDaSW_SX_EUlSW_E_NS1_11comp_targetILNS1_3genE10ELNS1_11target_archE1201ELNS1_3gpuE5ELNS1_3repE0EEENS1_30default_config_static_selectorELNS0_4arch9wavefront6targetE1EEEvT1_.kd
    .uniform_work_group_size: 1
    .uses_dynamic_stack: false
    .vgpr_count:     0
    .vgpr_spill_count: 0
    .wavefront_size: 64
  - .agpr_count:     0
    .args:
      - .offset:         0
        .size:           112
        .value_kind:     by_value
    .group_segment_fixed_size: 25600
    .kernarg_segment_align: 8
    .kernarg_segment_size: 112
    .language:       OpenCL C
    .language_version:
      - 2
      - 0
    .max_flat_workgroup_size: 256
    .name:           _ZN7rocprim17ROCPRIM_400000_NS6detail17trampoline_kernelINS0_14default_configENS1_27scan_by_key_config_selectorIifEEZZNS1_16scan_by_key_implILNS1_25lookback_scan_determinismE0ELb0ES3_N6thrust23THRUST_200600_302600_NS6detail15normal_iteratorINS9_10device_ptrIiEEEENSB_INSC_IfEEEESG_fNS9_4plusIvEENS9_8equal_toIvEEfEE10hipError_tPvRmT2_T3_T4_T5_mT6_T7_P12ihipStream_tbENKUlT_T0_E_clISt17integral_constantIbLb0EES11_EEDaSW_SX_EUlSW_E_NS1_11comp_targetILNS1_3genE5ELNS1_11target_archE942ELNS1_3gpuE9ELNS1_3repE0EEENS1_30default_config_static_selectorELNS0_4arch9wavefront6targetE1EEEvT1_
    .private_segment_fixed_size: 0
    .sgpr_count:     90
    .sgpr_spill_count: 0
    .symbol:         _ZN7rocprim17ROCPRIM_400000_NS6detail17trampoline_kernelINS0_14default_configENS1_27scan_by_key_config_selectorIifEEZZNS1_16scan_by_key_implILNS1_25lookback_scan_determinismE0ELb0ES3_N6thrust23THRUST_200600_302600_NS6detail15normal_iteratorINS9_10device_ptrIiEEEENSB_INSC_IfEEEESG_fNS9_4plusIvEENS9_8equal_toIvEEfEE10hipError_tPvRmT2_T3_T4_T5_mT6_T7_P12ihipStream_tbENKUlT_T0_E_clISt17integral_constantIbLb0EES11_EEDaSW_SX_EUlSW_E_NS1_11comp_targetILNS1_3genE5ELNS1_11target_archE942ELNS1_3gpuE9ELNS1_3repE0EEENS1_30default_config_static_selectorELNS0_4arch9wavefront6targetE1EEEvT1_.kd
    .uniform_work_group_size: 1
    .uses_dynamic_stack: false
    .vgpr_count:     92
    .vgpr_spill_count: 0
    .wavefront_size: 64
  - .agpr_count:     0
    .args:
      - .offset:         0
        .size:           112
        .value_kind:     by_value
    .group_segment_fixed_size: 0
    .kernarg_segment_align: 8
    .kernarg_segment_size: 112
    .language:       OpenCL C
    .language_version:
      - 2
      - 0
    .max_flat_workgroup_size: 256
    .name:           _ZN7rocprim17ROCPRIM_400000_NS6detail17trampoline_kernelINS0_14default_configENS1_27scan_by_key_config_selectorIifEEZZNS1_16scan_by_key_implILNS1_25lookback_scan_determinismE0ELb0ES3_N6thrust23THRUST_200600_302600_NS6detail15normal_iteratorINS9_10device_ptrIiEEEENSB_INSC_IfEEEESG_fNS9_4plusIvEENS9_8equal_toIvEEfEE10hipError_tPvRmT2_T3_T4_T5_mT6_T7_P12ihipStream_tbENKUlT_T0_E_clISt17integral_constantIbLb0EES11_EEDaSW_SX_EUlSW_E_NS1_11comp_targetILNS1_3genE4ELNS1_11target_archE910ELNS1_3gpuE8ELNS1_3repE0EEENS1_30default_config_static_selectorELNS0_4arch9wavefront6targetE1EEEvT1_
    .private_segment_fixed_size: 0
    .sgpr_count:     6
    .sgpr_spill_count: 0
    .symbol:         _ZN7rocprim17ROCPRIM_400000_NS6detail17trampoline_kernelINS0_14default_configENS1_27scan_by_key_config_selectorIifEEZZNS1_16scan_by_key_implILNS1_25lookback_scan_determinismE0ELb0ES3_N6thrust23THRUST_200600_302600_NS6detail15normal_iteratorINS9_10device_ptrIiEEEENSB_INSC_IfEEEESG_fNS9_4plusIvEENS9_8equal_toIvEEfEE10hipError_tPvRmT2_T3_T4_T5_mT6_T7_P12ihipStream_tbENKUlT_T0_E_clISt17integral_constantIbLb0EES11_EEDaSW_SX_EUlSW_E_NS1_11comp_targetILNS1_3genE4ELNS1_11target_archE910ELNS1_3gpuE8ELNS1_3repE0EEENS1_30default_config_static_selectorELNS0_4arch9wavefront6targetE1EEEvT1_.kd
    .uniform_work_group_size: 1
    .uses_dynamic_stack: false
    .vgpr_count:     0
    .vgpr_spill_count: 0
    .wavefront_size: 64
  - .agpr_count:     0
    .args:
      - .offset:         0
        .size:           112
        .value_kind:     by_value
    .group_segment_fixed_size: 0
    .kernarg_segment_align: 8
    .kernarg_segment_size: 112
    .language:       OpenCL C
    .language_version:
      - 2
      - 0
    .max_flat_workgroup_size: 256
    .name:           _ZN7rocprim17ROCPRIM_400000_NS6detail17trampoline_kernelINS0_14default_configENS1_27scan_by_key_config_selectorIifEEZZNS1_16scan_by_key_implILNS1_25lookback_scan_determinismE0ELb0ES3_N6thrust23THRUST_200600_302600_NS6detail15normal_iteratorINS9_10device_ptrIiEEEENSB_INSC_IfEEEESG_fNS9_4plusIvEENS9_8equal_toIvEEfEE10hipError_tPvRmT2_T3_T4_T5_mT6_T7_P12ihipStream_tbENKUlT_T0_E_clISt17integral_constantIbLb0EES11_EEDaSW_SX_EUlSW_E_NS1_11comp_targetILNS1_3genE3ELNS1_11target_archE908ELNS1_3gpuE7ELNS1_3repE0EEENS1_30default_config_static_selectorELNS0_4arch9wavefront6targetE1EEEvT1_
    .private_segment_fixed_size: 0
    .sgpr_count:     6
    .sgpr_spill_count: 0
    .symbol:         _ZN7rocprim17ROCPRIM_400000_NS6detail17trampoline_kernelINS0_14default_configENS1_27scan_by_key_config_selectorIifEEZZNS1_16scan_by_key_implILNS1_25lookback_scan_determinismE0ELb0ES3_N6thrust23THRUST_200600_302600_NS6detail15normal_iteratorINS9_10device_ptrIiEEEENSB_INSC_IfEEEESG_fNS9_4plusIvEENS9_8equal_toIvEEfEE10hipError_tPvRmT2_T3_T4_T5_mT6_T7_P12ihipStream_tbENKUlT_T0_E_clISt17integral_constantIbLb0EES11_EEDaSW_SX_EUlSW_E_NS1_11comp_targetILNS1_3genE3ELNS1_11target_archE908ELNS1_3gpuE7ELNS1_3repE0EEENS1_30default_config_static_selectorELNS0_4arch9wavefront6targetE1EEEvT1_.kd
    .uniform_work_group_size: 1
    .uses_dynamic_stack: false
    .vgpr_count:     0
    .vgpr_spill_count: 0
    .wavefront_size: 64
  - .agpr_count:     0
    .args:
      - .offset:         0
        .size:           112
        .value_kind:     by_value
    .group_segment_fixed_size: 0
    .kernarg_segment_align: 8
    .kernarg_segment_size: 112
    .language:       OpenCL C
    .language_version:
      - 2
      - 0
    .max_flat_workgroup_size: 256
    .name:           _ZN7rocprim17ROCPRIM_400000_NS6detail17trampoline_kernelINS0_14default_configENS1_27scan_by_key_config_selectorIifEEZZNS1_16scan_by_key_implILNS1_25lookback_scan_determinismE0ELb0ES3_N6thrust23THRUST_200600_302600_NS6detail15normal_iteratorINS9_10device_ptrIiEEEENSB_INSC_IfEEEESG_fNS9_4plusIvEENS9_8equal_toIvEEfEE10hipError_tPvRmT2_T3_T4_T5_mT6_T7_P12ihipStream_tbENKUlT_T0_E_clISt17integral_constantIbLb0EES11_EEDaSW_SX_EUlSW_E_NS1_11comp_targetILNS1_3genE2ELNS1_11target_archE906ELNS1_3gpuE6ELNS1_3repE0EEENS1_30default_config_static_selectorELNS0_4arch9wavefront6targetE1EEEvT1_
    .private_segment_fixed_size: 0
    .sgpr_count:     6
    .sgpr_spill_count: 0
    .symbol:         _ZN7rocprim17ROCPRIM_400000_NS6detail17trampoline_kernelINS0_14default_configENS1_27scan_by_key_config_selectorIifEEZZNS1_16scan_by_key_implILNS1_25lookback_scan_determinismE0ELb0ES3_N6thrust23THRUST_200600_302600_NS6detail15normal_iteratorINS9_10device_ptrIiEEEENSB_INSC_IfEEEESG_fNS9_4plusIvEENS9_8equal_toIvEEfEE10hipError_tPvRmT2_T3_T4_T5_mT6_T7_P12ihipStream_tbENKUlT_T0_E_clISt17integral_constantIbLb0EES11_EEDaSW_SX_EUlSW_E_NS1_11comp_targetILNS1_3genE2ELNS1_11target_archE906ELNS1_3gpuE6ELNS1_3repE0EEENS1_30default_config_static_selectorELNS0_4arch9wavefront6targetE1EEEvT1_.kd
    .uniform_work_group_size: 1
    .uses_dynamic_stack: false
    .vgpr_count:     0
    .vgpr_spill_count: 0
    .wavefront_size: 64
  - .agpr_count:     0
    .args:
      - .offset:         0
        .size:           112
        .value_kind:     by_value
    .group_segment_fixed_size: 0
    .kernarg_segment_align: 8
    .kernarg_segment_size: 112
    .language:       OpenCL C
    .language_version:
      - 2
      - 0
    .max_flat_workgroup_size: 256
    .name:           _ZN7rocprim17ROCPRIM_400000_NS6detail17trampoline_kernelINS0_14default_configENS1_27scan_by_key_config_selectorIifEEZZNS1_16scan_by_key_implILNS1_25lookback_scan_determinismE0ELb0ES3_N6thrust23THRUST_200600_302600_NS6detail15normal_iteratorINS9_10device_ptrIiEEEENSB_INSC_IfEEEESG_fNS9_4plusIvEENS9_8equal_toIvEEfEE10hipError_tPvRmT2_T3_T4_T5_mT6_T7_P12ihipStream_tbENKUlT_T0_E_clISt17integral_constantIbLb0EES11_EEDaSW_SX_EUlSW_E_NS1_11comp_targetILNS1_3genE10ELNS1_11target_archE1200ELNS1_3gpuE4ELNS1_3repE0EEENS1_30default_config_static_selectorELNS0_4arch9wavefront6targetE1EEEvT1_
    .private_segment_fixed_size: 0
    .sgpr_count:     6
    .sgpr_spill_count: 0
    .symbol:         _ZN7rocprim17ROCPRIM_400000_NS6detail17trampoline_kernelINS0_14default_configENS1_27scan_by_key_config_selectorIifEEZZNS1_16scan_by_key_implILNS1_25lookback_scan_determinismE0ELb0ES3_N6thrust23THRUST_200600_302600_NS6detail15normal_iteratorINS9_10device_ptrIiEEEENSB_INSC_IfEEEESG_fNS9_4plusIvEENS9_8equal_toIvEEfEE10hipError_tPvRmT2_T3_T4_T5_mT6_T7_P12ihipStream_tbENKUlT_T0_E_clISt17integral_constantIbLb0EES11_EEDaSW_SX_EUlSW_E_NS1_11comp_targetILNS1_3genE10ELNS1_11target_archE1200ELNS1_3gpuE4ELNS1_3repE0EEENS1_30default_config_static_selectorELNS0_4arch9wavefront6targetE1EEEvT1_.kd
    .uniform_work_group_size: 1
    .uses_dynamic_stack: false
    .vgpr_count:     0
    .vgpr_spill_count: 0
    .wavefront_size: 64
  - .agpr_count:     0
    .args:
      - .offset:         0
        .size:           112
        .value_kind:     by_value
    .group_segment_fixed_size: 0
    .kernarg_segment_align: 8
    .kernarg_segment_size: 112
    .language:       OpenCL C
    .language_version:
      - 2
      - 0
    .max_flat_workgroup_size: 256
    .name:           _ZN7rocprim17ROCPRIM_400000_NS6detail17trampoline_kernelINS0_14default_configENS1_27scan_by_key_config_selectorIifEEZZNS1_16scan_by_key_implILNS1_25lookback_scan_determinismE0ELb0ES3_N6thrust23THRUST_200600_302600_NS6detail15normal_iteratorINS9_10device_ptrIiEEEENSB_INSC_IfEEEESG_fNS9_4plusIvEENS9_8equal_toIvEEfEE10hipError_tPvRmT2_T3_T4_T5_mT6_T7_P12ihipStream_tbENKUlT_T0_E_clISt17integral_constantIbLb0EES11_EEDaSW_SX_EUlSW_E_NS1_11comp_targetILNS1_3genE9ELNS1_11target_archE1100ELNS1_3gpuE3ELNS1_3repE0EEENS1_30default_config_static_selectorELNS0_4arch9wavefront6targetE1EEEvT1_
    .private_segment_fixed_size: 0
    .sgpr_count:     6
    .sgpr_spill_count: 0
    .symbol:         _ZN7rocprim17ROCPRIM_400000_NS6detail17trampoline_kernelINS0_14default_configENS1_27scan_by_key_config_selectorIifEEZZNS1_16scan_by_key_implILNS1_25lookback_scan_determinismE0ELb0ES3_N6thrust23THRUST_200600_302600_NS6detail15normal_iteratorINS9_10device_ptrIiEEEENSB_INSC_IfEEEESG_fNS9_4plusIvEENS9_8equal_toIvEEfEE10hipError_tPvRmT2_T3_T4_T5_mT6_T7_P12ihipStream_tbENKUlT_T0_E_clISt17integral_constantIbLb0EES11_EEDaSW_SX_EUlSW_E_NS1_11comp_targetILNS1_3genE9ELNS1_11target_archE1100ELNS1_3gpuE3ELNS1_3repE0EEENS1_30default_config_static_selectorELNS0_4arch9wavefront6targetE1EEEvT1_.kd
    .uniform_work_group_size: 1
    .uses_dynamic_stack: false
    .vgpr_count:     0
    .vgpr_spill_count: 0
    .wavefront_size: 64
  - .agpr_count:     0
    .args:
      - .offset:         0
        .size:           112
        .value_kind:     by_value
    .group_segment_fixed_size: 0
    .kernarg_segment_align: 8
    .kernarg_segment_size: 112
    .language:       OpenCL C
    .language_version:
      - 2
      - 0
    .max_flat_workgroup_size: 256
    .name:           _ZN7rocprim17ROCPRIM_400000_NS6detail17trampoline_kernelINS0_14default_configENS1_27scan_by_key_config_selectorIifEEZZNS1_16scan_by_key_implILNS1_25lookback_scan_determinismE0ELb0ES3_N6thrust23THRUST_200600_302600_NS6detail15normal_iteratorINS9_10device_ptrIiEEEENSB_INSC_IfEEEESG_fNS9_4plusIvEENS9_8equal_toIvEEfEE10hipError_tPvRmT2_T3_T4_T5_mT6_T7_P12ihipStream_tbENKUlT_T0_E_clISt17integral_constantIbLb0EES11_EEDaSW_SX_EUlSW_E_NS1_11comp_targetILNS1_3genE8ELNS1_11target_archE1030ELNS1_3gpuE2ELNS1_3repE0EEENS1_30default_config_static_selectorELNS0_4arch9wavefront6targetE1EEEvT1_
    .private_segment_fixed_size: 0
    .sgpr_count:     6
    .sgpr_spill_count: 0
    .symbol:         _ZN7rocprim17ROCPRIM_400000_NS6detail17trampoline_kernelINS0_14default_configENS1_27scan_by_key_config_selectorIifEEZZNS1_16scan_by_key_implILNS1_25lookback_scan_determinismE0ELb0ES3_N6thrust23THRUST_200600_302600_NS6detail15normal_iteratorINS9_10device_ptrIiEEEENSB_INSC_IfEEEESG_fNS9_4plusIvEENS9_8equal_toIvEEfEE10hipError_tPvRmT2_T3_T4_T5_mT6_T7_P12ihipStream_tbENKUlT_T0_E_clISt17integral_constantIbLb0EES11_EEDaSW_SX_EUlSW_E_NS1_11comp_targetILNS1_3genE8ELNS1_11target_archE1030ELNS1_3gpuE2ELNS1_3repE0EEENS1_30default_config_static_selectorELNS0_4arch9wavefront6targetE1EEEvT1_.kd
    .uniform_work_group_size: 1
    .uses_dynamic_stack: false
    .vgpr_count:     0
    .vgpr_spill_count: 0
    .wavefront_size: 64
  - .agpr_count:     0
    .args:
      - .address_space:  global
        .offset:         0
        .size:           8
        .value_kind:     global_buffer
      - .offset:         8
        .size:           4
        .value_kind:     by_value
      - .offset:         12
        .size:           4
        .value_kind:     by_value
      - .address_space:  global
        .offset:         16
        .size:           8
        .value_kind:     global_buffer
      - .address_space:  global
        .offset:         24
        .size:           8
        .value_kind:     global_buffer
      - .actual_access:  write_only
        .address_space:  global
        .offset:         32
        .size:           8
        .value_kind:     global_buffer
      - .offset:         40
        .size:           8
        .value_kind:     by_value
      - .offset:         48
        .size:           4
        .value_kind:     by_value
      - .address_space:  global
        .offset:         56
        .size:           8
        .value_kind:     global_buffer
      - .offset:         64
        .size:           4
        .value_kind:     hidden_block_count_x
      - .offset:         68
        .size:           4
        .value_kind:     hidden_block_count_y
      - .offset:         72
        .size:           4
        .value_kind:     hidden_block_count_z
      - .offset:         76
        .size:           2
        .value_kind:     hidden_group_size_x
      - .offset:         78
        .size:           2
        .value_kind:     hidden_group_size_y
      - .offset:         80
        .size:           2
        .value_kind:     hidden_group_size_z
      - .offset:         82
        .size:           2
        .value_kind:     hidden_remainder_x
      - .offset:         84
        .size:           2
        .value_kind:     hidden_remainder_y
      - .offset:         86
        .size:           2
        .value_kind:     hidden_remainder_z
      - .offset:         104
        .size:           8
        .value_kind:     hidden_global_offset_x
      - .offset:         112
        .size:           8
        .value_kind:     hidden_global_offset_y
      - .offset:         120
        .size:           8
        .value_kind:     hidden_global_offset_z
      - .offset:         128
        .size:           2
        .value_kind:     hidden_grid_dims
    .group_segment_fixed_size: 0
    .kernarg_segment_align: 8
    .kernarg_segment_size: 320
    .language:       OpenCL C
    .language_version:
      - 2
      - 0
    .max_flat_workgroup_size: 256
    .name:           _ZN7rocprim17ROCPRIM_400000_NS6detail30init_device_scan_by_key_kernelINS1_19lookback_scan_stateINS0_5tupleIJfbEEELb1ELb1EEEN6thrust23THRUST_200600_302600_NS6detail15normal_iteratorINS8_10device_ptrIiEEEEjNS1_16block_id_wrapperIjLb1EEEEEvT_jjPNSG_10value_typeET0_PNSt15iterator_traitsISJ_E10value_typeEmT1_T2_
    .private_segment_fixed_size: 0
    .sgpr_count:     26
    .sgpr_spill_count: 0
    .symbol:         _ZN7rocprim17ROCPRIM_400000_NS6detail30init_device_scan_by_key_kernelINS1_19lookback_scan_stateINS0_5tupleIJfbEEELb1ELb1EEEN6thrust23THRUST_200600_302600_NS6detail15normal_iteratorINS8_10device_ptrIiEEEEjNS1_16block_id_wrapperIjLb1EEEEEvT_jjPNSG_10value_typeET0_PNSt15iterator_traitsISJ_E10value_typeEmT1_T2_.kd
    .uniform_work_group_size: 1
    .uses_dynamic_stack: false
    .vgpr_count:     10
    .vgpr_spill_count: 0
    .wavefront_size: 64
  - .agpr_count:     0
    .args:
      - .address_space:  global
        .offset:         0
        .size:           8
        .value_kind:     global_buffer
      - .offset:         8
        .size:           4
        .value_kind:     by_value
      - .offset:         12
        .size:           4
        .value_kind:     by_value
      - .address_space:  global
        .offset:         16
        .size:           8
        .value_kind:     global_buffer
      - .address_space:  global
        .offset:         24
        .size:           8
        .value_kind:     global_buffer
      - .offset:         32
        .size:           4
        .value_kind:     hidden_block_count_x
      - .offset:         36
        .size:           4
        .value_kind:     hidden_block_count_y
      - .offset:         40
        .size:           4
        .value_kind:     hidden_block_count_z
      - .offset:         44
        .size:           2
        .value_kind:     hidden_group_size_x
      - .offset:         46
        .size:           2
        .value_kind:     hidden_group_size_y
      - .offset:         48
        .size:           2
        .value_kind:     hidden_group_size_z
      - .offset:         50
        .size:           2
        .value_kind:     hidden_remainder_x
      - .offset:         52
        .size:           2
        .value_kind:     hidden_remainder_y
      - .offset:         54
        .size:           2
        .value_kind:     hidden_remainder_z
      - .offset:         72
        .size:           8
        .value_kind:     hidden_global_offset_x
      - .offset:         80
        .size:           8
        .value_kind:     hidden_global_offset_y
      - .offset:         88
        .size:           8
        .value_kind:     hidden_global_offset_z
      - .offset:         96
        .size:           2
        .value_kind:     hidden_grid_dims
    .group_segment_fixed_size: 0
    .kernarg_segment_align: 8
    .kernarg_segment_size: 288
    .language:       OpenCL C
    .language_version:
      - 2
      - 0
    .max_flat_workgroup_size: 256
    .name:           _ZN7rocprim17ROCPRIM_400000_NS6detail30init_device_scan_by_key_kernelINS1_19lookback_scan_stateINS0_5tupleIJfbEEELb1ELb1EEENS1_16block_id_wrapperIjLb1EEEEEvT_jjPNS9_10value_typeET0_
    .private_segment_fixed_size: 0
    .sgpr_count:     22
    .sgpr_spill_count: 0
    .symbol:         _ZN7rocprim17ROCPRIM_400000_NS6detail30init_device_scan_by_key_kernelINS1_19lookback_scan_stateINS0_5tupleIJfbEEELb1ELb1EEENS1_16block_id_wrapperIjLb1EEEEEvT_jjPNS9_10value_typeET0_.kd
    .uniform_work_group_size: 1
    .uses_dynamic_stack: false
    .vgpr_count:     10
    .vgpr_spill_count: 0
    .wavefront_size: 64
  - .agpr_count:     0
    .args:
      - .offset:         0
        .size:           112
        .value_kind:     by_value
    .group_segment_fixed_size: 0
    .kernarg_segment_align: 8
    .kernarg_segment_size: 112
    .language:       OpenCL C
    .language_version:
      - 2
      - 0
    .max_flat_workgroup_size: 256
    .name:           _ZN7rocprim17ROCPRIM_400000_NS6detail17trampoline_kernelINS0_14default_configENS1_27scan_by_key_config_selectorIifEEZZNS1_16scan_by_key_implILNS1_25lookback_scan_determinismE0ELb0ES3_N6thrust23THRUST_200600_302600_NS6detail15normal_iteratorINS9_10device_ptrIiEEEENSB_INSC_IfEEEESG_fNS9_4plusIvEENS9_8equal_toIvEEfEE10hipError_tPvRmT2_T3_T4_T5_mT6_T7_P12ihipStream_tbENKUlT_T0_E_clISt17integral_constantIbLb1EES11_EEDaSW_SX_EUlSW_E_NS1_11comp_targetILNS1_3genE0ELNS1_11target_archE4294967295ELNS1_3gpuE0ELNS1_3repE0EEENS1_30default_config_static_selectorELNS0_4arch9wavefront6targetE1EEEvT1_
    .private_segment_fixed_size: 0
    .sgpr_count:     6
    .sgpr_spill_count: 0
    .symbol:         _ZN7rocprim17ROCPRIM_400000_NS6detail17trampoline_kernelINS0_14default_configENS1_27scan_by_key_config_selectorIifEEZZNS1_16scan_by_key_implILNS1_25lookback_scan_determinismE0ELb0ES3_N6thrust23THRUST_200600_302600_NS6detail15normal_iteratorINS9_10device_ptrIiEEEENSB_INSC_IfEEEESG_fNS9_4plusIvEENS9_8equal_toIvEEfEE10hipError_tPvRmT2_T3_T4_T5_mT6_T7_P12ihipStream_tbENKUlT_T0_E_clISt17integral_constantIbLb1EES11_EEDaSW_SX_EUlSW_E_NS1_11comp_targetILNS1_3genE0ELNS1_11target_archE4294967295ELNS1_3gpuE0ELNS1_3repE0EEENS1_30default_config_static_selectorELNS0_4arch9wavefront6targetE1EEEvT1_.kd
    .uniform_work_group_size: 1
    .uses_dynamic_stack: false
    .vgpr_count:     0
    .vgpr_spill_count: 0
    .wavefront_size: 64
  - .agpr_count:     0
    .args:
      - .offset:         0
        .size:           112
        .value_kind:     by_value
    .group_segment_fixed_size: 0
    .kernarg_segment_align: 8
    .kernarg_segment_size: 112
    .language:       OpenCL C
    .language_version:
      - 2
      - 0
    .max_flat_workgroup_size: 256
    .name:           _ZN7rocprim17ROCPRIM_400000_NS6detail17trampoline_kernelINS0_14default_configENS1_27scan_by_key_config_selectorIifEEZZNS1_16scan_by_key_implILNS1_25lookback_scan_determinismE0ELb0ES3_N6thrust23THRUST_200600_302600_NS6detail15normal_iteratorINS9_10device_ptrIiEEEENSB_INSC_IfEEEESG_fNS9_4plusIvEENS9_8equal_toIvEEfEE10hipError_tPvRmT2_T3_T4_T5_mT6_T7_P12ihipStream_tbENKUlT_T0_E_clISt17integral_constantIbLb1EES11_EEDaSW_SX_EUlSW_E_NS1_11comp_targetILNS1_3genE10ELNS1_11target_archE1201ELNS1_3gpuE5ELNS1_3repE0EEENS1_30default_config_static_selectorELNS0_4arch9wavefront6targetE1EEEvT1_
    .private_segment_fixed_size: 0
    .sgpr_count:     6
    .sgpr_spill_count: 0
    .symbol:         _ZN7rocprim17ROCPRIM_400000_NS6detail17trampoline_kernelINS0_14default_configENS1_27scan_by_key_config_selectorIifEEZZNS1_16scan_by_key_implILNS1_25lookback_scan_determinismE0ELb0ES3_N6thrust23THRUST_200600_302600_NS6detail15normal_iteratorINS9_10device_ptrIiEEEENSB_INSC_IfEEEESG_fNS9_4plusIvEENS9_8equal_toIvEEfEE10hipError_tPvRmT2_T3_T4_T5_mT6_T7_P12ihipStream_tbENKUlT_T0_E_clISt17integral_constantIbLb1EES11_EEDaSW_SX_EUlSW_E_NS1_11comp_targetILNS1_3genE10ELNS1_11target_archE1201ELNS1_3gpuE5ELNS1_3repE0EEENS1_30default_config_static_selectorELNS0_4arch9wavefront6targetE1EEEvT1_.kd
    .uniform_work_group_size: 1
    .uses_dynamic_stack: false
    .vgpr_count:     0
    .vgpr_spill_count: 0
    .wavefront_size: 64
  - .agpr_count:     0
    .args:
      - .offset:         0
        .size:           112
        .value_kind:     by_value
    .group_segment_fixed_size: 25600
    .kernarg_segment_align: 8
    .kernarg_segment_size: 112
    .language:       OpenCL C
    .language_version:
      - 2
      - 0
    .max_flat_workgroup_size: 256
    .name:           _ZN7rocprim17ROCPRIM_400000_NS6detail17trampoline_kernelINS0_14default_configENS1_27scan_by_key_config_selectorIifEEZZNS1_16scan_by_key_implILNS1_25lookback_scan_determinismE0ELb0ES3_N6thrust23THRUST_200600_302600_NS6detail15normal_iteratorINS9_10device_ptrIiEEEENSB_INSC_IfEEEESG_fNS9_4plusIvEENS9_8equal_toIvEEfEE10hipError_tPvRmT2_T3_T4_T5_mT6_T7_P12ihipStream_tbENKUlT_T0_E_clISt17integral_constantIbLb1EES11_EEDaSW_SX_EUlSW_E_NS1_11comp_targetILNS1_3genE5ELNS1_11target_archE942ELNS1_3gpuE9ELNS1_3repE0EEENS1_30default_config_static_selectorELNS0_4arch9wavefront6targetE1EEEvT1_
    .private_segment_fixed_size: 0
    .sgpr_count:     93
    .sgpr_spill_count: 0
    .symbol:         _ZN7rocprim17ROCPRIM_400000_NS6detail17trampoline_kernelINS0_14default_configENS1_27scan_by_key_config_selectorIifEEZZNS1_16scan_by_key_implILNS1_25lookback_scan_determinismE0ELb0ES3_N6thrust23THRUST_200600_302600_NS6detail15normal_iteratorINS9_10device_ptrIiEEEENSB_INSC_IfEEEESG_fNS9_4plusIvEENS9_8equal_toIvEEfEE10hipError_tPvRmT2_T3_T4_T5_mT6_T7_P12ihipStream_tbENKUlT_T0_E_clISt17integral_constantIbLb1EES11_EEDaSW_SX_EUlSW_E_NS1_11comp_targetILNS1_3genE5ELNS1_11target_archE942ELNS1_3gpuE9ELNS1_3repE0EEENS1_30default_config_static_selectorELNS0_4arch9wavefront6targetE1EEEvT1_.kd
    .uniform_work_group_size: 1
    .uses_dynamic_stack: false
    .vgpr_count:     91
    .vgpr_spill_count: 0
    .wavefront_size: 64
  - .agpr_count:     0
    .args:
      - .offset:         0
        .size:           112
        .value_kind:     by_value
    .group_segment_fixed_size: 0
    .kernarg_segment_align: 8
    .kernarg_segment_size: 112
    .language:       OpenCL C
    .language_version:
      - 2
      - 0
    .max_flat_workgroup_size: 256
    .name:           _ZN7rocprim17ROCPRIM_400000_NS6detail17trampoline_kernelINS0_14default_configENS1_27scan_by_key_config_selectorIifEEZZNS1_16scan_by_key_implILNS1_25lookback_scan_determinismE0ELb0ES3_N6thrust23THRUST_200600_302600_NS6detail15normal_iteratorINS9_10device_ptrIiEEEENSB_INSC_IfEEEESG_fNS9_4plusIvEENS9_8equal_toIvEEfEE10hipError_tPvRmT2_T3_T4_T5_mT6_T7_P12ihipStream_tbENKUlT_T0_E_clISt17integral_constantIbLb1EES11_EEDaSW_SX_EUlSW_E_NS1_11comp_targetILNS1_3genE4ELNS1_11target_archE910ELNS1_3gpuE8ELNS1_3repE0EEENS1_30default_config_static_selectorELNS0_4arch9wavefront6targetE1EEEvT1_
    .private_segment_fixed_size: 0
    .sgpr_count:     6
    .sgpr_spill_count: 0
    .symbol:         _ZN7rocprim17ROCPRIM_400000_NS6detail17trampoline_kernelINS0_14default_configENS1_27scan_by_key_config_selectorIifEEZZNS1_16scan_by_key_implILNS1_25lookback_scan_determinismE0ELb0ES3_N6thrust23THRUST_200600_302600_NS6detail15normal_iteratorINS9_10device_ptrIiEEEENSB_INSC_IfEEEESG_fNS9_4plusIvEENS9_8equal_toIvEEfEE10hipError_tPvRmT2_T3_T4_T5_mT6_T7_P12ihipStream_tbENKUlT_T0_E_clISt17integral_constantIbLb1EES11_EEDaSW_SX_EUlSW_E_NS1_11comp_targetILNS1_3genE4ELNS1_11target_archE910ELNS1_3gpuE8ELNS1_3repE0EEENS1_30default_config_static_selectorELNS0_4arch9wavefront6targetE1EEEvT1_.kd
    .uniform_work_group_size: 1
    .uses_dynamic_stack: false
    .vgpr_count:     0
    .vgpr_spill_count: 0
    .wavefront_size: 64
  - .agpr_count:     0
    .args:
      - .offset:         0
        .size:           112
        .value_kind:     by_value
    .group_segment_fixed_size: 0
    .kernarg_segment_align: 8
    .kernarg_segment_size: 112
    .language:       OpenCL C
    .language_version:
      - 2
      - 0
    .max_flat_workgroup_size: 256
    .name:           _ZN7rocprim17ROCPRIM_400000_NS6detail17trampoline_kernelINS0_14default_configENS1_27scan_by_key_config_selectorIifEEZZNS1_16scan_by_key_implILNS1_25lookback_scan_determinismE0ELb0ES3_N6thrust23THRUST_200600_302600_NS6detail15normal_iteratorINS9_10device_ptrIiEEEENSB_INSC_IfEEEESG_fNS9_4plusIvEENS9_8equal_toIvEEfEE10hipError_tPvRmT2_T3_T4_T5_mT6_T7_P12ihipStream_tbENKUlT_T0_E_clISt17integral_constantIbLb1EES11_EEDaSW_SX_EUlSW_E_NS1_11comp_targetILNS1_3genE3ELNS1_11target_archE908ELNS1_3gpuE7ELNS1_3repE0EEENS1_30default_config_static_selectorELNS0_4arch9wavefront6targetE1EEEvT1_
    .private_segment_fixed_size: 0
    .sgpr_count:     6
    .sgpr_spill_count: 0
    .symbol:         _ZN7rocprim17ROCPRIM_400000_NS6detail17trampoline_kernelINS0_14default_configENS1_27scan_by_key_config_selectorIifEEZZNS1_16scan_by_key_implILNS1_25lookback_scan_determinismE0ELb0ES3_N6thrust23THRUST_200600_302600_NS6detail15normal_iteratorINS9_10device_ptrIiEEEENSB_INSC_IfEEEESG_fNS9_4plusIvEENS9_8equal_toIvEEfEE10hipError_tPvRmT2_T3_T4_T5_mT6_T7_P12ihipStream_tbENKUlT_T0_E_clISt17integral_constantIbLb1EES11_EEDaSW_SX_EUlSW_E_NS1_11comp_targetILNS1_3genE3ELNS1_11target_archE908ELNS1_3gpuE7ELNS1_3repE0EEENS1_30default_config_static_selectorELNS0_4arch9wavefront6targetE1EEEvT1_.kd
    .uniform_work_group_size: 1
    .uses_dynamic_stack: false
    .vgpr_count:     0
    .vgpr_spill_count: 0
    .wavefront_size: 64
  - .agpr_count:     0
    .args:
      - .offset:         0
        .size:           112
        .value_kind:     by_value
    .group_segment_fixed_size: 0
    .kernarg_segment_align: 8
    .kernarg_segment_size: 112
    .language:       OpenCL C
    .language_version:
      - 2
      - 0
    .max_flat_workgroup_size: 256
    .name:           _ZN7rocprim17ROCPRIM_400000_NS6detail17trampoline_kernelINS0_14default_configENS1_27scan_by_key_config_selectorIifEEZZNS1_16scan_by_key_implILNS1_25lookback_scan_determinismE0ELb0ES3_N6thrust23THRUST_200600_302600_NS6detail15normal_iteratorINS9_10device_ptrIiEEEENSB_INSC_IfEEEESG_fNS9_4plusIvEENS9_8equal_toIvEEfEE10hipError_tPvRmT2_T3_T4_T5_mT6_T7_P12ihipStream_tbENKUlT_T0_E_clISt17integral_constantIbLb1EES11_EEDaSW_SX_EUlSW_E_NS1_11comp_targetILNS1_3genE2ELNS1_11target_archE906ELNS1_3gpuE6ELNS1_3repE0EEENS1_30default_config_static_selectorELNS0_4arch9wavefront6targetE1EEEvT1_
    .private_segment_fixed_size: 0
    .sgpr_count:     6
    .sgpr_spill_count: 0
    .symbol:         _ZN7rocprim17ROCPRIM_400000_NS6detail17trampoline_kernelINS0_14default_configENS1_27scan_by_key_config_selectorIifEEZZNS1_16scan_by_key_implILNS1_25lookback_scan_determinismE0ELb0ES3_N6thrust23THRUST_200600_302600_NS6detail15normal_iteratorINS9_10device_ptrIiEEEENSB_INSC_IfEEEESG_fNS9_4plusIvEENS9_8equal_toIvEEfEE10hipError_tPvRmT2_T3_T4_T5_mT6_T7_P12ihipStream_tbENKUlT_T0_E_clISt17integral_constantIbLb1EES11_EEDaSW_SX_EUlSW_E_NS1_11comp_targetILNS1_3genE2ELNS1_11target_archE906ELNS1_3gpuE6ELNS1_3repE0EEENS1_30default_config_static_selectorELNS0_4arch9wavefront6targetE1EEEvT1_.kd
    .uniform_work_group_size: 1
    .uses_dynamic_stack: false
    .vgpr_count:     0
    .vgpr_spill_count: 0
    .wavefront_size: 64
  - .agpr_count:     0
    .args:
      - .offset:         0
        .size:           112
        .value_kind:     by_value
    .group_segment_fixed_size: 0
    .kernarg_segment_align: 8
    .kernarg_segment_size: 112
    .language:       OpenCL C
    .language_version:
      - 2
      - 0
    .max_flat_workgroup_size: 256
    .name:           _ZN7rocprim17ROCPRIM_400000_NS6detail17trampoline_kernelINS0_14default_configENS1_27scan_by_key_config_selectorIifEEZZNS1_16scan_by_key_implILNS1_25lookback_scan_determinismE0ELb0ES3_N6thrust23THRUST_200600_302600_NS6detail15normal_iteratorINS9_10device_ptrIiEEEENSB_INSC_IfEEEESG_fNS9_4plusIvEENS9_8equal_toIvEEfEE10hipError_tPvRmT2_T3_T4_T5_mT6_T7_P12ihipStream_tbENKUlT_T0_E_clISt17integral_constantIbLb1EES11_EEDaSW_SX_EUlSW_E_NS1_11comp_targetILNS1_3genE10ELNS1_11target_archE1200ELNS1_3gpuE4ELNS1_3repE0EEENS1_30default_config_static_selectorELNS0_4arch9wavefront6targetE1EEEvT1_
    .private_segment_fixed_size: 0
    .sgpr_count:     6
    .sgpr_spill_count: 0
    .symbol:         _ZN7rocprim17ROCPRIM_400000_NS6detail17trampoline_kernelINS0_14default_configENS1_27scan_by_key_config_selectorIifEEZZNS1_16scan_by_key_implILNS1_25lookback_scan_determinismE0ELb0ES3_N6thrust23THRUST_200600_302600_NS6detail15normal_iteratorINS9_10device_ptrIiEEEENSB_INSC_IfEEEESG_fNS9_4plusIvEENS9_8equal_toIvEEfEE10hipError_tPvRmT2_T3_T4_T5_mT6_T7_P12ihipStream_tbENKUlT_T0_E_clISt17integral_constantIbLb1EES11_EEDaSW_SX_EUlSW_E_NS1_11comp_targetILNS1_3genE10ELNS1_11target_archE1200ELNS1_3gpuE4ELNS1_3repE0EEENS1_30default_config_static_selectorELNS0_4arch9wavefront6targetE1EEEvT1_.kd
    .uniform_work_group_size: 1
    .uses_dynamic_stack: false
    .vgpr_count:     0
    .vgpr_spill_count: 0
    .wavefront_size: 64
  - .agpr_count:     0
    .args:
      - .offset:         0
        .size:           112
        .value_kind:     by_value
    .group_segment_fixed_size: 0
    .kernarg_segment_align: 8
    .kernarg_segment_size: 112
    .language:       OpenCL C
    .language_version:
      - 2
      - 0
    .max_flat_workgroup_size: 256
    .name:           _ZN7rocprim17ROCPRIM_400000_NS6detail17trampoline_kernelINS0_14default_configENS1_27scan_by_key_config_selectorIifEEZZNS1_16scan_by_key_implILNS1_25lookback_scan_determinismE0ELb0ES3_N6thrust23THRUST_200600_302600_NS6detail15normal_iteratorINS9_10device_ptrIiEEEENSB_INSC_IfEEEESG_fNS9_4plusIvEENS9_8equal_toIvEEfEE10hipError_tPvRmT2_T3_T4_T5_mT6_T7_P12ihipStream_tbENKUlT_T0_E_clISt17integral_constantIbLb1EES11_EEDaSW_SX_EUlSW_E_NS1_11comp_targetILNS1_3genE9ELNS1_11target_archE1100ELNS1_3gpuE3ELNS1_3repE0EEENS1_30default_config_static_selectorELNS0_4arch9wavefront6targetE1EEEvT1_
    .private_segment_fixed_size: 0
    .sgpr_count:     6
    .sgpr_spill_count: 0
    .symbol:         _ZN7rocprim17ROCPRIM_400000_NS6detail17trampoline_kernelINS0_14default_configENS1_27scan_by_key_config_selectorIifEEZZNS1_16scan_by_key_implILNS1_25lookback_scan_determinismE0ELb0ES3_N6thrust23THRUST_200600_302600_NS6detail15normal_iteratorINS9_10device_ptrIiEEEENSB_INSC_IfEEEESG_fNS9_4plusIvEENS9_8equal_toIvEEfEE10hipError_tPvRmT2_T3_T4_T5_mT6_T7_P12ihipStream_tbENKUlT_T0_E_clISt17integral_constantIbLb1EES11_EEDaSW_SX_EUlSW_E_NS1_11comp_targetILNS1_3genE9ELNS1_11target_archE1100ELNS1_3gpuE3ELNS1_3repE0EEENS1_30default_config_static_selectorELNS0_4arch9wavefront6targetE1EEEvT1_.kd
    .uniform_work_group_size: 1
    .uses_dynamic_stack: false
    .vgpr_count:     0
    .vgpr_spill_count: 0
    .wavefront_size: 64
  - .agpr_count:     0
    .args:
      - .offset:         0
        .size:           112
        .value_kind:     by_value
    .group_segment_fixed_size: 0
    .kernarg_segment_align: 8
    .kernarg_segment_size: 112
    .language:       OpenCL C
    .language_version:
      - 2
      - 0
    .max_flat_workgroup_size: 256
    .name:           _ZN7rocprim17ROCPRIM_400000_NS6detail17trampoline_kernelINS0_14default_configENS1_27scan_by_key_config_selectorIifEEZZNS1_16scan_by_key_implILNS1_25lookback_scan_determinismE0ELb0ES3_N6thrust23THRUST_200600_302600_NS6detail15normal_iteratorINS9_10device_ptrIiEEEENSB_INSC_IfEEEESG_fNS9_4plusIvEENS9_8equal_toIvEEfEE10hipError_tPvRmT2_T3_T4_T5_mT6_T7_P12ihipStream_tbENKUlT_T0_E_clISt17integral_constantIbLb1EES11_EEDaSW_SX_EUlSW_E_NS1_11comp_targetILNS1_3genE8ELNS1_11target_archE1030ELNS1_3gpuE2ELNS1_3repE0EEENS1_30default_config_static_selectorELNS0_4arch9wavefront6targetE1EEEvT1_
    .private_segment_fixed_size: 0
    .sgpr_count:     6
    .sgpr_spill_count: 0
    .symbol:         _ZN7rocprim17ROCPRIM_400000_NS6detail17trampoline_kernelINS0_14default_configENS1_27scan_by_key_config_selectorIifEEZZNS1_16scan_by_key_implILNS1_25lookback_scan_determinismE0ELb0ES3_N6thrust23THRUST_200600_302600_NS6detail15normal_iteratorINS9_10device_ptrIiEEEENSB_INSC_IfEEEESG_fNS9_4plusIvEENS9_8equal_toIvEEfEE10hipError_tPvRmT2_T3_T4_T5_mT6_T7_P12ihipStream_tbENKUlT_T0_E_clISt17integral_constantIbLb1EES11_EEDaSW_SX_EUlSW_E_NS1_11comp_targetILNS1_3genE8ELNS1_11target_archE1030ELNS1_3gpuE2ELNS1_3repE0EEENS1_30default_config_static_selectorELNS0_4arch9wavefront6targetE1EEEvT1_.kd
    .uniform_work_group_size: 1
    .uses_dynamic_stack: false
    .vgpr_count:     0
    .vgpr_spill_count: 0
    .wavefront_size: 64
  - .agpr_count:     0
    .args:
      - .address_space:  global
        .offset:         0
        .size:           8
        .value_kind:     global_buffer
      - .offset:         8
        .size:           4
        .value_kind:     by_value
      - .offset:         12
        .size:           4
        .value_kind:     by_value
      - .address_space:  global
        .offset:         16
        .size:           8
        .value_kind:     global_buffer
      - .address_space:  global
        .offset:         24
        .size:           8
        .value_kind:     global_buffer
      - .actual_access:  write_only
        .address_space:  global
        .offset:         32
        .size:           8
        .value_kind:     global_buffer
      - .offset:         40
        .size:           8
        .value_kind:     by_value
      - .offset:         48
        .size:           4
        .value_kind:     by_value
      - .offset:         52
        .size:           1
        .value_kind:     by_value
      - .offset:         56
        .size:           4
        .value_kind:     hidden_block_count_x
      - .offset:         60
        .size:           4
        .value_kind:     hidden_block_count_y
      - .offset:         64
        .size:           4
        .value_kind:     hidden_block_count_z
      - .offset:         68
        .size:           2
        .value_kind:     hidden_group_size_x
      - .offset:         70
        .size:           2
        .value_kind:     hidden_group_size_y
      - .offset:         72
        .size:           2
        .value_kind:     hidden_group_size_z
      - .offset:         74
        .size:           2
        .value_kind:     hidden_remainder_x
      - .offset:         76
        .size:           2
        .value_kind:     hidden_remainder_y
      - .offset:         78
        .size:           2
        .value_kind:     hidden_remainder_z
      - .offset:         96
        .size:           8
        .value_kind:     hidden_global_offset_x
      - .offset:         104
        .size:           8
        .value_kind:     hidden_global_offset_y
      - .offset:         112
        .size:           8
        .value_kind:     hidden_global_offset_z
      - .offset:         120
        .size:           2
        .value_kind:     hidden_grid_dims
    .group_segment_fixed_size: 0
    .kernarg_segment_align: 8
    .kernarg_segment_size: 312
    .language:       OpenCL C
    .language_version:
      - 2
      - 0
    .max_flat_workgroup_size: 256
    .name:           _ZN7rocprim17ROCPRIM_400000_NS6detail30init_device_scan_by_key_kernelINS1_19lookback_scan_stateINS0_5tupleIJfbEEELb1ELb1EEEN6thrust23THRUST_200600_302600_NS6detail15normal_iteratorINS8_10device_ptrIiEEEEjNS1_16block_id_wrapperIjLb0EEEEEvT_jjPNSG_10value_typeET0_PNSt15iterator_traitsISJ_E10value_typeEmT1_T2_
    .private_segment_fixed_size: 0
    .sgpr_count:     26
    .sgpr_spill_count: 0
    .symbol:         _ZN7rocprim17ROCPRIM_400000_NS6detail30init_device_scan_by_key_kernelINS1_19lookback_scan_stateINS0_5tupleIJfbEEELb1ELb1EEEN6thrust23THRUST_200600_302600_NS6detail15normal_iteratorINS8_10device_ptrIiEEEEjNS1_16block_id_wrapperIjLb0EEEEEvT_jjPNSG_10value_typeET0_PNSt15iterator_traitsISJ_E10value_typeEmT1_T2_.kd
    .uniform_work_group_size: 1
    .uses_dynamic_stack: false
    .vgpr_count:     10
    .vgpr_spill_count: 0
    .wavefront_size: 64
  - .agpr_count:     0
    .args:
      - .address_space:  global
        .offset:         0
        .size:           8
        .value_kind:     global_buffer
      - .offset:         8
        .size:           4
        .value_kind:     by_value
      - .offset:         12
        .size:           4
        .value_kind:     by_value
      - .address_space:  global
        .offset:         16
        .size:           8
        .value_kind:     global_buffer
      - .offset:         24
        .size:           1
        .value_kind:     by_value
      - .offset:         32
        .size:           4
        .value_kind:     hidden_block_count_x
      - .offset:         36
        .size:           4
        .value_kind:     hidden_block_count_y
      - .offset:         40
        .size:           4
        .value_kind:     hidden_block_count_z
      - .offset:         44
        .size:           2
        .value_kind:     hidden_group_size_x
      - .offset:         46
        .size:           2
        .value_kind:     hidden_group_size_y
      - .offset:         48
        .size:           2
        .value_kind:     hidden_group_size_z
      - .offset:         50
        .size:           2
        .value_kind:     hidden_remainder_x
      - .offset:         52
        .size:           2
        .value_kind:     hidden_remainder_y
      - .offset:         54
        .size:           2
        .value_kind:     hidden_remainder_z
      - .offset:         72
        .size:           8
        .value_kind:     hidden_global_offset_x
      - .offset:         80
        .size:           8
        .value_kind:     hidden_global_offset_y
      - .offset:         88
        .size:           8
        .value_kind:     hidden_global_offset_z
      - .offset:         96
        .size:           2
        .value_kind:     hidden_grid_dims
    .group_segment_fixed_size: 0
    .kernarg_segment_align: 8
    .kernarg_segment_size: 288
    .language:       OpenCL C
    .language_version:
      - 2
      - 0
    .max_flat_workgroup_size: 256
    .name:           _ZN7rocprim17ROCPRIM_400000_NS6detail30init_device_scan_by_key_kernelINS1_19lookback_scan_stateINS0_5tupleIJfbEEELb1ELb1EEENS1_16block_id_wrapperIjLb0EEEEEvT_jjPNS9_10value_typeET0_
    .private_segment_fixed_size: 0
    .sgpr_count:     20
    .sgpr_spill_count: 0
    .symbol:         _ZN7rocprim17ROCPRIM_400000_NS6detail30init_device_scan_by_key_kernelINS1_19lookback_scan_stateINS0_5tupleIJfbEEELb1ELb1EEENS1_16block_id_wrapperIjLb0EEEEEvT_jjPNS9_10value_typeET0_.kd
    .uniform_work_group_size: 1
    .uses_dynamic_stack: false
    .vgpr_count:     10
    .vgpr_spill_count: 0
    .wavefront_size: 64
  - .agpr_count:     0
    .args:
      - .offset:         0
        .size:           112
        .value_kind:     by_value
    .group_segment_fixed_size: 0
    .kernarg_segment_align: 8
    .kernarg_segment_size: 112
    .language:       OpenCL C
    .language_version:
      - 2
      - 0
    .max_flat_workgroup_size: 256
    .name:           _ZN7rocprim17ROCPRIM_400000_NS6detail17trampoline_kernelINS0_14default_configENS1_27scan_by_key_config_selectorIifEEZZNS1_16scan_by_key_implILNS1_25lookback_scan_determinismE0ELb0ES3_N6thrust23THRUST_200600_302600_NS6detail15normal_iteratorINS9_10device_ptrIiEEEENSB_INSC_IfEEEESG_fNS9_4plusIvEENS9_8equal_toIvEEfEE10hipError_tPvRmT2_T3_T4_T5_mT6_T7_P12ihipStream_tbENKUlT_T0_E_clISt17integral_constantIbLb1EES10_IbLb0EEEEDaSW_SX_EUlSW_E_NS1_11comp_targetILNS1_3genE0ELNS1_11target_archE4294967295ELNS1_3gpuE0ELNS1_3repE0EEENS1_30default_config_static_selectorELNS0_4arch9wavefront6targetE1EEEvT1_
    .private_segment_fixed_size: 0
    .sgpr_count:     6
    .sgpr_spill_count: 0
    .symbol:         _ZN7rocprim17ROCPRIM_400000_NS6detail17trampoline_kernelINS0_14default_configENS1_27scan_by_key_config_selectorIifEEZZNS1_16scan_by_key_implILNS1_25lookback_scan_determinismE0ELb0ES3_N6thrust23THRUST_200600_302600_NS6detail15normal_iteratorINS9_10device_ptrIiEEEENSB_INSC_IfEEEESG_fNS9_4plusIvEENS9_8equal_toIvEEfEE10hipError_tPvRmT2_T3_T4_T5_mT6_T7_P12ihipStream_tbENKUlT_T0_E_clISt17integral_constantIbLb1EES10_IbLb0EEEEDaSW_SX_EUlSW_E_NS1_11comp_targetILNS1_3genE0ELNS1_11target_archE4294967295ELNS1_3gpuE0ELNS1_3repE0EEENS1_30default_config_static_selectorELNS0_4arch9wavefront6targetE1EEEvT1_.kd
    .uniform_work_group_size: 1
    .uses_dynamic_stack: false
    .vgpr_count:     0
    .vgpr_spill_count: 0
    .wavefront_size: 64
  - .agpr_count:     0
    .args:
      - .offset:         0
        .size:           112
        .value_kind:     by_value
    .group_segment_fixed_size: 0
    .kernarg_segment_align: 8
    .kernarg_segment_size: 112
    .language:       OpenCL C
    .language_version:
      - 2
      - 0
    .max_flat_workgroup_size: 256
    .name:           _ZN7rocprim17ROCPRIM_400000_NS6detail17trampoline_kernelINS0_14default_configENS1_27scan_by_key_config_selectorIifEEZZNS1_16scan_by_key_implILNS1_25lookback_scan_determinismE0ELb0ES3_N6thrust23THRUST_200600_302600_NS6detail15normal_iteratorINS9_10device_ptrIiEEEENSB_INSC_IfEEEESG_fNS9_4plusIvEENS9_8equal_toIvEEfEE10hipError_tPvRmT2_T3_T4_T5_mT6_T7_P12ihipStream_tbENKUlT_T0_E_clISt17integral_constantIbLb1EES10_IbLb0EEEEDaSW_SX_EUlSW_E_NS1_11comp_targetILNS1_3genE10ELNS1_11target_archE1201ELNS1_3gpuE5ELNS1_3repE0EEENS1_30default_config_static_selectorELNS0_4arch9wavefront6targetE1EEEvT1_
    .private_segment_fixed_size: 0
    .sgpr_count:     6
    .sgpr_spill_count: 0
    .symbol:         _ZN7rocprim17ROCPRIM_400000_NS6detail17trampoline_kernelINS0_14default_configENS1_27scan_by_key_config_selectorIifEEZZNS1_16scan_by_key_implILNS1_25lookback_scan_determinismE0ELb0ES3_N6thrust23THRUST_200600_302600_NS6detail15normal_iteratorINS9_10device_ptrIiEEEENSB_INSC_IfEEEESG_fNS9_4plusIvEENS9_8equal_toIvEEfEE10hipError_tPvRmT2_T3_T4_T5_mT6_T7_P12ihipStream_tbENKUlT_T0_E_clISt17integral_constantIbLb1EES10_IbLb0EEEEDaSW_SX_EUlSW_E_NS1_11comp_targetILNS1_3genE10ELNS1_11target_archE1201ELNS1_3gpuE5ELNS1_3repE0EEENS1_30default_config_static_selectorELNS0_4arch9wavefront6targetE1EEEvT1_.kd
    .uniform_work_group_size: 1
    .uses_dynamic_stack: false
    .vgpr_count:     0
    .vgpr_spill_count: 0
    .wavefront_size: 64
  - .agpr_count:     0
    .args:
      - .offset:         0
        .size:           112
        .value_kind:     by_value
    .group_segment_fixed_size: 25600
    .kernarg_segment_align: 8
    .kernarg_segment_size: 112
    .language:       OpenCL C
    .language_version:
      - 2
      - 0
    .max_flat_workgroup_size: 256
    .name:           _ZN7rocprim17ROCPRIM_400000_NS6detail17trampoline_kernelINS0_14default_configENS1_27scan_by_key_config_selectorIifEEZZNS1_16scan_by_key_implILNS1_25lookback_scan_determinismE0ELb0ES3_N6thrust23THRUST_200600_302600_NS6detail15normal_iteratorINS9_10device_ptrIiEEEENSB_INSC_IfEEEESG_fNS9_4plusIvEENS9_8equal_toIvEEfEE10hipError_tPvRmT2_T3_T4_T5_mT6_T7_P12ihipStream_tbENKUlT_T0_E_clISt17integral_constantIbLb1EES10_IbLb0EEEEDaSW_SX_EUlSW_E_NS1_11comp_targetILNS1_3genE5ELNS1_11target_archE942ELNS1_3gpuE9ELNS1_3repE0EEENS1_30default_config_static_selectorELNS0_4arch9wavefront6targetE1EEEvT1_
    .private_segment_fixed_size: 0
    .sgpr_count:     90
    .sgpr_spill_count: 0
    .symbol:         _ZN7rocprim17ROCPRIM_400000_NS6detail17trampoline_kernelINS0_14default_configENS1_27scan_by_key_config_selectorIifEEZZNS1_16scan_by_key_implILNS1_25lookback_scan_determinismE0ELb0ES3_N6thrust23THRUST_200600_302600_NS6detail15normal_iteratorINS9_10device_ptrIiEEEENSB_INSC_IfEEEESG_fNS9_4plusIvEENS9_8equal_toIvEEfEE10hipError_tPvRmT2_T3_T4_T5_mT6_T7_P12ihipStream_tbENKUlT_T0_E_clISt17integral_constantIbLb1EES10_IbLb0EEEEDaSW_SX_EUlSW_E_NS1_11comp_targetILNS1_3genE5ELNS1_11target_archE942ELNS1_3gpuE9ELNS1_3repE0EEENS1_30default_config_static_selectorELNS0_4arch9wavefront6targetE1EEEvT1_.kd
    .uniform_work_group_size: 1
    .uses_dynamic_stack: false
    .vgpr_count:     91
    .vgpr_spill_count: 0
    .wavefront_size: 64
  - .agpr_count:     0
    .args:
      - .offset:         0
        .size:           112
        .value_kind:     by_value
    .group_segment_fixed_size: 0
    .kernarg_segment_align: 8
    .kernarg_segment_size: 112
    .language:       OpenCL C
    .language_version:
      - 2
      - 0
    .max_flat_workgroup_size: 256
    .name:           _ZN7rocprim17ROCPRIM_400000_NS6detail17trampoline_kernelINS0_14default_configENS1_27scan_by_key_config_selectorIifEEZZNS1_16scan_by_key_implILNS1_25lookback_scan_determinismE0ELb0ES3_N6thrust23THRUST_200600_302600_NS6detail15normal_iteratorINS9_10device_ptrIiEEEENSB_INSC_IfEEEESG_fNS9_4plusIvEENS9_8equal_toIvEEfEE10hipError_tPvRmT2_T3_T4_T5_mT6_T7_P12ihipStream_tbENKUlT_T0_E_clISt17integral_constantIbLb1EES10_IbLb0EEEEDaSW_SX_EUlSW_E_NS1_11comp_targetILNS1_3genE4ELNS1_11target_archE910ELNS1_3gpuE8ELNS1_3repE0EEENS1_30default_config_static_selectorELNS0_4arch9wavefront6targetE1EEEvT1_
    .private_segment_fixed_size: 0
    .sgpr_count:     6
    .sgpr_spill_count: 0
    .symbol:         _ZN7rocprim17ROCPRIM_400000_NS6detail17trampoline_kernelINS0_14default_configENS1_27scan_by_key_config_selectorIifEEZZNS1_16scan_by_key_implILNS1_25lookback_scan_determinismE0ELb0ES3_N6thrust23THRUST_200600_302600_NS6detail15normal_iteratorINS9_10device_ptrIiEEEENSB_INSC_IfEEEESG_fNS9_4plusIvEENS9_8equal_toIvEEfEE10hipError_tPvRmT2_T3_T4_T5_mT6_T7_P12ihipStream_tbENKUlT_T0_E_clISt17integral_constantIbLb1EES10_IbLb0EEEEDaSW_SX_EUlSW_E_NS1_11comp_targetILNS1_3genE4ELNS1_11target_archE910ELNS1_3gpuE8ELNS1_3repE0EEENS1_30default_config_static_selectorELNS0_4arch9wavefront6targetE1EEEvT1_.kd
    .uniform_work_group_size: 1
    .uses_dynamic_stack: false
    .vgpr_count:     0
    .vgpr_spill_count: 0
    .wavefront_size: 64
  - .agpr_count:     0
    .args:
      - .offset:         0
        .size:           112
        .value_kind:     by_value
    .group_segment_fixed_size: 0
    .kernarg_segment_align: 8
    .kernarg_segment_size: 112
    .language:       OpenCL C
    .language_version:
      - 2
      - 0
    .max_flat_workgroup_size: 256
    .name:           _ZN7rocprim17ROCPRIM_400000_NS6detail17trampoline_kernelINS0_14default_configENS1_27scan_by_key_config_selectorIifEEZZNS1_16scan_by_key_implILNS1_25lookback_scan_determinismE0ELb0ES3_N6thrust23THRUST_200600_302600_NS6detail15normal_iteratorINS9_10device_ptrIiEEEENSB_INSC_IfEEEESG_fNS9_4plusIvEENS9_8equal_toIvEEfEE10hipError_tPvRmT2_T3_T4_T5_mT6_T7_P12ihipStream_tbENKUlT_T0_E_clISt17integral_constantIbLb1EES10_IbLb0EEEEDaSW_SX_EUlSW_E_NS1_11comp_targetILNS1_3genE3ELNS1_11target_archE908ELNS1_3gpuE7ELNS1_3repE0EEENS1_30default_config_static_selectorELNS0_4arch9wavefront6targetE1EEEvT1_
    .private_segment_fixed_size: 0
    .sgpr_count:     6
    .sgpr_spill_count: 0
    .symbol:         _ZN7rocprim17ROCPRIM_400000_NS6detail17trampoline_kernelINS0_14default_configENS1_27scan_by_key_config_selectorIifEEZZNS1_16scan_by_key_implILNS1_25lookback_scan_determinismE0ELb0ES3_N6thrust23THRUST_200600_302600_NS6detail15normal_iteratorINS9_10device_ptrIiEEEENSB_INSC_IfEEEESG_fNS9_4plusIvEENS9_8equal_toIvEEfEE10hipError_tPvRmT2_T3_T4_T5_mT6_T7_P12ihipStream_tbENKUlT_T0_E_clISt17integral_constantIbLb1EES10_IbLb0EEEEDaSW_SX_EUlSW_E_NS1_11comp_targetILNS1_3genE3ELNS1_11target_archE908ELNS1_3gpuE7ELNS1_3repE0EEENS1_30default_config_static_selectorELNS0_4arch9wavefront6targetE1EEEvT1_.kd
    .uniform_work_group_size: 1
    .uses_dynamic_stack: false
    .vgpr_count:     0
    .vgpr_spill_count: 0
    .wavefront_size: 64
  - .agpr_count:     0
    .args:
      - .offset:         0
        .size:           112
        .value_kind:     by_value
    .group_segment_fixed_size: 0
    .kernarg_segment_align: 8
    .kernarg_segment_size: 112
    .language:       OpenCL C
    .language_version:
      - 2
      - 0
    .max_flat_workgroup_size: 256
    .name:           _ZN7rocprim17ROCPRIM_400000_NS6detail17trampoline_kernelINS0_14default_configENS1_27scan_by_key_config_selectorIifEEZZNS1_16scan_by_key_implILNS1_25lookback_scan_determinismE0ELb0ES3_N6thrust23THRUST_200600_302600_NS6detail15normal_iteratorINS9_10device_ptrIiEEEENSB_INSC_IfEEEESG_fNS9_4plusIvEENS9_8equal_toIvEEfEE10hipError_tPvRmT2_T3_T4_T5_mT6_T7_P12ihipStream_tbENKUlT_T0_E_clISt17integral_constantIbLb1EES10_IbLb0EEEEDaSW_SX_EUlSW_E_NS1_11comp_targetILNS1_3genE2ELNS1_11target_archE906ELNS1_3gpuE6ELNS1_3repE0EEENS1_30default_config_static_selectorELNS0_4arch9wavefront6targetE1EEEvT1_
    .private_segment_fixed_size: 0
    .sgpr_count:     6
    .sgpr_spill_count: 0
    .symbol:         _ZN7rocprim17ROCPRIM_400000_NS6detail17trampoline_kernelINS0_14default_configENS1_27scan_by_key_config_selectorIifEEZZNS1_16scan_by_key_implILNS1_25lookback_scan_determinismE0ELb0ES3_N6thrust23THRUST_200600_302600_NS6detail15normal_iteratorINS9_10device_ptrIiEEEENSB_INSC_IfEEEESG_fNS9_4plusIvEENS9_8equal_toIvEEfEE10hipError_tPvRmT2_T3_T4_T5_mT6_T7_P12ihipStream_tbENKUlT_T0_E_clISt17integral_constantIbLb1EES10_IbLb0EEEEDaSW_SX_EUlSW_E_NS1_11comp_targetILNS1_3genE2ELNS1_11target_archE906ELNS1_3gpuE6ELNS1_3repE0EEENS1_30default_config_static_selectorELNS0_4arch9wavefront6targetE1EEEvT1_.kd
    .uniform_work_group_size: 1
    .uses_dynamic_stack: false
    .vgpr_count:     0
    .vgpr_spill_count: 0
    .wavefront_size: 64
  - .agpr_count:     0
    .args:
      - .offset:         0
        .size:           112
        .value_kind:     by_value
    .group_segment_fixed_size: 0
    .kernarg_segment_align: 8
    .kernarg_segment_size: 112
    .language:       OpenCL C
    .language_version:
      - 2
      - 0
    .max_flat_workgroup_size: 256
    .name:           _ZN7rocprim17ROCPRIM_400000_NS6detail17trampoline_kernelINS0_14default_configENS1_27scan_by_key_config_selectorIifEEZZNS1_16scan_by_key_implILNS1_25lookback_scan_determinismE0ELb0ES3_N6thrust23THRUST_200600_302600_NS6detail15normal_iteratorINS9_10device_ptrIiEEEENSB_INSC_IfEEEESG_fNS9_4plusIvEENS9_8equal_toIvEEfEE10hipError_tPvRmT2_T3_T4_T5_mT6_T7_P12ihipStream_tbENKUlT_T0_E_clISt17integral_constantIbLb1EES10_IbLb0EEEEDaSW_SX_EUlSW_E_NS1_11comp_targetILNS1_3genE10ELNS1_11target_archE1200ELNS1_3gpuE4ELNS1_3repE0EEENS1_30default_config_static_selectorELNS0_4arch9wavefront6targetE1EEEvT1_
    .private_segment_fixed_size: 0
    .sgpr_count:     6
    .sgpr_spill_count: 0
    .symbol:         _ZN7rocprim17ROCPRIM_400000_NS6detail17trampoline_kernelINS0_14default_configENS1_27scan_by_key_config_selectorIifEEZZNS1_16scan_by_key_implILNS1_25lookback_scan_determinismE0ELb0ES3_N6thrust23THRUST_200600_302600_NS6detail15normal_iteratorINS9_10device_ptrIiEEEENSB_INSC_IfEEEESG_fNS9_4plusIvEENS9_8equal_toIvEEfEE10hipError_tPvRmT2_T3_T4_T5_mT6_T7_P12ihipStream_tbENKUlT_T0_E_clISt17integral_constantIbLb1EES10_IbLb0EEEEDaSW_SX_EUlSW_E_NS1_11comp_targetILNS1_3genE10ELNS1_11target_archE1200ELNS1_3gpuE4ELNS1_3repE0EEENS1_30default_config_static_selectorELNS0_4arch9wavefront6targetE1EEEvT1_.kd
    .uniform_work_group_size: 1
    .uses_dynamic_stack: false
    .vgpr_count:     0
    .vgpr_spill_count: 0
    .wavefront_size: 64
  - .agpr_count:     0
    .args:
      - .offset:         0
        .size:           112
        .value_kind:     by_value
    .group_segment_fixed_size: 0
    .kernarg_segment_align: 8
    .kernarg_segment_size: 112
    .language:       OpenCL C
    .language_version:
      - 2
      - 0
    .max_flat_workgroup_size: 256
    .name:           _ZN7rocprim17ROCPRIM_400000_NS6detail17trampoline_kernelINS0_14default_configENS1_27scan_by_key_config_selectorIifEEZZNS1_16scan_by_key_implILNS1_25lookback_scan_determinismE0ELb0ES3_N6thrust23THRUST_200600_302600_NS6detail15normal_iteratorINS9_10device_ptrIiEEEENSB_INSC_IfEEEESG_fNS9_4plusIvEENS9_8equal_toIvEEfEE10hipError_tPvRmT2_T3_T4_T5_mT6_T7_P12ihipStream_tbENKUlT_T0_E_clISt17integral_constantIbLb1EES10_IbLb0EEEEDaSW_SX_EUlSW_E_NS1_11comp_targetILNS1_3genE9ELNS1_11target_archE1100ELNS1_3gpuE3ELNS1_3repE0EEENS1_30default_config_static_selectorELNS0_4arch9wavefront6targetE1EEEvT1_
    .private_segment_fixed_size: 0
    .sgpr_count:     6
    .sgpr_spill_count: 0
    .symbol:         _ZN7rocprim17ROCPRIM_400000_NS6detail17trampoline_kernelINS0_14default_configENS1_27scan_by_key_config_selectorIifEEZZNS1_16scan_by_key_implILNS1_25lookback_scan_determinismE0ELb0ES3_N6thrust23THRUST_200600_302600_NS6detail15normal_iteratorINS9_10device_ptrIiEEEENSB_INSC_IfEEEESG_fNS9_4plusIvEENS9_8equal_toIvEEfEE10hipError_tPvRmT2_T3_T4_T5_mT6_T7_P12ihipStream_tbENKUlT_T0_E_clISt17integral_constantIbLb1EES10_IbLb0EEEEDaSW_SX_EUlSW_E_NS1_11comp_targetILNS1_3genE9ELNS1_11target_archE1100ELNS1_3gpuE3ELNS1_3repE0EEENS1_30default_config_static_selectorELNS0_4arch9wavefront6targetE1EEEvT1_.kd
    .uniform_work_group_size: 1
    .uses_dynamic_stack: false
    .vgpr_count:     0
    .vgpr_spill_count: 0
    .wavefront_size: 64
  - .agpr_count:     0
    .args:
      - .offset:         0
        .size:           112
        .value_kind:     by_value
    .group_segment_fixed_size: 0
    .kernarg_segment_align: 8
    .kernarg_segment_size: 112
    .language:       OpenCL C
    .language_version:
      - 2
      - 0
    .max_flat_workgroup_size: 256
    .name:           _ZN7rocprim17ROCPRIM_400000_NS6detail17trampoline_kernelINS0_14default_configENS1_27scan_by_key_config_selectorIifEEZZNS1_16scan_by_key_implILNS1_25lookback_scan_determinismE0ELb0ES3_N6thrust23THRUST_200600_302600_NS6detail15normal_iteratorINS9_10device_ptrIiEEEENSB_INSC_IfEEEESG_fNS9_4plusIvEENS9_8equal_toIvEEfEE10hipError_tPvRmT2_T3_T4_T5_mT6_T7_P12ihipStream_tbENKUlT_T0_E_clISt17integral_constantIbLb1EES10_IbLb0EEEEDaSW_SX_EUlSW_E_NS1_11comp_targetILNS1_3genE8ELNS1_11target_archE1030ELNS1_3gpuE2ELNS1_3repE0EEENS1_30default_config_static_selectorELNS0_4arch9wavefront6targetE1EEEvT1_
    .private_segment_fixed_size: 0
    .sgpr_count:     6
    .sgpr_spill_count: 0
    .symbol:         _ZN7rocprim17ROCPRIM_400000_NS6detail17trampoline_kernelINS0_14default_configENS1_27scan_by_key_config_selectorIifEEZZNS1_16scan_by_key_implILNS1_25lookback_scan_determinismE0ELb0ES3_N6thrust23THRUST_200600_302600_NS6detail15normal_iteratorINS9_10device_ptrIiEEEENSB_INSC_IfEEEESG_fNS9_4plusIvEENS9_8equal_toIvEEfEE10hipError_tPvRmT2_T3_T4_T5_mT6_T7_P12ihipStream_tbENKUlT_T0_E_clISt17integral_constantIbLb1EES10_IbLb0EEEEDaSW_SX_EUlSW_E_NS1_11comp_targetILNS1_3genE8ELNS1_11target_archE1030ELNS1_3gpuE2ELNS1_3repE0EEENS1_30default_config_static_selectorELNS0_4arch9wavefront6targetE1EEEvT1_.kd
    .uniform_work_group_size: 1
    .uses_dynamic_stack: false
    .vgpr_count:     0
    .vgpr_spill_count: 0
    .wavefront_size: 64
  - .agpr_count:     0
    .args:
      - .address_space:  global
        .offset:         0
        .size:           8
        .value_kind:     global_buffer
      - .offset:         8
        .size:           4
        .value_kind:     by_value
      - .offset:         12
        .size:           4
        .value_kind:     by_value
      - .address_space:  global
        .offset:         16
        .size:           8
        .value_kind:     global_buffer
      - .address_space:  global
        .offset:         24
        .size:           8
        .value_kind:     global_buffer
      - .actual_access:  write_only
        .address_space:  global
        .offset:         32
        .size:           8
        .value_kind:     global_buffer
      - .offset:         40
        .size:           8
        .value_kind:     by_value
      - .offset:         48
        .size:           4
        .value_kind:     by_value
      - .address_space:  global
        .offset:         56
        .size:           8
        .value_kind:     global_buffer
      - .offset:         64
        .size:           4
        .value_kind:     hidden_block_count_x
      - .offset:         68
        .size:           4
        .value_kind:     hidden_block_count_y
      - .offset:         72
        .size:           4
        .value_kind:     hidden_block_count_z
      - .offset:         76
        .size:           2
        .value_kind:     hidden_group_size_x
      - .offset:         78
        .size:           2
        .value_kind:     hidden_group_size_y
      - .offset:         80
        .size:           2
        .value_kind:     hidden_group_size_z
      - .offset:         82
        .size:           2
        .value_kind:     hidden_remainder_x
      - .offset:         84
        .size:           2
        .value_kind:     hidden_remainder_y
      - .offset:         86
        .size:           2
        .value_kind:     hidden_remainder_z
      - .offset:         104
        .size:           8
        .value_kind:     hidden_global_offset_x
      - .offset:         112
        .size:           8
        .value_kind:     hidden_global_offset_y
      - .offset:         120
        .size:           8
        .value_kind:     hidden_global_offset_z
      - .offset:         128
        .size:           2
        .value_kind:     hidden_grid_dims
    .group_segment_fixed_size: 0
    .kernarg_segment_align: 8
    .kernarg_segment_size: 320
    .language:       OpenCL C
    .language_version:
      - 2
      - 0
    .max_flat_workgroup_size: 256
    .name:           _ZN7rocprim17ROCPRIM_400000_NS6detail30init_device_scan_by_key_kernelINS1_19lookback_scan_stateINS0_5tupleIJfbEEELb0ELb1EEEN6thrust23THRUST_200600_302600_NS6detail15normal_iteratorINS8_10device_ptrIiEEEEjNS1_16block_id_wrapperIjLb1EEEEEvT_jjPNSG_10value_typeET0_PNSt15iterator_traitsISJ_E10value_typeEmT1_T2_
    .private_segment_fixed_size: 0
    .sgpr_count:     26
    .sgpr_spill_count: 0
    .symbol:         _ZN7rocprim17ROCPRIM_400000_NS6detail30init_device_scan_by_key_kernelINS1_19lookback_scan_stateINS0_5tupleIJfbEEELb0ELb1EEEN6thrust23THRUST_200600_302600_NS6detail15normal_iteratorINS8_10device_ptrIiEEEEjNS1_16block_id_wrapperIjLb1EEEEEvT_jjPNSG_10value_typeET0_PNSt15iterator_traitsISJ_E10value_typeEmT1_T2_.kd
    .uniform_work_group_size: 1
    .uses_dynamic_stack: false
    .vgpr_count:     10
    .vgpr_spill_count: 0
    .wavefront_size: 64
  - .agpr_count:     0
    .args:
      - .address_space:  global
        .offset:         0
        .size:           8
        .value_kind:     global_buffer
      - .offset:         8
        .size:           4
        .value_kind:     by_value
      - .offset:         12
        .size:           4
        .value_kind:     by_value
      - .address_space:  global
        .offset:         16
        .size:           8
        .value_kind:     global_buffer
      - .address_space:  global
        .offset:         24
        .size:           8
        .value_kind:     global_buffer
      - .offset:         32
        .size:           4
        .value_kind:     hidden_block_count_x
      - .offset:         36
        .size:           4
        .value_kind:     hidden_block_count_y
      - .offset:         40
        .size:           4
        .value_kind:     hidden_block_count_z
      - .offset:         44
        .size:           2
        .value_kind:     hidden_group_size_x
      - .offset:         46
        .size:           2
        .value_kind:     hidden_group_size_y
      - .offset:         48
        .size:           2
        .value_kind:     hidden_group_size_z
      - .offset:         50
        .size:           2
        .value_kind:     hidden_remainder_x
      - .offset:         52
        .size:           2
        .value_kind:     hidden_remainder_y
      - .offset:         54
        .size:           2
        .value_kind:     hidden_remainder_z
      - .offset:         72
        .size:           8
        .value_kind:     hidden_global_offset_x
      - .offset:         80
        .size:           8
        .value_kind:     hidden_global_offset_y
      - .offset:         88
        .size:           8
        .value_kind:     hidden_global_offset_z
      - .offset:         96
        .size:           2
        .value_kind:     hidden_grid_dims
    .group_segment_fixed_size: 0
    .kernarg_segment_align: 8
    .kernarg_segment_size: 288
    .language:       OpenCL C
    .language_version:
      - 2
      - 0
    .max_flat_workgroup_size: 256
    .name:           _ZN7rocprim17ROCPRIM_400000_NS6detail30init_device_scan_by_key_kernelINS1_19lookback_scan_stateINS0_5tupleIJfbEEELb0ELb1EEENS1_16block_id_wrapperIjLb1EEEEEvT_jjPNS9_10value_typeET0_
    .private_segment_fixed_size: 0
    .sgpr_count:     22
    .sgpr_spill_count: 0
    .symbol:         _ZN7rocprim17ROCPRIM_400000_NS6detail30init_device_scan_by_key_kernelINS1_19lookback_scan_stateINS0_5tupleIJfbEEELb0ELb1EEENS1_16block_id_wrapperIjLb1EEEEEvT_jjPNS9_10value_typeET0_.kd
    .uniform_work_group_size: 1
    .uses_dynamic_stack: false
    .vgpr_count:     10
    .vgpr_spill_count: 0
    .wavefront_size: 64
  - .agpr_count:     0
    .args:
      - .offset:         0
        .size:           112
        .value_kind:     by_value
    .group_segment_fixed_size: 0
    .kernarg_segment_align: 8
    .kernarg_segment_size: 112
    .language:       OpenCL C
    .language_version:
      - 2
      - 0
    .max_flat_workgroup_size: 256
    .name:           _ZN7rocprim17ROCPRIM_400000_NS6detail17trampoline_kernelINS0_14default_configENS1_27scan_by_key_config_selectorIifEEZZNS1_16scan_by_key_implILNS1_25lookback_scan_determinismE0ELb0ES3_N6thrust23THRUST_200600_302600_NS6detail15normal_iteratorINS9_10device_ptrIiEEEENSB_INSC_IfEEEESG_fNS9_4plusIvEENS9_8equal_toIvEEfEE10hipError_tPvRmT2_T3_T4_T5_mT6_T7_P12ihipStream_tbENKUlT_T0_E_clISt17integral_constantIbLb0EES10_IbLb1EEEEDaSW_SX_EUlSW_E_NS1_11comp_targetILNS1_3genE0ELNS1_11target_archE4294967295ELNS1_3gpuE0ELNS1_3repE0EEENS1_30default_config_static_selectorELNS0_4arch9wavefront6targetE1EEEvT1_
    .private_segment_fixed_size: 0
    .sgpr_count:     6
    .sgpr_spill_count: 0
    .symbol:         _ZN7rocprim17ROCPRIM_400000_NS6detail17trampoline_kernelINS0_14default_configENS1_27scan_by_key_config_selectorIifEEZZNS1_16scan_by_key_implILNS1_25lookback_scan_determinismE0ELb0ES3_N6thrust23THRUST_200600_302600_NS6detail15normal_iteratorINS9_10device_ptrIiEEEENSB_INSC_IfEEEESG_fNS9_4plusIvEENS9_8equal_toIvEEfEE10hipError_tPvRmT2_T3_T4_T5_mT6_T7_P12ihipStream_tbENKUlT_T0_E_clISt17integral_constantIbLb0EES10_IbLb1EEEEDaSW_SX_EUlSW_E_NS1_11comp_targetILNS1_3genE0ELNS1_11target_archE4294967295ELNS1_3gpuE0ELNS1_3repE0EEENS1_30default_config_static_selectorELNS0_4arch9wavefront6targetE1EEEvT1_.kd
    .uniform_work_group_size: 1
    .uses_dynamic_stack: false
    .vgpr_count:     0
    .vgpr_spill_count: 0
    .wavefront_size: 64
  - .agpr_count:     0
    .args:
      - .offset:         0
        .size:           112
        .value_kind:     by_value
    .group_segment_fixed_size: 0
    .kernarg_segment_align: 8
    .kernarg_segment_size: 112
    .language:       OpenCL C
    .language_version:
      - 2
      - 0
    .max_flat_workgroup_size: 256
    .name:           _ZN7rocprim17ROCPRIM_400000_NS6detail17trampoline_kernelINS0_14default_configENS1_27scan_by_key_config_selectorIifEEZZNS1_16scan_by_key_implILNS1_25lookback_scan_determinismE0ELb0ES3_N6thrust23THRUST_200600_302600_NS6detail15normal_iteratorINS9_10device_ptrIiEEEENSB_INSC_IfEEEESG_fNS9_4plusIvEENS9_8equal_toIvEEfEE10hipError_tPvRmT2_T3_T4_T5_mT6_T7_P12ihipStream_tbENKUlT_T0_E_clISt17integral_constantIbLb0EES10_IbLb1EEEEDaSW_SX_EUlSW_E_NS1_11comp_targetILNS1_3genE10ELNS1_11target_archE1201ELNS1_3gpuE5ELNS1_3repE0EEENS1_30default_config_static_selectorELNS0_4arch9wavefront6targetE1EEEvT1_
    .private_segment_fixed_size: 0
    .sgpr_count:     6
    .sgpr_spill_count: 0
    .symbol:         _ZN7rocprim17ROCPRIM_400000_NS6detail17trampoline_kernelINS0_14default_configENS1_27scan_by_key_config_selectorIifEEZZNS1_16scan_by_key_implILNS1_25lookback_scan_determinismE0ELb0ES3_N6thrust23THRUST_200600_302600_NS6detail15normal_iteratorINS9_10device_ptrIiEEEENSB_INSC_IfEEEESG_fNS9_4plusIvEENS9_8equal_toIvEEfEE10hipError_tPvRmT2_T3_T4_T5_mT6_T7_P12ihipStream_tbENKUlT_T0_E_clISt17integral_constantIbLb0EES10_IbLb1EEEEDaSW_SX_EUlSW_E_NS1_11comp_targetILNS1_3genE10ELNS1_11target_archE1201ELNS1_3gpuE5ELNS1_3repE0EEENS1_30default_config_static_selectorELNS0_4arch9wavefront6targetE1EEEvT1_.kd
    .uniform_work_group_size: 1
    .uses_dynamic_stack: false
    .vgpr_count:     0
    .vgpr_spill_count: 0
    .wavefront_size: 64
  - .agpr_count:     0
    .args:
      - .offset:         0
        .size:           112
        .value_kind:     by_value
    .group_segment_fixed_size: 25600
    .kernarg_segment_align: 8
    .kernarg_segment_size: 112
    .language:       OpenCL C
    .language_version:
      - 2
      - 0
    .max_flat_workgroup_size: 256
    .name:           _ZN7rocprim17ROCPRIM_400000_NS6detail17trampoline_kernelINS0_14default_configENS1_27scan_by_key_config_selectorIifEEZZNS1_16scan_by_key_implILNS1_25lookback_scan_determinismE0ELb0ES3_N6thrust23THRUST_200600_302600_NS6detail15normal_iteratorINS9_10device_ptrIiEEEENSB_INSC_IfEEEESG_fNS9_4plusIvEENS9_8equal_toIvEEfEE10hipError_tPvRmT2_T3_T4_T5_mT6_T7_P12ihipStream_tbENKUlT_T0_E_clISt17integral_constantIbLb0EES10_IbLb1EEEEDaSW_SX_EUlSW_E_NS1_11comp_targetILNS1_3genE5ELNS1_11target_archE942ELNS1_3gpuE9ELNS1_3repE0EEENS1_30default_config_static_selectorELNS0_4arch9wavefront6targetE1EEEvT1_
    .private_segment_fixed_size: 0
    .sgpr_count:     93
    .sgpr_spill_count: 0
    .symbol:         _ZN7rocprim17ROCPRIM_400000_NS6detail17trampoline_kernelINS0_14default_configENS1_27scan_by_key_config_selectorIifEEZZNS1_16scan_by_key_implILNS1_25lookback_scan_determinismE0ELb0ES3_N6thrust23THRUST_200600_302600_NS6detail15normal_iteratorINS9_10device_ptrIiEEEENSB_INSC_IfEEEESG_fNS9_4plusIvEENS9_8equal_toIvEEfEE10hipError_tPvRmT2_T3_T4_T5_mT6_T7_P12ihipStream_tbENKUlT_T0_E_clISt17integral_constantIbLb0EES10_IbLb1EEEEDaSW_SX_EUlSW_E_NS1_11comp_targetILNS1_3genE5ELNS1_11target_archE942ELNS1_3gpuE9ELNS1_3repE0EEENS1_30default_config_static_selectorELNS0_4arch9wavefront6targetE1EEEvT1_.kd
    .uniform_work_group_size: 1
    .uses_dynamic_stack: false
    .vgpr_count:     92
    .vgpr_spill_count: 0
    .wavefront_size: 64
  - .agpr_count:     0
    .args:
      - .offset:         0
        .size:           112
        .value_kind:     by_value
    .group_segment_fixed_size: 0
    .kernarg_segment_align: 8
    .kernarg_segment_size: 112
    .language:       OpenCL C
    .language_version:
      - 2
      - 0
    .max_flat_workgroup_size: 256
    .name:           _ZN7rocprim17ROCPRIM_400000_NS6detail17trampoline_kernelINS0_14default_configENS1_27scan_by_key_config_selectorIifEEZZNS1_16scan_by_key_implILNS1_25lookback_scan_determinismE0ELb0ES3_N6thrust23THRUST_200600_302600_NS6detail15normal_iteratorINS9_10device_ptrIiEEEENSB_INSC_IfEEEESG_fNS9_4plusIvEENS9_8equal_toIvEEfEE10hipError_tPvRmT2_T3_T4_T5_mT6_T7_P12ihipStream_tbENKUlT_T0_E_clISt17integral_constantIbLb0EES10_IbLb1EEEEDaSW_SX_EUlSW_E_NS1_11comp_targetILNS1_3genE4ELNS1_11target_archE910ELNS1_3gpuE8ELNS1_3repE0EEENS1_30default_config_static_selectorELNS0_4arch9wavefront6targetE1EEEvT1_
    .private_segment_fixed_size: 0
    .sgpr_count:     6
    .sgpr_spill_count: 0
    .symbol:         _ZN7rocprim17ROCPRIM_400000_NS6detail17trampoline_kernelINS0_14default_configENS1_27scan_by_key_config_selectorIifEEZZNS1_16scan_by_key_implILNS1_25lookback_scan_determinismE0ELb0ES3_N6thrust23THRUST_200600_302600_NS6detail15normal_iteratorINS9_10device_ptrIiEEEENSB_INSC_IfEEEESG_fNS9_4plusIvEENS9_8equal_toIvEEfEE10hipError_tPvRmT2_T3_T4_T5_mT6_T7_P12ihipStream_tbENKUlT_T0_E_clISt17integral_constantIbLb0EES10_IbLb1EEEEDaSW_SX_EUlSW_E_NS1_11comp_targetILNS1_3genE4ELNS1_11target_archE910ELNS1_3gpuE8ELNS1_3repE0EEENS1_30default_config_static_selectorELNS0_4arch9wavefront6targetE1EEEvT1_.kd
    .uniform_work_group_size: 1
    .uses_dynamic_stack: false
    .vgpr_count:     0
    .vgpr_spill_count: 0
    .wavefront_size: 64
  - .agpr_count:     0
    .args:
      - .offset:         0
        .size:           112
        .value_kind:     by_value
    .group_segment_fixed_size: 0
    .kernarg_segment_align: 8
    .kernarg_segment_size: 112
    .language:       OpenCL C
    .language_version:
      - 2
      - 0
    .max_flat_workgroup_size: 256
    .name:           _ZN7rocprim17ROCPRIM_400000_NS6detail17trampoline_kernelINS0_14default_configENS1_27scan_by_key_config_selectorIifEEZZNS1_16scan_by_key_implILNS1_25lookback_scan_determinismE0ELb0ES3_N6thrust23THRUST_200600_302600_NS6detail15normal_iteratorINS9_10device_ptrIiEEEENSB_INSC_IfEEEESG_fNS9_4plusIvEENS9_8equal_toIvEEfEE10hipError_tPvRmT2_T3_T4_T5_mT6_T7_P12ihipStream_tbENKUlT_T0_E_clISt17integral_constantIbLb0EES10_IbLb1EEEEDaSW_SX_EUlSW_E_NS1_11comp_targetILNS1_3genE3ELNS1_11target_archE908ELNS1_3gpuE7ELNS1_3repE0EEENS1_30default_config_static_selectorELNS0_4arch9wavefront6targetE1EEEvT1_
    .private_segment_fixed_size: 0
    .sgpr_count:     6
    .sgpr_spill_count: 0
    .symbol:         _ZN7rocprim17ROCPRIM_400000_NS6detail17trampoline_kernelINS0_14default_configENS1_27scan_by_key_config_selectorIifEEZZNS1_16scan_by_key_implILNS1_25lookback_scan_determinismE0ELb0ES3_N6thrust23THRUST_200600_302600_NS6detail15normal_iteratorINS9_10device_ptrIiEEEENSB_INSC_IfEEEESG_fNS9_4plusIvEENS9_8equal_toIvEEfEE10hipError_tPvRmT2_T3_T4_T5_mT6_T7_P12ihipStream_tbENKUlT_T0_E_clISt17integral_constantIbLb0EES10_IbLb1EEEEDaSW_SX_EUlSW_E_NS1_11comp_targetILNS1_3genE3ELNS1_11target_archE908ELNS1_3gpuE7ELNS1_3repE0EEENS1_30default_config_static_selectorELNS0_4arch9wavefront6targetE1EEEvT1_.kd
    .uniform_work_group_size: 1
    .uses_dynamic_stack: false
    .vgpr_count:     0
    .vgpr_spill_count: 0
    .wavefront_size: 64
  - .agpr_count:     0
    .args:
      - .offset:         0
        .size:           112
        .value_kind:     by_value
    .group_segment_fixed_size: 0
    .kernarg_segment_align: 8
    .kernarg_segment_size: 112
    .language:       OpenCL C
    .language_version:
      - 2
      - 0
    .max_flat_workgroup_size: 256
    .name:           _ZN7rocprim17ROCPRIM_400000_NS6detail17trampoline_kernelINS0_14default_configENS1_27scan_by_key_config_selectorIifEEZZNS1_16scan_by_key_implILNS1_25lookback_scan_determinismE0ELb0ES3_N6thrust23THRUST_200600_302600_NS6detail15normal_iteratorINS9_10device_ptrIiEEEENSB_INSC_IfEEEESG_fNS9_4plusIvEENS9_8equal_toIvEEfEE10hipError_tPvRmT2_T3_T4_T5_mT6_T7_P12ihipStream_tbENKUlT_T0_E_clISt17integral_constantIbLb0EES10_IbLb1EEEEDaSW_SX_EUlSW_E_NS1_11comp_targetILNS1_3genE2ELNS1_11target_archE906ELNS1_3gpuE6ELNS1_3repE0EEENS1_30default_config_static_selectorELNS0_4arch9wavefront6targetE1EEEvT1_
    .private_segment_fixed_size: 0
    .sgpr_count:     6
    .sgpr_spill_count: 0
    .symbol:         _ZN7rocprim17ROCPRIM_400000_NS6detail17trampoline_kernelINS0_14default_configENS1_27scan_by_key_config_selectorIifEEZZNS1_16scan_by_key_implILNS1_25lookback_scan_determinismE0ELb0ES3_N6thrust23THRUST_200600_302600_NS6detail15normal_iteratorINS9_10device_ptrIiEEEENSB_INSC_IfEEEESG_fNS9_4plusIvEENS9_8equal_toIvEEfEE10hipError_tPvRmT2_T3_T4_T5_mT6_T7_P12ihipStream_tbENKUlT_T0_E_clISt17integral_constantIbLb0EES10_IbLb1EEEEDaSW_SX_EUlSW_E_NS1_11comp_targetILNS1_3genE2ELNS1_11target_archE906ELNS1_3gpuE6ELNS1_3repE0EEENS1_30default_config_static_selectorELNS0_4arch9wavefront6targetE1EEEvT1_.kd
    .uniform_work_group_size: 1
    .uses_dynamic_stack: false
    .vgpr_count:     0
    .vgpr_spill_count: 0
    .wavefront_size: 64
  - .agpr_count:     0
    .args:
      - .offset:         0
        .size:           112
        .value_kind:     by_value
    .group_segment_fixed_size: 0
    .kernarg_segment_align: 8
    .kernarg_segment_size: 112
    .language:       OpenCL C
    .language_version:
      - 2
      - 0
    .max_flat_workgroup_size: 256
    .name:           _ZN7rocprim17ROCPRIM_400000_NS6detail17trampoline_kernelINS0_14default_configENS1_27scan_by_key_config_selectorIifEEZZNS1_16scan_by_key_implILNS1_25lookback_scan_determinismE0ELb0ES3_N6thrust23THRUST_200600_302600_NS6detail15normal_iteratorINS9_10device_ptrIiEEEENSB_INSC_IfEEEESG_fNS9_4plusIvEENS9_8equal_toIvEEfEE10hipError_tPvRmT2_T3_T4_T5_mT6_T7_P12ihipStream_tbENKUlT_T0_E_clISt17integral_constantIbLb0EES10_IbLb1EEEEDaSW_SX_EUlSW_E_NS1_11comp_targetILNS1_3genE10ELNS1_11target_archE1200ELNS1_3gpuE4ELNS1_3repE0EEENS1_30default_config_static_selectorELNS0_4arch9wavefront6targetE1EEEvT1_
    .private_segment_fixed_size: 0
    .sgpr_count:     6
    .sgpr_spill_count: 0
    .symbol:         _ZN7rocprim17ROCPRIM_400000_NS6detail17trampoline_kernelINS0_14default_configENS1_27scan_by_key_config_selectorIifEEZZNS1_16scan_by_key_implILNS1_25lookback_scan_determinismE0ELb0ES3_N6thrust23THRUST_200600_302600_NS6detail15normal_iteratorINS9_10device_ptrIiEEEENSB_INSC_IfEEEESG_fNS9_4plusIvEENS9_8equal_toIvEEfEE10hipError_tPvRmT2_T3_T4_T5_mT6_T7_P12ihipStream_tbENKUlT_T0_E_clISt17integral_constantIbLb0EES10_IbLb1EEEEDaSW_SX_EUlSW_E_NS1_11comp_targetILNS1_3genE10ELNS1_11target_archE1200ELNS1_3gpuE4ELNS1_3repE0EEENS1_30default_config_static_selectorELNS0_4arch9wavefront6targetE1EEEvT1_.kd
    .uniform_work_group_size: 1
    .uses_dynamic_stack: false
    .vgpr_count:     0
    .vgpr_spill_count: 0
    .wavefront_size: 64
  - .agpr_count:     0
    .args:
      - .offset:         0
        .size:           112
        .value_kind:     by_value
    .group_segment_fixed_size: 0
    .kernarg_segment_align: 8
    .kernarg_segment_size: 112
    .language:       OpenCL C
    .language_version:
      - 2
      - 0
    .max_flat_workgroup_size: 256
    .name:           _ZN7rocprim17ROCPRIM_400000_NS6detail17trampoline_kernelINS0_14default_configENS1_27scan_by_key_config_selectorIifEEZZNS1_16scan_by_key_implILNS1_25lookback_scan_determinismE0ELb0ES3_N6thrust23THRUST_200600_302600_NS6detail15normal_iteratorINS9_10device_ptrIiEEEENSB_INSC_IfEEEESG_fNS9_4plusIvEENS9_8equal_toIvEEfEE10hipError_tPvRmT2_T3_T4_T5_mT6_T7_P12ihipStream_tbENKUlT_T0_E_clISt17integral_constantIbLb0EES10_IbLb1EEEEDaSW_SX_EUlSW_E_NS1_11comp_targetILNS1_3genE9ELNS1_11target_archE1100ELNS1_3gpuE3ELNS1_3repE0EEENS1_30default_config_static_selectorELNS0_4arch9wavefront6targetE1EEEvT1_
    .private_segment_fixed_size: 0
    .sgpr_count:     6
    .sgpr_spill_count: 0
    .symbol:         _ZN7rocprim17ROCPRIM_400000_NS6detail17trampoline_kernelINS0_14default_configENS1_27scan_by_key_config_selectorIifEEZZNS1_16scan_by_key_implILNS1_25lookback_scan_determinismE0ELb0ES3_N6thrust23THRUST_200600_302600_NS6detail15normal_iteratorINS9_10device_ptrIiEEEENSB_INSC_IfEEEESG_fNS9_4plusIvEENS9_8equal_toIvEEfEE10hipError_tPvRmT2_T3_T4_T5_mT6_T7_P12ihipStream_tbENKUlT_T0_E_clISt17integral_constantIbLb0EES10_IbLb1EEEEDaSW_SX_EUlSW_E_NS1_11comp_targetILNS1_3genE9ELNS1_11target_archE1100ELNS1_3gpuE3ELNS1_3repE0EEENS1_30default_config_static_selectorELNS0_4arch9wavefront6targetE1EEEvT1_.kd
    .uniform_work_group_size: 1
    .uses_dynamic_stack: false
    .vgpr_count:     0
    .vgpr_spill_count: 0
    .wavefront_size: 64
  - .agpr_count:     0
    .args:
      - .offset:         0
        .size:           112
        .value_kind:     by_value
    .group_segment_fixed_size: 0
    .kernarg_segment_align: 8
    .kernarg_segment_size: 112
    .language:       OpenCL C
    .language_version:
      - 2
      - 0
    .max_flat_workgroup_size: 256
    .name:           _ZN7rocprim17ROCPRIM_400000_NS6detail17trampoline_kernelINS0_14default_configENS1_27scan_by_key_config_selectorIifEEZZNS1_16scan_by_key_implILNS1_25lookback_scan_determinismE0ELb0ES3_N6thrust23THRUST_200600_302600_NS6detail15normal_iteratorINS9_10device_ptrIiEEEENSB_INSC_IfEEEESG_fNS9_4plusIvEENS9_8equal_toIvEEfEE10hipError_tPvRmT2_T3_T4_T5_mT6_T7_P12ihipStream_tbENKUlT_T0_E_clISt17integral_constantIbLb0EES10_IbLb1EEEEDaSW_SX_EUlSW_E_NS1_11comp_targetILNS1_3genE8ELNS1_11target_archE1030ELNS1_3gpuE2ELNS1_3repE0EEENS1_30default_config_static_selectorELNS0_4arch9wavefront6targetE1EEEvT1_
    .private_segment_fixed_size: 0
    .sgpr_count:     6
    .sgpr_spill_count: 0
    .symbol:         _ZN7rocprim17ROCPRIM_400000_NS6detail17trampoline_kernelINS0_14default_configENS1_27scan_by_key_config_selectorIifEEZZNS1_16scan_by_key_implILNS1_25lookback_scan_determinismE0ELb0ES3_N6thrust23THRUST_200600_302600_NS6detail15normal_iteratorINS9_10device_ptrIiEEEENSB_INSC_IfEEEESG_fNS9_4plusIvEENS9_8equal_toIvEEfEE10hipError_tPvRmT2_T3_T4_T5_mT6_T7_P12ihipStream_tbENKUlT_T0_E_clISt17integral_constantIbLb0EES10_IbLb1EEEEDaSW_SX_EUlSW_E_NS1_11comp_targetILNS1_3genE8ELNS1_11target_archE1030ELNS1_3gpuE2ELNS1_3repE0EEENS1_30default_config_static_selectorELNS0_4arch9wavefront6targetE1EEEvT1_.kd
    .uniform_work_group_size: 1
    .uses_dynamic_stack: false
    .vgpr_count:     0
    .vgpr_spill_count: 0
    .wavefront_size: 64
  - .agpr_count:     0
    .args:
      - .offset:         0
        .size:           24
        .value_kind:     by_value
      - .offset:         24
        .size:           8
        .value_kind:     by_value
      - .offset:         32
        .size:           8
        .value_kind:     by_value
    .group_segment_fixed_size: 0
    .kernarg_segment_align: 8
    .kernarg_segment_size: 40
    .language:       OpenCL C
    .language_version:
      - 2
      - 0
    .max_flat_workgroup_size: 256
    .name:           _ZN6thrust23THRUST_200600_302600_NS11hip_rocprim14__parallel_for6kernelILj256ENS1_11__transform17unary_transform_fINS0_7pointerIiNS1_3tagENS0_11use_defaultES8_EENS0_10device_ptrIyEENS4_14no_stencil_tagENS0_8identityIiEENS4_21always_true_predicateEEElLj1EEEvT0_T1_SI_
    .private_segment_fixed_size: 0
    .sgpr_count:     18
    .sgpr_spill_count: 0
    .symbol:         _ZN6thrust23THRUST_200600_302600_NS11hip_rocprim14__parallel_for6kernelILj256ENS1_11__transform17unary_transform_fINS0_7pointerIiNS1_3tagENS0_11use_defaultES8_EENS0_10device_ptrIyEENS4_14no_stencil_tagENS0_8identityIiEENS4_21always_true_predicateEEElLj1EEEvT0_T1_SI_.kd
    .uniform_work_group_size: 1
    .uses_dynamic_stack: false
    .vgpr_count:     6
    .vgpr_spill_count: 0
    .wavefront_size: 64
  - .agpr_count:     0
    .args:
      - .offset:         0
        .size:           16
        .value_kind:     by_value
      - .offset:         16
        .size:           8
        .value_kind:     by_value
      - .offset:         24
        .size:           8
        .value_kind:     by_value
    .group_segment_fixed_size: 0
    .kernarg_segment_align: 8
    .kernarg_segment_size: 32
    .language:       OpenCL C
    .language_version:
      - 2
      - 0
    .max_flat_workgroup_size: 256
    .name:           _ZN6thrust23THRUST_200600_302600_NS11hip_rocprim14__parallel_for6kernelILj256ENS1_20__uninitialized_fill7functorINS0_10device_ptrIyEEyEEmLj1EEEvT0_T1_SA_
    .private_segment_fixed_size: 0
    .sgpr_count:     18
    .sgpr_spill_count: 0
    .symbol:         _ZN6thrust23THRUST_200600_302600_NS11hip_rocprim14__parallel_for6kernelILj256ENS1_20__uninitialized_fill7functorINS0_10device_ptrIyEEyEEmLj1EEEvT0_T1_SA_.kd
    .uniform_work_group_size: 1
    .uses_dynamic_stack: false
    .vgpr_count:     4
    .vgpr_spill_count: 0
    .wavefront_size: 64
  - .agpr_count:     0
    .args:
      - .offset:         0
        .size:           24
        .value_kind:     by_value
      - .offset:         24
        .size:           4
        .value_kind:     by_value
      - .offset:         28
        .size:           4
        .value_kind:     by_value
      - .address_space:  global
        .offset:         32
        .size:           8
        .value_kind:     global_buffer
      - .address_space:  global
        .offset:         40
        .size:           8
        .value_kind:     global_buffer
      - .actual_access:  write_only
        .address_space:  global
        .offset:         48
        .size:           8
        .value_kind:     global_buffer
      - .offset:         56
        .size:           8
        .value_kind:     by_value
      - .offset:         64
        .size:           4
        .value_kind:     by_value
      - .offset:         68
        .size:           1
        .value_kind:     by_value
      - .offset:         72
        .size:           4
        .value_kind:     hidden_block_count_x
      - .offset:         76
        .size:           4
        .value_kind:     hidden_block_count_y
      - .offset:         80
        .size:           4
        .value_kind:     hidden_block_count_z
      - .offset:         84
        .size:           2
        .value_kind:     hidden_group_size_x
      - .offset:         86
        .size:           2
        .value_kind:     hidden_group_size_y
      - .offset:         88
        .size:           2
        .value_kind:     hidden_group_size_z
      - .offset:         90
        .size:           2
        .value_kind:     hidden_remainder_x
      - .offset:         92
        .size:           2
        .value_kind:     hidden_remainder_y
      - .offset:         94
        .size:           2
        .value_kind:     hidden_remainder_z
      - .offset:         112
        .size:           8
        .value_kind:     hidden_global_offset_x
      - .offset:         120
        .size:           8
        .value_kind:     hidden_global_offset_y
      - .offset:         128
        .size:           8
        .value_kind:     hidden_global_offset_z
      - .offset:         136
        .size:           2
        .value_kind:     hidden_grid_dims
    .group_segment_fixed_size: 0
    .kernarg_segment_align: 8
    .kernarg_segment_size: 328
    .language:       OpenCL C
    .language_version:
      - 2
      - 0
    .max_flat_workgroup_size: 256
    .name:           _ZN7rocprim17ROCPRIM_400000_NS6detail30init_device_scan_by_key_kernelINS1_19lookback_scan_stateINS0_5tupleIJybEEELb0ELb0EEEN6thrust23THRUST_200600_302600_NS6detail15normal_iteratorINS8_10device_ptrIiEEEEjNS1_16block_id_wrapperIjLb0EEEEEvT_jjPNSG_10value_typeET0_PNSt15iterator_traitsISJ_E10value_typeEmT1_T2_
    .private_segment_fixed_size: 0
    .sgpr_count:     28
    .sgpr_spill_count: 0
    .symbol:         _ZN7rocprim17ROCPRIM_400000_NS6detail30init_device_scan_by_key_kernelINS1_19lookback_scan_stateINS0_5tupleIJybEEELb0ELb0EEEN6thrust23THRUST_200600_302600_NS6detail15normal_iteratorINS8_10device_ptrIiEEEEjNS1_16block_id_wrapperIjLb0EEEEEvT_jjPNSG_10value_typeET0_PNSt15iterator_traitsISJ_E10value_typeEmT1_T2_.kd
    .uniform_work_group_size: 1
    .uses_dynamic_stack: false
    .vgpr_count:     7
    .vgpr_spill_count: 0
    .wavefront_size: 64
  - .agpr_count:     0
    .args:
      - .offset:         0
        .size:           24
        .value_kind:     by_value
      - .offset:         24
        .size:           4
        .value_kind:     by_value
      - .offset:         28
        .size:           4
        .value_kind:     by_value
      - .address_space:  global
        .offset:         32
        .size:           8
        .value_kind:     global_buffer
      - .offset:         40
        .size:           1
        .value_kind:     by_value
      - .offset:         48
        .size:           4
        .value_kind:     hidden_block_count_x
      - .offset:         52
        .size:           4
        .value_kind:     hidden_block_count_y
      - .offset:         56
        .size:           4
        .value_kind:     hidden_block_count_z
      - .offset:         60
        .size:           2
        .value_kind:     hidden_group_size_x
      - .offset:         62
        .size:           2
        .value_kind:     hidden_group_size_y
      - .offset:         64
        .size:           2
        .value_kind:     hidden_group_size_z
      - .offset:         66
        .size:           2
        .value_kind:     hidden_remainder_x
      - .offset:         68
        .size:           2
        .value_kind:     hidden_remainder_y
      - .offset:         70
        .size:           2
        .value_kind:     hidden_remainder_z
      - .offset:         88
        .size:           8
        .value_kind:     hidden_global_offset_x
      - .offset:         96
        .size:           8
        .value_kind:     hidden_global_offset_y
      - .offset:         104
        .size:           8
        .value_kind:     hidden_global_offset_z
      - .offset:         112
        .size:           2
        .value_kind:     hidden_grid_dims
    .group_segment_fixed_size: 0
    .kernarg_segment_align: 8
    .kernarg_segment_size: 304
    .language:       OpenCL C
    .language_version:
      - 2
      - 0
    .max_flat_workgroup_size: 256
    .name:           _ZN7rocprim17ROCPRIM_400000_NS6detail30init_device_scan_by_key_kernelINS1_19lookback_scan_stateINS0_5tupleIJybEEELb0ELb0EEENS1_16block_id_wrapperIjLb0EEEEEvT_jjPNS9_10value_typeET0_
    .private_segment_fixed_size: 0
    .sgpr_count:     22
    .sgpr_spill_count: 0
    .symbol:         _ZN7rocprim17ROCPRIM_400000_NS6detail30init_device_scan_by_key_kernelINS1_19lookback_scan_stateINS0_5tupleIJybEEELb0ELb0EEENS1_16block_id_wrapperIjLb0EEEEEvT_jjPNS9_10value_typeET0_.kd
    .uniform_work_group_size: 1
    .uses_dynamic_stack: false
    .vgpr_count:     6
    .vgpr_spill_count: 0
    .wavefront_size: 64
  - .agpr_count:     0
    .args:
      - .offset:         0
        .size:           136
        .value_kind:     by_value
    .group_segment_fixed_size: 0
    .kernarg_segment_align: 8
    .kernarg_segment_size: 136
    .language:       OpenCL C
    .language_version:
      - 2
      - 0
    .max_flat_workgroup_size: 128
    .name:           _ZN7rocprim17ROCPRIM_400000_NS6detail17trampoline_kernelINS0_14default_configENS1_27scan_by_key_config_selectorIiyEEZZNS1_16scan_by_key_implILNS1_25lookback_scan_determinismE0ELb0ES3_N6thrust23THRUST_200600_302600_NS6detail15normal_iteratorINS9_10device_ptrIiEEEENSB_INSC_IyEEEESG_yNS9_4plusIvEENS9_8equal_toIvEEyEE10hipError_tPvRmT2_T3_T4_T5_mT6_T7_P12ihipStream_tbENKUlT_T0_E_clISt17integral_constantIbLb0EES11_EEDaSW_SX_EUlSW_E_NS1_11comp_targetILNS1_3genE0ELNS1_11target_archE4294967295ELNS1_3gpuE0ELNS1_3repE0EEENS1_30default_config_static_selectorELNS0_4arch9wavefront6targetE1EEEvT1_
    .private_segment_fixed_size: 0
    .sgpr_count:     6
    .sgpr_spill_count: 0
    .symbol:         _ZN7rocprim17ROCPRIM_400000_NS6detail17trampoline_kernelINS0_14default_configENS1_27scan_by_key_config_selectorIiyEEZZNS1_16scan_by_key_implILNS1_25lookback_scan_determinismE0ELb0ES3_N6thrust23THRUST_200600_302600_NS6detail15normal_iteratorINS9_10device_ptrIiEEEENSB_INSC_IyEEEESG_yNS9_4plusIvEENS9_8equal_toIvEEyEE10hipError_tPvRmT2_T3_T4_T5_mT6_T7_P12ihipStream_tbENKUlT_T0_E_clISt17integral_constantIbLb0EES11_EEDaSW_SX_EUlSW_E_NS1_11comp_targetILNS1_3genE0ELNS1_11target_archE4294967295ELNS1_3gpuE0ELNS1_3repE0EEENS1_30default_config_static_selectorELNS0_4arch9wavefront6targetE1EEEvT1_.kd
    .uniform_work_group_size: 1
    .uses_dynamic_stack: false
    .vgpr_count:     0
    .vgpr_spill_count: 0
    .wavefront_size: 64
  - .agpr_count:     0
    .args:
      - .offset:         0
        .size:           136
        .value_kind:     by_value
    .group_segment_fixed_size: 0
    .kernarg_segment_align: 8
    .kernarg_segment_size: 136
    .language:       OpenCL C
    .language_version:
      - 2
      - 0
    .max_flat_workgroup_size: 256
    .name:           _ZN7rocprim17ROCPRIM_400000_NS6detail17trampoline_kernelINS0_14default_configENS1_27scan_by_key_config_selectorIiyEEZZNS1_16scan_by_key_implILNS1_25lookback_scan_determinismE0ELb0ES3_N6thrust23THRUST_200600_302600_NS6detail15normal_iteratorINS9_10device_ptrIiEEEENSB_INSC_IyEEEESG_yNS9_4plusIvEENS9_8equal_toIvEEyEE10hipError_tPvRmT2_T3_T4_T5_mT6_T7_P12ihipStream_tbENKUlT_T0_E_clISt17integral_constantIbLb0EES11_EEDaSW_SX_EUlSW_E_NS1_11comp_targetILNS1_3genE10ELNS1_11target_archE1201ELNS1_3gpuE5ELNS1_3repE0EEENS1_30default_config_static_selectorELNS0_4arch9wavefront6targetE1EEEvT1_
    .private_segment_fixed_size: 0
    .sgpr_count:     6
    .sgpr_spill_count: 0
    .symbol:         _ZN7rocprim17ROCPRIM_400000_NS6detail17trampoline_kernelINS0_14default_configENS1_27scan_by_key_config_selectorIiyEEZZNS1_16scan_by_key_implILNS1_25lookback_scan_determinismE0ELb0ES3_N6thrust23THRUST_200600_302600_NS6detail15normal_iteratorINS9_10device_ptrIiEEEENSB_INSC_IyEEEESG_yNS9_4plusIvEENS9_8equal_toIvEEyEE10hipError_tPvRmT2_T3_T4_T5_mT6_T7_P12ihipStream_tbENKUlT_T0_E_clISt17integral_constantIbLb0EES11_EEDaSW_SX_EUlSW_E_NS1_11comp_targetILNS1_3genE10ELNS1_11target_archE1201ELNS1_3gpuE5ELNS1_3repE0EEENS1_30default_config_static_selectorELNS0_4arch9wavefront6targetE1EEEvT1_.kd
    .uniform_work_group_size: 1
    .uses_dynamic_stack: false
    .vgpr_count:     0
    .vgpr_spill_count: 0
    .wavefront_size: 64
  - .agpr_count:     0
    .args:
      - .offset:         0
        .size:           136
        .value_kind:     by_value
    .group_segment_fixed_size: 43008
    .kernarg_segment_align: 8
    .kernarg_segment_size: 136
    .language:       OpenCL C
    .language_version:
      - 2
      - 0
    .max_flat_workgroup_size: 256
    .name:           _ZN7rocprim17ROCPRIM_400000_NS6detail17trampoline_kernelINS0_14default_configENS1_27scan_by_key_config_selectorIiyEEZZNS1_16scan_by_key_implILNS1_25lookback_scan_determinismE0ELb0ES3_N6thrust23THRUST_200600_302600_NS6detail15normal_iteratorINS9_10device_ptrIiEEEENSB_INSC_IyEEEESG_yNS9_4plusIvEENS9_8equal_toIvEEyEE10hipError_tPvRmT2_T3_T4_T5_mT6_T7_P12ihipStream_tbENKUlT_T0_E_clISt17integral_constantIbLb0EES11_EEDaSW_SX_EUlSW_E_NS1_11comp_targetILNS1_3genE5ELNS1_11target_archE942ELNS1_3gpuE9ELNS1_3repE0EEENS1_30default_config_static_selectorELNS0_4arch9wavefront6targetE1EEEvT1_
    .private_segment_fixed_size: 0
    .sgpr_count:     106
    .sgpr_spill_count: 8
    .symbol:         _ZN7rocprim17ROCPRIM_400000_NS6detail17trampoline_kernelINS0_14default_configENS1_27scan_by_key_config_selectorIiyEEZZNS1_16scan_by_key_implILNS1_25lookback_scan_determinismE0ELb0ES3_N6thrust23THRUST_200600_302600_NS6detail15normal_iteratorINS9_10device_ptrIiEEEENSB_INSC_IyEEEESG_yNS9_4plusIvEENS9_8equal_toIvEEyEE10hipError_tPvRmT2_T3_T4_T5_mT6_T7_P12ihipStream_tbENKUlT_T0_E_clISt17integral_constantIbLb0EES11_EEDaSW_SX_EUlSW_E_NS1_11comp_targetILNS1_3genE5ELNS1_11target_archE942ELNS1_3gpuE9ELNS1_3repE0EEENS1_30default_config_static_selectorELNS0_4arch9wavefront6targetE1EEEvT1_.kd
    .uniform_work_group_size: 1
    .uses_dynamic_stack: false
    .vgpr_count:     132
    .vgpr_spill_count: 0
    .wavefront_size: 64
  - .agpr_count:     0
    .args:
      - .offset:         0
        .size:           136
        .value_kind:     by_value
    .group_segment_fixed_size: 0
    .kernarg_segment_align: 8
    .kernarg_segment_size: 136
    .language:       OpenCL C
    .language_version:
      - 2
      - 0
    .max_flat_workgroup_size: 64
    .name:           _ZN7rocprim17ROCPRIM_400000_NS6detail17trampoline_kernelINS0_14default_configENS1_27scan_by_key_config_selectorIiyEEZZNS1_16scan_by_key_implILNS1_25lookback_scan_determinismE0ELb0ES3_N6thrust23THRUST_200600_302600_NS6detail15normal_iteratorINS9_10device_ptrIiEEEENSB_INSC_IyEEEESG_yNS9_4plusIvEENS9_8equal_toIvEEyEE10hipError_tPvRmT2_T3_T4_T5_mT6_T7_P12ihipStream_tbENKUlT_T0_E_clISt17integral_constantIbLb0EES11_EEDaSW_SX_EUlSW_E_NS1_11comp_targetILNS1_3genE4ELNS1_11target_archE910ELNS1_3gpuE8ELNS1_3repE0EEENS1_30default_config_static_selectorELNS0_4arch9wavefront6targetE1EEEvT1_
    .private_segment_fixed_size: 0
    .sgpr_count:     6
    .sgpr_spill_count: 0
    .symbol:         _ZN7rocprim17ROCPRIM_400000_NS6detail17trampoline_kernelINS0_14default_configENS1_27scan_by_key_config_selectorIiyEEZZNS1_16scan_by_key_implILNS1_25lookback_scan_determinismE0ELb0ES3_N6thrust23THRUST_200600_302600_NS6detail15normal_iteratorINS9_10device_ptrIiEEEENSB_INSC_IyEEEESG_yNS9_4plusIvEENS9_8equal_toIvEEyEE10hipError_tPvRmT2_T3_T4_T5_mT6_T7_P12ihipStream_tbENKUlT_T0_E_clISt17integral_constantIbLb0EES11_EEDaSW_SX_EUlSW_E_NS1_11comp_targetILNS1_3genE4ELNS1_11target_archE910ELNS1_3gpuE8ELNS1_3repE0EEENS1_30default_config_static_selectorELNS0_4arch9wavefront6targetE1EEEvT1_.kd
    .uniform_work_group_size: 1
    .uses_dynamic_stack: false
    .vgpr_count:     0
    .vgpr_spill_count: 0
    .wavefront_size: 64
  - .agpr_count:     0
    .args:
      - .offset:         0
        .size:           136
        .value_kind:     by_value
    .group_segment_fixed_size: 0
    .kernarg_segment_align: 8
    .kernarg_segment_size: 136
    .language:       OpenCL C
    .language_version:
      - 2
      - 0
    .max_flat_workgroup_size: 128
    .name:           _ZN7rocprim17ROCPRIM_400000_NS6detail17trampoline_kernelINS0_14default_configENS1_27scan_by_key_config_selectorIiyEEZZNS1_16scan_by_key_implILNS1_25lookback_scan_determinismE0ELb0ES3_N6thrust23THRUST_200600_302600_NS6detail15normal_iteratorINS9_10device_ptrIiEEEENSB_INSC_IyEEEESG_yNS9_4plusIvEENS9_8equal_toIvEEyEE10hipError_tPvRmT2_T3_T4_T5_mT6_T7_P12ihipStream_tbENKUlT_T0_E_clISt17integral_constantIbLb0EES11_EEDaSW_SX_EUlSW_E_NS1_11comp_targetILNS1_3genE3ELNS1_11target_archE908ELNS1_3gpuE7ELNS1_3repE0EEENS1_30default_config_static_selectorELNS0_4arch9wavefront6targetE1EEEvT1_
    .private_segment_fixed_size: 0
    .sgpr_count:     6
    .sgpr_spill_count: 0
    .symbol:         _ZN7rocprim17ROCPRIM_400000_NS6detail17trampoline_kernelINS0_14default_configENS1_27scan_by_key_config_selectorIiyEEZZNS1_16scan_by_key_implILNS1_25lookback_scan_determinismE0ELb0ES3_N6thrust23THRUST_200600_302600_NS6detail15normal_iteratorINS9_10device_ptrIiEEEENSB_INSC_IyEEEESG_yNS9_4plusIvEENS9_8equal_toIvEEyEE10hipError_tPvRmT2_T3_T4_T5_mT6_T7_P12ihipStream_tbENKUlT_T0_E_clISt17integral_constantIbLb0EES11_EEDaSW_SX_EUlSW_E_NS1_11comp_targetILNS1_3genE3ELNS1_11target_archE908ELNS1_3gpuE7ELNS1_3repE0EEENS1_30default_config_static_selectorELNS0_4arch9wavefront6targetE1EEEvT1_.kd
    .uniform_work_group_size: 1
    .uses_dynamic_stack: false
    .vgpr_count:     0
    .vgpr_spill_count: 0
    .wavefront_size: 64
  - .agpr_count:     0
    .args:
      - .offset:         0
        .size:           136
        .value_kind:     by_value
    .group_segment_fixed_size: 0
    .kernarg_segment_align: 8
    .kernarg_segment_size: 136
    .language:       OpenCL C
    .language_version:
      - 2
      - 0
    .max_flat_workgroup_size: 64
    .name:           _ZN7rocprim17ROCPRIM_400000_NS6detail17trampoline_kernelINS0_14default_configENS1_27scan_by_key_config_selectorIiyEEZZNS1_16scan_by_key_implILNS1_25lookback_scan_determinismE0ELb0ES3_N6thrust23THRUST_200600_302600_NS6detail15normal_iteratorINS9_10device_ptrIiEEEENSB_INSC_IyEEEESG_yNS9_4plusIvEENS9_8equal_toIvEEyEE10hipError_tPvRmT2_T3_T4_T5_mT6_T7_P12ihipStream_tbENKUlT_T0_E_clISt17integral_constantIbLb0EES11_EEDaSW_SX_EUlSW_E_NS1_11comp_targetILNS1_3genE2ELNS1_11target_archE906ELNS1_3gpuE6ELNS1_3repE0EEENS1_30default_config_static_selectorELNS0_4arch9wavefront6targetE1EEEvT1_
    .private_segment_fixed_size: 0
    .sgpr_count:     6
    .sgpr_spill_count: 0
    .symbol:         _ZN7rocprim17ROCPRIM_400000_NS6detail17trampoline_kernelINS0_14default_configENS1_27scan_by_key_config_selectorIiyEEZZNS1_16scan_by_key_implILNS1_25lookback_scan_determinismE0ELb0ES3_N6thrust23THRUST_200600_302600_NS6detail15normal_iteratorINS9_10device_ptrIiEEEENSB_INSC_IyEEEESG_yNS9_4plusIvEENS9_8equal_toIvEEyEE10hipError_tPvRmT2_T3_T4_T5_mT6_T7_P12ihipStream_tbENKUlT_T0_E_clISt17integral_constantIbLb0EES11_EEDaSW_SX_EUlSW_E_NS1_11comp_targetILNS1_3genE2ELNS1_11target_archE906ELNS1_3gpuE6ELNS1_3repE0EEENS1_30default_config_static_selectorELNS0_4arch9wavefront6targetE1EEEvT1_.kd
    .uniform_work_group_size: 1
    .uses_dynamic_stack: false
    .vgpr_count:     0
    .vgpr_spill_count: 0
    .wavefront_size: 64
  - .agpr_count:     0
    .args:
      - .offset:         0
        .size:           136
        .value_kind:     by_value
    .group_segment_fixed_size: 0
    .kernarg_segment_align: 8
    .kernarg_segment_size: 136
    .language:       OpenCL C
    .language_version:
      - 2
      - 0
    .max_flat_workgroup_size: 256
    .name:           _ZN7rocprim17ROCPRIM_400000_NS6detail17trampoline_kernelINS0_14default_configENS1_27scan_by_key_config_selectorIiyEEZZNS1_16scan_by_key_implILNS1_25lookback_scan_determinismE0ELb0ES3_N6thrust23THRUST_200600_302600_NS6detail15normal_iteratorINS9_10device_ptrIiEEEENSB_INSC_IyEEEESG_yNS9_4plusIvEENS9_8equal_toIvEEyEE10hipError_tPvRmT2_T3_T4_T5_mT6_T7_P12ihipStream_tbENKUlT_T0_E_clISt17integral_constantIbLb0EES11_EEDaSW_SX_EUlSW_E_NS1_11comp_targetILNS1_3genE10ELNS1_11target_archE1200ELNS1_3gpuE4ELNS1_3repE0EEENS1_30default_config_static_selectorELNS0_4arch9wavefront6targetE1EEEvT1_
    .private_segment_fixed_size: 0
    .sgpr_count:     6
    .sgpr_spill_count: 0
    .symbol:         _ZN7rocprim17ROCPRIM_400000_NS6detail17trampoline_kernelINS0_14default_configENS1_27scan_by_key_config_selectorIiyEEZZNS1_16scan_by_key_implILNS1_25lookback_scan_determinismE0ELb0ES3_N6thrust23THRUST_200600_302600_NS6detail15normal_iteratorINS9_10device_ptrIiEEEENSB_INSC_IyEEEESG_yNS9_4plusIvEENS9_8equal_toIvEEyEE10hipError_tPvRmT2_T3_T4_T5_mT6_T7_P12ihipStream_tbENKUlT_T0_E_clISt17integral_constantIbLb0EES11_EEDaSW_SX_EUlSW_E_NS1_11comp_targetILNS1_3genE10ELNS1_11target_archE1200ELNS1_3gpuE4ELNS1_3repE0EEENS1_30default_config_static_selectorELNS0_4arch9wavefront6targetE1EEEvT1_.kd
    .uniform_work_group_size: 1
    .uses_dynamic_stack: false
    .vgpr_count:     0
    .vgpr_spill_count: 0
    .wavefront_size: 64
  - .agpr_count:     0
    .args:
      - .offset:         0
        .size:           136
        .value_kind:     by_value
    .group_segment_fixed_size: 0
    .kernarg_segment_align: 8
    .kernarg_segment_size: 136
    .language:       OpenCL C
    .language_version:
      - 2
      - 0
    .max_flat_workgroup_size: 256
    .name:           _ZN7rocprim17ROCPRIM_400000_NS6detail17trampoline_kernelINS0_14default_configENS1_27scan_by_key_config_selectorIiyEEZZNS1_16scan_by_key_implILNS1_25lookback_scan_determinismE0ELb0ES3_N6thrust23THRUST_200600_302600_NS6detail15normal_iteratorINS9_10device_ptrIiEEEENSB_INSC_IyEEEESG_yNS9_4plusIvEENS9_8equal_toIvEEyEE10hipError_tPvRmT2_T3_T4_T5_mT6_T7_P12ihipStream_tbENKUlT_T0_E_clISt17integral_constantIbLb0EES11_EEDaSW_SX_EUlSW_E_NS1_11comp_targetILNS1_3genE9ELNS1_11target_archE1100ELNS1_3gpuE3ELNS1_3repE0EEENS1_30default_config_static_selectorELNS0_4arch9wavefront6targetE1EEEvT1_
    .private_segment_fixed_size: 0
    .sgpr_count:     6
    .sgpr_spill_count: 0
    .symbol:         _ZN7rocprim17ROCPRIM_400000_NS6detail17trampoline_kernelINS0_14default_configENS1_27scan_by_key_config_selectorIiyEEZZNS1_16scan_by_key_implILNS1_25lookback_scan_determinismE0ELb0ES3_N6thrust23THRUST_200600_302600_NS6detail15normal_iteratorINS9_10device_ptrIiEEEENSB_INSC_IyEEEESG_yNS9_4plusIvEENS9_8equal_toIvEEyEE10hipError_tPvRmT2_T3_T4_T5_mT6_T7_P12ihipStream_tbENKUlT_T0_E_clISt17integral_constantIbLb0EES11_EEDaSW_SX_EUlSW_E_NS1_11comp_targetILNS1_3genE9ELNS1_11target_archE1100ELNS1_3gpuE3ELNS1_3repE0EEENS1_30default_config_static_selectorELNS0_4arch9wavefront6targetE1EEEvT1_.kd
    .uniform_work_group_size: 1
    .uses_dynamic_stack: false
    .vgpr_count:     0
    .vgpr_spill_count: 0
    .wavefront_size: 64
  - .agpr_count:     0
    .args:
      - .offset:         0
        .size:           136
        .value_kind:     by_value
    .group_segment_fixed_size: 0
    .kernarg_segment_align: 8
    .kernarg_segment_size: 136
    .language:       OpenCL C
    .language_version:
      - 2
      - 0
    .max_flat_workgroup_size: 256
    .name:           _ZN7rocprim17ROCPRIM_400000_NS6detail17trampoline_kernelINS0_14default_configENS1_27scan_by_key_config_selectorIiyEEZZNS1_16scan_by_key_implILNS1_25lookback_scan_determinismE0ELb0ES3_N6thrust23THRUST_200600_302600_NS6detail15normal_iteratorINS9_10device_ptrIiEEEENSB_INSC_IyEEEESG_yNS9_4plusIvEENS9_8equal_toIvEEyEE10hipError_tPvRmT2_T3_T4_T5_mT6_T7_P12ihipStream_tbENKUlT_T0_E_clISt17integral_constantIbLb0EES11_EEDaSW_SX_EUlSW_E_NS1_11comp_targetILNS1_3genE8ELNS1_11target_archE1030ELNS1_3gpuE2ELNS1_3repE0EEENS1_30default_config_static_selectorELNS0_4arch9wavefront6targetE1EEEvT1_
    .private_segment_fixed_size: 0
    .sgpr_count:     6
    .sgpr_spill_count: 0
    .symbol:         _ZN7rocprim17ROCPRIM_400000_NS6detail17trampoline_kernelINS0_14default_configENS1_27scan_by_key_config_selectorIiyEEZZNS1_16scan_by_key_implILNS1_25lookback_scan_determinismE0ELb0ES3_N6thrust23THRUST_200600_302600_NS6detail15normal_iteratorINS9_10device_ptrIiEEEENSB_INSC_IyEEEESG_yNS9_4plusIvEENS9_8equal_toIvEEyEE10hipError_tPvRmT2_T3_T4_T5_mT6_T7_P12ihipStream_tbENKUlT_T0_E_clISt17integral_constantIbLb0EES11_EEDaSW_SX_EUlSW_E_NS1_11comp_targetILNS1_3genE8ELNS1_11target_archE1030ELNS1_3gpuE2ELNS1_3repE0EEENS1_30default_config_static_selectorELNS0_4arch9wavefront6targetE1EEEvT1_.kd
    .uniform_work_group_size: 1
    .uses_dynamic_stack: false
    .vgpr_count:     0
    .vgpr_spill_count: 0
    .wavefront_size: 64
  - .agpr_count:     0
    .args:
      - .offset:         0
        .size:           24
        .value_kind:     by_value
      - .offset:         24
        .size:           4
        .value_kind:     by_value
      - .offset:         28
        .size:           4
        .value_kind:     by_value
      - .address_space:  global
        .offset:         32
        .size:           8
        .value_kind:     global_buffer
      - .address_space:  global
        .offset:         40
        .size:           8
        .value_kind:     global_buffer
      - .actual_access:  write_only
        .address_space:  global
        .offset:         48
        .size:           8
        .value_kind:     global_buffer
      - .offset:         56
        .size:           8
        .value_kind:     by_value
      - .offset:         64
        .size:           4
        .value_kind:     by_value
      - .address_space:  global
        .offset:         72
        .size:           8
        .value_kind:     global_buffer
      - .offset:         80
        .size:           4
        .value_kind:     hidden_block_count_x
      - .offset:         84
        .size:           4
        .value_kind:     hidden_block_count_y
      - .offset:         88
        .size:           4
        .value_kind:     hidden_block_count_z
      - .offset:         92
        .size:           2
        .value_kind:     hidden_group_size_x
      - .offset:         94
        .size:           2
        .value_kind:     hidden_group_size_y
      - .offset:         96
        .size:           2
        .value_kind:     hidden_group_size_z
      - .offset:         98
        .size:           2
        .value_kind:     hidden_remainder_x
      - .offset:         100
        .size:           2
        .value_kind:     hidden_remainder_y
      - .offset:         102
        .size:           2
        .value_kind:     hidden_remainder_z
      - .offset:         120
        .size:           8
        .value_kind:     hidden_global_offset_x
      - .offset:         128
        .size:           8
        .value_kind:     hidden_global_offset_y
      - .offset:         136
        .size:           8
        .value_kind:     hidden_global_offset_z
      - .offset:         144
        .size:           2
        .value_kind:     hidden_grid_dims
    .group_segment_fixed_size: 0
    .kernarg_segment_align: 8
    .kernarg_segment_size: 336
    .language:       OpenCL C
    .language_version:
      - 2
      - 0
    .max_flat_workgroup_size: 256
    .name:           _ZN7rocprim17ROCPRIM_400000_NS6detail30init_device_scan_by_key_kernelINS1_19lookback_scan_stateINS0_5tupleIJybEEELb1ELb0EEEN6thrust23THRUST_200600_302600_NS6detail15normal_iteratorINS8_10device_ptrIiEEEEjNS1_16block_id_wrapperIjLb1EEEEEvT_jjPNSG_10value_typeET0_PNSt15iterator_traitsISJ_E10value_typeEmT1_T2_
    .private_segment_fixed_size: 0
    .sgpr_count:     30
    .sgpr_spill_count: 0
    .symbol:         _ZN7rocprim17ROCPRIM_400000_NS6detail30init_device_scan_by_key_kernelINS1_19lookback_scan_stateINS0_5tupleIJybEEELb1ELb0EEEN6thrust23THRUST_200600_302600_NS6detail15normal_iteratorINS8_10device_ptrIiEEEEjNS1_16block_id_wrapperIjLb1EEEEEvT_jjPNSG_10value_typeET0_PNSt15iterator_traitsISJ_E10value_typeEmT1_T2_.kd
    .uniform_work_group_size: 1
    .uses_dynamic_stack: false
    .vgpr_count:     7
    .vgpr_spill_count: 0
    .wavefront_size: 64
  - .agpr_count:     0
    .args:
      - .offset:         0
        .size:           24
        .value_kind:     by_value
      - .offset:         24
        .size:           4
        .value_kind:     by_value
      - .offset:         28
        .size:           4
        .value_kind:     by_value
      - .address_space:  global
        .offset:         32
        .size:           8
        .value_kind:     global_buffer
      - .address_space:  global
        .offset:         40
        .size:           8
        .value_kind:     global_buffer
      - .offset:         48
        .size:           4
        .value_kind:     hidden_block_count_x
      - .offset:         52
        .size:           4
        .value_kind:     hidden_block_count_y
      - .offset:         56
        .size:           4
        .value_kind:     hidden_block_count_z
      - .offset:         60
        .size:           2
        .value_kind:     hidden_group_size_x
      - .offset:         62
        .size:           2
        .value_kind:     hidden_group_size_y
      - .offset:         64
        .size:           2
        .value_kind:     hidden_group_size_z
      - .offset:         66
        .size:           2
        .value_kind:     hidden_remainder_x
      - .offset:         68
        .size:           2
        .value_kind:     hidden_remainder_y
      - .offset:         70
        .size:           2
        .value_kind:     hidden_remainder_z
      - .offset:         88
        .size:           8
        .value_kind:     hidden_global_offset_x
      - .offset:         96
        .size:           8
        .value_kind:     hidden_global_offset_y
      - .offset:         104
        .size:           8
        .value_kind:     hidden_global_offset_z
      - .offset:         112
        .size:           2
        .value_kind:     hidden_grid_dims
    .group_segment_fixed_size: 0
    .kernarg_segment_align: 8
    .kernarg_segment_size: 304
    .language:       OpenCL C
    .language_version:
      - 2
      - 0
    .max_flat_workgroup_size: 256
    .name:           _ZN7rocprim17ROCPRIM_400000_NS6detail30init_device_scan_by_key_kernelINS1_19lookback_scan_stateINS0_5tupleIJybEEELb1ELb0EEENS1_16block_id_wrapperIjLb1EEEEEvT_jjPNS9_10value_typeET0_
    .private_segment_fixed_size: 0
    .sgpr_count:     26
    .sgpr_spill_count: 0
    .symbol:         _ZN7rocprim17ROCPRIM_400000_NS6detail30init_device_scan_by_key_kernelINS1_19lookback_scan_stateINS0_5tupleIJybEEELb1ELb0EEENS1_16block_id_wrapperIjLb1EEEEEvT_jjPNS9_10value_typeET0_.kd
    .uniform_work_group_size: 1
    .uses_dynamic_stack: false
    .vgpr_count:     6
    .vgpr_spill_count: 0
    .wavefront_size: 64
  - .agpr_count:     0
    .args:
      - .offset:         0
        .size:           136
        .value_kind:     by_value
    .group_segment_fixed_size: 0
    .kernarg_segment_align: 8
    .kernarg_segment_size: 136
    .language:       OpenCL C
    .language_version:
      - 2
      - 0
    .max_flat_workgroup_size: 128
    .name:           _ZN7rocprim17ROCPRIM_400000_NS6detail17trampoline_kernelINS0_14default_configENS1_27scan_by_key_config_selectorIiyEEZZNS1_16scan_by_key_implILNS1_25lookback_scan_determinismE0ELb0ES3_N6thrust23THRUST_200600_302600_NS6detail15normal_iteratorINS9_10device_ptrIiEEEENSB_INSC_IyEEEESG_yNS9_4plusIvEENS9_8equal_toIvEEyEE10hipError_tPvRmT2_T3_T4_T5_mT6_T7_P12ihipStream_tbENKUlT_T0_E_clISt17integral_constantIbLb1EES11_EEDaSW_SX_EUlSW_E_NS1_11comp_targetILNS1_3genE0ELNS1_11target_archE4294967295ELNS1_3gpuE0ELNS1_3repE0EEENS1_30default_config_static_selectorELNS0_4arch9wavefront6targetE1EEEvT1_
    .private_segment_fixed_size: 0
    .sgpr_count:     6
    .sgpr_spill_count: 0
    .symbol:         _ZN7rocprim17ROCPRIM_400000_NS6detail17trampoline_kernelINS0_14default_configENS1_27scan_by_key_config_selectorIiyEEZZNS1_16scan_by_key_implILNS1_25lookback_scan_determinismE0ELb0ES3_N6thrust23THRUST_200600_302600_NS6detail15normal_iteratorINS9_10device_ptrIiEEEENSB_INSC_IyEEEESG_yNS9_4plusIvEENS9_8equal_toIvEEyEE10hipError_tPvRmT2_T3_T4_T5_mT6_T7_P12ihipStream_tbENKUlT_T0_E_clISt17integral_constantIbLb1EES11_EEDaSW_SX_EUlSW_E_NS1_11comp_targetILNS1_3genE0ELNS1_11target_archE4294967295ELNS1_3gpuE0ELNS1_3repE0EEENS1_30default_config_static_selectorELNS0_4arch9wavefront6targetE1EEEvT1_.kd
    .uniform_work_group_size: 1
    .uses_dynamic_stack: false
    .vgpr_count:     0
    .vgpr_spill_count: 0
    .wavefront_size: 64
  - .agpr_count:     0
    .args:
      - .offset:         0
        .size:           136
        .value_kind:     by_value
    .group_segment_fixed_size: 0
    .kernarg_segment_align: 8
    .kernarg_segment_size: 136
    .language:       OpenCL C
    .language_version:
      - 2
      - 0
    .max_flat_workgroup_size: 256
    .name:           _ZN7rocprim17ROCPRIM_400000_NS6detail17trampoline_kernelINS0_14default_configENS1_27scan_by_key_config_selectorIiyEEZZNS1_16scan_by_key_implILNS1_25lookback_scan_determinismE0ELb0ES3_N6thrust23THRUST_200600_302600_NS6detail15normal_iteratorINS9_10device_ptrIiEEEENSB_INSC_IyEEEESG_yNS9_4plusIvEENS9_8equal_toIvEEyEE10hipError_tPvRmT2_T3_T4_T5_mT6_T7_P12ihipStream_tbENKUlT_T0_E_clISt17integral_constantIbLb1EES11_EEDaSW_SX_EUlSW_E_NS1_11comp_targetILNS1_3genE10ELNS1_11target_archE1201ELNS1_3gpuE5ELNS1_3repE0EEENS1_30default_config_static_selectorELNS0_4arch9wavefront6targetE1EEEvT1_
    .private_segment_fixed_size: 0
    .sgpr_count:     6
    .sgpr_spill_count: 0
    .symbol:         _ZN7rocprim17ROCPRIM_400000_NS6detail17trampoline_kernelINS0_14default_configENS1_27scan_by_key_config_selectorIiyEEZZNS1_16scan_by_key_implILNS1_25lookback_scan_determinismE0ELb0ES3_N6thrust23THRUST_200600_302600_NS6detail15normal_iteratorINS9_10device_ptrIiEEEENSB_INSC_IyEEEESG_yNS9_4plusIvEENS9_8equal_toIvEEyEE10hipError_tPvRmT2_T3_T4_T5_mT6_T7_P12ihipStream_tbENKUlT_T0_E_clISt17integral_constantIbLb1EES11_EEDaSW_SX_EUlSW_E_NS1_11comp_targetILNS1_3genE10ELNS1_11target_archE1201ELNS1_3gpuE5ELNS1_3repE0EEENS1_30default_config_static_selectorELNS0_4arch9wavefront6targetE1EEEvT1_.kd
    .uniform_work_group_size: 1
    .uses_dynamic_stack: false
    .vgpr_count:     0
    .vgpr_spill_count: 0
    .wavefront_size: 64
  - .agpr_count:     0
    .args:
      - .offset:         0
        .size:           136
        .value_kind:     by_value
    .group_segment_fixed_size: 43008
    .kernarg_segment_align: 8
    .kernarg_segment_size: 136
    .language:       OpenCL C
    .language_version:
      - 2
      - 0
    .max_flat_workgroup_size: 256
    .name:           _ZN7rocprim17ROCPRIM_400000_NS6detail17trampoline_kernelINS0_14default_configENS1_27scan_by_key_config_selectorIiyEEZZNS1_16scan_by_key_implILNS1_25lookback_scan_determinismE0ELb0ES3_N6thrust23THRUST_200600_302600_NS6detail15normal_iteratorINS9_10device_ptrIiEEEENSB_INSC_IyEEEESG_yNS9_4plusIvEENS9_8equal_toIvEEyEE10hipError_tPvRmT2_T3_T4_T5_mT6_T7_P12ihipStream_tbENKUlT_T0_E_clISt17integral_constantIbLb1EES11_EEDaSW_SX_EUlSW_E_NS1_11comp_targetILNS1_3genE5ELNS1_11target_archE942ELNS1_3gpuE9ELNS1_3repE0EEENS1_30default_config_static_selectorELNS0_4arch9wavefront6targetE1EEEvT1_
    .private_segment_fixed_size: 0
    .sgpr_count:     106
    .sgpr_spill_count: 10
    .symbol:         _ZN7rocprim17ROCPRIM_400000_NS6detail17trampoline_kernelINS0_14default_configENS1_27scan_by_key_config_selectorIiyEEZZNS1_16scan_by_key_implILNS1_25lookback_scan_determinismE0ELb0ES3_N6thrust23THRUST_200600_302600_NS6detail15normal_iteratorINS9_10device_ptrIiEEEENSB_INSC_IyEEEESG_yNS9_4plusIvEENS9_8equal_toIvEEyEE10hipError_tPvRmT2_T3_T4_T5_mT6_T7_P12ihipStream_tbENKUlT_T0_E_clISt17integral_constantIbLb1EES11_EEDaSW_SX_EUlSW_E_NS1_11comp_targetILNS1_3genE5ELNS1_11target_archE942ELNS1_3gpuE9ELNS1_3repE0EEENS1_30default_config_static_selectorELNS0_4arch9wavefront6targetE1EEEvT1_.kd
    .uniform_work_group_size: 1
    .uses_dynamic_stack: false
    .vgpr_count:     132
    .vgpr_spill_count: 0
    .wavefront_size: 64
  - .agpr_count:     0
    .args:
      - .offset:         0
        .size:           136
        .value_kind:     by_value
    .group_segment_fixed_size: 0
    .kernarg_segment_align: 8
    .kernarg_segment_size: 136
    .language:       OpenCL C
    .language_version:
      - 2
      - 0
    .max_flat_workgroup_size: 64
    .name:           _ZN7rocprim17ROCPRIM_400000_NS6detail17trampoline_kernelINS0_14default_configENS1_27scan_by_key_config_selectorIiyEEZZNS1_16scan_by_key_implILNS1_25lookback_scan_determinismE0ELb0ES3_N6thrust23THRUST_200600_302600_NS6detail15normal_iteratorINS9_10device_ptrIiEEEENSB_INSC_IyEEEESG_yNS9_4plusIvEENS9_8equal_toIvEEyEE10hipError_tPvRmT2_T3_T4_T5_mT6_T7_P12ihipStream_tbENKUlT_T0_E_clISt17integral_constantIbLb1EES11_EEDaSW_SX_EUlSW_E_NS1_11comp_targetILNS1_3genE4ELNS1_11target_archE910ELNS1_3gpuE8ELNS1_3repE0EEENS1_30default_config_static_selectorELNS0_4arch9wavefront6targetE1EEEvT1_
    .private_segment_fixed_size: 0
    .sgpr_count:     6
    .sgpr_spill_count: 0
    .symbol:         _ZN7rocprim17ROCPRIM_400000_NS6detail17trampoline_kernelINS0_14default_configENS1_27scan_by_key_config_selectorIiyEEZZNS1_16scan_by_key_implILNS1_25lookback_scan_determinismE0ELb0ES3_N6thrust23THRUST_200600_302600_NS6detail15normal_iteratorINS9_10device_ptrIiEEEENSB_INSC_IyEEEESG_yNS9_4plusIvEENS9_8equal_toIvEEyEE10hipError_tPvRmT2_T3_T4_T5_mT6_T7_P12ihipStream_tbENKUlT_T0_E_clISt17integral_constantIbLb1EES11_EEDaSW_SX_EUlSW_E_NS1_11comp_targetILNS1_3genE4ELNS1_11target_archE910ELNS1_3gpuE8ELNS1_3repE0EEENS1_30default_config_static_selectorELNS0_4arch9wavefront6targetE1EEEvT1_.kd
    .uniform_work_group_size: 1
    .uses_dynamic_stack: false
    .vgpr_count:     0
    .vgpr_spill_count: 0
    .wavefront_size: 64
  - .agpr_count:     0
    .args:
      - .offset:         0
        .size:           136
        .value_kind:     by_value
    .group_segment_fixed_size: 0
    .kernarg_segment_align: 8
    .kernarg_segment_size: 136
    .language:       OpenCL C
    .language_version:
      - 2
      - 0
    .max_flat_workgroup_size: 128
    .name:           _ZN7rocprim17ROCPRIM_400000_NS6detail17trampoline_kernelINS0_14default_configENS1_27scan_by_key_config_selectorIiyEEZZNS1_16scan_by_key_implILNS1_25lookback_scan_determinismE0ELb0ES3_N6thrust23THRUST_200600_302600_NS6detail15normal_iteratorINS9_10device_ptrIiEEEENSB_INSC_IyEEEESG_yNS9_4plusIvEENS9_8equal_toIvEEyEE10hipError_tPvRmT2_T3_T4_T5_mT6_T7_P12ihipStream_tbENKUlT_T0_E_clISt17integral_constantIbLb1EES11_EEDaSW_SX_EUlSW_E_NS1_11comp_targetILNS1_3genE3ELNS1_11target_archE908ELNS1_3gpuE7ELNS1_3repE0EEENS1_30default_config_static_selectorELNS0_4arch9wavefront6targetE1EEEvT1_
    .private_segment_fixed_size: 0
    .sgpr_count:     6
    .sgpr_spill_count: 0
    .symbol:         _ZN7rocprim17ROCPRIM_400000_NS6detail17trampoline_kernelINS0_14default_configENS1_27scan_by_key_config_selectorIiyEEZZNS1_16scan_by_key_implILNS1_25lookback_scan_determinismE0ELb0ES3_N6thrust23THRUST_200600_302600_NS6detail15normal_iteratorINS9_10device_ptrIiEEEENSB_INSC_IyEEEESG_yNS9_4plusIvEENS9_8equal_toIvEEyEE10hipError_tPvRmT2_T3_T4_T5_mT6_T7_P12ihipStream_tbENKUlT_T0_E_clISt17integral_constantIbLb1EES11_EEDaSW_SX_EUlSW_E_NS1_11comp_targetILNS1_3genE3ELNS1_11target_archE908ELNS1_3gpuE7ELNS1_3repE0EEENS1_30default_config_static_selectorELNS0_4arch9wavefront6targetE1EEEvT1_.kd
    .uniform_work_group_size: 1
    .uses_dynamic_stack: false
    .vgpr_count:     0
    .vgpr_spill_count: 0
    .wavefront_size: 64
  - .agpr_count:     0
    .args:
      - .offset:         0
        .size:           136
        .value_kind:     by_value
    .group_segment_fixed_size: 0
    .kernarg_segment_align: 8
    .kernarg_segment_size: 136
    .language:       OpenCL C
    .language_version:
      - 2
      - 0
    .max_flat_workgroup_size: 64
    .name:           _ZN7rocprim17ROCPRIM_400000_NS6detail17trampoline_kernelINS0_14default_configENS1_27scan_by_key_config_selectorIiyEEZZNS1_16scan_by_key_implILNS1_25lookback_scan_determinismE0ELb0ES3_N6thrust23THRUST_200600_302600_NS6detail15normal_iteratorINS9_10device_ptrIiEEEENSB_INSC_IyEEEESG_yNS9_4plusIvEENS9_8equal_toIvEEyEE10hipError_tPvRmT2_T3_T4_T5_mT6_T7_P12ihipStream_tbENKUlT_T0_E_clISt17integral_constantIbLb1EES11_EEDaSW_SX_EUlSW_E_NS1_11comp_targetILNS1_3genE2ELNS1_11target_archE906ELNS1_3gpuE6ELNS1_3repE0EEENS1_30default_config_static_selectorELNS0_4arch9wavefront6targetE1EEEvT1_
    .private_segment_fixed_size: 0
    .sgpr_count:     6
    .sgpr_spill_count: 0
    .symbol:         _ZN7rocprim17ROCPRIM_400000_NS6detail17trampoline_kernelINS0_14default_configENS1_27scan_by_key_config_selectorIiyEEZZNS1_16scan_by_key_implILNS1_25lookback_scan_determinismE0ELb0ES3_N6thrust23THRUST_200600_302600_NS6detail15normal_iteratorINS9_10device_ptrIiEEEENSB_INSC_IyEEEESG_yNS9_4plusIvEENS9_8equal_toIvEEyEE10hipError_tPvRmT2_T3_T4_T5_mT6_T7_P12ihipStream_tbENKUlT_T0_E_clISt17integral_constantIbLb1EES11_EEDaSW_SX_EUlSW_E_NS1_11comp_targetILNS1_3genE2ELNS1_11target_archE906ELNS1_3gpuE6ELNS1_3repE0EEENS1_30default_config_static_selectorELNS0_4arch9wavefront6targetE1EEEvT1_.kd
    .uniform_work_group_size: 1
    .uses_dynamic_stack: false
    .vgpr_count:     0
    .vgpr_spill_count: 0
    .wavefront_size: 64
  - .agpr_count:     0
    .args:
      - .offset:         0
        .size:           136
        .value_kind:     by_value
    .group_segment_fixed_size: 0
    .kernarg_segment_align: 8
    .kernarg_segment_size: 136
    .language:       OpenCL C
    .language_version:
      - 2
      - 0
    .max_flat_workgroup_size: 256
    .name:           _ZN7rocprim17ROCPRIM_400000_NS6detail17trampoline_kernelINS0_14default_configENS1_27scan_by_key_config_selectorIiyEEZZNS1_16scan_by_key_implILNS1_25lookback_scan_determinismE0ELb0ES3_N6thrust23THRUST_200600_302600_NS6detail15normal_iteratorINS9_10device_ptrIiEEEENSB_INSC_IyEEEESG_yNS9_4plusIvEENS9_8equal_toIvEEyEE10hipError_tPvRmT2_T3_T4_T5_mT6_T7_P12ihipStream_tbENKUlT_T0_E_clISt17integral_constantIbLb1EES11_EEDaSW_SX_EUlSW_E_NS1_11comp_targetILNS1_3genE10ELNS1_11target_archE1200ELNS1_3gpuE4ELNS1_3repE0EEENS1_30default_config_static_selectorELNS0_4arch9wavefront6targetE1EEEvT1_
    .private_segment_fixed_size: 0
    .sgpr_count:     6
    .sgpr_spill_count: 0
    .symbol:         _ZN7rocprim17ROCPRIM_400000_NS6detail17trampoline_kernelINS0_14default_configENS1_27scan_by_key_config_selectorIiyEEZZNS1_16scan_by_key_implILNS1_25lookback_scan_determinismE0ELb0ES3_N6thrust23THRUST_200600_302600_NS6detail15normal_iteratorINS9_10device_ptrIiEEEENSB_INSC_IyEEEESG_yNS9_4plusIvEENS9_8equal_toIvEEyEE10hipError_tPvRmT2_T3_T4_T5_mT6_T7_P12ihipStream_tbENKUlT_T0_E_clISt17integral_constantIbLb1EES11_EEDaSW_SX_EUlSW_E_NS1_11comp_targetILNS1_3genE10ELNS1_11target_archE1200ELNS1_3gpuE4ELNS1_3repE0EEENS1_30default_config_static_selectorELNS0_4arch9wavefront6targetE1EEEvT1_.kd
    .uniform_work_group_size: 1
    .uses_dynamic_stack: false
    .vgpr_count:     0
    .vgpr_spill_count: 0
    .wavefront_size: 64
  - .agpr_count:     0
    .args:
      - .offset:         0
        .size:           136
        .value_kind:     by_value
    .group_segment_fixed_size: 0
    .kernarg_segment_align: 8
    .kernarg_segment_size: 136
    .language:       OpenCL C
    .language_version:
      - 2
      - 0
    .max_flat_workgroup_size: 256
    .name:           _ZN7rocprim17ROCPRIM_400000_NS6detail17trampoline_kernelINS0_14default_configENS1_27scan_by_key_config_selectorIiyEEZZNS1_16scan_by_key_implILNS1_25lookback_scan_determinismE0ELb0ES3_N6thrust23THRUST_200600_302600_NS6detail15normal_iteratorINS9_10device_ptrIiEEEENSB_INSC_IyEEEESG_yNS9_4plusIvEENS9_8equal_toIvEEyEE10hipError_tPvRmT2_T3_T4_T5_mT6_T7_P12ihipStream_tbENKUlT_T0_E_clISt17integral_constantIbLb1EES11_EEDaSW_SX_EUlSW_E_NS1_11comp_targetILNS1_3genE9ELNS1_11target_archE1100ELNS1_3gpuE3ELNS1_3repE0EEENS1_30default_config_static_selectorELNS0_4arch9wavefront6targetE1EEEvT1_
    .private_segment_fixed_size: 0
    .sgpr_count:     6
    .sgpr_spill_count: 0
    .symbol:         _ZN7rocprim17ROCPRIM_400000_NS6detail17trampoline_kernelINS0_14default_configENS1_27scan_by_key_config_selectorIiyEEZZNS1_16scan_by_key_implILNS1_25lookback_scan_determinismE0ELb0ES3_N6thrust23THRUST_200600_302600_NS6detail15normal_iteratorINS9_10device_ptrIiEEEENSB_INSC_IyEEEESG_yNS9_4plusIvEENS9_8equal_toIvEEyEE10hipError_tPvRmT2_T3_T4_T5_mT6_T7_P12ihipStream_tbENKUlT_T0_E_clISt17integral_constantIbLb1EES11_EEDaSW_SX_EUlSW_E_NS1_11comp_targetILNS1_3genE9ELNS1_11target_archE1100ELNS1_3gpuE3ELNS1_3repE0EEENS1_30default_config_static_selectorELNS0_4arch9wavefront6targetE1EEEvT1_.kd
    .uniform_work_group_size: 1
    .uses_dynamic_stack: false
    .vgpr_count:     0
    .vgpr_spill_count: 0
    .wavefront_size: 64
  - .agpr_count:     0
    .args:
      - .offset:         0
        .size:           136
        .value_kind:     by_value
    .group_segment_fixed_size: 0
    .kernarg_segment_align: 8
    .kernarg_segment_size: 136
    .language:       OpenCL C
    .language_version:
      - 2
      - 0
    .max_flat_workgroup_size: 256
    .name:           _ZN7rocprim17ROCPRIM_400000_NS6detail17trampoline_kernelINS0_14default_configENS1_27scan_by_key_config_selectorIiyEEZZNS1_16scan_by_key_implILNS1_25lookback_scan_determinismE0ELb0ES3_N6thrust23THRUST_200600_302600_NS6detail15normal_iteratorINS9_10device_ptrIiEEEENSB_INSC_IyEEEESG_yNS9_4plusIvEENS9_8equal_toIvEEyEE10hipError_tPvRmT2_T3_T4_T5_mT6_T7_P12ihipStream_tbENKUlT_T0_E_clISt17integral_constantIbLb1EES11_EEDaSW_SX_EUlSW_E_NS1_11comp_targetILNS1_3genE8ELNS1_11target_archE1030ELNS1_3gpuE2ELNS1_3repE0EEENS1_30default_config_static_selectorELNS0_4arch9wavefront6targetE1EEEvT1_
    .private_segment_fixed_size: 0
    .sgpr_count:     6
    .sgpr_spill_count: 0
    .symbol:         _ZN7rocprim17ROCPRIM_400000_NS6detail17trampoline_kernelINS0_14default_configENS1_27scan_by_key_config_selectorIiyEEZZNS1_16scan_by_key_implILNS1_25lookback_scan_determinismE0ELb0ES3_N6thrust23THRUST_200600_302600_NS6detail15normal_iteratorINS9_10device_ptrIiEEEENSB_INSC_IyEEEESG_yNS9_4plusIvEENS9_8equal_toIvEEyEE10hipError_tPvRmT2_T3_T4_T5_mT6_T7_P12ihipStream_tbENKUlT_T0_E_clISt17integral_constantIbLb1EES11_EEDaSW_SX_EUlSW_E_NS1_11comp_targetILNS1_3genE8ELNS1_11target_archE1030ELNS1_3gpuE2ELNS1_3repE0EEENS1_30default_config_static_selectorELNS0_4arch9wavefront6targetE1EEEvT1_.kd
    .uniform_work_group_size: 1
    .uses_dynamic_stack: false
    .vgpr_count:     0
    .vgpr_spill_count: 0
    .wavefront_size: 64
  - .agpr_count:     0
    .args:
      - .offset:         0
        .size:           24
        .value_kind:     by_value
      - .offset:         24
        .size:           4
        .value_kind:     by_value
      - .offset:         28
        .size:           4
        .value_kind:     by_value
      - .address_space:  global
        .offset:         32
        .size:           8
        .value_kind:     global_buffer
      - .address_space:  global
        .offset:         40
        .size:           8
        .value_kind:     global_buffer
      - .actual_access:  write_only
        .address_space:  global
        .offset:         48
        .size:           8
        .value_kind:     global_buffer
      - .offset:         56
        .size:           8
        .value_kind:     by_value
      - .offset:         64
        .size:           4
        .value_kind:     by_value
      - .offset:         68
        .size:           1
        .value_kind:     by_value
      - .offset:         72
        .size:           4
        .value_kind:     hidden_block_count_x
      - .offset:         76
        .size:           4
        .value_kind:     hidden_block_count_y
      - .offset:         80
        .size:           4
        .value_kind:     hidden_block_count_z
      - .offset:         84
        .size:           2
        .value_kind:     hidden_group_size_x
      - .offset:         86
        .size:           2
        .value_kind:     hidden_group_size_y
      - .offset:         88
        .size:           2
        .value_kind:     hidden_group_size_z
      - .offset:         90
        .size:           2
        .value_kind:     hidden_remainder_x
      - .offset:         92
        .size:           2
        .value_kind:     hidden_remainder_y
      - .offset:         94
        .size:           2
        .value_kind:     hidden_remainder_z
      - .offset:         112
        .size:           8
        .value_kind:     hidden_global_offset_x
      - .offset:         120
        .size:           8
        .value_kind:     hidden_global_offset_y
      - .offset:         128
        .size:           8
        .value_kind:     hidden_global_offset_z
      - .offset:         136
        .size:           2
        .value_kind:     hidden_grid_dims
    .group_segment_fixed_size: 0
    .kernarg_segment_align: 8
    .kernarg_segment_size: 328
    .language:       OpenCL C
    .language_version:
      - 2
      - 0
    .max_flat_workgroup_size: 256
    .name:           _ZN7rocprim17ROCPRIM_400000_NS6detail30init_device_scan_by_key_kernelINS1_19lookback_scan_stateINS0_5tupleIJybEEELb1ELb0EEEN6thrust23THRUST_200600_302600_NS6detail15normal_iteratorINS8_10device_ptrIiEEEEjNS1_16block_id_wrapperIjLb0EEEEEvT_jjPNSG_10value_typeET0_PNSt15iterator_traitsISJ_E10value_typeEmT1_T2_
    .private_segment_fixed_size: 0
    .sgpr_count:     30
    .sgpr_spill_count: 0
    .symbol:         _ZN7rocprim17ROCPRIM_400000_NS6detail30init_device_scan_by_key_kernelINS1_19lookback_scan_stateINS0_5tupleIJybEEELb1ELb0EEEN6thrust23THRUST_200600_302600_NS6detail15normal_iteratorINS8_10device_ptrIiEEEEjNS1_16block_id_wrapperIjLb0EEEEEvT_jjPNSG_10value_typeET0_PNSt15iterator_traitsISJ_E10value_typeEmT1_T2_.kd
    .uniform_work_group_size: 1
    .uses_dynamic_stack: false
    .vgpr_count:     7
    .vgpr_spill_count: 0
    .wavefront_size: 64
  - .agpr_count:     0
    .args:
      - .offset:         0
        .size:           24
        .value_kind:     by_value
      - .offset:         24
        .size:           4
        .value_kind:     by_value
      - .offset:         28
        .size:           4
        .value_kind:     by_value
      - .address_space:  global
        .offset:         32
        .size:           8
        .value_kind:     global_buffer
      - .offset:         40
        .size:           1
        .value_kind:     by_value
      - .offset:         48
        .size:           4
        .value_kind:     hidden_block_count_x
      - .offset:         52
        .size:           4
        .value_kind:     hidden_block_count_y
      - .offset:         56
        .size:           4
        .value_kind:     hidden_block_count_z
      - .offset:         60
        .size:           2
        .value_kind:     hidden_group_size_x
      - .offset:         62
        .size:           2
        .value_kind:     hidden_group_size_y
      - .offset:         64
        .size:           2
        .value_kind:     hidden_group_size_z
      - .offset:         66
        .size:           2
        .value_kind:     hidden_remainder_x
      - .offset:         68
        .size:           2
        .value_kind:     hidden_remainder_y
      - .offset:         70
        .size:           2
        .value_kind:     hidden_remainder_z
      - .offset:         88
        .size:           8
        .value_kind:     hidden_global_offset_x
      - .offset:         96
        .size:           8
        .value_kind:     hidden_global_offset_y
      - .offset:         104
        .size:           8
        .value_kind:     hidden_global_offset_z
      - .offset:         112
        .size:           2
        .value_kind:     hidden_grid_dims
    .group_segment_fixed_size: 0
    .kernarg_segment_align: 8
    .kernarg_segment_size: 304
    .language:       OpenCL C
    .language_version:
      - 2
      - 0
    .max_flat_workgroup_size: 256
    .name:           _ZN7rocprim17ROCPRIM_400000_NS6detail30init_device_scan_by_key_kernelINS1_19lookback_scan_stateINS0_5tupleIJybEEELb1ELb0EEENS1_16block_id_wrapperIjLb0EEEEEvT_jjPNS9_10value_typeET0_
    .private_segment_fixed_size: 0
    .sgpr_count:     24
    .sgpr_spill_count: 0
    .symbol:         _ZN7rocprim17ROCPRIM_400000_NS6detail30init_device_scan_by_key_kernelINS1_19lookback_scan_stateINS0_5tupleIJybEEELb1ELb0EEENS1_16block_id_wrapperIjLb0EEEEEvT_jjPNS9_10value_typeET0_.kd
    .uniform_work_group_size: 1
    .uses_dynamic_stack: false
    .vgpr_count:     6
    .vgpr_spill_count: 0
    .wavefront_size: 64
  - .agpr_count:     0
    .args:
      - .offset:         0
        .size:           136
        .value_kind:     by_value
    .group_segment_fixed_size: 0
    .kernarg_segment_align: 8
    .kernarg_segment_size: 136
    .language:       OpenCL C
    .language_version:
      - 2
      - 0
    .max_flat_workgroup_size: 128
    .name:           _ZN7rocprim17ROCPRIM_400000_NS6detail17trampoline_kernelINS0_14default_configENS1_27scan_by_key_config_selectorIiyEEZZNS1_16scan_by_key_implILNS1_25lookback_scan_determinismE0ELb0ES3_N6thrust23THRUST_200600_302600_NS6detail15normal_iteratorINS9_10device_ptrIiEEEENSB_INSC_IyEEEESG_yNS9_4plusIvEENS9_8equal_toIvEEyEE10hipError_tPvRmT2_T3_T4_T5_mT6_T7_P12ihipStream_tbENKUlT_T0_E_clISt17integral_constantIbLb1EES10_IbLb0EEEEDaSW_SX_EUlSW_E_NS1_11comp_targetILNS1_3genE0ELNS1_11target_archE4294967295ELNS1_3gpuE0ELNS1_3repE0EEENS1_30default_config_static_selectorELNS0_4arch9wavefront6targetE1EEEvT1_
    .private_segment_fixed_size: 0
    .sgpr_count:     6
    .sgpr_spill_count: 0
    .symbol:         _ZN7rocprim17ROCPRIM_400000_NS6detail17trampoline_kernelINS0_14default_configENS1_27scan_by_key_config_selectorIiyEEZZNS1_16scan_by_key_implILNS1_25lookback_scan_determinismE0ELb0ES3_N6thrust23THRUST_200600_302600_NS6detail15normal_iteratorINS9_10device_ptrIiEEEENSB_INSC_IyEEEESG_yNS9_4plusIvEENS9_8equal_toIvEEyEE10hipError_tPvRmT2_T3_T4_T5_mT6_T7_P12ihipStream_tbENKUlT_T0_E_clISt17integral_constantIbLb1EES10_IbLb0EEEEDaSW_SX_EUlSW_E_NS1_11comp_targetILNS1_3genE0ELNS1_11target_archE4294967295ELNS1_3gpuE0ELNS1_3repE0EEENS1_30default_config_static_selectorELNS0_4arch9wavefront6targetE1EEEvT1_.kd
    .uniform_work_group_size: 1
    .uses_dynamic_stack: false
    .vgpr_count:     0
    .vgpr_spill_count: 0
    .wavefront_size: 64
  - .agpr_count:     0
    .args:
      - .offset:         0
        .size:           136
        .value_kind:     by_value
    .group_segment_fixed_size: 0
    .kernarg_segment_align: 8
    .kernarg_segment_size: 136
    .language:       OpenCL C
    .language_version:
      - 2
      - 0
    .max_flat_workgroup_size: 256
    .name:           _ZN7rocprim17ROCPRIM_400000_NS6detail17trampoline_kernelINS0_14default_configENS1_27scan_by_key_config_selectorIiyEEZZNS1_16scan_by_key_implILNS1_25lookback_scan_determinismE0ELb0ES3_N6thrust23THRUST_200600_302600_NS6detail15normal_iteratorINS9_10device_ptrIiEEEENSB_INSC_IyEEEESG_yNS9_4plusIvEENS9_8equal_toIvEEyEE10hipError_tPvRmT2_T3_T4_T5_mT6_T7_P12ihipStream_tbENKUlT_T0_E_clISt17integral_constantIbLb1EES10_IbLb0EEEEDaSW_SX_EUlSW_E_NS1_11comp_targetILNS1_3genE10ELNS1_11target_archE1201ELNS1_3gpuE5ELNS1_3repE0EEENS1_30default_config_static_selectorELNS0_4arch9wavefront6targetE1EEEvT1_
    .private_segment_fixed_size: 0
    .sgpr_count:     6
    .sgpr_spill_count: 0
    .symbol:         _ZN7rocprim17ROCPRIM_400000_NS6detail17trampoline_kernelINS0_14default_configENS1_27scan_by_key_config_selectorIiyEEZZNS1_16scan_by_key_implILNS1_25lookback_scan_determinismE0ELb0ES3_N6thrust23THRUST_200600_302600_NS6detail15normal_iteratorINS9_10device_ptrIiEEEENSB_INSC_IyEEEESG_yNS9_4plusIvEENS9_8equal_toIvEEyEE10hipError_tPvRmT2_T3_T4_T5_mT6_T7_P12ihipStream_tbENKUlT_T0_E_clISt17integral_constantIbLb1EES10_IbLb0EEEEDaSW_SX_EUlSW_E_NS1_11comp_targetILNS1_3genE10ELNS1_11target_archE1201ELNS1_3gpuE5ELNS1_3repE0EEENS1_30default_config_static_selectorELNS0_4arch9wavefront6targetE1EEEvT1_.kd
    .uniform_work_group_size: 1
    .uses_dynamic_stack: false
    .vgpr_count:     0
    .vgpr_spill_count: 0
    .wavefront_size: 64
  - .agpr_count:     0
    .args:
      - .offset:         0
        .size:           136
        .value_kind:     by_value
    .group_segment_fixed_size: 43008
    .kernarg_segment_align: 8
    .kernarg_segment_size: 136
    .language:       OpenCL C
    .language_version:
      - 2
      - 0
    .max_flat_workgroup_size: 256
    .name:           _ZN7rocprim17ROCPRIM_400000_NS6detail17trampoline_kernelINS0_14default_configENS1_27scan_by_key_config_selectorIiyEEZZNS1_16scan_by_key_implILNS1_25lookback_scan_determinismE0ELb0ES3_N6thrust23THRUST_200600_302600_NS6detail15normal_iteratorINS9_10device_ptrIiEEEENSB_INSC_IyEEEESG_yNS9_4plusIvEENS9_8equal_toIvEEyEE10hipError_tPvRmT2_T3_T4_T5_mT6_T7_P12ihipStream_tbENKUlT_T0_E_clISt17integral_constantIbLb1EES10_IbLb0EEEEDaSW_SX_EUlSW_E_NS1_11comp_targetILNS1_3genE5ELNS1_11target_archE942ELNS1_3gpuE9ELNS1_3repE0EEENS1_30default_config_static_selectorELNS0_4arch9wavefront6targetE1EEEvT1_
    .private_segment_fixed_size: 0
    .sgpr_count:     106
    .sgpr_spill_count: 8
    .symbol:         _ZN7rocprim17ROCPRIM_400000_NS6detail17trampoline_kernelINS0_14default_configENS1_27scan_by_key_config_selectorIiyEEZZNS1_16scan_by_key_implILNS1_25lookback_scan_determinismE0ELb0ES3_N6thrust23THRUST_200600_302600_NS6detail15normal_iteratorINS9_10device_ptrIiEEEENSB_INSC_IyEEEESG_yNS9_4plusIvEENS9_8equal_toIvEEyEE10hipError_tPvRmT2_T3_T4_T5_mT6_T7_P12ihipStream_tbENKUlT_T0_E_clISt17integral_constantIbLb1EES10_IbLb0EEEEDaSW_SX_EUlSW_E_NS1_11comp_targetILNS1_3genE5ELNS1_11target_archE942ELNS1_3gpuE9ELNS1_3repE0EEENS1_30default_config_static_selectorELNS0_4arch9wavefront6targetE1EEEvT1_.kd
    .uniform_work_group_size: 1
    .uses_dynamic_stack: false
    .vgpr_count:     132
    .vgpr_spill_count: 0
    .wavefront_size: 64
  - .agpr_count:     0
    .args:
      - .offset:         0
        .size:           136
        .value_kind:     by_value
    .group_segment_fixed_size: 0
    .kernarg_segment_align: 8
    .kernarg_segment_size: 136
    .language:       OpenCL C
    .language_version:
      - 2
      - 0
    .max_flat_workgroup_size: 64
    .name:           _ZN7rocprim17ROCPRIM_400000_NS6detail17trampoline_kernelINS0_14default_configENS1_27scan_by_key_config_selectorIiyEEZZNS1_16scan_by_key_implILNS1_25lookback_scan_determinismE0ELb0ES3_N6thrust23THRUST_200600_302600_NS6detail15normal_iteratorINS9_10device_ptrIiEEEENSB_INSC_IyEEEESG_yNS9_4plusIvEENS9_8equal_toIvEEyEE10hipError_tPvRmT2_T3_T4_T5_mT6_T7_P12ihipStream_tbENKUlT_T0_E_clISt17integral_constantIbLb1EES10_IbLb0EEEEDaSW_SX_EUlSW_E_NS1_11comp_targetILNS1_3genE4ELNS1_11target_archE910ELNS1_3gpuE8ELNS1_3repE0EEENS1_30default_config_static_selectorELNS0_4arch9wavefront6targetE1EEEvT1_
    .private_segment_fixed_size: 0
    .sgpr_count:     6
    .sgpr_spill_count: 0
    .symbol:         _ZN7rocprim17ROCPRIM_400000_NS6detail17trampoline_kernelINS0_14default_configENS1_27scan_by_key_config_selectorIiyEEZZNS1_16scan_by_key_implILNS1_25lookback_scan_determinismE0ELb0ES3_N6thrust23THRUST_200600_302600_NS6detail15normal_iteratorINS9_10device_ptrIiEEEENSB_INSC_IyEEEESG_yNS9_4plusIvEENS9_8equal_toIvEEyEE10hipError_tPvRmT2_T3_T4_T5_mT6_T7_P12ihipStream_tbENKUlT_T0_E_clISt17integral_constantIbLb1EES10_IbLb0EEEEDaSW_SX_EUlSW_E_NS1_11comp_targetILNS1_3genE4ELNS1_11target_archE910ELNS1_3gpuE8ELNS1_3repE0EEENS1_30default_config_static_selectorELNS0_4arch9wavefront6targetE1EEEvT1_.kd
    .uniform_work_group_size: 1
    .uses_dynamic_stack: false
    .vgpr_count:     0
    .vgpr_spill_count: 0
    .wavefront_size: 64
  - .agpr_count:     0
    .args:
      - .offset:         0
        .size:           136
        .value_kind:     by_value
    .group_segment_fixed_size: 0
    .kernarg_segment_align: 8
    .kernarg_segment_size: 136
    .language:       OpenCL C
    .language_version:
      - 2
      - 0
    .max_flat_workgroup_size: 128
    .name:           _ZN7rocprim17ROCPRIM_400000_NS6detail17trampoline_kernelINS0_14default_configENS1_27scan_by_key_config_selectorIiyEEZZNS1_16scan_by_key_implILNS1_25lookback_scan_determinismE0ELb0ES3_N6thrust23THRUST_200600_302600_NS6detail15normal_iteratorINS9_10device_ptrIiEEEENSB_INSC_IyEEEESG_yNS9_4plusIvEENS9_8equal_toIvEEyEE10hipError_tPvRmT2_T3_T4_T5_mT6_T7_P12ihipStream_tbENKUlT_T0_E_clISt17integral_constantIbLb1EES10_IbLb0EEEEDaSW_SX_EUlSW_E_NS1_11comp_targetILNS1_3genE3ELNS1_11target_archE908ELNS1_3gpuE7ELNS1_3repE0EEENS1_30default_config_static_selectorELNS0_4arch9wavefront6targetE1EEEvT1_
    .private_segment_fixed_size: 0
    .sgpr_count:     6
    .sgpr_spill_count: 0
    .symbol:         _ZN7rocprim17ROCPRIM_400000_NS6detail17trampoline_kernelINS0_14default_configENS1_27scan_by_key_config_selectorIiyEEZZNS1_16scan_by_key_implILNS1_25lookback_scan_determinismE0ELb0ES3_N6thrust23THRUST_200600_302600_NS6detail15normal_iteratorINS9_10device_ptrIiEEEENSB_INSC_IyEEEESG_yNS9_4plusIvEENS9_8equal_toIvEEyEE10hipError_tPvRmT2_T3_T4_T5_mT6_T7_P12ihipStream_tbENKUlT_T0_E_clISt17integral_constantIbLb1EES10_IbLb0EEEEDaSW_SX_EUlSW_E_NS1_11comp_targetILNS1_3genE3ELNS1_11target_archE908ELNS1_3gpuE7ELNS1_3repE0EEENS1_30default_config_static_selectorELNS0_4arch9wavefront6targetE1EEEvT1_.kd
    .uniform_work_group_size: 1
    .uses_dynamic_stack: false
    .vgpr_count:     0
    .vgpr_spill_count: 0
    .wavefront_size: 64
  - .agpr_count:     0
    .args:
      - .offset:         0
        .size:           136
        .value_kind:     by_value
    .group_segment_fixed_size: 0
    .kernarg_segment_align: 8
    .kernarg_segment_size: 136
    .language:       OpenCL C
    .language_version:
      - 2
      - 0
    .max_flat_workgroup_size: 64
    .name:           _ZN7rocprim17ROCPRIM_400000_NS6detail17trampoline_kernelINS0_14default_configENS1_27scan_by_key_config_selectorIiyEEZZNS1_16scan_by_key_implILNS1_25lookback_scan_determinismE0ELb0ES3_N6thrust23THRUST_200600_302600_NS6detail15normal_iteratorINS9_10device_ptrIiEEEENSB_INSC_IyEEEESG_yNS9_4plusIvEENS9_8equal_toIvEEyEE10hipError_tPvRmT2_T3_T4_T5_mT6_T7_P12ihipStream_tbENKUlT_T0_E_clISt17integral_constantIbLb1EES10_IbLb0EEEEDaSW_SX_EUlSW_E_NS1_11comp_targetILNS1_3genE2ELNS1_11target_archE906ELNS1_3gpuE6ELNS1_3repE0EEENS1_30default_config_static_selectorELNS0_4arch9wavefront6targetE1EEEvT1_
    .private_segment_fixed_size: 0
    .sgpr_count:     6
    .sgpr_spill_count: 0
    .symbol:         _ZN7rocprim17ROCPRIM_400000_NS6detail17trampoline_kernelINS0_14default_configENS1_27scan_by_key_config_selectorIiyEEZZNS1_16scan_by_key_implILNS1_25lookback_scan_determinismE0ELb0ES3_N6thrust23THRUST_200600_302600_NS6detail15normal_iteratorINS9_10device_ptrIiEEEENSB_INSC_IyEEEESG_yNS9_4plusIvEENS9_8equal_toIvEEyEE10hipError_tPvRmT2_T3_T4_T5_mT6_T7_P12ihipStream_tbENKUlT_T0_E_clISt17integral_constantIbLb1EES10_IbLb0EEEEDaSW_SX_EUlSW_E_NS1_11comp_targetILNS1_3genE2ELNS1_11target_archE906ELNS1_3gpuE6ELNS1_3repE0EEENS1_30default_config_static_selectorELNS0_4arch9wavefront6targetE1EEEvT1_.kd
    .uniform_work_group_size: 1
    .uses_dynamic_stack: false
    .vgpr_count:     0
    .vgpr_spill_count: 0
    .wavefront_size: 64
  - .agpr_count:     0
    .args:
      - .offset:         0
        .size:           136
        .value_kind:     by_value
    .group_segment_fixed_size: 0
    .kernarg_segment_align: 8
    .kernarg_segment_size: 136
    .language:       OpenCL C
    .language_version:
      - 2
      - 0
    .max_flat_workgroup_size: 256
    .name:           _ZN7rocprim17ROCPRIM_400000_NS6detail17trampoline_kernelINS0_14default_configENS1_27scan_by_key_config_selectorIiyEEZZNS1_16scan_by_key_implILNS1_25lookback_scan_determinismE0ELb0ES3_N6thrust23THRUST_200600_302600_NS6detail15normal_iteratorINS9_10device_ptrIiEEEENSB_INSC_IyEEEESG_yNS9_4plusIvEENS9_8equal_toIvEEyEE10hipError_tPvRmT2_T3_T4_T5_mT6_T7_P12ihipStream_tbENKUlT_T0_E_clISt17integral_constantIbLb1EES10_IbLb0EEEEDaSW_SX_EUlSW_E_NS1_11comp_targetILNS1_3genE10ELNS1_11target_archE1200ELNS1_3gpuE4ELNS1_3repE0EEENS1_30default_config_static_selectorELNS0_4arch9wavefront6targetE1EEEvT1_
    .private_segment_fixed_size: 0
    .sgpr_count:     6
    .sgpr_spill_count: 0
    .symbol:         _ZN7rocprim17ROCPRIM_400000_NS6detail17trampoline_kernelINS0_14default_configENS1_27scan_by_key_config_selectorIiyEEZZNS1_16scan_by_key_implILNS1_25lookback_scan_determinismE0ELb0ES3_N6thrust23THRUST_200600_302600_NS6detail15normal_iteratorINS9_10device_ptrIiEEEENSB_INSC_IyEEEESG_yNS9_4plusIvEENS9_8equal_toIvEEyEE10hipError_tPvRmT2_T3_T4_T5_mT6_T7_P12ihipStream_tbENKUlT_T0_E_clISt17integral_constantIbLb1EES10_IbLb0EEEEDaSW_SX_EUlSW_E_NS1_11comp_targetILNS1_3genE10ELNS1_11target_archE1200ELNS1_3gpuE4ELNS1_3repE0EEENS1_30default_config_static_selectorELNS0_4arch9wavefront6targetE1EEEvT1_.kd
    .uniform_work_group_size: 1
    .uses_dynamic_stack: false
    .vgpr_count:     0
    .vgpr_spill_count: 0
    .wavefront_size: 64
  - .agpr_count:     0
    .args:
      - .offset:         0
        .size:           136
        .value_kind:     by_value
    .group_segment_fixed_size: 0
    .kernarg_segment_align: 8
    .kernarg_segment_size: 136
    .language:       OpenCL C
    .language_version:
      - 2
      - 0
    .max_flat_workgroup_size: 256
    .name:           _ZN7rocprim17ROCPRIM_400000_NS6detail17trampoline_kernelINS0_14default_configENS1_27scan_by_key_config_selectorIiyEEZZNS1_16scan_by_key_implILNS1_25lookback_scan_determinismE0ELb0ES3_N6thrust23THRUST_200600_302600_NS6detail15normal_iteratorINS9_10device_ptrIiEEEENSB_INSC_IyEEEESG_yNS9_4plusIvEENS9_8equal_toIvEEyEE10hipError_tPvRmT2_T3_T4_T5_mT6_T7_P12ihipStream_tbENKUlT_T0_E_clISt17integral_constantIbLb1EES10_IbLb0EEEEDaSW_SX_EUlSW_E_NS1_11comp_targetILNS1_3genE9ELNS1_11target_archE1100ELNS1_3gpuE3ELNS1_3repE0EEENS1_30default_config_static_selectorELNS0_4arch9wavefront6targetE1EEEvT1_
    .private_segment_fixed_size: 0
    .sgpr_count:     6
    .sgpr_spill_count: 0
    .symbol:         _ZN7rocprim17ROCPRIM_400000_NS6detail17trampoline_kernelINS0_14default_configENS1_27scan_by_key_config_selectorIiyEEZZNS1_16scan_by_key_implILNS1_25lookback_scan_determinismE0ELb0ES3_N6thrust23THRUST_200600_302600_NS6detail15normal_iteratorINS9_10device_ptrIiEEEENSB_INSC_IyEEEESG_yNS9_4plusIvEENS9_8equal_toIvEEyEE10hipError_tPvRmT2_T3_T4_T5_mT6_T7_P12ihipStream_tbENKUlT_T0_E_clISt17integral_constantIbLb1EES10_IbLb0EEEEDaSW_SX_EUlSW_E_NS1_11comp_targetILNS1_3genE9ELNS1_11target_archE1100ELNS1_3gpuE3ELNS1_3repE0EEENS1_30default_config_static_selectorELNS0_4arch9wavefront6targetE1EEEvT1_.kd
    .uniform_work_group_size: 1
    .uses_dynamic_stack: false
    .vgpr_count:     0
    .vgpr_spill_count: 0
    .wavefront_size: 64
  - .agpr_count:     0
    .args:
      - .offset:         0
        .size:           136
        .value_kind:     by_value
    .group_segment_fixed_size: 0
    .kernarg_segment_align: 8
    .kernarg_segment_size: 136
    .language:       OpenCL C
    .language_version:
      - 2
      - 0
    .max_flat_workgroup_size: 256
    .name:           _ZN7rocprim17ROCPRIM_400000_NS6detail17trampoline_kernelINS0_14default_configENS1_27scan_by_key_config_selectorIiyEEZZNS1_16scan_by_key_implILNS1_25lookback_scan_determinismE0ELb0ES3_N6thrust23THRUST_200600_302600_NS6detail15normal_iteratorINS9_10device_ptrIiEEEENSB_INSC_IyEEEESG_yNS9_4plusIvEENS9_8equal_toIvEEyEE10hipError_tPvRmT2_T3_T4_T5_mT6_T7_P12ihipStream_tbENKUlT_T0_E_clISt17integral_constantIbLb1EES10_IbLb0EEEEDaSW_SX_EUlSW_E_NS1_11comp_targetILNS1_3genE8ELNS1_11target_archE1030ELNS1_3gpuE2ELNS1_3repE0EEENS1_30default_config_static_selectorELNS0_4arch9wavefront6targetE1EEEvT1_
    .private_segment_fixed_size: 0
    .sgpr_count:     6
    .sgpr_spill_count: 0
    .symbol:         _ZN7rocprim17ROCPRIM_400000_NS6detail17trampoline_kernelINS0_14default_configENS1_27scan_by_key_config_selectorIiyEEZZNS1_16scan_by_key_implILNS1_25lookback_scan_determinismE0ELb0ES3_N6thrust23THRUST_200600_302600_NS6detail15normal_iteratorINS9_10device_ptrIiEEEENSB_INSC_IyEEEESG_yNS9_4plusIvEENS9_8equal_toIvEEyEE10hipError_tPvRmT2_T3_T4_T5_mT6_T7_P12ihipStream_tbENKUlT_T0_E_clISt17integral_constantIbLb1EES10_IbLb0EEEEDaSW_SX_EUlSW_E_NS1_11comp_targetILNS1_3genE8ELNS1_11target_archE1030ELNS1_3gpuE2ELNS1_3repE0EEENS1_30default_config_static_selectorELNS0_4arch9wavefront6targetE1EEEvT1_.kd
    .uniform_work_group_size: 1
    .uses_dynamic_stack: false
    .vgpr_count:     0
    .vgpr_spill_count: 0
    .wavefront_size: 64
  - .agpr_count:     0
    .args:
      - .offset:         0
        .size:           24
        .value_kind:     by_value
      - .offset:         24
        .size:           4
        .value_kind:     by_value
      - .offset:         28
        .size:           4
        .value_kind:     by_value
      - .address_space:  global
        .offset:         32
        .size:           8
        .value_kind:     global_buffer
      - .address_space:  global
        .offset:         40
        .size:           8
        .value_kind:     global_buffer
      - .actual_access:  write_only
        .address_space:  global
        .offset:         48
        .size:           8
        .value_kind:     global_buffer
      - .offset:         56
        .size:           8
        .value_kind:     by_value
      - .offset:         64
        .size:           4
        .value_kind:     by_value
      - .address_space:  global
        .offset:         72
        .size:           8
        .value_kind:     global_buffer
      - .offset:         80
        .size:           4
        .value_kind:     hidden_block_count_x
      - .offset:         84
        .size:           4
        .value_kind:     hidden_block_count_y
      - .offset:         88
        .size:           4
        .value_kind:     hidden_block_count_z
      - .offset:         92
        .size:           2
        .value_kind:     hidden_group_size_x
      - .offset:         94
        .size:           2
        .value_kind:     hidden_group_size_y
      - .offset:         96
        .size:           2
        .value_kind:     hidden_group_size_z
      - .offset:         98
        .size:           2
        .value_kind:     hidden_remainder_x
      - .offset:         100
        .size:           2
        .value_kind:     hidden_remainder_y
      - .offset:         102
        .size:           2
        .value_kind:     hidden_remainder_z
      - .offset:         120
        .size:           8
        .value_kind:     hidden_global_offset_x
      - .offset:         128
        .size:           8
        .value_kind:     hidden_global_offset_y
      - .offset:         136
        .size:           8
        .value_kind:     hidden_global_offset_z
      - .offset:         144
        .size:           2
        .value_kind:     hidden_grid_dims
    .group_segment_fixed_size: 0
    .kernarg_segment_align: 8
    .kernarg_segment_size: 336
    .language:       OpenCL C
    .language_version:
      - 2
      - 0
    .max_flat_workgroup_size: 256
    .name:           _ZN7rocprim17ROCPRIM_400000_NS6detail30init_device_scan_by_key_kernelINS1_19lookback_scan_stateINS0_5tupleIJybEEELb0ELb0EEEN6thrust23THRUST_200600_302600_NS6detail15normal_iteratorINS8_10device_ptrIiEEEEjNS1_16block_id_wrapperIjLb1EEEEEvT_jjPNSG_10value_typeET0_PNSt15iterator_traitsISJ_E10value_typeEmT1_T2_
    .private_segment_fixed_size: 0
    .sgpr_count:     28
    .sgpr_spill_count: 0
    .symbol:         _ZN7rocprim17ROCPRIM_400000_NS6detail30init_device_scan_by_key_kernelINS1_19lookback_scan_stateINS0_5tupleIJybEEELb0ELb0EEEN6thrust23THRUST_200600_302600_NS6detail15normal_iteratorINS8_10device_ptrIiEEEEjNS1_16block_id_wrapperIjLb1EEEEEvT_jjPNSG_10value_typeET0_PNSt15iterator_traitsISJ_E10value_typeEmT1_T2_.kd
    .uniform_work_group_size: 1
    .uses_dynamic_stack: false
    .vgpr_count:     7
    .vgpr_spill_count: 0
    .wavefront_size: 64
  - .agpr_count:     0
    .args:
      - .offset:         0
        .size:           24
        .value_kind:     by_value
      - .offset:         24
        .size:           4
        .value_kind:     by_value
      - .offset:         28
        .size:           4
        .value_kind:     by_value
      - .address_space:  global
        .offset:         32
        .size:           8
        .value_kind:     global_buffer
      - .address_space:  global
        .offset:         40
        .size:           8
        .value_kind:     global_buffer
      - .offset:         48
        .size:           4
        .value_kind:     hidden_block_count_x
      - .offset:         52
        .size:           4
        .value_kind:     hidden_block_count_y
      - .offset:         56
        .size:           4
        .value_kind:     hidden_block_count_z
      - .offset:         60
        .size:           2
        .value_kind:     hidden_group_size_x
      - .offset:         62
        .size:           2
        .value_kind:     hidden_group_size_y
      - .offset:         64
        .size:           2
        .value_kind:     hidden_group_size_z
      - .offset:         66
        .size:           2
        .value_kind:     hidden_remainder_x
      - .offset:         68
        .size:           2
        .value_kind:     hidden_remainder_y
      - .offset:         70
        .size:           2
        .value_kind:     hidden_remainder_z
      - .offset:         88
        .size:           8
        .value_kind:     hidden_global_offset_x
      - .offset:         96
        .size:           8
        .value_kind:     hidden_global_offset_y
      - .offset:         104
        .size:           8
        .value_kind:     hidden_global_offset_z
      - .offset:         112
        .size:           2
        .value_kind:     hidden_grid_dims
    .group_segment_fixed_size: 0
    .kernarg_segment_align: 8
    .kernarg_segment_size: 304
    .language:       OpenCL C
    .language_version:
      - 2
      - 0
    .max_flat_workgroup_size: 256
    .name:           _ZN7rocprim17ROCPRIM_400000_NS6detail30init_device_scan_by_key_kernelINS1_19lookback_scan_stateINS0_5tupleIJybEEELb0ELb0EEENS1_16block_id_wrapperIjLb1EEEEEvT_jjPNS9_10value_typeET0_
    .private_segment_fixed_size: 0
    .sgpr_count:     24
    .sgpr_spill_count: 0
    .symbol:         _ZN7rocprim17ROCPRIM_400000_NS6detail30init_device_scan_by_key_kernelINS1_19lookback_scan_stateINS0_5tupleIJybEEELb0ELb0EEENS1_16block_id_wrapperIjLb1EEEEEvT_jjPNS9_10value_typeET0_.kd
    .uniform_work_group_size: 1
    .uses_dynamic_stack: false
    .vgpr_count:     6
    .vgpr_spill_count: 0
    .wavefront_size: 64
  - .agpr_count:     0
    .args:
      - .offset:         0
        .size:           136
        .value_kind:     by_value
    .group_segment_fixed_size: 0
    .kernarg_segment_align: 8
    .kernarg_segment_size: 136
    .language:       OpenCL C
    .language_version:
      - 2
      - 0
    .max_flat_workgroup_size: 128
    .name:           _ZN7rocprim17ROCPRIM_400000_NS6detail17trampoline_kernelINS0_14default_configENS1_27scan_by_key_config_selectorIiyEEZZNS1_16scan_by_key_implILNS1_25lookback_scan_determinismE0ELb0ES3_N6thrust23THRUST_200600_302600_NS6detail15normal_iteratorINS9_10device_ptrIiEEEENSB_INSC_IyEEEESG_yNS9_4plusIvEENS9_8equal_toIvEEyEE10hipError_tPvRmT2_T3_T4_T5_mT6_T7_P12ihipStream_tbENKUlT_T0_E_clISt17integral_constantIbLb0EES10_IbLb1EEEEDaSW_SX_EUlSW_E_NS1_11comp_targetILNS1_3genE0ELNS1_11target_archE4294967295ELNS1_3gpuE0ELNS1_3repE0EEENS1_30default_config_static_selectorELNS0_4arch9wavefront6targetE1EEEvT1_
    .private_segment_fixed_size: 0
    .sgpr_count:     6
    .sgpr_spill_count: 0
    .symbol:         _ZN7rocprim17ROCPRIM_400000_NS6detail17trampoline_kernelINS0_14default_configENS1_27scan_by_key_config_selectorIiyEEZZNS1_16scan_by_key_implILNS1_25lookback_scan_determinismE0ELb0ES3_N6thrust23THRUST_200600_302600_NS6detail15normal_iteratorINS9_10device_ptrIiEEEENSB_INSC_IyEEEESG_yNS9_4plusIvEENS9_8equal_toIvEEyEE10hipError_tPvRmT2_T3_T4_T5_mT6_T7_P12ihipStream_tbENKUlT_T0_E_clISt17integral_constantIbLb0EES10_IbLb1EEEEDaSW_SX_EUlSW_E_NS1_11comp_targetILNS1_3genE0ELNS1_11target_archE4294967295ELNS1_3gpuE0ELNS1_3repE0EEENS1_30default_config_static_selectorELNS0_4arch9wavefront6targetE1EEEvT1_.kd
    .uniform_work_group_size: 1
    .uses_dynamic_stack: false
    .vgpr_count:     0
    .vgpr_spill_count: 0
    .wavefront_size: 64
  - .agpr_count:     0
    .args:
      - .offset:         0
        .size:           136
        .value_kind:     by_value
    .group_segment_fixed_size: 0
    .kernarg_segment_align: 8
    .kernarg_segment_size: 136
    .language:       OpenCL C
    .language_version:
      - 2
      - 0
    .max_flat_workgroup_size: 256
    .name:           _ZN7rocprim17ROCPRIM_400000_NS6detail17trampoline_kernelINS0_14default_configENS1_27scan_by_key_config_selectorIiyEEZZNS1_16scan_by_key_implILNS1_25lookback_scan_determinismE0ELb0ES3_N6thrust23THRUST_200600_302600_NS6detail15normal_iteratorINS9_10device_ptrIiEEEENSB_INSC_IyEEEESG_yNS9_4plusIvEENS9_8equal_toIvEEyEE10hipError_tPvRmT2_T3_T4_T5_mT6_T7_P12ihipStream_tbENKUlT_T0_E_clISt17integral_constantIbLb0EES10_IbLb1EEEEDaSW_SX_EUlSW_E_NS1_11comp_targetILNS1_3genE10ELNS1_11target_archE1201ELNS1_3gpuE5ELNS1_3repE0EEENS1_30default_config_static_selectorELNS0_4arch9wavefront6targetE1EEEvT1_
    .private_segment_fixed_size: 0
    .sgpr_count:     6
    .sgpr_spill_count: 0
    .symbol:         _ZN7rocprim17ROCPRIM_400000_NS6detail17trampoline_kernelINS0_14default_configENS1_27scan_by_key_config_selectorIiyEEZZNS1_16scan_by_key_implILNS1_25lookback_scan_determinismE0ELb0ES3_N6thrust23THRUST_200600_302600_NS6detail15normal_iteratorINS9_10device_ptrIiEEEENSB_INSC_IyEEEESG_yNS9_4plusIvEENS9_8equal_toIvEEyEE10hipError_tPvRmT2_T3_T4_T5_mT6_T7_P12ihipStream_tbENKUlT_T0_E_clISt17integral_constantIbLb0EES10_IbLb1EEEEDaSW_SX_EUlSW_E_NS1_11comp_targetILNS1_3genE10ELNS1_11target_archE1201ELNS1_3gpuE5ELNS1_3repE0EEENS1_30default_config_static_selectorELNS0_4arch9wavefront6targetE1EEEvT1_.kd
    .uniform_work_group_size: 1
    .uses_dynamic_stack: false
    .vgpr_count:     0
    .vgpr_spill_count: 0
    .wavefront_size: 64
  - .agpr_count:     0
    .args:
      - .offset:         0
        .size:           136
        .value_kind:     by_value
    .group_segment_fixed_size: 43008
    .kernarg_segment_align: 8
    .kernarg_segment_size: 136
    .language:       OpenCL C
    .language_version:
      - 2
      - 0
    .max_flat_workgroup_size: 256
    .name:           _ZN7rocprim17ROCPRIM_400000_NS6detail17trampoline_kernelINS0_14default_configENS1_27scan_by_key_config_selectorIiyEEZZNS1_16scan_by_key_implILNS1_25lookback_scan_determinismE0ELb0ES3_N6thrust23THRUST_200600_302600_NS6detail15normal_iteratorINS9_10device_ptrIiEEEENSB_INSC_IyEEEESG_yNS9_4plusIvEENS9_8equal_toIvEEyEE10hipError_tPvRmT2_T3_T4_T5_mT6_T7_P12ihipStream_tbENKUlT_T0_E_clISt17integral_constantIbLb0EES10_IbLb1EEEEDaSW_SX_EUlSW_E_NS1_11comp_targetILNS1_3genE5ELNS1_11target_archE942ELNS1_3gpuE9ELNS1_3repE0EEENS1_30default_config_static_selectorELNS0_4arch9wavefront6targetE1EEEvT1_
    .private_segment_fixed_size: 0
    .sgpr_count:     106
    .sgpr_spill_count: 10
    .symbol:         _ZN7rocprim17ROCPRIM_400000_NS6detail17trampoline_kernelINS0_14default_configENS1_27scan_by_key_config_selectorIiyEEZZNS1_16scan_by_key_implILNS1_25lookback_scan_determinismE0ELb0ES3_N6thrust23THRUST_200600_302600_NS6detail15normal_iteratorINS9_10device_ptrIiEEEENSB_INSC_IyEEEESG_yNS9_4plusIvEENS9_8equal_toIvEEyEE10hipError_tPvRmT2_T3_T4_T5_mT6_T7_P12ihipStream_tbENKUlT_T0_E_clISt17integral_constantIbLb0EES10_IbLb1EEEEDaSW_SX_EUlSW_E_NS1_11comp_targetILNS1_3genE5ELNS1_11target_archE942ELNS1_3gpuE9ELNS1_3repE0EEENS1_30default_config_static_selectorELNS0_4arch9wavefront6targetE1EEEvT1_.kd
    .uniform_work_group_size: 1
    .uses_dynamic_stack: false
    .vgpr_count:     132
    .vgpr_spill_count: 0
    .wavefront_size: 64
  - .agpr_count:     0
    .args:
      - .offset:         0
        .size:           136
        .value_kind:     by_value
    .group_segment_fixed_size: 0
    .kernarg_segment_align: 8
    .kernarg_segment_size: 136
    .language:       OpenCL C
    .language_version:
      - 2
      - 0
    .max_flat_workgroup_size: 64
    .name:           _ZN7rocprim17ROCPRIM_400000_NS6detail17trampoline_kernelINS0_14default_configENS1_27scan_by_key_config_selectorIiyEEZZNS1_16scan_by_key_implILNS1_25lookback_scan_determinismE0ELb0ES3_N6thrust23THRUST_200600_302600_NS6detail15normal_iteratorINS9_10device_ptrIiEEEENSB_INSC_IyEEEESG_yNS9_4plusIvEENS9_8equal_toIvEEyEE10hipError_tPvRmT2_T3_T4_T5_mT6_T7_P12ihipStream_tbENKUlT_T0_E_clISt17integral_constantIbLb0EES10_IbLb1EEEEDaSW_SX_EUlSW_E_NS1_11comp_targetILNS1_3genE4ELNS1_11target_archE910ELNS1_3gpuE8ELNS1_3repE0EEENS1_30default_config_static_selectorELNS0_4arch9wavefront6targetE1EEEvT1_
    .private_segment_fixed_size: 0
    .sgpr_count:     6
    .sgpr_spill_count: 0
    .symbol:         _ZN7rocprim17ROCPRIM_400000_NS6detail17trampoline_kernelINS0_14default_configENS1_27scan_by_key_config_selectorIiyEEZZNS1_16scan_by_key_implILNS1_25lookback_scan_determinismE0ELb0ES3_N6thrust23THRUST_200600_302600_NS6detail15normal_iteratorINS9_10device_ptrIiEEEENSB_INSC_IyEEEESG_yNS9_4plusIvEENS9_8equal_toIvEEyEE10hipError_tPvRmT2_T3_T4_T5_mT6_T7_P12ihipStream_tbENKUlT_T0_E_clISt17integral_constantIbLb0EES10_IbLb1EEEEDaSW_SX_EUlSW_E_NS1_11comp_targetILNS1_3genE4ELNS1_11target_archE910ELNS1_3gpuE8ELNS1_3repE0EEENS1_30default_config_static_selectorELNS0_4arch9wavefront6targetE1EEEvT1_.kd
    .uniform_work_group_size: 1
    .uses_dynamic_stack: false
    .vgpr_count:     0
    .vgpr_spill_count: 0
    .wavefront_size: 64
  - .agpr_count:     0
    .args:
      - .offset:         0
        .size:           136
        .value_kind:     by_value
    .group_segment_fixed_size: 0
    .kernarg_segment_align: 8
    .kernarg_segment_size: 136
    .language:       OpenCL C
    .language_version:
      - 2
      - 0
    .max_flat_workgroup_size: 128
    .name:           _ZN7rocprim17ROCPRIM_400000_NS6detail17trampoline_kernelINS0_14default_configENS1_27scan_by_key_config_selectorIiyEEZZNS1_16scan_by_key_implILNS1_25lookback_scan_determinismE0ELb0ES3_N6thrust23THRUST_200600_302600_NS6detail15normal_iteratorINS9_10device_ptrIiEEEENSB_INSC_IyEEEESG_yNS9_4plusIvEENS9_8equal_toIvEEyEE10hipError_tPvRmT2_T3_T4_T5_mT6_T7_P12ihipStream_tbENKUlT_T0_E_clISt17integral_constantIbLb0EES10_IbLb1EEEEDaSW_SX_EUlSW_E_NS1_11comp_targetILNS1_3genE3ELNS1_11target_archE908ELNS1_3gpuE7ELNS1_3repE0EEENS1_30default_config_static_selectorELNS0_4arch9wavefront6targetE1EEEvT1_
    .private_segment_fixed_size: 0
    .sgpr_count:     6
    .sgpr_spill_count: 0
    .symbol:         _ZN7rocprim17ROCPRIM_400000_NS6detail17trampoline_kernelINS0_14default_configENS1_27scan_by_key_config_selectorIiyEEZZNS1_16scan_by_key_implILNS1_25lookback_scan_determinismE0ELb0ES3_N6thrust23THRUST_200600_302600_NS6detail15normal_iteratorINS9_10device_ptrIiEEEENSB_INSC_IyEEEESG_yNS9_4plusIvEENS9_8equal_toIvEEyEE10hipError_tPvRmT2_T3_T4_T5_mT6_T7_P12ihipStream_tbENKUlT_T0_E_clISt17integral_constantIbLb0EES10_IbLb1EEEEDaSW_SX_EUlSW_E_NS1_11comp_targetILNS1_3genE3ELNS1_11target_archE908ELNS1_3gpuE7ELNS1_3repE0EEENS1_30default_config_static_selectorELNS0_4arch9wavefront6targetE1EEEvT1_.kd
    .uniform_work_group_size: 1
    .uses_dynamic_stack: false
    .vgpr_count:     0
    .vgpr_spill_count: 0
    .wavefront_size: 64
  - .agpr_count:     0
    .args:
      - .offset:         0
        .size:           136
        .value_kind:     by_value
    .group_segment_fixed_size: 0
    .kernarg_segment_align: 8
    .kernarg_segment_size: 136
    .language:       OpenCL C
    .language_version:
      - 2
      - 0
    .max_flat_workgroup_size: 64
    .name:           _ZN7rocprim17ROCPRIM_400000_NS6detail17trampoline_kernelINS0_14default_configENS1_27scan_by_key_config_selectorIiyEEZZNS1_16scan_by_key_implILNS1_25lookback_scan_determinismE0ELb0ES3_N6thrust23THRUST_200600_302600_NS6detail15normal_iteratorINS9_10device_ptrIiEEEENSB_INSC_IyEEEESG_yNS9_4plusIvEENS9_8equal_toIvEEyEE10hipError_tPvRmT2_T3_T4_T5_mT6_T7_P12ihipStream_tbENKUlT_T0_E_clISt17integral_constantIbLb0EES10_IbLb1EEEEDaSW_SX_EUlSW_E_NS1_11comp_targetILNS1_3genE2ELNS1_11target_archE906ELNS1_3gpuE6ELNS1_3repE0EEENS1_30default_config_static_selectorELNS0_4arch9wavefront6targetE1EEEvT1_
    .private_segment_fixed_size: 0
    .sgpr_count:     6
    .sgpr_spill_count: 0
    .symbol:         _ZN7rocprim17ROCPRIM_400000_NS6detail17trampoline_kernelINS0_14default_configENS1_27scan_by_key_config_selectorIiyEEZZNS1_16scan_by_key_implILNS1_25lookback_scan_determinismE0ELb0ES3_N6thrust23THRUST_200600_302600_NS6detail15normal_iteratorINS9_10device_ptrIiEEEENSB_INSC_IyEEEESG_yNS9_4plusIvEENS9_8equal_toIvEEyEE10hipError_tPvRmT2_T3_T4_T5_mT6_T7_P12ihipStream_tbENKUlT_T0_E_clISt17integral_constantIbLb0EES10_IbLb1EEEEDaSW_SX_EUlSW_E_NS1_11comp_targetILNS1_3genE2ELNS1_11target_archE906ELNS1_3gpuE6ELNS1_3repE0EEENS1_30default_config_static_selectorELNS0_4arch9wavefront6targetE1EEEvT1_.kd
    .uniform_work_group_size: 1
    .uses_dynamic_stack: false
    .vgpr_count:     0
    .vgpr_spill_count: 0
    .wavefront_size: 64
  - .agpr_count:     0
    .args:
      - .offset:         0
        .size:           136
        .value_kind:     by_value
    .group_segment_fixed_size: 0
    .kernarg_segment_align: 8
    .kernarg_segment_size: 136
    .language:       OpenCL C
    .language_version:
      - 2
      - 0
    .max_flat_workgroup_size: 256
    .name:           _ZN7rocprim17ROCPRIM_400000_NS6detail17trampoline_kernelINS0_14default_configENS1_27scan_by_key_config_selectorIiyEEZZNS1_16scan_by_key_implILNS1_25lookback_scan_determinismE0ELb0ES3_N6thrust23THRUST_200600_302600_NS6detail15normal_iteratorINS9_10device_ptrIiEEEENSB_INSC_IyEEEESG_yNS9_4plusIvEENS9_8equal_toIvEEyEE10hipError_tPvRmT2_T3_T4_T5_mT6_T7_P12ihipStream_tbENKUlT_T0_E_clISt17integral_constantIbLb0EES10_IbLb1EEEEDaSW_SX_EUlSW_E_NS1_11comp_targetILNS1_3genE10ELNS1_11target_archE1200ELNS1_3gpuE4ELNS1_3repE0EEENS1_30default_config_static_selectorELNS0_4arch9wavefront6targetE1EEEvT1_
    .private_segment_fixed_size: 0
    .sgpr_count:     6
    .sgpr_spill_count: 0
    .symbol:         _ZN7rocprim17ROCPRIM_400000_NS6detail17trampoline_kernelINS0_14default_configENS1_27scan_by_key_config_selectorIiyEEZZNS1_16scan_by_key_implILNS1_25lookback_scan_determinismE0ELb0ES3_N6thrust23THRUST_200600_302600_NS6detail15normal_iteratorINS9_10device_ptrIiEEEENSB_INSC_IyEEEESG_yNS9_4plusIvEENS9_8equal_toIvEEyEE10hipError_tPvRmT2_T3_T4_T5_mT6_T7_P12ihipStream_tbENKUlT_T0_E_clISt17integral_constantIbLb0EES10_IbLb1EEEEDaSW_SX_EUlSW_E_NS1_11comp_targetILNS1_3genE10ELNS1_11target_archE1200ELNS1_3gpuE4ELNS1_3repE0EEENS1_30default_config_static_selectorELNS0_4arch9wavefront6targetE1EEEvT1_.kd
    .uniform_work_group_size: 1
    .uses_dynamic_stack: false
    .vgpr_count:     0
    .vgpr_spill_count: 0
    .wavefront_size: 64
  - .agpr_count:     0
    .args:
      - .offset:         0
        .size:           136
        .value_kind:     by_value
    .group_segment_fixed_size: 0
    .kernarg_segment_align: 8
    .kernarg_segment_size: 136
    .language:       OpenCL C
    .language_version:
      - 2
      - 0
    .max_flat_workgroup_size: 256
    .name:           _ZN7rocprim17ROCPRIM_400000_NS6detail17trampoline_kernelINS0_14default_configENS1_27scan_by_key_config_selectorIiyEEZZNS1_16scan_by_key_implILNS1_25lookback_scan_determinismE0ELb0ES3_N6thrust23THRUST_200600_302600_NS6detail15normal_iteratorINS9_10device_ptrIiEEEENSB_INSC_IyEEEESG_yNS9_4plusIvEENS9_8equal_toIvEEyEE10hipError_tPvRmT2_T3_T4_T5_mT6_T7_P12ihipStream_tbENKUlT_T0_E_clISt17integral_constantIbLb0EES10_IbLb1EEEEDaSW_SX_EUlSW_E_NS1_11comp_targetILNS1_3genE9ELNS1_11target_archE1100ELNS1_3gpuE3ELNS1_3repE0EEENS1_30default_config_static_selectorELNS0_4arch9wavefront6targetE1EEEvT1_
    .private_segment_fixed_size: 0
    .sgpr_count:     6
    .sgpr_spill_count: 0
    .symbol:         _ZN7rocprim17ROCPRIM_400000_NS6detail17trampoline_kernelINS0_14default_configENS1_27scan_by_key_config_selectorIiyEEZZNS1_16scan_by_key_implILNS1_25lookback_scan_determinismE0ELb0ES3_N6thrust23THRUST_200600_302600_NS6detail15normal_iteratorINS9_10device_ptrIiEEEENSB_INSC_IyEEEESG_yNS9_4plusIvEENS9_8equal_toIvEEyEE10hipError_tPvRmT2_T3_T4_T5_mT6_T7_P12ihipStream_tbENKUlT_T0_E_clISt17integral_constantIbLb0EES10_IbLb1EEEEDaSW_SX_EUlSW_E_NS1_11comp_targetILNS1_3genE9ELNS1_11target_archE1100ELNS1_3gpuE3ELNS1_3repE0EEENS1_30default_config_static_selectorELNS0_4arch9wavefront6targetE1EEEvT1_.kd
    .uniform_work_group_size: 1
    .uses_dynamic_stack: false
    .vgpr_count:     0
    .vgpr_spill_count: 0
    .wavefront_size: 64
  - .agpr_count:     0
    .args:
      - .offset:         0
        .size:           136
        .value_kind:     by_value
    .group_segment_fixed_size: 0
    .kernarg_segment_align: 8
    .kernarg_segment_size: 136
    .language:       OpenCL C
    .language_version:
      - 2
      - 0
    .max_flat_workgroup_size: 256
    .name:           _ZN7rocprim17ROCPRIM_400000_NS6detail17trampoline_kernelINS0_14default_configENS1_27scan_by_key_config_selectorIiyEEZZNS1_16scan_by_key_implILNS1_25lookback_scan_determinismE0ELb0ES3_N6thrust23THRUST_200600_302600_NS6detail15normal_iteratorINS9_10device_ptrIiEEEENSB_INSC_IyEEEESG_yNS9_4plusIvEENS9_8equal_toIvEEyEE10hipError_tPvRmT2_T3_T4_T5_mT6_T7_P12ihipStream_tbENKUlT_T0_E_clISt17integral_constantIbLb0EES10_IbLb1EEEEDaSW_SX_EUlSW_E_NS1_11comp_targetILNS1_3genE8ELNS1_11target_archE1030ELNS1_3gpuE2ELNS1_3repE0EEENS1_30default_config_static_selectorELNS0_4arch9wavefront6targetE1EEEvT1_
    .private_segment_fixed_size: 0
    .sgpr_count:     6
    .sgpr_spill_count: 0
    .symbol:         _ZN7rocprim17ROCPRIM_400000_NS6detail17trampoline_kernelINS0_14default_configENS1_27scan_by_key_config_selectorIiyEEZZNS1_16scan_by_key_implILNS1_25lookback_scan_determinismE0ELb0ES3_N6thrust23THRUST_200600_302600_NS6detail15normal_iteratorINS9_10device_ptrIiEEEENSB_INSC_IyEEEESG_yNS9_4plusIvEENS9_8equal_toIvEEyEE10hipError_tPvRmT2_T3_T4_T5_mT6_T7_P12ihipStream_tbENKUlT_T0_E_clISt17integral_constantIbLb0EES10_IbLb1EEEEDaSW_SX_EUlSW_E_NS1_11comp_targetILNS1_3genE8ELNS1_11target_archE1030ELNS1_3gpuE2ELNS1_3repE0EEENS1_30default_config_static_selectorELNS0_4arch9wavefront6targetE1EEEvT1_.kd
    .uniform_work_group_size: 1
    .uses_dynamic_stack: false
    .vgpr_count:     0
    .vgpr_spill_count: 0
    .wavefront_size: 64
  - .agpr_count:     0
    .args:
      - .offset:         0
        .size:           16
        .value_kind:     by_value
      - .offset:         16
        .size:           8
        .value_kind:     by_value
      - .offset:         24
        .size:           8
        .value_kind:     by_value
    .group_segment_fixed_size: 0
    .kernarg_segment_align: 8
    .kernarg_segment_size: 32
    .language:       OpenCL C
    .language_version:
      - 2
      - 0
    .max_flat_workgroup_size: 256
    .name:           _ZN6thrust23THRUST_200600_302600_NS11hip_rocprim14__parallel_for6kernelILj256ENS1_20__uninitialized_fill7functorINS0_10device_ptrIjEEjEEmLj1EEEvT0_T1_SA_
    .private_segment_fixed_size: 0
    .sgpr_count:     14
    .sgpr_spill_count: 0
    .symbol:         _ZN6thrust23THRUST_200600_302600_NS11hip_rocprim14__parallel_for6kernelILj256ENS1_20__uninitialized_fill7functorINS0_10device_ptrIjEEjEEmLj1EEEvT0_T1_SA_.kd
    .uniform_work_group_size: 1
    .uses_dynamic_stack: false
    .vgpr_count:     4
    .vgpr_spill_count: 0
    .wavefront_size: 64
  - .agpr_count:     0
    .args:
      - .address_space:  global
        .offset:         0
        .size:           8
        .value_kind:     global_buffer
      - .offset:         8
        .size:           4
        .value_kind:     by_value
      - .offset:         12
        .size:           4
        .value_kind:     by_value
      - .address_space:  global
        .offset:         16
        .size:           8
        .value_kind:     global_buffer
      - .address_space:  global
        .offset:         24
        .size:           8
        .value_kind:     global_buffer
      - .actual_access:  write_only
        .address_space:  global
        .offset:         32
        .size:           8
        .value_kind:     global_buffer
      - .offset:         40
        .size:           8
        .value_kind:     by_value
      - .offset:         48
        .size:           4
        .value_kind:     by_value
      - .offset:         52
        .size:           1
        .value_kind:     by_value
      - .offset:         56
        .size:           4
        .value_kind:     hidden_block_count_x
      - .offset:         60
        .size:           4
        .value_kind:     hidden_block_count_y
      - .offset:         64
        .size:           4
        .value_kind:     hidden_block_count_z
      - .offset:         68
        .size:           2
        .value_kind:     hidden_group_size_x
      - .offset:         70
        .size:           2
        .value_kind:     hidden_group_size_y
      - .offset:         72
        .size:           2
        .value_kind:     hidden_group_size_z
      - .offset:         74
        .size:           2
        .value_kind:     hidden_remainder_x
      - .offset:         76
        .size:           2
        .value_kind:     hidden_remainder_y
      - .offset:         78
        .size:           2
        .value_kind:     hidden_remainder_z
      - .offset:         96
        .size:           8
        .value_kind:     hidden_global_offset_x
      - .offset:         104
        .size:           8
        .value_kind:     hidden_global_offset_y
      - .offset:         112
        .size:           8
        .value_kind:     hidden_global_offset_z
      - .offset:         120
        .size:           2
        .value_kind:     hidden_grid_dims
    .group_segment_fixed_size: 0
    .kernarg_segment_align: 8
    .kernarg_segment_size: 312
    .language:       OpenCL C
    .language_version:
      - 2
      - 0
    .max_flat_workgroup_size: 256
    .name:           _ZN7rocprim17ROCPRIM_400000_NS6detail30init_device_scan_by_key_kernelINS1_19lookback_scan_stateINS0_5tupleIJjbEEELb0ELb1EEEN6thrust23THRUST_200600_302600_NS6detail15normal_iteratorINS8_10device_ptrIiEEEEjNS1_16block_id_wrapperIjLb0EEEEEvT_jjPNSG_10value_typeET0_PNSt15iterator_traitsISJ_E10value_typeEmT1_T2_
    .private_segment_fixed_size: 0
    .sgpr_count:     26
    .sgpr_spill_count: 0
    .symbol:         _ZN7rocprim17ROCPRIM_400000_NS6detail30init_device_scan_by_key_kernelINS1_19lookback_scan_stateINS0_5tupleIJjbEEELb0ELb1EEEN6thrust23THRUST_200600_302600_NS6detail15normal_iteratorINS8_10device_ptrIiEEEEjNS1_16block_id_wrapperIjLb0EEEEEvT_jjPNSG_10value_typeET0_PNSt15iterator_traitsISJ_E10value_typeEmT1_T2_.kd
    .uniform_work_group_size: 1
    .uses_dynamic_stack: false
    .vgpr_count:     10
    .vgpr_spill_count: 0
    .wavefront_size: 64
  - .agpr_count:     0
    .args:
      - .address_space:  global
        .offset:         0
        .size:           8
        .value_kind:     global_buffer
      - .offset:         8
        .size:           4
        .value_kind:     by_value
      - .offset:         12
        .size:           4
        .value_kind:     by_value
      - .address_space:  global
        .offset:         16
        .size:           8
        .value_kind:     global_buffer
      - .offset:         24
        .size:           1
        .value_kind:     by_value
      - .offset:         32
        .size:           4
        .value_kind:     hidden_block_count_x
      - .offset:         36
        .size:           4
        .value_kind:     hidden_block_count_y
      - .offset:         40
        .size:           4
        .value_kind:     hidden_block_count_z
      - .offset:         44
        .size:           2
        .value_kind:     hidden_group_size_x
      - .offset:         46
        .size:           2
        .value_kind:     hidden_group_size_y
      - .offset:         48
        .size:           2
        .value_kind:     hidden_group_size_z
      - .offset:         50
        .size:           2
        .value_kind:     hidden_remainder_x
      - .offset:         52
        .size:           2
        .value_kind:     hidden_remainder_y
      - .offset:         54
        .size:           2
        .value_kind:     hidden_remainder_z
      - .offset:         72
        .size:           8
        .value_kind:     hidden_global_offset_x
      - .offset:         80
        .size:           8
        .value_kind:     hidden_global_offset_y
      - .offset:         88
        .size:           8
        .value_kind:     hidden_global_offset_z
      - .offset:         96
        .size:           2
        .value_kind:     hidden_grid_dims
    .group_segment_fixed_size: 0
    .kernarg_segment_align: 8
    .kernarg_segment_size: 288
    .language:       OpenCL C
    .language_version:
      - 2
      - 0
    .max_flat_workgroup_size: 256
    .name:           _ZN7rocprim17ROCPRIM_400000_NS6detail30init_device_scan_by_key_kernelINS1_19lookback_scan_stateINS0_5tupleIJjbEEELb0ELb1EEENS1_16block_id_wrapperIjLb0EEEEEvT_jjPNS9_10value_typeET0_
    .private_segment_fixed_size: 0
    .sgpr_count:     20
    .sgpr_spill_count: 0
    .symbol:         _ZN7rocprim17ROCPRIM_400000_NS6detail30init_device_scan_by_key_kernelINS1_19lookback_scan_stateINS0_5tupleIJjbEEELb0ELb1EEENS1_16block_id_wrapperIjLb0EEEEEvT_jjPNS9_10value_typeET0_.kd
    .uniform_work_group_size: 1
    .uses_dynamic_stack: false
    .vgpr_count:     10
    .vgpr_spill_count: 0
    .wavefront_size: 64
  - .agpr_count:     0
    .args:
      - .offset:         0
        .size:           112
        .value_kind:     by_value
    .group_segment_fixed_size: 0
    .kernarg_segment_align: 8
    .kernarg_segment_size: 112
    .language:       OpenCL C
    .language_version:
      - 2
      - 0
    .max_flat_workgroup_size: 256
    .name:           _ZN7rocprim17ROCPRIM_400000_NS6detail17trampoline_kernelINS0_14default_configENS1_27scan_by_key_config_selectorIijEEZZNS1_16scan_by_key_implILNS1_25lookback_scan_determinismE0ELb0ES3_N6thrust23THRUST_200600_302600_NS6detail15normal_iteratorINS9_10device_ptrIiEEEENSB_INSC_IjEEEESG_jNS9_4plusIvEENS9_8equal_toIvEEjEE10hipError_tPvRmT2_T3_T4_T5_mT6_T7_P12ihipStream_tbENKUlT_T0_E_clISt17integral_constantIbLb0EES11_EEDaSW_SX_EUlSW_E_NS1_11comp_targetILNS1_3genE0ELNS1_11target_archE4294967295ELNS1_3gpuE0ELNS1_3repE0EEENS1_30default_config_static_selectorELNS0_4arch9wavefront6targetE1EEEvT1_
    .private_segment_fixed_size: 0
    .sgpr_count:     6
    .sgpr_spill_count: 0
    .symbol:         _ZN7rocprim17ROCPRIM_400000_NS6detail17trampoline_kernelINS0_14default_configENS1_27scan_by_key_config_selectorIijEEZZNS1_16scan_by_key_implILNS1_25lookback_scan_determinismE0ELb0ES3_N6thrust23THRUST_200600_302600_NS6detail15normal_iteratorINS9_10device_ptrIiEEEENSB_INSC_IjEEEESG_jNS9_4plusIvEENS9_8equal_toIvEEjEE10hipError_tPvRmT2_T3_T4_T5_mT6_T7_P12ihipStream_tbENKUlT_T0_E_clISt17integral_constantIbLb0EES11_EEDaSW_SX_EUlSW_E_NS1_11comp_targetILNS1_3genE0ELNS1_11target_archE4294967295ELNS1_3gpuE0ELNS1_3repE0EEENS1_30default_config_static_selectorELNS0_4arch9wavefront6targetE1EEEvT1_.kd
    .uniform_work_group_size: 1
    .uses_dynamic_stack: false
    .vgpr_count:     0
    .vgpr_spill_count: 0
    .wavefront_size: 64
  - .agpr_count:     0
    .args:
      - .offset:         0
        .size:           112
        .value_kind:     by_value
    .group_segment_fixed_size: 0
    .kernarg_segment_align: 8
    .kernarg_segment_size: 112
    .language:       OpenCL C
    .language_version:
      - 2
      - 0
    .max_flat_workgroup_size: 256
    .name:           _ZN7rocprim17ROCPRIM_400000_NS6detail17trampoline_kernelINS0_14default_configENS1_27scan_by_key_config_selectorIijEEZZNS1_16scan_by_key_implILNS1_25lookback_scan_determinismE0ELb0ES3_N6thrust23THRUST_200600_302600_NS6detail15normal_iteratorINS9_10device_ptrIiEEEENSB_INSC_IjEEEESG_jNS9_4plusIvEENS9_8equal_toIvEEjEE10hipError_tPvRmT2_T3_T4_T5_mT6_T7_P12ihipStream_tbENKUlT_T0_E_clISt17integral_constantIbLb0EES11_EEDaSW_SX_EUlSW_E_NS1_11comp_targetILNS1_3genE10ELNS1_11target_archE1201ELNS1_3gpuE5ELNS1_3repE0EEENS1_30default_config_static_selectorELNS0_4arch9wavefront6targetE1EEEvT1_
    .private_segment_fixed_size: 0
    .sgpr_count:     6
    .sgpr_spill_count: 0
    .symbol:         _ZN7rocprim17ROCPRIM_400000_NS6detail17trampoline_kernelINS0_14default_configENS1_27scan_by_key_config_selectorIijEEZZNS1_16scan_by_key_implILNS1_25lookback_scan_determinismE0ELb0ES3_N6thrust23THRUST_200600_302600_NS6detail15normal_iteratorINS9_10device_ptrIiEEEENSB_INSC_IjEEEESG_jNS9_4plusIvEENS9_8equal_toIvEEjEE10hipError_tPvRmT2_T3_T4_T5_mT6_T7_P12ihipStream_tbENKUlT_T0_E_clISt17integral_constantIbLb0EES11_EEDaSW_SX_EUlSW_E_NS1_11comp_targetILNS1_3genE10ELNS1_11target_archE1201ELNS1_3gpuE5ELNS1_3repE0EEENS1_30default_config_static_selectorELNS0_4arch9wavefront6targetE1EEEvT1_.kd
    .uniform_work_group_size: 1
    .uses_dynamic_stack: false
    .vgpr_count:     0
    .vgpr_spill_count: 0
    .wavefront_size: 64
  - .agpr_count:     0
    .args:
      - .offset:         0
        .size:           112
        .value_kind:     by_value
    .group_segment_fixed_size: 25600
    .kernarg_segment_align: 8
    .kernarg_segment_size: 112
    .language:       OpenCL C
    .language_version:
      - 2
      - 0
    .max_flat_workgroup_size: 256
    .name:           _ZN7rocprim17ROCPRIM_400000_NS6detail17trampoline_kernelINS0_14default_configENS1_27scan_by_key_config_selectorIijEEZZNS1_16scan_by_key_implILNS1_25lookback_scan_determinismE0ELb0ES3_N6thrust23THRUST_200600_302600_NS6detail15normal_iteratorINS9_10device_ptrIiEEEENSB_INSC_IjEEEESG_jNS9_4plusIvEENS9_8equal_toIvEEjEE10hipError_tPvRmT2_T3_T4_T5_mT6_T7_P12ihipStream_tbENKUlT_T0_E_clISt17integral_constantIbLb0EES11_EEDaSW_SX_EUlSW_E_NS1_11comp_targetILNS1_3genE5ELNS1_11target_archE942ELNS1_3gpuE9ELNS1_3repE0EEENS1_30default_config_static_selectorELNS0_4arch9wavefront6targetE1EEEvT1_
    .private_segment_fixed_size: 0
    .sgpr_count:     88
    .sgpr_spill_count: 0
    .symbol:         _ZN7rocprim17ROCPRIM_400000_NS6detail17trampoline_kernelINS0_14default_configENS1_27scan_by_key_config_selectorIijEEZZNS1_16scan_by_key_implILNS1_25lookback_scan_determinismE0ELb0ES3_N6thrust23THRUST_200600_302600_NS6detail15normal_iteratorINS9_10device_ptrIiEEEENSB_INSC_IjEEEESG_jNS9_4plusIvEENS9_8equal_toIvEEjEE10hipError_tPvRmT2_T3_T4_T5_mT6_T7_P12ihipStream_tbENKUlT_T0_E_clISt17integral_constantIbLb0EES11_EEDaSW_SX_EUlSW_E_NS1_11comp_targetILNS1_3genE5ELNS1_11target_archE942ELNS1_3gpuE9ELNS1_3repE0EEENS1_30default_config_static_selectorELNS0_4arch9wavefront6targetE1EEEvT1_.kd
    .uniform_work_group_size: 1
    .uses_dynamic_stack: false
    .vgpr_count:     81
    .vgpr_spill_count: 0
    .wavefront_size: 64
  - .agpr_count:     0
    .args:
      - .offset:         0
        .size:           112
        .value_kind:     by_value
    .group_segment_fixed_size: 0
    .kernarg_segment_align: 8
    .kernarg_segment_size: 112
    .language:       OpenCL C
    .language_version:
      - 2
      - 0
    .max_flat_workgroup_size: 256
    .name:           _ZN7rocprim17ROCPRIM_400000_NS6detail17trampoline_kernelINS0_14default_configENS1_27scan_by_key_config_selectorIijEEZZNS1_16scan_by_key_implILNS1_25lookback_scan_determinismE0ELb0ES3_N6thrust23THRUST_200600_302600_NS6detail15normal_iteratorINS9_10device_ptrIiEEEENSB_INSC_IjEEEESG_jNS9_4plusIvEENS9_8equal_toIvEEjEE10hipError_tPvRmT2_T3_T4_T5_mT6_T7_P12ihipStream_tbENKUlT_T0_E_clISt17integral_constantIbLb0EES11_EEDaSW_SX_EUlSW_E_NS1_11comp_targetILNS1_3genE4ELNS1_11target_archE910ELNS1_3gpuE8ELNS1_3repE0EEENS1_30default_config_static_selectorELNS0_4arch9wavefront6targetE1EEEvT1_
    .private_segment_fixed_size: 0
    .sgpr_count:     6
    .sgpr_spill_count: 0
    .symbol:         _ZN7rocprim17ROCPRIM_400000_NS6detail17trampoline_kernelINS0_14default_configENS1_27scan_by_key_config_selectorIijEEZZNS1_16scan_by_key_implILNS1_25lookback_scan_determinismE0ELb0ES3_N6thrust23THRUST_200600_302600_NS6detail15normal_iteratorINS9_10device_ptrIiEEEENSB_INSC_IjEEEESG_jNS9_4plusIvEENS9_8equal_toIvEEjEE10hipError_tPvRmT2_T3_T4_T5_mT6_T7_P12ihipStream_tbENKUlT_T0_E_clISt17integral_constantIbLb0EES11_EEDaSW_SX_EUlSW_E_NS1_11comp_targetILNS1_3genE4ELNS1_11target_archE910ELNS1_3gpuE8ELNS1_3repE0EEENS1_30default_config_static_selectorELNS0_4arch9wavefront6targetE1EEEvT1_.kd
    .uniform_work_group_size: 1
    .uses_dynamic_stack: false
    .vgpr_count:     0
    .vgpr_spill_count: 0
    .wavefront_size: 64
  - .agpr_count:     0
    .args:
      - .offset:         0
        .size:           112
        .value_kind:     by_value
    .group_segment_fixed_size: 0
    .kernarg_segment_align: 8
    .kernarg_segment_size: 112
    .language:       OpenCL C
    .language_version:
      - 2
      - 0
    .max_flat_workgroup_size: 256
    .name:           _ZN7rocprim17ROCPRIM_400000_NS6detail17trampoline_kernelINS0_14default_configENS1_27scan_by_key_config_selectorIijEEZZNS1_16scan_by_key_implILNS1_25lookback_scan_determinismE0ELb0ES3_N6thrust23THRUST_200600_302600_NS6detail15normal_iteratorINS9_10device_ptrIiEEEENSB_INSC_IjEEEESG_jNS9_4plusIvEENS9_8equal_toIvEEjEE10hipError_tPvRmT2_T3_T4_T5_mT6_T7_P12ihipStream_tbENKUlT_T0_E_clISt17integral_constantIbLb0EES11_EEDaSW_SX_EUlSW_E_NS1_11comp_targetILNS1_3genE3ELNS1_11target_archE908ELNS1_3gpuE7ELNS1_3repE0EEENS1_30default_config_static_selectorELNS0_4arch9wavefront6targetE1EEEvT1_
    .private_segment_fixed_size: 0
    .sgpr_count:     6
    .sgpr_spill_count: 0
    .symbol:         _ZN7rocprim17ROCPRIM_400000_NS6detail17trampoline_kernelINS0_14default_configENS1_27scan_by_key_config_selectorIijEEZZNS1_16scan_by_key_implILNS1_25lookback_scan_determinismE0ELb0ES3_N6thrust23THRUST_200600_302600_NS6detail15normal_iteratorINS9_10device_ptrIiEEEENSB_INSC_IjEEEESG_jNS9_4plusIvEENS9_8equal_toIvEEjEE10hipError_tPvRmT2_T3_T4_T5_mT6_T7_P12ihipStream_tbENKUlT_T0_E_clISt17integral_constantIbLb0EES11_EEDaSW_SX_EUlSW_E_NS1_11comp_targetILNS1_3genE3ELNS1_11target_archE908ELNS1_3gpuE7ELNS1_3repE0EEENS1_30default_config_static_selectorELNS0_4arch9wavefront6targetE1EEEvT1_.kd
    .uniform_work_group_size: 1
    .uses_dynamic_stack: false
    .vgpr_count:     0
    .vgpr_spill_count: 0
    .wavefront_size: 64
  - .agpr_count:     0
    .args:
      - .offset:         0
        .size:           112
        .value_kind:     by_value
    .group_segment_fixed_size: 0
    .kernarg_segment_align: 8
    .kernarg_segment_size: 112
    .language:       OpenCL C
    .language_version:
      - 2
      - 0
    .max_flat_workgroup_size: 256
    .name:           _ZN7rocprim17ROCPRIM_400000_NS6detail17trampoline_kernelINS0_14default_configENS1_27scan_by_key_config_selectorIijEEZZNS1_16scan_by_key_implILNS1_25lookback_scan_determinismE0ELb0ES3_N6thrust23THRUST_200600_302600_NS6detail15normal_iteratorINS9_10device_ptrIiEEEENSB_INSC_IjEEEESG_jNS9_4plusIvEENS9_8equal_toIvEEjEE10hipError_tPvRmT2_T3_T4_T5_mT6_T7_P12ihipStream_tbENKUlT_T0_E_clISt17integral_constantIbLb0EES11_EEDaSW_SX_EUlSW_E_NS1_11comp_targetILNS1_3genE2ELNS1_11target_archE906ELNS1_3gpuE6ELNS1_3repE0EEENS1_30default_config_static_selectorELNS0_4arch9wavefront6targetE1EEEvT1_
    .private_segment_fixed_size: 0
    .sgpr_count:     6
    .sgpr_spill_count: 0
    .symbol:         _ZN7rocprim17ROCPRIM_400000_NS6detail17trampoline_kernelINS0_14default_configENS1_27scan_by_key_config_selectorIijEEZZNS1_16scan_by_key_implILNS1_25lookback_scan_determinismE0ELb0ES3_N6thrust23THRUST_200600_302600_NS6detail15normal_iteratorINS9_10device_ptrIiEEEENSB_INSC_IjEEEESG_jNS9_4plusIvEENS9_8equal_toIvEEjEE10hipError_tPvRmT2_T3_T4_T5_mT6_T7_P12ihipStream_tbENKUlT_T0_E_clISt17integral_constantIbLb0EES11_EEDaSW_SX_EUlSW_E_NS1_11comp_targetILNS1_3genE2ELNS1_11target_archE906ELNS1_3gpuE6ELNS1_3repE0EEENS1_30default_config_static_selectorELNS0_4arch9wavefront6targetE1EEEvT1_.kd
    .uniform_work_group_size: 1
    .uses_dynamic_stack: false
    .vgpr_count:     0
    .vgpr_spill_count: 0
    .wavefront_size: 64
  - .agpr_count:     0
    .args:
      - .offset:         0
        .size:           112
        .value_kind:     by_value
    .group_segment_fixed_size: 0
    .kernarg_segment_align: 8
    .kernarg_segment_size: 112
    .language:       OpenCL C
    .language_version:
      - 2
      - 0
    .max_flat_workgroup_size: 256
    .name:           _ZN7rocprim17ROCPRIM_400000_NS6detail17trampoline_kernelINS0_14default_configENS1_27scan_by_key_config_selectorIijEEZZNS1_16scan_by_key_implILNS1_25lookback_scan_determinismE0ELb0ES3_N6thrust23THRUST_200600_302600_NS6detail15normal_iteratorINS9_10device_ptrIiEEEENSB_INSC_IjEEEESG_jNS9_4plusIvEENS9_8equal_toIvEEjEE10hipError_tPvRmT2_T3_T4_T5_mT6_T7_P12ihipStream_tbENKUlT_T0_E_clISt17integral_constantIbLb0EES11_EEDaSW_SX_EUlSW_E_NS1_11comp_targetILNS1_3genE10ELNS1_11target_archE1200ELNS1_3gpuE4ELNS1_3repE0EEENS1_30default_config_static_selectorELNS0_4arch9wavefront6targetE1EEEvT1_
    .private_segment_fixed_size: 0
    .sgpr_count:     6
    .sgpr_spill_count: 0
    .symbol:         _ZN7rocprim17ROCPRIM_400000_NS6detail17trampoline_kernelINS0_14default_configENS1_27scan_by_key_config_selectorIijEEZZNS1_16scan_by_key_implILNS1_25lookback_scan_determinismE0ELb0ES3_N6thrust23THRUST_200600_302600_NS6detail15normal_iteratorINS9_10device_ptrIiEEEENSB_INSC_IjEEEESG_jNS9_4plusIvEENS9_8equal_toIvEEjEE10hipError_tPvRmT2_T3_T4_T5_mT6_T7_P12ihipStream_tbENKUlT_T0_E_clISt17integral_constantIbLb0EES11_EEDaSW_SX_EUlSW_E_NS1_11comp_targetILNS1_3genE10ELNS1_11target_archE1200ELNS1_3gpuE4ELNS1_3repE0EEENS1_30default_config_static_selectorELNS0_4arch9wavefront6targetE1EEEvT1_.kd
    .uniform_work_group_size: 1
    .uses_dynamic_stack: false
    .vgpr_count:     0
    .vgpr_spill_count: 0
    .wavefront_size: 64
  - .agpr_count:     0
    .args:
      - .offset:         0
        .size:           112
        .value_kind:     by_value
    .group_segment_fixed_size: 0
    .kernarg_segment_align: 8
    .kernarg_segment_size: 112
    .language:       OpenCL C
    .language_version:
      - 2
      - 0
    .max_flat_workgroup_size: 256
    .name:           _ZN7rocprim17ROCPRIM_400000_NS6detail17trampoline_kernelINS0_14default_configENS1_27scan_by_key_config_selectorIijEEZZNS1_16scan_by_key_implILNS1_25lookback_scan_determinismE0ELb0ES3_N6thrust23THRUST_200600_302600_NS6detail15normal_iteratorINS9_10device_ptrIiEEEENSB_INSC_IjEEEESG_jNS9_4plusIvEENS9_8equal_toIvEEjEE10hipError_tPvRmT2_T3_T4_T5_mT6_T7_P12ihipStream_tbENKUlT_T0_E_clISt17integral_constantIbLb0EES11_EEDaSW_SX_EUlSW_E_NS1_11comp_targetILNS1_3genE9ELNS1_11target_archE1100ELNS1_3gpuE3ELNS1_3repE0EEENS1_30default_config_static_selectorELNS0_4arch9wavefront6targetE1EEEvT1_
    .private_segment_fixed_size: 0
    .sgpr_count:     6
    .sgpr_spill_count: 0
    .symbol:         _ZN7rocprim17ROCPRIM_400000_NS6detail17trampoline_kernelINS0_14default_configENS1_27scan_by_key_config_selectorIijEEZZNS1_16scan_by_key_implILNS1_25lookback_scan_determinismE0ELb0ES3_N6thrust23THRUST_200600_302600_NS6detail15normal_iteratorINS9_10device_ptrIiEEEENSB_INSC_IjEEEESG_jNS9_4plusIvEENS9_8equal_toIvEEjEE10hipError_tPvRmT2_T3_T4_T5_mT6_T7_P12ihipStream_tbENKUlT_T0_E_clISt17integral_constantIbLb0EES11_EEDaSW_SX_EUlSW_E_NS1_11comp_targetILNS1_3genE9ELNS1_11target_archE1100ELNS1_3gpuE3ELNS1_3repE0EEENS1_30default_config_static_selectorELNS0_4arch9wavefront6targetE1EEEvT1_.kd
    .uniform_work_group_size: 1
    .uses_dynamic_stack: false
    .vgpr_count:     0
    .vgpr_spill_count: 0
    .wavefront_size: 64
  - .agpr_count:     0
    .args:
      - .offset:         0
        .size:           112
        .value_kind:     by_value
    .group_segment_fixed_size: 0
    .kernarg_segment_align: 8
    .kernarg_segment_size: 112
    .language:       OpenCL C
    .language_version:
      - 2
      - 0
    .max_flat_workgroup_size: 256
    .name:           _ZN7rocprim17ROCPRIM_400000_NS6detail17trampoline_kernelINS0_14default_configENS1_27scan_by_key_config_selectorIijEEZZNS1_16scan_by_key_implILNS1_25lookback_scan_determinismE0ELb0ES3_N6thrust23THRUST_200600_302600_NS6detail15normal_iteratorINS9_10device_ptrIiEEEENSB_INSC_IjEEEESG_jNS9_4plusIvEENS9_8equal_toIvEEjEE10hipError_tPvRmT2_T3_T4_T5_mT6_T7_P12ihipStream_tbENKUlT_T0_E_clISt17integral_constantIbLb0EES11_EEDaSW_SX_EUlSW_E_NS1_11comp_targetILNS1_3genE8ELNS1_11target_archE1030ELNS1_3gpuE2ELNS1_3repE0EEENS1_30default_config_static_selectorELNS0_4arch9wavefront6targetE1EEEvT1_
    .private_segment_fixed_size: 0
    .sgpr_count:     6
    .sgpr_spill_count: 0
    .symbol:         _ZN7rocprim17ROCPRIM_400000_NS6detail17trampoline_kernelINS0_14default_configENS1_27scan_by_key_config_selectorIijEEZZNS1_16scan_by_key_implILNS1_25lookback_scan_determinismE0ELb0ES3_N6thrust23THRUST_200600_302600_NS6detail15normal_iteratorINS9_10device_ptrIiEEEENSB_INSC_IjEEEESG_jNS9_4plusIvEENS9_8equal_toIvEEjEE10hipError_tPvRmT2_T3_T4_T5_mT6_T7_P12ihipStream_tbENKUlT_T0_E_clISt17integral_constantIbLb0EES11_EEDaSW_SX_EUlSW_E_NS1_11comp_targetILNS1_3genE8ELNS1_11target_archE1030ELNS1_3gpuE2ELNS1_3repE0EEENS1_30default_config_static_selectorELNS0_4arch9wavefront6targetE1EEEvT1_.kd
    .uniform_work_group_size: 1
    .uses_dynamic_stack: false
    .vgpr_count:     0
    .vgpr_spill_count: 0
    .wavefront_size: 64
  - .agpr_count:     0
    .args:
      - .address_space:  global
        .offset:         0
        .size:           8
        .value_kind:     global_buffer
      - .offset:         8
        .size:           4
        .value_kind:     by_value
      - .offset:         12
        .size:           4
        .value_kind:     by_value
      - .address_space:  global
        .offset:         16
        .size:           8
        .value_kind:     global_buffer
      - .address_space:  global
        .offset:         24
        .size:           8
        .value_kind:     global_buffer
      - .actual_access:  write_only
        .address_space:  global
        .offset:         32
        .size:           8
        .value_kind:     global_buffer
      - .offset:         40
        .size:           8
        .value_kind:     by_value
      - .offset:         48
        .size:           4
        .value_kind:     by_value
      - .address_space:  global
        .offset:         56
        .size:           8
        .value_kind:     global_buffer
      - .offset:         64
        .size:           4
        .value_kind:     hidden_block_count_x
      - .offset:         68
        .size:           4
        .value_kind:     hidden_block_count_y
      - .offset:         72
        .size:           4
        .value_kind:     hidden_block_count_z
      - .offset:         76
        .size:           2
        .value_kind:     hidden_group_size_x
      - .offset:         78
        .size:           2
        .value_kind:     hidden_group_size_y
      - .offset:         80
        .size:           2
        .value_kind:     hidden_group_size_z
      - .offset:         82
        .size:           2
        .value_kind:     hidden_remainder_x
      - .offset:         84
        .size:           2
        .value_kind:     hidden_remainder_y
      - .offset:         86
        .size:           2
        .value_kind:     hidden_remainder_z
      - .offset:         104
        .size:           8
        .value_kind:     hidden_global_offset_x
      - .offset:         112
        .size:           8
        .value_kind:     hidden_global_offset_y
      - .offset:         120
        .size:           8
        .value_kind:     hidden_global_offset_z
      - .offset:         128
        .size:           2
        .value_kind:     hidden_grid_dims
    .group_segment_fixed_size: 0
    .kernarg_segment_align: 8
    .kernarg_segment_size: 320
    .language:       OpenCL C
    .language_version:
      - 2
      - 0
    .max_flat_workgroup_size: 256
    .name:           _ZN7rocprim17ROCPRIM_400000_NS6detail30init_device_scan_by_key_kernelINS1_19lookback_scan_stateINS0_5tupleIJjbEEELb1ELb1EEEN6thrust23THRUST_200600_302600_NS6detail15normal_iteratorINS8_10device_ptrIiEEEEjNS1_16block_id_wrapperIjLb1EEEEEvT_jjPNSG_10value_typeET0_PNSt15iterator_traitsISJ_E10value_typeEmT1_T2_
    .private_segment_fixed_size: 0
    .sgpr_count:     26
    .sgpr_spill_count: 0
    .symbol:         _ZN7rocprim17ROCPRIM_400000_NS6detail30init_device_scan_by_key_kernelINS1_19lookback_scan_stateINS0_5tupleIJjbEEELb1ELb1EEEN6thrust23THRUST_200600_302600_NS6detail15normal_iteratorINS8_10device_ptrIiEEEEjNS1_16block_id_wrapperIjLb1EEEEEvT_jjPNSG_10value_typeET0_PNSt15iterator_traitsISJ_E10value_typeEmT1_T2_.kd
    .uniform_work_group_size: 1
    .uses_dynamic_stack: false
    .vgpr_count:     10
    .vgpr_spill_count: 0
    .wavefront_size: 64
  - .agpr_count:     0
    .args:
      - .address_space:  global
        .offset:         0
        .size:           8
        .value_kind:     global_buffer
      - .offset:         8
        .size:           4
        .value_kind:     by_value
      - .offset:         12
        .size:           4
        .value_kind:     by_value
      - .address_space:  global
        .offset:         16
        .size:           8
        .value_kind:     global_buffer
      - .address_space:  global
        .offset:         24
        .size:           8
        .value_kind:     global_buffer
      - .offset:         32
        .size:           4
        .value_kind:     hidden_block_count_x
      - .offset:         36
        .size:           4
        .value_kind:     hidden_block_count_y
      - .offset:         40
        .size:           4
        .value_kind:     hidden_block_count_z
      - .offset:         44
        .size:           2
        .value_kind:     hidden_group_size_x
      - .offset:         46
        .size:           2
        .value_kind:     hidden_group_size_y
      - .offset:         48
        .size:           2
        .value_kind:     hidden_group_size_z
      - .offset:         50
        .size:           2
        .value_kind:     hidden_remainder_x
      - .offset:         52
        .size:           2
        .value_kind:     hidden_remainder_y
      - .offset:         54
        .size:           2
        .value_kind:     hidden_remainder_z
      - .offset:         72
        .size:           8
        .value_kind:     hidden_global_offset_x
      - .offset:         80
        .size:           8
        .value_kind:     hidden_global_offset_y
      - .offset:         88
        .size:           8
        .value_kind:     hidden_global_offset_z
      - .offset:         96
        .size:           2
        .value_kind:     hidden_grid_dims
    .group_segment_fixed_size: 0
    .kernarg_segment_align: 8
    .kernarg_segment_size: 288
    .language:       OpenCL C
    .language_version:
      - 2
      - 0
    .max_flat_workgroup_size: 256
    .name:           _ZN7rocprim17ROCPRIM_400000_NS6detail30init_device_scan_by_key_kernelINS1_19lookback_scan_stateINS0_5tupleIJjbEEELb1ELb1EEENS1_16block_id_wrapperIjLb1EEEEEvT_jjPNS9_10value_typeET0_
    .private_segment_fixed_size: 0
    .sgpr_count:     22
    .sgpr_spill_count: 0
    .symbol:         _ZN7rocprim17ROCPRIM_400000_NS6detail30init_device_scan_by_key_kernelINS1_19lookback_scan_stateINS0_5tupleIJjbEEELb1ELb1EEENS1_16block_id_wrapperIjLb1EEEEEvT_jjPNS9_10value_typeET0_.kd
    .uniform_work_group_size: 1
    .uses_dynamic_stack: false
    .vgpr_count:     10
    .vgpr_spill_count: 0
    .wavefront_size: 64
  - .agpr_count:     0
    .args:
      - .offset:         0
        .size:           112
        .value_kind:     by_value
    .group_segment_fixed_size: 0
    .kernarg_segment_align: 8
    .kernarg_segment_size: 112
    .language:       OpenCL C
    .language_version:
      - 2
      - 0
    .max_flat_workgroup_size: 256
    .name:           _ZN7rocprim17ROCPRIM_400000_NS6detail17trampoline_kernelINS0_14default_configENS1_27scan_by_key_config_selectorIijEEZZNS1_16scan_by_key_implILNS1_25lookback_scan_determinismE0ELb0ES3_N6thrust23THRUST_200600_302600_NS6detail15normal_iteratorINS9_10device_ptrIiEEEENSB_INSC_IjEEEESG_jNS9_4plusIvEENS9_8equal_toIvEEjEE10hipError_tPvRmT2_T3_T4_T5_mT6_T7_P12ihipStream_tbENKUlT_T0_E_clISt17integral_constantIbLb1EES11_EEDaSW_SX_EUlSW_E_NS1_11comp_targetILNS1_3genE0ELNS1_11target_archE4294967295ELNS1_3gpuE0ELNS1_3repE0EEENS1_30default_config_static_selectorELNS0_4arch9wavefront6targetE1EEEvT1_
    .private_segment_fixed_size: 0
    .sgpr_count:     6
    .sgpr_spill_count: 0
    .symbol:         _ZN7rocprim17ROCPRIM_400000_NS6detail17trampoline_kernelINS0_14default_configENS1_27scan_by_key_config_selectorIijEEZZNS1_16scan_by_key_implILNS1_25lookback_scan_determinismE0ELb0ES3_N6thrust23THRUST_200600_302600_NS6detail15normal_iteratorINS9_10device_ptrIiEEEENSB_INSC_IjEEEESG_jNS9_4plusIvEENS9_8equal_toIvEEjEE10hipError_tPvRmT2_T3_T4_T5_mT6_T7_P12ihipStream_tbENKUlT_T0_E_clISt17integral_constantIbLb1EES11_EEDaSW_SX_EUlSW_E_NS1_11comp_targetILNS1_3genE0ELNS1_11target_archE4294967295ELNS1_3gpuE0ELNS1_3repE0EEENS1_30default_config_static_selectorELNS0_4arch9wavefront6targetE1EEEvT1_.kd
    .uniform_work_group_size: 1
    .uses_dynamic_stack: false
    .vgpr_count:     0
    .vgpr_spill_count: 0
    .wavefront_size: 64
  - .agpr_count:     0
    .args:
      - .offset:         0
        .size:           112
        .value_kind:     by_value
    .group_segment_fixed_size: 0
    .kernarg_segment_align: 8
    .kernarg_segment_size: 112
    .language:       OpenCL C
    .language_version:
      - 2
      - 0
    .max_flat_workgroup_size: 256
    .name:           _ZN7rocprim17ROCPRIM_400000_NS6detail17trampoline_kernelINS0_14default_configENS1_27scan_by_key_config_selectorIijEEZZNS1_16scan_by_key_implILNS1_25lookback_scan_determinismE0ELb0ES3_N6thrust23THRUST_200600_302600_NS6detail15normal_iteratorINS9_10device_ptrIiEEEENSB_INSC_IjEEEESG_jNS9_4plusIvEENS9_8equal_toIvEEjEE10hipError_tPvRmT2_T3_T4_T5_mT6_T7_P12ihipStream_tbENKUlT_T0_E_clISt17integral_constantIbLb1EES11_EEDaSW_SX_EUlSW_E_NS1_11comp_targetILNS1_3genE10ELNS1_11target_archE1201ELNS1_3gpuE5ELNS1_3repE0EEENS1_30default_config_static_selectorELNS0_4arch9wavefront6targetE1EEEvT1_
    .private_segment_fixed_size: 0
    .sgpr_count:     6
    .sgpr_spill_count: 0
    .symbol:         _ZN7rocprim17ROCPRIM_400000_NS6detail17trampoline_kernelINS0_14default_configENS1_27scan_by_key_config_selectorIijEEZZNS1_16scan_by_key_implILNS1_25lookback_scan_determinismE0ELb0ES3_N6thrust23THRUST_200600_302600_NS6detail15normal_iteratorINS9_10device_ptrIiEEEENSB_INSC_IjEEEESG_jNS9_4plusIvEENS9_8equal_toIvEEjEE10hipError_tPvRmT2_T3_T4_T5_mT6_T7_P12ihipStream_tbENKUlT_T0_E_clISt17integral_constantIbLb1EES11_EEDaSW_SX_EUlSW_E_NS1_11comp_targetILNS1_3genE10ELNS1_11target_archE1201ELNS1_3gpuE5ELNS1_3repE0EEENS1_30default_config_static_selectorELNS0_4arch9wavefront6targetE1EEEvT1_.kd
    .uniform_work_group_size: 1
    .uses_dynamic_stack: false
    .vgpr_count:     0
    .vgpr_spill_count: 0
    .wavefront_size: 64
  - .agpr_count:     0
    .args:
      - .offset:         0
        .size:           112
        .value_kind:     by_value
    .group_segment_fixed_size: 25600
    .kernarg_segment_align: 8
    .kernarg_segment_size: 112
    .language:       OpenCL C
    .language_version:
      - 2
      - 0
    .max_flat_workgroup_size: 256
    .name:           _ZN7rocprim17ROCPRIM_400000_NS6detail17trampoline_kernelINS0_14default_configENS1_27scan_by_key_config_selectorIijEEZZNS1_16scan_by_key_implILNS1_25lookback_scan_determinismE0ELb0ES3_N6thrust23THRUST_200600_302600_NS6detail15normal_iteratorINS9_10device_ptrIiEEEENSB_INSC_IjEEEESG_jNS9_4plusIvEENS9_8equal_toIvEEjEE10hipError_tPvRmT2_T3_T4_T5_mT6_T7_P12ihipStream_tbENKUlT_T0_E_clISt17integral_constantIbLb1EES11_EEDaSW_SX_EUlSW_E_NS1_11comp_targetILNS1_3genE5ELNS1_11target_archE942ELNS1_3gpuE9ELNS1_3repE0EEENS1_30default_config_static_selectorELNS0_4arch9wavefront6targetE1EEEvT1_
    .private_segment_fixed_size: 0
    .sgpr_count:     91
    .sgpr_spill_count: 0
    .symbol:         _ZN7rocprim17ROCPRIM_400000_NS6detail17trampoline_kernelINS0_14default_configENS1_27scan_by_key_config_selectorIijEEZZNS1_16scan_by_key_implILNS1_25lookback_scan_determinismE0ELb0ES3_N6thrust23THRUST_200600_302600_NS6detail15normal_iteratorINS9_10device_ptrIiEEEENSB_INSC_IjEEEESG_jNS9_4plusIvEENS9_8equal_toIvEEjEE10hipError_tPvRmT2_T3_T4_T5_mT6_T7_P12ihipStream_tbENKUlT_T0_E_clISt17integral_constantIbLb1EES11_EEDaSW_SX_EUlSW_E_NS1_11comp_targetILNS1_3genE5ELNS1_11target_archE942ELNS1_3gpuE9ELNS1_3repE0EEENS1_30default_config_static_selectorELNS0_4arch9wavefront6targetE1EEEvT1_.kd
    .uniform_work_group_size: 1
    .uses_dynamic_stack: false
    .vgpr_count:     81
    .vgpr_spill_count: 0
    .wavefront_size: 64
  - .agpr_count:     0
    .args:
      - .offset:         0
        .size:           112
        .value_kind:     by_value
    .group_segment_fixed_size: 0
    .kernarg_segment_align: 8
    .kernarg_segment_size: 112
    .language:       OpenCL C
    .language_version:
      - 2
      - 0
    .max_flat_workgroup_size: 256
    .name:           _ZN7rocprim17ROCPRIM_400000_NS6detail17trampoline_kernelINS0_14default_configENS1_27scan_by_key_config_selectorIijEEZZNS1_16scan_by_key_implILNS1_25lookback_scan_determinismE0ELb0ES3_N6thrust23THRUST_200600_302600_NS6detail15normal_iteratorINS9_10device_ptrIiEEEENSB_INSC_IjEEEESG_jNS9_4plusIvEENS9_8equal_toIvEEjEE10hipError_tPvRmT2_T3_T4_T5_mT6_T7_P12ihipStream_tbENKUlT_T0_E_clISt17integral_constantIbLb1EES11_EEDaSW_SX_EUlSW_E_NS1_11comp_targetILNS1_3genE4ELNS1_11target_archE910ELNS1_3gpuE8ELNS1_3repE0EEENS1_30default_config_static_selectorELNS0_4arch9wavefront6targetE1EEEvT1_
    .private_segment_fixed_size: 0
    .sgpr_count:     6
    .sgpr_spill_count: 0
    .symbol:         _ZN7rocprim17ROCPRIM_400000_NS6detail17trampoline_kernelINS0_14default_configENS1_27scan_by_key_config_selectorIijEEZZNS1_16scan_by_key_implILNS1_25lookback_scan_determinismE0ELb0ES3_N6thrust23THRUST_200600_302600_NS6detail15normal_iteratorINS9_10device_ptrIiEEEENSB_INSC_IjEEEESG_jNS9_4plusIvEENS9_8equal_toIvEEjEE10hipError_tPvRmT2_T3_T4_T5_mT6_T7_P12ihipStream_tbENKUlT_T0_E_clISt17integral_constantIbLb1EES11_EEDaSW_SX_EUlSW_E_NS1_11comp_targetILNS1_3genE4ELNS1_11target_archE910ELNS1_3gpuE8ELNS1_3repE0EEENS1_30default_config_static_selectorELNS0_4arch9wavefront6targetE1EEEvT1_.kd
    .uniform_work_group_size: 1
    .uses_dynamic_stack: false
    .vgpr_count:     0
    .vgpr_spill_count: 0
    .wavefront_size: 64
  - .agpr_count:     0
    .args:
      - .offset:         0
        .size:           112
        .value_kind:     by_value
    .group_segment_fixed_size: 0
    .kernarg_segment_align: 8
    .kernarg_segment_size: 112
    .language:       OpenCL C
    .language_version:
      - 2
      - 0
    .max_flat_workgroup_size: 256
    .name:           _ZN7rocprim17ROCPRIM_400000_NS6detail17trampoline_kernelINS0_14default_configENS1_27scan_by_key_config_selectorIijEEZZNS1_16scan_by_key_implILNS1_25lookback_scan_determinismE0ELb0ES3_N6thrust23THRUST_200600_302600_NS6detail15normal_iteratorINS9_10device_ptrIiEEEENSB_INSC_IjEEEESG_jNS9_4plusIvEENS9_8equal_toIvEEjEE10hipError_tPvRmT2_T3_T4_T5_mT6_T7_P12ihipStream_tbENKUlT_T0_E_clISt17integral_constantIbLb1EES11_EEDaSW_SX_EUlSW_E_NS1_11comp_targetILNS1_3genE3ELNS1_11target_archE908ELNS1_3gpuE7ELNS1_3repE0EEENS1_30default_config_static_selectorELNS0_4arch9wavefront6targetE1EEEvT1_
    .private_segment_fixed_size: 0
    .sgpr_count:     6
    .sgpr_spill_count: 0
    .symbol:         _ZN7rocprim17ROCPRIM_400000_NS6detail17trampoline_kernelINS0_14default_configENS1_27scan_by_key_config_selectorIijEEZZNS1_16scan_by_key_implILNS1_25lookback_scan_determinismE0ELb0ES3_N6thrust23THRUST_200600_302600_NS6detail15normal_iteratorINS9_10device_ptrIiEEEENSB_INSC_IjEEEESG_jNS9_4plusIvEENS9_8equal_toIvEEjEE10hipError_tPvRmT2_T3_T4_T5_mT6_T7_P12ihipStream_tbENKUlT_T0_E_clISt17integral_constantIbLb1EES11_EEDaSW_SX_EUlSW_E_NS1_11comp_targetILNS1_3genE3ELNS1_11target_archE908ELNS1_3gpuE7ELNS1_3repE0EEENS1_30default_config_static_selectorELNS0_4arch9wavefront6targetE1EEEvT1_.kd
    .uniform_work_group_size: 1
    .uses_dynamic_stack: false
    .vgpr_count:     0
    .vgpr_spill_count: 0
    .wavefront_size: 64
  - .agpr_count:     0
    .args:
      - .offset:         0
        .size:           112
        .value_kind:     by_value
    .group_segment_fixed_size: 0
    .kernarg_segment_align: 8
    .kernarg_segment_size: 112
    .language:       OpenCL C
    .language_version:
      - 2
      - 0
    .max_flat_workgroup_size: 256
    .name:           _ZN7rocprim17ROCPRIM_400000_NS6detail17trampoline_kernelINS0_14default_configENS1_27scan_by_key_config_selectorIijEEZZNS1_16scan_by_key_implILNS1_25lookback_scan_determinismE0ELb0ES3_N6thrust23THRUST_200600_302600_NS6detail15normal_iteratorINS9_10device_ptrIiEEEENSB_INSC_IjEEEESG_jNS9_4plusIvEENS9_8equal_toIvEEjEE10hipError_tPvRmT2_T3_T4_T5_mT6_T7_P12ihipStream_tbENKUlT_T0_E_clISt17integral_constantIbLb1EES11_EEDaSW_SX_EUlSW_E_NS1_11comp_targetILNS1_3genE2ELNS1_11target_archE906ELNS1_3gpuE6ELNS1_3repE0EEENS1_30default_config_static_selectorELNS0_4arch9wavefront6targetE1EEEvT1_
    .private_segment_fixed_size: 0
    .sgpr_count:     6
    .sgpr_spill_count: 0
    .symbol:         _ZN7rocprim17ROCPRIM_400000_NS6detail17trampoline_kernelINS0_14default_configENS1_27scan_by_key_config_selectorIijEEZZNS1_16scan_by_key_implILNS1_25lookback_scan_determinismE0ELb0ES3_N6thrust23THRUST_200600_302600_NS6detail15normal_iteratorINS9_10device_ptrIiEEEENSB_INSC_IjEEEESG_jNS9_4plusIvEENS9_8equal_toIvEEjEE10hipError_tPvRmT2_T3_T4_T5_mT6_T7_P12ihipStream_tbENKUlT_T0_E_clISt17integral_constantIbLb1EES11_EEDaSW_SX_EUlSW_E_NS1_11comp_targetILNS1_3genE2ELNS1_11target_archE906ELNS1_3gpuE6ELNS1_3repE0EEENS1_30default_config_static_selectorELNS0_4arch9wavefront6targetE1EEEvT1_.kd
    .uniform_work_group_size: 1
    .uses_dynamic_stack: false
    .vgpr_count:     0
    .vgpr_spill_count: 0
    .wavefront_size: 64
  - .agpr_count:     0
    .args:
      - .offset:         0
        .size:           112
        .value_kind:     by_value
    .group_segment_fixed_size: 0
    .kernarg_segment_align: 8
    .kernarg_segment_size: 112
    .language:       OpenCL C
    .language_version:
      - 2
      - 0
    .max_flat_workgroup_size: 256
    .name:           _ZN7rocprim17ROCPRIM_400000_NS6detail17trampoline_kernelINS0_14default_configENS1_27scan_by_key_config_selectorIijEEZZNS1_16scan_by_key_implILNS1_25lookback_scan_determinismE0ELb0ES3_N6thrust23THRUST_200600_302600_NS6detail15normal_iteratorINS9_10device_ptrIiEEEENSB_INSC_IjEEEESG_jNS9_4plusIvEENS9_8equal_toIvEEjEE10hipError_tPvRmT2_T3_T4_T5_mT6_T7_P12ihipStream_tbENKUlT_T0_E_clISt17integral_constantIbLb1EES11_EEDaSW_SX_EUlSW_E_NS1_11comp_targetILNS1_3genE10ELNS1_11target_archE1200ELNS1_3gpuE4ELNS1_3repE0EEENS1_30default_config_static_selectorELNS0_4arch9wavefront6targetE1EEEvT1_
    .private_segment_fixed_size: 0
    .sgpr_count:     6
    .sgpr_spill_count: 0
    .symbol:         _ZN7rocprim17ROCPRIM_400000_NS6detail17trampoline_kernelINS0_14default_configENS1_27scan_by_key_config_selectorIijEEZZNS1_16scan_by_key_implILNS1_25lookback_scan_determinismE0ELb0ES3_N6thrust23THRUST_200600_302600_NS6detail15normal_iteratorINS9_10device_ptrIiEEEENSB_INSC_IjEEEESG_jNS9_4plusIvEENS9_8equal_toIvEEjEE10hipError_tPvRmT2_T3_T4_T5_mT6_T7_P12ihipStream_tbENKUlT_T0_E_clISt17integral_constantIbLb1EES11_EEDaSW_SX_EUlSW_E_NS1_11comp_targetILNS1_3genE10ELNS1_11target_archE1200ELNS1_3gpuE4ELNS1_3repE0EEENS1_30default_config_static_selectorELNS0_4arch9wavefront6targetE1EEEvT1_.kd
    .uniform_work_group_size: 1
    .uses_dynamic_stack: false
    .vgpr_count:     0
    .vgpr_spill_count: 0
    .wavefront_size: 64
  - .agpr_count:     0
    .args:
      - .offset:         0
        .size:           112
        .value_kind:     by_value
    .group_segment_fixed_size: 0
    .kernarg_segment_align: 8
    .kernarg_segment_size: 112
    .language:       OpenCL C
    .language_version:
      - 2
      - 0
    .max_flat_workgroup_size: 256
    .name:           _ZN7rocprim17ROCPRIM_400000_NS6detail17trampoline_kernelINS0_14default_configENS1_27scan_by_key_config_selectorIijEEZZNS1_16scan_by_key_implILNS1_25lookback_scan_determinismE0ELb0ES3_N6thrust23THRUST_200600_302600_NS6detail15normal_iteratorINS9_10device_ptrIiEEEENSB_INSC_IjEEEESG_jNS9_4plusIvEENS9_8equal_toIvEEjEE10hipError_tPvRmT2_T3_T4_T5_mT6_T7_P12ihipStream_tbENKUlT_T0_E_clISt17integral_constantIbLb1EES11_EEDaSW_SX_EUlSW_E_NS1_11comp_targetILNS1_3genE9ELNS1_11target_archE1100ELNS1_3gpuE3ELNS1_3repE0EEENS1_30default_config_static_selectorELNS0_4arch9wavefront6targetE1EEEvT1_
    .private_segment_fixed_size: 0
    .sgpr_count:     6
    .sgpr_spill_count: 0
    .symbol:         _ZN7rocprim17ROCPRIM_400000_NS6detail17trampoline_kernelINS0_14default_configENS1_27scan_by_key_config_selectorIijEEZZNS1_16scan_by_key_implILNS1_25lookback_scan_determinismE0ELb0ES3_N6thrust23THRUST_200600_302600_NS6detail15normal_iteratorINS9_10device_ptrIiEEEENSB_INSC_IjEEEESG_jNS9_4plusIvEENS9_8equal_toIvEEjEE10hipError_tPvRmT2_T3_T4_T5_mT6_T7_P12ihipStream_tbENKUlT_T0_E_clISt17integral_constantIbLb1EES11_EEDaSW_SX_EUlSW_E_NS1_11comp_targetILNS1_3genE9ELNS1_11target_archE1100ELNS1_3gpuE3ELNS1_3repE0EEENS1_30default_config_static_selectorELNS0_4arch9wavefront6targetE1EEEvT1_.kd
    .uniform_work_group_size: 1
    .uses_dynamic_stack: false
    .vgpr_count:     0
    .vgpr_spill_count: 0
    .wavefront_size: 64
  - .agpr_count:     0
    .args:
      - .offset:         0
        .size:           112
        .value_kind:     by_value
    .group_segment_fixed_size: 0
    .kernarg_segment_align: 8
    .kernarg_segment_size: 112
    .language:       OpenCL C
    .language_version:
      - 2
      - 0
    .max_flat_workgroup_size: 256
    .name:           _ZN7rocprim17ROCPRIM_400000_NS6detail17trampoline_kernelINS0_14default_configENS1_27scan_by_key_config_selectorIijEEZZNS1_16scan_by_key_implILNS1_25lookback_scan_determinismE0ELb0ES3_N6thrust23THRUST_200600_302600_NS6detail15normal_iteratorINS9_10device_ptrIiEEEENSB_INSC_IjEEEESG_jNS9_4plusIvEENS9_8equal_toIvEEjEE10hipError_tPvRmT2_T3_T4_T5_mT6_T7_P12ihipStream_tbENKUlT_T0_E_clISt17integral_constantIbLb1EES11_EEDaSW_SX_EUlSW_E_NS1_11comp_targetILNS1_3genE8ELNS1_11target_archE1030ELNS1_3gpuE2ELNS1_3repE0EEENS1_30default_config_static_selectorELNS0_4arch9wavefront6targetE1EEEvT1_
    .private_segment_fixed_size: 0
    .sgpr_count:     6
    .sgpr_spill_count: 0
    .symbol:         _ZN7rocprim17ROCPRIM_400000_NS6detail17trampoline_kernelINS0_14default_configENS1_27scan_by_key_config_selectorIijEEZZNS1_16scan_by_key_implILNS1_25lookback_scan_determinismE0ELb0ES3_N6thrust23THRUST_200600_302600_NS6detail15normal_iteratorINS9_10device_ptrIiEEEENSB_INSC_IjEEEESG_jNS9_4plusIvEENS9_8equal_toIvEEjEE10hipError_tPvRmT2_T3_T4_T5_mT6_T7_P12ihipStream_tbENKUlT_T0_E_clISt17integral_constantIbLb1EES11_EEDaSW_SX_EUlSW_E_NS1_11comp_targetILNS1_3genE8ELNS1_11target_archE1030ELNS1_3gpuE2ELNS1_3repE0EEENS1_30default_config_static_selectorELNS0_4arch9wavefront6targetE1EEEvT1_.kd
    .uniform_work_group_size: 1
    .uses_dynamic_stack: false
    .vgpr_count:     0
    .vgpr_spill_count: 0
    .wavefront_size: 64
  - .agpr_count:     0
    .args:
      - .address_space:  global
        .offset:         0
        .size:           8
        .value_kind:     global_buffer
      - .offset:         8
        .size:           4
        .value_kind:     by_value
      - .offset:         12
        .size:           4
        .value_kind:     by_value
      - .address_space:  global
        .offset:         16
        .size:           8
        .value_kind:     global_buffer
      - .address_space:  global
        .offset:         24
        .size:           8
        .value_kind:     global_buffer
      - .actual_access:  write_only
        .address_space:  global
        .offset:         32
        .size:           8
        .value_kind:     global_buffer
      - .offset:         40
        .size:           8
        .value_kind:     by_value
      - .offset:         48
        .size:           4
        .value_kind:     by_value
      - .offset:         52
        .size:           1
        .value_kind:     by_value
      - .offset:         56
        .size:           4
        .value_kind:     hidden_block_count_x
      - .offset:         60
        .size:           4
        .value_kind:     hidden_block_count_y
      - .offset:         64
        .size:           4
        .value_kind:     hidden_block_count_z
      - .offset:         68
        .size:           2
        .value_kind:     hidden_group_size_x
      - .offset:         70
        .size:           2
        .value_kind:     hidden_group_size_y
      - .offset:         72
        .size:           2
        .value_kind:     hidden_group_size_z
      - .offset:         74
        .size:           2
        .value_kind:     hidden_remainder_x
      - .offset:         76
        .size:           2
        .value_kind:     hidden_remainder_y
      - .offset:         78
        .size:           2
        .value_kind:     hidden_remainder_z
      - .offset:         96
        .size:           8
        .value_kind:     hidden_global_offset_x
      - .offset:         104
        .size:           8
        .value_kind:     hidden_global_offset_y
      - .offset:         112
        .size:           8
        .value_kind:     hidden_global_offset_z
      - .offset:         120
        .size:           2
        .value_kind:     hidden_grid_dims
    .group_segment_fixed_size: 0
    .kernarg_segment_align: 8
    .kernarg_segment_size: 312
    .language:       OpenCL C
    .language_version:
      - 2
      - 0
    .max_flat_workgroup_size: 256
    .name:           _ZN7rocprim17ROCPRIM_400000_NS6detail30init_device_scan_by_key_kernelINS1_19lookback_scan_stateINS0_5tupleIJjbEEELb1ELb1EEEN6thrust23THRUST_200600_302600_NS6detail15normal_iteratorINS8_10device_ptrIiEEEEjNS1_16block_id_wrapperIjLb0EEEEEvT_jjPNSG_10value_typeET0_PNSt15iterator_traitsISJ_E10value_typeEmT1_T2_
    .private_segment_fixed_size: 0
    .sgpr_count:     26
    .sgpr_spill_count: 0
    .symbol:         _ZN7rocprim17ROCPRIM_400000_NS6detail30init_device_scan_by_key_kernelINS1_19lookback_scan_stateINS0_5tupleIJjbEEELb1ELb1EEEN6thrust23THRUST_200600_302600_NS6detail15normal_iteratorINS8_10device_ptrIiEEEEjNS1_16block_id_wrapperIjLb0EEEEEvT_jjPNSG_10value_typeET0_PNSt15iterator_traitsISJ_E10value_typeEmT1_T2_.kd
    .uniform_work_group_size: 1
    .uses_dynamic_stack: false
    .vgpr_count:     10
    .vgpr_spill_count: 0
    .wavefront_size: 64
  - .agpr_count:     0
    .args:
      - .address_space:  global
        .offset:         0
        .size:           8
        .value_kind:     global_buffer
      - .offset:         8
        .size:           4
        .value_kind:     by_value
      - .offset:         12
        .size:           4
        .value_kind:     by_value
      - .address_space:  global
        .offset:         16
        .size:           8
        .value_kind:     global_buffer
      - .offset:         24
        .size:           1
        .value_kind:     by_value
      - .offset:         32
        .size:           4
        .value_kind:     hidden_block_count_x
      - .offset:         36
        .size:           4
        .value_kind:     hidden_block_count_y
      - .offset:         40
        .size:           4
        .value_kind:     hidden_block_count_z
      - .offset:         44
        .size:           2
        .value_kind:     hidden_group_size_x
      - .offset:         46
        .size:           2
        .value_kind:     hidden_group_size_y
      - .offset:         48
        .size:           2
        .value_kind:     hidden_group_size_z
      - .offset:         50
        .size:           2
        .value_kind:     hidden_remainder_x
      - .offset:         52
        .size:           2
        .value_kind:     hidden_remainder_y
      - .offset:         54
        .size:           2
        .value_kind:     hidden_remainder_z
      - .offset:         72
        .size:           8
        .value_kind:     hidden_global_offset_x
      - .offset:         80
        .size:           8
        .value_kind:     hidden_global_offset_y
      - .offset:         88
        .size:           8
        .value_kind:     hidden_global_offset_z
      - .offset:         96
        .size:           2
        .value_kind:     hidden_grid_dims
    .group_segment_fixed_size: 0
    .kernarg_segment_align: 8
    .kernarg_segment_size: 288
    .language:       OpenCL C
    .language_version:
      - 2
      - 0
    .max_flat_workgroup_size: 256
    .name:           _ZN7rocprim17ROCPRIM_400000_NS6detail30init_device_scan_by_key_kernelINS1_19lookback_scan_stateINS0_5tupleIJjbEEELb1ELb1EEENS1_16block_id_wrapperIjLb0EEEEEvT_jjPNS9_10value_typeET0_
    .private_segment_fixed_size: 0
    .sgpr_count:     20
    .sgpr_spill_count: 0
    .symbol:         _ZN7rocprim17ROCPRIM_400000_NS6detail30init_device_scan_by_key_kernelINS1_19lookback_scan_stateINS0_5tupleIJjbEEELb1ELb1EEENS1_16block_id_wrapperIjLb0EEEEEvT_jjPNS9_10value_typeET0_.kd
    .uniform_work_group_size: 1
    .uses_dynamic_stack: false
    .vgpr_count:     10
    .vgpr_spill_count: 0
    .wavefront_size: 64
  - .agpr_count:     0
    .args:
      - .offset:         0
        .size:           112
        .value_kind:     by_value
    .group_segment_fixed_size: 0
    .kernarg_segment_align: 8
    .kernarg_segment_size: 112
    .language:       OpenCL C
    .language_version:
      - 2
      - 0
    .max_flat_workgroup_size: 256
    .name:           _ZN7rocprim17ROCPRIM_400000_NS6detail17trampoline_kernelINS0_14default_configENS1_27scan_by_key_config_selectorIijEEZZNS1_16scan_by_key_implILNS1_25lookback_scan_determinismE0ELb0ES3_N6thrust23THRUST_200600_302600_NS6detail15normal_iteratorINS9_10device_ptrIiEEEENSB_INSC_IjEEEESG_jNS9_4plusIvEENS9_8equal_toIvEEjEE10hipError_tPvRmT2_T3_T4_T5_mT6_T7_P12ihipStream_tbENKUlT_T0_E_clISt17integral_constantIbLb1EES10_IbLb0EEEEDaSW_SX_EUlSW_E_NS1_11comp_targetILNS1_3genE0ELNS1_11target_archE4294967295ELNS1_3gpuE0ELNS1_3repE0EEENS1_30default_config_static_selectorELNS0_4arch9wavefront6targetE1EEEvT1_
    .private_segment_fixed_size: 0
    .sgpr_count:     6
    .sgpr_spill_count: 0
    .symbol:         _ZN7rocprim17ROCPRIM_400000_NS6detail17trampoline_kernelINS0_14default_configENS1_27scan_by_key_config_selectorIijEEZZNS1_16scan_by_key_implILNS1_25lookback_scan_determinismE0ELb0ES3_N6thrust23THRUST_200600_302600_NS6detail15normal_iteratorINS9_10device_ptrIiEEEENSB_INSC_IjEEEESG_jNS9_4plusIvEENS9_8equal_toIvEEjEE10hipError_tPvRmT2_T3_T4_T5_mT6_T7_P12ihipStream_tbENKUlT_T0_E_clISt17integral_constantIbLb1EES10_IbLb0EEEEDaSW_SX_EUlSW_E_NS1_11comp_targetILNS1_3genE0ELNS1_11target_archE4294967295ELNS1_3gpuE0ELNS1_3repE0EEENS1_30default_config_static_selectorELNS0_4arch9wavefront6targetE1EEEvT1_.kd
    .uniform_work_group_size: 1
    .uses_dynamic_stack: false
    .vgpr_count:     0
    .vgpr_spill_count: 0
    .wavefront_size: 64
  - .agpr_count:     0
    .args:
      - .offset:         0
        .size:           112
        .value_kind:     by_value
    .group_segment_fixed_size: 0
    .kernarg_segment_align: 8
    .kernarg_segment_size: 112
    .language:       OpenCL C
    .language_version:
      - 2
      - 0
    .max_flat_workgroup_size: 256
    .name:           _ZN7rocprim17ROCPRIM_400000_NS6detail17trampoline_kernelINS0_14default_configENS1_27scan_by_key_config_selectorIijEEZZNS1_16scan_by_key_implILNS1_25lookback_scan_determinismE0ELb0ES3_N6thrust23THRUST_200600_302600_NS6detail15normal_iteratorINS9_10device_ptrIiEEEENSB_INSC_IjEEEESG_jNS9_4plusIvEENS9_8equal_toIvEEjEE10hipError_tPvRmT2_T3_T4_T5_mT6_T7_P12ihipStream_tbENKUlT_T0_E_clISt17integral_constantIbLb1EES10_IbLb0EEEEDaSW_SX_EUlSW_E_NS1_11comp_targetILNS1_3genE10ELNS1_11target_archE1201ELNS1_3gpuE5ELNS1_3repE0EEENS1_30default_config_static_selectorELNS0_4arch9wavefront6targetE1EEEvT1_
    .private_segment_fixed_size: 0
    .sgpr_count:     6
    .sgpr_spill_count: 0
    .symbol:         _ZN7rocprim17ROCPRIM_400000_NS6detail17trampoline_kernelINS0_14default_configENS1_27scan_by_key_config_selectorIijEEZZNS1_16scan_by_key_implILNS1_25lookback_scan_determinismE0ELb0ES3_N6thrust23THRUST_200600_302600_NS6detail15normal_iteratorINS9_10device_ptrIiEEEENSB_INSC_IjEEEESG_jNS9_4plusIvEENS9_8equal_toIvEEjEE10hipError_tPvRmT2_T3_T4_T5_mT6_T7_P12ihipStream_tbENKUlT_T0_E_clISt17integral_constantIbLb1EES10_IbLb0EEEEDaSW_SX_EUlSW_E_NS1_11comp_targetILNS1_3genE10ELNS1_11target_archE1201ELNS1_3gpuE5ELNS1_3repE0EEENS1_30default_config_static_selectorELNS0_4arch9wavefront6targetE1EEEvT1_.kd
    .uniform_work_group_size: 1
    .uses_dynamic_stack: false
    .vgpr_count:     0
    .vgpr_spill_count: 0
    .wavefront_size: 64
  - .agpr_count:     0
    .args:
      - .offset:         0
        .size:           112
        .value_kind:     by_value
    .group_segment_fixed_size: 25600
    .kernarg_segment_align: 8
    .kernarg_segment_size: 112
    .language:       OpenCL C
    .language_version:
      - 2
      - 0
    .max_flat_workgroup_size: 256
    .name:           _ZN7rocprim17ROCPRIM_400000_NS6detail17trampoline_kernelINS0_14default_configENS1_27scan_by_key_config_selectorIijEEZZNS1_16scan_by_key_implILNS1_25lookback_scan_determinismE0ELb0ES3_N6thrust23THRUST_200600_302600_NS6detail15normal_iteratorINS9_10device_ptrIiEEEENSB_INSC_IjEEEESG_jNS9_4plusIvEENS9_8equal_toIvEEjEE10hipError_tPvRmT2_T3_T4_T5_mT6_T7_P12ihipStream_tbENKUlT_T0_E_clISt17integral_constantIbLb1EES10_IbLb0EEEEDaSW_SX_EUlSW_E_NS1_11comp_targetILNS1_3genE5ELNS1_11target_archE942ELNS1_3gpuE9ELNS1_3repE0EEENS1_30default_config_static_selectorELNS0_4arch9wavefront6targetE1EEEvT1_
    .private_segment_fixed_size: 0
    .sgpr_count:     88
    .sgpr_spill_count: 0
    .symbol:         _ZN7rocprim17ROCPRIM_400000_NS6detail17trampoline_kernelINS0_14default_configENS1_27scan_by_key_config_selectorIijEEZZNS1_16scan_by_key_implILNS1_25lookback_scan_determinismE0ELb0ES3_N6thrust23THRUST_200600_302600_NS6detail15normal_iteratorINS9_10device_ptrIiEEEENSB_INSC_IjEEEESG_jNS9_4plusIvEENS9_8equal_toIvEEjEE10hipError_tPvRmT2_T3_T4_T5_mT6_T7_P12ihipStream_tbENKUlT_T0_E_clISt17integral_constantIbLb1EES10_IbLb0EEEEDaSW_SX_EUlSW_E_NS1_11comp_targetILNS1_3genE5ELNS1_11target_archE942ELNS1_3gpuE9ELNS1_3repE0EEENS1_30default_config_static_selectorELNS0_4arch9wavefront6targetE1EEEvT1_.kd
    .uniform_work_group_size: 1
    .uses_dynamic_stack: false
    .vgpr_count:     81
    .vgpr_spill_count: 0
    .wavefront_size: 64
  - .agpr_count:     0
    .args:
      - .offset:         0
        .size:           112
        .value_kind:     by_value
    .group_segment_fixed_size: 0
    .kernarg_segment_align: 8
    .kernarg_segment_size: 112
    .language:       OpenCL C
    .language_version:
      - 2
      - 0
    .max_flat_workgroup_size: 256
    .name:           _ZN7rocprim17ROCPRIM_400000_NS6detail17trampoline_kernelINS0_14default_configENS1_27scan_by_key_config_selectorIijEEZZNS1_16scan_by_key_implILNS1_25lookback_scan_determinismE0ELb0ES3_N6thrust23THRUST_200600_302600_NS6detail15normal_iteratorINS9_10device_ptrIiEEEENSB_INSC_IjEEEESG_jNS9_4plusIvEENS9_8equal_toIvEEjEE10hipError_tPvRmT2_T3_T4_T5_mT6_T7_P12ihipStream_tbENKUlT_T0_E_clISt17integral_constantIbLb1EES10_IbLb0EEEEDaSW_SX_EUlSW_E_NS1_11comp_targetILNS1_3genE4ELNS1_11target_archE910ELNS1_3gpuE8ELNS1_3repE0EEENS1_30default_config_static_selectorELNS0_4arch9wavefront6targetE1EEEvT1_
    .private_segment_fixed_size: 0
    .sgpr_count:     6
    .sgpr_spill_count: 0
    .symbol:         _ZN7rocprim17ROCPRIM_400000_NS6detail17trampoline_kernelINS0_14default_configENS1_27scan_by_key_config_selectorIijEEZZNS1_16scan_by_key_implILNS1_25lookback_scan_determinismE0ELb0ES3_N6thrust23THRUST_200600_302600_NS6detail15normal_iteratorINS9_10device_ptrIiEEEENSB_INSC_IjEEEESG_jNS9_4plusIvEENS9_8equal_toIvEEjEE10hipError_tPvRmT2_T3_T4_T5_mT6_T7_P12ihipStream_tbENKUlT_T0_E_clISt17integral_constantIbLb1EES10_IbLb0EEEEDaSW_SX_EUlSW_E_NS1_11comp_targetILNS1_3genE4ELNS1_11target_archE910ELNS1_3gpuE8ELNS1_3repE0EEENS1_30default_config_static_selectorELNS0_4arch9wavefront6targetE1EEEvT1_.kd
    .uniform_work_group_size: 1
    .uses_dynamic_stack: false
    .vgpr_count:     0
    .vgpr_spill_count: 0
    .wavefront_size: 64
  - .agpr_count:     0
    .args:
      - .offset:         0
        .size:           112
        .value_kind:     by_value
    .group_segment_fixed_size: 0
    .kernarg_segment_align: 8
    .kernarg_segment_size: 112
    .language:       OpenCL C
    .language_version:
      - 2
      - 0
    .max_flat_workgroup_size: 256
    .name:           _ZN7rocprim17ROCPRIM_400000_NS6detail17trampoline_kernelINS0_14default_configENS1_27scan_by_key_config_selectorIijEEZZNS1_16scan_by_key_implILNS1_25lookback_scan_determinismE0ELb0ES3_N6thrust23THRUST_200600_302600_NS6detail15normal_iteratorINS9_10device_ptrIiEEEENSB_INSC_IjEEEESG_jNS9_4plusIvEENS9_8equal_toIvEEjEE10hipError_tPvRmT2_T3_T4_T5_mT6_T7_P12ihipStream_tbENKUlT_T0_E_clISt17integral_constantIbLb1EES10_IbLb0EEEEDaSW_SX_EUlSW_E_NS1_11comp_targetILNS1_3genE3ELNS1_11target_archE908ELNS1_3gpuE7ELNS1_3repE0EEENS1_30default_config_static_selectorELNS0_4arch9wavefront6targetE1EEEvT1_
    .private_segment_fixed_size: 0
    .sgpr_count:     6
    .sgpr_spill_count: 0
    .symbol:         _ZN7rocprim17ROCPRIM_400000_NS6detail17trampoline_kernelINS0_14default_configENS1_27scan_by_key_config_selectorIijEEZZNS1_16scan_by_key_implILNS1_25lookback_scan_determinismE0ELb0ES3_N6thrust23THRUST_200600_302600_NS6detail15normal_iteratorINS9_10device_ptrIiEEEENSB_INSC_IjEEEESG_jNS9_4plusIvEENS9_8equal_toIvEEjEE10hipError_tPvRmT2_T3_T4_T5_mT6_T7_P12ihipStream_tbENKUlT_T0_E_clISt17integral_constantIbLb1EES10_IbLb0EEEEDaSW_SX_EUlSW_E_NS1_11comp_targetILNS1_3genE3ELNS1_11target_archE908ELNS1_3gpuE7ELNS1_3repE0EEENS1_30default_config_static_selectorELNS0_4arch9wavefront6targetE1EEEvT1_.kd
    .uniform_work_group_size: 1
    .uses_dynamic_stack: false
    .vgpr_count:     0
    .vgpr_spill_count: 0
    .wavefront_size: 64
  - .agpr_count:     0
    .args:
      - .offset:         0
        .size:           112
        .value_kind:     by_value
    .group_segment_fixed_size: 0
    .kernarg_segment_align: 8
    .kernarg_segment_size: 112
    .language:       OpenCL C
    .language_version:
      - 2
      - 0
    .max_flat_workgroup_size: 256
    .name:           _ZN7rocprim17ROCPRIM_400000_NS6detail17trampoline_kernelINS0_14default_configENS1_27scan_by_key_config_selectorIijEEZZNS1_16scan_by_key_implILNS1_25lookback_scan_determinismE0ELb0ES3_N6thrust23THRUST_200600_302600_NS6detail15normal_iteratorINS9_10device_ptrIiEEEENSB_INSC_IjEEEESG_jNS9_4plusIvEENS9_8equal_toIvEEjEE10hipError_tPvRmT2_T3_T4_T5_mT6_T7_P12ihipStream_tbENKUlT_T0_E_clISt17integral_constantIbLb1EES10_IbLb0EEEEDaSW_SX_EUlSW_E_NS1_11comp_targetILNS1_3genE2ELNS1_11target_archE906ELNS1_3gpuE6ELNS1_3repE0EEENS1_30default_config_static_selectorELNS0_4arch9wavefront6targetE1EEEvT1_
    .private_segment_fixed_size: 0
    .sgpr_count:     6
    .sgpr_spill_count: 0
    .symbol:         _ZN7rocprim17ROCPRIM_400000_NS6detail17trampoline_kernelINS0_14default_configENS1_27scan_by_key_config_selectorIijEEZZNS1_16scan_by_key_implILNS1_25lookback_scan_determinismE0ELb0ES3_N6thrust23THRUST_200600_302600_NS6detail15normal_iteratorINS9_10device_ptrIiEEEENSB_INSC_IjEEEESG_jNS9_4plusIvEENS9_8equal_toIvEEjEE10hipError_tPvRmT2_T3_T4_T5_mT6_T7_P12ihipStream_tbENKUlT_T0_E_clISt17integral_constantIbLb1EES10_IbLb0EEEEDaSW_SX_EUlSW_E_NS1_11comp_targetILNS1_3genE2ELNS1_11target_archE906ELNS1_3gpuE6ELNS1_3repE0EEENS1_30default_config_static_selectorELNS0_4arch9wavefront6targetE1EEEvT1_.kd
    .uniform_work_group_size: 1
    .uses_dynamic_stack: false
    .vgpr_count:     0
    .vgpr_spill_count: 0
    .wavefront_size: 64
  - .agpr_count:     0
    .args:
      - .offset:         0
        .size:           112
        .value_kind:     by_value
    .group_segment_fixed_size: 0
    .kernarg_segment_align: 8
    .kernarg_segment_size: 112
    .language:       OpenCL C
    .language_version:
      - 2
      - 0
    .max_flat_workgroup_size: 256
    .name:           _ZN7rocprim17ROCPRIM_400000_NS6detail17trampoline_kernelINS0_14default_configENS1_27scan_by_key_config_selectorIijEEZZNS1_16scan_by_key_implILNS1_25lookback_scan_determinismE0ELb0ES3_N6thrust23THRUST_200600_302600_NS6detail15normal_iteratorINS9_10device_ptrIiEEEENSB_INSC_IjEEEESG_jNS9_4plusIvEENS9_8equal_toIvEEjEE10hipError_tPvRmT2_T3_T4_T5_mT6_T7_P12ihipStream_tbENKUlT_T0_E_clISt17integral_constantIbLb1EES10_IbLb0EEEEDaSW_SX_EUlSW_E_NS1_11comp_targetILNS1_3genE10ELNS1_11target_archE1200ELNS1_3gpuE4ELNS1_3repE0EEENS1_30default_config_static_selectorELNS0_4arch9wavefront6targetE1EEEvT1_
    .private_segment_fixed_size: 0
    .sgpr_count:     6
    .sgpr_spill_count: 0
    .symbol:         _ZN7rocprim17ROCPRIM_400000_NS6detail17trampoline_kernelINS0_14default_configENS1_27scan_by_key_config_selectorIijEEZZNS1_16scan_by_key_implILNS1_25lookback_scan_determinismE0ELb0ES3_N6thrust23THRUST_200600_302600_NS6detail15normal_iteratorINS9_10device_ptrIiEEEENSB_INSC_IjEEEESG_jNS9_4plusIvEENS9_8equal_toIvEEjEE10hipError_tPvRmT2_T3_T4_T5_mT6_T7_P12ihipStream_tbENKUlT_T0_E_clISt17integral_constantIbLb1EES10_IbLb0EEEEDaSW_SX_EUlSW_E_NS1_11comp_targetILNS1_3genE10ELNS1_11target_archE1200ELNS1_3gpuE4ELNS1_3repE0EEENS1_30default_config_static_selectorELNS0_4arch9wavefront6targetE1EEEvT1_.kd
    .uniform_work_group_size: 1
    .uses_dynamic_stack: false
    .vgpr_count:     0
    .vgpr_spill_count: 0
    .wavefront_size: 64
  - .agpr_count:     0
    .args:
      - .offset:         0
        .size:           112
        .value_kind:     by_value
    .group_segment_fixed_size: 0
    .kernarg_segment_align: 8
    .kernarg_segment_size: 112
    .language:       OpenCL C
    .language_version:
      - 2
      - 0
    .max_flat_workgroup_size: 256
    .name:           _ZN7rocprim17ROCPRIM_400000_NS6detail17trampoline_kernelINS0_14default_configENS1_27scan_by_key_config_selectorIijEEZZNS1_16scan_by_key_implILNS1_25lookback_scan_determinismE0ELb0ES3_N6thrust23THRUST_200600_302600_NS6detail15normal_iteratorINS9_10device_ptrIiEEEENSB_INSC_IjEEEESG_jNS9_4plusIvEENS9_8equal_toIvEEjEE10hipError_tPvRmT2_T3_T4_T5_mT6_T7_P12ihipStream_tbENKUlT_T0_E_clISt17integral_constantIbLb1EES10_IbLb0EEEEDaSW_SX_EUlSW_E_NS1_11comp_targetILNS1_3genE9ELNS1_11target_archE1100ELNS1_3gpuE3ELNS1_3repE0EEENS1_30default_config_static_selectorELNS0_4arch9wavefront6targetE1EEEvT1_
    .private_segment_fixed_size: 0
    .sgpr_count:     6
    .sgpr_spill_count: 0
    .symbol:         _ZN7rocprim17ROCPRIM_400000_NS6detail17trampoline_kernelINS0_14default_configENS1_27scan_by_key_config_selectorIijEEZZNS1_16scan_by_key_implILNS1_25lookback_scan_determinismE0ELb0ES3_N6thrust23THRUST_200600_302600_NS6detail15normal_iteratorINS9_10device_ptrIiEEEENSB_INSC_IjEEEESG_jNS9_4plusIvEENS9_8equal_toIvEEjEE10hipError_tPvRmT2_T3_T4_T5_mT6_T7_P12ihipStream_tbENKUlT_T0_E_clISt17integral_constantIbLb1EES10_IbLb0EEEEDaSW_SX_EUlSW_E_NS1_11comp_targetILNS1_3genE9ELNS1_11target_archE1100ELNS1_3gpuE3ELNS1_3repE0EEENS1_30default_config_static_selectorELNS0_4arch9wavefront6targetE1EEEvT1_.kd
    .uniform_work_group_size: 1
    .uses_dynamic_stack: false
    .vgpr_count:     0
    .vgpr_spill_count: 0
    .wavefront_size: 64
  - .agpr_count:     0
    .args:
      - .offset:         0
        .size:           112
        .value_kind:     by_value
    .group_segment_fixed_size: 0
    .kernarg_segment_align: 8
    .kernarg_segment_size: 112
    .language:       OpenCL C
    .language_version:
      - 2
      - 0
    .max_flat_workgroup_size: 256
    .name:           _ZN7rocprim17ROCPRIM_400000_NS6detail17trampoline_kernelINS0_14default_configENS1_27scan_by_key_config_selectorIijEEZZNS1_16scan_by_key_implILNS1_25lookback_scan_determinismE0ELb0ES3_N6thrust23THRUST_200600_302600_NS6detail15normal_iteratorINS9_10device_ptrIiEEEENSB_INSC_IjEEEESG_jNS9_4plusIvEENS9_8equal_toIvEEjEE10hipError_tPvRmT2_T3_T4_T5_mT6_T7_P12ihipStream_tbENKUlT_T0_E_clISt17integral_constantIbLb1EES10_IbLb0EEEEDaSW_SX_EUlSW_E_NS1_11comp_targetILNS1_3genE8ELNS1_11target_archE1030ELNS1_3gpuE2ELNS1_3repE0EEENS1_30default_config_static_selectorELNS0_4arch9wavefront6targetE1EEEvT1_
    .private_segment_fixed_size: 0
    .sgpr_count:     6
    .sgpr_spill_count: 0
    .symbol:         _ZN7rocprim17ROCPRIM_400000_NS6detail17trampoline_kernelINS0_14default_configENS1_27scan_by_key_config_selectorIijEEZZNS1_16scan_by_key_implILNS1_25lookback_scan_determinismE0ELb0ES3_N6thrust23THRUST_200600_302600_NS6detail15normal_iteratorINS9_10device_ptrIiEEEENSB_INSC_IjEEEESG_jNS9_4plusIvEENS9_8equal_toIvEEjEE10hipError_tPvRmT2_T3_T4_T5_mT6_T7_P12ihipStream_tbENKUlT_T0_E_clISt17integral_constantIbLb1EES10_IbLb0EEEEDaSW_SX_EUlSW_E_NS1_11comp_targetILNS1_3genE8ELNS1_11target_archE1030ELNS1_3gpuE2ELNS1_3repE0EEENS1_30default_config_static_selectorELNS0_4arch9wavefront6targetE1EEEvT1_.kd
    .uniform_work_group_size: 1
    .uses_dynamic_stack: false
    .vgpr_count:     0
    .vgpr_spill_count: 0
    .wavefront_size: 64
  - .agpr_count:     0
    .args:
      - .address_space:  global
        .offset:         0
        .size:           8
        .value_kind:     global_buffer
      - .offset:         8
        .size:           4
        .value_kind:     by_value
      - .offset:         12
        .size:           4
        .value_kind:     by_value
      - .address_space:  global
        .offset:         16
        .size:           8
        .value_kind:     global_buffer
      - .address_space:  global
        .offset:         24
        .size:           8
        .value_kind:     global_buffer
      - .actual_access:  write_only
        .address_space:  global
        .offset:         32
        .size:           8
        .value_kind:     global_buffer
      - .offset:         40
        .size:           8
        .value_kind:     by_value
      - .offset:         48
        .size:           4
        .value_kind:     by_value
      - .address_space:  global
        .offset:         56
        .size:           8
        .value_kind:     global_buffer
      - .offset:         64
        .size:           4
        .value_kind:     hidden_block_count_x
      - .offset:         68
        .size:           4
        .value_kind:     hidden_block_count_y
      - .offset:         72
        .size:           4
        .value_kind:     hidden_block_count_z
      - .offset:         76
        .size:           2
        .value_kind:     hidden_group_size_x
      - .offset:         78
        .size:           2
        .value_kind:     hidden_group_size_y
      - .offset:         80
        .size:           2
        .value_kind:     hidden_group_size_z
      - .offset:         82
        .size:           2
        .value_kind:     hidden_remainder_x
      - .offset:         84
        .size:           2
        .value_kind:     hidden_remainder_y
      - .offset:         86
        .size:           2
        .value_kind:     hidden_remainder_z
      - .offset:         104
        .size:           8
        .value_kind:     hidden_global_offset_x
      - .offset:         112
        .size:           8
        .value_kind:     hidden_global_offset_y
      - .offset:         120
        .size:           8
        .value_kind:     hidden_global_offset_z
      - .offset:         128
        .size:           2
        .value_kind:     hidden_grid_dims
    .group_segment_fixed_size: 0
    .kernarg_segment_align: 8
    .kernarg_segment_size: 320
    .language:       OpenCL C
    .language_version:
      - 2
      - 0
    .max_flat_workgroup_size: 256
    .name:           _ZN7rocprim17ROCPRIM_400000_NS6detail30init_device_scan_by_key_kernelINS1_19lookback_scan_stateINS0_5tupleIJjbEEELb0ELb1EEEN6thrust23THRUST_200600_302600_NS6detail15normal_iteratorINS8_10device_ptrIiEEEEjNS1_16block_id_wrapperIjLb1EEEEEvT_jjPNSG_10value_typeET0_PNSt15iterator_traitsISJ_E10value_typeEmT1_T2_
    .private_segment_fixed_size: 0
    .sgpr_count:     26
    .sgpr_spill_count: 0
    .symbol:         _ZN7rocprim17ROCPRIM_400000_NS6detail30init_device_scan_by_key_kernelINS1_19lookback_scan_stateINS0_5tupleIJjbEEELb0ELb1EEEN6thrust23THRUST_200600_302600_NS6detail15normal_iteratorINS8_10device_ptrIiEEEEjNS1_16block_id_wrapperIjLb1EEEEEvT_jjPNSG_10value_typeET0_PNSt15iterator_traitsISJ_E10value_typeEmT1_T2_.kd
    .uniform_work_group_size: 1
    .uses_dynamic_stack: false
    .vgpr_count:     10
    .vgpr_spill_count: 0
    .wavefront_size: 64
  - .agpr_count:     0
    .args:
      - .address_space:  global
        .offset:         0
        .size:           8
        .value_kind:     global_buffer
      - .offset:         8
        .size:           4
        .value_kind:     by_value
      - .offset:         12
        .size:           4
        .value_kind:     by_value
      - .address_space:  global
        .offset:         16
        .size:           8
        .value_kind:     global_buffer
      - .address_space:  global
        .offset:         24
        .size:           8
        .value_kind:     global_buffer
      - .offset:         32
        .size:           4
        .value_kind:     hidden_block_count_x
      - .offset:         36
        .size:           4
        .value_kind:     hidden_block_count_y
      - .offset:         40
        .size:           4
        .value_kind:     hidden_block_count_z
      - .offset:         44
        .size:           2
        .value_kind:     hidden_group_size_x
      - .offset:         46
        .size:           2
        .value_kind:     hidden_group_size_y
      - .offset:         48
        .size:           2
        .value_kind:     hidden_group_size_z
      - .offset:         50
        .size:           2
        .value_kind:     hidden_remainder_x
      - .offset:         52
        .size:           2
        .value_kind:     hidden_remainder_y
      - .offset:         54
        .size:           2
        .value_kind:     hidden_remainder_z
      - .offset:         72
        .size:           8
        .value_kind:     hidden_global_offset_x
      - .offset:         80
        .size:           8
        .value_kind:     hidden_global_offset_y
      - .offset:         88
        .size:           8
        .value_kind:     hidden_global_offset_z
      - .offset:         96
        .size:           2
        .value_kind:     hidden_grid_dims
    .group_segment_fixed_size: 0
    .kernarg_segment_align: 8
    .kernarg_segment_size: 288
    .language:       OpenCL C
    .language_version:
      - 2
      - 0
    .max_flat_workgroup_size: 256
    .name:           _ZN7rocprim17ROCPRIM_400000_NS6detail30init_device_scan_by_key_kernelINS1_19lookback_scan_stateINS0_5tupleIJjbEEELb0ELb1EEENS1_16block_id_wrapperIjLb1EEEEEvT_jjPNS9_10value_typeET0_
    .private_segment_fixed_size: 0
    .sgpr_count:     22
    .sgpr_spill_count: 0
    .symbol:         _ZN7rocprim17ROCPRIM_400000_NS6detail30init_device_scan_by_key_kernelINS1_19lookback_scan_stateINS0_5tupleIJjbEEELb0ELb1EEENS1_16block_id_wrapperIjLb1EEEEEvT_jjPNS9_10value_typeET0_.kd
    .uniform_work_group_size: 1
    .uses_dynamic_stack: false
    .vgpr_count:     10
    .vgpr_spill_count: 0
    .wavefront_size: 64
  - .agpr_count:     0
    .args:
      - .offset:         0
        .size:           112
        .value_kind:     by_value
    .group_segment_fixed_size: 0
    .kernarg_segment_align: 8
    .kernarg_segment_size: 112
    .language:       OpenCL C
    .language_version:
      - 2
      - 0
    .max_flat_workgroup_size: 256
    .name:           _ZN7rocprim17ROCPRIM_400000_NS6detail17trampoline_kernelINS0_14default_configENS1_27scan_by_key_config_selectorIijEEZZNS1_16scan_by_key_implILNS1_25lookback_scan_determinismE0ELb0ES3_N6thrust23THRUST_200600_302600_NS6detail15normal_iteratorINS9_10device_ptrIiEEEENSB_INSC_IjEEEESG_jNS9_4plusIvEENS9_8equal_toIvEEjEE10hipError_tPvRmT2_T3_T4_T5_mT6_T7_P12ihipStream_tbENKUlT_T0_E_clISt17integral_constantIbLb0EES10_IbLb1EEEEDaSW_SX_EUlSW_E_NS1_11comp_targetILNS1_3genE0ELNS1_11target_archE4294967295ELNS1_3gpuE0ELNS1_3repE0EEENS1_30default_config_static_selectorELNS0_4arch9wavefront6targetE1EEEvT1_
    .private_segment_fixed_size: 0
    .sgpr_count:     6
    .sgpr_spill_count: 0
    .symbol:         _ZN7rocprim17ROCPRIM_400000_NS6detail17trampoline_kernelINS0_14default_configENS1_27scan_by_key_config_selectorIijEEZZNS1_16scan_by_key_implILNS1_25lookback_scan_determinismE0ELb0ES3_N6thrust23THRUST_200600_302600_NS6detail15normal_iteratorINS9_10device_ptrIiEEEENSB_INSC_IjEEEESG_jNS9_4plusIvEENS9_8equal_toIvEEjEE10hipError_tPvRmT2_T3_T4_T5_mT6_T7_P12ihipStream_tbENKUlT_T0_E_clISt17integral_constantIbLb0EES10_IbLb1EEEEDaSW_SX_EUlSW_E_NS1_11comp_targetILNS1_3genE0ELNS1_11target_archE4294967295ELNS1_3gpuE0ELNS1_3repE0EEENS1_30default_config_static_selectorELNS0_4arch9wavefront6targetE1EEEvT1_.kd
    .uniform_work_group_size: 1
    .uses_dynamic_stack: false
    .vgpr_count:     0
    .vgpr_spill_count: 0
    .wavefront_size: 64
  - .agpr_count:     0
    .args:
      - .offset:         0
        .size:           112
        .value_kind:     by_value
    .group_segment_fixed_size: 0
    .kernarg_segment_align: 8
    .kernarg_segment_size: 112
    .language:       OpenCL C
    .language_version:
      - 2
      - 0
    .max_flat_workgroup_size: 256
    .name:           _ZN7rocprim17ROCPRIM_400000_NS6detail17trampoline_kernelINS0_14default_configENS1_27scan_by_key_config_selectorIijEEZZNS1_16scan_by_key_implILNS1_25lookback_scan_determinismE0ELb0ES3_N6thrust23THRUST_200600_302600_NS6detail15normal_iteratorINS9_10device_ptrIiEEEENSB_INSC_IjEEEESG_jNS9_4plusIvEENS9_8equal_toIvEEjEE10hipError_tPvRmT2_T3_T4_T5_mT6_T7_P12ihipStream_tbENKUlT_T0_E_clISt17integral_constantIbLb0EES10_IbLb1EEEEDaSW_SX_EUlSW_E_NS1_11comp_targetILNS1_3genE10ELNS1_11target_archE1201ELNS1_3gpuE5ELNS1_3repE0EEENS1_30default_config_static_selectorELNS0_4arch9wavefront6targetE1EEEvT1_
    .private_segment_fixed_size: 0
    .sgpr_count:     6
    .sgpr_spill_count: 0
    .symbol:         _ZN7rocprim17ROCPRIM_400000_NS6detail17trampoline_kernelINS0_14default_configENS1_27scan_by_key_config_selectorIijEEZZNS1_16scan_by_key_implILNS1_25lookback_scan_determinismE0ELb0ES3_N6thrust23THRUST_200600_302600_NS6detail15normal_iteratorINS9_10device_ptrIiEEEENSB_INSC_IjEEEESG_jNS9_4plusIvEENS9_8equal_toIvEEjEE10hipError_tPvRmT2_T3_T4_T5_mT6_T7_P12ihipStream_tbENKUlT_T0_E_clISt17integral_constantIbLb0EES10_IbLb1EEEEDaSW_SX_EUlSW_E_NS1_11comp_targetILNS1_3genE10ELNS1_11target_archE1201ELNS1_3gpuE5ELNS1_3repE0EEENS1_30default_config_static_selectorELNS0_4arch9wavefront6targetE1EEEvT1_.kd
    .uniform_work_group_size: 1
    .uses_dynamic_stack: false
    .vgpr_count:     0
    .vgpr_spill_count: 0
    .wavefront_size: 64
  - .agpr_count:     0
    .args:
      - .offset:         0
        .size:           112
        .value_kind:     by_value
    .group_segment_fixed_size: 25600
    .kernarg_segment_align: 8
    .kernarg_segment_size: 112
    .language:       OpenCL C
    .language_version:
      - 2
      - 0
    .max_flat_workgroup_size: 256
    .name:           _ZN7rocprim17ROCPRIM_400000_NS6detail17trampoline_kernelINS0_14default_configENS1_27scan_by_key_config_selectorIijEEZZNS1_16scan_by_key_implILNS1_25lookback_scan_determinismE0ELb0ES3_N6thrust23THRUST_200600_302600_NS6detail15normal_iteratorINS9_10device_ptrIiEEEENSB_INSC_IjEEEESG_jNS9_4plusIvEENS9_8equal_toIvEEjEE10hipError_tPvRmT2_T3_T4_T5_mT6_T7_P12ihipStream_tbENKUlT_T0_E_clISt17integral_constantIbLb0EES10_IbLb1EEEEDaSW_SX_EUlSW_E_NS1_11comp_targetILNS1_3genE5ELNS1_11target_archE942ELNS1_3gpuE9ELNS1_3repE0EEENS1_30default_config_static_selectorELNS0_4arch9wavefront6targetE1EEEvT1_
    .private_segment_fixed_size: 0
    .sgpr_count:     91
    .sgpr_spill_count: 0
    .symbol:         _ZN7rocprim17ROCPRIM_400000_NS6detail17trampoline_kernelINS0_14default_configENS1_27scan_by_key_config_selectorIijEEZZNS1_16scan_by_key_implILNS1_25lookback_scan_determinismE0ELb0ES3_N6thrust23THRUST_200600_302600_NS6detail15normal_iteratorINS9_10device_ptrIiEEEENSB_INSC_IjEEEESG_jNS9_4plusIvEENS9_8equal_toIvEEjEE10hipError_tPvRmT2_T3_T4_T5_mT6_T7_P12ihipStream_tbENKUlT_T0_E_clISt17integral_constantIbLb0EES10_IbLb1EEEEDaSW_SX_EUlSW_E_NS1_11comp_targetILNS1_3genE5ELNS1_11target_archE942ELNS1_3gpuE9ELNS1_3repE0EEENS1_30default_config_static_selectorELNS0_4arch9wavefront6targetE1EEEvT1_.kd
    .uniform_work_group_size: 1
    .uses_dynamic_stack: false
    .vgpr_count:     81
    .vgpr_spill_count: 0
    .wavefront_size: 64
  - .agpr_count:     0
    .args:
      - .offset:         0
        .size:           112
        .value_kind:     by_value
    .group_segment_fixed_size: 0
    .kernarg_segment_align: 8
    .kernarg_segment_size: 112
    .language:       OpenCL C
    .language_version:
      - 2
      - 0
    .max_flat_workgroup_size: 256
    .name:           _ZN7rocprim17ROCPRIM_400000_NS6detail17trampoline_kernelINS0_14default_configENS1_27scan_by_key_config_selectorIijEEZZNS1_16scan_by_key_implILNS1_25lookback_scan_determinismE0ELb0ES3_N6thrust23THRUST_200600_302600_NS6detail15normal_iteratorINS9_10device_ptrIiEEEENSB_INSC_IjEEEESG_jNS9_4plusIvEENS9_8equal_toIvEEjEE10hipError_tPvRmT2_T3_T4_T5_mT6_T7_P12ihipStream_tbENKUlT_T0_E_clISt17integral_constantIbLb0EES10_IbLb1EEEEDaSW_SX_EUlSW_E_NS1_11comp_targetILNS1_3genE4ELNS1_11target_archE910ELNS1_3gpuE8ELNS1_3repE0EEENS1_30default_config_static_selectorELNS0_4arch9wavefront6targetE1EEEvT1_
    .private_segment_fixed_size: 0
    .sgpr_count:     6
    .sgpr_spill_count: 0
    .symbol:         _ZN7rocprim17ROCPRIM_400000_NS6detail17trampoline_kernelINS0_14default_configENS1_27scan_by_key_config_selectorIijEEZZNS1_16scan_by_key_implILNS1_25lookback_scan_determinismE0ELb0ES3_N6thrust23THRUST_200600_302600_NS6detail15normal_iteratorINS9_10device_ptrIiEEEENSB_INSC_IjEEEESG_jNS9_4plusIvEENS9_8equal_toIvEEjEE10hipError_tPvRmT2_T3_T4_T5_mT6_T7_P12ihipStream_tbENKUlT_T0_E_clISt17integral_constantIbLb0EES10_IbLb1EEEEDaSW_SX_EUlSW_E_NS1_11comp_targetILNS1_3genE4ELNS1_11target_archE910ELNS1_3gpuE8ELNS1_3repE0EEENS1_30default_config_static_selectorELNS0_4arch9wavefront6targetE1EEEvT1_.kd
    .uniform_work_group_size: 1
    .uses_dynamic_stack: false
    .vgpr_count:     0
    .vgpr_spill_count: 0
    .wavefront_size: 64
  - .agpr_count:     0
    .args:
      - .offset:         0
        .size:           112
        .value_kind:     by_value
    .group_segment_fixed_size: 0
    .kernarg_segment_align: 8
    .kernarg_segment_size: 112
    .language:       OpenCL C
    .language_version:
      - 2
      - 0
    .max_flat_workgroup_size: 256
    .name:           _ZN7rocprim17ROCPRIM_400000_NS6detail17trampoline_kernelINS0_14default_configENS1_27scan_by_key_config_selectorIijEEZZNS1_16scan_by_key_implILNS1_25lookback_scan_determinismE0ELb0ES3_N6thrust23THRUST_200600_302600_NS6detail15normal_iteratorINS9_10device_ptrIiEEEENSB_INSC_IjEEEESG_jNS9_4plusIvEENS9_8equal_toIvEEjEE10hipError_tPvRmT2_T3_T4_T5_mT6_T7_P12ihipStream_tbENKUlT_T0_E_clISt17integral_constantIbLb0EES10_IbLb1EEEEDaSW_SX_EUlSW_E_NS1_11comp_targetILNS1_3genE3ELNS1_11target_archE908ELNS1_3gpuE7ELNS1_3repE0EEENS1_30default_config_static_selectorELNS0_4arch9wavefront6targetE1EEEvT1_
    .private_segment_fixed_size: 0
    .sgpr_count:     6
    .sgpr_spill_count: 0
    .symbol:         _ZN7rocprim17ROCPRIM_400000_NS6detail17trampoline_kernelINS0_14default_configENS1_27scan_by_key_config_selectorIijEEZZNS1_16scan_by_key_implILNS1_25lookback_scan_determinismE0ELb0ES3_N6thrust23THRUST_200600_302600_NS6detail15normal_iteratorINS9_10device_ptrIiEEEENSB_INSC_IjEEEESG_jNS9_4plusIvEENS9_8equal_toIvEEjEE10hipError_tPvRmT2_T3_T4_T5_mT6_T7_P12ihipStream_tbENKUlT_T0_E_clISt17integral_constantIbLb0EES10_IbLb1EEEEDaSW_SX_EUlSW_E_NS1_11comp_targetILNS1_3genE3ELNS1_11target_archE908ELNS1_3gpuE7ELNS1_3repE0EEENS1_30default_config_static_selectorELNS0_4arch9wavefront6targetE1EEEvT1_.kd
    .uniform_work_group_size: 1
    .uses_dynamic_stack: false
    .vgpr_count:     0
    .vgpr_spill_count: 0
    .wavefront_size: 64
  - .agpr_count:     0
    .args:
      - .offset:         0
        .size:           112
        .value_kind:     by_value
    .group_segment_fixed_size: 0
    .kernarg_segment_align: 8
    .kernarg_segment_size: 112
    .language:       OpenCL C
    .language_version:
      - 2
      - 0
    .max_flat_workgroup_size: 256
    .name:           _ZN7rocprim17ROCPRIM_400000_NS6detail17trampoline_kernelINS0_14default_configENS1_27scan_by_key_config_selectorIijEEZZNS1_16scan_by_key_implILNS1_25lookback_scan_determinismE0ELb0ES3_N6thrust23THRUST_200600_302600_NS6detail15normal_iteratorINS9_10device_ptrIiEEEENSB_INSC_IjEEEESG_jNS9_4plusIvEENS9_8equal_toIvEEjEE10hipError_tPvRmT2_T3_T4_T5_mT6_T7_P12ihipStream_tbENKUlT_T0_E_clISt17integral_constantIbLb0EES10_IbLb1EEEEDaSW_SX_EUlSW_E_NS1_11comp_targetILNS1_3genE2ELNS1_11target_archE906ELNS1_3gpuE6ELNS1_3repE0EEENS1_30default_config_static_selectorELNS0_4arch9wavefront6targetE1EEEvT1_
    .private_segment_fixed_size: 0
    .sgpr_count:     6
    .sgpr_spill_count: 0
    .symbol:         _ZN7rocprim17ROCPRIM_400000_NS6detail17trampoline_kernelINS0_14default_configENS1_27scan_by_key_config_selectorIijEEZZNS1_16scan_by_key_implILNS1_25lookback_scan_determinismE0ELb0ES3_N6thrust23THRUST_200600_302600_NS6detail15normal_iteratorINS9_10device_ptrIiEEEENSB_INSC_IjEEEESG_jNS9_4plusIvEENS9_8equal_toIvEEjEE10hipError_tPvRmT2_T3_T4_T5_mT6_T7_P12ihipStream_tbENKUlT_T0_E_clISt17integral_constantIbLb0EES10_IbLb1EEEEDaSW_SX_EUlSW_E_NS1_11comp_targetILNS1_3genE2ELNS1_11target_archE906ELNS1_3gpuE6ELNS1_3repE0EEENS1_30default_config_static_selectorELNS0_4arch9wavefront6targetE1EEEvT1_.kd
    .uniform_work_group_size: 1
    .uses_dynamic_stack: false
    .vgpr_count:     0
    .vgpr_spill_count: 0
    .wavefront_size: 64
  - .agpr_count:     0
    .args:
      - .offset:         0
        .size:           112
        .value_kind:     by_value
    .group_segment_fixed_size: 0
    .kernarg_segment_align: 8
    .kernarg_segment_size: 112
    .language:       OpenCL C
    .language_version:
      - 2
      - 0
    .max_flat_workgroup_size: 256
    .name:           _ZN7rocprim17ROCPRIM_400000_NS6detail17trampoline_kernelINS0_14default_configENS1_27scan_by_key_config_selectorIijEEZZNS1_16scan_by_key_implILNS1_25lookback_scan_determinismE0ELb0ES3_N6thrust23THRUST_200600_302600_NS6detail15normal_iteratorINS9_10device_ptrIiEEEENSB_INSC_IjEEEESG_jNS9_4plusIvEENS9_8equal_toIvEEjEE10hipError_tPvRmT2_T3_T4_T5_mT6_T7_P12ihipStream_tbENKUlT_T0_E_clISt17integral_constantIbLb0EES10_IbLb1EEEEDaSW_SX_EUlSW_E_NS1_11comp_targetILNS1_3genE10ELNS1_11target_archE1200ELNS1_3gpuE4ELNS1_3repE0EEENS1_30default_config_static_selectorELNS0_4arch9wavefront6targetE1EEEvT1_
    .private_segment_fixed_size: 0
    .sgpr_count:     6
    .sgpr_spill_count: 0
    .symbol:         _ZN7rocprim17ROCPRIM_400000_NS6detail17trampoline_kernelINS0_14default_configENS1_27scan_by_key_config_selectorIijEEZZNS1_16scan_by_key_implILNS1_25lookback_scan_determinismE0ELb0ES3_N6thrust23THRUST_200600_302600_NS6detail15normal_iteratorINS9_10device_ptrIiEEEENSB_INSC_IjEEEESG_jNS9_4plusIvEENS9_8equal_toIvEEjEE10hipError_tPvRmT2_T3_T4_T5_mT6_T7_P12ihipStream_tbENKUlT_T0_E_clISt17integral_constantIbLb0EES10_IbLb1EEEEDaSW_SX_EUlSW_E_NS1_11comp_targetILNS1_3genE10ELNS1_11target_archE1200ELNS1_3gpuE4ELNS1_3repE0EEENS1_30default_config_static_selectorELNS0_4arch9wavefront6targetE1EEEvT1_.kd
    .uniform_work_group_size: 1
    .uses_dynamic_stack: false
    .vgpr_count:     0
    .vgpr_spill_count: 0
    .wavefront_size: 64
  - .agpr_count:     0
    .args:
      - .offset:         0
        .size:           112
        .value_kind:     by_value
    .group_segment_fixed_size: 0
    .kernarg_segment_align: 8
    .kernarg_segment_size: 112
    .language:       OpenCL C
    .language_version:
      - 2
      - 0
    .max_flat_workgroup_size: 256
    .name:           _ZN7rocprim17ROCPRIM_400000_NS6detail17trampoline_kernelINS0_14default_configENS1_27scan_by_key_config_selectorIijEEZZNS1_16scan_by_key_implILNS1_25lookback_scan_determinismE0ELb0ES3_N6thrust23THRUST_200600_302600_NS6detail15normal_iteratorINS9_10device_ptrIiEEEENSB_INSC_IjEEEESG_jNS9_4plusIvEENS9_8equal_toIvEEjEE10hipError_tPvRmT2_T3_T4_T5_mT6_T7_P12ihipStream_tbENKUlT_T0_E_clISt17integral_constantIbLb0EES10_IbLb1EEEEDaSW_SX_EUlSW_E_NS1_11comp_targetILNS1_3genE9ELNS1_11target_archE1100ELNS1_3gpuE3ELNS1_3repE0EEENS1_30default_config_static_selectorELNS0_4arch9wavefront6targetE1EEEvT1_
    .private_segment_fixed_size: 0
    .sgpr_count:     6
    .sgpr_spill_count: 0
    .symbol:         _ZN7rocprim17ROCPRIM_400000_NS6detail17trampoline_kernelINS0_14default_configENS1_27scan_by_key_config_selectorIijEEZZNS1_16scan_by_key_implILNS1_25lookback_scan_determinismE0ELb0ES3_N6thrust23THRUST_200600_302600_NS6detail15normal_iteratorINS9_10device_ptrIiEEEENSB_INSC_IjEEEESG_jNS9_4plusIvEENS9_8equal_toIvEEjEE10hipError_tPvRmT2_T3_T4_T5_mT6_T7_P12ihipStream_tbENKUlT_T0_E_clISt17integral_constantIbLb0EES10_IbLb1EEEEDaSW_SX_EUlSW_E_NS1_11comp_targetILNS1_3genE9ELNS1_11target_archE1100ELNS1_3gpuE3ELNS1_3repE0EEENS1_30default_config_static_selectorELNS0_4arch9wavefront6targetE1EEEvT1_.kd
    .uniform_work_group_size: 1
    .uses_dynamic_stack: false
    .vgpr_count:     0
    .vgpr_spill_count: 0
    .wavefront_size: 64
  - .agpr_count:     0
    .args:
      - .offset:         0
        .size:           112
        .value_kind:     by_value
    .group_segment_fixed_size: 0
    .kernarg_segment_align: 8
    .kernarg_segment_size: 112
    .language:       OpenCL C
    .language_version:
      - 2
      - 0
    .max_flat_workgroup_size: 256
    .name:           _ZN7rocprim17ROCPRIM_400000_NS6detail17trampoline_kernelINS0_14default_configENS1_27scan_by_key_config_selectorIijEEZZNS1_16scan_by_key_implILNS1_25lookback_scan_determinismE0ELb0ES3_N6thrust23THRUST_200600_302600_NS6detail15normal_iteratorINS9_10device_ptrIiEEEENSB_INSC_IjEEEESG_jNS9_4plusIvEENS9_8equal_toIvEEjEE10hipError_tPvRmT2_T3_T4_T5_mT6_T7_P12ihipStream_tbENKUlT_T0_E_clISt17integral_constantIbLb0EES10_IbLb1EEEEDaSW_SX_EUlSW_E_NS1_11comp_targetILNS1_3genE8ELNS1_11target_archE1030ELNS1_3gpuE2ELNS1_3repE0EEENS1_30default_config_static_selectorELNS0_4arch9wavefront6targetE1EEEvT1_
    .private_segment_fixed_size: 0
    .sgpr_count:     6
    .sgpr_spill_count: 0
    .symbol:         _ZN7rocprim17ROCPRIM_400000_NS6detail17trampoline_kernelINS0_14default_configENS1_27scan_by_key_config_selectorIijEEZZNS1_16scan_by_key_implILNS1_25lookback_scan_determinismE0ELb0ES3_N6thrust23THRUST_200600_302600_NS6detail15normal_iteratorINS9_10device_ptrIiEEEENSB_INSC_IjEEEESG_jNS9_4plusIvEENS9_8equal_toIvEEjEE10hipError_tPvRmT2_T3_T4_T5_mT6_T7_P12ihipStream_tbENKUlT_T0_E_clISt17integral_constantIbLb0EES10_IbLb1EEEEDaSW_SX_EUlSW_E_NS1_11comp_targetILNS1_3genE8ELNS1_11target_archE1030ELNS1_3gpuE2ELNS1_3repE0EEENS1_30default_config_static_selectorELNS0_4arch9wavefront6targetE1EEEvT1_.kd
    .uniform_work_group_size: 1
    .uses_dynamic_stack: false
    .vgpr_count:     0
    .vgpr_spill_count: 0
    .wavefront_size: 64
  - .agpr_count:     0
    .args:
      - .offset:         0
        .size:           24
        .value_kind:     by_value
      - .offset:         24
        .size:           8
        .value_kind:     by_value
      - .offset:         32
        .size:           8
        .value_kind:     by_value
    .group_segment_fixed_size: 0
    .kernarg_segment_align: 8
    .kernarg_segment_size: 40
    .language:       OpenCL C
    .language_version:
      - 2
      - 0
    .max_flat_workgroup_size: 256
    .name:           _ZN6thrust23THRUST_200600_302600_NS11hip_rocprim14__parallel_for6kernelILj256ENS1_11__transform17unary_transform_fINS0_7pointerIiNS1_3tagENS0_11use_defaultES8_EENS0_10device_ptrItEENS4_14no_stencil_tagENS0_8identityIiEENS4_21always_true_predicateEEElLj1EEEvT0_T1_SI_
    .private_segment_fixed_size: 0
    .sgpr_count:     18
    .sgpr_spill_count: 0
    .symbol:         _ZN6thrust23THRUST_200600_302600_NS11hip_rocprim14__parallel_for6kernelILj256ENS1_11__transform17unary_transform_fINS0_7pointerIiNS1_3tagENS0_11use_defaultES8_EENS0_10device_ptrItEENS4_14no_stencil_tagENS0_8identityIiEENS4_21always_true_predicateEEElLj1EEEvT0_T1_SI_.kd
    .uniform_work_group_size: 1
    .uses_dynamic_stack: false
    .vgpr_count:     6
    .vgpr_spill_count: 0
    .wavefront_size: 64
  - .agpr_count:     0
    .args:
      - .offset:         0
        .size:           16
        .value_kind:     by_value
      - .offset:         16
        .size:           8
        .value_kind:     by_value
      - .offset:         24
        .size:           8
        .value_kind:     by_value
    .group_segment_fixed_size: 0
    .kernarg_segment_align: 8
    .kernarg_segment_size: 32
    .language:       OpenCL C
    .language_version:
      - 2
      - 0
    .max_flat_workgroup_size: 256
    .name:           _ZN6thrust23THRUST_200600_302600_NS11hip_rocprim14__parallel_for6kernelILj256ENS1_20__uninitialized_fill7functorINS0_10device_ptrItEEtEEmLj1EEEvT0_T1_SA_
    .private_segment_fixed_size: 0
    .sgpr_count:     14
    .sgpr_spill_count: 0
    .symbol:         _ZN6thrust23THRUST_200600_302600_NS11hip_rocprim14__parallel_for6kernelILj256ENS1_20__uninitialized_fill7functorINS0_10device_ptrItEEtEEmLj1EEEvT0_T1_SA_.kd
    .uniform_work_group_size: 1
    .uses_dynamic_stack: false
    .vgpr_count:     4
    .vgpr_spill_count: 0
    .wavefront_size: 64
  - .agpr_count:     0
    .args:
      - .address_space:  global
        .offset:         0
        .size:           8
        .value_kind:     global_buffer
      - .offset:         8
        .size:           4
        .value_kind:     by_value
      - .offset:         12
        .size:           4
        .value_kind:     by_value
      - .address_space:  global
        .offset:         16
        .size:           8
        .value_kind:     global_buffer
      - .address_space:  global
        .offset:         24
        .size:           8
        .value_kind:     global_buffer
      - .actual_access:  write_only
        .address_space:  global
        .offset:         32
        .size:           8
        .value_kind:     global_buffer
      - .offset:         40
        .size:           8
        .value_kind:     by_value
      - .offset:         48
        .size:           4
        .value_kind:     by_value
      - .offset:         52
        .size:           1
        .value_kind:     by_value
      - .offset:         56
        .size:           4
        .value_kind:     hidden_block_count_x
      - .offset:         60
        .size:           4
        .value_kind:     hidden_block_count_y
      - .offset:         64
        .size:           4
        .value_kind:     hidden_block_count_z
      - .offset:         68
        .size:           2
        .value_kind:     hidden_group_size_x
      - .offset:         70
        .size:           2
        .value_kind:     hidden_group_size_y
      - .offset:         72
        .size:           2
        .value_kind:     hidden_group_size_z
      - .offset:         74
        .size:           2
        .value_kind:     hidden_remainder_x
      - .offset:         76
        .size:           2
        .value_kind:     hidden_remainder_y
      - .offset:         78
        .size:           2
        .value_kind:     hidden_remainder_z
      - .offset:         96
        .size:           8
        .value_kind:     hidden_global_offset_x
      - .offset:         104
        .size:           8
        .value_kind:     hidden_global_offset_y
      - .offset:         112
        .size:           8
        .value_kind:     hidden_global_offset_z
      - .offset:         120
        .size:           2
        .value_kind:     hidden_grid_dims
    .group_segment_fixed_size: 0
    .kernarg_segment_align: 8
    .kernarg_segment_size: 312
    .language:       OpenCL C
    .language_version:
      - 2
      - 0
    .max_flat_workgroup_size: 256
    .name:           _ZN7rocprim17ROCPRIM_400000_NS6detail30init_device_scan_by_key_kernelINS1_19lookback_scan_stateINS0_5tupleIJtbEEELb0ELb1EEEN6thrust23THRUST_200600_302600_NS6detail15normal_iteratorINS8_10device_ptrIiEEEEjNS1_16block_id_wrapperIjLb0EEEEEvT_jjPNSG_10value_typeET0_PNSt15iterator_traitsISJ_E10value_typeEmT1_T2_
    .private_segment_fixed_size: 0
    .sgpr_count:     22
    .sgpr_spill_count: 0
    .symbol:         _ZN7rocprim17ROCPRIM_400000_NS6detail30init_device_scan_by_key_kernelINS1_19lookback_scan_stateINS0_5tupleIJtbEEELb0ELb1EEEN6thrust23THRUST_200600_302600_NS6detail15normal_iteratorINS8_10device_ptrIiEEEEjNS1_16block_id_wrapperIjLb0EEEEEvT_jjPNSG_10value_typeET0_PNSt15iterator_traitsISJ_E10value_typeEmT1_T2_.kd
    .uniform_work_group_size: 1
    .uses_dynamic_stack: false
    .vgpr_count:     7
    .vgpr_spill_count: 0
    .wavefront_size: 64
  - .agpr_count:     0
    .args:
      - .address_space:  global
        .offset:         0
        .size:           8
        .value_kind:     global_buffer
      - .offset:         8
        .size:           4
        .value_kind:     by_value
      - .offset:         12
        .size:           4
        .value_kind:     by_value
      - .address_space:  global
        .offset:         16
        .size:           8
        .value_kind:     global_buffer
      - .offset:         24
        .size:           1
        .value_kind:     by_value
      - .offset:         32
        .size:           4
        .value_kind:     hidden_block_count_x
      - .offset:         36
        .size:           4
        .value_kind:     hidden_block_count_y
      - .offset:         40
        .size:           4
        .value_kind:     hidden_block_count_z
      - .offset:         44
        .size:           2
        .value_kind:     hidden_group_size_x
      - .offset:         46
        .size:           2
        .value_kind:     hidden_group_size_y
      - .offset:         48
        .size:           2
        .value_kind:     hidden_group_size_z
      - .offset:         50
        .size:           2
        .value_kind:     hidden_remainder_x
      - .offset:         52
        .size:           2
        .value_kind:     hidden_remainder_y
      - .offset:         54
        .size:           2
        .value_kind:     hidden_remainder_z
      - .offset:         72
        .size:           8
        .value_kind:     hidden_global_offset_x
      - .offset:         80
        .size:           8
        .value_kind:     hidden_global_offset_y
      - .offset:         88
        .size:           8
        .value_kind:     hidden_global_offset_z
      - .offset:         96
        .size:           2
        .value_kind:     hidden_grid_dims
    .group_segment_fixed_size: 0
    .kernarg_segment_align: 8
    .kernarg_segment_size: 288
    .language:       OpenCL C
    .language_version:
      - 2
      - 0
    .max_flat_workgroup_size: 256
    .name:           _ZN7rocprim17ROCPRIM_400000_NS6detail30init_device_scan_by_key_kernelINS1_19lookback_scan_stateINS0_5tupleIJtbEEELb0ELb1EEENS1_16block_id_wrapperIjLb0EEEEEvT_jjPNS9_10value_typeET0_
    .private_segment_fixed_size: 0
    .sgpr_count:     16
    .sgpr_spill_count: 0
    .symbol:         _ZN7rocprim17ROCPRIM_400000_NS6detail30init_device_scan_by_key_kernelINS1_19lookback_scan_stateINS0_5tupleIJtbEEELb0ELb1EEENS1_16block_id_wrapperIjLb0EEEEEvT_jjPNS9_10value_typeET0_.kd
    .uniform_work_group_size: 1
    .uses_dynamic_stack: false
    .vgpr_count:     6
    .vgpr_spill_count: 0
    .wavefront_size: 64
  - .agpr_count:     0
    .args:
      - .offset:         0
        .size:           112
        .value_kind:     by_value
    .group_segment_fixed_size: 0
    .kernarg_segment_align: 8
    .kernarg_segment_size: 112
    .language:       OpenCL C
    .language_version:
      - 2
      - 0
    .max_flat_workgroup_size: 256
    .name:           _ZN7rocprim17ROCPRIM_400000_NS6detail17trampoline_kernelINS0_14default_configENS1_27scan_by_key_config_selectorIitEEZZNS1_16scan_by_key_implILNS1_25lookback_scan_determinismE0ELb0ES3_N6thrust23THRUST_200600_302600_NS6detail15normal_iteratorINS9_10device_ptrIiEEEENSB_INSC_ItEEEESG_tNS9_4plusIvEENS9_8equal_toIvEEtEE10hipError_tPvRmT2_T3_T4_T5_mT6_T7_P12ihipStream_tbENKUlT_T0_E_clISt17integral_constantIbLb0EES11_EEDaSW_SX_EUlSW_E_NS1_11comp_targetILNS1_3genE0ELNS1_11target_archE4294967295ELNS1_3gpuE0ELNS1_3repE0EEENS1_30default_config_static_selectorELNS0_4arch9wavefront6targetE1EEEvT1_
    .private_segment_fixed_size: 0
    .sgpr_count:     6
    .sgpr_spill_count: 0
    .symbol:         _ZN7rocprim17ROCPRIM_400000_NS6detail17trampoline_kernelINS0_14default_configENS1_27scan_by_key_config_selectorIitEEZZNS1_16scan_by_key_implILNS1_25lookback_scan_determinismE0ELb0ES3_N6thrust23THRUST_200600_302600_NS6detail15normal_iteratorINS9_10device_ptrIiEEEENSB_INSC_ItEEEESG_tNS9_4plusIvEENS9_8equal_toIvEEtEE10hipError_tPvRmT2_T3_T4_T5_mT6_T7_P12ihipStream_tbENKUlT_T0_E_clISt17integral_constantIbLb0EES11_EEDaSW_SX_EUlSW_E_NS1_11comp_targetILNS1_3genE0ELNS1_11target_archE4294967295ELNS1_3gpuE0ELNS1_3repE0EEENS1_30default_config_static_selectorELNS0_4arch9wavefront6targetE1EEEvT1_.kd
    .uniform_work_group_size: 1
    .uses_dynamic_stack: false
    .vgpr_count:     0
    .vgpr_spill_count: 0
    .wavefront_size: 64
  - .agpr_count:     0
    .args:
      - .offset:         0
        .size:           112
        .value_kind:     by_value
    .group_segment_fixed_size: 0
    .kernarg_segment_align: 8
    .kernarg_segment_size: 112
    .language:       OpenCL C
    .language_version:
      - 2
      - 0
    .max_flat_workgroup_size: 256
    .name:           _ZN7rocprim17ROCPRIM_400000_NS6detail17trampoline_kernelINS0_14default_configENS1_27scan_by_key_config_selectorIitEEZZNS1_16scan_by_key_implILNS1_25lookback_scan_determinismE0ELb0ES3_N6thrust23THRUST_200600_302600_NS6detail15normal_iteratorINS9_10device_ptrIiEEEENSB_INSC_ItEEEESG_tNS9_4plusIvEENS9_8equal_toIvEEtEE10hipError_tPvRmT2_T3_T4_T5_mT6_T7_P12ihipStream_tbENKUlT_T0_E_clISt17integral_constantIbLb0EES11_EEDaSW_SX_EUlSW_E_NS1_11comp_targetILNS1_3genE10ELNS1_11target_archE1201ELNS1_3gpuE5ELNS1_3repE0EEENS1_30default_config_static_selectorELNS0_4arch9wavefront6targetE1EEEvT1_
    .private_segment_fixed_size: 0
    .sgpr_count:     6
    .sgpr_spill_count: 0
    .symbol:         _ZN7rocprim17ROCPRIM_400000_NS6detail17trampoline_kernelINS0_14default_configENS1_27scan_by_key_config_selectorIitEEZZNS1_16scan_by_key_implILNS1_25lookback_scan_determinismE0ELb0ES3_N6thrust23THRUST_200600_302600_NS6detail15normal_iteratorINS9_10device_ptrIiEEEENSB_INSC_ItEEEESG_tNS9_4plusIvEENS9_8equal_toIvEEtEE10hipError_tPvRmT2_T3_T4_T5_mT6_T7_P12ihipStream_tbENKUlT_T0_E_clISt17integral_constantIbLb0EES11_EEDaSW_SX_EUlSW_E_NS1_11comp_targetILNS1_3genE10ELNS1_11target_archE1201ELNS1_3gpuE5ELNS1_3repE0EEENS1_30default_config_static_selectorELNS0_4arch9wavefront6targetE1EEEvT1_.kd
    .uniform_work_group_size: 1
    .uses_dynamic_stack: false
    .vgpr_count:     0
    .vgpr_spill_count: 0
    .wavefront_size: 64
  - .agpr_count:     0
    .args:
      - .offset:         0
        .size:           112
        .value_kind:     by_value
    .group_segment_fixed_size: 26624
    .kernarg_segment_align: 8
    .kernarg_segment_size: 112
    .language:       OpenCL C
    .language_version:
      - 2
      - 0
    .max_flat_workgroup_size: 256
    .name:           _ZN7rocprim17ROCPRIM_400000_NS6detail17trampoline_kernelINS0_14default_configENS1_27scan_by_key_config_selectorIitEEZZNS1_16scan_by_key_implILNS1_25lookback_scan_determinismE0ELb0ES3_N6thrust23THRUST_200600_302600_NS6detail15normal_iteratorINS9_10device_ptrIiEEEENSB_INSC_ItEEEESG_tNS9_4plusIvEENS9_8equal_toIvEEtEE10hipError_tPvRmT2_T3_T4_T5_mT6_T7_P12ihipStream_tbENKUlT_T0_E_clISt17integral_constantIbLb0EES11_EEDaSW_SX_EUlSW_E_NS1_11comp_targetILNS1_3genE5ELNS1_11target_archE942ELNS1_3gpuE9ELNS1_3repE0EEENS1_30default_config_static_selectorELNS0_4arch9wavefront6targetE1EEEvT1_
    .private_segment_fixed_size: 0
    .sgpr_count:     90
    .sgpr_spill_count: 0
    .symbol:         _ZN7rocprim17ROCPRIM_400000_NS6detail17trampoline_kernelINS0_14default_configENS1_27scan_by_key_config_selectorIitEEZZNS1_16scan_by_key_implILNS1_25lookback_scan_determinismE0ELb0ES3_N6thrust23THRUST_200600_302600_NS6detail15normal_iteratorINS9_10device_ptrIiEEEENSB_INSC_ItEEEESG_tNS9_4plusIvEENS9_8equal_toIvEEtEE10hipError_tPvRmT2_T3_T4_T5_mT6_T7_P12ihipStream_tbENKUlT_T0_E_clISt17integral_constantIbLb0EES11_EEDaSW_SX_EUlSW_E_NS1_11comp_targetILNS1_3genE5ELNS1_11target_archE942ELNS1_3gpuE9ELNS1_3repE0EEENS1_30default_config_static_selectorELNS0_4arch9wavefront6targetE1EEEvT1_.kd
    .uniform_work_group_size: 1
    .uses_dynamic_stack: false
    .vgpr_count:     62
    .vgpr_spill_count: 0
    .wavefront_size: 64
  - .agpr_count:     0
    .args:
      - .offset:         0
        .size:           112
        .value_kind:     by_value
    .group_segment_fixed_size: 0
    .kernarg_segment_align: 8
    .kernarg_segment_size: 112
    .language:       OpenCL C
    .language_version:
      - 2
      - 0
    .max_flat_workgroup_size: 64
    .name:           _ZN7rocprim17ROCPRIM_400000_NS6detail17trampoline_kernelINS0_14default_configENS1_27scan_by_key_config_selectorIitEEZZNS1_16scan_by_key_implILNS1_25lookback_scan_determinismE0ELb0ES3_N6thrust23THRUST_200600_302600_NS6detail15normal_iteratorINS9_10device_ptrIiEEEENSB_INSC_ItEEEESG_tNS9_4plusIvEENS9_8equal_toIvEEtEE10hipError_tPvRmT2_T3_T4_T5_mT6_T7_P12ihipStream_tbENKUlT_T0_E_clISt17integral_constantIbLb0EES11_EEDaSW_SX_EUlSW_E_NS1_11comp_targetILNS1_3genE4ELNS1_11target_archE910ELNS1_3gpuE8ELNS1_3repE0EEENS1_30default_config_static_selectorELNS0_4arch9wavefront6targetE1EEEvT1_
    .private_segment_fixed_size: 0
    .sgpr_count:     6
    .sgpr_spill_count: 0
    .symbol:         _ZN7rocprim17ROCPRIM_400000_NS6detail17trampoline_kernelINS0_14default_configENS1_27scan_by_key_config_selectorIitEEZZNS1_16scan_by_key_implILNS1_25lookback_scan_determinismE0ELb0ES3_N6thrust23THRUST_200600_302600_NS6detail15normal_iteratorINS9_10device_ptrIiEEEENSB_INSC_ItEEEESG_tNS9_4plusIvEENS9_8equal_toIvEEtEE10hipError_tPvRmT2_T3_T4_T5_mT6_T7_P12ihipStream_tbENKUlT_T0_E_clISt17integral_constantIbLb0EES11_EEDaSW_SX_EUlSW_E_NS1_11comp_targetILNS1_3genE4ELNS1_11target_archE910ELNS1_3gpuE8ELNS1_3repE0EEENS1_30default_config_static_selectorELNS0_4arch9wavefront6targetE1EEEvT1_.kd
    .uniform_work_group_size: 1
    .uses_dynamic_stack: false
    .vgpr_count:     0
    .vgpr_spill_count: 0
    .wavefront_size: 64
  - .agpr_count:     0
    .args:
      - .offset:         0
        .size:           112
        .value_kind:     by_value
    .group_segment_fixed_size: 0
    .kernarg_segment_align: 8
    .kernarg_segment_size: 112
    .language:       OpenCL C
    .language_version:
      - 2
      - 0
    .max_flat_workgroup_size: 256
    .name:           _ZN7rocprim17ROCPRIM_400000_NS6detail17trampoline_kernelINS0_14default_configENS1_27scan_by_key_config_selectorIitEEZZNS1_16scan_by_key_implILNS1_25lookback_scan_determinismE0ELb0ES3_N6thrust23THRUST_200600_302600_NS6detail15normal_iteratorINS9_10device_ptrIiEEEENSB_INSC_ItEEEESG_tNS9_4plusIvEENS9_8equal_toIvEEtEE10hipError_tPvRmT2_T3_T4_T5_mT6_T7_P12ihipStream_tbENKUlT_T0_E_clISt17integral_constantIbLb0EES11_EEDaSW_SX_EUlSW_E_NS1_11comp_targetILNS1_3genE3ELNS1_11target_archE908ELNS1_3gpuE7ELNS1_3repE0EEENS1_30default_config_static_selectorELNS0_4arch9wavefront6targetE1EEEvT1_
    .private_segment_fixed_size: 0
    .sgpr_count:     6
    .sgpr_spill_count: 0
    .symbol:         _ZN7rocprim17ROCPRIM_400000_NS6detail17trampoline_kernelINS0_14default_configENS1_27scan_by_key_config_selectorIitEEZZNS1_16scan_by_key_implILNS1_25lookback_scan_determinismE0ELb0ES3_N6thrust23THRUST_200600_302600_NS6detail15normal_iteratorINS9_10device_ptrIiEEEENSB_INSC_ItEEEESG_tNS9_4plusIvEENS9_8equal_toIvEEtEE10hipError_tPvRmT2_T3_T4_T5_mT6_T7_P12ihipStream_tbENKUlT_T0_E_clISt17integral_constantIbLb0EES11_EEDaSW_SX_EUlSW_E_NS1_11comp_targetILNS1_3genE3ELNS1_11target_archE908ELNS1_3gpuE7ELNS1_3repE0EEENS1_30default_config_static_selectorELNS0_4arch9wavefront6targetE1EEEvT1_.kd
    .uniform_work_group_size: 1
    .uses_dynamic_stack: false
    .vgpr_count:     0
    .vgpr_spill_count: 0
    .wavefront_size: 64
  - .agpr_count:     0
    .args:
      - .offset:         0
        .size:           112
        .value_kind:     by_value
    .group_segment_fixed_size: 0
    .kernarg_segment_align: 8
    .kernarg_segment_size: 112
    .language:       OpenCL C
    .language_version:
      - 2
      - 0
    .max_flat_workgroup_size: 64
    .name:           _ZN7rocprim17ROCPRIM_400000_NS6detail17trampoline_kernelINS0_14default_configENS1_27scan_by_key_config_selectorIitEEZZNS1_16scan_by_key_implILNS1_25lookback_scan_determinismE0ELb0ES3_N6thrust23THRUST_200600_302600_NS6detail15normal_iteratorINS9_10device_ptrIiEEEENSB_INSC_ItEEEESG_tNS9_4plusIvEENS9_8equal_toIvEEtEE10hipError_tPvRmT2_T3_T4_T5_mT6_T7_P12ihipStream_tbENKUlT_T0_E_clISt17integral_constantIbLb0EES11_EEDaSW_SX_EUlSW_E_NS1_11comp_targetILNS1_3genE2ELNS1_11target_archE906ELNS1_3gpuE6ELNS1_3repE0EEENS1_30default_config_static_selectorELNS0_4arch9wavefront6targetE1EEEvT1_
    .private_segment_fixed_size: 0
    .sgpr_count:     6
    .sgpr_spill_count: 0
    .symbol:         _ZN7rocprim17ROCPRIM_400000_NS6detail17trampoline_kernelINS0_14default_configENS1_27scan_by_key_config_selectorIitEEZZNS1_16scan_by_key_implILNS1_25lookback_scan_determinismE0ELb0ES3_N6thrust23THRUST_200600_302600_NS6detail15normal_iteratorINS9_10device_ptrIiEEEENSB_INSC_ItEEEESG_tNS9_4plusIvEENS9_8equal_toIvEEtEE10hipError_tPvRmT2_T3_T4_T5_mT6_T7_P12ihipStream_tbENKUlT_T0_E_clISt17integral_constantIbLb0EES11_EEDaSW_SX_EUlSW_E_NS1_11comp_targetILNS1_3genE2ELNS1_11target_archE906ELNS1_3gpuE6ELNS1_3repE0EEENS1_30default_config_static_selectorELNS0_4arch9wavefront6targetE1EEEvT1_.kd
    .uniform_work_group_size: 1
    .uses_dynamic_stack: false
    .vgpr_count:     0
    .vgpr_spill_count: 0
    .wavefront_size: 64
  - .agpr_count:     0
    .args:
      - .offset:         0
        .size:           112
        .value_kind:     by_value
    .group_segment_fixed_size: 0
    .kernarg_segment_align: 8
    .kernarg_segment_size: 112
    .language:       OpenCL C
    .language_version:
      - 2
      - 0
    .max_flat_workgroup_size: 256
    .name:           _ZN7rocprim17ROCPRIM_400000_NS6detail17trampoline_kernelINS0_14default_configENS1_27scan_by_key_config_selectorIitEEZZNS1_16scan_by_key_implILNS1_25lookback_scan_determinismE0ELb0ES3_N6thrust23THRUST_200600_302600_NS6detail15normal_iteratorINS9_10device_ptrIiEEEENSB_INSC_ItEEEESG_tNS9_4plusIvEENS9_8equal_toIvEEtEE10hipError_tPvRmT2_T3_T4_T5_mT6_T7_P12ihipStream_tbENKUlT_T0_E_clISt17integral_constantIbLb0EES11_EEDaSW_SX_EUlSW_E_NS1_11comp_targetILNS1_3genE10ELNS1_11target_archE1200ELNS1_3gpuE4ELNS1_3repE0EEENS1_30default_config_static_selectorELNS0_4arch9wavefront6targetE1EEEvT1_
    .private_segment_fixed_size: 0
    .sgpr_count:     6
    .sgpr_spill_count: 0
    .symbol:         _ZN7rocprim17ROCPRIM_400000_NS6detail17trampoline_kernelINS0_14default_configENS1_27scan_by_key_config_selectorIitEEZZNS1_16scan_by_key_implILNS1_25lookback_scan_determinismE0ELb0ES3_N6thrust23THRUST_200600_302600_NS6detail15normal_iteratorINS9_10device_ptrIiEEEENSB_INSC_ItEEEESG_tNS9_4plusIvEENS9_8equal_toIvEEtEE10hipError_tPvRmT2_T3_T4_T5_mT6_T7_P12ihipStream_tbENKUlT_T0_E_clISt17integral_constantIbLb0EES11_EEDaSW_SX_EUlSW_E_NS1_11comp_targetILNS1_3genE10ELNS1_11target_archE1200ELNS1_3gpuE4ELNS1_3repE0EEENS1_30default_config_static_selectorELNS0_4arch9wavefront6targetE1EEEvT1_.kd
    .uniform_work_group_size: 1
    .uses_dynamic_stack: false
    .vgpr_count:     0
    .vgpr_spill_count: 0
    .wavefront_size: 64
  - .agpr_count:     0
    .args:
      - .offset:         0
        .size:           112
        .value_kind:     by_value
    .group_segment_fixed_size: 0
    .kernarg_segment_align: 8
    .kernarg_segment_size: 112
    .language:       OpenCL C
    .language_version:
      - 2
      - 0
    .max_flat_workgroup_size: 64
    .name:           _ZN7rocprim17ROCPRIM_400000_NS6detail17trampoline_kernelINS0_14default_configENS1_27scan_by_key_config_selectorIitEEZZNS1_16scan_by_key_implILNS1_25lookback_scan_determinismE0ELb0ES3_N6thrust23THRUST_200600_302600_NS6detail15normal_iteratorINS9_10device_ptrIiEEEENSB_INSC_ItEEEESG_tNS9_4plusIvEENS9_8equal_toIvEEtEE10hipError_tPvRmT2_T3_T4_T5_mT6_T7_P12ihipStream_tbENKUlT_T0_E_clISt17integral_constantIbLb0EES11_EEDaSW_SX_EUlSW_E_NS1_11comp_targetILNS1_3genE9ELNS1_11target_archE1100ELNS1_3gpuE3ELNS1_3repE0EEENS1_30default_config_static_selectorELNS0_4arch9wavefront6targetE1EEEvT1_
    .private_segment_fixed_size: 0
    .sgpr_count:     6
    .sgpr_spill_count: 0
    .symbol:         _ZN7rocprim17ROCPRIM_400000_NS6detail17trampoline_kernelINS0_14default_configENS1_27scan_by_key_config_selectorIitEEZZNS1_16scan_by_key_implILNS1_25lookback_scan_determinismE0ELb0ES3_N6thrust23THRUST_200600_302600_NS6detail15normal_iteratorINS9_10device_ptrIiEEEENSB_INSC_ItEEEESG_tNS9_4plusIvEENS9_8equal_toIvEEtEE10hipError_tPvRmT2_T3_T4_T5_mT6_T7_P12ihipStream_tbENKUlT_T0_E_clISt17integral_constantIbLb0EES11_EEDaSW_SX_EUlSW_E_NS1_11comp_targetILNS1_3genE9ELNS1_11target_archE1100ELNS1_3gpuE3ELNS1_3repE0EEENS1_30default_config_static_selectorELNS0_4arch9wavefront6targetE1EEEvT1_.kd
    .uniform_work_group_size: 1
    .uses_dynamic_stack: false
    .vgpr_count:     0
    .vgpr_spill_count: 0
    .wavefront_size: 64
  - .agpr_count:     0
    .args:
      - .offset:         0
        .size:           112
        .value_kind:     by_value
    .group_segment_fixed_size: 0
    .kernarg_segment_align: 8
    .kernarg_segment_size: 112
    .language:       OpenCL C
    .language_version:
      - 2
      - 0
    .max_flat_workgroup_size: 64
    .name:           _ZN7rocprim17ROCPRIM_400000_NS6detail17trampoline_kernelINS0_14default_configENS1_27scan_by_key_config_selectorIitEEZZNS1_16scan_by_key_implILNS1_25lookback_scan_determinismE0ELb0ES3_N6thrust23THRUST_200600_302600_NS6detail15normal_iteratorINS9_10device_ptrIiEEEENSB_INSC_ItEEEESG_tNS9_4plusIvEENS9_8equal_toIvEEtEE10hipError_tPvRmT2_T3_T4_T5_mT6_T7_P12ihipStream_tbENKUlT_T0_E_clISt17integral_constantIbLb0EES11_EEDaSW_SX_EUlSW_E_NS1_11comp_targetILNS1_3genE8ELNS1_11target_archE1030ELNS1_3gpuE2ELNS1_3repE0EEENS1_30default_config_static_selectorELNS0_4arch9wavefront6targetE1EEEvT1_
    .private_segment_fixed_size: 0
    .sgpr_count:     6
    .sgpr_spill_count: 0
    .symbol:         _ZN7rocprim17ROCPRIM_400000_NS6detail17trampoline_kernelINS0_14default_configENS1_27scan_by_key_config_selectorIitEEZZNS1_16scan_by_key_implILNS1_25lookback_scan_determinismE0ELb0ES3_N6thrust23THRUST_200600_302600_NS6detail15normal_iteratorINS9_10device_ptrIiEEEENSB_INSC_ItEEEESG_tNS9_4plusIvEENS9_8equal_toIvEEtEE10hipError_tPvRmT2_T3_T4_T5_mT6_T7_P12ihipStream_tbENKUlT_T0_E_clISt17integral_constantIbLb0EES11_EEDaSW_SX_EUlSW_E_NS1_11comp_targetILNS1_3genE8ELNS1_11target_archE1030ELNS1_3gpuE2ELNS1_3repE0EEENS1_30default_config_static_selectorELNS0_4arch9wavefront6targetE1EEEvT1_.kd
    .uniform_work_group_size: 1
    .uses_dynamic_stack: false
    .vgpr_count:     0
    .vgpr_spill_count: 0
    .wavefront_size: 64
  - .agpr_count:     0
    .args:
      - .address_space:  global
        .offset:         0
        .size:           8
        .value_kind:     global_buffer
      - .offset:         8
        .size:           4
        .value_kind:     by_value
      - .offset:         12
        .size:           4
        .value_kind:     by_value
      - .address_space:  global
        .offset:         16
        .size:           8
        .value_kind:     global_buffer
      - .address_space:  global
        .offset:         24
        .size:           8
        .value_kind:     global_buffer
      - .actual_access:  write_only
        .address_space:  global
        .offset:         32
        .size:           8
        .value_kind:     global_buffer
      - .offset:         40
        .size:           8
        .value_kind:     by_value
      - .offset:         48
        .size:           4
        .value_kind:     by_value
      - .address_space:  global
        .offset:         56
        .size:           8
        .value_kind:     global_buffer
      - .offset:         64
        .size:           4
        .value_kind:     hidden_block_count_x
      - .offset:         68
        .size:           4
        .value_kind:     hidden_block_count_y
      - .offset:         72
        .size:           4
        .value_kind:     hidden_block_count_z
      - .offset:         76
        .size:           2
        .value_kind:     hidden_group_size_x
      - .offset:         78
        .size:           2
        .value_kind:     hidden_group_size_y
      - .offset:         80
        .size:           2
        .value_kind:     hidden_group_size_z
      - .offset:         82
        .size:           2
        .value_kind:     hidden_remainder_x
      - .offset:         84
        .size:           2
        .value_kind:     hidden_remainder_y
      - .offset:         86
        .size:           2
        .value_kind:     hidden_remainder_z
      - .offset:         104
        .size:           8
        .value_kind:     hidden_global_offset_x
      - .offset:         112
        .size:           8
        .value_kind:     hidden_global_offset_y
      - .offset:         120
        .size:           8
        .value_kind:     hidden_global_offset_z
      - .offset:         128
        .size:           2
        .value_kind:     hidden_grid_dims
    .group_segment_fixed_size: 0
    .kernarg_segment_align: 8
    .kernarg_segment_size: 320
    .language:       OpenCL C
    .language_version:
      - 2
      - 0
    .max_flat_workgroup_size: 256
    .name:           _ZN7rocprim17ROCPRIM_400000_NS6detail30init_device_scan_by_key_kernelINS1_19lookback_scan_stateINS0_5tupleIJtbEEELb1ELb1EEEN6thrust23THRUST_200600_302600_NS6detail15normal_iteratorINS8_10device_ptrIiEEEEjNS1_16block_id_wrapperIjLb1EEEEEvT_jjPNSG_10value_typeET0_PNSt15iterator_traitsISJ_E10value_typeEmT1_T2_
    .private_segment_fixed_size: 0
    .sgpr_count:     24
    .sgpr_spill_count: 0
    .symbol:         _ZN7rocprim17ROCPRIM_400000_NS6detail30init_device_scan_by_key_kernelINS1_19lookback_scan_stateINS0_5tupleIJtbEEELb1ELb1EEEN6thrust23THRUST_200600_302600_NS6detail15normal_iteratorINS8_10device_ptrIiEEEEjNS1_16block_id_wrapperIjLb1EEEEEvT_jjPNSG_10value_typeET0_PNSt15iterator_traitsISJ_E10value_typeEmT1_T2_.kd
    .uniform_work_group_size: 1
    .uses_dynamic_stack: false
    .vgpr_count:     7
    .vgpr_spill_count: 0
    .wavefront_size: 64
  - .agpr_count:     0
    .args:
      - .address_space:  global
        .offset:         0
        .size:           8
        .value_kind:     global_buffer
      - .offset:         8
        .size:           4
        .value_kind:     by_value
      - .offset:         12
        .size:           4
        .value_kind:     by_value
      - .address_space:  global
        .offset:         16
        .size:           8
        .value_kind:     global_buffer
      - .address_space:  global
        .offset:         24
        .size:           8
        .value_kind:     global_buffer
      - .offset:         32
        .size:           4
        .value_kind:     hidden_block_count_x
      - .offset:         36
        .size:           4
        .value_kind:     hidden_block_count_y
      - .offset:         40
        .size:           4
        .value_kind:     hidden_block_count_z
      - .offset:         44
        .size:           2
        .value_kind:     hidden_group_size_x
      - .offset:         46
        .size:           2
        .value_kind:     hidden_group_size_y
      - .offset:         48
        .size:           2
        .value_kind:     hidden_group_size_z
      - .offset:         50
        .size:           2
        .value_kind:     hidden_remainder_x
      - .offset:         52
        .size:           2
        .value_kind:     hidden_remainder_y
      - .offset:         54
        .size:           2
        .value_kind:     hidden_remainder_z
      - .offset:         72
        .size:           8
        .value_kind:     hidden_global_offset_x
      - .offset:         80
        .size:           8
        .value_kind:     hidden_global_offset_y
      - .offset:         88
        .size:           8
        .value_kind:     hidden_global_offset_z
      - .offset:         96
        .size:           2
        .value_kind:     hidden_grid_dims
    .group_segment_fixed_size: 0
    .kernarg_segment_align: 8
    .kernarg_segment_size: 288
    .language:       OpenCL C
    .language_version:
      - 2
      - 0
    .max_flat_workgroup_size: 256
    .name:           _ZN7rocprim17ROCPRIM_400000_NS6detail30init_device_scan_by_key_kernelINS1_19lookback_scan_stateINS0_5tupleIJtbEEELb1ELb1EEENS1_16block_id_wrapperIjLb1EEEEEvT_jjPNS9_10value_typeET0_
    .private_segment_fixed_size: 0
    .sgpr_count:     20
    .sgpr_spill_count: 0
    .symbol:         _ZN7rocprim17ROCPRIM_400000_NS6detail30init_device_scan_by_key_kernelINS1_19lookback_scan_stateINS0_5tupleIJtbEEELb1ELb1EEENS1_16block_id_wrapperIjLb1EEEEEvT_jjPNS9_10value_typeET0_.kd
    .uniform_work_group_size: 1
    .uses_dynamic_stack: false
    .vgpr_count:     6
    .vgpr_spill_count: 0
    .wavefront_size: 64
  - .agpr_count:     0
    .args:
      - .offset:         0
        .size:           112
        .value_kind:     by_value
    .group_segment_fixed_size: 0
    .kernarg_segment_align: 8
    .kernarg_segment_size: 112
    .language:       OpenCL C
    .language_version:
      - 2
      - 0
    .max_flat_workgroup_size: 256
    .name:           _ZN7rocprim17ROCPRIM_400000_NS6detail17trampoline_kernelINS0_14default_configENS1_27scan_by_key_config_selectorIitEEZZNS1_16scan_by_key_implILNS1_25lookback_scan_determinismE0ELb0ES3_N6thrust23THRUST_200600_302600_NS6detail15normal_iteratorINS9_10device_ptrIiEEEENSB_INSC_ItEEEESG_tNS9_4plusIvEENS9_8equal_toIvEEtEE10hipError_tPvRmT2_T3_T4_T5_mT6_T7_P12ihipStream_tbENKUlT_T0_E_clISt17integral_constantIbLb1EES11_EEDaSW_SX_EUlSW_E_NS1_11comp_targetILNS1_3genE0ELNS1_11target_archE4294967295ELNS1_3gpuE0ELNS1_3repE0EEENS1_30default_config_static_selectorELNS0_4arch9wavefront6targetE1EEEvT1_
    .private_segment_fixed_size: 0
    .sgpr_count:     6
    .sgpr_spill_count: 0
    .symbol:         _ZN7rocprim17ROCPRIM_400000_NS6detail17trampoline_kernelINS0_14default_configENS1_27scan_by_key_config_selectorIitEEZZNS1_16scan_by_key_implILNS1_25lookback_scan_determinismE0ELb0ES3_N6thrust23THRUST_200600_302600_NS6detail15normal_iteratorINS9_10device_ptrIiEEEENSB_INSC_ItEEEESG_tNS9_4plusIvEENS9_8equal_toIvEEtEE10hipError_tPvRmT2_T3_T4_T5_mT6_T7_P12ihipStream_tbENKUlT_T0_E_clISt17integral_constantIbLb1EES11_EEDaSW_SX_EUlSW_E_NS1_11comp_targetILNS1_3genE0ELNS1_11target_archE4294967295ELNS1_3gpuE0ELNS1_3repE0EEENS1_30default_config_static_selectorELNS0_4arch9wavefront6targetE1EEEvT1_.kd
    .uniform_work_group_size: 1
    .uses_dynamic_stack: false
    .vgpr_count:     0
    .vgpr_spill_count: 0
    .wavefront_size: 64
  - .agpr_count:     0
    .args:
      - .offset:         0
        .size:           112
        .value_kind:     by_value
    .group_segment_fixed_size: 0
    .kernarg_segment_align: 8
    .kernarg_segment_size: 112
    .language:       OpenCL C
    .language_version:
      - 2
      - 0
    .max_flat_workgroup_size: 256
    .name:           _ZN7rocprim17ROCPRIM_400000_NS6detail17trampoline_kernelINS0_14default_configENS1_27scan_by_key_config_selectorIitEEZZNS1_16scan_by_key_implILNS1_25lookback_scan_determinismE0ELb0ES3_N6thrust23THRUST_200600_302600_NS6detail15normal_iteratorINS9_10device_ptrIiEEEENSB_INSC_ItEEEESG_tNS9_4plusIvEENS9_8equal_toIvEEtEE10hipError_tPvRmT2_T3_T4_T5_mT6_T7_P12ihipStream_tbENKUlT_T0_E_clISt17integral_constantIbLb1EES11_EEDaSW_SX_EUlSW_E_NS1_11comp_targetILNS1_3genE10ELNS1_11target_archE1201ELNS1_3gpuE5ELNS1_3repE0EEENS1_30default_config_static_selectorELNS0_4arch9wavefront6targetE1EEEvT1_
    .private_segment_fixed_size: 0
    .sgpr_count:     6
    .sgpr_spill_count: 0
    .symbol:         _ZN7rocprim17ROCPRIM_400000_NS6detail17trampoline_kernelINS0_14default_configENS1_27scan_by_key_config_selectorIitEEZZNS1_16scan_by_key_implILNS1_25lookback_scan_determinismE0ELb0ES3_N6thrust23THRUST_200600_302600_NS6detail15normal_iteratorINS9_10device_ptrIiEEEENSB_INSC_ItEEEESG_tNS9_4plusIvEENS9_8equal_toIvEEtEE10hipError_tPvRmT2_T3_T4_T5_mT6_T7_P12ihipStream_tbENKUlT_T0_E_clISt17integral_constantIbLb1EES11_EEDaSW_SX_EUlSW_E_NS1_11comp_targetILNS1_3genE10ELNS1_11target_archE1201ELNS1_3gpuE5ELNS1_3repE0EEENS1_30default_config_static_selectorELNS0_4arch9wavefront6targetE1EEEvT1_.kd
    .uniform_work_group_size: 1
    .uses_dynamic_stack: false
    .vgpr_count:     0
    .vgpr_spill_count: 0
    .wavefront_size: 64
  - .agpr_count:     0
    .args:
      - .offset:         0
        .size:           112
        .value_kind:     by_value
    .group_segment_fixed_size: 26624
    .kernarg_segment_align: 8
    .kernarg_segment_size: 112
    .language:       OpenCL C
    .language_version:
      - 2
      - 0
    .max_flat_workgroup_size: 256
    .name:           _ZN7rocprim17ROCPRIM_400000_NS6detail17trampoline_kernelINS0_14default_configENS1_27scan_by_key_config_selectorIitEEZZNS1_16scan_by_key_implILNS1_25lookback_scan_determinismE0ELb0ES3_N6thrust23THRUST_200600_302600_NS6detail15normal_iteratorINS9_10device_ptrIiEEEENSB_INSC_ItEEEESG_tNS9_4plusIvEENS9_8equal_toIvEEtEE10hipError_tPvRmT2_T3_T4_T5_mT6_T7_P12ihipStream_tbENKUlT_T0_E_clISt17integral_constantIbLb1EES11_EEDaSW_SX_EUlSW_E_NS1_11comp_targetILNS1_3genE5ELNS1_11target_archE942ELNS1_3gpuE9ELNS1_3repE0EEENS1_30default_config_static_selectorELNS0_4arch9wavefront6targetE1EEEvT1_
    .private_segment_fixed_size: 0
    .sgpr_count:     93
    .sgpr_spill_count: 0
    .symbol:         _ZN7rocprim17ROCPRIM_400000_NS6detail17trampoline_kernelINS0_14default_configENS1_27scan_by_key_config_selectorIitEEZZNS1_16scan_by_key_implILNS1_25lookback_scan_determinismE0ELb0ES3_N6thrust23THRUST_200600_302600_NS6detail15normal_iteratorINS9_10device_ptrIiEEEENSB_INSC_ItEEEESG_tNS9_4plusIvEENS9_8equal_toIvEEtEE10hipError_tPvRmT2_T3_T4_T5_mT6_T7_P12ihipStream_tbENKUlT_T0_E_clISt17integral_constantIbLb1EES11_EEDaSW_SX_EUlSW_E_NS1_11comp_targetILNS1_3genE5ELNS1_11target_archE942ELNS1_3gpuE9ELNS1_3repE0EEENS1_30default_config_static_selectorELNS0_4arch9wavefront6targetE1EEEvT1_.kd
    .uniform_work_group_size: 1
    .uses_dynamic_stack: false
    .vgpr_count:     62
    .vgpr_spill_count: 0
    .wavefront_size: 64
  - .agpr_count:     0
    .args:
      - .offset:         0
        .size:           112
        .value_kind:     by_value
    .group_segment_fixed_size: 0
    .kernarg_segment_align: 8
    .kernarg_segment_size: 112
    .language:       OpenCL C
    .language_version:
      - 2
      - 0
    .max_flat_workgroup_size: 64
    .name:           _ZN7rocprim17ROCPRIM_400000_NS6detail17trampoline_kernelINS0_14default_configENS1_27scan_by_key_config_selectorIitEEZZNS1_16scan_by_key_implILNS1_25lookback_scan_determinismE0ELb0ES3_N6thrust23THRUST_200600_302600_NS6detail15normal_iteratorINS9_10device_ptrIiEEEENSB_INSC_ItEEEESG_tNS9_4plusIvEENS9_8equal_toIvEEtEE10hipError_tPvRmT2_T3_T4_T5_mT6_T7_P12ihipStream_tbENKUlT_T0_E_clISt17integral_constantIbLb1EES11_EEDaSW_SX_EUlSW_E_NS1_11comp_targetILNS1_3genE4ELNS1_11target_archE910ELNS1_3gpuE8ELNS1_3repE0EEENS1_30default_config_static_selectorELNS0_4arch9wavefront6targetE1EEEvT1_
    .private_segment_fixed_size: 0
    .sgpr_count:     6
    .sgpr_spill_count: 0
    .symbol:         _ZN7rocprim17ROCPRIM_400000_NS6detail17trampoline_kernelINS0_14default_configENS1_27scan_by_key_config_selectorIitEEZZNS1_16scan_by_key_implILNS1_25lookback_scan_determinismE0ELb0ES3_N6thrust23THRUST_200600_302600_NS6detail15normal_iteratorINS9_10device_ptrIiEEEENSB_INSC_ItEEEESG_tNS9_4plusIvEENS9_8equal_toIvEEtEE10hipError_tPvRmT2_T3_T4_T5_mT6_T7_P12ihipStream_tbENKUlT_T0_E_clISt17integral_constantIbLb1EES11_EEDaSW_SX_EUlSW_E_NS1_11comp_targetILNS1_3genE4ELNS1_11target_archE910ELNS1_3gpuE8ELNS1_3repE0EEENS1_30default_config_static_selectorELNS0_4arch9wavefront6targetE1EEEvT1_.kd
    .uniform_work_group_size: 1
    .uses_dynamic_stack: false
    .vgpr_count:     0
    .vgpr_spill_count: 0
    .wavefront_size: 64
  - .agpr_count:     0
    .args:
      - .offset:         0
        .size:           112
        .value_kind:     by_value
    .group_segment_fixed_size: 0
    .kernarg_segment_align: 8
    .kernarg_segment_size: 112
    .language:       OpenCL C
    .language_version:
      - 2
      - 0
    .max_flat_workgroup_size: 256
    .name:           _ZN7rocprim17ROCPRIM_400000_NS6detail17trampoline_kernelINS0_14default_configENS1_27scan_by_key_config_selectorIitEEZZNS1_16scan_by_key_implILNS1_25lookback_scan_determinismE0ELb0ES3_N6thrust23THRUST_200600_302600_NS6detail15normal_iteratorINS9_10device_ptrIiEEEENSB_INSC_ItEEEESG_tNS9_4plusIvEENS9_8equal_toIvEEtEE10hipError_tPvRmT2_T3_T4_T5_mT6_T7_P12ihipStream_tbENKUlT_T0_E_clISt17integral_constantIbLb1EES11_EEDaSW_SX_EUlSW_E_NS1_11comp_targetILNS1_3genE3ELNS1_11target_archE908ELNS1_3gpuE7ELNS1_3repE0EEENS1_30default_config_static_selectorELNS0_4arch9wavefront6targetE1EEEvT1_
    .private_segment_fixed_size: 0
    .sgpr_count:     6
    .sgpr_spill_count: 0
    .symbol:         _ZN7rocprim17ROCPRIM_400000_NS6detail17trampoline_kernelINS0_14default_configENS1_27scan_by_key_config_selectorIitEEZZNS1_16scan_by_key_implILNS1_25lookback_scan_determinismE0ELb0ES3_N6thrust23THRUST_200600_302600_NS6detail15normal_iteratorINS9_10device_ptrIiEEEENSB_INSC_ItEEEESG_tNS9_4plusIvEENS9_8equal_toIvEEtEE10hipError_tPvRmT2_T3_T4_T5_mT6_T7_P12ihipStream_tbENKUlT_T0_E_clISt17integral_constantIbLb1EES11_EEDaSW_SX_EUlSW_E_NS1_11comp_targetILNS1_3genE3ELNS1_11target_archE908ELNS1_3gpuE7ELNS1_3repE0EEENS1_30default_config_static_selectorELNS0_4arch9wavefront6targetE1EEEvT1_.kd
    .uniform_work_group_size: 1
    .uses_dynamic_stack: false
    .vgpr_count:     0
    .vgpr_spill_count: 0
    .wavefront_size: 64
  - .agpr_count:     0
    .args:
      - .offset:         0
        .size:           112
        .value_kind:     by_value
    .group_segment_fixed_size: 0
    .kernarg_segment_align: 8
    .kernarg_segment_size: 112
    .language:       OpenCL C
    .language_version:
      - 2
      - 0
    .max_flat_workgroup_size: 64
    .name:           _ZN7rocprim17ROCPRIM_400000_NS6detail17trampoline_kernelINS0_14default_configENS1_27scan_by_key_config_selectorIitEEZZNS1_16scan_by_key_implILNS1_25lookback_scan_determinismE0ELb0ES3_N6thrust23THRUST_200600_302600_NS6detail15normal_iteratorINS9_10device_ptrIiEEEENSB_INSC_ItEEEESG_tNS9_4plusIvEENS9_8equal_toIvEEtEE10hipError_tPvRmT2_T3_T4_T5_mT6_T7_P12ihipStream_tbENKUlT_T0_E_clISt17integral_constantIbLb1EES11_EEDaSW_SX_EUlSW_E_NS1_11comp_targetILNS1_3genE2ELNS1_11target_archE906ELNS1_3gpuE6ELNS1_3repE0EEENS1_30default_config_static_selectorELNS0_4arch9wavefront6targetE1EEEvT1_
    .private_segment_fixed_size: 0
    .sgpr_count:     6
    .sgpr_spill_count: 0
    .symbol:         _ZN7rocprim17ROCPRIM_400000_NS6detail17trampoline_kernelINS0_14default_configENS1_27scan_by_key_config_selectorIitEEZZNS1_16scan_by_key_implILNS1_25lookback_scan_determinismE0ELb0ES3_N6thrust23THRUST_200600_302600_NS6detail15normal_iteratorINS9_10device_ptrIiEEEENSB_INSC_ItEEEESG_tNS9_4plusIvEENS9_8equal_toIvEEtEE10hipError_tPvRmT2_T3_T4_T5_mT6_T7_P12ihipStream_tbENKUlT_T0_E_clISt17integral_constantIbLb1EES11_EEDaSW_SX_EUlSW_E_NS1_11comp_targetILNS1_3genE2ELNS1_11target_archE906ELNS1_3gpuE6ELNS1_3repE0EEENS1_30default_config_static_selectorELNS0_4arch9wavefront6targetE1EEEvT1_.kd
    .uniform_work_group_size: 1
    .uses_dynamic_stack: false
    .vgpr_count:     0
    .vgpr_spill_count: 0
    .wavefront_size: 64
  - .agpr_count:     0
    .args:
      - .offset:         0
        .size:           112
        .value_kind:     by_value
    .group_segment_fixed_size: 0
    .kernarg_segment_align: 8
    .kernarg_segment_size: 112
    .language:       OpenCL C
    .language_version:
      - 2
      - 0
    .max_flat_workgroup_size: 256
    .name:           _ZN7rocprim17ROCPRIM_400000_NS6detail17trampoline_kernelINS0_14default_configENS1_27scan_by_key_config_selectorIitEEZZNS1_16scan_by_key_implILNS1_25lookback_scan_determinismE0ELb0ES3_N6thrust23THRUST_200600_302600_NS6detail15normal_iteratorINS9_10device_ptrIiEEEENSB_INSC_ItEEEESG_tNS9_4plusIvEENS9_8equal_toIvEEtEE10hipError_tPvRmT2_T3_T4_T5_mT6_T7_P12ihipStream_tbENKUlT_T0_E_clISt17integral_constantIbLb1EES11_EEDaSW_SX_EUlSW_E_NS1_11comp_targetILNS1_3genE10ELNS1_11target_archE1200ELNS1_3gpuE4ELNS1_3repE0EEENS1_30default_config_static_selectorELNS0_4arch9wavefront6targetE1EEEvT1_
    .private_segment_fixed_size: 0
    .sgpr_count:     6
    .sgpr_spill_count: 0
    .symbol:         _ZN7rocprim17ROCPRIM_400000_NS6detail17trampoline_kernelINS0_14default_configENS1_27scan_by_key_config_selectorIitEEZZNS1_16scan_by_key_implILNS1_25lookback_scan_determinismE0ELb0ES3_N6thrust23THRUST_200600_302600_NS6detail15normal_iteratorINS9_10device_ptrIiEEEENSB_INSC_ItEEEESG_tNS9_4plusIvEENS9_8equal_toIvEEtEE10hipError_tPvRmT2_T3_T4_T5_mT6_T7_P12ihipStream_tbENKUlT_T0_E_clISt17integral_constantIbLb1EES11_EEDaSW_SX_EUlSW_E_NS1_11comp_targetILNS1_3genE10ELNS1_11target_archE1200ELNS1_3gpuE4ELNS1_3repE0EEENS1_30default_config_static_selectorELNS0_4arch9wavefront6targetE1EEEvT1_.kd
    .uniform_work_group_size: 1
    .uses_dynamic_stack: false
    .vgpr_count:     0
    .vgpr_spill_count: 0
    .wavefront_size: 64
  - .agpr_count:     0
    .args:
      - .offset:         0
        .size:           112
        .value_kind:     by_value
    .group_segment_fixed_size: 0
    .kernarg_segment_align: 8
    .kernarg_segment_size: 112
    .language:       OpenCL C
    .language_version:
      - 2
      - 0
    .max_flat_workgroup_size: 64
    .name:           _ZN7rocprim17ROCPRIM_400000_NS6detail17trampoline_kernelINS0_14default_configENS1_27scan_by_key_config_selectorIitEEZZNS1_16scan_by_key_implILNS1_25lookback_scan_determinismE0ELb0ES3_N6thrust23THRUST_200600_302600_NS6detail15normal_iteratorINS9_10device_ptrIiEEEENSB_INSC_ItEEEESG_tNS9_4plusIvEENS9_8equal_toIvEEtEE10hipError_tPvRmT2_T3_T4_T5_mT6_T7_P12ihipStream_tbENKUlT_T0_E_clISt17integral_constantIbLb1EES11_EEDaSW_SX_EUlSW_E_NS1_11comp_targetILNS1_3genE9ELNS1_11target_archE1100ELNS1_3gpuE3ELNS1_3repE0EEENS1_30default_config_static_selectorELNS0_4arch9wavefront6targetE1EEEvT1_
    .private_segment_fixed_size: 0
    .sgpr_count:     6
    .sgpr_spill_count: 0
    .symbol:         _ZN7rocprim17ROCPRIM_400000_NS6detail17trampoline_kernelINS0_14default_configENS1_27scan_by_key_config_selectorIitEEZZNS1_16scan_by_key_implILNS1_25lookback_scan_determinismE0ELb0ES3_N6thrust23THRUST_200600_302600_NS6detail15normal_iteratorINS9_10device_ptrIiEEEENSB_INSC_ItEEEESG_tNS9_4plusIvEENS9_8equal_toIvEEtEE10hipError_tPvRmT2_T3_T4_T5_mT6_T7_P12ihipStream_tbENKUlT_T0_E_clISt17integral_constantIbLb1EES11_EEDaSW_SX_EUlSW_E_NS1_11comp_targetILNS1_3genE9ELNS1_11target_archE1100ELNS1_3gpuE3ELNS1_3repE0EEENS1_30default_config_static_selectorELNS0_4arch9wavefront6targetE1EEEvT1_.kd
    .uniform_work_group_size: 1
    .uses_dynamic_stack: false
    .vgpr_count:     0
    .vgpr_spill_count: 0
    .wavefront_size: 64
  - .agpr_count:     0
    .args:
      - .offset:         0
        .size:           112
        .value_kind:     by_value
    .group_segment_fixed_size: 0
    .kernarg_segment_align: 8
    .kernarg_segment_size: 112
    .language:       OpenCL C
    .language_version:
      - 2
      - 0
    .max_flat_workgroup_size: 64
    .name:           _ZN7rocprim17ROCPRIM_400000_NS6detail17trampoline_kernelINS0_14default_configENS1_27scan_by_key_config_selectorIitEEZZNS1_16scan_by_key_implILNS1_25lookback_scan_determinismE0ELb0ES3_N6thrust23THRUST_200600_302600_NS6detail15normal_iteratorINS9_10device_ptrIiEEEENSB_INSC_ItEEEESG_tNS9_4plusIvEENS9_8equal_toIvEEtEE10hipError_tPvRmT2_T3_T4_T5_mT6_T7_P12ihipStream_tbENKUlT_T0_E_clISt17integral_constantIbLb1EES11_EEDaSW_SX_EUlSW_E_NS1_11comp_targetILNS1_3genE8ELNS1_11target_archE1030ELNS1_3gpuE2ELNS1_3repE0EEENS1_30default_config_static_selectorELNS0_4arch9wavefront6targetE1EEEvT1_
    .private_segment_fixed_size: 0
    .sgpr_count:     6
    .sgpr_spill_count: 0
    .symbol:         _ZN7rocprim17ROCPRIM_400000_NS6detail17trampoline_kernelINS0_14default_configENS1_27scan_by_key_config_selectorIitEEZZNS1_16scan_by_key_implILNS1_25lookback_scan_determinismE0ELb0ES3_N6thrust23THRUST_200600_302600_NS6detail15normal_iteratorINS9_10device_ptrIiEEEENSB_INSC_ItEEEESG_tNS9_4plusIvEENS9_8equal_toIvEEtEE10hipError_tPvRmT2_T3_T4_T5_mT6_T7_P12ihipStream_tbENKUlT_T0_E_clISt17integral_constantIbLb1EES11_EEDaSW_SX_EUlSW_E_NS1_11comp_targetILNS1_3genE8ELNS1_11target_archE1030ELNS1_3gpuE2ELNS1_3repE0EEENS1_30default_config_static_selectorELNS0_4arch9wavefront6targetE1EEEvT1_.kd
    .uniform_work_group_size: 1
    .uses_dynamic_stack: false
    .vgpr_count:     0
    .vgpr_spill_count: 0
    .wavefront_size: 64
  - .agpr_count:     0
    .args:
      - .address_space:  global
        .offset:         0
        .size:           8
        .value_kind:     global_buffer
      - .offset:         8
        .size:           4
        .value_kind:     by_value
      - .offset:         12
        .size:           4
        .value_kind:     by_value
      - .address_space:  global
        .offset:         16
        .size:           8
        .value_kind:     global_buffer
      - .address_space:  global
        .offset:         24
        .size:           8
        .value_kind:     global_buffer
      - .actual_access:  write_only
        .address_space:  global
        .offset:         32
        .size:           8
        .value_kind:     global_buffer
      - .offset:         40
        .size:           8
        .value_kind:     by_value
      - .offset:         48
        .size:           4
        .value_kind:     by_value
      - .offset:         52
        .size:           1
        .value_kind:     by_value
      - .offset:         56
        .size:           4
        .value_kind:     hidden_block_count_x
      - .offset:         60
        .size:           4
        .value_kind:     hidden_block_count_y
      - .offset:         64
        .size:           4
        .value_kind:     hidden_block_count_z
      - .offset:         68
        .size:           2
        .value_kind:     hidden_group_size_x
      - .offset:         70
        .size:           2
        .value_kind:     hidden_group_size_y
      - .offset:         72
        .size:           2
        .value_kind:     hidden_group_size_z
      - .offset:         74
        .size:           2
        .value_kind:     hidden_remainder_x
      - .offset:         76
        .size:           2
        .value_kind:     hidden_remainder_y
      - .offset:         78
        .size:           2
        .value_kind:     hidden_remainder_z
      - .offset:         96
        .size:           8
        .value_kind:     hidden_global_offset_x
      - .offset:         104
        .size:           8
        .value_kind:     hidden_global_offset_y
      - .offset:         112
        .size:           8
        .value_kind:     hidden_global_offset_z
      - .offset:         120
        .size:           2
        .value_kind:     hidden_grid_dims
    .group_segment_fixed_size: 0
    .kernarg_segment_align: 8
    .kernarg_segment_size: 312
    .language:       OpenCL C
    .language_version:
      - 2
      - 0
    .max_flat_workgroup_size: 256
    .name:           _ZN7rocprim17ROCPRIM_400000_NS6detail30init_device_scan_by_key_kernelINS1_19lookback_scan_stateINS0_5tupleIJtbEEELb1ELb1EEEN6thrust23THRUST_200600_302600_NS6detail15normal_iteratorINS8_10device_ptrIiEEEEjNS1_16block_id_wrapperIjLb0EEEEEvT_jjPNSG_10value_typeET0_PNSt15iterator_traitsISJ_E10value_typeEmT1_T2_
    .private_segment_fixed_size: 0
    .sgpr_count:     24
    .sgpr_spill_count: 0
    .symbol:         _ZN7rocprim17ROCPRIM_400000_NS6detail30init_device_scan_by_key_kernelINS1_19lookback_scan_stateINS0_5tupleIJtbEEELb1ELb1EEEN6thrust23THRUST_200600_302600_NS6detail15normal_iteratorINS8_10device_ptrIiEEEEjNS1_16block_id_wrapperIjLb0EEEEEvT_jjPNSG_10value_typeET0_PNSt15iterator_traitsISJ_E10value_typeEmT1_T2_.kd
    .uniform_work_group_size: 1
    .uses_dynamic_stack: false
    .vgpr_count:     7
    .vgpr_spill_count: 0
    .wavefront_size: 64
  - .agpr_count:     0
    .args:
      - .address_space:  global
        .offset:         0
        .size:           8
        .value_kind:     global_buffer
      - .offset:         8
        .size:           4
        .value_kind:     by_value
      - .offset:         12
        .size:           4
        .value_kind:     by_value
      - .address_space:  global
        .offset:         16
        .size:           8
        .value_kind:     global_buffer
      - .offset:         24
        .size:           1
        .value_kind:     by_value
      - .offset:         32
        .size:           4
        .value_kind:     hidden_block_count_x
      - .offset:         36
        .size:           4
        .value_kind:     hidden_block_count_y
      - .offset:         40
        .size:           4
        .value_kind:     hidden_block_count_z
      - .offset:         44
        .size:           2
        .value_kind:     hidden_group_size_x
      - .offset:         46
        .size:           2
        .value_kind:     hidden_group_size_y
      - .offset:         48
        .size:           2
        .value_kind:     hidden_group_size_z
      - .offset:         50
        .size:           2
        .value_kind:     hidden_remainder_x
      - .offset:         52
        .size:           2
        .value_kind:     hidden_remainder_y
      - .offset:         54
        .size:           2
        .value_kind:     hidden_remainder_z
      - .offset:         72
        .size:           8
        .value_kind:     hidden_global_offset_x
      - .offset:         80
        .size:           8
        .value_kind:     hidden_global_offset_y
      - .offset:         88
        .size:           8
        .value_kind:     hidden_global_offset_z
      - .offset:         96
        .size:           2
        .value_kind:     hidden_grid_dims
    .group_segment_fixed_size: 0
    .kernarg_segment_align: 8
    .kernarg_segment_size: 288
    .language:       OpenCL C
    .language_version:
      - 2
      - 0
    .max_flat_workgroup_size: 256
    .name:           _ZN7rocprim17ROCPRIM_400000_NS6detail30init_device_scan_by_key_kernelINS1_19lookback_scan_stateINS0_5tupleIJtbEEELb1ELb1EEENS1_16block_id_wrapperIjLb0EEEEEvT_jjPNS9_10value_typeET0_
    .private_segment_fixed_size: 0
    .sgpr_count:     18
    .sgpr_spill_count: 0
    .symbol:         _ZN7rocprim17ROCPRIM_400000_NS6detail30init_device_scan_by_key_kernelINS1_19lookback_scan_stateINS0_5tupleIJtbEEELb1ELb1EEENS1_16block_id_wrapperIjLb0EEEEEvT_jjPNS9_10value_typeET0_.kd
    .uniform_work_group_size: 1
    .uses_dynamic_stack: false
    .vgpr_count:     6
    .vgpr_spill_count: 0
    .wavefront_size: 64
  - .agpr_count:     0
    .args:
      - .offset:         0
        .size:           112
        .value_kind:     by_value
    .group_segment_fixed_size: 0
    .kernarg_segment_align: 8
    .kernarg_segment_size: 112
    .language:       OpenCL C
    .language_version:
      - 2
      - 0
    .max_flat_workgroup_size: 256
    .name:           _ZN7rocprim17ROCPRIM_400000_NS6detail17trampoline_kernelINS0_14default_configENS1_27scan_by_key_config_selectorIitEEZZNS1_16scan_by_key_implILNS1_25lookback_scan_determinismE0ELb0ES3_N6thrust23THRUST_200600_302600_NS6detail15normal_iteratorINS9_10device_ptrIiEEEENSB_INSC_ItEEEESG_tNS9_4plusIvEENS9_8equal_toIvEEtEE10hipError_tPvRmT2_T3_T4_T5_mT6_T7_P12ihipStream_tbENKUlT_T0_E_clISt17integral_constantIbLb1EES10_IbLb0EEEEDaSW_SX_EUlSW_E_NS1_11comp_targetILNS1_3genE0ELNS1_11target_archE4294967295ELNS1_3gpuE0ELNS1_3repE0EEENS1_30default_config_static_selectorELNS0_4arch9wavefront6targetE1EEEvT1_
    .private_segment_fixed_size: 0
    .sgpr_count:     6
    .sgpr_spill_count: 0
    .symbol:         _ZN7rocprim17ROCPRIM_400000_NS6detail17trampoline_kernelINS0_14default_configENS1_27scan_by_key_config_selectorIitEEZZNS1_16scan_by_key_implILNS1_25lookback_scan_determinismE0ELb0ES3_N6thrust23THRUST_200600_302600_NS6detail15normal_iteratorINS9_10device_ptrIiEEEENSB_INSC_ItEEEESG_tNS9_4plusIvEENS9_8equal_toIvEEtEE10hipError_tPvRmT2_T3_T4_T5_mT6_T7_P12ihipStream_tbENKUlT_T0_E_clISt17integral_constantIbLb1EES10_IbLb0EEEEDaSW_SX_EUlSW_E_NS1_11comp_targetILNS1_3genE0ELNS1_11target_archE4294967295ELNS1_3gpuE0ELNS1_3repE0EEENS1_30default_config_static_selectorELNS0_4arch9wavefront6targetE1EEEvT1_.kd
    .uniform_work_group_size: 1
    .uses_dynamic_stack: false
    .vgpr_count:     0
    .vgpr_spill_count: 0
    .wavefront_size: 64
  - .agpr_count:     0
    .args:
      - .offset:         0
        .size:           112
        .value_kind:     by_value
    .group_segment_fixed_size: 0
    .kernarg_segment_align: 8
    .kernarg_segment_size: 112
    .language:       OpenCL C
    .language_version:
      - 2
      - 0
    .max_flat_workgroup_size: 256
    .name:           _ZN7rocprim17ROCPRIM_400000_NS6detail17trampoline_kernelINS0_14default_configENS1_27scan_by_key_config_selectorIitEEZZNS1_16scan_by_key_implILNS1_25lookback_scan_determinismE0ELb0ES3_N6thrust23THRUST_200600_302600_NS6detail15normal_iteratorINS9_10device_ptrIiEEEENSB_INSC_ItEEEESG_tNS9_4plusIvEENS9_8equal_toIvEEtEE10hipError_tPvRmT2_T3_T4_T5_mT6_T7_P12ihipStream_tbENKUlT_T0_E_clISt17integral_constantIbLb1EES10_IbLb0EEEEDaSW_SX_EUlSW_E_NS1_11comp_targetILNS1_3genE10ELNS1_11target_archE1201ELNS1_3gpuE5ELNS1_3repE0EEENS1_30default_config_static_selectorELNS0_4arch9wavefront6targetE1EEEvT1_
    .private_segment_fixed_size: 0
    .sgpr_count:     6
    .sgpr_spill_count: 0
    .symbol:         _ZN7rocprim17ROCPRIM_400000_NS6detail17trampoline_kernelINS0_14default_configENS1_27scan_by_key_config_selectorIitEEZZNS1_16scan_by_key_implILNS1_25lookback_scan_determinismE0ELb0ES3_N6thrust23THRUST_200600_302600_NS6detail15normal_iteratorINS9_10device_ptrIiEEEENSB_INSC_ItEEEESG_tNS9_4plusIvEENS9_8equal_toIvEEtEE10hipError_tPvRmT2_T3_T4_T5_mT6_T7_P12ihipStream_tbENKUlT_T0_E_clISt17integral_constantIbLb1EES10_IbLb0EEEEDaSW_SX_EUlSW_E_NS1_11comp_targetILNS1_3genE10ELNS1_11target_archE1201ELNS1_3gpuE5ELNS1_3repE0EEENS1_30default_config_static_selectorELNS0_4arch9wavefront6targetE1EEEvT1_.kd
    .uniform_work_group_size: 1
    .uses_dynamic_stack: false
    .vgpr_count:     0
    .vgpr_spill_count: 0
    .wavefront_size: 64
  - .agpr_count:     0
    .args:
      - .offset:         0
        .size:           112
        .value_kind:     by_value
    .group_segment_fixed_size: 26624
    .kernarg_segment_align: 8
    .kernarg_segment_size: 112
    .language:       OpenCL C
    .language_version:
      - 2
      - 0
    .max_flat_workgroup_size: 256
    .name:           _ZN7rocprim17ROCPRIM_400000_NS6detail17trampoline_kernelINS0_14default_configENS1_27scan_by_key_config_selectorIitEEZZNS1_16scan_by_key_implILNS1_25lookback_scan_determinismE0ELb0ES3_N6thrust23THRUST_200600_302600_NS6detail15normal_iteratorINS9_10device_ptrIiEEEENSB_INSC_ItEEEESG_tNS9_4plusIvEENS9_8equal_toIvEEtEE10hipError_tPvRmT2_T3_T4_T5_mT6_T7_P12ihipStream_tbENKUlT_T0_E_clISt17integral_constantIbLb1EES10_IbLb0EEEEDaSW_SX_EUlSW_E_NS1_11comp_targetILNS1_3genE5ELNS1_11target_archE942ELNS1_3gpuE9ELNS1_3repE0EEENS1_30default_config_static_selectorELNS0_4arch9wavefront6targetE1EEEvT1_
    .private_segment_fixed_size: 0
    .sgpr_count:     90
    .sgpr_spill_count: 0
    .symbol:         _ZN7rocprim17ROCPRIM_400000_NS6detail17trampoline_kernelINS0_14default_configENS1_27scan_by_key_config_selectorIitEEZZNS1_16scan_by_key_implILNS1_25lookback_scan_determinismE0ELb0ES3_N6thrust23THRUST_200600_302600_NS6detail15normal_iteratorINS9_10device_ptrIiEEEENSB_INSC_ItEEEESG_tNS9_4plusIvEENS9_8equal_toIvEEtEE10hipError_tPvRmT2_T3_T4_T5_mT6_T7_P12ihipStream_tbENKUlT_T0_E_clISt17integral_constantIbLb1EES10_IbLb0EEEEDaSW_SX_EUlSW_E_NS1_11comp_targetILNS1_3genE5ELNS1_11target_archE942ELNS1_3gpuE9ELNS1_3repE0EEENS1_30default_config_static_selectorELNS0_4arch9wavefront6targetE1EEEvT1_.kd
    .uniform_work_group_size: 1
    .uses_dynamic_stack: false
    .vgpr_count:     62
    .vgpr_spill_count: 0
    .wavefront_size: 64
  - .agpr_count:     0
    .args:
      - .offset:         0
        .size:           112
        .value_kind:     by_value
    .group_segment_fixed_size: 0
    .kernarg_segment_align: 8
    .kernarg_segment_size: 112
    .language:       OpenCL C
    .language_version:
      - 2
      - 0
    .max_flat_workgroup_size: 64
    .name:           _ZN7rocprim17ROCPRIM_400000_NS6detail17trampoline_kernelINS0_14default_configENS1_27scan_by_key_config_selectorIitEEZZNS1_16scan_by_key_implILNS1_25lookback_scan_determinismE0ELb0ES3_N6thrust23THRUST_200600_302600_NS6detail15normal_iteratorINS9_10device_ptrIiEEEENSB_INSC_ItEEEESG_tNS9_4plusIvEENS9_8equal_toIvEEtEE10hipError_tPvRmT2_T3_T4_T5_mT6_T7_P12ihipStream_tbENKUlT_T0_E_clISt17integral_constantIbLb1EES10_IbLb0EEEEDaSW_SX_EUlSW_E_NS1_11comp_targetILNS1_3genE4ELNS1_11target_archE910ELNS1_3gpuE8ELNS1_3repE0EEENS1_30default_config_static_selectorELNS0_4arch9wavefront6targetE1EEEvT1_
    .private_segment_fixed_size: 0
    .sgpr_count:     6
    .sgpr_spill_count: 0
    .symbol:         _ZN7rocprim17ROCPRIM_400000_NS6detail17trampoline_kernelINS0_14default_configENS1_27scan_by_key_config_selectorIitEEZZNS1_16scan_by_key_implILNS1_25lookback_scan_determinismE0ELb0ES3_N6thrust23THRUST_200600_302600_NS6detail15normal_iteratorINS9_10device_ptrIiEEEENSB_INSC_ItEEEESG_tNS9_4plusIvEENS9_8equal_toIvEEtEE10hipError_tPvRmT2_T3_T4_T5_mT6_T7_P12ihipStream_tbENKUlT_T0_E_clISt17integral_constantIbLb1EES10_IbLb0EEEEDaSW_SX_EUlSW_E_NS1_11comp_targetILNS1_3genE4ELNS1_11target_archE910ELNS1_3gpuE8ELNS1_3repE0EEENS1_30default_config_static_selectorELNS0_4arch9wavefront6targetE1EEEvT1_.kd
    .uniform_work_group_size: 1
    .uses_dynamic_stack: false
    .vgpr_count:     0
    .vgpr_spill_count: 0
    .wavefront_size: 64
  - .agpr_count:     0
    .args:
      - .offset:         0
        .size:           112
        .value_kind:     by_value
    .group_segment_fixed_size: 0
    .kernarg_segment_align: 8
    .kernarg_segment_size: 112
    .language:       OpenCL C
    .language_version:
      - 2
      - 0
    .max_flat_workgroup_size: 256
    .name:           _ZN7rocprim17ROCPRIM_400000_NS6detail17trampoline_kernelINS0_14default_configENS1_27scan_by_key_config_selectorIitEEZZNS1_16scan_by_key_implILNS1_25lookback_scan_determinismE0ELb0ES3_N6thrust23THRUST_200600_302600_NS6detail15normal_iteratorINS9_10device_ptrIiEEEENSB_INSC_ItEEEESG_tNS9_4plusIvEENS9_8equal_toIvEEtEE10hipError_tPvRmT2_T3_T4_T5_mT6_T7_P12ihipStream_tbENKUlT_T0_E_clISt17integral_constantIbLb1EES10_IbLb0EEEEDaSW_SX_EUlSW_E_NS1_11comp_targetILNS1_3genE3ELNS1_11target_archE908ELNS1_3gpuE7ELNS1_3repE0EEENS1_30default_config_static_selectorELNS0_4arch9wavefront6targetE1EEEvT1_
    .private_segment_fixed_size: 0
    .sgpr_count:     6
    .sgpr_spill_count: 0
    .symbol:         _ZN7rocprim17ROCPRIM_400000_NS6detail17trampoline_kernelINS0_14default_configENS1_27scan_by_key_config_selectorIitEEZZNS1_16scan_by_key_implILNS1_25lookback_scan_determinismE0ELb0ES3_N6thrust23THRUST_200600_302600_NS6detail15normal_iteratorINS9_10device_ptrIiEEEENSB_INSC_ItEEEESG_tNS9_4plusIvEENS9_8equal_toIvEEtEE10hipError_tPvRmT2_T3_T4_T5_mT6_T7_P12ihipStream_tbENKUlT_T0_E_clISt17integral_constantIbLb1EES10_IbLb0EEEEDaSW_SX_EUlSW_E_NS1_11comp_targetILNS1_3genE3ELNS1_11target_archE908ELNS1_3gpuE7ELNS1_3repE0EEENS1_30default_config_static_selectorELNS0_4arch9wavefront6targetE1EEEvT1_.kd
    .uniform_work_group_size: 1
    .uses_dynamic_stack: false
    .vgpr_count:     0
    .vgpr_spill_count: 0
    .wavefront_size: 64
  - .agpr_count:     0
    .args:
      - .offset:         0
        .size:           112
        .value_kind:     by_value
    .group_segment_fixed_size: 0
    .kernarg_segment_align: 8
    .kernarg_segment_size: 112
    .language:       OpenCL C
    .language_version:
      - 2
      - 0
    .max_flat_workgroup_size: 64
    .name:           _ZN7rocprim17ROCPRIM_400000_NS6detail17trampoline_kernelINS0_14default_configENS1_27scan_by_key_config_selectorIitEEZZNS1_16scan_by_key_implILNS1_25lookback_scan_determinismE0ELb0ES3_N6thrust23THRUST_200600_302600_NS6detail15normal_iteratorINS9_10device_ptrIiEEEENSB_INSC_ItEEEESG_tNS9_4plusIvEENS9_8equal_toIvEEtEE10hipError_tPvRmT2_T3_T4_T5_mT6_T7_P12ihipStream_tbENKUlT_T0_E_clISt17integral_constantIbLb1EES10_IbLb0EEEEDaSW_SX_EUlSW_E_NS1_11comp_targetILNS1_3genE2ELNS1_11target_archE906ELNS1_3gpuE6ELNS1_3repE0EEENS1_30default_config_static_selectorELNS0_4arch9wavefront6targetE1EEEvT1_
    .private_segment_fixed_size: 0
    .sgpr_count:     6
    .sgpr_spill_count: 0
    .symbol:         _ZN7rocprim17ROCPRIM_400000_NS6detail17trampoline_kernelINS0_14default_configENS1_27scan_by_key_config_selectorIitEEZZNS1_16scan_by_key_implILNS1_25lookback_scan_determinismE0ELb0ES3_N6thrust23THRUST_200600_302600_NS6detail15normal_iteratorINS9_10device_ptrIiEEEENSB_INSC_ItEEEESG_tNS9_4plusIvEENS9_8equal_toIvEEtEE10hipError_tPvRmT2_T3_T4_T5_mT6_T7_P12ihipStream_tbENKUlT_T0_E_clISt17integral_constantIbLb1EES10_IbLb0EEEEDaSW_SX_EUlSW_E_NS1_11comp_targetILNS1_3genE2ELNS1_11target_archE906ELNS1_3gpuE6ELNS1_3repE0EEENS1_30default_config_static_selectorELNS0_4arch9wavefront6targetE1EEEvT1_.kd
    .uniform_work_group_size: 1
    .uses_dynamic_stack: false
    .vgpr_count:     0
    .vgpr_spill_count: 0
    .wavefront_size: 64
  - .agpr_count:     0
    .args:
      - .offset:         0
        .size:           112
        .value_kind:     by_value
    .group_segment_fixed_size: 0
    .kernarg_segment_align: 8
    .kernarg_segment_size: 112
    .language:       OpenCL C
    .language_version:
      - 2
      - 0
    .max_flat_workgroup_size: 256
    .name:           _ZN7rocprim17ROCPRIM_400000_NS6detail17trampoline_kernelINS0_14default_configENS1_27scan_by_key_config_selectorIitEEZZNS1_16scan_by_key_implILNS1_25lookback_scan_determinismE0ELb0ES3_N6thrust23THRUST_200600_302600_NS6detail15normal_iteratorINS9_10device_ptrIiEEEENSB_INSC_ItEEEESG_tNS9_4plusIvEENS9_8equal_toIvEEtEE10hipError_tPvRmT2_T3_T4_T5_mT6_T7_P12ihipStream_tbENKUlT_T0_E_clISt17integral_constantIbLb1EES10_IbLb0EEEEDaSW_SX_EUlSW_E_NS1_11comp_targetILNS1_3genE10ELNS1_11target_archE1200ELNS1_3gpuE4ELNS1_3repE0EEENS1_30default_config_static_selectorELNS0_4arch9wavefront6targetE1EEEvT1_
    .private_segment_fixed_size: 0
    .sgpr_count:     6
    .sgpr_spill_count: 0
    .symbol:         _ZN7rocprim17ROCPRIM_400000_NS6detail17trampoline_kernelINS0_14default_configENS1_27scan_by_key_config_selectorIitEEZZNS1_16scan_by_key_implILNS1_25lookback_scan_determinismE0ELb0ES3_N6thrust23THRUST_200600_302600_NS6detail15normal_iteratorINS9_10device_ptrIiEEEENSB_INSC_ItEEEESG_tNS9_4plusIvEENS9_8equal_toIvEEtEE10hipError_tPvRmT2_T3_T4_T5_mT6_T7_P12ihipStream_tbENKUlT_T0_E_clISt17integral_constantIbLb1EES10_IbLb0EEEEDaSW_SX_EUlSW_E_NS1_11comp_targetILNS1_3genE10ELNS1_11target_archE1200ELNS1_3gpuE4ELNS1_3repE0EEENS1_30default_config_static_selectorELNS0_4arch9wavefront6targetE1EEEvT1_.kd
    .uniform_work_group_size: 1
    .uses_dynamic_stack: false
    .vgpr_count:     0
    .vgpr_spill_count: 0
    .wavefront_size: 64
  - .agpr_count:     0
    .args:
      - .offset:         0
        .size:           112
        .value_kind:     by_value
    .group_segment_fixed_size: 0
    .kernarg_segment_align: 8
    .kernarg_segment_size: 112
    .language:       OpenCL C
    .language_version:
      - 2
      - 0
    .max_flat_workgroup_size: 64
    .name:           _ZN7rocprim17ROCPRIM_400000_NS6detail17trampoline_kernelINS0_14default_configENS1_27scan_by_key_config_selectorIitEEZZNS1_16scan_by_key_implILNS1_25lookback_scan_determinismE0ELb0ES3_N6thrust23THRUST_200600_302600_NS6detail15normal_iteratorINS9_10device_ptrIiEEEENSB_INSC_ItEEEESG_tNS9_4plusIvEENS9_8equal_toIvEEtEE10hipError_tPvRmT2_T3_T4_T5_mT6_T7_P12ihipStream_tbENKUlT_T0_E_clISt17integral_constantIbLb1EES10_IbLb0EEEEDaSW_SX_EUlSW_E_NS1_11comp_targetILNS1_3genE9ELNS1_11target_archE1100ELNS1_3gpuE3ELNS1_3repE0EEENS1_30default_config_static_selectorELNS0_4arch9wavefront6targetE1EEEvT1_
    .private_segment_fixed_size: 0
    .sgpr_count:     6
    .sgpr_spill_count: 0
    .symbol:         _ZN7rocprim17ROCPRIM_400000_NS6detail17trampoline_kernelINS0_14default_configENS1_27scan_by_key_config_selectorIitEEZZNS1_16scan_by_key_implILNS1_25lookback_scan_determinismE0ELb0ES3_N6thrust23THRUST_200600_302600_NS6detail15normal_iteratorINS9_10device_ptrIiEEEENSB_INSC_ItEEEESG_tNS9_4plusIvEENS9_8equal_toIvEEtEE10hipError_tPvRmT2_T3_T4_T5_mT6_T7_P12ihipStream_tbENKUlT_T0_E_clISt17integral_constantIbLb1EES10_IbLb0EEEEDaSW_SX_EUlSW_E_NS1_11comp_targetILNS1_3genE9ELNS1_11target_archE1100ELNS1_3gpuE3ELNS1_3repE0EEENS1_30default_config_static_selectorELNS0_4arch9wavefront6targetE1EEEvT1_.kd
    .uniform_work_group_size: 1
    .uses_dynamic_stack: false
    .vgpr_count:     0
    .vgpr_spill_count: 0
    .wavefront_size: 64
  - .agpr_count:     0
    .args:
      - .offset:         0
        .size:           112
        .value_kind:     by_value
    .group_segment_fixed_size: 0
    .kernarg_segment_align: 8
    .kernarg_segment_size: 112
    .language:       OpenCL C
    .language_version:
      - 2
      - 0
    .max_flat_workgroup_size: 64
    .name:           _ZN7rocprim17ROCPRIM_400000_NS6detail17trampoline_kernelINS0_14default_configENS1_27scan_by_key_config_selectorIitEEZZNS1_16scan_by_key_implILNS1_25lookback_scan_determinismE0ELb0ES3_N6thrust23THRUST_200600_302600_NS6detail15normal_iteratorINS9_10device_ptrIiEEEENSB_INSC_ItEEEESG_tNS9_4plusIvEENS9_8equal_toIvEEtEE10hipError_tPvRmT2_T3_T4_T5_mT6_T7_P12ihipStream_tbENKUlT_T0_E_clISt17integral_constantIbLb1EES10_IbLb0EEEEDaSW_SX_EUlSW_E_NS1_11comp_targetILNS1_3genE8ELNS1_11target_archE1030ELNS1_3gpuE2ELNS1_3repE0EEENS1_30default_config_static_selectorELNS0_4arch9wavefront6targetE1EEEvT1_
    .private_segment_fixed_size: 0
    .sgpr_count:     6
    .sgpr_spill_count: 0
    .symbol:         _ZN7rocprim17ROCPRIM_400000_NS6detail17trampoline_kernelINS0_14default_configENS1_27scan_by_key_config_selectorIitEEZZNS1_16scan_by_key_implILNS1_25lookback_scan_determinismE0ELb0ES3_N6thrust23THRUST_200600_302600_NS6detail15normal_iteratorINS9_10device_ptrIiEEEENSB_INSC_ItEEEESG_tNS9_4plusIvEENS9_8equal_toIvEEtEE10hipError_tPvRmT2_T3_T4_T5_mT6_T7_P12ihipStream_tbENKUlT_T0_E_clISt17integral_constantIbLb1EES10_IbLb0EEEEDaSW_SX_EUlSW_E_NS1_11comp_targetILNS1_3genE8ELNS1_11target_archE1030ELNS1_3gpuE2ELNS1_3repE0EEENS1_30default_config_static_selectorELNS0_4arch9wavefront6targetE1EEEvT1_.kd
    .uniform_work_group_size: 1
    .uses_dynamic_stack: false
    .vgpr_count:     0
    .vgpr_spill_count: 0
    .wavefront_size: 64
  - .agpr_count:     0
    .args:
      - .address_space:  global
        .offset:         0
        .size:           8
        .value_kind:     global_buffer
      - .offset:         8
        .size:           4
        .value_kind:     by_value
      - .offset:         12
        .size:           4
        .value_kind:     by_value
      - .address_space:  global
        .offset:         16
        .size:           8
        .value_kind:     global_buffer
      - .address_space:  global
        .offset:         24
        .size:           8
        .value_kind:     global_buffer
      - .actual_access:  write_only
        .address_space:  global
        .offset:         32
        .size:           8
        .value_kind:     global_buffer
      - .offset:         40
        .size:           8
        .value_kind:     by_value
      - .offset:         48
        .size:           4
        .value_kind:     by_value
      - .address_space:  global
        .offset:         56
        .size:           8
        .value_kind:     global_buffer
      - .offset:         64
        .size:           4
        .value_kind:     hidden_block_count_x
      - .offset:         68
        .size:           4
        .value_kind:     hidden_block_count_y
      - .offset:         72
        .size:           4
        .value_kind:     hidden_block_count_z
      - .offset:         76
        .size:           2
        .value_kind:     hidden_group_size_x
      - .offset:         78
        .size:           2
        .value_kind:     hidden_group_size_y
      - .offset:         80
        .size:           2
        .value_kind:     hidden_group_size_z
      - .offset:         82
        .size:           2
        .value_kind:     hidden_remainder_x
      - .offset:         84
        .size:           2
        .value_kind:     hidden_remainder_y
      - .offset:         86
        .size:           2
        .value_kind:     hidden_remainder_z
      - .offset:         104
        .size:           8
        .value_kind:     hidden_global_offset_x
      - .offset:         112
        .size:           8
        .value_kind:     hidden_global_offset_y
      - .offset:         120
        .size:           8
        .value_kind:     hidden_global_offset_z
      - .offset:         128
        .size:           2
        .value_kind:     hidden_grid_dims
    .group_segment_fixed_size: 0
    .kernarg_segment_align: 8
    .kernarg_segment_size: 320
    .language:       OpenCL C
    .language_version:
      - 2
      - 0
    .max_flat_workgroup_size: 256
    .name:           _ZN7rocprim17ROCPRIM_400000_NS6detail30init_device_scan_by_key_kernelINS1_19lookback_scan_stateINS0_5tupleIJtbEEELb0ELb1EEEN6thrust23THRUST_200600_302600_NS6detail15normal_iteratorINS8_10device_ptrIiEEEEjNS1_16block_id_wrapperIjLb1EEEEEvT_jjPNSG_10value_typeET0_PNSt15iterator_traitsISJ_E10value_typeEmT1_T2_
    .private_segment_fixed_size: 0
    .sgpr_count:     22
    .sgpr_spill_count: 0
    .symbol:         _ZN7rocprim17ROCPRIM_400000_NS6detail30init_device_scan_by_key_kernelINS1_19lookback_scan_stateINS0_5tupleIJtbEEELb0ELb1EEEN6thrust23THRUST_200600_302600_NS6detail15normal_iteratorINS8_10device_ptrIiEEEEjNS1_16block_id_wrapperIjLb1EEEEEvT_jjPNSG_10value_typeET0_PNSt15iterator_traitsISJ_E10value_typeEmT1_T2_.kd
    .uniform_work_group_size: 1
    .uses_dynamic_stack: false
    .vgpr_count:     7
    .vgpr_spill_count: 0
    .wavefront_size: 64
  - .agpr_count:     0
    .args:
      - .address_space:  global
        .offset:         0
        .size:           8
        .value_kind:     global_buffer
      - .offset:         8
        .size:           4
        .value_kind:     by_value
      - .offset:         12
        .size:           4
        .value_kind:     by_value
      - .address_space:  global
        .offset:         16
        .size:           8
        .value_kind:     global_buffer
      - .address_space:  global
        .offset:         24
        .size:           8
        .value_kind:     global_buffer
      - .offset:         32
        .size:           4
        .value_kind:     hidden_block_count_x
      - .offset:         36
        .size:           4
        .value_kind:     hidden_block_count_y
      - .offset:         40
        .size:           4
        .value_kind:     hidden_block_count_z
      - .offset:         44
        .size:           2
        .value_kind:     hidden_group_size_x
      - .offset:         46
        .size:           2
        .value_kind:     hidden_group_size_y
      - .offset:         48
        .size:           2
        .value_kind:     hidden_group_size_z
      - .offset:         50
        .size:           2
        .value_kind:     hidden_remainder_x
      - .offset:         52
        .size:           2
        .value_kind:     hidden_remainder_y
      - .offset:         54
        .size:           2
        .value_kind:     hidden_remainder_z
      - .offset:         72
        .size:           8
        .value_kind:     hidden_global_offset_x
      - .offset:         80
        .size:           8
        .value_kind:     hidden_global_offset_y
      - .offset:         88
        .size:           8
        .value_kind:     hidden_global_offset_z
      - .offset:         96
        .size:           2
        .value_kind:     hidden_grid_dims
    .group_segment_fixed_size: 0
    .kernarg_segment_align: 8
    .kernarg_segment_size: 288
    .language:       OpenCL C
    .language_version:
      - 2
      - 0
    .max_flat_workgroup_size: 256
    .name:           _ZN7rocprim17ROCPRIM_400000_NS6detail30init_device_scan_by_key_kernelINS1_19lookback_scan_stateINS0_5tupleIJtbEEELb0ELb1EEENS1_16block_id_wrapperIjLb1EEEEEvT_jjPNS9_10value_typeET0_
    .private_segment_fixed_size: 0
    .sgpr_count:     18
    .sgpr_spill_count: 0
    .symbol:         _ZN7rocprim17ROCPRIM_400000_NS6detail30init_device_scan_by_key_kernelINS1_19lookback_scan_stateINS0_5tupleIJtbEEELb0ELb1EEENS1_16block_id_wrapperIjLb1EEEEEvT_jjPNS9_10value_typeET0_.kd
    .uniform_work_group_size: 1
    .uses_dynamic_stack: false
    .vgpr_count:     6
    .vgpr_spill_count: 0
    .wavefront_size: 64
  - .agpr_count:     0
    .args:
      - .offset:         0
        .size:           112
        .value_kind:     by_value
    .group_segment_fixed_size: 0
    .kernarg_segment_align: 8
    .kernarg_segment_size: 112
    .language:       OpenCL C
    .language_version:
      - 2
      - 0
    .max_flat_workgroup_size: 256
    .name:           _ZN7rocprim17ROCPRIM_400000_NS6detail17trampoline_kernelINS0_14default_configENS1_27scan_by_key_config_selectorIitEEZZNS1_16scan_by_key_implILNS1_25lookback_scan_determinismE0ELb0ES3_N6thrust23THRUST_200600_302600_NS6detail15normal_iteratorINS9_10device_ptrIiEEEENSB_INSC_ItEEEESG_tNS9_4plusIvEENS9_8equal_toIvEEtEE10hipError_tPvRmT2_T3_T4_T5_mT6_T7_P12ihipStream_tbENKUlT_T0_E_clISt17integral_constantIbLb0EES10_IbLb1EEEEDaSW_SX_EUlSW_E_NS1_11comp_targetILNS1_3genE0ELNS1_11target_archE4294967295ELNS1_3gpuE0ELNS1_3repE0EEENS1_30default_config_static_selectorELNS0_4arch9wavefront6targetE1EEEvT1_
    .private_segment_fixed_size: 0
    .sgpr_count:     6
    .sgpr_spill_count: 0
    .symbol:         _ZN7rocprim17ROCPRIM_400000_NS6detail17trampoline_kernelINS0_14default_configENS1_27scan_by_key_config_selectorIitEEZZNS1_16scan_by_key_implILNS1_25lookback_scan_determinismE0ELb0ES3_N6thrust23THRUST_200600_302600_NS6detail15normal_iteratorINS9_10device_ptrIiEEEENSB_INSC_ItEEEESG_tNS9_4plusIvEENS9_8equal_toIvEEtEE10hipError_tPvRmT2_T3_T4_T5_mT6_T7_P12ihipStream_tbENKUlT_T0_E_clISt17integral_constantIbLb0EES10_IbLb1EEEEDaSW_SX_EUlSW_E_NS1_11comp_targetILNS1_3genE0ELNS1_11target_archE4294967295ELNS1_3gpuE0ELNS1_3repE0EEENS1_30default_config_static_selectorELNS0_4arch9wavefront6targetE1EEEvT1_.kd
    .uniform_work_group_size: 1
    .uses_dynamic_stack: false
    .vgpr_count:     0
    .vgpr_spill_count: 0
    .wavefront_size: 64
  - .agpr_count:     0
    .args:
      - .offset:         0
        .size:           112
        .value_kind:     by_value
    .group_segment_fixed_size: 0
    .kernarg_segment_align: 8
    .kernarg_segment_size: 112
    .language:       OpenCL C
    .language_version:
      - 2
      - 0
    .max_flat_workgroup_size: 256
    .name:           _ZN7rocprim17ROCPRIM_400000_NS6detail17trampoline_kernelINS0_14default_configENS1_27scan_by_key_config_selectorIitEEZZNS1_16scan_by_key_implILNS1_25lookback_scan_determinismE0ELb0ES3_N6thrust23THRUST_200600_302600_NS6detail15normal_iteratorINS9_10device_ptrIiEEEENSB_INSC_ItEEEESG_tNS9_4plusIvEENS9_8equal_toIvEEtEE10hipError_tPvRmT2_T3_T4_T5_mT6_T7_P12ihipStream_tbENKUlT_T0_E_clISt17integral_constantIbLb0EES10_IbLb1EEEEDaSW_SX_EUlSW_E_NS1_11comp_targetILNS1_3genE10ELNS1_11target_archE1201ELNS1_3gpuE5ELNS1_3repE0EEENS1_30default_config_static_selectorELNS0_4arch9wavefront6targetE1EEEvT1_
    .private_segment_fixed_size: 0
    .sgpr_count:     6
    .sgpr_spill_count: 0
    .symbol:         _ZN7rocprim17ROCPRIM_400000_NS6detail17trampoline_kernelINS0_14default_configENS1_27scan_by_key_config_selectorIitEEZZNS1_16scan_by_key_implILNS1_25lookback_scan_determinismE0ELb0ES3_N6thrust23THRUST_200600_302600_NS6detail15normal_iteratorINS9_10device_ptrIiEEEENSB_INSC_ItEEEESG_tNS9_4plusIvEENS9_8equal_toIvEEtEE10hipError_tPvRmT2_T3_T4_T5_mT6_T7_P12ihipStream_tbENKUlT_T0_E_clISt17integral_constantIbLb0EES10_IbLb1EEEEDaSW_SX_EUlSW_E_NS1_11comp_targetILNS1_3genE10ELNS1_11target_archE1201ELNS1_3gpuE5ELNS1_3repE0EEENS1_30default_config_static_selectorELNS0_4arch9wavefront6targetE1EEEvT1_.kd
    .uniform_work_group_size: 1
    .uses_dynamic_stack: false
    .vgpr_count:     0
    .vgpr_spill_count: 0
    .wavefront_size: 64
  - .agpr_count:     0
    .args:
      - .offset:         0
        .size:           112
        .value_kind:     by_value
    .group_segment_fixed_size: 26624
    .kernarg_segment_align: 8
    .kernarg_segment_size: 112
    .language:       OpenCL C
    .language_version:
      - 2
      - 0
    .max_flat_workgroup_size: 256
    .name:           _ZN7rocprim17ROCPRIM_400000_NS6detail17trampoline_kernelINS0_14default_configENS1_27scan_by_key_config_selectorIitEEZZNS1_16scan_by_key_implILNS1_25lookback_scan_determinismE0ELb0ES3_N6thrust23THRUST_200600_302600_NS6detail15normal_iteratorINS9_10device_ptrIiEEEENSB_INSC_ItEEEESG_tNS9_4plusIvEENS9_8equal_toIvEEtEE10hipError_tPvRmT2_T3_T4_T5_mT6_T7_P12ihipStream_tbENKUlT_T0_E_clISt17integral_constantIbLb0EES10_IbLb1EEEEDaSW_SX_EUlSW_E_NS1_11comp_targetILNS1_3genE5ELNS1_11target_archE942ELNS1_3gpuE9ELNS1_3repE0EEENS1_30default_config_static_selectorELNS0_4arch9wavefront6targetE1EEEvT1_
    .private_segment_fixed_size: 0
    .sgpr_count:     93
    .sgpr_spill_count: 0
    .symbol:         _ZN7rocprim17ROCPRIM_400000_NS6detail17trampoline_kernelINS0_14default_configENS1_27scan_by_key_config_selectorIitEEZZNS1_16scan_by_key_implILNS1_25lookback_scan_determinismE0ELb0ES3_N6thrust23THRUST_200600_302600_NS6detail15normal_iteratorINS9_10device_ptrIiEEEENSB_INSC_ItEEEESG_tNS9_4plusIvEENS9_8equal_toIvEEtEE10hipError_tPvRmT2_T3_T4_T5_mT6_T7_P12ihipStream_tbENKUlT_T0_E_clISt17integral_constantIbLb0EES10_IbLb1EEEEDaSW_SX_EUlSW_E_NS1_11comp_targetILNS1_3genE5ELNS1_11target_archE942ELNS1_3gpuE9ELNS1_3repE0EEENS1_30default_config_static_selectorELNS0_4arch9wavefront6targetE1EEEvT1_.kd
    .uniform_work_group_size: 1
    .uses_dynamic_stack: false
    .vgpr_count:     62
    .vgpr_spill_count: 0
    .wavefront_size: 64
  - .agpr_count:     0
    .args:
      - .offset:         0
        .size:           112
        .value_kind:     by_value
    .group_segment_fixed_size: 0
    .kernarg_segment_align: 8
    .kernarg_segment_size: 112
    .language:       OpenCL C
    .language_version:
      - 2
      - 0
    .max_flat_workgroup_size: 64
    .name:           _ZN7rocprim17ROCPRIM_400000_NS6detail17trampoline_kernelINS0_14default_configENS1_27scan_by_key_config_selectorIitEEZZNS1_16scan_by_key_implILNS1_25lookback_scan_determinismE0ELb0ES3_N6thrust23THRUST_200600_302600_NS6detail15normal_iteratorINS9_10device_ptrIiEEEENSB_INSC_ItEEEESG_tNS9_4plusIvEENS9_8equal_toIvEEtEE10hipError_tPvRmT2_T3_T4_T5_mT6_T7_P12ihipStream_tbENKUlT_T0_E_clISt17integral_constantIbLb0EES10_IbLb1EEEEDaSW_SX_EUlSW_E_NS1_11comp_targetILNS1_3genE4ELNS1_11target_archE910ELNS1_3gpuE8ELNS1_3repE0EEENS1_30default_config_static_selectorELNS0_4arch9wavefront6targetE1EEEvT1_
    .private_segment_fixed_size: 0
    .sgpr_count:     6
    .sgpr_spill_count: 0
    .symbol:         _ZN7rocprim17ROCPRIM_400000_NS6detail17trampoline_kernelINS0_14default_configENS1_27scan_by_key_config_selectorIitEEZZNS1_16scan_by_key_implILNS1_25lookback_scan_determinismE0ELb0ES3_N6thrust23THRUST_200600_302600_NS6detail15normal_iteratorINS9_10device_ptrIiEEEENSB_INSC_ItEEEESG_tNS9_4plusIvEENS9_8equal_toIvEEtEE10hipError_tPvRmT2_T3_T4_T5_mT6_T7_P12ihipStream_tbENKUlT_T0_E_clISt17integral_constantIbLb0EES10_IbLb1EEEEDaSW_SX_EUlSW_E_NS1_11comp_targetILNS1_3genE4ELNS1_11target_archE910ELNS1_3gpuE8ELNS1_3repE0EEENS1_30default_config_static_selectorELNS0_4arch9wavefront6targetE1EEEvT1_.kd
    .uniform_work_group_size: 1
    .uses_dynamic_stack: false
    .vgpr_count:     0
    .vgpr_spill_count: 0
    .wavefront_size: 64
  - .agpr_count:     0
    .args:
      - .offset:         0
        .size:           112
        .value_kind:     by_value
    .group_segment_fixed_size: 0
    .kernarg_segment_align: 8
    .kernarg_segment_size: 112
    .language:       OpenCL C
    .language_version:
      - 2
      - 0
    .max_flat_workgroup_size: 256
    .name:           _ZN7rocprim17ROCPRIM_400000_NS6detail17trampoline_kernelINS0_14default_configENS1_27scan_by_key_config_selectorIitEEZZNS1_16scan_by_key_implILNS1_25lookback_scan_determinismE0ELb0ES3_N6thrust23THRUST_200600_302600_NS6detail15normal_iteratorINS9_10device_ptrIiEEEENSB_INSC_ItEEEESG_tNS9_4plusIvEENS9_8equal_toIvEEtEE10hipError_tPvRmT2_T3_T4_T5_mT6_T7_P12ihipStream_tbENKUlT_T0_E_clISt17integral_constantIbLb0EES10_IbLb1EEEEDaSW_SX_EUlSW_E_NS1_11comp_targetILNS1_3genE3ELNS1_11target_archE908ELNS1_3gpuE7ELNS1_3repE0EEENS1_30default_config_static_selectorELNS0_4arch9wavefront6targetE1EEEvT1_
    .private_segment_fixed_size: 0
    .sgpr_count:     6
    .sgpr_spill_count: 0
    .symbol:         _ZN7rocprim17ROCPRIM_400000_NS6detail17trampoline_kernelINS0_14default_configENS1_27scan_by_key_config_selectorIitEEZZNS1_16scan_by_key_implILNS1_25lookback_scan_determinismE0ELb0ES3_N6thrust23THRUST_200600_302600_NS6detail15normal_iteratorINS9_10device_ptrIiEEEENSB_INSC_ItEEEESG_tNS9_4plusIvEENS9_8equal_toIvEEtEE10hipError_tPvRmT2_T3_T4_T5_mT6_T7_P12ihipStream_tbENKUlT_T0_E_clISt17integral_constantIbLb0EES10_IbLb1EEEEDaSW_SX_EUlSW_E_NS1_11comp_targetILNS1_3genE3ELNS1_11target_archE908ELNS1_3gpuE7ELNS1_3repE0EEENS1_30default_config_static_selectorELNS0_4arch9wavefront6targetE1EEEvT1_.kd
    .uniform_work_group_size: 1
    .uses_dynamic_stack: false
    .vgpr_count:     0
    .vgpr_spill_count: 0
    .wavefront_size: 64
  - .agpr_count:     0
    .args:
      - .offset:         0
        .size:           112
        .value_kind:     by_value
    .group_segment_fixed_size: 0
    .kernarg_segment_align: 8
    .kernarg_segment_size: 112
    .language:       OpenCL C
    .language_version:
      - 2
      - 0
    .max_flat_workgroup_size: 64
    .name:           _ZN7rocprim17ROCPRIM_400000_NS6detail17trampoline_kernelINS0_14default_configENS1_27scan_by_key_config_selectorIitEEZZNS1_16scan_by_key_implILNS1_25lookback_scan_determinismE0ELb0ES3_N6thrust23THRUST_200600_302600_NS6detail15normal_iteratorINS9_10device_ptrIiEEEENSB_INSC_ItEEEESG_tNS9_4plusIvEENS9_8equal_toIvEEtEE10hipError_tPvRmT2_T3_T4_T5_mT6_T7_P12ihipStream_tbENKUlT_T0_E_clISt17integral_constantIbLb0EES10_IbLb1EEEEDaSW_SX_EUlSW_E_NS1_11comp_targetILNS1_3genE2ELNS1_11target_archE906ELNS1_3gpuE6ELNS1_3repE0EEENS1_30default_config_static_selectorELNS0_4arch9wavefront6targetE1EEEvT1_
    .private_segment_fixed_size: 0
    .sgpr_count:     6
    .sgpr_spill_count: 0
    .symbol:         _ZN7rocprim17ROCPRIM_400000_NS6detail17trampoline_kernelINS0_14default_configENS1_27scan_by_key_config_selectorIitEEZZNS1_16scan_by_key_implILNS1_25lookback_scan_determinismE0ELb0ES3_N6thrust23THRUST_200600_302600_NS6detail15normal_iteratorINS9_10device_ptrIiEEEENSB_INSC_ItEEEESG_tNS9_4plusIvEENS9_8equal_toIvEEtEE10hipError_tPvRmT2_T3_T4_T5_mT6_T7_P12ihipStream_tbENKUlT_T0_E_clISt17integral_constantIbLb0EES10_IbLb1EEEEDaSW_SX_EUlSW_E_NS1_11comp_targetILNS1_3genE2ELNS1_11target_archE906ELNS1_3gpuE6ELNS1_3repE0EEENS1_30default_config_static_selectorELNS0_4arch9wavefront6targetE1EEEvT1_.kd
    .uniform_work_group_size: 1
    .uses_dynamic_stack: false
    .vgpr_count:     0
    .vgpr_spill_count: 0
    .wavefront_size: 64
  - .agpr_count:     0
    .args:
      - .offset:         0
        .size:           112
        .value_kind:     by_value
    .group_segment_fixed_size: 0
    .kernarg_segment_align: 8
    .kernarg_segment_size: 112
    .language:       OpenCL C
    .language_version:
      - 2
      - 0
    .max_flat_workgroup_size: 256
    .name:           _ZN7rocprim17ROCPRIM_400000_NS6detail17trampoline_kernelINS0_14default_configENS1_27scan_by_key_config_selectorIitEEZZNS1_16scan_by_key_implILNS1_25lookback_scan_determinismE0ELb0ES3_N6thrust23THRUST_200600_302600_NS6detail15normal_iteratorINS9_10device_ptrIiEEEENSB_INSC_ItEEEESG_tNS9_4plusIvEENS9_8equal_toIvEEtEE10hipError_tPvRmT2_T3_T4_T5_mT6_T7_P12ihipStream_tbENKUlT_T0_E_clISt17integral_constantIbLb0EES10_IbLb1EEEEDaSW_SX_EUlSW_E_NS1_11comp_targetILNS1_3genE10ELNS1_11target_archE1200ELNS1_3gpuE4ELNS1_3repE0EEENS1_30default_config_static_selectorELNS0_4arch9wavefront6targetE1EEEvT1_
    .private_segment_fixed_size: 0
    .sgpr_count:     6
    .sgpr_spill_count: 0
    .symbol:         _ZN7rocprim17ROCPRIM_400000_NS6detail17trampoline_kernelINS0_14default_configENS1_27scan_by_key_config_selectorIitEEZZNS1_16scan_by_key_implILNS1_25lookback_scan_determinismE0ELb0ES3_N6thrust23THRUST_200600_302600_NS6detail15normal_iteratorINS9_10device_ptrIiEEEENSB_INSC_ItEEEESG_tNS9_4plusIvEENS9_8equal_toIvEEtEE10hipError_tPvRmT2_T3_T4_T5_mT6_T7_P12ihipStream_tbENKUlT_T0_E_clISt17integral_constantIbLb0EES10_IbLb1EEEEDaSW_SX_EUlSW_E_NS1_11comp_targetILNS1_3genE10ELNS1_11target_archE1200ELNS1_3gpuE4ELNS1_3repE0EEENS1_30default_config_static_selectorELNS0_4arch9wavefront6targetE1EEEvT1_.kd
    .uniform_work_group_size: 1
    .uses_dynamic_stack: false
    .vgpr_count:     0
    .vgpr_spill_count: 0
    .wavefront_size: 64
  - .agpr_count:     0
    .args:
      - .offset:         0
        .size:           112
        .value_kind:     by_value
    .group_segment_fixed_size: 0
    .kernarg_segment_align: 8
    .kernarg_segment_size: 112
    .language:       OpenCL C
    .language_version:
      - 2
      - 0
    .max_flat_workgroup_size: 64
    .name:           _ZN7rocprim17ROCPRIM_400000_NS6detail17trampoline_kernelINS0_14default_configENS1_27scan_by_key_config_selectorIitEEZZNS1_16scan_by_key_implILNS1_25lookback_scan_determinismE0ELb0ES3_N6thrust23THRUST_200600_302600_NS6detail15normal_iteratorINS9_10device_ptrIiEEEENSB_INSC_ItEEEESG_tNS9_4plusIvEENS9_8equal_toIvEEtEE10hipError_tPvRmT2_T3_T4_T5_mT6_T7_P12ihipStream_tbENKUlT_T0_E_clISt17integral_constantIbLb0EES10_IbLb1EEEEDaSW_SX_EUlSW_E_NS1_11comp_targetILNS1_3genE9ELNS1_11target_archE1100ELNS1_3gpuE3ELNS1_3repE0EEENS1_30default_config_static_selectorELNS0_4arch9wavefront6targetE1EEEvT1_
    .private_segment_fixed_size: 0
    .sgpr_count:     6
    .sgpr_spill_count: 0
    .symbol:         _ZN7rocprim17ROCPRIM_400000_NS6detail17trampoline_kernelINS0_14default_configENS1_27scan_by_key_config_selectorIitEEZZNS1_16scan_by_key_implILNS1_25lookback_scan_determinismE0ELb0ES3_N6thrust23THRUST_200600_302600_NS6detail15normal_iteratorINS9_10device_ptrIiEEEENSB_INSC_ItEEEESG_tNS9_4plusIvEENS9_8equal_toIvEEtEE10hipError_tPvRmT2_T3_T4_T5_mT6_T7_P12ihipStream_tbENKUlT_T0_E_clISt17integral_constantIbLb0EES10_IbLb1EEEEDaSW_SX_EUlSW_E_NS1_11comp_targetILNS1_3genE9ELNS1_11target_archE1100ELNS1_3gpuE3ELNS1_3repE0EEENS1_30default_config_static_selectorELNS0_4arch9wavefront6targetE1EEEvT1_.kd
    .uniform_work_group_size: 1
    .uses_dynamic_stack: false
    .vgpr_count:     0
    .vgpr_spill_count: 0
    .wavefront_size: 64
  - .agpr_count:     0
    .args:
      - .offset:         0
        .size:           112
        .value_kind:     by_value
    .group_segment_fixed_size: 0
    .kernarg_segment_align: 8
    .kernarg_segment_size: 112
    .language:       OpenCL C
    .language_version:
      - 2
      - 0
    .max_flat_workgroup_size: 64
    .name:           _ZN7rocprim17ROCPRIM_400000_NS6detail17trampoline_kernelINS0_14default_configENS1_27scan_by_key_config_selectorIitEEZZNS1_16scan_by_key_implILNS1_25lookback_scan_determinismE0ELb0ES3_N6thrust23THRUST_200600_302600_NS6detail15normal_iteratorINS9_10device_ptrIiEEEENSB_INSC_ItEEEESG_tNS9_4plusIvEENS9_8equal_toIvEEtEE10hipError_tPvRmT2_T3_T4_T5_mT6_T7_P12ihipStream_tbENKUlT_T0_E_clISt17integral_constantIbLb0EES10_IbLb1EEEEDaSW_SX_EUlSW_E_NS1_11comp_targetILNS1_3genE8ELNS1_11target_archE1030ELNS1_3gpuE2ELNS1_3repE0EEENS1_30default_config_static_selectorELNS0_4arch9wavefront6targetE1EEEvT1_
    .private_segment_fixed_size: 0
    .sgpr_count:     6
    .sgpr_spill_count: 0
    .symbol:         _ZN7rocprim17ROCPRIM_400000_NS6detail17trampoline_kernelINS0_14default_configENS1_27scan_by_key_config_selectorIitEEZZNS1_16scan_by_key_implILNS1_25lookback_scan_determinismE0ELb0ES3_N6thrust23THRUST_200600_302600_NS6detail15normal_iteratorINS9_10device_ptrIiEEEENSB_INSC_ItEEEESG_tNS9_4plusIvEENS9_8equal_toIvEEtEE10hipError_tPvRmT2_T3_T4_T5_mT6_T7_P12ihipStream_tbENKUlT_T0_E_clISt17integral_constantIbLb0EES10_IbLb1EEEEDaSW_SX_EUlSW_E_NS1_11comp_targetILNS1_3genE8ELNS1_11target_archE1030ELNS1_3gpuE2ELNS1_3repE0EEENS1_30default_config_static_selectorELNS0_4arch9wavefront6targetE1EEEvT1_.kd
    .uniform_work_group_size: 1
    .uses_dynamic_stack: false
    .vgpr_count:     0
    .vgpr_spill_count: 0
    .wavefront_size: 64
  - .agpr_count:     0
    .args:
      - .offset:         0
        .size:           24
        .value_kind:     by_value
      - .offset:         24
        .size:           8
        .value_kind:     by_value
      - .offset:         32
        .size:           8
        .value_kind:     by_value
    .group_segment_fixed_size: 0
    .kernarg_segment_align: 8
    .kernarg_segment_size: 40
    .language:       OpenCL C
    .language_version:
      - 2
      - 0
    .max_flat_workgroup_size: 256
    .name:           _ZN6thrust23THRUST_200600_302600_NS11hip_rocprim14__parallel_for6kernelILj256ENS1_11__transform17unary_transform_fINS0_7pointerIiNS1_3tagENS0_11use_defaultES8_EENS0_10device_ptrIxEENS4_14no_stencil_tagENS0_8identityIiEENS4_21always_true_predicateEEElLj1EEEvT0_T1_SI_
    .private_segment_fixed_size: 0
    .sgpr_count:     18
    .sgpr_spill_count: 0
    .symbol:         _ZN6thrust23THRUST_200600_302600_NS11hip_rocprim14__parallel_for6kernelILj256ENS1_11__transform17unary_transform_fINS0_7pointerIiNS1_3tagENS0_11use_defaultES8_EENS0_10device_ptrIxEENS4_14no_stencil_tagENS0_8identityIiEENS4_21always_true_predicateEEElLj1EEEvT0_T1_SI_.kd
    .uniform_work_group_size: 1
    .uses_dynamic_stack: false
    .vgpr_count:     6
    .vgpr_spill_count: 0
    .wavefront_size: 64
  - .agpr_count:     0
    .args:
      - .offset:         0
        .size:           24
        .value_kind:     by_value
      - .offset:         24
        .size:           4
        .value_kind:     by_value
      - .offset:         28
        .size:           4
        .value_kind:     by_value
      - .address_space:  global
        .offset:         32
        .size:           8
        .value_kind:     global_buffer
      - .address_space:  global
        .offset:         40
        .size:           8
        .value_kind:     global_buffer
      - .actual_access:  write_only
        .address_space:  global
        .offset:         48
        .size:           8
        .value_kind:     global_buffer
      - .offset:         56
        .size:           8
        .value_kind:     by_value
      - .offset:         64
        .size:           4
        .value_kind:     by_value
      - .offset:         68
        .size:           1
        .value_kind:     by_value
      - .offset:         72
        .size:           4
        .value_kind:     hidden_block_count_x
      - .offset:         76
        .size:           4
        .value_kind:     hidden_block_count_y
      - .offset:         80
        .size:           4
        .value_kind:     hidden_block_count_z
      - .offset:         84
        .size:           2
        .value_kind:     hidden_group_size_x
      - .offset:         86
        .size:           2
        .value_kind:     hidden_group_size_y
      - .offset:         88
        .size:           2
        .value_kind:     hidden_group_size_z
      - .offset:         90
        .size:           2
        .value_kind:     hidden_remainder_x
      - .offset:         92
        .size:           2
        .value_kind:     hidden_remainder_y
      - .offset:         94
        .size:           2
        .value_kind:     hidden_remainder_z
      - .offset:         112
        .size:           8
        .value_kind:     hidden_global_offset_x
      - .offset:         120
        .size:           8
        .value_kind:     hidden_global_offset_y
      - .offset:         128
        .size:           8
        .value_kind:     hidden_global_offset_z
      - .offset:         136
        .size:           2
        .value_kind:     hidden_grid_dims
    .group_segment_fixed_size: 0
    .kernarg_segment_align: 8
    .kernarg_segment_size: 328
    .language:       OpenCL C
    .language_version:
      - 2
      - 0
    .max_flat_workgroup_size: 256
    .name:           _ZN7rocprim17ROCPRIM_400000_NS6detail30init_device_scan_by_key_kernelINS1_19lookback_scan_stateINS0_5tupleIJxbEEELb0ELb0EEEN6thrust23THRUST_200600_302600_NS6detail15normal_iteratorINS8_10device_ptrIiEEEEjNS1_16block_id_wrapperIjLb0EEEEEvT_jjPNSG_10value_typeET0_PNSt15iterator_traitsISJ_E10value_typeEmT1_T2_
    .private_segment_fixed_size: 0
    .sgpr_count:     28
    .sgpr_spill_count: 0
    .symbol:         _ZN7rocprim17ROCPRIM_400000_NS6detail30init_device_scan_by_key_kernelINS1_19lookback_scan_stateINS0_5tupleIJxbEEELb0ELb0EEEN6thrust23THRUST_200600_302600_NS6detail15normal_iteratorINS8_10device_ptrIiEEEEjNS1_16block_id_wrapperIjLb0EEEEEvT_jjPNSG_10value_typeET0_PNSt15iterator_traitsISJ_E10value_typeEmT1_T2_.kd
    .uniform_work_group_size: 1
    .uses_dynamic_stack: false
    .vgpr_count:     7
    .vgpr_spill_count: 0
    .wavefront_size: 64
  - .agpr_count:     0
    .args:
      - .offset:         0
        .size:           136
        .value_kind:     by_value
    .group_segment_fixed_size: 0
    .kernarg_segment_align: 8
    .kernarg_segment_size: 136
    .language:       OpenCL C
    .language_version:
      - 2
      - 0
    .max_flat_workgroup_size: 128
    .name:           _ZN7rocprim17ROCPRIM_400000_NS6detail17trampoline_kernelINS0_14default_configENS1_27scan_by_key_config_selectorIixEEZZNS1_16scan_by_key_implILNS1_25lookback_scan_determinismE0ELb0ES3_N6thrust23THRUST_200600_302600_NS6detail15normal_iteratorINS9_10device_ptrIiEEEENSB_INSC_IxEEEESG_xNS9_4plusIvEENS9_8equal_toIvEExEE10hipError_tPvRmT2_T3_T4_T5_mT6_T7_P12ihipStream_tbENKUlT_T0_E_clISt17integral_constantIbLb0EES11_EEDaSW_SX_EUlSW_E_NS1_11comp_targetILNS1_3genE0ELNS1_11target_archE4294967295ELNS1_3gpuE0ELNS1_3repE0EEENS1_30default_config_static_selectorELNS0_4arch9wavefront6targetE1EEEvT1_
    .private_segment_fixed_size: 0
    .sgpr_count:     6
    .sgpr_spill_count: 0
    .symbol:         _ZN7rocprim17ROCPRIM_400000_NS6detail17trampoline_kernelINS0_14default_configENS1_27scan_by_key_config_selectorIixEEZZNS1_16scan_by_key_implILNS1_25lookback_scan_determinismE0ELb0ES3_N6thrust23THRUST_200600_302600_NS6detail15normal_iteratorINS9_10device_ptrIiEEEENSB_INSC_IxEEEESG_xNS9_4plusIvEENS9_8equal_toIvEExEE10hipError_tPvRmT2_T3_T4_T5_mT6_T7_P12ihipStream_tbENKUlT_T0_E_clISt17integral_constantIbLb0EES11_EEDaSW_SX_EUlSW_E_NS1_11comp_targetILNS1_3genE0ELNS1_11target_archE4294967295ELNS1_3gpuE0ELNS1_3repE0EEENS1_30default_config_static_selectorELNS0_4arch9wavefront6targetE1EEEvT1_.kd
    .uniform_work_group_size: 1
    .uses_dynamic_stack: false
    .vgpr_count:     0
    .vgpr_spill_count: 0
    .wavefront_size: 64
  - .agpr_count:     0
    .args:
      - .offset:         0
        .size:           136
        .value_kind:     by_value
    .group_segment_fixed_size: 0
    .kernarg_segment_align: 8
    .kernarg_segment_size: 136
    .language:       OpenCL C
    .language_version:
      - 2
      - 0
    .max_flat_workgroup_size: 256
    .name:           _ZN7rocprim17ROCPRIM_400000_NS6detail17trampoline_kernelINS0_14default_configENS1_27scan_by_key_config_selectorIixEEZZNS1_16scan_by_key_implILNS1_25lookback_scan_determinismE0ELb0ES3_N6thrust23THRUST_200600_302600_NS6detail15normal_iteratorINS9_10device_ptrIiEEEENSB_INSC_IxEEEESG_xNS9_4plusIvEENS9_8equal_toIvEExEE10hipError_tPvRmT2_T3_T4_T5_mT6_T7_P12ihipStream_tbENKUlT_T0_E_clISt17integral_constantIbLb0EES11_EEDaSW_SX_EUlSW_E_NS1_11comp_targetILNS1_3genE10ELNS1_11target_archE1201ELNS1_3gpuE5ELNS1_3repE0EEENS1_30default_config_static_selectorELNS0_4arch9wavefront6targetE1EEEvT1_
    .private_segment_fixed_size: 0
    .sgpr_count:     6
    .sgpr_spill_count: 0
    .symbol:         _ZN7rocprim17ROCPRIM_400000_NS6detail17trampoline_kernelINS0_14default_configENS1_27scan_by_key_config_selectorIixEEZZNS1_16scan_by_key_implILNS1_25lookback_scan_determinismE0ELb0ES3_N6thrust23THRUST_200600_302600_NS6detail15normal_iteratorINS9_10device_ptrIiEEEENSB_INSC_IxEEEESG_xNS9_4plusIvEENS9_8equal_toIvEExEE10hipError_tPvRmT2_T3_T4_T5_mT6_T7_P12ihipStream_tbENKUlT_T0_E_clISt17integral_constantIbLb0EES11_EEDaSW_SX_EUlSW_E_NS1_11comp_targetILNS1_3genE10ELNS1_11target_archE1201ELNS1_3gpuE5ELNS1_3repE0EEENS1_30default_config_static_selectorELNS0_4arch9wavefront6targetE1EEEvT1_.kd
    .uniform_work_group_size: 1
    .uses_dynamic_stack: false
    .vgpr_count:     0
    .vgpr_spill_count: 0
    .wavefront_size: 64
  - .agpr_count:     0
    .args:
      - .offset:         0
        .size:           136
        .value_kind:     by_value
    .group_segment_fixed_size: 43008
    .kernarg_segment_align: 8
    .kernarg_segment_size: 136
    .language:       OpenCL C
    .language_version:
      - 2
      - 0
    .max_flat_workgroup_size: 256
    .name:           _ZN7rocprim17ROCPRIM_400000_NS6detail17trampoline_kernelINS0_14default_configENS1_27scan_by_key_config_selectorIixEEZZNS1_16scan_by_key_implILNS1_25lookback_scan_determinismE0ELb0ES3_N6thrust23THRUST_200600_302600_NS6detail15normal_iteratorINS9_10device_ptrIiEEEENSB_INSC_IxEEEESG_xNS9_4plusIvEENS9_8equal_toIvEExEE10hipError_tPvRmT2_T3_T4_T5_mT6_T7_P12ihipStream_tbENKUlT_T0_E_clISt17integral_constantIbLb0EES11_EEDaSW_SX_EUlSW_E_NS1_11comp_targetILNS1_3genE5ELNS1_11target_archE942ELNS1_3gpuE9ELNS1_3repE0EEENS1_30default_config_static_selectorELNS0_4arch9wavefront6targetE1EEEvT1_
    .private_segment_fixed_size: 0
    .sgpr_count:     106
    .sgpr_spill_count: 8
    .symbol:         _ZN7rocprim17ROCPRIM_400000_NS6detail17trampoline_kernelINS0_14default_configENS1_27scan_by_key_config_selectorIixEEZZNS1_16scan_by_key_implILNS1_25lookback_scan_determinismE0ELb0ES3_N6thrust23THRUST_200600_302600_NS6detail15normal_iteratorINS9_10device_ptrIiEEEENSB_INSC_IxEEEESG_xNS9_4plusIvEENS9_8equal_toIvEExEE10hipError_tPvRmT2_T3_T4_T5_mT6_T7_P12ihipStream_tbENKUlT_T0_E_clISt17integral_constantIbLb0EES11_EEDaSW_SX_EUlSW_E_NS1_11comp_targetILNS1_3genE5ELNS1_11target_archE942ELNS1_3gpuE9ELNS1_3repE0EEENS1_30default_config_static_selectorELNS0_4arch9wavefront6targetE1EEEvT1_.kd
    .uniform_work_group_size: 1
    .uses_dynamic_stack: false
    .vgpr_count:     132
    .vgpr_spill_count: 0
    .wavefront_size: 64
  - .agpr_count:     0
    .args:
      - .offset:         0
        .size:           136
        .value_kind:     by_value
    .group_segment_fixed_size: 0
    .kernarg_segment_align: 8
    .kernarg_segment_size: 136
    .language:       OpenCL C
    .language_version:
      - 2
      - 0
    .max_flat_workgroup_size: 64
    .name:           _ZN7rocprim17ROCPRIM_400000_NS6detail17trampoline_kernelINS0_14default_configENS1_27scan_by_key_config_selectorIixEEZZNS1_16scan_by_key_implILNS1_25lookback_scan_determinismE0ELb0ES3_N6thrust23THRUST_200600_302600_NS6detail15normal_iteratorINS9_10device_ptrIiEEEENSB_INSC_IxEEEESG_xNS9_4plusIvEENS9_8equal_toIvEExEE10hipError_tPvRmT2_T3_T4_T5_mT6_T7_P12ihipStream_tbENKUlT_T0_E_clISt17integral_constantIbLb0EES11_EEDaSW_SX_EUlSW_E_NS1_11comp_targetILNS1_3genE4ELNS1_11target_archE910ELNS1_3gpuE8ELNS1_3repE0EEENS1_30default_config_static_selectorELNS0_4arch9wavefront6targetE1EEEvT1_
    .private_segment_fixed_size: 0
    .sgpr_count:     6
    .sgpr_spill_count: 0
    .symbol:         _ZN7rocprim17ROCPRIM_400000_NS6detail17trampoline_kernelINS0_14default_configENS1_27scan_by_key_config_selectorIixEEZZNS1_16scan_by_key_implILNS1_25lookback_scan_determinismE0ELb0ES3_N6thrust23THRUST_200600_302600_NS6detail15normal_iteratorINS9_10device_ptrIiEEEENSB_INSC_IxEEEESG_xNS9_4plusIvEENS9_8equal_toIvEExEE10hipError_tPvRmT2_T3_T4_T5_mT6_T7_P12ihipStream_tbENKUlT_T0_E_clISt17integral_constantIbLb0EES11_EEDaSW_SX_EUlSW_E_NS1_11comp_targetILNS1_3genE4ELNS1_11target_archE910ELNS1_3gpuE8ELNS1_3repE0EEENS1_30default_config_static_selectorELNS0_4arch9wavefront6targetE1EEEvT1_.kd
    .uniform_work_group_size: 1
    .uses_dynamic_stack: false
    .vgpr_count:     0
    .vgpr_spill_count: 0
    .wavefront_size: 64
  - .agpr_count:     0
    .args:
      - .offset:         0
        .size:           136
        .value_kind:     by_value
    .group_segment_fixed_size: 0
    .kernarg_segment_align: 8
    .kernarg_segment_size: 136
    .language:       OpenCL C
    .language_version:
      - 2
      - 0
    .max_flat_workgroup_size: 128
    .name:           _ZN7rocprim17ROCPRIM_400000_NS6detail17trampoline_kernelINS0_14default_configENS1_27scan_by_key_config_selectorIixEEZZNS1_16scan_by_key_implILNS1_25lookback_scan_determinismE0ELb0ES3_N6thrust23THRUST_200600_302600_NS6detail15normal_iteratorINS9_10device_ptrIiEEEENSB_INSC_IxEEEESG_xNS9_4plusIvEENS9_8equal_toIvEExEE10hipError_tPvRmT2_T3_T4_T5_mT6_T7_P12ihipStream_tbENKUlT_T0_E_clISt17integral_constantIbLb0EES11_EEDaSW_SX_EUlSW_E_NS1_11comp_targetILNS1_3genE3ELNS1_11target_archE908ELNS1_3gpuE7ELNS1_3repE0EEENS1_30default_config_static_selectorELNS0_4arch9wavefront6targetE1EEEvT1_
    .private_segment_fixed_size: 0
    .sgpr_count:     6
    .sgpr_spill_count: 0
    .symbol:         _ZN7rocprim17ROCPRIM_400000_NS6detail17trampoline_kernelINS0_14default_configENS1_27scan_by_key_config_selectorIixEEZZNS1_16scan_by_key_implILNS1_25lookback_scan_determinismE0ELb0ES3_N6thrust23THRUST_200600_302600_NS6detail15normal_iteratorINS9_10device_ptrIiEEEENSB_INSC_IxEEEESG_xNS9_4plusIvEENS9_8equal_toIvEExEE10hipError_tPvRmT2_T3_T4_T5_mT6_T7_P12ihipStream_tbENKUlT_T0_E_clISt17integral_constantIbLb0EES11_EEDaSW_SX_EUlSW_E_NS1_11comp_targetILNS1_3genE3ELNS1_11target_archE908ELNS1_3gpuE7ELNS1_3repE0EEENS1_30default_config_static_selectorELNS0_4arch9wavefront6targetE1EEEvT1_.kd
    .uniform_work_group_size: 1
    .uses_dynamic_stack: false
    .vgpr_count:     0
    .vgpr_spill_count: 0
    .wavefront_size: 64
  - .agpr_count:     0
    .args:
      - .offset:         0
        .size:           136
        .value_kind:     by_value
    .group_segment_fixed_size: 0
    .kernarg_segment_align: 8
    .kernarg_segment_size: 136
    .language:       OpenCL C
    .language_version:
      - 2
      - 0
    .max_flat_workgroup_size: 64
    .name:           _ZN7rocprim17ROCPRIM_400000_NS6detail17trampoline_kernelINS0_14default_configENS1_27scan_by_key_config_selectorIixEEZZNS1_16scan_by_key_implILNS1_25lookback_scan_determinismE0ELb0ES3_N6thrust23THRUST_200600_302600_NS6detail15normal_iteratorINS9_10device_ptrIiEEEENSB_INSC_IxEEEESG_xNS9_4plusIvEENS9_8equal_toIvEExEE10hipError_tPvRmT2_T3_T4_T5_mT6_T7_P12ihipStream_tbENKUlT_T0_E_clISt17integral_constantIbLb0EES11_EEDaSW_SX_EUlSW_E_NS1_11comp_targetILNS1_3genE2ELNS1_11target_archE906ELNS1_3gpuE6ELNS1_3repE0EEENS1_30default_config_static_selectorELNS0_4arch9wavefront6targetE1EEEvT1_
    .private_segment_fixed_size: 0
    .sgpr_count:     6
    .sgpr_spill_count: 0
    .symbol:         _ZN7rocprim17ROCPRIM_400000_NS6detail17trampoline_kernelINS0_14default_configENS1_27scan_by_key_config_selectorIixEEZZNS1_16scan_by_key_implILNS1_25lookback_scan_determinismE0ELb0ES3_N6thrust23THRUST_200600_302600_NS6detail15normal_iteratorINS9_10device_ptrIiEEEENSB_INSC_IxEEEESG_xNS9_4plusIvEENS9_8equal_toIvEExEE10hipError_tPvRmT2_T3_T4_T5_mT6_T7_P12ihipStream_tbENKUlT_T0_E_clISt17integral_constantIbLb0EES11_EEDaSW_SX_EUlSW_E_NS1_11comp_targetILNS1_3genE2ELNS1_11target_archE906ELNS1_3gpuE6ELNS1_3repE0EEENS1_30default_config_static_selectorELNS0_4arch9wavefront6targetE1EEEvT1_.kd
    .uniform_work_group_size: 1
    .uses_dynamic_stack: false
    .vgpr_count:     0
    .vgpr_spill_count: 0
    .wavefront_size: 64
  - .agpr_count:     0
    .args:
      - .offset:         0
        .size:           136
        .value_kind:     by_value
    .group_segment_fixed_size: 0
    .kernarg_segment_align: 8
    .kernarg_segment_size: 136
    .language:       OpenCL C
    .language_version:
      - 2
      - 0
    .max_flat_workgroup_size: 256
    .name:           _ZN7rocprim17ROCPRIM_400000_NS6detail17trampoline_kernelINS0_14default_configENS1_27scan_by_key_config_selectorIixEEZZNS1_16scan_by_key_implILNS1_25lookback_scan_determinismE0ELb0ES3_N6thrust23THRUST_200600_302600_NS6detail15normal_iteratorINS9_10device_ptrIiEEEENSB_INSC_IxEEEESG_xNS9_4plusIvEENS9_8equal_toIvEExEE10hipError_tPvRmT2_T3_T4_T5_mT6_T7_P12ihipStream_tbENKUlT_T0_E_clISt17integral_constantIbLb0EES11_EEDaSW_SX_EUlSW_E_NS1_11comp_targetILNS1_3genE10ELNS1_11target_archE1200ELNS1_3gpuE4ELNS1_3repE0EEENS1_30default_config_static_selectorELNS0_4arch9wavefront6targetE1EEEvT1_
    .private_segment_fixed_size: 0
    .sgpr_count:     6
    .sgpr_spill_count: 0
    .symbol:         _ZN7rocprim17ROCPRIM_400000_NS6detail17trampoline_kernelINS0_14default_configENS1_27scan_by_key_config_selectorIixEEZZNS1_16scan_by_key_implILNS1_25lookback_scan_determinismE0ELb0ES3_N6thrust23THRUST_200600_302600_NS6detail15normal_iteratorINS9_10device_ptrIiEEEENSB_INSC_IxEEEESG_xNS9_4plusIvEENS9_8equal_toIvEExEE10hipError_tPvRmT2_T3_T4_T5_mT6_T7_P12ihipStream_tbENKUlT_T0_E_clISt17integral_constantIbLb0EES11_EEDaSW_SX_EUlSW_E_NS1_11comp_targetILNS1_3genE10ELNS1_11target_archE1200ELNS1_3gpuE4ELNS1_3repE0EEENS1_30default_config_static_selectorELNS0_4arch9wavefront6targetE1EEEvT1_.kd
    .uniform_work_group_size: 1
    .uses_dynamic_stack: false
    .vgpr_count:     0
    .vgpr_spill_count: 0
    .wavefront_size: 64
  - .agpr_count:     0
    .args:
      - .offset:         0
        .size:           136
        .value_kind:     by_value
    .group_segment_fixed_size: 0
    .kernarg_segment_align: 8
    .kernarg_segment_size: 136
    .language:       OpenCL C
    .language_version:
      - 2
      - 0
    .max_flat_workgroup_size: 256
    .name:           _ZN7rocprim17ROCPRIM_400000_NS6detail17trampoline_kernelINS0_14default_configENS1_27scan_by_key_config_selectorIixEEZZNS1_16scan_by_key_implILNS1_25lookback_scan_determinismE0ELb0ES3_N6thrust23THRUST_200600_302600_NS6detail15normal_iteratorINS9_10device_ptrIiEEEENSB_INSC_IxEEEESG_xNS9_4plusIvEENS9_8equal_toIvEExEE10hipError_tPvRmT2_T3_T4_T5_mT6_T7_P12ihipStream_tbENKUlT_T0_E_clISt17integral_constantIbLb0EES11_EEDaSW_SX_EUlSW_E_NS1_11comp_targetILNS1_3genE9ELNS1_11target_archE1100ELNS1_3gpuE3ELNS1_3repE0EEENS1_30default_config_static_selectorELNS0_4arch9wavefront6targetE1EEEvT1_
    .private_segment_fixed_size: 0
    .sgpr_count:     6
    .sgpr_spill_count: 0
    .symbol:         _ZN7rocprim17ROCPRIM_400000_NS6detail17trampoline_kernelINS0_14default_configENS1_27scan_by_key_config_selectorIixEEZZNS1_16scan_by_key_implILNS1_25lookback_scan_determinismE0ELb0ES3_N6thrust23THRUST_200600_302600_NS6detail15normal_iteratorINS9_10device_ptrIiEEEENSB_INSC_IxEEEESG_xNS9_4plusIvEENS9_8equal_toIvEExEE10hipError_tPvRmT2_T3_T4_T5_mT6_T7_P12ihipStream_tbENKUlT_T0_E_clISt17integral_constantIbLb0EES11_EEDaSW_SX_EUlSW_E_NS1_11comp_targetILNS1_3genE9ELNS1_11target_archE1100ELNS1_3gpuE3ELNS1_3repE0EEENS1_30default_config_static_selectorELNS0_4arch9wavefront6targetE1EEEvT1_.kd
    .uniform_work_group_size: 1
    .uses_dynamic_stack: false
    .vgpr_count:     0
    .vgpr_spill_count: 0
    .wavefront_size: 64
  - .agpr_count:     0
    .args:
      - .offset:         0
        .size:           136
        .value_kind:     by_value
    .group_segment_fixed_size: 0
    .kernarg_segment_align: 8
    .kernarg_segment_size: 136
    .language:       OpenCL C
    .language_version:
      - 2
      - 0
    .max_flat_workgroup_size: 256
    .name:           _ZN7rocprim17ROCPRIM_400000_NS6detail17trampoline_kernelINS0_14default_configENS1_27scan_by_key_config_selectorIixEEZZNS1_16scan_by_key_implILNS1_25lookback_scan_determinismE0ELb0ES3_N6thrust23THRUST_200600_302600_NS6detail15normal_iteratorINS9_10device_ptrIiEEEENSB_INSC_IxEEEESG_xNS9_4plusIvEENS9_8equal_toIvEExEE10hipError_tPvRmT2_T3_T4_T5_mT6_T7_P12ihipStream_tbENKUlT_T0_E_clISt17integral_constantIbLb0EES11_EEDaSW_SX_EUlSW_E_NS1_11comp_targetILNS1_3genE8ELNS1_11target_archE1030ELNS1_3gpuE2ELNS1_3repE0EEENS1_30default_config_static_selectorELNS0_4arch9wavefront6targetE1EEEvT1_
    .private_segment_fixed_size: 0
    .sgpr_count:     6
    .sgpr_spill_count: 0
    .symbol:         _ZN7rocprim17ROCPRIM_400000_NS6detail17trampoline_kernelINS0_14default_configENS1_27scan_by_key_config_selectorIixEEZZNS1_16scan_by_key_implILNS1_25lookback_scan_determinismE0ELb0ES3_N6thrust23THRUST_200600_302600_NS6detail15normal_iteratorINS9_10device_ptrIiEEEENSB_INSC_IxEEEESG_xNS9_4plusIvEENS9_8equal_toIvEExEE10hipError_tPvRmT2_T3_T4_T5_mT6_T7_P12ihipStream_tbENKUlT_T0_E_clISt17integral_constantIbLb0EES11_EEDaSW_SX_EUlSW_E_NS1_11comp_targetILNS1_3genE8ELNS1_11target_archE1030ELNS1_3gpuE2ELNS1_3repE0EEENS1_30default_config_static_selectorELNS0_4arch9wavefront6targetE1EEEvT1_.kd
    .uniform_work_group_size: 1
    .uses_dynamic_stack: false
    .vgpr_count:     0
    .vgpr_spill_count: 0
    .wavefront_size: 64
  - .agpr_count:     0
    .args:
      - .offset:         0
        .size:           24
        .value_kind:     by_value
      - .offset:         24
        .size:           4
        .value_kind:     by_value
      - .offset:         28
        .size:           4
        .value_kind:     by_value
      - .address_space:  global
        .offset:         32
        .size:           8
        .value_kind:     global_buffer
      - .address_space:  global
        .offset:         40
        .size:           8
        .value_kind:     global_buffer
      - .actual_access:  write_only
        .address_space:  global
        .offset:         48
        .size:           8
        .value_kind:     global_buffer
      - .offset:         56
        .size:           8
        .value_kind:     by_value
      - .offset:         64
        .size:           4
        .value_kind:     by_value
      - .address_space:  global
        .offset:         72
        .size:           8
        .value_kind:     global_buffer
      - .offset:         80
        .size:           4
        .value_kind:     hidden_block_count_x
      - .offset:         84
        .size:           4
        .value_kind:     hidden_block_count_y
      - .offset:         88
        .size:           4
        .value_kind:     hidden_block_count_z
      - .offset:         92
        .size:           2
        .value_kind:     hidden_group_size_x
      - .offset:         94
        .size:           2
        .value_kind:     hidden_group_size_y
      - .offset:         96
        .size:           2
        .value_kind:     hidden_group_size_z
      - .offset:         98
        .size:           2
        .value_kind:     hidden_remainder_x
      - .offset:         100
        .size:           2
        .value_kind:     hidden_remainder_y
      - .offset:         102
        .size:           2
        .value_kind:     hidden_remainder_z
      - .offset:         120
        .size:           8
        .value_kind:     hidden_global_offset_x
      - .offset:         128
        .size:           8
        .value_kind:     hidden_global_offset_y
      - .offset:         136
        .size:           8
        .value_kind:     hidden_global_offset_z
      - .offset:         144
        .size:           2
        .value_kind:     hidden_grid_dims
    .group_segment_fixed_size: 0
    .kernarg_segment_align: 8
    .kernarg_segment_size: 336
    .language:       OpenCL C
    .language_version:
      - 2
      - 0
    .max_flat_workgroup_size: 256
    .name:           _ZN7rocprim17ROCPRIM_400000_NS6detail30init_device_scan_by_key_kernelINS1_19lookback_scan_stateINS0_5tupleIJxbEEELb1ELb0EEEN6thrust23THRUST_200600_302600_NS6detail15normal_iteratorINS8_10device_ptrIiEEEEjNS1_16block_id_wrapperIjLb1EEEEEvT_jjPNSG_10value_typeET0_PNSt15iterator_traitsISJ_E10value_typeEmT1_T2_
    .private_segment_fixed_size: 0
    .sgpr_count:     30
    .sgpr_spill_count: 0
    .symbol:         _ZN7rocprim17ROCPRIM_400000_NS6detail30init_device_scan_by_key_kernelINS1_19lookback_scan_stateINS0_5tupleIJxbEEELb1ELb0EEEN6thrust23THRUST_200600_302600_NS6detail15normal_iteratorINS8_10device_ptrIiEEEEjNS1_16block_id_wrapperIjLb1EEEEEvT_jjPNSG_10value_typeET0_PNSt15iterator_traitsISJ_E10value_typeEmT1_T2_.kd
    .uniform_work_group_size: 1
    .uses_dynamic_stack: false
    .vgpr_count:     7
    .vgpr_spill_count: 0
    .wavefront_size: 64
  - .agpr_count:     0
    .args:
      - .offset:         0
        .size:           136
        .value_kind:     by_value
    .group_segment_fixed_size: 0
    .kernarg_segment_align: 8
    .kernarg_segment_size: 136
    .language:       OpenCL C
    .language_version:
      - 2
      - 0
    .max_flat_workgroup_size: 128
    .name:           _ZN7rocprim17ROCPRIM_400000_NS6detail17trampoline_kernelINS0_14default_configENS1_27scan_by_key_config_selectorIixEEZZNS1_16scan_by_key_implILNS1_25lookback_scan_determinismE0ELb0ES3_N6thrust23THRUST_200600_302600_NS6detail15normal_iteratorINS9_10device_ptrIiEEEENSB_INSC_IxEEEESG_xNS9_4plusIvEENS9_8equal_toIvEExEE10hipError_tPvRmT2_T3_T4_T5_mT6_T7_P12ihipStream_tbENKUlT_T0_E_clISt17integral_constantIbLb1EES11_EEDaSW_SX_EUlSW_E_NS1_11comp_targetILNS1_3genE0ELNS1_11target_archE4294967295ELNS1_3gpuE0ELNS1_3repE0EEENS1_30default_config_static_selectorELNS0_4arch9wavefront6targetE1EEEvT1_
    .private_segment_fixed_size: 0
    .sgpr_count:     6
    .sgpr_spill_count: 0
    .symbol:         _ZN7rocprim17ROCPRIM_400000_NS6detail17trampoline_kernelINS0_14default_configENS1_27scan_by_key_config_selectorIixEEZZNS1_16scan_by_key_implILNS1_25lookback_scan_determinismE0ELb0ES3_N6thrust23THRUST_200600_302600_NS6detail15normal_iteratorINS9_10device_ptrIiEEEENSB_INSC_IxEEEESG_xNS9_4plusIvEENS9_8equal_toIvEExEE10hipError_tPvRmT2_T3_T4_T5_mT6_T7_P12ihipStream_tbENKUlT_T0_E_clISt17integral_constantIbLb1EES11_EEDaSW_SX_EUlSW_E_NS1_11comp_targetILNS1_3genE0ELNS1_11target_archE4294967295ELNS1_3gpuE0ELNS1_3repE0EEENS1_30default_config_static_selectorELNS0_4arch9wavefront6targetE1EEEvT1_.kd
    .uniform_work_group_size: 1
    .uses_dynamic_stack: false
    .vgpr_count:     0
    .vgpr_spill_count: 0
    .wavefront_size: 64
  - .agpr_count:     0
    .args:
      - .offset:         0
        .size:           136
        .value_kind:     by_value
    .group_segment_fixed_size: 0
    .kernarg_segment_align: 8
    .kernarg_segment_size: 136
    .language:       OpenCL C
    .language_version:
      - 2
      - 0
    .max_flat_workgroup_size: 256
    .name:           _ZN7rocprim17ROCPRIM_400000_NS6detail17trampoline_kernelINS0_14default_configENS1_27scan_by_key_config_selectorIixEEZZNS1_16scan_by_key_implILNS1_25lookback_scan_determinismE0ELb0ES3_N6thrust23THRUST_200600_302600_NS6detail15normal_iteratorINS9_10device_ptrIiEEEENSB_INSC_IxEEEESG_xNS9_4plusIvEENS9_8equal_toIvEExEE10hipError_tPvRmT2_T3_T4_T5_mT6_T7_P12ihipStream_tbENKUlT_T0_E_clISt17integral_constantIbLb1EES11_EEDaSW_SX_EUlSW_E_NS1_11comp_targetILNS1_3genE10ELNS1_11target_archE1201ELNS1_3gpuE5ELNS1_3repE0EEENS1_30default_config_static_selectorELNS0_4arch9wavefront6targetE1EEEvT1_
    .private_segment_fixed_size: 0
    .sgpr_count:     6
    .sgpr_spill_count: 0
    .symbol:         _ZN7rocprim17ROCPRIM_400000_NS6detail17trampoline_kernelINS0_14default_configENS1_27scan_by_key_config_selectorIixEEZZNS1_16scan_by_key_implILNS1_25lookback_scan_determinismE0ELb0ES3_N6thrust23THRUST_200600_302600_NS6detail15normal_iteratorINS9_10device_ptrIiEEEENSB_INSC_IxEEEESG_xNS9_4plusIvEENS9_8equal_toIvEExEE10hipError_tPvRmT2_T3_T4_T5_mT6_T7_P12ihipStream_tbENKUlT_T0_E_clISt17integral_constantIbLb1EES11_EEDaSW_SX_EUlSW_E_NS1_11comp_targetILNS1_3genE10ELNS1_11target_archE1201ELNS1_3gpuE5ELNS1_3repE0EEENS1_30default_config_static_selectorELNS0_4arch9wavefront6targetE1EEEvT1_.kd
    .uniform_work_group_size: 1
    .uses_dynamic_stack: false
    .vgpr_count:     0
    .vgpr_spill_count: 0
    .wavefront_size: 64
  - .agpr_count:     0
    .args:
      - .offset:         0
        .size:           136
        .value_kind:     by_value
    .group_segment_fixed_size: 43008
    .kernarg_segment_align: 8
    .kernarg_segment_size: 136
    .language:       OpenCL C
    .language_version:
      - 2
      - 0
    .max_flat_workgroup_size: 256
    .name:           _ZN7rocprim17ROCPRIM_400000_NS6detail17trampoline_kernelINS0_14default_configENS1_27scan_by_key_config_selectorIixEEZZNS1_16scan_by_key_implILNS1_25lookback_scan_determinismE0ELb0ES3_N6thrust23THRUST_200600_302600_NS6detail15normal_iteratorINS9_10device_ptrIiEEEENSB_INSC_IxEEEESG_xNS9_4plusIvEENS9_8equal_toIvEExEE10hipError_tPvRmT2_T3_T4_T5_mT6_T7_P12ihipStream_tbENKUlT_T0_E_clISt17integral_constantIbLb1EES11_EEDaSW_SX_EUlSW_E_NS1_11comp_targetILNS1_3genE5ELNS1_11target_archE942ELNS1_3gpuE9ELNS1_3repE0EEENS1_30default_config_static_selectorELNS0_4arch9wavefront6targetE1EEEvT1_
    .private_segment_fixed_size: 0
    .sgpr_count:     106
    .sgpr_spill_count: 10
    .symbol:         _ZN7rocprim17ROCPRIM_400000_NS6detail17trampoline_kernelINS0_14default_configENS1_27scan_by_key_config_selectorIixEEZZNS1_16scan_by_key_implILNS1_25lookback_scan_determinismE0ELb0ES3_N6thrust23THRUST_200600_302600_NS6detail15normal_iteratorINS9_10device_ptrIiEEEENSB_INSC_IxEEEESG_xNS9_4plusIvEENS9_8equal_toIvEExEE10hipError_tPvRmT2_T3_T4_T5_mT6_T7_P12ihipStream_tbENKUlT_T0_E_clISt17integral_constantIbLb1EES11_EEDaSW_SX_EUlSW_E_NS1_11comp_targetILNS1_3genE5ELNS1_11target_archE942ELNS1_3gpuE9ELNS1_3repE0EEENS1_30default_config_static_selectorELNS0_4arch9wavefront6targetE1EEEvT1_.kd
    .uniform_work_group_size: 1
    .uses_dynamic_stack: false
    .vgpr_count:     132
    .vgpr_spill_count: 0
    .wavefront_size: 64
  - .agpr_count:     0
    .args:
      - .offset:         0
        .size:           136
        .value_kind:     by_value
    .group_segment_fixed_size: 0
    .kernarg_segment_align: 8
    .kernarg_segment_size: 136
    .language:       OpenCL C
    .language_version:
      - 2
      - 0
    .max_flat_workgroup_size: 64
    .name:           _ZN7rocprim17ROCPRIM_400000_NS6detail17trampoline_kernelINS0_14default_configENS1_27scan_by_key_config_selectorIixEEZZNS1_16scan_by_key_implILNS1_25lookback_scan_determinismE0ELb0ES3_N6thrust23THRUST_200600_302600_NS6detail15normal_iteratorINS9_10device_ptrIiEEEENSB_INSC_IxEEEESG_xNS9_4plusIvEENS9_8equal_toIvEExEE10hipError_tPvRmT2_T3_T4_T5_mT6_T7_P12ihipStream_tbENKUlT_T0_E_clISt17integral_constantIbLb1EES11_EEDaSW_SX_EUlSW_E_NS1_11comp_targetILNS1_3genE4ELNS1_11target_archE910ELNS1_3gpuE8ELNS1_3repE0EEENS1_30default_config_static_selectorELNS0_4arch9wavefront6targetE1EEEvT1_
    .private_segment_fixed_size: 0
    .sgpr_count:     6
    .sgpr_spill_count: 0
    .symbol:         _ZN7rocprim17ROCPRIM_400000_NS6detail17trampoline_kernelINS0_14default_configENS1_27scan_by_key_config_selectorIixEEZZNS1_16scan_by_key_implILNS1_25lookback_scan_determinismE0ELb0ES3_N6thrust23THRUST_200600_302600_NS6detail15normal_iteratorINS9_10device_ptrIiEEEENSB_INSC_IxEEEESG_xNS9_4plusIvEENS9_8equal_toIvEExEE10hipError_tPvRmT2_T3_T4_T5_mT6_T7_P12ihipStream_tbENKUlT_T0_E_clISt17integral_constantIbLb1EES11_EEDaSW_SX_EUlSW_E_NS1_11comp_targetILNS1_3genE4ELNS1_11target_archE910ELNS1_3gpuE8ELNS1_3repE0EEENS1_30default_config_static_selectorELNS0_4arch9wavefront6targetE1EEEvT1_.kd
    .uniform_work_group_size: 1
    .uses_dynamic_stack: false
    .vgpr_count:     0
    .vgpr_spill_count: 0
    .wavefront_size: 64
  - .agpr_count:     0
    .args:
      - .offset:         0
        .size:           136
        .value_kind:     by_value
    .group_segment_fixed_size: 0
    .kernarg_segment_align: 8
    .kernarg_segment_size: 136
    .language:       OpenCL C
    .language_version:
      - 2
      - 0
    .max_flat_workgroup_size: 128
    .name:           _ZN7rocprim17ROCPRIM_400000_NS6detail17trampoline_kernelINS0_14default_configENS1_27scan_by_key_config_selectorIixEEZZNS1_16scan_by_key_implILNS1_25lookback_scan_determinismE0ELb0ES3_N6thrust23THRUST_200600_302600_NS6detail15normal_iteratorINS9_10device_ptrIiEEEENSB_INSC_IxEEEESG_xNS9_4plusIvEENS9_8equal_toIvEExEE10hipError_tPvRmT2_T3_T4_T5_mT6_T7_P12ihipStream_tbENKUlT_T0_E_clISt17integral_constantIbLb1EES11_EEDaSW_SX_EUlSW_E_NS1_11comp_targetILNS1_3genE3ELNS1_11target_archE908ELNS1_3gpuE7ELNS1_3repE0EEENS1_30default_config_static_selectorELNS0_4arch9wavefront6targetE1EEEvT1_
    .private_segment_fixed_size: 0
    .sgpr_count:     6
    .sgpr_spill_count: 0
    .symbol:         _ZN7rocprim17ROCPRIM_400000_NS6detail17trampoline_kernelINS0_14default_configENS1_27scan_by_key_config_selectorIixEEZZNS1_16scan_by_key_implILNS1_25lookback_scan_determinismE0ELb0ES3_N6thrust23THRUST_200600_302600_NS6detail15normal_iteratorINS9_10device_ptrIiEEEENSB_INSC_IxEEEESG_xNS9_4plusIvEENS9_8equal_toIvEExEE10hipError_tPvRmT2_T3_T4_T5_mT6_T7_P12ihipStream_tbENKUlT_T0_E_clISt17integral_constantIbLb1EES11_EEDaSW_SX_EUlSW_E_NS1_11comp_targetILNS1_3genE3ELNS1_11target_archE908ELNS1_3gpuE7ELNS1_3repE0EEENS1_30default_config_static_selectorELNS0_4arch9wavefront6targetE1EEEvT1_.kd
    .uniform_work_group_size: 1
    .uses_dynamic_stack: false
    .vgpr_count:     0
    .vgpr_spill_count: 0
    .wavefront_size: 64
  - .agpr_count:     0
    .args:
      - .offset:         0
        .size:           136
        .value_kind:     by_value
    .group_segment_fixed_size: 0
    .kernarg_segment_align: 8
    .kernarg_segment_size: 136
    .language:       OpenCL C
    .language_version:
      - 2
      - 0
    .max_flat_workgroup_size: 64
    .name:           _ZN7rocprim17ROCPRIM_400000_NS6detail17trampoline_kernelINS0_14default_configENS1_27scan_by_key_config_selectorIixEEZZNS1_16scan_by_key_implILNS1_25lookback_scan_determinismE0ELb0ES3_N6thrust23THRUST_200600_302600_NS6detail15normal_iteratorINS9_10device_ptrIiEEEENSB_INSC_IxEEEESG_xNS9_4plusIvEENS9_8equal_toIvEExEE10hipError_tPvRmT2_T3_T4_T5_mT6_T7_P12ihipStream_tbENKUlT_T0_E_clISt17integral_constantIbLb1EES11_EEDaSW_SX_EUlSW_E_NS1_11comp_targetILNS1_3genE2ELNS1_11target_archE906ELNS1_3gpuE6ELNS1_3repE0EEENS1_30default_config_static_selectorELNS0_4arch9wavefront6targetE1EEEvT1_
    .private_segment_fixed_size: 0
    .sgpr_count:     6
    .sgpr_spill_count: 0
    .symbol:         _ZN7rocprim17ROCPRIM_400000_NS6detail17trampoline_kernelINS0_14default_configENS1_27scan_by_key_config_selectorIixEEZZNS1_16scan_by_key_implILNS1_25lookback_scan_determinismE0ELb0ES3_N6thrust23THRUST_200600_302600_NS6detail15normal_iteratorINS9_10device_ptrIiEEEENSB_INSC_IxEEEESG_xNS9_4plusIvEENS9_8equal_toIvEExEE10hipError_tPvRmT2_T3_T4_T5_mT6_T7_P12ihipStream_tbENKUlT_T0_E_clISt17integral_constantIbLb1EES11_EEDaSW_SX_EUlSW_E_NS1_11comp_targetILNS1_3genE2ELNS1_11target_archE906ELNS1_3gpuE6ELNS1_3repE0EEENS1_30default_config_static_selectorELNS0_4arch9wavefront6targetE1EEEvT1_.kd
    .uniform_work_group_size: 1
    .uses_dynamic_stack: false
    .vgpr_count:     0
    .vgpr_spill_count: 0
    .wavefront_size: 64
  - .agpr_count:     0
    .args:
      - .offset:         0
        .size:           136
        .value_kind:     by_value
    .group_segment_fixed_size: 0
    .kernarg_segment_align: 8
    .kernarg_segment_size: 136
    .language:       OpenCL C
    .language_version:
      - 2
      - 0
    .max_flat_workgroup_size: 256
    .name:           _ZN7rocprim17ROCPRIM_400000_NS6detail17trampoline_kernelINS0_14default_configENS1_27scan_by_key_config_selectorIixEEZZNS1_16scan_by_key_implILNS1_25lookback_scan_determinismE0ELb0ES3_N6thrust23THRUST_200600_302600_NS6detail15normal_iteratorINS9_10device_ptrIiEEEENSB_INSC_IxEEEESG_xNS9_4plusIvEENS9_8equal_toIvEExEE10hipError_tPvRmT2_T3_T4_T5_mT6_T7_P12ihipStream_tbENKUlT_T0_E_clISt17integral_constantIbLb1EES11_EEDaSW_SX_EUlSW_E_NS1_11comp_targetILNS1_3genE10ELNS1_11target_archE1200ELNS1_3gpuE4ELNS1_3repE0EEENS1_30default_config_static_selectorELNS0_4arch9wavefront6targetE1EEEvT1_
    .private_segment_fixed_size: 0
    .sgpr_count:     6
    .sgpr_spill_count: 0
    .symbol:         _ZN7rocprim17ROCPRIM_400000_NS6detail17trampoline_kernelINS0_14default_configENS1_27scan_by_key_config_selectorIixEEZZNS1_16scan_by_key_implILNS1_25lookback_scan_determinismE0ELb0ES3_N6thrust23THRUST_200600_302600_NS6detail15normal_iteratorINS9_10device_ptrIiEEEENSB_INSC_IxEEEESG_xNS9_4plusIvEENS9_8equal_toIvEExEE10hipError_tPvRmT2_T3_T4_T5_mT6_T7_P12ihipStream_tbENKUlT_T0_E_clISt17integral_constantIbLb1EES11_EEDaSW_SX_EUlSW_E_NS1_11comp_targetILNS1_3genE10ELNS1_11target_archE1200ELNS1_3gpuE4ELNS1_3repE0EEENS1_30default_config_static_selectorELNS0_4arch9wavefront6targetE1EEEvT1_.kd
    .uniform_work_group_size: 1
    .uses_dynamic_stack: false
    .vgpr_count:     0
    .vgpr_spill_count: 0
    .wavefront_size: 64
  - .agpr_count:     0
    .args:
      - .offset:         0
        .size:           136
        .value_kind:     by_value
    .group_segment_fixed_size: 0
    .kernarg_segment_align: 8
    .kernarg_segment_size: 136
    .language:       OpenCL C
    .language_version:
      - 2
      - 0
    .max_flat_workgroup_size: 256
    .name:           _ZN7rocprim17ROCPRIM_400000_NS6detail17trampoline_kernelINS0_14default_configENS1_27scan_by_key_config_selectorIixEEZZNS1_16scan_by_key_implILNS1_25lookback_scan_determinismE0ELb0ES3_N6thrust23THRUST_200600_302600_NS6detail15normal_iteratorINS9_10device_ptrIiEEEENSB_INSC_IxEEEESG_xNS9_4plusIvEENS9_8equal_toIvEExEE10hipError_tPvRmT2_T3_T4_T5_mT6_T7_P12ihipStream_tbENKUlT_T0_E_clISt17integral_constantIbLb1EES11_EEDaSW_SX_EUlSW_E_NS1_11comp_targetILNS1_3genE9ELNS1_11target_archE1100ELNS1_3gpuE3ELNS1_3repE0EEENS1_30default_config_static_selectorELNS0_4arch9wavefront6targetE1EEEvT1_
    .private_segment_fixed_size: 0
    .sgpr_count:     6
    .sgpr_spill_count: 0
    .symbol:         _ZN7rocprim17ROCPRIM_400000_NS6detail17trampoline_kernelINS0_14default_configENS1_27scan_by_key_config_selectorIixEEZZNS1_16scan_by_key_implILNS1_25lookback_scan_determinismE0ELb0ES3_N6thrust23THRUST_200600_302600_NS6detail15normal_iteratorINS9_10device_ptrIiEEEENSB_INSC_IxEEEESG_xNS9_4plusIvEENS9_8equal_toIvEExEE10hipError_tPvRmT2_T3_T4_T5_mT6_T7_P12ihipStream_tbENKUlT_T0_E_clISt17integral_constantIbLb1EES11_EEDaSW_SX_EUlSW_E_NS1_11comp_targetILNS1_3genE9ELNS1_11target_archE1100ELNS1_3gpuE3ELNS1_3repE0EEENS1_30default_config_static_selectorELNS0_4arch9wavefront6targetE1EEEvT1_.kd
    .uniform_work_group_size: 1
    .uses_dynamic_stack: false
    .vgpr_count:     0
    .vgpr_spill_count: 0
    .wavefront_size: 64
  - .agpr_count:     0
    .args:
      - .offset:         0
        .size:           136
        .value_kind:     by_value
    .group_segment_fixed_size: 0
    .kernarg_segment_align: 8
    .kernarg_segment_size: 136
    .language:       OpenCL C
    .language_version:
      - 2
      - 0
    .max_flat_workgroup_size: 256
    .name:           _ZN7rocprim17ROCPRIM_400000_NS6detail17trampoline_kernelINS0_14default_configENS1_27scan_by_key_config_selectorIixEEZZNS1_16scan_by_key_implILNS1_25lookback_scan_determinismE0ELb0ES3_N6thrust23THRUST_200600_302600_NS6detail15normal_iteratorINS9_10device_ptrIiEEEENSB_INSC_IxEEEESG_xNS9_4plusIvEENS9_8equal_toIvEExEE10hipError_tPvRmT2_T3_T4_T5_mT6_T7_P12ihipStream_tbENKUlT_T0_E_clISt17integral_constantIbLb1EES11_EEDaSW_SX_EUlSW_E_NS1_11comp_targetILNS1_3genE8ELNS1_11target_archE1030ELNS1_3gpuE2ELNS1_3repE0EEENS1_30default_config_static_selectorELNS0_4arch9wavefront6targetE1EEEvT1_
    .private_segment_fixed_size: 0
    .sgpr_count:     6
    .sgpr_spill_count: 0
    .symbol:         _ZN7rocprim17ROCPRIM_400000_NS6detail17trampoline_kernelINS0_14default_configENS1_27scan_by_key_config_selectorIixEEZZNS1_16scan_by_key_implILNS1_25lookback_scan_determinismE0ELb0ES3_N6thrust23THRUST_200600_302600_NS6detail15normal_iteratorINS9_10device_ptrIiEEEENSB_INSC_IxEEEESG_xNS9_4plusIvEENS9_8equal_toIvEExEE10hipError_tPvRmT2_T3_T4_T5_mT6_T7_P12ihipStream_tbENKUlT_T0_E_clISt17integral_constantIbLb1EES11_EEDaSW_SX_EUlSW_E_NS1_11comp_targetILNS1_3genE8ELNS1_11target_archE1030ELNS1_3gpuE2ELNS1_3repE0EEENS1_30default_config_static_selectorELNS0_4arch9wavefront6targetE1EEEvT1_.kd
    .uniform_work_group_size: 1
    .uses_dynamic_stack: false
    .vgpr_count:     0
    .vgpr_spill_count: 0
    .wavefront_size: 64
  - .agpr_count:     0
    .args:
      - .offset:         0
        .size:           24
        .value_kind:     by_value
      - .offset:         24
        .size:           4
        .value_kind:     by_value
      - .offset:         28
        .size:           4
        .value_kind:     by_value
      - .address_space:  global
        .offset:         32
        .size:           8
        .value_kind:     global_buffer
      - .address_space:  global
        .offset:         40
        .size:           8
        .value_kind:     global_buffer
      - .actual_access:  write_only
        .address_space:  global
        .offset:         48
        .size:           8
        .value_kind:     global_buffer
      - .offset:         56
        .size:           8
        .value_kind:     by_value
      - .offset:         64
        .size:           4
        .value_kind:     by_value
      - .offset:         68
        .size:           1
        .value_kind:     by_value
      - .offset:         72
        .size:           4
        .value_kind:     hidden_block_count_x
      - .offset:         76
        .size:           4
        .value_kind:     hidden_block_count_y
      - .offset:         80
        .size:           4
        .value_kind:     hidden_block_count_z
      - .offset:         84
        .size:           2
        .value_kind:     hidden_group_size_x
      - .offset:         86
        .size:           2
        .value_kind:     hidden_group_size_y
      - .offset:         88
        .size:           2
        .value_kind:     hidden_group_size_z
      - .offset:         90
        .size:           2
        .value_kind:     hidden_remainder_x
      - .offset:         92
        .size:           2
        .value_kind:     hidden_remainder_y
      - .offset:         94
        .size:           2
        .value_kind:     hidden_remainder_z
      - .offset:         112
        .size:           8
        .value_kind:     hidden_global_offset_x
      - .offset:         120
        .size:           8
        .value_kind:     hidden_global_offset_y
      - .offset:         128
        .size:           8
        .value_kind:     hidden_global_offset_z
      - .offset:         136
        .size:           2
        .value_kind:     hidden_grid_dims
    .group_segment_fixed_size: 0
    .kernarg_segment_align: 8
    .kernarg_segment_size: 328
    .language:       OpenCL C
    .language_version:
      - 2
      - 0
    .max_flat_workgroup_size: 256
    .name:           _ZN7rocprim17ROCPRIM_400000_NS6detail30init_device_scan_by_key_kernelINS1_19lookback_scan_stateINS0_5tupleIJxbEEELb1ELb0EEEN6thrust23THRUST_200600_302600_NS6detail15normal_iteratorINS8_10device_ptrIiEEEEjNS1_16block_id_wrapperIjLb0EEEEEvT_jjPNSG_10value_typeET0_PNSt15iterator_traitsISJ_E10value_typeEmT1_T2_
    .private_segment_fixed_size: 0
    .sgpr_count:     30
    .sgpr_spill_count: 0
    .symbol:         _ZN7rocprim17ROCPRIM_400000_NS6detail30init_device_scan_by_key_kernelINS1_19lookback_scan_stateINS0_5tupleIJxbEEELb1ELb0EEEN6thrust23THRUST_200600_302600_NS6detail15normal_iteratorINS8_10device_ptrIiEEEEjNS1_16block_id_wrapperIjLb0EEEEEvT_jjPNSG_10value_typeET0_PNSt15iterator_traitsISJ_E10value_typeEmT1_T2_.kd
    .uniform_work_group_size: 1
    .uses_dynamic_stack: false
    .vgpr_count:     7
    .vgpr_spill_count: 0
    .wavefront_size: 64
  - .agpr_count:     0
    .args:
      - .offset:         0
        .size:           136
        .value_kind:     by_value
    .group_segment_fixed_size: 0
    .kernarg_segment_align: 8
    .kernarg_segment_size: 136
    .language:       OpenCL C
    .language_version:
      - 2
      - 0
    .max_flat_workgroup_size: 128
    .name:           _ZN7rocprim17ROCPRIM_400000_NS6detail17trampoline_kernelINS0_14default_configENS1_27scan_by_key_config_selectorIixEEZZNS1_16scan_by_key_implILNS1_25lookback_scan_determinismE0ELb0ES3_N6thrust23THRUST_200600_302600_NS6detail15normal_iteratorINS9_10device_ptrIiEEEENSB_INSC_IxEEEESG_xNS9_4plusIvEENS9_8equal_toIvEExEE10hipError_tPvRmT2_T3_T4_T5_mT6_T7_P12ihipStream_tbENKUlT_T0_E_clISt17integral_constantIbLb1EES10_IbLb0EEEEDaSW_SX_EUlSW_E_NS1_11comp_targetILNS1_3genE0ELNS1_11target_archE4294967295ELNS1_3gpuE0ELNS1_3repE0EEENS1_30default_config_static_selectorELNS0_4arch9wavefront6targetE1EEEvT1_
    .private_segment_fixed_size: 0
    .sgpr_count:     6
    .sgpr_spill_count: 0
    .symbol:         _ZN7rocprim17ROCPRIM_400000_NS6detail17trampoline_kernelINS0_14default_configENS1_27scan_by_key_config_selectorIixEEZZNS1_16scan_by_key_implILNS1_25lookback_scan_determinismE0ELb0ES3_N6thrust23THRUST_200600_302600_NS6detail15normal_iteratorINS9_10device_ptrIiEEEENSB_INSC_IxEEEESG_xNS9_4plusIvEENS9_8equal_toIvEExEE10hipError_tPvRmT2_T3_T4_T5_mT6_T7_P12ihipStream_tbENKUlT_T0_E_clISt17integral_constantIbLb1EES10_IbLb0EEEEDaSW_SX_EUlSW_E_NS1_11comp_targetILNS1_3genE0ELNS1_11target_archE4294967295ELNS1_3gpuE0ELNS1_3repE0EEENS1_30default_config_static_selectorELNS0_4arch9wavefront6targetE1EEEvT1_.kd
    .uniform_work_group_size: 1
    .uses_dynamic_stack: false
    .vgpr_count:     0
    .vgpr_spill_count: 0
    .wavefront_size: 64
  - .agpr_count:     0
    .args:
      - .offset:         0
        .size:           136
        .value_kind:     by_value
    .group_segment_fixed_size: 0
    .kernarg_segment_align: 8
    .kernarg_segment_size: 136
    .language:       OpenCL C
    .language_version:
      - 2
      - 0
    .max_flat_workgroup_size: 256
    .name:           _ZN7rocprim17ROCPRIM_400000_NS6detail17trampoline_kernelINS0_14default_configENS1_27scan_by_key_config_selectorIixEEZZNS1_16scan_by_key_implILNS1_25lookback_scan_determinismE0ELb0ES3_N6thrust23THRUST_200600_302600_NS6detail15normal_iteratorINS9_10device_ptrIiEEEENSB_INSC_IxEEEESG_xNS9_4plusIvEENS9_8equal_toIvEExEE10hipError_tPvRmT2_T3_T4_T5_mT6_T7_P12ihipStream_tbENKUlT_T0_E_clISt17integral_constantIbLb1EES10_IbLb0EEEEDaSW_SX_EUlSW_E_NS1_11comp_targetILNS1_3genE10ELNS1_11target_archE1201ELNS1_3gpuE5ELNS1_3repE0EEENS1_30default_config_static_selectorELNS0_4arch9wavefront6targetE1EEEvT1_
    .private_segment_fixed_size: 0
    .sgpr_count:     6
    .sgpr_spill_count: 0
    .symbol:         _ZN7rocprim17ROCPRIM_400000_NS6detail17trampoline_kernelINS0_14default_configENS1_27scan_by_key_config_selectorIixEEZZNS1_16scan_by_key_implILNS1_25lookback_scan_determinismE0ELb0ES3_N6thrust23THRUST_200600_302600_NS6detail15normal_iteratorINS9_10device_ptrIiEEEENSB_INSC_IxEEEESG_xNS9_4plusIvEENS9_8equal_toIvEExEE10hipError_tPvRmT2_T3_T4_T5_mT6_T7_P12ihipStream_tbENKUlT_T0_E_clISt17integral_constantIbLb1EES10_IbLb0EEEEDaSW_SX_EUlSW_E_NS1_11comp_targetILNS1_3genE10ELNS1_11target_archE1201ELNS1_3gpuE5ELNS1_3repE0EEENS1_30default_config_static_selectorELNS0_4arch9wavefront6targetE1EEEvT1_.kd
    .uniform_work_group_size: 1
    .uses_dynamic_stack: false
    .vgpr_count:     0
    .vgpr_spill_count: 0
    .wavefront_size: 64
  - .agpr_count:     0
    .args:
      - .offset:         0
        .size:           136
        .value_kind:     by_value
    .group_segment_fixed_size: 43008
    .kernarg_segment_align: 8
    .kernarg_segment_size: 136
    .language:       OpenCL C
    .language_version:
      - 2
      - 0
    .max_flat_workgroup_size: 256
    .name:           _ZN7rocprim17ROCPRIM_400000_NS6detail17trampoline_kernelINS0_14default_configENS1_27scan_by_key_config_selectorIixEEZZNS1_16scan_by_key_implILNS1_25lookback_scan_determinismE0ELb0ES3_N6thrust23THRUST_200600_302600_NS6detail15normal_iteratorINS9_10device_ptrIiEEEENSB_INSC_IxEEEESG_xNS9_4plusIvEENS9_8equal_toIvEExEE10hipError_tPvRmT2_T3_T4_T5_mT6_T7_P12ihipStream_tbENKUlT_T0_E_clISt17integral_constantIbLb1EES10_IbLb0EEEEDaSW_SX_EUlSW_E_NS1_11comp_targetILNS1_3genE5ELNS1_11target_archE942ELNS1_3gpuE9ELNS1_3repE0EEENS1_30default_config_static_selectorELNS0_4arch9wavefront6targetE1EEEvT1_
    .private_segment_fixed_size: 0
    .sgpr_count:     106
    .sgpr_spill_count: 8
    .symbol:         _ZN7rocprim17ROCPRIM_400000_NS6detail17trampoline_kernelINS0_14default_configENS1_27scan_by_key_config_selectorIixEEZZNS1_16scan_by_key_implILNS1_25lookback_scan_determinismE0ELb0ES3_N6thrust23THRUST_200600_302600_NS6detail15normal_iteratorINS9_10device_ptrIiEEEENSB_INSC_IxEEEESG_xNS9_4plusIvEENS9_8equal_toIvEExEE10hipError_tPvRmT2_T3_T4_T5_mT6_T7_P12ihipStream_tbENKUlT_T0_E_clISt17integral_constantIbLb1EES10_IbLb0EEEEDaSW_SX_EUlSW_E_NS1_11comp_targetILNS1_3genE5ELNS1_11target_archE942ELNS1_3gpuE9ELNS1_3repE0EEENS1_30default_config_static_selectorELNS0_4arch9wavefront6targetE1EEEvT1_.kd
    .uniform_work_group_size: 1
    .uses_dynamic_stack: false
    .vgpr_count:     132
    .vgpr_spill_count: 0
    .wavefront_size: 64
  - .agpr_count:     0
    .args:
      - .offset:         0
        .size:           136
        .value_kind:     by_value
    .group_segment_fixed_size: 0
    .kernarg_segment_align: 8
    .kernarg_segment_size: 136
    .language:       OpenCL C
    .language_version:
      - 2
      - 0
    .max_flat_workgroup_size: 64
    .name:           _ZN7rocprim17ROCPRIM_400000_NS6detail17trampoline_kernelINS0_14default_configENS1_27scan_by_key_config_selectorIixEEZZNS1_16scan_by_key_implILNS1_25lookback_scan_determinismE0ELb0ES3_N6thrust23THRUST_200600_302600_NS6detail15normal_iteratorINS9_10device_ptrIiEEEENSB_INSC_IxEEEESG_xNS9_4plusIvEENS9_8equal_toIvEExEE10hipError_tPvRmT2_T3_T4_T5_mT6_T7_P12ihipStream_tbENKUlT_T0_E_clISt17integral_constantIbLb1EES10_IbLb0EEEEDaSW_SX_EUlSW_E_NS1_11comp_targetILNS1_3genE4ELNS1_11target_archE910ELNS1_3gpuE8ELNS1_3repE0EEENS1_30default_config_static_selectorELNS0_4arch9wavefront6targetE1EEEvT1_
    .private_segment_fixed_size: 0
    .sgpr_count:     6
    .sgpr_spill_count: 0
    .symbol:         _ZN7rocprim17ROCPRIM_400000_NS6detail17trampoline_kernelINS0_14default_configENS1_27scan_by_key_config_selectorIixEEZZNS1_16scan_by_key_implILNS1_25lookback_scan_determinismE0ELb0ES3_N6thrust23THRUST_200600_302600_NS6detail15normal_iteratorINS9_10device_ptrIiEEEENSB_INSC_IxEEEESG_xNS9_4plusIvEENS9_8equal_toIvEExEE10hipError_tPvRmT2_T3_T4_T5_mT6_T7_P12ihipStream_tbENKUlT_T0_E_clISt17integral_constantIbLb1EES10_IbLb0EEEEDaSW_SX_EUlSW_E_NS1_11comp_targetILNS1_3genE4ELNS1_11target_archE910ELNS1_3gpuE8ELNS1_3repE0EEENS1_30default_config_static_selectorELNS0_4arch9wavefront6targetE1EEEvT1_.kd
    .uniform_work_group_size: 1
    .uses_dynamic_stack: false
    .vgpr_count:     0
    .vgpr_spill_count: 0
    .wavefront_size: 64
  - .agpr_count:     0
    .args:
      - .offset:         0
        .size:           136
        .value_kind:     by_value
    .group_segment_fixed_size: 0
    .kernarg_segment_align: 8
    .kernarg_segment_size: 136
    .language:       OpenCL C
    .language_version:
      - 2
      - 0
    .max_flat_workgroup_size: 128
    .name:           _ZN7rocprim17ROCPRIM_400000_NS6detail17trampoline_kernelINS0_14default_configENS1_27scan_by_key_config_selectorIixEEZZNS1_16scan_by_key_implILNS1_25lookback_scan_determinismE0ELb0ES3_N6thrust23THRUST_200600_302600_NS6detail15normal_iteratorINS9_10device_ptrIiEEEENSB_INSC_IxEEEESG_xNS9_4plusIvEENS9_8equal_toIvEExEE10hipError_tPvRmT2_T3_T4_T5_mT6_T7_P12ihipStream_tbENKUlT_T0_E_clISt17integral_constantIbLb1EES10_IbLb0EEEEDaSW_SX_EUlSW_E_NS1_11comp_targetILNS1_3genE3ELNS1_11target_archE908ELNS1_3gpuE7ELNS1_3repE0EEENS1_30default_config_static_selectorELNS0_4arch9wavefront6targetE1EEEvT1_
    .private_segment_fixed_size: 0
    .sgpr_count:     6
    .sgpr_spill_count: 0
    .symbol:         _ZN7rocprim17ROCPRIM_400000_NS6detail17trampoline_kernelINS0_14default_configENS1_27scan_by_key_config_selectorIixEEZZNS1_16scan_by_key_implILNS1_25lookback_scan_determinismE0ELb0ES3_N6thrust23THRUST_200600_302600_NS6detail15normal_iteratorINS9_10device_ptrIiEEEENSB_INSC_IxEEEESG_xNS9_4plusIvEENS9_8equal_toIvEExEE10hipError_tPvRmT2_T3_T4_T5_mT6_T7_P12ihipStream_tbENKUlT_T0_E_clISt17integral_constantIbLb1EES10_IbLb0EEEEDaSW_SX_EUlSW_E_NS1_11comp_targetILNS1_3genE3ELNS1_11target_archE908ELNS1_3gpuE7ELNS1_3repE0EEENS1_30default_config_static_selectorELNS0_4arch9wavefront6targetE1EEEvT1_.kd
    .uniform_work_group_size: 1
    .uses_dynamic_stack: false
    .vgpr_count:     0
    .vgpr_spill_count: 0
    .wavefront_size: 64
  - .agpr_count:     0
    .args:
      - .offset:         0
        .size:           136
        .value_kind:     by_value
    .group_segment_fixed_size: 0
    .kernarg_segment_align: 8
    .kernarg_segment_size: 136
    .language:       OpenCL C
    .language_version:
      - 2
      - 0
    .max_flat_workgroup_size: 64
    .name:           _ZN7rocprim17ROCPRIM_400000_NS6detail17trampoline_kernelINS0_14default_configENS1_27scan_by_key_config_selectorIixEEZZNS1_16scan_by_key_implILNS1_25lookback_scan_determinismE0ELb0ES3_N6thrust23THRUST_200600_302600_NS6detail15normal_iteratorINS9_10device_ptrIiEEEENSB_INSC_IxEEEESG_xNS9_4plusIvEENS9_8equal_toIvEExEE10hipError_tPvRmT2_T3_T4_T5_mT6_T7_P12ihipStream_tbENKUlT_T0_E_clISt17integral_constantIbLb1EES10_IbLb0EEEEDaSW_SX_EUlSW_E_NS1_11comp_targetILNS1_3genE2ELNS1_11target_archE906ELNS1_3gpuE6ELNS1_3repE0EEENS1_30default_config_static_selectorELNS0_4arch9wavefront6targetE1EEEvT1_
    .private_segment_fixed_size: 0
    .sgpr_count:     6
    .sgpr_spill_count: 0
    .symbol:         _ZN7rocprim17ROCPRIM_400000_NS6detail17trampoline_kernelINS0_14default_configENS1_27scan_by_key_config_selectorIixEEZZNS1_16scan_by_key_implILNS1_25lookback_scan_determinismE0ELb0ES3_N6thrust23THRUST_200600_302600_NS6detail15normal_iteratorINS9_10device_ptrIiEEEENSB_INSC_IxEEEESG_xNS9_4plusIvEENS9_8equal_toIvEExEE10hipError_tPvRmT2_T3_T4_T5_mT6_T7_P12ihipStream_tbENKUlT_T0_E_clISt17integral_constantIbLb1EES10_IbLb0EEEEDaSW_SX_EUlSW_E_NS1_11comp_targetILNS1_3genE2ELNS1_11target_archE906ELNS1_3gpuE6ELNS1_3repE0EEENS1_30default_config_static_selectorELNS0_4arch9wavefront6targetE1EEEvT1_.kd
    .uniform_work_group_size: 1
    .uses_dynamic_stack: false
    .vgpr_count:     0
    .vgpr_spill_count: 0
    .wavefront_size: 64
  - .agpr_count:     0
    .args:
      - .offset:         0
        .size:           136
        .value_kind:     by_value
    .group_segment_fixed_size: 0
    .kernarg_segment_align: 8
    .kernarg_segment_size: 136
    .language:       OpenCL C
    .language_version:
      - 2
      - 0
    .max_flat_workgroup_size: 256
    .name:           _ZN7rocprim17ROCPRIM_400000_NS6detail17trampoline_kernelINS0_14default_configENS1_27scan_by_key_config_selectorIixEEZZNS1_16scan_by_key_implILNS1_25lookback_scan_determinismE0ELb0ES3_N6thrust23THRUST_200600_302600_NS6detail15normal_iteratorINS9_10device_ptrIiEEEENSB_INSC_IxEEEESG_xNS9_4plusIvEENS9_8equal_toIvEExEE10hipError_tPvRmT2_T3_T4_T5_mT6_T7_P12ihipStream_tbENKUlT_T0_E_clISt17integral_constantIbLb1EES10_IbLb0EEEEDaSW_SX_EUlSW_E_NS1_11comp_targetILNS1_3genE10ELNS1_11target_archE1200ELNS1_3gpuE4ELNS1_3repE0EEENS1_30default_config_static_selectorELNS0_4arch9wavefront6targetE1EEEvT1_
    .private_segment_fixed_size: 0
    .sgpr_count:     6
    .sgpr_spill_count: 0
    .symbol:         _ZN7rocprim17ROCPRIM_400000_NS6detail17trampoline_kernelINS0_14default_configENS1_27scan_by_key_config_selectorIixEEZZNS1_16scan_by_key_implILNS1_25lookback_scan_determinismE0ELb0ES3_N6thrust23THRUST_200600_302600_NS6detail15normal_iteratorINS9_10device_ptrIiEEEENSB_INSC_IxEEEESG_xNS9_4plusIvEENS9_8equal_toIvEExEE10hipError_tPvRmT2_T3_T4_T5_mT6_T7_P12ihipStream_tbENKUlT_T0_E_clISt17integral_constantIbLb1EES10_IbLb0EEEEDaSW_SX_EUlSW_E_NS1_11comp_targetILNS1_3genE10ELNS1_11target_archE1200ELNS1_3gpuE4ELNS1_3repE0EEENS1_30default_config_static_selectorELNS0_4arch9wavefront6targetE1EEEvT1_.kd
    .uniform_work_group_size: 1
    .uses_dynamic_stack: false
    .vgpr_count:     0
    .vgpr_spill_count: 0
    .wavefront_size: 64
  - .agpr_count:     0
    .args:
      - .offset:         0
        .size:           136
        .value_kind:     by_value
    .group_segment_fixed_size: 0
    .kernarg_segment_align: 8
    .kernarg_segment_size: 136
    .language:       OpenCL C
    .language_version:
      - 2
      - 0
    .max_flat_workgroup_size: 256
    .name:           _ZN7rocprim17ROCPRIM_400000_NS6detail17trampoline_kernelINS0_14default_configENS1_27scan_by_key_config_selectorIixEEZZNS1_16scan_by_key_implILNS1_25lookback_scan_determinismE0ELb0ES3_N6thrust23THRUST_200600_302600_NS6detail15normal_iteratorINS9_10device_ptrIiEEEENSB_INSC_IxEEEESG_xNS9_4plusIvEENS9_8equal_toIvEExEE10hipError_tPvRmT2_T3_T4_T5_mT6_T7_P12ihipStream_tbENKUlT_T0_E_clISt17integral_constantIbLb1EES10_IbLb0EEEEDaSW_SX_EUlSW_E_NS1_11comp_targetILNS1_3genE9ELNS1_11target_archE1100ELNS1_3gpuE3ELNS1_3repE0EEENS1_30default_config_static_selectorELNS0_4arch9wavefront6targetE1EEEvT1_
    .private_segment_fixed_size: 0
    .sgpr_count:     6
    .sgpr_spill_count: 0
    .symbol:         _ZN7rocprim17ROCPRIM_400000_NS6detail17trampoline_kernelINS0_14default_configENS1_27scan_by_key_config_selectorIixEEZZNS1_16scan_by_key_implILNS1_25lookback_scan_determinismE0ELb0ES3_N6thrust23THRUST_200600_302600_NS6detail15normal_iteratorINS9_10device_ptrIiEEEENSB_INSC_IxEEEESG_xNS9_4plusIvEENS9_8equal_toIvEExEE10hipError_tPvRmT2_T3_T4_T5_mT6_T7_P12ihipStream_tbENKUlT_T0_E_clISt17integral_constantIbLb1EES10_IbLb0EEEEDaSW_SX_EUlSW_E_NS1_11comp_targetILNS1_3genE9ELNS1_11target_archE1100ELNS1_3gpuE3ELNS1_3repE0EEENS1_30default_config_static_selectorELNS0_4arch9wavefront6targetE1EEEvT1_.kd
    .uniform_work_group_size: 1
    .uses_dynamic_stack: false
    .vgpr_count:     0
    .vgpr_spill_count: 0
    .wavefront_size: 64
  - .agpr_count:     0
    .args:
      - .offset:         0
        .size:           136
        .value_kind:     by_value
    .group_segment_fixed_size: 0
    .kernarg_segment_align: 8
    .kernarg_segment_size: 136
    .language:       OpenCL C
    .language_version:
      - 2
      - 0
    .max_flat_workgroup_size: 256
    .name:           _ZN7rocprim17ROCPRIM_400000_NS6detail17trampoline_kernelINS0_14default_configENS1_27scan_by_key_config_selectorIixEEZZNS1_16scan_by_key_implILNS1_25lookback_scan_determinismE0ELb0ES3_N6thrust23THRUST_200600_302600_NS6detail15normal_iteratorINS9_10device_ptrIiEEEENSB_INSC_IxEEEESG_xNS9_4plusIvEENS9_8equal_toIvEExEE10hipError_tPvRmT2_T3_T4_T5_mT6_T7_P12ihipStream_tbENKUlT_T0_E_clISt17integral_constantIbLb1EES10_IbLb0EEEEDaSW_SX_EUlSW_E_NS1_11comp_targetILNS1_3genE8ELNS1_11target_archE1030ELNS1_3gpuE2ELNS1_3repE0EEENS1_30default_config_static_selectorELNS0_4arch9wavefront6targetE1EEEvT1_
    .private_segment_fixed_size: 0
    .sgpr_count:     6
    .sgpr_spill_count: 0
    .symbol:         _ZN7rocprim17ROCPRIM_400000_NS6detail17trampoline_kernelINS0_14default_configENS1_27scan_by_key_config_selectorIixEEZZNS1_16scan_by_key_implILNS1_25lookback_scan_determinismE0ELb0ES3_N6thrust23THRUST_200600_302600_NS6detail15normal_iteratorINS9_10device_ptrIiEEEENSB_INSC_IxEEEESG_xNS9_4plusIvEENS9_8equal_toIvEExEE10hipError_tPvRmT2_T3_T4_T5_mT6_T7_P12ihipStream_tbENKUlT_T0_E_clISt17integral_constantIbLb1EES10_IbLb0EEEEDaSW_SX_EUlSW_E_NS1_11comp_targetILNS1_3genE8ELNS1_11target_archE1030ELNS1_3gpuE2ELNS1_3repE0EEENS1_30default_config_static_selectorELNS0_4arch9wavefront6targetE1EEEvT1_.kd
    .uniform_work_group_size: 1
    .uses_dynamic_stack: false
    .vgpr_count:     0
    .vgpr_spill_count: 0
    .wavefront_size: 64
  - .agpr_count:     0
    .args:
      - .offset:         0
        .size:           24
        .value_kind:     by_value
      - .offset:         24
        .size:           4
        .value_kind:     by_value
      - .offset:         28
        .size:           4
        .value_kind:     by_value
      - .address_space:  global
        .offset:         32
        .size:           8
        .value_kind:     global_buffer
      - .address_space:  global
        .offset:         40
        .size:           8
        .value_kind:     global_buffer
      - .actual_access:  write_only
        .address_space:  global
        .offset:         48
        .size:           8
        .value_kind:     global_buffer
      - .offset:         56
        .size:           8
        .value_kind:     by_value
      - .offset:         64
        .size:           4
        .value_kind:     by_value
      - .address_space:  global
        .offset:         72
        .size:           8
        .value_kind:     global_buffer
      - .offset:         80
        .size:           4
        .value_kind:     hidden_block_count_x
      - .offset:         84
        .size:           4
        .value_kind:     hidden_block_count_y
      - .offset:         88
        .size:           4
        .value_kind:     hidden_block_count_z
      - .offset:         92
        .size:           2
        .value_kind:     hidden_group_size_x
      - .offset:         94
        .size:           2
        .value_kind:     hidden_group_size_y
      - .offset:         96
        .size:           2
        .value_kind:     hidden_group_size_z
      - .offset:         98
        .size:           2
        .value_kind:     hidden_remainder_x
      - .offset:         100
        .size:           2
        .value_kind:     hidden_remainder_y
      - .offset:         102
        .size:           2
        .value_kind:     hidden_remainder_z
      - .offset:         120
        .size:           8
        .value_kind:     hidden_global_offset_x
      - .offset:         128
        .size:           8
        .value_kind:     hidden_global_offset_y
      - .offset:         136
        .size:           8
        .value_kind:     hidden_global_offset_z
      - .offset:         144
        .size:           2
        .value_kind:     hidden_grid_dims
    .group_segment_fixed_size: 0
    .kernarg_segment_align: 8
    .kernarg_segment_size: 336
    .language:       OpenCL C
    .language_version:
      - 2
      - 0
    .max_flat_workgroup_size: 256
    .name:           _ZN7rocprim17ROCPRIM_400000_NS6detail30init_device_scan_by_key_kernelINS1_19lookback_scan_stateINS0_5tupleIJxbEEELb0ELb0EEEN6thrust23THRUST_200600_302600_NS6detail15normal_iteratorINS8_10device_ptrIiEEEEjNS1_16block_id_wrapperIjLb1EEEEEvT_jjPNSG_10value_typeET0_PNSt15iterator_traitsISJ_E10value_typeEmT1_T2_
    .private_segment_fixed_size: 0
    .sgpr_count:     28
    .sgpr_spill_count: 0
    .symbol:         _ZN7rocprim17ROCPRIM_400000_NS6detail30init_device_scan_by_key_kernelINS1_19lookback_scan_stateINS0_5tupleIJxbEEELb0ELb0EEEN6thrust23THRUST_200600_302600_NS6detail15normal_iteratorINS8_10device_ptrIiEEEEjNS1_16block_id_wrapperIjLb1EEEEEvT_jjPNSG_10value_typeET0_PNSt15iterator_traitsISJ_E10value_typeEmT1_T2_.kd
    .uniform_work_group_size: 1
    .uses_dynamic_stack: false
    .vgpr_count:     7
    .vgpr_spill_count: 0
    .wavefront_size: 64
  - .agpr_count:     0
    .args:
      - .offset:         0
        .size:           136
        .value_kind:     by_value
    .group_segment_fixed_size: 0
    .kernarg_segment_align: 8
    .kernarg_segment_size: 136
    .language:       OpenCL C
    .language_version:
      - 2
      - 0
    .max_flat_workgroup_size: 128
    .name:           _ZN7rocprim17ROCPRIM_400000_NS6detail17trampoline_kernelINS0_14default_configENS1_27scan_by_key_config_selectorIixEEZZNS1_16scan_by_key_implILNS1_25lookback_scan_determinismE0ELb0ES3_N6thrust23THRUST_200600_302600_NS6detail15normal_iteratorINS9_10device_ptrIiEEEENSB_INSC_IxEEEESG_xNS9_4plusIvEENS9_8equal_toIvEExEE10hipError_tPvRmT2_T3_T4_T5_mT6_T7_P12ihipStream_tbENKUlT_T0_E_clISt17integral_constantIbLb0EES10_IbLb1EEEEDaSW_SX_EUlSW_E_NS1_11comp_targetILNS1_3genE0ELNS1_11target_archE4294967295ELNS1_3gpuE0ELNS1_3repE0EEENS1_30default_config_static_selectorELNS0_4arch9wavefront6targetE1EEEvT1_
    .private_segment_fixed_size: 0
    .sgpr_count:     6
    .sgpr_spill_count: 0
    .symbol:         _ZN7rocprim17ROCPRIM_400000_NS6detail17trampoline_kernelINS0_14default_configENS1_27scan_by_key_config_selectorIixEEZZNS1_16scan_by_key_implILNS1_25lookback_scan_determinismE0ELb0ES3_N6thrust23THRUST_200600_302600_NS6detail15normal_iteratorINS9_10device_ptrIiEEEENSB_INSC_IxEEEESG_xNS9_4plusIvEENS9_8equal_toIvEExEE10hipError_tPvRmT2_T3_T4_T5_mT6_T7_P12ihipStream_tbENKUlT_T0_E_clISt17integral_constantIbLb0EES10_IbLb1EEEEDaSW_SX_EUlSW_E_NS1_11comp_targetILNS1_3genE0ELNS1_11target_archE4294967295ELNS1_3gpuE0ELNS1_3repE0EEENS1_30default_config_static_selectorELNS0_4arch9wavefront6targetE1EEEvT1_.kd
    .uniform_work_group_size: 1
    .uses_dynamic_stack: false
    .vgpr_count:     0
    .vgpr_spill_count: 0
    .wavefront_size: 64
  - .agpr_count:     0
    .args:
      - .offset:         0
        .size:           136
        .value_kind:     by_value
    .group_segment_fixed_size: 0
    .kernarg_segment_align: 8
    .kernarg_segment_size: 136
    .language:       OpenCL C
    .language_version:
      - 2
      - 0
    .max_flat_workgroup_size: 256
    .name:           _ZN7rocprim17ROCPRIM_400000_NS6detail17trampoline_kernelINS0_14default_configENS1_27scan_by_key_config_selectorIixEEZZNS1_16scan_by_key_implILNS1_25lookback_scan_determinismE0ELb0ES3_N6thrust23THRUST_200600_302600_NS6detail15normal_iteratorINS9_10device_ptrIiEEEENSB_INSC_IxEEEESG_xNS9_4plusIvEENS9_8equal_toIvEExEE10hipError_tPvRmT2_T3_T4_T5_mT6_T7_P12ihipStream_tbENKUlT_T0_E_clISt17integral_constantIbLb0EES10_IbLb1EEEEDaSW_SX_EUlSW_E_NS1_11comp_targetILNS1_3genE10ELNS1_11target_archE1201ELNS1_3gpuE5ELNS1_3repE0EEENS1_30default_config_static_selectorELNS0_4arch9wavefront6targetE1EEEvT1_
    .private_segment_fixed_size: 0
    .sgpr_count:     6
    .sgpr_spill_count: 0
    .symbol:         _ZN7rocprim17ROCPRIM_400000_NS6detail17trampoline_kernelINS0_14default_configENS1_27scan_by_key_config_selectorIixEEZZNS1_16scan_by_key_implILNS1_25lookback_scan_determinismE0ELb0ES3_N6thrust23THRUST_200600_302600_NS6detail15normal_iteratorINS9_10device_ptrIiEEEENSB_INSC_IxEEEESG_xNS9_4plusIvEENS9_8equal_toIvEExEE10hipError_tPvRmT2_T3_T4_T5_mT6_T7_P12ihipStream_tbENKUlT_T0_E_clISt17integral_constantIbLb0EES10_IbLb1EEEEDaSW_SX_EUlSW_E_NS1_11comp_targetILNS1_3genE10ELNS1_11target_archE1201ELNS1_3gpuE5ELNS1_3repE0EEENS1_30default_config_static_selectorELNS0_4arch9wavefront6targetE1EEEvT1_.kd
    .uniform_work_group_size: 1
    .uses_dynamic_stack: false
    .vgpr_count:     0
    .vgpr_spill_count: 0
    .wavefront_size: 64
  - .agpr_count:     0
    .args:
      - .offset:         0
        .size:           136
        .value_kind:     by_value
    .group_segment_fixed_size: 43008
    .kernarg_segment_align: 8
    .kernarg_segment_size: 136
    .language:       OpenCL C
    .language_version:
      - 2
      - 0
    .max_flat_workgroup_size: 256
    .name:           _ZN7rocprim17ROCPRIM_400000_NS6detail17trampoline_kernelINS0_14default_configENS1_27scan_by_key_config_selectorIixEEZZNS1_16scan_by_key_implILNS1_25lookback_scan_determinismE0ELb0ES3_N6thrust23THRUST_200600_302600_NS6detail15normal_iteratorINS9_10device_ptrIiEEEENSB_INSC_IxEEEESG_xNS9_4plusIvEENS9_8equal_toIvEExEE10hipError_tPvRmT2_T3_T4_T5_mT6_T7_P12ihipStream_tbENKUlT_T0_E_clISt17integral_constantIbLb0EES10_IbLb1EEEEDaSW_SX_EUlSW_E_NS1_11comp_targetILNS1_3genE5ELNS1_11target_archE942ELNS1_3gpuE9ELNS1_3repE0EEENS1_30default_config_static_selectorELNS0_4arch9wavefront6targetE1EEEvT1_
    .private_segment_fixed_size: 0
    .sgpr_count:     106
    .sgpr_spill_count: 10
    .symbol:         _ZN7rocprim17ROCPRIM_400000_NS6detail17trampoline_kernelINS0_14default_configENS1_27scan_by_key_config_selectorIixEEZZNS1_16scan_by_key_implILNS1_25lookback_scan_determinismE0ELb0ES3_N6thrust23THRUST_200600_302600_NS6detail15normal_iteratorINS9_10device_ptrIiEEEENSB_INSC_IxEEEESG_xNS9_4plusIvEENS9_8equal_toIvEExEE10hipError_tPvRmT2_T3_T4_T5_mT6_T7_P12ihipStream_tbENKUlT_T0_E_clISt17integral_constantIbLb0EES10_IbLb1EEEEDaSW_SX_EUlSW_E_NS1_11comp_targetILNS1_3genE5ELNS1_11target_archE942ELNS1_3gpuE9ELNS1_3repE0EEENS1_30default_config_static_selectorELNS0_4arch9wavefront6targetE1EEEvT1_.kd
    .uniform_work_group_size: 1
    .uses_dynamic_stack: false
    .vgpr_count:     132
    .vgpr_spill_count: 0
    .wavefront_size: 64
  - .agpr_count:     0
    .args:
      - .offset:         0
        .size:           136
        .value_kind:     by_value
    .group_segment_fixed_size: 0
    .kernarg_segment_align: 8
    .kernarg_segment_size: 136
    .language:       OpenCL C
    .language_version:
      - 2
      - 0
    .max_flat_workgroup_size: 64
    .name:           _ZN7rocprim17ROCPRIM_400000_NS6detail17trampoline_kernelINS0_14default_configENS1_27scan_by_key_config_selectorIixEEZZNS1_16scan_by_key_implILNS1_25lookback_scan_determinismE0ELb0ES3_N6thrust23THRUST_200600_302600_NS6detail15normal_iteratorINS9_10device_ptrIiEEEENSB_INSC_IxEEEESG_xNS9_4plusIvEENS9_8equal_toIvEExEE10hipError_tPvRmT2_T3_T4_T5_mT6_T7_P12ihipStream_tbENKUlT_T0_E_clISt17integral_constantIbLb0EES10_IbLb1EEEEDaSW_SX_EUlSW_E_NS1_11comp_targetILNS1_3genE4ELNS1_11target_archE910ELNS1_3gpuE8ELNS1_3repE0EEENS1_30default_config_static_selectorELNS0_4arch9wavefront6targetE1EEEvT1_
    .private_segment_fixed_size: 0
    .sgpr_count:     6
    .sgpr_spill_count: 0
    .symbol:         _ZN7rocprim17ROCPRIM_400000_NS6detail17trampoline_kernelINS0_14default_configENS1_27scan_by_key_config_selectorIixEEZZNS1_16scan_by_key_implILNS1_25lookback_scan_determinismE0ELb0ES3_N6thrust23THRUST_200600_302600_NS6detail15normal_iteratorINS9_10device_ptrIiEEEENSB_INSC_IxEEEESG_xNS9_4plusIvEENS9_8equal_toIvEExEE10hipError_tPvRmT2_T3_T4_T5_mT6_T7_P12ihipStream_tbENKUlT_T0_E_clISt17integral_constantIbLb0EES10_IbLb1EEEEDaSW_SX_EUlSW_E_NS1_11comp_targetILNS1_3genE4ELNS1_11target_archE910ELNS1_3gpuE8ELNS1_3repE0EEENS1_30default_config_static_selectorELNS0_4arch9wavefront6targetE1EEEvT1_.kd
    .uniform_work_group_size: 1
    .uses_dynamic_stack: false
    .vgpr_count:     0
    .vgpr_spill_count: 0
    .wavefront_size: 64
  - .agpr_count:     0
    .args:
      - .offset:         0
        .size:           136
        .value_kind:     by_value
    .group_segment_fixed_size: 0
    .kernarg_segment_align: 8
    .kernarg_segment_size: 136
    .language:       OpenCL C
    .language_version:
      - 2
      - 0
    .max_flat_workgroup_size: 128
    .name:           _ZN7rocprim17ROCPRIM_400000_NS6detail17trampoline_kernelINS0_14default_configENS1_27scan_by_key_config_selectorIixEEZZNS1_16scan_by_key_implILNS1_25lookback_scan_determinismE0ELb0ES3_N6thrust23THRUST_200600_302600_NS6detail15normal_iteratorINS9_10device_ptrIiEEEENSB_INSC_IxEEEESG_xNS9_4plusIvEENS9_8equal_toIvEExEE10hipError_tPvRmT2_T3_T4_T5_mT6_T7_P12ihipStream_tbENKUlT_T0_E_clISt17integral_constantIbLb0EES10_IbLb1EEEEDaSW_SX_EUlSW_E_NS1_11comp_targetILNS1_3genE3ELNS1_11target_archE908ELNS1_3gpuE7ELNS1_3repE0EEENS1_30default_config_static_selectorELNS0_4arch9wavefront6targetE1EEEvT1_
    .private_segment_fixed_size: 0
    .sgpr_count:     6
    .sgpr_spill_count: 0
    .symbol:         _ZN7rocprim17ROCPRIM_400000_NS6detail17trampoline_kernelINS0_14default_configENS1_27scan_by_key_config_selectorIixEEZZNS1_16scan_by_key_implILNS1_25lookback_scan_determinismE0ELb0ES3_N6thrust23THRUST_200600_302600_NS6detail15normal_iteratorINS9_10device_ptrIiEEEENSB_INSC_IxEEEESG_xNS9_4plusIvEENS9_8equal_toIvEExEE10hipError_tPvRmT2_T3_T4_T5_mT6_T7_P12ihipStream_tbENKUlT_T0_E_clISt17integral_constantIbLb0EES10_IbLb1EEEEDaSW_SX_EUlSW_E_NS1_11comp_targetILNS1_3genE3ELNS1_11target_archE908ELNS1_3gpuE7ELNS1_3repE0EEENS1_30default_config_static_selectorELNS0_4arch9wavefront6targetE1EEEvT1_.kd
    .uniform_work_group_size: 1
    .uses_dynamic_stack: false
    .vgpr_count:     0
    .vgpr_spill_count: 0
    .wavefront_size: 64
  - .agpr_count:     0
    .args:
      - .offset:         0
        .size:           136
        .value_kind:     by_value
    .group_segment_fixed_size: 0
    .kernarg_segment_align: 8
    .kernarg_segment_size: 136
    .language:       OpenCL C
    .language_version:
      - 2
      - 0
    .max_flat_workgroup_size: 64
    .name:           _ZN7rocprim17ROCPRIM_400000_NS6detail17trampoline_kernelINS0_14default_configENS1_27scan_by_key_config_selectorIixEEZZNS1_16scan_by_key_implILNS1_25lookback_scan_determinismE0ELb0ES3_N6thrust23THRUST_200600_302600_NS6detail15normal_iteratorINS9_10device_ptrIiEEEENSB_INSC_IxEEEESG_xNS9_4plusIvEENS9_8equal_toIvEExEE10hipError_tPvRmT2_T3_T4_T5_mT6_T7_P12ihipStream_tbENKUlT_T0_E_clISt17integral_constantIbLb0EES10_IbLb1EEEEDaSW_SX_EUlSW_E_NS1_11comp_targetILNS1_3genE2ELNS1_11target_archE906ELNS1_3gpuE6ELNS1_3repE0EEENS1_30default_config_static_selectorELNS0_4arch9wavefront6targetE1EEEvT1_
    .private_segment_fixed_size: 0
    .sgpr_count:     6
    .sgpr_spill_count: 0
    .symbol:         _ZN7rocprim17ROCPRIM_400000_NS6detail17trampoline_kernelINS0_14default_configENS1_27scan_by_key_config_selectorIixEEZZNS1_16scan_by_key_implILNS1_25lookback_scan_determinismE0ELb0ES3_N6thrust23THRUST_200600_302600_NS6detail15normal_iteratorINS9_10device_ptrIiEEEENSB_INSC_IxEEEESG_xNS9_4plusIvEENS9_8equal_toIvEExEE10hipError_tPvRmT2_T3_T4_T5_mT6_T7_P12ihipStream_tbENKUlT_T0_E_clISt17integral_constantIbLb0EES10_IbLb1EEEEDaSW_SX_EUlSW_E_NS1_11comp_targetILNS1_3genE2ELNS1_11target_archE906ELNS1_3gpuE6ELNS1_3repE0EEENS1_30default_config_static_selectorELNS0_4arch9wavefront6targetE1EEEvT1_.kd
    .uniform_work_group_size: 1
    .uses_dynamic_stack: false
    .vgpr_count:     0
    .vgpr_spill_count: 0
    .wavefront_size: 64
  - .agpr_count:     0
    .args:
      - .offset:         0
        .size:           136
        .value_kind:     by_value
    .group_segment_fixed_size: 0
    .kernarg_segment_align: 8
    .kernarg_segment_size: 136
    .language:       OpenCL C
    .language_version:
      - 2
      - 0
    .max_flat_workgroup_size: 256
    .name:           _ZN7rocprim17ROCPRIM_400000_NS6detail17trampoline_kernelINS0_14default_configENS1_27scan_by_key_config_selectorIixEEZZNS1_16scan_by_key_implILNS1_25lookback_scan_determinismE0ELb0ES3_N6thrust23THRUST_200600_302600_NS6detail15normal_iteratorINS9_10device_ptrIiEEEENSB_INSC_IxEEEESG_xNS9_4plusIvEENS9_8equal_toIvEExEE10hipError_tPvRmT2_T3_T4_T5_mT6_T7_P12ihipStream_tbENKUlT_T0_E_clISt17integral_constantIbLb0EES10_IbLb1EEEEDaSW_SX_EUlSW_E_NS1_11comp_targetILNS1_3genE10ELNS1_11target_archE1200ELNS1_3gpuE4ELNS1_3repE0EEENS1_30default_config_static_selectorELNS0_4arch9wavefront6targetE1EEEvT1_
    .private_segment_fixed_size: 0
    .sgpr_count:     6
    .sgpr_spill_count: 0
    .symbol:         _ZN7rocprim17ROCPRIM_400000_NS6detail17trampoline_kernelINS0_14default_configENS1_27scan_by_key_config_selectorIixEEZZNS1_16scan_by_key_implILNS1_25lookback_scan_determinismE0ELb0ES3_N6thrust23THRUST_200600_302600_NS6detail15normal_iteratorINS9_10device_ptrIiEEEENSB_INSC_IxEEEESG_xNS9_4plusIvEENS9_8equal_toIvEExEE10hipError_tPvRmT2_T3_T4_T5_mT6_T7_P12ihipStream_tbENKUlT_T0_E_clISt17integral_constantIbLb0EES10_IbLb1EEEEDaSW_SX_EUlSW_E_NS1_11comp_targetILNS1_3genE10ELNS1_11target_archE1200ELNS1_3gpuE4ELNS1_3repE0EEENS1_30default_config_static_selectorELNS0_4arch9wavefront6targetE1EEEvT1_.kd
    .uniform_work_group_size: 1
    .uses_dynamic_stack: false
    .vgpr_count:     0
    .vgpr_spill_count: 0
    .wavefront_size: 64
  - .agpr_count:     0
    .args:
      - .offset:         0
        .size:           136
        .value_kind:     by_value
    .group_segment_fixed_size: 0
    .kernarg_segment_align: 8
    .kernarg_segment_size: 136
    .language:       OpenCL C
    .language_version:
      - 2
      - 0
    .max_flat_workgroup_size: 256
    .name:           _ZN7rocprim17ROCPRIM_400000_NS6detail17trampoline_kernelINS0_14default_configENS1_27scan_by_key_config_selectorIixEEZZNS1_16scan_by_key_implILNS1_25lookback_scan_determinismE0ELb0ES3_N6thrust23THRUST_200600_302600_NS6detail15normal_iteratorINS9_10device_ptrIiEEEENSB_INSC_IxEEEESG_xNS9_4plusIvEENS9_8equal_toIvEExEE10hipError_tPvRmT2_T3_T4_T5_mT6_T7_P12ihipStream_tbENKUlT_T0_E_clISt17integral_constantIbLb0EES10_IbLb1EEEEDaSW_SX_EUlSW_E_NS1_11comp_targetILNS1_3genE9ELNS1_11target_archE1100ELNS1_3gpuE3ELNS1_3repE0EEENS1_30default_config_static_selectorELNS0_4arch9wavefront6targetE1EEEvT1_
    .private_segment_fixed_size: 0
    .sgpr_count:     6
    .sgpr_spill_count: 0
    .symbol:         _ZN7rocprim17ROCPRIM_400000_NS6detail17trampoline_kernelINS0_14default_configENS1_27scan_by_key_config_selectorIixEEZZNS1_16scan_by_key_implILNS1_25lookback_scan_determinismE0ELb0ES3_N6thrust23THRUST_200600_302600_NS6detail15normal_iteratorINS9_10device_ptrIiEEEENSB_INSC_IxEEEESG_xNS9_4plusIvEENS9_8equal_toIvEExEE10hipError_tPvRmT2_T3_T4_T5_mT6_T7_P12ihipStream_tbENKUlT_T0_E_clISt17integral_constantIbLb0EES10_IbLb1EEEEDaSW_SX_EUlSW_E_NS1_11comp_targetILNS1_3genE9ELNS1_11target_archE1100ELNS1_3gpuE3ELNS1_3repE0EEENS1_30default_config_static_selectorELNS0_4arch9wavefront6targetE1EEEvT1_.kd
    .uniform_work_group_size: 1
    .uses_dynamic_stack: false
    .vgpr_count:     0
    .vgpr_spill_count: 0
    .wavefront_size: 64
  - .agpr_count:     0
    .args:
      - .offset:         0
        .size:           136
        .value_kind:     by_value
    .group_segment_fixed_size: 0
    .kernarg_segment_align: 8
    .kernarg_segment_size: 136
    .language:       OpenCL C
    .language_version:
      - 2
      - 0
    .max_flat_workgroup_size: 256
    .name:           _ZN7rocprim17ROCPRIM_400000_NS6detail17trampoline_kernelINS0_14default_configENS1_27scan_by_key_config_selectorIixEEZZNS1_16scan_by_key_implILNS1_25lookback_scan_determinismE0ELb0ES3_N6thrust23THRUST_200600_302600_NS6detail15normal_iteratorINS9_10device_ptrIiEEEENSB_INSC_IxEEEESG_xNS9_4plusIvEENS9_8equal_toIvEExEE10hipError_tPvRmT2_T3_T4_T5_mT6_T7_P12ihipStream_tbENKUlT_T0_E_clISt17integral_constantIbLb0EES10_IbLb1EEEEDaSW_SX_EUlSW_E_NS1_11comp_targetILNS1_3genE8ELNS1_11target_archE1030ELNS1_3gpuE2ELNS1_3repE0EEENS1_30default_config_static_selectorELNS0_4arch9wavefront6targetE1EEEvT1_
    .private_segment_fixed_size: 0
    .sgpr_count:     6
    .sgpr_spill_count: 0
    .symbol:         _ZN7rocprim17ROCPRIM_400000_NS6detail17trampoline_kernelINS0_14default_configENS1_27scan_by_key_config_selectorIixEEZZNS1_16scan_by_key_implILNS1_25lookback_scan_determinismE0ELb0ES3_N6thrust23THRUST_200600_302600_NS6detail15normal_iteratorINS9_10device_ptrIiEEEENSB_INSC_IxEEEESG_xNS9_4plusIvEENS9_8equal_toIvEExEE10hipError_tPvRmT2_T3_T4_T5_mT6_T7_P12ihipStream_tbENKUlT_T0_E_clISt17integral_constantIbLb0EES10_IbLb1EEEEDaSW_SX_EUlSW_E_NS1_11comp_targetILNS1_3genE8ELNS1_11target_archE1030ELNS1_3gpuE2ELNS1_3repE0EEENS1_30default_config_static_selectorELNS0_4arch9wavefront6targetE1EEEvT1_.kd
    .uniform_work_group_size: 1
    .uses_dynamic_stack: false
    .vgpr_count:     0
    .vgpr_spill_count: 0
    .wavefront_size: 64
  - .agpr_count:     0
    .args:
      - .offset:         0
        .size:           24
        .value_kind:     by_value
      - .offset:         24
        .size:           8
        .value_kind:     by_value
      - .offset:         32
        .size:           8
        .value_kind:     by_value
    .group_segment_fixed_size: 0
    .kernarg_segment_align: 8
    .kernarg_segment_size: 40
    .language:       OpenCL C
    .language_version:
      - 2
      - 0
    .max_flat_workgroup_size: 256
    .name:           _ZN6thrust23THRUST_200600_302600_NS11hip_rocprim14__parallel_for6kernelILj256ENS1_11__transform17unary_transform_fINS0_7pointerIiNS1_3tagENS0_11use_defaultES8_EENS0_10device_ptrIsEENS4_14no_stencil_tagENS0_8identityIiEENS4_21always_true_predicateEEElLj1EEEvT0_T1_SI_
    .private_segment_fixed_size: 0
    .sgpr_count:     18
    .sgpr_spill_count: 0
    .symbol:         _ZN6thrust23THRUST_200600_302600_NS11hip_rocprim14__parallel_for6kernelILj256ENS1_11__transform17unary_transform_fINS0_7pointerIiNS1_3tagENS0_11use_defaultES8_EENS0_10device_ptrIsEENS4_14no_stencil_tagENS0_8identityIiEENS4_21always_true_predicateEEElLj1EEEvT0_T1_SI_.kd
    .uniform_work_group_size: 1
    .uses_dynamic_stack: false
    .vgpr_count:     6
    .vgpr_spill_count: 0
    .wavefront_size: 64
  - .agpr_count:     0
    .args:
      - .address_space:  global
        .offset:         0
        .size:           8
        .value_kind:     global_buffer
      - .offset:         8
        .size:           4
        .value_kind:     by_value
      - .offset:         12
        .size:           4
        .value_kind:     by_value
      - .address_space:  global
        .offset:         16
        .size:           8
        .value_kind:     global_buffer
      - .address_space:  global
        .offset:         24
        .size:           8
        .value_kind:     global_buffer
      - .actual_access:  write_only
        .address_space:  global
        .offset:         32
        .size:           8
        .value_kind:     global_buffer
      - .offset:         40
        .size:           8
        .value_kind:     by_value
      - .offset:         48
        .size:           4
        .value_kind:     by_value
      - .offset:         52
        .size:           1
        .value_kind:     by_value
      - .offset:         56
        .size:           4
        .value_kind:     hidden_block_count_x
      - .offset:         60
        .size:           4
        .value_kind:     hidden_block_count_y
      - .offset:         64
        .size:           4
        .value_kind:     hidden_block_count_z
      - .offset:         68
        .size:           2
        .value_kind:     hidden_group_size_x
      - .offset:         70
        .size:           2
        .value_kind:     hidden_group_size_y
      - .offset:         72
        .size:           2
        .value_kind:     hidden_group_size_z
      - .offset:         74
        .size:           2
        .value_kind:     hidden_remainder_x
      - .offset:         76
        .size:           2
        .value_kind:     hidden_remainder_y
      - .offset:         78
        .size:           2
        .value_kind:     hidden_remainder_z
      - .offset:         96
        .size:           8
        .value_kind:     hidden_global_offset_x
      - .offset:         104
        .size:           8
        .value_kind:     hidden_global_offset_y
      - .offset:         112
        .size:           8
        .value_kind:     hidden_global_offset_z
      - .offset:         120
        .size:           2
        .value_kind:     hidden_grid_dims
    .group_segment_fixed_size: 0
    .kernarg_segment_align: 8
    .kernarg_segment_size: 312
    .language:       OpenCL C
    .language_version:
      - 2
      - 0
    .max_flat_workgroup_size: 256
    .name:           _ZN7rocprim17ROCPRIM_400000_NS6detail30init_device_scan_by_key_kernelINS1_19lookback_scan_stateINS0_5tupleIJsbEEELb0ELb1EEEN6thrust23THRUST_200600_302600_NS6detail15normal_iteratorINS8_10device_ptrIiEEEEjNS1_16block_id_wrapperIjLb0EEEEEvT_jjPNSG_10value_typeET0_PNSt15iterator_traitsISJ_E10value_typeEmT1_T2_
    .private_segment_fixed_size: 0
    .sgpr_count:     22
    .sgpr_spill_count: 0
    .symbol:         _ZN7rocprim17ROCPRIM_400000_NS6detail30init_device_scan_by_key_kernelINS1_19lookback_scan_stateINS0_5tupleIJsbEEELb0ELb1EEEN6thrust23THRUST_200600_302600_NS6detail15normal_iteratorINS8_10device_ptrIiEEEEjNS1_16block_id_wrapperIjLb0EEEEEvT_jjPNSG_10value_typeET0_PNSt15iterator_traitsISJ_E10value_typeEmT1_T2_.kd
    .uniform_work_group_size: 1
    .uses_dynamic_stack: false
    .vgpr_count:     7
    .vgpr_spill_count: 0
    .wavefront_size: 64
  - .agpr_count:     0
    .args:
      - .offset:         0
        .size:           112
        .value_kind:     by_value
    .group_segment_fixed_size: 0
    .kernarg_segment_align: 8
    .kernarg_segment_size: 112
    .language:       OpenCL C
    .language_version:
      - 2
      - 0
    .max_flat_workgroup_size: 256
    .name:           _ZN7rocprim17ROCPRIM_400000_NS6detail17trampoline_kernelINS0_14default_configENS1_27scan_by_key_config_selectorIisEEZZNS1_16scan_by_key_implILNS1_25lookback_scan_determinismE0ELb0ES3_N6thrust23THRUST_200600_302600_NS6detail15normal_iteratorINS9_10device_ptrIiEEEENSB_INSC_IsEEEESG_sNS9_4plusIvEENS9_8equal_toIvEEsEE10hipError_tPvRmT2_T3_T4_T5_mT6_T7_P12ihipStream_tbENKUlT_T0_E_clISt17integral_constantIbLb0EES11_EEDaSW_SX_EUlSW_E_NS1_11comp_targetILNS1_3genE0ELNS1_11target_archE4294967295ELNS1_3gpuE0ELNS1_3repE0EEENS1_30default_config_static_selectorELNS0_4arch9wavefront6targetE1EEEvT1_
    .private_segment_fixed_size: 0
    .sgpr_count:     6
    .sgpr_spill_count: 0
    .symbol:         _ZN7rocprim17ROCPRIM_400000_NS6detail17trampoline_kernelINS0_14default_configENS1_27scan_by_key_config_selectorIisEEZZNS1_16scan_by_key_implILNS1_25lookback_scan_determinismE0ELb0ES3_N6thrust23THRUST_200600_302600_NS6detail15normal_iteratorINS9_10device_ptrIiEEEENSB_INSC_IsEEEESG_sNS9_4plusIvEENS9_8equal_toIvEEsEE10hipError_tPvRmT2_T3_T4_T5_mT6_T7_P12ihipStream_tbENKUlT_T0_E_clISt17integral_constantIbLb0EES11_EEDaSW_SX_EUlSW_E_NS1_11comp_targetILNS1_3genE0ELNS1_11target_archE4294967295ELNS1_3gpuE0ELNS1_3repE0EEENS1_30default_config_static_selectorELNS0_4arch9wavefront6targetE1EEEvT1_.kd
    .uniform_work_group_size: 1
    .uses_dynamic_stack: false
    .vgpr_count:     0
    .vgpr_spill_count: 0
    .wavefront_size: 64
  - .agpr_count:     0
    .args:
      - .offset:         0
        .size:           112
        .value_kind:     by_value
    .group_segment_fixed_size: 0
    .kernarg_segment_align: 8
    .kernarg_segment_size: 112
    .language:       OpenCL C
    .language_version:
      - 2
      - 0
    .max_flat_workgroup_size: 256
    .name:           _ZN7rocprim17ROCPRIM_400000_NS6detail17trampoline_kernelINS0_14default_configENS1_27scan_by_key_config_selectorIisEEZZNS1_16scan_by_key_implILNS1_25lookback_scan_determinismE0ELb0ES3_N6thrust23THRUST_200600_302600_NS6detail15normal_iteratorINS9_10device_ptrIiEEEENSB_INSC_IsEEEESG_sNS9_4plusIvEENS9_8equal_toIvEEsEE10hipError_tPvRmT2_T3_T4_T5_mT6_T7_P12ihipStream_tbENKUlT_T0_E_clISt17integral_constantIbLb0EES11_EEDaSW_SX_EUlSW_E_NS1_11comp_targetILNS1_3genE10ELNS1_11target_archE1201ELNS1_3gpuE5ELNS1_3repE0EEENS1_30default_config_static_selectorELNS0_4arch9wavefront6targetE1EEEvT1_
    .private_segment_fixed_size: 0
    .sgpr_count:     6
    .sgpr_spill_count: 0
    .symbol:         _ZN7rocprim17ROCPRIM_400000_NS6detail17trampoline_kernelINS0_14default_configENS1_27scan_by_key_config_selectorIisEEZZNS1_16scan_by_key_implILNS1_25lookback_scan_determinismE0ELb0ES3_N6thrust23THRUST_200600_302600_NS6detail15normal_iteratorINS9_10device_ptrIiEEEENSB_INSC_IsEEEESG_sNS9_4plusIvEENS9_8equal_toIvEEsEE10hipError_tPvRmT2_T3_T4_T5_mT6_T7_P12ihipStream_tbENKUlT_T0_E_clISt17integral_constantIbLb0EES11_EEDaSW_SX_EUlSW_E_NS1_11comp_targetILNS1_3genE10ELNS1_11target_archE1201ELNS1_3gpuE5ELNS1_3repE0EEENS1_30default_config_static_selectorELNS0_4arch9wavefront6targetE1EEEvT1_.kd
    .uniform_work_group_size: 1
    .uses_dynamic_stack: false
    .vgpr_count:     0
    .vgpr_spill_count: 0
    .wavefront_size: 64
  - .agpr_count:     0
    .args:
      - .offset:         0
        .size:           112
        .value_kind:     by_value
    .group_segment_fixed_size: 26624
    .kernarg_segment_align: 8
    .kernarg_segment_size: 112
    .language:       OpenCL C
    .language_version:
      - 2
      - 0
    .max_flat_workgroup_size: 256
    .name:           _ZN7rocprim17ROCPRIM_400000_NS6detail17trampoline_kernelINS0_14default_configENS1_27scan_by_key_config_selectorIisEEZZNS1_16scan_by_key_implILNS1_25lookback_scan_determinismE0ELb0ES3_N6thrust23THRUST_200600_302600_NS6detail15normal_iteratorINS9_10device_ptrIiEEEENSB_INSC_IsEEEESG_sNS9_4plusIvEENS9_8equal_toIvEEsEE10hipError_tPvRmT2_T3_T4_T5_mT6_T7_P12ihipStream_tbENKUlT_T0_E_clISt17integral_constantIbLb0EES11_EEDaSW_SX_EUlSW_E_NS1_11comp_targetILNS1_3genE5ELNS1_11target_archE942ELNS1_3gpuE9ELNS1_3repE0EEENS1_30default_config_static_selectorELNS0_4arch9wavefront6targetE1EEEvT1_
    .private_segment_fixed_size: 0
    .sgpr_count:     90
    .sgpr_spill_count: 0
    .symbol:         _ZN7rocprim17ROCPRIM_400000_NS6detail17trampoline_kernelINS0_14default_configENS1_27scan_by_key_config_selectorIisEEZZNS1_16scan_by_key_implILNS1_25lookback_scan_determinismE0ELb0ES3_N6thrust23THRUST_200600_302600_NS6detail15normal_iteratorINS9_10device_ptrIiEEEENSB_INSC_IsEEEESG_sNS9_4plusIvEENS9_8equal_toIvEEsEE10hipError_tPvRmT2_T3_T4_T5_mT6_T7_P12ihipStream_tbENKUlT_T0_E_clISt17integral_constantIbLb0EES11_EEDaSW_SX_EUlSW_E_NS1_11comp_targetILNS1_3genE5ELNS1_11target_archE942ELNS1_3gpuE9ELNS1_3repE0EEENS1_30default_config_static_selectorELNS0_4arch9wavefront6targetE1EEEvT1_.kd
    .uniform_work_group_size: 1
    .uses_dynamic_stack: false
    .vgpr_count:     62
    .vgpr_spill_count: 0
    .wavefront_size: 64
  - .agpr_count:     0
    .args:
      - .offset:         0
        .size:           112
        .value_kind:     by_value
    .group_segment_fixed_size: 0
    .kernarg_segment_align: 8
    .kernarg_segment_size: 112
    .language:       OpenCL C
    .language_version:
      - 2
      - 0
    .max_flat_workgroup_size: 64
    .name:           _ZN7rocprim17ROCPRIM_400000_NS6detail17trampoline_kernelINS0_14default_configENS1_27scan_by_key_config_selectorIisEEZZNS1_16scan_by_key_implILNS1_25lookback_scan_determinismE0ELb0ES3_N6thrust23THRUST_200600_302600_NS6detail15normal_iteratorINS9_10device_ptrIiEEEENSB_INSC_IsEEEESG_sNS9_4plusIvEENS9_8equal_toIvEEsEE10hipError_tPvRmT2_T3_T4_T5_mT6_T7_P12ihipStream_tbENKUlT_T0_E_clISt17integral_constantIbLb0EES11_EEDaSW_SX_EUlSW_E_NS1_11comp_targetILNS1_3genE4ELNS1_11target_archE910ELNS1_3gpuE8ELNS1_3repE0EEENS1_30default_config_static_selectorELNS0_4arch9wavefront6targetE1EEEvT1_
    .private_segment_fixed_size: 0
    .sgpr_count:     6
    .sgpr_spill_count: 0
    .symbol:         _ZN7rocprim17ROCPRIM_400000_NS6detail17trampoline_kernelINS0_14default_configENS1_27scan_by_key_config_selectorIisEEZZNS1_16scan_by_key_implILNS1_25lookback_scan_determinismE0ELb0ES3_N6thrust23THRUST_200600_302600_NS6detail15normal_iteratorINS9_10device_ptrIiEEEENSB_INSC_IsEEEESG_sNS9_4plusIvEENS9_8equal_toIvEEsEE10hipError_tPvRmT2_T3_T4_T5_mT6_T7_P12ihipStream_tbENKUlT_T0_E_clISt17integral_constantIbLb0EES11_EEDaSW_SX_EUlSW_E_NS1_11comp_targetILNS1_3genE4ELNS1_11target_archE910ELNS1_3gpuE8ELNS1_3repE0EEENS1_30default_config_static_selectorELNS0_4arch9wavefront6targetE1EEEvT1_.kd
    .uniform_work_group_size: 1
    .uses_dynamic_stack: false
    .vgpr_count:     0
    .vgpr_spill_count: 0
    .wavefront_size: 64
  - .agpr_count:     0
    .args:
      - .offset:         0
        .size:           112
        .value_kind:     by_value
    .group_segment_fixed_size: 0
    .kernarg_segment_align: 8
    .kernarg_segment_size: 112
    .language:       OpenCL C
    .language_version:
      - 2
      - 0
    .max_flat_workgroup_size: 256
    .name:           _ZN7rocprim17ROCPRIM_400000_NS6detail17trampoline_kernelINS0_14default_configENS1_27scan_by_key_config_selectorIisEEZZNS1_16scan_by_key_implILNS1_25lookback_scan_determinismE0ELb0ES3_N6thrust23THRUST_200600_302600_NS6detail15normal_iteratorINS9_10device_ptrIiEEEENSB_INSC_IsEEEESG_sNS9_4plusIvEENS9_8equal_toIvEEsEE10hipError_tPvRmT2_T3_T4_T5_mT6_T7_P12ihipStream_tbENKUlT_T0_E_clISt17integral_constantIbLb0EES11_EEDaSW_SX_EUlSW_E_NS1_11comp_targetILNS1_3genE3ELNS1_11target_archE908ELNS1_3gpuE7ELNS1_3repE0EEENS1_30default_config_static_selectorELNS0_4arch9wavefront6targetE1EEEvT1_
    .private_segment_fixed_size: 0
    .sgpr_count:     6
    .sgpr_spill_count: 0
    .symbol:         _ZN7rocprim17ROCPRIM_400000_NS6detail17trampoline_kernelINS0_14default_configENS1_27scan_by_key_config_selectorIisEEZZNS1_16scan_by_key_implILNS1_25lookback_scan_determinismE0ELb0ES3_N6thrust23THRUST_200600_302600_NS6detail15normal_iteratorINS9_10device_ptrIiEEEENSB_INSC_IsEEEESG_sNS9_4plusIvEENS9_8equal_toIvEEsEE10hipError_tPvRmT2_T3_T4_T5_mT6_T7_P12ihipStream_tbENKUlT_T0_E_clISt17integral_constantIbLb0EES11_EEDaSW_SX_EUlSW_E_NS1_11comp_targetILNS1_3genE3ELNS1_11target_archE908ELNS1_3gpuE7ELNS1_3repE0EEENS1_30default_config_static_selectorELNS0_4arch9wavefront6targetE1EEEvT1_.kd
    .uniform_work_group_size: 1
    .uses_dynamic_stack: false
    .vgpr_count:     0
    .vgpr_spill_count: 0
    .wavefront_size: 64
  - .agpr_count:     0
    .args:
      - .offset:         0
        .size:           112
        .value_kind:     by_value
    .group_segment_fixed_size: 0
    .kernarg_segment_align: 8
    .kernarg_segment_size: 112
    .language:       OpenCL C
    .language_version:
      - 2
      - 0
    .max_flat_workgroup_size: 64
    .name:           _ZN7rocprim17ROCPRIM_400000_NS6detail17trampoline_kernelINS0_14default_configENS1_27scan_by_key_config_selectorIisEEZZNS1_16scan_by_key_implILNS1_25lookback_scan_determinismE0ELb0ES3_N6thrust23THRUST_200600_302600_NS6detail15normal_iteratorINS9_10device_ptrIiEEEENSB_INSC_IsEEEESG_sNS9_4plusIvEENS9_8equal_toIvEEsEE10hipError_tPvRmT2_T3_T4_T5_mT6_T7_P12ihipStream_tbENKUlT_T0_E_clISt17integral_constantIbLb0EES11_EEDaSW_SX_EUlSW_E_NS1_11comp_targetILNS1_3genE2ELNS1_11target_archE906ELNS1_3gpuE6ELNS1_3repE0EEENS1_30default_config_static_selectorELNS0_4arch9wavefront6targetE1EEEvT1_
    .private_segment_fixed_size: 0
    .sgpr_count:     6
    .sgpr_spill_count: 0
    .symbol:         _ZN7rocprim17ROCPRIM_400000_NS6detail17trampoline_kernelINS0_14default_configENS1_27scan_by_key_config_selectorIisEEZZNS1_16scan_by_key_implILNS1_25lookback_scan_determinismE0ELb0ES3_N6thrust23THRUST_200600_302600_NS6detail15normal_iteratorINS9_10device_ptrIiEEEENSB_INSC_IsEEEESG_sNS9_4plusIvEENS9_8equal_toIvEEsEE10hipError_tPvRmT2_T3_T4_T5_mT6_T7_P12ihipStream_tbENKUlT_T0_E_clISt17integral_constantIbLb0EES11_EEDaSW_SX_EUlSW_E_NS1_11comp_targetILNS1_3genE2ELNS1_11target_archE906ELNS1_3gpuE6ELNS1_3repE0EEENS1_30default_config_static_selectorELNS0_4arch9wavefront6targetE1EEEvT1_.kd
    .uniform_work_group_size: 1
    .uses_dynamic_stack: false
    .vgpr_count:     0
    .vgpr_spill_count: 0
    .wavefront_size: 64
  - .agpr_count:     0
    .args:
      - .offset:         0
        .size:           112
        .value_kind:     by_value
    .group_segment_fixed_size: 0
    .kernarg_segment_align: 8
    .kernarg_segment_size: 112
    .language:       OpenCL C
    .language_version:
      - 2
      - 0
    .max_flat_workgroup_size: 256
    .name:           _ZN7rocprim17ROCPRIM_400000_NS6detail17trampoline_kernelINS0_14default_configENS1_27scan_by_key_config_selectorIisEEZZNS1_16scan_by_key_implILNS1_25lookback_scan_determinismE0ELb0ES3_N6thrust23THRUST_200600_302600_NS6detail15normal_iteratorINS9_10device_ptrIiEEEENSB_INSC_IsEEEESG_sNS9_4plusIvEENS9_8equal_toIvEEsEE10hipError_tPvRmT2_T3_T4_T5_mT6_T7_P12ihipStream_tbENKUlT_T0_E_clISt17integral_constantIbLb0EES11_EEDaSW_SX_EUlSW_E_NS1_11comp_targetILNS1_3genE10ELNS1_11target_archE1200ELNS1_3gpuE4ELNS1_3repE0EEENS1_30default_config_static_selectorELNS0_4arch9wavefront6targetE1EEEvT1_
    .private_segment_fixed_size: 0
    .sgpr_count:     6
    .sgpr_spill_count: 0
    .symbol:         _ZN7rocprim17ROCPRIM_400000_NS6detail17trampoline_kernelINS0_14default_configENS1_27scan_by_key_config_selectorIisEEZZNS1_16scan_by_key_implILNS1_25lookback_scan_determinismE0ELb0ES3_N6thrust23THRUST_200600_302600_NS6detail15normal_iteratorINS9_10device_ptrIiEEEENSB_INSC_IsEEEESG_sNS9_4plusIvEENS9_8equal_toIvEEsEE10hipError_tPvRmT2_T3_T4_T5_mT6_T7_P12ihipStream_tbENKUlT_T0_E_clISt17integral_constantIbLb0EES11_EEDaSW_SX_EUlSW_E_NS1_11comp_targetILNS1_3genE10ELNS1_11target_archE1200ELNS1_3gpuE4ELNS1_3repE0EEENS1_30default_config_static_selectorELNS0_4arch9wavefront6targetE1EEEvT1_.kd
    .uniform_work_group_size: 1
    .uses_dynamic_stack: false
    .vgpr_count:     0
    .vgpr_spill_count: 0
    .wavefront_size: 64
  - .agpr_count:     0
    .args:
      - .offset:         0
        .size:           112
        .value_kind:     by_value
    .group_segment_fixed_size: 0
    .kernarg_segment_align: 8
    .kernarg_segment_size: 112
    .language:       OpenCL C
    .language_version:
      - 2
      - 0
    .max_flat_workgroup_size: 64
    .name:           _ZN7rocprim17ROCPRIM_400000_NS6detail17trampoline_kernelINS0_14default_configENS1_27scan_by_key_config_selectorIisEEZZNS1_16scan_by_key_implILNS1_25lookback_scan_determinismE0ELb0ES3_N6thrust23THRUST_200600_302600_NS6detail15normal_iteratorINS9_10device_ptrIiEEEENSB_INSC_IsEEEESG_sNS9_4plusIvEENS9_8equal_toIvEEsEE10hipError_tPvRmT2_T3_T4_T5_mT6_T7_P12ihipStream_tbENKUlT_T0_E_clISt17integral_constantIbLb0EES11_EEDaSW_SX_EUlSW_E_NS1_11comp_targetILNS1_3genE9ELNS1_11target_archE1100ELNS1_3gpuE3ELNS1_3repE0EEENS1_30default_config_static_selectorELNS0_4arch9wavefront6targetE1EEEvT1_
    .private_segment_fixed_size: 0
    .sgpr_count:     6
    .sgpr_spill_count: 0
    .symbol:         _ZN7rocprim17ROCPRIM_400000_NS6detail17trampoline_kernelINS0_14default_configENS1_27scan_by_key_config_selectorIisEEZZNS1_16scan_by_key_implILNS1_25lookback_scan_determinismE0ELb0ES3_N6thrust23THRUST_200600_302600_NS6detail15normal_iteratorINS9_10device_ptrIiEEEENSB_INSC_IsEEEESG_sNS9_4plusIvEENS9_8equal_toIvEEsEE10hipError_tPvRmT2_T3_T4_T5_mT6_T7_P12ihipStream_tbENKUlT_T0_E_clISt17integral_constantIbLb0EES11_EEDaSW_SX_EUlSW_E_NS1_11comp_targetILNS1_3genE9ELNS1_11target_archE1100ELNS1_3gpuE3ELNS1_3repE0EEENS1_30default_config_static_selectorELNS0_4arch9wavefront6targetE1EEEvT1_.kd
    .uniform_work_group_size: 1
    .uses_dynamic_stack: false
    .vgpr_count:     0
    .vgpr_spill_count: 0
    .wavefront_size: 64
  - .agpr_count:     0
    .args:
      - .offset:         0
        .size:           112
        .value_kind:     by_value
    .group_segment_fixed_size: 0
    .kernarg_segment_align: 8
    .kernarg_segment_size: 112
    .language:       OpenCL C
    .language_version:
      - 2
      - 0
    .max_flat_workgroup_size: 64
    .name:           _ZN7rocprim17ROCPRIM_400000_NS6detail17trampoline_kernelINS0_14default_configENS1_27scan_by_key_config_selectorIisEEZZNS1_16scan_by_key_implILNS1_25lookback_scan_determinismE0ELb0ES3_N6thrust23THRUST_200600_302600_NS6detail15normal_iteratorINS9_10device_ptrIiEEEENSB_INSC_IsEEEESG_sNS9_4plusIvEENS9_8equal_toIvEEsEE10hipError_tPvRmT2_T3_T4_T5_mT6_T7_P12ihipStream_tbENKUlT_T0_E_clISt17integral_constantIbLb0EES11_EEDaSW_SX_EUlSW_E_NS1_11comp_targetILNS1_3genE8ELNS1_11target_archE1030ELNS1_3gpuE2ELNS1_3repE0EEENS1_30default_config_static_selectorELNS0_4arch9wavefront6targetE1EEEvT1_
    .private_segment_fixed_size: 0
    .sgpr_count:     6
    .sgpr_spill_count: 0
    .symbol:         _ZN7rocprim17ROCPRIM_400000_NS6detail17trampoline_kernelINS0_14default_configENS1_27scan_by_key_config_selectorIisEEZZNS1_16scan_by_key_implILNS1_25lookback_scan_determinismE0ELb0ES3_N6thrust23THRUST_200600_302600_NS6detail15normal_iteratorINS9_10device_ptrIiEEEENSB_INSC_IsEEEESG_sNS9_4plusIvEENS9_8equal_toIvEEsEE10hipError_tPvRmT2_T3_T4_T5_mT6_T7_P12ihipStream_tbENKUlT_T0_E_clISt17integral_constantIbLb0EES11_EEDaSW_SX_EUlSW_E_NS1_11comp_targetILNS1_3genE8ELNS1_11target_archE1030ELNS1_3gpuE2ELNS1_3repE0EEENS1_30default_config_static_selectorELNS0_4arch9wavefront6targetE1EEEvT1_.kd
    .uniform_work_group_size: 1
    .uses_dynamic_stack: false
    .vgpr_count:     0
    .vgpr_spill_count: 0
    .wavefront_size: 64
  - .agpr_count:     0
    .args:
      - .address_space:  global
        .offset:         0
        .size:           8
        .value_kind:     global_buffer
      - .offset:         8
        .size:           4
        .value_kind:     by_value
      - .offset:         12
        .size:           4
        .value_kind:     by_value
      - .address_space:  global
        .offset:         16
        .size:           8
        .value_kind:     global_buffer
      - .address_space:  global
        .offset:         24
        .size:           8
        .value_kind:     global_buffer
      - .actual_access:  write_only
        .address_space:  global
        .offset:         32
        .size:           8
        .value_kind:     global_buffer
      - .offset:         40
        .size:           8
        .value_kind:     by_value
      - .offset:         48
        .size:           4
        .value_kind:     by_value
      - .address_space:  global
        .offset:         56
        .size:           8
        .value_kind:     global_buffer
      - .offset:         64
        .size:           4
        .value_kind:     hidden_block_count_x
      - .offset:         68
        .size:           4
        .value_kind:     hidden_block_count_y
      - .offset:         72
        .size:           4
        .value_kind:     hidden_block_count_z
      - .offset:         76
        .size:           2
        .value_kind:     hidden_group_size_x
      - .offset:         78
        .size:           2
        .value_kind:     hidden_group_size_y
      - .offset:         80
        .size:           2
        .value_kind:     hidden_group_size_z
      - .offset:         82
        .size:           2
        .value_kind:     hidden_remainder_x
      - .offset:         84
        .size:           2
        .value_kind:     hidden_remainder_y
      - .offset:         86
        .size:           2
        .value_kind:     hidden_remainder_z
      - .offset:         104
        .size:           8
        .value_kind:     hidden_global_offset_x
      - .offset:         112
        .size:           8
        .value_kind:     hidden_global_offset_y
      - .offset:         120
        .size:           8
        .value_kind:     hidden_global_offset_z
      - .offset:         128
        .size:           2
        .value_kind:     hidden_grid_dims
    .group_segment_fixed_size: 0
    .kernarg_segment_align: 8
    .kernarg_segment_size: 320
    .language:       OpenCL C
    .language_version:
      - 2
      - 0
    .max_flat_workgroup_size: 256
    .name:           _ZN7rocprim17ROCPRIM_400000_NS6detail30init_device_scan_by_key_kernelINS1_19lookback_scan_stateINS0_5tupleIJsbEEELb1ELb1EEEN6thrust23THRUST_200600_302600_NS6detail15normal_iteratorINS8_10device_ptrIiEEEEjNS1_16block_id_wrapperIjLb1EEEEEvT_jjPNSG_10value_typeET0_PNSt15iterator_traitsISJ_E10value_typeEmT1_T2_
    .private_segment_fixed_size: 0
    .sgpr_count:     24
    .sgpr_spill_count: 0
    .symbol:         _ZN7rocprim17ROCPRIM_400000_NS6detail30init_device_scan_by_key_kernelINS1_19lookback_scan_stateINS0_5tupleIJsbEEELb1ELb1EEEN6thrust23THRUST_200600_302600_NS6detail15normal_iteratorINS8_10device_ptrIiEEEEjNS1_16block_id_wrapperIjLb1EEEEEvT_jjPNSG_10value_typeET0_PNSt15iterator_traitsISJ_E10value_typeEmT1_T2_.kd
    .uniform_work_group_size: 1
    .uses_dynamic_stack: false
    .vgpr_count:     7
    .vgpr_spill_count: 0
    .wavefront_size: 64
  - .agpr_count:     0
    .args:
      - .offset:         0
        .size:           112
        .value_kind:     by_value
    .group_segment_fixed_size: 0
    .kernarg_segment_align: 8
    .kernarg_segment_size: 112
    .language:       OpenCL C
    .language_version:
      - 2
      - 0
    .max_flat_workgroup_size: 256
    .name:           _ZN7rocprim17ROCPRIM_400000_NS6detail17trampoline_kernelINS0_14default_configENS1_27scan_by_key_config_selectorIisEEZZNS1_16scan_by_key_implILNS1_25lookback_scan_determinismE0ELb0ES3_N6thrust23THRUST_200600_302600_NS6detail15normal_iteratorINS9_10device_ptrIiEEEENSB_INSC_IsEEEESG_sNS9_4plusIvEENS9_8equal_toIvEEsEE10hipError_tPvRmT2_T3_T4_T5_mT6_T7_P12ihipStream_tbENKUlT_T0_E_clISt17integral_constantIbLb1EES11_EEDaSW_SX_EUlSW_E_NS1_11comp_targetILNS1_3genE0ELNS1_11target_archE4294967295ELNS1_3gpuE0ELNS1_3repE0EEENS1_30default_config_static_selectorELNS0_4arch9wavefront6targetE1EEEvT1_
    .private_segment_fixed_size: 0
    .sgpr_count:     6
    .sgpr_spill_count: 0
    .symbol:         _ZN7rocprim17ROCPRIM_400000_NS6detail17trampoline_kernelINS0_14default_configENS1_27scan_by_key_config_selectorIisEEZZNS1_16scan_by_key_implILNS1_25lookback_scan_determinismE0ELb0ES3_N6thrust23THRUST_200600_302600_NS6detail15normal_iteratorINS9_10device_ptrIiEEEENSB_INSC_IsEEEESG_sNS9_4plusIvEENS9_8equal_toIvEEsEE10hipError_tPvRmT2_T3_T4_T5_mT6_T7_P12ihipStream_tbENKUlT_T0_E_clISt17integral_constantIbLb1EES11_EEDaSW_SX_EUlSW_E_NS1_11comp_targetILNS1_3genE0ELNS1_11target_archE4294967295ELNS1_3gpuE0ELNS1_3repE0EEENS1_30default_config_static_selectorELNS0_4arch9wavefront6targetE1EEEvT1_.kd
    .uniform_work_group_size: 1
    .uses_dynamic_stack: false
    .vgpr_count:     0
    .vgpr_spill_count: 0
    .wavefront_size: 64
  - .agpr_count:     0
    .args:
      - .offset:         0
        .size:           112
        .value_kind:     by_value
    .group_segment_fixed_size: 0
    .kernarg_segment_align: 8
    .kernarg_segment_size: 112
    .language:       OpenCL C
    .language_version:
      - 2
      - 0
    .max_flat_workgroup_size: 256
    .name:           _ZN7rocprim17ROCPRIM_400000_NS6detail17trampoline_kernelINS0_14default_configENS1_27scan_by_key_config_selectorIisEEZZNS1_16scan_by_key_implILNS1_25lookback_scan_determinismE0ELb0ES3_N6thrust23THRUST_200600_302600_NS6detail15normal_iteratorINS9_10device_ptrIiEEEENSB_INSC_IsEEEESG_sNS9_4plusIvEENS9_8equal_toIvEEsEE10hipError_tPvRmT2_T3_T4_T5_mT6_T7_P12ihipStream_tbENKUlT_T0_E_clISt17integral_constantIbLb1EES11_EEDaSW_SX_EUlSW_E_NS1_11comp_targetILNS1_3genE10ELNS1_11target_archE1201ELNS1_3gpuE5ELNS1_3repE0EEENS1_30default_config_static_selectorELNS0_4arch9wavefront6targetE1EEEvT1_
    .private_segment_fixed_size: 0
    .sgpr_count:     6
    .sgpr_spill_count: 0
    .symbol:         _ZN7rocprim17ROCPRIM_400000_NS6detail17trampoline_kernelINS0_14default_configENS1_27scan_by_key_config_selectorIisEEZZNS1_16scan_by_key_implILNS1_25lookback_scan_determinismE0ELb0ES3_N6thrust23THRUST_200600_302600_NS6detail15normal_iteratorINS9_10device_ptrIiEEEENSB_INSC_IsEEEESG_sNS9_4plusIvEENS9_8equal_toIvEEsEE10hipError_tPvRmT2_T3_T4_T5_mT6_T7_P12ihipStream_tbENKUlT_T0_E_clISt17integral_constantIbLb1EES11_EEDaSW_SX_EUlSW_E_NS1_11comp_targetILNS1_3genE10ELNS1_11target_archE1201ELNS1_3gpuE5ELNS1_3repE0EEENS1_30default_config_static_selectorELNS0_4arch9wavefront6targetE1EEEvT1_.kd
    .uniform_work_group_size: 1
    .uses_dynamic_stack: false
    .vgpr_count:     0
    .vgpr_spill_count: 0
    .wavefront_size: 64
  - .agpr_count:     0
    .args:
      - .offset:         0
        .size:           112
        .value_kind:     by_value
    .group_segment_fixed_size: 26624
    .kernarg_segment_align: 8
    .kernarg_segment_size: 112
    .language:       OpenCL C
    .language_version:
      - 2
      - 0
    .max_flat_workgroup_size: 256
    .name:           _ZN7rocprim17ROCPRIM_400000_NS6detail17trampoline_kernelINS0_14default_configENS1_27scan_by_key_config_selectorIisEEZZNS1_16scan_by_key_implILNS1_25lookback_scan_determinismE0ELb0ES3_N6thrust23THRUST_200600_302600_NS6detail15normal_iteratorINS9_10device_ptrIiEEEENSB_INSC_IsEEEESG_sNS9_4plusIvEENS9_8equal_toIvEEsEE10hipError_tPvRmT2_T3_T4_T5_mT6_T7_P12ihipStream_tbENKUlT_T0_E_clISt17integral_constantIbLb1EES11_EEDaSW_SX_EUlSW_E_NS1_11comp_targetILNS1_3genE5ELNS1_11target_archE942ELNS1_3gpuE9ELNS1_3repE0EEENS1_30default_config_static_selectorELNS0_4arch9wavefront6targetE1EEEvT1_
    .private_segment_fixed_size: 0
    .sgpr_count:     93
    .sgpr_spill_count: 0
    .symbol:         _ZN7rocprim17ROCPRIM_400000_NS6detail17trampoline_kernelINS0_14default_configENS1_27scan_by_key_config_selectorIisEEZZNS1_16scan_by_key_implILNS1_25lookback_scan_determinismE0ELb0ES3_N6thrust23THRUST_200600_302600_NS6detail15normal_iteratorINS9_10device_ptrIiEEEENSB_INSC_IsEEEESG_sNS9_4plusIvEENS9_8equal_toIvEEsEE10hipError_tPvRmT2_T3_T4_T5_mT6_T7_P12ihipStream_tbENKUlT_T0_E_clISt17integral_constantIbLb1EES11_EEDaSW_SX_EUlSW_E_NS1_11comp_targetILNS1_3genE5ELNS1_11target_archE942ELNS1_3gpuE9ELNS1_3repE0EEENS1_30default_config_static_selectorELNS0_4arch9wavefront6targetE1EEEvT1_.kd
    .uniform_work_group_size: 1
    .uses_dynamic_stack: false
    .vgpr_count:     62
    .vgpr_spill_count: 0
    .wavefront_size: 64
  - .agpr_count:     0
    .args:
      - .offset:         0
        .size:           112
        .value_kind:     by_value
    .group_segment_fixed_size: 0
    .kernarg_segment_align: 8
    .kernarg_segment_size: 112
    .language:       OpenCL C
    .language_version:
      - 2
      - 0
    .max_flat_workgroup_size: 64
    .name:           _ZN7rocprim17ROCPRIM_400000_NS6detail17trampoline_kernelINS0_14default_configENS1_27scan_by_key_config_selectorIisEEZZNS1_16scan_by_key_implILNS1_25lookback_scan_determinismE0ELb0ES3_N6thrust23THRUST_200600_302600_NS6detail15normal_iteratorINS9_10device_ptrIiEEEENSB_INSC_IsEEEESG_sNS9_4plusIvEENS9_8equal_toIvEEsEE10hipError_tPvRmT2_T3_T4_T5_mT6_T7_P12ihipStream_tbENKUlT_T0_E_clISt17integral_constantIbLb1EES11_EEDaSW_SX_EUlSW_E_NS1_11comp_targetILNS1_3genE4ELNS1_11target_archE910ELNS1_3gpuE8ELNS1_3repE0EEENS1_30default_config_static_selectorELNS0_4arch9wavefront6targetE1EEEvT1_
    .private_segment_fixed_size: 0
    .sgpr_count:     6
    .sgpr_spill_count: 0
    .symbol:         _ZN7rocprim17ROCPRIM_400000_NS6detail17trampoline_kernelINS0_14default_configENS1_27scan_by_key_config_selectorIisEEZZNS1_16scan_by_key_implILNS1_25lookback_scan_determinismE0ELb0ES3_N6thrust23THRUST_200600_302600_NS6detail15normal_iteratorINS9_10device_ptrIiEEEENSB_INSC_IsEEEESG_sNS9_4plusIvEENS9_8equal_toIvEEsEE10hipError_tPvRmT2_T3_T4_T5_mT6_T7_P12ihipStream_tbENKUlT_T0_E_clISt17integral_constantIbLb1EES11_EEDaSW_SX_EUlSW_E_NS1_11comp_targetILNS1_3genE4ELNS1_11target_archE910ELNS1_3gpuE8ELNS1_3repE0EEENS1_30default_config_static_selectorELNS0_4arch9wavefront6targetE1EEEvT1_.kd
    .uniform_work_group_size: 1
    .uses_dynamic_stack: false
    .vgpr_count:     0
    .vgpr_spill_count: 0
    .wavefront_size: 64
  - .agpr_count:     0
    .args:
      - .offset:         0
        .size:           112
        .value_kind:     by_value
    .group_segment_fixed_size: 0
    .kernarg_segment_align: 8
    .kernarg_segment_size: 112
    .language:       OpenCL C
    .language_version:
      - 2
      - 0
    .max_flat_workgroup_size: 256
    .name:           _ZN7rocprim17ROCPRIM_400000_NS6detail17trampoline_kernelINS0_14default_configENS1_27scan_by_key_config_selectorIisEEZZNS1_16scan_by_key_implILNS1_25lookback_scan_determinismE0ELb0ES3_N6thrust23THRUST_200600_302600_NS6detail15normal_iteratorINS9_10device_ptrIiEEEENSB_INSC_IsEEEESG_sNS9_4plusIvEENS9_8equal_toIvEEsEE10hipError_tPvRmT2_T3_T4_T5_mT6_T7_P12ihipStream_tbENKUlT_T0_E_clISt17integral_constantIbLb1EES11_EEDaSW_SX_EUlSW_E_NS1_11comp_targetILNS1_3genE3ELNS1_11target_archE908ELNS1_3gpuE7ELNS1_3repE0EEENS1_30default_config_static_selectorELNS0_4arch9wavefront6targetE1EEEvT1_
    .private_segment_fixed_size: 0
    .sgpr_count:     6
    .sgpr_spill_count: 0
    .symbol:         _ZN7rocprim17ROCPRIM_400000_NS6detail17trampoline_kernelINS0_14default_configENS1_27scan_by_key_config_selectorIisEEZZNS1_16scan_by_key_implILNS1_25lookback_scan_determinismE0ELb0ES3_N6thrust23THRUST_200600_302600_NS6detail15normal_iteratorINS9_10device_ptrIiEEEENSB_INSC_IsEEEESG_sNS9_4plusIvEENS9_8equal_toIvEEsEE10hipError_tPvRmT2_T3_T4_T5_mT6_T7_P12ihipStream_tbENKUlT_T0_E_clISt17integral_constantIbLb1EES11_EEDaSW_SX_EUlSW_E_NS1_11comp_targetILNS1_3genE3ELNS1_11target_archE908ELNS1_3gpuE7ELNS1_3repE0EEENS1_30default_config_static_selectorELNS0_4arch9wavefront6targetE1EEEvT1_.kd
    .uniform_work_group_size: 1
    .uses_dynamic_stack: false
    .vgpr_count:     0
    .vgpr_spill_count: 0
    .wavefront_size: 64
  - .agpr_count:     0
    .args:
      - .offset:         0
        .size:           112
        .value_kind:     by_value
    .group_segment_fixed_size: 0
    .kernarg_segment_align: 8
    .kernarg_segment_size: 112
    .language:       OpenCL C
    .language_version:
      - 2
      - 0
    .max_flat_workgroup_size: 64
    .name:           _ZN7rocprim17ROCPRIM_400000_NS6detail17trampoline_kernelINS0_14default_configENS1_27scan_by_key_config_selectorIisEEZZNS1_16scan_by_key_implILNS1_25lookback_scan_determinismE0ELb0ES3_N6thrust23THRUST_200600_302600_NS6detail15normal_iteratorINS9_10device_ptrIiEEEENSB_INSC_IsEEEESG_sNS9_4plusIvEENS9_8equal_toIvEEsEE10hipError_tPvRmT2_T3_T4_T5_mT6_T7_P12ihipStream_tbENKUlT_T0_E_clISt17integral_constantIbLb1EES11_EEDaSW_SX_EUlSW_E_NS1_11comp_targetILNS1_3genE2ELNS1_11target_archE906ELNS1_3gpuE6ELNS1_3repE0EEENS1_30default_config_static_selectorELNS0_4arch9wavefront6targetE1EEEvT1_
    .private_segment_fixed_size: 0
    .sgpr_count:     6
    .sgpr_spill_count: 0
    .symbol:         _ZN7rocprim17ROCPRIM_400000_NS6detail17trampoline_kernelINS0_14default_configENS1_27scan_by_key_config_selectorIisEEZZNS1_16scan_by_key_implILNS1_25lookback_scan_determinismE0ELb0ES3_N6thrust23THRUST_200600_302600_NS6detail15normal_iteratorINS9_10device_ptrIiEEEENSB_INSC_IsEEEESG_sNS9_4plusIvEENS9_8equal_toIvEEsEE10hipError_tPvRmT2_T3_T4_T5_mT6_T7_P12ihipStream_tbENKUlT_T0_E_clISt17integral_constantIbLb1EES11_EEDaSW_SX_EUlSW_E_NS1_11comp_targetILNS1_3genE2ELNS1_11target_archE906ELNS1_3gpuE6ELNS1_3repE0EEENS1_30default_config_static_selectorELNS0_4arch9wavefront6targetE1EEEvT1_.kd
    .uniform_work_group_size: 1
    .uses_dynamic_stack: false
    .vgpr_count:     0
    .vgpr_spill_count: 0
    .wavefront_size: 64
  - .agpr_count:     0
    .args:
      - .offset:         0
        .size:           112
        .value_kind:     by_value
    .group_segment_fixed_size: 0
    .kernarg_segment_align: 8
    .kernarg_segment_size: 112
    .language:       OpenCL C
    .language_version:
      - 2
      - 0
    .max_flat_workgroup_size: 256
    .name:           _ZN7rocprim17ROCPRIM_400000_NS6detail17trampoline_kernelINS0_14default_configENS1_27scan_by_key_config_selectorIisEEZZNS1_16scan_by_key_implILNS1_25lookback_scan_determinismE0ELb0ES3_N6thrust23THRUST_200600_302600_NS6detail15normal_iteratorINS9_10device_ptrIiEEEENSB_INSC_IsEEEESG_sNS9_4plusIvEENS9_8equal_toIvEEsEE10hipError_tPvRmT2_T3_T4_T5_mT6_T7_P12ihipStream_tbENKUlT_T0_E_clISt17integral_constantIbLb1EES11_EEDaSW_SX_EUlSW_E_NS1_11comp_targetILNS1_3genE10ELNS1_11target_archE1200ELNS1_3gpuE4ELNS1_3repE0EEENS1_30default_config_static_selectorELNS0_4arch9wavefront6targetE1EEEvT1_
    .private_segment_fixed_size: 0
    .sgpr_count:     6
    .sgpr_spill_count: 0
    .symbol:         _ZN7rocprim17ROCPRIM_400000_NS6detail17trampoline_kernelINS0_14default_configENS1_27scan_by_key_config_selectorIisEEZZNS1_16scan_by_key_implILNS1_25lookback_scan_determinismE0ELb0ES3_N6thrust23THRUST_200600_302600_NS6detail15normal_iteratorINS9_10device_ptrIiEEEENSB_INSC_IsEEEESG_sNS9_4plusIvEENS9_8equal_toIvEEsEE10hipError_tPvRmT2_T3_T4_T5_mT6_T7_P12ihipStream_tbENKUlT_T0_E_clISt17integral_constantIbLb1EES11_EEDaSW_SX_EUlSW_E_NS1_11comp_targetILNS1_3genE10ELNS1_11target_archE1200ELNS1_3gpuE4ELNS1_3repE0EEENS1_30default_config_static_selectorELNS0_4arch9wavefront6targetE1EEEvT1_.kd
    .uniform_work_group_size: 1
    .uses_dynamic_stack: false
    .vgpr_count:     0
    .vgpr_spill_count: 0
    .wavefront_size: 64
  - .agpr_count:     0
    .args:
      - .offset:         0
        .size:           112
        .value_kind:     by_value
    .group_segment_fixed_size: 0
    .kernarg_segment_align: 8
    .kernarg_segment_size: 112
    .language:       OpenCL C
    .language_version:
      - 2
      - 0
    .max_flat_workgroup_size: 64
    .name:           _ZN7rocprim17ROCPRIM_400000_NS6detail17trampoline_kernelINS0_14default_configENS1_27scan_by_key_config_selectorIisEEZZNS1_16scan_by_key_implILNS1_25lookback_scan_determinismE0ELb0ES3_N6thrust23THRUST_200600_302600_NS6detail15normal_iteratorINS9_10device_ptrIiEEEENSB_INSC_IsEEEESG_sNS9_4plusIvEENS9_8equal_toIvEEsEE10hipError_tPvRmT2_T3_T4_T5_mT6_T7_P12ihipStream_tbENKUlT_T0_E_clISt17integral_constantIbLb1EES11_EEDaSW_SX_EUlSW_E_NS1_11comp_targetILNS1_3genE9ELNS1_11target_archE1100ELNS1_3gpuE3ELNS1_3repE0EEENS1_30default_config_static_selectorELNS0_4arch9wavefront6targetE1EEEvT1_
    .private_segment_fixed_size: 0
    .sgpr_count:     6
    .sgpr_spill_count: 0
    .symbol:         _ZN7rocprim17ROCPRIM_400000_NS6detail17trampoline_kernelINS0_14default_configENS1_27scan_by_key_config_selectorIisEEZZNS1_16scan_by_key_implILNS1_25lookback_scan_determinismE0ELb0ES3_N6thrust23THRUST_200600_302600_NS6detail15normal_iteratorINS9_10device_ptrIiEEEENSB_INSC_IsEEEESG_sNS9_4plusIvEENS9_8equal_toIvEEsEE10hipError_tPvRmT2_T3_T4_T5_mT6_T7_P12ihipStream_tbENKUlT_T0_E_clISt17integral_constantIbLb1EES11_EEDaSW_SX_EUlSW_E_NS1_11comp_targetILNS1_3genE9ELNS1_11target_archE1100ELNS1_3gpuE3ELNS1_3repE0EEENS1_30default_config_static_selectorELNS0_4arch9wavefront6targetE1EEEvT1_.kd
    .uniform_work_group_size: 1
    .uses_dynamic_stack: false
    .vgpr_count:     0
    .vgpr_spill_count: 0
    .wavefront_size: 64
  - .agpr_count:     0
    .args:
      - .offset:         0
        .size:           112
        .value_kind:     by_value
    .group_segment_fixed_size: 0
    .kernarg_segment_align: 8
    .kernarg_segment_size: 112
    .language:       OpenCL C
    .language_version:
      - 2
      - 0
    .max_flat_workgroup_size: 64
    .name:           _ZN7rocprim17ROCPRIM_400000_NS6detail17trampoline_kernelINS0_14default_configENS1_27scan_by_key_config_selectorIisEEZZNS1_16scan_by_key_implILNS1_25lookback_scan_determinismE0ELb0ES3_N6thrust23THRUST_200600_302600_NS6detail15normal_iteratorINS9_10device_ptrIiEEEENSB_INSC_IsEEEESG_sNS9_4plusIvEENS9_8equal_toIvEEsEE10hipError_tPvRmT2_T3_T4_T5_mT6_T7_P12ihipStream_tbENKUlT_T0_E_clISt17integral_constantIbLb1EES11_EEDaSW_SX_EUlSW_E_NS1_11comp_targetILNS1_3genE8ELNS1_11target_archE1030ELNS1_3gpuE2ELNS1_3repE0EEENS1_30default_config_static_selectorELNS0_4arch9wavefront6targetE1EEEvT1_
    .private_segment_fixed_size: 0
    .sgpr_count:     6
    .sgpr_spill_count: 0
    .symbol:         _ZN7rocprim17ROCPRIM_400000_NS6detail17trampoline_kernelINS0_14default_configENS1_27scan_by_key_config_selectorIisEEZZNS1_16scan_by_key_implILNS1_25lookback_scan_determinismE0ELb0ES3_N6thrust23THRUST_200600_302600_NS6detail15normal_iteratorINS9_10device_ptrIiEEEENSB_INSC_IsEEEESG_sNS9_4plusIvEENS9_8equal_toIvEEsEE10hipError_tPvRmT2_T3_T4_T5_mT6_T7_P12ihipStream_tbENKUlT_T0_E_clISt17integral_constantIbLb1EES11_EEDaSW_SX_EUlSW_E_NS1_11comp_targetILNS1_3genE8ELNS1_11target_archE1030ELNS1_3gpuE2ELNS1_3repE0EEENS1_30default_config_static_selectorELNS0_4arch9wavefront6targetE1EEEvT1_.kd
    .uniform_work_group_size: 1
    .uses_dynamic_stack: false
    .vgpr_count:     0
    .vgpr_spill_count: 0
    .wavefront_size: 64
  - .agpr_count:     0
    .args:
      - .address_space:  global
        .offset:         0
        .size:           8
        .value_kind:     global_buffer
      - .offset:         8
        .size:           4
        .value_kind:     by_value
      - .offset:         12
        .size:           4
        .value_kind:     by_value
      - .address_space:  global
        .offset:         16
        .size:           8
        .value_kind:     global_buffer
      - .address_space:  global
        .offset:         24
        .size:           8
        .value_kind:     global_buffer
      - .actual_access:  write_only
        .address_space:  global
        .offset:         32
        .size:           8
        .value_kind:     global_buffer
      - .offset:         40
        .size:           8
        .value_kind:     by_value
      - .offset:         48
        .size:           4
        .value_kind:     by_value
      - .offset:         52
        .size:           1
        .value_kind:     by_value
      - .offset:         56
        .size:           4
        .value_kind:     hidden_block_count_x
      - .offset:         60
        .size:           4
        .value_kind:     hidden_block_count_y
      - .offset:         64
        .size:           4
        .value_kind:     hidden_block_count_z
      - .offset:         68
        .size:           2
        .value_kind:     hidden_group_size_x
      - .offset:         70
        .size:           2
        .value_kind:     hidden_group_size_y
      - .offset:         72
        .size:           2
        .value_kind:     hidden_group_size_z
      - .offset:         74
        .size:           2
        .value_kind:     hidden_remainder_x
      - .offset:         76
        .size:           2
        .value_kind:     hidden_remainder_y
      - .offset:         78
        .size:           2
        .value_kind:     hidden_remainder_z
      - .offset:         96
        .size:           8
        .value_kind:     hidden_global_offset_x
      - .offset:         104
        .size:           8
        .value_kind:     hidden_global_offset_y
      - .offset:         112
        .size:           8
        .value_kind:     hidden_global_offset_z
      - .offset:         120
        .size:           2
        .value_kind:     hidden_grid_dims
    .group_segment_fixed_size: 0
    .kernarg_segment_align: 8
    .kernarg_segment_size: 312
    .language:       OpenCL C
    .language_version:
      - 2
      - 0
    .max_flat_workgroup_size: 256
    .name:           _ZN7rocprim17ROCPRIM_400000_NS6detail30init_device_scan_by_key_kernelINS1_19lookback_scan_stateINS0_5tupleIJsbEEELb1ELb1EEEN6thrust23THRUST_200600_302600_NS6detail15normal_iteratorINS8_10device_ptrIiEEEEjNS1_16block_id_wrapperIjLb0EEEEEvT_jjPNSG_10value_typeET0_PNSt15iterator_traitsISJ_E10value_typeEmT1_T2_
    .private_segment_fixed_size: 0
    .sgpr_count:     24
    .sgpr_spill_count: 0
    .symbol:         _ZN7rocprim17ROCPRIM_400000_NS6detail30init_device_scan_by_key_kernelINS1_19lookback_scan_stateINS0_5tupleIJsbEEELb1ELb1EEEN6thrust23THRUST_200600_302600_NS6detail15normal_iteratorINS8_10device_ptrIiEEEEjNS1_16block_id_wrapperIjLb0EEEEEvT_jjPNSG_10value_typeET0_PNSt15iterator_traitsISJ_E10value_typeEmT1_T2_.kd
    .uniform_work_group_size: 1
    .uses_dynamic_stack: false
    .vgpr_count:     7
    .vgpr_spill_count: 0
    .wavefront_size: 64
  - .agpr_count:     0
    .args:
      - .offset:         0
        .size:           112
        .value_kind:     by_value
    .group_segment_fixed_size: 0
    .kernarg_segment_align: 8
    .kernarg_segment_size: 112
    .language:       OpenCL C
    .language_version:
      - 2
      - 0
    .max_flat_workgroup_size: 256
    .name:           _ZN7rocprim17ROCPRIM_400000_NS6detail17trampoline_kernelINS0_14default_configENS1_27scan_by_key_config_selectorIisEEZZNS1_16scan_by_key_implILNS1_25lookback_scan_determinismE0ELb0ES3_N6thrust23THRUST_200600_302600_NS6detail15normal_iteratorINS9_10device_ptrIiEEEENSB_INSC_IsEEEESG_sNS9_4plusIvEENS9_8equal_toIvEEsEE10hipError_tPvRmT2_T3_T4_T5_mT6_T7_P12ihipStream_tbENKUlT_T0_E_clISt17integral_constantIbLb1EES10_IbLb0EEEEDaSW_SX_EUlSW_E_NS1_11comp_targetILNS1_3genE0ELNS1_11target_archE4294967295ELNS1_3gpuE0ELNS1_3repE0EEENS1_30default_config_static_selectorELNS0_4arch9wavefront6targetE1EEEvT1_
    .private_segment_fixed_size: 0
    .sgpr_count:     6
    .sgpr_spill_count: 0
    .symbol:         _ZN7rocprim17ROCPRIM_400000_NS6detail17trampoline_kernelINS0_14default_configENS1_27scan_by_key_config_selectorIisEEZZNS1_16scan_by_key_implILNS1_25lookback_scan_determinismE0ELb0ES3_N6thrust23THRUST_200600_302600_NS6detail15normal_iteratorINS9_10device_ptrIiEEEENSB_INSC_IsEEEESG_sNS9_4plusIvEENS9_8equal_toIvEEsEE10hipError_tPvRmT2_T3_T4_T5_mT6_T7_P12ihipStream_tbENKUlT_T0_E_clISt17integral_constantIbLb1EES10_IbLb0EEEEDaSW_SX_EUlSW_E_NS1_11comp_targetILNS1_3genE0ELNS1_11target_archE4294967295ELNS1_3gpuE0ELNS1_3repE0EEENS1_30default_config_static_selectorELNS0_4arch9wavefront6targetE1EEEvT1_.kd
    .uniform_work_group_size: 1
    .uses_dynamic_stack: false
    .vgpr_count:     0
    .vgpr_spill_count: 0
    .wavefront_size: 64
  - .agpr_count:     0
    .args:
      - .offset:         0
        .size:           112
        .value_kind:     by_value
    .group_segment_fixed_size: 0
    .kernarg_segment_align: 8
    .kernarg_segment_size: 112
    .language:       OpenCL C
    .language_version:
      - 2
      - 0
    .max_flat_workgroup_size: 256
    .name:           _ZN7rocprim17ROCPRIM_400000_NS6detail17trampoline_kernelINS0_14default_configENS1_27scan_by_key_config_selectorIisEEZZNS1_16scan_by_key_implILNS1_25lookback_scan_determinismE0ELb0ES3_N6thrust23THRUST_200600_302600_NS6detail15normal_iteratorINS9_10device_ptrIiEEEENSB_INSC_IsEEEESG_sNS9_4plusIvEENS9_8equal_toIvEEsEE10hipError_tPvRmT2_T3_T4_T5_mT6_T7_P12ihipStream_tbENKUlT_T0_E_clISt17integral_constantIbLb1EES10_IbLb0EEEEDaSW_SX_EUlSW_E_NS1_11comp_targetILNS1_3genE10ELNS1_11target_archE1201ELNS1_3gpuE5ELNS1_3repE0EEENS1_30default_config_static_selectorELNS0_4arch9wavefront6targetE1EEEvT1_
    .private_segment_fixed_size: 0
    .sgpr_count:     6
    .sgpr_spill_count: 0
    .symbol:         _ZN7rocprim17ROCPRIM_400000_NS6detail17trampoline_kernelINS0_14default_configENS1_27scan_by_key_config_selectorIisEEZZNS1_16scan_by_key_implILNS1_25lookback_scan_determinismE0ELb0ES3_N6thrust23THRUST_200600_302600_NS6detail15normal_iteratorINS9_10device_ptrIiEEEENSB_INSC_IsEEEESG_sNS9_4plusIvEENS9_8equal_toIvEEsEE10hipError_tPvRmT2_T3_T4_T5_mT6_T7_P12ihipStream_tbENKUlT_T0_E_clISt17integral_constantIbLb1EES10_IbLb0EEEEDaSW_SX_EUlSW_E_NS1_11comp_targetILNS1_3genE10ELNS1_11target_archE1201ELNS1_3gpuE5ELNS1_3repE0EEENS1_30default_config_static_selectorELNS0_4arch9wavefront6targetE1EEEvT1_.kd
    .uniform_work_group_size: 1
    .uses_dynamic_stack: false
    .vgpr_count:     0
    .vgpr_spill_count: 0
    .wavefront_size: 64
  - .agpr_count:     0
    .args:
      - .offset:         0
        .size:           112
        .value_kind:     by_value
    .group_segment_fixed_size: 26624
    .kernarg_segment_align: 8
    .kernarg_segment_size: 112
    .language:       OpenCL C
    .language_version:
      - 2
      - 0
    .max_flat_workgroup_size: 256
    .name:           _ZN7rocprim17ROCPRIM_400000_NS6detail17trampoline_kernelINS0_14default_configENS1_27scan_by_key_config_selectorIisEEZZNS1_16scan_by_key_implILNS1_25lookback_scan_determinismE0ELb0ES3_N6thrust23THRUST_200600_302600_NS6detail15normal_iteratorINS9_10device_ptrIiEEEENSB_INSC_IsEEEESG_sNS9_4plusIvEENS9_8equal_toIvEEsEE10hipError_tPvRmT2_T3_T4_T5_mT6_T7_P12ihipStream_tbENKUlT_T0_E_clISt17integral_constantIbLb1EES10_IbLb0EEEEDaSW_SX_EUlSW_E_NS1_11comp_targetILNS1_3genE5ELNS1_11target_archE942ELNS1_3gpuE9ELNS1_3repE0EEENS1_30default_config_static_selectorELNS0_4arch9wavefront6targetE1EEEvT1_
    .private_segment_fixed_size: 0
    .sgpr_count:     90
    .sgpr_spill_count: 0
    .symbol:         _ZN7rocprim17ROCPRIM_400000_NS6detail17trampoline_kernelINS0_14default_configENS1_27scan_by_key_config_selectorIisEEZZNS1_16scan_by_key_implILNS1_25lookback_scan_determinismE0ELb0ES3_N6thrust23THRUST_200600_302600_NS6detail15normal_iteratorINS9_10device_ptrIiEEEENSB_INSC_IsEEEESG_sNS9_4plusIvEENS9_8equal_toIvEEsEE10hipError_tPvRmT2_T3_T4_T5_mT6_T7_P12ihipStream_tbENKUlT_T0_E_clISt17integral_constantIbLb1EES10_IbLb0EEEEDaSW_SX_EUlSW_E_NS1_11comp_targetILNS1_3genE5ELNS1_11target_archE942ELNS1_3gpuE9ELNS1_3repE0EEENS1_30default_config_static_selectorELNS0_4arch9wavefront6targetE1EEEvT1_.kd
    .uniform_work_group_size: 1
    .uses_dynamic_stack: false
    .vgpr_count:     62
    .vgpr_spill_count: 0
    .wavefront_size: 64
  - .agpr_count:     0
    .args:
      - .offset:         0
        .size:           112
        .value_kind:     by_value
    .group_segment_fixed_size: 0
    .kernarg_segment_align: 8
    .kernarg_segment_size: 112
    .language:       OpenCL C
    .language_version:
      - 2
      - 0
    .max_flat_workgroup_size: 64
    .name:           _ZN7rocprim17ROCPRIM_400000_NS6detail17trampoline_kernelINS0_14default_configENS1_27scan_by_key_config_selectorIisEEZZNS1_16scan_by_key_implILNS1_25lookback_scan_determinismE0ELb0ES3_N6thrust23THRUST_200600_302600_NS6detail15normal_iteratorINS9_10device_ptrIiEEEENSB_INSC_IsEEEESG_sNS9_4plusIvEENS9_8equal_toIvEEsEE10hipError_tPvRmT2_T3_T4_T5_mT6_T7_P12ihipStream_tbENKUlT_T0_E_clISt17integral_constantIbLb1EES10_IbLb0EEEEDaSW_SX_EUlSW_E_NS1_11comp_targetILNS1_3genE4ELNS1_11target_archE910ELNS1_3gpuE8ELNS1_3repE0EEENS1_30default_config_static_selectorELNS0_4arch9wavefront6targetE1EEEvT1_
    .private_segment_fixed_size: 0
    .sgpr_count:     6
    .sgpr_spill_count: 0
    .symbol:         _ZN7rocprim17ROCPRIM_400000_NS6detail17trampoline_kernelINS0_14default_configENS1_27scan_by_key_config_selectorIisEEZZNS1_16scan_by_key_implILNS1_25lookback_scan_determinismE0ELb0ES3_N6thrust23THRUST_200600_302600_NS6detail15normal_iteratorINS9_10device_ptrIiEEEENSB_INSC_IsEEEESG_sNS9_4plusIvEENS9_8equal_toIvEEsEE10hipError_tPvRmT2_T3_T4_T5_mT6_T7_P12ihipStream_tbENKUlT_T0_E_clISt17integral_constantIbLb1EES10_IbLb0EEEEDaSW_SX_EUlSW_E_NS1_11comp_targetILNS1_3genE4ELNS1_11target_archE910ELNS1_3gpuE8ELNS1_3repE0EEENS1_30default_config_static_selectorELNS0_4arch9wavefront6targetE1EEEvT1_.kd
    .uniform_work_group_size: 1
    .uses_dynamic_stack: false
    .vgpr_count:     0
    .vgpr_spill_count: 0
    .wavefront_size: 64
  - .agpr_count:     0
    .args:
      - .offset:         0
        .size:           112
        .value_kind:     by_value
    .group_segment_fixed_size: 0
    .kernarg_segment_align: 8
    .kernarg_segment_size: 112
    .language:       OpenCL C
    .language_version:
      - 2
      - 0
    .max_flat_workgroup_size: 256
    .name:           _ZN7rocprim17ROCPRIM_400000_NS6detail17trampoline_kernelINS0_14default_configENS1_27scan_by_key_config_selectorIisEEZZNS1_16scan_by_key_implILNS1_25lookback_scan_determinismE0ELb0ES3_N6thrust23THRUST_200600_302600_NS6detail15normal_iteratorINS9_10device_ptrIiEEEENSB_INSC_IsEEEESG_sNS9_4plusIvEENS9_8equal_toIvEEsEE10hipError_tPvRmT2_T3_T4_T5_mT6_T7_P12ihipStream_tbENKUlT_T0_E_clISt17integral_constantIbLb1EES10_IbLb0EEEEDaSW_SX_EUlSW_E_NS1_11comp_targetILNS1_3genE3ELNS1_11target_archE908ELNS1_3gpuE7ELNS1_3repE0EEENS1_30default_config_static_selectorELNS0_4arch9wavefront6targetE1EEEvT1_
    .private_segment_fixed_size: 0
    .sgpr_count:     6
    .sgpr_spill_count: 0
    .symbol:         _ZN7rocprim17ROCPRIM_400000_NS6detail17trampoline_kernelINS0_14default_configENS1_27scan_by_key_config_selectorIisEEZZNS1_16scan_by_key_implILNS1_25lookback_scan_determinismE0ELb0ES3_N6thrust23THRUST_200600_302600_NS6detail15normal_iteratorINS9_10device_ptrIiEEEENSB_INSC_IsEEEESG_sNS9_4plusIvEENS9_8equal_toIvEEsEE10hipError_tPvRmT2_T3_T4_T5_mT6_T7_P12ihipStream_tbENKUlT_T0_E_clISt17integral_constantIbLb1EES10_IbLb0EEEEDaSW_SX_EUlSW_E_NS1_11comp_targetILNS1_3genE3ELNS1_11target_archE908ELNS1_3gpuE7ELNS1_3repE0EEENS1_30default_config_static_selectorELNS0_4arch9wavefront6targetE1EEEvT1_.kd
    .uniform_work_group_size: 1
    .uses_dynamic_stack: false
    .vgpr_count:     0
    .vgpr_spill_count: 0
    .wavefront_size: 64
  - .agpr_count:     0
    .args:
      - .offset:         0
        .size:           112
        .value_kind:     by_value
    .group_segment_fixed_size: 0
    .kernarg_segment_align: 8
    .kernarg_segment_size: 112
    .language:       OpenCL C
    .language_version:
      - 2
      - 0
    .max_flat_workgroup_size: 64
    .name:           _ZN7rocprim17ROCPRIM_400000_NS6detail17trampoline_kernelINS0_14default_configENS1_27scan_by_key_config_selectorIisEEZZNS1_16scan_by_key_implILNS1_25lookback_scan_determinismE0ELb0ES3_N6thrust23THRUST_200600_302600_NS6detail15normal_iteratorINS9_10device_ptrIiEEEENSB_INSC_IsEEEESG_sNS9_4plusIvEENS9_8equal_toIvEEsEE10hipError_tPvRmT2_T3_T4_T5_mT6_T7_P12ihipStream_tbENKUlT_T0_E_clISt17integral_constantIbLb1EES10_IbLb0EEEEDaSW_SX_EUlSW_E_NS1_11comp_targetILNS1_3genE2ELNS1_11target_archE906ELNS1_3gpuE6ELNS1_3repE0EEENS1_30default_config_static_selectorELNS0_4arch9wavefront6targetE1EEEvT1_
    .private_segment_fixed_size: 0
    .sgpr_count:     6
    .sgpr_spill_count: 0
    .symbol:         _ZN7rocprim17ROCPRIM_400000_NS6detail17trampoline_kernelINS0_14default_configENS1_27scan_by_key_config_selectorIisEEZZNS1_16scan_by_key_implILNS1_25lookback_scan_determinismE0ELb0ES3_N6thrust23THRUST_200600_302600_NS6detail15normal_iteratorINS9_10device_ptrIiEEEENSB_INSC_IsEEEESG_sNS9_4plusIvEENS9_8equal_toIvEEsEE10hipError_tPvRmT2_T3_T4_T5_mT6_T7_P12ihipStream_tbENKUlT_T0_E_clISt17integral_constantIbLb1EES10_IbLb0EEEEDaSW_SX_EUlSW_E_NS1_11comp_targetILNS1_3genE2ELNS1_11target_archE906ELNS1_3gpuE6ELNS1_3repE0EEENS1_30default_config_static_selectorELNS0_4arch9wavefront6targetE1EEEvT1_.kd
    .uniform_work_group_size: 1
    .uses_dynamic_stack: false
    .vgpr_count:     0
    .vgpr_spill_count: 0
    .wavefront_size: 64
  - .agpr_count:     0
    .args:
      - .offset:         0
        .size:           112
        .value_kind:     by_value
    .group_segment_fixed_size: 0
    .kernarg_segment_align: 8
    .kernarg_segment_size: 112
    .language:       OpenCL C
    .language_version:
      - 2
      - 0
    .max_flat_workgroup_size: 256
    .name:           _ZN7rocprim17ROCPRIM_400000_NS6detail17trampoline_kernelINS0_14default_configENS1_27scan_by_key_config_selectorIisEEZZNS1_16scan_by_key_implILNS1_25lookback_scan_determinismE0ELb0ES3_N6thrust23THRUST_200600_302600_NS6detail15normal_iteratorINS9_10device_ptrIiEEEENSB_INSC_IsEEEESG_sNS9_4plusIvEENS9_8equal_toIvEEsEE10hipError_tPvRmT2_T3_T4_T5_mT6_T7_P12ihipStream_tbENKUlT_T0_E_clISt17integral_constantIbLb1EES10_IbLb0EEEEDaSW_SX_EUlSW_E_NS1_11comp_targetILNS1_3genE10ELNS1_11target_archE1200ELNS1_3gpuE4ELNS1_3repE0EEENS1_30default_config_static_selectorELNS0_4arch9wavefront6targetE1EEEvT1_
    .private_segment_fixed_size: 0
    .sgpr_count:     6
    .sgpr_spill_count: 0
    .symbol:         _ZN7rocprim17ROCPRIM_400000_NS6detail17trampoline_kernelINS0_14default_configENS1_27scan_by_key_config_selectorIisEEZZNS1_16scan_by_key_implILNS1_25lookback_scan_determinismE0ELb0ES3_N6thrust23THRUST_200600_302600_NS6detail15normal_iteratorINS9_10device_ptrIiEEEENSB_INSC_IsEEEESG_sNS9_4plusIvEENS9_8equal_toIvEEsEE10hipError_tPvRmT2_T3_T4_T5_mT6_T7_P12ihipStream_tbENKUlT_T0_E_clISt17integral_constantIbLb1EES10_IbLb0EEEEDaSW_SX_EUlSW_E_NS1_11comp_targetILNS1_3genE10ELNS1_11target_archE1200ELNS1_3gpuE4ELNS1_3repE0EEENS1_30default_config_static_selectorELNS0_4arch9wavefront6targetE1EEEvT1_.kd
    .uniform_work_group_size: 1
    .uses_dynamic_stack: false
    .vgpr_count:     0
    .vgpr_spill_count: 0
    .wavefront_size: 64
  - .agpr_count:     0
    .args:
      - .offset:         0
        .size:           112
        .value_kind:     by_value
    .group_segment_fixed_size: 0
    .kernarg_segment_align: 8
    .kernarg_segment_size: 112
    .language:       OpenCL C
    .language_version:
      - 2
      - 0
    .max_flat_workgroup_size: 64
    .name:           _ZN7rocprim17ROCPRIM_400000_NS6detail17trampoline_kernelINS0_14default_configENS1_27scan_by_key_config_selectorIisEEZZNS1_16scan_by_key_implILNS1_25lookback_scan_determinismE0ELb0ES3_N6thrust23THRUST_200600_302600_NS6detail15normal_iteratorINS9_10device_ptrIiEEEENSB_INSC_IsEEEESG_sNS9_4plusIvEENS9_8equal_toIvEEsEE10hipError_tPvRmT2_T3_T4_T5_mT6_T7_P12ihipStream_tbENKUlT_T0_E_clISt17integral_constantIbLb1EES10_IbLb0EEEEDaSW_SX_EUlSW_E_NS1_11comp_targetILNS1_3genE9ELNS1_11target_archE1100ELNS1_3gpuE3ELNS1_3repE0EEENS1_30default_config_static_selectorELNS0_4arch9wavefront6targetE1EEEvT1_
    .private_segment_fixed_size: 0
    .sgpr_count:     6
    .sgpr_spill_count: 0
    .symbol:         _ZN7rocprim17ROCPRIM_400000_NS6detail17trampoline_kernelINS0_14default_configENS1_27scan_by_key_config_selectorIisEEZZNS1_16scan_by_key_implILNS1_25lookback_scan_determinismE0ELb0ES3_N6thrust23THRUST_200600_302600_NS6detail15normal_iteratorINS9_10device_ptrIiEEEENSB_INSC_IsEEEESG_sNS9_4plusIvEENS9_8equal_toIvEEsEE10hipError_tPvRmT2_T3_T4_T5_mT6_T7_P12ihipStream_tbENKUlT_T0_E_clISt17integral_constantIbLb1EES10_IbLb0EEEEDaSW_SX_EUlSW_E_NS1_11comp_targetILNS1_3genE9ELNS1_11target_archE1100ELNS1_3gpuE3ELNS1_3repE0EEENS1_30default_config_static_selectorELNS0_4arch9wavefront6targetE1EEEvT1_.kd
    .uniform_work_group_size: 1
    .uses_dynamic_stack: false
    .vgpr_count:     0
    .vgpr_spill_count: 0
    .wavefront_size: 64
  - .agpr_count:     0
    .args:
      - .offset:         0
        .size:           112
        .value_kind:     by_value
    .group_segment_fixed_size: 0
    .kernarg_segment_align: 8
    .kernarg_segment_size: 112
    .language:       OpenCL C
    .language_version:
      - 2
      - 0
    .max_flat_workgroup_size: 64
    .name:           _ZN7rocprim17ROCPRIM_400000_NS6detail17trampoline_kernelINS0_14default_configENS1_27scan_by_key_config_selectorIisEEZZNS1_16scan_by_key_implILNS1_25lookback_scan_determinismE0ELb0ES3_N6thrust23THRUST_200600_302600_NS6detail15normal_iteratorINS9_10device_ptrIiEEEENSB_INSC_IsEEEESG_sNS9_4plusIvEENS9_8equal_toIvEEsEE10hipError_tPvRmT2_T3_T4_T5_mT6_T7_P12ihipStream_tbENKUlT_T0_E_clISt17integral_constantIbLb1EES10_IbLb0EEEEDaSW_SX_EUlSW_E_NS1_11comp_targetILNS1_3genE8ELNS1_11target_archE1030ELNS1_3gpuE2ELNS1_3repE0EEENS1_30default_config_static_selectorELNS0_4arch9wavefront6targetE1EEEvT1_
    .private_segment_fixed_size: 0
    .sgpr_count:     6
    .sgpr_spill_count: 0
    .symbol:         _ZN7rocprim17ROCPRIM_400000_NS6detail17trampoline_kernelINS0_14default_configENS1_27scan_by_key_config_selectorIisEEZZNS1_16scan_by_key_implILNS1_25lookback_scan_determinismE0ELb0ES3_N6thrust23THRUST_200600_302600_NS6detail15normal_iteratorINS9_10device_ptrIiEEEENSB_INSC_IsEEEESG_sNS9_4plusIvEENS9_8equal_toIvEEsEE10hipError_tPvRmT2_T3_T4_T5_mT6_T7_P12ihipStream_tbENKUlT_T0_E_clISt17integral_constantIbLb1EES10_IbLb0EEEEDaSW_SX_EUlSW_E_NS1_11comp_targetILNS1_3genE8ELNS1_11target_archE1030ELNS1_3gpuE2ELNS1_3repE0EEENS1_30default_config_static_selectorELNS0_4arch9wavefront6targetE1EEEvT1_.kd
    .uniform_work_group_size: 1
    .uses_dynamic_stack: false
    .vgpr_count:     0
    .vgpr_spill_count: 0
    .wavefront_size: 64
  - .agpr_count:     0
    .args:
      - .address_space:  global
        .offset:         0
        .size:           8
        .value_kind:     global_buffer
      - .offset:         8
        .size:           4
        .value_kind:     by_value
      - .offset:         12
        .size:           4
        .value_kind:     by_value
      - .address_space:  global
        .offset:         16
        .size:           8
        .value_kind:     global_buffer
      - .address_space:  global
        .offset:         24
        .size:           8
        .value_kind:     global_buffer
      - .actual_access:  write_only
        .address_space:  global
        .offset:         32
        .size:           8
        .value_kind:     global_buffer
      - .offset:         40
        .size:           8
        .value_kind:     by_value
      - .offset:         48
        .size:           4
        .value_kind:     by_value
      - .address_space:  global
        .offset:         56
        .size:           8
        .value_kind:     global_buffer
      - .offset:         64
        .size:           4
        .value_kind:     hidden_block_count_x
      - .offset:         68
        .size:           4
        .value_kind:     hidden_block_count_y
      - .offset:         72
        .size:           4
        .value_kind:     hidden_block_count_z
      - .offset:         76
        .size:           2
        .value_kind:     hidden_group_size_x
      - .offset:         78
        .size:           2
        .value_kind:     hidden_group_size_y
      - .offset:         80
        .size:           2
        .value_kind:     hidden_group_size_z
      - .offset:         82
        .size:           2
        .value_kind:     hidden_remainder_x
      - .offset:         84
        .size:           2
        .value_kind:     hidden_remainder_y
      - .offset:         86
        .size:           2
        .value_kind:     hidden_remainder_z
      - .offset:         104
        .size:           8
        .value_kind:     hidden_global_offset_x
      - .offset:         112
        .size:           8
        .value_kind:     hidden_global_offset_y
      - .offset:         120
        .size:           8
        .value_kind:     hidden_global_offset_z
      - .offset:         128
        .size:           2
        .value_kind:     hidden_grid_dims
    .group_segment_fixed_size: 0
    .kernarg_segment_align: 8
    .kernarg_segment_size: 320
    .language:       OpenCL C
    .language_version:
      - 2
      - 0
    .max_flat_workgroup_size: 256
    .name:           _ZN7rocprim17ROCPRIM_400000_NS6detail30init_device_scan_by_key_kernelINS1_19lookback_scan_stateINS0_5tupleIJsbEEELb0ELb1EEEN6thrust23THRUST_200600_302600_NS6detail15normal_iteratorINS8_10device_ptrIiEEEEjNS1_16block_id_wrapperIjLb1EEEEEvT_jjPNSG_10value_typeET0_PNSt15iterator_traitsISJ_E10value_typeEmT1_T2_
    .private_segment_fixed_size: 0
    .sgpr_count:     22
    .sgpr_spill_count: 0
    .symbol:         _ZN7rocprim17ROCPRIM_400000_NS6detail30init_device_scan_by_key_kernelINS1_19lookback_scan_stateINS0_5tupleIJsbEEELb0ELb1EEEN6thrust23THRUST_200600_302600_NS6detail15normal_iteratorINS8_10device_ptrIiEEEEjNS1_16block_id_wrapperIjLb1EEEEEvT_jjPNSG_10value_typeET0_PNSt15iterator_traitsISJ_E10value_typeEmT1_T2_.kd
    .uniform_work_group_size: 1
    .uses_dynamic_stack: false
    .vgpr_count:     7
    .vgpr_spill_count: 0
    .wavefront_size: 64
  - .agpr_count:     0
    .args:
      - .offset:         0
        .size:           112
        .value_kind:     by_value
    .group_segment_fixed_size: 0
    .kernarg_segment_align: 8
    .kernarg_segment_size: 112
    .language:       OpenCL C
    .language_version:
      - 2
      - 0
    .max_flat_workgroup_size: 256
    .name:           _ZN7rocprim17ROCPRIM_400000_NS6detail17trampoline_kernelINS0_14default_configENS1_27scan_by_key_config_selectorIisEEZZNS1_16scan_by_key_implILNS1_25lookback_scan_determinismE0ELb0ES3_N6thrust23THRUST_200600_302600_NS6detail15normal_iteratorINS9_10device_ptrIiEEEENSB_INSC_IsEEEESG_sNS9_4plusIvEENS9_8equal_toIvEEsEE10hipError_tPvRmT2_T3_T4_T5_mT6_T7_P12ihipStream_tbENKUlT_T0_E_clISt17integral_constantIbLb0EES10_IbLb1EEEEDaSW_SX_EUlSW_E_NS1_11comp_targetILNS1_3genE0ELNS1_11target_archE4294967295ELNS1_3gpuE0ELNS1_3repE0EEENS1_30default_config_static_selectorELNS0_4arch9wavefront6targetE1EEEvT1_
    .private_segment_fixed_size: 0
    .sgpr_count:     6
    .sgpr_spill_count: 0
    .symbol:         _ZN7rocprim17ROCPRIM_400000_NS6detail17trampoline_kernelINS0_14default_configENS1_27scan_by_key_config_selectorIisEEZZNS1_16scan_by_key_implILNS1_25lookback_scan_determinismE0ELb0ES3_N6thrust23THRUST_200600_302600_NS6detail15normal_iteratorINS9_10device_ptrIiEEEENSB_INSC_IsEEEESG_sNS9_4plusIvEENS9_8equal_toIvEEsEE10hipError_tPvRmT2_T3_T4_T5_mT6_T7_P12ihipStream_tbENKUlT_T0_E_clISt17integral_constantIbLb0EES10_IbLb1EEEEDaSW_SX_EUlSW_E_NS1_11comp_targetILNS1_3genE0ELNS1_11target_archE4294967295ELNS1_3gpuE0ELNS1_3repE0EEENS1_30default_config_static_selectorELNS0_4arch9wavefront6targetE1EEEvT1_.kd
    .uniform_work_group_size: 1
    .uses_dynamic_stack: false
    .vgpr_count:     0
    .vgpr_spill_count: 0
    .wavefront_size: 64
  - .agpr_count:     0
    .args:
      - .offset:         0
        .size:           112
        .value_kind:     by_value
    .group_segment_fixed_size: 0
    .kernarg_segment_align: 8
    .kernarg_segment_size: 112
    .language:       OpenCL C
    .language_version:
      - 2
      - 0
    .max_flat_workgroup_size: 256
    .name:           _ZN7rocprim17ROCPRIM_400000_NS6detail17trampoline_kernelINS0_14default_configENS1_27scan_by_key_config_selectorIisEEZZNS1_16scan_by_key_implILNS1_25lookback_scan_determinismE0ELb0ES3_N6thrust23THRUST_200600_302600_NS6detail15normal_iteratorINS9_10device_ptrIiEEEENSB_INSC_IsEEEESG_sNS9_4plusIvEENS9_8equal_toIvEEsEE10hipError_tPvRmT2_T3_T4_T5_mT6_T7_P12ihipStream_tbENKUlT_T0_E_clISt17integral_constantIbLb0EES10_IbLb1EEEEDaSW_SX_EUlSW_E_NS1_11comp_targetILNS1_3genE10ELNS1_11target_archE1201ELNS1_3gpuE5ELNS1_3repE0EEENS1_30default_config_static_selectorELNS0_4arch9wavefront6targetE1EEEvT1_
    .private_segment_fixed_size: 0
    .sgpr_count:     6
    .sgpr_spill_count: 0
    .symbol:         _ZN7rocprim17ROCPRIM_400000_NS6detail17trampoline_kernelINS0_14default_configENS1_27scan_by_key_config_selectorIisEEZZNS1_16scan_by_key_implILNS1_25lookback_scan_determinismE0ELb0ES3_N6thrust23THRUST_200600_302600_NS6detail15normal_iteratorINS9_10device_ptrIiEEEENSB_INSC_IsEEEESG_sNS9_4plusIvEENS9_8equal_toIvEEsEE10hipError_tPvRmT2_T3_T4_T5_mT6_T7_P12ihipStream_tbENKUlT_T0_E_clISt17integral_constantIbLb0EES10_IbLb1EEEEDaSW_SX_EUlSW_E_NS1_11comp_targetILNS1_3genE10ELNS1_11target_archE1201ELNS1_3gpuE5ELNS1_3repE0EEENS1_30default_config_static_selectorELNS0_4arch9wavefront6targetE1EEEvT1_.kd
    .uniform_work_group_size: 1
    .uses_dynamic_stack: false
    .vgpr_count:     0
    .vgpr_spill_count: 0
    .wavefront_size: 64
  - .agpr_count:     0
    .args:
      - .offset:         0
        .size:           112
        .value_kind:     by_value
    .group_segment_fixed_size: 26624
    .kernarg_segment_align: 8
    .kernarg_segment_size: 112
    .language:       OpenCL C
    .language_version:
      - 2
      - 0
    .max_flat_workgroup_size: 256
    .name:           _ZN7rocprim17ROCPRIM_400000_NS6detail17trampoline_kernelINS0_14default_configENS1_27scan_by_key_config_selectorIisEEZZNS1_16scan_by_key_implILNS1_25lookback_scan_determinismE0ELb0ES3_N6thrust23THRUST_200600_302600_NS6detail15normal_iteratorINS9_10device_ptrIiEEEENSB_INSC_IsEEEESG_sNS9_4plusIvEENS9_8equal_toIvEEsEE10hipError_tPvRmT2_T3_T4_T5_mT6_T7_P12ihipStream_tbENKUlT_T0_E_clISt17integral_constantIbLb0EES10_IbLb1EEEEDaSW_SX_EUlSW_E_NS1_11comp_targetILNS1_3genE5ELNS1_11target_archE942ELNS1_3gpuE9ELNS1_3repE0EEENS1_30default_config_static_selectorELNS0_4arch9wavefront6targetE1EEEvT1_
    .private_segment_fixed_size: 0
    .sgpr_count:     93
    .sgpr_spill_count: 0
    .symbol:         _ZN7rocprim17ROCPRIM_400000_NS6detail17trampoline_kernelINS0_14default_configENS1_27scan_by_key_config_selectorIisEEZZNS1_16scan_by_key_implILNS1_25lookback_scan_determinismE0ELb0ES3_N6thrust23THRUST_200600_302600_NS6detail15normal_iteratorINS9_10device_ptrIiEEEENSB_INSC_IsEEEESG_sNS9_4plusIvEENS9_8equal_toIvEEsEE10hipError_tPvRmT2_T3_T4_T5_mT6_T7_P12ihipStream_tbENKUlT_T0_E_clISt17integral_constantIbLb0EES10_IbLb1EEEEDaSW_SX_EUlSW_E_NS1_11comp_targetILNS1_3genE5ELNS1_11target_archE942ELNS1_3gpuE9ELNS1_3repE0EEENS1_30default_config_static_selectorELNS0_4arch9wavefront6targetE1EEEvT1_.kd
    .uniform_work_group_size: 1
    .uses_dynamic_stack: false
    .vgpr_count:     62
    .vgpr_spill_count: 0
    .wavefront_size: 64
  - .agpr_count:     0
    .args:
      - .offset:         0
        .size:           112
        .value_kind:     by_value
    .group_segment_fixed_size: 0
    .kernarg_segment_align: 8
    .kernarg_segment_size: 112
    .language:       OpenCL C
    .language_version:
      - 2
      - 0
    .max_flat_workgroup_size: 64
    .name:           _ZN7rocprim17ROCPRIM_400000_NS6detail17trampoline_kernelINS0_14default_configENS1_27scan_by_key_config_selectorIisEEZZNS1_16scan_by_key_implILNS1_25lookback_scan_determinismE0ELb0ES3_N6thrust23THRUST_200600_302600_NS6detail15normal_iteratorINS9_10device_ptrIiEEEENSB_INSC_IsEEEESG_sNS9_4plusIvEENS9_8equal_toIvEEsEE10hipError_tPvRmT2_T3_T4_T5_mT6_T7_P12ihipStream_tbENKUlT_T0_E_clISt17integral_constantIbLb0EES10_IbLb1EEEEDaSW_SX_EUlSW_E_NS1_11comp_targetILNS1_3genE4ELNS1_11target_archE910ELNS1_3gpuE8ELNS1_3repE0EEENS1_30default_config_static_selectorELNS0_4arch9wavefront6targetE1EEEvT1_
    .private_segment_fixed_size: 0
    .sgpr_count:     6
    .sgpr_spill_count: 0
    .symbol:         _ZN7rocprim17ROCPRIM_400000_NS6detail17trampoline_kernelINS0_14default_configENS1_27scan_by_key_config_selectorIisEEZZNS1_16scan_by_key_implILNS1_25lookback_scan_determinismE0ELb0ES3_N6thrust23THRUST_200600_302600_NS6detail15normal_iteratorINS9_10device_ptrIiEEEENSB_INSC_IsEEEESG_sNS9_4plusIvEENS9_8equal_toIvEEsEE10hipError_tPvRmT2_T3_T4_T5_mT6_T7_P12ihipStream_tbENKUlT_T0_E_clISt17integral_constantIbLb0EES10_IbLb1EEEEDaSW_SX_EUlSW_E_NS1_11comp_targetILNS1_3genE4ELNS1_11target_archE910ELNS1_3gpuE8ELNS1_3repE0EEENS1_30default_config_static_selectorELNS0_4arch9wavefront6targetE1EEEvT1_.kd
    .uniform_work_group_size: 1
    .uses_dynamic_stack: false
    .vgpr_count:     0
    .vgpr_spill_count: 0
    .wavefront_size: 64
  - .agpr_count:     0
    .args:
      - .offset:         0
        .size:           112
        .value_kind:     by_value
    .group_segment_fixed_size: 0
    .kernarg_segment_align: 8
    .kernarg_segment_size: 112
    .language:       OpenCL C
    .language_version:
      - 2
      - 0
    .max_flat_workgroup_size: 256
    .name:           _ZN7rocprim17ROCPRIM_400000_NS6detail17trampoline_kernelINS0_14default_configENS1_27scan_by_key_config_selectorIisEEZZNS1_16scan_by_key_implILNS1_25lookback_scan_determinismE0ELb0ES3_N6thrust23THRUST_200600_302600_NS6detail15normal_iteratorINS9_10device_ptrIiEEEENSB_INSC_IsEEEESG_sNS9_4plusIvEENS9_8equal_toIvEEsEE10hipError_tPvRmT2_T3_T4_T5_mT6_T7_P12ihipStream_tbENKUlT_T0_E_clISt17integral_constantIbLb0EES10_IbLb1EEEEDaSW_SX_EUlSW_E_NS1_11comp_targetILNS1_3genE3ELNS1_11target_archE908ELNS1_3gpuE7ELNS1_3repE0EEENS1_30default_config_static_selectorELNS0_4arch9wavefront6targetE1EEEvT1_
    .private_segment_fixed_size: 0
    .sgpr_count:     6
    .sgpr_spill_count: 0
    .symbol:         _ZN7rocprim17ROCPRIM_400000_NS6detail17trampoline_kernelINS0_14default_configENS1_27scan_by_key_config_selectorIisEEZZNS1_16scan_by_key_implILNS1_25lookback_scan_determinismE0ELb0ES3_N6thrust23THRUST_200600_302600_NS6detail15normal_iteratorINS9_10device_ptrIiEEEENSB_INSC_IsEEEESG_sNS9_4plusIvEENS9_8equal_toIvEEsEE10hipError_tPvRmT2_T3_T4_T5_mT6_T7_P12ihipStream_tbENKUlT_T0_E_clISt17integral_constantIbLb0EES10_IbLb1EEEEDaSW_SX_EUlSW_E_NS1_11comp_targetILNS1_3genE3ELNS1_11target_archE908ELNS1_3gpuE7ELNS1_3repE0EEENS1_30default_config_static_selectorELNS0_4arch9wavefront6targetE1EEEvT1_.kd
    .uniform_work_group_size: 1
    .uses_dynamic_stack: false
    .vgpr_count:     0
    .vgpr_spill_count: 0
    .wavefront_size: 64
  - .agpr_count:     0
    .args:
      - .offset:         0
        .size:           112
        .value_kind:     by_value
    .group_segment_fixed_size: 0
    .kernarg_segment_align: 8
    .kernarg_segment_size: 112
    .language:       OpenCL C
    .language_version:
      - 2
      - 0
    .max_flat_workgroup_size: 64
    .name:           _ZN7rocprim17ROCPRIM_400000_NS6detail17trampoline_kernelINS0_14default_configENS1_27scan_by_key_config_selectorIisEEZZNS1_16scan_by_key_implILNS1_25lookback_scan_determinismE0ELb0ES3_N6thrust23THRUST_200600_302600_NS6detail15normal_iteratorINS9_10device_ptrIiEEEENSB_INSC_IsEEEESG_sNS9_4plusIvEENS9_8equal_toIvEEsEE10hipError_tPvRmT2_T3_T4_T5_mT6_T7_P12ihipStream_tbENKUlT_T0_E_clISt17integral_constantIbLb0EES10_IbLb1EEEEDaSW_SX_EUlSW_E_NS1_11comp_targetILNS1_3genE2ELNS1_11target_archE906ELNS1_3gpuE6ELNS1_3repE0EEENS1_30default_config_static_selectorELNS0_4arch9wavefront6targetE1EEEvT1_
    .private_segment_fixed_size: 0
    .sgpr_count:     6
    .sgpr_spill_count: 0
    .symbol:         _ZN7rocprim17ROCPRIM_400000_NS6detail17trampoline_kernelINS0_14default_configENS1_27scan_by_key_config_selectorIisEEZZNS1_16scan_by_key_implILNS1_25lookback_scan_determinismE0ELb0ES3_N6thrust23THRUST_200600_302600_NS6detail15normal_iteratorINS9_10device_ptrIiEEEENSB_INSC_IsEEEESG_sNS9_4plusIvEENS9_8equal_toIvEEsEE10hipError_tPvRmT2_T3_T4_T5_mT6_T7_P12ihipStream_tbENKUlT_T0_E_clISt17integral_constantIbLb0EES10_IbLb1EEEEDaSW_SX_EUlSW_E_NS1_11comp_targetILNS1_3genE2ELNS1_11target_archE906ELNS1_3gpuE6ELNS1_3repE0EEENS1_30default_config_static_selectorELNS0_4arch9wavefront6targetE1EEEvT1_.kd
    .uniform_work_group_size: 1
    .uses_dynamic_stack: false
    .vgpr_count:     0
    .vgpr_spill_count: 0
    .wavefront_size: 64
  - .agpr_count:     0
    .args:
      - .offset:         0
        .size:           112
        .value_kind:     by_value
    .group_segment_fixed_size: 0
    .kernarg_segment_align: 8
    .kernarg_segment_size: 112
    .language:       OpenCL C
    .language_version:
      - 2
      - 0
    .max_flat_workgroup_size: 256
    .name:           _ZN7rocprim17ROCPRIM_400000_NS6detail17trampoline_kernelINS0_14default_configENS1_27scan_by_key_config_selectorIisEEZZNS1_16scan_by_key_implILNS1_25lookback_scan_determinismE0ELb0ES3_N6thrust23THRUST_200600_302600_NS6detail15normal_iteratorINS9_10device_ptrIiEEEENSB_INSC_IsEEEESG_sNS9_4plusIvEENS9_8equal_toIvEEsEE10hipError_tPvRmT2_T3_T4_T5_mT6_T7_P12ihipStream_tbENKUlT_T0_E_clISt17integral_constantIbLb0EES10_IbLb1EEEEDaSW_SX_EUlSW_E_NS1_11comp_targetILNS1_3genE10ELNS1_11target_archE1200ELNS1_3gpuE4ELNS1_3repE0EEENS1_30default_config_static_selectorELNS0_4arch9wavefront6targetE1EEEvT1_
    .private_segment_fixed_size: 0
    .sgpr_count:     6
    .sgpr_spill_count: 0
    .symbol:         _ZN7rocprim17ROCPRIM_400000_NS6detail17trampoline_kernelINS0_14default_configENS1_27scan_by_key_config_selectorIisEEZZNS1_16scan_by_key_implILNS1_25lookback_scan_determinismE0ELb0ES3_N6thrust23THRUST_200600_302600_NS6detail15normal_iteratorINS9_10device_ptrIiEEEENSB_INSC_IsEEEESG_sNS9_4plusIvEENS9_8equal_toIvEEsEE10hipError_tPvRmT2_T3_T4_T5_mT6_T7_P12ihipStream_tbENKUlT_T0_E_clISt17integral_constantIbLb0EES10_IbLb1EEEEDaSW_SX_EUlSW_E_NS1_11comp_targetILNS1_3genE10ELNS1_11target_archE1200ELNS1_3gpuE4ELNS1_3repE0EEENS1_30default_config_static_selectorELNS0_4arch9wavefront6targetE1EEEvT1_.kd
    .uniform_work_group_size: 1
    .uses_dynamic_stack: false
    .vgpr_count:     0
    .vgpr_spill_count: 0
    .wavefront_size: 64
  - .agpr_count:     0
    .args:
      - .offset:         0
        .size:           112
        .value_kind:     by_value
    .group_segment_fixed_size: 0
    .kernarg_segment_align: 8
    .kernarg_segment_size: 112
    .language:       OpenCL C
    .language_version:
      - 2
      - 0
    .max_flat_workgroup_size: 64
    .name:           _ZN7rocprim17ROCPRIM_400000_NS6detail17trampoline_kernelINS0_14default_configENS1_27scan_by_key_config_selectorIisEEZZNS1_16scan_by_key_implILNS1_25lookback_scan_determinismE0ELb0ES3_N6thrust23THRUST_200600_302600_NS6detail15normal_iteratorINS9_10device_ptrIiEEEENSB_INSC_IsEEEESG_sNS9_4plusIvEENS9_8equal_toIvEEsEE10hipError_tPvRmT2_T3_T4_T5_mT6_T7_P12ihipStream_tbENKUlT_T0_E_clISt17integral_constantIbLb0EES10_IbLb1EEEEDaSW_SX_EUlSW_E_NS1_11comp_targetILNS1_3genE9ELNS1_11target_archE1100ELNS1_3gpuE3ELNS1_3repE0EEENS1_30default_config_static_selectorELNS0_4arch9wavefront6targetE1EEEvT1_
    .private_segment_fixed_size: 0
    .sgpr_count:     6
    .sgpr_spill_count: 0
    .symbol:         _ZN7rocprim17ROCPRIM_400000_NS6detail17trampoline_kernelINS0_14default_configENS1_27scan_by_key_config_selectorIisEEZZNS1_16scan_by_key_implILNS1_25lookback_scan_determinismE0ELb0ES3_N6thrust23THRUST_200600_302600_NS6detail15normal_iteratorINS9_10device_ptrIiEEEENSB_INSC_IsEEEESG_sNS9_4plusIvEENS9_8equal_toIvEEsEE10hipError_tPvRmT2_T3_T4_T5_mT6_T7_P12ihipStream_tbENKUlT_T0_E_clISt17integral_constantIbLb0EES10_IbLb1EEEEDaSW_SX_EUlSW_E_NS1_11comp_targetILNS1_3genE9ELNS1_11target_archE1100ELNS1_3gpuE3ELNS1_3repE0EEENS1_30default_config_static_selectorELNS0_4arch9wavefront6targetE1EEEvT1_.kd
    .uniform_work_group_size: 1
    .uses_dynamic_stack: false
    .vgpr_count:     0
    .vgpr_spill_count: 0
    .wavefront_size: 64
  - .agpr_count:     0
    .args:
      - .offset:         0
        .size:           112
        .value_kind:     by_value
    .group_segment_fixed_size: 0
    .kernarg_segment_align: 8
    .kernarg_segment_size: 112
    .language:       OpenCL C
    .language_version:
      - 2
      - 0
    .max_flat_workgroup_size: 64
    .name:           _ZN7rocprim17ROCPRIM_400000_NS6detail17trampoline_kernelINS0_14default_configENS1_27scan_by_key_config_selectorIisEEZZNS1_16scan_by_key_implILNS1_25lookback_scan_determinismE0ELb0ES3_N6thrust23THRUST_200600_302600_NS6detail15normal_iteratorINS9_10device_ptrIiEEEENSB_INSC_IsEEEESG_sNS9_4plusIvEENS9_8equal_toIvEEsEE10hipError_tPvRmT2_T3_T4_T5_mT6_T7_P12ihipStream_tbENKUlT_T0_E_clISt17integral_constantIbLb0EES10_IbLb1EEEEDaSW_SX_EUlSW_E_NS1_11comp_targetILNS1_3genE8ELNS1_11target_archE1030ELNS1_3gpuE2ELNS1_3repE0EEENS1_30default_config_static_selectorELNS0_4arch9wavefront6targetE1EEEvT1_
    .private_segment_fixed_size: 0
    .sgpr_count:     6
    .sgpr_spill_count: 0
    .symbol:         _ZN7rocprim17ROCPRIM_400000_NS6detail17trampoline_kernelINS0_14default_configENS1_27scan_by_key_config_selectorIisEEZZNS1_16scan_by_key_implILNS1_25lookback_scan_determinismE0ELb0ES3_N6thrust23THRUST_200600_302600_NS6detail15normal_iteratorINS9_10device_ptrIiEEEENSB_INSC_IsEEEESG_sNS9_4plusIvEENS9_8equal_toIvEEsEE10hipError_tPvRmT2_T3_T4_T5_mT6_T7_P12ihipStream_tbENKUlT_T0_E_clISt17integral_constantIbLb0EES10_IbLb1EEEEDaSW_SX_EUlSW_E_NS1_11comp_targetILNS1_3genE8ELNS1_11target_archE1030ELNS1_3gpuE2ELNS1_3repE0EEENS1_30default_config_static_selectorELNS0_4arch9wavefront6targetE1EEEvT1_.kd
    .uniform_work_group_size: 1
    .uses_dynamic_stack: false
    .vgpr_count:     0
    .vgpr_spill_count: 0
    .wavefront_size: 64
  - .agpr_count:     0
    .args:
      - .offset:         0
        .size:           136
        .value_kind:     by_value
    .group_segment_fixed_size: 0
    .kernarg_segment_align: 8
    .kernarg_segment_size: 136
    .language:       OpenCL C
    .language_version:
      - 2
      - 0
    .max_flat_workgroup_size: 128
    .name:           _ZN7rocprim17ROCPRIM_400000_NS6detail17trampoline_kernelINS0_14default_configENS1_27scan_by_key_config_selectorIidEEZZNS1_16scan_by_key_implILNS1_25lookback_scan_determinismE0ELb1ES3_N6thrust23THRUST_200600_302600_NS6detail15normal_iteratorINS9_10device_ptrIiEEEENSB_INSC_IdEEEESG_dNS9_4plusIvEENS9_8equal_toIvEEdEE10hipError_tPvRmT2_T3_T4_T5_mT6_T7_P12ihipStream_tbENKUlT_T0_E_clISt17integral_constantIbLb0EES11_EEDaSW_SX_EUlSW_E_NS1_11comp_targetILNS1_3genE0ELNS1_11target_archE4294967295ELNS1_3gpuE0ELNS1_3repE0EEENS1_30default_config_static_selectorELNS0_4arch9wavefront6targetE1EEEvT1_
    .private_segment_fixed_size: 0
    .sgpr_count:     6
    .sgpr_spill_count: 0
    .symbol:         _ZN7rocprim17ROCPRIM_400000_NS6detail17trampoline_kernelINS0_14default_configENS1_27scan_by_key_config_selectorIidEEZZNS1_16scan_by_key_implILNS1_25lookback_scan_determinismE0ELb1ES3_N6thrust23THRUST_200600_302600_NS6detail15normal_iteratorINS9_10device_ptrIiEEEENSB_INSC_IdEEEESG_dNS9_4plusIvEENS9_8equal_toIvEEdEE10hipError_tPvRmT2_T3_T4_T5_mT6_T7_P12ihipStream_tbENKUlT_T0_E_clISt17integral_constantIbLb0EES11_EEDaSW_SX_EUlSW_E_NS1_11comp_targetILNS1_3genE0ELNS1_11target_archE4294967295ELNS1_3gpuE0ELNS1_3repE0EEENS1_30default_config_static_selectorELNS0_4arch9wavefront6targetE1EEEvT1_.kd
    .uniform_work_group_size: 1
    .uses_dynamic_stack: false
    .vgpr_count:     0
    .vgpr_spill_count: 0
    .wavefront_size: 64
  - .agpr_count:     0
    .args:
      - .offset:         0
        .size:           136
        .value_kind:     by_value
    .group_segment_fixed_size: 0
    .kernarg_segment_align: 8
    .kernarg_segment_size: 136
    .language:       OpenCL C
    .language_version:
      - 2
      - 0
    .max_flat_workgroup_size: 256
    .name:           _ZN7rocprim17ROCPRIM_400000_NS6detail17trampoline_kernelINS0_14default_configENS1_27scan_by_key_config_selectorIidEEZZNS1_16scan_by_key_implILNS1_25lookback_scan_determinismE0ELb1ES3_N6thrust23THRUST_200600_302600_NS6detail15normal_iteratorINS9_10device_ptrIiEEEENSB_INSC_IdEEEESG_dNS9_4plusIvEENS9_8equal_toIvEEdEE10hipError_tPvRmT2_T3_T4_T5_mT6_T7_P12ihipStream_tbENKUlT_T0_E_clISt17integral_constantIbLb0EES11_EEDaSW_SX_EUlSW_E_NS1_11comp_targetILNS1_3genE10ELNS1_11target_archE1201ELNS1_3gpuE5ELNS1_3repE0EEENS1_30default_config_static_selectorELNS0_4arch9wavefront6targetE1EEEvT1_
    .private_segment_fixed_size: 0
    .sgpr_count:     6
    .sgpr_spill_count: 0
    .symbol:         _ZN7rocprim17ROCPRIM_400000_NS6detail17trampoline_kernelINS0_14default_configENS1_27scan_by_key_config_selectorIidEEZZNS1_16scan_by_key_implILNS1_25lookback_scan_determinismE0ELb1ES3_N6thrust23THRUST_200600_302600_NS6detail15normal_iteratorINS9_10device_ptrIiEEEENSB_INSC_IdEEEESG_dNS9_4plusIvEENS9_8equal_toIvEEdEE10hipError_tPvRmT2_T3_T4_T5_mT6_T7_P12ihipStream_tbENKUlT_T0_E_clISt17integral_constantIbLb0EES11_EEDaSW_SX_EUlSW_E_NS1_11comp_targetILNS1_3genE10ELNS1_11target_archE1201ELNS1_3gpuE5ELNS1_3repE0EEENS1_30default_config_static_selectorELNS0_4arch9wavefront6targetE1EEEvT1_.kd
    .uniform_work_group_size: 1
    .uses_dynamic_stack: false
    .vgpr_count:     0
    .vgpr_spill_count: 0
    .wavefront_size: 64
  - .agpr_count:     0
    .args:
      - .offset:         0
        .size:           136
        .value_kind:     by_value
    .group_segment_fixed_size: 43008
    .kernarg_segment_align: 8
    .kernarg_segment_size: 136
    .language:       OpenCL C
    .language_version:
      - 2
      - 0
    .max_flat_workgroup_size: 256
    .name:           _ZN7rocprim17ROCPRIM_400000_NS6detail17trampoline_kernelINS0_14default_configENS1_27scan_by_key_config_selectorIidEEZZNS1_16scan_by_key_implILNS1_25lookback_scan_determinismE0ELb1ES3_N6thrust23THRUST_200600_302600_NS6detail15normal_iteratorINS9_10device_ptrIiEEEENSB_INSC_IdEEEESG_dNS9_4plusIvEENS9_8equal_toIvEEdEE10hipError_tPvRmT2_T3_T4_T5_mT6_T7_P12ihipStream_tbENKUlT_T0_E_clISt17integral_constantIbLb0EES11_EEDaSW_SX_EUlSW_E_NS1_11comp_targetILNS1_3genE5ELNS1_11target_archE942ELNS1_3gpuE9ELNS1_3repE0EEENS1_30default_config_static_selectorELNS0_4arch9wavefront6targetE1EEEvT1_
    .private_segment_fixed_size: 0
    .sgpr_count:     84
    .sgpr_spill_count: 0
    .symbol:         _ZN7rocprim17ROCPRIM_400000_NS6detail17trampoline_kernelINS0_14default_configENS1_27scan_by_key_config_selectorIidEEZZNS1_16scan_by_key_implILNS1_25lookback_scan_determinismE0ELb1ES3_N6thrust23THRUST_200600_302600_NS6detail15normal_iteratorINS9_10device_ptrIiEEEENSB_INSC_IdEEEESG_dNS9_4plusIvEENS9_8equal_toIvEEdEE10hipError_tPvRmT2_T3_T4_T5_mT6_T7_P12ihipStream_tbENKUlT_T0_E_clISt17integral_constantIbLb0EES11_EEDaSW_SX_EUlSW_E_NS1_11comp_targetILNS1_3genE5ELNS1_11target_archE942ELNS1_3gpuE9ELNS1_3repE0EEENS1_30default_config_static_selectorELNS0_4arch9wavefront6targetE1EEEvT1_.kd
    .uniform_work_group_size: 1
    .uses_dynamic_stack: false
    .vgpr_count:     130
    .vgpr_spill_count: 0
    .wavefront_size: 64
  - .agpr_count:     0
    .args:
      - .offset:         0
        .size:           136
        .value_kind:     by_value
    .group_segment_fixed_size: 0
    .kernarg_segment_align: 8
    .kernarg_segment_size: 136
    .language:       OpenCL C
    .language_version:
      - 2
      - 0
    .max_flat_workgroup_size: 64
    .name:           _ZN7rocprim17ROCPRIM_400000_NS6detail17trampoline_kernelINS0_14default_configENS1_27scan_by_key_config_selectorIidEEZZNS1_16scan_by_key_implILNS1_25lookback_scan_determinismE0ELb1ES3_N6thrust23THRUST_200600_302600_NS6detail15normal_iteratorINS9_10device_ptrIiEEEENSB_INSC_IdEEEESG_dNS9_4plusIvEENS9_8equal_toIvEEdEE10hipError_tPvRmT2_T3_T4_T5_mT6_T7_P12ihipStream_tbENKUlT_T0_E_clISt17integral_constantIbLb0EES11_EEDaSW_SX_EUlSW_E_NS1_11comp_targetILNS1_3genE4ELNS1_11target_archE910ELNS1_3gpuE8ELNS1_3repE0EEENS1_30default_config_static_selectorELNS0_4arch9wavefront6targetE1EEEvT1_
    .private_segment_fixed_size: 0
    .sgpr_count:     6
    .sgpr_spill_count: 0
    .symbol:         _ZN7rocprim17ROCPRIM_400000_NS6detail17trampoline_kernelINS0_14default_configENS1_27scan_by_key_config_selectorIidEEZZNS1_16scan_by_key_implILNS1_25lookback_scan_determinismE0ELb1ES3_N6thrust23THRUST_200600_302600_NS6detail15normal_iteratorINS9_10device_ptrIiEEEENSB_INSC_IdEEEESG_dNS9_4plusIvEENS9_8equal_toIvEEdEE10hipError_tPvRmT2_T3_T4_T5_mT6_T7_P12ihipStream_tbENKUlT_T0_E_clISt17integral_constantIbLb0EES11_EEDaSW_SX_EUlSW_E_NS1_11comp_targetILNS1_3genE4ELNS1_11target_archE910ELNS1_3gpuE8ELNS1_3repE0EEENS1_30default_config_static_selectorELNS0_4arch9wavefront6targetE1EEEvT1_.kd
    .uniform_work_group_size: 1
    .uses_dynamic_stack: false
    .vgpr_count:     0
    .vgpr_spill_count: 0
    .wavefront_size: 64
  - .agpr_count:     0
    .args:
      - .offset:         0
        .size:           136
        .value_kind:     by_value
    .group_segment_fixed_size: 0
    .kernarg_segment_align: 8
    .kernarg_segment_size: 136
    .language:       OpenCL C
    .language_version:
      - 2
      - 0
    .max_flat_workgroup_size: 128
    .name:           _ZN7rocprim17ROCPRIM_400000_NS6detail17trampoline_kernelINS0_14default_configENS1_27scan_by_key_config_selectorIidEEZZNS1_16scan_by_key_implILNS1_25lookback_scan_determinismE0ELb1ES3_N6thrust23THRUST_200600_302600_NS6detail15normal_iteratorINS9_10device_ptrIiEEEENSB_INSC_IdEEEESG_dNS9_4plusIvEENS9_8equal_toIvEEdEE10hipError_tPvRmT2_T3_T4_T5_mT6_T7_P12ihipStream_tbENKUlT_T0_E_clISt17integral_constantIbLb0EES11_EEDaSW_SX_EUlSW_E_NS1_11comp_targetILNS1_3genE3ELNS1_11target_archE908ELNS1_3gpuE7ELNS1_3repE0EEENS1_30default_config_static_selectorELNS0_4arch9wavefront6targetE1EEEvT1_
    .private_segment_fixed_size: 0
    .sgpr_count:     6
    .sgpr_spill_count: 0
    .symbol:         _ZN7rocprim17ROCPRIM_400000_NS6detail17trampoline_kernelINS0_14default_configENS1_27scan_by_key_config_selectorIidEEZZNS1_16scan_by_key_implILNS1_25lookback_scan_determinismE0ELb1ES3_N6thrust23THRUST_200600_302600_NS6detail15normal_iteratorINS9_10device_ptrIiEEEENSB_INSC_IdEEEESG_dNS9_4plusIvEENS9_8equal_toIvEEdEE10hipError_tPvRmT2_T3_T4_T5_mT6_T7_P12ihipStream_tbENKUlT_T0_E_clISt17integral_constantIbLb0EES11_EEDaSW_SX_EUlSW_E_NS1_11comp_targetILNS1_3genE3ELNS1_11target_archE908ELNS1_3gpuE7ELNS1_3repE0EEENS1_30default_config_static_selectorELNS0_4arch9wavefront6targetE1EEEvT1_.kd
    .uniform_work_group_size: 1
    .uses_dynamic_stack: false
    .vgpr_count:     0
    .vgpr_spill_count: 0
    .wavefront_size: 64
  - .agpr_count:     0
    .args:
      - .offset:         0
        .size:           136
        .value_kind:     by_value
    .group_segment_fixed_size: 0
    .kernarg_segment_align: 8
    .kernarg_segment_size: 136
    .language:       OpenCL C
    .language_version:
      - 2
      - 0
    .max_flat_workgroup_size: 64
    .name:           _ZN7rocprim17ROCPRIM_400000_NS6detail17trampoline_kernelINS0_14default_configENS1_27scan_by_key_config_selectorIidEEZZNS1_16scan_by_key_implILNS1_25lookback_scan_determinismE0ELb1ES3_N6thrust23THRUST_200600_302600_NS6detail15normal_iteratorINS9_10device_ptrIiEEEENSB_INSC_IdEEEESG_dNS9_4plusIvEENS9_8equal_toIvEEdEE10hipError_tPvRmT2_T3_T4_T5_mT6_T7_P12ihipStream_tbENKUlT_T0_E_clISt17integral_constantIbLb0EES11_EEDaSW_SX_EUlSW_E_NS1_11comp_targetILNS1_3genE2ELNS1_11target_archE906ELNS1_3gpuE6ELNS1_3repE0EEENS1_30default_config_static_selectorELNS0_4arch9wavefront6targetE1EEEvT1_
    .private_segment_fixed_size: 0
    .sgpr_count:     6
    .sgpr_spill_count: 0
    .symbol:         _ZN7rocprim17ROCPRIM_400000_NS6detail17trampoline_kernelINS0_14default_configENS1_27scan_by_key_config_selectorIidEEZZNS1_16scan_by_key_implILNS1_25lookback_scan_determinismE0ELb1ES3_N6thrust23THRUST_200600_302600_NS6detail15normal_iteratorINS9_10device_ptrIiEEEENSB_INSC_IdEEEESG_dNS9_4plusIvEENS9_8equal_toIvEEdEE10hipError_tPvRmT2_T3_T4_T5_mT6_T7_P12ihipStream_tbENKUlT_T0_E_clISt17integral_constantIbLb0EES11_EEDaSW_SX_EUlSW_E_NS1_11comp_targetILNS1_3genE2ELNS1_11target_archE906ELNS1_3gpuE6ELNS1_3repE0EEENS1_30default_config_static_selectorELNS0_4arch9wavefront6targetE1EEEvT1_.kd
    .uniform_work_group_size: 1
    .uses_dynamic_stack: false
    .vgpr_count:     0
    .vgpr_spill_count: 0
    .wavefront_size: 64
  - .agpr_count:     0
    .args:
      - .offset:         0
        .size:           136
        .value_kind:     by_value
    .group_segment_fixed_size: 0
    .kernarg_segment_align: 8
    .kernarg_segment_size: 136
    .language:       OpenCL C
    .language_version:
      - 2
      - 0
    .max_flat_workgroup_size: 256
    .name:           _ZN7rocprim17ROCPRIM_400000_NS6detail17trampoline_kernelINS0_14default_configENS1_27scan_by_key_config_selectorIidEEZZNS1_16scan_by_key_implILNS1_25lookback_scan_determinismE0ELb1ES3_N6thrust23THRUST_200600_302600_NS6detail15normal_iteratorINS9_10device_ptrIiEEEENSB_INSC_IdEEEESG_dNS9_4plusIvEENS9_8equal_toIvEEdEE10hipError_tPvRmT2_T3_T4_T5_mT6_T7_P12ihipStream_tbENKUlT_T0_E_clISt17integral_constantIbLb0EES11_EEDaSW_SX_EUlSW_E_NS1_11comp_targetILNS1_3genE10ELNS1_11target_archE1200ELNS1_3gpuE4ELNS1_3repE0EEENS1_30default_config_static_selectorELNS0_4arch9wavefront6targetE1EEEvT1_
    .private_segment_fixed_size: 0
    .sgpr_count:     6
    .sgpr_spill_count: 0
    .symbol:         _ZN7rocprim17ROCPRIM_400000_NS6detail17trampoline_kernelINS0_14default_configENS1_27scan_by_key_config_selectorIidEEZZNS1_16scan_by_key_implILNS1_25lookback_scan_determinismE0ELb1ES3_N6thrust23THRUST_200600_302600_NS6detail15normal_iteratorINS9_10device_ptrIiEEEENSB_INSC_IdEEEESG_dNS9_4plusIvEENS9_8equal_toIvEEdEE10hipError_tPvRmT2_T3_T4_T5_mT6_T7_P12ihipStream_tbENKUlT_T0_E_clISt17integral_constantIbLb0EES11_EEDaSW_SX_EUlSW_E_NS1_11comp_targetILNS1_3genE10ELNS1_11target_archE1200ELNS1_3gpuE4ELNS1_3repE0EEENS1_30default_config_static_selectorELNS0_4arch9wavefront6targetE1EEEvT1_.kd
    .uniform_work_group_size: 1
    .uses_dynamic_stack: false
    .vgpr_count:     0
    .vgpr_spill_count: 0
    .wavefront_size: 64
  - .agpr_count:     0
    .args:
      - .offset:         0
        .size:           136
        .value_kind:     by_value
    .group_segment_fixed_size: 0
    .kernarg_segment_align: 8
    .kernarg_segment_size: 136
    .language:       OpenCL C
    .language_version:
      - 2
      - 0
    .max_flat_workgroup_size: 256
    .name:           _ZN7rocprim17ROCPRIM_400000_NS6detail17trampoline_kernelINS0_14default_configENS1_27scan_by_key_config_selectorIidEEZZNS1_16scan_by_key_implILNS1_25lookback_scan_determinismE0ELb1ES3_N6thrust23THRUST_200600_302600_NS6detail15normal_iteratorINS9_10device_ptrIiEEEENSB_INSC_IdEEEESG_dNS9_4plusIvEENS9_8equal_toIvEEdEE10hipError_tPvRmT2_T3_T4_T5_mT6_T7_P12ihipStream_tbENKUlT_T0_E_clISt17integral_constantIbLb0EES11_EEDaSW_SX_EUlSW_E_NS1_11comp_targetILNS1_3genE9ELNS1_11target_archE1100ELNS1_3gpuE3ELNS1_3repE0EEENS1_30default_config_static_selectorELNS0_4arch9wavefront6targetE1EEEvT1_
    .private_segment_fixed_size: 0
    .sgpr_count:     6
    .sgpr_spill_count: 0
    .symbol:         _ZN7rocprim17ROCPRIM_400000_NS6detail17trampoline_kernelINS0_14default_configENS1_27scan_by_key_config_selectorIidEEZZNS1_16scan_by_key_implILNS1_25lookback_scan_determinismE0ELb1ES3_N6thrust23THRUST_200600_302600_NS6detail15normal_iteratorINS9_10device_ptrIiEEEENSB_INSC_IdEEEESG_dNS9_4plusIvEENS9_8equal_toIvEEdEE10hipError_tPvRmT2_T3_T4_T5_mT6_T7_P12ihipStream_tbENKUlT_T0_E_clISt17integral_constantIbLb0EES11_EEDaSW_SX_EUlSW_E_NS1_11comp_targetILNS1_3genE9ELNS1_11target_archE1100ELNS1_3gpuE3ELNS1_3repE0EEENS1_30default_config_static_selectorELNS0_4arch9wavefront6targetE1EEEvT1_.kd
    .uniform_work_group_size: 1
    .uses_dynamic_stack: false
    .vgpr_count:     0
    .vgpr_spill_count: 0
    .wavefront_size: 64
  - .agpr_count:     0
    .args:
      - .offset:         0
        .size:           136
        .value_kind:     by_value
    .group_segment_fixed_size: 0
    .kernarg_segment_align: 8
    .kernarg_segment_size: 136
    .language:       OpenCL C
    .language_version:
      - 2
      - 0
    .max_flat_workgroup_size: 256
    .name:           _ZN7rocprim17ROCPRIM_400000_NS6detail17trampoline_kernelINS0_14default_configENS1_27scan_by_key_config_selectorIidEEZZNS1_16scan_by_key_implILNS1_25lookback_scan_determinismE0ELb1ES3_N6thrust23THRUST_200600_302600_NS6detail15normal_iteratorINS9_10device_ptrIiEEEENSB_INSC_IdEEEESG_dNS9_4plusIvEENS9_8equal_toIvEEdEE10hipError_tPvRmT2_T3_T4_T5_mT6_T7_P12ihipStream_tbENKUlT_T0_E_clISt17integral_constantIbLb0EES11_EEDaSW_SX_EUlSW_E_NS1_11comp_targetILNS1_3genE8ELNS1_11target_archE1030ELNS1_3gpuE2ELNS1_3repE0EEENS1_30default_config_static_selectorELNS0_4arch9wavefront6targetE1EEEvT1_
    .private_segment_fixed_size: 0
    .sgpr_count:     6
    .sgpr_spill_count: 0
    .symbol:         _ZN7rocprim17ROCPRIM_400000_NS6detail17trampoline_kernelINS0_14default_configENS1_27scan_by_key_config_selectorIidEEZZNS1_16scan_by_key_implILNS1_25lookback_scan_determinismE0ELb1ES3_N6thrust23THRUST_200600_302600_NS6detail15normal_iteratorINS9_10device_ptrIiEEEENSB_INSC_IdEEEESG_dNS9_4plusIvEENS9_8equal_toIvEEdEE10hipError_tPvRmT2_T3_T4_T5_mT6_T7_P12ihipStream_tbENKUlT_T0_E_clISt17integral_constantIbLb0EES11_EEDaSW_SX_EUlSW_E_NS1_11comp_targetILNS1_3genE8ELNS1_11target_archE1030ELNS1_3gpuE2ELNS1_3repE0EEENS1_30default_config_static_selectorELNS0_4arch9wavefront6targetE1EEEvT1_.kd
    .uniform_work_group_size: 1
    .uses_dynamic_stack: false
    .vgpr_count:     0
    .vgpr_spill_count: 0
    .wavefront_size: 64
  - .agpr_count:     0
    .args:
      - .offset:         0
        .size:           136
        .value_kind:     by_value
    .group_segment_fixed_size: 0
    .kernarg_segment_align: 8
    .kernarg_segment_size: 136
    .language:       OpenCL C
    .language_version:
      - 2
      - 0
    .max_flat_workgroup_size: 128
    .name:           _ZN7rocprim17ROCPRIM_400000_NS6detail17trampoline_kernelINS0_14default_configENS1_27scan_by_key_config_selectorIidEEZZNS1_16scan_by_key_implILNS1_25lookback_scan_determinismE0ELb1ES3_N6thrust23THRUST_200600_302600_NS6detail15normal_iteratorINS9_10device_ptrIiEEEENSB_INSC_IdEEEESG_dNS9_4plusIvEENS9_8equal_toIvEEdEE10hipError_tPvRmT2_T3_T4_T5_mT6_T7_P12ihipStream_tbENKUlT_T0_E_clISt17integral_constantIbLb1EES11_EEDaSW_SX_EUlSW_E_NS1_11comp_targetILNS1_3genE0ELNS1_11target_archE4294967295ELNS1_3gpuE0ELNS1_3repE0EEENS1_30default_config_static_selectorELNS0_4arch9wavefront6targetE1EEEvT1_
    .private_segment_fixed_size: 0
    .sgpr_count:     6
    .sgpr_spill_count: 0
    .symbol:         _ZN7rocprim17ROCPRIM_400000_NS6detail17trampoline_kernelINS0_14default_configENS1_27scan_by_key_config_selectorIidEEZZNS1_16scan_by_key_implILNS1_25lookback_scan_determinismE0ELb1ES3_N6thrust23THRUST_200600_302600_NS6detail15normal_iteratorINS9_10device_ptrIiEEEENSB_INSC_IdEEEESG_dNS9_4plusIvEENS9_8equal_toIvEEdEE10hipError_tPvRmT2_T3_T4_T5_mT6_T7_P12ihipStream_tbENKUlT_T0_E_clISt17integral_constantIbLb1EES11_EEDaSW_SX_EUlSW_E_NS1_11comp_targetILNS1_3genE0ELNS1_11target_archE4294967295ELNS1_3gpuE0ELNS1_3repE0EEENS1_30default_config_static_selectorELNS0_4arch9wavefront6targetE1EEEvT1_.kd
    .uniform_work_group_size: 1
    .uses_dynamic_stack: false
    .vgpr_count:     0
    .vgpr_spill_count: 0
    .wavefront_size: 64
  - .agpr_count:     0
    .args:
      - .offset:         0
        .size:           136
        .value_kind:     by_value
    .group_segment_fixed_size: 0
    .kernarg_segment_align: 8
    .kernarg_segment_size: 136
    .language:       OpenCL C
    .language_version:
      - 2
      - 0
    .max_flat_workgroup_size: 256
    .name:           _ZN7rocprim17ROCPRIM_400000_NS6detail17trampoline_kernelINS0_14default_configENS1_27scan_by_key_config_selectorIidEEZZNS1_16scan_by_key_implILNS1_25lookback_scan_determinismE0ELb1ES3_N6thrust23THRUST_200600_302600_NS6detail15normal_iteratorINS9_10device_ptrIiEEEENSB_INSC_IdEEEESG_dNS9_4plusIvEENS9_8equal_toIvEEdEE10hipError_tPvRmT2_T3_T4_T5_mT6_T7_P12ihipStream_tbENKUlT_T0_E_clISt17integral_constantIbLb1EES11_EEDaSW_SX_EUlSW_E_NS1_11comp_targetILNS1_3genE10ELNS1_11target_archE1201ELNS1_3gpuE5ELNS1_3repE0EEENS1_30default_config_static_selectorELNS0_4arch9wavefront6targetE1EEEvT1_
    .private_segment_fixed_size: 0
    .sgpr_count:     6
    .sgpr_spill_count: 0
    .symbol:         _ZN7rocprim17ROCPRIM_400000_NS6detail17trampoline_kernelINS0_14default_configENS1_27scan_by_key_config_selectorIidEEZZNS1_16scan_by_key_implILNS1_25lookback_scan_determinismE0ELb1ES3_N6thrust23THRUST_200600_302600_NS6detail15normal_iteratorINS9_10device_ptrIiEEEENSB_INSC_IdEEEESG_dNS9_4plusIvEENS9_8equal_toIvEEdEE10hipError_tPvRmT2_T3_T4_T5_mT6_T7_P12ihipStream_tbENKUlT_T0_E_clISt17integral_constantIbLb1EES11_EEDaSW_SX_EUlSW_E_NS1_11comp_targetILNS1_3genE10ELNS1_11target_archE1201ELNS1_3gpuE5ELNS1_3repE0EEENS1_30default_config_static_selectorELNS0_4arch9wavefront6targetE1EEEvT1_.kd
    .uniform_work_group_size: 1
    .uses_dynamic_stack: false
    .vgpr_count:     0
    .vgpr_spill_count: 0
    .wavefront_size: 64
  - .agpr_count:     0
    .args:
      - .offset:         0
        .size:           136
        .value_kind:     by_value
    .group_segment_fixed_size: 43008
    .kernarg_segment_align: 8
    .kernarg_segment_size: 136
    .language:       OpenCL C
    .language_version:
      - 2
      - 0
    .max_flat_workgroup_size: 256
    .name:           _ZN7rocprim17ROCPRIM_400000_NS6detail17trampoline_kernelINS0_14default_configENS1_27scan_by_key_config_selectorIidEEZZNS1_16scan_by_key_implILNS1_25lookback_scan_determinismE0ELb1ES3_N6thrust23THRUST_200600_302600_NS6detail15normal_iteratorINS9_10device_ptrIiEEEENSB_INSC_IdEEEESG_dNS9_4plusIvEENS9_8equal_toIvEEdEE10hipError_tPvRmT2_T3_T4_T5_mT6_T7_P12ihipStream_tbENKUlT_T0_E_clISt17integral_constantIbLb1EES11_EEDaSW_SX_EUlSW_E_NS1_11comp_targetILNS1_3genE5ELNS1_11target_archE942ELNS1_3gpuE9ELNS1_3repE0EEENS1_30default_config_static_selectorELNS0_4arch9wavefront6targetE1EEEvT1_
    .private_segment_fixed_size: 0
    .sgpr_count:     80
    .sgpr_spill_count: 0
    .symbol:         _ZN7rocprim17ROCPRIM_400000_NS6detail17trampoline_kernelINS0_14default_configENS1_27scan_by_key_config_selectorIidEEZZNS1_16scan_by_key_implILNS1_25lookback_scan_determinismE0ELb1ES3_N6thrust23THRUST_200600_302600_NS6detail15normal_iteratorINS9_10device_ptrIiEEEENSB_INSC_IdEEEESG_dNS9_4plusIvEENS9_8equal_toIvEEdEE10hipError_tPvRmT2_T3_T4_T5_mT6_T7_P12ihipStream_tbENKUlT_T0_E_clISt17integral_constantIbLb1EES11_EEDaSW_SX_EUlSW_E_NS1_11comp_targetILNS1_3genE5ELNS1_11target_archE942ELNS1_3gpuE9ELNS1_3repE0EEENS1_30default_config_static_selectorELNS0_4arch9wavefront6targetE1EEEvT1_.kd
    .uniform_work_group_size: 1
    .uses_dynamic_stack: false
    .vgpr_count:     132
    .vgpr_spill_count: 0
    .wavefront_size: 64
  - .agpr_count:     0
    .args:
      - .offset:         0
        .size:           136
        .value_kind:     by_value
    .group_segment_fixed_size: 0
    .kernarg_segment_align: 8
    .kernarg_segment_size: 136
    .language:       OpenCL C
    .language_version:
      - 2
      - 0
    .max_flat_workgroup_size: 64
    .name:           _ZN7rocprim17ROCPRIM_400000_NS6detail17trampoline_kernelINS0_14default_configENS1_27scan_by_key_config_selectorIidEEZZNS1_16scan_by_key_implILNS1_25lookback_scan_determinismE0ELb1ES3_N6thrust23THRUST_200600_302600_NS6detail15normal_iteratorINS9_10device_ptrIiEEEENSB_INSC_IdEEEESG_dNS9_4plusIvEENS9_8equal_toIvEEdEE10hipError_tPvRmT2_T3_T4_T5_mT6_T7_P12ihipStream_tbENKUlT_T0_E_clISt17integral_constantIbLb1EES11_EEDaSW_SX_EUlSW_E_NS1_11comp_targetILNS1_3genE4ELNS1_11target_archE910ELNS1_3gpuE8ELNS1_3repE0EEENS1_30default_config_static_selectorELNS0_4arch9wavefront6targetE1EEEvT1_
    .private_segment_fixed_size: 0
    .sgpr_count:     6
    .sgpr_spill_count: 0
    .symbol:         _ZN7rocprim17ROCPRIM_400000_NS6detail17trampoline_kernelINS0_14default_configENS1_27scan_by_key_config_selectorIidEEZZNS1_16scan_by_key_implILNS1_25lookback_scan_determinismE0ELb1ES3_N6thrust23THRUST_200600_302600_NS6detail15normal_iteratorINS9_10device_ptrIiEEEENSB_INSC_IdEEEESG_dNS9_4plusIvEENS9_8equal_toIvEEdEE10hipError_tPvRmT2_T3_T4_T5_mT6_T7_P12ihipStream_tbENKUlT_T0_E_clISt17integral_constantIbLb1EES11_EEDaSW_SX_EUlSW_E_NS1_11comp_targetILNS1_3genE4ELNS1_11target_archE910ELNS1_3gpuE8ELNS1_3repE0EEENS1_30default_config_static_selectorELNS0_4arch9wavefront6targetE1EEEvT1_.kd
    .uniform_work_group_size: 1
    .uses_dynamic_stack: false
    .vgpr_count:     0
    .vgpr_spill_count: 0
    .wavefront_size: 64
  - .agpr_count:     0
    .args:
      - .offset:         0
        .size:           136
        .value_kind:     by_value
    .group_segment_fixed_size: 0
    .kernarg_segment_align: 8
    .kernarg_segment_size: 136
    .language:       OpenCL C
    .language_version:
      - 2
      - 0
    .max_flat_workgroup_size: 128
    .name:           _ZN7rocprim17ROCPRIM_400000_NS6detail17trampoline_kernelINS0_14default_configENS1_27scan_by_key_config_selectorIidEEZZNS1_16scan_by_key_implILNS1_25lookback_scan_determinismE0ELb1ES3_N6thrust23THRUST_200600_302600_NS6detail15normal_iteratorINS9_10device_ptrIiEEEENSB_INSC_IdEEEESG_dNS9_4plusIvEENS9_8equal_toIvEEdEE10hipError_tPvRmT2_T3_T4_T5_mT6_T7_P12ihipStream_tbENKUlT_T0_E_clISt17integral_constantIbLb1EES11_EEDaSW_SX_EUlSW_E_NS1_11comp_targetILNS1_3genE3ELNS1_11target_archE908ELNS1_3gpuE7ELNS1_3repE0EEENS1_30default_config_static_selectorELNS0_4arch9wavefront6targetE1EEEvT1_
    .private_segment_fixed_size: 0
    .sgpr_count:     6
    .sgpr_spill_count: 0
    .symbol:         _ZN7rocprim17ROCPRIM_400000_NS6detail17trampoline_kernelINS0_14default_configENS1_27scan_by_key_config_selectorIidEEZZNS1_16scan_by_key_implILNS1_25lookback_scan_determinismE0ELb1ES3_N6thrust23THRUST_200600_302600_NS6detail15normal_iteratorINS9_10device_ptrIiEEEENSB_INSC_IdEEEESG_dNS9_4plusIvEENS9_8equal_toIvEEdEE10hipError_tPvRmT2_T3_T4_T5_mT6_T7_P12ihipStream_tbENKUlT_T0_E_clISt17integral_constantIbLb1EES11_EEDaSW_SX_EUlSW_E_NS1_11comp_targetILNS1_3genE3ELNS1_11target_archE908ELNS1_3gpuE7ELNS1_3repE0EEENS1_30default_config_static_selectorELNS0_4arch9wavefront6targetE1EEEvT1_.kd
    .uniform_work_group_size: 1
    .uses_dynamic_stack: false
    .vgpr_count:     0
    .vgpr_spill_count: 0
    .wavefront_size: 64
  - .agpr_count:     0
    .args:
      - .offset:         0
        .size:           136
        .value_kind:     by_value
    .group_segment_fixed_size: 0
    .kernarg_segment_align: 8
    .kernarg_segment_size: 136
    .language:       OpenCL C
    .language_version:
      - 2
      - 0
    .max_flat_workgroup_size: 64
    .name:           _ZN7rocprim17ROCPRIM_400000_NS6detail17trampoline_kernelINS0_14default_configENS1_27scan_by_key_config_selectorIidEEZZNS1_16scan_by_key_implILNS1_25lookback_scan_determinismE0ELb1ES3_N6thrust23THRUST_200600_302600_NS6detail15normal_iteratorINS9_10device_ptrIiEEEENSB_INSC_IdEEEESG_dNS9_4plusIvEENS9_8equal_toIvEEdEE10hipError_tPvRmT2_T3_T4_T5_mT6_T7_P12ihipStream_tbENKUlT_T0_E_clISt17integral_constantIbLb1EES11_EEDaSW_SX_EUlSW_E_NS1_11comp_targetILNS1_3genE2ELNS1_11target_archE906ELNS1_3gpuE6ELNS1_3repE0EEENS1_30default_config_static_selectorELNS0_4arch9wavefront6targetE1EEEvT1_
    .private_segment_fixed_size: 0
    .sgpr_count:     6
    .sgpr_spill_count: 0
    .symbol:         _ZN7rocprim17ROCPRIM_400000_NS6detail17trampoline_kernelINS0_14default_configENS1_27scan_by_key_config_selectorIidEEZZNS1_16scan_by_key_implILNS1_25lookback_scan_determinismE0ELb1ES3_N6thrust23THRUST_200600_302600_NS6detail15normal_iteratorINS9_10device_ptrIiEEEENSB_INSC_IdEEEESG_dNS9_4plusIvEENS9_8equal_toIvEEdEE10hipError_tPvRmT2_T3_T4_T5_mT6_T7_P12ihipStream_tbENKUlT_T0_E_clISt17integral_constantIbLb1EES11_EEDaSW_SX_EUlSW_E_NS1_11comp_targetILNS1_3genE2ELNS1_11target_archE906ELNS1_3gpuE6ELNS1_3repE0EEENS1_30default_config_static_selectorELNS0_4arch9wavefront6targetE1EEEvT1_.kd
    .uniform_work_group_size: 1
    .uses_dynamic_stack: false
    .vgpr_count:     0
    .vgpr_spill_count: 0
    .wavefront_size: 64
  - .agpr_count:     0
    .args:
      - .offset:         0
        .size:           136
        .value_kind:     by_value
    .group_segment_fixed_size: 0
    .kernarg_segment_align: 8
    .kernarg_segment_size: 136
    .language:       OpenCL C
    .language_version:
      - 2
      - 0
    .max_flat_workgroup_size: 256
    .name:           _ZN7rocprim17ROCPRIM_400000_NS6detail17trampoline_kernelINS0_14default_configENS1_27scan_by_key_config_selectorIidEEZZNS1_16scan_by_key_implILNS1_25lookback_scan_determinismE0ELb1ES3_N6thrust23THRUST_200600_302600_NS6detail15normal_iteratorINS9_10device_ptrIiEEEENSB_INSC_IdEEEESG_dNS9_4plusIvEENS9_8equal_toIvEEdEE10hipError_tPvRmT2_T3_T4_T5_mT6_T7_P12ihipStream_tbENKUlT_T0_E_clISt17integral_constantIbLb1EES11_EEDaSW_SX_EUlSW_E_NS1_11comp_targetILNS1_3genE10ELNS1_11target_archE1200ELNS1_3gpuE4ELNS1_3repE0EEENS1_30default_config_static_selectorELNS0_4arch9wavefront6targetE1EEEvT1_
    .private_segment_fixed_size: 0
    .sgpr_count:     6
    .sgpr_spill_count: 0
    .symbol:         _ZN7rocprim17ROCPRIM_400000_NS6detail17trampoline_kernelINS0_14default_configENS1_27scan_by_key_config_selectorIidEEZZNS1_16scan_by_key_implILNS1_25lookback_scan_determinismE0ELb1ES3_N6thrust23THRUST_200600_302600_NS6detail15normal_iteratorINS9_10device_ptrIiEEEENSB_INSC_IdEEEESG_dNS9_4plusIvEENS9_8equal_toIvEEdEE10hipError_tPvRmT2_T3_T4_T5_mT6_T7_P12ihipStream_tbENKUlT_T0_E_clISt17integral_constantIbLb1EES11_EEDaSW_SX_EUlSW_E_NS1_11comp_targetILNS1_3genE10ELNS1_11target_archE1200ELNS1_3gpuE4ELNS1_3repE0EEENS1_30default_config_static_selectorELNS0_4arch9wavefront6targetE1EEEvT1_.kd
    .uniform_work_group_size: 1
    .uses_dynamic_stack: false
    .vgpr_count:     0
    .vgpr_spill_count: 0
    .wavefront_size: 64
  - .agpr_count:     0
    .args:
      - .offset:         0
        .size:           136
        .value_kind:     by_value
    .group_segment_fixed_size: 0
    .kernarg_segment_align: 8
    .kernarg_segment_size: 136
    .language:       OpenCL C
    .language_version:
      - 2
      - 0
    .max_flat_workgroup_size: 256
    .name:           _ZN7rocprim17ROCPRIM_400000_NS6detail17trampoline_kernelINS0_14default_configENS1_27scan_by_key_config_selectorIidEEZZNS1_16scan_by_key_implILNS1_25lookback_scan_determinismE0ELb1ES3_N6thrust23THRUST_200600_302600_NS6detail15normal_iteratorINS9_10device_ptrIiEEEENSB_INSC_IdEEEESG_dNS9_4plusIvEENS9_8equal_toIvEEdEE10hipError_tPvRmT2_T3_T4_T5_mT6_T7_P12ihipStream_tbENKUlT_T0_E_clISt17integral_constantIbLb1EES11_EEDaSW_SX_EUlSW_E_NS1_11comp_targetILNS1_3genE9ELNS1_11target_archE1100ELNS1_3gpuE3ELNS1_3repE0EEENS1_30default_config_static_selectorELNS0_4arch9wavefront6targetE1EEEvT1_
    .private_segment_fixed_size: 0
    .sgpr_count:     6
    .sgpr_spill_count: 0
    .symbol:         _ZN7rocprim17ROCPRIM_400000_NS6detail17trampoline_kernelINS0_14default_configENS1_27scan_by_key_config_selectorIidEEZZNS1_16scan_by_key_implILNS1_25lookback_scan_determinismE0ELb1ES3_N6thrust23THRUST_200600_302600_NS6detail15normal_iteratorINS9_10device_ptrIiEEEENSB_INSC_IdEEEESG_dNS9_4plusIvEENS9_8equal_toIvEEdEE10hipError_tPvRmT2_T3_T4_T5_mT6_T7_P12ihipStream_tbENKUlT_T0_E_clISt17integral_constantIbLb1EES11_EEDaSW_SX_EUlSW_E_NS1_11comp_targetILNS1_3genE9ELNS1_11target_archE1100ELNS1_3gpuE3ELNS1_3repE0EEENS1_30default_config_static_selectorELNS0_4arch9wavefront6targetE1EEEvT1_.kd
    .uniform_work_group_size: 1
    .uses_dynamic_stack: false
    .vgpr_count:     0
    .vgpr_spill_count: 0
    .wavefront_size: 64
  - .agpr_count:     0
    .args:
      - .offset:         0
        .size:           136
        .value_kind:     by_value
    .group_segment_fixed_size: 0
    .kernarg_segment_align: 8
    .kernarg_segment_size: 136
    .language:       OpenCL C
    .language_version:
      - 2
      - 0
    .max_flat_workgroup_size: 256
    .name:           _ZN7rocprim17ROCPRIM_400000_NS6detail17trampoline_kernelINS0_14default_configENS1_27scan_by_key_config_selectorIidEEZZNS1_16scan_by_key_implILNS1_25lookback_scan_determinismE0ELb1ES3_N6thrust23THRUST_200600_302600_NS6detail15normal_iteratorINS9_10device_ptrIiEEEENSB_INSC_IdEEEESG_dNS9_4plusIvEENS9_8equal_toIvEEdEE10hipError_tPvRmT2_T3_T4_T5_mT6_T7_P12ihipStream_tbENKUlT_T0_E_clISt17integral_constantIbLb1EES11_EEDaSW_SX_EUlSW_E_NS1_11comp_targetILNS1_3genE8ELNS1_11target_archE1030ELNS1_3gpuE2ELNS1_3repE0EEENS1_30default_config_static_selectorELNS0_4arch9wavefront6targetE1EEEvT1_
    .private_segment_fixed_size: 0
    .sgpr_count:     6
    .sgpr_spill_count: 0
    .symbol:         _ZN7rocprim17ROCPRIM_400000_NS6detail17trampoline_kernelINS0_14default_configENS1_27scan_by_key_config_selectorIidEEZZNS1_16scan_by_key_implILNS1_25lookback_scan_determinismE0ELb1ES3_N6thrust23THRUST_200600_302600_NS6detail15normal_iteratorINS9_10device_ptrIiEEEENSB_INSC_IdEEEESG_dNS9_4plusIvEENS9_8equal_toIvEEdEE10hipError_tPvRmT2_T3_T4_T5_mT6_T7_P12ihipStream_tbENKUlT_T0_E_clISt17integral_constantIbLb1EES11_EEDaSW_SX_EUlSW_E_NS1_11comp_targetILNS1_3genE8ELNS1_11target_archE1030ELNS1_3gpuE2ELNS1_3repE0EEENS1_30default_config_static_selectorELNS0_4arch9wavefront6targetE1EEEvT1_.kd
    .uniform_work_group_size: 1
    .uses_dynamic_stack: false
    .vgpr_count:     0
    .vgpr_spill_count: 0
    .wavefront_size: 64
  - .agpr_count:     0
    .args:
      - .offset:         0
        .size:           136
        .value_kind:     by_value
    .group_segment_fixed_size: 0
    .kernarg_segment_align: 8
    .kernarg_segment_size: 136
    .language:       OpenCL C
    .language_version:
      - 2
      - 0
    .max_flat_workgroup_size: 128
    .name:           _ZN7rocprim17ROCPRIM_400000_NS6detail17trampoline_kernelINS0_14default_configENS1_27scan_by_key_config_selectorIidEEZZNS1_16scan_by_key_implILNS1_25lookback_scan_determinismE0ELb1ES3_N6thrust23THRUST_200600_302600_NS6detail15normal_iteratorINS9_10device_ptrIiEEEENSB_INSC_IdEEEESG_dNS9_4plusIvEENS9_8equal_toIvEEdEE10hipError_tPvRmT2_T3_T4_T5_mT6_T7_P12ihipStream_tbENKUlT_T0_E_clISt17integral_constantIbLb1EES10_IbLb0EEEEDaSW_SX_EUlSW_E_NS1_11comp_targetILNS1_3genE0ELNS1_11target_archE4294967295ELNS1_3gpuE0ELNS1_3repE0EEENS1_30default_config_static_selectorELNS0_4arch9wavefront6targetE1EEEvT1_
    .private_segment_fixed_size: 0
    .sgpr_count:     6
    .sgpr_spill_count: 0
    .symbol:         _ZN7rocprim17ROCPRIM_400000_NS6detail17trampoline_kernelINS0_14default_configENS1_27scan_by_key_config_selectorIidEEZZNS1_16scan_by_key_implILNS1_25lookback_scan_determinismE0ELb1ES3_N6thrust23THRUST_200600_302600_NS6detail15normal_iteratorINS9_10device_ptrIiEEEENSB_INSC_IdEEEESG_dNS9_4plusIvEENS9_8equal_toIvEEdEE10hipError_tPvRmT2_T3_T4_T5_mT6_T7_P12ihipStream_tbENKUlT_T0_E_clISt17integral_constantIbLb1EES10_IbLb0EEEEDaSW_SX_EUlSW_E_NS1_11comp_targetILNS1_3genE0ELNS1_11target_archE4294967295ELNS1_3gpuE0ELNS1_3repE0EEENS1_30default_config_static_selectorELNS0_4arch9wavefront6targetE1EEEvT1_.kd
    .uniform_work_group_size: 1
    .uses_dynamic_stack: false
    .vgpr_count:     0
    .vgpr_spill_count: 0
    .wavefront_size: 64
  - .agpr_count:     0
    .args:
      - .offset:         0
        .size:           136
        .value_kind:     by_value
    .group_segment_fixed_size: 0
    .kernarg_segment_align: 8
    .kernarg_segment_size: 136
    .language:       OpenCL C
    .language_version:
      - 2
      - 0
    .max_flat_workgroup_size: 256
    .name:           _ZN7rocprim17ROCPRIM_400000_NS6detail17trampoline_kernelINS0_14default_configENS1_27scan_by_key_config_selectorIidEEZZNS1_16scan_by_key_implILNS1_25lookback_scan_determinismE0ELb1ES3_N6thrust23THRUST_200600_302600_NS6detail15normal_iteratorINS9_10device_ptrIiEEEENSB_INSC_IdEEEESG_dNS9_4plusIvEENS9_8equal_toIvEEdEE10hipError_tPvRmT2_T3_T4_T5_mT6_T7_P12ihipStream_tbENKUlT_T0_E_clISt17integral_constantIbLb1EES10_IbLb0EEEEDaSW_SX_EUlSW_E_NS1_11comp_targetILNS1_3genE10ELNS1_11target_archE1201ELNS1_3gpuE5ELNS1_3repE0EEENS1_30default_config_static_selectorELNS0_4arch9wavefront6targetE1EEEvT1_
    .private_segment_fixed_size: 0
    .sgpr_count:     6
    .sgpr_spill_count: 0
    .symbol:         _ZN7rocprim17ROCPRIM_400000_NS6detail17trampoline_kernelINS0_14default_configENS1_27scan_by_key_config_selectorIidEEZZNS1_16scan_by_key_implILNS1_25lookback_scan_determinismE0ELb1ES3_N6thrust23THRUST_200600_302600_NS6detail15normal_iteratorINS9_10device_ptrIiEEEENSB_INSC_IdEEEESG_dNS9_4plusIvEENS9_8equal_toIvEEdEE10hipError_tPvRmT2_T3_T4_T5_mT6_T7_P12ihipStream_tbENKUlT_T0_E_clISt17integral_constantIbLb1EES10_IbLb0EEEEDaSW_SX_EUlSW_E_NS1_11comp_targetILNS1_3genE10ELNS1_11target_archE1201ELNS1_3gpuE5ELNS1_3repE0EEENS1_30default_config_static_selectorELNS0_4arch9wavefront6targetE1EEEvT1_.kd
    .uniform_work_group_size: 1
    .uses_dynamic_stack: false
    .vgpr_count:     0
    .vgpr_spill_count: 0
    .wavefront_size: 64
  - .agpr_count:     0
    .args:
      - .offset:         0
        .size:           136
        .value_kind:     by_value
    .group_segment_fixed_size: 43008
    .kernarg_segment_align: 8
    .kernarg_segment_size: 136
    .language:       OpenCL C
    .language_version:
      - 2
      - 0
    .max_flat_workgroup_size: 256
    .name:           _ZN7rocprim17ROCPRIM_400000_NS6detail17trampoline_kernelINS0_14default_configENS1_27scan_by_key_config_selectorIidEEZZNS1_16scan_by_key_implILNS1_25lookback_scan_determinismE0ELb1ES3_N6thrust23THRUST_200600_302600_NS6detail15normal_iteratorINS9_10device_ptrIiEEEENSB_INSC_IdEEEESG_dNS9_4plusIvEENS9_8equal_toIvEEdEE10hipError_tPvRmT2_T3_T4_T5_mT6_T7_P12ihipStream_tbENKUlT_T0_E_clISt17integral_constantIbLb1EES10_IbLb0EEEEDaSW_SX_EUlSW_E_NS1_11comp_targetILNS1_3genE5ELNS1_11target_archE942ELNS1_3gpuE9ELNS1_3repE0EEENS1_30default_config_static_selectorELNS0_4arch9wavefront6targetE1EEEvT1_
    .private_segment_fixed_size: 0
    .sgpr_count:     84
    .sgpr_spill_count: 0
    .symbol:         _ZN7rocprim17ROCPRIM_400000_NS6detail17trampoline_kernelINS0_14default_configENS1_27scan_by_key_config_selectorIidEEZZNS1_16scan_by_key_implILNS1_25lookback_scan_determinismE0ELb1ES3_N6thrust23THRUST_200600_302600_NS6detail15normal_iteratorINS9_10device_ptrIiEEEENSB_INSC_IdEEEESG_dNS9_4plusIvEENS9_8equal_toIvEEdEE10hipError_tPvRmT2_T3_T4_T5_mT6_T7_P12ihipStream_tbENKUlT_T0_E_clISt17integral_constantIbLb1EES10_IbLb0EEEEDaSW_SX_EUlSW_E_NS1_11comp_targetILNS1_3genE5ELNS1_11target_archE942ELNS1_3gpuE9ELNS1_3repE0EEENS1_30default_config_static_selectorELNS0_4arch9wavefront6targetE1EEEvT1_.kd
    .uniform_work_group_size: 1
    .uses_dynamic_stack: false
    .vgpr_count:     130
    .vgpr_spill_count: 0
    .wavefront_size: 64
  - .agpr_count:     0
    .args:
      - .offset:         0
        .size:           136
        .value_kind:     by_value
    .group_segment_fixed_size: 0
    .kernarg_segment_align: 8
    .kernarg_segment_size: 136
    .language:       OpenCL C
    .language_version:
      - 2
      - 0
    .max_flat_workgroup_size: 64
    .name:           _ZN7rocprim17ROCPRIM_400000_NS6detail17trampoline_kernelINS0_14default_configENS1_27scan_by_key_config_selectorIidEEZZNS1_16scan_by_key_implILNS1_25lookback_scan_determinismE0ELb1ES3_N6thrust23THRUST_200600_302600_NS6detail15normal_iteratorINS9_10device_ptrIiEEEENSB_INSC_IdEEEESG_dNS9_4plusIvEENS9_8equal_toIvEEdEE10hipError_tPvRmT2_T3_T4_T5_mT6_T7_P12ihipStream_tbENKUlT_T0_E_clISt17integral_constantIbLb1EES10_IbLb0EEEEDaSW_SX_EUlSW_E_NS1_11comp_targetILNS1_3genE4ELNS1_11target_archE910ELNS1_3gpuE8ELNS1_3repE0EEENS1_30default_config_static_selectorELNS0_4arch9wavefront6targetE1EEEvT1_
    .private_segment_fixed_size: 0
    .sgpr_count:     6
    .sgpr_spill_count: 0
    .symbol:         _ZN7rocprim17ROCPRIM_400000_NS6detail17trampoline_kernelINS0_14default_configENS1_27scan_by_key_config_selectorIidEEZZNS1_16scan_by_key_implILNS1_25lookback_scan_determinismE0ELb1ES3_N6thrust23THRUST_200600_302600_NS6detail15normal_iteratorINS9_10device_ptrIiEEEENSB_INSC_IdEEEESG_dNS9_4plusIvEENS9_8equal_toIvEEdEE10hipError_tPvRmT2_T3_T4_T5_mT6_T7_P12ihipStream_tbENKUlT_T0_E_clISt17integral_constantIbLb1EES10_IbLb0EEEEDaSW_SX_EUlSW_E_NS1_11comp_targetILNS1_3genE4ELNS1_11target_archE910ELNS1_3gpuE8ELNS1_3repE0EEENS1_30default_config_static_selectorELNS0_4arch9wavefront6targetE1EEEvT1_.kd
    .uniform_work_group_size: 1
    .uses_dynamic_stack: false
    .vgpr_count:     0
    .vgpr_spill_count: 0
    .wavefront_size: 64
  - .agpr_count:     0
    .args:
      - .offset:         0
        .size:           136
        .value_kind:     by_value
    .group_segment_fixed_size: 0
    .kernarg_segment_align: 8
    .kernarg_segment_size: 136
    .language:       OpenCL C
    .language_version:
      - 2
      - 0
    .max_flat_workgroup_size: 128
    .name:           _ZN7rocprim17ROCPRIM_400000_NS6detail17trampoline_kernelINS0_14default_configENS1_27scan_by_key_config_selectorIidEEZZNS1_16scan_by_key_implILNS1_25lookback_scan_determinismE0ELb1ES3_N6thrust23THRUST_200600_302600_NS6detail15normal_iteratorINS9_10device_ptrIiEEEENSB_INSC_IdEEEESG_dNS9_4plusIvEENS9_8equal_toIvEEdEE10hipError_tPvRmT2_T3_T4_T5_mT6_T7_P12ihipStream_tbENKUlT_T0_E_clISt17integral_constantIbLb1EES10_IbLb0EEEEDaSW_SX_EUlSW_E_NS1_11comp_targetILNS1_3genE3ELNS1_11target_archE908ELNS1_3gpuE7ELNS1_3repE0EEENS1_30default_config_static_selectorELNS0_4arch9wavefront6targetE1EEEvT1_
    .private_segment_fixed_size: 0
    .sgpr_count:     6
    .sgpr_spill_count: 0
    .symbol:         _ZN7rocprim17ROCPRIM_400000_NS6detail17trampoline_kernelINS0_14default_configENS1_27scan_by_key_config_selectorIidEEZZNS1_16scan_by_key_implILNS1_25lookback_scan_determinismE0ELb1ES3_N6thrust23THRUST_200600_302600_NS6detail15normal_iteratorINS9_10device_ptrIiEEEENSB_INSC_IdEEEESG_dNS9_4plusIvEENS9_8equal_toIvEEdEE10hipError_tPvRmT2_T3_T4_T5_mT6_T7_P12ihipStream_tbENKUlT_T0_E_clISt17integral_constantIbLb1EES10_IbLb0EEEEDaSW_SX_EUlSW_E_NS1_11comp_targetILNS1_3genE3ELNS1_11target_archE908ELNS1_3gpuE7ELNS1_3repE0EEENS1_30default_config_static_selectorELNS0_4arch9wavefront6targetE1EEEvT1_.kd
    .uniform_work_group_size: 1
    .uses_dynamic_stack: false
    .vgpr_count:     0
    .vgpr_spill_count: 0
    .wavefront_size: 64
  - .agpr_count:     0
    .args:
      - .offset:         0
        .size:           136
        .value_kind:     by_value
    .group_segment_fixed_size: 0
    .kernarg_segment_align: 8
    .kernarg_segment_size: 136
    .language:       OpenCL C
    .language_version:
      - 2
      - 0
    .max_flat_workgroup_size: 64
    .name:           _ZN7rocprim17ROCPRIM_400000_NS6detail17trampoline_kernelINS0_14default_configENS1_27scan_by_key_config_selectorIidEEZZNS1_16scan_by_key_implILNS1_25lookback_scan_determinismE0ELb1ES3_N6thrust23THRUST_200600_302600_NS6detail15normal_iteratorINS9_10device_ptrIiEEEENSB_INSC_IdEEEESG_dNS9_4plusIvEENS9_8equal_toIvEEdEE10hipError_tPvRmT2_T3_T4_T5_mT6_T7_P12ihipStream_tbENKUlT_T0_E_clISt17integral_constantIbLb1EES10_IbLb0EEEEDaSW_SX_EUlSW_E_NS1_11comp_targetILNS1_3genE2ELNS1_11target_archE906ELNS1_3gpuE6ELNS1_3repE0EEENS1_30default_config_static_selectorELNS0_4arch9wavefront6targetE1EEEvT1_
    .private_segment_fixed_size: 0
    .sgpr_count:     6
    .sgpr_spill_count: 0
    .symbol:         _ZN7rocprim17ROCPRIM_400000_NS6detail17trampoline_kernelINS0_14default_configENS1_27scan_by_key_config_selectorIidEEZZNS1_16scan_by_key_implILNS1_25lookback_scan_determinismE0ELb1ES3_N6thrust23THRUST_200600_302600_NS6detail15normal_iteratorINS9_10device_ptrIiEEEENSB_INSC_IdEEEESG_dNS9_4plusIvEENS9_8equal_toIvEEdEE10hipError_tPvRmT2_T3_T4_T5_mT6_T7_P12ihipStream_tbENKUlT_T0_E_clISt17integral_constantIbLb1EES10_IbLb0EEEEDaSW_SX_EUlSW_E_NS1_11comp_targetILNS1_3genE2ELNS1_11target_archE906ELNS1_3gpuE6ELNS1_3repE0EEENS1_30default_config_static_selectorELNS0_4arch9wavefront6targetE1EEEvT1_.kd
    .uniform_work_group_size: 1
    .uses_dynamic_stack: false
    .vgpr_count:     0
    .vgpr_spill_count: 0
    .wavefront_size: 64
  - .agpr_count:     0
    .args:
      - .offset:         0
        .size:           136
        .value_kind:     by_value
    .group_segment_fixed_size: 0
    .kernarg_segment_align: 8
    .kernarg_segment_size: 136
    .language:       OpenCL C
    .language_version:
      - 2
      - 0
    .max_flat_workgroup_size: 256
    .name:           _ZN7rocprim17ROCPRIM_400000_NS6detail17trampoline_kernelINS0_14default_configENS1_27scan_by_key_config_selectorIidEEZZNS1_16scan_by_key_implILNS1_25lookback_scan_determinismE0ELb1ES3_N6thrust23THRUST_200600_302600_NS6detail15normal_iteratorINS9_10device_ptrIiEEEENSB_INSC_IdEEEESG_dNS9_4plusIvEENS9_8equal_toIvEEdEE10hipError_tPvRmT2_T3_T4_T5_mT6_T7_P12ihipStream_tbENKUlT_T0_E_clISt17integral_constantIbLb1EES10_IbLb0EEEEDaSW_SX_EUlSW_E_NS1_11comp_targetILNS1_3genE10ELNS1_11target_archE1200ELNS1_3gpuE4ELNS1_3repE0EEENS1_30default_config_static_selectorELNS0_4arch9wavefront6targetE1EEEvT1_
    .private_segment_fixed_size: 0
    .sgpr_count:     6
    .sgpr_spill_count: 0
    .symbol:         _ZN7rocprim17ROCPRIM_400000_NS6detail17trampoline_kernelINS0_14default_configENS1_27scan_by_key_config_selectorIidEEZZNS1_16scan_by_key_implILNS1_25lookback_scan_determinismE0ELb1ES3_N6thrust23THRUST_200600_302600_NS6detail15normal_iteratorINS9_10device_ptrIiEEEENSB_INSC_IdEEEESG_dNS9_4plusIvEENS9_8equal_toIvEEdEE10hipError_tPvRmT2_T3_T4_T5_mT6_T7_P12ihipStream_tbENKUlT_T0_E_clISt17integral_constantIbLb1EES10_IbLb0EEEEDaSW_SX_EUlSW_E_NS1_11comp_targetILNS1_3genE10ELNS1_11target_archE1200ELNS1_3gpuE4ELNS1_3repE0EEENS1_30default_config_static_selectorELNS0_4arch9wavefront6targetE1EEEvT1_.kd
    .uniform_work_group_size: 1
    .uses_dynamic_stack: false
    .vgpr_count:     0
    .vgpr_spill_count: 0
    .wavefront_size: 64
  - .agpr_count:     0
    .args:
      - .offset:         0
        .size:           136
        .value_kind:     by_value
    .group_segment_fixed_size: 0
    .kernarg_segment_align: 8
    .kernarg_segment_size: 136
    .language:       OpenCL C
    .language_version:
      - 2
      - 0
    .max_flat_workgroup_size: 256
    .name:           _ZN7rocprim17ROCPRIM_400000_NS6detail17trampoline_kernelINS0_14default_configENS1_27scan_by_key_config_selectorIidEEZZNS1_16scan_by_key_implILNS1_25lookback_scan_determinismE0ELb1ES3_N6thrust23THRUST_200600_302600_NS6detail15normal_iteratorINS9_10device_ptrIiEEEENSB_INSC_IdEEEESG_dNS9_4plusIvEENS9_8equal_toIvEEdEE10hipError_tPvRmT2_T3_T4_T5_mT6_T7_P12ihipStream_tbENKUlT_T0_E_clISt17integral_constantIbLb1EES10_IbLb0EEEEDaSW_SX_EUlSW_E_NS1_11comp_targetILNS1_3genE9ELNS1_11target_archE1100ELNS1_3gpuE3ELNS1_3repE0EEENS1_30default_config_static_selectorELNS0_4arch9wavefront6targetE1EEEvT1_
    .private_segment_fixed_size: 0
    .sgpr_count:     6
    .sgpr_spill_count: 0
    .symbol:         _ZN7rocprim17ROCPRIM_400000_NS6detail17trampoline_kernelINS0_14default_configENS1_27scan_by_key_config_selectorIidEEZZNS1_16scan_by_key_implILNS1_25lookback_scan_determinismE0ELb1ES3_N6thrust23THRUST_200600_302600_NS6detail15normal_iteratorINS9_10device_ptrIiEEEENSB_INSC_IdEEEESG_dNS9_4plusIvEENS9_8equal_toIvEEdEE10hipError_tPvRmT2_T3_T4_T5_mT6_T7_P12ihipStream_tbENKUlT_T0_E_clISt17integral_constantIbLb1EES10_IbLb0EEEEDaSW_SX_EUlSW_E_NS1_11comp_targetILNS1_3genE9ELNS1_11target_archE1100ELNS1_3gpuE3ELNS1_3repE0EEENS1_30default_config_static_selectorELNS0_4arch9wavefront6targetE1EEEvT1_.kd
    .uniform_work_group_size: 1
    .uses_dynamic_stack: false
    .vgpr_count:     0
    .vgpr_spill_count: 0
    .wavefront_size: 64
  - .agpr_count:     0
    .args:
      - .offset:         0
        .size:           136
        .value_kind:     by_value
    .group_segment_fixed_size: 0
    .kernarg_segment_align: 8
    .kernarg_segment_size: 136
    .language:       OpenCL C
    .language_version:
      - 2
      - 0
    .max_flat_workgroup_size: 256
    .name:           _ZN7rocprim17ROCPRIM_400000_NS6detail17trampoline_kernelINS0_14default_configENS1_27scan_by_key_config_selectorIidEEZZNS1_16scan_by_key_implILNS1_25lookback_scan_determinismE0ELb1ES3_N6thrust23THRUST_200600_302600_NS6detail15normal_iteratorINS9_10device_ptrIiEEEENSB_INSC_IdEEEESG_dNS9_4plusIvEENS9_8equal_toIvEEdEE10hipError_tPvRmT2_T3_T4_T5_mT6_T7_P12ihipStream_tbENKUlT_T0_E_clISt17integral_constantIbLb1EES10_IbLb0EEEEDaSW_SX_EUlSW_E_NS1_11comp_targetILNS1_3genE8ELNS1_11target_archE1030ELNS1_3gpuE2ELNS1_3repE0EEENS1_30default_config_static_selectorELNS0_4arch9wavefront6targetE1EEEvT1_
    .private_segment_fixed_size: 0
    .sgpr_count:     6
    .sgpr_spill_count: 0
    .symbol:         _ZN7rocprim17ROCPRIM_400000_NS6detail17trampoline_kernelINS0_14default_configENS1_27scan_by_key_config_selectorIidEEZZNS1_16scan_by_key_implILNS1_25lookback_scan_determinismE0ELb1ES3_N6thrust23THRUST_200600_302600_NS6detail15normal_iteratorINS9_10device_ptrIiEEEENSB_INSC_IdEEEESG_dNS9_4plusIvEENS9_8equal_toIvEEdEE10hipError_tPvRmT2_T3_T4_T5_mT6_T7_P12ihipStream_tbENKUlT_T0_E_clISt17integral_constantIbLb1EES10_IbLb0EEEEDaSW_SX_EUlSW_E_NS1_11comp_targetILNS1_3genE8ELNS1_11target_archE1030ELNS1_3gpuE2ELNS1_3repE0EEENS1_30default_config_static_selectorELNS0_4arch9wavefront6targetE1EEEvT1_.kd
    .uniform_work_group_size: 1
    .uses_dynamic_stack: false
    .vgpr_count:     0
    .vgpr_spill_count: 0
    .wavefront_size: 64
  - .agpr_count:     0
    .args:
      - .offset:         0
        .size:           136
        .value_kind:     by_value
    .group_segment_fixed_size: 0
    .kernarg_segment_align: 8
    .kernarg_segment_size: 136
    .language:       OpenCL C
    .language_version:
      - 2
      - 0
    .max_flat_workgroup_size: 128
    .name:           _ZN7rocprim17ROCPRIM_400000_NS6detail17trampoline_kernelINS0_14default_configENS1_27scan_by_key_config_selectorIidEEZZNS1_16scan_by_key_implILNS1_25lookback_scan_determinismE0ELb1ES3_N6thrust23THRUST_200600_302600_NS6detail15normal_iteratorINS9_10device_ptrIiEEEENSB_INSC_IdEEEESG_dNS9_4plusIvEENS9_8equal_toIvEEdEE10hipError_tPvRmT2_T3_T4_T5_mT6_T7_P12ihipStream_tbENKUlT_T0_E_clISt17integral_constantIbLb0EES10_IbLb1EEEEDaSW_SX_EUlSW_E_NS1_11comp_targetILNS1_3genE0ELNS1_11target_archE4294967295ELNS1_3gpuE0ELNS1_3repE0EEENS1_30default_config_static_selectorELNS0_4arch9wavefront6targetE1EEEvT1_
    .private_segment_fixed_size: 0
    .sgpr_count:     6
    .sgpr_spill_count: 0
    .symbol:         _ZN7rocprim17ROCPRIM_400000_NS6detail17trampoline_kernelINS0_14default_configENS1_27scan_by_key_config_selectorIidEEZZNS1_16scan_by_key_implILNS1_25lookback_scan_determinismE0ELb1ES3_N6thrust23THRUST_200600_302600_NS6detail15normal_iteratorINS9_10device_ptrIiEEEENSB_INSC_IdEEEESG_dNS9_4plusIvEENS9_8equal_toIvEEdEE10hipError_tPvRmT2_T3_T4_T5_mT6_T7_P12ihipStream_tbENKUlT_T0_E_clISt17integral_constantIbLb0EES10_IbLb1EEEEDaSW_SX_EUlSW_E_NS1_11comp_targetILNS1_3genE0ELNS1_11target_archE4294967295ELNS1_3gpuE0ELNS1_3repE0EEENS1_30default_config_static_selectorELNS0_4arch9wavefront6targetE1EEEvT1_.kd
    .uniform_work_group_size: 1
    .uses_dynamic_stack: false
    .vgpr_count:     0
    .vgpr_spill_count: 0
    .wavefront_size: 64
  - .agpr_count:     0
    .args:
      - .offset:         0
        .size:           136
        .value_kind:     by_value
    .group_segment_fixed_size: 0
    .kernarg_segment_align: 8
    .kernarg_segment_size: 136
    .language:       OpenCL C
    .language_version:
      - 2
      - 0
    .max_flat_workgroup_size: 256
    .name:           _ZN7rocprim17ROCPRIM_400000_NS6detail17trampoline_kernelINS0_14default_configENS1_27scan_by_key_config_selectorIidEEZZNS1_16scan_by_key_implILNS1_25lookback_scan_determinismE0ELb1ES3_N6thrust23THRUST_200600_302600_NS6detail15normal_iteratorINS9_10device_ptrIiEEEENSB_INSC_IdEEEESG_dNS9_4plusIvEENS9_8equal_toIvEEdEE10hipError_tPvRmT2_T3_T4_T5_mT6_T7_P12ihipStream_tbENKUlT_T0_E_clISt17integral_constantIbLb0EES10_IbLb1EEEEDaSW_SX_EUlSW_E_NS1_11comp_targetILNS1_3genE10ELNS1_11target_archE1201ELNS1_3gpuE5ELNS1_3repE0EEENS1_30default_config_static_selectorELNS0_4arch9wavefront6targetE1EEEvT1_
    .private_segment_fixed_size: 0
    .sgpr_count:     6
    .sgpr_spill_count: 0
    .symbol:         _ZN7rocprim17ROCPRIM_400000_NS6detail17trampoline_kernelINS0_14default_configENS1_27scan_by_key_config_selectorIidEEZZNS1_16scan_by_key_implILNS1_25lookback_scan_determinismE0ELb1ES3_N6thrust23THRUST_200600_302600_NS6detail15normal_iteratorINS9_10device_ptrIiEEEENSB_INSC_IdEEEESG_dNS9_4plusIvEENS9_8equal_toIvEEdEE10hipError_tPvRmT2_T3_T4_T5_mT6_T7_P12ihipStream_tbENKUlT_T0_E_clISt17integral_constantIbLb0EES10_IbLb1EEEEDaSW_SX_EUlSW_E_NS1_11comp_targetILNS1_3genE10ELNS1_11target_archE1201ELNS1_3gpuE5ELNS1_3repE0EEENS1_30default_config_static_selectorELNS0_4arch9wavefront6targetE1EEEvT1_.kd
    .uniform_work_group_size: 1
    .uses_dynamic_stack: false
    .vgpr_count:     0
    .vgpr_spill_count: 0
    .wavefront_size: 64
  - .agpr_count:     0
    .args:
      - .offset:         0
        .size:           136
        .value_kind:     by_value
    .group_segment_fixed_size: 43008
    .kernarg_segment_align: 8
    .kernarg_segment_size: 136
    .language:       OpenCL C
    .language_version:
      - 2
      - 0
    .max_flat_workgroup_size: 256
    .name:           _ZN7rocprim17ROCPRIM_400000_NS6detail17trampoline_kernelINS0_14default_configENS1_27scan_by_key_config_selectorIidEEZZNS1_16scan_by_key_implILNS1_25lookback_scan_determinismE0ELb1ES3_N6thrust23THRUST_200600_302600_NS6detail15normal_iteratorINS9_10device_ptrIiEEEENSB_INSC_IdEEEESG_dNS9_4plusIvEENS9_8equal_toIvEEdEE10hipError_tPvRmT2_T3_T4_T5_mT6_T7_P12ihipStream_tbENKUlT_T0_E_clISt17integral_constantIbLb0EES10_IbLb1EEEEDaSW_SX_EUlSW_E_NS1_11comp_targetILNS1_3genE5ELNS1_11target_archE942ELNS1_3gpuE9ELNS1_3repE0EEENS1_30default_config_static_selectorELNS0_4arch9wavefront6targetE1EEEvT1_
    .private_segment_fixed_size: 0
    .sgpr_count:     79
    .sgpr_spill_count: 0
    .symbol:         _ZN7rocprim17ROCPRIM_400000_NS6detail17trampoline_kernelINS0_14default_configENS1_27scan_by_key_config_selectorIidEEZZNS1_16scan_by_key_implILNS1_25lookback_scan_determinismE0ELb1ES3_N6thrust23THRUST_200600_302600_NS6detail15normal_iteratorINS9_10device_ptrIiEEEENSB_INSC_IdEEEESG_dNS9_4plusIvEENS9_8equal_toIvEEdEE10hipError_tPvRmT2_T3_T4_T5_mT6_T7_P12ihipStream_tbENKUlT_T0_E_clISt17integral_constantIbLb0EES10_IbLb1EEEEDaSW_SX_EUlSW_E_NS1_11comp_targetILNS1_3genE5ELNS1_11target_archE942ELNS1_3gpuE9ELNS1_3repE0EEENS1_30default_config_static_selectorELNS0_4arch9wavefront6targetE1EEEvT1_.kd
    .uniform_work_group_size: 1
    .uses_dynamic_stack: false
    .vgpr_count:     132
    .vgpr_spill_count: 0
    .wavefront_size: 64
  - .agpr_count:     0
    .args:
      - .offset:         0
        .size:           136
        .value_kind:     by_value
    .group_segment_fixed_size: 0
    .kernarg_segment_align: 8
    .kernarg_segment_size: 136
    .language:       OpenCL C
    .language_version:
      - 2
      - 0
    .max_flat_workgroup_size: 64
    .name:           _ZN7rocprim17ROCPRIM_400000_NS6detail17trampoline_kernelINS0_14default_configENS1_27scan_by_key_config_selectorIidEEZZNS1_16scan_by_key_implILNS1_25lookback_scan_determinismE0ELb1ES3_N6thrust23THRUST_200600_302600_NS6detail15normal_iteratorINS9_10device_ptrIiEEEENSB_INSC_IdEEEESG_dNS9_4plusIvEENS9_8equal_toIvEEdEE10hipError_tPvRmT2_T3_T4_T5_mT6_T7_P12ihipStream_tbENKUlT_T0_E_clISt17integral_constantIbLb0EES10_IbLb1EEEEDaSW_SX_EUlSW_E_NS1_11comp_targetILNS1_3genE4ELNS1_11target_archE910ELNS1_3gpuE8ELNS1_3repE0EEENS1_30default_config_static_selectorELNS0_4arch9wavefront6targetE1EEEvT1_
    .private_segment_fixed_size: 0
    .sgpr_count:     6
    .sgpr_spill_count: 0
    .symbol:         _ZN7rocprim17ROCPRIM_400000_NS6detail17trampoline_kernelINS0_14default_configENS1_27scan_by_key_config_selectorIidEEZZNS1_16scan_by_key_implILNS1_25lookback_scan_determinismE0ELb1ES3_N6thrust23THRUST_200600_302600_NS6detail15normal_iteratorINS9_10device_ptrIiEEEENSB_INSC_IdEEEESG_dNS9_4plusIvEENS9_8equal_toIvEEdEE10hipError_tPvRmT2_T3_T4_T5_mT6_T7_P12ihipStream_tbENKUlT_T0_E_clISt17integral_constantIbLb0EES10_IbLb1EEEEDaSW_SX_EUlSW_E_NS1_11comp_targetILNS1_3genE4ELNS1_11target_archE910ELNS1_3gpuE8ELNS1_3repE0EEENS1_30default_config_static_selectorELNS0_4arch9wavefront6targetE1EEEvT1_.kd
    .uniform_work_group_size: 1
    .uses_dynamic_stack: false
    .vgpr_count:     0
    .vgpr_spill_count: 0
    .wavefront_size: 64
  - .agpr_count:     0
    .args:
      - .offset:         0
        .size:           136
        .value_kind:     by_value
    .group_segment_fixed_size: 0
    .kernarg_segment_align: 8
    .kernarg_segment_size: 136
    .language:       OpenCL C
    .language_version:
      - 2
      - 0
    .max_flat_workgroup_size: 128
    .name:           _ZN7rocprim17ROCPRIM_400000_NS6detail17trampoline_kernelINS0_14default_configENS1_27scan_by_key_config_selectorIidEEZZNS1_16scan_by_key_implILNS1_25lookback_scan_determinismE0ELb1ES3_N6thrust23THRUST_200600_302600_NS6detail15normal_iteratorINS9_10device_ptrIiEEEENSB_INSC_IdEEEESG_dNS9_4plusIvEENS9_8equal_toIvEEdEE10hipError_tPvRmT2_T3_T4_T5_mT6_T7_P12ihipStream_tbENKUlT_T0_E_clISt17integral_constantIbLb0EES10_IbLb1EEEEDaSW_SX_EUlSW_E_NS1_11comp_targetILNS1_3genE3ELNS1_11target_archE908ELNS1_3gpuE7ELNS1_3repE0EEENS1_30default_config_static_selectorELNS0_4arch9wavefront6targetE1EEEvT1_
    .private_segment_fixed_size: 0
    .sgpr_count:     6
    .sgpr_spill_count: 0
    .symbol:         _ZN7rocprim17ROCPRIM_400000_NS6detail17trampoline_kernelINS0_14default_configENS1_27scan_by_key_config_selectorIidEEZZNS1_16scan_by_key_implILNS1_25lookback_scan_determinismE0ELb1ES3_N6thrust23THRUST_200600_302600_NS6detail15normal_iteratorINS9_10device_ptrIiEEEENSB_INSC_IdEEEESG_dNS9_4plusIvEENS9_8equal_toIvEEdEE10hipError_tPvRmT2_T3_T4_T5_mT6_T7_P12ihipStream_tbENKUlT_T0_E_clISt17integral_constantIbLb0EES10_IbLb1EEEEDaSW_SX_EUlSW_E_NS1_11comp_targetILNS1_3genE3ELNS1_11target_archE908ELNS1_3gpuE7ELNS1_3repE0EEENS1_30default_config_static_selectorELNS0_4arch9wavefront6targetE1EEEvT1_.kd
    .uniform_work_group_size: 1
    .uses_dynamic_stack: false
    .vgpr_count:     0
    .vgpr_spill_count: 0
    .wavefront_size: 64
  - .agpr_count:     0
    .args:
      - .offset:         0
        .size:           136
        .value_kind:     by_value
    .group_segment_fixed_size: 0
    .kernarg_segment_align: 8
    .kernarg_segment_size: 136
    .language:       OpenCL C
    .language_version:
      - 2
      - 0
    .max_flat_workgroup_size: 64
    .name:           _ZN7rocprim17ROCPRIM_400000_NS6detail17trampoline_kernelINS0_14default_configENS1_27scan_by_key_config_selectorIidEEZZNS1_16scan_by_key_implILNS1_25lookback_scan_determinismE0ELb1ES3_N6thrust23THRUST_200600_302600_NS6detail15normal_iteratorINS9_10device_ptrIiEEEENSB_INSC_IdEEEESG_dNS9_4plusIvEENS9_8equal_toIvEEdEE10hipError_tPvRmT2_T3_T4_T5_mT6_T7_P12ihipStream_tbENKUlT_T0_E_clISt17integral_constantIbLb0EES10_IbLb1EEEEDaSW_SX_EUlSW_E_NS1_11comp_targetILNS1_3genE2ELNS1_11target_archE906ELNS1_3gpuE6ELNS1_3repE0EEENS1_30default_config_static_selectorELNS0_4arch9wavefront6targetE1EEEvT1_
    .private_segment_fixed_size: 0
    .sgpr_count:     6
    .sgpr_spill_count: 0
    .symbol:         _ZN7rocprim17ROCPRIM_400000_NS6detail17trampoline_kernelINS0_14default_configENS1_27scan_by_key_config_selectorIidEEZZNS1_16scan_by_key_implILNS1_25lookback_scan_determinismE0ELb1ES3_N6thrust23THRUST_200600_302600_NS6detail15normal_iteratorINS9_10device_ptrIiEEEENSB_INSC_IdEEEESG_dNS9_4plusIvEENS9_8equal_toIvEEdEE10hipError_tPvRmT2_T3_T4_T5_mT6_T7_P12ihipStream_tbENKUlT_T0_E_clISt17integral_constantIbLb0EES10_IbLb1EEEEDaSW_SX_EUlSW_E_NS1_11comp_targetILNS1_3genE2ELNS1_11target_archE906ELNS1_3gpuE6ELNS1_3repE0EEENS1_30default_config_static_selectorELNS0_4arch9wavefront6targetE1EEEvT1_.kd
    .uniform_work_group_size: 1
    .uses_dynamic_stack: false
    .vgpr_count:     0
    .vgpr_spill_count: 0
    .wavefront_size: 64
  - .agpr_count:     0
    .args:
      - .offset:         0
        .size:           136
        .value_kind:     by_value
    .group_segment_fixed_size: 0
    .kernarg_segment_align: 8
    .kernarg_segment_size: 136
    .language:       OpenCL C
    .language_version:
      - 2
      - 0
    .max_flat_workgroup_size: 256
    .name:           _ZN7rocprim17ROCPRIM_400000_NS6detail17trampoline_kernelINS0_14default_configENS1_27scan_by_key_config_selectorIidEEZZNS1_16scan_by_key_implILNS1_25lookback_scan_determinismE0ELb1ES3_N6thrust23THRUST_200600_302600_NS6detail15normal_iteratorINS9_10device_ptrIiEEEENSB_INSC_IdEEEESG_dNS9_4plusIvEENS9_8equal_toIvEEdEE10hipError_tPvRmT2_T3_T4_T5_mT6_T7_P12ihipStream_tbENKUlT_T0_E_clISt17integral_constantIbLb0EES10_IbLb1EEEEDaSW_SX_EUlSW_E_NS1_11comp_targetILNS1_3genE10ELNS1_11target_archE1200ELNS1_3gpuE4ELNS1_3repE0EEENS1_30default_config_static_selectorELNS0_4arch9wavefront6targetE1EEEvT1_
    .private_segment_fixed_size: 0
    .sgpr_count:     6
    .sgpr_spill_count: 0
    .symbol:         _ZN7rocprim17ROCPRIM_400000_NS6detail17trampoline_kernelINS0_14default_configENS1_27scan_by_key_config_selectorIidEEZZNS1_16scan_by_key_implILNS1_25lookback_scan_determinismE0ELb1ES3_N6thrust23THRUST_200600_302600_NS6detail15normal_iteratorINS9_10device_ptrIiEEEENSB_INSC_IdEEEESG_dNS9_4plusIvEENS9_8equal_toIvEEdEE10hipError_tPvRmT2_T3_T4_T5_mT6_T7_P12ihipStream_tbENKUlT_T0_E_clISt17integral_constantIbLb0EES10_IbLb1EEEEDaSW_SX_EUlSW_E_NS1_11comp_targetILNS1_3genE10ELNS1_11target_archE1200ELNS1_3gpuE4ELNS1_3repE0EEENS1_30default_config_static_selectorELNS0_4arch9wavefront6targetE1EEEvT1_.kd
    .uniform_work_group_size: 1
    .uses_dynamic_stack: false
    .vgpr_count:     0
    .vgpr_spill_count: 0
    .wavefront_size: 64
  - .agpr_count:     0
    .args:
      - .offset:         0
        .size:           136
        .value_kind:     by_value
    .group_segment_fixed_size: 0
    .kernarg_segment_align: 8
    .kernarg_segment_size: 136
    .language:       OpenCL C
    .language_version:
      - 2
      - 0
    .max_flat_workgroup_size: 256
    .name:           _ZN7rocprim17ROCPRIM_400000_NS6detail17trampoline_kernelINS0_14default_configENS1_27scan_by_key_config_selectorIidEEZZNS1_16scan_by_key_implILNS1_25lookback_scan_determinismE0ELb1ES3_N6thrust23THRUST_200600_302600_NS6detail15normal_iteratorINS9_10device_ptrIiEEEENSB_INSC_IdEEEESG_dNS9_4plusIvEENS9_8equal_toIvEEdEE10hipError_tPvRmT2_T3_T4_T5_mT6_T7_P12ihipStream_tbENKUlT_T0_E_clISt17integral_constantIbLb0EES10_IbLb1EEEEDaSW_SX_EUlSW_E_NS1_11comp_targetILNS1_3genE9ELNS1_11target_archE1100ELNS1_3gpuE3ELNS1_3repE0EEENS1_30default_config_static_selectorELNS0_4arch9wavefront6targetE1EEEvT1_
    .private_segment_fixed_size: 0
    .sgpr_count:     6
    .sgpr_spill_count: 0
    .symbol:         _ZN7rocprim17ROCPRIM_400000_NS6detail17trampoline_kernelINS0_14default_configENS1_27scan_by_key_config_selectorIidEEZZNS1_16scan_by_key_implILNS1_25lookback_scan_determinismE0ELb1ES3_N6thrust23THRUST_200600_302600_NS6detail15normal_iteratorINS9_10device_ptrIiEEEENSB_INSC_IdEEEESG_dNS9_4plusIvEENS9_8equal_toIvEEdEE10hipError_tPvRmT2_T3_T4_T5_mT6_T7_P12ihipStream_tbENKUlT_T0_E_clISt17integral_constantIbLb0EES10_IbLb1EEEEDaSW_SX_EUlSW_E_NS1_11comp_targetILNS1_3genE9ELNS1_11target_archE1100ELNS1_3gpuE3ELNS1_3repE0EEENS1_30default_config_static_selectorELNS0_4arch9wavefront6targetE1EEEvT1_.kd
    .uniform_work_group_size: 1
    .uses_dynamic_stack: false
    .vgpr_count:     0
    .vgpr_spill_count: 0
    .wavefront_size: 64
  - .agpr_count:     0
    .args:
      - .offset:         0
        .size:           136
        .value_kind:     by_value
    .group_segment_fixed_size: 0
    .kernarg_segment_align: 8
    .kernarg_segment_size: 136
    .language:       OpenCL C
    .language_version:
      - 2
      - 0
    .max_flat_workgroup_size: 256
    .name:           _ZN7rocprim17ROCPRIM_400000_NS6detail17trampoline_kernelINS0_14default_configENS1_27scan_by_key_config_selectorIidEEZZNS1_16scan_by_key_implILNS1_25lookback_scan_determinismE0ELb1ES3_N6thrust23THRUST_200600_302600_NS6detail15normal_iteratorINS9_10device_ptrIiEEEENSB_INSC_IdEEEESG_dNS9_4plusIvEENS9_8equal_toIvEEdEE10hipError_tPvRmT2_T3_T4_T5_mT6_T7_P12ihipStream_tbENKUlT_T0_E_clISt17integral_constantIbLb0EES10_IbLb1EEEEDaSW_SX_EUlSW_E_NS1_11comp_targetILNS1_3genE8ELNS1_11target_archE1030ELNS1_3gpuE2ELNS1_3repE0EEENS1_30default_config_static_selectorELNS0_4arch9wavefront6targetE1EEEvT1_
    .private_segment_fixed_size: 0
    .sgpr_count:     6
    .sgpr_spill_count: 0
    .symbol:         _ZN7rocprim17ROCPRIM_400000_NS6detail17trampoline_kernelINS0_14default_configENS1_27scan_by_key_config_selectorIidEEZZNS1_16scan_by_key_implILNS1_25lookback_scan_determinismE0ELb1ES3_N6thrust23THRUST_200600_302600_NS6detail15normal_iteratorINS9_10device_ptrIiEEEENSB_INSC_IdEEEESG_dNS9_4plusIvEENS9_8equal_toIvEEdEE10hipError_tPvRmT2_T3_T4_T5_mT6_T7_P12ihipStream_tbENKUlT_T0_E_clISt17integral_constantIbLb0EES10_IbLb1EEEEDaSW_SX_EUlSW_E_NS1_11comp_targetILNS1_3genE8ELNS1_11target_archE1030ELNS1_3gpuE2ELNS1_3repE0EEENS1_30default_config_static_selectorELNS0_4arch9wavefront6targetE1EEEvT1_.kd
    .uniform_work_group_size: 1
    .uses_dynamic_stack: false
    .vgpr_count:     0
    .vgpr_spill_count: 0
    .wavefront_size: 64
  - .agpr_count:     0
    .args:
      - .offset:         0
        .size:           112
        .value_kind:     by_value
    .group_segment_fixed_size: 0
    .kernarg_segment_align: 8
    .kernarg_segment_size: 112
    .language:       OpenCL C
    .language_version:
      - 2
      - 0
    .max_flat_workgroup_size: 256
    .name:           _ZN7rocprim17ROCPRIM_400000_NS6detail17trampoline_kernelINS0_14default_configENS1_27scan_by_key_config_selectorIifEEZZNS1_16scan_by_key_implILNS1_25lookback_scan_determinismE0ELb1ES3_N6thrust23THRUST_200600_302600_NS6detail15normal_iteratorINS9_10device_ptrIiEEEENSB_INSC_IfEEEESG_fNS9_4plusIvEENS9_8equal_toIvEEfEE10hipError_tPvRmT2_T3_T4_T5_mT6_T7_P12ihipStream_tbENKUlT_T0_E_clISt17integral_constantIbLb0EES11_EEDaSW_SX_EUlSW_E_NS1_11comp_targetILNS1_3genE0ELNS1_11target_archE4294967295ELNS1_3gpuE0ELNS1_3repE0EEENS1_30default_config_static_selectorELNS0_4arch9wavefront6targetE1EEEvT1_
    .private_segment_fixed_size: 0
    .sgpr_count:     6
    .sgpr_spill_count: 0
    .symbol:         _ZN7rocprim17ROCPRIM_400000_NS6detail17trampoline_kernelINS0_14default_configENS1_27scan_by_key_config_selectorIifEEZZNS1_16scan_by_key_implILNS1_25lookback_scan_determinismE0ELb1ES3_N6thrust23THRUST_200600_302600_NS6detail15normal_iteratorINS9_10device_ptrIiEEEENSB_INSC_IfEEEESG_fNS9_4plusIvEENS9_8equal_toIvEEfEE10hipError_tPvRmT2_T3_T4_T5_mT6_T7_P12ihipStream_tbENKUlT_T0_E_clISt17integral_constantIbLb0EES11_EEDaSW_SX_EUlSW_E_NS1_11comp_targetILNS1_3genE0ELNS1_11target_archE4294967295ELNS1_3gpuE0ELNS1_3repE0EEENS1_30default_config_static_selectorELNS0_4arch9wavefront6targetE1EEEvT1_.kd
    .uniform_work_group_size: 1
    .uses_dynamic_stack: false
    .vgpr_count:     0
    .vgpr_spill_count: 0
    .wavefront_size: 64
  - .agpr_count:     0
    .args:
      - .offset:         0
        .size:           112
        .value_kind:     by_value
    .group_segment_fixed_size: 0
    .kernarg_segment_align: 8
    .kernarg_segment_size: 112
    .language:       OpenCL C
    .language_version:
      - 2
      - 0
    .max_flat_workgroup_size: 256
    .name:           _ZN7rocprim17ROCPRIM_400000_NS6detail17trampoline_kernelINS0_14default_configENS1_27scan_by_key_config_selectorIifEEZZNS1_16scan_by_key_implILNS1_25lookback_scan_determinismE0ELb1ES3_N6thrust23THRUST_200600_302600_NS6detail15normal_iteratorINS9_10device_ptrIiEEEENSB_INSC_IfEEEESG_fNS9_4plusIvEENS9_8equal_toIvEEfEE10hipError_tPvRmT2_T3_T4_T5_mT6_T7_P12ihipStream_tbENKUlT_T0_E_clISt17integral_constantIbLb0EES11_EEDaSW_SX_EUlSW_E_NS1_11comp_targetILNS1_3genE10ELNS1_11target_archE1201ELNS1_3gpuE5ELNS1_3repE0EEENS1_30default_config_static_selectorELNS0_4arch9wavefront6targetE1EEEvT1_
    .private_segment_fixed_size: 0
    .sgpr_count:     6
    .sgpr_spill_count: 0
    .symbol:         _ZN7rocprim17ROCPRIM_400000_NS6detail17trampoline_kernelINS0_14default_configENS1_27scan_by_key_config_selectorIifEEZZNS1_16scan_by_key_implILNS1_25lookback_scan_determinismE0ELb1ES3_N6thrust23THRUST_200600_302600_NS6detail15normal_iteratorINS9_10device_ptrIiEEEENSB_INSC_IfEEEESG_fNS9_4plusIvEENS9_8equal_toIvEEfEE10hipError_tPvRmT2_T3_T4_T5_mT6_T7_P12ihipStream_tbENKUlT_T0_E_clISt17integral_constantIbLb0EES11_EEDaSW_SX_EUlSW_E_NS1_11comp_targetILNS1_3genE10ELNS1_11target_archE1201ELNS1_3gpuE5ELNS1_3repE0EEENS1_30default_config_static_selectorELNS0_4arch9wavefront6targetE1EEEvT1_.kd
    .uniform_work_group_size: 1
    .uses_dynamic_stack: false
    .vgpr_count:     0
    .vgpr_spill_count: 0
    .wavefront_size: 64
  - .agpr_count:     0
    .args:
      - .offset:         0
        .size:           112
        .value_kind:     by_value
    .group_segment_fixed_size: 25600
    .kernarg_segment_align: 8
    .kernarg_segment_size: 112
    .language:       OpenCL C
    .language_version:
      - 2
      - 0
    .max_flat_workgroup_size: 256
    .name:           _ZN7rocprim17ROCPRIM_400000_NS6detail17trampoline_kernelINS0_14default_configENS1_27scan_by_key_config_selectorIifEEZZNS1_16scan_by_key_implILNS1_25lookback_scan_determinismE0ELb1ES3_N6thrust23THRUST_200600_302600_NS6detail15normal_iteratorINS9_10device_ptrIiEEEENSB_INSC_IfEEEESG_fNS9_4plusIvEENS9_8equal_toIvEEfEE10hipError_tPvRmT2_T3_T4_T5_mT6_T7_P12ihipStream_tbENKUlT_T0_E_clISt17integral_constantIbLb0EES11_EEDaSW_SX_EUlSW_E_NS1_11comp_targetILNS1_3genE5ELNS1_11target_archE942ELNS1_3gpuE9ELNS1_3repE0EEENS1_30default_config_static_selectorELNS0_4arch9wavefront6targetE1EEEvT1_
    .private_segment_fixed_size: 0
    .sgpr_count:     86
    .sgpr_spill_count: 0
    .symbol:         _ZN7rocprim17ROCPRIM_400000_NS6detail17trampoline_kernelINS0_14default_configENS1_27scan_by_key_config_selectorIifEEZZNS1_16scan_by_key_implILNS1_25lookback_scan_determinismE0ELb1ES3_N6thrust23THRUST_200600_302600_NS6detail15normal_iteratorINS9_10device_ptrIiEEEENSB_INSC_IfEEEESG_fNS9_4plusIvEENS9_8equal_toIvEEfEE10hipError_tPvRmT2_T3_T4_T5_mT6_T7_P12ihipStream_tbENKUlT_T0_E_clISt17integral_constantIbLb0EES11_EEDaSW_SX_EUlSW_E_NS1_11comp_targetILNS1_3genE5ELNS1_11target_archE942ELNS1_3gpuE9ELNS1_3repE0EEENS1_30default_config_static_selectorELNS0_4arch9wavefront6targetE1EEEvT1_.kd
    .uniform_work_group_size: 1
    .uses_dynamic_stack: false
    .vgpr_count:     92
    .vgpr_spill_count: 0
    .wavefront_size: 64
  - .agpr_count:     0
    .args:
      - .offset:         0
        .size:           112
        .value_kind:     by_value
    .group_segment_fixed_size: 0
    .kernarg_segment_align: 8
    .kernarg_segment_size: 112
    .language:       OpenCL C
    .language_version:
      - 2
      - 0
    .max_flat_workgroup_size: 256
    .name:           _ZN7rocprim17ROCPRIM_400000_NS6detail17trampoline_kernelINS0_14default_configENS1_27scan_by_key_config_selectorIifEEZZNS1_16scan_by_key_implILNS1_25lookback_scan_determinismE0ELb1ES3_N6thrust23THRUST_200600_302600_NS6detail15normal_iteratorINS9_10device_ptrIiEEEENSB_INSC_IfEEEESG_fNS9_4plusIvEENS9_8equal_toIvEEfEE10hipError_tPvRmT2_T3_T4_T5_mT6_T7_P12ihipStream_tbENKUlT_T0_E_clISt17integral_constantIbLb0EES11_EEDaSW_SX_EUlSW_E_NS1_11comp_targetILNS1_3genE4ELNS1_11target_archE910ELNS1_3gpuE8ELNS1_3repE0EEENS1_30default_config_static_selectorELNS0_4arch9wavefront6targetE1EEEvT1_
    .private_segment_fixed_size: 0
    .sgpr_count:     6
    .sgpr_spill_count: 0
    .symbol:         _ZN7rocprim17ROCPRIM_400000_NS6detail17trampoline_kernelINS0_14default_configENS1_27scan_by_key_config_selectorIifEEZZNS1_16scan_by_key_implILNS1_25lookback_scan_determinismE0ELb1ES3_N6thrust23THRUST_200600_302600_NS6detail15normal_iteratorINS9_10device_ptrIiEEEENSB_INSC_IfEEEESG_fNS9_4plusIvEENS9_8equal_toIvEEfEE10hipError_tPvRmT2_T3_T4_T5_mT6_T7_P12ihipStream_tbENKUlT_T0_E_clISt17integral_constantIbLb0EES11_EEDaSW_SX_EUlSW_E_NS1_11comp_targetILNS1_3genE4ELNS1_11target_archE910ELNS1_3gpuE8ELNS1_3repE0EEENS1_30default_config_static_selectorELNS0_4arch9wavefront6targetE1EEEvT1_.kd
    .uniform_work_group_size: 1
    .uses_dynamic_stack: false
    .vgpr_count:     0
    .vgpr_spill_count: 0
    .wavefront_size: 64
  - .agpr_count:     0
    .args:
      - .offset:         0
        .size:           112
        .value_kind:     by_value
    .group_segment_fixed_size: 0
    .kernarg_segment_align: 8
    .kernarg_segment_size: 112
    .language:       OpenCL C
    .language_version:
      - 2
      - 0
    .max_flat_workgroup_size: 256
    .name:           _ZN7rocprim17ROCPRIM_400000_NS6detail17trampoline_kernelINS0_14default_configENS1_27scan_by_key_config_selectorIifEEZZNS1_16scan_by_key_implILNS1_25lookback_scan_determinismE0ELb1ES3_N6thrust23THRUST_200600_302600_NS6detail15normal_iteratorINS9_10device_ptrIiEEEENSB_INSC_IfEEEESG_fNS9_4plusIvEENS9_8equal_toIvEEfEE10hipError_tPvRmT2_T3_T4_T5_mT6_T7_P12ihipStream_tbENKUlT_T0_E_clISt17integral_constantIbLb0EES11_EEDaSW_SX_EUlSW_E_NS1_11comp_targetILNS1_3genE3ELNS1_11target_archE908ELNS1_3gpuE7ELNS1_3repE0EEENS1_30default_config_static_selectorELNS0_4arch9wavefront6targetE1EEEvT1_
    .private_segment_fixed_size: 0
    .sgpr_count:     6
    .sgpr_spill_count: 0
    .symbol:         _ZN7rocprim17ROCPRIM_400000_NS6detail17trampoline_kernelINS0_14default_configENS1_27scan_by_key_config_selectorIifEEZZNS1_16scan_by_key_implILNS1_25lookback_scan_determinismE0ELb1ES3_N6thrust23THRUST_200600_302600_NS6detail15normal_iteratorINS9_10device_ptrIiEEEENSB_INSC_IfEEEESG_fNS9_4plusIvEENS9_8equal_toIvEEfEE10hipError_tPvRmT2_T3_T4_T5_mT6_T7_P12ihipStream_tbENKUlT_T0_E_clISt17integral_constantIbLb0EES11_EEDaSW_SX_EUlSW_E_NS1_11comp_targetILNS1_3genE3ELNS1_11target_archE908ELNS1_3gpuE7ELNS1_3repE0EEENS1_30default_config_static_selectorELNS0_4arch9wavefront6targetE1EEEvT1_.kd
    .uniform_work_group_size: 1
    .uses_dynamic_stack: false
    .vgpr_count:     0
    .vgpr_spill_count: 0
    .wavefront_size: 64
  - .agpr_count:     0
    .args:
      - .offset:         0
        .size:           112
        .value_kind:     by_value
    .group_segment_fixed_size: 0
    .kernarg_segment_align: 8
    .kernarg_segment_size: 112
    .language:       OpenCL C
    .language_version:
      - 2
      - 0
    .max_flat_workgroup_size: 256
    .name:           _ZN7rocprim17ROCPRIM_400000_NS6detail17trampoline_kernelINS0_14default_configENS1_27scan_by_key_config_selectorIifEEZZNS1_16scan_by_key_implILNS1_25lookback_scan_determinismE0ELb1ES3_N6thrust23THRUST_200600_302600_NS6detail15normal_iteratorINS9_10device_ptrIiEEEENSB_INSC_IfEEEESG_fNS9_4plusIvEENS9_8equal_toIvEEfEE10hipError_tPvRmT2_T3_T4_T5_mT6_T7_P12ihipStream_tbENKUlT_T0_E_clISt17integral_constantIbLb0EES11_EEDaSW_SX_EUlSW_E_NS1_11comp_targetILNS1_3genE2ELNS1_11target_archE906ELNS1_3gpuE6ELNS1_3repE0EEENS1_30default_config_static_selectorELNS0_4arch9wavefront6targetE1EEEvT1_
    .private_segment_fixed_size: 0
    .sgpr_count:     6
    .sgpr_spill_count: 0
    .symbol:         _ZN7rocprim17ROCPRIM_400000_NS6detail17trampoline_kernelINS0_14default_configENS1_27scan_by_key_config_selectorIifEEZZNS1_16scan_by_key_implILNS1_25lookback_scan_determinismE0ELb1ES3_N6thrust23THRUST_200600_302600_NS6detail15normal_iteratorINS9_10device_ptrIiEEEENSB_INSC_IfEEEESG_fNS9_4plusIvEENS9_8equal_toIvEEfEE10hipError_tPvRmT2_T3_T4_T5_mT6_T7_P12ihipStream_tbENKUlT_T0_E_clISt17integral_constantIbLb0EES11_EEDaSW_SX_EUlSW_E_NS1_11comp_targetILNS1_3genE2ELNS1_11target_archE906ELNS1_3gpuE6ELNS1_3repE0EEENS1_30default_config_static_selectorELNS0_4arch9wavefront6targetE1EEEvT1_.kd
    .uniform_work_group_size: 1
    .uses_dynamic_stack: false
    .vgpr_count:     0
    .vgpr_spill_count: 0
    .wavefront_size: 64
  - .agpr_count:     0
    .args:
      - .offset:         0
        .size:           112
        .value_kind:     by_value
    .group_segment_fixed_size: 0
    .kernarg_segment_align: 8
    .kernarg_segment_size: 112
    .language:       OpenCL C
    .language_version:
      - 2
      - 0
    .max_flat_workgroup_size: 256
    .name:           _ZN7rocprim17ROCPRIM_400000_NS6detail17trampoline_kernelINS0_14default_configENS1_27scan_by_key_config_selectorIifEEZZNS1_16scan_by_key_implILNS1_25lookback_scan_determinismE0ELb1ES3_N6thrust23THRUST_200600_302600_NS6detail15normal_iteratorINS9_10device_ptrIiEEEENSB_INSC_IfEEEESG_fNS9_4plusIvEENS9_8equal_toIvEEfEE10hipError_tPvRmT2_T3_T4_T5_mT6_T7_P12ihipStream_tbENKUlT_T0_E_clISt17integral_constantIbLb0EES11_EEDaSW_SX_EUlSW_E_NS1_11comp_targetILNS1_3genE10ELNS1_11target_archE1200ELNS1_3gpuE4ELNS1_3repE0EEENS1_30default_config_static_selectorELNS0_4arch9wavefront6targetE1EEEvT1_
    .private_segment_fixed_size: 0
    .sgpr_count:     6
    .sgpr_spill_count: 0
    .symbol:         _ZN7rocprim17ROCPRIM_400000_NS6detail17trampoline_kernelINS0_14default_configENS1_27scan_by_key_config_selectorIifEEZZNS1_16scan_by_key_implILNS1_25lookback_scan_determinismE0ELb1ES3_N6thrust23THRUST_200600_302600_NS6detail15normal_iteratorINS9_10device_ptrIiEEEENSB_INSC_IfEEEESG_fNS9_4plusIvEENS9_8equal_toIvEEfEE10hipError_tPvRmT2_T3_T4_T5_mT6_T7_P12ihipStream_tbENKUlT_T0_E_clISt17integral_constantIbLb0EES11_EEDaSW_SX_EUlSW_E_NS1_11comp_targetILNS1_3genE10ELNS1_11target_archE1200ELNS1_3gpuE4ELNS1_3repE0EEENS1_30default_config_static_selectorELNS0_4arch9wavefront6targetE1EEEvT1_.kd
    .uniform_work_group_size: 1
    .uses_dynamic_stack: false
    .vgpr_count:     0
    .vgpr_spill_count: 0
    .wavefront_size: 64
  - .agpr_count:     0
    .args:
      - .offset:         0
        .size:           112
        .value_kind:     by_value
    .group_segment_fixed_size: 0
    .kernarg_segment_align: 8
    .kernarg_segment_size: 112
    .language:       OpenCL C
    .language_version:
      - 2
      - 0
    .max_flat_workgroup_size: 256
    .name:           _ZN7rocprim17ROCPRIM_400000_NS6detail17trampoline_kernelINS0_14default_configENS1_27scan_by_key_config_selectorIifEEZZNS1_16scan_by_key_implILNS1_25lookback_scan_determinismE0ELb1ES3_N6thrust23THRUST_200600_302600_NS6detail15normal_iteratorINS9_10device_ptrIiEEEENSB_INSC_IfEEEESG_fNS9_4plusIvEENS9_8equal_toIvEEfEE10hipError_tPvRmT2_T3_T4_T5_mT6_T7_P12ihipStream_tbENKUlT_T0_E_clISt17integral_constantIbLb0EES11_EEDaSW_SX_EUlSW_E_NS1_11comp_targetILNS1_3genE9ELNS1_11target_archE1100ELNS1_3gpuE3ELNS1_3repE0EEENS1_30default_config_static_selectorELNS0_4arch9wavefront6targetE1EEEvT1_
    .private_segment_fixed_size: 0
    .sgpr_count:     6
    .sgpr_spill_count: 0
    .symbol:         _ZN7rocprim17ROCPRIM_400000_NS6detail17trampoline_kernelINS0_14default_configENS1_27scan_by_key_config_selectorIifEEZZNS1_16scan_by_key_implILNS1_25lookback_scan_determinismE0ELb1ES3_N6thrust23THRUST_200600_302600_NS6detail15normal_iteratorINS9_10device_ptrIiEEEENSB_INSC_IfEEEESG_fNS9_4plusIvEENS9_8equal_toIvEEfEE10hipError_tPvRmT2_T3_T4_T5_mT6_T7_P12ihipStream_tbENKUlT_T0_E_clISt17integral_constantIbLb0EES11_EEDaSW_SX_EUlSW_E_NS1_11comp_targetILNS1_3genE9ELNS1_11target_archE1100ELNS1_3gpuE3ELNS1_3repE0EEENS1_30default_config_static_selectorELNS0_4arch9wavefront6targetE1EEEvT1_.kd
    .uniform_work_group_size: 1
    .uses_dynamic_stack: false
    .vgpr_count:     0
    .vgpr_spill_count: 0
    .wavefront_size: 64
  - .agpr_count:     0
    .args:
      - .offset:         0
        .size:           112
        .value_kind:     by_value
    .group_segment_fixed_size: 0
    .kernarg_segment_align: 8
    .kernarg_segment_size: 112
    .language:       OpenCL C
    .language_version:
      - 2
      - 0
    .max_flat_workgroup_size: 256
    .name:           _ZN7rocprim17ROCPRIM_400000_NS6detail17trampoline_kernelINS0_14default_configENS1_27scan_by_key_config_selectorIifEEZZNS1_16scan_by_key_implILNS1_25lookback_scan_determinismE0ELb1ES3_N6thrust23THRUST_200600_302600_NS6detail15normal_iteratorINS9_10device_ptrIiEEEENSB_INSC_IfEEEESG_fNS9_4plusIvEENS9_8equal_toIvEEfEE10hipError_tPvRmT2_T3_T4_T5_mT6_T7_P12ihipStream_tbENKUlT_T0_E_clISt17integral_constantIbLb0EES11_EEDaSW_SX_EUlSW_E_NS1_11comp_targetILNS1_3genE8ELNS1_11target_archE1030ELNS1_3gpuE2ELNS1_3repE0EEENS1_30default_config_static_selectorELNS0_4arch9wavefront6targetE1EEEvT1_
    .private_segment_fixed_size: 0
    .sgpr_count:     6
    .sgpr_spill_count: 0
    .symbol:         _ZN7rocprim17ROCPRIM_400000_NS6detail17trampoline_kernelINS0_14default_configENS1_27scan_by_key_config_selectorIifEEZZNS1_16scan_by_key_implILNS1_25lookback_scan_determinismE0ELb1ES3_N6thrust23THRUST_200600_302600_NS6detail15normal_iteratorINS9_10device_ptrIiEEEENSB_INSC_IfEEEESG_fNS9_4plusIvEENS9_8equal_toIvEEfEE10hipError_tPvRmT2_T3_T4_T5_mT6_T7_P12ihipStream_tbENKUlT_T0_E_clISt17integral_constantIbLb0EES11_EEDaSW_SX_EUlSW_E_NS1_11comp_targetILNS1_3genE8ELNS1_11target_archE1030ELNS1_3gpuE2ELNS1_3repE0EEENS1_30default_config_static_selectorELNS0_4arch9wavefront6targetE1EEEvT1_.kd
    .uniform_work_group_size: 1
    .uses_dynamic_stack: false
    .vgpr_count:     0
    .vgpr_spill_count: 0
    .wavefront_size: 64
  - .agpr_count:     0
    .args:
      - .offset:         0
        .size:           112
        .value_kind:     by_value
    .group_segment_fixed_size: 0
    .kernarg_segment_align: 8
    .kernarg_segment_size: 112
    .language:       OpenCL C
    .language_version:
      - 2
      - 0
    .max_flat_workgroup_size: 256
    .name:           _ZN7rocprim17ROCPRIM_400000_NS6detail17trampoline_kernelINS0_14default_configENS1_27scan_by_key_config_selectorIifEEZZNS1_16scan_by_key_implILNS1_25lookback_scan_determinismE0ELb1ES3_N6thrust23THRUST_200600_302600_NS6detail15normal_iteratorINS9_10device_ptrIiEEEENSB_INSC_IfEEEESG_fNS9_4plusIvEENS9_8equal_toIvEEfEE10hipError_tPvRmT2_T3_T4_T5_mT6_T7_P12ihipStream_tbENKUlT_T0_E_clISt17integral_constantIbLb1EES11_EEDaSW_SX_EUlSW_E_NS1_11comp_targetILNS1_3genE0ELNS1_11target_archE4294967295ELNS1_3gpuE0ELNS1_3repE0EEENS1_30default_config_static_selectorELNS0_4arch9wavefront6targetE1EEEvT1_
    .private_segment_fixed_size: 0
    .sgpr_count:     6
    .sgpr_spill_count: 0
    .symbol:         _ZN7rocprim17ROCPRIM_400000_NS6detail17trampoline_kernelINS0_14default_configENS1_27scan_by_key_config_selectorIifEEZZNS1_16scan_by_key_implILNS1_25lookback_scan_determinismE0ELb1ES3_N6thrust23THRUST_200600_302600_NS6detail15normal_iteratorINS9_10device_ptrIiEEEENSB_INSC_IfEEEESG_fNS9_4plusIvEENS9_8equal_toIvEEfEE10hipError_tPvRmT2_T3_T4_T5_mT6_T7_P12ihipStream_tbENKUlT_T0_E_clISt17integral_constantIbLb1EES11_EEDaSW_SX_EUlSW_E_NS1_11comp_targetILNS1_3genE0ELNS1_11target_archE4294967295ELNS1_3gpuE0ELNS1_3repE0EEENS1_30default_config_static_selectorELNS0_4arch9wavefront6targetE1EEEvT1_.kd
    .uniform_work_group_size: 1
    .uses_dynamic_stack: false
    .vgpr_count:     0
    .vgpr_spill_count: 0
    .wavefront_size: 64
  - .agpr_count:     0
    .args:
      - .offset:         0
        .size:           112
        .value_kind:     by_value
    .group_segment_fixed_size: 0
    .kernarg_segment_align: 8
    .kernarg_segment_size: 112
    .language:       OpenCL C
    .language_version:
      - 2
      - 0
    .max_flat_workgroup_size: 256
    .name:           _ZN7rocprim17ROCPRIM_400000_NS6detail17trampoline_kernelINS0_14default_configENS1_27scan_by_key_config_selectorIifEEZZNS1_16scan_by_key_implILNS1_25lookback_scan_determinismE0ELb1ES3_N6thrust23THRUST_200600_302600_NS6detail15normal_iteratorINS9_10device_ptrIiEEEENSB_INSC_IfEEEESG_fNS9_4plusIvEENS9_8equal_toIvEEfEE10hipError_tPvRmT2_T3_T4_T5_mT6_T7_P12ihipStream_tbENKUlT_T0_E_clISt17integral_constantIbLb1EES11_EEDaSW_SX_EUlSW_E_NS1_11comp_targetILNS1_3genE10ELNS1_11target_archE1201ELNS1_3gpuE5ELNS1_3repE0EEENS1_30default_config_static_selectorELNS0_4arch9wavefront6targetE1EEEvT1_
    .private_segment_fixed_size: 0
    .sgpr_count:     6
    .sgpr_spill_count: 0
    .symbol:         _ZN7rocprim17ROCPRIM_400000_NS6detail17trampoline_kernelINS0_14default_configENS1_27scan_by_key_config_selectorIifEEZZNS1_16scan_by_key_implILNS1_25lookback_scan_determinismE0ELb1ES3_N6thrust23THRUST_200600_302600_NS6detail15normal_iteratorINS9_10device_ptrIiEEEENSB_INSC_IfEEEESG_fNS9_4plusIvEENS9_8equal_toIvEEfEE10hipError_tPvRmT2_T3_T4_T5_mT6_T7_P12ihipStream_tbENKUlT_T0_E_clISt17integral_constantIbLb1EES11_EEDaSW_SX_EUlSW_E_NS1_11comp_targetILNS1_3genE10ELNS1_11target_archE1201ELNS1_3gpuE5ELNS1_3repE0EEENS1_30default_config_static_selectorELNS0_4arch9wavefront6targetE1EEEvT1_.kd
    .uniform_work_group_size: 1
    .uses_dynamic_stack: false
    .vgpr_count:     0
    .vgpr_spill_count: 0
    .wavefront_size: 64
  - .agpr_count:     0
    .args:
      - .offset:         0
        .size:           112
        .value_kind:     by_value
    .group_segment_fixed_size: 25600
    .kernarg_segment_align: 8
    .kernarg_segment_size: 112
    .language:       OpenCL C
    .language_version:
      - 2
      - 0
    .max_flat_workgroup_size: 256
    .name:           _ZN7rocprim17ROCPRIM_400000_NS6detail17trampoline_kernelINS0_14default_configENS1_27scan_by_key_config_selectorIifEEZZNS1_16scan_by_key_implILNS1_25lookback_scan_determinismE0ELb1ES3_N6thrust23THRUST_200600_302600_NS6detail15normal_iteratorINS9_10device_ptrIiEEEENSB_INSC_IfEEEESG_fNS9_4plusIvEENS9_8equal_toIvEEfEE10hipError_tPvRmT2_T3_T4_T5_mT6_T7_P12ihipStream_tbENKUlT_T0_E_clISt17integral_constantIbLb1EES11_EEDaSW_SX_EUlSW_E_NS1_11comp_targetILNS1_3genE5ELNS1_11target_archE942ELNS1_3gpuE9ELNS1_3repE0EEENS1_30default_config_static_selectorELNS0_4arch9wavefront6targetE1EEEvT1_
    .private_segment_fixed_size: 0
    .sgpr_count:     86
    .sgpr_spill_count: 0
    .symbol:         _ZN7rocprim17ROCPRIM_400000_NS6detail17trampoline_kernelINS0_14default_configENS1_27scan_by_key_config_selectorIifEEZZNS1_16scan_by_key_implILNS1_25lookback_scan_determinismE0ELb1ES3_N6thrust23THRUST_200600_302600_NS6detail15normal_iteratorINS9_10device_ptrIiEEEENSB_INSC_IfEEEESG_fNS9_4plusIvEENS9_8equal_toIvEEfEE10hipError_tPvRmT2_T3_T4_T5_mT6_T7_P12ihipStream_tbENKUlT_T0_E_clISt17integral_constantIbLb1EES11_EEDaSW_SX_EUlSW_E_NS1_11comp_targetILNS1_3genE5ELNS1_11target_archE942ELNS1_3gpuE9ELNS1_3repE0EEENS1_30default_config_static_selectorELNS0_4arch9wavefront6targetE1EEEvT1_.kd
    .uniform_work_group_size: 1
    .uses_dynamic_stack: false
    .vgpr_count:     96
    .vgpr_spill_count: 0
    .wavefront_size: 64
  - .agpr_count:     0
    .args:
      - .offset:         0
        .size:           112
        .value_kind:     by_value
    .group_segment_fixed_size: 0
    .kernarg_segment_align: 8
    .kernarg_segment_size: 112
    .language:       OpenCL C
    .language_version:
      - 2
      - 0
    .max_flat_workgroup_size: 256
    .name:           _ZN7rocprim17ROCPRIM_400000_NS6detail17trampoline_kernelINS0_14default_configENS1_27scan_by_key_config_selectorIifEEZZNS1_16scan_by_key_implILNS1_25lookback_scan_determinismE0ELb1ES3_N6thrust23THRUST_200600_302600_NS6detail15normal_iteratorINS9_10device_ptrIiEEEENSB_INSC_IfEEEESG_fNS9_4plusIvEENS9_8equal_toIvEEfEE10hipError_tPvRmT2_T3_T4_T5_mT6_T7_P12ihipStream_tbENKUlT_T0_E_clISt17integral_constantIbLb1EES11_EEDaSW_SX_EUlSW_E_NS1_11comp_targetILNS1_3genE4ELNS1_11target_archE910ELNS1_3gpuE8ELNS1_3repE0EEENS1_30default_config_static_selectorELNS0_4arch9wavefront6targetE1EEEvT1_
    .private_segment_fixed_size: 0
    .sgpr_count:     6
    .sgpr_spill_count: 0
    .symbol:         _ZN7rocprim17ROCPRIM_400000_NS6detail17trampoline_kernelINS0_14default_configENS1_27scan_by_key_config_selectorIifEEZZNS1_16scan_by_key_implILNS1_25lookback_scan_determinismE0ELb1ES3_N6thrust23THRUST_200600_302600_NS6detail15normal_iteratorINS9_10device_ptrIiEEEENSB_INSC_IfEEEESG_fNS9_4plusIvEENS9_8equal_toIvEEfEE10hipError_tPvRmT2_T3_T4_T5_mT6_T7_P12ihipStream_tbENKUlT_T0_E_clISt17integral_constantIbLb1EES11_EEDaSW_SX_EUlSW_E_NS1_11comp_targetILNS1_3genE4ELNS1_11target_archE910ELNS1_3gpuE8ELNS1_3repE0EEENS1_30default_config_static_selectorELNS0_4arch9wavefront6targetE1EEEvT1_.kd
    .uniform_work_group_size: 1
    .uses_dynamic_stack: false
    .vgpr_count:     0
    .vgpr_spill_count: 0
    .wavefront_size: 64
  - .agpr_count:     0
    .args:
      - .offset:         0
        .size:           112
        .value_kind:     by_value
    .group_segment_fixed_size: 0
    .kernarg_segment_align: 8
    .kernarg_segment_size: 112
    .language:       OpenCL C
    .language_version:
      - 2
      - 0
    .max_flat_workgroup_size: 256
    .name:           _ZN7rocprim17ROCPRIM_400000_NS6detail17trampoline_kernelINS0_14default_configENS1_27scan_by_key_config_selectorIifEEZZNS1_16scan_by_key_implILNS1_25lookback_scan_determinismE0ELb1ES3_N6thrust23THRUST_200600_302600_NS6detail15normal_iteratorINS9_10device_ptrIiEEEENSB_INSC_IfEEEESG_fNS9_4plusIvEENS9_8equal_toIvEEfEE10hipError_tPvRmT2_T3_T4_T5_mT6_T7_P12ihipStream_tbENKUlT_T0_E_clISt17integral_constantIbLb1EES11_EEDaSW_SX_EUlSW_E_NS1_11comp_targetILNS1_3genE3ELNS1_11target_archE908ELNS1_3gpuE7ELNS1_3repE0EEENS1_30default_config_static_selectorELNS0_4arch9wavefront6targetE1EEEvT1_
    .private_segment_fixed_size: 0
    .sgpr_count:     6
    .sgpr_spill_count: 0
    .symbol:         _ZN7rocprim17ROCPRIM_400000_NS6detail17trampoline_kernelINS0_14default_configENS1_27scan_by_key_config_selectorIifEEZZNS1_16scan_by_key_implILNS1_25lookback_scan_determinismE0ELb1ES3_N6thrust23THRUST_200600_302600_NS6detail15normal_iteratorINS9_10device_ptrIiEEEENSB_INSC_IfEEEESG_fNS9_4plusIvEENS9_8equal_toIvEEfEE10hipError_tPvRmT2_T3_T4_T5_mT6_T7_P12ihipStream_tbENKUlT_T0_E_clISt17integral_constantIbLb1EES11_EEDaSW_SX_EUlSW_E_NS1_11comp_targetILNS1_3genE3ELNS1_11target_archE908ELNS1_3gpuE7ELNS1_3repE0EEENS1_30default_config_static_selectorELNS0_4arch9wavefront6targetE1EEEvT1_.kd
    .uniform_work_group_size: 1
    .uses_dynamic_stack: false
    .vgpr_count:     0
    .vgpr_spill_count: 0
    .wavefront_size: 64
  - .agpr_count:     0
    .args:
      - .offset:         0
        .size:           112
        .value_kind:     by_value
    .group_segment_fixed_size: 0
    .kernarg_segment_align: 8
    .kernarg_segment_size: 112
    .language:       OpenCL C
    .language_version:
      - 2
      - 0
    .max_flat_workgroup_size: 256
    .name:           _ZN7rocprim17ROCPRIM_400000_NS6detail17trampoline_kernelINS0_14default_configENS1_27scan_by_key_config_selectorIifEEZZNS1_16scan_by_key_implILNS1_25lookback_scan_determinismE0ELb1ES3_N6thrust23THRUST_200600_302600_NS6detail15normal_iteratorINS9_10device_ptrIiEEEENSB_INSC_IfEEEESG_fNS9_4plusIvEENS9_8equal_toIvEEfEE10hipError_tPvRmT2_T3_T4_T5_mT6_T7_P12ihipStream_tbENKUlT_T0_E_clISt17integral_constantIbLb1EES11_EEDaSW_SX_EUlSW_E_NS1_11comp_targetILNS1_3genE2ELNS1_11target_archE906ELNS1_3gpuE6ELNS1_3repE0EEENS1_30default_config_static_selectorELNS0_4arch9wavefront6targetE1EEEvT1_
    .private_segment_fixed_size: 0
    .sgpr_count:     6
    .sgpr_spill_count: 0
    .symbol:         _ZN7rocprim17ROCPRIM_400000_NS6detail17trampoline_kernelINS0_14default_configENS1_27scan_by_key_config_selectorIifEEZZNS1_16scan_by_key_implILNS1_25lookback_scan_determinismE0ELb1ES3_N6thrust23THRUST_200600_302600_NS6detail15normal_iteratorINS9_10device_ptrIiEEEENSB_INSC_IfEEEESG_fNS9_4plusIvEENS9_8equal_toIvEEfEE10hipError_tPvRmT2_T3_T4_T5_mT6_T7_P12ihipStream_tbENKUlT_T0_E_clISt17integral_constantIbLb1EES11_EEDaSW_SX_EUlSW_E_NS1_11comp_targetILNS1_3genE2ELNS1_11target_archE906ELNS1_3gpuE6ELNS1_3repE0EEENS1_30default_config_static_selectorELNS0_4arch9wavefront6targetE1EEEvT1_.kd
    .uniform_work_group_size: 1
    .uses_dynamic_stack: false
    .vgpr_count:     0
    .vgpr_spill_count: 0
    .wavefront_size: 64
  - .agpr_count:     0
    .args:
      - .offset:         0
        .size:           112
        .value_kind:     by_value
    .group_segment_fixed_size: 0
    .kernarg_segment_align: 8
    .kernarg_segment_size: 112
    .language:       OpenCL C
    .language_version:
      - 2
      - 0
    .max_flat_workgroup_size: 256
    .name:           _ZN7rocprim17ROCPRIM_400000_NS6detail17trampoline_kernelINS0_14default_configENS1_27scan_by_key_config_selectorIifEEZZNS1_16scan_by_key_implILNS1_25lookback_scan_determinismE0ELb1ES3_N6thrust23THRUST_200600_302600_NS6detail15normal_iteratorINS9_10device_ptrIiEEEENSB_INSC_IfEEEESG_fNS9_4plusIvEENS9_8equal_toIvEEfEE10hipError_tPvRmT2_T3_T4_T5_mT6_T7_P12ihipStream_tbENKUlT_T0_E_clISt17integral_constantIbLb1EES11_EEDaSW_SX_EUlSW_E_NS1_11comp_targetILNS1_3genE10ELNS1_11target_archE1200ELNS1_3gpuE4ELNS1_3repE0EEENS1_30default_config_static_selectorELNS0_4arch9wavefront6targetE1EEEvT1_
    .private_segment_fixed_size: 0
    .sgpr_count:     6
    .sgpr_spill_count: 0
    .symbol:         _ZN7rocprim17ROCPRIM_400000_NS6detail17trampoline_kernelINS0_14default_configENS1_27scan_by_key_config_selectorIifEEZZNS1_16scan_by_key_implILNS1_25lookback_scan_determinismE0ELb1ES3_N6thrust23THRUST_200600_302600_NS6detail15normal_iteratorINS9_10device_ptrIiEEEENSB_INSC_IfEEEESG_fNS9_4plusIvEENS9_8equal_toIvEEfEE10hipError_tPvRmT2_T3_T4_T5_mT6_T7_P12ihipStream_tbENKUlT_T0_E_clISt17integral_constantIbLb1EES11_EEDaSW_SX_EUlSW_E_NS1_11comp_targetILNS1_3genE10ELNS1_11target_archE1200ELNS1_3gpuE4ELNS1_3repE0EEENS1_30default_config_static_selectorELNS0_4arch9wavefront6targetE1EEEvT1_.kd
    .uniform_work_group_size: 1
    .uses_dynamic_stack: false
    .vgpr_count:     0
    .vgpr_spill_count: 0
    .wavefront_size: 64
  - .agpr_count:     0
    .args:
      - .offset:         0
        .size:           112
        .value_kind:     by_value
    .group_segment_fixed_size: 0
    .kernarg_segment_align: 8
    .kernarg_segment_size: 112
    .language:       OpenCL C
    .language_version:
      - 2
      - 0
    .max_flat_workgroup_size: 256
    .name:           _ZN7rocprim17ROCPRIM_400000_NS6detail17trampoline_kernelINS0_14default_configENS1_27scan_by_key_config_selectorIifEEZZNS1_16scan_by_key_implILNS1_25lookback_scan_determinismE0ELb1ES3_N6thrust23THRUST_200600_302600_NS6detail15normal_iteratorINS9_10device_ptrIiEEEENSB_INSC_IfEEEESG_fNS9_4plusIvEENS9_8equal_toIvEEfEE10hipError_tPvRmT2_T3_T4_T5_mT6_T7_P12ihipStream_tbENKUlT_T0_E_clISt17integral_constantIbLb1EES11_EEDaSW_SX_EUlSW_E_NS1_11comp_targetILNS1_3genE9ELNS1_11target_archE1100ELNS1_3gpuE3ELNS1_3repE0EEENS1_30default_config_static_selectorELNS0_4arch9wavefront6targetE1EEEvT1_
    .private_segment_fixed_size: 0
    .sgpr_count:     6
    .sgpr_spill_count: 0
    .symbol:         _ZN7rocprim17ROCPRIM_400000_NS6detail17trampoline_kernelINS0_14default_configENS1_27scan_by_key_config_selectorIifEEZZNS1_16scan_by_key_implILNS1_25lookback_scan_determinismE0ELb1ES3_N6thrust23THRUST_200600_302600_NS6detail15normal_iteratorINS9_10device_ptrIiEEEENSB_INSC_IfEEEESG_fNS9_4plusIvEENS9_8equal_toIvEEfEE10hipError_tPvRmT2_T3_T4_T5_mT6_T7_P12ihipStream_tbENKUlT_T0_E_clISt17integral_constantIbLb1EES11_EEDaSW_SX_EUlSW_E_NS1_11comp_targetILNS1_3genE9ELNS1_11target_archE1100ELNS1_3gpuE3ELNS1_3repE0EEENS1_30default_config_static_selectorELNS0_4arch9wavefront6targetE1EEEvT1_.kd
    .uniform_work_group_size: 1
    .uses_dynamic_stack: false
    .vgpr_count:     0
    .vgpr_spill_count: 0
    .wavefront_size: 64
  - .agpr_count:     0
    .args:
      - .offset:         0
        .size:           112
        .value_kind:     by_value
    .group_segment_fixed_size: 0
    .kernarg_segment_align: 8
    .kernarg_segment_size: 112
    .language:       OpenCL C
    .language_version:
      - 2
      - 0
    .max_flat_workgroup_size: 256
    .name:           _ZN7rocprim17ROCPRIM_400000_NS6detail17trampoline_kernelINS0_14default_configENS1_27scan_by_key_config_selectorIifEEZZNS1_16scan_by_key_implILNS1_25lookback_scan_determinismE0ELb1ES3_N6thrust23THRUST_200600_302600_NS6detail15normal_iteratorINS9_10device_ptrIiEEEENSB_INSC_IfEEEESG_fNS9_4plusIvEENS9_8equal_toIvEEfEE10hipError_tPvRmT2_T3_T4_T5_mT6_T7_P12ihipStream_tbENKUlT_T0_E_clISt17integral_constantIbLb1EES11_EEDaSW_SX_EUlSW_E_NS1_11comp_targetILNS1_3genE8ELNS1_11target_archE1030ELNS1_3gpuE2ELNS1_3repE0EEENS1_30default_config_static_selectorELNS0_4arch9wavefront6targetE1EEEvT1_
    .private_segment_fixed_size: 0
    .sgpr_count:     6
    .sgpr_spill_count: 0
    .symbol:         _ZN7rocprim17ROCPRIM_400000_NS6detail17trampoline_kernelINS0_14default_configENS1_27scan_by_key_config_selectorIifEEZZNS1_16scan_by_key_implILNS1_25lookback_scan_determinismE0ELb1ES3_N6thrust23THRUST_200600_302600_NS6detail15normal_iteratorINS9_10device_ptrIiEEEENSB_INSC_IfEEEESG_fNS9_4plusIvEENS9_8equal_toIvEEfEE10hipError_tPvRmT2_T3_T4_T5_mT6_T7_P12ihipStream_tbENKUlT_T0_E_clISt17integral_constantIbLb1EES11_EEDaSW_SX_EUlSW_E_NS1_11comp_targetILNS1_3genE8ELNS1_11target_archE1030ELNS1_3gpuE2ELNS1_3repE0EEENS1_30default_config_static_selectorELNS0_4arch9wavefront6targetE1EEEvT1_.kd
    .uniform_work_group_size: 1
    .uses_dynamic_stack: false
    .vgpr_count:     0
    .vgpr_spill_count: 0
    .wavefront_size: 64
  - .agpr_count:     0
    .args:
      - .offset:         0
        .size:           112
        .value_kind:     by_value
    .group_segment_fixed_size: 0
    .kernarg_segment_align: 8
    .kernarg_segment_size: 112
    .language:       OpenCL C
    .language_version:
      - 2
      - 0
    .max_flat_workgroup_size: 256
    .name:           _ZN7rocprim17ROCPRIM_400000_NS6detail17trampoline_kernelINS0_14default_configENS1_27scan_by_key_config_selectorIifEEZZNS1_16scan_by_key_implILNS1_25lookback_scan_determinismE0ELb1ES3_N6thrust23THRUST_200600_302600_NS6detail15normal_iteratorINS9_10device_ptrIiEEEENSB_INSC_IfEEEESG_fNS9_4plusIvEENS9_8equal_toIvEEfEE10hipError_tPvRmT2_T3_T4_T5_mT6_T7_P12ihipStream_tbENKUlT_T0_E_clISt17integral_constantIbLb1EES10_IbLb0EEEEDaSW_SX_EUlSW_E_NS1_11comp_targetILNS1_3genE0ELNS1_11target_archE4294967295ELNS1_3gpuE0ELNS1_3repE0EEENS1_30default_config_static_selectorELNS0_4arch9wavefront6targetE1EEEvT1_
    .private_segment_fixed_size: 0
    .sgpr_count:     6
    .sgpr_spill_count: 0
    .symbol:         _ZN7rocprim17ROCPRIM_400000_NS6detail17trampoline_kernelINS0_14default_configENS1_27scan_by_key_config_selectorIifEEZZNS1_16scan_by_key_implILNS1_25lookback_scan_determinismE0ELb1ES3_N6thrust23THRUST_200600_302600_NS6detail15normal_iteratorINS9_10device_ptrIiEEEENSB_INSC_IfEEEESG_fNS9_4plusIvEENS9_8equal_toIvEEfEE10hipError_tPvRmT2_T3_T4_T5_mT6_T7_P12ihipStream_tbENKUlT_T0_E_clISt17integral_constantIbLb1EES10_IbLb0EEEEDaSW_SX_EUlSW_E_NS1_11comp_targetILNS1_3genE0ELNS1_11target_archE4294967295ELNS1_3gpuE0ELNS1_3repE0EEENS1_30default_config_static_selectorELNS0_4arch9wavefront6targetE1EEEvT1_.kd
    .uniform_work_group_size: 1
    .uses_dynamic_stack: false
    .vgpr_count:     0
    .vgpr_spill_count: 0
    .wavefront_size: 64
  - .agpr_count:     0
    .args:
      - .offset:         0
        .size:           112
        .value_kind:     by_value
    .group_segment_fixed_size: 0
    .kernarg_segment_align: 8
    .kernarg_segment_size: 112
    .language:       OpenCL C
    .language_version:
      - 2
      - 0
    .max_flat_workgroup_size: 256
    .name:           _ZN7rocprim17ROCPRIM_400000_NS6detail17trampoline_kernelINS0_14default_configENS1_27scan_by_key_config_selectorIifEEZZNS1_16scan_by_key_implILNS1_25lookback_scan_determinismE0ELb1ES3_N6thrust23THRUST_200600_302600_NS6detail15normal_iteratorINS9_10device_ptrIiEEEENSB_INSC_IfEEEESG_fNS9_4plusIvEENS9_8equal_toIvEEfEE10hipError_tPvRmT2_T3_T4_T5_mT6_T7_P12ihipStream_tbENKUlT_T0_E_clISt17integral_constantIbLb1EES10_IbLb0EEEEDaSW_SX_EUlSW_E_NS1_11comp_targetILNS1_3genE10ELNS1_11target_archE1201ELNS1_3gpuE5ELNS1_3repE0EEENS1_30default_config_static_selectorELNS0_4arch9wavefront6targetE1EEEvT1_
    .private_segment_fixed_size: 0
    .sgpr_count:     6
    .sgpr_spill_count: 0
    .symbol:         _ZN7rocprim17ROCPRIM_400000_NS6detail17trampoline_kernelINS0_14default_configENS1_27scan_by_key_config_selectorIifEEZZNS1_16scan_by_key_implILNS1_25lookback_scan_determinismE0ELb1ES3_N6thrust23THRUST_200600_302600_NS6detail15normal_iteratorINS9_10device_ptrIiEEEENSB_INSC_IfEEEESG_fNS9_4plusIvEENS9_8equal_toIvEEfEE10hipError_tPvRmT2_T3_T4_T5_mT6_T7_P12ihipStream_tbENKUlT_T0_E_clISt17integral_constantIbLb1EES10_IbLb0EEEEDaSW_SX_EUlSW_E_NS1_11comp_targetILNS1_3genE10ELNS1_11target_archE1201ELNS1_3gpuE5ELNS1_3repE0EEENS1_30default_config_static_selectorELNS0_4arch9wavefront6targetE1EEEvT1_.kd
    .uniform_work_group_size: 1
    .uses_dynamic_stack: false
    .vgpr_count:     0
    .vgpr_spill_count: 0
    .wavefront_size: 64
  - .agpr_count:     0
    .args:
      - .offset:         0
        .size:           112
        .value_kind:     by_value
    .group_segment_fixed_size: 25600
    .kernarg_segment_align: 8
    .kernarg_segment_size: 112
    .language:       OpenCL C
    .language_version:
      - 2
      - 0
    .max_flat_workgroup_size: 256
    .name:           _ZN7rocprim17ROCPRIM_400000_NS6detail17trampoline_kernelINS0_14default_configENS1_27scan_by_key_config_selectorIifEEZZNS1_16scan_by_key_implILNS1_25lookback_scan_determinismE0ELb1ES3_N6thrust23THRUST_200600_302600_NS6detail15normal_iteratorINS9_10device_ptrIiEEEENSB_INSC_IfEEEESG_fNS9_4plusIvEENS9_8equal_toIvEEfEE10hipError_tPvRmT2_T3_T4_T5_mT6_T7_P12ihipStream_tbENKUlT_T0_E_clISt17integral_constantIbLb1EES10_IbLb0EEEEDaSW_SX_EUlSW_E_NS1_11comp_targetILNS1_3genE5ELNS1_11target_archE942ELNS1_3gpuE9ELNS1_3repE0EEENS1_30default_config_static_selectorELNS0_4arch9wavefront6targetE1EEEvT1_
    .private_segment_fixed_size: 0
    .sgpr_count:     86
    .sgpr_spill_count: 0
    .symbol:         _ZN7rocprim17ROCPRIM_400000_NS6detail17trampoline_kernelINS0_14default_configENS1_27scan_by_key_config_selectorIifEEZZNS1_16scan_by_key_implILNS1_25lookback_scan_determinismE0ELb1ES3_N6thrust23THRUST_200600_302600_NS6detail15normal_iteratorINS9_10device_ptrIiEEEENSB_INSC_IfEEEESG_fNS9_4plusIvEENS9_8equal_toIvEEfEE10hipError_tPvRmT2_T3_T4_T5_mT6_T7_P12ihipStream_tbENKUlT_T0_E_clISt17integral_constantIbLb1EES10_IbLb0EEEEDaSW_SX_EUlSW_E_NS1_11comp_targetILNS1_3genE5ELNS1_11target_archE942ELNS1_3gpuE9ELNS1_3repE0EEENS1_30default_config_static_selectorELNS0_4arch9wavefront6targetE1EEEvT1_.kd
    .uniform_work_group_size: 1
    .uses_dynamic_stack: false
    .vgpr_count:     92
    .vgpr_spill_count: 0
    .wavefront_size: 64
  - .agpr_count:     0
    .args:
      - .offset:         0
        .size:           112
        .value_kind:     by_value
    .group_segment_fixed_size: 0
    .kernarg_segment_align: 8
    .kernarg_segment_size: 112
    .language:       OpenCL C
    .language_version:
      - 2
      - 0
    .max_flat_workgroup_size: 256
    .name:           _ZN7rocprim17ROCPRIM_400000_NS6detail17trampoline_kernelINS0_14default_configENS1_27scan_by_key_config_selectorIifEEZZNS1_16scan_by_key_implILNS1_25lookback_scan_determinismE0ELb1ES3_N6thrust23THRUST_200600_302600_NS6detail15normal_iteratorINS9_10device_ptrIiEEEENSB_INSC_IfEEEESG_fNS9_4plusIvEENS9_8equal_toIvEEfEE10hipError_tPvRmT2_T3_T4_T5_mT6_T7_P12ihipStream_tbENKUlT_T0_E_clISt17integral_constantIbLb1EES10_IbLb0EEEEDaSW_SX_EUlSW_E_NS1_11comp_targetILNS1_3genE4ELNS1_11target_archE910ELNS1_3gpuE8ELNS1_3repE0EEENS1_30default_config_static_selectorELNS0_4arch9wavefront6targetE1EEEvT1_
    .private_segment_fixed_size: 0
    .sgpr_count:     6
    .sgpr_spill_count: 0
    .symbol:         _ZN7rocprim17ROCPRIM_400000_NS6detail17trampoline_kernelINS0_14default_configENS1_27scan_by_key_config_selectorIifEEZZNS1_16scan_by_key_implILNS1_25lookback_scan_determinismE0ELb1ES3_N6thrust23THRUST_200600_302600_NS6detail15normal_iteratorINS9_10device_ptrIiEEEENSB_INSC_IfEEEESG_fNS9_4plusIvEENS9_8equal_toIvEEfEE10hipError_tPvRmT2_T3_T4_T5_mT6_T7_P12ihipStream_tbENKUlT_T0_E_clISt17integral_constantIbLb1EES10_IbLb0EEEEDaSW_SX_EUlSW_E_NS1_11comp_targetILNS1_3genE4ELNS1_11target_archE910ELNS1_3gpuE8ELNS1_3repE0EEENS1_30default_config_static_selectorELNS0_4arch9wavefront6targetE1EEEvT1_.kd
    .uniform_work_group_size: 1
    .uses_dynamic_stack: false
    .vgpr_count:     0
    .vgpr_spill_count: 0
    .wavefront_size: 64
  - .agpr_count:     0
    .args:
      - .offset:         0
        .size:           112
        .value_kind:     by_value
    .group_segment_fixed_size: 0
    .kernarg_segment_align: 8
    .kernarg_segment_size: 112
    .language:       OpenCL C
    .language_version:
      - 2
      - 0
    .max_flat_workgroup_size: 256
    .name:           _ZN7rocprim17ROCPRIM_400000_NS6detail17trampoline_kernelINS0_14default_configENS1_27scan_by_key_config_selectorIifEEZZNS1_16scan_by_key_implILNS1_25lookback_scan_determinismE0ELb1ES3_N6thrust23THRUST_200600_302600_NS6detail15normal_iteratorINS9_10device_ptrIiEEEENSB_INSC_IfEEEESG_fNS9_4plusIvEENS9_8equal_toIvEEfEE10hipError_tPvRmT2_T3_T4_T5_mT6_T7_P12ihipStream_tbENKUlT_T0_E_clISt17integral_constantIbLb1EES10_IbLb0EEEEDaSW_SX_EUlSW_E_NS1_11comp_targetILNS1_3genE3ELNS1_11target_archE908ELNS1_3gpuE7ELNS1_3repE0EEENS1_30default_config_static_selectorELNS0_4arch9wavefront6targetE1EEEvT1_
    .private_segment_fixed_size: 0
    .sgpr_count:     6
    .sgpr_spill_count: 0
    .symbol:         _ZN7rocprim17ROCPRIM_400000_NS6detail17trampoline_kernelINS0_14default_configENS1_27scan_by_key_config_selectorIifEEZZNS1_16scan_by_key_implILNS1_25lookback_scan_determinismE0ELb1ES3_N6thrust23THRUST_200600_302600_NS6detail15normal_iteratorINS9_10device_ptrIiEEEENSB_INSC_IfEEEESG_fNS9_4plusIvEENS9_8equal_toIvEEfEE10hipError_tPvRmT2_T3_T4_T5_mT6_T7_P12ihipStream_tbENKUlT_T0_E_clISt17integral_constantIbLb1EES10_IbLb0EEEEDaSW_SX_EUlSW_E_NS1_11comp_targetILNS1_3genE3ELNS1_11target_archE908ELNS1_3gpuE7ELNS1_3repE0EEENS1_30default_config_static_selectorELNS0_4arch9wavefront6targetE1EEEvT1_.kd
    .uniform_work_group_size: 1
    .uses_dynamic_stack: false
    .vgpr_count:     0
    .vgpr_spill_count: 0
    .wavefront_size: 64
  - .agpr_count:     0
    .args:
      - .offset:         0
        .size:           112
        .value_kind:     by_value
    .group_segment_fixed_size: 0
    .kernarg_segment_align: 8
    .kernarg_segment_size: 112
    .language:       OpenCL C
    .language_version:
      - 2
      - 0
    .max_flat_workgroup_size: 256
    .name:           _ZN7rocprim17ROCPRIM_400000_NS6detail17trampoline_kernelINS0_14default_configENS1_27scan_by_key_config_selectorIifEEZZNS1_16scan_by_key_implILNS1_25lookback_scan_determinismE0ELb1ES3_N6thrust23THRUST_200600_302600_NS6detail15normal_iteratorINS9_10device_ptrIiEEEENSB_INSC_IfEEEESG_fNS9_4plusIvEENS9_8equal_toIvEEfEE10hipError_tPvRmT2_T3_T4_T5_mT6_T7_P12ihipStream_tbENKUlT_T0_E_clISt17integral_constantIbLb1EES10_IbLb0EEEEDaSW_SX_EUlSW_E_NS1_11comp_targetILNS1_3genE2ELNS1_11target_archE906ELNS1_3gpuE6ELNS1_3repE0EEENS1_30default_config_static_selectorELNS0_4arch9wavefront6targetE1EEEvT1_
    .private_segment_fixed_size: 0
    .sgpr_count:     6
    .sgpr_spill_count: 0
    .symbol:         _ZN7rocprim17ROCPRIM_400000_NS6detail17trampoline_kernelINS0_14default_configENS1_27scan_by_key_config_selectorIifEEZZNS1_16scan_by_key_implILNS1_25lookback_scan_determinismE0ELb1ES3_N6thrust23THRUST_200600_302600_NS6detail15normal_iteratorINS9_10device_ptrIiEEEENSB_INSC_IfEEEESG_fNS9_4plusIvEENS9_8equal_toIvEEfEE10hipError_tPvRmT2_T3_T4_T5_mT6_T7_P12ihipStream_tbENKUlT_T0_E_clISt17integral_constantIbLb1EES10_IbLb0EEEEDaSW_SX_EUlSW_E_NS1_11comp_targetILNS1_3genE2ELNS1_11target_archE906ELNS1_3gpuE6ELNS1_3repE0EEENS1_30default_config_static_selectorELNS0_4arch9wavefront6targetE1EEEvT1_.kd
    .uniform_work_group_size: 1
    .uses_dynamic_stack: false
    .vgpr_count:     0
    .vgpr_spill_count: 0
    .wavefront_size: 64
  - .agpr_count:     0
    .args:
      - .offset:         0
        .size:           112
        .value_kind:     by_value
    .group_segment_fixed_size: 0
    .kernarg_segment_align: 8
    .kernarg_segment_size: 112
    .language:       OpenCL C
    .language_version:
      - 2
      - 0
    .max_flat_workgroup_size: 256
    .name:           _ZN7rocprim17ROCPRIM_400000_NS6detail17trampoline_kernelINS0_14default_configENS1_27scan_by_key_config_selectorIifEEZZNS1_16scan_by_key_implILNS1_25lookback_scan_determinismE0ELb1ES3_N6thrust23THRUST_200600_302600_NS6detail15normal_iteratorINS9_10device_ptrIiEEEENSB_INSC_IfEEEESG_fNS9_4plusIvEENS9_8equal_toIvEEfEE10hipError_tPvRmT2_T3_T4_T5_mT6_T7_P12ihipStream_tbENKUlT_T0_E_clISt17integral_constantIbLb1EES10_IbLb0EEEEDaSW_SX_EUlSW_E_NS1_11comp_targetILNS1_3genE10ELNS1_11target_archE1200ELNS1_3gpuE4ELNS1_3repE0EEENS1_30default_config_static_selectorELNS0_4arch9wavefront6targetE1EEEvT1_
    .private_segment_fixed_size: 0
    .sgpr_count:     6
    .sgpr_spill_count: 0
    .symbol:         _ZN7rocprim17ROCPRIM_400000_NS6detail17trampoline_kernelINS0_14default_configENS1_27scan_by_key_config_selectorIifEEZZNS1_16scan_by_key_implILNS1_25lookback_scan_determinismE0ELb1ES3_N6thrust23THRUST_200600_302600_NS6detail15normal_iteratorINS9_10device_ptrIiEEEENSB_INSC_IfEEEESG_fNS9_4plusIvEENS9_8equal_toIvEEfEE10hipError_tPvRmT2_T3_T4_T5_mT6_T7_P12ihipStream_tbENKUlT_T0_E_clISt17integral_constantIbLb1EES10_IbLb0EEEEDaSW_SX_EUlSW_E_NS1_11comp_targetILNS1_3genE10ELNS1_11target_archE1200ELNS1_3gpuE4ELNS1_3repE0EEENS1_30default_config_static_selectorELNS0_4arch9wavefront6targetE1EEEvT1_.kd
    .uniform_work_group_size: 1
    .uses_dynamic_stack: false
    .vgpr_count:     0
    .vgpr_spill_count: 0
    .wavefront_size: 64
  - .agpr_count:     0
    .args:
      - .offset:         0
        .size:           112
        .value_kind:     by_value
    .group_segment_fixed_size: 0
    .kernarg_segment_align: 8
    .kernarg_segment_size: 112
    .language:       OpenCL C
    .language_version:
      - 2
      - 0
    .max_flat_workgroup_size: 256
    .name:           _ZN7rocprim17ROCPRIM_400000_NS6detail17trampoline_kernelINS0_14default_configENS1_27scan_by_key_config_selectorIifEEZZNS1_16scan_by_key_implILNS1_25lookback_scan_determinismE0ELb1ES3_N6thrust23THRUST_200600_302600_NS6detail15normal_iteratorINS9_10device_ptrIiEEEENSB_INSC_IfEEEESG_fNS9_4plusIvEENS9_8equal_toIvEEfEE10hipError_tPvRmT2_T3_T4_T5_mT6_T7_P12ihipStream_tbENKUlT_T0_E_clISt17integral_constantIbLb1EES10_IbLb0EEEEDaSW_SX_EUlSW_E_NS1_11comp_targetILNS1_3genE9ELNS1_11target_archE1100ELNS1_3gpuE3ELNS1_3repE0EEENS1_30default_config_static_selectorELNS0_4arch9wavefront6targetE1EEEvT1_
    .private_segment_fixed_size: 0
    .sgpr_count:     6
    .sgpr_spill_count: 0
    .symbol:         _ZN7rocprim17ROCPRIM_400000_NS6detail17trampoline_kernelINS0_14default_configENS1_27scan_by_key_config_selectorIifEEZZNS1_16scan_by_key_implILNS1_25lookback_scan_determinismE0ELb1ES3_N6thrust23THRUST_200600_302600_NS6detail15normal_iteratorINS9_10device_ptrIiEEEENSB_INSC_IfEEEESG_fNS9_4plusIvEENS9_8equal_toIvEEfEE10hipError_tPvRmT2_T3_T4_T5_mT6_T7_P12ihipStream_tbENKUlT_T0_E_clISt17integral_constantIbLb1EES10_IbLb0EEEEDaSW_SX_EUlSW_E_NS1_11comp_targetILNS1_3genE9ELNS1_11target_archE1100ELNS1_3gpuE3ELNS1_3repE0EEENS1_30default_config_static_selectorELNS0_4arch9wavefront6targetE1EEEvT1_.kd
    .uniform_work_group_size: 1
    .uses_dynamic_stack: false
    .vgpr_count:     0
    .vgpr_spill_count: 0
    .wavefront_size: 64
  - .agpr_count:     0
    .args:
      - .offset:         0
        .size:           112
        .value_kind:     by_value
    .group_segment_fixed_size: 0
    .kernarg_segment_align: 8
    .kernarg_segment_size: 112
    .language:       OpenCL C
    .language_version:
      - 2
      - 0
    .max_flat_workgroup_size: 256
    .name:           _ZN7rocprim17ROCPRIM_400000_NS6detail17trampoline_kernelINS0_14default_configENS1_27scan_by_key_config_selectorIifEEZZNS1_16scan_by_key_implILNS1_25lookback_scan_determinismE0ELb1ES3_N6thrust23THRUST_200600_302600_NS6detail15normal_iteratorINS9_10device_ptrIiEEEENSB_INSC_IfEEEESG_fNS9_4plusIvEENS9_8equal_toIvEEfEE10hipError_tPvRmT2_T3_T4_T5_mT6_T7_P12ihipStream_tbENKUlT_T0_E_clISt17integral_constantIbLb1EES10_IbLb0EEEEDaSW_SX_EUlSW_E_NS1_11comp_targetILNS1_3genE8ELNS1_11target_archE1030ELNS1_3gpuE2ELNS1_3repE0EEENS1_30default_config_static_selectorELNS0_4arch9wavefront6targetE1EEEvT1_
    .private_segment_fixed_size: 0
    .sgpr_count:     6
    .sgpr_spill_count: 0
    .symbol:         _ZN7rocprim17ROCPRIM_400000_NS6detail17trampoline_kernelINS0_14default_configENS1_27scan_by_key_config_selectorIifEEZZNS1_16scan_by_key_implILNS1_25lookback_scan_determinismE0ELb1ES3_N6thrust23THRUST_200600_302600_NS6detail15normal_iteratorINS9_10device_ptrIiEEEENSB_INSC_IfEEEESG_fNS9_4plusIvEENS9_8equal_toIvEEfEE10hipError_tPvRmT2_T3_T4_T5_mT6_T7_P12ihipStream_tbENKUlT_T0_E_clISt17integral_constantIbLb1EES10_IbLb0EEEEDaSW_SX_EUlSW_E_NS1_11comp_targetILNS1_3genE8ELNS1_11target_archE1030ELNS1_3gpuE2ELNS1_3repE0EEENS1_30default_config_static_selectorELNS0_4arch9wavefront6targetE1EEEvT1_.kd
    .uniform_work_group_size: 1
    .uses_dynamic_stack: false
    .vgpr_count:     0
    .vgpr_spill_count: 0
    .wavefront_size: 64
  - .agpr_count:     0
    .args:
      - .offset:         0
        .size:           112
        .value_kind:     by_value
    .group_segment_fixed_size: 0
    .kernarg_segment_align: 8
    .kernarg_segment_size: 112
    .language:       OpenCL C
    .language_version:
      - 2
      - 0
    .max_flat_workgroup_size: 256
    .name:           _ZN7rocprim17ROCPRIM_400000_NS6detail17trampoline_kernelINS0_14default_configENS1_27scan_by_key_config_selectorIifEEZZNS1_16scan_by_key_implILNS1_25lookback_scan_determinismE0ELb1ES3_N6thrust23THRUST_200600_302600_NS6detail15normal_iteratorINS9_10device_ptrIiEEEENSB_INSC_IfEEEESG_fNS9_4plusIvEENS9_8equal_toIvEEfEE10hipError_tPvRmT2_T3_T4_T5_mT6_T7_P12ihipStream_tbENKUlT_T0_E_clISt17integral_constantIbLb0EES10_IbLb1EEEEDaSW_SX_EUlSW_E_NS1_11comp_targetILNS1_3genE0ELNS1_11target_archE4294967295ELNS1_3gpuE0ELNS1_3repE0EEENS1_30default_config_static_selectorELNS0_4arch9wavefront6targetE1EEEvT1_
    .private_segment_fixed_size: 0
    .sgpr_count:     6
    .sgpr_spill_count: 0
    .symbol:         _ZN7rocprim17ROCPRIM_400000_NS6detail17trampoline_kernelINS0_14default_configENS1_27scan_by_key_config_selectorIifEEZZNS1_16scan_by_key_implILNS1_25lookback_scan_determinismE0ELb1ES3_N6thrust23THRUST_200600_302600_NS6detail15normal_iteratorINS9_10device_ptrIiEEEENSB_INSC_IfEEEESG_fNS9_4plusIvEENS9_8equal_toIvEEfEE10hipError_tPvRmT2_T3_T4_T5_mT6_T7_P12ihipStream_tbENKUlT_T0_E_clISt17integral_constantIbLb0EES10_IbLb1EEEEDaSW_SX_EUlSW_E_NS1_11comp_targetILNS1_3genE0ELNS1_11target_archE4294967295ELNS1_3gpuE0ELNS1_3repE0EEENS1_30default_config_static_selectorELNS0_4arch9wavefront6targetE1EEEvT1_.kd
    .uniform_work_group_size: 1
    .uses_dynamic_stack: false
    .vgpr_count:     0
    .vgpr_spill_count: 0
    .wavefront_size: 64
  - .agpr_count:     0
    .args:
      - .offset:         0
        .size:           112
        .value_kind:     by_value
    .group_segment_fixed_size: 0
    .kernarg_segment_align: 8
    .kernarg_segment_size: 112
    .language:       OpenCL C
    .language_version:
      - 2
      - 0
    .max_flat_workgroup_size: 256
    .name:           _ZN7rocprim17ROCPRIM_400000_NS6detail17trampoline_kernelINS0_14default_configENS1_27scan_by_key_config_selectorIifEEZZNS1_16scan_by_key_implILNS1_25lookback_scan_determinismE0ELb1ES3_N6thrust23THRUST_200600_302600_NS6detail15normal_iteratorINS9_10device_ptrIiEEEENSB_INSC_IfEEEESG_fNS9_4plusIvEENS9_8equal_toIvEEfEE10hipError_tPvRmT2_T3_T4_T5_mT6_T7_P12ihipStream_tbENKUlT_T0_E_clISt17integral_constantIbLb0EES10_IbLb1EEEEDaSW_SX_EUlSW_E_NS1_11comp_targetILNS1_3genE10ELNS1_11target_archE1201ELNS1_3gpuE5ELNS1_3repE0EEENS1_30default_config_static_selectorELNS0_4arch9wavefront6targetE1EEEvT1_
    .private_segment_fixed_size: 0
    .sgpr_count:     6
    .sgpr_spill_count: 0
    .symbol:         _ZN7rocprim17ROCPRIM_400000_NS6detail17trampoline_kernelINS0_14default_configENS1_27scan_by_key_config_selectorIifEEZZNS1_16scan_by_key_implILNS1_25lookback_scan_determinismE0ELb1ES3_N6thrust23THRUST_200600_302600_NS6detail15normal_iteratorINS9_10device_ptrIiEEEENSB_INSC_IfEEEESG_fNS9_4plusIvEENS9_8equal_toIvEEfEE10hipError_tPvRmT2_T3_T4_T5_mT6_T7_P12ihipStream_tbENKUlT_T0_E_clISt17integral_constantIbLb0EES10_IbLb1EEEEDaSW_SX_EUlSW_E_NS1_11comp_targetILNS1_3genE10ELNS1_11target_archE1201ELNS1_3gpuE5ELNS1_3repE0EEENS1_30default_config_static_selectorELNS0_4arch9wavefront6targetE1EEEvT1_.kd
    .uniform_work_group_size: 1
    .uses_dynamic_stack: false
    .vgpr_count:     0
    .vgpr_spill_count: 0
    .wavefront_size: 64
  - .agpr_count:     0
    .args:
      - .offset:         0
        .size:           112
        .value_kind:     by_value
    .group_segment_fixed_size: 25600
    .kernarg_segment_align: 8
    .kernarg_segment_size: 112
    .language:       OpenCL C
    .language_version:
      - 2
      - 0
    .max_flat_workgroup_size: 256
    .name:           _ZN7rocprim17ROCPRIM_400000_NS6detail17trampoline_kernelINS0_14default_configENS1_27scan_by_key_config_selectorIifEEZZNS1_16scan_by_key_implILNS1_25lookback_scan_determinismE0ELb1ES3_N6thrust23THRUST_200600_302600_NS6detail15normal_iteratorINS9_10device_ptrIiEEEENSB_INSC_IfEEEESG_fNS9_4plusIvEENS9_8equal_toIvEEfEE10hipError_tPvRmT2_T3_T4_T5_mT6_T7_P12ihipStream_tbENKUlT_T0_E_clISt17integral_constantIbLb0EES10_IbLb1EEEEDaSW_SX_EUlSW_E_NS1_11comp_targetILNS1_3genE5ELNS1_11target_archE942ELNS1_3gpuE9ELNS1_3repE0EEENS1_30default_config_static_selectorELNS0_4arch9wavefront6targetE1EEEvT1_
    .private_segment_fixed_size: 0
    .sgpr_count:     86
    .sgpr_spill_count: 0
    .symbol:         _ZN7rocprim17ROCPRIM_400000_NS6detail17trampoline_kernelINS0_14default_configENS1_27scan_by_key_config_selectorIifEEZZNS1_16scan_by_key_implILNS1_25lookback_scan_determinismE0ELb1ES3_N6thrust23THRUST_200600_302600_NS6detail15normal_iteratorINS9_10device_ptrIiEEEENSB_INSC_IfEEEESG_fNS9_4plusIvEENS9_8equal_toIvEEfEE10hipError_tPvRmT2_T3_T4_T5_mT6_T7_P12ihipStream_tbENKUlT_T0_E_clISt17integral_constantIbLb0EES10_IbLb1EEEEDaSW_SX_EUlSW_E_NS1_11comp_targetILNS1_3genE5ELNS1_11target_archE942ELNS1_3gpuE9ELNS1_3repE0EEENS1_30default_config_static_selectorELNS0_4arch9wavefront6targetE1EEEvT1_.kd
    .uniform_work_group_size: 1
    .uses_dynamic_stack: false
    .vgpr_count:     96
    .vgpr_spill_count: 0
    .wavefront_size: 64
  - .agpr_count:     0
    .args:
      - .offset:         0
        .size:           112
        .value_kind:     by_value
    .group_segment_fixed_size: 0
    .kernarg_segment_align: 8
    .kernarg_segment_size: 112
    .language:       OpenCL C
    .language_version:
      - 2
      - 0
    .max_flat_workgroup_size: 256
    .name:           _ZN7rocprim17ROCPRIM_400000_NS6detail17trampoline_kernelINS0_14default_configENS1_27scan_by_key_config_selectorIifEEZZNS1_16scan_by_key_implILNS1_25lookback_scan_determinismE0ELb1ES3_N6thrust23THRUST_200600_302600_NS6detail15normal_iteratorINS9_10device_ptrIiEEEENSB_INSC_IfEEEESG_fNS9_4plusIvEENS9_8equal_toIvEEfEE10hipError_tPvRmT2_T3_T4_T5_mT6_T7_P12ihipStream_tbENKUlT_T0_E_clISt17integral_constantIbLb0EES10_IbLb1EEEEDaSW_SX_EUlSW_E_NS1_11comp_targetILNS1_3genE4ELNS1_11target_archE910ELNS1_3gpuE8ELNS1_3repE0EEENS1_30default_config_static_selectorELNS0_4arch9wavefront6targetE1EEEvT1_
    .private_segment_fixed_size: 0
    .sgpr_count:     6
    .sgpr_spill_count: 0
    .symbol:         _ZN7rocprim17ROCPRIM_400000_NS6detail17trampoline_kernelINS0_14default_configENS1_27scan_by_key_config_selectorIifEEZZNS1_16scan_by_key_implILNS1_25lookback_scan_determinismE0ELb1ES3_N6thrust23THRUST_200600_302600_NS6detail15normal_iteratorINS9_10device_ptrIiEEEENSB_INSC_IfEEEESG_fNS9_4plusIvEENS9_8equal_toIvEEfEE10hipError_tPvRmT2_T3_T4_T5_mT6_T7_P12ihipStream_tbENKUlT_T0_E_clISt17integral_constantIbLb0EES10_IbLb1EEEEDaSW_SX_EUlSW_E_NS1_11comp_targetILNS1_3genE4ELNS1_11target_archE910ELNS1_3gpuE8ELNS1_3repE0EEENS1_30default_config_static_selectorELNS0_4arch9wavefront6targetE1EEEvT1_.kd
    .uniform_work_group_size: 1
    .uses_dynamic_stack: false
    .vgpr_count:     0
    .vgpr_spill_count: 0
    .wavefront_size: 64
  - .agpr_count:     0
    .args:
      - .offset:         0
        .size:           112
        .value_kind:     by_value
    .group_segment_fixed_size: 0
    .kernarg_segment_align: 8
    .kernarg_segment_size: 112
    .language:       OpenCL C
    .language_version:
      - 2
      - 0
    .max_flat_workgroup_size: 256
    .name:           _ZN7rocprim17ROCPRIM_400000_NS6detail17trampoline_kernelINS0_14default_configENS1_27scan_by_key_config_selectorIifEEZZNS1_16scan_by_key_implILNS1_25lookback_scan_determinismE0ELb1ES3_N6thrust23THRUST_200600_302600_NS6detail15normal_iteratorINS9_10device_ptrIiEEEENSB_INSC_IfEEEESG_fNS9_4plusIvEENS9_8equal_toIvEEfEE10hipError_tPvRmT2_T3_T4_T5_mT6_T7_P12ihipStream_tbENKUlT_T0_E_clISt17integral_constantIbLb0EES10_IbLb1EEEEDaSW_SX_EUlSW_E_NS1_11comp_targetILNS1_3genE3ELNS1_11target_archE908ELNS1_3gpuE7ELNS1_3repE0EEENS1_30default_config_static_selectorELNS0_4arch9wavefront6targetE1EEEvT1_
    .private_segment_fixed_size: 0
    .sgpr_count:     6
    .sgpr_spill_count: 0
    .symbol:         _ZN7rocprim17ROCPRIM_400000_NS6detail17trampoline_kernelINS0_14default_configENS1_27scan_by_key_config_selectorIifEEZZNS1_16scan_by_key_implILNS1_25lookback_scan_determinismE0ELb1ES3_N6thrust23THRUST_200600_302600_NS6detail15normal_iteratorINS9_10device_ptrIiEEEENSB_INSC_IfEEEESG_fNS9_4plusIvEENS9_8equal_toIvEEfEE10hipError_tPvRmT2_T3_T4_T5_mT6_T7_P12ihipStream_tbENKUlT_T0_E_clISt17integral_constantIbLb0EES10_IbLb1EEEEDaSW_SX_EUlSW_E_NS1_11comp_targetILNS1_3genE3ELNS1_11target_archE908ELNS1_3gpuE7ELNS1_3repE0EEENS1_30default_config_static_selectorELNS0_4arch9wavefront6targetE1EEEvT1_.kd
    .uniform_work_group_size: 1
    .uses_dynamic_stack: false
    .vgpr_count:     0
    .vgpr_spill_count: 0
    .wavefront_size: 64
  - .agpr_count:     0
    .args:
      - .offset:         0
        .size:           112
        .value_kind:     by_value
    .group_segment_fixed_size: 0
    .kernarg_segment_align: 8
    .kernarg_segment_size: 112
    .language:       OpenCL C
    .language_version:
      - 2
      - 0
    .max_flat_workgroup_size: 256
    .name:           _ZN7rocprim17ROCPRIM_400000_NS6detail17trampoline_kernelINS0_14default_configENS1_27scan_by_key_config_selectorIifEEZZNS1_16scan_by_key_implILNS1_25lookback_scan_determinismE0ELb1ES3_N6thrust23THRUST_200600_302600_NS6detail15normal_iteratorINS9_10device_ptrIiEEEENSB_INSC_IfEEEESG_fNS9_4plusIvEENS9_8equal_toIvEEfEE10hipError_tPvRmT2_T3_T4_T5_mT6_T7_P12ihipStream_tbENKUlT_T0_E_clISt17integral_constantIbLb0EES10_IbLb1EEEEDaSW_SX_EUlSW_E_NS1_11comp_targetILNS1_3genE2ELNS1_11target_archE906ELNS1_3gpuE6ELNS1_3repE0EEENS1_30default_config_static_selectorELNS0_4arch9wavefront6targetE1EEEvT1_
    .private_segment_fixed_size: 0
    .sgpr_count:     6
    .sgpr_spill_count: 0
    .symbol:         _ZN7rocprim17ROCPRIM_400000_NS6detail17trampoline_kernelINS0_14default_configENS1_27scan_by_key_config_selectorIifEEZZNS1_16scan_by_key_implILNS1_25lookback_scan_determinismE0ELb1ES3_N6thrust23THRUST_200600_302600_NS6detail15normal_iteratorINS9_10device_ptrIiEEEENSB_INSC_IfEEEESG_fNS9_4plusIvEENS9_8equal_toIvEEfEE10hipError_tPvRmT2_T3_T4_T5_mT6_T7_P12ihipStream_tbENKUlT_T0_E_clISt17integral_constantIbLb0EES10_IbLb1EEEEDaSW_SX_EUlSW_E_NS1_11comp_targetILNS1_3genE2ELNS1_11target_archE906ELNS1_3gpuE6ELNS1_3repE0EEENS1_30default_config_static_selectorELNS0_4arch9wavefront6targetE1EEEvT1_.kd
    .uniform_work_group_size: 1
    .uses_dynamic_stack: false
    .vgpr_count:     0
    .vgpr_spill_count: 0
    .wavefront_size: 64
  - .agpr_count:     0
    .args:
      - .offset:         0
        .size:           112
        .value_kind:     by_value
    .group_segment_fixed_size: 0
    .kernarg_segment_align: 8
    .kernarg_segment_size: 112
    .language:       OpenCL C
    .language_version:
      - 2
      - 0
    .max_flat_workgroup_size: 256
    .name:           _ZN7rocprim17ROCPRIM_400000_NS6detail17trampoline_kernelINS0_14default_configENS1_27scan_by_key_config_selectorIifEEZZNS1_16scan_by_key_implILNS1_25lookback_scan_determinismE0ELb1ES3_N6thrust23THRUST_200600_302600_NS6detail15normal_iteratorINS9_10device_ptrIiEEEENSB_INSC_IfEEEESG_fNS9_4plusIvEENS9_8equal_toIvEEfEE10hipError_tPvRmT2_T3_T4_T5_mT6_T7_P12ihipStream_tbENKUlT_T0_E_clISt17integral_constantIbLb0EES10_IbLb1EEEEDaSW_SX_EUlSW_E_NS1_11comp_targetILNS1_3genE10ELNS1_11target_archE1200ELNS1_3gpuE4ELNS1_3repE0EEENS1_30default_config_static_selectorELNS0_4arch9wavefront6targetE1EEEvT1_
    .private_segment_fixed_size: 0
    .sgpr_count:     6
    .sgpr_spill_count: 0
    .symbol:         _ZN7rocprim17ROCPRIM_400000_NS6detail17trampoline_kernelINS0_14default_configENS1_27scan_by_key_config_selectorIifEEZZNS1_16scan_by_key_implILNS1_25lookback_scan_determinismE0ELb1ES3_N6thrust23THRUST_200600_302600_NS6detail15normal_iteratorINS9_10device_ptrIiEEEENSB_INSC_IfEEEESG_fNS9_4plusIvEENS9_8equal_toIvEEfEE10hipError_tPvRmT2_T3_T4_T5_mT6_T7_P12ihipStream_tbENKUlT_T0_E_clISt17integral_constantIbLb0EES10_IbLb1EEEEDaSW_SX_EUlSW_E_NS1_11comp_targetILNS1_3genE10ELNS1_11target_archE1200ELNS1_3gpuE4ELNS1_3repE0EEENS1_30default_config_static_selectorELNS0_4arch9wavefront6targetE1EEEvT1_.kd
    .uniform_work_group_size: 1
    .uses_dynamic_stack: false
    .vgpr_count:     0
    .vgpr_spill_count: 0
    .wavefront_size: 64
  - .agpr_count:     0
    .args:
      - .offset:         0
        .size:           112
        .value_kind:     by_value
    .group_segment_fixed_size: 0
    .kernarg_segment_align: 8
    .kernarg_segment_size: 112
    .language:       OpenCL C
    .language_version:
      - 2
      - 0
    .max_flat_workgroup_size: 256
    .name:           _ZN7rocprim17ROCPRIM_400000_NS6detail17trampoline_kernelINS0_14default_configENS1_27scan_by_key_config_selectorIifEEZZNS1_16scan_by_key_implILNS1_25lookback_scan_determinismE0ELb1ES3_N6thrust23THRUST_200600_302600_NS6detail15normal_iteratorINS9_10device_ptrIiEEEENSB_INSC_IfEEEESG_fNS9_4plusIvEENS9_8equal_toIvEEfEE10hipError_tPvRmT2_T3_T4_T5_mT6_T7_P12ihipStream_tbENKUlT_T0_E_clISt17integral_constantIbLb0EES10_IbLb1EEEEDaSW_SX_EUlSW_E_NS1_11comp_targetILNS1_3genE9ELNS1_11target_archE1100ELNS1_3gpuE3ELNS1_3repE0EEENS1_30default_config_static_selectorELNS0_4arch9wavefront6targetE1EEEvT1_
    .private_segment_fixed_size: 0
    .sgpr_count:     6
    .sgpr_spill_count: 0
    .symbol:         _ZN7rocprim17ROCPRIM_400000_NS6detail17trampoline_kernelINS0_14default_configENS1_27scan_by_key_config_selectorIifEEZZNS1_16scan_by_key_implILNS1_25lookback_scan_determinismE0ELb1ES3_N6thrust23THRUST_200600_302600_NS6detail15normal_iteratorINS9_10device_ptrIiEEEENSB_INSC_IfEEEESG_fNS9_4plusIvEENS9_8equal_toIvEEfEE10hipError_tPvRmT2_T3_T4_T5_mT6_T7_P12ihipStream_tbENKUlT_T0_E_clISt17integral_constantIbLb0EES10_IbLb1EEEEDaSW_SX_EUlSW_E_NS1_11comp_targetILNS1_3genE9ELNS1_11target_archE1100ELNS1_3gpuE3ELNS1_3repE0EEENS1_30default_config_static_selectorELNS0_4arch9wavefront6targetE1EEEvT1_.kd
    .uniform_work_group_size: 1
    .uses_dynamic_stack: false
    .vgpr_count:     0
    .vgpr_spill_count: 0
    .wavefront_size: 64
  - .agpr_count:     0
    .args:
      - .offset:         0
        .size:           112
        .value_kind:     by_value
    .group_segment_fixed_size: 0
    .kernarg_segment_align: 8
    .kernarg_segment_size: 112
    .language:       OpenCL C
    .language_version:
      - 2
      - 0
    .max_flat_workgroup_size: 256
    .name:           _ZN7rocprim17ROCPRIM_400000_NS6detail17trampoline_kernelINS0_14default_configENS1_27scan_by_key_config_selectorIifEEZZNS1_16scan_by_key_implILNS1_25lookback_scan_determinismE0ELb1ES3_N6thrust23THRUST_200600_302600_NS6detail15normal_iteratorINS9_10device_ptrIiEEEENSB_INSC_IfEEEESG_fNS9_4plusIvEENS9_8equal_toIvEEfEE10hipError_tPvRmT2_T3_T4_T5_mT6_T7_P12ihipStream_tbENKUlT_T0_E_clISt17integral_constantIbLb0EES10_IbLb1EEEEDaSW_SX_EUlSW_E_NS1_11comp_targetILNS1_3genE8ELNS1_11target_archE1030ELNS1_3gpuE2ELNS1_3repE0EEENS1_30default_config_static_selectorELNS0_4arch9wavefront6targetE1EEEvT1_
    .private_segment_fixed_size: 0
    .sgpr_count:     6
    .sgpr_spill_count: 0
    .symbol:         _ZN7rocprim17ROCPRIM_400000_NS6detail17trampoline_kernelINS0_14default_configENS1_27scan_by_key_config_selectorIifEEZZNS1_16scan_by_key_implILNS1_25lookback_scan_determinismE0ELb1ES3_N6thrust23THRUST_200600_302600_NS6detail15normal_iteratorINS9_10device_ptrIiEEEENSB_INSC_IfEEEESG_fNS9_4plusIvEENS9_8equal_toIvEEfEE10hipError_tPvRmT2_T3_T4_T5_mT6_T7_P12ihipStream_tbENKUlT_T0_E_clISt17integral_constantIbLb0EES10_IbLb1EEEEDaSW_SX_EUlSW_E_NS1_11comp_targetILNS1_3genE8ELNS1_11target_archE1030ELNS1_3gpuE2ELNS1_3repE0EEENS1_30default_config_static_selectorELNS0_4arch9wavefront6targetE1EEEvT1_.kd
    .uniform_work_group_size: 1
    .uses_dynamic_stack: false
    .vgpr_count:     0
    .vgpr_spill_count: 0
    .wavefront_size: 64
  - .agpr_count:     0
    .args:
      - .offset:         0
        .size:           136
        .value_kind:     by_value
    .group_segment_fixed_size: 0
    .kernarg_segment_align: 8
    .kernarg_segment_size: 136
    .language:       OpenCL C
    .language_version:
      - 2
      - 0
    .max_flat_workgroup_size: 128
    .name:           _ZN7rocprim17ROCPRIM_400000_NS6detail17trampoline_kernelINS0_14default_configENS1_27scan_by_key_config_selectorIiyEEZZNS1_16scan_by_key_implILNS1_25lookback_scan_determinismE0ELb1ES3_N6thrust23THRUST_200600_302600_NS6detail15normal_iteratorINS9_10device_ptrIiEEEENSB_INSC_IyEEEESG_yNS9_4plusIvEENS9_8equal_toIvEEyEE10hipError_tPvRmT2_T3_T4_T5_mT6_T7_P12ihipStream_tbENKUlT_T0_E_clISt17integral_constantIbLb0EES11_EEDaSW_SX_EUlSW_E_NS1_11comp_targetILNS1_3genE0ELNS1_11target_archE4294967295ELNS1_3gpuE0ELNS1_3repE0EEENS1_30default_config_static_selectorELNS0_4arch9wavefront6targetE1EEEvT1_
    .private_segment_fixed_size: 0
    .sgpr_count:     6
    .sgpr_spill_count: 0
    .symbol:         _ZN7rocprim17ROCPRIM_400000_NS6detail17trampoline_kernelINS0_14default_configENS1_27scan_by_key_config_selectorIiyEEZZNS1_16scan_by_key_implILNS1_25lookback_scan_determinismE0ELb1ES3_N6thrust23THRUST_200600_302600_NS6detail15normal_iteratorINS9_10device_ptrIiEEEENSB_INSC_IyEEEESG_yNS9_4plusIvEENS9_8equal_toIvEEyEE10hipError_tPvRmT2_T3_T4_T5_mT6_T7_P12ihipStream_tbENKUlT_T0_E_clISt17integral_constantIbLb0EES11_EEDaSW_SX_EUlSW_E_NS1_11comp_targetILNS1_3genE0ELNS1_11target_archE4294967295ELNS1_3gpuE0ELNS1_3repE0EEENS1_30default_config_static_selectorELNS0_4arch9wavefront6targetE1EEEvT1_.kd
    .uniform_work_group_size: 1
    .uses_dynamic_stack: false
    .vgpr_count:     0
    .vgpr_spill_count: 0
    .wavefront_size: 64
  - .agpr_count:     0
    .args:
      - .offset:         0
        .size:           136
        .value_kind:     by_value
    .group_segment_fixed_size: 0
    .kernarg_segment_align: 8
    .kernarg_segment_size: 136
    .language:       OpenCL C
    .language_version:
      - 2
      - 0
    .max_flat_workgroup_size: 256
    .name:           _ZN7rocprim17ROCPRIM_400000_NS6detail17trampoline_kernelINS0_14default_configENS1_27scan_by_key_config_selectorIiyEEZZNS1_16scan_by_key_implILNS1_25lookback_scan_determinismE0ELb1ES3_N6thrust23THRUST_200600_302600_NS6detail15normal_iteratorINS9_10device_ptrIiEEEENSB_INSC_IyEEEESG_yNS9_4plusIvEENS9_8equal_toIvEEyEE10hipError_tPvRmT2_T3_T4_T5_mT6_T7_P12ihipStream_tbENKUlT_T0_E_clISt17integral_constantIbLb0EES11_EEDaSW_SX_EUlSW_E_NS1_11comp_targetILNS1_3genE10ELNS1_11target_archE1201ELNS1_3gpuE5ELNS1_3repE0EEENS1_30default_config_static_selectorELNS0_4arch9wavefront6targetE1EEEvT1_
    .private_segment_fixed_size: 0
    .sgpr_count:     6
    .sgpr_spill_count: 0
    .symbol:         _ZN7rocprim17ROCPRIM_400000_NS6detail17trampoline_kernelINS0_14default_configENS1_27scan_by_key_config_selectorIiyEEZZNS1_16scan_by_key_implILNS1_25lookback_scan_determinismE0ELb1ES3_N6thrust23THRUST_200600_302600_NS6detail15normal_iteratorINS9_10device_ptrIiEEEENSB_INSC_IyEEEESG_yNS9_4plusIvEENS9_8equal_toIvEEyEE10hipError_tPvRmT2_T3_T4_T5_mT6_T7_P12ihipStream_tbENKUlT_T0_E_clISt17integral_constantIbLb0EES11_EEDaSW_SX_EUlSW_E_NS1_11comp_targetILNS1_3genE10ELNS1_11target_archE1201ELNS1_3gpuE5ELNS1_3repE0EEENS1_30default_config_static_selectorELNS0_4arch9wavefront6targetE1EEEvT1_.kd
    .uniform_work_group_size: 1
    .uses_dynamic_stack: false
    .vgpr_count:     0
    .vgpr_spill_count: 0
    .wavefront_size: 64
  - .agpr_count:     0
    .args:
      - .offset:         0
        .size:           136
        .value_kind:     by_value
    .group_segment_fixed_size: 43008
    .kernarg_segment_align: 8
    .kernarg_segment_size: 136
    .language:       OpenCL C
    .language_version:
      - 2
      - 0
    .max_flat_workgroup_size: 256
    .name:           _ZN7rocprim17ROCPRIM_400000_NS6detail17trampoline_kernelINS0_14default_configENS1_27scan_by_key_config_selectorIiyEEZZNS1_16scan_by_key_implILNS1_25lookback_scan_determinismE0ELb1ES3_N6thrust23THRUST_200600_302600_NS6detail15normal_iteratorINS9_10device_ptrIiEEEENSB_INSC_IyEEEESG_yNS9_4plusIvEENS9_8equal_toIvEEyEE10hipError_tPvRmT2_T3_T4_T5_mT6_T7_P12ihipStream_tbENKUlT_T0_E_clISt17integral_constantIbLb0EES11_EEDaSW_SX_EUlSW_E_NS1_11comp_targetILNS1_3genE5ELNS1_11target_archE942ELNS1_3gpuE9ELNS1_3repE0EEENS1_30default_config_static_selectorELNS0_4arch9wavefront6targetE1EEEvT1_
    .private_segment_fixed_size: 0
    .sgpr_count:     84
    .sgpr_spill_count: 0
    .symbol:         _ZN7rocprim17ROCPRIM_400000_NS6detail17trampoline_kernelINS0_14default_configENS1_27scan_by_key_config_selectorIiyEEZZNS1_16scan_by_key_implILNS1_25lookback_scan_determinismE0ELb1ES3_N6thrust23THRUST_200600_302600_NS6detail15normal_iteratorINS9_10device_ptrIiEEEENSB_INSC_IyEEEESG_yNS9_4plusIvEENS9_8equal_toIvEEyEE10hipError_tPvRmT2_T3_T4_T5_mT6_T7_P12ihipStream_tbENKUlT_T0_E_clISt17integral_constantIbLb0EES11_EEDaSW_SX_EUlSW_E_NS1_11comp_targetILNS1_3genE5ELNS1_11target_archE942ELNS1_3gpuE9ELNS1_3repE0EEENS1_30default_config_static_selectorELNS0_4arch9wavefront6targetE1EEEvT1_.kd
    .uniform_work_group_size: 1
    .uses_dynamic_stack: false
    .vgpr_count:     126
    .vgpr_spill_count: 0
    .wavefront_size: 64
  - .agpr_count:     0
    .args:
      - .offset:         0
        .size:           136
        .value_kind:     by_value
    .group_segment_fixed_size: 0
    .kernarg_segment_align: 8
    .kernarg_segment_size: 136
    .language:       OpenCL C
    .language_version:
      - 2
      - 0
    .max_flat_workgroup_size: 64
    .name:           _ZN7rocprim17ROCPRIM_400000_NS6detail17trampoline_kernelINS0_14default_configENS1_27scan_by_key_config_selectorIiyEEZZNS1_16scan_by_key_implILNS1_25lookback_scan_determinismE0ELb1ES3_N6thrust23THRUST_200600_302600_NS6detail15normal_iteratorINS9_10device_ptrIiEEEENSB_INSC_IyEEEESG_yNS9_4plusIvEENS9_8equal_toIvEEyEE10hipError_tPvRmT2_T3_T4_T5_mT6_T7_P12ihipStream_tbENKUlT_T0_E_clISt17integral_constantIbLb0EES11_EEDaSW_SX_EUlSW_E_NS1_11comp_targetILNS1_3genE4ELNS1_11target_archE910ELNS1_3gpuE8ELNS1_3repE0EEENS1_30default_config_static_selectorELNS0_4arch9wavefront6targetE1EEEvT1_
    .private_segment_fixed_size: 0
    .sgpr_count:     6
    .sgpr_spill_count: 0
    .symbol:         _ZN7rocprim17ROCPRIM_400000_NS6detail17trampoline_kernelINS0_14default_configENS1_27scan_by_key_config_selectorIiyEEZZNS1_16scan_by_key_implILNS1_25lookback_scan_determinismE0ELb1ES3_N6thrust23THRUST_200600_302600_NS6detail15normal_iteratorINS9_10device_ptrIiEEEENSB_INSC_IyEEEESG_yNS9_4plusIvEENS9_8equal_toIvEEyEE10hipError_tPvRmT2_T3_T4_T5_mT6_T7_P12ihipStream_tbENKUlT_T0_E_clISt17integral_constantIbLb0EES11_EEDaSW_SX_EUlSW_E_NS1_11comp_targetILNS1_3genE4ELNS1_11target_archE910ELNS1_3gpuE8ELNS1_3repE0EEENS1_30default_config_static_selectorELNS0_4arch9wavefront6targetE1EEEvT1_.kd
    .uniform_work_group_size: 1
    .uses_dynamic_stack: false
    .vgpr_count:     0
    .vgpr_spill_count: 0
    .wavefront_size: 64
  - .agpr_count:     0
    .args:
      - .offset:         0
        .size:           136
        .value_kind:     by_value
    .group_segment_fixed_size: 0
    .kernarg_segment_align: 8
    .kernarg_segment_size: 136
    .language:       OpenCL C
    .language_version:
      - 2
      - 0
    .max_flat_workgroup_size: 128
    .name:           _ZN7rocprim17ROCPRIM_400000_NS6detail17trampoline_kernelINS0_14default_configENS1_27scan_by_key_config_selectorIiyEEZZNS1_16scan_by_key_implILNS1_25lookback_scan_determinismE0ELb1ES3_N6thrust23THRUST_200600_302600_NS6detail15normal_iteratorINS9_10device_ptrIiEEEENSB_INSC_IyEEEESG_yNS9_4plusIvEENS9_8equal_toIvEEyEE10hipError_tPvRmT2_T3_T4_T5_mT6_T7_P12ihipStream_tbENKUlT_T0_E_clISt17integral_constantIbLb0EES11_EEDaSW_SX_EUlSW_E_NS1_11comp_targetILNS1_3genE3ELNS1_11target_archE908ELNS1_3gpuE7ELNS1_3repE0EEENS1_30default_config_static_selectorELNS0_4arch9wavefront6targetE1EEEvT1_
    .private_segment_fixed_size: 0
    .sgpr_count:     6
    .sgpr_spill_count: 0
    .symbol:         _ZN7rocprim17ROCPRIM_400000_NS6detail17trampoline_kernelINS0_14default_configENS1_27scan_by_key_config_selectorIiyEEZZNS1_16scan_by_key_implILNS1_25lookback_scan_determinismE0ELb1ES3_N6thrust23THRUST_200600_302600_NS6detail15normal_iteratorINS9_10device_ptrIiEEEENSB_INSC_IyEEEESG_yNS9_4plusIvEENS9_8equal_toIvEEyEE10hipError_tPvRmT2_T3_T4_T5_mT6_T7_P12ihipStream_tbENKUlT_T0_E_clISt17integral_constantIbLb0EES11_EEDaSW_SX_EUlSW_E_NS1_11comp_targetILNS1_3genE3ELNS1_11target_archE908ELNS1_3gpuE7ELNS1_3repE0EEENS1_30default_config_static_selectorELNS0_4arch9wavefront6targetE1EEEvT1_.kd
    .uniform_work_group_size: 1
    .uses_dynamic_stack: false
    .vgpr_count:     0
    .vgpr_spill_count: 0
    .wavefront_size: 64
  - .agpr_count:     0
    .args:
      - .offset:         0
        .size:           136
        .value_kind:     by_value
    .group_segment_fixed_size: 0
    .kernarg_segment_align: 8
    .kernarg_segment_size: 136
    .language:       OpenCL C
    .language_version:
      - 2
      - 0
    .max_flat_workgroup_size: 64
    .name:           _ZN7rocprim17ROCPRIM_400000_NS6detail17trampoline_kernelINS0_14default_configENS1_27scan_by_key_config_selectorIiyEEZZNS1_16scan_by_key_implILNS1_25lookback_scan_determinismE0ELb1ES3_N6thrust23THRUST_200600_302600_NS6detail15normal_iteratorINS9_10device_ptrIiEEEENSB_INSC_IyEEEESG_yNS9_4plusIvEENS9_8equal_toIvEEyEE10hipError_tPvRmT2_T3_T4_T5_mT6_T7_P12ihipStream_tbENKUlT_T0_E_clISt17integral_constantIbLb0EES11_EEDaSW_SX_EUlSW_E_NS1_11comp_targetILNS1_3genE2ELNS1_11target_archE906ELNS1_3gpuE6ELNS1_3repE0EEENS1_30default_config_static_selectorELNS0_4arch9wavefront6targetE1EEEvT1_
    .private_segment_fixed_size: 0
    .sgpr_count:     6
    .sgpr_spill_count: 0
    .symbol:         _ZN7rocprim17ROCPRIM_400000_NS6detail17trampoline_kernelINS0_14default_configENS1_27scan_by_key_config_selectorIiyEEZZNS1_16scan_by_key_implILNS1_25lookback_scan_determinismE0ELb1ES3_N6thrust23THRUST_200600_302600_NS6detail15normal_iteratorINS9_10device_ptrIiEEEENSB_INSC_IyEEEESG_yNS9_4plusIvEENS9_8equal_toIvEEyEE10hipError_tPvRmT2_T3_T4_T5_mT6_T7_P12ihipStream_tbENKUlT_T0_E_clISt17integral_constantIbLb0EES11_EEDaSW_SX_EUlSW_E_NS1_11comp_targetILNS1_3genE2ELNS1_11target_archE906ELNS1_3gpuE6ELNS1_3repE0EEENS1_30default_config_static_selectorELNS0_4arch9wavefront6targetE1EEEvT1_.kd
    .uniform_work_group_size: 1
    .uses_dynamic_stack: false
    .vgpr_count:     0
    .vgpr_spill_count: 0
    .wavefront_size: 64
  - .agpr_count:     0
    .args:
      - .offset:         0
        .size:           136
        .value_kind:     by_value
    .group_segment_fixed_size: 0
    .kernarg_segment_align: 8
    .kernarg_segment_size: 136
    .language:       OpenCL C
    .language_version:
      - 2
      - 0
    .max_flat_workgroup_size: 256
    .name:           _ZN7rocprim17ROCPRIM_400000_NS6detail17trampoline_kernelINS0_14default_configENS1_27scan_by_key_config_selectorIiyEEZZNS1_16scan_by_key_implILNS1_25lookback_scan_determinismE0ELb1ES3_N6thrust23THRUST_200600_302600_NS6detail15normal_iteratorINS9_10device_ptrIiEEEENSB_INSC_IyEEEESG_yNS9_4plusIvEENS9_8equal_toIvEEyEE10hipError_tPvRmT2_T3_T4_T5_mT6_T7_P12ihipStream_tbENKUlT_T0_E_clISt17integral_constantIbLb0EES11_EEDaSW_SX_EUlSW_E_NS1_11comp_targetILNS1_3genE10ELNS1_11target_archE1200ELNS1_3gpuE4ELNS1_3repE0EEENS1_30default_config_static_selectorELNS0_4arch9wavefront6targetE1EEEvT1_
    .private_segment_fixed_size: 0
    .sgpr_count:     6
    .sgpr_spill_count: 0
    .symbol:         _ZN7rocprim17ROCPRIM_400000_NS6detail17trampoline_kernelINS0_14default_configENS1_27scan_by_key_config_selectorIiyEEZZNS1_16scan_by_key_implILNS1_25lookback_scan_determinismE0ELb1ES3_N6thrust23THRUST_200600_302600_NS6detail15normal_iteratorINS9_10device_ptrIiEEEENSB_INSC_IyEEEESG_yNS9_4plusIvEENS9_8equal_toIvEEyEE10hipError_tPvRmT2_T3_T4_T5_mT6_T7_P12ihipStream_tbENKUlT_T0_E_clISt17integral_constantIbLb0EES11_EEDaSW_SX_EUlSW_E_NS1_11comp_targetILNS1_3genE10ELNS1_11target_archE1200ELNS1_3gpuE4ELNS1_3repE0EEENS1_30default_config_static_selectorELNS0_4arch9wavefront6targetE1EEEvT1_.kd
    .uniform_work_group_size: 1
    .uses_dynamic_stack: false
    .vgpr_count:     0
    .vgpr_spill_count: 0
    .wavefront_size: 64
  - .agpr_count:     0
    .args:
      - .offset:         0
        .size:           136
        .value_kind:     by_value
    .group_segment_fixed_size: 0
    .kernarg_segment_align: 8
    .kernarg_segment_size: 136
    .language:       OpenCL C
    .language_version:
      - 2
      - 0
    .max_flat_workgroup_size: 256
    .name:           _ZN7rocprim17ROCPRIM_400000_NS6detail17trampoline_kernelINS0_14default_configENS1_27scan_by_key_config_selectorIiyEEZZNS1_16scan_by_key_implILNS1_25lookback_scan_determinismE0ELb1ES3_N6thrust23THRUST_200600_302600_NS6detail15normal_iteratorINS9_10device_ptrIiEEEENSB_INSC_IyEEEESG_yNS9_4plusIvEENS9_8equal_toIvEEyEE10hipError_tPvRmT2_T3_T4_T5_mT6_T7_P12ihipStream_tbENKUlT_T0_E_clISt17integral_constantIbLb0EES11_EEDaSW_SX_EUlSW_E_NS1_11comp_targetILNS1_3genE9ELNS1_11target_archE1100ELNS1_3gpuE3ELNS1_3repE0EEENS1_30default_config_static_selectorELNS0_4arch9wavefront6targetE1EEEvT1_
    .private_segment_fixed_size: 0
    .sgpr_count:     6
    .sgpr_spill_count: 0
    .symbol:         _ZN7rocprim17ROCPRIM_400000_NS6detail17trampoline_kernelINS0_14default_configENS1_27scan_by_key_config_selectorIiyEEZZNS1_16scan_by_key_implILNS1_25lookback_scan_determinismE0ELb1ES3_N6thrust23THRUST_200600_302600_NS6detail15normal_iteratorINS9_10device_ptrIiEEEENSB_INSC_IyEEEESG_yNS9_4plusIvEENS9_8equal_toIvEEyEE10hipError_tPvRmT2_T3_T4_T5_mT6_T7_P12ihipStream_tbENKUlT_T0_E_clISt17integral_constantIbLb0EES11_EEDaSW_SX_EUlSW_E_NS1_11comp_targetILNS1_3genE9ELNS1_11target_archE1100ELNS1_3gpuE3ELNS1_3repE0EEENS1_30default_config_static_selectorELNS0_4arch9wavefront6targetE1EEEvT1_.kd
    .uniform_work_group_size: 1
    .uses_dynamic_stack: false
    .vgpr_count:     0
    .vgpr_spill_count: 0
    .wavefront_size: 64
  - .agpr_count:     0
    .args:
      - .offset:         0
        .size:           136
        .value_kind:     by_value
    .group_segment_fixed_size: 0
    .kernarg_segment_align: 8
    .kernarg_segment_size: 136
    .language:       OpenCL C
    .language_version:
      - 2
      - 0
    .max_flat_workgroup_size: 256
    .name:           _ZN7rocprim17ROCPRIM_400000_NS6detail17trampoline_kernelINS0_14default_configENS1_27scan_by_key_config_selectorIiyEEZZNS1_16scan_by_key_implILNS1_25lookback_scan_determinismE0ELb1ES3_N6thrust23THRUST_200600_302600_NS6detail15normal_iteratorINS9_10device_ptrIiEEEENSB_INSC_IyEEEESG_yNS9_4plusIvEENS9_8equal_toIvEEyEE10hipError_tPvRmT2_T3_T4_T5_mT6_T7_P12ihipStream_tbENKUlT_T0_E_clISt17integral_constantIbLb0EES11_EEDaSW_SX_EUlSW_E_NS1_11comp_targetILNS1_3genE8ELNS1_11target_archE1030ELNS1_3gpuE2ELNS1_3repE0EEENS1_30default_config_static_selectorELNS0_4arch9wavefront6targetE1EEEvT1_
    .private_segment_fixed_size: 0
    .sgpr_count:     6
    .sgpr_spill_count: 0
    .symbol:         _ZN7rocprim17ROCPRIM_400000_NS6detail17trampoline_kernelINS0_14default_configENS1_27scan_by_key_config_selectorIiyEEZZNS1_16scan_by_key_implILNS1_25lookback_scan_determinismE0ELb1ES3_N6thrust23THRUST_200600_302600_NS6detail15normal_iteratorINS9_10device_ptrIiEEEENSB_INSC_IyEEEESG_yNS9_4plusIvEENS9_8equal_toIvEEyEE10hipError_tPvRmT2_T3_T4_T5_mT6_T7_P12ihipStream_tbENKUlT_T0_E_clISt17integral_constantIbLb0EES11_EEDaSW_SX_EUlSW_E_NS1_11comp_targetILNS1_3genE8ELNS1_11target_archE1030ELNS1_3gpuE2ELNS1_3repE0EEENS1_30default_config_static_selectorELNS0_4arch9wavefront6targetE1EEEvT1_.kd
    .uniform_work_group_size: 1
    .uses_dynamic_stack: false
    .vgpr_count:     0
    .vgpr_spill_count: 0
    .wavefront_size: 64
  - .agpr_count:     0
    .args:
      - .offset:         0
        .size:           136
        .value_kind:     by_value
    .group_segment_fixed_size: 0
    .kernarg_segment_align: 8
    .kernarg_segment_size: 136
    .language:       OpenCL C
    .language_version:
      - 2
      - 0
    .max_flat_workgroup_size: 128
    .name:           _ZN7rocprim17ROCPRIM_400000_NS6detail17trampoline_kernelINS0_14default_configENS1_27scan_by_key_config_selectorIiyEEZZNS1_16scan_by_key_implILNS1_25lookback_scan_determinismE0ELb1ES3_N6thrust23THRUST_200600_302600_NS6detail15normal_iteratorINS9_10device_ptrIiEEEENSB_INSC_IyEEEESG_yNS9_4plusIvEENS9_8equal_toIvEEyEE10hipError_tPvRmT2_T3_T4_T5_mT6_T7_P12ihipStream_tbENKUlT_T0_E_clISt17integral_constantIbLb1EES11_EEDaSW_SX_EUlSW_E_NS1_11comp_targetILNS1_3genE0ELNS1_11target_archE4294967295ELNS1_3gpuE0ELNS1_3repE0EEENS1_30default_config_static_selectorELNS0_4arch9wavefront6targetE1EEEvT1_
    .private_segment_fixed_size: 0
    .sgpr_count:     6
    .sgpr_spill_count: 0
    .symbol:         _ZN7rocprim17ROCPRIM_400000_NS6detail17trampoline_kernelINS0_14default_configENS1_27scan_by_key_config_selectorIiyEEZZNS1_16scan_by_key_implILNS1_25lookback_scan_determinismE0ELb1ES3_N6thrust23THRUST_200600_302600_NS6detail15normal_iteratorINS9_10device_ptrIiEEEENSB_INSC_IyEEEESG_yNS9_4plusIvEENS9_8equal_toIvEEyEE10hipError_tPvRmT2_T3_T4_T5_mT6_T7_P12ihipStream_tbENKUlT_T0_E_clISt17integral_constantIbLb1EES11_EEDaSW_SX_EUlSW_E_NS1_11comp_targetILNS1_3genE0ELNS1_11target_archE4294967295ELNS1_3gpuE0ELNS1_3repE0EEENS1_30default_config_static_selectorELNS0_4arch9wavefront6targetE1EEEvT1_.kd
    .uniform_work_group_size: 1
    .uses_dynamic_stack: false
    .vgpr_count:     0
    .vgpr_spill_count: 0
    .wavefront_size: 64
  - .agpr_count:     0
    .args:
      - .offset:         0
        .size:           136
        .value_kind:     by_value
    .group_segment_fixed_size: 0
    .kernarg_segment_align: 8
    .kernarg_segment_size: 136
    .language:       OpenCL C
    .language_version:
      - 2
      - 0
    .max_flat_workgroup_size: 256
    .name:           _ZN7rocprim17ROCPRIM_400000_NS6detail17trampoline_kernelINS0_14default_configENS1_27scan_by_key_config_selectorIiyEEZZNS1_16scan_by_key_implILNS1_25lookback_scan_determinismE0ELb1ES3_N6thrust23THRUST_200600_302600_NS6detail15normal_iteratorINS9_10device_ptrIiEEEENSB_INSC_IyEEEESG_yNS9_4plusIvEENS9_8equal_toIvEEyEE10hipError_tPvRmT2_T3_T4_T5_mT6_T7_P12ihipStream_tbENKUlT_T0_E_clISt17integral_constantIbLb1EES11_EEDaSW_SX_EUlSW_E_NS1_11comp_targetILNS1_3genE10ELNS1_11target_archE1201ELNS1_3gpuE5ELNS1_3repE0EEENS1_30default_config_static_selectorELNS0_4arch9wavefront6targetE1EEEvT1_
    .private_segment_fixed_size: 0
    .sgpr_count:     6
    .sgpr_spill_count: 0
    .symbol:         _ZN7rocprim17ROCPRIM_400000_NS6detail17trampoline_kernelINS0_14default_configENS1_27scan_by_key_config_selectorIiyEEZZNS1_16scan_by_key_implILNS1_25lookback_scan_determinismE0ELb1ES3_N6thrust23THRUST_200600_302600_NS6detail15normal_iteratorINS9_10device_ptrIiEEEENSB_INSC_IyEEEESG_yNS9_4plusIvEENS9_8equal_toIvEEyEE10hipError_tPvRmT2_T3_T4_T5_mT6_T7_P12ihipStream_tbENKUlT_T0_E_clISt17integral_constantIbLb1EES11_EEDaSW_SX_EUlSW_E_NS1_11comp_targetILNS1_3genE10ELNS1_11target_archE1201ELNS1_3gpuE5ELNS1_3repE0EEENS1_30default_config_static_selectorELNS0_4arch9wavefront6targetE1EEEvT1_.kd
    .uniform_work_group_size: 1
    .uses_dynamic_stack: false
    .vgpr_count:     0
    .vgpr_spill_count: 0
    .wavefront_size: 64
  - .agpr_count:     0
    .args:
      - .offset:         0
        .size:           136
        .value_kind:     by_value
    .group_segment_fixed_size: 43008
    .kernarg_segment_align: 8
    .kernarg_segment_size: 136
    .language:       OpenCL C
    .language_version:
      - 2
      - 0
    .max_flat_workgroup_size: 256
    .name:           _ZN7rocprim17ROCPRIM_400000_NS6detail17trampoline_kernelINS0_14default_configENS1_27scan_by_key_config_selectorIiyEEZZNS1_16scan_by_key_implILNS1_25lookback_scan_determinismE0ELb1ES3_N6thrust23THRUST_200600_302600_NS6detail15normal_iteratorINS9_10device_ptrIiEEEENSB_INSC_IyEEEESG_yNS9_4plusIvEENS9_8equal_toIvEEyEE10hipError_tPvRmT2_T3_T4_T5_mT6_T7_P12ihipStream_tbENKUlT_T0_E_clISt17integral_constantIbLb1EES11_EEDaSW_SX_EUlSW_E_NS1_11comp_targetILNS1_3genE5ELNS1_11target_archE942ELNS1_3gpuE9ELNS1_3repE0EEENS1_30default_config_static_selectorELNS0_4arch9wavefront6targetE1EEEvT1_
    .private_segment_fixed_size: 0
    .sgpr_count:     80
    .sgpr_spill_count: 0
    .symbol:         _ZN7rocprim17ROCPRIM_400000_NS6detail17trampoline_kernelINS0_14default_configENS1_27scan_by_key_config_selectorIiyEEZZNS1_16scan_by_key_implILNS1_25lookback_scan_determinismE0ELb1ES3_N6thrust23THRUST_200600_302600_NS6detail15normal_iteratorINS9_10device_ptrIiEEEENSB_INSC_IyEEEESG_yNS9_4plusIvEENS9_8equal_toIvEEyEE10hipError_tPvRmT2_T3_T4_T5_mT6_T7_P12ihipStream_tbENKUlT_T0_E_clISt17integral_constantIbLb1EES11_EEDaSW_SX_EUlSW_E_NS1_11comp_targetILNS1_3genE5ELNS1_11target_archE942ELNS1_3gpuE9ELNS1_3repE0EEENS1_30default_config_static_selectorELNS0_4arch9wavefront6targetE1EEEvT1_.kd
    .uniform_work_group_size: 1
    .uses_dynamic_stack: false
    .vgpr_count:     128
    .vgpr_spill_count: 0
    .wavefront_size: 64
  - .agpr_count:     0
    .args:
      - .offset:         0
        .size:           136
        .value_kind:     by_value
    .group_segment_fixed_size: 0
    .kernarg_segment_align: 8
    .kernarg_segment_size: 136
    .language:       OpenCL C
    .language_version:
      - 2
      - 0
    .max_flat_workgroup_size: 64
    .name:           _ZN7rocprim17ROCPRIM_400000_NS6detail17trampoline_kernelINS0_14default_configENS1_27scan_by_key_config_selectorIiyEEZZNS1_16scan_by_key_implILNS1_25lookback_scan_determinismE0ELb1ES3_N6thrust23THRUST_200600_302600_NS6detail15normal_iteratorINS9_10device_ptrIiEEEENSB_INSC_IyEEEESG_yNS9_4plusIvEENS9_8equal_toIvEEyEE10hipError_tPvRmT2_T3_T4_T5_mT6_T7_P12ihipStream_tbENKUlT_T0_E_clISt17integral_constantIbLb1EES11_EEDaSW_SX_EUlSW_E_NS1_11comp_targetILNS1_3genE4ELNS1_11target_archE910ELNS1_3gpuE8ELNS1_3repE0EEENS1_30default_config_static_selectorELNS0_4arch9wavefront6targetE1EEEvT1_
    .private_segment_fixed_size: 0
    .sgpr_count:     6
    .sgpr_spill_count: 0
    .symbol:         _ZN7rocprim17ROCPRIM_400000_NS6detail17trampoline_kernelINS0_14default_configENS1_27scan_by_key_config_selectorIiyEEZZNS1_16scan_by_key_implILNS1_25lookback_scan_determinismE0ELb1ES3_N6thrust23THRUST_200600_302600_NS6detail15normal_iteratorINS9_10device_ptrIiEEEENSB_INSC_IyEEEESG_yNS9_4plusIvEENS9_8equal_toIvEEyEE10hipError_tPvRmT2_T3_T4_T5_mT6_T7_P12ihipStream_tbENKUlT_T0_E_clISt17integral_constantIbLb1EES11_EEDaSW_SX_EUlSW_E_NS1_11comp_targetILNS1_3genE4ELNS1_11target_archE910ELNS1_3gpuE8ELNS1_3repE0EEENS1_30default_config_static_selectorELNS0_4arch9wavefront6targetE1EEEvT1_.kd
    .uniform_work_group_size: 1
    .uses_dynamic_stack: false
    .vgpr_count:     0
    .vgpr_spill_count: 0
    .wavefront_size: 64
  - .agpr_count:     0
    .args:
      - .offset:         0
        .size:           136
        .value_kind:     by_value
    .group_segment_fixed_size: 0
    .kernarg_segment_align: 8
    .kernarg_segment_size: 136
    .language:       OpenCL C
    .language_version:
      - 2
      - 0
    .max_flat_workgroup_size: 128
    .name:           _ZN7rocprim17ROCPRIM_400000_NS6detail17trampoline_kernelINS0_14default_configENS1_27scan_by_key_config_selectorIiyEEZZNS1_16scan_by_key_implILNS1_25lookback_scan_determinismE0ELb1ES3_N6thrust23THRUST_200600_302600_NS6detail15normal_iteratorINS9_10device_ptrIiEEEENSB_INSC_IyEEEESG_yNS9_4plusIvEENS9_8equal_toIvEEyEE10hipError_tPvRmT2_T3_T4_T5_mT6_T7_P12ihipStream_tbENKUlT_T0_E_clISt17integral_constantIbLb1EES11_EEDaSW_SX_EUlSW_E_NS1_11comp_targetILNS1_3genE3ELNS1_11target_archE908ELNS1_3gpuE7ELNS1_3repE0EEENS1_30default_config_static_selectorELNS0_4arch9wavefront6targetE1EEEvT1_
    .private_segment_fixed_size: 0
    .sgpr_count:     6
    .sgpr_spill_count: 0
    .symbol:         _ZN7rocprim17ROCPRIM_400000_NS6detail17trampoline_kernelINS0_14default_configENS1_27scan_by_key_config_selectorIiyEEZZNS1_16scan_by_key_implILNS1_25lookback_scan_determinismE0ELb1ES3_N6thrust23THRUST_200600_302600_NS6detail15normal_iteratorINS9_10device_ptrIiEEEENSB_INSC_IyEEEESG_yNS9_4plusIvEENS9_8equal_toIvEEyEE10hipError_tPvRmT2_T3_T4_T5_mT6_T7_P12ihipStream_tbENKUlT_T0_E_clISt17integral_constantIbLb1EES11_EEDaSW_SX_EUlSW_E_NS1_11comp_targetILNS1_3genE3ELNS1_11target_archE908ELNS1_3gpuE7ELNS1_3repE0EEENS1_30default_config_static_selectorELNS0_4arch9wavefront6targetE1EEEvT1_.kd
    .uniform_work_group_size: 1
    .uses_dynamic_stack: false
    .vgpr_count:     0
    .vgpr_spill_count: 0
    .wavefront_size: 64
  - .agpr_count:     0
    .args:
      - .offset:         0
        .size:           136
        .value_kind:     by_value
    .group_segment_fixed_size: 0
    .kernarg_segment_align: 8
    .kernarg_segment_size: 136
    .language:       OpenCL C
    .language_version:
      - 2
      - 0
    .max_flat_workgroup_size: 64
    .name:           _ZN7rocprim17ROCPRIM_400000_NS6detail17trampoline_kernelINS0_14default_configENS1_27scan_by_key_config_selectorIiyEEZZNS1_16scan_by_key_implILNS1_25lookback_scan_determinismE0ELb1ES3_N6thrust23THRUST_200600_302600_NS6detail15normal_iteratorINS9_10device_ptrIiEEEENSB_INSC_IyEEEESG_yNS9_4plusIvEENS9_8equal_toIvEEyEE10hipError_tPvRmT2_T3_T4_T5_mT6_T7_P12ihipStream_tbENKUlT_T0_E_clISt17integral_constantIbLb1EES11_EEDaSW_SX_EUlSW_E_NS1_11comp_targetILNS1_3genE2ELNS1_11target_archE906ELNS1_3gpuE6ELNS1_3repE0EEENS1_30default_config_static_selectorELNS0_4arch9wavefront6targetE1EEEvT1_
    .private_segment_fixed_size: 0
    .sgpr_count:     6
    .sgpr_spill_count: 0
    .symbol:         _ZN7rocprim17ROCPRIM_400000_NS6detail17trampoline_kernelINS0_14default_configENS1_27scan_by_key_config_selectorIiyEEZZNS1_16scan_by_key_implILNS1_25lookback_scan_determinismE0ELb1ES3_N6thrust23THRUST_200600_302600_NS6detail15normal_iteratorINS9_10device_ptrIiEEEENSB_INSC_IyEEEESG_yNS9_4plusIvEENS9_8equal_toIvEEyEE10hipError_tPvRmT2_T3_T4_T5_mT6_T7_P12ihipStream_tbENKUlT_T0_E_clISt17integral_constantIbLb1EES11_EEDaSW_SX_EUlSW_E_NS1_11comp_targetILNS1_3genE2ELNS1_11target_archE906ELNS1_3gpuE6ELNS1_3repE0EEENS1_30default_config_static_selectorELNS0_4arch9wavefront6targetE1EEEvT1_.kd
    .uniform_work_group_size: 1
    .uses_dynamic_stack: false
    .vgpr_count:     0
    .vgpr_spill_count: 0
    .wavefront_size: 64
  - .agpr_count:     0
    .args:
      - .offset:         0
        .size:           136
        .value_kind:     by_value
    .group_segment_fixed_size: 0
    .kernarg_segment_align: 8
    .kernarg_segment_size: 136
    .language:       OpenCL C
    .language_version:
      - 2
      - 0
    .max_flat_workgroup_size: 256
    .name:           _ZN7rocprim17ROCPRIM_400000_NS6detail17trampoline_kernelINS0_14default_configENS1_27scan_by_key_config_selectorIiyEEZZNS1_16scan_by_key_implILNS1_25lookback_scan_determinismE0ELb1ES3_N6thrust23THRUST_200600_302600_NS6detail15normal_iteratorINS9_10device_ptrIiEEEENSB_INSC_IyEEEESG_yNS9_4plusIvEENS9_8equal_toIvEEyEE10hipError_tPvRmT2_T3_T4_T5_mT6_T7_P12ihipStream_tbENKUlT_T0_E_clISt17integral_constantIbLb1EES11_EEDaSW_SX_EUlSW_E_NS1_11comp_targetILNS1_3genE10ELNS1_11target_archE1200ELNS1_3gpuE4ELNS1_3repE0EEENS1_30default_config_static_selectorELNS0_4arch9wavefront6targetE1EEEvT1_
    .private_segment_fixed_size: 0
    .sgpr_count:     6
    .sgpr_spill_count: 0
    .symbol:         _ZN7rocprim17ROCPRIM_400000_NS6detail17trampoline_kernelINS0_14default_configENS1_27scan_by_key_config_selectorIiyEEZZNS1_16scan_by_key_implILNS1_25lookback_scan_determinismE0ELb1ES3_N6thrust23THRUST_200600_302600_NS6detail15normal_iteratorINS9_10device_ptrIiEEEENSB_INSC_IyEEEESG_yNS9_4plusIvEENS9_8equal_toIvEEyEE10hipError_tPvRmT2_T3_T4_T5_mT6_T7_P12ihipStream_tbENKUlT_T0_E_clISt17integral_constantIbLb1EES11_EEDaSW_SX_EUlSW_E_NS1_11comp_targetILNS1_3genE10ELNS1_11target_archE1200ELNS1_3gpuE4ELNS1_3repE0EEENS1_30default_config_static_selectorELNS0_4arch9wavefront6targetE1EEEvT1_.kd
    .uniform_work_group_size: 1
    .uses_dynamic_stack: false
    .vgpr_count:     0
    .vgpr_spill_count: 0
    .wavefront_size: 64
  - .agpr_count:     0
    .args:
      - .offset:         0
        .size:           136
        .value_kind:     by_value
    .group_segment_fixed_size: 0
    .kernarg_segment_align: 8
    .kernarg_segment_size: 136
    .language:       OpenCL C
    .language_version:
      - 2
      - 0
    .max_flat_workgroup_size: 256
    .name:           _ZN7rocprim17ROCPRIM_400000_NS6detail17trampoline_kernelINS0_14default_configENS1_27scan_by_key_config_selectorIiyEEZZNS1_16scan_by_key_implILNS1_25lookback_scan_determinismE0ELb1ES3_N6thrust23THRUST_200600_302600_NS6detail15normal_iteratorINS9_10device_ptrIiEEEENSB_INSC_IyEEEESG_yNS9_4plusIvEENS9_8equal_toIvEEyEE10hipError_tPvRmT2_T3_T4_T5_mT6_T7_P12ihipStream_tbENKUlT_T0_E_clISt17integral_constantIbLb1EES11_EEDaSW_SX_EUlSW_E_NS1_11comp_targetILNS1_3genE9ELNS1_11target_archE1100ELNS1_3gpuE3ELNS1_3repE0EEENS1_30default_config_static_selectorELNS0_4arch9wavefront6targetE1EEEvT1_
    .private_segment_fixed_size: 0
    .sgpr_count:     6
    .sgpr_spill_count: 0
    .symbol:         _ZN7rocprim17ROCPRIM_400000_NS6detail17trampoline_kernelINS0_14default_configENS1_27scan_by_key_config_selectorIiyEEZZNS1_16scan_by_key_implILNS1_25lookback_scan_determinismE0ELb1ES3_N6thrust23THRUST_200600_302600_NS6detail15normal_iteratorINS9_10device_ptrIiEEEENSB_INSC_IyEEEESG_yNS9_4plusIvEENS9_8equal_toIvEEyEE10hipError_tPvRmT2_T3_T4_T5_mT6_T7_P12ihipStream_tbENKUlT_T0_E_clISt17integral_constantIbLb1EES11_EEDaSW_SX_EUlSW_E_NS1_11comp_targetILNS1_3genE9ELNS1_11target_archE1100ELNS1_3gpuE3ELNS1_3repE0EEENS1_30default_config_static_selectorELNS0_4arch9wavefront6targetE1EEEvT1_.kd
    .uniform_work_group_size: 1
    .uses_dynamic_stack: false
    .vgpr_count:     0
    .vgpr_spill_count: 0
    .wavefront_size: 64
  - .agpr_count:     0
    .args:
      - .offset:         0
        .size:           136
        .value_kind:     by_value
    .group_segment_fixed_size: 0
    .kernarg_segment_align: 8
    .kernarg_segment_size: 136
    .language:       OpenCL C
    .language_version:
      - 2
      - 0
    .max_flat_workgroup_size: 256
    .name:           _ZN7rocprim17ROCPRIM_400000_NS6detail17trampoline_kernelINS0_14default_configENS1_27scan_by_key_config_selectorIiyEEZZNS1_16scan_by_key_implILNS1_25lookback_scan_determinismE0ELb1ES3_N6thrust23THRUST_200600_302600_NS6detail15normal_iteratorINS9_10device_ptrIiEEEENSB_INSC_IyEEEESG_yNS9_4plusIvEENS9_8equal_toIvEEyEE10hipError_tPvRmT2_T3_T4_T5_mT6_T7_P12ihipStream_tbENKUlT_T0_E_clISt17integral_constantIbLb1EES11_EEDaSW_SX_EUlSW_E_NS1_11comp_targetILNS1_3genE8ELNS1_11target_archE1030ELNS1_3gpuE2ELNS1_3repE0EEENS1_30default_config_static_selectorELNS0_4arch9wavefront6targetE1EEEvT1_
    .private_segment_fixed_size: 0
    .sgpr_count:     6
    .sgpr_spill_count: 0
    .symbol:         _ZN7rocprim17ROCPRIM_400000_NS6detail17trampoline_kernelINS0_14default_configENS1_27scan_by_key_config_selectorIiyEEZZNS1_16scan_by_key_implILNS1_25lookback_scan_determinismE0ELb1ES3_N6thrust23THRUST_200600_302600_NS6detail15normal_iteratorINS9_10device_ptrIiEEEENSB_INSC_IyEEEESG_yNS9_4plusIvEENS9_8equal_toIvEEyEE10hipError_tPvRmT2_T3_T4_T5_mT6_T7_P12ihipStream_tbENKUlT_T0_E_clISt17integral_constantIbLb1EES11_EEDaSW_SX_EUlSW_E_NS1_11comp_targetILNS1_3genE8ELNS1_11target_archE1030ELNS1_3gpuE2ELNS1_3repE0EEENS1_30default_config_static_selectorELNS0_4arch9wavefront6targetE1EEEvT1_.kd
    .uniform_work_group_size: 1
    .uses_dynamic_stack: false
    .vgpr_count:     0
    .vgpr_spill_count: 0
    .wavefront_size: 64
  - .agpr_count:     0
    .args:
      - .offset:         0
        .size:           136
        .value_kind:     by_value
    .group_segment_fixed_size: 0
    .kernarg_segment_align: 8
    .kernarg_segment_size: 136
    .language:       OpenCL C
    .language_version:
      - 2
      - 0
    .max_flat_workgroup_size: 128
    .name:           _ZN7rocprim17ROCPRIM_400000_NS6detail17trampoline_kernelINS0_14default_configENS1_27scan_by_key_config_selectorIiyEEZZNS1_16scan_by_key_implILNS1_25lookback_scan_determinismE0ELb1ES3_N6thrust23THRUST_200600_302600_NS6detail15normal_iteratorINS9_10device_ptrIiEEEENSB_INSC_IyEEEESG_yNS9_4plusIvEENS9_8equal_toIvEEyEE10hipError_tPvRmT2_T3_T4_T5_mT6_T7_P12ihipStream_tbENKUlT_T0_E_clISt17integral_constantIbLb1EES10_IbLb0EEEEDaSW_SX_EUlSW_E_NS1_11comp_targetILNS1_3genE0ELNS1_11target_archE4294967295ELNS1_3gpuE0ELNS1_3repE0EEENS1_30default_config_static_selectorELNS0_4arch9wavefront6targetE1EEEvT1_
    .private_segment_fixed_size: 0
    .sgpr_count:     6
    .sgpr_spill_count: 0
    .symbol:         _ZN7rocprim17ROCPRIM_400000_NS6detail17trampoline_kernelINS0_14default_configENS1_27scan_by_key_config_selectorIiyEEZZNS1_16scan_by_key_implILNS1_25lookback_scan_determinismE0ELb1ES3_N6thrust23THRUST_200600_302600_NS6detail15normal_iteratorINS9_10device_ptrIiEEEENSB_INSC_IyEEEESG_yNS9_4plusIvEENS9_8equal_toIvEEyEE10hipError_tPvRmT2_T3_T4_T5_mT6_T7_P12ihipStream_tbENKUlT_T0_E_clISt17integral_constantIbLb1EES10_IbLb0EEEEDaSW_SX_EUlSW_E_NS1_11comp_targetILNS1_3genE0ELNS1_11target_archE4294967295ELNS1_3gpuE0ELNS1_3repE0EEENS1_30default_config_static_selectorELNS0_4arch9wavefront6targetE1EEEvT1_.kd
    .uniform_work_group_size: 1
    .uses_dynamic_stack: false
    .vgpr_count:     0
    .vgpr_spill_count: 0
    .wavefront_size: 64
  - .agpr_count:     0
    .args:
      - .offset:         0
        .size:           136
        .value_kind:     by_value
    .group_segment_fixed_size: 0
    .kernarg_segment_align: 8
    .kernarg_segment_size: 136
    .language:       OpenCL C
    .language_version:
      - 2
      - 0
    .max_flat_workgroup_size: 256
    .name:           _ZN7rocprim17ROCPRIM_400000_NS6detail17trampoline_kernelINS0_14default_configENS1_27scan_by_key_config_selectorIiyEEZZNS1_16scan_by_key_implILNS1_25lookback_scan_determinismE0ELb1ES3_N6thrust23THRUST_200600_302600_NS6detail15normal_iteratorINS9_10device_ptrIiEEEENSB_INSC_IyEEEESG_yNS9_4plusIvEENS9_8equal_toIvEEyEE10hipError_tPvRmT2_T3_T4_T5_mT6_T7_P12ihipStream_tbENKUlT_T0_E_clISt17integral_constantIbLb1EES10_IbLb0EEEEDaSW_SX_EUlSW_E_NS1_11comp_targetILNS1_3genE10ELNS1_11target_archE1201ELNS1_3gpuE5ELNS1_3repE0EEENS1_30default_config_static_selectorELNS0_4arch9wavefront6targetE1EEEvT1_
    .private_segment_fixed_size: 0
    .sgpr_count:     6
    .sgpr_spill_count: 0
    .symbol:         _ZN7rocprim17ROCPRIM_400000_NS6detail17trampoline_kernelINS0_14default_configENS1_27scan_by_key_config_selectorIiyEEZZNS1_16scan_by_key_implILNS1_25lookback_scan_determinismE0ELb1ES3_N6thrust23THRUST_200600_302600_NS6detail15normal_iteratorINS9_10device_ptrIiEEEENSB_INSC_IyEEEESG_yNS9_4plusIvEENS9_8equal_toIvEEyEE10hipError_tPvRmT2_T3_T4_T5_mT6_T7_P12ihipStream_tbENKUlT_T0_E_clISt17integral_constantIbLb1EES10_IbLb0EEEEDaSW_SX_EUlSW_E_NS1_11comp_targetILNS1_3genE10ELNS1_11target_archE1201ELNS1_3gpuE5ELNS1_3repE0EEENS1_30default_config_static_selectorELNS0_4arch9wavefront6targetE1EEEvT1_.kd
    .uniform_work_group_size: 1
    .uses_dynamic_stack: false
    .vgpr_count:     0
    .vgpr_spill_count: 0
    .wavefront_size: 64
  - .agpr_count:     0
    .args:
      - .offset:         0
        .size:           136
        .value_kind:     by_value
    .group_segment_fixed_size: 43008
    .kernarg_segment_align: 8
    .kernarg_segment_size: 136
    .language:       OpenCL C
    .language_version:
      - 2
      - 0
    .max_flat_workgroup_size: 256
    .name:           _ZN7rocprim17ROCPRIM_400000_NS6detail17trampoline_kernelINS0_14default_configENS1_27scan_by_key_config_selectorIiyEEZZNS1_16scan_by_key_implILNS1_25lookback_scan_determinismE0ELb1ES3_N6thrust23THRUST_200600_302600_NS6detail15normal_iteratorINS9_10device_ptrIiEEEENSB_INSC_IyEEEESG_yNS9_4plusIvEENS9_8equal_toIvEEyEE10hipError_tPvRmT2_T3_T4_T5_mT6_T7_P12ihipStream_tbENKUlT_T0_E_clISt17integral_constantIbLb1EES10_IbLb0EEEEDaSW_SX_EUlSW_E_NS1_11comp_targetILNS1_3genE5ELNS1_11target_archE942ELNS1_3gpuE9ELNS1_3repE0EEENS1_30default_config_static_selectorELNS0_4arch9wavefront6targetE1EEEvT1_
    .private_segment_fixed_size: 0
    .sgpr_count:     84
    .sgpr_spill_count: 0
    .symbol:         _ZN7rocprim17ROCPRIM_400000_NS6detail17trampoline_kernelINS0_14default_configENS1_27scan_by_key_config_selectorIiyEEZZNS1_16scan_by_key_implILNS1_25lookback_scan_determinismE0ELb1ES3_N6thrust23THRUST_200600_302600_NS6detail15normal_iteratorINS9_10device_ptrIiEEEENSB_INSC_IyEEEESG_yNS9_4plusIvEENS9_8equal_toIvEEyEE10hipError_tPvRmT2_T3_T4_T5_mT6_T7_P12ihipStream_tbENKUlT_T0_E_clISt17integral_constantIbLb1EES10_IbLb0EEEEDaSW_SX_EUlSW_E_NS1_11comp_targetILNS1_3genE5ELNS1_11target_archE942ELNS1_3gpuE9ELNS1_3repE0EEENS1_30default_config_static_selectorELNS0_4arch9wavefront6targetE1EEEvT1_.kd
    .uniform_work_group_size: 1
    .uses_dynamic_stack: false
    .vgpr_count:     126
    .vgpr_spill_count: 0
    .wavefront_size: 64
  - .agpr_count:     0
    .args:
      - .offset:         0
        .size:           136
        .value_kind:     by_value
    .group_segment_fixed_size: 0
    .kernarg_segment_align: 8
    .kernarg_segment_size: 136
    .language:       OpenCL C
    .language_version:
      - 2
      - 0
    .max_flat_workgroup_size: 64
    .name:           _ZN7rocprim17ROCPRIM_400000_NS6detail17trampoline_kernelINS0_14default_configENS1_27scan_by_key_config_selectorIiyEEZZNS1_16scan_by_key_implILNS1_25lookback_scan_determinismE0ELb1ES3_N6thrust23THRUST_200600_302600_NS6detail15normal_iteratorINS9_10device_ptrIiEEEENSB_INSC_IyEEEESG_yNS9_4plusIvEENS9_8equal_toIvEEyEE10hipError_tPvRmT2_T3_T4_T5_mT6_T7_P12ihipStream_tbENKUlT_T0_E_clISt17integral_constantIbLb1EES10_IbLb0EEEEDaSW_SX_EUlSW_E_NS1_11comp_targetILNS1_3genE4ELNS1_11target_archE910ELNS1_3gpuE8ELNS1_3repE0EEENS1_30default_config_static_selectorELNS0_4arch9wavefront6targetE1EEEvT1_
    .private_segment_fixed_size: 0
    .sgpr_count:     6
    .sgpr_spill_count: 0
    .symbol:         _ZN7rocprim17ROCPRIM_400000_NS6detail17trampoline_kernelINS0_14default_configENS1_27scan_by_key_config_selectorIiyEEZZNS1_16scan_by_key_implILNS1_25lookback_scan_determinismE0ELb1ES3_N6thrust23THRUST_200600_302600_NS6detail15normal_iteratorINS9_10device_ptrIiEEEENSB_INSC_IyEEEESG_yNS9_4plusIvEENS9_8equal_toIvEEyEE10hipError_tPvRmT2_T3_T4_T5_mT6_T7_P12ihipStream_tbENKUlT_T0_E_clISt17integral_constantIbLb1EES10_IbLb0EEEEDaSW_SX_EUlSW_E_NS1_11comp_targetILNS1_3genE4ELNS1_11target_archE910ELNS1_3gpuE8ELNS1_3repE0EEENS1_30default_config_static_selectorELNS0_4arch9wavefront6targetE1EEEvT1_.kd
    .uniform_work_group_size: 1
    .uses_dynamic_stack: false
    .vgpr_count:     0
    .vgpr_spill_count: 0
    .wavefront_size: 64
  - .agpr_count:     0
    .args:
      - .offset:         0
        .size:           136
        .value_kind:     by_value
    .group_segment_fixed_size: 0
    .kernarg_segment_align: 8
    .kernarg_segment_size: 136
    .language:       OpenCL C
    .language_version:
      - 2
      - 0
    .max_flat_workgroup_size: 128
    .name:           _ZN7rocprim17ROCPRIM_400000_NS6detail17trampoline_kernelINS0_14default_configENS1_27scan_by_key_config_selectorIiyEEZZNS1_16scan_by_key_implILNS1_25lookback_scan_determinismE0ELb1ES3_N6thrust23THRUST_200600_302600_NS6detail15normal_iteratorINS9_10device_ptrIiEEEENSB_INSC_IyEEEESG_yNS9_4plusIvEENS9_8equal_toIvEEyEE10hipError_tPvRmT2_T3_T4_T5_mT6_T7_P12ihipStream_tbENKUlT_T0_E_clISt17integral_constantIbLb1EES10_IbLb0EEEEDaSW_SX_EUlSW_E_NS1_11comp_targetILNS1_3genE3ELNS1_11target_archE908ELNS1_3gpuE7ELNS1_3repE0EEENS1_30default_config_static_selectorELNS0_4arch9wavefront6targetE1EEEvT1_
    .private_segment_fixed_size: 0
    .sgpr_count:     6
    .sgpr_spill_count: 0
    .symbol:         _ZN7rocprim17ROCPRIM_400000_NS6detail17trampoline_kernelINS0_14default_configENS1_27scan_by_key_config_selectorIiyEEZZNS1_16scan_by_key_implILNS1_25lookback_scan_determinismE0ELb1ES3_N6thrust23THRUST_200600_302600_NS6detail15normal_iteratorINS9_10device_ptrIiEEEENSB_INSC_IyEEEESG_yNS9_4plusIvEENS9_8equal_toIvEEyEE10hipError_tPvRmT2_T3_T4_T5_mT6_T7_P12ihipStream_tbENKUlT_T0_E_clISt17integral_constantIbLb1EES10_IbLb0EEEEDaSW_SX_EUlSW_E_NS1_11comp_targetILNS1_3genE3ELNS1_11target_archE908ELNS1_3gpuE7ELNS1_3repE0EEENS1_30default_config_static_selectorELNS0_4arch9wavefront6targetE1EEEvT1_.kd
    .uniform_work_group_size: 1
    .uses_dynamic_stack: false
    .vgpr_count:     0
    .vgpr_spill_count: 0
    .wavefront_size: 64
  - .agpr_count:     0
    .args:
      - .offset:         0
        .size:           136
        .value_kind:     by_value
    .group_segment_fixed_size: 0
    .kernarg_segment_align: 8
    .kernarg_segment_size: 136
    .language:       OpenCL C
    .language_version:
      - 2
      - 0
    .max_flat_workgroup_size: 64
    .name:           _ZN7rocprim17ROCPRIM_400000_NS6detail17trampoline_kernelINS0_14default_configENS1_27scan_by_key_config_selectorIiyEEZZNS1_16scan_by_key_implILNS1_25lookback_scan_determinismE0ELb1ES3_N6thrust23THRUST_200600_302600_NS6detail15normal_iteratorINS9_10device_ptrIiEEEENSB_INSC_IyEEEESG_yNS9_4plusIvEENS9_8equal_toIvEEyEE10hipError_tPvRmT2_T3_T4_T5_mT6_T7_P12ihipStream_tbENKUlT_T0_E_clISt17integral_constantIbLb1EES10_IbLb0EEEEDaSW_SX_EUlSW_E_NS1_11comp_targetILNS1_3genE2ELNS1_11target_archE906ELNS1_3gpuE6ELNS1_3repE0EEENS1_30default_config_static_selectorELNS0_4arch9wavefront6targetE1EEEvT1_
    .private_segment_fixed_size: 0
    .sgpr_count:     6
    .sgpr_spill_count: 0
    .symbol:         _ZN7rocprim17ROCPRIM_400000_NS6detail17trampoline_kernelINS0_14default_configENS1_27scan_by_key_config_selectorIiyEEZZNS1_16scan_by_key_implILNS1_25lookback_scan_determinismE0ELb1ES3_N6thrust23THRUST_200600_302600_NS6detail15normal_iteratorINS9_10device_ptrIiEEEENSB_INSC_IyEEEESG_yNS9_4plusIvEENS9_8equal_toIvEEyEE10hipError_tPvRmT2_T3_T4_T5_mT6_T7_P12ihipStream_tbENKUlT_T0_E_clISt17integral_constantIbLb1EES10_IbLb0EEEEDaSW_SX_EUlSW_E_NS1_11comp_targetILNS1_3genE2ELNS1_11target_archE906ELNS1_3gpuE6ELNS1_3repE0EEENS1_30default_config_static_selectorELNS0_4arch9wavefront6targetE1EEEvT1_.kd
    .uniform_work_group_size: 1
    .uses_dynamic_stack: false
    .vgpr_count:     0
    .vgpr_spill_count: 0
    .wavefront_size: 64
  - .agpr_count:     0
    .args:
      - .offset:         0
        .size:           136
        .value_kind:     by_value
    .group_segment_fixed_size: 0
    .kernarg_segment_align: 8
    .kernarg_segment_size: 136
    .language:       OpenCL C
    .language_version:
      - 2
      - 0
    .max_flat_workgroup_size: 256
    .name:           _ZN7rocprim17ROCPRIM_400000_NS6detail17trampoline_kernelINS0_14default_configENS1_27scan_by_key_config_selectorIiyEEZZNS1_16scan_by_key_implILNS1_25lookback_scan_determinismE0ELb1ES3_N6thrust23THRUST_200600_302600_NS6detail15normal_iteratorINS9_10device_ptrIiEEEENSB_INSC_IyEEEESG_yNS9_4plusIvEENS9_8equal_toIvEEyEE10hipError_tPvRmT2_T3_T4_T5_mT6_T7_P12ihipStream_tbENKUlT_T0_E_clISt17integral_constantIbLb1EES10_IbLb0EEEEDaSW_SX_EUlSW_E_NS1_11comp_targetILNS1_3genE10ELNS1_11target_archE1200ELNS1_3gpuE4ELNS1_3repE0EEENS1_30default_config_static_selectorELNS0_4arch9wavefront6targetE1EEEvT1_
    .private_segment_fixed_size: 0
    .sgpr_count:     6
    .sgpr_spill_count: 0
    .symbol:         _ZN7rocprim17ROCPRIM_400000_NS6detail17trampoline_kernelINS0_14default_configENS1_27scan_by_key_config_selectorIiyEEZZNS1_16scan_by_key_implILNS1_25lookback_scan_determinismE0ELb1ES3_N6thrust23THRUST_200600_302600_NS6detail15normal_iteratorINS9_10device_ptrIiEEEENSB_INSC_IyEEEESG_yNS9_4plusIvEENS9_8equal_toIvEEyEE10hipError_tPvRmT2_T3_T4_T5_mT6_T7_P12ihipStream_tbENKUlT_T0_E_clISt17integral_constantIbLb1EES10_IbLb0EEEEDaSW_SX_EUlSW_E_NS1_11comp_targetILNS1_3genE10ELNS1_11target_archE1200ELNS1_3gpuE4ELNS1_3repE0EEENS1_30default_config_static_selectorELNS0_4arch9wavefront6targetE1EEEvT1_.kd
    .uniform_work_group_size: 1
    .uses_dynamic_stack: false
    .vgpr_count:     0
    .vgpr_spill_count: 0
    .wavefront_size: 64
  - .agpr_count:     0
    .args:
      - .offset:         0
        .size:           136
        .value_kind:     by_value
    .group_segment_fixed_size: 0
    .kernarg_segment_align: 8
    .kernarg_segment_size: 136
    .language:       OpenCL C
    .language_version:
      - 2
      - 0
    .max_flat_workgroup_size: 256
    .name:           _ZN7rocprim17ROCPRIM_400000_NS6detail17trampoline_kernelINS0_14default_configENS1_27scan_by_key_config_selectorIiyEEZZNS1_16scan_by_key_implILNS1_25lookback_scan_determinismE0ELb1ES3_N6thrust23THRUST_200600_302600_NS6detail15normal_iteratorINS9_10device_ptrIiEEEENSB_INSC_IyEEEESG_yNS9_4plusIvEENS9_8equal_toIvEEyEE10hipError_tPvRmT2_T3_T4_T5_mT6_T7_P12ihipStream_tbENKUlT_T0_E_clISt17integral_constantIbLb1EES10_IbLb0EEEEDaSW_SX_EUlSW_E_NS1_11comp_targetILNS1_3genE9ELNS1_11target_archE1100ELNS1_3gpuE3ELNS1_3repE0EEENS1_30default_config_static_selectorELNS0_4arch9wavefront6targetE1EEEvT1_
    .private_segment_fixed_size: 0
    .sgpr_count:     6
    .sgpr_spill_count: 0
    .symbol:         _ZN7rocprim17ROCPRIM_400000_NS6detail17trampoline_kernelINS0_14default_configENS1_27scan_by_key_config_selectorIiyEEZZNS1_16scan_by_key_implILNS1_25lookback_scan_determinismE0ELb1ES3_N6thrust23THRUST_200600_302600_NS6detail15normal_iteratorINS9_10device_ptrIiEEEENSB_INSC_IyEEEESG_yNS9_4plusIvEENS9_8equal_toIvEEyEE10hipError_tPvRmT2_T3_T4_T5_mT6_T7_P12ihipStream_tbENKUlT_T0_E_clISt17integral_constantIbLb1EES10_IbLb0EEEEDaSW_SX_EUlSW_E_NS1_11comp_targetILNS1_3genE9ELNS1_11target_archE1100ELNS1_3gpuE3ELNS1_3repE0EEENS1_30default_config_static_selectorELNS0_4arch9wavefront6targetE1EEEvT1_.kd
    .uniform_work_group_size: 1
    .uses_dynamic_stack: false
    .vgpr_count:     0
    .vgpr_spill_count: 0
    .wavefront_size: 64
  - .agpr_count:     0
    .args:
      - .offset:         0
        .size:           136
        .value_kind:     by_value
    .group_segment_fixed_size: 0
    .kernarg_segment_align: 8
    .kernarg_segment_size: 136
    .language:       OpenCL C
    .language_version:
      - 2
      - 0
    .max_flat_workgroup_size: 256
    .name:           _ZN7rocprim17ROCPRIM_400000_NS6detail17trampoline_kernelINS0_14default_configENS1_27scan_by_key_config_selectorIiyEEZZNS1_16scan_by_key_implILNS1_25lookback_scan_determinismE0ELb1ES3_N6thrust23THRUST_200600_302600_NS6detail15normal_iteratorINS9_10device_ptrIiEEEENSB_INSC_IyEEEESG_yNS9_4plusIvEENS9_8equal_toIvEEyEE10hipError_tPvRmT2_T3_T4_T5_mT6_T7_P12ihipStream_tbENKUlT_T0_E_clISt17integral_constantIbLb1EES10_IbLb0EEEEDaSW_SX_EUlSW_E_NS1_11comp_targetILNS1_3genE8ELNS1_11target_archE1030ELNS1_3gpuE2ELNS1_3repE0EEENS1_30default_config_static_selectorELNS0_4arch9wavefront6targetE1EEEvT1_
    .private_segment_fixed_size: 0
    .sgpr_count:     6
    .sgpr_spill_count: 0
    .symbol:         _ZN7rocprim17ROCPRIM_400000_NS6detail17trampoline_kernelINS0_14default_configENS1_27scan_by_key_config_selectorIiyEEZZNS1_16scan_by_key_implILNS1_25lookback_scan_determinismE0ELb1ES3_N6thrust23THRUST_200600_302600_NS6detail15normal_iteratorINS9_10device_ptrIiEEEENSB_INSC_IyEEEESG_yNS9_4plusIvEENS9_8equal_toIvEEyEE10hipError_tPvRmT2_T3_T4_T5_mT6_T7_P12ihipStream_tbENKUlT_T0_E_clISt17integral_constantIbLb1EES10_IbLb0EEEEDaSW_SX_EUlSW_E_NS1_11comp_targetILNS1_3genE8ELNS1_11target_archE1030ELNS1_3gpuE2ELNS1_3repE0EEENS1_30default_config_static_selectorELNS0_4arch9wavefront6targetE1EEEvT1_.kd
    .uniform_work_group_size: 1
    .uses_dynamic_stack: false
    .vgpr_count:     0
    .vgpr_spill_count: 0
    .wavefront_size: 64
  - .agpr_count:     0
    .args:
      - .offset:         0
        .size:           136
        .value_kind:     by_value
    .group_segment_fixed_size: 0
    .kernarg_segment_align: 8
    .kernarg_segment_size: 136
    .language:       OpenCL C
    .language_version:
      - 2
      - 0
    .max_flat_workgroup_size: 128
    .name:           _ZN7rocprim17ROCPRIM_400000_NS6detail17trampoline_kernelINS0_14default_configENS1_27scan_by_key_config_selectorIiyEEZZNS1_16scan_by_key_implILNS1_25lookback_scan_determinismE0ELb1ES3_N6thrust23THRUST_200600_302600_NS6detail15normal_iteratorINS9_10device_ptrIiEEEENSB_INSC_IyEEEESG_yNS9_4plusIvEENS9_8equal_toIvEEyEE10hipError_tPvRmT2_T3_T4_T5_mT6_T7_P12ihipStream_tbENKUlT_T0_E_clISt17integral_constantIbLb0EES10_IbLb1EEEEDaSW_SX_EUlSW_E_NS1_11comp_targetILNS1_3genE0ELNS1_11target_archE4294967295ELNS1_3gpuE0ELNS1_3repE0EEENS1_30default_config_static_selectorELNS0_4arch9wavefront6targetE1EEEvT1_
    .private_segment_fixed_size: 0
    .sgpr_count:     6
    .sgpr_spill_count: 0
    .symbol:         _ZN7rocprim17ROCPRIM_400000_NS6detail17trampoline_kernelINS0_14default_configENS1_27scan_by_key_config_selectorIiyEEZZNS1_16scan_by_key_implILNS1_25lookback_scan_determinismE0ELb1ES3_N6thrust23THRUST_200600_302600_NS6detail15normal_iteratorINS9_10device_ptrIiEEEENSB_INSC_IyEEEESG_yNS9_4plusIvEENS9_8equal_toIvEEyEE10hipError_tPvRmT2_T3_T4_T5_mT6_T7_P12ihipStream_tbENKUlT_T0_E_clISt17integral_constantIbLb0EES10_IbLb1EEEEDaSW_SX_EUlSW_E_NS1_11comp_targetILNS1_3genE0ELNS1_11target_archE4294967295ELNS1_3gpuE0ELNS1_3repE0EEENS1_30default_config_static_selectorELNS0_4arch9wavefront6targetE1EEEvT1_.kd
    .uniform_work_group_size: 1
    .uses_dynamic_stack: false
    .vgpr_count:     0
    .vgpr_spill_count: 0
    .wavefront_size: 64
  - .agpr_count:     0
    .args:
      - .offset:         0
        .size:           136
        .value_kind:     by_value
    .group_segment_fixed_size: 0
    .kernarg_segment_align: 8
    .kernarg_segment_size: 136
    .language:       OpenCL C
    .language_version:
      - 2
      - 0
    .max_flat_workgroup_size: 256
    .name:           _ZN7rocprim17ROCPRIM_400000_NS6detail17trampoline_kernelINS0_14default_configENS1_27scan_by_key_config_selectorIiyEEZZNS1_16scan_by_key_implILNS1_25lookback_scan_determinismE0ELb1ES3_N6thrust23THRUST_200600_302600_NS6detail15normal_iteratorINS9_10device_ptrIiEEEENSB_INSC_IyEEEESG_yNS9_4plusIvEENS9_8equal_toIvEEyEE10hipError_tPvRmT2_T3_T4_T5_mT6_T7_P12ihipStream_tbENKUlT_T0_E_clISt17integral_constantIbLb0EES10_IbLb1EEEEDaSW_SX_EUlSW_E_NS1_11comp_targetILNS1_3genE10ELNS1_11target_archE1201ELNS1_3gpuE5ELNS1_3repE0EEENS1_30default_config_static_selectorELNS0_4arch9wavefront6targetE1EEEvT1_
    .private_segment_fixed_size: 0
    .sgpr_count:     6
    .sgpr_spill_count: 0
    .symbol:         _ZN7rocprim17ROCPRIM_400000_NS6detail17trampoline_kernelINS0_14default_configENS1_27scan_by_key_config_selectorIiyEEZZNS1_16scan_by_key_implILNS1_25lookback_scan_determinismE0ELb1ES3_N6thrust23THRUST_200600_302600_NS6detail15normal_iteratorINS9_10device_ptrIiEEEENSB_INSC_IyEEEESG_yNS9_4plusIvEENS9_8equal_toIvEEyEE10hipError_tPvRmT2_T3_T4_T5_mT6_T7_P12ihipStream_tbENKUlT_T0_E_clISt17integral_constantIbLb0EES10_IbLb1EEEEDaSW_SX_EUlSW_E_NS1_11comp_targetILNS1_3genE10ELNS1_11target_archE1201ELNS1_3gpuE5ELNS1_3repE0EEENS1_30default_config_static_selectorELNS0_4arch9wavefront6targetE1EEEvT1_.kd
    .uniform_work_group_size: 1
    .uses_dynamic_stack: false
    .vgpr_count:     0
    .vgpr_spill_count: 0
    .wavefront_size: 64
  - .agpr_count:     0
    .args:
      - .offset:         0
        .size:           136
        .value_kind:     by_value
    .group_segment_fixed_size: 43008
    .kernarg_segment_align: 8
    .kernarg_segment_size: 136
    .language:       OpenCL C
    .language_version:
      - 2
      - 0
    .max_flat_workgroup_size: 256
    .name:           _ZN7rocprim17ROCPRIM_400000_NS6detail17trampoline_kernelINS0_14default_configENS1_27scan_by_key_config_selectorIiyEEZZNS1_16scan_by_key_implILNS1_25lookback_scan_determinismE0ELb1ES3_N6thrust23THRUST_200600_302600_NS6detail15normal_iteratorINS9_10device_ptrIiEEEENSB_INSC_IyEEEESG_yNS9_4plusIvEENS9_8equal_toIvEEyEE10hipError_tPvRmT2_T3_T4_T5_mT6_T7_P12ihipStream_tbENKUlT_T0_E_clISt17integral_constantIbLb0EES10_IbLb1EEEEDaSW_SX_EUlSW_E_NS1_11comp_targetILNS1_3genE5ELNS1_11target_archE942ELNS1_3gpuE9ELNS1_3repE0EEENS1_30default_config_static_selectorELNS0_4arch9wavefront6targetE1EEEvT1_
    .private_segment_fixed_size: 0
    .sgpr_count:     79
    .sgpr_spill_count: 0
    .symbol:         _ZN7rocprim17ROCPRIM_400000_NS6detail17trampoline_kernelINS0_14default_configENS1_27scan_by_key_config_selectorIiyEEZZNS1_16scan_by_key_implILNS1_25lookback_scan_determinismE0ELb1ES3_N6thrust23THRUST_200600_302600_NS6detail15normal_iteratorINS9_10device_ptrIiEEEENSB_INSC_IyEEEESG_yNS9_4plusIvEENS9_8equal_toIvEEyEE10hipError_tPvRmT2_T3_T4_T5_mT6_T7_P12ihipStream_tbENKUlT_T0_E_clISt17integral_constantIbLb0EES10_IbLb1EEEEDaSW_SX_EUlSW_E_NS1_11comp_targetILNS1_3genE5ELNS1_11target_archE942ELNS1_3gpuE9ELNS1_3repE0EEENS1_30default_config_static_selectorELNS0_4arch9wavefront6targetE1EEEvT1_.kd
    .uniform_work_group_size: 1
    .uses_dynamic_stack: false
    .vgpr_count:     128
    .vgpr_spill_count: 0
    .wavefront_size: 64
  - .agpr_count:     0
    .args:
      - .offset:         0
        .size:           136
        .value_kind:     by_value
    .group_segment_fixed_size: 0
    .kernarg_segment_align: 8
    .kernarg_segment_size: 136
    .language:       OpenCL C
    .language_version:
      - 2
      - 0
    .max_flat_workgroup_size: 64
    .name:           _ZN7rocprim17ROCPRIM_400000_NS6detail17trampoline_kernelINS0_14default_configENS1_27scan_by_key_config_selectorIiyEEZZNS1_16scan_by_key_implILNS1_25lookback_scan_determinismE0ELb1ES3_N6thrust23THRUST_200600_302600_NS6detail15normal_iteratorINS9_10device_ptrIiEEEENSB_INSC_IyEEEESG_yNS9_4plusIvEENS9_8equal_toIvEEyEE10hipError_tPvRmT2_T3_T4_T5_mT6_T7_P12ihipStream_tbENKUlT_T0_E_clISt17integral_constantIbLb0EES10_IbLb1EEEEDaSW_SX_EUlSW_E_NS1_11comp_targetILNS1_3genE4ELNS1_11target_archE910ELNS1_3gpuE8ELNS1_3repE0EEENS1_30default_config_static_selectorELNS0_4arch9wavefront6targetE1EEEvT1_
    .private_segment_fixed_size: 0
    .sgpr_count:     6
    .sgpr_spill_count: 0
    .symbol:         _ZN7rocprim17ROCPRIM_400000_NS6detail17trampoline_kernelINS0_14default_configENS1_27scan_by_key_config_selectorIiyEEZZNS1_16scan_by_key_implILNS1_25lookback_scan_determinismE0ELb1ES3_N6thrust23THRUST_200600_302600_NS6detail15normal_iteratorINS9_10device_ptrIiEEEENSB_INSC_IyEEEESG_yNS9_4plusIvEENS9_8equal_toIvEEyEE10hipError_tPvRmT2_T3_T4_T5_mT6_T7_P12ihipStream_tbENKUlT_T0_E_clISt17integral_constantIbLb0EES10_IbLb1EEEEDaSW_SX_EUlSW_E_NS1_11comp_targetILNS1_3genE4ELNS1_11target_archE910ELNS1_3gpuE8ELNS1_3repE0EEENS1_30default_config_static_selectorELNS0_4arch9wavefront6targetE1EEEvT1_.kd
    .uniform_work_group_size: 1
    .uses_dynamic_stack: false
    .vgpr_count:     0
    .vgpr_spill_count: 0
    .wavefront_size: 64
  - .agpr_count:     0
    .args:
      - .offset:         0
        .size:           136
        .value_kind:     by_value
    .group_segment_fixed_size: 0
    .kernarg_segment_align: 8
    .kernarg_segment_size: 136
    .language:       OpenCL C
    .language_version:
      - 2
      - 0
    .max_flat_workgroup_size: 128
    .name:           _ZN7rocprim17ROCPRIM_400000_NS6detail17trampoline_kernelINS0_14default_configENS1_27scan_by_key_config_selectorIiyEEZZNS1_16scan_by_key_implILNS1_25lookback_scan_determinismE0ELb1ES3_N6thrust23THRUST_200600_302600_NS6detail15normal_iteratorINS9_10device_ptrIiEEEENSB_INSC_IyEEEESG_yNS9_4plusIvEENS9_8equal_toIvEEyEE10hipError_tPvRmT2_T3_T4_T5_mT6_T7_P12ihipStream_tbENKUlT_T0_E_clISt17integral_constantIbLb0EES10_IbLb1EEEEDaSW_SX_EUlSW_E_NS1_11comp_targetILNS1_3genE3ELNS1_11target_archE908ELNS1_3gpuE7ELNS1_3repE0EEENS1_30default_config_static_selectorELNS0_4arch9wavefront6targetE1EEEvT1_
    .private_segment_fixed_size: 0
    .sgpr_count:     6
    .sgpr_spill_count: 0
    .symbol:         _ZN7rocprim17ROCPRIM_400000_NS6detail17trampoline_kernelINS0_14default_configENS1_27scan_by_key_config_selectorIiyEEZZNS1_16scan_by_key_implILNS1_25lookback_scan_determinismE0ELb1ES3_N6thrust23THRUST_200600_302600_NS6detail15normal_iteratorINS9_10device_ptrIiEEEENSB_INSC_IyEEEESG_yNS9_4plusIvEENS9_8equal_toIvEEyEE10hipError_tPvRmT2_T3_T4_T5_mT6_T7_P12ihipStream_tbENKUlT_T0_E_clISt17integral_constantIbLb0EES10_IbLb1EEEEDaSW_SX_EUlSW_E_NS1_11comp_targetILNS1_3genE3ELNS1_11target_archE908ELNS1_3gpuE7ELNS1_3repE0EEENS1_30default_config_static_selectorELNS0_4arch9wavefront6targetE1EEEvT1_.kd
    .uniform_work_group_size: 1
    .uses_dynamic_stack: false
    .vgpr_count:     0
    .vgpr_spill_count: 0
    .wavefront_size: 64
  - .agpr_count:     0
    .args:
      - .offset:         0
        .size:           136
        .value_kind:     by_value
    .group_segment_fixed_size: 0
    .kernarg_segment_align: 8
    .kernarg_segment_size: 136
    .language:       OpenCL C
    .language_version:
      - 2
      - 0
    .max_flat_workgroup_size: 64
    .name:           _ZN7rocprim17ROCPRIM_400000_NS6detail17trampoline_kernelINS0_14default_configENS1_27scan_by_key_config_selectorIiyEEZZNS1_16scan_by_key_implILNS1_25lookback_scan_determinismE0ELb1ES3_N6thrust23THRUST_200600_302600_NS6detail15normal_iteratorINS9_10device_ptrIiEEEENSB_INSC_IyEEEESG_yNS9_4plusIvEENS9_8equal_toIvEEyEE10hipError_tPvRmT2_T3_T4_T5_mT6_T7_P12ihipStream_tbENKUlT_T0_E_clISt17integral_constantIbLb0EES10_IbLb1EEEEDaSW_SX_EUlSW_E_NS1_11comp_targetILNS1_3genE2ELNS1_11target_archE906ELNS1_3gpuE6ELNS1_3repE0EEENS1_30default_config_static_selectorELNS0_4arch9wavefront6targetE1EEEvT1_
    .private_segment_fixed_size: 0
    .sgpr_count:     6
    .sgpr_spill_count: 0
    .symbol:         _ZN7rocprim17ROCPRIM_400000_NS6detail17trampoline_kernelINS0_14default_configENS1_27scan_by_key_config_selectorIiyEEZZNS1_16scan_by_key_implILNS1_25lookback_scan_determinismE0ELb1ES3_N6thrust23THRUST_200600_302600_NS6detail15normal_iteratorINS9_10device_ptrIiEEEENSB_INSC_IyEEEESG_yNS9_4plusIvEENS9_8equal_toIvEEyEE10hipError_tPvRmT2_T3_T4_T5_mT6_T7_P12ihipStream_tbENKUlT_T0_E_clISt17integral_constantIbLb0EES10_IbLb1EEEEDaSW_SX_EUlSW_E_NS1_11comp_targetILNS1_3genE2ELNS1_11target_archE906ELNS1_3gpuE6ELNS1_3repE0EEENS1_30default_config_static_selectorELNS0_4arch9wavefront6targetE1EEEvT1_.kd
    .uniform_work_group_size: 1
    .uses_dynamic_stack: false
    .vgpr_count:     0
    .vgpr_spill_count: 0
    .wavefront_size: 64
  - .agpr_count:     0
    .args:
      - .offset:         0
        .size:           136
        .value_kind:     by_value
    .group_segment_fixed_size: 0
    .kernarg_segment_align: 8
    .kernarg_segment_size: 136
    .language:       OpenCL C
    .language_version:
      - 2
      - 0
    .max_flat_workgroup_size: 256
    .name:           _ZN7rocprim17ROCPRIM_400000_NS6detail17trampoline_kernelINS0_14default_configENS1_27scan_by_key_config_selectorIiyEEZZNS1_16scan_by_key_implILNS1_25lookback_scan_determinismE0ELb1ES3_N6thrust23THRUST_200600_302600_NS6detail15normal_iteratorINS9_10device_ptrIiEEEENSB_INSC_IyEEEESG_yNS9_4plusIvEENS9_8equal_toIvEEyEE10hipError_tPvRmT2_T3_T4_T5_mT6_T7_P12ihipStream_tbENKUlT_T0_E_clISt17integral_constantIbLb0EES10_IbLb1EEEEDaSW_SX_EUlSW_E_NS1_11comp_targetILNS1_3genE10ELNS1_11target_archE1200ELNS1_3gpuE4ELNS1_3repE0EEENS1_30default_config_static_selectorELNS0_4arch9wavefront6targetE1EEEvT1_
    .private_segment_fixed_size: 0
    .sgpr_count:     6
    .sgpr_spill_count: 0
    .symbol:         _ZN7rocprim17ROCPRIM_400000_NS6detail17trampoline_kernelINS0_14default_configENS1_27scan_by_key_config_selectorIiyEEZZNS1_16scan_by_key_implILNS1_25lookback_scan_determinismE0ELb1ES3_N6thrust23THRUST_200600_302600_NS6detail15normal_iteratorINS9_10device_ptrIiEEEENSB_INSC_IyEEEESG_yNS9_4plusIvEENS9_8equal_toIvEEyEE10hipError_tPvRmT2_T3_T4_T5_mT6_T7_P12ihipStream_tbENKUlT_T0_E_clISt17integral_constantIbLb0EES10_IbLb1EEEEDaSW_SX_EUlSW_E_NS1_11comp_targetILNS1_3genE10ELNS1_11target_archE1200ELNS1_3gpuE4ELNS1_3repE0EEENS1_30default_config_static_selectorELNS0_4arch9wavefront6targetE1EEEvT1_.kd
    .uniform_work_group_size: 1
    .uses_dynamic_stack: false
    .vgpr_count:     0
    .vgpr_spill_count: 0
    .wavefront_size: 64
  - .agpr_count:     0
    .args:
      - .offset:         0
        .size:           136
        .value_kind:     by_value
    .group_segment_fixed_size: 0
    .kernarg_segment_align: 8
    .kernarg_segment_size: 136
    .language:       OpenCL C
    .language_version:
      - 2
      - 0
    .max_flat_workgroup_size: 256
    .name:           _ZN7rocprim17ROCPRIM_400000_NS6detail17trampoline_kernelINS0_14default_configENS1_27scan_by_key_config_selectorIiyEEZZNS1_16scan_by_key_implILNS1_25lookback_scan_determinismE0ELb1ES3_N6thrust23THRUST_200600_302600_NS6detail15normal_iteratorINS9_10device_ptrIiEEEENSB_INSC_IyEEEESG_yNS9_4plusIvEENS9_8equal_toIvEEyEE10hipError_tPvRmT2_T3_T4_T5_mT6_T7_P12ihipStream_tbENKUlT_T0_E_clISt17integral_constantIbLb0EES10_IbLb1EEEEDaSW_SX_EUlSW_E_NS1_11comp_targetILNS1_3genE9ELNS1_11target_archE1100ELNS1_3gpuE3ELNS1_3repE0EEENS1_30default_config_static_selectorELNS0_4arch9wavefront6targetE1EEEvT1_
    .private_segment_fixed_size: 0
    .sgpr_count:     6
    .sgpr_spill_count: 0
    .symbol:         _ZN7rocprim17ROCPRIM_400000_NS6detail17trampoline_kernelINS0_14default_configENS1_27scan_by_key_config_selectorIiyEEZZNS1_16scan_by_key_implILNS1_25lookback_scan_determinismE0ELb1ES3_N6thrust23THRUST_200600_302600_NS6detail15normal_iteratorINS9_10device_ptrIiEEEENSB_INSC_IyEEEESG_yNS9_4plusIvEENS9_8equal_toIvEEyEE10hipError_tPvRmT2_T3_T4_T5_mT6_T7_P12ihipStream_tbENKUlT_T0_E_clISt17integral_constantIbLb0EES10_IbLb1EEEEDaSW_SX_EUlSW_E_NS1_11comp_targetILNS1_3genE9ELNS1_11target_archE1100ELNS1_3gpuE3ELNS1_3repE0EEENS1_30default_config_static_selectorELNS0_4arch9wavefront6targetE1EEEvT1_.kd
    .uniform_work_group_size: 1
    .uses_dynamic_stack: false
    .vgpr_count:     0
    .vgpr_spill_count: 0
    .wavefront_size: 64
  - .agpr_count:     0
    .args:
      - .offset:         0
        .size:           136
        .value_kind:     by_value
    .group_segment_fixed_size: 0
    .kernarg_segment_align: 8
    .kernarg_segment_size: 136
    .language:       OpenCL C
    .language_version:
      - 2
      - 0
    .max_flat_workgroup_size: 256
    .name:           _ZN7rocprim17ROCPRIM_400000_NS6detail17trampoline_kernelINS0_14default_configENS1_27scan_by_key_config_selectorIiyEEZZNS1_16scan_by_key_implILNS1_25lookback_scan_determinismE0ELb1ES3_N6thrust23THRUST_200600_302600_NS6detail15normal_iteratorINS9_10device_ptrIiEEEENSB_INSC_IyEEEESG_yNS9_4plusIvEENS9_8equal_toIvEEyEE10hipError_tPvRmT2_T3_T4_T5_mT6_T7_P12ihipStream_tbENKUlT_T0_E_clISt17integral_constantIbLb0EES10_IbLb1EEEEDaSW_SX_EUlSW_E_NS1_11comp_targetILNS1_3genE8ELNS1_11target_archE1030ELNS1_3gpuE2ELNS1_3repE0EEENS1_30default_config_static_selectorELNS0_4arch9wavefront6targetE1EEEvT1_
    .private_segment_fixed_size: 0
    .sgpr_count:     6
    .sgpr_spill_count: 0
    .symbol:         _ZN7rocprim17ROCPRIM_400000_NS6detail17trampoline_kernelINS0_14default_configENS1_27scan_by_key_config_selectorIiyEEZZNS1_16scan_by_key_implILNS1_25lookback_scan_determinismE0ELb1ES3_N6thrust23THRUST_200600_302600_NS6detail15normal_iteratorINS9_10device_ptrIiEEEENSB_INSC_IyEEEESG_yNS9_4plusIvEENS9_8equal_toIvEEyEE10hipError_tPvRmT2_T3_T4_T5_mT6_T7_P12ihipStream_tbENKUlT_T0_E_clISt17integral_constantIbLb0EES10_IbLb1EEEEDaSW_SX_EUlSW_E_NS1_11comp_targetILNS1_3genE8ELNS1_11target_archE1030ELNS1_3gpuE2ELNS1_3repE0EEENS1_30default_config_static_selectorELNS0_4arch9wavefront6targetE1EEEvT1_.kd
    .uniform_work_group_size: 1
    .uses_dynamic_stack: false
    .vgpr_count:     0
    .vgpr_spill_count: 0
    .wavefront_size: 64
  - .agpr_count:     0
    .args:
      - .offset:         0
        .size:           112
        .value_kind:     by_value
    .group_segment_fixed_size: 0
    .kernarg_segment_align: 8
    .kernarg_segment_size: 112
    .language:       OpenCL C
    .language_version:
      - 2
      - 0
    .max_flat_workgroup_size: 256
    .name:           _ZN7rocprim17ROCPRIM_400000_NS6detail17trampoline_kernelINS0_14default_configENS1_27scan_by_key_config_selectorIijEEZZNS1_16scan_by_key_implILNS1_25lookback_scan_determinismE0ELb1ES3_N6thrust23THRUST_200600_302600_NS6detail15normal_iteratorINS9_10device_ptrIiEEEENSB_INSC_IjEEEESG_jNS9_4plusIvEENS9_8equal_toIvEEjEE10hipError_tPvRmT2_T3_T4_T5_mT6_T7_P12ihipStream_tbENKUlT_T0_E_clISt17integral_constantIbLb0EES11_EEDaSW_SX_EUlSW_E_NS1_11comp_targetILNS1_3genE0ELNS1_11target_archE4294967295ELNS1_3gpuE0ELNS1_3repE0EEENS1_30default_config_static_selectorELNS0_4arch9wavefront6targetE1EEEvT1_
    .private_segment_fixed_size: 0
    .sgpr_count:     6
    .sgpr_spill_count: 0
    .symbol:         _ZN7rocprim17ROCPRIM_400000_NS6detail17trampoline_kernelINS0_14default_configENS1_27scan_by_key_config_selectorIijEEZZNS1_16scan_by_key_implILNS1_25lookback_scan_determinismE0ELb1ES3_N6thrust23THRUST_200600_302600_NS6detail15normal_iteratorINS9_10device_ptrIiEEEENSB_INSC_IjEEEESG_jNS9_4plusIvEENS9_8equal_toIvEEjEE10hipError_tPvRmT2_T3_T4_T5_mT6_T7_P12ihipStream_tbENKUlT_T0_E_clISt17integral_constantIbLb0EES11_EEDaSW_SX_EUlSW_E_NS1_11comp_targetILNS1_3genE0ELNS1_11target_archE4294967295ELNS1_3gpuE0ELNS1_3repE0EEENS1_30default_config_static_selectorELNS0_4arch9wavefront6targetE1EEEvT1_.kd
    .uniform_work_group_size: 1
    .uses_dynamic_stack: false
    .vgpr_count:     0
    .vgpr_spill_count: 0
    .wavefront_size: 64
  - .agpr_count:     0
    .args:
      - .offset:         0
        .size:           112
        .value_kind:     by_value
    .group_segment_fixed_size: 0
    .kernarg_segment_align: 8
    .kernarg_segment_size: 112
    .language:       OpenCL C
    .language_version:
      - 2
      - 0
    .max_flat_workgroup_size: 256
    .name:           _ZN7rocprim17ROCPRIM_400000_NS6detail17trampoline_kernelINS0_14default_configENS1_27scan_by_key_config_selectorIijEEZZNS1_16scan_by_key_implILNS1_25lookback_scan_determinismE0ELb1ES3_N6thrust23THRUST_200600_302600_NS6detail15normal_iteratorINS9_10device_ptrIiEEEENSB_INSC_IjEEEESG_jNS9_4plusIvEENS9_8equal_toIvEEjEE10hipError_tPvRmT2_T3_T4_T5_mT6_T7_P12ihipStream_tbENKUlT_T0_E_clISt17integral_constantIbLb0EES11_EEDaSW_SX_EUlSW_E_NS1_11comp_targetILNS1_3genE10ELNS1_11target_archE1201ELNS1_3gpuE5ELNS1_3repE0EEENS1_30default_config_static_selectorELNS0_4arch9wavefront6targetE1EEEvT1_
    .private_segment_fixed_size: 0
    .sgpr_count:     6
    .sgpr_spill_count: 0
    .symbol:         _ZN7rocprim17ROCPRIM_400000_NS6detail17trampoline_kernelINS0_14default_configENS1_27scan_by_key_config_selectorIijEEZZNS1_16scan_by_key_implILNS1_25lookback_scan_determinismE0ELb1ES3_N6thrust23THRUST_200600_302600_NS6detail15normal_iteratorINS9_10device_ptrIiEEEENSB_INSC_IjEEEESG_jNS9_4plusIvEENS9_8equal_toIvEEjEE10hipError_tPvRmT2_T3_T4_T5_mT6_T7_P12ihipStream_tbENKUlT_T0_E_clISt17integral_constantIbLb0EES11_EEDaSW_SX_EUlSW_E_NS1_11comp_targetILNS1_3genE10ELNS1_11target_archE1201ELNS1_3gpuE5ELNS1_3repE0EEENS1_30default_config_static_selectorELNS0_4arch9wavefront6targetE1EEEvT1_.kd
    .uniform_work_group_size: 1
    .uses_dynamic_stack: false
    .vgpr_count:     0
    .vgpr_spill_count: 0
    .wavefront_size: 64
  - .agpr_count:     0
    .args:
      - .offset:         0
        .size:           112
        .value_kind:     by_value
    .group_segment_fixed_size: 25600
    .kernarg_segment_align: 8
    .kernarg_segment_size: 112
    .language:       OpenCL C
    .language_version:
      - 2
      - 0
    .max_flat_workgroup_size: 256
    .name:           _ZN7rocprim17ROCPRIM_400000_NS6detail17trampoline_kernelINS0_14default_configENS1_27scan_by_key_config_selectorIijEEZZNS1_16scan_by_key_implILNS1_25lookback_scan_determinismE0ELb1ES3_N6thrust23THRUST_200600_302600_NS6detail15normal_iteratorINS9_10device_ptrIiEEEENSB_INSC_IjEEEESG_jNS9_4plusIvEENS9_8equal_toIvEEjEE10hipError_tPvRmT2_T3_T4_T5_mT6_T7_P12ihipStream_tbENKUlT_T0_E_clISt17integral_constantIbLb0EES11_EEDaSW_SX_EUlSW_E_NS1_11comp_targetILNS1_3genE5ELNS1_11target_archE942ELNS1_3gpuE9ELNS1_3repE0EEENS1_30default_config_static_selectorELNS0_4arch9wavefront6targetE1EEEvT1_
    .private_segment_fixed_size: 0
    .sgpr_count:     86
    .sgpr_spill_count: 0
    .symbol:         _ZN7rocprim17ROCPRIM_400000_NS6detail17trampoline_kernelINS0_14default_configENS1_27scan_by_key_config_selectorIijEEZZNS1_16scan_by_key_implILNS1_25lookback_scan_determinismE0ELb1ES3_N6thrust23THRUST_200600_302600_NS6detail15normal_iteratorINS9_10device_ptrIiEEEENSB_INSC_IjEEEESG_jNS9_4plusIvEENS9_8equal_toIvEEjEE10hipError_tPvRmT2_T3_T4_T5_mT6_T7_P12ihipStream_tbENKUlT_T0_E_clISt17integral_constantIbLb0EES11_EEDaSW_SX_EUlSW_E_NS1_11comp_targetILNS1_3genE5ELNS1_11target_archE942ELNS1_3gpuE9ELNS1_3repE0EEENS1_30default_config_static_selectorELNS0_4arch9wavefront6targetE1EEEvT1_.kd
    .uniform_work_group_size: 1
    .uses_dynamic_stack: false
    .vgpr_count:     81
    .vgpr_spill_count: 0
    .wavefront_size: 64
  - .agpr_count:     0
    .args:
      - .offset:         0
        .size:           112
        .value_kind:     by_value
    .group_segment_fixed_size: 0
    .kernarg_segment_align: 8
    .kernarg_segment_size: 112
    .language:       OpenCL C
    .language_version:
      - 2
      - 0
    .max_flat_workgroup_size: 256
    .name:           _ZN7rocprim17ROCPRIM_400000_NS6detail17trampoline_kernelINS0_14default_configENS1_27scan_by_key_config_selectorIijEEZZNS1_16scan_by_key_implILNS1_25lookback_scan_determinismE0ELb1ES3_N6thrust23THRUST_200600_302600_NS6detail15normal_iteratorINS9_10device_ptrIiEEEENSB_INSC_IjEEEESG_jNS9_4plusIvEENS9_8equal_toIvEEjEE10hipError_tPvRmT2_T3_T4_T5_mT6_T7_P12ihipStream_tbENKUlT_T0_E_clISt17integral_constantIbLb0EES11_EEDaSW_SX_EUlSW_E_NS1_11comp_targetILNS1_3genE4ELNS1_11target_archE910ELNS1_3gpuE8ELNS1_3repE0EEENS1_30default_config_static_selectorELNS0_4arch9wavefront6targetE1EEEvT1_
    .private_segment_fixed_size: 0
    .sgpr_count:     6
    .sgpr_spill_count: 0
    .symbol:         _ZN7rocprim17ROCPRIM_400000_NS6detail17trampoline_kernelINS0_14default_configENS1_27scan_by_key_config_selectorIijEEZZNS1_16scan_by_key_implILNS1_25lookback_scan_determinismE0ELb1ES3_N6thrust23THRUST_200600_302600_NS6detail15normal_iteratorINS9_10device_ptrIiEEEENSB_INSC_IjEEEESG_jNS9_4plusIvEENS9_8equal_toIvEEjEE10hipError_tPvRmT2_T3_T4_T5_mT6_T7_P12ihipStream_tbENKUlT_T0_E_clISt17integral_constantIbLb0EES11_EEDaSW_SX_EUlSW_E_NS1_11comp_targetILNS1_3genE4ELNS1_11target_archE910ELNS1_3gpuE8ELNS1_3repE0EEENS1_30default_config_static_selectorELNS0_4arch9wavefront6targetE1EEEvT1_.kd
    .uniform_work_group_size: 1
    .uses_dynamic_stack: false
    .vgpr_count:     0
    .vgpr_spill_count: 0
    .wavefront_size: 64
  - .agpr_count:     0
    .args:
      - .offset:         0
        .size:           112
        .value_kind:     by_value
    .group_segment_fixed_size: 0
    .kernarg_segment_align: 8
    .kernarg_segment_size: 112
    .language:       OpenCL C
    .language_version:
      - 2
      - 0
    .max_flat_workgroup_size: 256
    .name:           _ZN7rocprim17ROCPRIM_400000_NS6detail17trampoline_kernelINS0_14default_configENS1_27scan_by_key_config_selectorIijEEZZNS1_16scan_by_key_implILNS1_25lookback_scan_determinismE0ELb1ES3_N6thrust23THRUST_200600_302600_NS6detail15normal_iteratorINS9_10device_ptrIiEEEENSB_INSC_IjEEEESG_jNS9_4plusIvEENS9_8equal_toIvEEjEE10hipError_tPvRmT2_T3_T4_T5_mT6_T7_P12ihipStream_tbENKUlT_T0_E_clISt17integral_constantIbLb0EES11_EEDaSW_SX_EUlSW_E_NS1_11comp_targetILNS1_3genE3ELNS1_11target_archE908ELNS1_3gpuE7ELNS1_3repE0EEENS1_30default_config_static_selectorELNS0_4arch9wavefront6targetE1EEEvT1_
    .private_segment_fixed_size: 0
    .sgpr_count:     6
    .sgpr_spill_count: 0
    .symbol:         _ZN7rocprim17ROCPRIM_400000_NS6detail17trampoline_kernelINS0_14default_configENS1_27scan_by_key_config_selectorIijEEZZNS1_16scan_by_key_implILNS1_25lookback_scan_determinismE0ELb1ES3_N6thrust23THRUST_200600_302600_NS6detail15normal_iteratorINS9_10device_ptrIiEEEENSB_INSC_IjEEEESG_jNS9_4plusIvEENS9_8equal_toIvEEjEE10hipError_tPvRmT2_T3_T4_T5_mT6_T7_P12ihipStream_tbENKUlT_T0_E_clISt17integral_constantIbLb0EES11_EEDaSW_SX_EUlSW_E_NS1_11comp_targetILNS1_3genE3ELNS1_11target_archE908ELNS1_3gpuE7ELNS1_3repE0EEENS1_30default_config_static_selectorELNS0_4arch9wavefront6targetE1EEEvT1_.kd
    .uniform_work_group_size: 1
    .uses_dynamic_stack: false
    .vgpr_count:     0
    .vgpr_spill_count: 0
    .wavefront_size: 64
  - .agpr_count:     0
    .args:
      - .offset:         0
        .size:           112
        .value_kind:     by_value
    .group_segment_fixed_size: 0
    .kernarg_segment_align: 8
    .kernarg_segment_size: 112
    .language:       OpenCL C
    .language_version:
      - 2
      - 0
    .max_flat_workgroup_size: 256
    .name:           _ZN7rocprim17ROCPRIM_400000_NS6detail17trampoline_kernelINS0_14default_configENS1_27scan_by_key_config_selectorIijEEZZNS1_16scan_by_key_implILNS1_25lookback_scan_determinismE0ELb1ES3_N6thrust23THRUST_200600_302600_NS6detail15normal_iteratorINS9_10device_ptrIiEEEENSB_INSC_IjEEEESG_jNS9_4plusIvEENS9_8equal_toIvEEjEE10hipError_tPvRmT2_T3_T4_T5_mT6_T7_P12ihipStream_tbENKUlT_T0_E_clISt17integral_constantIbLb0EES11_EEDaSW_SX_EUlSW_E_NS1_11comp_targetILNS1_3genE2ELNS1_11target_archE906ELNS1_3gpuE6ELNS1_3repE0EEENS1_30default_config_static_selectorELNS0_4arch9wavefront6targetE1EEEvT1_
    .private_segment_fixed_size: 0
    .sgpr_count:     6
    .sgpr_spill_count: 0
    .symbol:         _ZN7rocprim17ROCPRIM_400000_NS6detail17trampoline_kernelINS0_14default_configENS1_27scan_by_key_config_selectorIijEEZZNS1_16scan_by_key_implILNS1_25lookback_scan_determinismE0ELb1ES3_N6thrust23THRUST_200600_302600_NS6detail15normal_iteratorINS9_10device_ptrIiEEEENSB_INSC_IjEEEESG_jNS9_4plusIvEENS9_8equal_toIvEEjEE10hipError_tPvRmT2_T3_T4_T5_mT6_T7_P12ihipStream_tbENKUlT_T0_E_clISt17integral_constantIbLb0EES11_EEDaSW_SX_EUlSW_E_NS1_11comp_targetILNS1_3genE2ELNS1_11target_archE906ELNS1_3gpuE6ELNS1_3repE0EEENS1_30default_config_static_selectorELNS0_4arch9wavefront6targetE1EEEvT1_.kd
    .uniform_work_group_size: 1
    .uses_dynamic_stack: false
    .vgpr_count:     0
    .vgpr_spill_count: 0
    .wavefront_size: 64
  - .agpr_count:     0
    .args:
      - .offset:         0
        .size:           112
        .value_kind:     by_value
    .group_segment_fixed_size: 0
    .kernarg_segment_align: 8
    .kernarg_segment_size: 112
    .language:       OpenCL C
    .language_version:
      - 2
      - 0
    .max_flat_workgroup_size: 256
    .name:           _ZN7rocprim17ROCPRIM_400000_NS6detail17trampoline_kernelINS0_14default_configENS1_27scan_by_key_config_selectorIijEEZZNS1_16scan_by_key_implILNS1_25lookback_scan_determinismE0ELb1ES3_N6thrust23THRUST_200600_302600_NS6detail15normal_iteratorINS9_10device_ptrIiEEEENSB_INSC_IjEEEESG_jNS9_4plusIvEENS9_8equal_toIvEEjEE10hipError_tPvRmT2_T3_T4_T5_mT6_T7_P12ihipStream_tbENKUlT_T0_E_clISt17integral_constantIbLb0EES11_EEDaSW_SX_EUlSW_E_NS1_11comp_targetILNS1_3genE10ELNS1_11target_archE1200ELNS1_3gpuE4ELNS1_3repE0EEENS1_30default_config_static_selectorELNS0_4arch9wavefront6targetE1EEEvT1_
    .private_segment_fixed_size: 0
    .sgpr_count:     6
    .sgpr_spill_count: 0
    .symbol:         _ZN7rocprim17ROCPRIM_400000_NS6detail17trampoline_kernelINS0_14default_configENS1_27scan_by_key_config_selectorIijEEZZNS1_16scan_by_key_implILNS1_25lookback_scan_determinismE0ELb1ES3_N6thrust23THRUST_200600_302600_NS6detail15normal_iteratorINS9_10device_ptrIiEEEENSB_INSC_IjEEEESG_jNS9_4plusIvEENS9_8equal_toIvEEjEE10hipError_tPvRmT2_T3_T4_T5_mT6_T7_P12ihipStream_tbENKUlT_T0_E_clISt17integral_constantIbLb0EES11_EEDaSW_SX_EUlSW_E_NS1_11comp_targetILNS1_3genE10ELNS1_11target_archE1200ELNS1_3gpuE4ELNS1_3repE0EEENS1_30default_config_static_selectorELNS0_4arch9wavefront6targetE1EEEvT1_.kd
    .uniform_work_group_size: 1
    .uses_dynamic_stack: false
    .vgpr_count:     0
    .vgpr_spill_count: 0
    .wavefront_size: 64
  - .agpr_count:     0
    .args:
      - .offset:         0
        .size:           112
        .value_kind:     by_value
    .group_segment_fixed_size: 0
    .kernarg_segment_align: 8
    .kernarg_segment_size: 112
    .language:       OpenCL C
    .language_version:
      - 2
      - 0
    .max_flat_workgroup_size: 256
    .name:           _ZN7rocprim17ROCPRIM_400000_NS6detail17trampoline_kernelINS0_14default_configENS1_27scan_by_key_config_selectorIijEEZZNS1_16scan_by_key_implILNS1_25lookback_scan_determinismE0ELb1ES3_N6thrust23THRUST_200600_302600_NS6detail15normal_iteratorINS9_10device_ptrIiEEEENSB_INSC_IjEEEESG_jNS9_4plusIvEENS9_8equal_toIvEEjEE10hipError_tPvRmT2_T3_T4_T5_mT6_T7_P12ihipStream_tbENKUlT_T0_E_clISt17integral_constantIbLb0EES11_EEDaSW_SX_EUlSW_E_NS1_11comp_targetILNS1_3genE9ELNS1_11target_archE1100ELNS1_3gpuE3ELNS1_3repE0EEENS1_30default_config_static_selectorELNS0_4arch9wavefront6targetE1EEEvT1_
    .private_segment_fixed_size: 0
    .sgpr_count:     6
    .sgpr_spill_count: 0
    .symbol:         _ZN7rocprim17ROCPRIM_400000_NS6detail17trampoline_kernelINS0_14default_configENS1_27scan_by_key_config_selectorIijEEZZNS1_16scan_by_key_implILNS1_25lookback_scan_determinismE0ELb1ES3_N6thrust23THRUST_200600_302600_NS6detail15normal_iteratorINS9_10device_ptrIiEEEENSB_INSC_IjEEEESG_jNS9_4plusIvEENS9_8equal_toIvEEjEE10hipError_tPvRmT2_T3_T4_T5_mT6_T7_P12ihipStream_tbENKUlT_T0_E_clISt17integral_constantIbLb0EES11_EEDaSW_SX_EUlSW_E_NS1_11comp_targetILNS1_3genE9ELNS1_11target_archE1100ELNS1_3gpuE3ELNS1_3repE0EEENS1_30default_config_static_selectorELNS0_4arch9wavefront6targetE1EEEvT1_.kd
    .uniform_work_group_size: 1
    .uses_dynamic_stack: false
    .vgpr_count:     0
    .vgpr_spill_count: 0
    .wavefront_size: 64
  - .agpr_count:     0
    .args:
      - .offset:         0
        .size:           112
        .value_kind:     by_value
    .group_segment_fixed_size: 0
    .kernarg_segment_align: 8
    .kernarg_segment_size: 112
    .language:       OpenCL C
    .language_version:
      - 2
      - 0
    .max_flat_workgroup_size: 256
    .name:           _ZN7rocprim17ROCPRIM_400000_NS6detail17trampoline_kernelINS0_14default_configENS1_27scan_by_key_config_selectorIijEEZZNS1_16scan_by_key_implILNS1_25lookback_scan_determinismE0ELb1ES3_N6thrust23THRUST_200600_302600_NS6detail15normal_iteratorINS9_10device_ptrIiEEEENSB_INSC_IjEEEESG_jNS9_4plusIvEENS9_8equal_toIvEEjEE10hipError_tPvRmT2_T3_T4_T5_mT6_T7_P12ihipStream_tbENKUlT_T0_E_clISt17integral_constantIbLb0EES11_EEDaSW_SX_EUlSW_E_NS1_11comp_targetILNS1_3genE8ELNS1_11target_archE1030ELNS1_3gpuE2ELNS1_3repE0EEENS1_30default_config_static_selectorELNS0_4arch9wavefront6targetE1EEEvT1_
    .private_segment_fixed_size: 0
    .sgpr_count:     6
    .sgpr_spill_count: 0
    .symbol:         _ZN7rocprim17ROCPRIM_400000_NS6detail17trampoline_kernelINS0_14default_configENS1_27scan_by_key_config_selectorIijEEZZNS1_16scan_by_key_implILNS1_25lookback_scan_determinismE0ELb1ES3_N6thrust23THRUST_200600_302600_NS6detail15normal_iteratorINS9_10device_ptrIiEEEENSB_INSC_IjEEEESG_jNS9_4plusIvEENS9_8equal_toIvEEjEE10hipError_tPvRmT2_T3_T4_T5_mT6_T7_P12ihipStream_tbENKUlT_T0_E_clISt17integral_constantIbLb0EES11_EEDaSW_SX_EUlSW_E_NS1_11comp_targetILNS1_3genE8ELNS1_11target_archE1030ELNS1_3gpuE2ELNS1_3repE0EEENS1_30default_config_static_selectorELNS0_4arch9wavefront6targetE1EEEvT1_.kd
    .uniform_work_group_size: 1
    .uses_dynamic_stack: false
    .vgpr_count:     0
    .vgpr_spill_count: 0
    .wavefront_size: 64
  - .agpr_count:     0
    .args:
      - .offset:         0
        .size:           112
        .value_kind:     by_value
    .group_segment_fixed_size: 0
    .kernarg_segment_align: 8
    .kernarg_segment_size: 112
    .language:       OpenCL C
    .language_version:
      - 2
      - 0
    .max_flat_workgroup_size: 256
    .name:           _ZN7rocprim17ROCPRIM_400000_NS6detail17trampoline_kernelINS0_14default_configENS1_27scan_by_key_config_selectorIijEEZZNS1_16scan_by_key_implILNS1_25lookback_scan_determinismE0ELb1ES3_N6thrust23THRUST_200600_302600_NS6detail15normal_iteratorINS9_10device_ptrIiEEEENSB_INSC_IjEEEESG_jNS9_4plusIvEENS9_8equal_toIvEEjEE10hipError_tPvRmT2_T3_T4_T5_mT6_T7_P12ihipStream_tbENKUlT_T0_E_clISt17integral_constantIbLb1EES11_EEDaSW_SX_EUlSW_E_NS1_11comp_targetILNS1_3genE0ELNS1_11target_archE4294967295ELNS1_3gpuE0ELNS1_3repE0EEENS1_30default_config_static_selectorELNS0_4arch9wavefront6targetE1EEEvT1_
    .private_segment_fixed_size: 0
    .sgpr_count:     6
    .sgpr_spill_count: 0
    .symbol:         _ZN7rocprim17ROCPRIM_400000_NS6detail17trampoline_kernelINS0_14default_configENS1_27scan_by_key_config_selectorIijEEZZNS1_16scan_by_key_implILNS1_25lookback_scan_determinismE0ELb1ES3_N6thrust23THRUST_200600_302600_NS6detail15normal_iteratorINS9_10device_ptrIiEEEENSB_INSC_IjEEEESG_jNS9_4plusIvEENS9_8equal_toIvEEjEE10hipError_tPvRmT2_T3_T4_T5_mT6_T7_P12ihipStream_tbENKUlT_T0_E_clISt17integral_constantIbLb1EES11_EEDaSW_SX_EUlSW_E_NS1_11comp_targetILNS1_3genE0ELNS1_11target_archE4294967295ELNS1_3gpuE0ELNS1_3repE0EEENS1_30default_config_static_selectorELNS0_4arch9wavefront6targetE1EEEvT1_.kd
    .uniform_work_group_size: 1
    .uses_dynamic_stack: false
    .vgpr_count:     0
    .vgpr_spill_count: 0
    .wavefront_size: 64
  - .agpr_count:     0
    .args:
      - .offset:         0
        .size:           112
        .value_kind:     by_value
    .group_segment_fixed_size: 0
    .kernarg_segment_align: 8
    .kernarg_segment_size: 112
    .language:       OpenCL C
    .language_version:
      - 2
      - 0
    .max_flat_workgroup_size: 256
    .name:           _ZN7rocprim17ROCPRIM_400000_NS6detail17trampoline_kernelINS0_14default_configENS1_27scan_by_key_config_selectorIijEEZZNS1_16scan_by_key_implILNS1_25lookback_scan_determinismE0ELb1ES3_N6thrust23THRUST_200600_302600_NS6detail15normal_iteratorINS9_10device_ptrIiEEEENSB_INSC_IjEEEESG_jNS9_4plusIvEENS9_8equal_toIvEEjEE10hipError_tPvRmT2_T3_T4_T5_mT6_T7_P12ihipStream_tbENKUlT_T0_E_clISt17integral_constantIbLb1EES11_EEDaSW_SX_EUlSW_E_NS1_11comp_targetILNS1_3genE10ELNS1_11target_archE1201ELNS1_3gpuE5ELNS1_3repE0EEENS1_30default_config_static_selectorELNS0_4arch9wavefront6targetE1EEEvT1_
    .private_segment_fixed_size: 0
    .sgpr_count:     6
    .sgpr_spill_count: 0
    .symbol:         _ZN7rocprim17ROCPRIM_400000_NS6detail17trampoline_kernelINS0_14default_configENS1_27scan_by_key_config_selectorIijEEZZNS1_16scan_by_key_implILNS1_25lookback_scan_determinismE0ELb1ES3_N6thrust23THRUST_200600_302600_NS6detail15normal_iteratorINS9_10device_ptrIiEEEENSB_INSC_IjEEEESG_jNS9_4plusIvEENS9_8equal_toIvEEjEE10hipError_tPvRmT2_T3_T4_T5_mT6_T7_P12ihipStream_tbENKUlT_T0_E_clISt17integral_constantIbLb1EES11_EEDaSW_SX_EUlSW_E_NS1_11comp_targetILNS1_3genE10ELNS1_11target_archE1201ELNS1_3gpuE5ELNS1_3repE0EEENS1_30default_config_static_selectorELNS0_4arch9wavefront6targetE1EEEvT1_.kd
    .uniform_work_group_size: 1
    .uses_dynamic_stack: false
    .vgpr_count:     0
    .vgpr_spill_count: 0
    .wavefront_size: 64
  - .agpr_count:     0
    .args:
      - .offset:         0
        .size:           112
        .value_kind:     by_value
    .group_segment_fixed_size: 25600
    .kernarg_segment_align: 8
    .kernarg_segment_size: 112
    .language:       OpenCL C
    .language_version:
      - 2
      - 0
    .max_flat_workgroup_size: 256
    .name:           _ZN7rocprim17ROCPRIM_400000_NS6detail17trampoline_kernelINS0_14default_configENS1_27scan_by_key_config_selectorIijEEZZNS1_16scan_by_key_implILNS1_25lookback_scan_determinismE0ELb1ES3_N6thrust23THRUST_200600_302600_NS6detail15normal_iteratorINS9_10device_ptrIiEEEENSB_INSC_IjEEEESG_jNS9_4plusIvEENS9_8equal_toIvEEjEE10hipError_tPvRmT2_T3_T4_T5_mT6_T7_P12ihipStream_tbENKUlT_T0_E_clISt17integral_constantIbLb1EES11_EEDaSW_SX_EUlSW_E_NS1_11comp_targetILNS1_3genE5ELNS1_11target_archE942ELNS1_3gpuE9ELNS1_3repE0EEENS1_30default_config_static_selectorELNS0_4arch9wavefront6targetE1EEEvT1_
    .private_segment_fixed_size: 0
    .sgpr_count:     86
    .sgpr_spill_count: 0
    .symbol:         _ZN7rocprim17ROCPRIM_400000_NS6detail17trampoline_kernelINS0_14default_configENS1_27scan_by_key_config_selectorIijEEZZNS1_16scan_by_key_implILNS1_25lookback_scan_determinismE0ELb1ES3_N6thrust23THRUST_200600_302600_NS6detail15normal_iteratorINS9_10device_ptrIiEEEENSB_INSC_IjEEEESG_jNS9_4plusIvEENS9_8equal_toIvEEjEE10hipError_tPvRmT2_T3_T4_T5_mT6_T7_P12ihipStream_tbENKUlT_T0_E_clISt17integral_constantIbLb1EES11_EEDaSW_SX_EUlSW_E_NS1_11comp_targetILNS1_3genE5ELNS1_11target_archE942ELNS1_3gpuE9ELNS1_3repE0EEENS1_30default_config_static_selectorELNS0_4arch9wavefront6targetE1EEEvT1_.kd
    .uniform_work_group_size: 1
    .uses_dynamic_stack: false
    .vgpr_count:     83
    .vgpr_spill_count: 0
    .wavefront_size: 64
  - .agpr_count:     0
    .args:
      - .offset:         0
        .size:           112
        .value_kind:     by_value
    .group_segment_fixed_size: 0
    .kernarg_segment_align: 8
    .kernarg_segment_size: 112
    .language:       OpenCL C
    .language_version:
      - 2
      - 0
    .max_flat_workgroup_size: 256
    .name:           _ZN7rocprim17ROCPRIM_400000_NS6detail17trampoline_kernelINS0_14default_configENS1_27scan_by_key_config_selectorIijEEZZNS1_16scan_by_key_implILNS1_25lookback_scan_determinismE0ELb1ES3_N6thrust23THRUST_200600_302600_NS6detail15normal_iteratorINS9_10device_ptrIiEEEENSB_INSC_IjEEEESG_jNS9_4plusIvEENS9_8equal_toIvEEjEE10hipError_tPvRmT2_T3_T4_T5_mT6_T7_P12ihipStream_tbENKUlT_T0_E_clISt17integral_constantIbLb1EES11_EEDaSW_SX_EUlSW_E_NS1_11comp_targetILNS1_3genE4ELNS1_11target_archE910ELNS1_3gpuE8ELNS1_3repE0EEENS1_30default_config_static_selectorELNS0_4arch9wavefront6targetE1EEEvT1_
    .private_segment_fixed_size: 0
    .sgpr_count:     6
    .sgpr_spill_count: 0
    .symbol:         _ZN7rocprim17ROCPRIM_400000_NS6detail17trampoline_kernelINS0_14default_configENS1_27scan_by_key_config_selectorIijEEZZNS1_16scan_by_key_implILNS1_25lookback_scan_determinismE0ELb1ES3_N6thrust23THRUST_200600_302600_NS6detail15normal_iteratorINS9_10device_ptrIiEEEENSB_INSC_IjEEEESG_jNS9_4plusIvEENS9_8equal_toIvEEjEE10hipError_tPvRmT2_T3_T4_T5_mT6_T7_P12ihipStream_tbENKUlT_T0_E_clISt17integral_constantIbLb1EES11_EEDaSW_SX_EUlSW_E_NS1_11comp_targetILNS1_3genE4ELNS1_11target_archE910ELNS1_3gpuE8ELNS1_3repE0EEENS1_30default_config_static_selectorELNS0_4arch9wavefront6targetE1EEEvT1_.kd
    .uniform_work_group_size: 1
    .uses_dynamic_stack: false
    .vgpr_count:     0
    .vgpr_spill_count: 0
    .wavefront_size: 64
  - .agpr_count:     0
    .args:
      - .offset:         0
        .size:           112
        .value_kind:     by_value
    .group_segment_fixed_size: 0
    .kernarg_segment_align: 8
    .kernarg_segment_size: 112
    .language:       OpenCL C
    .language_version:
      - 2
      - 0
    .max_flat_workgroup_size: 256
    .name:           _ZN7rocprim17ROCPRIM_400000_NS6detail17trampoline_kernelINS0_14default_configENS1_27scan_by_key_config_selectorIijEEZZNS1_16scan_by_key_implILNS1_25lookback_scan_determinismE0ELb1ES3_N6thrust23THRUST_200600_302600_NS6detail15normal_iteratorINS9_10device_ptrIiEEEENSB_INSC_IjEEEESG_jNS9_4plusIvEENS9_8equal_toIvEEjEE10hipError_tPvRmT2_T3_T4_T5_mT6_T7_P12ihipStream_tbENKUlT_T0_E_clISt17integral_constantIbLb1EES11_EEDaSW_SX_EUlSW_E_NS1_11comp_targetILNS1_3genE3ELNS1_11target_archE908ELNS1_3gpuE7ELNS1_3repE0EEENS1_30default_config_static_selectorELNS0_4arch9wavefront6targetE1EEEvT1_
    .private_segment_fixed_size: 0
    .sgpr_count:     6
    .sgpr_spill_count: 0
    .symbol:         _ZN7rocprim17ROCPRIM_400000_NS6detail17trampoline_kernelINS0_14default_configENS1_27scan_by_key_config_selectorIijEEZZNS1_16scan_by_key_implILNS1_25lookback_scan_determinismE0ELb1ES3_N6thrust23THRUST_200600_302600_NS6detail15normal_iteratorINS9_10device_ptrIiEEEENSB_INSC_IjEEEESG_jNS9_4plusIvEENS9_8equal_toIvEEjEE10hipError_tPvRmT2_T3_T4_T5_mT6_T7_P12ihipStream_tbENKUlT_T0_E_clISt17integral_constantIbLb1EES11_EEDaSW_SX_EUlSW_E_NS1_11comp_targetILNS1_3genE3ELNS1_11target_archE908ELNS1_3gpuE7ELNS1_3repE0EEENS1_30default_config_static_selectorELNS0_4arch9wavefront6targetE1EEEvT1_.kd
    .uniform_work_group_size: 1
    .uses_dynamic_stack: false
    .vgpr_count:     0
    .vgpr_spill_count: 0
    .wavefront_size: 64
  - .agpr_count:     0
    .args:
      - .offset:         0
        .size:           112
        .value_kind:     by_value
    .group_segment_fixed_size: 0
    .kernarg_segment_align: 8
    .kernarg_segment_size: 112
    .language:       OpenCL C
    .language_version:
      - 2
      - 0
    .max_flat_workgroup_size: 256
    .name:           _ZN7rocprim17ROCPRIM_400000_NS6detail17trampoline_kernelINS0_14default_configENS1_27scan_by_key_config_selectorIijEEZZNS1_16scan_by_key_implILNS1_25lookback_scan_determinismE0ELb1ES3_N6thrust23THRUST_200600_302600_NS6detail15normal_iteratorINS9_10device_ptrIiEEEENSB_INSC_IjEEEESG_jNS9_4plusIvEENS9_8equal_toIvEEjEE10hipError_tPvRmT2_T3_T4_T5_mT6_T7_P12ihipStream_tbENKUlT_T0_E_clISt17integral_constantIbLb1EES11_EEDaSW_SX_EUlSW_E_NS1_11comp_targetILNS1_3genE2ELNS1_11target_archE906ELNS1_3gpuE6ELNS1_3repE0EEENS1_30default_config_static_selectorELNS0_4arch9wavefront6targetE1EEEvT1_
    .private_segment_fixed_size: 0
    .sgpr_count:     6
    .sgpr_spill_count: 0
    .symbol:         _ZN7rocprim17ROCPRIM_400000_NS6detail17trampoline_kernelINS0_14default_configENS1_27scan_by_key_config_selectorIijEEZZNS1_16scan_by_key_implILNS1_25lookback_scan_determinismE0ELb1ES3_N6thrust23THRUST_200600_302600_NS6detail15normal_iteratorINS9_10device_ptrIiEEEENSB_INSC_IjEEEESG_jNS9_4plusIvEENS9_8equal_toIvEEjEE10hipError_tPvRmT2_T3_T4_T5_mT6_T7_P12ihipStream_tbENKUlT_T0_E_clISt17integral_constantIbLb1EES11_EEDaSW_SX_EUlSW_E_NS1_11comp_targetILNS1_3genE2ELNS1_11target_archE906ELNS1_3gpuE6ELNS1_3repE0EEENS1_30default_config_static_selectorELNS0_4arch9wavefront6targetE1EEEvT1_.kd
    .uniform_work_group_size: 1
    .uses_dynamic_stack: false
    .vgpr_count:     0
    .vgpr_spill_count: 0
    .wavefront_size: 64
  - .agpr_count:     0
    .args:
      - .offset:         0
        .size:           112
        .value_kind:     by_value
    .group_segment_fixed_size: 0
    .kernarg_segment_align: 8
    .kernarg_segment_size: 112
    .language:       OpenCL C
    .language_version:
      - 2
      - 0
    .max_flat_workgroup_size: 256
    .name:           _ZN7rocprim17ROCPRIM_400000_NS6detail17trampoline_kernelINS0_14default_configENS1_27scan_by_key_config_selectorIijEEZZNS1_16scan_by_key_implILNS1_25lookback_scan_determinismE0ELb1ES3_N6thrust23THRUST_200600_302600_NS6detail15normal_iteratorINS9_10device_ptrIiEEEENSB_INSC_IjEEEESG_jNS9_4plusIvEENS9_8equal_toIvEEjEE10hipError_tPvRmT2_T3_T4_T5_mT6_T7_P12ihipStream_tbENKUlT_T0_E_clISt17integral_constantIbLb1EES11_EEDaSW_SX_EUlSW_E_NS1_11comp_targetILNS1_3genE10ELNS1_11target_archE1200ELNS1_3gpuE4ELNS1_3repE0EEENS1_30default_config_static_selectorELNS0_4arch9wavefront6targetE1EEEvT1_
    .private_segment_fixed_size: 0
    .sgpr_count:     6
    .sgpr_spill_count: 0
    .symbol:         _ZN7rocprim17ROCPRIM_400000_NS6detail17trampoline_kernelINS0_14default_configENS1_27scan_by_key_config_selectorIijEEZZNS1_16scan_by_key_implILNS1_25lookback_scan_determinismE0ELb1ES3_N6thrust23THRUST_200600_302600_NS6detail15normal_iteratorINS9_10device_ptrIiEEEENSB_INSC_IjEEEESG_jNS9_4plusIvEENS9_8equal_toIvEEjEE10hipError_tPvRmT2_T3_T4_T5_mT6_T7_P12ihipStream_tbENKUlT_T0_E_clISt17integral_constantIbLb1EES11_EEDaSW_SX_EUlSW_E_NS1_11comp_targetILNS1_3genE10ELNS1_11target_archE1200ELNS1_3gpuE4ELNS1_3repE0EEENS1_30default_config_static_selectorELNS0_4arch9wavefront6targetE1EEEvT1_.kd
    .uniform_work_group_size: 1
    .uses_dynamic_stack: false
    .vgpr_count:     0
    .vgpr_spill_count: 0
    .wavefront_size: 64
  - .agpr_count:     0
    .args:
      - .offset:         0
        .size:           112
        .value_kind:     by_value
    .group_segment_fixed_size: 0
    .kernarg_segment_align: 8
    .kernarg_segment_size: 112
    .language:       OpenCL C
    .language_version:
      - 2
      - 0
    .max_flat_workgroup_size: 256
    .name:           _ZN7rocprim17ROCPRIM_400000_NS6detail17trampoline_kernelINS0_14default_configENS1_27scan_by_key_config_selectorIijEEZZNS1_16scan_by_key_implILNS1_25lookback_scan_determinismE0ELb1ES3_N6thrust23THRUST_200600_302600_NS6detail15normal_iteratorINS9_10device_ptrIiEEEENSB_INSC_IjEEEESG_jNS9_4plusIvEENS9_8equal_toIvEEjEE10hipError_tPvRmT2_T3_T4_T5_mT6_T7_P12ihipStream_tbENKUlT_T0_E_clISt17integral_constantIbLb1EES11_EEDaSW_SX_EUlSW_E_NS1_11comp_targetILNS1_3genE9ELNS1_11target_archE1100ELNS1_3gpuE3ELNS1_3repE0EEENS1_30default_config_static_selectorELNS0_4arch9wavefront6targetE1EEEvT1_
    .private_segment_fixed_size: 0
    .sgpr_count:     6
    .sgpr_spill_count: 0
    .symbol:         _ZN7rocprim17ROCPRIM_400000_NS6detail17trampoline_kernelINS0_14default_configENS1_27scan_by_key_config_selectorIijEEZZNS1_16scan_by_key_implILNS1_25lookback_scan_determinismE0ELb1ES3_N6thrust23THRUST_200600_302600_NS6detail15normal_iteratorINS9_10device_ptrIiEEEENSB_INSC_IjEEEESG_jNS9_4plusIvEENS9_8equal_toIvEEjEE10hipError_tPvRmT2_T3_T4_T5_mT6_T7_P12ihipStream_tbENKUlT_T0_E_clISt17integral_constantIbLb1EES11_EEDaSW_SX_EUlSW_E_NS1_11comp_targetILNS1_3genE9ELNS1_11target_archE1100ELNS1_3gpuE3ELNS1_3repE0EEENS1_30default_config_static_selectorELNS0_4arch9wavefront6targetE1EEEvT1_.kd
    .uniform_work_group_size: 1
    .uses_dynamic_stack: false
    .vgpr_count:     0
    .vgpr_spill_count: 0
    .wavefront_size: 64
  - .agpr_count:     0
    .args:
      - .offset:         0
        .size:           112
        .value_kind:     by_value
    .group_segment_fixed_size: 0
    .kernarg_segment_align: 8
    .kernarg_segment_size: 112
    .language:       OpenCL C
    .language_version:
      - 2
      - 0
    .max_flat_workgroup_size: 256
    .name:           _ZN7rocprim17ROCPRIM_400000_NS6detail17trampoline_kernelINS0_14default_configENS1_27scan_by_key_config_selectorIijEEZZNS1_16scan_by_key_implILNS1_25lookback_scan_determinismE0ELb1ES3_N6thrust23THRUST_200600_302600_NS6detail15normal_iteratorINS9_10device_ptrIiEEEENSB_INSC_IjEEEESG_jNS9_4plusIvEENS9_8equal_toIvEEjEE10hipError_tPvRmT2_T3_T4_T5_mT6_T7_P12ihipStream_tbENKUlT_T0_E_clISt17integral_constantIbLb1EES11_EEDaSW_SX_EUlSW_E_NS1_11comp_targetILNS1_3genE8ELNS1_11target_archE1030ELNS1_3gpuE2ELNS1_3repE0EEENS1_30default_config_static_selectorELNS0_4arch9wavefront6targetE1EEEvT1_
    .private_segment_fixed_size: 0
    .sgpr_count:     6
    .sgpr_spill_count: 0
    .symbol:         _ZN7rocprim17ROCPRIM_400000_NS6detail17trampoline_kernelINS0_14default_configENS1_27scan_by_key_config_selectorIijEEZZNS1_16scan_by_key_implILNS1_25lookback_scan_determinismE0ELb1ES3_N6thrust23THRUST_200600_302600_NS6detail15normal_iteratorINS9_10device_ptrIiEEEENSB_INSC_IjEEEESG_jNS9_4plusIvEENS9_8equal_toIvEEjEE10hipError_tPvRmT2_T3_T4_T5_mT6_T7_P12ihipStream_tbENKUlT_T0_E_clISt17integral_constantIbLb1EES11_EEDaSW_SX_EUlSW_E_NS1_11comp_targetILNS1_3genE8ELNS1_11target_archE1030ELNS1_3gpuE2ELNS1_3repE0EEENS1_30default_config_static_selectorELNS0_4arch9wavefront6targetE1EEEvT1_.kd
    .uniform_work_group_size: 1
    .uses_dynamic_stack: false
    .vgpr_count:     0
    .vgpr_spill_count: 0
    .wavefront_size: 64
  - .agpr_count:     0
    .args:
      - .offset:         0
        .size:           112
        .value_kind:     by_value
    .group_segment_fixed_size: 0
    .kernarg_segment_align: 8
    .kernarg_segment_size: 112
    .language:       OpenCL C
    .language_version:
      - 2
      - 0
    .max_flat_workgroup_size: 256
    .name:           _ZN7rocprim17ROCPRIM_400000_NS6detail17trampoline_kernelINS0_14default_configENS1_27scan_by_key_config_selectorIijEEZZNS1_16scan_by_key_implILNS1_25lookback_scan_determinismE0ELb1ES3_N6thrust23THRUST_200600_302600_NS6detail15normal_iteratorINS9_10device_ptrIiEEEENSB_INSC_IjEEEESG_jNS9_4plusIvEENS9_8equal_toIvEEjEE10hipError_tPvRmT2_T3_T4_T5_mT6_T7_P12ihipStream_tbENKUlT_T0_E_clISt17integral_constantIbLb1EES10_IbLb0EEEEDaSW_SX_EUlSW_E_NS1_11comp_targetILNS1_3genE0ELNS1_11target_archE4294967295ELNS1_3gpuE0ELNS1_3repE0EEENS1_30default_config_static_selectorELNS0_4arch9wavefront6targetE1EEEvT1_
    .private_segment_fixed_size: 0
    .sgpr_count:     6
    .sgpr_spill_count: 0
    .symbol:         _ZN7rocprim17ROCPRIM_400000_NS6detail17trampoline_kernelINS0_14default_configENS1_27scan_by_key_config_selectorIijEEZZNS1_16scan_by_key_implILNS1_25lookback_scan_determinismE0ELb1ES3_N6thrust23THRUST_200600_302600_NS6detail15normal_iteratorINS9_10device_ptrIiEEEENSB_INSC_IjEEEESG_jNS9_4plusIvEENS9_8equal_toIvEEjEE10hipError_tPvRmT2_T3_T4_T5_mT6_T7_P12ihipStream_tbENKUlT_T0_E_clISt17integral_constantIbLb1EES10_IbLb0EEEEDaSW_SX_EUlSW_E_NS1_11comp_targetILNS1_3genE0ELNS1_11target_archE4294967295ELNS1_3gpuE0ELNS1_3repE0EEENS1_30default_config_static_selectorELNS0_4arch9wavefront6targetE1EEEvT1_.kd
    .uniform_work_group_size: 1
    .uses_dynamic_stack: false
    .vgpr_count:     0
    .vgpr_spill_count: 0
    .wavefront_size: 64
  - .agpr_count:     0
    .args:
      - .offset:         0
        .size:           112
        .value_kind:     by_value
    .group_segment_fixed_size: 0
    .kernarg_segment_align: 8
    .kernarg_segment_size: 112
    .language:       OpenCL C
    .language_version:
      - 2
      - 0
    .max_flat_workgroup_size: 256
    .name:           _ZN7rocprim17ROCPRIM_400000_NS6detail17trampoline_kernelINS0_14default_configENS1_27scan_by_key_config_selectorIijEEZZNS1_16scan_by_key_implILNS1_25lookback_scan_determinismE0ELb1ES3_N6thrust23THRUST_200600_302600_NS6detail15normal_iteratorINS9_10device_ptrIiEEEENSB_INSC_IjEEEESG_jNS9_4plusIvEENS9_8equal_toIvEEjEE10hipError_tPvRmT2_T3_T4_T5_mT6_T7_P12ihipStream_tbENKUlT_T0_E_clISt17integral_constantIbLb1EES10_IbLb0EEEEDaSW_SX_EUlSW_E_NS1_11comp_targetILNS1_3genE10ELNS1_11target_archE1201ELNS1_3gpuE5ELNS1_3repE0EEENS1_30default_config_static_selectorELNS0_4arch9wavefront6targetE1EEEvT1_
    .private_segment_fixed_size: 0
    .sgpr_count:     6
    .sgpr_spill_count: 0
    .symbol:         _ZN7rocprim17ROCPRIM_400000_NS6detail17trampoline_kernelINS0_14default_configENS1_27scan_by_key_config_selectorIijEEZZNS1_16scan_by_key_implILNS1_25lookback_scan_determinismE0ELb1ES3_N6thrust23THRUST_200600_302600_NS6detail15normal_iteratorINS9_10device_ptrIiEEEENSB_INSC_IjEEEESG_jNS9_4plusIvEENS9_8equal_toIvEEjEE10hipError_tPvRmT2_T3_T4_T5_mT6_T7_P12ihipStream_tbENKUlT_T0_E_clISt17integral_constantIbLb1EES10_IbLb0EEEEDaSW_SX_EUlSW_E_NS1_11comp_targetILNS1_3genE10ELNS1_11target_archE1201ELNS1_3gpuE5ELNS1_3repE0EEENS1_30default_config_static_selectorELNS0_4arch9wavefront6targetE1EEEvT1_.kd
    .uniform_work_group_size: 1
    .uses_dynamic_stack: false
    .vgpr_count:     0
    .vgpr_spill_count: 0
    .wavefront_size: 64
  - .agpr_count:     0
    .args:
      - .offset:         0
        .size:           112
        .value_kind:     by_value
    .group_segment_fixed_size: 25600
    .kernarg_segment_align: 8
    .kernarg_segment_size: 112
    .language:       OpenCL C
    .language_version:
      - 2
      - 0
    .max_flat_workgroup_size: 256
    .name:           _ZN7rocprim17ROCPRIM_400000_NS6detail17trampoline_kernelINS0_14default_configENS1_27scan_by_key_config_selectorIijEEZZNS1_16scan_by_key_implILNS1_25lookback_scan_determinismE0ELb1ES3_N6thrust23THRUST_200600_302600_NS6detail15normal_iteratorINS9_10device_ptrIiEEEENSB_INSC_IjEEEESG_jNS9_4plusIvEENS9_8equal_toIvEEjEE10hipError_tPvRmT2_T3_T4_T5_mT6_T7_P12ihipStream_tbENKUlT_T0_E_clISt17integral_constantIbLb1EES10_IbLb0EEEEDaSW_SX_EUlSW_E_NS1_11comp_targetILNS1_3genE5ELNS1_11target_archE942ELNS1_3gpuE9ELNS1_3repE0EEENS1_30default_config_static_selectorELNS0_4arch9wavefront6targetE1EEEvT1_
    .private_segment_fixed_size: 0
    .sgpr_count:     86
    .sgpr_spill_count: 0
    .symbol:         _ZN7rocprim17ROCPRIM_400000_NS6detail17trampoline_kernelINS0_14default_configENS1_27scan_by_key_config_selectorIijEEZZNS1_16scan_by_key_implILNS1_25lookback_scan_determinismE0ELb1ES3_N6thrust23THRUST_200600_302600_NS6detail15normal_iteratorINS9_10device_ptrIiEEEENSB_INSC_IjEEEESG_jNS9_4plusIvEENS9_8equal_toIvEEjEE10hipError_tPvRmT2_T3_T4_T5_mT6_T7_P12ihipStream_tbENKUlT_T0_E_clISt17integral_constantIbLb1EES10_IbLb0EEEEDaSW_SX_EUlSW_E_NS1_11comp_targetILNS1_3genE5ELNS1_11target_archE942ELNS1_3gpuE9ELNS1_3repE0EEENS1_30default_config_static_selectorELNS0_4arch9wavefront6targetE1EEEvT1_.kd
    .uniform_work_group_size: 1
    .uses_dynamic_stack: false
    .vgpr_count:     81
    .vgpr_spill_count: 0
    .wavefront_size: 64
  - .agpr_count:     0
    .args:
      - .offset:         0
        .size:           112
        .value_kind:     by_value
    .group_segment_fixed_size: 0
    .kernarg_segment_align: 8
    .kernarg_segment_size: 112
    .language:       OpenCL C
    .language_version:
      - 2
      - 0
    .max_flat_workgroup_size: 256
    .name:           _ZN7rocprim17ROCPRIM_400000_NS6detail17trampoline_kernelINS0_14default_configENS1_27scan_by_key_config_selectorIijEEZZNS1_16scan_by_key_implILNS1_25lookback_scan_determinismE0ELb1ES3_N6thrust23THRUST_200600_302600_NS6detail15normal_iteratorINS9_10device_ptrIiEEEENSB_INSC_IjEEEESG_jNS9_4plusIvEENS9_8equal_toIvEEjEE10hipError_tPvRmT2_T3_T4_T5_mT6_T7_P12ihipStream_tbENKUlT_T0_E_clISt17integral_constantIbLb1EES10_IbLb0EEEEDaSW_SX_EUlSW_E_NS1_11comp_targetILNS1_3genE4ELNS1_11target_archE910ELNS1_3gpuE8ELNS1_3repE0EEENS1_30default_config_static_selectorELNS0_4arch9wavefront6targetE1EEEvT1_
    .private_segment_fixed_size: 0
    .sgpr_count:     6
    .sgpr_spill_count: 0
    .symbol:         _ZN7rocprim17ROCPRIM_400000_NS6detail17trampoline_kernelINS0_14default_configENS1_27scan_by_key_config_selectorIijEEZZNS1_16scan_by_key_implILNS1_25lookback_scan_determinismE0ELb1ES3_N6thrust23THRUST_200600_302600_NS6detail15normal_iteratorINS9_10device_ptrIiEEEENSB_INSC_IjEEEESG_jNS9_4plusIvEENS9_8equal_toIvEEjEE10hipError_tPvRmT2_T3_T4_T5_mT6_T7_P12ihipStream_tbENKUlT_T0_E_clISt17integral_constantIbLb1EES10_IbLb0EEEEDaSW_SX_EUlSW_E_NS1_11comp_targetILNS1_3genE4ELNS1_11target_archE910ELNS1_3gpuE8ELNS1_3repE0EEENS1_30default_config_static_selectorELNS0_4arch9wavefront6targetE1EEEvT1_.kd
    .uniform_work_group_size: 1
    .uses_dynamic_stack: false
    .vgpr_count:     0
    .vgpr_spill_count: 0
    .wavefront_size: 64
  - .agpr_count:     0
    .args:
      - .offset:         0
        .size:           112
        .value_kind:     by_value
    .group_segment_fixed_size: 0
    .kernarg_segment_align: 8
    .kernarg_segment_size: 112
    .language:       OpenCL C
    .language_version:
      - 2
      - 0
    .max_flat_workgroup_size: 256
    .name:           _ZN7rocprim17ROCPRIM_400000_NS6detail17trampoline_kernelINS0_14default_configENS1_27scan_by_key_config_selectorIijEEZZNS1_16scan_by_key_implILNS1_25lookback_scan_determinismE0ELb1ES3_N6thrust23THRUST_200600_302600_NS6detail15normal_iteratorINS9_10device_ptrIiEEEENSB_INSC_IjEEEESG_jNS9_4plusIvEENS9_8equal_toIvEEjEE10hipError_tPvRmT2_T3_T4_T5_mT6_T7_P12ihipStream_tbENKUlT_T0_E_clISt17integral_constantIbLb1EES10_IbLb0EEEEDaSW_SX_EUlSW_E_NS1_11comp_targetILNS1_3genE3ELNS1_11target_archE908ELNS1_3gpuE7ELNS1_3repE0EEENS1_30default_config_static_selectorELNS0_4arch9wavefront6targetE1EEEvT1_
    .private_segment_fixed_size: 0
    .sgpr_count:     6
    .sgpr_spill_count: 0
    .symbol:         _ZN7rocprim17ROCPRIM_400000_NS6detail17trampoline_kernelINS0_14default_configENS1_27scan_by_key_config_selectorIijEEZZNS1_16scan_by_key_implILNS1_25lookback_scan_determinismE0ELb1ES3_N6thrust23THRUST_200600_302600_NS6detail15normal_iteratorINS9_10device_ptrIiEEEENSB_INSC_IjEEEESG_jNS9_4plusIvEENS9_8equal_toIvEEjEE10hipError_tPvRmT2_T3_T4_T5_mT6_T7_P12ihipStream_tbENKUlT_T0_E_clISt17integral_constantIbLb1EES10_IbLb0EEEEDaSW_SX_EUlSW_E_NS1_11comp_targetILNS1_3genE3ELNS1_11target_archE908ELNS1_3gpuE7ELNS1_3repE0EEENS1_30default_config_static_selectorELNS0_4arch9wavefront6targetE1EEEvT1_.kd
    .uniform_work_group_size: 1
    .uses_dynamic_stack: false
    .vgpr_count:     0
    .vgpr_spill_count: 0
    .wavefront_size: 64
  - .agpr_count:     0
    .args:
      - .offset:         0
        .size:           112
        .value_kind:     by_value
    .group_segment_fixed_size: 0
    .kernarg_segment_align: 8
    .kernarg_segment_size: 112
    .language:       OpenCL C
    .language_version:
      - 2
      - 0
    .max_flat_workgroup_size: 256
    .name:           _ZN7rocprim17ROCPRIM_400000_NS6detail17trampoline_kernelINS0_14default_configENS1_27scan_by_key_config_selectorIijEEZZNS1_16scan_by_key_implILNS1_25lookback_scan_determinismE0ELb1ES3_N6thrust23THRUST_200600_302600_NS6detail15normal_iteratorINS9_10device_ptrIiEEEENSB_INSC_IjEEEESG_jNS9_4plusIvEENS9_8equal_toIvEEjEE10hipError_tPvRmT2_T3_T4_T5_mT6_T7_P12ihipStream_tbENKUlT_T0_E_clISt17integral_constantIbLb1EES10_IbLb0EEEEDaSW_SX_EUlSW_E_NS1_11comp_targetILNS1_3genE2ELNS1_11target_archE906ELNS1_3gpuE6ELNS1_3repE0EEENS1_30default_config_static_selectorELNS0_4arch9wavefront6targetE1EEEvT1_
    .private_segment_fixed_size: 0
    .sgpr_count:     6
    .sgpr_spill_count: 0
    .symbol:         _ZN7rocprim17ROCPRIM_400000_NS6detail17trampoline_kernelINS0_14default_configENS1_27scan_by_key_config_selectorIijEEZZNS1_16scan_by_key_implILNS1_25lookback_scan_determinismE0ELb1ES3_N6thrust23THRUST_200600_302600_NS6detail15normal_iteratorINS9_10device_ptrIiEEEENSB_INSC_IjEEEESG_jNS9_4plusIvEENS9_8equal_toIvEEjEE10hipError_tPvRmT2_T3_T4_T5_mT6_T7_P12ihipStream_tbENKUlT_T0_E_clISt17integral_constantIbLb1EES10_IbLb0EEEEDaSW_SX_EUlSW_E_NS1_11comp_targetILNS1_3genE2ELNS1_11target_archE906ELNS1_3gpuE6ELNS1_3repE0EEENS1_30default_config_static_selectorELNS0_4arch9wavefront6targetE1EEEvT1_.kd
    .uniform_work_group_size: 1
    .uses_dynamic_stack: false
    .vgpr_count:     0
    .vgpr_spill_count: 0
    .wavefront_size: 64
  - .agpr_count:     0
    .args:
      - .offset:         0
        .size:           112
        .value_kind:     by_value
    .group_segment_fixed_size: 0
    .kernarg_segment_align: 8
    .kernarg_segment_size: 112
    .language:       OpenCL C
    .language_version:
      - 2
      - 0
    .max_flat_workgroup_size: 256
    .name:           _ZN7rocprim17ROCPRIM_400000_NS6detail17trampoline_kernelINS0_14default_configENS1_27scan_by_key_config_selectorIijEEZZNS1_16scan_by_key_implILNS1_25lookback_scan_determinismE0ELb1ES3_N6thrust23THRUST_200600_302600_NS6detail15normal_iteratorINS9_10device_ptrIiEEEENSB_INSC_IjEEEESG_jNS9_4plusIvEENS9_8equal_toIvEEjEE10hipError_tPvRmT2_T3_T4_T5_mT6_T7_P12ihipStream_tbENKUlT_T0_E_clISt17integral_constantIbLb1EES10_IbLb0EEEEDaSW_SX_EUlSW_E_NS1_11comp_targetILNS1_3genE10ELNS1_11target_archE1200ELNS1_3gpuE4ELNS1_3repE0EEENS1_30default_config_static_selectorELNS0_4arch9wavefront6targetE1EEEvT1_
    .private_segment_fixed_size: 0
    .sgpr_count:     6
    .sgpr_spill_count: 0
    .symbol:         _ZN7rocprim17ROCPRIM_400000_NS6detail17trampoline_kernelINS0_14default_configENS1_27scan_by_key_config_selectorIijEEZZNS1_16scan_by_key_implILNS1_25lookback_scan_determinismE0ELb1ES3_N6thrust23THRUST_200600_302600_NS6detail15normal_iteratorINS9_10device_ptrIiEEEENSB_INSC_IjEEEESG_jNS9_4plusIvEENS9_8equal_toIvEEjEE10hipError_tPvRmT2_T3_T4_T5_mT6_T7_P12ihipStream_tbENKUlT_T0_E_clISt17integral_constantIbLb1EES10_IbLb0EEEEDaSW_SX_EUlSW_E_NS1_11comp_targetILNS1_3genE10ELNS1_11target_archE1200ELNS1_3gpuE4ELNS1_3repE0EEENS1_30default_config_static_selectorELNS0_4arch9wavefront6targetE1EEEvT1_.kd
    .uniform_work_group_size: 1
    .uses_dynamic_stack: false
    .vgpr_count:     0
    .vgpr_spill_count: 0
    .wavefront_size: 64
  - .agpr_count:     0
    .args:
      - .offset:         0
        .size:           112
        .value_kind:     by_value
    .group_segment_fixed_size: 0
    .kernarg_segment_align: 8
    .kernarg_segment_size: 112
    .language:       OpenCL C
    .language_version:
      - 2
      - 0
    .max_flat_workgroup_size: 256
    .name:           _ZN7rocprim17ROCPRIM_400000_NS6detail17trampoline_kernelINS0_14default_configENS1_27scan_by_key_config_selectorIijEEZZNS1_16scan_by_key_implILNS1_25lookback_scan_determinismE0ELb1ES3_N6thrust23THRUST_200600_302600_NS6detail15normal_iteratorINS9_10device_ptrIiEEEENSB_INSC_IjEEEESG_jNS9_4plusIvEENS9_8equal_toIvEEjEE10hipError_tPvRmT2_T3_T4_T5_mT6_T7_P12ihipStream_tbENKUlT_T0_E_clISt17integral_constantIbLb1EES10_IbLb0EEEEDaSW_SX_EUlSW_E_NS1_11comp_targetILNS1_3genE9ELNS1_11target_archE1100ELNS1_3gpuE3ELNS1_3repE0EEENS1_30default_config_static_selectorELNS0_4arch9wavefront6targetE1EEEvT1_
    .private_segment_fixed_size: 0
    .sgpr_count:     6
    .sgpr_spill_count: 0
    .symbol:         _ZN7rocprim17ROCPRIM_400000_NS6detail17trampoline_kernelINS0_14default_configENS1_27scan_by_key_config_selectorIijEEZZNS1_16scan_by_key_implILNS1_25lookback_scan_determinismE0ELb1ES3_N6thrust23THRUST_200600_302600_NS6detail15normal_iteratorINS9_10device_ptrIiEEEENSB_INSC_IjEEEESG_jNS9_4plusIvEENS9_8equal_toIvEEjEE10hipError_tPvRmT2_T3_T4_T5_mT6_T7_P12ihipStream_tbENKUlT_T0_E_clISt17integral_constantIbLb1EES10_IbLb0EEEEDaSW_SX_EUlSW_E_NS1_11comp_targetILNS1_3genE9ELNS1_11target_archE1100ELNS1_3gpuE3ELNS1_3repE0EEENS1_30default_config_static_selectorELNS0_4arch9wavefront6targetE1EEEvT1_.kd
    .uniform_work_group_size: 1
    .uses_dynamic_stack: false
    .vgpr_count:     0
    .vgpr_spill_count: 0
    .wavefront_size: 64
  - .agpr_count:     0
    .args:
      - .offset:         0
        .size:           112
        .value_kind:     by_value
    .group_segment_fixed_size: 0
    .kernarg_segment_align: 8
    .kernarg_segment_size: 112
    .language:       OpenCL C
    .language_version:
      - 2
      - 0
    .max_flat_workgroup_size: 256
    .name:           _ZN7rocprim17ROCPRIM_400000_NS6detail17trampoline_kernelINS0_14default_configENS1_27scan_by_key_config_selectorIijEEZZNS1_16scan_by_key_implILNS1_25lookback_scan_determinismE0ELb1ES3_N6thrust23THRUST_200600_302600_NS6detail15normal_iteratorINS9_10device_ptrIiEEEENSB_INSC_IjEEEESG_jNS9_4plusIvEENS9_8equal_toIvEEjEE10hipError_tPvRmT2_T3_T4_T5_mT6_T7_P12ihipStream_tbENKUlT_T0_E_clISt17integral_constantIbLb1EES10_IbLb0EEEEDaSW_SX_EUlSW_E_NS1_11comp_targetILNS1_3genE8ELNS1_11target_archE1030ELNS1_3gpuE2ELNS1_3repE0EEENS1_30default_config_static_selectorELNS0_4arch9wavefront6targetE1EEEvT1_
    .private_segment_fixed_size: 0
    .sgpr_count:     6
    .sgpr_spill_count: 0
    .symbol:         _ZN7rocprim17ROCPRIM_400000_NS6detail17trampoline_kernelINS0_14default_configENS1_27scan_by_key_config_selectorIijEEZZNS1_16scan_by_key_implILNS1_25lookback_scan_determinismE0ELb1ES3_N6thrust23THRUST_200600_302600_NS6detail15normal_iteratorINS9_10device_ptrIiEEEENSB_INSC_IjEEEESG_jNS9_4plusIvEENS9_8equal_toIvEEjEE10hipError_tPvRmT2_T3_T4_T5_mT6_T7_P12ihipStream_tbENKUlT_T0_E_clISt17integral_constantIbLb1EES10_IbLb0EEEEDaSW_SX_EUlSW_E_NS1_11comp_targetILNS1_3genE8ELNS1_11target_archE1030ELNS1_3gpuE2ELNS1_3repE0EEENS1_30default_config_static_selectorELNS0_4arch9wavefront6targetE1EEEvT1_.kd
    .uniform_work_group_size: 1
    .uses_dynamic_stack: false
    .vgpr_count:     0
    .vgpr_spill_count: 0
    .wavefront_size: 64
  - .agpr_count:     0
    .args:
      - .offset:         0
        .size:           112
        .value_kind:     by_value
    .group_segment_fixed_size: 0
    .kernarg_segment_align: 8
    .kernarg_segment_size: 112
    .language:       OpenCL C
    .language_version:
      - 2
      - 0
    .max_flat_workgroup_size: 256
    .name:           _ZN7rocprim17ROCPRIM_400000_NS6detail17trampoline_kernelINS0_14default_configENS1_27scan_by_key_config_selectorIijEEZZNS1_16scan_by_key_implILNS1_25lookback_scan_determinismE0ELb1ES3_N6thrust23THRUST_200600_302600_NS6detail15normal_iteratorINS9_10device_ptrIiEEEENSB_INSC_IjEEEESG_jNS9_4plusIvEENS9_8equal_toIvEEjEE10hipError_tPvRmT2_T3_T4_T5_mT6_T7_P12ihipStream_tbENKUlT_T0_E_clISt17integral_constantIbLb0EES10_IbLb1EEEEDaSW_SX_EUlSW_E_NS1_11comp_targetILNS1_3genE0ELNS1_11target_archE4294967295ELNS1_3gpuE0ELNS1_3repE0EEENS1_30default_config_static_selectorELNS0_4arch9wavefront6targetE1EEEvT1_
    .private_segment_fixed_size: 0
    .sgpr_count:     6
    .sgpr_spill_count: 0
    .symbol:         _ZN7rocprim17ROCPRIM_400000_NS6detail17trampoline_kernelINS0_14default_configENS1_27scan_by_key_config_selectorIijEEZZNS1_16scan_by_key_implILNS1_25lookback_scan_determinismE0ELb1ES3_N6thrust23THRUST_200600_302600_NS6detail15normal_iteratorINS9_10device_ptrIiEEEENSB_INSC_IjEEEESG_jNS9_4plusIvEENS9_8equal_toIvEEjEE10hipError_tPvRmT2_T3_T4_T5_mT6_T7_P12ihipStream_tbENKUlT_T0_E_clISt17integral_constantIbLb0EES10_IbLb1EEEEDaSW_SX_EUlSW_E_NS1_11comp_targetILNS1_3genE0ELNS1_11target_archE4294967295ELNS1_3gpuE0ELNS1_3repE0EEENS1_30default_config_static_selectorELNS0_4arch9wavefront6targetE1EEEvT1_.kd
    .uniform_work_group_size: 1
    .uses_dynamic_stack: false
    .vgpr_count:     0
    .vgpr_spill_count: 0
    .wavefront_size: 64
  - .agpr_count:     0
    .args:
      - .offset:         0
        .size:           112
        .value_kind:     by_value
    .group_segment_fixed_size: 0
    .kernarg_segment_align: 8
    .kernarg_segment_size: 112
    .language:       OpenCL C
    .language_version:
      - 2
      - 0
    .max_flat_workgroup_size: 256
    .name:           _ZN7rocprim17ROCPRIM_400000_NS6detail17trampoline_kernelINS0_14default_configENS1_27scan_by_key_config_selectorIijEEZZNS1_16scan_by_key_implILNS1_25lookback_scan_determinismE0ELb1ES3_N6thrust23THRUST_200600_302600_NS6detail15normal_iteratorINS9_10device_ptrIiEEEENSB_INSC_IjEEEESG_jNS9_4plusIvEENS9_8equal_toIvEEjEE10hipError_tPvRmT2_T3_T4_T5_mT6_T7_P12ihipStream_tbENKUlT_T0_E_clISt17integral_constantIbLb0EES10_IbLb1EEEEDaSW_SX_EUlSW_E_NS1_11comp_targetILNS1_3genE10ELNS1_11target_archE1201ELNS1_3gpuE5ELNS1_3repE0EEENS1_30default_config_static_selectorELNS0_4arch9wavefront6targetE1EEEvT1_
    .private_segment_fixed_size: 0
    .sgpr_count:     6
    .sgpr_spill_count: 0
    .symbol:         _ZN7rocprim17ROCPRIM_400000_NS6detail17trampoline_kernelINS0_14default_configENS1_27scan_by_key_config_selectorIijEEZZNS1_16scan_by_key_implILNS1_25lookback_scan_determinismE0ELb1ES3_N6thrust23THRUST_200600_302600_NS6detail15normal_iteratorINS9_10device_ptrIiEEEENSB_INSC_IjEEEESG_jNS9_4plusIvEENS9_8equal_toIvEEjEE10hipError_tPvRmT2_T3_T4_T5_mT6_T7_P12ihipStream_tbENKUlT_T0_E_clISt17integral_constantIbLb0EES10_IbLb1EEEEDaSW_SX_EUlSW_E_NS1_11comp_targetILNS1_3genE10ELNS1_11target_archE1201ELNS1_3gpuE5ELNS1_3repE0EEENS1_30default_config_static_selectorELNS0_4arch9wavefront6targetE1EEEvT1_.kd
    .uniform_work_group_size: 1
    .uses_dynamic_stack: false
    .vgpr_count:     0
    .vgpr_spill_count: 0
    .wavefront_size: 64
  - .agpr_count:     0
    .args:
      - .offset:         0
        .size:           112
        .value_kind:     by_value
    .group_segment_fixed_size: 25600
    .kernarg_segment_align: 8
    .kernarg_segment_size: 112
    .language:       OpenCL C
    .language_version:
      - 2
      - 0
    .max_flat_workgroup_size: 256
    .name:           _ZN7rocprim17ROCPRIM_400000_NS6detail17trampoline_kernelINS0_14default_configENS1_27scan_by_key_config_selectorIijEEZZNS1_16scan_by_key_implILNS1_25lookback_scan_determinismE0ELb1ES3_N6thrust23THRUST_200600_302600_NS6detail15normal_iteratorINS9_10device_ptrIiEEEENSB_INSC_IjEEEESG_jNS9_4plusIvEENS9_8equal_toIvEEjEE10hipError_tPvRmT2_T3_T4_T5_mT6_T7_P12ihipStream_tbENKUlT_T0_E_clISt17integral_constantIbLb0EES10_IbLb1EEEEDaSW_SX_EUlSW_E_NS1_11comp_targetILNS1_3genE5ELNS1_11target_archE942ELNS1_3gpuE9ELNS1_3repE0EEENS1_30default_config_static_selectorELNS0_4arch9wavefront6targetE1EEEvT1_
    .private_segment_fixed_size: 0
    .sgpr_count:     86
    .sgpr_spill_count: 0
    .symbol:         _ZN7rocprim17ROCPRIM_400000_NS6detail17trampoline_kernelINS0_14default_configENS1_27scan_by_key_config_selectorIijEEZZNS1_16scan_by_key_implILNS1_25lookback_scan_determinismE0ELb1ES3_N6thrust23THRUST_200600_302600_NS6detail15normal_iteratorINS9_10device_ptrIiEEEENSB_INSC_IjEEEESG_jNS9_4plusIvEENS9_8equal_toIvEEjEE10hipError_tPvRmT2_T3_T4_T5_mT6_T7_P12ihipStream_tbENKUlT_T0_E_clISt17integral_constantIbLb0EES10_IbLb1EEEEDaSW_SX_EUlSW_E_NS1_11comp_targetILNS1_3genE5ELNS1_11target_archE942ELNS1_3gpuE9ELNS1_3repE0EEENS1_30default_config_static_selectorELNS0_4arch9wavefront6targetE1EEEvT1_.kd
    .uniform_work_group_size: 1
    .uses_dynamic_stack: false
    .vgpr_count:     83
    .vgpr_spill_count: 0
    .wavefront_size: 64
  - .agpr_count:     0
    .args:
      - .offset:         0
        .size:           112
        .value_kind:     by_value
    .group_segment_fixed_size: 0
    .kernarg_segment_align: 8
    .kernarg_segment_size: 112
    .language:       OpenCL C
    .language_version:
      - 2
      - 0
    .max_flat_workgroup_size: 256
    .name:           _ZN7rocprim17ROCPRIM_400000_NS6detail17trampoline_kernelINS0_14default_configENS1_27scan_by_key_config_selectorIijEEZZNS1_16scan_by_key_implILNS1_25lookback_scan_determinismE0ELb1ES3_N6thrust23THRUST_200600_302600_NS6detail15normal_iteratorINS9_10device_ptrIiEEEENSB_INSC_IjEEEESG_jNS9_4plusIvEENS9_8equal_toIvEEjEE10hipError_tPvRmT2_T3_T4_T5_mT6_T7_P12ihipStream_tbENKUlT_T0_E_clISt17integral_constantIbLb0EES10_IbLb1EEEEDaSW_SX_EUlSW_E_NS1_11comp_targetILNS1_3genE4ELNS1_11target_archE910ELNS1_3gpuE8ELNS1_3repE0EEENS1_30default_config_static_selectorELNS0_4arch9wavefront6targetE1EEEvT1_
    .private_segment_fixed_size: 0
    .sgpr_count:     6
    .sgpr_spill_count: 0
    .symbol:         _ZN7rocprim17ROCPRIM_400000_NS6detail17trampoline_kernelINS0_14default_configENS1_27scan_by_key_config_selectorIijEEZZNS1_16scan_by_key_implILNS1_25lookback_scan_determinismE0ELb1ES3_N6thrust23THRUST_200600_302600_NS6detail15normal_iteratorINS9_10device_ptrIiEEEENSB_INSC_IjEEEESG_jNS9_4plusIvEENS9_8equal_toIvEEjEE10hipError_tPvRmT2_T3_T4_T5_mT6_T7_P12ihipStream_tbENKUlT_T0_E_clISt17integral_constantIbLb0EES10_IbLb1EEEEDaSW_SX_EUlSW_E_NS1_11comp_targetILNS1_3genE4ELNS1_11target_archE910ELNS1_3gpuE8ELNS1_3repE0EEENS1_30default_config_static_selectorELNS0_4arch9wavefront6targetE1EEEvT1_.kd
    .uniform_work_group_size: 1
    .uses_dynamic_stack: false
    .vgpr_count:     0
    .vgpr_spill_count: 0
    .wavefront_size: 64
  - .agpr_count:     0
    .args:
      - .offset:         0
        .size:           112
        .value_kind:     by_value
    .group_segment_fixed_size: 0
    .kernarg_segment_align: 8
    .kernarg_segment_size: 112
    .language:       OpenCL C
    .language_version:
      - 2
      - 0
    .max_flat_workgroup_size: 256
    .name:           _ZN7rocprim17ROCPRIM_400000_NS6detail17trampoline_kernelINS0_14default_configENS1_27scan_by_key_config_selectorIijEEZZNS1_16scan_by_key_implILNS1_25lookback_scan_determinismE0ELb1ES3_N6thrust23THRUST_200600_302600_NS6detail15normal_iteratorINS9_10device_ptrIiEEEENSB_INSC_IjEEEESG_jNS9_4plusIvEENS9_8equal_toIvEEjEE10hipError_tPvRmT2_T3_T4_T5_mT6_T7_P12ihipStream_tbENKUlT_T0_E_clISt17integral_constantIbLb0EES10_IbLb1EEEEDaSW_SX_EUlSW_E_NS1_11comp_targetILNS1_3genE3ELNS1_11target_archE908ELNS1_3gpuE7ELNS1_3repE0EEENS1_30default_config_static_selectorELNS0_4arch9wavefront6targetE1EEEvT1_
    .private_segment_fixed_size: 0
    .sgpr_count:     6
    .sgpr_spill_count: 0
    .symbol:         _ZN7rocprim17ROCPRIM_400000_NS6detail17trampoline_kernelINS0_14default_configENS1_27scan_by_key_config_selectorIijEEZZNS1_16scan_by_key_implILNS1_25lookback_scan_determinismE0ELb1ES3_N6thrust23THRUST_200600_302600_NS6detail15normal_iteratorINS9_10device_ptrIiEEEENSB_INSC_IjEEEESG_jNS9_4plusIvEENS9_8equal_toIvEEjEE10hipError_tPvRmT2_T3_T4_T5_mT6_T7_P12ihipStream_tbENKUlT_T0_E_clISt17integral_constantIbLb0EES10_IbLb1EEEEDaSW_SX_EUlSW_E_NS1_11comp_targetILNS1_3genE3ELNS1_11target_archE908ELNS1_3gpuE7ELNS1_3repE0EEENS1_30default_config_static_selectorELNS0_4arch9wavefront6targetE1EEEvT1_.kd
    .uniform_work_group_size: 1
    .uses_dynamic_stack: false
    .vgpr_count:     0
    .vgpr_spill_count: 0
    .wavefront_size: 64
  - .agpr_count:     0
    .args:
      - .offset:         0
        .size:           112
        .value_kind:     by_value
    .group_segment_fixed_size: 0
    .kernarg_segment_align: 8
    .kernarg_segment_size: 112
    .language:       OpenCL C
    .language_version:
      - 2
      - 0
    .max_flat_workgroup_size: 256
    .name:           _ZN7rocprim17ROCPRIM_400000_NS6detail17trampoline_kernelINS0_14default_configENS1_27scan_by_key_config_selectorIijEEZZNS1_16scan_by_key_implILNS1_25lookback_scan_determinismE0ELb1ES3_N6thrust23THRUST_200600_302600_NS6detail15normal_iteratorINS9_10device_ptrIiEEEENSB_INSC_IjEEEESG_jNS9_4plusIvEENS9_8equal_toIvEEjEE10hipError_tPvRmT2_T3_T4_T5_mT6_T7_P12ihipStream_tbENKUlT_T0_E_clISt17integral_constantIbLb0EES10_IbLb1EEEEDaSW_SX_EUlSW_E_NS1_11comp_targetILNS1_3genE2ELNS1_11target_archE906ELNS1_3gpuE6ELNS1_3repE0EEENS1_30default_config_static_selectorELNS0_4arch9wavefront6targetE1EEEvT1_
    .private_segment_fixed_size: 0
    .sgpr_count:     6
    .sgpr_spill_count: 0
    .symbol:         _ZN7rocprim17ROCPRIM_400000_NS6detail17trampoline_kernelINS0_14default_configENS1_27scan_by_key_config_selectorIijEEZZNS1_16scan_by_key_implILNS1_25lookback_scan_determinismE0ELb1ES3_N6thrust23THRUST_200600_302600_NS6detail15normal_iteratorINS9_10device_ptrIiEEEENSB_INSC_IjEEEESG_jNS9_4plusIvEENS9_8equal_toIvEEjEE10hipError_tPvRmT2_T3_T4_T5_mT6_T7_P12ihipStream_tbENKUlT_T0_E_clISt17integral_constantIbLb0EES10_IbLb1EEEEDaSW_SX_EUlSW_E_NS1_11comp_targetILNS1_3genE2ELNS1_11target_archE906ELNS1_3gpuE6ELNS1_3repE0EEENS1_30default_config_static_selectorELNS0_4arch9wavefront6targetE1EEEvT1_.kd
    .uniform_work_group_size: 1
    .uses_dynamic_stack: false
    .vgpr_count:     0
    .vgpr_spill_count: 0
    .wavefront_size: 64
  - .agpr_count:     0
    .args:
      - .offset:         0
        .size:           112
        .value_kind:     by_value
    .group_segment_fixed_size: 0
    .kernarg_segment_align: 8
    .kernarg_segment_size: 112
    .language:       OpenCL C
    .language_version:
      - 2
      - 0
    .max_flat_workgroup_size: 256
    .name:           _ZN7rocprim17ROCPRIM_400000_NS6detail17trampoline_kernelINS0_14default_configENS1_27scan_by_key_config_selectorIijEEZZNS1_16scan_by_key_implILNS1_25lookback_scan_determinismE0ELb1ES3_N6thrust23THRUST_200600_302600_NS6detail15normal_iteratorINS9_10device_ptrIiEEEENSB_INSC_IjEEEESG_jNS9_4plusIvEENS9_8equal_toIvEEjEE10hipError_tPvRmT2_T3_T4_T5_mT6_T7_P12ihipStream_tbENKUlT_T0_E_clISt17integral_constantIbLb0EES10_IbLb1EEEEDaSW_SX_EUlSW_E_NS1_11comp_targetILNS1_3genE10ELNS1_11target_archE1200ELNS1_3gpuE4ELNS1_3repE0EEENS1_30default_config_static_selectorELNS0_4arch9wavefront6targetE1EEEvT1_
    .private_segment_fixed_size: 0
    .sgpr_count:     6
    .sgpr_spill_count: 0
    .symbol:         _ZN7rocprim17ROCPRIM_400000_NS6detail17trampoline_kernelINS0_14default_configENS1_27scan_by_key_config_selectorIijEEZZNS1_16scan_by_key_implILNS1_25lookback_scan_determinismE0ELb1ES3_N6thrust23THRUST_200600_302600_NS6detail15normal_iteratorINS9_10device_ptrIiEEEENSB_INSC_IjEEEESG_jNS9_4plusIvEENS9_8equal_toIvEEjEE10hipError_tPvRmT2_T3_T4_T5_mT6_T7_P12ihipStream_tbENKUlT_T0_E_clISt17integral_constantIbLb0EES10_IbLb1EEEEDaSW_SX_EUlSW_E_NS1_11comp_targetILNS1_3genE10ELNS1_11target_archE1200ELNS1_3gpuE4ELNS1_3repE0EEENS1_30default_config_static_selectorELNS0_4arch9wavefront6targetE1EEEvT1_.kd
    .uniform_work_group_size: 1
    .uses_dynamic_stack: false
    .vgpr_count:     0
    .vgpr_spill_count: 0
    .wavefront_size: 64
  - .agpr_count:     0
    .args:
      - .offset:         0
        .size:           112
        .value_kind:     by_value
    .group_segment_fixed_size: 0
    .kernarg_segment_align: 8
    .kernarg_segment_size: 112
    .language:       OpenCL C
    .language_version:
      - 2
      - 0
    .max_flat_workgroup_size: 256
    .name:           _ZN7rocprim17ROCPRIM_400000_NS6detail17trampoline_kernelINS0_14default_configENS1_27scan_by_key_config_selectorIijEEZZNS1_16scan_by_key_implILNS1_25lookback_scan_determinismE0ELb1ES3_N6thrust23THRUST_200600_302600_NS6detail15normal_iteratorINS9_10device_ptrIiEEEENSB_INSC_IjEEEESG_jNS9_4plusIvEENS9_8equal_toIvEEjEE10hipError_tPvRmT2_T3_T4_T5_mT6_T7_P12ihipStream_tbENKUlT_T0_E_clISt17integral_constantIbLb0EES10_IbLb1EEEEDaSW_SX_EUlSW_E_NS1_11comp_targetILNS1_3genE9ELNS1_11target_archE1100ELNS1_3gpuE3ELNS1_3repE0EEENS1_30default_config_static_selectorELNS0_4arch9wavefront6targetE1EEEvT1_
    .private_segment_fixed_size: 0
    .sgpr_count:     6
    .sgpr_spill_count: 0
    .symbol:         _ZN7rocprim17ROCPRIM_400000_NS6detail17trampoline_kernelINS0_14default_configENS1_27scan_by_key_config_selectorIijEEZZNS1_16scan_by_key_implILNS1_25lookback_scan_determinismE0ELb1ES3_N6thrust23THRUST_200600_302600_NS6detail15normal_iteratorINS9_10device_ptrIiEEEENSB_INSC_IjEEEESG_jNS9_4plusIvEENS9_8equal_toIvEEjEE10hipError_tPvRmT2_T3_T4_T5_mT6_T7_P12ihipStream_tbENKUlT_T0_E_clISt17integral_constantIbLb0EES10_IbLb1EEEEDaSW_SX_EUlSW_E_NS1_11comp_targetILNS1_3genE9ELNS1_11target_archE1100ELNS1_3gpuE3ELNS1_3repE0EEENS1_30default_config_static_selectorELNS0_4arch9wavefront6targetE1EEEvT1_.kd
    .uniform_work_group_size: 1
    .uses_dynamic_stack: false
    .vgpr_count:     0
    .vgpr_spill_count: 0
    .wavefront_size: 64
  - .agpr_count:     0
    .args:
      - .offset:         0
        .size:           112
        .value_kind:     by_value
    .group_segment_fixed_size: 0
    .kernarg_segment_align: 8
    .kernarg_segment_size: 112
    .language:       OpenCL C
    .language_version:
      - 2
      - 0
    .max_flat_workgroup_size: 256
    .name:           _ZN7rocprim17ROCPRIM_400000_NS6detail17trampoline_kernelINS0_14default_configENS1_27scan_by_key_config_selectorIijEEZZNS1_16scan_by_key_implILNS1_25lookback_scan_determinismE0ELb1ES3_N6thrust23THRUST_200600_302600_NS6detail15normal_iteratorINS9_10device_ptrIiEEEENSB_INSC_IjEEEESG_jNS9_4plusIvEENS9_8equal_toIvEEjEE10hipError_tPvRmT2_T3_T4_T5_mT6_T7_P12ihipStream_tbENKUlT_T0_E_clISt17integral_constantIbLb0EES10_IbLb1EEEEDaSW_SX_EUlSW_E_NS1_11comp_targetILNS1_3genE8ELNS1_11target_archE1030ELNS1_3gpuE2ELNS1_3repE0EEENS1_30default_config_static_selectorELNS0_4arch9wavefront6targetE1EEEvT1_
    .private_segment_fixed_size: 0
    .sgpr_count:     6
    .sgpr_spill_count: 0
    .symbol:         _ZN7rocprim17ROCPRIM_400000_NS6detail17trampoline_kernelINS0_14default_configENS1_27scan_by_key_config_selectorIijEEZZNS1_16scan_by_key_implILNS1_25lookback_scan_determinismE0ELb1ES3_N6thrust23THRUST_200600_302600_NS6detail15normal_iteratorINS9_10device_ptrIiEEEENSB_INSC_IjEEEESG_jNS9_4plusIvEENS9_8equal_toIvEEjEE10hipError_tPvRmT2_T3_T4_T5_mT6_T7_P12ihipStream_tbENKUlT_T0_E_clISt17integral_constantIbLb0EES10_IbLb1EEEEDaSW_SX_EUlSW_E_NS1_11comp_targetILNS1_3genE8ELNS1_11target_archE1030ELNS1_3gpuE2ELNS1_3repE0EEENS1_30default_config_static_selectorELNS0_4arch9wavefront6targetE1EEEvT1_.kd
    .uniform_work_group_size: 1
    .uses_dynamic_stack: false
    .vgpr_count:     0
    .vgpr_spill_count: 0
    .wavefront_size: 64
  - .agpr_count:     0
    .args:
      - .offset:         0
        .size:           112
        .value_kind:     by_value
    .group_segment_fixed_size: 0
    .kernarg_segment_align: 8
    .kernarg_segment_size: 112
    .language:       OpenCL C
    .language_version:
      - 2
      - 0
    .max_flat_workgroup_size: 256
    .name:           _ZN7rocprim17ROCPRIM_400000_NS6detail17trampoline_kernelINS0_14default_configENS1_27scan_by_key_config_selectorIitEEZZNS1_16scan_by_key_implILNS1_25lookback_scan_determinismE0ELb1ES3_N6thrust23THRUST_200600_302600_NS6detail15normal_iteratorINS9_10device_ptrIiEEEENSB_INSC_ItEEEESG_tNS9_4plusIvEENS9_8equal_toIvEEtEE10hipError_tPvRmT2_T3_T4_T5_mT6_T7_P12ihipStream_tbENKUlT_T0_E_clISt17integral_constantIbLb0EES11_EEDaSW_SX_EUlSW_E_NS1_11comp_targetILNS1_3genE0ELNS1_11target_archE4294967295ELNS1_3gpuE0ELNS1_3repE0EEENS1_30default_config_static_selectorELNS0_4arch9wavefront6targetE1EEEvT1_
    .private_segment_fixed_size: 0
    .sgpr_count:     6
    .sgpr_spill_count: 0
    .symbol:         _ZN7rocprim17ROCPRIM_400000_NS6detail17trampoline_kernelINS0_14default_configENS1_27scan_by_key_config_selectorIitEEZZNS1_16scan_by_key_implILNS1_25lookback_scan_determinismE0ELb1ES3_N6thrust23THRUST_200600_302600_NS6detail15normal_iteratorINS9_10device_ptrIiEEEENSB_INSC_ItEEEESG_tNS9_4plusIvEENS9_8equal_toIvEEtEE10hipError_tPvRmT2_T3_T4_T5_mT6_T7_P12ihipStream_tbENKUlT_T0_E_clISt17integral_constantIbLb0EES11_EEDaSW_SX_EUlSW_E_NS1_11comp_targetILNS1_3genE0ELNS1_11target_archE4294967295ELNS1_3gpuE0ELNS1_3repE0EEENS1_30default_config_static_selectorELNS0_4arch9wavefront6targetE1EEEvT1_.kd
    .uniform_work_group_size: 1
    .uses_dynamic_stack: false
    .vgpr_count:     0
    .vgpr_spill_count: 0
    .wavefront_size: 64
  - .agpr_count:     0
    .args:
      - .offset:         0
        .size:           112
        .value_kind:     by_value
    .group_segment_fixed_size: 0
    .kernarg_segment_align: 8
    .kernarg_segment_size: 112
    .language:       OpenCL C
    .language_version:
      - 2
      - 0
    .max_flat_workgroup_size: 256
    .name:           _ZN7rocprim17ROCPRIM_400000_NS6detail17trampoline_kernelINS0_14default_configENS1_27scan_by_key_config_selectorIitEEZZNS1_16scan_by_key_implILNS1_25lookback_scan_determinismE0ELb1ES3_N6thrust23THRUST_200600_302600_NS6detail15normal_iteratorINS9_10device_ptrIiEEEENSB_INSC_ItEEEESG_tNS9_4plusIvEENS9_8equal_toIvEEtEE10hipError_tPvRmT2_T3_T4_T5_mT6_T7_P12ihipStream_tbENKUlT_T0_E_clISt17integral_constantIbLb0EES11_EEDaSW_SX_EUlSW_E_NS1_11comp_targetILNS1_3genE10ELNS1_11target_archE1201ELNS1_3gpuE5ELNS1_3repE0EEENS1_30default_config_static_selectorELNS0_4arch9wavefront6targetE1EEEvT1_
    .private_segment_fixed_size: 0
    .sgpr_count:     6
    .sgpr_spill_count: 0
    .symbol:         _ZN7rocprim17ROCPRIM_400000_NS6detail17trampoline_kernelINS0_14default_configENS1_27scan_by_key_config_selectorIitEEZZNS1_16scan_by_key_implILNS1_25lookback_scan_determinismE0ELb1ES3_N6thrust23THRUST_200600_302600_NS6detail15normal_iteratorINS9_10device_ptrIiEEEENSB_INSC_ItEEEESG_tNS9_4plusIvEENS9_8equal_toIvEEtEE10hipError_tPvRmT2_T3_T4_T5_mT6_T7_P12ihipStream_tbENKUlT_T0_E_clISt17integral_constantIbLb0EES11_EEDaSW_SX_EUlSW_E_NS1_11comp_targetILNS1_3genE10ELNS1_11target_archE1201ELNS1_3gpuE5ELNS1_3repE0EEENS1_30default_config_static_selectorELNS0_4arch9wavefront6targetE1EEEvT1_.kd
    .uniform_work_group_size: 1
    .uses_dynamic_stack: false
    .vgpr_count:     0
    .vgpr_spill_count: 0
    .wavefront_size: 64
  - .agpr_count:     0
    .args:
      - .offset:         0
        .size:           112
        .value_kind:     by_value
    .group_segment_fixed_size: 26624
    .kernarg_segment_align: 8
    .kernarg_segment_size: 112
    .language:       OpenCL C
    .language_version:
      - 2
      - 0
    .max_flat_workgroup_size: 256
    .name:           _ZN7rocprim17ROCPRIM_400000_NS6detail17trampoline_kernelINS0_14default_configENS1_27scan_by_key_config_selectorIitEEZZNS1_16scan_by_key_implILNS1_25lookback_scan_determinismE0ELb1ES3_N6thrust23THRUST_200600_302600_NS6detail15normal_iteratorINS9_10device_ptrIiEEEENSB_INSC_ItEEEESG_tNS9_4plusIvEENS9_8equal_toIvEEtEE10hipError_tPvRmT2_T3_T4_T5_mT6_T7_P12ihipStream_tbENKUlT_T0_E_clISt17integral_constantIbLb0EES11_EEDaSW_SX_EUlSW_E_NS1_11comp_targetILNS1_3genE5ELNS1_11target_archE942ELNS1_3gpuE9ELNS1_3repE0EEENS1_30default_config_static_selectorELNS0_4arch9wavefront6targetE1EEEvT1_
    .private_segment_fixed_size: 0
    .sgpr_count:     98
    .sgpr_spill_count: 0
    .symbol:         _ZN7rocprim17ROCPRIM_400000_NS6detail17trampoline_kernelINS0_14default_configENS1_27scan_by_key_config_selectorIitEEZZNS1_16scan_by_key_implILNS1_25lookback_scan_determinismE0ELb1ES3_N6thrust23THRUST_200600_302600_NS6detail15normal_iteratorINS9_10device_ptrIiEEEENSB_INSC_ItEEEESG_tNS9_4plusIvEENS9_8equal_toIvEEtEE10hipError_tPvRmT2_T3_T4_T5_mT6_T7_P12ihipStream_tbENKUlT_T0_E_clISt17integral_constantIbLb0EES11_EEDaSW_SX_EUlSW_E_NS1_11comp_targetILNS1_3genE5ELNS1_11target_archE942ELNS1_3gpuE9ELNS1_3repE0EEENS1_30default_config_static_selectorELNS0_4arch9wavefront6targetE1EEEvT1_.kd
    .uniform_work_group_size: 1
    .uses_dynamic_stack: false
    .vgpr_count:     58
    .vgpr_spill_count: 0
    .wavefront_size: 64
  - .agpr_count:     0
    .args:
      - .offset:         0
        .size:           112
        .value_kind:     by_value
    .group_segment_fixed_size: 0
    .kernarg_segment_align: 8
    .kernarg_segment_size: 112
    .language:       OpenCL C
    .language_version:
      - 2
      - 0
    .max_flat_workgroup_size: 64
    .name:           _ZN7rocprim17ROCPRIM_400000_NS6detail17trampoline_kernelINS0_14default_configENS1_27scan_by_key_config_selectorIitEEZZNS1_16scan_by_key_implILNS1_25lookback_scan_determinismE0ELb1ES3_N6thrust23THRUST_200600_302600_NS6detail15normal_iteratorINS9_10device_ptrIiEEEENSB_INSC_ItEEEESG_tNS9_4plusIvEENS9_8equal_toIvEEtEE10hipError_tPvRmT2_T3_T4_T5_mT6_T7_P12ihipStream_tbENKUlT_T0_E_clISt17integral_constantIbLb0EES11_EEDaSW_SX_EUlSW_E_NS1_11comp_targetILNS1_3genE4ELNS1_11target_archE910ELNS1_3gpuE8ELNS1_3repE0EEENS1_30default_config_static_selectorELNS0_4arch9wavefront6targetE1EEEvT1_
    .private_segment_fixed_size: 0
    .sgpr_count:     6
    .sgpr_spill_count: 0
    .symbol:         _ZN7rocprim17ROCPRIM_400000_NS6detail17trampoline_kernelINS0_14default_configENS1_27scan_by_key_config_selectorIitEEZZNS1_16scan_by_key_implILNS1_25lookback_scan_determinismE0ELb1ES3_N6thrust23THRUST_200600_302600_NS6detail15normal_iteratorINS9_10device_ptrIiEEEENSB_INSC_ItEEEESG_tNS9_4plusIvEENS9_8equal_toIvEEtEE10hipError_tPvRmT2_T3_T4_T5_mT6_T7_P12ihipStream_tbENKUlT_T0_E_clISt17integral_constantIbLb0EES11_EEDaSW_SX_EUlSW_E_NS1_11comp_targetILNS1_3genE4ELNS1_11target_archE910ELNS1_3gpuE8ELNS1_3repE0EEENS1_30default_config_static_selectorELNS0_4arch9wavefront6targetE1EEEvT1_.kd
    .uniform_work_group_size: 1
    .uses_dynamic_stack: false
    .vgpr_count:     0
    .vgpr_spill_count: 0
    .wavefront_size: 64
  - .agpr_count:     0
    .args:
      - .offset:         0
        .size:           112
        .value_kind:     by_value
    .group_segment_fixed_size: 0
    .kernarg_segment_align: 8
    .kernarg_segment_size: 112
    .language:       OpenCL C
    .language_version:
      - 2
      - 0
    .max_flat_workgroup_size: 256
    .name:           _ZN7rocprim17ROCPRIM_400000_NS6detail17trampoline_kernelINS0_14default_configENS1_27scan_by_key_config_selectorIitEEZZNS1_16scan_by_key_implILNS1_25lookback_scan_determinismE0ELb1ES3_N6thrust23THRUST_200600_302600_NS6detail15normal_iteratorINS9_10device_ptrIiEEEENSB_INSC_ItEEEESG_tNS9_4plusIvEENS9_8equal_toIvEEtEE10hipError_tPvRmT2_T3_T4_T5_mT6_T7_P12ihipStream_tbENKUlT_T0_E_clISt17integral_constantIbLb0EES11_EEDaSW_SX_EUlSW_E_NS1_11comp_targetILNS1_3genE3ELNS1_11target_archE908ELNS1_3gpuE7ELNS1_3repE0EEENS1_30default_config_static_selectorELNS0_4arch9wavefront6targetE1EEEvT1_
    .private_segment_fixed_size: 0
    .sgpr_count:     6
    .sgpr_spill_count: 0
    .symbol:         _ZN7rocprim17ROCPRIM_400000_NS6detail17trampoline_kernelINS0_14default_configENS1_27scan_by_key_config_selectorIitEEZZNS1_16scan_by_key_implILNS1_25lookback_scan_determinismE0ELb1ES3_N6thrust23THRUST_200600_302600_NS6detail15normal_iteratorINS9_10device_ptrIiEEEENSB_INSC_ItEEEESG_tNS9_4plusIvEENS9_8equal_toIvEEtEE10hipError_tPvRmT2_T3_T4_T5_mT6_T7_P12ihipStream_tbENKUlT_T0_E_clISt17integral_constantIbLb0EES11_EEDaSW_SX_EUlSW_E_NS1_11comp_targetILNS1_3genE3ELNS1_11target_archE908ELNS1_3gpuE7ELNS1_3repE0EEENS1_30default_config_static_selectorELNS0_4arch9wavefront6targetE1EEEvT1_.kd
    .uniform_work_group_size: 1
    .uses_dynamic_stack: false
    .vgpr_count:     0
    .vgpr_spill_count: 0
    .wavefront_size: 64
  - .agpr_count:     0
    .args:
      - .offset:         0
        .size:           112
        .value_kind:     by_value
    .group_segment_fixed_size: 0
    .kernarg_segment_align: 8
    .kernarg_segment_size: 112
    .language:       OpenCL C
    .language_version:
      - 2
      - 0
    .max_flat_workgroup_size: 64
    .name:           _ZN7rocprim17ROCPRIM_400000_NS6detail17trampoline_kernelINS0_14default_configENS1_27scan_by_key_config_selectorIitEEZZNS1_16scan_by_key_implILNS1_25lookback_scan_determinismE0ELb1ES3_N6thrust23THRUST_200600_302600_NS6detail15normal_iteratorINS9_10device_ptrIiEEEENSB_INSC_ItEEEESG_tNS9_4plusIvEENS9_8equal_toIvEEtEE10hipError_tPvRmT2_T3_T4_T5_mT6_T7_P12ihipStream_tbENKUlT_T0_E_clISt17integral_constantIbLb0EES11_EEDaSW_SX_EUlSW_E_NS1_11comp_targetILNS1_3genE2ELNS1_11target_archE906ELNS1_3gpuE6ELNS1_3repE0EEENS1_30default_config_static_selectorELNS0_4arch9wavefront6targetE1EEEvT1_
    .private_segment_fixed_size: 0
    .sgpr_count:     6
    .sgpr_spill_count: 0
    .symbol:         _ZN7rocprim17ROCPRIM_400000_NS6detail17trampoline_kernelINS0_14default_configENS1_27scan_by_key_config_selectorIitEEZZNS1_16scan_by_key_implILNS1_25lookback_scan_determinismE0ELb1ES3_N6thrust23THRUST_200600_302600_NS6detail15normal_iteratorINS9_10device_ptrIiEEEENSB_INSC_ItEEEESG_tNS9_4plusIvEENS9_8equal_toIvEEtEE10hipError_tPvRmT2_T3_T4_T5_mT6_T7_P12ihipStream_tbENKUlT_T0_E_clISt17integral_constantIbLb0EES11_EEDaSW_SX_EUlSW_E_NS1_11comp_targetILNS1_3genE2ELNS1_11target_archE906ELNS1_3gpuE6ELNS1_3repE0EEENS1_30default_config_static_selectorELNS0_4arch9wavefront6targetE1EEEvT1_.kd
    .uniform_work_group_size: 1
    .uses_dynamic_stack: false
    .vgpr_count:     0
    .vgpr_spill_count: 0
    .wavefront_size: 64
  - .agpr_count:     0
    .args:
      - .offset:         0
        .size:           112
        .value_kind:     by_value
    .group_segment_fixed_size: 0
    .kernarg_segment_align: 8
    .kernarg_segment_size: 112
    .language:       OpenCL C
    .language_version:
      - 2
      - 0
    .max_flat_workgroup_size: 256
    .name:           _ZN7rocprim17ROCPRIM_400000_NS6detail17trampoline_kernelINS0_14default_configENS1_27scan_by_key_config_selectorIitEEZZNS1_16scan_by_key_implILNS1_25lookback_scan_determinismE0ELb1ES3_N6thrust23THRUST_200600_302600_NS6detail15normal_iteratorINS9_10device_ptrIiEEEENSB_INSC_ItEEEESG_tNS9_4plusIvEENS9_8equal_toIvEEtEE10hipError_tPvRmT2_T3_T4_T5_mT6_T7_P12ihipStream_tbENKUlT_T0_E_clISt17integral_constantIbLb0EES11_EEDaSW_SX_EUlSW_E_NS1_11comp_targetILNS1_3genE10ELNS1_11target_archE1200ELNS1_3gpuE4ELNS1_3repE0EEENS1_30default_config_static_selectorELNS0_4arch9wavefront6targetE1EEEvT1_
    .private_segment_fixed_size: 0
    .sgpr_count:     6
    .sgpr_spill_count: 0
    .symbol:         _ZN7rocprim17ROCPRIM_400000_NS6detail17trampoline_kernelINS0_14default_configENS1_27scan_by_key_config_selectorIitEEZZNS1_16scan_by_key_implILNS1_25lookback_scan_determinismE0ELb1ES3_N6thrust23THRUST_200600_302600_NS6detail15normal_iteratorINS9_10device_ptrIiEEEENSB_INSC_ItEEEESG_tNS9_4plusIvEENS9_8equal_toIvEEtEE10hipError_tPvRmT2_T3_T4_T5_mT6_T7_P12ihipStream_tbENKUlT_T0_E_clISt17integral_constantIbLb0EES11_EEDaSW_SX_EUlSW_E_NS1_11comp_targetILNS1_3genE10ELNS1_11target_archE1200ELNS1_3gpuE4ELNS1_3repE0EEENS1_30default_config_static_selectorELNS0_4arch9wavefront6targetE1EEEvT1_.kd
    .uniform_work_group_size: 1
    .uses_dynamic_stack: false
    .vgpr_count:     0
    .vgpr_spill_count: 0
    .wavefront_size: 64
  - .agpr_count:     0
    .args:
      - .offset:         0
        .size:           112
        .value_kind:     by_value
    .group_segment_fixed_size: 0
    .kernarg_segment_align: 8
    .kernarg_segment_size: 112
    .language:       OpenCL C
    .language_version:
      - 2
      - 0
    .max_flat_workgroup_size: 64
    .name:           _ZN7rocprim17ROCPRIM_400000_NS6detail17trampoline_kernelINS0_14default_configENS1_27scan_by_key_config_selectorIitEEZZNS1_16scan_by_key_implILNS1_25lookback_scan_determinismE0ELb1ES3_N6thrust23THRUST_200600_302600_NS6detail15normal_iteratorINS9_10device_ptrIiEEEENSB_INSC_ItEEEESG_tNS9_4plusIvEENS9_8equal_toIvEEtEE10hipError_tPvRmT2_T3_T4_T5_mT6_T7_P12ihipStream_tbENKUlT_T0_E_clISt17integral_constantIbLb0EES11_EEDaSW_SX_EUlSW_E_NS1_11comp_targetILNS1_3genE9ELNS1_11target_archE1100ELNS1_3gpuE3ELNS1_3repE0EEENS1_30default_config_static_selectorELNS0_4arch9wavefront6targetE1EEEvT1_
    .private_segment_fixed_size: 0
    .sgpr_count:     6
    .sgpr_spill_count: 0
    .symbol:         _ZN7rocprim17ROCPRIM_400000_NS6detail17trampoline_kernelINS0_14default_configENS1_27scan_by_key_config_selectorIitEEZZNS1_16scan_by_key_implILNS1_25lookback_scan_determinismE0ELb1ES3_N6thrust23THRUST_200600_302600_NS6detail15normal_iteratorINS9_10device_ptrIiEEEENSB_INSC_ItEEEESG_tNS9_4plusIvEENS9_8equal_toIvEEtEE10hipError_tPvRmT2_T3_T4_T5_mT6_T7_P12ihipStream_tbENKUlT_T0_E_clISt17integral_constantIbLb0EES11_EEDaSW_SX_EUlSW_E_NS1_11comp_targetILNS1_3genE9ELNS1_11target_archE1100ELNS1_3gpuE3ELNS1_3repE0EEENS1_30default_config_static_selectorELNS0_4arch9wavefront6targetE1EEEvT1_.kd
    .uniform_work_group_size: 1
    .uses_dynamic_stack: false
    .vgpr_count:     0
    .vgpr_spill_count: 0
    .wavefront_size: 64
  - .agpr_count:     0
    .args:
      - .offset:         0
        .size:           112
        .value_kind:     by_value
    .group_segment_fixed_size: 0
    .kernarg_segment_align: 8
    .kernarg_segment_size: 112
    .language:       OpenCL C
    .language_version:
      - 2
      - 0
    .max_flat_workgroup_size: 64
    .name:           _ZN7rocprim17ROCPRIM_400000_NS6detail17trampoline_kernelINS0_14default_configENS1_27scan_by_key_config_selectorIitEEZZNS1_16scan_by_key_implILNS1_25lookback_scan_determinismE0ELb1ES3_N6thrust23THRUST_200600_302600_NS6detail15normal_iteratorINS9_10device_ptrIiEEEENSB_INSC_ItEEEESG_tNS9_4plusIvEENS9_8equal_toIvEEtEE10hipError_tPvRmT2_T3_T4_T5_mT6_T7_P12ihipStream_tbENKUlT_T0_E_clISt17integral_constantIbLb0EES11_EEDaSW_SX_EUlSW_E_NS1_11comp_targetILNS1_3genE8ELNS1_11target_archE1030ELNS1_3gpuE2ELNS1_3repE0EEENS1_30default_config_static_selectorELNS0_4arch9wavefront6targetE1EEEvT1_
    .private_segment_fixed_size: 0
    .sgpr_count:     6
    .sgpr_spill_count: 0
    .symbol:         _ZN7rocprim17ROCPRIM_400000_NS6detail17trampoline_kernelINS0_14default_configENS1_27scan_by_key_config_selectorIitEEZZNS1_16scan_by_key_implILNS1_25lookback_scan_determinismE0ELb1ES3_N6thrust23THRUST_200600_302600_NS6detail15normal_iteratorINS9_10device_ptrIiEEEENSB_INSC_ItEEEESG_tNS9_4plusIvEENS9_8equal_toIvEEtEE10hipError_tPvRmT2_T3_T4_T5_mT6_T7_P12ihipStream_tbENKUlT_T0_E_clISt17integral_constantIbLb0EES11_EEDaSW_SX_EUlSW_E_NS1_11comp_targetILNS1_3genE8ELNS1_11target_archE1030ELNS1_3gpuE2ELNS1_3repE0EEENS1_30default_config_static_selectorELNS0_4arch9wavefront6targetE1EEEvT1_.kd
    .uniform_work_group_size: 1
    .uses_dynamic_stack: false
    .vgpr_count:     0
    .vgpr_spill_count: 0
    .wavefront_size: 64
  - .agpr_count:     0
    .args:
      - .offset:         0
        .size:           112
        .value_kind:     by_value
    .group_segment_fixed_size: 0
    .kernarg_segment_align: 8
    .kernarg_segment_size: 112
    .language:       OpenCL C
    .language_version:
      - 2
      - 0
    .max_flat_workgroup_size: 256
    .name:           _ZN7rocprim17ROCPRIM_400000_NS6detail17trampoline_kernelINS0_14default_configENS1_27scan_by_key_config_selectorIitEEZZNS1_16scan_by_key_implILNS1_25lookback_scan_determinismE0ELb1ES3_N6thrust23THRUST_200600_302600_NS6detail15normal_iteratorINS9_10device_ptrIiEEEENSB_INSC_ItEEEESG_tNS9_4plusIvEENS9_8equal_toIvEEtEE10hipError_tPvRmT2_T3_T4_T5_mT6_T7_P12ihipStream_tbENKUlT_T0_E_clISt17integral_constantIbLb1EES11_EEDaSW_SX_EUlSW_E_NS1_11comp_targetILNS1_3genE0ELNS1_11target_archE4294967295ELNS1_3gpuE0ELNS1_3repE0EEENS1_30default_config_static_selectorELNS0_4arch9wavefront6targetE1EEEvT1_
    .private_segment_fixed_size: 0
    .sgpr_count:     6
    .sgpr_spill_count: 0
    .symbol:         _ZN7rocprim17ROCPRIM_400000_NS6detail17trampoline_kernelINS0_14default_configENS1_27scan_by_key_config_selectorIitEEZZNS1_16scan_by_key_implILNS1_25lookback_scan_determinismE0ELb1ES3_N6thrust23THRUST_200600_302600_NS6detail15normal_iteratorINS9_10device_ptrIiEEEENSB_INSC_ItEEEESG_tNS9_4plusIvEENS9_8equal_toIvEEtEE10hipError_tPvRmT2_T3_T4_T5_mT6_T7_P12ihipStream_tbENKUlT_T0_E_clISt17integral_constantIbLb1EES11_EEDaSW_SX_EUlSW_E_NS1_11comp_targetILNS1_3genE0ELNS1_11target_archE4294967295ELNS1_3gpuE0ELNS1_3repE0EEENS1_30default_config_static_selectorELNS0_4arch9wavefront6targetE1EEEvT1_.kd
    .uniform_work_group_size: 1
    .uses_dynamic_stack: false
    .vgpr_count:     0
    .vgpr_spill_count: 0
    .wavefront_size: 64
  - .agpr_count:     0
    .args:
      - .offset:         0
        .size:           112
        .value_kind:     by_value
    .group_segment_fixed_size: 0
    .kernarg_segment_align: 8
    .kernarg_segment_size: 112
    .language:       OpenCL C
    .language_version:
      - 2
      - 0
    .max_flat_workgroup_size: 256
    .name:           _ZN7rocprim17ROCPRIM_400000_NS6detail17trampoline_kernelINS0_14default_configENS1_27scan_by_key_config_selectorIitEEZZNS1_16scan_by_key_implILNS1_25lookback_scan_determinismE0ELb1ES3_N6thrust23THRUST_200600_302600_NS6detail15normal_iteratorINS9_10device_ptrIiEEEENSB_INSC_ItEEEESG_tNS9_4plusIvEENS9_8equal_toIvEEtEE10hipError_tPvRmT2_T3_T4_T5_mT6_T7_P12ihipStream_tbENKUlT_T0_E_clISt17integral_constantIbLb1EES11_EEDaSW_SX_EUlSW_E_NS1_11comp_targetILNS1_3genE10ELNS1_11target_archE1201ELNS1_3gpuE5ELNS1_3repE0EEENS1_30default_config_static_selectorELNS0_4arch9wavefront6targetE1EEEvT1_
    .private_segment_fixed_size: 0
    .sgpr_count:     6
    .sgpr_spill_count: 0
    .symbol:         _ZN7rocprim17ROCPRIM_400000_NS6detail17trampoline_kernelINS0_14default_configENS1_27scan_by_key_config_selectorIitEEZZNS1_16scan_by_key_implILNS1_25lookback_scan_determinismE0ELb1ES3_N6thrust23THRUST_200600_302600_NS6detail15normal_iteratorINS9_10device_ptrIiEEEENSB_INSC_ItEEEESG_tNS9_4plusIvEENS9_8equal_toIvEEtEE10hipError_tPvRmT2_T3_T4_T5_mT6_T7_P12ihipStream_tbENKUlT_T0_E_clISt17integral_constantIbLb1EES11_EEDaSW_SX_EUlSW_E_NS1_11comp_targetILNS1_3genE10ELNS1_11target_archE1201ELNS1_3gpuE5ELNS1_3repE0EEENS1_30default_config_static_selectorELNS0_4arch9wavefront6targetE1EEEvT1_.kd
    .uniform_work_group_size: 1
    .uses_dynamic_stack: false
    .vgpr_count:     0
    .vgpr_spill_count: 0
    .wavefront_size: 64
  - .agpr_count:     0
    .args:
      - .offset:         0
        .size:           112
        .value_kind:     by_value
    .group_segment_fixed_size: 26624
    .kernarg_segment_align: 8
    .kernarg_segment_size: 112
    .language:       OpenCL C
    .language_version:
      - 2
      - 0
    .max_flat_workgroup_size: 256
    .name:           _ZN7rocprim17ROCPRIM_400000_NS6detail17trampoline_kernelINS0_14default_configENS1_27scan_by_key_config_selectorIitEEZZNS1_16scan_by_key_implILNS1_25lookback_scan_determinismE0ELb1ES3_N6thrust23THRUST_200600_302600_NS6detail15normal_iteratorINS9_10device_ptrIiEEEENSB_INSC_ItEEEESG_tNS9_4plusIvEENS9_8equal_toIvEEtEE10hipError_tPvRmT2_T3_T4_T5_mT6_T7_P12ihipStream_tbENKUlT_T0_E_clISt17integral_constantIbLb1EES11_EEDaSW_SX_EUlSW_E_NS1_11comp_targetILNS1_3genE5ELNS1_11target_archE942ELNS1_3gpuE9ELNS1_3repE0EEENS1_30default_config_static_selectorELNS0_4arch9wavefront6targetE1EEEvT1_
    .private_segment_fixed_size: 0
    .sgpr_count:     81
    .sgpr_spill_count: 0
    .symbol:         _ZN7rocprim17ROCPRIM_400000_NS6detail17trampoline_kernelINS0_14default_configENS1_27scan_by_key_config_selectorIitEEZZNS1_16scan_by_key_implILNS1_25lookback_scan_determinismE0ELb1ES3_N6thrust23THRUST_200600_302600_NS6detail15normal_iteratorINS9_10device_ptrIiEEEENSB_INSC_ItEEEESG_tNS9_4plusIvEENS9_8equal_toIvEEtEE10hipError_tPvRmT2_T3_T4_T5_mT6_T7_P12ihipStream_tbENKUlT_T0_E_clISt17integral_constantIbLb1EES11_EEDaSW_SX_EUlSW_E_NS1_11comp_targetILNS1_3genE5ELNS1_11target_archE942ELNS1_3gpuE9ELNS1_3repE0EEENS1_30default_config_static_selectorELNS0_4arch9wavefront6targetE1EEEvT1_.kd
    .uniform_work_group_size: 1
    .uses_dynamic_stack: false
    .vgpr_count:     64
    .vgpr_spill_count: 0
    .wavefront_size: 64
  - .agpr_count:     0
    .args:
      - .offset:         0
        .size:           112
        .value_kind:     by_value
    .group_segment_fixed_size: 0
    .kernarg_segment_align: 8
    .kernarg_segment_size: 112
    .language:       OpenCL C
    .language_version:
      - 2
      - 0
    .max_flat_workgroup_size: 64
    .name:           _ZN7rocprim17ROCPRIM_400000_NS6detail17trampoline_kernelINS0_14default_configENS1_27scan_by_key_config_selectorIitEEZZNS1_16scan_by_key_implILNS1_25lookback_scan_determinismE0ELb1ES3_N6thrust23THRUST_200600_302600_NS6detail15normal_iteratorINS9_10device_ptrIiEEEENSB_INSC_ItEEEESG_tNS9_4plusIvEENS9_8equal_toIvEEtEE10hipError_tPvRmT2_T3_T4_T5_mT6_T7_P12ihipStream_tbENKUlT_T0_E_clISt17integral_constantIbLb1EES11_EEDaSW_SX_EUlSW_E_NS1_11comp_targetILNS1_3genE4ELNS1_11target_archE910ELNS1_3gpuE8ELNS1_3repE0EEENS1_30default_config_static_selectorELNS0_4arch9wavefront6targetE1EEEvT1_
    .private_segment_fixed_size: 0
    .sgpr_count:     6
    .sgpr_spill_count: 0
    .symbol:         _ZN7rocprim17ROCPRIM_400000_NS6detail17trampoline_kernelINS0_14default_configENS1_27scan_by_key_config_selectorIitEEZZNS1_16scan_by_key_implILNS1_25lookback_scan_determinismE0ELb1ES3_N6thrust23THRUST_200600_302600_NS6detail15normal_iteratorINS9_10device_ptrIiEEEENSB_INSC_ItEEEESG_tNS9_4plusIvEENS9_8equal_toIvEEtEE10hipError_tPvRmT2_T3_T4_T5_mT6_T7_P12ihipStream_tbENKUlT_T0_E_clISt17integral_constantIbLb1EES11_EEDaSW_SX_EUlSW_E_NS1_11comp_targetILNS1_3genE4ELNS1_11target_archE910ELNS1_3gpuE8ELNS1_3repE0EEENS1_30default_config_static_selectorELNS0_4arch9wavefront6targetE1EEEvT1_.kd
    .uniform_work_group_size: 1
    .uses_dynamic_stack: false
    .vgpr_count:     0
    .vgpr_spill_count: 0
    .wavefront_size: 64
  - .agpr_count:     0
    .args:
      - .offset:         0
        .size:           112
        .value_kind:     by_value
    .group_segment_fixed_size: 0
    .kernarg_segment_align: 8
    .kernarg_segment_size: 112
    .language:       OpenCL C
    .language_version:
      - 2
      - 0
    .max_flat_workgroup_size: 256
    .name:           _ZN7rocprim17ROCPRIM_400000_NS6detail17trampoline_kernelINS0_14default_configENS1_27scan_by_key_config_selectorIitEEZZNS1_16scan_by_key_implILNS1_25lookback_scan_determinismE0ELb1ES3_N6thrust23THRUST_200600_302600_NS6detail15normal_iteratorINS9_10device_ptrIiEEEENSB_INSC_ItEEEESG_tNS9_4plusIvEENS9_8equal_toIvEEtEE10hipError_tPvRmT2_T3_T4_T5_mT6_T7_P12ihipStream_tbENKUlT_T0_E_clISt17integral_constantIbLb1EES11_EEDaSW_SX_EUlSW_E_NS1_11comp_targetILNS1_3genE3ELNS1_11target_archE908ELNS1_3gpuE7ELNS1_3repE0EEENS1_30default_config_static_selectorELNS0_4arch9wavefront6targetE1EEEvT1_
    .private_segment_fixed_size: 0
    .sgpr_count:     6
    .sgpr_spill_count: 0
    .symbol:         _ZN7rocprim17ROCPRIM_400000_NS6detail17trampoline_kernelINS0_14default_configENS1_27scan_by_key_config_selectorIitEEZZNS1_16scan_by_key_implILNS1_25lookback_scan_determinismE0ELb1ES3_N6thrust23THRUST_200600_302600_NS6detail15normal_iteratorINS9_10device_ptrIiEEEENSB_INSC_ItEEEESG_tNS9_4plusIvEENS9_8equal_toIvEEtEE10hipError_tPvRmT2_T3_T4_T5_mT6_T7_P12ihipStream_tbENKUlT_T0_E_clISt17integral_constantIbLb1EES11_EEDaSW_SX_EUlSW_E_NS1_11comp_targetILNS1_3genE3ELNS1_11target_archE908ELNS1_3gpuE7ELNS1_3repE0EEENS1_30default_config_static_selectorELNS0_4arch9wavefront6targetE1EEEvT1_.kd
    .uniform_work_group_size: 1
    .uses_dynamic_stack: false
    .vgpr_count:     0
    .vgpr_spill_count: 0
    .wavefront_size: 64
  - .agpr_count:     0
    .args:
      - .offset:         0
        .size:           112
        .value_kind:     by_value
    .group_segment_fixed_size: 0
    .kernarg_segment_align: 8
    .kernarg_segment_size: 112
    .language:       OpenCL C
    .language_version:
      - 2
      - 0
    .max_flat_workgroup_size: 64
    .name:           _ZN7rocprim17ROCPRIM_400000_NS6detail17trampoline_kernelINS0_14default_configENS1_27scan_by_key_config_selectorIitEEZZNS1_16scan_by_key_implILNS1_25lookback_scan_determinismE0ELb1ES3_N6thrust23THRUST_200600_302600_NS6detail15normal_iteratorINS9_10device_ptrIiEEEENSB_INSC_ItEEEESG_tNS9_4plusIvEENS9_8equal_toIvEEtEE10hipError_tPvRmT2_T3_T4_T5_mT6_T7_P12ihipStream_tbENKUlT_T0_E_clISt17integral_constantIbLb1EES11_EEDaSW_SX_EUlSW_E_NS1_11comp_targetILNS1_3genE2ELNS1_11target_archE906ELNS1_3gpuE6ELNS1_3repE0EEENS1_30default_config_static_selectorELNS0_4arch9wavefront6targetE1EEEvT1_
    .private_segment_fixed_size: 0
    .sgpr_count:     6
    .sgpr_spill_count: 0
    .symbol:         _ZN7rocprim17ROCPRIM_400000_NS6detail17trampoline_kernelINS0_14default_configENS1_27scan_by_key_config_selectorIitEEZZNS1_16scan_by_key_implILNS1_25lookback_scan_determinismE0ELb1ES3_N6thrust23THRUST_200600_302600_NS6detail15normal_iteratorINS9_10device_ptrIiEEEENSB_INSC_ItEEEESG_tNS9_4plusIvEENS9_8equal_toIvEEtEE10hipError_tPvRmT2_T3_T4_T5_mT6_T7_P12ihipStream_tbENKUlT_T0_E_clISt17integral_constantIbLb1EES11_EEDaSW_SX_EUlSW_E_NS1_11comp_targetILNS1_3genE2ELNS1_11target_archE906ELNS1_3gpuE6ELNS1_3repE0EEENS1_30default_config_static_selectorELNS0_4arch9wavefront6targetE1EEEvT1_.kd
    .uniform_work_group_size: 1
    .uses_dynamic_stack: false
    .vgpr_count:     0
    .vgpr_spill_count: 0
    .wavefront_size: 64
  - .agpr_count:     0
    .args:
      - .offset:         0
        .size:           112
        .value_kind:     by_value
    .group_segment_fixed_size: 0
    .kernarg_segment_align: 8
    .kernarg_segment_size: 112
    .language:       OpenCL C
    .language_version:
      - 2
      - 0
    .max_flat_workgroup_size: 256
    .name:           _ZN7rocprim17ROCPRIM_400000_NS6detail17trampoline_kernelINS0_14default_configENS1_27scan_by_key_config_selectorIitEEZZNS1_16scan_by_key_implILNS1_25lookback_scan_determinismE0ELb1ES3_N6thrust23THRUST_200600_302600_NS6detail15normal_iteratorINS9_10device_ptrIiEEEENSB_INSC_ItEEEESG_tNS9_4plusIvEENS9_8equal_toIvEEtEE10hipError_tPvRmT2_T3_T4_T5_mT6_T7_P12ihipStream_tbENKUlT_T0_E_clISt17integral_constantIbLb1EES11_EEDaSW_SX_EUlSW_E_NS1_11comp_targetILNS1_3genE10ELNS1_11target_archE1200ELNS1_3gpuE4ELNS1_3repE0EEENS1_30default_config_static_selectorELNS0_4arch9wavefront6targetE1EEEvT1_
    .private_segment_fixed_size: 0
    .sgpr_count:     6
    .sgpr_spill_count: 0
    .symbol:         _ZN7rocprim17ROCPRIM_400000_NS6detail17trampoline_kernelINS0_14default_configENS1_27scan_by_key_config_selectorIitEEZZNS1_16scan_by_key_implILNS1_25lookback_scan_determinismE0ELb1ES3_N6thrust23THRUST_200600_302600_NS6detail15normal_iteratorINS9_10device_ptrIiEEEENSB_INSC_ItEEEESG_tNS9_4plusIvEENS9_8equal_toIvEEtEE10hipError_tPvRmT2_T3_T4_T5_mT6_T7_P12ihipStream_tbENKUlT_T0_E_clISt17integral_constantIbLb1EES11_EEDaSW_SX_EUlSW_E_NS1_11comp_targetILNS1_3genE10ELNS1_11target_archE1200ELNS1_3gpuE4ELNS1_3repE0EEENS1_30default_config_static_selectorELNS0_4arch9wavefront6targetE1EEEvT1_.kd
    .uniform_work_group_size: 1
    .uses_dynamic_stack: false
    .vgpr_count:     0
    .vgpr_spill_count: 0
    .wavefront_size: 64
  - .agpr_count:     0
    .args:
      - .offset:         0
        .size:           112
        .value_kind:     by_value
    .group_segment_fixed_size: 0
    .kernarg_segment_align: 8
    .kernarg_segment_size: 112
    .language:       OpenCL C
    .language_version:
      - 2
      - 0
    .max_flat_workgroup_size: 64
    .name:           _ZN7rocprim17ROCPRIM_400000_NS6detail17trampoline_kernelINS0_14default_configENS1_27scan_by_key_config_selectorIitEEZZNS1_16scan_by_key_implILNS1_25lookback_scan_determinismE0ELb1ES3_N6thrust23THRUST_200600_302600_NS6detail15normal_iteratorINS9_10device_ptrIiEEEENSB_INSC_ItEEEESG_tNS9_4plusIvEENS9_8equal_toIvEEtEE10hipError_tPvRmT2_T3_T4_T5_mT6_T7_P12ihipStream_tbENKUlT_T0_E_clISt17integral_constantIbLb1EES11_EEDaSW_SX_EUlSW_E_NS1_11comp_targetILNS1_3genE9ELNS1_11target_archE1100ELNS1_3gpuE3ELNS1_3repE0EEENS1_30default_config_static_selectorELNS0_4arch9wavefront6targetE1EEEvT1_
    .private_segment_fixed_size: 0
    .sgpr_count:     6
    .sgpr_spill_count: 0
    .symbol:         _ZN7rocprim17ROCPRIM_400000_NS6detail17trampoline_kernelINS0_14default_configENS1_27scan_by_key_config_selectorIitEEZZNS1_16scan_by_key_implILNS1_25lookback_scan_determinismE0ELb1ES3_N6thrust23THRUST_200600_302600_NS6detail15normal_iteratorINS9_10device_ptrIiEEEENSB_INSC_ItEEEESG_tNS9_4plusIvEENS9_8equal_toIvEEtEE10hipError_tPvRmT2_T3_T4_T5_mT6_T7_P12ihipStream_tbENKUlT_T0_E_clISt17integral_constantIbLb1EES11_EEDaSW_SX_EUlSW_E_NS1_11comp_targetILNS1_3genE9ELNS1_11target_archE1100ELNS1_3gpuE3ELNS1_3repE0EEENS1_30default_config_static_selectorELNS0_4arch9wavefront6targetE1EEEvT1_.kd
    .uniform_work_group_size: 1
    .uses_dynamic_stack: false
    .vgpr_count:     0
    .vgpr_spill_count: 0
    .wavefront_size: 64
  - .agpr_count:     0
    .args:
      - .offset:         0
        .size:           112
        .value_kind:     by_value
    .group_segment_fixed_size: 0
    .kernarg_segment_align: 8
    .kernarg_segment_size: 112
    .language:       OpenCL C
    .language_version:
      - 2
      - 0
    .max_flat_workgroup_size: 64
    .name:           _ZN7rocprim17ROCPRIM_400000_NS6detail17trampoline_kernelINS0_14default_configENS1_27scan_by_key_config_selectorIitEEZZNS1_16scan_by_key_implILNS1_25lookback_scan_determinismE0ELb1ES3_N6thrust23THRUST_200600_302600_NS6detail15normal_iteratorINS9_10device_ptrIiEEEENSB_INSC_ItEEEESG_tNS9_4plusIvEENS9_8equal_toIvEEtEE10hipError_tPvRmT2_T3_T4_T5_mT6_T7_P12ihipStream_tbENKUlT_T0_E_clISt17integral_constantIbLb1EES11_EEDaSW_SX_EUlSW_E_NS1_11comp_targetILNS1_3genE8ELNS1_11target_archE1030ELNS1_3gpuE2ELNS1_3repE0EEENS1_30default_config_static_selectorELNS0_4arch9wavefront6targetE1EEEvT1_
    .private_segment_fixed_size: 0
    .sgpr_count:     6
    .sgpr_spill_count: 0
    .symbol:         _ZN7rocprim17ROCPRIM_400000_NS6detail17trampoline_kernelINS0_14default_configENS1_27scan_by_key_config_selectorIitEEZZNS1_16scan_by_key_implILNS1_25lookback_scan_determinismE0ELb1ES3_N6thrust23THRUST_200600_302600_NS6detail15normal_iteratorINS9_10device_ptrIiEEEENSB_INSC_ItEEEESG_tNS9_4plusIvEENS9_8equal_toIvEEtEE10hipError_tPvRmT2_T3_T4_T5_mT6_T7_P12ihipStream_tbENKUlT_T0_E_clISt17integral_constantIbLb1EES11_EEDaSW_SX_EUlSW_E_NS1_11comp_targetILNS1_3genE8ELNS1_11target_archE1030ELNS1_3gpuE2ELNS1_3repE0EEENS1_30default_config_static_selectorELNS0_4arch9wavefront6targetE1EEEvT1_.kd
    .uniform_work_group_size: 1
    .uses_dynamic_stack: false
    .vgpr_count:     0
    .vgpr_spill_count: 0
    .wavefront_size: 64
  - .agpr_count:     0
    .args:
      - .offset:         0
        .size:           112
        .value_kind:     by_value
    .group_segment_fixed_size: 0
    .kernarg_segment_align: 8
    .kernarg_segment_size: 112
    .language:       OpenCL C
    .language_version:
      - 2
      - 0
    .max_flat_workgroup_size: 256
    .name:           _ZN7rocprim17ROCPRIM_400000_NS6detail17trampoline_kernelINS0_14default_configENS1_27scan_by_key_config_selectorIitEEZZNS1_16scan_by_key_implILNS1_25lookback_scan_determinismE0ELb1ES3_N6thrust23THRUST_200600_302600_NS6detail15normal_iteratorINS9_10device_ptrIiEEEENSB_INSC_ItEEEESG_tNS9_4plusIvEENS9_8equal_toIvEEtEE10hipError_tPvRmT2_T3_T4_T5_mT6_T7_P12ihipStream_tbENKUlT_T0_E_clISt17integral_constantIbLb1EES10_IbLb0EEEEDaSW_SX_EUlSW_E_NS1_11comp_targetILNS1_3genE0ELNS1_11target_archE4294967295ELNS1_3gpuE0ELNS1_3repE0EEENS1_30default_config_static_selectorELNS0_4arch9wavefront6targetE1EEEvT1_
    .private_segment_fixed_size: 0
    .sgpr_count:     6
    .sgpr_spill_count: 0
    .symbol:         _ZN7rocprim17ROCPRIM_400000_NS6detail17trampoline_kernelINS0_14default_configENS1_27scan_by_key_config_selectorIitEEZZNS1_16scan_by_key_implILNS1_25lookback_scan_determinismE0ELb1ES3_N6thrust23THRUST_200600_302600_NS6detail15normal_iteratorINS9_10device_ptrIiEEEENSB_INSC_ItEEEESG_tNS9_4plusIvEENS9_8equal_toIvEEtEE10hipError_tPvRmT2_T3_T4_T5_mT6_T7_P12ihipStream_tbENKUlT_T0_E_clISt17integral_constantIbLb1EES10_IbLb0EEEEDaSW_SX_EUlSW_E_NS1_11comp_targetILNS1_3genE0ELNS1_11target_archE4294967295ELNS1_3gpuE0ELNS1_3repE0EEENS1_30default_config_static_selectorELNS0_4arch9wavefront6targetE1EEEvT1_.kd
    .uniform_work_group_size: 1
    .uses_dynamic_stack: false
    .vgpr_count:     0
    .vgpr_spill_count: 0
    .wavefront_size: 64
  - .agpr_count:     0
    .args:
      - .offset:         0
        .size:           112
        .value_kind:     by_value
    .group_segment_fixed_size: 0
    .kernarg_segment_align: 8
    .kernarg_segment_size: 112
    .language:       OpenCL C
    .language_version:
      - 2
      - 0
    .max_flat_workgroup_size: 256
    .name:           _ZN7rocprim17ROCPRIM_400000_NS6detail17trampoline_kernelINS0_14default_configENS1_27scan_by_key_config_selectorIitEEZZNS1_16scan_by_key_implILNS1_25lookback_scan_determinismE0ELb1ES3_N6thrust23THRUST_200600_302600_NS6detail15normal_iteratorINS9_10device_ptrIiEEEENSB_INSC_ItEEEESG_tNS9_4plusIvEENS9_8equal_toIvEEtEE10hipError_tPvRmT2_T3_T4_T5_mT6_T7_P12ihipStream_tbENKUlT_T0_E_clISt17integral_constantIbLb1EES10_IbLb0EEEEDaSW_SX_EUlSW_E_NS1_11comp_targetILNS1_3genE10ELNS1_11target_archE1201ELNS1_3gpuE5ELNS1_3repE0EEENS1_30default_config_static_selectorELNS0_4arch9wavefront6targetE1EEEvT1_
    .private_segment_fixed_size: 0
    .sgpr_count:     6
    .sgpr_spill_count: 0
    .symbol:         _ZN7rocprim17ROCPRIM_400000_NS6detail17trampoline_kernelINS0_14default_configENS1_27scan_by_key_config_selectorIitEEZZNS1_16scan_by_key_implILNS1_25lookback_scan_determinismE0ELb1ES3_N6thrust23THRUST_200600_302600_NS6detail15normal_iteratorINS9_10device_ptrIiEEEENSB_INSC_ItEEEESG_tNS9_4plusIvEENS9_8equal_toIvEEtEE10hipError_tPvRmT2_T3_T4_T5_mT6_T7_P12ihipStream_tbENKUlT_T0_E_clISt17integral_constantIbLb1EES10_IbLb0EEEEDaSW_SX_EUlSW_E_NS1_11comp_targetILNS1_3genE10ELNS1_11target_archE1201ELNS1_3gpuE5ELNS1_3repE0EEENS1_30default_config_static_selectorELNS0_4arch9wavefront6targetE1EEEvT1_.kd
    .uniform_work_group_size: 1
    .uses_dynamic_stack: false
    .vgpr_count:     0
    .vgpr_spill_count: 0
    .wavefront_size: 64
  - .agpr_count:     0
    .args:
      - .offset:         0
        .size:           112
        .value_kind:     by_value
    .group_segment_fixed_size: 26624
    .kernarg_segment_align: 8
    .kernarg_segment_size: 112
    .language:       OpenCL C
    .language_version:
      - 2
      - 0
    .max_flat_workgroup_size: 256
    .name:           _ZN7rocprim17ROCPRIM_400000_NS6detail17trampoline_kernelINS0_14default_configENS1_27scan_by_key_config_selectorIitEEZZNS1_16scan_by_key_implILNS1_25lookback_scan_determinismE0ELb1ES3_N6thrust23THRUST_200600_302600_NS6detail15normal_iteratorINS9_10device_ptrIiEEEENSB_INSC_ItEEEESG_tNS9_4plusIvEENS9_8equal_toIvEEtEE10hipError_tPvRmT2_T3_T4_T5_mT6_T7_P12ihipStream_tbENKUlT_T0_E_clISt17integral_constantIbLb1EES10_IbLb0EEEEDaSW_SX_EUlSW_E_NS1_11comp_targetILNS1_3genE5ELNS1_11target_archE942ELNS1_3gpuE9ELNS1_3repE0EEENS1_30default_config_static_selectorELNS0_4arch9wavefront6targetE1EEEvT1_
    .private_segment_fixed_size: 0
    .sgpr_count:     98
    .sgpr_spill_count: 0
    .symbol:         _ZN7rocprim17ROCPRIM_400000_NS6detail17trampoline_kernelINS0_14default_configENS1_27scan_by_key_config_selectorIitEEZZNS1_16scan_by_key_implILNS1_25lookback_scan_determinismE0ELb1ES3_N6thrust23THRUST_200600_302600_NS6detail15normal_iteratorINS9_10device_ptrIiEEEENSB_INSC_ItEEEESG_tNS9_4plusIvEENS9_8equal_toIvEEtEE10hipError_tPvRmT2_T3_T4_T5_mT6_T7_P12ihipStream_tbENKUlT_T0_E_clISt17integral_constantIbLb1EES10_IbLb0EEEEDaSW_SX_EUlSW_E_NS1_11comp_targetILNS1_3genE5ELNS1_11target_archE942ELNS1_3gpuE9ELNS1_3repE0EEENS1_30default_config_static_selectorELNS0_4arch9wavefront6targetE1EEEvT1_.kd
    .uniform_work_group_size: 1
    .uses_dynamic_stack: false
    .vgpr_count:     58
    .vgpr_spill_count: 0
    .wavefront_size: 64
  - .agpr_count:     0
    .args:
      - .offset:         0
        .size:           112
        .value_kind:     by_value
    .group_segment_fixed_size: 0
    .kernarg_segment_align: 8
    .kernarg_segment_size: 112
    .language:       OpenCL C
    .language_version:
      - 2
      - 0
    .max_flat_workgroup_size: 64
    .name:           _ZN7rocprim17ROCPRIM_400000_NS6detail17trampoline_kernelINS0_14default_configENS1_27scan_by_key_config_selectorIitEEZZNS1_16scan_by_key_implILNS1_25lookback_scan_determinismE0ELb1ES3_N6thrust23THRUST_200600_302600_NS6detail15normal_iteratorINS9_10device_ptrIiEEEENSB_INSC_ItEEEESG_tNS9_4plusIvEENS9_8equal_toIvEEtEE10hipError_tPvRmT2_T3_T4_T5_mT6_T7_P12ihipStream_tbENKUlT_T0_E_clISt17integral_constantIbLb1EES10_IbLb0EEEEDaSW_SX_EUlSW_E_NS1_11comp_targetILNS1_3genE4ELNS1_11target_archE910ELNS1_3gpuE8ELNS1_3repE0EEENS1_30default_config_static_selectorELNS0_4arch9wavefront6targetE1EEEvT1_
    .private_segment_fixed_size: 0
    .sgpr_count:     6
    .sgpr_spill_count: 0
    .symbol:         _ZN7rocprim17ROCPRIM_400000_NS6detail17trampoline_kernelINS0_14default_configENS1_27scan_by_key_config_selectorIitEEZZNS1_16scan_by_key_implILNS1_25lookback_scan_determinismE0ELb1ES3_N6thrust23THRUST_200600_302600_NS6detail15normal_iteratorINS9_10device_ptrIiEEEENSB_INSC_ItEEEESG_tNS9_4plusIvEENS9_8equal_toIvEEtEE10hipError_tPvRmT2_T3_T4_T5_mT6_T7_P12ihipStream_tbENKUlT_T0_E_clISt17integral_constantIbLb1EES10_IbLb0EEEEDaSW_SX_EUlSW_E_NS1_11comp_targetILNS1_3genE4ELNS1_11target_archE910ELNS1_3gpuE8ELNS1_3repE0EEENS1_30default_config_static_selectorELNS0_4arch9wavefront6targetE1EEEvT1_.kd
    .uniform_work_group_size: 1
    .uses_dynamic_stack: false
    .vgpr_count:     0
    .vgpr_spill_count: 0
    .wavefront_size: 64
  - .agpr_count:     0
    .args:
      - .offset:         0
        .size:           112
        .value_kind:     by_value
    .group_segment_fixed_size: 0
    .kernarg_segment_align: 8
    .kernarg_segment_size: 112
    .language:       OpenCL C
    .language_version:
      - 2
      - 0
    .max_flat_workgroup_size: 256
    .name:           _ZN7rocprim17ROCPRIM_400000_NS6detail17trampoline_kernelINS0_14default_configENS1_27scan_by_key_config_selectorIitEEZZNS1_16scan_by_key_implILNS1_25lookback_scan_determinismE0ELb1ES3_N6thrust23THRUST_200600_302600_NS6detail15normal_iteratorINS9_10device_ptrIiEEEENSB_INSC_ItEEEESG_tNS9_4plusIvEENS9_8equal_toIvEEtEE10hipError_tPvRmT2_T3_T4_T5_mT6_T7_P12ihipStream_tbENKUlT_T0_E_clISt17integral_constantIbLb1EES10_IbLb0EEEEDaSW_SX_EUlSW_E_NS1_11comp_targetILNS1_3genE3ELNS1_11target_archE908ELNS1_3gpuE7ELNS1_3repE0EEENS1_30default_config_static_selectorELNS0_4arch9wavefront6targetE1EEEvT1_
    .private_segment_fixed_size: 0
    .sgpr_count:     6
    .sgpr_spill_count: 0
    .symbol:         _ZN7rocprim17ROCPRIM_400000_NS6detail17trampoline_kernelINS0_14default_configENS1_27scan_by_key_config_selectorIitEEZZNS1_16scan_by_key_implILNS1_25lookback_scan_determinismE0ELb1ES3_N6thrust23THRUST_200600_302600_NS6detail15normal_iteratorINS9_10device_ptrIiEEEENSB_INSC_ItEEEESG_tNS9_4plusIvEENS9_8equal_toIvEEtEE10hipError_tPvRmT2_T3_T4_T5_mT6_T7_P12ihipStream_tbENKUlT_T0_E_clISt17integral_constantIbLb1EES10_IbLb0EEEEDaSW_SX_EUlSW_E_NS1_11comp_targetILNS1_3genE3ELNS1_11target_archE908ELNS1_3gpuE7ELNS1_3repE0EEENS1_30default_config_static_selectorELNS0_4arch9wavefront6targetE1EEEvT1_.kd
    .uniform_work_group_size: 1
    .uses_dynamic_stack: false
    .vgpr_count:     0
    .vgpr_spill_count: 0
    .wavefront_size: 64
  - .agpr_count:     0
    .args:
      - .offset:         0
        .size:           112
        .value_kind:     by_value
    .group_segment_fixed_size: 0
    .kernarg_segment_align: 8
    .kernarg_segment_size: 112
    .language:       OpenCL C
    .language_version:
      - 2
      - 0
    .max_flat_workgroup_size: 64
    .name:           _ZN7rocprim17ROCPRIM_400000_NS6detail17trampoline_kernelINS0_14default_configENS1_27scan_by_key_config_selectorIitEEZZNS1_16scan_by_key_implILNS1_25lookback_scan_determinismE0ELb1ES3_N6thrust23THRUST_200600_302600_NS6detail15normal_iteratorINS9_10device_ptrIiEEEENSB_INSC_ItEEEESG_tNS9_4plusIvEENS9_8equal_toIvEEtEE10hipError_tPvRmT2_T3_T4_T5_mT6_T7_P12ihipStream_tbENKUlT_T0_E_clISt17integral_constantIbLb1EES10_IbLb0EEEEDaSW_SX_EUlSW_E_NS1_11comp_targetILNS1_3genE2ELNS1_11target_archE906ELNS1_3gpuE6ELNS1_3repE0EEENS1_30default_config_static_selectorELNS0_4arch9wavefront6targetE1EEEvT1_
    .private_segment_fixed_size: 0
    .sgpr_count:     6
    .sgpr_spill_count: 0
    .symbol:         _ZN7rocprim17ROCPRIM_400000_NS6detail17trampoline_kernelINS0_14default_configENS1_27scan_by_key_config_selectorIitEEZZNS1_16scan_by_key_implILNS1_25lookback_scan_determinismE0ELb1ES3_N6thrust23THRUST_200600_302600_NS6detail15normal_iteratorINS9_10device_ptrIiEEEENSB_INSC_ItEEEESG_tNS9_4plusIvEENS9_8equal_toIvEEtEE10hipError_tPvRmT2_T3_T4_T5_mT6_T7_P12ihipStream_tbENKUlT_T0_E_clISt17integral_constantIbLb1EES10_IbLb0EEEEDaSW_SX_EUlSW_E_NS1_11comp_targetILNS1_3genE2ELNS1_11target_archE906ELNS1_3gpuE6ELNS1_3repE0EEENS1_30default_config_static_selectorELNS0_4arch9wavefront6targetE1EEEvT1_.kd
    .uniform_work_group_size: 1
    .uses_dynamic_stack: false
    .vgpr_count:     0
    .vgpr_spill_count: 0
    .wavefront_size: 64
  - .agpr_count:     0
    .args:
      - .offset:         0
        .size:           112
        .value_kind:     by_value
    .group_segment_fixed_size: 0
    .kernarg_segment_align: 8
    .kernarg_segment_size: 112
    .language:       OpenCL C
    .language_version:
      - 2
      - 0
    .max_flat_workgroup_size: 256
    .name:           _ZN7rocprim17ROCPRIM_400000_NS6detail17trampoline_kernelINS0_14default_configENS1_27scan_by_key_config_selectorIitEEZZNS1_16scan_by_key_implILNS1_25lookback_scan_determinismE0ELb1ES3_N6thrust23THRUST_200600_302600_NS6detail15normal_iteratorINS9_10device_ptrIiEEEENSB_INSC_ItEEEESG_tNS9_4plusIvEENS9_8equal_toIvEEtEE10hipError_tPvRmT2_T3_T4_T5_mT6_T7_P12ihipStream_tbENKUlT_T0_E_clISt17integral_constantIbLb1EES10_IbLb0EEEEDaSW_SX_EUlSW_E_NS1_11comp_targetILNS1_3genE10ELNS1_11target_archE1200ELNS1_3gpuE4ELNS1_3repE0EEENS1_30default_config_static_selectorELNS0_4arch9wavefront6targetE1EEEvT1_
    .private_segment_fixed_size: 0
    .sgpr_count:     6
    .sgpr_spill_count: 0
    .symbol:         _ZN7rocprim17ROCPRIM_400000_NS6detail17trampoline_kernelINS0_14default_configENS1_27scan_by_key_config_selectorIitEEZZNS1_16scan_by_key_implILNS1_25lookback_scan_determinismE0ELb1ES3_N6thrust23THRUST_200600_302600_NS6detail15normal_iteratorINS9_10device_ptrIiEEEENSB_INSC_ItEEEESG_tNS9_4plusIvEENS9_8equal_toIvEEtEE10hipError_tPvRmT2_T3_T4_T5_mT6_T7_P12ihipStream_tbENKUlT_T0_E_clISt17integral_constantIbLb1EES10_IbLb0EEEEDaSW_SX_EUlSW_E_NS1_11comp_targetILNS1_3genE10ELNS1_11target_archE1200ELNS1_3gpuE4ELNS1_3repE0EEENS1_30default_config_static_selectorELNS0_4arch9wavefront6targetE1EEEvT1_.kd
    .uniform_work_group_size: 1
    .uses_dynamic_stack: false
    .vgpr_count:     0
    .vgpr_spill_count: 0
    .wavefront_size: 64
  - .agpr_count:     0
    .args:
      - .offset:         0
        .size:           112
        .value_kind:     by_value
    .group_segment_fixed_size: 0
    .kernarg_segment_align: 8
    .kernarg_segment_size: 112
    .language:       OpenCL C
    .language_version:
      - 2
      - 0
    .max_flat_workgroup_size: 64
    .name:           _ZN7rocprim17ROCPRIM_400000_NS6detail17trampoline_kernelINS0_14default_configENS1_27scan_by_key_config_selectorIitEEZZNS1_16scan_by_key_implILNS1_25lookback_scan_determinismE0ELb1ES3_N6thrust23THRUST_200600_302600_NS6detail15normal_iteratorINS9_10device_ptrIiEEEENSB_INSC_ItEEEESG_tNS9_4plusIvEENS9_8equal_toIvEEtEE10hipError_tPvRmT2_T3_T4_T5_mT6_T7_P12ihipStream_tbENKUlT_T0_E_clISt17integral_constantIbLb1EES10_IbLb0EEEEDaSW_SX_EUlSW_E_NS1_11comp_targetILNS1_3genE9ELNS1_11target_archE1100ELNS1_3gpuE3ELNS1_3repE0EEENS1_30default_config_static_selectorELNS0_4arch9wavefront6targetE1EEEvT1_
    .private_segment_fixed_size: 0
    .sgpr_count:     6
    .sgpr_spill_count: 0
    .symbol:         _ZN7rocprim17ROCPRIM_400000_NS6detail17trampoline_kernelINS0_14default_configENS1_27scan_by_key_config_selectorIitEEZZNS1_16scan_by_key_implILNS1_25lookback_scan_determinismE0ELb1ES3_N6thrust23THRUST_200600_302600_NS6detail15normal_iteratorINS9_10device_ptrIiEEEENSB_INSC_ItEEEESG_tNS9_4plusIvEENS9_8equal_toIvEEtEE10hipError_tPvRmT2_T3_T4_T5_mT6_T7_P12ihipStream_tbENKUlT_T0_E_clISt17integral_constantIbLb1EES10_IbLb0EEEEDaSW_SX_EUlSW_E_NS1_11comp_targetILNS1_3genE9ELNS1_11target_archE1100ELNS1_3gpuE3ELNS1_3repE0EEENS1_30default_config_static_selectorELNS0_4arch9wavefront6targetE1EEEvT1_.kd
    .uniform_work_group_size: 1
    .uses_dynamic_stack: false
    .vgpr_count:     0
    .vgpr_spill_count: 0
    .wavefront_size: 64
  - .agpr_count:     0
    .args:
      - .offset:         0
        .size:           112
        .value_kind:     by_value
    .group_segment_fixed_size: 0
    .kernarg_segment_align: 8
    .kernarg_segment_size: 112
    .language:       OpenCL C
    .language_version:
      - 2
      - 0
    .max_flat_workgroup_size: 64
    .name:           _ZN7rocprim17ROCPRIM_400000_NS6detail17trampoline_kernelINS0_14default_configENS1_27scan_by_key_config_selectorIitEEZZNS1_16scan_by_key_implILNS1_25lookback_scan_determinismE0ELb1ES3_N6thrust23THRUST_200600_302600_NS6detail15normal_iteratorINS9_10device_ptrIiEEEENSB_INSC_ItEEEESG_tNS9_4plusIvEENS9_8equal_toIvEEtEE10hipError_tPvRmT2_T3_T4_T5_mT6_T7_P12ihipStream_tbENKUlT_T0_E_clISt17integral_constantIbLb1EES10_IbLb0EEEEDaSW_SX_EUlSW_E_NS1_11comp_targetILNS1_3genE8ELNS1_11target_archE1030ELNS1_3gpuE2ELNS1_3repE0EEENS1_30default_config_static_selectorELNS0_4arch9wavefront6targetE1EEEvT1_
    .private_segment_fixed_size: 0
    .sgpr_count:     6
    .sgpr_spill_count: 0
    .symbol:         _ZN7rocprim17ROCPRIM_400000_NS6detail17trampoline_kernelINS0_14default_configENS1_27scan_by_key_config_selectorIitEEZZNS1_16scan_by_key_implILNS1_25lookback_scan_determinismE0ELb1ES3_N6thrust23THRUST_200600_302600_NS6detail15normal_iteratorINS9_10device_ptrIiEEEENSB_INSC_ItEEEESG_tNS9_4plusIvEENS9_8equal_toIvEEtEE10hipError_tPvRmT2_T3_T4_T5_mT6_T7_P12ihipStream_tbENKUlT_T0_E_clISt17integral_constantIbLb1EES10_IbLb0EEEEDaSW_SX_EUlSW_E_NS1_11comp_targetILNS1_3genE8ELNS1_11target_archE1030ELNS1_3gpuE2ELNS1_3repE0EEENS1_30default_config_static_selectorELNS0_4arch9wavefront6targetE1EEEvT1_.kd
    .uniform_work_group_size: 1
    .uses_dynamic_stack: false
    .vgpr_count:     0
    .vgpr_spill_count: 0
    .wavefront_size: 64
  - .agpr_count:     0
    .args:
      - .offset:         0
        .size:           112
        .value_kind:     by_value
    .group_segment_fixed_size: 0
    .kernarg_segment_align: 8
    .kernarg_segment_size: 112
    .language:       OpenCL C
    .language_version:
      - 2
      - 0
    .max_flat_workgroup_size: 256
    .name:           _ZN7rocprim17ROCPRIM_400000_NS6detail17trampoline_kernelINS0_14default_configENS1_27scan_by_key_config_selectorIitEEZZNS1_16scan_by_key_implILNS1_25lookback_scan_determinismE0ELb1ES3_N6thrust23THRUST_200600_302600_NS6detail15normal_iteratorINS9_10device_ptrIiEEEENSB_INSC_ItEEEESG_tNS9_4plusIvEENS9_8equal_toIvEEtEE10hipError_tPvRmT2_T3_T4_T5_mT6_T7_P12ihipStream_tbENKUlT_T0_E_clISt17integral_constantIbLb0EES10_IbLb1EEEEDaSW_SX_EUlSW_E_NS1_11comp_targetILNS1_3genE0ELNS1_11target_archE4294967295ELNS1_3gpuE0ELNS1_3repE0EEENS1_30default_config_static_selectorELNS0_4arch9wavefront6targetE1EEEvT1_
    .private_segment_fixed_size: 0
    .sgpr_count:     6
    .sgpr_spill_count: 0
    .symbol:         _ZN7rocprim17ROCPRIM_400000_NS6detail17trampoline_kernelINS0_14default_configENS1_27scan_by_key_config_selectorIitEEZZNS1_16scan_by_key_implILNS1_25lookback_scan_determinismE0ELb1ES3_N6thrust23THRUST_200600_302600_NS6detail15normal_iteratorINS9_10device_ptrIiEEEENSB_INSC_ItEEEESG_tNS9_4plusIvEENS9_8equal_toIvEEtEE10hipError_tPvRmT2_T3_T4_T5_mT6_T7_P12ihipStream_tbENKUlT_T0_E_clISt17integral_constantIbLb0EES10_IbLb1EEEEDaSW_SX_EUlSW_E_NS1_11comp_targetILNS1_3genE0ELNS1_11target_archE4294967295ELNS1_3gpuE0ELNS1_3repE0EEENS1_30default_config_static_selectorELNS0_4arch9wavefront6targetE1EEEvT1_.kd
    .uniform_work_group_size: 1
    .uses_dynamic_stack: false
    .vgpr_count:     0
    .vgpr_spill_count: 0
    .wavefront_size: 64
  - .agpr_count:     0
    .args:
      - .offset:         0
        .size:           112
        .value_kind:     by_value
    .group_segment_fixed_size: 0
    .kernarg_segment_align: 8
    .kernarg_segment_size: 112
    .language:       OpenCL C
    .language_version:
      - 2
      - 0
    .max_flat_workgroup_size: 256
    .name:           _ZN7rocprim17ROCPRIM_400000_NS6detail17trampoline_kernelINS0_14default_configENS1_27scan_by_key_config_selectorIitEEZZNS1_16scan_by_key_implILNS1_25lookback_scan_determinismE0ELb1ES3_N6thrust23THRUST_200600_302600_NS6detail15normal_iteratorINS9_10device_ptrIiEEEENSB_INSC_ItEEEESG_tNS9_4plusIvEENS9_8equal_toIvEEtEE10hipError_tPvRmT2_T3_T4_T5_mT6_T7_P12ihipStream_tbENKUlT_T0_E_clISt17integral_constantIbLb0EES10_IbLb1EEEEDaSW_SX_EUlSW_E_NS1_11comp_targetILNS1_3genE10ELNS1_11target_archE1201ELNS1_3gpuE5ELNS1_3repE0EEENS1_30default_config_static_selectorELNS0_4arch9wavefront6targetE1EEEvT1_
    .private_segment_fixed_size: 0
    .sgpr_count:     6
    .sgpr_spill_count: 0
    .symbol:         _ZN7rocprim17ROCPRIM_400000_NS6detail17trampoline_kernelINS0_14default_configENS1_27scan_by_key_config_selectorIitEEZZNS1_16scan_by_key_implILNS1_25lookback_scan_determinismE0ELb1ES3_N6thrust23THRUST_200600_302600_NS6detail15normal_iteratorINS9_10device_ptrIiEEEENSB_INSC_ItEEEESG_tNS9_4plusIvEENS9_8equal_toIvEEtEE10hipError_tPvRmT2_T3_T4_T5_mT6_T7_P12ihipStream_tbENKUlT_T0_E_clISt17integral_constantIbLb0EES10_IbLb1EEEEDaSW_SX_EUlSW_E_NS1_11comp_targetILNS1_3genE10ELNS1_11target_archE1201ELNS1_3gpuE5ELNS1_3repE0EEENS1_30default_config_static_selectorELNS0_4arch9wavefront6targetE1EEEvT1_.kd
    .uniform_work_group_size: 1
    .uses_dynamic_stack: false
    .vgpr_count:     0
    .vgpr_spill_count: 0
    .wavefront_size: 64
  - .agpr_count:     0
    .args:
      - .offset:         0
        .size:           112
        .value_kind:     by_value
    .group_segment_fixed_size: 26624
    .kernarg_segment_align: 8
    .kernarg_segment_size: 112
    .language:       OpenCL C
    .language_version:
      - 2
      - 0
    .max_flat_workgroup_size: 256
    .name:           _ZN7rocprim17ROCPRIM_400000_NS6detail17trampoline_kernelINS0_14default_configENS1_27scan_by_key_config_selectorIitEEZZNS1_16scan_by_key_implILNS1_25lookback_scan_determinismE0ELb1ES3_N6thrust23THRUST_200600_302600_NS6detail15normal_iteratorINS9_10device_ptrIiEEEENSB_INSC_ItEEEESG_tNS9_4plusIvEENS9_8equal_toIvEEtEE10hipError_tPvRmT2_T3_T4_T5_mT6_T7_P12ihipStream_tbENKUlT_T0_E_clISt17integral_constantIbLb0EES10_IbLb1EEEEDaSW_SX_EUlSW_E_NS1_11comp_targetILNS1_3genE5ELNS1_11target_archE942ELNS1_3gpuE9ELNS1_3repE0EEENS1_30default_config_static_selectorELNS0_4arch9wavefront6targetE1EEEvT1_
    .private_segment_fixed_size: 0
    .sgpr_count:     81
    .sgpr_spill_count: 0
    .symbol:         _ZN7rocprim17ROCPRIM_400000_NS6detail17trampoline_kernelINS0_14default_configENS1_27scan_by_key_config_selectorIitEEZZNS1_16scan_by_key_implILNS1_25lookback_scan_determinismE0ELb1ES3_N6thrust23THRUST_200600_302600_NS6detail15normal_iteratorINS9_10device_ptrIiEEEENSB_INSC_ItEEEESG_tNS9_4plusIvEENS9_8equal_toIvEEtEE10hipError_tPvRmT2_T3_T4_T5_mT6_T7_P12ihipStream_tbENKUlT_T0_E_clISt17integral_constantIbLb0EES10_IbLb1EEEEDaSW_SX_EUlSW_E_NS1_11comp_targetILNS1_3genE5ELNS1_11target_archE942ELNS1_3gpuE9ELNS1_3repE0EEENS1_30default_config_static_selectorELNS0_4arch9wavefront6targetE1EEEvT1_.kd
    .uniform_work_group_size: 1
    .uses_dynamic_stack: false
    .vgpr_count:     64
    .vgpr_spill_count: 0
    .wavefront_size: 64
  - .agpr_count:     0
    .args:
      - .offset:         0
        .size:           112
        .value_kind:     by_value
    .group_segment_fixed_size: 0
    .kernarg_segment_align: 8
    .kernarg_segment_size: 112
    .language:       OpenCL C
    .language_version:
      - 2
      - 0
    .max_flat_workgroup_size: 64
    .name:           _ZN7rocprim17ROCPRIM_400000_NS6detail17trampoline_kernelINS0_14default_configENS1_27scan_by_key_config_selectorIitEEZZNS1_16scan_by_key_implILNS1_25lookback_scan_determinismE0ELb1ES3_N6thrust23THRUST_200600_302600_NS6detail15normal_iteratorINS9_10device_ptrIiEEEENSB_INSC_ItEEEESG_tNS9_4plusIvEENS9_8equal_toIvEEtEE10hipError_tPvRmT2_T3_T4_T5_mT6_T7_P12ihipStream_tbENKUlT_T0_E_clISt17integral_constantIbLb0EES10_IbLb1EEEEDaSW_SX_EUlSW_E_NS1_11comp_targetILNS1_3genE4ELNS1_11target_archE910ELNS1_3gpuE8ELNS1_3repE0EEENS1_30default_config_static_selectorELNS0_4arch9wavefront6targetE1EEEvT1_
    .private_segment_fixed_size: 0
    .sgpr_count:     6
    .sgpr_spill_count: 0
    .symbol:         _ZN7rocprim17ROCPRIM_400000_NS6detail17trampoline_kernelINS0_14default_configENS1_27scan_by_key_config_selectorIitEEZZNS1_16scan_by_key_implILNS1_25lookback_scan_determinismE0ELb1ES3_N6thrust23THRUST_200600_302600_NS6detail15normal_iteratorINS9_10device_ptrIiEEEENSB_INSC_ItEEEESG_tNS9_4plusIvEENS9_8equal_toIvEEtEE10hipError_tPvRmT2_T3_T4_T5_mT6_T7_P12ihipStream_tbENKUlT_T0_E_clISt17integral_constantIbLb0EES10_IbLb1EEEEDaSW_SX_EUlSW_E_NS1_11comp_targetILNS1_3genE4ELNS1_11target_archE910ELNS1_3gpuE8ELNS1_3repE0EEENS1_30default_config_static_selectorELNS0_4arch9wavefront6targetE1EEEvT1_.kd
    .uniform_work_group_size: 1
    .uses_dynamic_stack: false
    .vgpr_count:     0
    .vgpr_spill_count: 0
    .wavefront_size: 64
  - .agpr_count:     0
    .args:
      - .offset:         0
        .size:           112
        .value_kind:     by_value
    .group_segment_fixed_size: 0
    .kernarg_segment_align: 8
    .kernarg_segment_size: 112
    .language:       OpenCL C
    .language_version:
      - 2
      - 0
    .max_flat_workgroup_size: 256
    .name:           _ZN7rocprim17ROCPRIM_400000_NS6detail17trampoline_kernelINS0_14default_configENS1_27scan_by_key_config_selectorIitEEZZNS1_16scan_by_key_implILNS1_25lookback_scan_determinismE0ELb1ES3_N6thrust23THRUST_200600_302600_NS6detail15normal_iteratorINS9_10device_ptrIiEEEENSB_INSC_ItEEEESG_tNS9_4plusIvEENS9_8equal_toIvEEtEE10hipError_tPvRmT2_T3_T4_T5_mT6_T7_P12ihipStream_tbENKUlT_T0_E_clISt17integral_constantIbLb0EES10_IbLb1EEEEDaSW_SX_EUlSW_E_NS1_11comp_targetILNS1_3genE3ELNS1_11target_archE908ELNS1_3gpuE7ELNS1_3repE0EEENS1_30default_config_static_selectorELNS0_4arch9wavefront6targetE1EEEvT1_
    .private_segment_fixed_size: 0
    .sgpr_count:     6
    .sgpr_spill_count: 0
    .symbol:         _ZN7rocprim17ROCPRIM_400000_NS6detail17trampoline_kernelINS0_14default_configENS1_27scan_by_key_config_selectorIitEEZZNS1_16scan_by_key_implILNS1_25lookback_scan_determinismE0ELb1ES3_N6thrust23THRUST_200600_302600_NS6detail15normal_iteratorINS9_10device_ptrIiEEEENSB_INSC_ItEEEESG_tNS9_4plusIvEENS9_8equal_toIvEEtEE10hipError_tPvRmT2_T3_T4_T5_mT6_T7_P12ihipStream_tbENKUlT_T0_E_clISt17integral_constantIbLb0EES10_IbLb1EEEEDaSW_SX_EUlSW_E_NS1_11comp_targetILNS1_3genE3ELNS1_11target_archE908ELNS1_3gpuE7ELNS1_3repE0EEENS1_30default_config_static_selectorELNS0_4arch9wavefront6targetE1EEEvT1_.kd
    .uniform_work_group_size: 1
    .uses_dynamic_stack: false
    .vgpr_count:     0
    .vgpr_spill_count: 0
    .wavefront_size: 64
  - .agpr_count:     0
    .args:
      - .offset:         0
        .size:           112
        .value_kind:     by_value
    .group_segment_fixed_size: 0
    .kernarg_segment_align: 8
    .kernarg_segment_size: 112
    .language:       OpenCL C
    .language_version:
      - 2
      - 0
    .max_flat_workgroup_size: 64
    .name:           _ZN7rocprim17ROCPRIM_400000_NS6detail17trampoline_kernelINS0_14default_configENS1_27scan_by_key_config_selectorIitEEZZNS1_16scan_by_key_implILNS1_25lookback_scan_determinismE0ELb1ES3_N6thrust23THRUST_200600_302600_NS6detail15normal_iteratorINS9_10device_ptrIiEEEENSB_INSC_ItEEEESG_tNS9_4plusIvEENS9_8equal_toIvEEtEE10hipError_tPvRmT2_T3_T4_T5_mT6_T7_P12ihipStream_tbENKUlT_T0_E_clISt17integral_constantIbLb0EES10_IbLb1EEEEDaSW_SX_EUlSW_E_NS1_11comp_targetILNS1_3genE2ELNS1_11target_archE906ELNS1_3gpuE6ELNS1_3repE0EEENS1_30default_config_static_selectorELNS0_4arch9wavefront6targetE1EEEvT1_
    .private_segment_fixed_size: 0
    .sgpr_count:     6
    .sgpr_spill_count: 0
    .symbol:         _ZN7rocprim17ROCPRIM_400000_NS6detail17trampoline_kernelINS0_14default_configENS1_27scan_by_key_config_selectorIitEEZZNS1_16scan_by_key_implILNS1_25lookback_scan_determinismE0ELb1ES3_N6thrust23THRUST_200600_302600_NS6detail15normal_iteratorINS9_10device_ptrIiEEEENSB_INSC_ItEEEESG_tNS9_4plusIvEENS9_8equal_toIvEEtEE10hipError_tPvRmT2_T3_T4_T5_mT6_T7_P12ihipStream_tbENKUlT_T0_E_clISt17integral_constantIbLb0EES10_IbLb1EEEEDaSW_SX_EUlSW_E_NS1_11comp_targetILNS1_3genE2ELNS1_11target_archE906ELNS1_3gpuE6ELNS1_3repE0EEENS1_30default_config_static_selectorELNS0_4arch9wavefront6targetE1EEEvT1_.kd
    .uniform_work_group_size: 1
    .uses_dynamic_stack: false
    .vgpr_count:     0
    .vgpr_spill_count: 0
    .wavefront_size: 64
  - .agpr_count:     0
    .args:
      - .offset:         0
        .size:           112
        .value_kind:     by_value
    .group_segment_fixed_size: 0
    .kernarg_segment_align: 8
    .kernarg_segment_size: 112
    .language:       OpenCL C
    .language_version:
      - 2
      - 0
    .max_flat_workgroup_size: 256
    .name:           _ZN7rocprim17ROCPRIM_400000_NS6detail17trampoline_kernelINS0_14default_configENS1_27scan_by_key_config_selectorIitEEZZNS1_16scan_by_key_implILNS1_25lookback_scan_determinismE0ELb1ES3_N6thrust23THRUST_200600_302600_NS6detail15normal_iteratorINS9_10device_ptrIiEEEENSB_INSC_ItEEEESG_tNS9_4plusIvEENS9_8equal_toIvEEtEE10hipError_tPvRmT2_T3_T4_T5_mT6_T7_P12ihipStream_tbENKUlT_T0_E_clISt17integral_constantIbLb0EES10_IbLb1EEEEDaSW_SX_EUlSW_E_NS1_11comp_targetILNS1_3genE10ELNS1_11target_archE1200ELNS1_3gpuE4ELNS1_3repE0EEENS1_30default_config_static_selectorELNS0_4arch9wavefront6targetE1EEEvT1_
    .private_segment_fixed_size: 0
    .sgpr_count:     6
    .sgpr_spill_count: 0
    .symbol:         _ZN7rocprim17ROCPRIM_400000_NS6detail17trampoline_kernelINS0_14default_configENS1_27scan_by_key_config_selectorIitEEZZNS1_16scan_by_key_implILNS1_25lookback_scan_determinismE0ELb1ES3_N6thrust23THRUST_200600_302600_NS6detail15normal_iteratorINS9_10device_ptrIiEEEENSB_INSC_ItEEEESG_tNS9_4plusIvEENS9_8equal_toIvEEtEE10hipError_tPvRmT2_T3_T4_T5_mT6_T7_P12ihipStream_tbENKUlT_T0_E_clISt17integral_constantIbLb0EES10_IbLb1EEEEDaSW_SX_EUlSW_E_NS1_11comp_targetILNS1_3genE10ELNS1_11target_archE1200ELNS1_3gpuE4ELNS1_3repE0EEENS1_30default_config_static_selectorELNS0_4arch9wavefront6targetE1EEEvT1_.kd
    .uniform_work_group_size: 1
    .uses_dynamic_stack: false
    .vgpr_count:     0
    .vgpr_spill_count: 0
    .wavefront_size: 64
  - .agpr_count:     0
    .args:
      - .offset:         0
        .size:           112
        .value_kind:     by_value
    .group_segment_fixed_size: 0
    .kernarg_segment_align: 8
    .kernarg_segment_size: 112
    .language:       OpenCL C
    .language_version:
      - 2
      - 0
    .max_flat_workgroup_size: 64
    .name:           _ZN7rocprim17ROCPRIM_400000_NS6detail17trampoline_kernelINS0_14default_configENS1_27scan_by_key_config_selectorIitEEZZNS1_16scan_by_key_implILNS1_25lookback_scan_determinismE0ELb1ES3_N6thrust23THRUST_200600_302600_NS6detail15normal_iteratorINS9_10device_ptrIiEEEENSB_INSC_ItEEEESG_tNS9_4plusIvEENS9_8equal_toIvEEtEE10hipError_tPvRmT2_T3_T4_T5_mT6_T7_P12ihipStream_tbENKUlT_T0_E_clISt17integral_constantIbLb0EES10_IbLb1EEEEDaSW_SX_EUlSW_E_NS1_11comp_targetILNS1_3genE9ELNS1_11target_archE1100ELNS1_3gpuE3ELNS1_3repE0EEENS1_30default_config_static_selectorELNS0_4arch9wavefront6targetE1EEEvT1_
    .private_segment_fixed_size: 0
    .sgpr_count:     6
    .sgpr_spill_count: 0
    .symbol:         _ZN7rocprim17ROCPRIM_400000_NS6detail17trampoline_kernelINS0_14default_configENS1_27scan_by_key_config_selectorIitEEZZNS1_16scan_by_key_implILNS1_25lookback_scan_determinismE0ELb1ES3_N6thrust23THRUST_200600_302600_NS6detail15normal_iteratorINS9_10device_ptrIiEEEENSB_INSC_ItEEEESG_tNS9_4plusIvEENS9_8equal_toIvEEtEE10hipError_tPvRmT2_T3_T4_T5_mT6_T7_P12ihipStream_tbENKUlT_T0_E_clISt17integral_constantIbLb0EES10_IbLb1EEEEDaSW_SX_EUlSW_E_NS1_11comp_targetILNS1_3genE9ELNS1_11target_archE1100ELNS1_3gpuE3ELNS1_3repE0EEENS1_30default_config_static_selectorELNS0_4arch9wavefront6targetE1EEEvT1_.kd
    .uniform_work_group_size: 1
    .uses_dynamic_stack: false
    .vgpr_count:     0
    .vgpr_spill_count: 0
    .wavefront_size: 64
  - .agpr_count:     0
    .args:
      - .offset:         0
        .size:           112
        .value_kind:     by_value
    .group_segment_fixed_size: 0
    .kernarg_segment_align: 8
    .kernarg_segment_size: 112
    .language:       OpenCL C
    .language_version:
      - 2
      - 0
    .max_flat_workgroup_size: 64
    .name:           _ZN7rocprim17ROCPRIM_400000_NS6detail17trampoline_kernelINS0_14default_configENS1_27scan_by_key_config_selectorIitEEZZNS1_16scan_by_key_implILNS1_25lookback_scan_determinismE0ELb1ES3_N6thrust23THRUST_200600_302600_NS6detail15normal_iteratorINS9_10device_ptrIiEEEENSB_INSC_ItEEEESG_tNS9_4plusIvEENS9_8equal_toIvEEtEE10hipError_tPvRmT2_T3_T4_T5_mT6_T7_P12ihipStream_tbENKUlT_T0_E_clISt17integral_constantIbLb0EES10_IbLb1EEEEDaSW_SX_EUlSW_E_NS1_11comp_targetILNS1_3genE8ELNS1_11target_archE1030ELNS1_3gpuE2ELNS1_3repE0EEENS1_30default_config_static_selectorELNS0_4arch9wavefront6targetE1EEEvT1_
    .private_segment_fixed_size: 0
    .sgpr_count:     6
    .sgpr_spill_count: 0
    .symbol:         _ZN7rocprim17ROCPRIM_400000_NS6detail17trampoline_kernelINS0_14default_configENS1_27scan_by_key_config_selectorIitEEZZNS1_16scan_by_key_implILNS1_25lookback_scan_determinismE0ELb1ES3_N6thrust23THRUST_200600_302600_NS6detail15normal_iteratorINS9_10device_ptrIiEEEENSB_INSC_ItEEEESG_tNS9_4plusIvEENS9_8equal_toIvEEtEE10hipError_tPvRmT2_T3_T4_T5_mT6_T7_P12ihipStream_tbENKUlT_T0_E_clISt17integral_constantIbLb0EES10_IbLb1EEEEDaSW_SX_EUlSW_E_NS1_11comp_targetILNS1_3genE8ELNS1_11target_archE1030ELNS1_3gpuE2ELNS1_3repE0EEENS1_30default_config_static_selectorELNS0_4arch9wavefront6targetE1EEEvT1_.kd
    .uniform_work_group_size: 1
    .uses_dynamic_stack: false
    .vgpr_count:     0
    .vgpr_spill_count: 0
    .wavefront_size: 64
  - .agpr_count:     0
    .args:
      - .offset:         0
        .size:           136
        .value_kind:     by_value
    .group_segment_fixed_size: 0
    .kernarg_segment_align: 8
    .kernarg_segment_size: 136
    .language:       OpenCL C
    .language_version:
      - 2
      - 0
    .max_flat_workgroup_size: 128
    .name:           _ZN7rocprim17ROCPRIM_400000_NS6detail17trampoline_kernelINS0_14default_configENS1_27scan_by_key_config_selectorIixEEZZNS1_16scan_by_key_implILNS1_25lookback_scan_determinismE0ELb1ES3_N6thrust23THRUST_200600_302600_NS6detail15normal_iteratorINS9_10device_ptrIiEEEENSB_INSC_IxEEEESG_xNS9_4plusIvEENS9_8equal_toIvEExEE10hipError_tPvRmT2_T3_T4_T5_mT6_T7_P12ihipStream_tbENKUlT_T0_E_clISt17integral_constantIbLb0EES11_EEDaSW_SX_EUlSW_E_NS1_11comp_targetILNS1_3genE0ELNS1_11target_archE4294967295ELNS1_3gpuE0ELNS1_3repE0EEENS1_30default_config_static_selectorELNS0_4arch9wavefront6targetE1EEEvT1_
    .private_segment_fixed_size: 0
    .sgpr_count:     6
    .sgpr_spill_count: 0
    .symbol:         _ZN7rocprim17ROCPRIM_400000_NS6detail17trampoline_kernelINS0_14default_configENS1_27scan_by_key_config_selectorIixEEZZNS1_16scan_by_key_implILNS1_25lookback_scan_determinismE0ELb1ES3_N6thrust23THRUST_200600_302600_NS6detail15normal_iteratorINS9_10device_ptrIiEEEENSB_INSC_IxEEEESG_xNS9_4plusIvEENS9_8equal_toIvEExEE10hipError_tPvRmT2_T3_T4_T5_mT6_T7_P12ihipStream_tbENKUlT_T0_E_clISt17integral_constantIbLb0EES11_EEDaSW_SX_EUlSW_E_NS1_11comp_targetILNS1_3genE0ELNS1_11target_archE4294967295ELNS1_3gpuE0ELNS1_3repE0EEENS1_30default_config_static_selectorELNS0_4arch9wavefront6targetE1EEEvT1_.kd
    .uniform_work_group_size: 1
    .uses_dynamic_stack: false
    .vgpr_count:     0
    .vgpr_spill_count: 0
    .wavefront_size: 64
  - .agpr_count:     0
    .args:
      - .offset:         0
        .size:           136
        .value_kind:     by_value
    .group_segment_fixed_size: 0
    .kernarg_segment_align: 8
    .kernarg_segment_size: 136
    .language:       OpenCL C
    .language_version:
      - 2
      - 0
    .max_flat_workgroup_size: 256
    .name:           _ZN7rocprim17ROCPRIM_400000_NS6detail17trampoline_kernelINS0_14default_configENS1_27scan_by_key_config_selectorIixEEZZNS1_16scan_by_key_implILNS1_25lookback_scan_determinismE0ELb1ES3_N6thrust23THRUST_200600_302600_NS6detail15normal_iteratorINS9_10device_ptrIiEEEENSB_INSC_IxEEEESG_xNS9_4plusIvEENS9_8equal_toIvEExEE10hipError_tPvRmT2_T3_T4_T5_mT6_T7_P12ihipStream_tbENKUlT_T0_E_clISt17integral_constantIbLb0EES11_EEDaSW_SX_EUlSW_E_NS1_11comp_targetILNS1_3genE10ELNS1_11target_archE1201ELNS1_3gpuE5ELNS1_3repE0EEENS1_30default_config_static_selectorELNS0_4arch9wavefront6targetE1EEEvT1_
    .private_segment_fixed_size: 0
    .sgpr_count:     6
    .sgpr_spill_count: 0
    .symbol:         _ZN7rocprim17ROCPRIM_400000_NS6detail17trampoline_kernelINS0_14default_configENS1_27scan_by_key_config_selectorIixEEZZNS1_16scan_by_key_implILNS1_25lookback_scan_determinismE0ELb1ES3_N6thrust23THRUST_200600_302600_NS6detail15normal_iteratorINS9_10device_ptrIiEEEENSB_INSC_IxEEEESG_xNS9_4plusIvEENS9_8equal_toIvEExEE10hipError_tPvRmT2_T3_T4_T5_mT6_T7_P12ihipStream_tbENKUlT_T0_E_clISt17integral_constantIbLb0EES11_EEDaSW_SX_EUlSW_E_NS1_11comp_targetILNS1_3genE10ELNS1_11target_archE1201ELNS1_3gpuE5ELNS1_3repE0EEENS1_30default_config_static_selectorELNS0_4arch9wavefront6targetE1EEEvT1_.kd
    .uniform_work_group_size: 1
    .uses_dynamic_stack: false
    .vgpr_count:     0
    .vgpr_spill_count: 0
    .wavefront_size: 64
  - .agpr_count:     0
    .args:
      - .offset:         0
        .size:           136
        .value_kind:     by_value
    .group_segment_fixed_size: 43008
    .kernarg_segment_align: 8
    .kernarg_segment_size: 136
    .language:       OpenCL C
    .language_version:
      - 2
      - 0
    .max_flat_workgroup_size: 256
    .name:           _ZN7rocprim17ROCPRIM_400000_NS6detail17trampoline_kernelINS0_14default_configENS1_27scan_by_key_config_selectorIixEEZZNS1_16scan_by_key_implILNS1_25lookback_scan_determinismE0ELb1ES3_N6thrust23THRUST_200600_302600_NS6detail15normal_iteratorINS9_10device_ptrIiEEEENSB_INSC_IxEEEESG_xNS9_4plusIvEENS9_8equal_toIvEExEE10hipError_tPvRmT2_T3_T4_T5_mT6_T7_P12ihipStream_tbENKUlT_T0_E_clISt17integral_constantIbLb0EES11_EEDaSW_SX_EUlSW_E_NS1_11comp_targetILNS1_3genE5ELNS1_11target_archE942ELNS1_3gpuE9ELNS1_3repE0EEENS1_30default_config_static_selectorELNS0_4arch9wavefront6targetE1EEEvT1_
    .private_segment_fixed_size: 0
    .sgpr_count:     84
    .sgpr_spill_count: 0
    .symbol:         _ZN7rocprim17ROCPRIM_400000_NS6detail17trampoline_kernelINS0_14default_configENS1_27scan_by_key_config_selectorIixEEZZNS1_16scan_by_key_implILNS1_25lookback_scan_determinismE0ELb1ES3_N6thrust23THRUST_200600_302600_NS6detail15normal_iteratorINS9_10device_ptrIiEEEENSB_INSC_IxEEEESG_xNS9_4plusIvEENS9_8equal_toIvEExEE10hipError_tPvRmT2_T3_T4_T5_mT6_T7_P12ihipStream_tbENKUlT_T0_E_clISt17integral_constantIbLb0EES11_EEDaSW_SX_EUlSW_E_NS1_11comp_targetILNS1_3genE5ELNS1_11target_archE942ELNS1_3gpuE9ELNS1_3repE0EEENS1_30default_config_static_selectorELNS0_4arch9wavefront6targetE1EEEvT1_.kd
    .uniform_work_group_size: 1
    .uses_dynamic_stack: false
    .vgpr_count:     126
    .vgpr_spill_count: 0
    .wavefront_size: 64
  - .agpr_count:     0
    .args:
      - .offset:         0
        .size:           136
        .value_kind:     by_value
    .group_segment_fixed_size: 0
    .kernarg_segment_align: 8
    .kernarg_segment_size: 136
    .language:       OpenCL C
    .language_version:
      - 2
      - 0
    .max_flat_workgroup_size: 64
    .name:           _ZN7rocprim17ROCPRIM_400000_NS6detail17trampoline_kernelINS0_14default_configENS1_27scan_by_key_config_selectorIixEEZZNS1_16scan_by_key_implILNS1_25lookback_scan_determinismE0ELb1ES3_N6thrust23THRUST_200600_302600_NS6detail15normal_iteratorINS9_10device_ptrIiEEEENSB_INSC_IxEEEESG_xNS9_4plusIvEENS9_8equal_toIvEExEE10hipError_tPvRmT2_T3_T4_T5_mT6_T7_P12ihipStream_tbENKUlT_T0_E_clISt17integral_constantIbLb0EES11_EEDaSW_SX_EUlSW_E_NS1_11comp_targetILNS1_3genE4ELNS1_11target_archE910ELNS1_3gpuE8ELNS1_3repE0EEENS1_30default_config_static_selectorELNS0_4arch9wavefront6targetE1EEEvT1_
    .private_segment_fixed_size: 0
    .sgpr_count:     6
    .sgpr_spill_count: 0
    .symbol:         _ZN7rocprim17ROCPRIM_400000_NS6detail17trampoline_kernelINS0_14default_configENS1_27scan_by_key_config_selectorIixEEZZNS1_16scan_by_key_implILNS1_25lookback_scan_determinismE0ELb1ES3_N6thrust23THRUST_200600_302600_NS6detail15normal_iteratorINS9_10device_ptrIiEEEENSB_INSC_IxEEEESG_xNS9_4plusIvEENS9_8equal_toIvEExEE10hipError_tPvRmT2_T3_T4_T5_mT6_T7_P12ihipStream_tbENKUlT_T0_E_clISt17integral_constantIbLb0EES11_EEDaSW_SX_EUlSW_E_NS1_11comp_targetILNS1_3genE4ELNS1_11target_archE910ELNS1_3gpuE8ELNS1_3repE0EEENS1_30default_config_static_selectorELNS0_4arch9wavefront6targetE1EEEvT1_.kd
    .uniform_work_group_size: 1
    .uses_dynamic_stack: false
    .vgpr_count:     0
    .vgpr_spill_count: 0
    .wavefront_size: 64
  - .agpr_count:     0
    .args:
      - .offset:         0
        .size:           136
        .value_kind:     by_value
    .group_segment_fixed_size: 0
    .kernarg_segment_align: 8
    .kernarg_segment_size: 136
    .language:       OpenCL C
    .language_version:
      - 2
      - 0
    .max_flat_workgroup_size: 128
    .name:           _ZN7rocprim17ROCPRIM_400000_NS6detail17trampoline_kernelINS0_14default_configENS1_27scan_by_key_config_selectorIixEEZZNS1_16scan_by_key_implILNS1_25lookback_scan_determinismE0ELb1ES3_N6thrust23THRUST_200600_302600_NS6detail15normal_iteratorINS9_10device_ptrIiEEEENSB_INSC_IxEEEESG_xNS9_4plusIvEENS9_8equal_toIvEExEE10hipError_tPvRmT2_T3_T4_T5_mT6_T7_P12ihipStream_tbENKUlT_T0_E_clISt17integral_constantIbLb0EES11_EEDaSW_SX_EUlSW_E_NS1_11comp_targetILNS1_3genE3ELNS1_11target_archE908ELNS1_3gpuE7ELNS1_3repE0EEENS1_30default_config_static_selectorELNS0_4arch9wavefront6targetE1EEEvT1_
    .private_segment_fixed_size: 0
    .sgpr_count:     6
    .sgpr_spill_count: 0
    .symbol:         _ZN7rocprim17ROCPRIM_400000_NS6detail17trampoline_kernelINS0_14default_configENS1_27scan_by_key_config_selectorIixEEZZNS1_16scan_by_key_implILNS1_25lookback_scan_determinismE0ELb1ES3_N6thrust23THRUST_200600_302600_NS6detail15normal_iteratorINS9_10device_ptrIiEEEENSB_INSC_IxEEEESG_xNS9_4plusIvEENS9_8equal_toIvEExEE10hipError_tPvRmT2_T3_T4_T5_mT6_T7_P12ihipStream_tbENKUlT_T0_E_clISt17integral_constantIbLb0EES11_EEDaSW_SX_EUlSW_E_NS1_11comp_targetILNS1_3genE3ELNS1_11target_archE908ELNS1_3gpuE7ELNS1_3repE0EEENS1_30default_config_static_selectorELNS0_4arch9wavefront6targetE1EEEvT1_.kd
    .uniform_work_group_size: 1
    .uses_dynamic_stack: false
    .vgpr_count:     0
    .vgpr_spill_count: 0
    .wavefront_size: 64
  - .agpr_count:     0
    .args:
      - .offset:         0
        .size:           136
        .value_kind:     by_value
    .group_segment_fixed_size: 0
    .kernarg_segment_align: 8
    .kernarg_segment_size: 136
    .language:       OpenCL C
    .language_version:
      - 2
      - 0
    .max_flat_workgroup_size: 64
    .name:           _ZN7rocprim17ROCPRIM_400000_NS6detail17trampoline_kernelINS0_14default_configENS1_27scan_by_key_config_selectorIixEEZZNS1_16scan_by_key_implILNS1_25lookback_scan_determinismE0ELb1ES3_N6thrust23THRUST_200600_302600_NS6detail15normal_iteratorINS9_10device_ptrIiEEEENSB_INSC_IxEEEESG_xNS9_4plusIvEENS9_8equal_toIvEExEE10hipError_tPvRmT2_T3_T4_T5_mT6_T7_P12ihipStream_tbENKUlT_T0_E_clISt17integral_constantIbLb0EES11_EEDaSW_SX_EUlSW_E_NS1_11comp_targetILNS1_3genE2ELNS1_11target_archE906ELNS1_3gpuE6ELNS1_3repE0EEENS1_30default_config_static_selectorELNS0_4arch9wavefront6targetE1EEEvT1_
    .private_segment_fixed_size: 0
    .sgpr_count:     6
    .sgpr_spill_count: 0
    .symbol:         _ZN7rocprim17ROCPRIM_400000_NS6detail17trampoline_kernelINS0_14default_configENS1_27scan_by_key_config_selectorIixEEZZNS1_16scan_by_key_implILNS1_25lookback_scan_determinismE0ELb1ES3_N6thrust23THRUST_200600_302600_NS6detail15normal_iteratorINS9_10device_ptrIiEEEENSB_INSC_IxEEEESG_xNS9_4plusIvEENS9_8equal_toIvEExEE10hipError_tPvRmT2_T3_T4_T5_mT6_T7_P12ihipStream_tbENKUlT_T0_E_clISt17integral_constantIbLb0EES11_EEDaSW_SX_EUlSW_E_NS1_11comp_targetILNS1_3genE2ELNS1_11target_archE906ELNS1_3gpuE6ELNS1_3repE0EEENS1_30default_config_static_selectorELNS0_4arch9wavefront6targetE1EEEvT1_.kd
    .uniform_work_group_size: 1
    .uses_dynamic_stack: false
    .vgpr_count:     0
    .vgpr_spill_count: 0
    .wavefront_size: 64
  - .agpr_count:     0
    .args:
      - .offset:         0
        .size:           136
        .value_kind:     by_value
    .group_segment_fixed_size: 0
    .kernarg_segment_align: 8
    .kernarg_segment_size: 136
    .language:       OpenCL C
    .language_version:
      - 2
      - 0
    .max_flat_workgroup_size: 256
    .name:           _ZN7rocprim17ROCPRIM_400000_NS6detail17trampoline_kernelINS0_14default_configENS1_27scan_by_key_config_selectorIixEEZZNS1_16scan_by_key_implILNS1_25lookback_scan_determinismE0ELb1ES3_N6thrust23THRUST_200600_302600_NS6detail15normal_iteratorINS9_10device_ptrIiEEEENSB_INSC_IxEEEESG_xNS9_4plusIvEENS9_8equal_toIvEExEE10hipError_tPvRmT2_T3_T4_T5_mT6_T7_P12ihipStream_tbENKUlT_T0_E_clISt17integral_constantIbLb0EES11_EEDaSW_SX_EUlSW_E_NS1_11comp_targetILNS1_3genE10ELNS1_11target_archE1200ELNS1_3gpuE4ELNS1_3repE0EEENS1_30default_config_static_selectorELNS0_4arch9wavefront6targetE1EEEvT1_
    .private_segment_fixed_size: 0
    .sgpr_count:     6
    .sgpr_spill_count: 0
    .symbol:         _ZN7rocprim17ROCPRIM_400000_NS6detail17trampoline_kernelINS0_14default_configENS1_27scan_by_key_config_selectorIixEEZZNS1_16scan_by_key_implILNS1_25lookback_scan_determinismE0ELb1ES3_N6thrust23THRUST_200600_302600_NS6detail15normal_iteratorINS9_10device_ptrIiEEEENSB_INSC_IxEEEESG_xNS9_4plusIvEENS9_8equal_toIvEExEE10hipError_tPvRmT2_T3_T4_T5_mT6_T7_P12ihipStream_tbENKUlT_T0_E_clISt17integral_constantIbLb0EES11_EEDaSW_SX_EUlSW_E_NS1_11comp_targetILNS1_3genE10ELNS1_11target_archE1200ELNS1_3gpuE4ELNS1_3repE0EEENS1_30default_config_static_selectorELNS0_4arch9wavefront6targetE1EEEvT1_.kd
    .uniform_work_group_size: 1
    .uses_dynamic_stack: false
    .vgpr_count:     0
    .vgpr_spill_count: 0
    .wavefront_size: 64
  - .agpr_count:     0
    .args:
      - .offset:         0
        .size:           136
        .value_kind:     by_value
    .group_segment_fixed_size: 0
    .kernarg_segment_align: 8
    .kernarg_segment_size: 136
    .language:       OpenCL C
    .language_version:
      - 2
      - 0
    .max_flat_workgroup_size: 256
    .name:           _ZN7rocprim17ROCPRIM_400000_NS6detail17trampoline_kernelINS0_14default_configENS1_27scan_by_key_config_selectorIixEEZZNS1_16scan_by_key_implILNS1_25lookback_scan_determinismE0ELb1ES3_N6thrust23THRUST_200600_302600_NS6detail15normal_iteratorINS9_10device_ptrIiEEEENSB_INSC_IxEEEESG_xNS9_4plusIvEENS9_8equal_toIvEExEE10hipError_tPvRmT2_T3_T4_T5_mT6_T7_P12ihipStream_tbENKUlT_T0_E_clISt17integral_constantIbLb0EES11_EEDaSW_SX_EUlSW_E_NS1_11comp_targetILNS1_3genE9ELNS1_11target_archE1100ELNS1_3gpuE3ELNS1_3repE0EEENS1_30default_config_static_selectorELNS0_4arch9wavefront6targetE1EEEvT1_
    .private_segment_fixed_size: 0
    .sgpr_count:     6
    .sgpr_spill_count: 0
    .symbol:         _ZN7rocprim17ROCPRIM_400000_NS6detail17trampoline_kernelINS0_14default_configENS1_27scan_by_key_config_selectorIixEEZZNS1_16scan_by_key_implILNS1_25lookback_scan_determinismE0ELb1ES3_N6thrust23THRUST_200600_302600_NS6detail15normal_iteratorINS9_10device_ptrIiEEEENSB_INSC_IxEEEESG_xNS9_4plusIvEENS9_8equal_toIvEExEE10hipError_tPvRmT2_T3_T4_T5_mT6_T7_P12ihipStream_tbENKUlT_T0_E_clISt17integral_constantIbLb0EES11_EEDaSW_SX_EUlSW_E_NS1_11comp_targetILNS1_3genE9ELNS1_11target_archE1100ELNS1_3gpuE3ELNS1_3repE0EEENS1_30default_config_static_selectorELNS0_4arch9wavefront6targetE1EEEvT1_.kd
    .uniform_work_group_size: 1
    .uses_dynamic_stack: false
    .vgpr_count:     0
    .vgpr_spill_count: 0
    .wavefront_size: 64
  - .agpr_count:     0
    .args:
      - .offset:         0
        .size:           136
        .value_kind:     by_value
    .group_segment_fixed_size: 0
    .kernarg_segment_align: 8
    .kernarg_segment_size: 136
    .language:       OpenCL C
    .language_version:
      - 2
      - 0
    .max_flat_workgroup_size: 256
    .name:           _ZN7rocprim17ROCPRIM_400000_NS6detail17trampoline_kernelINS0_14default_configENS1_27scan_by_key_config_selectorIixEEZZNS1_16scan_by_key_implILNS1_25lookback_scan_determinismE0ELb1ES3_N6thrust23THRUST_200600_302600_NS6detail15normal_iteratorINS9_10device_ptrIiEEEENSB_INSC_IxEEEESG_xNS9_4plusIvEENS9_8equal_toIvEExEE10hipError_tPvRmT2_T3_T4_T5_mT6_T7_P12ihipStream_tbENKUlT_T0_E_clISt17integral_constantIbLb0EES11_EEDaSW_SX_EUlSW_E_NS1_11comp_targetILNS1_3genE8ELNS1_11target_archE1030ELNS1_3gpuE2ELNS1_3repE0EEENS1_30default_config_static_selectorELNS0_4arch9wavefront6targetE1EEEvT1_
    .private_segment_fixed_size: 0
    .sgpr_count:     6
    .sgpr_spill_count: 0
    .symbol:         _ZN7rocprim17ROCPRIM_400000_NS6detail17trampoline_kernelINS0_14default_configENS1_27scan_by_key_config_selectorIixEEZZNS1_16scan_by_key_implILNS1_25lookback_scan_determinismE0ELb1ES3_N6thrust23THRUST_200600_302600_NS6detail15normal_iteratorINS9_10device_ptrIiEEEENSB_INSC_IxEEEESG_xNS9_4plusIvEENS9_8equal_toIvEExEE10hipError_tPvRmT2_T3_T4_T5_mT6_T7_P12ihipStream_tbENKUlT_T0_E_clISt17integral_constantIbLb0EES11_EEDaSW_SX_EUlSW_E_NS1_11comp_targetILNS1_3genE8ELNS1_11target_archE1030ELNS1_3gpuE2ELNS1_3repE0EEENS1_30default_config_static_selectorELNS0_4arch9wavefront6targetE1EEEvT1_.kd
    .uniform_work_group_size: 1
    .uses_dynamic_stack: false
    .vgpr_count:     0
    .vgpr_spill_count: 0
    .wavefront_size: 64
  - .agpr_count:     0
    .args:
      - .offset:         0
        .size:           136
        .value_kind:     by_value
    .group_segment_fixed_size: 0
    .kernarg_segment_align: 8
    .kernarg_segment_size: 136
    .language:       OpenCL C
    .language_version:
      - 2
      - 0
    .max_flat_workgroup_size: 128
    .name:           _ZN7rocprim17ROCPRIM_400000_NS6detail17trampoline_kernelINS0_14default_configENS1_27scan_by_key_config_selectorIixEEZZNS1_16scan_by_key_implILNS1_25lookback_scan_determinismE0ELb1ES3_N6thrust23THRUST_200600_302600_NS6detail15normal_iteratorINS9_10device_ptrIiEEEENSB_INSC_IxEEEESG_xNS9_4plusIvEENS9_8equal_toIvEExEE10hipError_tPvRmT2_T3_T4_T5_mT6_T7_P12ihipStream_tbENKUlT_T0_E_clISt17integral_constantIbLb1EES11_EEDaSW_SX_EUlSW_E_NS1_11comp_targetILNS1_3genE0ELNS1_11target_archE4294967295ELNS1_3gpuE0ELNS1_3repE0EEENS1_30default_config_static_selectorELNS0_4arch9wavefront6targetE1EEEvT1_
    .private_segment_fixed_size: 0
    .sgpr_count:     6
    .sgpr_spill_count: 0
    .symbol:         _ZN7rocprim17ROCPRIM_400000_NS6detail17trampoline_kernelINS0_14default_configENS1_27scan_by_key_config_selectorIixEEZZNS1_16scan_by_key_implILNS1_25lookback_scan_determinismE0ELb1ES3_N6thrust23THRUST_200600_302600_NS6detail15normal_iteratorINS9_10device_ptrIiEEEENSB_INSC_IxEEEESG_xNS9_4plusIvEENS9_8equal_toIvEExEE10hipError_tPvRmT2_T3_T4_T5_mT6_T7_P12ihipStream_tbENKUlT_T0_E_clISt17integral_constantIbLb1EES11_EEDaSW_SX_EUlSW_E_NS1_11comp_targetILNS1_3genE0ELNS1_11target_archE4294967295ELNS1_3gpuE0ELNS1_3repE0EEENS1_30default_config_static_selectorELNS0_4arch9wavefront6targetE1EEEvT1_.kd
    .uniform_work_group_size: 1
    .uses_dynamic_stack: false
    .vgpr_count:     0
    .vgpr_spill_count: 0
    .wavefront_size: 64
  - .agpr_count:     0
    .args:
      - .offset:         0
        .size:           136
        .value_kind:     by_value
    .group_segment_fixed_size: 0
    .kernarg_segment_align: 8
    .kernarg_segment_size: 136
    .language:       OpenCL C
    .language_version:
      - 2
      - 0
    .max_flat_workgroup_size: 256
    .name:           _ZN7rocprim17ROCPRIM_400000_NS6detail17trampoline_kernelINS0_14default_configENS1_27scan_by_key_config_selectorIixEEZZNS1_16scan_by_key_implILNS1_25lookback_scan_determinismE0ELb1ES3_N6thrust23THRUST_200600_302600_NS6detail15normal_iteratorINS9_10device_ptrIiEEEENSB_INSC_IxEEEESG_xNS9_4plusIvEENS9_8equal_toIvEExEE10hipError_tPvRmT2_T3_T4_T5_mT6_T7_P12ihipStream_tbENKUlT_T0_E_clISt17integral_constantIbLb1EES11_EEDaSW_SX_EUlSW_E_NS1_11comp_targetILNS1_3genE10ELNS1_11target_archE1201ELNS1_3gpuE5ELNS1_3repE0EEENS1_30default_config_static_selectorELNS0_4arch9wavefront6targetE1EEEvT1_
    .private_segment_fixed_size: 0
    .sgpr_count:     6
    .sgpr_spill_count: 0
    .symbol:         _ZN7rocprim17ROCPRIM_400000_NS6detail17trampoline_kernelINS0_14default_configENS1_27scan_by_key_config_selectorIixEEZZNS1_16scan_by_key_implILNS1_25lookback_scan_determinismE0ELb1ES3_N6thrust23THRUST_200600_302600_NS6detail15normal_iteratorINS9_10device_ptrIiEEEENSB_INSC_IxEEEESG_xNS9_4plusIvEENS9_8equal_toIvEExEE10hipError_tPvRmT2_T3_T4_T5_mT6_T7_P12ihipStream_tbENKUlT_T0_E_clISt17integral_constantIbLb1EES11_EEDaSW_SX_EUlSW_E_NS1_11comp_targetILNS1_3genE10ELNS1_11target_archE1201ELNS1_3gpuE5ELNS1_3repE0EEENS1_30default_config_static_selectorELNS0_4arch9wavefront6targetE1EEEvT1_.kd
    .uniform_work_group_size: 1
    .uses_dynamic_stack: false
    .vgpr_count:     0
    .vgpr_spill_count: 0
    .wavefront_size: 64
  - .agpr_count:     0
    .args:
      - .offset:         0
        .size:           136
        .value_kind:     by_value
    .group_segment_fixed_size: 43008
    .kernarg_segment_align: 8
    .kernarg_segment_size: 136
    .language:       OpenCL C
    .language_version:
      - 2
      - 0
    .max_flat_workgroup_size: 256
    .name:           _ZN7rocprim17ROCPRIM_400000_NS6detail17trampoline_kernelINS0_14default_configENS1_27scan_by_key_config_selectorIixEEZZNS1_16scan_by_key_implILNS1_25lookback_scan_determinismE0ELb1ES3_N6thrust23THRUST_200600_302600_NS6detail15normal_iteratorINS9_10device_ptrIiEEEENSB_INSC_IxEEEESG_xNS9_4plusIvEENS9_8equal_toIvEExEE10hipError_tPvRmT2_T3_T4_T5_mT6_T7_P12ihipStream_tbENKUlT_T0_E_clISt17integral_constantIbLb1EES11_EEDaSW_SX_EUlSW_E_NS1_11comp_targetILNS1_3genE5ELNS1_11target_archE942ELNS1_3gpuE9ELNS1_3repE0EEENS1_30default_config_static_selectorELNS0_4arch9wavefront6targetE1EEEvT1_
    .private_segment_fixed_size: 0
    .sgpr_count:     80
    .sgpr_spill_count: 0
    .symbol:         _ZN7rocprim17ROCPRIM_400000_NS6detail17trampoline_kernelINS0_14default_configENS1_27scan_by_key_config_selectorIixEEZZNS1_16scan_by_key_implILNS1_25lookback_scan_determinismE0ELb1ES3_N6thrust23THRUST_200600_302600_NS6detail15normal_iteratorINS9_10device_ptrIiEEEENSB_INSC_IxEEEESG_xNS9_4plusIvEENS9_8equal_toIvEExEE10hipError_tPvRmT2_T3_T4_T5_mT6_T7_P12ihipStream_tbENKUlT_T0_E_clISt17integral_constantIbLb1EES11_EEDaSW_SX_EUlSW_E_NS1_11comp_targetILNS1_3genE5ELNS1_11target_archE942ELNS1_3gpuE9ELNS1_3repE0EEENS1_30default_config_static_selectorELNS0_4arch9wavefront6targetE1EEEvT1_.kd
    .uniform_work_group_size: 1
    .uses_dynamic_stack: false
    .vgpr_count:     128
    .vgpr_spill_count: 0
    .wavefront_size: 64
  - .agpr_count:     0
    .args:
      - .offset:         0
        .size:           136
        .value_kind:     by_value
    .group_segment_fixed_size: 0
    .kernarg_segment_align: 8
    .kernarg_segment_size: 136
    .language:       OpenCL C
    .language_version:
      - 2
      - 0
    .max_flat_workgroup_size: 64
    .name:           _ZN7rocprim17ROCPRIM_400000_NS6detail17trampoline_kernelINS0_14default_configENS1_27scan_by_key_config_selectorIixEEZZNS1_16scan_by_key_implILNS1_25lookback_scan_determinismE0ELb1ES3_N6thrust23THRUST_200600_302600_NS6detail15normal_iteratorINS9_10device_ptrIiEEEENSB_INSC_IxEEEESG_xNS9_4plusIvEENS9_8equal_toIvEExEE10hipError_tPvRmT2_T3_T4_T5_mT6_T7_P12ihipStream_tbENKUlT_T0_E_clISt17integral_constantIbLb1EES11_EEDaSW_SX_EUlSW_E_NS1_11comp_targetILNS1_3genE4ELNS1_11target_archE910ELNS1_3gpuE8ELNS1_3repE0EEENS1_30default_config_static_selectorELNS0_4arch9wavefront6targetE1EEEvT1_
    .private_segment_fixed_size: 0
    .sgpr_count:     6
    .sgpr_spill_count: 0
    .symbol:         _ZN7rocprim17ROCPRIM_400000_NS6detail17trampoline_kernelINS0_14default_configENS1_27scan_by_key_config_selectorIixEEZZNS1_16scan_by_key_implILNS1_25lookback_scan_determinismE0ELb1ES3_N6thrust23THRUST_200600_302600_NS6detail15normal_iteratorINS9_10device_ptrIiEEEENSB_INSC_IxEEEESG_xNS9_4plusIvEENS9_8equal_toIvEExEE10hipError_tPvRmT2_T3_T4_T5_mT6_T7_P12ihipStream_tbENKUlT_T0_E_clISt17integral_constantIbLb1EES11_EEDaSW_SX_EUlSW_E_NS1_11comp_targetILNS1_3genE4ELNS1_11target_archE910ELNS1_3gpuE8ELNS1_3repE0EEENS1_30default_config_static_selectorELNS0_4arch9wavefront6targetE1EEEvT1_.kd
    .uniform_work_group_size: 1
    .uses_dynamic_stack: false
    .vgpr_count:     0
    .vgpr_spill_count: 0
    .wavefront_size: 64
  - .agpr_count:     0
    .args:
      - .offset:         0
        .size:           136
        .value_kind:     by_value
    .group_segment_fixed_size: 0
    .kernarg_segment_align: 8
    .kernarg_segment_size: 136
    .language:       OpenCL C
    .language_version:
      - 2
      - 0
    .max_flat_workgroup_size: 128
    .name:           _ZN7rocprim17ROCPRIM_400000_NS6detail17trampoline_kernelINS0_14default_configENS1_27scan_by_key_config_selectorIixEEZZNS1_16scan_by_key_implILNS1_25lookback_scan_determinismE0ELb1ES3_N6thrust23THRUST_200600_302600_NS6detail15normal_iteratorINS9_10device_ptrIiEEEENSB_INSC_IxEEEESG_xNS9_4plusIvEENS9_8equal_toIvEExEE10hipError_tPvRmT2_T3_T4_T5_mT6_T7_P12ihipStream_tbENKUlT_T0_E_clISt17integral_constantIbLb1EES11_EEDaSW_SX_EUlSW_E_NS1_11comp_targetILNS1_3genE3ELNS1_11target_archE908ELNS1_3gpuE7ELNS1_3repE0EEENS1_30default_config_static_selectorELNS0_4arch9wavefront6targetE1EEEvT1_
    .private_segment_fixed_size: 0
    .sgpr_count:     6
    .sgpr_spill_count: 0
    .symbol:         _ZN7rocprim17ROCPRIM_400000_NS6detail17trampoline_kernelINS0_14default_configENS1_27scan_by_key_config_selectorIixEEZZNS1_16scan_by_key_implILNS1_25lookback_scan_determinismE0ELb1ES3_N6thrust23THRUST_200600_302600_NS6detail15normal_iteratorINS9_10device_ptrIiEEEENSB_INSC_IxEEEESG_xNS9_4plusIvEENS9_8equal_toIvEExEE10hipError_tPvRmT2_T3_T4_T5_mT6_T7_P12ihipStream_tbENKUlT_T0_E_clISt17integral_constantIbLb1EES11_EEDaSW_SX_EUlSW_E_NS1_11comp_targetILNS1_3genE3ELNS1_11target_archE908ELNS1_3gpuE7ELNS1_3repE0EEENS1_30default_config_static_selectorELNS0_4arch9wavefront6targetE1EEEvT1_.kd
    .uniform_work_group_size: 1
    .uses_dynamic_stack: false
    .vgpr_count:     0
    .vgpr_spill_count: 0
    .wavefront_size: 64
  - .agpr_count:     0
    .args:
      - .offset:         0
        .size:           136
        .value_kind:     by_value
    .group_segment_fixed_size: 0
    .kernarg_segment_align: 8
    .kernarg_segment_size: 136
    .language:       OpenCL C
    .language_version:
      - 2
      - 0
    .max_flat_workgroup_size: 64
    .name:           _ZN7rocprim17ROCPRIM_400000_NS6detail17trampoline_kernelINS0_14default_configENS1_27scan_by_key_config_selectorIixEEZZNS1_16scan_by_key_implILNS1_25lookback_scan_determinismE0ELb1ES3_N6thrust23THRUST_200600_302600_NS6detail15normal_iteratorINS9_10device_ptrIiEEEENSB_INSC_IxEEEESG_xNS9_4plusIvEENS9_8equal_toIvEExEE10hipError_tPvRmT2_T3_T4_T5_mT6_T7_P12ihipStream_tbENKUlT_T0_E_clISt17integral_constantIbLb1EES11_EEDaSW_SX_EUlSW_E_NS1_11comp_targetILNS1_3genE2ELNS1_11target_archE906ELNS1_3gpuE6ELNS1_3repE0EEENS1_30default_config_static_selectorELNS0_4arch9wavefront6targetE1EEEvT1_
    .private_segment_fixed_size: 0
    .sgpr_count:     6
    .sgpr_spill_count: 0
    .symbol:         _ZN7rocprim17ROCPRIM_400000_NS6detail17trampoline_kernelINS0_14default_configENS1_27scan_by_key_config_selectorIixEEZZNS1_16scan_by_key_implILNS1_25lookback_scan_determinismE0ELb1ES3_N6thrust23THRUST_200600_302600_NS6detail15normal_iteratorINS9_10device_ptrIiEEEENSB_INSC_IxEEEESG_xNS9_4plusIvEENS9_8equal_toIvEExEE10hipError_tPvRmT2_T3_T4_T5_mT6_T7_P12ihipStream_tbENKUlT_T0_E_clISt17integral_constantIbLb1EES11_EEDaSW_SX_EUlSW_E_NS1_11comp_targetILNS1_3genE2ELNS1_11target_archE906ELNS1_3gpuE6ELNS1_3repE0EEENS1_30default_config_static_selectorELNS0_4arch9wavefront6targetE1EEEvT1_.kd
    .uniform_work_group_size: 1
    .uses_dynamic_stack: false
    .vgpr_count:     0
    .vgpr_spill_count: 0
    .wavefront_size: 64
  - .agpr_count:     0
    .args:
      - .offset:         0
        .size:           136
        .value_kind:     by_value
    .group_segment_fixed_size: 0
    .kernarg_segment_align: 8
    .kernarg_segment_size: 136
    .language:       OpenCL C
    .language_version:
      - 2
      - 0
    .max_flat_workgroup_size: 256
    .name:           _ZN7rocprim17ROCPRIM_400000_NS6detail17trampoline_kernelINS0_14default_configENS1_27scan_by_key_config_selectorIixEEZZNS1_16scan_by_key_implILNS1_25lookback_scan_determinismE0ELb1ES3_N6thrust23THRUST_200600_302600_NS6detail15normal_iteratorINS9_10device_ptrIiEEEENSB_INSC_IxEEEESG_xNS9_4plusIvEENS9_8equal_toIvEExEE10hipError_tPvRmT2_T3_T4_T5_mT6_T7_P12ihipStream_tbENKUlT_T0_E_clISt17integral_constantIbLb1EES11_EEDaSW_SX_EUlSW_E_NS1_11comp_targetILNS1_3genE10ELNS1_11target_archE1200ELNS1_3gpuE4ELNS1_3repE0EEENS1_30default_config_static_selectorELNS0_4arch9wavefront6targetE1EEEvT1_
    .private_segment_fixed_size: 0
    .sgpr_count:     6
    .sgpr_spill_count: 0
    .symbol:         _ZN7rocprim17ROCPRIM_400000_NS6detail17trampoline_kernelINS0_14default_configENS1_27scan_by_key_config_selectorIixEEZZNS1_16scan_by_key_implILNS1_25lookback_scan_determinismE0ELb1ES3_N6thrust23THRUST_200600_302600_NS6detail15normal_iteratorINS9_10device_ptrIiEEEENSB_INSC_IxEEEESG_xNS9_4plusIvEENS9_8equal_toIvEExEE10hipError_tPvRmT2_T3_T4_T5_mT6_T7_P12ihipStream_tbENKUlT_T0_E_clISt17integral_constantIbLb1EES11_EEDaSW_SX_EUlSW_E_NS1_11comp_targetILNS1_3genE10ELNS1_11target_archE1200ELNS1_3gpuE4ELNS1_3repE0EEENS1_30default_config_static_selectorELNS0_4arch9wavefront6targetE1EEEvT1_.kd
    .uniform_work_group_size: 1
    .uses_dynamic_stack: false
    .vgpr_count:     0
    .vgpr_spill_count: 0
    .wavefront_size: 64
  - .agpr_count:     0
    .args:
      - .offset:         0
        .size:           136
        .value_kind:     by_value
    .group_segment_fixed_size: 0
    .kernarg_segment_align: 8
    .kernarg_segment_size: 136
    .language:       OpenCL C
    .language_version:
      - 2
      - 0
    .max_flat_workgroup_size: 256
    .name:           _ZN7rocprim17ROCPRIM_400000_NS6detail17trampoline_kernelINS0_14default_configENS1_27scan_by_key_config_selectorIixEEZZNS1_16scan_by_key_implILNS1_25lookback_scan_determinismE0ELb1ES3_N6thrust23THRUST_200600_302600_NS6detail15normal_iteratorINS9_10device_ptrIiEEEENSB_INSC_IxEEEESG_xNS9_4plusIvEENS9_8equal_toIvEExEE10hipError_tPvRmT2_T3_T4_T5_mT6_T7_P12ihipStream_tbENKUlT_T0_E_clISt17integral_constantIbLb1EES11_EEDaSW_SX_EUlSW_E_NS1_11comp_targetILNS1_3genE9ELNS1_11target_archE1100ELNS1_3gpuE3ELNS1_3repE0EEENS1_30default_config_static_selectorELNS0_4arch9wavefront6targetE1EEEvT1_
    .private_segment_fixed_size: 0
    .sgpr_count:     6
    .sgpr_spill_count: 0
    .symbol:         _ZN7rocprim17ROCPRIM_400000_NS6detail17trampoline_kernelINS0_14default_configENS1_27scan_by_key_config_selectorIixEEZZNS1_16scan_by_key_implILNS1_25lookback_scan_determinismE0ELb1ES3_N6thrust23THRUST_200600_302600_NS6detail15normal_iteratorINS9_10device_ptrIiEEEENSB_INSC_IxEEEESG_xNS9_4plusIvEENS9_8equal_toIvEExEE10hipError_tPvRmT2_T3_T4_T5_mT6_T7_P12ihipStream_tbENKUlT_T0_E_clISt17integral_constantIbLb1EES11_EEDaSW_SX_EUlSW_E_NS1_11comp_targetILNS1_3genE9ELNS1_11target_archE1100ELNS1_3gpuE3ELNS1_3repE0EEENS1_30default_config_static_selectorELNS0_4arch9wavefront6targetE1EEEvT1_.kd
    .uniform_work_group_size: 1
    .uses_dynamic_stack: false
    .vgpr_count:     0
    .vgpr_spill_count: 0
    .wavefront_size: 64
  - .agpr_count:     0
    .args:
      - .offset:         0
        .size:           136
        .value_kind:     by_value
    .group_segment_fixed_size: 0
    .kernarg_segment_align: 8
    .kernarg_segment_size: 136
    .language:       OpenCL C
    .language_version:
      - 2
      - 0
    .max_flat_workgroup_size: 256
    .name:           _ZN7rocprim17ROCPRIM_400000_NS6detail17trampoline_kernelINS0_14default_configENS1_27scan_by_key_config_selectorIixEEZZNS1_16scan_by_key_implILNS1_25lookback_scan_determinismE0ELb1ES3_N6thrust23THRUST_200600_302600_NS6detail15normal_iteratorINS9_10device_ptrIiEEEENSB_INSC_IxEEEESG_xNS9_4plusIvEENS9_8equal_toIvEExEE10hipError_tPvRmT2_T3_T4_T5_mT6_T7_P12ihipStream_tbENKUlT_T0_E_clISt17integral_constantIbLb1EES11_EEDaSW_SX_EUlSW_E_NS1_11comp_targetILNS1_3genE8ELNS1_11target_archE1030ELNS1_3gpuE2ELNS1_3repE0EEENS1_30default_config_static_selectorELNS0_4arch9wavefront6targetE1EEEvT1_
    .private_segment_fixed_size: 0
    .sgpr_count:     6
    .sgpr_spill_count: 0
    .symbol:         _ZN7rocprim17ROCPRIM_400000_NS6detail17trampoline_kernelINS0_14default_configENS1_27scan_by_key_config_selectorIixEEZZNS1_16scan_by_key_implILNS1_25lookback_scan_determinismE0ELb1ES3_N6thrust23THRUST_200600_302600_NS6detail15normal_iteratorINS9_10device_ptrIiEEEENSB_INSC_IxEEEESG_xNS9_4plusIvEENS9_8equal_toIvEExEE10hipError_tPvRmT2_T3_T4_T5_mT6_T7_P12ihipStream_tbENKUlT_T0_E_clISt17integral_constantIbLb1EES11_EEDaSW_SX_EUlSW_E_NS1_11comp_targetILNS1_3genE8ELNS1_11target_archE1030ELNS1_3gpuE2ELNS1_3repE0EEENS1_30default_config_static_selectorELNS0_4arch9wavefront6targetE1EEEvT1_.kd
    .uniform_work_group_size: 1
    .uses_dynamic_stack: false
    .vgpr_count:     0
    .vgpr_spill_count: 0
    .wavefront_size: 64
  - .agpr_count:     0
    .args:
      - .offset:         0
        .size:           136
        .value_kind:     by_value
    .group_segment_fixed_size: 0
    .kernarg_segment_align: 8
    .kernarg_segment_size: 136
    .language:       OpenCL C
    .language_version:
      - 2
      - 0
    .max_flat_workgroup_size: 128
    .name:           _ZN7rocprim17ROCPRIM_400000_NS6detail17trampoline_kernelINS0_14default_configENS1_27scan_by_key_config_selectorIixEEZZNS1_16scan_by_key_implILNS1_25lookback_scan_determinismE0ELb1ES3_N6thrust23THRUST_200600_302600_NS6detail15normal_iteratorINS9_10device_ptrIiEEEENSB_INSC_IxEEEESG_xNS9_4plusIvEENS9_8equal_toIvEExEE10hipError_tPvRmT2_T3_T4_T5_mT6_T7_P12ihipStream_tbENKUlT_T0_E_clISt17integral_constantIbLb1EES10_IbLb0EEEEDaSW_SX_EUlSW_E_NS1_11comp_targetILNS1_3genE0ELNS1_11target_archE4294967295ELNS1_3gpuE0ELNS1_3repE0EEENS1_30default_config_static_selectorELNS0_4arch9wavefront6targetE1EEEvT1_
    .private_segment_fixed_size: 0
    .sgpr_count:     6
    .sgpr_spill_count: 0
    .symbol:         _ZN7rocprim17ROCPRIM_400000_NS6detail17trampoline_kernelINS0_14default_configENS1_27scan_by_key_config_selectorIixEEZZNS1_16scan_by_key_implILNS1_25lookback_scan_determinismE0ELb1ES3_N6thrust23THRUST_200600_302600_NS6detail15normal_iteratorINS9_10device_ptrIiEEEENSB_INSC_IxEEEESG_xNS9_4plusIvEENS9_8equal_toIvEExEE10hipError_tPvRmT2_T3_T4_T5_mT6_T7_P12ihipStream_tbENKUlT_T0_E_clISt17integral_constantIbLb1EES10_IbLb0EEEEDaSW_SX_EUlSW_E_NS1_11comp_targetILNS1_3genE0ELNS1_11target_archE4294967295ELNS1_3gpuE0ELNS1_3repE0EEENS1_30default_config_static_selectorELNS0_4arch9wavefront6targetE1EEEvT1_.kd
    .uniform_work_group_size: 1
    .uses_dynamic_stack: false
    .vgpr_count:     0
    .vgpr_spill_count: 0
    .wavefront_size: 64
  - .agpr_count:     0
    .args:
      - .offset:         0
        .size:           136
        .value_kind:     by_value
    .group_segment_fixed_size: 0
    .kernarg_segment_align: 8
    .kernarg_segment_size: 136
    .language:       OpenCL C
    .language_version:
      - 2
      - 0
    .max_flat_workgroup_size: 256
    .name:           _ZN7rocprim17ROCPRIM_400000_NS6detail17trampoline_kernelINS0_14default_configENS1_27scan_by_key_config_selectorIixEEZZNS1_16scan_by_key_implILNS1_25lookback_scan_determinismE0ELb1ES3_N6thrust23THRUST_200600_302600_NS6detail15normal_iteratorINS9_10device_ptrIiEEEENSB_INSC_IxEEEESG_xNS9_4plusIvEENS9_8equal_toIvEExEE10hipError_tPvRmT2_T3_T4_T5_mT6_T7_P12ihipStream_tbENKUlT_T0_E_clISt17integral_constantIbLb1EES10_IbLb0EEEEDaSW_SX_EUlSW_E_NS1_11comp_targetILNS1_3genE10ELNS1_11target_archE1201ELNS1_3gpuE5ELNS1_3repE0EEENS1_30default_config_static_selectorELNS0_4arch9wavefront6targetE1EEEvT1_
    .private_segment_fixed_size: 0
    .sgpr_count:     6
    .sgpr_spill_count: 0
    .symbol:         _ZN7rocprim17ROCPRIM_400000_NS6detail17trampoline_kernelINS0_14default_configENS1_27scan_by_key_config_selectorIixEEZZNS1_16scan_by_key_implILNS1_25lookback_scan_determinismE0ELb1ES3_N6thrust23THRUST_200600_302600_NS6detail15normal_iteratorINS9_10device_ptrIiEEEENSB_INSC_IxEEEESG_xNS9_4plusIvEENS9_8equal_toIvEExEE10hipError_tPvRmT2_T3_T4_T5_mT6_T7_P12ihipStream_tbENKUlT_T0_E_clISt17integral_constantIbLb1EES10_IbLb0EEEEDaSW_SX_EUlSW_E_NS1_11comp_targetILNS1_3genE10ELNS1_11target_archE1201ELNS1_3gpuE5ELNS1_3repE0EEENS1_30default_config_static_selectorELNS0_4arch9wavefront6targetE1EEEvT1_.kd
    .uniform_work_group_size: 1
    .uses_dynamic_stack: false
    .vgpr_count:     0
    .vgpr_spill_count: 0
    .wavefront_size: 64
  - .agpr_count:     0
    .args:
      - .offset:         0
        .size:           136
        .value_kind:     by_value
    .group_segment_fixed_size: 43008
    .kernarg_segment_align: 8
    .kernarg_segment_size: 136
    .language:       OpenCL C
    .language_version:
      - 2
      - 0
    .max_flat_workgroup_size: 256
    .name:           _ZN7rocprim17ROCPRIM_400000_NS6detail17trampoline_kernelINS0_14default_configENS1_27scan_by_key_config_selectorIixEEZZNS1_16scan_by_key_implILNS1_25lookback_scan_determinismE0ELb1ES3_N6thrust23THRUST_200600_302600_NS6detail15normal_iteratorINS9_10device_ptrIiEEEENSB_INSC_IxEEEESG_xNS9_4plusIvEENS9_8equal_toIvEExEE10hipError_tPvRmT2_T3_T4_T5_mT6_T7_P12ihipStream_tbENKUlT_T0_E_clISt17integral_constantIbLb1EES10_IbLb0EEEEDaSW_SX_EUlSW_E_NS1_11comp_targetILNS1_3genE5ELNS1_11target_archE942ELNS1_3gpuE9ELNS1_3repE0EEENS1_30default_config_static_selectorELNS0_4arch9wavefront6targetE1EEEvT1_
    .private_segment_fixed_size: 0
    .sgpr_count:     84
    .sgpr_spill_count: 0
    .symbol:         _ZN7rocprim17ROCPRIM_400000_NS6detail17trampoline_kernelINS0_14default_configENS1_27scan_by_key_config_selectorIixEEZZNS1_16scan_by_key_implILNS1_25lookback_scan_determinismE0ELb1ES3_N6thrust23THRUST_200600_302600_NS6detail15normal_iteratorINS9_10device_ptrIiEEEENSB_INSC_IxEEEESG_xNS9_4plusIvEENS9_8equal_toIvEExEE10hipError_tPvRmT2_T3_T4_T5_mT6_T7_P12ihipStream_tbENKUlT_T0_E_clISt17integral_constantIbLb1EES10_IbLb0EEEEDaSW_SX_EUlSW_E_NS1_11comp_targetILNS1_3genE5ELNS1_11target_archE942ELNS1_3gpuE9ELNS1_3repE0EEENS1_30default_config_static_selectorELNS0_4arch9wavefront6targetE1EEEvT1_.kd
    .uniform_work_group_size: 1
    .uses_dynamic_stack: false
    .vgpr_count:     126
    .vgpr_spill_count: 0
    .wavefront_size: 64
  - .agpr_count:     0
    .args:
      - .offset:         0
        .size:           136
        .value_kind:     by_value
    .group_segment_fixed_size: 0
    .kernarg_segment_align: 8
    .kernarg_segment_size: 136
    .language:       OpenCL C
    .language_version:
      - 2
      - 0
    .max_flat_workgroup_size: 64
    .name:           _ZN7rocprim17ROCPRIM_400000_NS6detail17trampoline_kernelINS0_14default_configENS1_27scan_by_key_config_selectorIixEEZZNS1_16scan_by_key_implILNS1_25lookback_scan_determinismE0ELb1ES3_N6thrust23THRUST_200600_302600_NS6detail15normal_iteratorINS9_10device_ptrIiEEEENSB_INSC_IxEEEESG_xNS9_4plusIvEENS9_8equal_toIvEExEE10hipError_tPvRmT2_T3_T4_T5_mT6_T7_P12ihipStream_tbENKUlT_T0_E_clISt17integral_constantIbLb1EES10_IbLb0EEEEDaSW_SX_EUlSW_E_NS1_11comp_targetILNS1_3genE4ELNS1_11target_archE910ELNS1_3gpuE8ELNS1_3repE0EEENS1_30default_config_static_selectorELNS0_4arch9wavefront6targetE1EEEvT1_
    .private_segment_fixed_size: 0
    .sgpr_count:     6
    .sgpr_spill_count: 0
    .symbol:         _ZN7rocprim17ROCPRIM_400000_NS6detail17trampoline_kernelINS0_14default_configENS1_27scan_by_key_config_selectorIixEEZZNS1_16scan_by_key_implILNS1_25lookback_scan_determinismE0ELb1ES3_N6thrust23THRUST_200600_302600_NS6detail15normal_iteratorINS9_10device_ptrIiEEEENSB_INSC_IxEEEESG_xNS9_4plusIvEENS9_8equal_toIvEExEE10hipError_tPvRmT2_T3_T4_T5_mT6_T7_P12ihipStream_tbENKUlT_T0_E_clISt17integral_constantIbLb1EES10_IbLb0EEEEDaSW_SX_EUlSW_E_NS1_11comp_targetILNS1_3genE4ELNS1_11target_archE910ELNS1_3gpuE8ELNS1_3repE0EEENS1_30default_config_static_selectorELNS0_4arch9wavefront6targetE1EEEvT1_.kd
    .uniform_work_group_size: 1
    .uses_dynamic_stack: false
    .vgpr_count:     0
    .vgpr_spill_count: 0
    .wavefront_size: 64
  - .agpr_count:     0
    .args:
      - .offset:         0
        .size:           136
        .value_kind:     by_value
    .group_segment_fixed_size: 0
    .kernarg_segment_align: 8
    .kernarg_segment_size: 136
    .language:       OpenCL C
    .language_version:
      - 2
      - 0
    .max_flat_workgroup_size: 128
    .name:           _ZN7rocprim17ROCPRIM_400000_NS6detail17trampoline_kernelINS0_14default_configENS1_27scan_by_key_config_selectorIixEEZZNS1_16scan_by_key_implILNS1_25lookback_scan_determinismE0ELb1ES3_N6thrust23THRUST_200600_302600_NS6detail15normal_iteratorINS9_10device_ptrIiEEEENSB_INSC_IxEEEESG_xNS9_4plusIvEENS9_8equal_toIvEExEE10hipError_tPvRmT2_T3_T4_T5_mT6_T7_P12ihipStream_tbENKUlT_T0_E_clISt17integral_constantIbLb1EES10_IbLb0EEEEDaSW_SX_EUlSW_E_NS1_11comp_targetILNS1_3genE3ELNS1_11target_archE908ELNS1_3gpuE7ELNS1_3repE0EEENS1_30default_config_static_selectorELNS0_4arch9wavefront6targetE1EEEvT1_
    .private_segment_fixed_size: 0
    .sgpr_count:     6
    .sgpr_spill_count: 0
    .symbol:         _ZN7rocprim17ROCPRIM_400000_NS6detail17trampoline_kernelINS0_14default_configENS1_27scan_by_key_config_selectorIixEEZZNS1_16scan_by_key_implILNS1_25lookback_scan_determinismE0ELb1ES3_N6thrust23THRUST_200600_302600_NS6detail15normal_iteratorINS9_10device_ptrIiEEEENSB_INSC_IxEEEESG_xNS9_4plusIvEENS9_8equal_toIvEExEE10hipError_tPvRmT2_T3_T4_T5_mT6_T7_P12ihipStream_tbENKUlT_T0_E_clISt17integral_constantIbLb1EES10_IbLb0EEEEDaSW_SX_EUlSW_E_NS1_11comp_targetILNS1_3genE3ELNS1_11target_archE908ELNS1_3gpuE7ELNS1_3repE0EEENS1_30default_config_static_selectorELNS0_4arch9wavefront6targetE1EEEvT1_.kd
    .uniform_work_group_size: 1
    .uses_dynamic_stack: false
    .vgpr_count:     0
    .vgpr_spill_count: 0
    .wavefront_size: 64
  - .agpr_count:     0
    .args:
      - .offset:         0
        .size:           136
        .value_kind:     by_value
    .group_segment_fixed_size: 0
    .kernarg_segment_align: 8
    .kernarg_segment_size: 136
    .language:       OpenCL C
    .language_version:
      - 2
      - 0
    .max_flat_workgroup_size: 64
    .name:           _ZN7rocprim17ROCPRIM_400000_NS6detail17trampoline_kernelINS0_14default_configENS1_27scan_by_key_config_selectorIixEEZZNS1_16scan_by_key_implILNS1_25lookback_scan_determinismE0ELb1ES3_N6thrust23THRUST_200600_302600_NS6detail15normal_iteratorINS9_10device_ptrIiEEEENSB_INSC_IxEEEESG_xNS9_4plusIvEENS9_8equal_toIvEExEE10hipError_tPvRmT2_T3_T4_T5_mT6_T7_P12ihipStream_tbENKUlT_T0_E_clISt17integral_constantIbLb1EES10_IbLb0EEEEDaSW_SX_EUlSW_E_NS1_11comp_targetILNS1_3genE2ELNS1_11target_archE906ELNS1_3gpuE6ELNS1_3repE0EEENS1_30default_config_static_selectorELNS0_4arch9wavefront6targetE1EEEvT1_
    .private_segment_fixed_size: 0
    .sgpr_count:     6
    .sgpr_spill_count: 0
    .symbol:         _ZN7rocprim17ROCPRIM_400000_NS6detail17trampoline_kernelINS0_14default_configENS1_27scan_by_key_config_selectorIixEEZZNS1_16scan_by_key_implILNS1_25lookback_scan_determinismE0ELb1ES3_N6thrust23THRUST_200600_302600_NS6detail15normal_iteratorINS9_10device_ptrIiEEEENSB_INSC_IxEEEESG_xNS9_4plusIvEENS9_8equal_toIvEExEE10hipError_tPvRmT2_T3_T4_T5_mT6_T7_P12ihipStream_tbENKUlT_T0_E_clISt17integral_constantIbLb1EES10_IbLb0EEEEDaSW_SX_EUlSW_E_NS1_11comp_targetILNS1_3genE2ELNS1_11target_archE906ELNS1_3gpuE6ELNS1_3repE0EEENS1_30default_config_static_selectorELNS0_4arch9wavefront6targetE1EEEvT1_.kd
    .uniform_work_group_size: 1
    .uses_dynamic_stack: false
    .vgpr_count:     0
    .vgpr_spill_count: 0
    .wavefront_size: 64
  - .agpr_count:     0
    .args:
      - .offset:         0
        .size:           136
        .value_kind:     by_value
    .group_segment_fixed_size: 0
    .kernarg_segment_align: 8
    .kernarg_segment_size: 136
    .language:       OpenCL C
    .language_version:
      - 2
      - 0
    .max_flat_workgroup_size: 256
    .name:           _ZN7rocprim17ROCPRIM_400000_NS6detail17trampoline_kernelINS0_14default_configENS1_27scan_by_key_config_selectorIixEEZZNS1_16scan_by_key_implILNS1_25lookback_scan_determinismE0ELb1ES3_N6thrust23THRUST_200600_302600_NS6detail15normal_iteratorINS9_10device_ptrIiEEEENSB_INSC_IxEEEESG_xNS9_4plusIvEENS9_8equal_toIvEExEE10hipError_tPvRmT2_T3_T4_T5_mT6_T7_P12ihipStream_tbENKUlT_T0_E_clISt17integral_constantIbLb1EES10_IbLb0EEEEDaSW_SX_EUlSW_E_NS1_11comp_targetILNS1_3genE10ELNS1_11target_archE1200ELNS1_3gpuE4ELNS1_3repE0EEENS1_30default_config_static_selectorELNS0_4arch9wavefront6targetE1EEEvT1_
    .private_segment_fixed_size: 0
    .sgpr_count:     6
    .sgpr_spill_count: 0
    .symbol:         _ZN7rocprim17ROCPRIM_400000_NS6detail17trampoline_kernelINS0_14default_configENS1_27scan_by_key_config_selectorIixEEZZNS1_16scan_by_key_implILNS1_25lookback_scan_determinismE0ELb1ES3_N6thrust23THRUST_200600_302600_NS6detail15normal_iteratorINS9_10device_ptrIiEEEENSB_INSC_IxEEEESG_xNS9_4plusIvEENS9_8equal_toIvEExEE10hipError_tPvRmT2_T3_T4_T5_mT6_T7_P12ihipStream_tbENKUlT_T0_E_clISt17integral_constantIbLb1EES10_IbLb0EEEEDaSW_SX_EUlSW_E_NS1_11comp_targetILNS1_3genE10ELNS1_11target_archE1200ELNS1_3gpuE4ELNS1_3repE0EEENS1_30default_config_static_selectorELNS0_4arch9wavefront6targetE1EEEvT1_.kd
    .uniform_work_group_size: 1
    .uses_dynamic_stack: false
    .vgpr_count:     0
    .vgpr_spill_count: 0
    .wavefront_size: 64
  - .agpr_count:     0
    .args:
      - .offset:         0
        .size:           136
        .value_kind:     by_value
    .group_segment_fixed_size: 0
    .kernarg_segment_align: 8
    .kernarg_segment_size: 136
    .language:       OpenCL C
    .language_version:
      - 2
      - 0
    .max_flat_workgroup_size: 256
    .name:           _ZN7rocprim17ROCPRIM_400000_NS6detail17trampoline_kernelINS0_14default_configENS1_27scan_by_key_config_selectorIixEEZZNS1_16scan_by_key_implILNS1_25lookback_scan_determinismE0ELb1ES3_N6thrust23THRUST_200600_302600_NS6detail15normal_iteratorINS9_10device_ptrIiEEEENSB_INSC_IxEEEESG_xNS9_4plusIvEENS9_8equal_toIvEExEE10hipError_tPvRmT2_T3_T4_T5_mT6_T7_P12ihipStream_tbENKUlT_T0_E_clISt17integral_constantIbLb1EES10_IbLb0EEEEDaSW_SX_EUlSW_E_NS1_11comp_targetILNS1_3genE9ELNS1_11target_archE1100ELNS1_3gpuE3ELNS1_3repE0EEENS1_30default_config_static_selectorELNS0_4arch9wavefront6targetE1EEEvT1_
    .private_segment_fixed_size: 0
    .sgpr_count:     6
    .sgpr_spill_count: 0
    .symbol:         _ZN7rocprim17ROCPRIM_400000_NS6detail17trampoline_kernelINS0_14default_configENS1_27scan_by_key_config_selectorIixEEZZNS1_16scan_by_key_implILNS1_25lookback_scan_determinismE0ELb1ES3_N6thrust23THRUST_200600_302600_NS6detail15normal_iteratorINS9_10device_ptrIiEEEENSB_INSC_IxEEEESG_xNS9_4plusIvEENS9_8equal_toIvEExEE10hipError_tPvRmT2_T3_T4_T5_mT6_T7_P12ihipStream_tbENKUlT_T0_E_clISt17integral_constantIbLb1EES10_IbLb0EEEEDaSW_SX_EUlSW_E_NS1_11comp_targetILNS1_3genE9ELNS1_11target_archE1100ELNS1_3gpuE3ELNS1_3repE0EEENS1_30default_config_static_selectorELNS0_4arch9wavefront6targetE1EEEvT1_.kd
    .uniform_work_group_size: 1
    .uses_dynamic_stack: false
    .vgpr_count:     0
    .vgpr_spill_count: 0
    .wavefront_size: 64
  - .agpr_count:     0
    .args:
      - .offset:         0
        .size:           136
        .value_kind:     by_value
    .group_segment_fixed_size: 0
    .kernarg_segment_align: 8
    .kernarg_segment_size: 136
    .language:       OpenCL C
    .language_version:
      - 2
      - 0
    .max_flat_workgroup_size: 256
    .name:           _ZN7rocprim17ROCPRIM_400000_NS6detail17trampoline_kernelINS0_14default_configENS1_27scan_by_key_config_selectorIixEEZZNS1_16scan_by_key_implILNS1_25lookback_scan_determinismE0ELb1ES3_N6thrust23THRUST_200600_302600_NS6detail15normal_iteratorINS9_10device_ptrIiEEEENSB_INSC_IxEEEESG_xNS9_4plusIvEENS9_8equal_toIvEExEE10hipError_tPvRmT2_T3_T4_T5_mT6_T7_P12ihipStream_tbENKUlT_T0_E_clISt17integral_constantIbLb1EES10_IbLb0EEEEDaSW_SX_EUlSW_E_NS1_11comp_targetILNS1_3genE8ELNS1_11target_archE1030ELNS1_3gpuE2ELNS1_3repE0EEENS1_30default_config_static_selectorELNS0_4arch9wavefront6targetE1EEEvT1_
    .private_segment_fixed_size: 0
    .sgpr_count:     6
    .sgpr_spill_count: 0
    .symbol:         _ZN7rocprim17ROCPRIM_400000_NS6detail17trampoline_kernelINS0_14default_configENS1_27scan_by_key_config_selectorIixEEZZNS1_16scan_by_key_implILNS1_25lookback_scan_determinismE0ELb1ES3_N6thrust23THRUST_200600_302600_NS6detail15normal_iteratorINS9_10device_ptrIiEEEENSB_INSC_IxEEEESG_xNS9_4plusIvEENS9_8equal_toIvEExEE10hipError_tPvRmT2_T3_T4_T5_mT6_T7_P12ihipStream_tbENKUlT_T0_E_clISt17integral_constantIbLb1EES10_IbLb0EEEEDaSW_SX_EUlSW_E_NS1_11comp_targetILNS1_3genE8ELNS1_11target_archE1030ELNS1_3gpuE2ELNS1_3repE0EEENS1_30default_config_static_selectorELNS0_4arch9wavefront6targetE1EEEvT1_.kd
    .uniform_work_group_size: 1
    .uses_dynamic_stack: false
    .vgpr_count:     0
    .vgpr_spill_count: 0
    .wavefront_size: 64
  - .agpr_count:     0
    .args:
      - .offset:         0
        .size:           136
        .value_kind:     by_value
    .group_segment_fixed_size: 0
    .kernarg_segment_align: 8
    .kernarg_segment_size: 136
    .language:       OpenCL C
    .language_version:
      - 2
      - 0
    .max_flat_workgroup_size: 128
    .name:           _ZN7rocprim17ROCPRIM_400000_NS6detail17trampoline_kernelINS0_14default_configENS1_27scan_by_key_config_selectorIixEEZZNS1_16scan_by_key_implILNS1_25lookback_scan_determinismE0ELb1ES3_N6thrust23THRUST_200600_302600_NS6detail15normal_iteratorINS9_10device_ptrIiEEEENSB_INSC_IxEEEESG_xNS9_4plusIvEENS9_8equal_toIvEExEE10hipError_tPvRmT2_T3_T4_T5_mT6_T7_P12ihipStream_tbENKUlT_T0_E_clISt17integral_constantIbLb0EES10_IbLb1EEEEDaSW_SX_EUlSW_E_NS1_11comp_targetILNS1_3genE0ELNS1_11target_archE4294967295ELNS1_3gpuE0ELNS1_3repE0EEENS1_30default_config_static_selectorELNS0_4arch9wavefront6targetE1EEEvT1_
    .private_segment_fixed_size: 0
    .sgpr_count:     6
    .sgpr_spill_count: 0
    .symbol:         _ZN7rocprim17ROCPRIM_400000_NS6detail17trampoline_kernelINS0_14default_configENS1_27scan_by_key_config_selectorIixEEZZNS1_16scan_by_key_implILNS1_25lookback_scan_determinismE0ELb1ES3_N6thrust23THRUST_200600_302600_NS6detail15normal_iteratorINS9_10device_ptrIiEEEENSB_INSC_IxEEEESG_xNS9_4plusIvEENS9_8equal_toIvEExEE10hipError_tPvRmT2_T3_T4_T5_mT6_T7_P12ihipStream_tbENKUlT_T0_E_clISt17integral_constantIbLb0EES10_IbLb1EEEEDaSW_SX_EUlSW_E_NS1_11comp_targetILNS1_3genE0ELNS1_11target_archE4294967295ELNS1_3gpuE0ELNS1_3repE0EEENS1_30default_config_static_selectorELNS0_4arch9wavefront6targetE1EEEvT1_.kd
    .uniform_work_group_size: 1
    .uses_dynamic_stack: false
    .vgpr_count:     0
    .vgpr_spill_count: 0
    .wavefront_size: 64
  - .agpr_count:     0
    .args:
      - .offset:         0
        .size:           136
        .value_kind:     by_value
    .group_segment_fixed_size: 0
    .kernarg_segment_align: 8
    .kernarg_segment_size: 136
    .language:       OpenCL C
    .language_version:
      - 2
      - 0
    .max_flat_workgroup_size: 256
    .name:           _ZN7rocprim17ROCPRIM_400000_NS6detail17trampoline_kernelINS0_14default_configENS1_27scan_by_key_config_selectorIixEEZZNS1_16scan_by_key_implILNS1_25lookback_scan_determinismE0ELb1ES3_N6thrust23THRUST_200600_302600_NS6detail15normal_iteratorINS9_10device_ptrIiEEEENSB_INSC_IxEEEESG_xNS9_4plusIvEENS9_8equal_toIvEExEE10hipError_tPvRmT2_T3_T4_T5_mT6_T7_P12ihipStream_tbENKUlT_T0_E_clISt17integral_constantIbLb0EES10_IbLb1EEEEDaSW_SX_EUlSW_E_NS1_11comp_targetILNS1_3genE10ELNS1_11target_archE1201ELNS1_3gpuE5ELNS1_3repE0EEENS1_30default_config_static_selectorELNS0_4arch9wavefront6targetE1EEEvT1_
    .private_segment_fixed_size: 0
    .sgpr_count:     6
    .sgpr_spill_count: 0
    .symbol:         _ZN7rocprim17ROCPRIM_400000_NS6detail17trampoline_kernelINS0_14default_configENS1_27scan_by_key_config_selectorIixEEZZNS1_16scan_by_key_implILNS1_25lookback_scan_determinismE0ELb1ES3_N6thrust23THRUST_200600_302600_NS6detail15normal_iteratorINS9_10device_ptrIiEEEENSB_INSC_IxEEEESG_xNS9_4plusIvEENS9_8equal_toIvEExEE10hipError_tPvRmT2_T3_T4_T5_mT6_T7_P12ihipStream_tbENKUlT_T0_E_clISt17integral_constantIbLb0EES10_IbLb1EEEEDaSW_SX_EUlSW_E_NS1_11comp_targetILNS1_3genE10ELNS1_11target_archE1201ELNS1_3gpuE5ELNS1_3repE0EEENS1_30default_config_static_selectorELNS0_4arch9wavefront6targetE1EEEvT1_.kd
    .uniform_work_group_size: 1
    .uses_dynamic_stack: false
    .vgpr_count:     0
    .vgpr_spill_count: 0
    .wavefront_size: 64
  - .agpr_count:     0
    .args:
      - .offset:         0
        .size:           136
        .value_kind:     by_value
    .group_segment_fixed_size: 43008
    .kernarg_segment_align: 8
    .kernarg_segment_size: 136
    .language:       OpenCL C
    .language_version:
      - 2
      - 0
    .max_flat_workgroup_size: 256
    .name:           _ZN7rocprim17ROCPRIM_400000_NS6detail17trampoline_kernelINS0_14default_configENS1_27scan_by_key_config_selectorIixEEZZNS1_16scan_by_key_implILNS1_25lookback_scan_determinismE0ELb1ES3_N6thrust23THRUST_200600_302600_NS6detail15normal_iteratorINS9_10device_ptrIiEEEENSB_INSC_IxEEEESG_xNS9_4plusIvEENS9_8equal_toIvEExEE10hipError_tPvRmT2_T3_T4_T5_mT6_T7_P12ihipStream_tbENKUlT_T0_E_clISt17integral_constantIbLb0EES10_IbLb1EEEEDaSW_SX_EUlSW_E_NS1_11comp_targetILNS1_3genE5ELNS1_11target_archE942ELNS1_3gpuE9ELNS1_3repE0EEENS1_30default_config_static_selectorELNS0_4arch9wavefront6targetE1EEEvT1_
    .private_segment_fixed_size: 0
    .sgpr_count:     79
    .sgpr_spill_count: 0
    .symbol:         _ZN7rocprim17ROCPRIM_400000_NS6detail17trampoline_kernelINS0_14default_configENS1_27scan_by_key_config_selectorIixEEZZNS1_16scan_by_key_implILNS1_25lookback_scan_determinismE0ELb1ES3_N6thrust23THRUST_200600_302600_NS6detail15normal_iteratorINS9_10device_ptrIiEEEENSB_INSC_IxEEEESG_xNS9_4plusIvEENS9_8equal_toIvEExEE10hipError_tPvRmT2_T3_T4_T5_mT6_T7_P12ihipStream_tbENKUlT_T0_E_clISt17integral_constantIbLb0EES10_IbLb1EEEEDaSW_SX_EUlSW_E_NS1_11comp_targetILNS1_3genE5ELNS1_11target_archE942ELNS1_3gpuE9ELNS1_3repE0EEENS1_30default_config_static_selectorELNS0_4arch9wavefront6targetE1EEEvT1_.kd
    .uniform_work_group_size: 1
    .uses_dynamic_stack: false
    .vgpr_count:     128
    .vgpr_spill_count: 0
    .wavefront_size: 64
  - .agpr_count:     0
    .args:
      - .offset:         0
        .size:           136
        .value_kind:     by_value
    .group_segment_fixed_size: 0
    .kernarg_segment_align: 8
    .kernarg_segment_size: 136
    .language:       OpenCL C
    .language_version:
      - 2
      - 0
    .max_flat_workgroup_size: 64
    .name:           _ZN7rocprim17ROCPRIM_400000_NS6detail17trampoline_kernelINS0_14default_configENS1_27scan_by_key_config_selectorIixEEZZNS1_16scan_by_key_implILNS1_25lookback_scan_determinismE0ELb1ES3_N6thrust23THRUST_200600_302600_NS6detail15normal_iteratorINS9_10device_ptrIiEEEENSB_INSC_IxEEEESG_xNS9_4plusIvEENS9_8equal_toIvEExEE10hipError_tPvRmT2_T3_T4_T5_mT6_T7_P12ihipStream_tbENKUlT_T0_E_clISt17integral_constantIbLb0EES10_IbLb1EEEEDaSW_SX_EUlSW_E_NS1_11comp_targetILNS1_3genE4ELNS1_11target_archE910ELNS1_3gpuE8ELNS1_3repE0EEENS1_30default_config_static_selectorELNS0_4arch9wavefront6targetE1EEEvT1_
    .private_segment_fixed_size: 0
    .sgpr_count:     6
    .sgpr_spill_count: 0
    .symbol:         _ZN7rocprim17ROCPRIM_400000_NS6detail17trampoline_kernelINS0_14default_configENS1_27scan_by_key_config_selectorIixEEZZNS1_16scan_by_key_implILNS1_25lookback_scan_determinismE0ELb1ES3_N6thrust23THRUST_200600_302600_NS6detail15normal_iteratorINS9_10device_ptrIiEEEENSB_INSC_IxEEEESG_xNS9_4plusIvEENS9_8equal_toIvEExEE10hipError_tPvRmT2_T3_T4_T5_mT6_T7_P12ihipStream_tbENKUlT_T0_E_clISt17integral_constantIbLb0EES10_IbLb1EEEEDaSW_SX_EUlSW_E_NS1_11comp_targetILNS1_3genE4ELNS1_11target_archE910ELNS1_3gpuE8ELNS1_3repE0EEENS1_30default_config_static_selectorELNS0_4arch9wavefront6targetE1EEEvT1_.kd
    .uniform_work_group_size: 1
    .uses_dynamic_stack: false
    .vgpr_count:     0
    .vgpr_spill_count: 0
    .wavefront_size: 64
  - .agpr_count:     0
    .args:
      - .offset:         0
        .size:           136
        .value_kind:     by_value
    .group_segment_fixed_size: 0
    .kernarg_segment_align: 8
    .kernarg_segment_size: 136
    .language:       OpenCL C
    .language_version:
      - 2
      - 0
    .max_flat_workgroup_size: 128
    .name:           _ZN7rocprim17ROCPRIM_400000_NS6detail17trampoline_kernelINS0_14default_configENS1_27scan_by_key_config_selectorIixEEZZNS1_16scan_by_key_implILNS1_25lookback_scan_determinismE0ELb1ES3_N6thrust23THRUST_200600_302600_NS6detail15normal_iteratorINS9_10device_ptrIiEEEENSB_INSC_IxEEEESG_xNS9_4plusIvEENS9_8equal_toIvEExEE10hipError_tPvRmT2_T3_T4_T5_mT6_T7_P12ihipStream_tbENKUlT_T0_E_clISt17integral_constantIbLb0EES10_IbLb1EEEEDaSW_SX_EUlSW_E_NS1_11comp_targetILNS1_3genE3ELNS1_11target_archE908ELNS1_3gpuE7ELNS1_3repE0EEENS1_30default_config_static_selectorELNS0_4arch9wavefront6targetE1EEEvT1_
    .private_segment_fixed_size: 0
    .sgpr_count:     6
    .sgpr_spill_count: 0
    .symbol:         _ZN7rocprim17ROCPRIM_400000_NS6detail17trampoline_kernelINS0_14default_configENS1_27scan_by_key_config_selectorIixEEZZNS1_16scan_by_key_implILNS1_25lookback_scan_determinismE0ELb1ES3_N6thrust23THRUST_200600_302600_NS6detail15normal_iteratorINS9_10device_ptrIiEEEENSB_INSC_IxEEEESG_xNS9_4plusIvEENS9_8equal_toIvEExEE10hipError_tPvRmT2_T3_T4_T5_mT6_T7_P12ihipStream_tbENKUlT_T0_E_clISt17integral_constantIbLb0EES10_IbLb1EEEEDaSW_SX_EUlSW_E_NS1_11comp_targetILNS1_3genE3ELNS1_11target_archE908ELNS1_3gpuE7ELNS1_3repE0EEENS1_30default_config_static_selectorELNS0_4arch9wavefront6targetE1EEEvT1_.kd
    .uniform_work_group_size: 1
    .uses_dynamic_stack: false
    .vgpr_count:     0
    .vgpr_spill_count: 0
    .wavefront_size: 64
  - .agpr_count:     0
    .args:
      - .offset:         0
        .size:           136
        .value_kind:     by_value
    .group_segment_fixed_size: 0
    .kernarg_segment_align: 8
    .kernarg_segment_size: 136
    .language:       OpenCL C
    .language_version:
      - 2
      - 0
    .max_flat_workgroup_size: 64
    .name:           _ZN7rocprim17ROCPRIM_400000_NS6detail17trampoline_kernelINS0_14default_configENS1_27scan_by_key_config_selectorIixEEZZNS1_16scan_by_key_implILNS1_25lookback_scan_determinismE0ELb1ES3_N6thrust23THRUST_200600_302600_NS6detail15normal_iteratorINS9_10device_ptrIiEEEENSB_INSC_IxEEEESG_xNS9_4plusIvEENS9_8equal_toIvEExEE10hipError_tPvRmT2_T3_T4_T5_mT6_T7_P12ihipStream_tbENKUlT_T0_E_clISt17integral_constantIbLb0EES10_IbLb1EEEEDaSW_SX_EUlSW_E_NS1_11comp_targetILNS1_3genE2ELNS1_11target_archE906ELNS1_3gpuE6ELNS1_3repE0EEENS1_30default_config_static_selectorELNS0_4arch9wavefront6targetE1EEEvT1_
    .private_segment_fixed_size: 0
    .sgpr_count:     6
    .sgpr_spill_count: 0
    .symbol:         _ZN7rocprim17ROCPRIM_400000_NS6detail17trampoline_kernelINS0_14default_configENS1_27scan_by_key_config_selectorIixEEZZNS1_16scan_by_key_implILNS1_25lookback_scan_determinismE0ELb1ES3_N6thrust23THRUST_200600_302600_NS6detail15normal_iteratorINS9_10device_ptrIiEEEENSB_INSC_IxEEEESG_xNS9_4plusIvEENS9_8equal_toIvEExEE10hipError_tPvRmT2_T3_T4_T5_mT6_T7_P12ihipStream_tbENKUlT_T0_E_clISt17integral_constantIbLb0EES10_IbLb1EEEEDaSW_SX_EUlSW_E_NS1_11comp_targetILNS1_3genE2ELNS1_11target_archE906ELNS1_3gpuE6ELNS1_3repE0EEENS1_30default_config_static_selectorELNS0_4arch9wavefront6targetE1EEEvT1_.kd
    .uniform_work_group_size: 1
    .uses_dynamic_stack: false
    .vgpr_count:     0
    .vgpr_spill_count: 0
    .wavefront_size: 64
  - .agpr_count:     0
    .args:
      - .offset:         0
        .size:           136
        .value_kind:     by_value
    .group_segment_fixed_size: 0
    .kernarg_segment_align: 8
    .kernarg_segment_size: 136
    .language:       OpenCL C
    .language_version:
      - 2
      - 0
    .max_flat_workgroup_size: 256
    .name:           _ZN7rocprim17ROCPRIM_400000_NS6detail17trampoline_kernelINS0_14default_configENS1_27scan_by_key_config_selectorIixEEZZNS1_16scan_by_key_implILNS1_25lookback_scan_determinismE0ELb1ES3_N6thrust23THRUST_200600_302600_NS6detail15normal_iteratorINS9_10device_ptrIiEEEENSB_INSC_IxEEEESG_xNS9_4plusIvEENS9_8equal_toIvEExEE10hipError_tPvRmT2_T3_T4_T5_mT6_T7_P12ihipStream_tbENKUlT_T0_E_clISt17integral_constantIbLb0EES10_IbLb1EEEEDaSW_SX_EUlSW_E_NS1_11comp_targetILNS1_3genE10ELNS1_11target_archE1200ELNS1_3gpuE4ELNS1_3repE0EEENS1_30default_config_static_selectorELNS0_4arch9wavefront6targetE1EEEvT1_
    .private_segment_fixed_size: 0
    .sgpr_count:     6
    .sgpr_spill_count: 0
    .symbol:         _ZN7rocprim17ROCPRIM_400000_NS6detail17trampoline_kernelINS0_14default_configENS1_27scan_by_key_config_selectorIixEEZZNS1_16scan_by_key_implILNS1_25lookback_scan_determinismE0ELb1ES3_N6thrust23THRUST_200600_302600_NS6detail15normal_iteratorINS9_10device_ptrIiEEEENSB_INSC_IxEEEESG_xNS9_4plusIvEENS9_8equal_toIvEExEE10hipError_tPvRmT2_T3_T4_T5_mT6_T7_P12ihipStream_tbENKUlT_T0_E_clISt17integral_constantIbLb0EES10_IbLb1EEEEDaSW_SX_EUlSW_E_NS1_11comp_targetILNS1_3genE10ELNS1_11target_archE1200ELNS1_3gpuE4ELNS1_3repE0EEENS1_30default_config_static_selectorELNS0_4arch9wavefront6targetE1EEEvT1_.kd
    .uniform_work_group_size: 1
    .uses_dynamic_stack: false
    .vgpr_count:     0
    .vgpr_spill_count: 0
    .wavefront_size: 64
  - .agpr_count:     0
    .args:
      - .offset:         0
        .size:           136
        .value_kind:     by_value
    .group_segment_fixed_size: 0
    .kernarg_segment_align: 8
    .kernarg_segment_size: 136
    .language:       OpenCL C
    .language_version:
      - 2
      - 0
    .max_flat_workgroup_size: 256
    .name:           _ZN7rocprim17ROCPRIM_400000_NS6detail17trampoline_kernelINS0_14default_configENS1_27scan_by_key_config_selectorIixEEZZNS1_16scan_by_key_implILNS1_25lookback_scan_determinismE0ELb1ES3_N6thrust23THRUST_200600_302600_NS6detail15normal_iteratorINS9_10device_ptrIiEEEENSB_INSC_IxEEEESG_xNS9_4plusIvEENS9_8equal_toIvEExEE10hipError_tPvRmT2_T3_T4_T5_mT6_T7_P12ihipStream_tbENKUlT_T0_E_clISt17integral_constantIbLb0EES10_IbLb1EEEEDaSW_SX_EUlSW_E_NS1_11comp_targetILNS1_3genE9ELNS1_11target_archE1100ELNS1_3gpuE3ELNS1_3repE0EEENS1_30default_config_static_selectorELNS0_4arch9wavefront6targetE1EEEvT1_
    .private_segment_fixed_size: 0
    .sgpr_count:     6
    .sgpr_spill_count: 0
    .symbol:         _ZN7rocprim17ROCPRIM_400000_NS6detail17trampoline_kernelINS0_14default_configENS1_27scan_by_key_config_selectorIixEEZZNS1_16scan_by_key_implILNS1_25lookback_scan_determinismE0ELb1ES3_N6thrust23THRUST_200600_302600_NS6detail15normal_iteratorINS9_10device_ptrIiEEEENSB_INSC_IxEEEESG_xNS9_4plusIvEENS9_8equal_toIvEExEE10hipError_tPvRmT2_T3_T4_T5_mT6_T7_P12ihipStream_tbENKUlT_T0_E_clISt17integral_constantIbLb0EES10_IbLb1EEEEDaSW_SX_EUlSW_E_NS1_11comp_targetILNS1_3genE9ELNS1_11target_archE1100ELNS1_3gpuE3ELNS1_3repE0EEENS1_30default_config_static_selectorELNS0_4arch9wavefront6targetE1EEEvT1_.kd
    .uniform_work_group_size: 1
    .uses_dynamic_stack: false
    .vgpr_count:     0
    .vgpr_spill_count: 0
    .wavefront_size: 64
  - .agpr_count:     0
    .args:
      - .offset:         0
        .size:           136
        .value_kind:     by_value
    .group_segment_fixed_size: 0
    .kernarg_segment_align: 8
    .kernarg_segment_size: 136
    .language:       OpenCL C
    .language_version:
      - 2
      - 0
    .max_flat_workgroup_size: 256
    .name:           _ZN7rocprim17ROCPRIM_400000_NS6detail17trampoline_kernelINS0_14default_configENS1_27scan_by_key_config_selectorIixEEZZNS1_16scan_by_key_implILNS1_25lookback_scan_determinismE0ELb1ES3_N6thrust23THRUST_200600_302600_NS6detail15normal_iteratorINS9_10device_ptrIiEEEENSB_INSC_IxEEEESG_xNS9_4plusIvEENS9_8equal_toIvEExEE10hipError_tPvRmT2_T3_T4_T5_mT6_T7_P12ihipStream_tbENKUlT_T0_E_clISt17integral_constantIbLb0EES10_IbLb1EEEEDaSW_SX_EUlSW_E_NS1_11comp_targetILNS1_3genE8ELNS1_11target_archE1030ELNS1_3gpuE2ELNS1_3repE0EEENS1_30default_config_static_selectorELNS0_4arch9wavefront6targetE1EEEvT1_
    .private_segment_fixed_size: 0
    .sgpr_count:     6
    .sgpr_spill_count: 0
    .symbol:         _ZN7rocprim17ROCPRIM_400000_NS6detail17trampoline_kernelINS0_14default_configENS1_27scan_by_key_config_selectorIixEEZZNS1_16scan_by_key_implILNS1_25lookback_scan_determinismE0ELb1ES3_N6thrust23THRUST_200600_302600_NS6detail15normal_iteratorINS9_10device_ptrIiEEEENSB_INSC_IxEEEESG_xNS9_4plusIvEENS9_8equal_toIvEExEE10hipError_tPvRmT2_T3_T4_T5_mT6_T7_P12ihipStream_tbENKUlT_T0_E_clISt17integral_constantIbLb0EES10_IbLb1EEEEDaSW_SX_EUlSW_E_NS1_11comp_targetILNS1_3genE8ELNS1_11target_archE1030ELNS1_3gpuE2ELNS1_3repE0EEENS1_30default_config_static_selectorELNS0_4arch9wavefront6targetE1EEEvT1_.kd
    .uniform_work_group_size: 1
    .uses_dynamic_stack: false
    .vgpr_count:     0
    .vgpr_spill_count: 0
    .wavefront_size: 64
  - .agpr_count:     0
    .args:
      - .offset:         0
        .size:           112
        .value_kind:     by_value
    .group_segment_fixed_size: 0
    .kernarg_segment_align: 8
    .kernarg_segment_size: 112
    .language:       OpenCL C
    .language_version:
      - 2
      - 0
    .max_flat_workgroup_size: 256
    .name:           _ZN7rocprim17ROCPRIM_400000_NS6detail17trampoline_kernelINS0_14default_configENS1_27scan_by_key_config_selectorIisEEZZNS1_16scan_by_key_implILNS1_25lookback_scan_determinismE0ELb1ES3_N6thrust23THRUST_200600_302600_NS6detail15normal_iteratorINS9_10device_ptrIiEEEENSB_INSC_IsEEEESG_sNS9_4plusIvEENS9_8equal_toIvEEsEE10hipError_tPvRmT2_T3_T4_T5_mT6_T7_P12ihipStream_tbENKUlT_T0_E_clISt17integral_constantIbLb0EES11_EEDaSW_SX_EUlSW_E_NS1_11comp_targetILNS1_3genE0ELNS1_11target_archE4294967295ELNS1_3gpuE0ELNS1_3repE0EEENS1_30default_config_static_selectorELNS0_4arch9wavefront6targetE1EEEvT1_
    .private_segment_fixed_size: 0
    .sgpr_count:     6
    .sgpr_spill_count: 0
    .symbol:         _ZN7rocprim17ROCPRIM_400000_NS6detail17trampoline_kernelINS0_14default_configENS1_27scan_by_key_config_selectorIisEEZZNS1_16scan_by_key_implILNS1_25lookback_scan_determinismE0ELb1ES3_N6thrust23THRUST_200600_302600_NS6detail15normal_iteratorINS9_10device_ptrIiEEEENSB_INSC_IsEEEESG_sNS9_4plusIvEENS9_8equal_toIvEEsEE10hipError_tPvRmT2_T3_T4_T5_mT6_T7_P12ihipStream_tbENKUlT_T0_E_clISt17integral_constantIbLb0EES11_EEDaSW_SX_EUlSW_E_NS1_11comp_targetILNS1_3genE0ELNS1_11target_archE4294967295ELNS1_3gpuE0ELNS1_3repE0EEENS1_30default_config_static_selectorELNS0_4arch9wavefront6targetE1EEEvT1_.kd
    .uniform_work_group_size: 1
    .uses_dynamic_stack: false
    .vgpr_count:     0
    .vgpr_spill_count: 0
    .wavefront_size: 64
  - .agpr_count:     0
    .args:
      - .offset:         0
        .size:           112
        .value_kind:     by_value
    .group_segment_fixed_size: 0
    .kernarg_segment_align: 8
    .kernarg_segment_size: 112
    .language:       OpenCL C
    .language_version:
      - 2
      - 0
    .max_flat_workgroup_size: 256
    .name:           _ZN7rocprim17ROCPRIM_400000_NS6detail17trampoline_kernelINS0_14default_configENS1_27scan_by_key_config_selectorIisEEZZNS1_16scan_by_key_implILNS1_25lookback_scan_determinismE0ELb1ES3_N6thrust23THRUST_200600_302600_NS6detail15normal_iteratorINS9_10device_ptrIiEEEENSB_INSC_IsEEEESG_sNS9_4plusIvEENS9_8equal_toIvEEsEE10hipError_tPvRmT2_T3_T4_T5_mT6_T7_P12ihipStream_tbENKUlT_T0_E_clISt17integral_constantIbLb0EES11_EEDaSW_SX_EUlSW_E_NS1_11comp_targetILNS1_3genE10ELNS1_11target_archE1201ELNS1_3gpuE5ELNS1_3repE0EEENS1_30default_config_static_selectorELNS0_4arch9wavefront6targetE1EEEvT1_
    .private_segment_fixed_size: 0
    .sgpr_count:     6
    .sgpr_spill_count: 0
    .symbol:         _ZN7rocprim17ROCPRIM_400000_NS6detail17trampoline_kernelINS0_14default_configENS1_27scan_by_key_config_selectorIisEEZZNS1_16scan_by_key_implILNS1_25lookback_scan_determinismE0ELb1ES3_N6thrust23THRUST_200600_302600_NS6detail15normal_iteratorINS9_10device_ptrIiEEEENSB_INSC_IsEEEESG_sNS9_4plusIvEENS9_8equal_toIvEEsEE10hipError_tPvRmT2_T3_T4_T5_mT6_T7_P12ihipStream_tbENKUlT_T0_E_clISt17integral_constantIbLb0EES11_EEDaSW_SX_EUlSW_E_NS1_11comp_targetILNS1_3genE10ELNS1_11target_archE1201ELNS1_3gpuE5ELNS1_3repE0EEENS1_30default_config_static_selectorELNS0_4arch9wavefront6targetE1EEEvT1_.kd
    .uniform_work_group_size: 1
    .uses_dynamic_stack: false
    .vgpr_count:     0
    .vgpr_spill_count: 0
    .wavefront_size: 64
  - .agpr_count:     0
    .args:
      - .offset:         0
        .size:           112
        .value_kind:     by_value
    .group_segment_fixed_size: 26624
    .kernarg_segment_align: 8
    .kernarg_segment_size: 112
    .language:       OpenCL C
    .language_version:
      - 2
      - 0
    .max_flat_workgroup_size: 256
    .name:           _ZN7rocprim17ROCPRIM_400000_NS6detail17trampoline_kernelINS0_14default_configENS1_27scan_by_key_config_selectorIisEEZZNS1_16scan_by_key_implILNS1_25lookback_scan_determinismE0ELb1ES3_N6thrust23THRUST_200600_302600_NS6detail15normal_iteratorINS9_10device_ptrIiEEEENSB_INSC_IsEEEESG_sNS9_4plusIvEENS9_8equal_toIvEEsEE10hipError_tPvRmT2_T3_T4_T5_mT6_T7_P12ihipStream_tbENKUlT_T0_E_clISt17integral_constantIbLb0EES11_EEDaSW_SX_EUlSW_E_NS1_11comp_targetILNS1_3genE5ELNS1_11target_archE942ELNS1_3gpuE9ELNS1_3repE0EEENS1_30default_config_static_selectorELNS0_4arch9wavefront6targetE1EEEvT1_
    .private_segment_fixed_size: 0
    .sgpr_count:     98
    .sgpr_spill_count: 0
    .symbol:         _ZN7rocprim17ROCPRIM_400000_NS6detail17trampoline_kernelINS0_14default_configENS1_27scan_by_key_config_selectorIisEEZZNS1_16scan_by_key_implILNS1_25lookback_scan_determinismE0ELb1ES3_N6thrust23THRUST_200600_302600_NS6detail15normal_iteratorINS9_10device_ptrIiEEEENSB_INSC_IsEEEESG_sNS9_4plusIvEENS9_8equal_toIvEEsEE10hipError_tPvRmT2_T3_T4_T5_mT6_T7_P12ihipStream_tbENKUlT_T0_E_clISt17integral_constantIbLb0EES11_EEDaSW_SX_EUlSW_E_NS1_11comp_targetILNS1_3genE5ELNS1_11target_archE942ELNS1_3gpuE9ELNS1_3repE0EEENS1_30default_config_static_selectorELNS0_4arch9wavefront6targetE1EEEvT1_.kd
    .uniform_work_group_size: 1
    .uses_dynamic_stack: false
    .vgpr_count:     58
    .vgpr_spill_count: 0
    .wavefront_size: 64
  - .agpr_count:     0
    .args:
      - .offset:         0
        .size:           112
        .value_kind:     by_value
    .group_segment_fixed_size: 0
    .kernarg_segment_align: 8
    .kernarg_segment_size: 112
    .language:       OpenCL C
    .language_version:
      - 2
      - 0
    .max_flat_workgroup_size: 64
    .name:           _ZN7rocprim17ROCPRIM_400000_NS6detail17trampoline_kernelINS0_14default_configENS1_27scan_by_key_config_selectorIisEEZZNS1_16scan_by_key_implILNS1_25lookback_scan_determinismE0ELb1ES3_N6thrust23THRUST_200600_302600_NS6detail15normal_iteratorINS9_10device_ptrIiEEEENSB_INSC_IsEEEESG_sNS9_4plusIvEENS9_8equal_toIvEEsEE10hipError_tPvRmT2_T3_T4_T5_mT6_T7_P12ihipStream_tbENKUlT_T0_E_clISt17integral_constantIbLb0EES11_EEDaSW_SX_EUlSW_E_NS1_11comp_targetILNS1_3genE4ELNS1_11target_archE910ELNS1_3gpuE8ELNS1_3repE0EEENS1_30default_config_static_selectorELNS0_4arch9wavefront6targetE1EEEvT1_
    .private_segment_fixed_size: 0
    .sgpr_count:     6
    .sgpr_spill_count: 0
    .symbol:         _ZN7rocprim17ROCPRIM_400000_NS6detail17trampoline_kernelINS0_14default_configENS1_27scan_by_key_config_selectorIisEEZZNS1_16scan_by_key_implILNS1_25lookback_scan_determinismE0ELb1ES3_N6thrust23THRUST_200600_302600_NS6detail15normal_iteratorINS9_10device_ptrIiEEEENSB_INSC_IsEEEESG_sNS9_4plusIvEENS9_8equal_toIvEEsEE10hipError_tPvRmT2_T3_T4_T5_mT6_T7_P12ihipStream_tbENKUlT_T0_E_clISt17integral_constantIbLb0EES11_EEDaSW_SX_EUlSW_E_NS1_11comp_targetILNS1_3genE4ELNS1_11target_archE910ELNS1_3gpuE8ELNS1_3repE0EEENS1_30default_config_static_selectorELNS0_4arch9wavefront6targetE1EEEvT1_.kd
    .uniform_work_group_size: 1
    .uses_dynamic_stack: false
    .vgpr_count:     0
    .vgpr_spill_count: 0
    .wavefront_size: 64
  - .agpr_count:     0
    .args:
      - .offset:         0
        .size:           112
        .value_kind:     by_value
    .group_segment_fixed_size: 0
    .kernarg_segment_align: 8
    .kernarg_segment_size: 112
    .language:       OpenCL C
    .language_version:
      - 2
      - 0
    .max_flat_workgroup_size: 256
    .name:           _ZN7rocprim17ROCPRIM_400000_NS6detail17trampoline_kernelINS0_14default_configENS1_27scan_by_key_config_selectorIisEEZZNS1_16scan_by_key_implILNS1_25lookback_scan_determinismE0ELb1ES3_N6thrust23THRUST_200600_302600_NS6detail15normal_iteratorINS9_10device_ptrIiEEEENSB_INSC_IsEEEESG_sNS9_4plusIvEENS9_8equal_toIvEEsEE10hipError_tPvRmT2_T3_T4_T5_mT6_T7_P12ihipStream_tbENKUlT_T0_E_clISt17integral_constantIbLb0EES11_EEDaSW_SX_EUlSW_E_NS1_11comp_targetILNS1_3genE3ELNS1_11target_archE908ELNS1_3gpuE7ELNS1_3repE0EEENS1_30default_config_static_selectorELNS0_4arch9wavefront6targetE1EEEvT1_
    .private_segment_fixed_size: 0
    .sgpr_count:     6
    .sgpr_spill_count: 0
    .symbol:         _ZN7rocprim17ROCPRIM_400000_NS6detail17trampoline_kernelINS0_14default_configENS1_27scan_by_key_config_selectorIisEEZZNS1_16scan_by_key_implILNS1_25lookback_scan_determinismE0ELb1ES3_N6thrust23THRUST_200600_302600_NS6detail15normal_iteratorINS9_10device_ptrIiEEEENSB_INSC_IsEEEESG_sNS9_4plusIvEENS9_8equal_toIvEEsEE10hipError_tPvRmT2_T3_T4_T5_mT6_T7_P12ihipStream_tbENKUlT_T0_E_clISt17integral_constantIbLb0EES11_EEDaSW_SX_EUlSW_E_NS1_11comp_targetILNS1_3genE3ELNS1_11target_archE908ELNS1_3gpuE7ELNS1_3repE0EEENS1_30default_config_static_selectorELNS0_4arch9wavefront6targetE1EEEvT1_.kd
    .uniform_work_group_size: 1
    .uses_dynamic_stack: false
    .vgpr_count:     0
    .vgpr_spill_count: 0
    .wavefront_size: 64
  - .agpr_count:     0
    .args:
      - .offset:         0
        .size:           112
        .value_kind:     by_value
    .group_segment_fixed_size: 0
    .kernarg_segment_align: 8
    .kernarg_segment_size: 112
    .language:       OpenCL C
    .language_version:
      - 2
      - 0
    .max_flat_workgroup_size: 64
    .name:           _ZN7rocprim17ROCPRIM_400000_NS6detail17trampoline_kernelINS0_14default_configENS1_27scan_by_key_config_selectorIisEEZZNS1_16scan_by_key_implILNS1_25lookback_scan_determinismE0ELb1ES3_N6thrust23THRUST_200600_302600_NS6detail15normal_iteratorINS9_10device_ptrIiEEEENSB_INSC_IsEEEESG_sNS9_4plusIvEENS9_8equal_toIvEEsEE10hipError_tPvRmT2_T3_T4_T5_mT6_T7_P12ihipStream_tbENKUlT_T0_E_clISt17integral_constantIbLb0EES11_EEDaSW_SX_EUlSW_E_NS1_11comp_targetILNS1_3genE2ELNS1_11target_archE906ELNS1_3gpuE6ELNS1_3repE0EEENS1_30default_config_static_selectorELNS0_4arch9wavefront6targetE1EEEvT1_
    .private_segment_fixed_size: 0
    .sgpr_count:     6
    .sgpr_spill_count: 0
    .symbol:         _ZN7rocprim17ROCPRIM_400000_NS6detail17trampoline_kernelINS0_14default_configENS1_27scan_by_key_config_selectorIisEEZZNS1_16scan_by_key_implILNS1_25lookback_scan_determinismE0ELb1ES3_N6thrust23THRUST_200600_302600_NS6detail15normal_iteratorINS9_10device_ptrIiEEEENSB_INSC_IsEEEESG_sNS9_4plusIvEENS9_8equal_toIvEEsEE10hipError_tPvRmT2_T3_T4_T5_mT6_T7_P12ihipStream_tbENKUlT_T0_E_clISt17integral_constantIbLb0EES11_EEDaSW_SX_EUlSW_E_NS1_11comp_targetILNS1_3genE2ELNS1_11target_archE906ELNS1_3gpuE6ELNS1_3repE0EEENS1_30default_config_static_selectorELNS0_4arch9wavefront6targetE1EEEvT1_.kd
    .uniform_work_group_size: 1
    .uses_dynamic_stack: false
    .vgpr_count:     0
    .vgpr_spill_count: 0
    .wavefront_size: 64
  - .agpr_count:     0
    .args:
      - .offset:         0
        .size:           112
        .value_kind:     by_value
    .group_segment_fixed_size: 0
    .kernarg_segment_align: 8
    .kernarg_segment_size: 112
    .language:       OpenCL C
    .language_version:
      - 2
      - 0
    .max_flat_workgroup_size: 256
    .name:           _ZN7rocprim17ROCPRIM_400000_NS6detail17trampoline_kernelINS0_14default_configENS1_27scan_by_key_config_selectorIisEEZZNS1_16scan_by_key_implILNS1_25lookback_scan_determinismE0ELb1ES3_N6thrust23THRUST_200600_302600_NS6detail15normal_iteratorINS9_10device_ptrIiEEEENSB_INSC_IsEEEESG_sNS9_4plusIvEENS9_8equal_toIvEEsEE10hipError_tPvRmT2_T3_T4_T5_mT6_T7_P12ihipStream_tbENKUlT_T0_E_clISt17integral_constantIbLb0EES11_EEDaSW_SX_EUlSW_E_NS1_11comp_targetILNS1_3genE10ELNS1_11target_archE1200ELNS1_3gpuE4ELNS1_3repE0EEENS1_30default_config_static_selectorELNS0_4arch9wavefront6targetE1EEEvT1_
    .private_segment_fixed_size: 0
    .sgpr_count:     6
    .sgpr_spill_count: 0
    .symbol:         _ZN7rocprim17ROCPRIM_400000_NS6detail17trampoline_kernelINS0_14default_configENS1_27scan_by_key_config_selectorIisEEZZNS1_16scan_by_key_implILNS1_25lookback_scan_determinismE0ELb1ES3_N6thrust23THRUST_200600_302600_NS6detail15normal_iteratorINS9_10device_ptrIiEEEENSB_INSC_IsEEEESG_sNS9_4plusIvEENS9_8equal_toIvEEsEE10hipError_tPvRmT2_T3_T4_T5_mT6_T7_P12ihipStream_tbENKUlT_T0_E_clISt17integral_constantIbLb0EES11_EEDaSW_SX_EUlSW_E_NS1_11comp_targetILNS1_3genE10ELNS1_11target_archE1200ELNS1_3gpuE4ELNS1_3repE0EEENS1_30default_config_static_selectorELNS0_4arch9wavefront6targetE1EEEvT1_.kd
    .uniform_work_group_size: 1
    .uses_dynamic_stack: false
    .vgpr_count:     0
    .vgpr_spill_count: 0
    .wavefront_size: 64
  - .agpr_count:     0
    .args:
      - .offset:         0
        .size:           112
        .value_kind:     by_value
    .group_segment_fixed_size: 0
    .kernarg_segment_align: 8
    .kernarg_segment_size: 112
    .language:       OpenCL C
    .language_version:
      - 2
      - 0
    .max_flat_workgroup_size: 64
    .name:           _ZN7rocprim17ROCPRIM_400000_NS6detail17trampoline_kernelINS0_14default_configENS1_27scan_by_key_config_selectorIisEEZZNS1_16scan_by_key_implILNS1_25lookback_scan_determinismE0ELb1ES3_N6thrust23THRUST_200600_302600_NS6detail15normal_iteratorINS9_10device_ptrIiEEEENSB_INSC_IsEEEESG_sNS9_4plusIvEENS9_8equal_toIvEEsEE10hipError_tPvRmT2_T3_T4_T5_mT6_T7_P12ihipStream_tbENKUlT_T0_E_clISt17integral_constantIbLb0EES11_EEDaSW_SX_EUlSW_E_NS1_11comp_targetILNS1_3genE9ELNS1_11target_archE1100ELNS1_3gpuE3ELNS1_3repE0EEENS1_30default_config_static_selectorELNS0_4arch9wavefront6targetE1EEEvT1_
    .private_segment_fixed_size: 0
    .sgpr_count:     6
    .sgpr_spill_count: 0
    .symbol:         _ZN7rocprim17ROCPRIM_400000_NS6detail17trampoline_kernelINS0_14default_configENS1_27scan_by_key_config_selectorIisEEZZNS1_16scan_by_key_implILNS1_25lookback_scan_determinismE0ELb1ES3_N6thrust23THRUST_200600_302600_NS6detail15normal_iteratorINS9_10device_ptrIiEEEENSB_INSC_IsEEEESG_sNS9_4plusIvEENS9_8equal_toIvEEsEE10hipError_tPvRmT2_T3_T4_T5_mT6_T7_P12ihipStream_tbENKUlT_T0_E_clISt17integral_constantIbLb0EES11_EEDaSW_SX_EUlSW_E_NS1_11comp_targetILNS1_3genE9ELNS1_11target_archE1100ELNS1_3gpuE3ELNS1_3repE0EEENS1_30default_config_static_selectorELNS0_4arch9wavefront6targetE1EEEvT1_.kd
    .uniform_work_group_size: 1
    .uses_dynamic_stack: false
    .vgpr_count:     0
    .vgpr_spill_count: 0
    .wavefront_size: 64
  - .agpr_count:     0
    .args:
      - .offset:         0
        .size:           112
        .value_kind:     by_value
    .group_segment_fixed_size: 0
    .kernarg_segment_align: 8
    .kernarg_segment_size: 112
    .language:       OpenCL C
    .language_version:
      - 2
      - 0
    .max_flat_workgroup_size: 64
    .name:           _ZN7rocprim17ROCPRIM_400000_NS6detail17trampoline_kernelINS0_14default_configENS1_27scan_by_key_config_selectorIisEEZZNS1_16scan_by_key_implILNS1_25lookback_scan_determinismE0ELb1ES3_N6thrust23THRUST_200600_302600_NS6detail15normal_iteratorINS9_10device_ptrIiEEEENSB_INSC_IsEEEESG_sNS9_4plusIvEENS9_8equal_toIvEEsEE10hipError_tPvRmT2_T3_T4_T5_mT6_T7_P12ihipStream_tbENKUlT_T0_E_clISt17integral_constantIbLb0EES11_EEDaSW_SX_EUlSW_E_NS1_11comp_targetILNS1_3genE8ELNS1_11target_archE1030ELNS1_3gpuE2ELNS1_3repE0EEENS1_30default_config_static_selectorELNS0_4arch9wavefront6targetE1EEEvT1_
    .private_segment_fixed_size: 0
    .sgpr_count:     6
    .sgpr_spill_count: 0
    .symbol:         _ZN7rocprim17ROCPRIM_400000_NS6detail17trampoline_kernelINS0_14default_configENS1_27scan_by_key_config_selectorIisEEZZNS1_16scan_by_key_implILNS1_25lookback_scan_determinismE0ELb1ES3_N6thrust23THRUST_200600_302600_NS6detail15normal_iteratorINS9_10device_ptrIiEEEENSB_INSC_IsEEEESG_sNS9_4plusIvEENS9_8equal_toIvEEsEE10hipError_tPvRmT2_T3_T4_T5_mT6_T7_P12ihipStream_tbENKUlT_T0_E_clISt17integral_constantIbLb0EES11_EEDaSW_SX_EUlSW_E_NS1_11comp_targetILNS1_3genE8ELNS1_11target_archE1030ELNS1_3gpuE2ELNS1_3repE0EEENS1_30default_config_static_selectorELNS0_4arch9wavefront6targetE1EEEvT1_.kd
    .uniform_work_group_size: 1
    .uses_dynamic_stack: false
    .vgpr_count:     0
    .vgpr_spill_count: 0
    .wavefront_size: 64
  - .agpr_count:     0
    .args:
      - .offset:         0
        .size:           112
        .value_kind:     by_value
    .group_segment_fixed_size: 0
    .kernarg_segment_align: 8
    .kernarg_segment_size: 112
    .language:       OpenCL C
    .language_version:
      - 2
      - 0
    .max_flat_workgroup_size: 256
    .name:           _ZN7rocprim17ROCPRIM_400000_NS6detail17trampoline_kernelINS0_14default_configENS1_27scan_by_key_config_selectorIisEEZZNS1_16scan_by_key_implILNS1_25lookback_scan_determinismE0ELb1ES3_N6thrust23THRUST_200600_302600_NS6detail15normal_iteratorINS9_10device_ptrIiEEEENSB_INSC_IsEEEESG_sNS9_4plusIvEENS9_8equal_toIvEEsEE10hipError_tPvRmT2_T3_T4_T5_mT6_T7_P12ihipStream_tbENKUlT_T0_E_clISt17integral_constantIbLb1EES11_EEDaSW_SX_EUlSW_E_NS1_11comp_targetILNS1_3genE0ELNS1_11target_archE4294967295ELNS1_3gpuE0ELNS1_3repE0EEENS1_30default_config_static_selectorELNS0_4arch9wavefront6targetE1EEEvT1_
    .private_segment_fixed_size: 0
    .sgpr_count:     6
    .sgpr_spill_count: 0
    .symbol:         _ZN7rocprim17ROCPRIM_400000_NS6detail17trampoline_kernelINS0_14default_configENS1_27scan_by_key_config_selectorIisEEZZNS1_16scan_by_key_implILNS1_25lookback_scan_determinismE0ELb1ES3_N6thrust23THRUST_200600_302600_NS6detail15normal_iteratorINS9_10device_ptrIiEEEENSB_INSC_IsEEEESG_sNS9_4plusIvEENS9_8equal_toIvEEsEE10hipError_tPvRmT2_T3_T4_T5_mT6_T7_P12ihipStream_tbENKUlT_T0_E_clISt17integral_constantIbLb1EES11_EEDaSW_SX_EUlSW_E_NS1_11comp_targetILNS1_3genE0ELNS1_11target_archE4294967295ELNS1_3gpuE0ELNS1_3repE0EEENS1_30default_config_static_selectorELNS0_4arch9wavefront6targetE1EEEvT1_.kd
    .uniform_work_group_size: 1
    .uses_dynamic_stack: false
    .vgpr_count:     0
    .vgpr_spill_count: 0
    .wavefront_size: 64
  - .agpr_count:     0
    .args:
      - .offset:         0
        .size:           112
        .value_kind:     by_value
    .group_segment_fixed_size: 0
    .kernarg_segment_align: 8
    .kernarg_segment_size: 112
    .language:       OpenCL C
    .language_version:
      - 2
      - 0
    .max_flat_workgroup_size: 256
    .name:           _ZN7rocprim17ROCPRIM_400000_NS6detail17trampoline_kernelINS0_14default_configENS1_27scan_by_key_config_selectorIisEEZZNS1_16scan_by_key_implILNS1_25lookback_scan_determinismE0ELb1ES3_N6thrust23THRUST_200600_302600_NS6detail15normal_iteratorINS9_10device_ptrIiEEEENSB_INSC_IsEEEESG_sNS9_4plusIvEENS9_8equal_toIvEEsEE10hipError_tPvRmT2_T3_T4_T5_mT6_T7_P12ihipStream_tbENKUlT_T0_E_clISt17integral_constantIbLb1EES11_EEDaSW_SX_EUlSW_E_NS1_11comp_targetILNS1_3genE10ELNS1_11target_archE1201ELNS1_3gpuE5ELNS1_3repE0EEENS1_30default_config_static_selectorELNS0_4arch9wavefront6targetE1EEEvT1_
    .private_segment_fixed_size: 0
    .sgpr_count:     6
    .sgpr_spill_count: 0
    .symbol:         _ZN7rocprim17ROCPRIM_400000_NS6detail17trampoline_kernelINS0_14default_configENS1_27scan_by_key_config_selectorIisEEZZNS1_16scan_by_key_implILNS1_25lookback_scan_determinismE0ELb1ES3_N6thrust23THRUST_200600_302600_NS6detail15normal_iteratorINS9_10device_ptrIiEEEENSB_INSC_IsEEEESG_sNS9_4plusIvEENS9_8equal_toIvEEsEE10hipError_tPvRmT2_T3_T4_T5_mT6_T7_P12ihipStream_tbENKUlT_T0_E_clISt17integral_constantIbLb1EES11_EEDaSW_SX_EUlSW_E_NS1_11comp_targetILNS1_3genE10ELNS1_11target_archE1201ELNS1_3gpuE5ELNS1_3repE0EEENS1_30default_config_static_selectorELNS0_4arch9wavefront6targetE1EEEvT1_.kd
    .uniform_work_group_size: 1
    .uses_dynamic_stack: false
    .vgpr_count:     0
    .vgpr_spill_count: 0
    .wavefront_size: 64
  - .agpr_count:     0
    .args:
      - .offset:         0
        .size:           112
        .value_kind:     by_value
    .group_segment_fixed_size: 26624
    .kernarg_segment_align: 8
    .kernarg_segment_size: 112
    .language:       OpenCL C
    .language_version:
      - 2
      - 0
    .max_flat_workgroup_size: 256
    .name:           _ZN7rocprim17ROCPRIM_400000_NS6detail17trampoline_kernelINS0_14default_configENS1_27scan_by_key_config_selectorIisEEZZNS1_16scan_by_key_implILNS1_25lookback_scan_determinismE0ELb1ES3_N6thrust23THRUST_200600_302600_NS6detail15normal_iteratorINS9_10device_ptrIiEEEENSB_INSC_IsEEEESG_sNS9_4plusIvEENS9_8equal_toIvEEsEE10hipError_tPvRmT2_T3_T4_T5_mT6_T7_P12ihipStream_tbENKUlT_T0_E_clISt17integral_constantIbLb1EES11_EEDaSW_SX_EUlSW_E_NS1_11comp_targetILNS1_3genE5ELNS1_11target_archE942ELNS1_3gpuE9ELNS1_3repE0EEENS1_30default_config_static_selectorELNS0_4arch9wavefront6targetE1EEEvT1_
    .private_segment_fixed_size: 0
    .sgpr_count:     81
    .sgpr_spill_count: 0
    .symbol:         _ZN7rocprim17ROCPRIM_400000_NS6detail17trampoline_kernelINS0_14default_configENS1_27scan_by_key_config_selectorIisEEZZNS1_16scan_by_key_implILNS1_25lookback_scan_determinismE0ELb1ES3_N6thrust23THRUST_200600_302600_NS6detail15normal_iteratorINS9_10device_ptrIiEEEENSB_INSC_IsEEEESG_sNS9_4plusIvEENS9_8equal_toIvEEsEE10hipError_tPvRmT2_T3_T4_T5_mT6_T7_P12ihipStream_tbENKUlT_T0_E_clISt17integral_constantIbLb1EES11_EEDaSW_SX_EUlSW_E_NS1_11comp_targetILNS1_3genE5ELNS1_11target_archE942ELNS1_3gpuE9ELNS1_3repE0EEENS1_30default_config_static_selectorELNS0_4arch9wavefront6targetE1EEEvT1_.kd
    .uniform_work_group_size: 1
    .uses_dynamic_stack: false
    .vgpr_count:     64
    .vgpr_spill_count: 0
    .wavefront_size: 64
  - .agpr_count:     0
    .args:
      - .offset:         0
        .size:           112
        .value_kind:     by_value
    .group_segment_fixed_size: 0
    .kernarg_segment_align: 8
    .kernarg_segment_size: 112
    .language:       OpenCL C
    .language_version:
      - 2
      - 0
    .max_flat_workgroup_size: 64
    .name:           _ZN7rocprim17ROCPRIM_400000_NS6detail17trampoline_kernelINS0_14default_configENS1_27scan_by_key_config_selectorIisEEZZNS1_16scan_by_key_implILNS1_25lookback_scan_determinismE0ELb1ES3_N6thrust23THRUST_200600_302600_NS6detail15normal_iteratorINS9_10device_ptrIiEEEENSB_INSC_IsEEEESG_sNS9_4plusIvEENS9_8equal_toIvEEsEE10hipError_tPvRmT2_T3_T4_T5_mT6_T7_P12ihipStream_tbENKUlT_T0_E_clISt17integral_constantIbLb1EES11_EEDaSW_SX_EUlSW_E_NS1_11comp_targetILNS1_3genE4ELNS1_11target_archE910ELNS1_3gpuE8ELNS1_3repE0EEENS1_30default_config_static_selectorELNS0_4arch9wavefront6targetE1EEEvT1_
    .private_segment_fixed_size: 0
    .sgpr_count:     6
    .sgpr_spill_count: 0
    .symbol:         _ZN7rocprim17ROCPRIM_400000_NS6detail17trampoline_kernelINS0_14default_configENS1_27scan_by_key_config_selectorIisEEZZNS1_16scan_by_key_implILNS1_25lookback_scan_determinismE0ELb1ES3_N6thrust23THRUST_200600_302600_NS6detail15normal_iteratorINS9_10device_ptrIiEEEENSB_INSC_IsEEEESG_sNS9_4plusIvEENS9_8equal_toIvEEsEE10hipError_tPvRmT2_T3_T4_T5_mT6_T7_P12ihipStream_tbENKUlT_T0_E_clISt17integral_constantIbLb1EES11_EEDaSW_SX_EUlSW_E_NS1_11comp_targetILNS1_3genE4ELNS1_11target_archE910ELNS1_3gpuE8ELNS1_3repE0EEENS1_30default_config_static_selectorELNS0_4arch9wavefront6targetE1EEEvT1_.kd
    .uniform_work_group_size: 1
    .uses_dynamic_stack: false
    .vgpr_count:     0
    .vgpr_spill_count: 0
    .wavefront_size: 64
  - .agpr_count:     0
    .args:
      - .offset:         0
        .size:           112
        .value_kind:     by_value
    .group_segment_fixed_size: 0
    .kernarg_segment_align: 8
    .kernarg_segment_size: 112
    .language:       OpenCL C
    .language_version:
      - 2
      - 0
    .max_flat_workgroup_size: 256
    .name:           _ZN7rocprim17ROCPRIM_400000_NS6detail17trampoline_kernelINS0_14default_configENS1_27scan_by_key_config_selectorIisEEZZNS1_16scan_by_key_implILNS1_25lookback_scan_determinismE0ELb1ES3_N6thrust23THRUST_200600_302600_NS6detail15normal_iteratorINS9_10device_ptrIiEEEENSB_INSC_IsEEEESG_sNS9_4plusIvEENS9_8equal_toIvEEsEE10hipError_tPvRmT2_T3_T4_T5_mT6_T7_P12ihipStream_tbENKUlT_T0_E_clISt17integral_constantIbLb1EES11_EEDaSW_SX_EUlSW_E_NS1_11comp_targetILNS1_3genE3ELNS1_11target_archE908ELNS1_3gpuE7ELNS1_3repE0EEENS1_30default_config_static_selectorELNS0_4arch9wavefront6targetE1EEEvT1_
    .private_segment_fixed_size: 0
    .sgpr_count:     6
    .sgpr_spill_count: 0
    .symbol:         _ZN7rocprim17ROCPRIM_400000_NS6detail17trampoline_kernelINS0_14default_configENS1_27scan_by_key_config_selectorIisEEZZNS1_16scan_by_key_implILNS1_25lookback_scan_determinismE0ELb1ES3_N6thrust23THRUST_200600_302600_NS6detail15normal_iteratorINS9_10device_ptrIiEEEENSB_INSC_IsEEEESG_sNS9_4plusIvEENS9_8equal_toIvEEsEE10hipError_tPvRmT2_T3_T4_T5_mT6_T7_P12ihipStream_tbENKUlT_T0_E_clISt17integral_constantIbLb1EES11_EEDaSW_SX_EUlSW_E_NS1_11comp_targetILNS1_3genE3ELNS1_11target_archE908ELNS1_3gpuE7ELNS1_3repE0EEENS1_30default_config_static_selectorELNS0_4arch9wavefront6targetE1EEEvT1_.kd
    .uniform_work_group_size: 1
    .uses_dynamic_stack: false
    .vgpr_count:     0
    .vgpr_spill_count: 0
    .wavefront_size: 64
  - .agpr_count:     0
    .args:
      - .offset:         0
        .size:           112
        .value_kind:     by_value
    .group_segment_fixed_size: 0
    .kernarg_segment_align: 8
    .kernarg_segment_size: 112
    .language:       OpenCL C
    .language_version:
      - 2
      - 0
    .max_flat_workgroup_size: 64
    .name:           _ZN7rocprim17ROCPRIM_400000_NS6detail17trampoline_kernelINS0_14default_configENS1_27scan_by_key_config_selectorIisEEZZNS1_16scan_by_key_implILNS1_25lookback_scan_determinismE0ELb1ES3_N6thrust23THRUST_200600_302600_NS6detail15normal_iteratorINS9_10device_ptrIiEEEENSB_INSC_IsEEEESG_sNS9_4plusIvEENS9_8equal_toIvEEsEE10hipError_tPvRmT2_T3_T4_T5_mT6_T7_P12ihipStream_tbENKUlT_T0_E_clISt17integral_constantIbLb1EES11_EEDaSW_SX_EUlSW_E_NS1_11comp_targetILNS1_3genE2ELNS1_11target_archE906ELNS1_3gpuE6ELNS1_3repE0EEENS1_30default_config_static_selectorELNS0_4arch9wavefront6targetE1EEEvT1_
    .private_segment_fixed_size: 0
    .sgpr_count:     6
    .sgpr_spill_count: 0
    .symbol:         _ZN7rocprim17ROCPRIM_400000_NS6detail17trampoline_kernelINS0_14default_configENS1_27scan_by_key_config_selectorIisEEZZNS1_16scan_by_key_implILNS1_25lookback_scan_determinismE0ELb1ES3_N6thrust23THRUST_200600_302600_NS6detail15normal_iteratorINS9_10device_ptrIiEEEENSB_INSC_IsEEEESG_sNS9_4plusIvEENS9_8equal_toIvEEsEE10hipError_tPvRmT2_T3_T4_T5_mT6_T7_P12ihipStream_tbENKUlT_T0_E_clISt17integral_constantIbLb1EES11_EEDaSW_SX_EUlSW_E_NS1_11comp_targetILNS1_3genE2ELNS1_11target_archE906ELNS1_3gpuE6ELNS1_3repE0EEENS1_30default_config_static_selectorELNS0_4arch9wavefront6targetE1EEEvT1_.kd
    .uniform_work_group_size: 1
    .uses_dynamic_stack: false
    .vgpr_count:     0
    .vgpr_spill_count: 0
    .wavefront_size: 64
  - .agpr_count:     0
    .args:
      - .offset:         0
        .size:           112
        .value_kind:     by_value
    .group_segment_fixed_size: 0
    .kernarg_segment_align: 8
    .kernarg_segment_size: 112
    .language:       OpenCL C
    .language_version:
      - 2
      - 0
    .max_flat_workgroup_size: 256
    .name:           _ZN7rocprim17ROCPRIM_400000_NS6detail17trampoline_kernelINS0_14default_configENS1_27scan_by_key_config_selectorIisEEZZNS1_16scan_by_key_implILNS1_25lookback_scan_determinismE0ELb1ES3_N6thrust23THRUST_200600_302600_NS6detail15normal_iteratorINS9_10device_ptrIiEEEENSB_INSC_IsEEEESG_sNS9_4plusIvEENS9_8equal_toIvEEsEE10hipError_tPvRmT2_T3_T4_T5_mT6_T7_P12ihipStream_tbENKUlT_T0_E_clISt17integral_constantIbLb1EES11_EEDaSW_SX_EUlSW_E_NS1_11comp_targetILNS1_3genE10ELNS1_11target_archE1200ELNS1_3gpuE4ELNS1_3repE0EEENS1_30default_config_static_selectorELNS0_4arch9wavefront6targetE1EEEvT1_
    .private_segment_fixed_size: 0
    .sgpr_count:     6
    .sgpr_spill_count: 0
    .symbol:         _ZN7rocprim17ROCPRIM_400000_NS6detail17trampoline_kernelINS0_14default_configENS1_27scan_by_key_config_selectorIisEEZZNS1_16scan_by_key_implILNS1_25lookback_scan_determinismE0ELb1ES3_N6thrust23THRUST_200600_302600_NS6detail15normal_iteratorINS9_10device_ptrIiEEEENSB_INSC_IsEEEESG_sNS9_4plusIvEENS9_8equal_toIvEEsEE10hipError_tPvRmT2_T3_T4_T5_mT6_T7_P12ihipStream_tbENKUlT_T0_E_clISt17integral_constantIbLb1EES11_EEDaSW_SX_EUlSW_E_NS1_11comp_targetILNS1_3genE10ELNS1_11target_archE1200ELNS1_3gpuE4ELNS1_3repE0EEENS1_30default_config_static_selectorELNS0_4arch9wavefront6targetE1EEEvT1_.kd
    .uniform_work_group_size: 1
    .uses_dynamic_stack: false
    .vgpr_count:     0
    .vgpr_spill_count: 0
    .wavefront_size: 64
  - .agpr_count:     0
    .args:
      - .offset:         0
        .size:           112
        .value_kind:     by_value
    .group_segment_fixed_size: 0
    .kernarg_segment_align: 8
    .kernarg_segment_size: 112
    .language:       OpenCL C
    .language_version:
      - 2
      - 0
    .max_flat_workgroup_size: 64
    .name:           _ZN7rocprim17ROCPRIM_400000_NS6detail17trampoline_kernelINS0_14default_configENS1_27scan_by_key_config_selectorIisEEZZNS1_16scan_by_key_implILNS1_25lookback_scan_determinismE0ELb1ES3_N6thrust23THRUST_200600_302600_NS6detail15normal_iteratorINS9_10device_ptrIiEEEENSB_INSC_IsEEEESG_sNS9_4plusIvEENS9_8equal_toIvEEsEE10hipError_tPvRmT2_T3_T4_T5_mT6_T7_P12ihipStream_tbENKUlT_T0_E_clISt17integral_constantIbLb1EES11_EEDaSW_SX_EUlSW_E_NS1_11comp_targetILNS1_3genE9ELNS1_11target_archE1100ELNS1_3gpuE3ELNS1_3repE0EEENS1_30default_config_static_selectorELNS0_4arch9wavefront6targetE1EEEvT1_
    .private_segment_fixed_size: 0
    .sgpr_count:     6
    .sgpr_spill_count: 0
    .symbol:         _ZN7rocprim17ROCPRIM_400000_NS6detail17trampoline_kernelINS0_14default_configENS1_27scan_by_key_config_selectorIisEEZZNS1_16scan_by_key_implILNS1_25lookback_scan_determinismE0ELb1ES3_N6thrust23THRUST_200600_302600_NS6detail15normal_iteratorINS9_10device_ptrIiEEEENSB_INSC_IsEEEESG_sNS9_4plusIvEENS9_8equal_toIvEEsEE10hipError_tPvRmT2_T3_T4_T5_mT6_T7_P12ihipStream_tbENKUlT_T0_E_clISt17integral_constantIbLb1EES11_EEDaSW_SX_EUlSW_E_NS1_11comp_targetILNS1_3genE9ELNS1_11target_archE1100ELNS1_3gpuE3ELNS1_3repE0EEENS1_30default_config_static_selectorELNS0_4arch9wavefront6targetE1EEEvT1_.kd
    .uniform_work_group_size: 1
    .uses_dynamic_stack: false
    .vgpr_count:     0
    .vgpr_spill_count: 0
    .wavefront_size: 64
  - .agpr_count:     0
    .args:
      - .offset:         0
        .size:           112
        .value_kind:     by_value
    .group_segment_fixed_size: 0
    .kernarg_segment_align: 8
    .kernarg_segment_size: 112
    .language:       OpenCL C
    .language_version:
      - 2
      - 0
    .max_flat_workgroup_size: 64
    .name:           _ZN7rocprim17ROCPRIM_400000_NS6detail17trampoline_kernelINS0_14default_configENS1_27scan_by_key_config_selectorIisEEZZNS1_16scan_by_key_implILNS1_25lookback_scan_determinismE0ELb1ES3_N6thrust23THRUST_200600_302600_NS6detail15normal_iteratorINS9_10device_ptrIiEEEENSB_INSC_IsEEEESG_sNS9_4plusIvEENS9_8equal_toIvEEsEE10hipError_tPvRmT2_T3_T4_T5_mT6_T7_P12ihipStream_tbENKUlT_T0_E_clISt17integral_constantIbLb1EES11_EEDaSW_SX_EUlSW_E_NS1_11comp_targetILNS1_3genE8ELNS1_11target_archE1030ELNS1_3gpuE2ELNS1_3repE0EEENS1_30default_config_static_selectorELNS0_4arch9wavefront6targetE1EEEvT1_
    .private_segment_fixed_size: 0
    .sgpr_count:     6
    .sgpr_spill_count: 0
    .symbol:         _ZN7rocprim17ROCPRIM_400000_NS6detail17trampoline_kernelINS0_14default_configENS1_27scan_by_key_config_selectorIisEEZZNS1_16scan_by_key_implILNS1_25lookback_scan_determinismE0ELb1ES3_N6thrust23THRUST_200600_302600_NS6detail15normal_iteratorINS9_10device_ptrIiEEEENSB_INSC_IsEEEESG_sNS9_4plusIvEENS9_8equal_toIvEEsEE10hipError_tPvRmT2_T3_T4_T5_mT6_T7_P12ihipStream_tbENKUlT_T0_E_clISt17integral_constantIbLb1EES11_EEDaSW_SX_EUlSW_E_NS1_11comp_targetILNS1_3genE8ELNS1_11target_archE1030ELNS1_3gpuE2ELNS1_3repE0EEENS1_30default_config_static_selectorELNS0_4arch9wavefront6targetE1EEEvT1_.kd
    .uniform_work_group_size: 1
    .uses_dynamic_stack: false
    .vgpr_count:     0
    .vgpr_spill_count: 0
    .wavefront_size: 64
  - .agpr_count:     0
    .args:
      - .offset:         0
        .size:           112
        .value_kind:     by_value
    .group_segment_fixed_size: 0
    .kernarg_segment_align: 8
    .kernarg_segment_size: 112
    .language:       OpenCL C
    .language_version:
      - 2
      - 0
    .max_flat_workgroup_size: 256
    .name:           _ZN7rocprim17ROCPRIM_400000_NS6detail17trampoline_kernelINS0_14default_configENS1_27scan_by_key_config_selectorIisEEZZNS1_16scan_by_key_implILNS1_25lookback_scan_determinismE0ELb1ES3_N6thrust23THRUST_200600_302600_NS6detail15normal_iteratorINS9_10device_ptrIiEEEENSB_INSC_IsEEEESG_sNS9_4plusIvEENS9_8equal_toIvEEsEE10hipError_tPvRmT2_T3_T4_T5_mT6_T7_P12ihipStream_tbENKUlT_T0_E_clISt17integral_constantIbLb1EES10_IbLb0EEEEDaSW_SX_EUlSW_E_NS1_11comp_targetILNS1_3genE0ELNS1_11target_archE4294967295ELNS1_3gpuE0ELNS1_3repE0EEENS1_30default_config_static_selectorELNS0_4arch9wavefront6targetE1EEEvT1_
    .private_segment_fixed_size: 0
    .sgpr_count:     6
    .sgpr_spill_count: 0
    .symbol:         _ZN7rocprim17ROCPRIM_400000_NS6detail17trampoline_kernelINS0_14default_configENS1_27scan_by_key_config_selectorIisEEZZNS1_16scan_by_key_implILNS1_25lookback_scan_determinismE0ELb1ES3_N6thrust23THRUST_200600_302600_NS6detail15normal_iteratorINS9_10device_ptrIiEEEENSB_INSC_IsEEEESG_sNS9_4plusIvEENS9_8equal_toIvEEsEE10hipError_tPvRmT2_T3_T4_T5_mT6_T7_P12ihipStream_tbENKUlT_T0_E_clISt17integral_constantIbLb1EES10_IbLb0EEEEDaSW_SX_EUlSW_E_NS1_11comp_targetILNS1_3genE0ELNS1_11target_archE4294967295ELNS1_3gpuE0ELNS1_3repE0EEENS1_30default_config_static_selectorELNS0_4arch9wavefront6targetE1EEEvT1_.kd
    .uniform_work_group_size: 1
    .uses_dynamic_stack: false
    .vgpr_count:     0
    .vgpr_spill_count: 0
    .wavefront_size: 64
  - .agpr_count:     0
    .args:
      - .offset:         0
        .size:           112
        .value_kind:     by_value
    .group_segment_fixed_size: 0
    .kernarg_segment_align: 8
    .kernarg_segment_size: 112
    .language:       OpenCL C
    .language_version:
      - 2
      - 0
    .max_flat_workgroup_size: 256
    .name:           _ZN7rocprim17ROCPRIM_400000_NS6detail17trampoline_kernelINS0_14default_configENS1_27scan_by_key_config_selectorIisEEZZNS1_16scan_by_key_implILNS1_25lookback_scan_determinismE0ELb1ES3_N6thrust23THRUST_200600_302600_NS6detail15normal_iteratorINS9_10device_ptrIiEEEENSB_INSC_IsEEEESG_sNS9_4plusIvEENS9_8equal_toIvEEsEE10hipError_tPvRmT2_T3_T4_T5_mT6_T7_P12ihipStream_tbENKUlT_T0_E_clISt17integral_constantIbLb1EES10_IbLb0EEEEDaSW_SX_EUlSW_E_NS1_11comp_targetILNS1_3genE10ELNS1_11target_archE1201ELNS1_3gpuE5ELNS1_3repE0EEENS1_30default_config_static_selectorELNS0_4arch9wavefront6targetE1EEEvT1_
    .private_segment_fixed_size: 0
    .sgpr_count:     6
    .sgpr_spill_count: 0
    .symbol:         _ZN7rocprim17ROCPRIM_400000_NS6detail17trampoline_kernelINS0_14default_configENS1_27scan_by_key_config_selectorIisEEZZNS1_16scan_by_key_implILNS1_25lookback_scan_determinismE0ELb1ES3_N6thrust23THRUST_200600_302600_NS6detail15normal_iteratorINS9_10device_ptrIiEEEENSB_INSC_IsEEEESG_sNS9_4plusIvEENS9_8equal_toIvEEsEE10hipError_tPvRmT2_T3_T4_T5_mT6_T7_P12ihipStream_tbENKUlT_T0_E_clISt17integral_constantIbLb1EES10_IbLb0EEEEDaSW_SX_EUlSW_E_NS1_11comp_targetILNS1_3genE10ELNS1_11target_archE1201ELNS1_3gpuE5ELNS1_3repE0EEENS1_30default_config_static_selectorELNS0_4arch9wavefront6targetE1EEEvT1_.kd
    .uniform_work_group_size: 1
    .uses_dynamic_stack: false
    .vgpr_count:     0
    .vgpr_spill_count: 0
    .wavefront_size: 64
  - .agpr_count:     0
    .args:
      - .offset:         0
        .size:           112
        .value_kind:     by_value
    .group_segment_fixed_size: 26624
    .kernarg_segment_align: 8
    .kernarg_segment_size: 112
    .language:       OpenCL C
    .language_version:
      - 2
      - 0
    .max_flat_workgroup_size: 256
    .name:           _ZN7rocprim17ROCPRIM_400000_NS6detail17trampoline_kernelINS0_14default_configENS1_27scan_by_key_config_selectorIisEEZZNS1_16scan_by_key_implILNS1_25lookback_scan_determinismE0ELb1ES3_N6thrust23THRUST_200600_302600_NS6detail15normal_iteratorINS9_10device_ptrIiEEEENSB_INSC_IsEEEESG_sNS9_4plusIvEENS9_8equal_toIvEEsEE10hipError_tPvRmT2_T3_T4_T5_mT6_T7_P12ihipStream_tbENKUlT_T0_E_clISt17integral_constantIbLb1EES10_IbLb0EEEEDaSW_SX_EUlSW_E_NS1_11comp_targetILNS1_3genE5ELNS1_11target_archE942ELNS1_3gpuE9ELNS1_3repE0EEENS1_30default_config_static_selectorELNS0_4arch9wavefront6targetE1EEEvT1_
    .private_segment_fixed_size: 0
    .sgpr_count:     98
    .sgpr_spill_count: 0
    .symbol:         _ZN7rocprim17ROCPRIM_400000_NS6detail17trampoline_kernelINS0_14default_configENS1_27scan_by_key_config_selectorIisEEZZNS1_16scan_by_key_implILNS1_25lookback_scan_determinismE0ELb1ES3_N6thrust23THRUST_200600_302600_NS6detail15normal_iteratorINS9_10device_ptrIiEEEENSB_INSC_IsEEEESG_sNS9_4plusIvEENS9_8equal_toIvEEsEE10hipError_tPvRmT2_T3_T4_T5_mT6_T7_P12ihipStream_tbENKUlT_T0_E_clISt17integral_constantIbLb1EES10_IbLb0EEEEDaSW_SX_EUlSW_E_NS1_11comp_targetILNS1_3genE5ELNS1_11target_archE942ELNS1_3gpuE9ELNS1_3repE0EEENS1_30default_config_static_selectorELNS0_4arch9wavefront6targetE1EEEvT1_.kd
    .uniform_work_group_size: 1
    .uses_dynamic_stack: false
    .vgpr_count:     58
    .vgpr_spill_count: 0
    .wavefront_size: 64
  - .agpr_count:     0
    .args:
      - .offset:         0
        .size:           112
        .value_kind:     by_value
    .group_segment_fixed_size: 0
    .kernarg_segment_align: 8
    .kernarg_segment_size: 112
    .language:       OpenCL C
    .language_version:
      - 2
      - 0
    .max_flat_workgroup_size: 64
    .name:           _ZN7rocprim17ROCPRIM_400000_NS6detail17trampoline_kernelINS0_14default_configENS1_27scan_by_key_config_selectorIisEEZZNS1_16scan_by_key_implILNS1_25lookback_scan_determinismE0ELb1ES3_N6thrust23THRUST_200600_302600_NS6detail15normal_iteratorINS9_10device_ptrIiEEEENSB_INSC_IsEEEESG_sNS9_4plusIvEENS9_8equal_toIvEEsEE10hipError_tPvRmT2_T3_T4_T5_mT6_T7_P12ihipStream_tbENKUlT_T0_E_clISt17integral_constantIbLb1EES10_IbLb0EEEEDaSW_SX_EUlSW_E_NS1_11comp_targetILNS1_3genE4ELNS1_11target_archE910ELNS1_3gpuE8ELNS1_3repE0EEENS1_30default_config_static_selectorELNS0_4arch9wavefront6targetE1EEEvT1_
    .private_segment_fixed_size: 0
    .sgpr_count:     6
    .sgpr_spill_count: 0
    .symbol:         _ZN7rocprim17ROCPRIM_400000_NS6detail17trampoline_kernelINS0_14default_configENS1_27scan_by_key_config_selectorIisEEZZNS1_16scan_by_key_implILNS1_25lookback_scan_determinismE0ELb1ES3_N6thrust23THRUST_200600_302600_NS6detail15normal_iteratorINS9_10device_ptrIiEEEENSB_INSC_IsEEEESG_sNS9_4plusIvEENS9_8equal_toIvEEsEE10hipError_tPvRmT2_T3_T4_T5_mT6_T7_P12ihipStream_tbENKUlT_T0_E_clISt17integral_constantIbLb1EES10_IbLb0EEEEDaSW_SX_EUlSW_E_NS1_11comp_targetILNS1_3genE4ELNS1_11target_archE910ELNS1_3gpuE8ELNS1_3repE0EEENS1_30default_config_static_selectorELNS0_4arch9wavefront6targetE1EEEvT1_.kd
    .uniform_work_group_size: 1
    .uses_dynamic_stack: false
    .vgpr_count:     0
    .vgpr_spill_count: 0
    .wavefront_size: 64
  - .agpr_count:     0
    .args:
      - .offset:         0
        .size:           112
        .value_kind:     by_value
    .group_segment_fixed_size: 0
    .kernarg_segment_align: 8
    .kernarg_segment_size: 112
    .language:       OpenCL C
    .language_version:
      - 2
      - 0
    .max_flat_workgroup_size: 256
    .name:           _ZN7rocprim17ROCPRIM_400000_NS6detail17trampoline_kernelINS0_14default_configENS1_27scan_by_key_config_selectorIisEEZZNS1_16scan_by_key_implILNS1_25lookback_scan_determinismE0ELb1ES3_N6thrust23THRUST_200600_302600_NS6detail15normal_iteratorINS9_10device_ptrIiEEEENSB_INSC_IsEEEESG_sNS9_4plusIvEENS9_8equal_toIvEEsEE10hipError_tPvRmT2_T3_T4_T5_mT6_T7_P12ihipStream_tbENKUlT_T0_E_clISt17integral_constantIbLb1EES10_IbLb0EEEEDaSW_SX_EUlSW_E_NS1_11comp_targetILNS1_3genE3ELNS1_11target_archE908ELNS1_3gpuE7ELNS1_3repE0EEENS1_30default_config_static_selectorELNS0_4arch9wavefront6targetE1EEEvT1_
    .private_segment_fixed_size: 0
    .sgpr_count:     6
    .sgpr_spill_count: 0
    .symbol:         _ZN7rocprim17ROCPRIM_400000_NS6detail17trampoline_kernelINS0_14default_configENS1_27scan_by_key_config_selectorIisEEZZNS1_16scan_by_key_implILNS1_25lookback_scan_determinismE0ELb1ES3_N6thrust23THRUST_200600_302600_NS6detail15normal_iteratorINS9_10device_ptrIiEEEENSB_INSC_IsEEEESG_sNS9_4plusIvEENS9_8equal_toIvEEsEE10hipError_tPvRmT2_T3_T4_T5_mT6_T7_P12ihipStream_tbENKUlT_T0_E_clISt17integral_constantIbLb1EES10_IbLb0EEEEDaSW_SX_EUlSW_E_NS1_11comp_targetILNS1_3genE3ELNS1_11target_archE908ELNS1_3gpuE7ELNS1_3repE0EEENS1_30default_config_static_selectorELNS0_4arch9wavefront6targetE1EEEvT1_.kd
    .uniform_work_group_size: 1
    .uses_dynamic_stack: false
    .vgpr_count:     0
    .vgpr_spill_count: 0
    .wavefront_size: 64
  - .agpr_count:     0
    .args:
      - .offset:         0
        .size:           112
        .value_kind:     by_value
    .group_segment_fixed_size: 0
    .kernarg_segment_align: 8
    .kernarg_segment_size: 112
    .language:       OpenCL C
    .language_version:
      - 2
      - 0
    .max_flat_workgroup_size: 64
    .name:           _ZN7rocprim17ROCPRIM_400000_NS6detail17trampoline_kernelINS0_14default_configENS1_27scan_by_key_config_selectorIisEEZZNS1_16scan_by_key_implILNS1_25lookback_scan_determinismE0ELb1ES3_N6thrust23THRUST_200600_302600_NS6detail15normal_iteratorINS9_10device_ptrIiEEEENSB_INSC_IsEEEESG_sNS9_4plusIvEENS9_8equal_toIvEEsEE10hipError_tPvRmT2_T3_T4_T5_mT6_T7_P12ihipStream_tbENKUlT_T0_E_clISt17integral_constantIbLb1EES10_IbLb0EEEEDaSW_SX_EUlSW_E_NS1_11comp_targetILNS1_3genE2ELNS1_11target_archE906ELNS1_3gpuE6ELNS1_3repE0EEENS1_30default_config_static_selectorELNS0_4arch9wavefront6targetE1EEEvT1_
    .private_segment_fixed_size: 0
    .sgpr_count:     6
    .sgpr_spill_count: 0
    .symbol:         _ZN7rocprim17ROCPRIM_400000_NS6detail17trampoline_kernelINS0_14default_configENS1_27scan_by_key_config_selectorIisEEZZNS1_16scan_by_key_implILNS1_25lookback_scan_determinismE0ELb1ES3_N6thrust23THRUST_200600_302600_NS6detail15normal_iteratorINS9_10device_ptrIiEEEENSB_INSC_IsEEEESG_sNS9_4plusIvEENS9_8equal_toIvEEsEE10hipError_tPvRmT2_T3_T4_T5_mT6_T7_P12ihipStream_tbENKUlT_T0_E_clISt17integral_constantIbLb1EES10_IbLb0EEEEDaSW_SX_EUlSW_E_NS1_11comp_targetILNS1_3genE2ELNS1_11target_archE906ELNS1_3gpuE6ELNS1_3repE0EEENS1_30default_config_static_selectorELNS0_4arch9wavefront6targetE1EEEvT1_.kd
    .uniform_work_group_size: 1
    .uses_dynamic_stack: false
    .vgpr_count:     0
    .vgpr_spill_count: 0
    .wavefront_size: 64
  - .agpr_count:     0
    .args:
      - .offset:         0
        .size:           112
        .value_kind:     by_value
    .group_segment_fixed_size: 0
    .kernarg_segment_align: 8
    .kernarg_segment_size: 112
    .language:       OpenCL C
    .language_version:
      - 2
      - 0
    .max_flat_workgroup_size: 256
    .name:           _ZN7rocprim17ROCPRIM_400000_NS6detail17trampoline_kernelINS0_14default_configENS1_27scan_by_key_config_selectorIisEEZZNS1_16scan_by_key_implILNS1_25lookback_scan_determinismE0ELb1ES3_N6thrust23THRUST_200600_302600_NS6detail15normal_iteratorINS9_10device_ptrIiEEEENSB_INSC_IsEEEESG_sNS9_4plusIvEENS9_8equal_toIvEEsEE10hipError_tPvRmT2_T3_T4_T5_mT6_T7_P12ihipStream_tbENKUlT_T0_E_clISt17integral_constantIbLb1EES10_IbLb0EEEEDaSW_SX_EUlSW_E_NS1_11comp_targetILNS1_3genE10ELNS1_11target_archE1200ELNS1_3gpuE4ELNS1_3repE0EEENS1_30default_config_static_selectorELNS0_4arch9wavefront6targetE1EEEvT1_
    .private_segment_fixed_size: 0
    .sgpr_count:     6
    .sgpr_spill_count: 0
    .symbol:         _ZN7rocprim17ROCPRIM_400000_NS6detail17trampoline_kernelINS0_14default_configENS1_27scan_by_key_config_selectorIisEEZZNS1_16scan_by_key_implILNS1_25lookback_scan_determinismE0ELb1ES3_N6thrust23THRUST_200600_302600_NS6detail15normal_iteratorINS9_10device_ptrIiEEEENSB_INSC_IsEEEESG_sNS9_4plusIvEENS9_8equal_toIvEEsEE10hipError_tPvRmT2_T3_T4_T5_mT6_T7_P12ihipStream_tbENKUlT_T0_E_clISt17integral_constantIbLb1EES10_IbLb0EEEEDaSW_SX_EUlSW_E_NS1_11comp_targetILNS1_3genE10ELNS1_11target_archE1200ELNS1_3gpuE4ELNS1_3repE0EEENS1_30default_config_static_selectorELNS0_4arch9wavefront6targetE1EEEvT1_.kd
    .uniform_work_group_size: 1
    .uses_dynamic_stack: false
    .vgpr_count:     0
    .vgpr_spill_count: 0
    .wavefront_size: 64
  - .agpr_count:     0
    .args:
      - .offset:         0
        .size:           112
        .value_kind:     by_value
    .group_segment_fixed_size: 0
    .kernarg_segment_align: 8
    .kernarg_segment_size: 112
    .language:       OpenCL C
    .language_version:
      - 2
      - 0
    .max_flat_workgroup_size: 64
    .name:           _ZN7rocprim17ROCPRIM_400000_NS6detail17trampoline_kernelINS0_14default_configENS1_27scan_by_key_config_selectorIisEEZZNS1_16scan_by_key_implILNS1_25lookback_scan_determinismE0ELb1ES3_N6thrust23THRUST_200600_302600_NS6detail15normal_iteratorINS9_10device_ptrIiEEEENSB_INSC_IsEEEESG_sNS9_4plusIvEENS9_8equal_toIvEEsEE10hipError_tPvRmT2_T3_T4_T5_mT6_T7_P12ihipStream_tbENKUlT_T0_E_clISt17integral_constantIbLb1EES10_IbLb0EEEEDaSW_SX_EUlSW_E_NS1_11comp_targetILNS1_3genE9ELNS1_11target_archE1100ELNS1_3gpuE3ELNS1_3repE0EEENS1_30default_config_static_selectorELNS0_4arch9wavefront6targetE1EEEvT1_
    .private_segment_fixed_size: 0
    .sgpr_count:     6
    .sgpr_spill_count: 0
    .symbol:         _ZN7rocprim17ROCPRIM_400000_NS6detail17trampoline_kernelINS0_14default_configENS1_27scan_by_key_config_selectorIisEEZZNS1_16scan_by_key_implILNS1_25lookback_scan_determinismE0ELb1ES3_N6thrust23THRUST_200600_302600_NS6detail15normal_iteratorINS9_10device_ptrIiEEEENSB_INSC_IsEEEESG_sNS9_4plusIvEENS9_8equal_toIvEEsEE10hipError_tPvRmT2_T3_T4_T5_mT6_T7_P12ihipStream_tbENKUlT_T0_E_clISt17integral_constantIbLb1EES10_IbLb0EEEEDaSW_SX_EUlSW_E_NS1_11comp_targetILNS1_3genE9ELNS1_11target_archE1100ELNS1_3gpuE3ELNS1_3repE0EEENS1_30default_config_static_selectorELNS0_4arch9wavefront6targetE1EEEvT1_.kd
    .uniform_work_group_size: 1
    .uses_dynamic_stack: false
    .vgpr_count:     0
    .vgpr_spill_count: 0
    .wavefront_size: 64
  - .agpr_count:     0
    .args:
      - .offset:         0
        .size:           112
        .value_kind:     by_value
    .group_segment_fixed_size: 0
    .kernarg_segment_align: 8
    .kernarg_segment_size: 112
    .language:       OpenCL C
    .language_version:
      - 2
      - 0
    .max_flat_workgroup_size: 64
    .name:           _ZN7rocprim17ROCPRIM_400000_NS6detail17trampoline_kernelINS0_14default_configENS1_27scan_by_key_config_selectorIisEEZZNS1_16scan_by_key_implILNS1_25lookback_scan_determinismE0ELb1ES3_N6thrust23THRUST_200600_302600_NS6detail15normal_iteratorINS9_10device_ptrIiEEEENSB_INSC_IsEEEESG_sNS9_4plusIvEENS9_8equal_toIvEEsEE10hipError_tPvRmT2_T3_T4_T5_mT6_T7_P12ihipStream_tbENKUlT_T0_E_clISt17integral_constantIbLb1EES10_IbLb0EEEEDaSW_SX_EUlSW_E_NS1_11comp_targetILNS1_3genE8ELNS1_11target_archE1030ELNS1_3gpuE2ELNS1_3repE0EEENS1_30default_config_static_selectorELNS0_4arch9wavefront6targetE1EEEvT1_
    .private_segment_fixed_size: 0
    .sgpr_count:     6
    .sgpr_spill_count: 0
    .symbol:         _ZN7rocprim17ROCPRIM_400000_NS6detail17trampoline_kernelINS0_14default_configENS1_27scan_by_key_config_selectorIisEEZZNS1_16scan_by_key_implILNS1_25lookback_scan_determinismE0ELb1ES3_N6thrust23THRUST_200600_302600_NS6detail15normal_iteratorINS9_10device_ptrIiEEEENSB_INSC_IsEEEESG_sNS9_4plusIvEENS9_8equal_toIvEEsEE10hipError_tPvRmT2_T3_T4_T5_mT6_T7_P12ihipStream_tbENKUlT_T0_E_clISt17integral_constantIbLb1EES10_IbLb0EEEEDaSW_SX_EUlSW_E_NS1_11comp_targetILNS1_3genE8ELNS1_11target_archE1030ELNS1_3gpuE2ELNS1_3repE0EEENS1_30default_config_static_selectorELNS0_4arch9wavefront6targetE1EEEvT1_.kd
    .uniform_work_group_size: 1
    .uses_dynamic_stack: false
    .vgpr_count:     0
    .vgpr_spill_count: 0
    .wavefront_size: 64
  - .agpr_count:     0
    .args:
      - .offset:         0
        .size:           112
        .value_kind:     by_value
    .group_segment_fixed_size: 0
    .kernarg_segment_align: 8
    .kernarg_segment_size: 112
    .language:       OpenCL C
    .language_version:
      - 2
      - 0
    .max_flat_workgroup_size: 256
    .name:           _ZN7rocprim17ROCPRIM_400000_NS6detail17trampoline_kernelINS0_14default_configENS1_27scan_by_key_config_selectorIisEEZZNS1_16scan_by_key_implILNS1_25lookback_scan_determinismE0ELb1ES3_N6thrust23THRUST_200600_302600_NS6detail15normal_iteratorINS9_10device_ptrIiEEEENSB_INSC_IsEEEESG_sNS9_4plusIvEENS9_8equal_toIvEEsEE10hipError_tPvRmT2_T3_T4_T5_mT6_T7_P12ihipStream_tbENKUlT_T0_E_clISt17integral_constantIbLb0EES10_IbLb1EEEEDaSW_SX_EUlSW_E_NS1_11comp_targetILNS1_3genE0ELNS1_11target_archE4294967295ELNS1_3gpuE0ELNS1_3repE0EEENS1_30default_config_static_selectorELNS0_4arch9wavefront6targetE1EEEvT1_
    .private_segment_fixed_size: 0
    .sgpr_count:     6
    .sgpr_spill_count: 0
    .symbol:         _ZN7rocprim17ROCPRIM_400000_NS6detail17trampoline_kernelINS0_14default_configENS1_27scan_by_key_config_selectorIisEEZZNS1_16scan_by_key_implILNS1_25lookback_scan_determinismE0ELb1ES3_N6thrust23THRUST_200600_302600_NS6detail15normal_iteratorINS9_10device_ptrIiEEEENSB_INSC_IsEEEESG_sNS9_4plusIvEENS9_8equal_toIvEEsEE10hipError_tPvRmT2_T3_T4_T5_mT6_T7_P12ihipStream_tbENKUlT_T0_E_clISt17integral_constantIbLb0EES10_IbLb1EEEEDaSW_SX_EUlSW_E_NS1_11comp_targetILNS1_3genE0ELNS1_11target_archE4294967295ELNS1_3gpuE0ELNS1_3repE0EEENS1_30default_config_static_selectorELNS0_4arch9wavefront6targetE1EEEvT1_.kd
    .uniform_work_group_size: 1
    .uses_dynamic_stack: false
    .vgpr_count:     0
    .vgpr_spill_count: 0
    .wavefront_size: 64
  - .agpr_count:     0
    .args:
      - .offset:         0
        .size:           112
        .value_kind:     by_value
    .group_segment_fixed_size: 0
    .kernarg_segment_align: 8
    .kernarg_segment_size: 112
    .language:       OpenCL C
    .language_version:
      - 2
      - 0
    .max_flat_workgroup_size: 256
    .name:           _ZN7rocprim17ROCPRIM_400000_NS6detail17trampoline_kernelINS0_14default_configENS1_27scan_by_key_config_selectorIisEEZZNS1_16scan_by_key_implILNS1_25lookback_scan_determinismE0ELb1ES3_N6thrust23THRUST_200600_302600_NS6detail15normal_iteratorINS9_10device_ptrIiEEEENSB_INSC_IsEEEESG_sNS9_4plusIvEENS9_8equal_toIvEEsEE10hipError_tPvRmT2_T3_T4_T5_mT6_T7_P12ihipStream_tbENKUlT_T0_E_clISt17integral_constantIbLb0EES10_IbLb1EEEEDaSW_SX_EUlSW_E_NS1_11comp_targetILNS1_3genE10ELNS1_11target_archE1201ELNS1_3gpuE5ELNS1_3repE0EEENS1_30default_config_static_selectorELNS0_4arch9wavefront6targetE1EEEvT1_
    .private_segment_fixed_size: 0
    .sgpr_count:     6
    .sgpr_spill_count: 0
    .symbol:         _ZN7rocprim17ROCPRIM_400000_NS6detail17trampoline_kernelINS0_14default_configENS1_27scan_by_key_config_selectorIisEEZZNS1_16scan_by_key_implILNS1_25lookback_scan_determinismE0ELb1ES3_N6thrust23THRUST_200600_302600_NS6detail15normal_iteratorINS9_10device_ptrIiEEEENSB_INSC_IsEEEESG_sNS9_4plusIvEENS9_8equal_toIvEEsEE10hipError_tPvRmT2_T3_T4_T5_mT6_T7_P12ihipStream_tbENKUlT_T0_E_clISt17integral_constantIbLb0EES10_IbLb1EEEEDaSW_SX_EUlSW_E_NS1_11comp_targetILNS1_3genE10ELNS1_11target_archE1201ELNS1_3gpuE5ELNS1_3repE0EEENS1_30default_config_static_selectorELNS0_4arch9wavefront6targetE1EEEvT1_.kd
    .uniform_work_group_size: 1
    .uses_dynamic_stack: false
    .vgpr_count:     0
    .vgpr_spill_count: 0
    .wavefront_size: 64
  - .agpr_count:     0
    .args:
      - .offset:         0
        .size:           112
        .value_kind:     by_value
    .group_segment_fixed_size: 26624
    .kernarg_segment_align: 8
    .kernarg_segment_size: 112
    .language:       OpenCL C
    .language_version:
      - 2
      - 0
    .max_flat_workgroup_size: 256
    .name:           _ZN7rocprim17ROCPRIM_400000_NS6detail17trampoline_kernelINS0_14default_configENS1_27scan_by_key_config_selectorIisEEZZNS1_16scan_by_key_implILNS1_25lookback_scan_determinismE0ELb1ES3_N6thrust23THRUST_200600_302600_NS6detail15normal_iteratorINS9_10device_ptrIiEEEENSB_INSC_IsEEEESG_sNS9_4plusIvEENS9_8equal_toIvEEsEE10hipError_tPvRmT2_T3_T4_T5_mT6_T7_P12ihipStream_tbENKUlT_T0_E_clISt17integral_constantIbLb0EES10_IbLb1EEEEDaSW_SX_EUlSW_E_NS1_11comp_targetILNS1_3genE5ELNS1_11target_archE942ELNS1_3gpuE9ELNS1_3repE0EEENS1_30default_config_static_selectorELNS0_4arch9wavefront6targetE1EEEvT1_
    .private_segment_fixed_size: 0
    .sgpr_count:     81
    .sgpr_spill_count: 0
    .symbol:         _ZN7rocprim17ROCPRIM_400000_NS6detail17trampoline_kernelINS0_14default_configENS1_27scan_by_key_config_selectorIisEEZZNS1_16scan_by_key_implILNS1_25lookback_scan_determinismE0ELb1ES3_N6thrust23THRUST_200600_302600_NS6detail15normal_iteratorINS9_10device_ptrIiEEEENSB_INSC_IsEEEESG_sNS9_4plusIvEENS9_8equal_toIvEEsEE10hipError_tPvRmT2_T3_T4_T5_mT6_T7_P12ihipStream_tbENKUlT_T0_E_clISt17integral_constantIbLb0EES10_IbLb1EEEEDaSW_SX_EUlSW_E_NS1_11comp_targetILNS1_3genE5ELNS1_11target_archE942ELNS1_3gpuE9ELNS1_3repE0EEENS1_30default_config_static_selectorELNS0_4arch9wavefront6targetE1EEEvT1_.kd
    .uniform_work_group_size: 1
    .uses_dynamic_stack: false
    .vgpr_count:     64
    .vgpr_spill_count: 0
    .wavefront_size: 64
  - .agpr_count:     0
    .args:
      - .offset:         0
        .size:           112
        .value_kind:     by_value
    .group_segment_fixed_size: 0
    .kernarg_segment_align: 8
    .kernarg_segment_size: 112
    .language:       OpenCL C
    .language_version:
      - 2
      - 0
    .max_flat_workgroup_size: 64
    .name:           _ZN7rocprim17ROCPRIM_400000_NS6detail17trampoline_kernelINS0_14default_configENS1_27scan_by_key_config_selectorIisEEZZNS1_16scan_by_key_implILNS1_25lookback_scan_determinismE0ELb1ES3_N6thrust23THRUST_200600_302600_NS6detail15normal_iteratorINS9_10device_ptrIiEEEENSB_INSC_IsEEEESG_sNS9_4plusIvEENS9_8equal_toIvEEsEE10hipError_tPvRmT2_T3_T4_T5_mT6_T7_P12ihipStream_tbENKUlT_T0_E_clISt17integral_constantIbLb0EES10_IbLb1EEEEDaSW_SX_EUlSW_E_NS1_11comp_targetILNS1_3genE4ELNS1_11target_archE910ELNS1_3gpuE8ELNS1_3repE0EEENS1_30default_config_static_selectorELNS0_4arch9wavefront6targetE1EEEvT1_
    .private_segment_fixed_size: 0
    .sgpr_count:     6
    .sgpr_spill_count: 0
    .symbol:         _ZN7rocprim17ROCPRIM_400000_NS6detail17trampoline_kernelINS0_14default_configENS1_27scan_by_key_config_selectorIisEEZZNS1_16scan_by_key_implILNS1_25lookback_scan_determinismE0ELb1ES3_N6thrust23THRUST_200600_302600_NS6detail15normal_iteratorINS9_10device_ptrIiEEEENSB_INSC_IsEEEESG_sNS9_4plusIvEENS9_8equal_toIvEEsEE10hipError_tPvRmT2_T3_T4_T5_mT6_T7_P12ihipStream_tbENKUlT_T0_E_clISt17integral_constantIbLb0EES10_IbLb1EEEEDaSW_SX_EUlSW_E_NS1_11comp_targetILNS1_3genE4ELNS1_11target_archE910ELNS1_3gpuE8ELNS1_3repE0EEENS1_30default_config_static_selectorELNS0_4arch9wavefront6targetE1EEEvT1_.kd
    .uniform_work_group_size: 1
    .uses_dynamic_stack: false
    .vgpr_count:     0
    .vgpr_spill_count: 0
    .wavefront_size: 64
  - .agpr_count:     0
    .args:
      - .offset:         0
        .size:           112
        .value_kind:     by_value
    .group_segment_fixed_size: 0
    .kernarg_segment_align: 8
    .kernarg_segment_size: 112
    .language:       OpenCL C
    .language_version:
      - 2
      - 0
    .max_flat_workgroup_size: 256
    .name:           _ZN7rocprim17ROCPRIM_400000_NS6detail17trampoline_kernelINS0_14default_configENS1_27scan_by_key_config_selectorIisEEZZNS1_16scan_by_key_implILNS1_25lookback_scan_determinismE0ELb1ES3_N6thrust23THRUST_200600_302600_NS6detail15normal_iteratorINS9_10device_ptrIiEEEENSB_INSC_IsEEEESG_sNS9_4plusIvEENS9_8equal_toIvEEsEE10hipError_tPvRmT2_T3_T4_T5_mT6_T7_P12ihipStream_tbENKUlT_T0_E_clISt17integral_constantIbLb0EES10_IbLb1EEEEDaSW_SX_EUlSW_E_NS1_11comp_targetILNS1_3genE3ELNS1_11target_archE908ELNS1_3gpuE7ELNS1_3repE0EEENS1_30default_config_static_selectorELNS0_4arch9wavefront6targetE1EEEvT1_
    .private_segment_fixed_size: 0
    .sgpr_count:     6
    .sgpr_spill_count: 0
    .symbol:         _ZN7rocprim17ROCPRIM_400000_NS6detail17trampoline_kernelINS0_14default_configENS1_27scan_by_key_config_selectorIisEEZZNS1_16scan_by_key_implILNS1_25lookback_scan_determinismE0ELb1ES3_N6thrust23THRUST_200600_302600_NS6detail15normal_iteratorINS9_10device_ptrIiEEEENSB_INSC_IsEEEESG_sNS9_4plusIvEENS9_8equal_toIvEEsEE10hipError_tPvRmT2_T3_T4_T5_mT6_T7_P12ihipStream_tbENKUlT_T0_E_clISt17integral_constantIbLb0EES10_IbLb1EEEEDaSW_SX_EUlSW_E_NS1_11comp_targetILNS1_3genE3ELNS1_11target_archE908ELNS1_3gpuE7ELNS1_3repE0EEENS1_30default_config_static_selectorELNS0_4arch9wavefront6targetE1EEEvT1_.kd
    .uniform_work_group_size: 1
    .uses_dynamic_stack: false
    .vgpr_count:     0
    .vgpr_spill_count: 0
    .wavefront_size: 64
  - .agpr_count:     0
    .args:
      - .offset:         0
        .size:           112
        .value_kind:     by_value
    .group_segment_fixed_size: 0
    .kernarg_segment_align: 8
    .kernarg_segment_size: 112
    .language:       OpenCL C
    .language_version:
      - 2
      - 0
    .max_flat_workgroup_size: 64
    .name:           _ZN7rocprim17ROCPRIM_400000_NS6detail17trampoline_kernelINS0_14default_configENS1_27scan_by_key_config_selectorIisEEZZNS1_16scan_by_key_implILNS1_25lookback_scan_determinismE0ELb1ES3_N6thrust23THRUST_200600_302600_NS6detail15normal_iteratorINS9_10device_ptrIiEEEENSB_INSC_IsEEEESG_sNS9_4plusIvEENS9_8equal_toIvEEsEE10hipError_tPvRmT2_T3_T4_T5_mT6_T7_P12ihipStream_tbENKUlT_T0_E_clISt17integral_constantIbLb0EES10_IbLb1EEEEDaSW_SX_EUlSW_E_NS1_11comp_targetILNS1_3genE2ELNS1_11target_archE906ELNS1_3gpuE6ELNS1_3repE0EEENS1_30default_config_static_selectorELNS0_4arch9wavefront6targetE1EEEvT1_
    .private_segment_fixed_size: 0
    .sgpr_count:     6
    .sgpr_spill_count: 0
    .symbol:         _ZN7rocprim17ROCPRIM_400000_NS6detail17trampoline_kernelINS0_14default_configENS1_27scan_by_key_config_selectorIisEEZZNS1_16scan_by_key_implILNS1_25lookback_scan_determinismE0ELb1ES3_N6thrust23THRUST_200600_302600_NS6detail15normal_iteratorINS9_10device_ptrIiEEEENSB_INSC_IsEEEESG_sNS9_4plusIvEENS9_8equal_toIvEEsEE10hipError_tPvRmT2_T3_T4_T5_mT6_T7_P12ihipStream_tbENKUlT_T0_E_clISt17integral_constantIbLb0EES10_IbLb1EEEEDaSW_SX_EUlSW_E_NS1_11comp_targetILNS1_3genE2ELNS1_11target_archE906ELNS1_3gpuE6ELNS1_3repE0EEENS1_30default_config_static_selectorELNS0_4arch9wavefront6targetE1EEEvT1_.kd
    .uniform_work_group_size: 1
    .uses_dynamic_stack: false
    .vgpr_count:     0
    .vgpr_spill_count: 0
    .wavefront_size: 64
  - .agpr_count:     0
    .args:
      - .offset:         0
        .size:           112
        .value_kind:     by_value
    .group_segment_fixed_size: 0
    .kernarg_segment_align: 8
    .kernarg_segment_size: 112
    .language:       OpenCL C
    .language_version:
      - 2
      - 0
    .max_flat_workgroup_size: 256
    .name:           _ZN7rocprim17ROCPRIM_400000_NS6detail17trampoline_kernelINS0_14default_configENS1_27scan_by_key_config_selectorIisEEZZNS1_16scan_by_key_implILNS1_25lookback_scan_determinismE0ELb1ES3_N6thrust23THRUST_200600_302600_NS6detail15normal_iteratorINS9_10device_ptrIiEEEENSB_INSC_IsEEEESG_sNS9_4plusIvEENS9_8equal_toIvEEsEE10hipError_tPvRmT2_T3_T4_T5_mT6_T7_P12ihipStream_tbENKUlT_T0_E_clISt17integral_constantIbLb0EES10_IbLb1EEEEDaSW_SX_EUlSW_E_NS1_11comp_targetILNS1_3genE10ELNS1_11target_archE1200ELNS1_3gpuE4ELNS1_3repE0EEENS1_30default_config_static_selectorELNS0_4arch9wavefront6targetE1EEEvT1_
    .private_segment_fixed_size: 0
    .sgpr_count:     6
    .sgpr_spill_count: 0
    .symbol:         _ZN7rocprim17ROCPRIM_400000_NS6detail17trampoline_kernelINS0_14default_configENS1_27scan_by_key_config_selectorIisEEZZNS1_16scan_by_key_implILNS1_25lookback_scan_determinismE0ELb1ES3_N6thrust23THRUST_200600_302600_NS6detail15normal_iteratorINS9_10device_ptrIiEEEENSB_INSC_IsEEEESG_sNS9_4plusIvEENS9_8equal_toIvEEsEE10hipError_tPvRmT2_T3_T4_T5_mT6_T7_P12ihipStream_tbENKUlT_T0_E_clISt17integral_constantIbLb0EES10_IbLb1EEEEDaSW_SX_EUlSW_E_NS1_11comp_targetILNS1_3genE10ELNS1_11target_archE1200ELNS1_3gpuE4ELNS1_3repE0EEENS1_30default_config_static_selectorELNS0_4arch9wavefront6targetE1EEEvT1_.kd
    .uniform_work_group_size: 1
    .uses_dynamic_stack: false
    .vgpr_count:     0
    .vgpr_spill_count: 0
    .wavefront_size: 64
  - .agpr_count:     0
    .args:
      - .offset:         0
        .size:           112
        .value_kind:     by_value
    .group_segment_fixed_size: 0
    .kernarg_segment_align: 8
    .kernarg_segment_size: 112
    .language:       OpenCL C
    .language_version:
      - 2
      - 0
    .max_flat_workgroup_size: 64
    .name:           _ZN7rocprim17ROCPRIM_400000_NS6detail17trampoline_kernelINS0_14default_configENS1_27scan_by_key_config_selectorIisEEZZNS1_16scan_by_key_implILNS1_25lookback_scan_determinismE0ELb1ES3_N6thrust23THRUST_200600_302600_NS6detail15normal_iteratorINS9_10device_ptrIiEEEENSB_INSC_IsEEEESG_sNS9_4plusIvEENS9_8equal_toIvEEsEE10hipError_tPvRmT2_T3_T4_T5_mT6_T7_P12ihipStream_tbENKUlT_T0_E_clISt17integral_constantIbLb0EES10_IbLb1EEEEDaSW_SX_EUlSW_E_NS1_11comp_targetILNS1_3genE9ELNS1_11target_archE1100ELNS1_3gpuE3ELNS1_3repE0EEENS1_30default_config_static_selectorELNS0_4arch9wavefront6targetE1EEEvT1_
    .private_segment_fixed_size: 0
    .sgpr_count:     6
    .sgpr_spill_count: 0
    .symbol:         _ZN7rocprim17ROCPRIM_400000_NS6detail17trampoline_kernelINS0_14default_configENS1_27scan_by_key_config_selectorIisEEZZNS1_16scan_by_key_implILNS1_25lookback_scan_determinismE0ELb1ES3_N6thrust23THRUST_200600_302600_NS6detail15normal_iteratorINS9_10device_ptrIiEEEENSB_INSC_IsEEEESG_sNS9_4plusIvEENS9_8equal_toIvEEsEE10hipError_tPvRmT2_T3_T4_T5_mT6_T7_P12ihipStream_tbENKUlT_T0_E_clISt17integral_constantIbLb0EES10_IbLb1EEEEDaSW_SX_EUlSW_E_NS1_11comp_targetILNS1_3genE9ELNS1_11target_archE1100ELNS1_3gpuE3ELNS1_3repE0EEENS1_30default_config_static_selectorELNS0_4arch9wavefront6targetE1EEEvT1_.kd
    .uniform_work_group_size: 1
    .uses_dynamic_stack: false
    .vgpr_count:     0
    .vgpr_spill_count: 0
    .wavefront_size: 64
  - .agpr_count:     0
    .args:
      - .offset:         0
        .size:           112
        .value_kind:     by_value
    .group_segment_fixed_size: 0
    .kernarg_segment_align: 8
    .kernarg_segment_size: 112
    .language:       OpenCL C
    .language_version:
      - 2
      - 0
    .max_flat_workgroup_size: 64
    .name:           _ZN7rocprim17ROCPRIM_400000_NS6detail17trampoline_kernelINS0_14default_configENS1_27scan_by_key_config_selectorIisEEZZNS1_16scan_by_key_implILNS1_25lookback_scan_determinismE0ELb1ES3_N6thrust23THRUST_200600_302600_NS6detail15normal_iteratorINS9_10device_ptrIiEEEENSB_INSC_IsEEEESG_sNS9_4plusIvEENS9_8equal_toIvEEsEE10hipError_tPvRmT2_T3_T4_T5_mT6_T7_P12ihipStream_tbENKUlT_T0_E_clISt17integral_constantIbLb0EES10_IbLb1EEEEDaSW_SX_EUlSW_E_NS1_11comp_targetILNS1_3genE8ELNS1_11target_archE1030ELNS1_3gpuE2ELNS1_3repE0EEENS1_30default_config_static_selectorELNS0_4arch9wavefront6targetE1EEEvT1_
    .private_segment_fixed_size: 0
    .sgpr_count:     6
    .sgpr_spill_count: 0
    .symbol:         _ZN7rocprim17ROCPRIM_400000_NS6detail17trampoline_kernelINS0_14default_configENS1_27scan_by_key_config_selectorIisEEZZNS1_16scan_by_key_implILNS1_25lookback_scan_determinismE0ELb1ES3_N6thrust23THRUST_200600_302600_NS6detail15normal_iteratorINS9_10device_ptrIiEEEENSB_INSC_IsEEEESG_sNS9_4plusIvEENS9_8equal_toIvEEsEE10hipError_tPvRmT2_T3_T4_T5_mT6_T7_P12ihipStream_tbENKUlT_T0_E_clISt17integral_constantIbLb0EES10_IbLb1EEEEDaSW_SX_EUlSW_E_NS1_11comp_targetILNS1_3genE8ELNS1_11target_archE1030ELNS1_3gpuE2ELNS1_3repE0EEENS1_30default_config_static_selectorELNS0_4arch9wavefront6targetE1EEEvT1_.kd
    .uniform_work_group_size: 1
    .uses_dynamic_stack: false
    .vgpr_count:     0
    .vgpr_spill_count: 0
    .wavefront_size: 64
  - .agpr_count:     0
    .args:
      - .offset:         0
        .size:           16
        .value_kind:     by_value
      - .offset:         16
        .size:           8
        .value_kind:     by_value
      - .offset:         24
        .size:           8
        .value_kind:     by_value
    .group_segment_fixed_size: 0
    .kernarg_segment_align: 8
    .kernarg_segment_size: 32
    .language:       OpenCL C
    .language_version:
      - 2
      - 0
    .max_flat_workgroup_size: 256
    .name:           _ZN6thrust23THRUST_200600_302600_NS11hip_rocprim14__parallel_for6kernelILj256ENS1_20__uninitialized_fill7functorINS0_10device_ptrIfEEfEEmLj1EEEvT0_T1_SA_
    .private_segment_fixed_size: 0
    .sgpr_count:     14
    .sgpr_spill_count: 0
    .symbol:         _ZN6thrust23THRUST_200600_302600_NS11hip_rocprim14__parallel_for6kernelILj256ENS1_20__uninitialized_fill7functorINS0_10device_ptrIfEEfEEmLj1EEEvT0_T1_SA_.kd
    .uniform_work_group_size: 1
    .uses_dynamic_stack: false
    .vgpr_count:     4
    .vgpr_spill_count: 0
    .wavefront_size: 64
  - .agpr_count:     0
    .args:
      - .offset:         0
        .size:           112
        .value_kind:     by_value
    .group_segment_fixed_size: 0
    .kernarg_segment_align: 8
    .kernarg_segment_size: 112
    .language:       OpenCL C
    .language_version:
      - 2
      - 0
    .max_flat_workgroup_size: 256
    .name:           _ZN7rocprim17ROCPRIM_400000_NS6detail17trampoline_kernelINS0_14default_configENS1_27scan_by_key_config_selectorIijEEZZNS1_16scan_by_key_implILNS1_25lookback_scan_determinismE0ELb0ES3_N6thrust23THRUST_200600_302600_NS6detail15normal_iteratorINS9_10device_ptrIiEEEENSB_INSC_IjEEEENSB_INSC_IfEEEEjNS9_4plusIvEENS9_8equal_toIvEEjEE10hipError_tPvRmT2_T3_T4_T5_mT6_T7_P12ihipStream_tbENKUlT_T0_E_clISt17integral_constantIbLb0EES13_EEDaSY_SZ_EUlSY_E_NS1_11comp_targetILNS1_3genE0ELNS1_11target_archE4294967295ELNS1_3gpuE0ELNS1_3repE0EEENS1_30default_config_static_selectorELNS0_4arch9wavefront6targetE1EEEvT1_
    .private_segment_fixed_size: 0
    .sgpr_count:     6
    .sgpr_spill_count: 0
    .symbol:         _ZN7rocprim17ROCPRIM_400000_NS6detail17trampoline_kernelINS0_14default_configENS1_27scan_by_key_config_selectorIijEEZZNS1_16scan_by_key_implILNS1_25lookback_scan_determinismE0ELb0ES3_N6thrust23THRUST_200600_302600_NS6detail15normal_iteratorINS9_10device_ptrIiEEEENSB_INSC_IjEEEENSB_INSC_IfEEEEjNS9_4plusIvEENS9_8equal_toIvEEjEE10hipError_tPvRmT2_T3_T4_T5_mT6_T7_P12ihipStream_tbENKUlT_T0_E_clISt17integral_constantIbLb0EES13_EEDaSY_SZ_EUlSY_E_NS1_11comp_targetILNS1_3genE0ELNS1_11target_archE4294967295ELNS1_3gpuE0ELNS1_3repE0EEENS1_30default_config_static_selectorELNS0_4arch9wavefront6targetE1EEEvT1_.kd
    .uniform_work_group_size: 1
    .uses_dynamic_stack: false
    .vgpr_count:     0
    .vgpr_spill_count: 0
    .wavefront_size: 64
  - .agpr_count:     0
    .args:
      - .offset:         0
        .size:           112
        .value_kind:     by_value
    .group_segment_fixed_size: 0
    .kernarg_segment_align: 8
    .kernarg_segment_size: 112
    .language:       OpenCL C
    .language_version:
      - 2
      - 0
    .max_flat_workgroup_size: 256
    .name:           _ZN7rocprim17ROCPRIM_400000_NS6detail17trampoline_kernelINS0_14default_configENS1_27scan_by_key_config_selectorIijEEZZNS1_16scan_by_key_implILNS1_25lookback_scan_determinismE0ELb0ES3_N6thrust23THRUST_200600_302600_NS6detail15normal_iteratorINS9_10device_ptrIiEEEENSB_INSC_IjEEEENSB_INSC_IfEEEEjNS9_4plusIvEENS9_8equal_toIvEEjEE10hipError_tPvRmT2_T3_T4_T5_mT6_T7_P12ihipStream_tbENKUlT_T0_E_clISt17integral_constantIbLb0EES13_EEDaSY_SZ_EUlSY_E_NS1_11comp_targetILNS1_3genE10ELNS1_11target_archE1201ELNS1_3gpuE5ELNS1_3repE0EEENS1_30default_config_static_selectorELNS0_4arch9wavefront6targetE1EEEvT1_
    .private_segment_fixed_size: 0
    .sgpr_count:     6
    .sgpr_spill_count: 0
    .symbol:         _ZN7rocprim17ROCPRIM_400000_NS6detail17trampoline_kernelINS0_14default_configENS1_27scan_by_key_config_selectorIijEEZZNS1_16scan_by_key_implILNS1_25lookback_scan_determinismE0ELb0ES3_N6thrust23THRUST_200600_302600_NS6detail15normal_iteratorINS9_10device_ptrIiEEEENSB_INSC_IjEEEENSB_INSC_IfEEEEjNS9_4plusIvEENS9_8equal_toIvEEjEE10hipError_tPvRmT2_T3_T4_T5_mT6_T7_P12ihipStream_tbENKUlT_T0_E_clISt17integral_constantIbLb0EES13_EEDaSY_SZ_EUlSY_E_NS1_11comp_targetILNS1_3genE10ELNS1_11target_archE1201ELNS1_3gpuE5ELNS1_3repE0EEENS1_30default_config_static_selectorELNS0_4arch9wavefront6targetE1EEEvT1_.kd
    .uniform_work_group_size: 1
    .uses_dynamic_stack: false
    .vgpr_count:     0
    .vgpr_spill_count: 0
    .wavefront_size: 64
  - .agpr_count:     0
    .args:
      - .offset:         0
        .size:           112
        .value_kind:     by_value
    .group_segment_fixed_size: 25600
    .kernarg_segment_align: 8
    .kernarg_segment_size: 112
    .language:       OpenCL C
    .language_version:
      - 2
      - 0
    .max_flat_workgroup_size: 256
    .name:           _ZN7rocprim17ROCPRIM_400000_NS6detail17trampoline_kernelINS0_14default_configENS1_27scan_by_key_config_selectorIijEEZZNS1_16scan_by_key_implILNS1_25lookback_scan_determinismE0ELb0ES3_N6thrust23THRUST_200600_302600_NS6detail15normal_iteratorINS9_10device_ptrIiEEEENSB_INSC_IjEEEENSB_INSC_IfEEEEjNS9_4plusIvEENS9_8equal_toIvEEjEE10hipError_tPvRmT2_T3_T4_T5_mT6_T7_P12ihipStream_tbENKUlT_T0_E_clISt17integral_constantIbLb0EES13_EEDaSY_SZ_EUlSY_E_NS1_11comp_targetILNS1_3genE5ELNS1_11target_archE942ELNS1_3gpuE9ELNS1_3repE0EEENS1_30default_config_static_selectorELNS0_4arch9wavefront6targetE1EEEvT1_
    .private_segment_fixed_size: 0
    .sgpr_count:     88
    .sgpr_spill_count: 0
    .symbol:         _ZN7rocprim17ROCPRIM_400000_NS6detail17trampoline_kernelINS0_14default_configENS1_27scan_by_key_config_selectorIijEEZZNS1_16scan_by_key_implILNS1_25lookback_scan_determinismE0ELb0ES3_N6thrust23THRUST_200600_302600_NS6detail15normal_iteratorINS9_10device_ptrIiEEEENSB_INSC_IjEEEENSB_INSC_IfEEEEjNS9_4plusIvEENS9_8equal_toIvEEjEE10hipError_tPvRmT2_T3_T4_T5_mT6_T7_P12ihipStream_tbENKUlT_T0_E_clISt17integral_constantIbLb0EES13_EEDaSY_SZ_EUlSY_E_NS1_11comp_targetILNS1_3genE5ELNS1_11target_archE942ELNS1_3gpuE9ELNS1_3repE0EEENS1_30default_config_static_selectorELNS0_4arch9wavefront6targetE1EEEvT1_.kd
    .uniform_work_group_size: 1
    .uses_dynamic_stack: false
    .vgpr_count:     81
    .vgpr_spill_count: 0
    .wavefront_size: 64
  - .agpr_count:     0
    .args:
      - .offset:         0
        .size:           112
        .value_kind:     by_value
    .group_segment_fixed_size: 0
    .kernarg_segment_align: 8
    .kernarg_segment_size: 112
    .language:       OpenCL C
    .language_version:
      - 2
      - 0
    .max_flat_workgroup_size: 256
    .name:           _ZN7rocprim17ROCPRIM_400000_NS6detail17trampoline_kernelINS0_14default_configENS1_27scan_by_key_config_selectorIijEEZZNS1_16scan_by_key_implILNS1_25lookback_scan_determinismE0ELb0ES3_N6thrust23THRUST_200600_302600_NS6detail15normal_iteratorINS9_10device_ptrIiEEEENSB_INSC_IjEEEENSB_INSC_IfEEEEjNS9_4plusIvEENS9_8equal_toIvEEjEE10hipError_tPvRmT2_T3_T4_T5_mT6_T7_P12ihipStream_tbENKUlT_T0_E_clISt17integral_constantIbLb0EES13_EEDaSY_SZ_EUlSY_E_NS1_11comp_targetILNS1_3genE4ELNS1_11target_archE910ELNS1_3gpuE8ELNS1_3repE0EEENS1_30default_config_static_selectorELNS0_4arch9wavefront6targetE1EEEvT1_
    .private_segment_fixed_size: 0
    .sgpr_count:     6
    .sgpr_spill_count: 0
    .symbol:         _ZN7rocprim17ROCPRIM_400000_NS6detail17trampoline_kernelINS0_14default_configENS1_27scan_by_key_config_selectorIijEEZZNS1_16scan_by_key_implILNS1_25lookback_scan_determinismE0ELb0ES3_N6thrust23THRUST_200600_302600_NS6detail15normal_iteratorINS9_10device_ptrIiEEEENSB_INSC_IjEEEENSB_INSC_IfEEEEjNS9_4plusIvEENS9_8equal_toIvEEjEE10hipError_tPvRmT2_T3_T4_T5_mT6_T7_P12ihipStream_tbENKUlT_T0_E_clISt17integral_constantIbLb0EES13_EEDaSY_SZ_EUlSY_E_NS1_11comp_targetILNS1_3genE4ELNS1_11target_archE910ELNS1_3gpuE8ELNS1_3repE0EEENS1_30default_config_static_selectorELNS0_4arch9wavefront6targetE1EEEvT1_.kd
    .uniform_work_group_size: 1
    .uses_dynamic_stack: false
    .vgpr_count:     0
    .vgpr_spill_count: 0
    .wavefront_size: 64
  - .agpr_count:     0
    .args:
      - .offset:         0
        .size:           112
        .value_kind:     by_value
    .group_segment_fixed_size: 0
    .kernarg_segment_align: 8
    .kernarg_segment_size: 112
    .language:       OpenCL C
    .language_version:
      - 2
      - 0
    .max_flat_workgroup_size: 256
    .name:           _ZN7rocprim17ROCPRIM_400000_NS6detail17trampoline_kernelINS0_14default_configENS1_27scan_by_key_config_selectorIijEEZZNS1_16scan_by_key_implILNS1_25lookback_scan_determinismE0ELb0ES3_N6thrust23THRUST_200600_302600_NS6detail15normal_iteratorINS9_10device_ptrIiEEEENSB_INSC_IjEEEENSB_INSC_IfEEEEjNS9_4plusIvEENS9_8equal_toIvEEjEE10hipError_tPvRmT2_T3_T4_T5_mT6_T7_P12ihipStream_tbENKUlT_T0_E_clISt17integral_constantIbLb0EES13_EEDaSY_SZ_EUlSY_E_NS1_11comp_targetILNS1_3genE3ELNS1_11target_archE908ELNS1_3gpuE7ELNS1_3repE0EEENS1_30default_config_static_selectorELNS0_4arch9wavefront6targetE1EEEvT1_
    .private_segment_fixed_size: 0
    .sgpr_count:     6
    .sgpr_spill_count: 0
    .symbol:         _ZN7rocprim17ROCPRIM_400000_NS6detail17trampoline_kernelINS0_14default_configENS1_27scan_by_key_config_selectorIijEEZZNS1_16scan_by_key_implILNS1_25lookback_scan_determinismE0ELb0ES3_N6thrust23THRUST_200600_302600_NS6detail15normal_iteratorINS9_10device_ptrIiEEEENSB_INSC_IjEEEENSB_INSC_IfEEEEjNS9_4plusIvEENS9_8equal_toIvEEjEE10hipError_tPvRmT2_T3_T4_T5_mT6_T7_P12ihipStream_tbENKUlT_T0_E_clISt17integral_constantIbLb0EES13_EEDaSY_SZ_EUlSY_E_NS1_11comp_targetILNS1_3genE3ELNS1_11target_archE908ELNS1_3gpuE7ELNS1_3repE0EEENS1_30default_config_static_selectorELNS0_4arch9wavefront6targetE1EEEvT1_.kd
    .uniform_work_group_size: 1
    .uses_dynamic_stack: false
    .vgpr_count:     0
    .vgpr_spill_count: 0
    .wavefront_size: 64
  - .agpr_count:     0
    .args:
      - .offset:         0
        .size:           112
        .value_kind:     by_value
    .group_segment_fixed_size: 0
    .kernarg_segment_align: 8
    .kernarg_segment_size: 112
    .language:       OpenCL C
    .language_version:
      - 2
      - 0
    .max_flat_workgroup_size: 256
    .name:           _ZN7rocprim17ROCPRIM_400000_NS6detail17trampoline_kernelINS0_14default_configENS1_27scan_by_key_config_selectorIijEEZZNS1_16scan_by_key_implILNS1_25lookback_scan_determinismE0ELb0ES3_N6thrust23THRUST_200600_302600_NS6detail15normal_iteratorINS9_10device_ptrIiEEEENSB_INSC_IjEEEENSB_INSC_IfEEEEjNS9_4plusIvEENS9_8equal_toIvEEjEE10hipError_tPvRmT2_T3_T4_T5_mT6_T7_P12ihipStream_tbENKUlT_T0_E_clISt17integral_constantIbLb0EES13_EEDaSY_SZ_EUlSY_E_NS1_11comp_targetILNS1_3genE2ELNS1_11target_archE906ELNS1_3gpuE6ELNS1_3repE0EEENS1_30default_config_static_selectorELNS0_4arch9wavefront6targetE1EEEvT1_
    .private_segment_fixed_size: 0
    .sgpr_count:     6
    .sgpr_spill_count: 0
    .symbol:         _ZN7rocprim17ROCPRIM_400000_NS6detail17trampoline_kernelINS0_14default_configENS1_27scan_by_key_config_selectorIijEEZZNS1_16scan_by_key_implILNS1_25lookback_scan_determinismE0ELb0ES3_N6thrust23THRUST_200600_302600_NS6detail15normal_iteratorINS9_10device_ptrIiEEEENSB_INSC_IjEEEENSB_INSC_IfEEEEjNS9_4plusIvEENS9_8equal_toIvEEjEE10hipError_tPvRmT2_T3_T4_T5_mT6_T7_P12ihipStream_tbENKUlT_T0_E_clISt17integral_constantIbLb0EES13_EEDaSY_SZ_EUlSY_E_NS1_11comp_targetILNS1_3genE2ELNS1_11target_archE906ELNS1_3gpuE6ELNS1_3repE0EEENS1_30default_config_static_selectorELNS0_4arch9wavefront6targetE1EEEvT1_.kd
    .uniform_work_group_size: 1
    .uses_dynamic_stack: false
    .vgpr_count:     0
    .vgpr_spill_count: 0
    .wavefront_size: 64
  - .agpr_count:     0
    .args:
      - .offset:         0
        .size:           112
        .value_kind:     by_value
    .group_segment_fixed_size: 0
    .kernarg_segment_align: 8
    .kernarg_segment_size: 112
    .language:       OpenCL C
    .language_version:
      - 2
      - 0
    .max_flat_workgroup_size: 256
    .name:           _ZN7rocprim17ROCPRIM_400000_NS6detail17trampoline_kernelINS0_14default_configENS1_27scan_by_key_config_selectorIijEEZZNS1_16scan_by_key_implILNS1_25lookback_scan_determinismE0ELb0ES3_N6thrust23THRUST_200600_302600_NS6detail15normal_iteratorINS9_10device_ptrIiEEEENSB_INSC_IjEEEENSB_INSC_IfEEEEjNS9_4plusIvEENS9_8equal_toIvEEjEE10hipError_tPvRmT2_T3_T4_T5_mT6_T7_P12ihipStream_tbENKUlT_T0_E_clISt17integral_constantIbLb0EES13_EEDaSY_SZ_EUlSY_E_NS1_11comp_targetILNS1_3genE10ELNS1_11target_archE1200ELNS1_3gpuE4ELNS1_3repE0EEENS1_30default_config_static_selectorELNS0_4arch9wavefront6targetE1EEEvT1_
    .private_segment_fixed_size: 0
    .sgpr_count:     6
    .sgpr_spill_count: 0
    .symbol:         _ZN7rocprim17ROCPRIM_400000_NS6detail17trampoline_kernelINS0_14default_configENS1_27scan_by_key_config_selectorIijEEZZNS1_16scan_by_key_implILNS1_25lookback_scan_determinismE0ELb0ES3_N6thrust23THRUST_200600_302600_NS6detail15normal_iteratorINS9_10device_ptrIiEEEENSB_INSC_IjEEEENSB_INSC_IfEEEEjNS9_4plusIvEENS9_8equal_toIvEEjEE10hipError_tPvRmT2_T3_T4_T5_mT6_T7_P12ihipStream_tbENKUlT_T0_E_clISt17integral_constantIbLb0EES13_EEDaSY_SZ_EUlSY_E_NS1_11comp_targetILNS1_3genE10ELNS1_11target_archE1200ELNS1_3gpuE4ELNS1_3repE0EEENS1_30default_config_static_selectorELNS0_4arch9wavefront6targetE1EEEvT1_.kd
    .uniform_work_group_size: 1
    .uses_dynamic_stack: false
    .vgpr_count:     0
    .vgpr_spill_count: 0
    .wavefront_size: 64
  - .agpr_count:     0
    .args:
      - .offset:         0
        .size:           112
        .value_kind:     by_value
    .group_segment_fixed_size: 0
    .kernarg_segment_align: 8
    .kernarg_segment_size: 112
    .language:       OpenCL C
    .language_version:
      - 2
      - 0
    .max_flat_workgroup_size: 256
    .name:           _ZN7rocprim17ROCPRIM_400000_NS6detail17trampoline_kernelINS0_14default_configENS1_27scan_by_key_config_selectorIijEEZZNS1_16scan_by_key_implILNS1_25lookback_scan_determinismE0ELb0ES3_N6thrust23THRUST_200600_302600_NS6detail15normal_iteratorINS9_10device_ptrIiEEEENSB_INSC_IjEEEENSB_INSC_IfEEEEjNS9_4plusIvEENS9_8equal_toIvEEjEE10hipError_tPvRmT2_T3_T4_T5_mT6_T7_P12ihipStream_tbENKUlT_T0_E_clISt17integral_constantIbLb0EES13_EEDaSY_SZ_EUlSY_E_NS1_11comp_targetILNS1_3genE9ELNS1_11target_archE1100ELNS1_3gpuE3ELNS1_3repE0EEENS1_30default_config_static_selectorELNS0_4arch9wavefront6targetE1EEEvT1_
    .private_segment_fixed_size: 0
    .sgpr_count:     6
    .sgpr_spill_count: 0
    .symbol:         _ZN7rocprim17ROCPRIM_400000_NS6detail17trampoline_kernelINS0_14default_configENS1_27scan_by_key_config_selectorIijEEZZNS1_16scan_by_key_implILNS1_25lookback_scan_determinismE0ELb0ES3_N6thrust23THRUST_200600_302600_NS6detail15normal_iteratorINS9_10device_ptrIiEEEENSB_INSC_IjEEEENSB_INSC_IfEEEEjNS9_4plusIvEENS9_8equal_toIvEEjEE10hipError_tPvRmT2_T3_T4_T5_mT6_T7_P12ihipStream_tbENKUlT_T0_E_clISt17integral_constantIbLb0EES13_EEDaSY_SZ_EUlSY_E_NS1_11comp_targetILNS1_3genE9ELNS1_11target_archE1100ELNS1_3gpuE3ELNS1_3repE0EEENS1_30default_config_static_selectorELNS0_4arch9wavefront6targetE1EEEvT1_.kd
    .uniform_work_group_size: 1
    .uses_dynamic_stack: false
    .vgpr_count:     0
    .vgpr_spill_count: 0
    .wavefront_size: 64
  - .agpr_count:     0
    .args:
      - .offset:         0
        .size:           112
        .value_kind:     by_value
    .group_segment_fixed_size: 0
    .kernarg_segment_align: 8
    .kernarg_segment_size: 112
    .language:       OpenCL C
    .language_version:
      - 2
      - 0
    .max_flat_workgroup_size: 256
    .name:           _ZN7rocprim17ROCPRIM_400000_NS6detail17trampoline_kernelINS0_14default_configENS1_27scan_by_key_config_selectorIijEEZZNS1_16scan_by_key_implILNS1_25lookback_scan_determinismE0ELb0ES3_N6thrust23THRUST_200600_302600_NS6detail15normal_iteratorINS9_10device_ptrIiEEEENSB_INSC_IjEEEENSB_INSC_IfEEEEjNS9_4plusIvEENS9_8equal_toIvEEjEE10hipError_tPvRmT2_T3_T4_T5_mT6_T7_P12ihipStream_tbENKUlT_T0_E_clISt17integral_constantIbLb0EES13_EEDaSY_SZ_EUlSY_E_NS1_11comp_targetILNS1_3genE8ELNS1_11target_archE1030ELNS1_3gpuE2ELNS1_3repE0EEENS1_30default_config_static_selectorELNS0_4arch9wavefront6targetE1EEEvT1_
    .private_segment_fixed_size: 0
    .sgpr_count:     6
    .sgpr_spill_count: 0
    .symbol:         _ZN7rocprim17ROCPRIM_400000_NS6detail17trampoline_kernelINS0_14default_configENS1_27scan_by_key_config_selectorIijEEZZNS1_16scan_by_key_implILNS1_25lookback_scan_determinismE0ELb0ES3_N6thrust23THRUST_200600_302600_NS6detail15normal_iteratorINS9_10device_ptrIiEEEENSB_INSC_IjEEEENSB_INSC_IfEEEEjNS9_4plusIvEENS9_8equal_toIvEEjEE10hipError_tPvRmT2_T3_T4_T5_mT6_T7_P12ihipStream_tbENKUlT_T0_E_clISt17integral_constantIbLb0EES13_EEDaSY_SZ_EUlSY_E_NS1_11comp_targetILNS1_3genE8ELNS1_11target_archE1030ELNS1_3gpuE2ELNS1_3repE0EEENS1_30default_config_static_selectorELNS0_4arch9wavefront6targetE1EEEvT1_.kd
    .uniform_work_group_size: 1
    .uses_dynamic_stack: false
    .vgpr_count:     0
    .vgpr_spill_count: 0
    .wavefront_size: 64
  - .agpr_count:     0
    .args:
      - .offset:         0
        .size:           112
        .value_kind:     by_value
    .group_segment_fixed_size: 0
    .kernarg_segment_align: 8
    .kernarg_segment_size: 112
    .language:       OpenCL C
    .language_version:
      - 2
      - 0
    .max_flat_workgroup_size: 256
    .name:           _ZN7rocprim17ROCPRIM_400000_NS6detail17trampoline_kernelINS0_14default_configENS1_27scan_by_key_config_selectorIijEEZZNS1_16scan_by_key_implILNS1_25lookback_scan_determinismE0ELb0ES3_N6thrust23THRUST_200600_302600_NS6detail15normal_iteratorINS9_10device_ptrIiEEEENSB_INSC_IjEEEENSB_INSC_IfEEEEjNS9_4plusIvEENS9_8equal_toIvEEjEE10hipError_tPvRmT2_T3_T4_T5_mT6_T7_P12ihipStream_tbENKUlT_T0_E_clISt17integral_constantIbLb1EES13_EEDaSY_SZ_EUlSY_E_NS1_11comp_targetILNS1_3genE0ELNS1_11target_archE4294967295ELNS1_3gpuE0ELNS1_3repE0EEENS1_30default_config_static_selectorELNS0_4arch9wavefront6targetE1EEEvT1_
    .private_segment_fixed_size: 0
    .sgpr_count:     6
    .sgpr_spill_count: 0
    .symbol:         _ZN7rocprim17ROCPRIM_400000_NS6detail17trampoline_kernelINS0_14default_configENS1_27scan_by_key_config_selectorIijEEZZNS1_16scan_by_key_implILNS1_25lookback_scan_determinismE0ELb0ES3_N6thrust23THRUST_200600_302600_NS6detail15normal_iteratorINS9_10device_ptrIiEEEENSB_INSC_IjEEEENSB_INSC_IfEEEEjNS9_4plusIvEENS9_8equal_toIvEEjEE10hipError_tPvRmT2_T3_T4_T5_mT6_T7_P12ihipStream_tbENKUlT_T0_E_clISt17integral_constantIbLb1EES13_EEDaSY_SZ_EUlSY_E_NS1_11comp_targetILNS1_3genE0ELNS1_11target_archE4294967295ELNS1_3gpuE0ELNS1_3repE0EEENS1_30default_config_static_selectorELNS0_4arch9wavefront6targetE1EEEvT1_.kd
    .uniform_work_group_size: 1
    .uses_dynamic_stack: false
    .vgpr_count:     0
    .vgpr_spill_count: 0
    .wavefront_size: 64
  - .agpr_count:     0
    .args:
      - .offset:         0
        .size:           112
        .value_kind:     by_value
    .group_segment_fixed_size: 0
    .kernarg_segment_align: 8
    .kernarg_segment_size: 112
    .language:       OpenCL C
    .language_version:
      - 2
      - 0
    .max_flat_workgroup_size: 256
    .name:           _ZN7rocprim17ROCPRIM_400000_NS6detail17trampoline_kernelINS0_14default_configENS1_27scan_by_key_config_selectorIijEEZZNS1_16scan_by_key_implILNS1_25lookback_scan_determinismE0ELb0ES3_N6thrust23THRUST_200600_302600_NS6detail15normal_iteratorINS9_10device_ptrIiEEEENSB_INSC_IjEEEENSB_INSC_IfEEEEjNS9_4plusIvEENS9_8equal_toIvEEjEE10hipError_tPvRmT2_T3_T4_T5_mT6_T7_P12ihipStream_tbENKUlT_T0_E_clISt17integral_constantIbLb1EES13_EEDaSY_SZ_EUlSY_E_NS1_11comp_targetILNS1_3genE10ELNS1_11target_archE1201ELNS1_3gpuE5ELNS1_3repE0EEENS1_30default_config_static_selectorELNS0_4arch9wavefront6targetE1EEEvT1_
    .private_segment_fixed_size: 0
    .sgpr_count:     6
    .sgpr_spill_count: 0
    .symbol:         _ZN7rocprim17ROCPRIM_400000_NS6detail17trampoline_kernelINS0_14default_configENS1_27scan_by_key_config_selectorIijEEZZNS1_16scan_by_key_implILNS1_25lookback_scan_determinismE0ELb0ES3_N6thrust23THRUST_200600_302600_NS6detail15normal_iteratorINS9_10device_ptrIiEEEENSB_INSC_IjEEEENSB_INSC_IfEEEEjNS9_4plusIvEENS9_8equal_toIvEEjEE10hipError_tPvRmT2_T3_T4_T5_mT6_T7_P12ihipStream_tbENKUlT_T0_E_clISt17integral_constantIbLb1EES13_EEDaSY_SZ_EUlSY_E_NS1_11comp_targetILNS1_3genE10ELNS1_11target_archE1201ELNS1_3gpuE5ELNS1_3repE0EEENS1_30default_config_static_selectorELNS0_4arch9wavefront6targetE1EEEvT1_.kd
    .uniform_work_group_size: 1
    .uses_dynamic_stack: false
    .vgpr_count:     0
    .vgpr_spill_count: 0
    .wavefront_size: 64
  - .agpr_count:     0
    .args:
      - .offset:         0
        .size:           112
        .value_kind:     by_value
    .group_segment_fixed_size: 25600
    .kernarg_segment_align: 8
    .kernarg_segment_size: 112
    .language:       OpenCL C
    .language_version:
      - 2
      - 0
    .max_flat_workgroup_size: 256
    .name:           _ZN7rocprim17ROCPRIM_400000_NS6detail17trampoline_kernelINS0_14default_configENS1_27scan_by_key_config_selectorIijEEZZNS1_16scan_by_key_implILNS1_25lookback_scan_determinismE0ELb0ES3_N6thrust23THRUST_200600_302600_NS6detail15normal_iteratorINS9_10device_ptrIiEEEENSB_INSC_IjEEEENSB_INSC_IfEEEEjNS9_4plusIvEENS9_8equal_toIvEEjEE10hipError_tPvRmT2_T3_T4_T5_mT6_T7_P12ihipStream_tbENKUlT_T0_E_clISt17integral_constantIbLb1EES13_EEDaSY_SZ_EUlSY_E_NS1_11comp_targetILNS1_3genE5ELNS1_11target_archE942ELNS1_3gpuE9ELNS1_3repE0EEENS1_30default_config_static_selectorELNS0_4arch9wavefront6targetE1EEEvT1_
    .private_segment_fixed_size: 0
    .sgpr_count:     91
    .sgpr_spill_count: 0
    .symbol:         _ZN7rocprim17ROCPRIM_400000_NS6detail17trampoline_kernelINS0_14default_configENS1_27scan_by_key_config_selectorIijEEZZNS1_16scan_by_key_implILNS1_25lookback_scan_determinismE0ELb0ES3_N6thrust23THRUST_200600_302600_NS6detail15normal_iteratorINS9_10device_ptrIiEEEENSB_INSC_IjEEEENSB_INSC_IfEEEEjNS9_4plusIvEENS9_8equal_toIvEEjEE10hipError_tPvRmT2_T3_T4_T5_mT6_T7_P12ihipStream_tbENKUlT_T0_E_clISt17integral_constantIbLb1EES13_EEDaSY_SZ_EUlSY_E_NS1_11comp_targetILNS1_3genE5ELNS1_11target_archE942ELNS1_3gpuE9ELNS1_3repE0EEENS1_30default_config_static_selectorELNS0_4arch9wavefront6targetE1EEEvT1_.kd
    .uniform_work_group_size: 1
    .uses_dynamic_stack: false
    .vgpr_count:     81
    .vgpr_spill_count: 0
    .wavefront_size: 64
  - .agpr_count:     0
    .args:
      - .offset:         0
        .size:           112
        .value_kind:     by_value
    .group_segment_fixed_size: 0
    .kernarg_segment_align: 8
    .kernarg_segment_size: 112
    .language:       OpenCL C
    .language_version:
      - 2
      - 0
    .max_flat_workgroup_size: 256
    .name:           _ZN7rocprim17ROCPRIM_400000_NS6detail17trampoline_kernelINS0_14default_configENS1_27scan_by_key_config_selectorIijEEZZNS1_16scan_by_key_implILNS1_25lookback_scan_determinismE0ELb0ES3_N6thrust23THRUST_200600_302600_NS6detail15normal_iteratorINS9_10device_ptrIiEEEENSB_INSC_IjEEEENSB_INSC_IfEEEEjNS9_4plusIvEENS9_8equal_toIvEEjEE10hipError_tPvRmT2_T3_T4_T5_mT6_T7_P12ihipStream_tbENKUlT_T0_E_clISt17integral_constantIbLb1EES13_EEDaSY_SZ_EUlSY_E_NS1_11comp_targetILNS1_3genE4ELNS1_11target_archE910ELNS1_3gpuE8ELNS1_3repE0EEENS1_30default_config_static_selectorELNS0_4arch9wavefront6targetE1EEEvT1_
    .private_segment_fixed_size: 0
    .sgpr_count:     6
    .sgpr_spill_count: 0
    .symbol:         _ZN7rocprim17ROCPRIM_400000_NS6detail17trampoline_kernelINS0_14default_configENS1_27scan_by_key_config_selectorIijEEZZNS1_16scan_by_key_implILNS1_25lookback_scan_determinismE0ELb0ES3_N6thrust23THRUST_200600_302600_NS6detail15normal_iteratorINS9_10device_ptrIiEEEENSB_INSC_IjEEEENSB_INSC_IfEEEEjNS9_4plusIvEENS9_8equal_toIvEEjEE10hipError_tPvRmT2_T3_T4_T5_mT6_T7_P12ihipStream_tbENKUlT_T0_E_clISt17integral_constantIbLb1EES13_EEDaSY_SZ_EUlSY_E_NS1_11comp_targetILNS1_3genE4ELNS1_11target_archE910ELNS1_3gpuE8ELNS1_3repE0EEENS1_30default_config_static_selectorELNS0_4arch9wavefront6targetE1EEEvT1_.kd
    .uniform_work_group_size: 1
    .uses_dynamic_stack: false
    .vgpr_count:     0
    .vgpr_spill_count: 0
    .wavefront_size: 64
  - .agpr_count:     0
    .args:
      - .offset:         0
        .size:           112
        .value_kind:     by_value
    .group_segment_fixed_size: 0
    .kernarg_segment_align: 8
    .kernarg_segment_size: 112
    .language:       OpenCL C
    .language_version:
      - 2
      - 0
    .max_flat_workgroup_size: 256
    .name:           _ZN7rocprim17ROCPRIM_400000_NS6detail17trampoline_kernelINS0_14default_configENS1_27scan_by_key_config_selectorIijEEZZNS1_16scan_by_key_implILNS1_25lookback_scan_determinismE0ELb0ES3_N6thrust23THRUST_200600_302600_NS6detail15normal_iteratorINS9_10device_ptrIiEEEENSB_INSC_IjEEEENSB_INSC_IfEEEEjNS9_4plusIvEENS9_8equal_toIvEEjEE10hipError_tPvRmT2_T3_T4_T5_mT6_T7_P12ihipStream_tbENKUlT_T0_E_clISt17integral_constantIbLb1EES13_EEDaSY_SZ_EUlSY_E_NS1_11comp_targetILNS1_3genE3ELNS1_11target_archE908ELNS1_3gpuE7ELNS1_3repE0EEENS1_30default_config_static_selectorELNS0_4arch9wavefront6targetE1EEEvT1_
    .private_segment_fixed_size: 0
    .sgpr_count:     6
    .sgpr_spill_count: 0
    .symbol:         _ZN7rocprim17ROCPRIM_400000_NS6detail17trampoline_kernelINS0_14default_configENS1_27scan_by_key_config_selectorIijEEZZNS1_16scan_by_key_implILNS1_25lookback_scan_determinismE0ELb0ES3_N6thrust23THRUST_200600_302600_NS6detail15normal_iteratorINS9_10device_ptrIiEEEENSB_INSC_IjEEEENSB_INSC_IfEEEEjNS9_4plusIvEENS9_8equal_toIvEEjEE10hipError_tPvRmT2_T3_T4_T5_mT6_T7_P12ihipStream_tbENKUlT_T0_E_clISt17integral_constantIbLb1EES13_EEDaSY_SZ_EUlSY_E_NS1_11comp_targetILNS1_3genE3ELNS1_11target_archE908ELNS1_3gpuE7ELNS1_3repE0EEENS1_30default_config_static_selectorELNS0_4arch9wavefront6targetE1EEEvT1_.kd
    .uniform_work_group_size: 1
    .uses_dynamic_stack: false
    .vgpr_count:     0
    .vgpr_spill_count: 0
    .wavefront_size: 64
  - .agpr_count:     0
    .args:
      - .offset:         0
        .size:           112
        .value_kind:     by_value
    .group_segment_fixed_size: 0
    .kernarg_segment_align: 8
    .kernarg_segment_size: 112
    .language:       OpenCL C
    .language_version:
      - 2
      - 0
    .max_flat_workgroup_size: 256
    .name:           _ZN7rocprim17ROCPRIM_400000_NS6detail17trampoline_kernelINS0_14default_configENS1_27scan_by_key_config_selectorIijEEZZNS1_16scan_by_key_implILNS1_25lookback_scan_determinismE0ELb0ES3_N6thrust23THRUST_200600_302600_NS6detail15normal_iteratorINS9_10device_ptrIiEEEENSB_INSC_IjEEEENSB_INSC_IfEEEEjNS9_4plusIvEENS9_8equal_toIvEEjEE10hipError_tPvRmT2_T3_T4_T5_mT6_T7_P12ihipStream_tbENKUlT_T0_E_clISt17integral_constantIbLb1EES13_EEDaSY_SZ_EUlSY_E_NS1_11comp_targetILNS1_3genE2ELNS1_11target_archE906ELNS1_3gpuE6ELNS1_3repE0EEENS1_30default_config_static_selectorELNS0_4arch9wavefront6targetE1EEEvT1_
    .private_segment_fixed_size: 0
    .sgpr_count:     6
    .sgpr_spill_count: 0
    .symbol:         _ZN7rocprim17ROCPRIM_400000_NS6detail17trampoline_kernelINS0_14default_configENS1_27scan_by_key_config_selectorIijEEZZNS1_16scan_by_key_implILNS1_25lookback_scan_determinismE0ELb0ES3_N6thrust23THRUST_200600_302600_NS6detail15normal_iteratorINS9_10device_ptrIiEEEENSB_INSC_IjEEEENSB_INSC_IfEEEEjNS9_4plusIvEENS9_8equal_toIvEEjEE10hipError_tPvRmT2_T3_T4_T5_mT6_T7_P12ihipStream_tbENKUlT_T0_E_clISt17integral_constantIbLb1EES13_EEDaSY_SZ_EUlSY_E_NS1_11comp_targetILNS1_3genE2ELNS1_11target_archE906ELNS1_3gpuE6ELNS1_3repE0EEENS1_30default_config_static_selectorELNS0_4arch9wavefront6targetE1EEEvT1_.kd
    .uniform_work_group_size: 1
    .uses_dynamic_stack: false
    .vgpr_count:     0
    .vgpr_spill_count: 0
    .wavefront_size: 64
  - .agpr_count:     0
    .args:
      - .offset:         0
        .size:           112
        .value_kind:     by_value
    .group_segment_fixed_size: 0
    .kernarg_segment_align: 8
    .kernarg_segment_size: 112
    .language:       OpenCL C
    .language_version:
      - 2
      - 0
    .max_flat_workgroup_size: 256
    .name:           _ZN7rocprim17ROCPRIM_400000_NS6detail17trampoline_kernelINS0_14default_configENS1_27scan_by_key_config_selectorIijEEZZNS1_16scan_by_key_implILNS1_25lookback_scan_determinismE0ELb0ES3_N6thrust23THRUST_200600_302600_NS6detail15normal_iteratorINS9_10device_ptrIiEEEENSB_INSC_IjEEEENSB_INSC_IfEEEEjNS9_4plusIvEENS9_8equal_toIvEEjEE10hipError_tPvRmT2_T3_T4_T5_mT6_T7_P12ihipStream_tbENKUlT_T0_E_clISt17integral_constantIbLb1EES13_EEDaSY_SZ_EUlSY_E_NS1_11comp_targetILNS1_3genE10ELNS1_11target_archE1200ELNS1_3gpuE4ELNS1_3repE0EEENS1_30default_config_static_selectorELNS0_4arch9wavefront6targetE1EEEvT1_
    .private_segment_fixed_size: 0
    .sgpr_count:     6
    .sgpr_spill_count: 0
    .symbol:         _ZN7rocprim17ROCPRIM_400000_NS6detail17trampoline_kernelINS0_14default_configENS1_27scan_by_key_config_selectorIijEEZZNS1_16scan_by_key_implILNS1_25lookback_scan_determinismE0ELb0ES3_N6thrust23THRUST_200600_302600_NS6detail15normal_iteratorINS9_10device_ptrIiEEEENSB_INSC_IjEEEENSB_INSC_IfEEEEjNS9_4plusIvEENS9_8equal_toIvEEjEE10hipError_tPvRmT2_T3_T4_T5_mT6_T7_P12ihipStream_tbENKUlT_T0_E_clISt17integral_constantIbLb1EES13_EEDaSY_SZ_EUlSY_E_NS1_11comp_targetILNS1_3genE10ELNS1_11target_archE1200ELNS1_3gpuE4ELNS1_3repE0EEENS1_30default_config_static_selectorELNS0_4arch9wavefront6targetE1EEEvT1_.kd
    .uniform_work_group_size: 1
    .uses_dynamic_stack: false
    .vgpr_count:     0
    .vgpr_spill_count: 0
    .wavefront_size: 64
  - .agpr_count:     0
    .args:
      - .offset:         0
        .size:           112
        .value_kind:     by_value
    .group_segment_fixed_size: 0
    .kernarg_segment_align: 8
    .kernarg_segment_size: 112
    .language:       OpenCL C
    .language_version:
      - 2
      - 0
    .max_flat_workgroup_size: 256
    .name:           _ZN7rocprim17ROCPRIM_400000_NS6detail17trampoline_kernelINS0_14default_configENS1_27scan_by_key_config_selectorIijEEZZNS1_16scan_by_key_implILNS1_25lookback_scan_determinismE0ELb0ES3_N6thrust23THRUST_200600_302600_NS6detail15normal_iteratorINS9_10device_ptrIiEEEENSB_INSC_IjEEEENSB_INSC_IfEEEEjNS9_4plusIvEENS9_8equal_toIvEEjEE10hipError_tPvRmT2_T3_T4_T5_mT6_T7_P12ihipStream_tbENKUlT_T0_E_clISt17integral_constantIbLb1EES13_EEDaSY_SZ_EUlSY_E_NS1_11comp_targetILNS1_3genE9ELNS1_11target_archE1100ELNS1_3gpuE3ELNS1_3repE0EEENS1_30default_config_static_selectorELNS0_4arch9wavefront6targetE1EEEvT1_
    .private_segment_fixed_size: 0
    .sgpr_count:     6
    .sgpr_spill_count: 0
    .symbol:         _ZN7rocprim17ROCPRIM_400000_NS6detail17trampoline_kernelINS0_14default_configENS1_27scan_by_key_config_selectorIijEEZZNS1_16scan_by_key_implILNS1_25lookback_scan_determinismE0ELb0ES3_N6thrust23THRUST_200600_302600_NS6detail15normal_iteratorINS9_10device_ptrIiEEEENSB_INSC_IjEEEENSB_INSC_IfEEEEjNS9_4plusIvEENS9_8equal_toIvEEjEE10hipError_tPvRmT2_T3_T4_T5_mT6_T7_P12ihipStream_tbENKUlT_T0_E_clISt17integral_constantIbLb1EES13_EEDaSY_SZ_EUlSY_E_NS1_11comp_targetILNS1_3genE9ELNS1_11target_archE1100ELNS1_3gpuE3ELNS1_3repE0EEENS1_30default_config_static_selectorELNS0_4arch9wavefront6targetE1EEEvT1_.kd
    .uniform_work_group_size: 1
    .uses_dynamic_stack: false
    .vgpr_count:     0
    .vgpr_spill_count: 0
    .wavefront_size: 64
  - .agpr_count:     0
    .args:
      - .offset:         0
        .size:           112
        .value_kind:     by_value
    .group_segment_fixed_size: 0
    .kernarg_segment_align: 8
    .kernarg_segment_size: 112
    .language:       OpenCL C
    .language_version:
      - 2
      - 0
    .max_flat_workgroup_size: 256
    .name:           _ZN7rocprim17ROCPRIM_400000_NS6detail17trampoline_kernelINS0_14default_configENS1_27scan_by_key_config_selectorIijEEZZNS1_16scan_by_key_implILNS1_25lookback_scan_determinismE0ELb0ES3_N6thrust23THRUST_200600_302600_NS6detail15normal_iteratorINS9_10device_ptrIiEEEENSB_INSC_IjEEEENSB_INSC_IfEEEEjNS9_4plusIvEENS9_8equal_toIvEEjEE10hipError_tPvRmT2_T3_T4_T5_mT6_T7_P12ihipStream_tbENKUlT_T0_E_clISt17integral_constantIbLb1EES13_EEDaSY_SZ_EUlSY_E_NS1_11comp_targetILNS1_3genE8ELNS1_11target_archE1030ELNS1_3gpuE2ELNS1_3repE0EEENS1_30default_config_static_selectorELNS0_4arch9wavefront6targetE1EEEvT1_
    .private_segment_fixed_size: 0
    .sgpr_count:     6
    .sgpr_spill_count: 0
    .symbol:         _ZN7rocprim17ROCPRIM_400000_NS6detail17trampoline_kernelINS0_14default_configENS1_27scan_by_key_config_selectorIijEEZZNS1_16scan_by_key_implILNS1_25lookback_scan_determinismE0ELb0ES3_N6thrust23THRUST_200600_302600_NS6detail15normal_iteratorINS9_10device_ptrIiEEEENSB_INSC_IjEEEENSB_INSC_IfEEEEjNS9_4plusIvEENS9_8equal_toIvEEjEE10hipError_tPvRmT2_T3_T4_T5_mT6_T7_P12ihipStream_tbENKUlT_T0_E_clISt17integral_constantIbLb1EES13_EEDaSY_SZ_EUlSY_E_NS1_11comp_targetILNS1_3genE8ELNS1_11target_archE1030ELNS1_3gpuE2ELNS1_3repE0EEENS1_30default_config_static_selectorELNS0_4arch9wavefront6targetE1EEEvT1_.kd
    .uniform_work_group_size: 1
    .uses_dynamic_stack: false
    .vgpr_count:     0
    .vgpr_spill_count: 0
    .wavefront_size: 64
  - .agpr_count:     0
    .args:
      - .offset:         0
        .size:           112
        .value_kind:     by_value
    .group_segment_fixed_size: 0
    .kernarg_segment_align: 8
    .kernarg_segment_size: 112
    .language:       OpenCL C
    .language_version:
      - 2
      - 0
    .max_flat_workgroup_size: 256
    .name:           _ZN7rocprim17ROCPRIM_400000_NS6detail17trampoline_kernelINS0_14default_configENS1_27scan_by_key_config_selectorIijEEZZNS1_16scan_by_key_implILNS1_25lookback_scan_determinismE0ELb0ES3_N6thrust23THRUST_200600_302600_NS6detail15normal_iteratorINS9_10device_ptrIiEEEENSB_INSC_IjEEEENSB_INSC_IfEEEEjNS9_4plusIvEENS9_8equal_toIvEEjEE10hipError_tPvRmT2_T3_T4_T5_mT6_T7_P12ihipStream_tbENKUlT_T0_E_clISt17integral_constantIbLb1EES12_IbLb0EEEEDaSY_SZ_EUlSY_E_NS1_11comp_targetILNS1_3genE0ELNS1_11target_archE4294967295ELNS1_3gpuE0ELNS1_3repE0EEENS1_30default_config_static_selectorELNS0_4arch9wavefront6targetE1EEEvT1_
    .private_segment_fixed_size: 0
    .sgpr_count:     6
    .sgpr_spill_count: 0
    .symbol:         _ZN7rocprim17ROCPRIM_400000_NS6detail17trampoline_kernelINS0_14default_configENS1_27scan_by_key_config_selectorIijEEZZNS1_16scan_by_key_implILNS1_25lookback_scan_determinismE0ELb0ES3_N6thrust23THRUST_200600_302600_NS6detail15normal_iteratorINS9_10device_ptrIiEEEENSB_INSC_IjEEEENSB_INSC_IfEEEEjNS9_4plusIvEENS9_8equal_toIvEEjEE10hipError_tPvRmT2_T3_T4_T5_mT6_T7_P12ihipStream_tbENKUlT_T0_E_clISt17integral_constantIbLb1EES12_IbLb0EEEEDaSY_SZ_EUlSY_E_NS1_11comp_targetILNS1_3genE0ELNS1_11target_archE4294967295ELNS1_3gpuE0ELNS1_3repE0EEENS1_30default_config_static_selectorELNS0_4arch9wavefront6targetE1EEEvT1_.kd
    .uniform_work_group_size: 1
    .uses_dynamic_stack: false
    .vgpr_count:     0
    .vgpr_spill_count: 0
    .wavefront_size: 64
  - .agpr_count:     0
    .args:
      - .offset:         0
        .size:           112
        .value_kind:     by_value
    .group_segment_fixed_size: 0
    .kernarg_segment_align: 8
    .kernarg_segment_size: 112
    .language:       OpenCL C
    .language_version:
      - 2
      - 0
    .max_flat_workgroup_size: 256
    .name:           _ZN7rocprim17ROCPRIM_400000_NS6detail17trampoline_kernelINS0_14default_configENS1_27scan_by_key_config_selectorIijEEZZNS1_16scan_by_key_implILNS1_25lookback_scan_determinismE0ELb0ES3_N6thrust23THRUST_200600_302600_NS6detail15normal_iteratorINS9_10device_ptrIiEEEENSB_INSC_IjEEEENSB_INSC_IfEEEEjNS9_4plusIvEENS9_8equal_toIvEEjEE10hipError_tPvRmT2_T3_T4_T5_mT6_T7_P12ihipStream_tbENKUlT_T0_E_clISt17integral_constantIbLb1EES12_IbLb0EEEEDaSY_SZ_EUlSY_E_NS1_11comp_targetILNS1_3genE10ELNS1_11target_archE1201ELNS1_3gpuE5ELNS1_3repE0EEENS1_30default_config_static_selectorELNS0_4arch9wavefront6targetE1EEEvT1_
    .private_segment_fixed_size: 0
    .sgpr_count:     6
    .sgpr_spill_count: 0
    .symbol:         _ZN7rocprim17ROCPRIM_400000_NS6detail17trampoline_kernelINS0_14default_configENS1_27scan_by_key_config_selectorIijEEZZNS1_16scan_by_key_implILNS1_25lookback_scan_determinismE0ELb0ES3_N6thrust23THRUST_200600_302600_NS6detail15normal_iteratorINS9_10device_ptrIiEEEENSB_INSC_IjEEEENSB_INSC_IfEEEEjNS9_4plusIvEENS9_8equal_toIvEEjEE10hipError_tPvRmT2_T3_T4_T5_mT6_T7_P12ihipStream_tbENKUlT_T0_E_clISt17integral_constantIbLb1EES12_IbLb0EEEEDaSY_SZ_EUlSY_E_NS1_11comp_targetILNS1_3genE10ELNS1_11target_archE1201ELNS1_3gpuE5ELNS1_3repE0EEENS1_30default_config_static_selectorELNS0_4arch9wavefront6targetE1EEEvT1_.kd
    .uniform_work_group_size: 1
    .uses_dynamic_stack: false
    .vgpr_count:     0
    .vgpr_spill_count: 0
    .wavefront_size: 64
  - .agpr_count:     0
    .args:
      - .offset:         0
        .size:           112
        .value_kind:     by_value
    .group_segment_fixed_size: 25600
    .kernarg_segment_align: 8
    .kernarg_segment_size: 112
    .language:       OpenCL C
    .language_version:
      - 2
      - 0
    .max_flat_workgroup_size: 256
    .name:           _ZN7rocprim17ROCPRIM_400000_NS6detail17trampoline_kernelINS0_14default_configENS1_27scan_by_key_config_selectorIijEEZZNS1_16scan_by_key_implILNS1_25lookback_scan_determinismE0ELb0ES3_N6thrust23THRUST_200600_302600_NS6detail15normal_iteratorINS9_10device_ptrIiEEEENSB_INSC_IjEEEENSB_INSC_IfEEEEjNS9_4plusIvEENS9_8equal_toIvEEjEE10hipError_tPvRmT2_T3_T4_T5_mT6_T7_P12ihipStream_tbENKUlT_T0_E_clISt17integral_constantIbLb1EES12_IbLb0EEEEDaSY_SZ_EUlSY_E_NS1_11comp_targetILNS1_3genE5ELNS1_11target_archE942ELNS1_3gpuE9ELNS1_3repE0EEENS1_30default_config_static_selectorELNS0_4arch9wavefront6targetE1EEEvT1_
    .private_segment_fixed_size: 0
    .sgpr_count:     88
    .sgpr_spill_count: 0
    .symbol:         _ZN7rocprim17ROCPRIM_400000_NS6detail17trampoline_kernelINS0_14default_configENS1_27scan_by_key_config_selectorIijEEZZNS1_16scan_by_key_implILNS1_25lookback_scan_determinismE0ELb0ES3_N6thrust23THRUST_200600_302600_NS6detail15normal_iteratorINS9_10device_ptrIiEEEENSB_INSC_IjEEEENSB_INSC_IfEEEEjNS9_4plusIvEENS9_8equal_toIvEEjEE10hipError_tPvRmT2_T3_T4_T5_mT6_T7_P12ihipStream_tbENKUlT_T0_E_clISt17integral_constantIbLb1EES12_IbLb0EEEEDaSY_SZ_EUlSY_E_NS1_11comp_targetILNS1_3genE5ELNS1_11target_archE942ELNS1_3gpuE9ELNS1_3repE0EEENS1_30default_config_static_selectorELNS0_4arch9wavefront6targetE1EEEvT1_.kd
    .uniform_work_group_size: 1
    .uses_dynamic_stack: false
    .vgpr_count:     81
    .vgpr_spill_count: 0
    .wavefront_size: 64
  - .agpr_count:     0
    .args:
      - .offset:         0
        .size:           112
        .value_kind:     by_value
    .group_segment_fixed_size: 0
    .kernarg_segment_align: 8
    .kernarg_segment_size: 112
    .language:       OpenCL C
    .language_version:
      - 2
      - 0
    .max_flat_workgroup_size: 256
    .name:           _ZN7rocprim17ROCPRIM_400000_NS6detail17trampoline_kernelINS0_14default_configENS1_27scan_by_key_config_selectorIijEEZZNS1_16scan_by_key_implILNS1_25lookback_scan_determinismE0ELb0ES3_N6thrust23THRUST_200600_302600_NS6detail15normal_iteratorINS9_10device_ptrIiEEEENSB_INSC_IjEEEENSB_INSC_IfEEEEjNS9_4plusIvEENS9_8equal_toIvEEjEE10hipError_tPvRmT2_T3_T4_T5_mT6_T7_P12ihipStream_tbENKUlT_T0_E_clISt17integral_constantIbLb1EES12_IbLb0EEEEDaSY_SZ_EUlSY_E_NS1_11comp_targetILNS1_3genE4ELNS1_11target_archE910ELNS1_3gpuE8ELNS1_3repE0EEENS1_30default_config_static_selectorELNS0_4arch9wavefront6targetE1EEEvT1_
    .private_segment_fixed_size: 0
    .sgpr_count:     6
    .sgpr_spill_count: 0
    .symbol:         _ZN7rocprim17ROCPRIM_400000_NS6detail17trampoline_kernelINS0_14default_configENS1_27scan_by_key_config_selectorIijEEZZNS1_16scan_by_key_implILNS1_25lookback_scan_determinismE0ELb0ES3_N6thrust23THRUST_200600_302600_NS6detail15normal_iteratorINS9_10device_ptrIiEEEENSB_INSC_IjEEEENSB_INSC_IfEEEEjNS9_4plusIvEENS9_8equal_toIvEEjEE10hipError_tPvRmT2_T3_T4_T5_mT6_T7_P12ihipStream_tbENKUlT_T0_E_clISt17integral_constantIbLb1EES12_IbLb0EEEEDaSY_SZ_EUlSY_E_NS1_11comp_targetILNS1_3genE4ELNS1_11target_archE910ELNS1_3gpuE8ELNS1_3repE0EEENS1_30default_config_static_selectorELNS0_4arch9wavefront6targetE1EEEvT1_.kd
    .uniform_work_group_size: 1
    .uses_dynamic_stack: false
    .vgpr_count:     0
    .vgpr_spill_count: 0
    .wavefront_size: 64
  - .agpr_count:     0
    .args:
      - .offset:         0
        .size:           112
        .value_kind:     by_value
    .group_segment_fixed_size: 0
    .kernarg_segment_align: 8
    .kernarg_segment_size: 112
    .language:       OpenCL C
    .language_version:
      - 2
      - 0
    .max_flat_workgroup_size: 256
    .name:           _ZN7rocprim17ROCPRIM_400000_NS6detail17trampoline_kernelINS0_14default_configENS1_27scan_by_key_config_selectorIijEEZZNS1_16scan_by_key_implILNS1_25lookback_scan_determinismE0ELb0ES3_N6thrust23THRUST_200600_302600_NS6detail15normal_iteratorINS9_10device_ptrIiEEEENSB_INSC_IjEEEENSB_INSC_IfEEEEjNS9_4plusIvEENS9_8equal_toIvEEjEE10hipError_tPvRmT2_T3_T4_T5_mT6_T7_P12ihipStream_tbENKUlT_T0_E_clISt17integral_constantIbLb1EES12_IbLb0EEEEDaSY_SZ_EUlSY_E_NS1_11comp_targetILNS1_3genE3ELNS1_11target_archE908ELNS1_3gpuE7ELNS1_3repE0EEENS1_30default_config_static_selectorELNS0_4arch9wavefront6targetE1EEEvT1_
    .private_segment_fixed_size: 0
    .sgpr_count:     6
    .sgpr_spill_count: 0
    .symbol:         _ZN7rocprim17ROCPRIM_400000_NS6detail17trampoline_kernelINS0_14default_configENS1_27scan_by_key_config_selectorIijEEZZNS1_16scan_by_key_implILNS1_25lookback_scan_determinismE0ELb0ES3_N6thrust23THRUST_200600_302600_NS6detail15normal_iteratorINS9_10device_ptrIiEEEENSB_INSC_IjEEEENSB_INSC_IfEEEEjNS9_4plusIvEENS9_8equal_toIvEEjEE10hipError_tPvRmT2_T3_T4_T5_mT6_T7_P12ihipStream_tbENKUlT_T0_E_clISt17integral_constantIbLb1EES12_IbLb0EEEEDaSY_SZ_EUlSY_E_NS1_11comp_targetILNS1_3genE3ELNS1_11target_archE908ELNS1_3gpuE7ELNS1_3repE0EEENS1_30default_config_static_selectorELNS0_4arch9wavefront6targetE1EEEvT1_.kd
    .uniform_work_group_size: 1
    .uses_dynamic_stack: false
    .vgpr_count:     0
    .vgpr_spill_count: 0
    .wavefront_size: 64
  - .agpr_count:     0
    .args:
      - .offset:         0
        .size:           112
        .value_kind:     by_value
    .group_segment_fixed_size: 0
    .kernarg_segment_align: 8
    .kernarg_segment_size: 112
    .language:       OpenCL C
    .language_version:
      - 2
      - 0
    .max_flat_workgroup_size: 256
    .name:           _ZN7rocprim17ROCPRIM_400000_NS6detail17trampoline_kernelINS0_14default_configENS1_27scan_by_key_config_selectorIijEEZZNS1_16scan_by_key_implILNS1_25lookback_scan_determinismE0ELb0ES3_N6thrust23THRUST_200600_302600_NS6detail15normal_iteratorINS9_10device_ptrIiEEEENSB_INSC_IjEEEENSB_INSC_IfEEEEjNS9_4plusIvEENS9_8equal_toIvEEjEE10hipError_tPvRmT2_T3_T4_T5_mT6_T7_P12ihipStream_tbENKUlT_T0_E_clISt17integral_constantIbLb1EES12_IbLb0EEEEDaSY_SZ_EUlSY_E_NS1_11comp_targetILNS1_3genE2ELNS1_11target_archE906ELNS1_3gpuE6ELNS1_3repE0EEENS1_30default_config_static_selectorELNS0_4arch9wavefront6targetE1EEEvT1_
    .private_segment_fixed_size: 0
    .sgpr_count:     6
    .sgpr_spill_count: 0
    .symbol:         _ZN7rocprim17ROCPRIM_400000_NS6detail17trampoline_kernelINS0_14default_configENS1_27scan_by_key_config_selectorIijEEZZNS1_16scan_by_key_implILNS1_25lookback_scan_determinismE0ELb0ES3_N6thrust23THRUST_200600_302600_NS6detail15normal_iteratorINS9_10device_ptrIiEEEENSB_INSC_IjEEEENSB_INSC_IfEEEEjNS9_4plusIvEENS9_8equal_toIvEEjEE10hipError_tPvRmT2_T3_T4_T5_mT6_T7_P12ihipStream_tbENKUlT_T0_E_clISt17integral_constantIbLb1EES12_IbLb0EEEEDaSY_SZ_EUlSY_E_NS1_11comp_targetILNS1_3genE2ELNS1_11target_archE906ELNS1_3gpuE6ELNS1_3repE0EEENS1_30default_config_static_selectorELNS0_4arch9wavefront6targetE1EEEvT1_.kd
    .uniform_work_group_size: 1
    .uses_dynamic_stack: false
    .vgpr_count:     0
    .vgpr_spill_count: 0
    .wavefront_size: 64
  - .agpr_count:     0
    .args:
      - .offset:         0
        .size:           112
        .value_kind:     by_value
    .group_segment_fixed_size: 0
    .kernarg_segment_align: 8
    .kernarg_segment_size: 112
    .language:       OpenCL C
    .language_version:
      - 2
      - 0
    .max_flat_workgroup_size: 256
    .name:           _ZN7rocprim17ROCPRIM_400000_NS6detail17trampoline_kernelINS0_14default_configENS1_27scan_by_key_config_selectorIijEEZZNS1_16scan_by_key_implILNS1_25lookback_scan_determinismE0ELb0ES3_N6thrust23THRUST_200600_302600_NS6detail15normal_iteratorINS9_10device_ptrIiEEEENSB_INSC_IjEEEENSB_INSC_IfEEEEjNS9_4plusIvEENS9_8equal_toIvEEjEE10hipError_tPvRmT2_T3_T4_T5_mT6_T7_P12ihipStream_tbENKUlT_T0_E_clISt17integral_constantIbLb1EES12_IbLb0EEEEDaSY_SZ_EUlSY_E_NS1_11comp_targetILNS1_3genE10ELNS1_11target_archE1200ELNS1_3gpuE4ELNS1_3repE0EEENS1_30default_config_static_selectorELNS0_4arch9wavefront6targetE1EEEvT1_
    .private_segment_fixed_size: 0
    .sgpr_count:     6
    .sgpr_spill_count: 0
    .symbol:         _ZN7rocprim17ROCPRIM_400000_NS6detail17trampoline_kernelINS0_14default_configENS1_27scan_by_key_config_selectorIijEEZZNS1_16scan_by_key_implILNS1_25lookback_scan_determinismE0ELb0ES3_N6thrust23THRUST_200600_302600_NS6detail15normal_iteratorINS9_10device_ptrIiEEEENSB_INSC_IjEEEENSB_INSC_IfEEEEjNS9_4plusIvEENS9_8equal_toIvEEjEE10hipError_tPvRmT2_T3_T4_T5_mT6_T7_P12ihipStream_tbENKUlT_T0_E_clISt17integral_constantIbLb1EES12_IbLb0EEEEDaSY_SZ_EUlSY_E_NS1_11comp_targetILNS1_3genE10ELNS1_11target_archE1200ELNS1_3gpuE4ELNS1_3repE0EEENS1_30default_config_static_selectorELNS0_4arch9wavefront6targetE1EEEvT1_.kd
    .uniform_work_group_size: 1
    .uses_dynamic_stack: false
    .vgpr_count:     0
    .vgpr_spill_count: 0
    .wavefront_size: 64
  - .agpr_count:     0
    .args:
      - .offset:         0
        .size:           112
        .value_kind:     by_value
    .group_segment_fixed_size: 0
    .kernarg_segment_align: 8
    .kernarg_segment_size: 112
    .language:       OpenCL C
    .language_version:
      - 2
      - 0
    .max_flat_workgroup_size: 256
    .name:           _ZN7rocprim17ROCPRIM_400000_NS6detail17trampoline_kernelINS0_14default_configENS1_27scan_by_key_config_selectorIijEEZZNS1_16scan_by_key_implILNS1_25lookback_scan_determinismE0ELb0ES3_N6thrust23THRUST_200600_302600_NS6detail15normal_iteratorINS9_10device_ptrIiEEEENSB_INSC_IjEEEENSB_INSC_IfEEEEjNS9_4plusIvEENS9_8equal_toIvEEjEE10hipError_tPvRmT2_T3_T4_T5_mT6_T7_P12ihipStream_tbENKUlT_T0_E_clISt17integral_constantIbLb1EES12_IbLb0EEEEDaSY_SZ_EUlSY_E_NS1_11comp_targetILNS1_3genE9ELNS1_11target_archE1100ELNS1_3gpuE3ELNS1_3repE0EEENS1_30default_config_static_selectorELNS0_4arch9wavefront6targetE1EEEvT1_
    .private_segment_fixed_size: 0
    .sgpr_count:     6
    .sgpr_spill_count: 0
    .symbol:         _ZN7rocprim17ROCPRIM_400000_NS6detail17trampoline_kernelINS0_14default_configENS1_27scan_by_key_config_selectorIijEEZZNS1_16scan_by_key_implILNS1_25lookback_scan_determinismE0ELb0ES3_N6thrust23THRUST_200600_302600_NS6detail15normal_iteratorINS9_10device_ptrIiEEEENSB_INSC_IjEEEENSB_INSC_IfEEEEjNS9_4plusIvEENS9_8equal_toIvEEjEE10hipError_tPvRmT2_T3_T4_T5_mT6_T7_P12ihipStream_tbENKUlT_T0_E_clISt17integral_constantIbLb1EES12_IbLb0EEEEDaSY_SZ_EUlSY_E_NS1_11comp_targetILNS1_3genE9ELNS1_11target_archE1100ELNS1_3gpuE3ELNS1_3repE0EEENS1_30default_config_static_selectorELNS0_4arch9wavefront6targetE1EEEvT1_.kd
    .uniform_work_group_size: 1
    .uses_dynamic_stack: false
    .vgpr_count:     0
    .vgpr_spill_count: 0
    .wavefront_size: 64
  - .agpr_count:     0
    .args:
      - .offset:         0
        .size:           112
        .value_kind:     by_value
    .group_segment_fixed_size: 0
    .kernarg_segment_align: 8
    .kernarg_segment_size: 112
    .language:       OpenCL C
    .language_version:
      - 2
      - 0
    .max_flat_workgroup_size: 256
    .name:           _ZN7rocprim17ROCPRIM_400000_NS6detail17trampoline_kernelINS0_14default_configENS1_27scan_by_key_config_selectorIijEEZZNS1_16scan_by_key_implILNS1_25lookback_scan_determinismE0ELb0ES3_N6thrust23THRUST_200600_302600_NS6detail15normal_iteratorINS9_10device_ptrIiEEEENSB_INSC_IjEEEENSB_INSC_IfEEEEjNS9_4plusIvEENS9_8equal_toIvEEjEE10hipError_tPvRmT2_T3_T4_T5_mT6_T7_P12ihipStream_tbENKUlT_T0_E_clISt17integral_constantIbLb1EES12_IbLb0EEEEDaSY_SZ_EUlSY_E_NS1_11comp_targetILNS1_3genE8ELNS1_11target_archE1030ELNS1_3gpuE2ELNS1_3repE0EEENS1_30default_config_static_selectorELNS0_4arch9wavefront6targetE1EEEvT1_
    .private_segment_fixed_size: 0
    .sgpr_count:     6
    .sgpr_spill_count: 0
    .symbol:         _ZN7rocprim17ROCPRIM_400000_NS6detail17trampoline_kernelINS0_14default_configENS1_27scan_by_key_config_selectorIijEEZZNS1_16scan_by_key_implILNS1_25lookback_scan_determinismE0ELb0ES3_N6thrust23THRUST_200600_302600_NS6detail15normal_iteratorINS9_10device_ptrIiEEEENSB_INSC_IjEEEENSB_INSC_IfEEEEjNS9_4plusIvEENS9_8equal_toIvEEjEE10hipError_tPvRmT2_T3_T4_T5_mT6_T7_P12ihipStream_tbENKUlT_T0_E_clISt17integral_constantIbLb1EES12_IbLb0EEEEDaSY_SZ_EUlSY_E_NS1_11comp_targetILNS1_3genE8ELNS1_11target_archE1030ELNS1_3gpuE2ELNS1_3repE0EEENS1_30default_config_static_selectorELNS0_4arch9wavefront6targetE1EEEvT1_.kd
    .uniform_work_group_size: 1
    .uses_dynamic_stack: false
    .vgpr_count:     0
    .vgpr_spill_count: 0
    .wavefront_size: 64
  - .agpr_count:     0
    .args:
      - .offset:         0
        .size:           112
        .value_kind:     by_value
    .group_segment_fixed_size: 0
    .kernarg_segment_align: 8
    .kernarg_segment_size: 112
    .language:       OpenCL C
    .language_version:
      - 2
      - 0
    .max_flat_workgroup_size: 256
    .name:           _ZN7rocprim17ROCPRIM_400000_NS6detail17trampoline_kernelINS0_14default_configENS1_27scan_by_key_config_selectorIijEEZZNS1_16scan_by_key_implILNS1_25lookback_scan_determinismE0ELb0ES3_N6thrust23THRUST_200600_302600_NS6detail15normal_iteratorINS9_10device_ptrIiEEEENSB_INSC_IjEEEENSB_INSC_IfEEEEjNS9_4plusIvEENS9_8equal_toIvEEjEE10hipError_tPvRmT2_T3_T4_T5_mT6_T7_P12ihipStream_tbENKUlT_T0_E_clISt17integral_constantIbLb0EES12_IbLb1EEEEDaSY_SZ_EUlSY_E_NS1_11comp_targetILNS1_3genE0ELNS1_11target_archE4294967295ELNS1_3gpuE0ELNS1_3repE0EEENS1_30default_config_static_selectorELNS0_4arch9wavefront6targetE1EEEvT1_
    .private_segment_fixed_size: 0
    .sgpr_count:     6
    .sgpr_spill_count: 0
    .symbol:         _ZN7rocprim17ROCPRIM_400000_NS6detail17trampoline_kernelINS0_14default_configENS1_27scan_by_key_config_selectorIijEEZZNS1_16scan_by_key_implILNS1_25lookback_scan_determinismE0ELb0ES3_N6thrust23THRUST_200600_302600_NS6detail15normal_iteratorINS9_10device_ptrIiEEEENSB_INSC_IjEEEENSB_INSC_IfEEEEjNS9_4plusIvEENS9_8equal_toIvEEjEE10hipError_tPvRmT2_T3_T4_T5_mT6_T7_P12ihipStream_tbENKUlT_T0_E_clISt17integral_constantIbLb0EES12_IbLb1EEEEDaSY_SZ_EUlSY_E_NS1_11comp_targetILNS1_3genE0ELNS1_11target_archE4294967295ELNS1_3gpuE0ELNS1_3repE0EEENS1_30default_config_static_selectorELNS0_4arch9wavefront6targetE1EEEvT1_.kd
    .uniform_work_group_size: 1
    .uses_dynamic_stack: false
    .vgpr_count:     0
    .vgpr_spill_count: 0
    .wavefront_size: 64
  - .agpr_count:     0
    .args:
      - .offset:         0
        .size:           112
        .value_kind:     by_value
    .group_segment_fixed_size: 0
    .kernarg_segment_align: 8
    .kernarg_segment_size: 112
    .language:       OpenCL C
    .language_version:
      - 2
      - 0
    .max_flat_workgroup_size: 256
    .name:           _ZN7rocprim17ROCPRIM_400000_NS6detail17trampoline_kernelINS0_14default_configENS1_27scan_by_key_config_selectorIijEEZZNS1_16scan_by_key_implILNS1_25lookback_scan_determinismE0ELb0ES3_N6thrust23THRUST_200600_302600_NS6detail15normal_iteratorINS9_10device_ptrIiEEEENSB_INSC_IjEEEENSB_INSC_IfEEEEjNS9_4plusIvEENS9_8equal_toIvEEjEE10hipError_tPvRmT2_T3_T4_T5_mT6_T7_P12ihipStream_tbENKUlT_T0_E_clISt17integral_constantIbLb0EES12_IbLb1EEEEDaSY_SZ_EUlSY_E_NS1_11comp_targetILNS1_3genE10ELNS1_11target_archE1201ELNS1_3gpuE5ELNS1_3repE0EEENS1_30default_config_static_selectorELNS0_4arch9wavefront6targetE1EEEvT1_
    .private_segment_fixed_size: 0
    .sgpr_count:     6
    .sgpr_spill_count: 0
    .symbol:         _ZN7rocprim17ROCPRIM_400000_NS6detail17trampoline_kernelINS0_14default_configENS1_27scan_by_key_config_selectorIijEEZZNS1_16scan_by_key_implILNS1_25lookback_scan_determinismE0ELb0ES3_N6thrust23THRUST_200600_302600_NS6detail15normal_iteratorINS9_10device_ptrIiEEEENSB_INSC_IjEEEENSB_INSC_IfEEEEjNS9_4plusIvEENS9_8equal_toIvEEjEE10hipError_tPvRmT2_T3_T4_T5_mT6_T7_P12ihipStream_tbENKUlT_T0_E_clISt17integral_constantIbLb0EES12_IbLb1EEEEDaSY_SZ_EUlSY_E_NS1_11comp_targetILNS1_3genE10ELNS1_11target_archE1201ELNS1_3gpuE5ELNS1_3repE0EEENS1_30default_config_static_selectorELNS0_4arch9wavefront6targetE1EEEvT1_.kd
    .uniform_work_group_size: 1
    .uses_dynamic_stack: false
    .vgpr_count:     0
    .vgpr_spill_count: 0
    .wavefront_size: 64
  - .agpr_count:     0
    .args:
      - .offset:         0
        .size:           112
        .value_kind:     by_value
    .group_segment_fixed_size: 25600
    .kernarg_segment_align: 8
    .kernarg_segment_size: 112
    .language:       OpenCL C
    .language_version:
      - 2
      - 0
    .max_flat_workgroup_size: 256
    .name:           _ZN7rocprim17ROCPRIM_400000_NS6detail17trampoline_kernelINS0_14default_configENS1_27scan_by_key_config_selectorIijEEZZNS1_16scan_by_key_implILNS1_25lookback_scan_determinismE0ELb0ES3_N6thrust23THRUST_200600_302600_NS6detail15normal_iteratorINS9_10device_ptrIiEEEENSB_INSC_IjEEEENSB_INSC_IfEEEEjNS9_4plusIvEENS9_8equal_toIvEEjEE10hipError_tPvRmT2_T3_T4_T5_mT6_T7_P12ihipStream_tbENKUlT_T0_E_clISt17integral_constantIbLb0EES12_IbLb1EEEEDaSY_SZ_EUlSY_E_NS1_11comp_targetILNS1_3genE5ELNS1_11target_archE942ELNS1_3gpuE9ELNS1_3repE0EEENS1_30default_config_static_selectorELNS0_4arch9wavefront6targetE1EEEvT1_
    .private_segment_fixed_size: 0
    .sgpr_count:     91
    .sgpr_spill_count: 0
    .symbol:         _ZN7rocprim17ROCPRIM_400000_NS6detail17trampoline_kernelINS0_14default_configENS1_27scan_by_key_config_selectorIijEEZZNS1_16scan_by_key_implILNS1_25lookback_scan_determinismE0ELb0ES3_N6thrust23THRUST_200600_302600_NS6detail15normal_iteratorINS9_10device_ptrIiEEEENSB_INSC_IjEEEENSB_INSC_IfEEEEjNS9_4plusIvEENS9_8equal_toIvEEjEE10hipError_tPvRmT2_T3_T4_T5_mT6_T7_P12ihipStream_tbENKUlT_T0_E_clISt17integral_constantIbLb0EES12_IbLb1EEEEDaSY_SZ_EUlSY_E_NS1_11comp_targetILNS1_3genE5ELNS1_11target_archE942ELNS1_3gpuE9ELNS1_3repE0EEENS1_30default_config_static_selectorELNS0_4arch9wavefront6targetE1EEEvT1_.kd
    .uniform_work_group_size: 1
    .uses_dynamic_stack: false
    .vgpr_count:     81
    .vgpr_spill_count: 0
    .wavefront_size: 64
  - .agpr_count:     0
    .args:
      - .offset:         0
        .size:           112
        .value_kind:     by_value
    .group_segment_fixed_size: 0
    .kernarg_segment_align: 8
    .kernarg_segment_size: 112
    .language:       OpenCL C
    .language_version:
      - 2
      - 0
    .max_flat_workgroup_size: 256
    .name:           _ZN7rocprim17ROCPRIM_400000_NS6detail17trampoline_kernelINS0_14default_configENS1_27scan_by_key_config_selectorIijEEZZNS1_16scan_by_key_implILNS1_25lookback_scan_determinismE0ELb0ES3_N6thrust23THRUST_200600_302600_NS6detail15normal_iteratorINS9_10device_ptrIiEEEENSB_INSC_IjEEEENSB_INSC_IfEEEEjNS9_4plusIvEENS9_8equal_toIvEEjEE10hipError_tPvRmT2_T3_T4_T5_mT6_T7_P12ihipStream_tbENKUlT_T0_E_clISt17integral_constantIbLb0EES12_IbLb1EEEEDaSY_SZ_EUlSY_E_NS1_11comp_targetILNS1_3genE4ELNS1_11target_archE910ELNS1_3gpuE8ELNS1_3repE0EEENS1_30default_config_static_selectorELNS0_4arch9wavefront6targetE1EEEvT1_
    .private_segment_fixed_size: 0
    .sgpr_count:     6
    .sgpr_spill_count: 0
    .symbol:         _ZN7rocprim17ROCPRIM_400000_NS6detail17trampoline_kernelINS0_14default_configENS1_27scan_by_key_config_selectorIijEEZZNS1_16scan_by_key_implILNS1_25lookback_scan_determinismE0ELb0ES3_N6thrust23THRUST_200600_302600_NS6detail15normal_iteratorINS9_10device_ptrIiEEEENSB_INSC_IjEEEENSB_INSC_IfEEEEjNS9_4plusIvEENS9_8equal_toIvEEjEE10hipError_tPvRmT2_T3_T4_T5_mT6_T7_P12ihipStream_tbENKUlT_T0_E_clISt17integral_constantIbLb0EES12_IbLb1EEEEDaSY_SZ_EUlSY_E_NS1_11comp_targetILNS1_3genE4ELNS1_11target_archE910ELNS1_3gpuE8ELNS1_3repE0EEENS1_30default_config_static_selectorELNS0_4arch9wavefront6targetE1EEEvT1_.kd
    .uniform_work_group_size: 1
    .uses_dynamic_stack: false
    .vgpr_count:     0
    .vgpr_spill_count: 0
    .wavefront_size: 64
  - .agpr_count:     0
    .args:
      - .offset:         0
        .size:           112
        .value_kind:     by_value
    .group_segment_fixed_size: 0
    .kernarg_segment_align: 8
    .kernarg_segment_size: 112
    .language:       OpenCL C
    .language_version:
      - 2
      - 0
    .max_flat_workgroup_size: 256
    .name:           _ZN7rocprim17ROCPRIM_400000_NS6detail17trampoline_kernelINS0_14default_configENS1_27scan_by_key_config_selectorIijEEZZNS1_16scan_by_key_implILNS1_25lookback_scan_determinismE0ELb0ES3_N6thrust23THRUST_200600_302600_NS6detail15normal_iteratorINS9_10device_ptrIiEEEENSB_INSC_IjEEEENSB_INSC_IfEEEEjNS9_4plusIvEENS9_8equal_toIvEEjEE10hipError_tPvRmT2_T3_T4_T5_mT6_T7_P12ihipStream_tbENKUlT_T0_E_clISt17integral_constantIbLb0EES12_IbLb1EEEEDaSY_SZ_EUlSY_E_NS1_11comp_targetILNS1_3genE3ELNS1_11target_archE908ELNS1_3gpuE7ELNS1_3repE0EEENS1_30default_config_static_selectorELNS0_4arch9wavefront6targetE1EEEvT1_
    .private_segment_fixed_size: 0
    .sgpr_count:     6
    .sgpr_spill_count: 0
    .symbol:         _ZN7rocprim17ROCPRIM_400000_NS6detail17trampoline_kernelINS0_14default_configENS1_27scan_by_key_config_selectorIijEEZZNS1_16scan_by_key_implILNS1_25lookback_scan_determinismE0ELb0ES3_N6thrust23THRUST_200600_302600_NS6detail15normal_iteratorINS9_10device_ptrIiEEEENSB_INSC_IjEEEENSB_INSC_IfEEEEjNS9_4plusIvEENS9_8equal_toIvEEjEE10hipError_tPvRmT2_T3_T4_T5_mT6_T7_P12ihipStream_tbENKUlT_T0_E_clISt17integral_constantIbLb0EES12_IbLb1EEEEDaSY_SZ_EUlSY_E_NS1_11comp_targetILNS1_3genE3ELNS1_11target_archE908ELNS1_3gpuE7ELNS1_3repE0EEENS1_30default_config_static_selectorELNS0_4arch9wavefront6targetE1EEEvT1_.kd
    .uniform_work_group_size: 1
    .uses_dynamic_stack: false
    .vgpr_count:     0
    .vgpr_spill_count: 0
    .wavefront_size: 64
  - .agpr_count:     0
    .args:
      - .offset:         0
        .size:           112
        .value_kind:     by_value
    .group_segment_fixed_size: 0
    .kernarg_segment_align: 8
    .kernarg_segment_size: 112
    .language:       OpenCL C
    .language_version:
      - 2
      - 0
    .max_flat_workgroup_size: 256
    .name:           _ZN7rocprim17ROCPRIM_400000_NS6detail17trampoline_kernelINS0_14default_configENS1_27scan_by_key_config_selectorIijEEZZNS1_16scan_by_key_implILNS1_25lookback_scan_determinismE0ELb0ES3_N6thrust23THRUST_200600_302600_NS6detail15normal_iteratorINS9_10device_ptrIiEEEENSB_INSC_IjEEEENSB_INSC_IfEEEEjNS9_4plusIvEENS9_8equal_toIvEEjEE10hipError_tPvRmT2_T3_T4_T5_mT6_T7_P12ihipStream_tbENKUlT_T0_E_clISt17integral_constantIbLb0EES12_IbLb1EEEEDaSY_SZ_EUlSY_E_NS1_11comp_targetILNS1_3genE2ELNS1_11target_archE906ELNS1_3gpuE6ELNS1_3repE0EEENS1_30default_config_static_selectorELNS0_4arch9wavefront6targetE1EEEvT1_
    .private_segment_fixed_size: 0
    .sgpr_count:     6
    .sgpr_spill_count: 0
    .symbol:         _ZN7rocprim17ROCPRIM_400000_NS6detail17trampoline_kernelINS0_14default_configENS1_27scan_by_key_config_selectorIijEEZZNS1_16scan_by_key_implILNS1_25lookback_scan_determinismE0ELb0ES3_N6thrust23THRUST_200600_302600_NS6detail15normal_iteratorINS9_10device_ptrIiEEEENSB_INSC_IjEEEENSB_INSC_IfEEEEjNS9_4plusIvEENS9_8equal_toIvEEjEE10hipError_tPvRmT2_T3_T4_T5_mT6_T7_P12ihipStream_tbENKUlT_T0_E_clISt17integral_constantIbLb0EES12_IbLb1EEEEDaSY_SZ_EUlSY_E_NS1_11comp_targetILNS1_3genE2ELNS1_11target_archE906ELNS1_3gpuE6ELNS1_3repE0EEENS1_30default_config_static_selectorELNS0_4arch9wavefront6targetE1EEEvT1_.kd
    .uniform_work_group_size: 1
    .uses_dynamic_stack: false
    .vgpr_count:     0
    .vgpr_spill_count: 0
    .wavefront_size: 64
  - .agpr_count:     0
    .args:
      - .offset:         0
        .size:           112
        .value_kind:     by_value
    .group_segment_fixed_size: 0
    .kernarg_segment_align: 8
    .kernarg_segment_size: 112
    .language:       OpenCL C
    .language_version:
      - 2
      - 0
    .max_flat_workgroup_size: 256
    .name:           _ZN7rocprim17ROCPRIM_400000_NS6detail17trampoline_kernelINS0_14default_configENS1_27scan_by_key_config_selectorIijEEZZNS1_16scan_by_key_implILNS1_25lookback_scan_determinismE0ELb0ES3_N6thrust23THRUST_200600_302600_NS6detail15normal_iteratorINS9_10device_ptrIiEEEENSB_INSC_IjEEEENSB_INSC_IfEEEEjNS9_4plusIvEENS9_8equal_toIvEEjEE10hipError_tPvRmT2_T3_T4_T5_mT6_T7_P12ihipStream_tbENKUlT_T0_E_clISt17integral_constantIbLb0EES12_IbLb1EEEEDaSY_SZ_EUlSY_E_NS1_11comp_targetILNS1_3genE10ELNS1_11target_archE1200ELNS1_3gpuE4ELNS1_3repE0EEENS1_30default_config_static_selectorELNS0_4arch9wavefront6targetE1EEEvT1_
    .private_segment_fixed_size: 0
    .sgpr_count:     6
    .sgpr_spill_count: 0
    .symbol:         _ZN7rocprim17ROCPRIM_400000_NS6detail17trampoline_kernelINS0_14default_configENS1_27scan_by_key_config_selectorIijEEZZNS1_16scan_by_key_implILNS1_25lookback_scan_determinismE0ELb0ES3_N6thrust23THRUST_200600_302600_NS6detail15normal_iteratorINS9_10device_ptrIiEEEENSB_INSC_IjEEEENSB_INSC_IfEEEEjNS9_4plusIvEENS9_8equal_toIvEEjEE10hipError_tPvRmT2_T3_T4_T5_mT6_T7_P12ihipStream_tbENKUlT_T0_E_clISt17integral_constantIbLb0EES12_IbLb1EEEEDaSY_SZ_EUlSY_E_NS1_11comp_targetILNS1_3genE10ELNS1_11target_archE1200ELNS1_3gpuE4ELNS1_3repE0EEENS1_30default_config_static_selectorELNS0_4arch9wavefront6targetE1EEEvT1_.kd
    .uniform_work_group_size: 1
    .uses_dynamic_stack: false
    .vgpr_count:     0
    .vgpr_spill_count: 0
    .wavefront_size: 64
  - .agpr_count:     0
    .args:
      - .offset:         0
        .size:           112
        .value_kind:     by_value
    .group_segment_fixed_size: 0
    .kernarg_segment_align: 8
    .kernarg_segment_size: 112
    .language:       OpenCL C
    .language_version:
      - 2
      - 0
    .max_flat_workgroup_size: 256
    .name:           _ZN7rocprim17ROCPRIM_400000_NS6detail17trampoline_kernelINS0_14default_configENS1_27scan_by_key_config_selectorIijEEZZNS1_16scan_by_key_implILNS1_25lookback_scan_determinismE0ELb0ES3_N6thrust23THRUST_200600_302600_NS6detail15normal_iteratorINS9_10device_ptrIiEEEENSB_INSC_IjEEEENSB_INSC_IfEEEEjNS9_4plusIvEENS9_8equal_toIvEEjEE10hipError_tPvRmT2_T3_T4_T5_mT6_T7_P12ihipStream_tbENKUlT_T0_E_clISt17integral_constantIbLb0EES12_IbLb1EEEEDaSY_SZ_EUlSY_E_NS1_11comp_targetILNS1_3genE9ELNS1_11target_archE1100ELNS1_3gpuE3ELNS1_3repE0EEENS1_30default_config_static_selectorELNS0_4arch9wavefront6targetE1EEEvT1_
    .private_segment_fixed_size: 0
    .sgpr_count:     6
    .sgpr_spill_count: 0
    .symbol:         _ZN7rocprim17ROCPRIM_400000_NS6detail17trampoline_kernelINS0_14default_configENS1_27scan_by_key_config_selectorIijEEZZNS1_16scan_by_key_implILNS1_25lookback_scan_determinismE0ELb0ES3_N6thrust23THRUST_200600_302600_NS6detail15normal_iteratorINS9_10device_ptrIiEEEENSB_INSC_IjEEEENSB_INSC_IfEEEEjNS9_4plusIvEENS9_8equal_toIvEEjEE10hipError_tPvRmT2_T3_T4_T5_mT6_T7_P12ihipStream_tbENKUlT_T0_E_clISt17integral_constantIbLb0EES12_IbLb1EEEEDaSY_SZ_EUlSY_E_NS1_11comp_targetILNS1_3genE9ELNS1_11target_archE1100ELNS1_3gpuE3ELNS1_3repE0EEENS1_30default_config_static_selectorELNS0_4arch9wavefront6targetE1EEEvT1_.kd
    .uniform_work_group_size: 1
    .uses_dynamic_stack: false
    .vgpr_count:     0
    .vgpr_spill_count: 0
    .wavefront_size: 64
  - .agpr_count:     0
    .args:
      - .offset:         0
        .size:           112
        .value_kind:     by_value
    .group_segment_fixed_size: 0
    .kernarg_segment_align: 8
    .kernarg_segment_size: 112
    .language:       OpenCL C
    .language_version:
      - 2
      - 0
    .max_flat_workgroup_size: 256
    .name:           _ZN7rocprim17ROCPRIM_400000_NS6detail17trampoline_kernelINS0_14default_configENS1_27scan_by_key_config_selectorIijEEZZNS1_16scan_by_key_implILNS1_25lookback_scan_determinismE0ELb0ES3_N6thrust23THRUST_200600_302600_NS6detail15normal_iteratorINS9_10device_ptrIiEEEENSB_INSC_IjEEEENSB_INSC_IfEEEEjNS9_4plusIvEENS9_8equal_toIvEEjEE10hipError_tPvRmT2_T3_T4_T5_mT6_T7_P12ihipStream_tbENKUlT_T0_E_clISt17integral_constantIbLb0EES12_IbLb1EEEEDaSY_SZ_EUlSY_E_NS1_11comp_targetILNS1_3genE8ELNS1_11target_archE1030ELNS1_3gpuE2ELNS1_3repE0EEENS1_30default_config_static_selectorELNS0_4arch9wavefront6targetE1EEEvT1_
    .private_segment_fixed_size: 0
    .sgpr_count:     6
    .sgpr_spill_count: 0
    .symbol:         _ZN7rocprim17ROCPRIM_400000_NS6detail17trampoline_kernelINS0_14default_configENS1_27scan_by_key_config_selectorIijEEZZNS1_16scan_by_key_implILNS1_25lookback_scan_determinismE0ELb0ES3_N6thrust23THRUST_200600_302600_NS6detail15normal_iteratorINS9_10device_ptrIiEEEENSB_INSC_IjEEEENSB_INSC_IfEEEEjNS9_4plusIvEENS9_8equal_toIvEEjEE10hipError_tPvRmT2_T3_T4_T5_mT6_T7_P12ihipStream_tbENKUlT_T0_E_clISt17integral_constantIbLb0EES12_IbLb1EEEEDaSY_SZ_EUlSY_E_NS1_11comp_targetILNS1_3genE8ELNS1_11target_archE1030ELNS1_3gpuE2ELNS1_3repE0EEENS1_30default_config_static_selectorELNS0_4arch9wavefront6targetE1EEEvT1_.kd
    .uniform_work_group_size: 1
    .uses_dynamic_stack: false
    .vgpr_count:     0
    .vgpr_spill_count: 0
    .wavefront_size: 64
  - .agpr_count:     0
    .args:
      - .offset:         0
        .size:           112
        .value_kind:     by_value
    .group_segment_fixed_size: 0
    .kernarg_segment_align: 8
    .kernarg_segment_size: 112
    .language:       OpenCL C
    .language_version:
      - 2
      - 0
    .max_flat_workgroup_size: 256
    .name:           _ZN7rocprim17ROCPRIM_400000_NS6detail17trampoline_kernelINS0_14default_configENS1_27scan_by_key_config_selectorIifEEZZNS1_16scan_by_key_implILNS1_25lookback_scan_determinismE0ELb1ES3_N6thrust23THRUST_200600_302600_NS6detail15normal_iteratorINS9_10device_ptrIiEEEENSB_INSC_IjEEEENSB_INSC_IfEEEEfNS9_4plusIvEENS9_8equal_toIvEEfEE10hipError_tPvRmT2_T3_T4_T5_mT6_T7_P12ihipStream_tbENKUlT_T0_E_clISt17integral_constantIbLb0EES13_EEDaSY_SZ_EUlSY_E_NS1_11comp_targetILNS1_3genE0ELNS1_11target_archE4294967295ELNS1_3gpuE0ELNS1_3repE0EEENS1_30default_config_static_selectorELNS0_4arch9wavefront6targetE1EEEvT1_
    .private_segment_fixed_size: 0
    .sgpr_count:     6
    .sgpr_spill_count: 0
    .symbol:         _ZN7rocprim17ROCPRIM_400000_NS6detail17trampoline_kernelINS0_14default_configENS1_27scan_by_key_config_selectorIifEEZZNS1_16scan_by_key_implILNS1_25lookback_scan_determinismE0ELb1ES3_N6thrust23THRUST_200600_302600_NS6detail15normal_iteratorINS9_10device_ptrIiEEEENSB_INSC_IjEEEENSB_INSC_IfEEEEfNS9_4plusIvEENS9_8equal_toIvEEfEE10hipError_tPvRmT2_T3_T4_T5_mT6_T7_P12ihipStream_tbENKUlT_T0_E_clISt17integral_constantIbLb0EES13_EEDaSY_SZ_EUlSY_E_NS1_11comp_targetILNS1_3genE0ELNS1_11target_archE4294967295ELNS1_3gpuE0ELNS1_3repE0EEENS1_30default_config_static_selectorELNS0_4arch9wavefront6targetE1EEEvT1_.kd
    .uniform_work_group_size: 1
    .uses_dynamic_stack: false
    .vgpr_count:     0
    .vgpr_spill_count: 0
    .wavefront_size: 64
  - .agpr_count:     0
    .args:
      - .offset:         0
        .size:           112
        .value_kind:     by_value
    .group_segment_fixed_size: 0
    .kernarg_segment_align: 8
    .kernarg_segment_size: 112
    .language:       OpenCL C
    .language_version:
      - 2
      - 0
    .max_flat_workgroup_size: 256
    .name:           _ZN7rocprim17ROCPRIM_400000_NS6detail17trampoline_kernelINS0_14default_configENS1_27scan_by_key_config_selectorIifEEZZNS1_16scan_by_key_implILNS1_25lookback_scan_determinismE0ELb1ES3_N6thrust23THRUST_200600_302600_NS6detail15normal_iteratorINS9_10device_ptrIiEEEENSB_INSC_IjEEEENSB_INSC_IfEEEEfNS9_4plusIvEENS9_8equal_toIvEEfEE10hipError_tPvRmT2_T3_T4_T5_mT6_T7_P12ihipStream_tbENKUlT_T0_E_clISt17integral_constantIbLb0EES13_EEDaSY_SZ_EUlSY_E_NS1_11comp_targetILNS1_3genE10ELNS1_11target_archE1201ELNS1_3gpuE5ELNS1_3repE0EEENS1_30default_config_static_selectorELNS0_4arch9wavefront6targetE1EEEvT1_
    .private_segment_fixed_size: 0
    .sgpr_count:     6
    .sgpr_spill_count: 0
    .symbol:         _ZN7rocprim17ROCPRIM_400000_NS6detail17trampoline_kernelINS0_14default_configENS1_27scan_by_key_config_selectorIifEEZZNS1_16scan_by_key_implILNS1_25lookback_scan_determinismE0ELb1ES3_N6thrust23THRUST_200600_302600_NS6detail15normal_iteratorINS9_10device_ptrIiEEEENSB_INSC_IjEEEENSB_INSC_IfEEEEfNS9_4plusIvEENS9_8equal_toIvEEfEE10hipError_tPvRmT2_T3_T4_T5_mT6_T7_P12ihipStream_tbENKUlT_T0_E_clISt17integral_constantIbLb0EES13_EEDaSY_SZ_EUlSY_E_NS1_11comp_targetILNS1_3genE10ELNS1_11target_archE1201ELNS1_3gpuE5ELNS1_3repE0EEENS1_30default_config_static_selectorELNS0_4arch9wavefront6targetE1EEEvT1_.kd
    .uniform_work_group_size: 1
    .uses_dynamic_stack: false
    .vgpr_count:     0
    .vgpr_spill_count: 0
    .wavefront_size: 64
  - .agpr_count:     0
    .args:
      - .offset:         0
        .size:           112
        .value_kind:     by_value
    .group_segment_fixed_size: 25600
    .kernarg_segment_align: 8
    .kernarg_segment_size: 112
    .language:       OpenCL C
    .language_version:
      - 2
      - 0
    .max_flat_workgroup_size: 256
    .name:           _ZN7rocprim17ROCPRIM_400000_NS6detail17trampoline_kernelINS0_14default_configENS1_27scan_by_key_config_selectorIifEEZZNS1_16scan_by_key_implILNS1_25lookback_scan_determinismE0ELb1ES3_N6thrust23THRUST_200600_302600_NS6detail15normal_iteratorINS9_10device_ptrIiEEEENSB_INSC_IjEEEENSB_INSC_IfEEEEfNS9_4plusIvEENS9_8equal_toIvEEfEE10hipError_tPvRmT2_T3_T4_T5_mT6_T7_P12ihipStream_tbENKUlT_T0_E_clISt17integral_constantIbLb0EES13_EEDaSY_SZ_EUlSY_E_NS1_11comp_targetILNS1_3genE5ELNS1_11target_archE942ELNS1_3gpuE9ELNS1_3repE0EEENS1_30default_config_static_selectorELNS0_4arch9wavefront6targetE1EEEvT1_
    .private_segment_fixed_size: 0
    .sgpr_count:     86
    .sgpr_spill_count: 0
    .symbol:         _ZN7rocprim17ROCPRIM_400000_NS6detail17trampoline_kernelINS0_14default_configENS1_27scan_by_key_config_selectorIifEEZZNS1_16scan_by_key_implILNS1_25lookback_scan_determinismE0ELb1ES3_N6thrust23THRUST_200600_302600_NS6detail15normal_iteratorINS9_10device_ptrIiEEEENSB_INSC_IjEEEENSB_INSC_IfEEEEfNS9_4plusIvEENS9_8equal_toIvEEfEE10hipError_tPvRmT2_T3_T4_T5_mT6_T7_P12ihipStream_tbENKUlT_T0_E_clISt17integral_constantIbLb0EES13_EEDaSY_SZ_EUlSY_E_NS1_11comp_targetILNS1_3genE5ELNS1_11target_archE942ELNS1_3gpuE9ELNS1_3repE0EEENS1_30default_config_static_selectorELNS0_4arch9wavefront6targetE1EEEvT1_.kd
    .uniform_work_group_size: 1
    .uses_dynamic_stack: false
    .vgpr_count:     92
    .vgpr_spill_count: 0
    .wavefront_size: 64
  - .agpr_count:     0
    .args:
      - .offset:         0
        .size:           112
        .value_kind:     by_value
    .group_segment_fixed_size: 0
    .kernarg_segment_align: 8
    .kernarg_segment_size: 112
    .language:       OpenCL C
    .language_version:
      - 2
      - 0
    .max_flat_workgroup_size: 256
    .name:           _ZN7rocprim17ROCPRIM_400000_NS6detail17trampoline_kernelINS0_14default_configENS1_27scan_by_key_config_selectorIifEEZZNS1_16scan_by_key_implILNS1_25lookback_scan_determinismE0ELb1ES3_N6thrust23THRUST_200600_302600_NS6detail15normal_iteratorINS9_10device_ptrIiEEEENSB_INSC_IjEEEENSB_INSC_IfEEEEfNS9_4plusIvEENS9_8equal_toIvEEfEE10hipError_tPvRmT2_T3_T4_T5_mT6_T7_P12ihipStream_tbENKUlT_T0_E_clISt17integral_constantIbLb0EES13_EEDaSY_SZ_EUlSY_E_NS1_11comp_targetILNS1_3genE4ELNS1_11target_archE910ELNS1_3gpuE8ELNS1_3repE0EEENS1_30default_config_static_selectorELNS0_4arch9wavefront6targetE1EEEvT1_
    .private_segment_fixed_size: 0
    .sgpr_count:     6
    .sgpr_spill_count: 0
    .symbol:         _ZN7rocprim17ROCPRIM_400000_NS6detail17trampoline_kernelINS0_14default_configENS1_27scan_by_key_config_selectorIifEEZZNS1_16scan_by_key_implILNS1_25lookback_scan_determinismE0ELb1ES3_N6thrust23THRUST_200600_302600_NS6detail15normal_iteratorINS9_10device_ptrIiEEEENSB_INSC_IjEEEENSB_INSC_IfEEEEfNS9_4plusIvEENS9_8equal_toIvEEfEE10hipError_tPvRmT2_T3_T4_T5_mT6_T7_P12ihipStream_tbENKUlT_T0_E_clISt17integral_constantIbLb0EES13_EEDaSY_SZ_EUlSY_E_NS1_11comp_targetILNS1_3genE4ELNS1_11target_archE910ELNS1_3gpuE8ELNS1_3repE0EEENS1_30default_config_static_selectorELNS0_4arch9wavefront6targetE1EEEvT1_.kd
    .uniform_work_group_size: 1
    .uses_dynamic_stack: false
    .vgpr_count:     0
    .vgpr_spill_count: 0
    .wavefront_size: 64
  - .agpr_count:     0
    .args:
      - .offset:         0
        .size:           112
        .value_kind:     by_value
    .group_segment_fixed_size: 0
    .kernarg_segment_align: 8
    .kernarg_segment_size: 112
    .language:       OpenCL C
    .language_version:
      - 2
      - 0
    .max_flat_workgroup_size: 256
    .name:           _ZN7rocprim17ROCPRIM_400000_NS6detail17trampoline_kernelINS0_14default_configENS1_27scan_by_key_config_selectorIifEEZZNS1_16scan_by_key_implILNS1_25lookback_scan_determinismE0ELb1ES3_N6thrust23THRUST_200600_302600_NS6detail15normal_iteratorINS9_10device_ptrIiEEEENSB_INSC_IjEEEENSB_INSC_IfEEEEfNS9_4plusIvEENS9_8equal_toIvEEfEE10hipError_tPvRmT2_T3_T4_T5_mT6_T7_P12ihipStream_tbENKUlT_T0_E_clISt17integral_constantIbLb0EES13_EEDaSY_SZ_EUlSY_E_NS1_11comp_targetILNS1_3genE3ELNS1_11target_archE908ELNS1_3gpuE7ELNS1_3repE0EEENS1_30default_config_static_selectorELNS0_4arch9wavefront6targetE1EEEvT1_
    .private_segment_fixed_size: 0
    .sgpr_count:     6
    .sgpr_spill_count: 0
    .symbol:         _ZN7rocprim17ROCPRIM_400000_NS6detail17trampoline_kernelINS0_14default_configENS1_27scan_by_key_config_selectorIifEEZZNS1_16scan_by_key_implILNS1_25lookback_scan_determinismE0ELb1ES3_N6thrust23THRUST_200600_302600_NS6detail15normal_iteratorINS9_10device_ptrIiEEEENSB_INSC_IjEEEENSB_INSC_IfEEEEfNS9_4plusIvEENS9_8equal_toIvEEfEE10hipError_tPvRmT2_T3_T4_T5_mT6_T7_P12ihipStream_tbENKUlT_T0_E_clISt17integral_constantIbLb0EES13_EEDaSY_SZ_EUlSY_E_NS1_11comp_targetILNS1_3genE3ELNS1_11target_archE908ELNS1_3gpuE7ELNS1_3repE0EEENS1_30default_config_static_selectorELNS0_4arch9wavefront6targetE1EEEvT1_.kd
    .uniform_work_group_size: 1
    .uses_dynamic_stack: false
    .vgpr_count:     0
    .vgpr_spill_count: 0
    .wavefront_size: 64
  - .agpr_count:     0
    .args:
      - .offset:         0
        .size:           112
        .value_kind:     by_value
    .group_segment_fixed_size: 0
    .kernarg_segment_align: 8
    .kernarg_segment_size: 112
    .language:       OpenCL C
    .language_version:
      - 2
      - 0
    .max_flat_workgroup_size: 256
    .name:           _ZN7rocprim17ROCPRIM_400000_NS6detail17trampoline_kernelINS0_14default_configENS1_27scan_by_key_config_selectorIifEEZZNS1_16scan_by_key_implILNS1_25lookback_scan_determinismE0ELb1ES3_N6thrust23THRUST_200600_302600_NS6detail15normal_iteratorINS9_10device_ptrIiEEEENSB_INSC_IjEEEENSB_INSC_IfEEEEfNS9_4plusIvEENS9_8equal_toIvEEfEE10hipError_tPvRmT2_T3_T4_T5_mT6_T7_P12ihipStream_tbENKUlT_T0_E_clISt17integral_constantIbLb0EES13_EEDaSY_SZ_EUlSY_E_NS1_11comp_targetILNS1_3genE2ELNS1_11target_archE906ELNS1_3gpuE6ELNS1_3repE0EEENS1_30default_config_static_selectorELNS0_4arch9wavefront6targetE1EEEvT1_
    .private_segment_fixed_size: 0
    .sgpr_count:     6
    .sgpr_spill_count: 0
    .symbol:         _ZN7rocprim17ROCPRIM_400000_NS6detail17trampoline_kernelINS0_14default_configENS1_27scan_by_key_config_selectorIifEEZZNS1_16scan_by_key_implILNS1_25lookback_scan_determinismE0ELb1ES3_N6thrust23THRUST_200600_302600_NS6detail15normal_iteratorINS9_10device_ptrIiEEEENSB_INSC_IjEEEENSB_INSC_IfEEEEfNS9_4plusIvEENS9_8equal_toIvEEfEE10hipError_tPvRmT2_T3_T4_T5_mT6_T7_P12ihipStream_tbENKUlT_T0_E_clISt17integral_constantIbLb0EES13_EEDaSY_SZ_EUlSY_E_NS1_11comp_targetILNS1_3genE2ELNS1_11target_archE906ELNS1_3gpuE6ELNS1_3repE0EEENS1_30default_config_static_selectorELNS0_4arch9wavefront6targetE1EEEvT1_.kd
    .uniform_work_group_size: 1
    .uses_dynamic_stack: false
    .vgpr_count:     0
    .vgpr_spill_count: 0
    .wavefront_size: 64
  - .agpr_count:     0
    .args:
      - .offset:         0
        .size:           112
        .value_kind:     by_value
    .group_segment_fixed_size: 0
    .kernarg_segment_align: 8
    .kernarg_segment_size: 112
    .language:       OpenCL C
    .language_version:
      - 2
      - 0
    .max_flat_workgroup_size: 256
    .name:           _ZN7rocprim17ROCPRIM_400000_NS6detail17trampoline_kernelINS0_14default_configENS1_27scan_by_key_config_selectorIifEEZZNS1_16scan_by_key_implILNS1_25lookback_scan_determinismE0ELb1ES3_N6thrust23THRUST_200600_302600_NS6detail15normal_iteratorINS9_10device_ptrIiEEEENSB_INSC_IjEEEENSB_INSC_IfEEEEfNS9_4plusIvEENS9_8equal_toIvEEfEE10hipError_tPvRmT2_T3_T4_T5_mT6_T7_P12ihipStream_tbENKUlT_T0_E_clISt17integral_constantIbLb0EES13_EEDaSY_SZ_EUlSY_E_NS1_11comp_targetILNS1_3genE10ELNS1_11target_archE1200ELNS1_3gpuE4ELNS1_3repE0EEENS1_30default_config_static_selectorELNS0_4arch9wavefront6targetE1EEEvT1_
    .private_segment_fixed_size: 0
    .sgpr_count:     6
    .sgpr_spill_count: 0
    .symbol:         _ZN7rocprim17ROCPRIM_400000_NS6detail17trampoline_kernelINS0_14default_configENS1_27scan_by_key_config_selectorIifEEZZNS1_16scan_by_key_implILNS1_25lookback_scan_determinismE0ELb1ES3_N6thrust23THRUST_200600_302600_NS6detail15normal_iteratorINS9_10device_ptrIiEEEENSB_INSC_IjEEEENSB_INSC_IfEEEEfNS9_4plusIvEENS9_8equal_toIvEEfEE10hipError_tPvRmT2_T3_T4_T5_mT6_T7_P12ihipStream_tbENKUlT_T0_E_clISt17integral_constantIbLb0EES13_EEDaSY_SZ_EUlSY_E_NS1_11comp_targetILNS1_3genE10ELNS1_11target_archE1200ELNS1_3gpuE4ELNS1_3repE0EEENS1_30default_config_static_selectorELNS0_4arch9wavefront6targetE1EEEvT1_.kd
    .uniform_work_group_size: 1
    .uses_dynamic_stack: false
    .vgpr_count:     0
    .vgpr_spill_count: 0
    .wavefront_size: 64
  - .agpr_count:     0
    .args:
      - .offset:         0
        .size:           112
        .value_kind:     by_value
    .group_segment_fixed_size: 0
    .kernarg_segment_align: 8
    .kernarg_segment_size: 112
    .language:       OpenCL C
    .language_version:
      - 2
      - 0
    .max_flat_workgroup_size: 256
    .name:           _ZN7rocprim17ROCPRIM_400000_NS6detail17trampoline_kernelINS0_14default_configENS1_27scan_by_key_config_selectorIifEEZZNS1_16scan_by_key_implILNS1_25lookback_scan_determinismE0ELb1ES3_N6thrust23THRUST_200600_302600_NS6detail15normal_iteratorINS9_10device_ptrIiEEEENSB_INSC_IjEEEENSB_INSC_IfEEEEfNS9_4plusIvEENS9_8equal_toIvEEfEE10hipError_tPvRmT2_T3_T4_T5_mT6_T7_P12ihipStream_tbENKUlT_T0_E_clISt17integral_constantIbLb0EES13_EEDaSY_SZ_EUlSY_E_NS1_11comp_targetILNS1_3genE9ELNS1_11target_archE1100ELNS1_3gpuE3ELNS1_3repE0EEENS1_30default_config_static_selectorELNS0_4arch9wavefront6targetE1EEEvT1_
    .private_segment_fixed_size: 0
    .sgpr_count:     6
    .sgpr_spill_count: 0
    .symbol:         _ZN7rocprim17ROCPRIM_400000_NS6detail17trampoline_kernelINS0_14default_configENS1_27scan_by_key_config_selectorIifEEZZNS1_16scan_by_key_implILNS1_25lookback_scan_determinismE0ELb1ES3_N6thrust23THRUST_200600_302600_NS6detail15normal_iteratorINS9_10device_ptrIiEEEENSB_INSC_IjEEEENSB_INSC_IfEEEEfNS9_4plusIvEENS9_8equal_toIvEEfEE10hipError_tPvRmT2_T3_T4_T5_mT6_T7_P12ihipStream_tbENKUlT_T0_E_clISt17integral_constantIbLb0EES13_EEDaSY_SZ_EUlSY_E_NS1_11comp_targetILNS1_3genE9ELNS1_11target_archE1100ELNS1_3gpuE3ELNS1_3repE0EEENS1_30default_config_static_selectorELNS0_4arch9wavefront6targetE1EEEvT1_.kd
    .uniform_work_group_size: 1
    .uses_dynamic_stack: false
    .vgpr_count:     0
    .vgpr_spill_count: 0
    .wavefront_size: 64
  - .agpr_count:     0
    .args:
      - .offset:         0
        .size:           112
        .value_kind:     by_value
    .group_segment_fixed_size: 0
    .kernarg_segment_align: 8
    .kernarg_segment_size: 112
    .language:       OpenCL C
    .language_version:
      - 2
      - 0
    .max_flat_workgroup_size: 256
    .name:           _ZN7rocprim17ROCPRIM_400000_NS6detail17trampoline_kernelINS0_14default_configENS1_27scan_by_key_config_selectorIifEEZZNS1_16scan_by_key_implILNS1_25lookback_scan_determinismE0ELb1ES3_N6thrust23THRUST_200600_302600_NS6detail15normal_iteratorINS9_10device_ptrIiEEEENSB_INSC_IjEEEENSB_INSC_IfEEEEfNS9_4plusIvEENS9_8equal_toIvEEfEE10hipError_tPvRmT2_T3_T4_T5_mT6_T7_P12ihipStream_tbENKUlT_T0_E_clISt17integral_constantIbLb0EES13_EEDaSY_SZ_EUlSY_E_NS1_11comp_targetILNS1_3genE8ELNS1_11target_archE1030ELNS1_3gpuE2ELNS1_3repE0EEENS1_30default_config_static_selectorELNS0_4arch9wavefront6targetE1EEEvT1_
    .private_segment_fixed_size: 0
    .sgpr_count:     6
    .sgpr_spill_count: 0
    .symbol:         _ZN7rocprim17ROCPRIM_400000_NS6detail17trampoline_kernelINS0_14default_configENS1_27scan_by_key_config_selectorIifEEZZNS1_16scan_by_key_implILNS1_25lookback_scan_determinismE0ELb1ES3_N6thrust23THRUST_200600_302600_NS6detail15normal_iteratorINS9_10device_ptrIiEEEENSB_INSC_IjEEEENSB_INSC_IfEEEEfNS9_4plusIvEENS9_8equal_toIvEEfEE10hipError_tPvRmT2_T3_T4_T5_mT6_T7_P12ihipStream_tbENKUlT_T0_E_clISt17integral_constantIbLb0EES13_EEDaSY_SZ_EUlSY_E_NS1_11comp_targetILNS1_3genE8ELNS1_11target_archE1030ELNS1_3gpuE2ELNS1_3repE0EEENS1_30default_config_static_selectorELNS0_4arch9wavefront6targetE1EEEvT1_.kd
    .uniform_work_group_size: 1
    .uses_dynamic_stack: false
    .vgpr_count:     0
    .vgpr_spill_count: 0
    .wavefront_size: 64
  - .agpr_count:     0
    .args:
      - .offset:         0
        .size:           112
        .value_kind:     by_value
    .group_segment_fixed_size: 0
    .kernarg_segment_align: 8
    .kernarg_segment_size: 112
    .language:       OpenCL C
    .language_version:
      - 2
      - 0
    .max_flat_workgroup_size: 256
    .name:           _ZN7rocprim17ROCPRIM_400000_NS6detail17trampoline_kernelINS0_14default_configENS1_27scan_by_key_config_selectorIifEEZZNS1_16scan_by_key_implILNS1_25lookback_scan_determinismE0ELb1ES3_N6thrust23THRUST_200600_302600_NS6detail15normal_iteratorINS9_10device_ptrIiEEEENSB_INSC_IjEEEENSB_INSC_IfEEEEfNS9_4plusIvEENS9_8equal_toIvEEfEE10hipError_tPvRmT2_T3_T4_T5_mT6_T7_P12ihipStream_tbENKUlT_T0_E_clISt17integral_constantIbLb1EES13_EEDaSY_SZ_EUlSY_E_NS1_11comp_targetILNS1_3genE0ELNS1_11target_archE4294967295ELNS1_3gpuE0ELNS1_3repE0EEENS1_30default_config_static_selectorELNS0_4arch9wavefront6targetE1EEEvT1_
    .private_segment_fixed_size: 0
    .sgpr_count:     6
    .sgpr_spill_count: 0
    .symbol:         _ZN7rocprim17ROCPRIM_400000_NS6detail17trampoline_kernelINS0_14default_configENS1_27scan_by_key_config_selectorIifEEZZNS1_16scan_by_key_implILNS1_25lookback_scan_determinismE0ELb1ES3_N6thrust23THRUST_200600_302600_NS6detail15normal_iteratorINS9_10device_ptrIiEEEENSB_INSC_IjEEEENSB_INSC_IfEEEEfNS9_4plusIvEENS9_8equal_toIvEEfEE10hipError_tPvRmT2_T3_T4_T5_mT6_T7_P12ihipStream_tbENKUlT_T0_E_clISt17integral_constantIbLb1EES13_EEDaSY_SZ_EUlSY_E_NS1_11comp_targetILNS1_3genE0ELNS1_11target_archE4294967295ELNS1_3gpuE0ELNS1_3repE0EEENS1_30default_config_static_selectorELNS0_4arch9wavefront6targetE1EEEvT1_.kd
    .uniform_work_group_size: 1
    .uses_dynamic_stack: false
    .vgpr_count:     0
    .vgpr_spill_count: 0
    .wavefront_size: 64
  - .agpr_count:     0
    .args:
      - .offset:         0
        .size:           112
        .value_kind:     by_value
    .group_segment_fixed_size: 0
    .kernarg_segment_align: 8
    .kernarg_segment_size: 112
    .language:       OpenCL C
    .language_version:
      - 2
      - 0
    .max_flat_workgroup_size: 256
    .name:           _ZN7rocprim17ROCPRIM_400000_NS6detail17trampoline_kernelINS0_14default_configENS1_27scan_by_key_config_selectorIifEEZZNS1_16scan_by_key_implILNS1_25lookback_scan_determinismE0ELb1ES3_N6thrust23THRUST_200600_302600_NS6detail15normal_iteratorINS9_10device_ptrIiEEEENSB_INSC_IjEEEENSB_INSC_IfEEEEfNS9_4plusIvEENS9_8equal_toIvEEfEE10hipError_tPvRmT2_T3_T4_T5_mT6_T7_P12ihipStream_tbENKUlT_T0_E_clISt17integral_constantIbLb1EES13_EEDaSY_SZ_EUlSY_E_NS1_11comp_targetILNS1_3genE10ELNS1_11target_archE1201ELNS1_3gpuE5ELNS1_3repE0EEENS1_30default_config_static_selectorELNS0_4arch9wavefront6targetE1EEEvT1_
    .private_segment_fixed_size: 0
    .sgpr_count:     6
    .sgpr_spill_count: 0
    .symbol:         _ZN7rocprim17ROCPRIM_400000_NS6detail17trampoline_kernelINS0_14default_configENS1_27scan_by_key_config_selectorIifEEZZNS1_16scan_by_key_implILNS1_25lookback_scan_determinismE0ELb1ES3_N6thrust23THRUST_200600_302600_NS6detail15normal_iteratorINS9_10device_ptrIiEEEENSB_INSC_IjEEEENSB_INSC_IfEEEEfNS9_4plusIvEENS9_8equal_toIvEEfEE10hipError_tPvRmT2_T3_T4_T5_mT6_T7_P12ihipStream_tbENKUlT_T0_E_clISt17integral_constantIbLb1EES13_EEDaSY_SZ_EUlSY_E_NS1_11comp_targetILNS1_3genE10ELNS1_11target_archE1201ELNS1_3gpuE5ELNS1_3repE0EEENS1_30default_config_static_selectorELNS0_4arch9wavefront6targetE1EEEvT1_.kd
    .uniform_work_group_size: 1
    .uses_dynamic_stack: false
    .vgpr_count:     0
    .vgpr_spill_count: 0
    .wavefront_size: 64
  - .agpr_count:     0
    .args:
      - .offset:         0
        .size:           112
        .value_kind:     by_value
    .group_segment_fixed_size: 25600
    .kernarg_segment_align: 8
    .kernarg_segment_size: 112
    .language:       OpenCL C
    .language_version:
      - 2
      - 0
    .max_flat_workgroup_size: 256
    .name:           _ZN7rocprim17ROCPRIM_400000_NS6detail17trampoline_kernelINS0_14default_configENS1_27scan_by_key_config_selectorIifEEZZNS1_16scan_by_key_implILNS1_25lookback_scan_determinismE0ELb1ES3_N6thrust23THRUST_200600_302600_NS6detail15normal_iteratorINS9_10device_ptrIiEEEENSB_INSC_IjEEEENSB_INSC_IfEEEEfNS9_4plusIvEENS9_8equal_toIvEEfEE10hipError_tPvRmT2_T3_T4_T5_mT6_T7_P12ihipStream_tbENKUlT_T0_E_clISt17integral_constantIbLb1EES13_EEDaSY_SZ_EUlSY_E_NS1_11comp_targetILNS1_3genE5ELNS1_11target_archE942ELNS1_3gpuE9ELNS1_3repE0EEENS1_30default_config_static_selectorELNS0_4arch9wavefront6targetE1EEEvT1_
    .private_segment_fixed_size: 0
    .sgpr_count:     86
    .sgpr_spill_count: 0
    .symbol:         _ZN7rocprim17ROCPRIM_400000_NS6detail17trampoline_kernelINS0_14default_configENS1_27scan_by_key_config_selectorIifEEZZNS1_16scan_by_key_implILNS1_25lookback_scan_determinismE0ELb1ES3_N6thrust23THRUST_200600_302600_NS6detail15normal_iteratorINS9_10device_ptrIiEEEENSB_INSC_IjEEEENSB_INSC_IfEEEEfNS9_4plusIvEENS9_8equal_toIvEEfEE10hipError_tPvRmT2_T3_T4_T5_mT6_T7_P12ihipStream_tbENKUlT_T0_E_clISt17integral_constantIbLb1EES13_EEDaSY_SZ_EUlSY_E_NS1_11comp_targetILNS1_3genE5ELNS1_11target_archE942ELNS1_3gpuE9ELNS1_3repE0EEENS1_30default_config_static_selectorELNS0_4arch9wavefront6targetE1EEEvT1_.kd
    .uniform_work_group_size: 1
    .uses_dynamic_stack: false
    .vgpr_count:     96
    .vgpr_spill_count: 0
    .wavefront_size: 64
  - .agpr_count:     0
    .args:
      - .offset:         0
        .size:           112
        .value_kind:     by_value
    .group_segment_fixed_size: 0
    .kernarg_segment_align: 8
    .kernarg_segment_size: 112
    .language:       OpenCL C
    .language_version:
      - 2
      - 0
    .max_flat_workgroup_size: 256
    .name:           _ZN7rocprim17ROCPRIM_400000_NS6detail17trampoline_kernelINS0_14default_configENS1_27scan_by_key_config_selectorIifEEZZNS1_16scan_by_key_implILNS1_25lookback_scan_determinismE0ELb1ES3_N6thrust23THRUST_200600_302600_NS6detail15normal_iteratorINS9_10device_ptrIiEEEENSB_INSC_IjEEEENSB_INSC_IfEEEEfNS9_4plusIvEENS9_8equal_toIvEEfEE10hipError_tPvRmT2_T3_T4_T5_mT6_T7_P12ihipStream_tbENKUlT_T0_E_clISt17integral_constantIbLb1EES13_EEDaSY_SZ_EUlSY_E_NS1_11comp_targetILNS1_3genE4ELNS1_11target_archE910ELNS1_3gpuE8ELNS1_3repE0EEENS1_30default_config_static_selectorELNS0_4arch9wavefront6targetE1EEEvT1_
    .private_segment_fixed_size: 0
    .sgpr_count:     6
    .sgpr_spill_count: 0
    .symbol:         _ZN7rocprim17ROCPRIM_400000_NS6detail17trampoline_kernelINS0_14default_configENS1_27scan_by_key_config_selectorIifEEZZNS1_16scan_by_key_implILNS1_25lookback_scan_determinismE0ELb1ES3_N6thrust23THRUST_200600_302600_NS6detail15normal_iteratorINS9_10device_ptrIiEEEENSB_INSC_IjEEEENSB_INSC_IfEEEEfNS9_4plusIvEENS9_8equal_toIvEEfEE10hipError_tPvRmT2_T3_T4_T5_mT6_T7_P12ihipStream_tbENKUlT_T0_E_clISt17integral_constantIbLb1EES13_EEDaSY_SZ_EUlSY_E_NS1_11comp_targetILNS1_3genE4ELNS1_11target_archE910ELNS1_3gpuE8ELNS1_3repE0EEENS1_30default_config_static_selectorELNS0_4arch9wavefront6targetE1EEEvT1_.kd
    .uniform_work_group_size: 1
    .uses_dynamic_stack: false
    .vgpr_count:     0
    .vgpr_spill_count: 0
    .wavefront_size: 64
  - .agpr_count:     0
    .args:
      - .offset:         0
        .size:           112
        .value_kind:     by_value
    .group_segment_fixed_size: 0
    .kernarg_segment_align: 8
    .kernarg_segment_size: 112
    .language:       OpenCL C
    .language_version:
      - 2
      - 0
    .max_flat_workgroup_size: 256
    .name:           _ZN7rocprim17ROCPRIM_400000_NS6detail17trampoline_kernelINS0_14default_configENS1_27scan_by_key_config_selectorIifEEZZNS1_16scan_by_key_implILNS1_25lookback_scan_determinismE0ELb1ES3_N6thrust23THRUST_200600_302600_NS6detail15normal_iteratorINS9_10device_ptrIiEEEENSB_INSC_IjEEEENSB_INSC_IfEEEEfNS9_4plusIvEENS9_8equal_toIvEEfEE10hipError_tPvRmT2_T3_T4_T5_mT6_T7_P12ihipStream_tbENKUlT_T0_E_clISt17integral_constantIbLb1EES13_EEDaSY_SZ_EUlSY_E_NS1_11comp_targetILNS1_3genE3ELNS1_11target_archE908ELNS1_3gpuE7ELNS1_3repE0EEENS1_30default_config_static_selectorELNS0_4arch9wavefront6targetE1EEEvT1_
    .private_segment_fixed_size: 0
    .sgpr_count:     6
    .sgpr_spill_count: 0
    .symbol:         _ZN7rocprim17ROCPRIM_400000_NS6detail17trampoline_kernelINS0_14default_configENS1_27scan_by_key_config_selectorIifEEZZNS1_16scan_by_key_implILNS1_25lookback_scan_determinismE0ELb1ES3_N6thrust23THRUST_200600_302600_NS6detail15normal_iteratorINS9_10device_ptrIiEEEENSB_INSC_IjEEEENSB_INSC_IfEEEEfNS9_4plusIvEENS9_8equal_toIvEEfEE10hipError_tPvRmT2_T3_T4_T5_mT6_T7_P12ihipStream_tbENKUlT_T0_E_clISt17integral_constantIbLb1EES13_EEDaSY_SZ_EUlSY_E_NS1_11comp_targetILNS1_3genE3ELNS1_11target_archE908ELNS1_3gpuE7ELNS1_3repE0EEENS1_30default_config_static_selectorELNS0_4arch9wavefront6targetE1EEEvT1_.kd
    .uniform_work_group_size: 1
    .uses_dynamic_stack: false
    .vgpr_count:     0
    .vgpr_spill_count: 0
    .wavefront_size: 64
  - .agpr_count:     0
    .args:
      - .offset:         0
        .size:           112
        .value_kind:     by_value
    .group_segment_fixed_size: 0
    .kernarg_segment_align: 8
    .kernarg_segment_size: 112
    .language:       OpenCL C
    .language_version:
      - 2
      - 0
    .max_flat_workgroup_size: 256
    .name:           _ZN7rocprim17ROCPRIM_400000_NS6detail17trampoline_kernelINS0_14default_configENS1_27scan_by_key_config_selectorIifEEZZNS1_16scan_by_key_implILNS1_25lookback_scan_determinismE0ELb1ES3_N6thrust23THRUST_200600_302600_NS6detail15normal_iteratorINS9_10device_ptrIiEEEENSB_INSC_IjEEEENSB_INSC_IfEEEEfNS9_4plusIvEENS9_8equal_toIvEEfEE10hipError_tPvRmT2_T3_T4_T5_mT6_T7_P12ihipStream_tbENKUlT_T0_E_clISt17integral_constantIbLb1EES13_EEDaSY_SZ_EUlSY_E_NS1_11comp_targetILNS1_3genE2ELNS1_11target_archE906ELNS1_3gpuE6ELNS1_3repE0EEENS1_30default_config_static_selectorELNS0_4arch9wavefront6targetE1EEEvT1_
    .private_segment_fixed_size: 0
    .sgpr_count:     6
    .sgpr_spill_count: 0
    .symbol:         _ZN7rocprim17ROCPRIM_400000_NS6detail17trampoline_kernelINS0_14default_configENS1_27scan_by_key_config_selectorIifEEZZNS1_16scan_by_key_implILNS1_25lookback_scan_determinismE0ELb1ES3_N6thrust23THRUST_200600_302600_NS6detail15normal_iteratorINS9_10device_ptrIiEEEENSB_INSC_IjEEEENSB_INSC_IfEEEEfNS9_4plusIvEENS9_8equal_toIvEEfEE10hipError_tPvRmT2_T3_T4_T5_mT6_T7_P12ihipStream_tbENKUlT_T0_E_clISt17integral_constantIbLb1EES13_EEDaSY_SZ_EUlSY_E_NS1_11comp_targetILNS1_3genE2ELNS1_11target_archE906ELNS1_3gpuE6ELNS1_3repE0EEENS1_30default_config_static_selectorELNS0_4arch9wavefront6targetE1EEEvT1_.kd
    .uniform_work_group_size: 1
    .uses_dynamic_stack: false
    .vgpr_count:     0
    .vgpr_spill_count: 0
    .wavefront_size: 64
  - .agpr_count:     0
    .args:
      - .offset:         0
        .size:           112
        .value_kind:     by_value
    .group_segment_fixed_size: 0
    .kernarg_segment_align: 8
    .kernarg_segment_size: 112
    .language:       OpenCL C
    .language_version:
      - 2
      - 0
    .max_flat_workgroup_size: 256
    .name:           _ZN7rocprim17ROCPRIM_400000_NS6detail17trampoline_kernelINS0_14default_configENS1_27scan_by_key_config_selectorIifEEZZNS1_16scan_by_key_implILNS1_25lookback_scan_determinismE0ELb1ES3_N6thrust23THRUST_200600_302600_NS6detail15normal_iteratorINS9_10device_ptrIiEEEENSB_INSC_IjEEEENSB_INSC_IfEEEEfNS9_4plusIvEENS9_8equal_toIvEEfEE10hipError_tPvRmT2_T3_T4_T5_mT6_T7_P12ihipStream_tbENKUlT_T0_E_clISt17integral_constantIbLb1EES13_EEDaSY_SZ_EUlSY_E_NS1_11comp_targetILNS1_3genE10ELNS1_11target_archE1200ELNS1_3gpuE4ELNS1_3repE0EEENS1_30default_config_static_selectorELNS0_4arch9wavefront6targetE1EEEvT1_
    .private_segment_fixed_size: 0
    .sgpr_count:     6
    .sgpr_spill_count: 0
    .symbol:         _ZN7rocprim17ROCPRIM_400000_NS6detail17trampoline_kernelINS0_14default_configENS1_27scan_by_key_config_selectorIifEEZZNS1_16scan_by_key_implILNS1_25lookback_scan_determinismE0ELb1ES3_N6thrust23THRUST_200600_302600_NS6detail15normal_iteratorINS9_10device_ptrIiEEEENSB_INSC_IjEEEENSB_INSC_IfEEEEfNS9_4plusIvEENS9_8equal_toIvEEfEE10hipError_tPvRmT2_T3_T4_T5_mT6_T7_P12ihipStream_tbENKUlT_T0_E_clISt17integral_constantIbLb1EES13_EEDaSY_SZ_EUlSY_E_NS1_11comp_targetILNS1_3genE10ELNS1_11target_archE1200ELNS1_3gpuE4ELNS1_3repE0EEENS1_30default_config_static_selectorELNS0_4arch9wavefront6targetE1EEEvT1_.kd
    .uniform_work_group_size: 1
    .uses_dynamic_stack: false
    .vgpr_count:     0
    .vgpr_spill_count: 0
    .wavefront_size: 64
  - .agpr_count:     0
    .args:
      - .offset:         0
        .size:           112
        .value_kind:     by_value
    .group_segment_fixed_size: 0
    .kernarg_segment_align: 8
    .kernarg_segment_size: 112
    .language:       OpenCL C
    .language_version:
      - 2
      - 0
    .max_flat_workgroup_size: 256
    .name:           _ZN7rocprim17ROCPRIM_400000_NS6detail17trampoline_kernelINS0_14default_configENS1_27scan_by_key_config_selectorIifEEZZNS1_16scan_by_key_implILNS1_25lookback_scan_determinismE0ELb1ES3_N6thrust23THRUST_200600_302600_NS6detail15normal_iteratorINS9_10device_ptrIiEEEENSB_INSC_IjEEEENSB_INSC_IfEEEEfNS9_4plusIvEENS9_8equal_toIvEEfEE10hipError_tPvRmT2_T3_T4_T5_mT6_T7_P12ihipStream_tbENKUlT_T0_E_clISt17integral_constantIbLb1EES13_EEDaSY_SZ_EUlSY_E_NS1_11comp_targetILNS1_3genE9ELNS1_11target_archE1100ELNS1_3gpuE3ELNS1_3repE0EEENS1_30default_config_static_selectorELNS0_4arch9wavefront6targetE1EEEvT1_
    .private_segment_fixed_size: 0
    .sgpr_count:     6
    .sgpr_spill_count: 0
    .symbol:         _ZN7rocprim17ROCPRIM_400000_NS6detail17trampoline_kernelINS0_14default_configENS1_27scan_by_key_config_selectorIifEEZZNS1_16scan_by_key_implILNS1_25lookback_scan_determinismE0ELb1ES3_N6thrust23THRUST_200600_302600_NS6detail15normal_iteratorINS9_10device_ptrIiEEEENSB_INSC_IjEEEENSB_INSC_IfEEEEfNS9_4plusIvEENS9_8equal_toIvEEfEE10hipError_tPvRmT2_T3_T4_T5_mT6_T7_P12ihipStream_tbENKUlT_T0_E_clISt17integral_constantIbLb1EES13_EEDaSY_SZ_EUlSY_E_NS1_11comp_targetILNS1_3genE9ELNS1_11target_archE1100ELNS1_3gpuE3ELNS1_3repE0EEENS1_30default_config_static_selectorELNS0_4arch9wavefront6targetE1EEEvT1_.kd
    .uniform_work_group_size: 1
    .uses_dynamic_stack: false
    .vgpr_count:     0
    .vgpr_spill_count: 0
    .wavefront_size: 64
  - .agpr_count:     0
    .args:
      - .offset:         0
        .size:           112
        .value_kind:     by_value
    .group_segment_fixed_size: 0
    .kernarg_segment_align: 8
    .kernarg_segment_size: 112
    .language:       OpenCL C
    .language_version:
      - 2
      - 0
    .max_flat_workgroup_size: 256
    .name:           _ZN7rocprim17ROCPRIM_400000_NS6detail17trampoline_kernelINS0_14default_configENS1_27scan_by_key_config_selectorIifEEZZNS1_16scan_by_key_implILNS1_25lookback_scan_determinismE0ELb1ES3_N6thrust23THRUST_200600_302600_NS6detail15normal_iteratorINS9_10device_ptrIiEEEENSB_INSC_IjEEEENSB_INSC_IfEEEEfNS9_4plusIvEENS9_8equal_toIvEEfEE10hipError_tPvRmT2_T3_T4_T5_mT6_T7_P12ihipStream_tbENKUlT_T0_E_clISt17integral_constantIbLb1EES13_EEDaSY_SZ_EUlSY_E_NS1_11comp_targetILNS1_3genE8ELNS1_11target_archE1030ELNS1_3gpuE2ELNS1_3repE0EEENS1_30default_config_static_selectorELNS0_4arch9wavefront6targetE1EEEvT1_
    .private_segment_fixed_size: 0
    .sgpr_count:     6
    .sgpr_spill_count: 0
    .symbol:         _ZN7rocprim17ROCPRIM_400000_NS6detail17trampoline_kernelINS0_14default_configENS1_27scan_by_key_config_selectorIifEEZZNS1_16scan_by_key_implILNS1_25lookback_scan_determinismE0ELb1ES3_N6thrust23THRUST_200600_302600_NS6detail15normal_iteratorINS9_10device_ptrIiEEEENSB_INSC_IjEEEENSB_INSC_IfEEEEfNS9_4plusIvEENS9_8equal_toIvEEfEE10hipError_tPvRmT2_T3_T4_T5_mT6_T7_P12ihipStream_tbENKUlT_T0_E_clISt17integral_constantIbLb1EES13_EEDaSY_SZ_EUlSY_E_NS1_11comp_targetILNS1_3genE8ELNS1_11target_archE1030ELNS1_3gpuE2ELNS1_3repE0EEENS1_30default_config_static_selectorELNS0_4arch9wavefront6targetE1EEEvT1_.kd
    .uniform_work_group_size: 1
    .uses_dynamic_stack: false
    .vgpr_count:     0
    .vgpr_spill_count: 0
    .wavefront_size: 64
  - .agpr_count:     0
    .args:
      - .offset:         0
        .size:           112
        .value_kind:     by_value
    .group_segment_fixed_size: 0
    .kernarg_segment_align: 8
    .kernarg_segment_size: 112
    .language:       OpenCL C
    .language_version:
      - 2
      - 0
    .max_flat_workgroup_size: 256
    .name:           _ZN7rocprim17ROCPRIM_400000_NS6detail17trampoline_kernelINS0_14default_configENS1_27scan_by_key_config_selectorIifEEZZNS1_16scan_by_key_implILNS1_25lookback_scan_determinismE0ELb1ES3_N6thrust23THRUST_200600_302600_NS6detail15normal_iteratorINS9_10device_ptrIiEEEENSB_INSC_IjEEEENSB_INSC_IfEEEEfNS9_4plusIvEENS9_8equal_toIvEEfEE10hipError_tPvRmT2_T3_T4_T5_mT6_T7_P12ihipStream_tbENKUlT_T0_E_clISt17integral_constantIbLb1EES12_IbLb0EEEEDaSY_SZ_EUlSY_E_NS1_11comp_targetILNS1_3genE0ELNS1_11target_archE4294967295ELNS1_3gpuE0ELNS1_3repE0EEENS1_30default_config_static_selectorELNS0_4arch9wavefront6targetE1EEEvT1_
    .private_segment_fixed_size: 0
    .sgpr_count:     6
    .sgpr_spill_count: 0
    .symbol:         _ZN7rocprim17ROCPRIM_400000_NS6detail17trampoline_kernelINS0_14default_configENS1_27scan_by_key_config_selectorIifEEZZNS1_16scan_by_key_implILNS1_25lookback_scan_determinismE0ELb1ES3_N6thrust23THRUST_200600_302600_NS6detail15normal_iteratorINS9_10device_ptrIiEEEENSB_INSC_IjEEEENSB_INSC_IfEEEEfNS9_4plusIvEENS9_8equal_toIvEEfEE10hipError_tPvRmT2_T3_T4_T5_mT6_T7_P12ihipStream_tbENKUlT_T0_E_clISt17integral_constantIbLb1EES12_IbLb0EEEEDaSY_SZ_EUlSY_E_NS1_11comp_targetILNS1_3genE0ELNS1_11target_archE4294967295ELNS1_3gpuE0ELNS1_3repE0EEENS1_30default_config_static_selectorELNS0_4arch9wavefront6targetE1EEEvT1_.kd
    .uniform_work_group_size: 1
    .uses_dynamic_stack: false
    .vgpr_count:     0
    .vgpr_spill_count: 0
    .wavefront_size: 64
  - .agpr_count:     0
    .args:
      - .offset:         0
        .size:           112
        .value_kind:     by_value
    .group_segment_fixed_size: 0
    .kernarg_segment_align: 8
    .kernarg_segment_size: 112
    .language:       OpenCL C
    .language_version:
      - 2
      - 0
    .max_flat_workgroup_size: 256
    .name:           _ZN7rocprim17ROCPRIM_400000_NS6detail17trampoline_kernelINS0_14default_configENS1_27scan_by_key_config_selectorIifEEZZNS1_16scan_by_key_implILNS1_25lookback_scan_determinismE0ELb1ES3_N6thrust23THRUST_200600_302600_NS6detail15normal_iteratorINS9_10device_ptrIiEEEENSB_INSC_IjEEEENSB_INSC_IfEEEEfNS9_4plusIvEENS9_8equal_toIvEEfEE10hipError_tPvRmT2_T3_T4_T5_mT6_T7_P12ihipStream_tbENKUlT_T0_E_clISt17integral_constantIbLb1EES12_IbLb0EEEEDaSY_SZ_EUlSY_E_NS1_11comp_targetILNS1_3genE10ELNS1_11target_archE1201ELNS1_3gpuE5ELNS1_3repE0EEENS1_30default_config_static_selectorELNS0_4arch9wavefront6targetE1EEEvT1_
    .private_segment_fixed_size: 0
    .sgpr_count:     6
    .sgpr_spill_count: 0
    .symbol:         _ZN7rocprim17ROCPRIM_400000_NS6detail17trampoline_kernelINS0_14default_configENS1_27scan_by_key_config_selectorIifEEZZNS1_16scan_by_key_implILNS1_25lookback_scan_determinismE0ELb1ES3_N6thrust23THRUST_200600_302600_NS6detail15normal_iteratorINS9_10device_ptrIiEEEENSB_INSC_IjEEEENSB_INSC_IfEEEEfNS9_4plusIvEENS9_8equal_toIvEEfEE10hipError_tPvRmT2_T3_T4_T5_mT6_T7_P12ihipStream_tbENKUlT_T0_E_clISt17integral_constantIbLb1EES12_IbLb0EEEEDaSY_SZ_EUlSY_E_NS1_11comp_targetILNS1_3genE10ELNS1_11target_archE1201ELNS1_3gpuE5ELNS1_3repE0EEENS1_30default_config_static_selectorELNS0_4arch9wavefront6targetE1EEEvT1_.kd
    .uniform_work_group_size: 1
    .uses_dynamic_stack: false
    .vgpr_count:     0
    .vgpr_spill_count: 0
    .wavefront_size: 64
  - .agpr_count:     0
    .args:
      - .offset:         0
        .size:           112
        .value_kind:     by_value
    .group_segment_fixed_size: 25600
    .kernarg_segment_align: 8
    .kernarg_segment_size: 112
    .language:       OpenCL C
    .language_version:
      - 2
      - 0
    .max_flat_workgroup_size: 256
    .name:           _ZN7rocprim17ROCPRIM_400000_NS6detail17trampoline_kernelINS0_14default_configENS1_27scan_by_key_config_selectorIifEEZZNS1_16scan_by_key_implILNS1_25lookback_scan_determinismE0ELb1ES3_N6thrust23THRUST_200600_302600_NS6detail15normal_iteratorINS9_10device_ptrIiEEEENSB_INSC_IjEEEENSB_INSC_IfEEEEfNS9_4plusIvEENS9_8equal_toIvEEfEE10hipError_tPvRmT2_T3_T4_T5_mT6_T7_P12ihipStream_tbENKUlT_T0_E_clISt17integral_constantIbLb1EES12_IbLb0EEEEDaSY_SZ_EUlSY_E_NS1_11comp_targetILNS1_3genE5ELNS1_11target_archE942ELNS1_3gpuE9ELNS1_3repE0EEENS1_30default_config_static_selectorELNS0_4arch9wavefront6targetE1EEEvT1_
    .private_segment_fixed_size: 0
    .sgpr_count:     86
    .sgpr_spill_count: 0
    .symbol:         _ZN7rocprim17ROCPRIM_400000_NS6detail17trampoline_kernelINS0_14default_configENS1_27scan_by_key_config_selectorIifEEZZNS1_16scan_by_key_implILNS1_25lookback_scan_determinismE0ELb1ES3_N6thrust23THRUST_200600_302600_NS6detail15normal_iteratorINS9_10device_ptrIiEEEENSB_INSC_IjEEEENSB_INSC_IfEEEEfNS9_4plusIvEENS9_8equal_toIvEEfEE10hipError_tPvRmT2_T3_T4_T5_mT6_T7_P12ihipStream_tbENKUlT_T0_E_clISt17integral_constantIbLb1EES12_IbLb0EEEEDaSY_SZ_EUlSY_E_NS1_11comp_targetILNS1_3genE5ELNS1_11target_archE942ELNS1_3gpuE9ELNS1_3repE0EEENS1_30default_config_static_selectorELNS0_4arch9wavefront6targetE1EEEvT1_.kd
    .uniform_work_group_size: 1
    .uses_dynamic_stack: false
    .vgpr_count:     92
    .vgpr_spill_count: 0
    .wavefront_size: 64
  - .agpr_count:     0
    .args:
      - .offset:         0
        .size:           112
        .value_kind:     by_value
    .group_segment_fixed_size: 0
    .kernarg_segment_align: 8
    .kernarg_segment_size: 112
    .language:       OpenCL C
    .language_version:
      - 2
      - 0
    .max_flat_workgroup_size: 256
    .name:           _ZN7rocprim17ROCPRIM_400000_NS6detail17trampoline_kernelINS0_14default_configENS1_27scan_by_key_config_selectorIifEEZZNS1_16scan_by_key_implILNS1_25lookback_scan_determinismE0ELb1ES3_N6thrust23THRUST_200600_302600_NS6detail15normal_iteratorINS9_10device_ptrIiEEEENSB_INSC_IjEEEENSB_INSC_IfEEEEfNS9_4plusIvEENS9_8equal_toIvEEfEE10hipError_tPvRmT2_T3_T4_T5_mT6_T7_P12ihipStream_tbENKUlT_T0_E_clISt17integral_constantIbLb1EES12_IbLb0EEEEDaSY_SZ_EUlSY_E_NS1_11comp_targetILNS1_3genE4ELNS1_11target_archE910ELNS1_3gpuE8ELNS1_3repE0EEENS1_30default_config_static_selectorELNS0_4arch9wavefront6targetE1EEEvT1_
    .private_segment_fixed_size: 0
    .sgpr_count:     6
    .sgpr_spill_count: 0
    .symbol:         _ZN7rocprim17ROCPRIM_400000_NS6detail17trampoline_kernelINS0_14default_configENS1_27scan_by_key_config_selectorIifEEZZNS1_16scan_by_key_implILNS1_25lookback_scan_determinismE0ELb1ES3_N6thrust23THRUST_200600_302600_NS6detail15normal_iteratorINS9_10device_ptrIiEEEENSB_INSC_IjEEEENSB_INSC_IfEEEEfNS9_4plusIvEENS9_8equal_toIvEEfEE10hipError_tPvRmT2_T3_T4_T5_mT6_T7_P12ihipStream_tbENKUlT_T0_E_clISt17integral_constantIbLb1EES12_IbLb0EEEEDaSY_SZ_EUlSY_E_NS1_11comp_targetILNS1_3genE4ELNS1_11target_archE910ELNS1_3gpuE8ELNS1_3repE0EEENS1_30default_config_static_selectorELNS0_4arch9wavefront6targetE1EEEvT1_.kd
    .uniform_work_group_size: 1
    .uses_dynamic_stack: false
    .vgpr_count:     0
    .vgpr_spill_count: 0
    .wavefront_size: 64
  - .agpr_count:     0
    .args:
      - .offset:         0
        .size:           112
        .value_kind:     by_value
    .group_segment_fixed_size: 0
    .kernarg_segment_align: 8
    .kernarg_segment_size: 112
    .language:       OpenCL C
    .language_version:
      - 2
      - 0
    .max_flat_workgroup_size: 256
    .name:           _ZN7rocprim17ROCPRIM_400000_NS6detail17trampoline_kernelINS0_14default_configENS1_27scan_by_key_config_selectorIifEEZZNS1_16scan_by_key_implILNS1_25lookback_scan_determinismE0ELb1ES3_N6thrust23THRUST_200600_302600_NS6detail15normal_iteratorINS9_10device_ptrIiEEEENSB_INSC_IjEEEENSB_INSC_IfEEEEfNS9_4plusIvEENS9_8equal_toIvEEfEE10hipError_tPvRmT2_T3_T4_T5_mT6_T7_P12ihipStream_tbENKUlT_T0_E_clISt17integral_constantIbLb1EES12_IbLb0EEEEDaSY_SZ_EUlSY_E_NS1_11comp_targetILNS1_3genE3ELNS1_11target_archE908ELNS1_3gpuE7ELNS1_3repE0EEENS1_30default_config_static_selectorELNS0_4arch9wavefront6targetE1EEEvT1_
    .private_segment_fixed_size: 0
    .sgpr_count:     6
    .sgpr_spill_count: 0
    .symbol:         _ZN7rocprim17ROCPRIM_400000_NS6detail17trampoline_kernelINS0_14default_configENS1_27scan_by_key_config_selectorIifEEZZNS1_16scan_by_key_implILNS1_25lookback_scan_determinismE0ELb1ES3_N6thrust23THRUST_200600_302600_NS6detail15normal_iteratorINS9_10device_ptrIiEEEENSB_INSC_IjEEEENSB_INSC_IfEEEEfNS9_4plusIvEENS9_8equal_toIvEEfEE10hipError_tPvRmT2_T3_T4_T5_mT6_T7_P12ihipStream_tbENKUlT_T0_E_clISt17integral_constantIbLb1EES12_IbLb0EEEEDaSY_SZ_EUlSY_E_NS1_11comp_targetILNS1_3genE3ELNS1_11target_archE908ELNS1_3gpuE7ELNS1_3repE0EEENS1_30default_config_static_selectorELNS0_4arch9wavefront6targetE1EEEvT1_.kd
    .uniform_work_group_size: 1
    .uses_dynamic_stack: false
    .vgpr_count:     0
    .vgpr_spill_count: 0
    .wavefront_size: 64
  - .agpr_count:     0
    .args:
      - .offset:         0
        .size:           112
        .value_kind:     by_value
    .group_segment_fixed_size: 0
    .kernarg_segment_align: 8
    .kernarg_segment_size: 112
    .language:       OpenCL C
    .language_version:
      - 2
      - 0
    .max_flat_workgroup_size: 256
    .name:           _ZN7rocprim17ROCPRIM_400000_NS6detail17trampoline_kernelINS0_14default_configENS1_27scan_by_key_config_selectorIifEEZZNS1_16scan_by_key_implILNS1_25lookback_scan_determinismE0ELb1ES3_N6thrust23THRUST_200600_302600_NS6detail15normal_iteratorINS9_10device_ptrIiEEEENSB_INSC_IjEEEENSB_INSC_IfEEEEfNS9_4plusIvEENS9_8equal_toIvEEfEE10hipError_tPvRmT2_T3_T4_T5_mT6_T7_P12ihipStream_tbENKUlT_T0_E_clISt17integral_constantIbLb1EES12_IbLb0EEEEDaSY_SZ_EUlSY_E_NS1_11comp_targetILNS1_3genE2ELNS1_11target_archE906ELNS1_3gpuE6ELNS1_3repE0EEENS1_30default_config_static_selectorELNS0_4arch9wavefront6targetE1EEEvT1_
    .private_segment_fixed_size: 0
    .sgpr_count:     6
    .sgpr_spill_count: 0
    .symbol:         _ZN7rocprim17ROCPRIM_400000_NS6detail17trampoline_kernelINS0_14default_configENS1_27scan_by_key_config_selectorIifEEZZNS1_16scan_by_key_implILNS1_25lookback_scan_determinismE0ELb1ES3_N6thrust23THRUST_200600_302600_NS6detail15normal_iteratorINS9_10device_ptrIiEEEENSB_INSC_IjEEEENSB_INSC_IfEEEEfNS9_4plusIvEENS9_8equal_toIvEEfEE10hipError_tPvRmT2_T3_T4_T5_mT6_T7_P12ihipStream_tbENKUlT_T0_E_clISt17integral_constantIbLb1EES12_IbLb0EEEEDaSY_SZ_EUlSY_E_NS1_11comp_targetILNS1_3genE2ELNS1_11target_archE906ELNS1_3gpuE6ELNS1_3repE0EEENS1_30default_config_static_selectorELNS0_4arch9wavefront6targetE1EEEvT1_.kd
    .uniform_work_group_size: 1
    .uses_dynamic_stack: false
    .vgpr_count:     0
    .vgpr_spill_count: 0
    .wavefront_size: 64
  - .agpr_count:     0
    .args:
      - .offset:         0
        .size:           112
        .value_kind:     by_value
    .group_segment_fixed_size: 0
    .kernarg_segment_align: 8
    .kernarg_segment_size: 112
    .language:       OpenCL C
    .language_version:
      - 2
      - 0
    .max_flat_workgroup_size: 256
    .name:           _ZN7rocprim17ROCPRIM_400000_NS6detail17trampoline_kernelINS0_14default_configENS1_27scan_by_key_config_selectorIifEEZZNS1_16scan_by_key_implILNS1_25lookback_scan_determinismE0ELb1ES3_N6thrust23THRUST_200600_302600_NS6detail15normal_iteratorINS9_10device_ptrIiEEEENSB_INSC_IjEEEENSB_INSC_IfEEEEfNS9_4plusIvEENS9_8equal_toIvEEfEE10hipError_tPvRmT2_T3_T4_T5_mT6_T7_P12ihipStream_tbENKUlT_T0_E_clISt17integral_constantIbLb1EES12_IbLb0EEEEDaSY_SZ_EUlSY_E_NS1_11comp_targetILNS1_3genE10ELNS1_11target_archE1200ELNS1_3gpuE4ELNS1_3repE0EEENS1_30default_config_static_selectorELNS0_4arch9wavefront6targetE1EEEvT1_
    .private_segment_fixed_size: 0
    .sgpr_count:     6
    .sgpr_spill_count: 0
    .symbol:         _ZN7rocprim17ROCPRIM_400000_NS6detail17trampoline_kernelINS0_14default_configENS1_27scan_by_key_config_selectorIifEEZZNS1_16scan_by_key_implILNS1_25lookback_scan_determinismE0ELb1ES3_N6thrust23THRUST_200600_302600_NS6detail15normal_iteratorINS9_10device_ptrIiEEEENSB_INSC_IjEEEENSB_INSC_IfEEEEfNS9_4plusIvEENS9_8equal_toIvEEfEE10hipError_tPvRmT2_T3_T4_T5_mT6_T7_P12ihipStream_tbENKUlT_T0_E_clISt17integral_constantIbLb1EES12_IbLb0EEEEDaSY_SZ_EUlSY_E_NS1_11comp_targetILNS1_3genE10ELNS1_11target_archE1200ELNS1_3gpuE4ELNS1_3repE0EEENS1_30default_config_static_selectorELNS0_4arch9wavefront6targetE1EEEvT1_.kd
    .uniform_work_group_size: 1
    .uses_dynamic_stack: false
    .vgpr_count:     0
    .vgpr_spill_count: 0
    .wavefront_size: 64
  - .agpr_count:     0
    .args:
      - .offset:         0
        .size:           112
        .value_kind:     by_value
    .group_segment_fixed_size: 0
    .kernarg_segment_align: 8
    .kernarg_segment_size: 112
    .language:       OpenCL C
    .language_version:
      - 2
      - 0
    .max_flat_workgroup_size: 256
    .name:           _ZN7rocprim17ROCPRIM_400000_NS6detail17trampoline_kernelINS0_14default_configENS1_27scan_by_key_config_selectorIifEEZZNS1_16scan_by_key_implILNS1_25lookback_scan_determinismE0ELb1ES3_N6thrust23THRUST_200600_302600_NS6detail15normal_iteratorINS9_10device_ptrIiEEEENSB_INSC_IjEEEENSB_INSC_IfEEEEfNS9_4plusIvEENS9_8equal_toIvEEfEE10hipError_tPvRmT2_T3_T4_T5_mT6_T7_P12ihipStream_tbENKUlT_T0_E_clISt17integral_constantIbLb1EES12_IbLb0EEEEDaSY_SZ_EUlSY_E_NS1_11comp_targetILNS1_3genE9ELNS1_11target_archE1100ELNS1_3gpuE3ELNS1_3repE0EEENS1_30default_config_static_selectorELNS0_4arch9wavefront6targetE1EEEvT1_
    .private_segment_fixed_size: 0
    .sgpr_count:     6
    .sgpr_spill_count: 0
    .symbol:         _ZN7rocprim17ROCPRIM_400000_NS6detail17trampoline_kernelINS0_14default_configENS1_27scan_by_key_config_selectorIifEEZZNS1_16scan_by_key_implILNS1_25lookback_scan_determinismE0ELb1ES3_N6thrust23THRUST_200600_302600_NS6detail15normal_iteratorINS9_10device_ptrIiEEEENSB_INSC_IjEEEENSB_INSC_IfEEEEfNS9_4plusIvEENS9_8equal_toIvEEfEE10hipError_tPvRmT2_T3_T4_T5_mT6_T7_P12ihipStream_tbENKUlT_T0_E_clISt17integral_constantIbLb1EES12_IbLb0EEEEDaSY_SZ_EUlSY_E_NS1_11comp_targetILNS1_3genE9ELNS1_11target_archE1100ELNS1_3gpuE3ELNS1_3repE0EEENS1_30default_config_static_selectorELNS0_4arch9wavefront6targetE1EEEvT1_.kd
    .uniform_work_group_size: 1
    .uses_dynamic_stack: false
    .vgpr_count:     0
    .vgpr_spill_count: 0
    .wavefront_size: 64
  - .agpr_count:     0
    .args:
      - .offset:         0
        .size:           112
        .value_kind:     by_value
    .group_segment_fixed_size: 0
    .kernarg_segment_align: 8
    .kernarg_segment_size: 112
    .language:       OpenCL C
    .language_version:
      - 2
      - 0
    .max_flat_workgroup_size: 256
    .name:           _ZN7rocprim17ROCPRIM_400000_NS6detail17trampoline_kernelINS0_14default_configENS1_27scan_by_key_config_selectorIifEEZZNS1_16scan_by_key_implILNS1_25lookback_scan_determinismE0ELb1ES3_N6thrust23THRUST_200600_302600_NS6detail15normal_iteratorINS9_10device_ptrIiEEEENSB_INSC_IjEEEENSB_INSC_IfEEEEfNS9_4plusIvEENS9_8equal_toIvEEfEE10hipError_tPvRmT2_T3_T4_T5_mT6_T7_P12ihipStream_tbENKUlT_T0_E_clISt17integral_constantIbLb1EES12_IbLb0EEEEDaSY_SZ_EUlSY_E_NS1_11comp_targetILNS1_3genE8ELNS1_11target_archE1030ELNS1_3gpuE2ELNS1_3repE0EEENS1_30default_config_static_selectorELNS0_4arch9wavefront6targetE1EEEvT1_
    .private_segment_fixed_size: 0
    .sgpr_count:     6
    .sgpr_spill_count: 0
    .symbol:         _ZN7rocprim17ROCPRIM_400000_NS6detail17trampoline_kernelINS0_14default_configENS1_27scan_by_key_config_selectorIifEEZZNS1_16scan_by_key_implILNS1_25lookback_scan_determinismE0ELb1ES3_N6thrust23THRUST_200600_302600_NS6detail15normal_iteratorINS9_10device_ptrIiEEEENSB_INSC_IjEEEENSB_INSC_IfEEEEfNS9_4plusIvEENS9_8equal_toIvEEfEE10hipError_tPvRmT2_T3_T4_T5_mT6_T7_P12ihipStream_tbENKUlT_T0_E_clISt17integral_constantIbLb1EES12_IbLb0EEEEDaSY_SZ_EUlSY_E_NS1_11comp_targetILNS1_3genE8ELNS1_11target_archE1030ELNS1_3gpuE2ELNS1_3repE0EEENS1_30default_config_static_selectorELNS0_4arch9wavefront6targetE1EEEvT1_.kd
    .uniform_work_group_size: 1
    .uses_dynamic_stack: false
    .vgpr_count:     0
    .vgpr_spill_count: 0
    .wavefront_size: 64
  - .agpr_count:     0
    .args:
      - .offset:         0
        .size:           112
        .value_kind:     by_value
    .group_segment_fixed_size: 0
    .kernarg_segment_align: 8
    .kernarg_segment_size: 112
    .language:       OpenCL C
    .language_version:
      - 2
      - 0
    .max_flat_workgroup_size: 256
    .name:           _ZN7rocprim17ROCPRIM_400000_NS6detail17trampoline_kernelINS0_14default_configENS1_27scan_by_key_config_selectorIifEEZZNS1_16scan_by_key_implILNS1_25lookback_scan_determinismE0ELb1ES3_N6thrust23THRUST_200600_302600_NS6detail15normal_iteratorINS9_10device_ptrIiEEEENSB_INSC_IjEEEENSB_INSC_IfEEEEfNS9_4plusIvEENS9_8equal_toIvEEfEE10hipError_tPvRmT2_T3_T4_T5_mT6_T7_P12ihipStream_tbENKUlT_T0_E_clISt17integral_constantIbLb0EES12_IbLb1EEEEDaSY_SZ_EUlSY_E_NS1_11comp_targetILNS1_3genE0ELNS1_11target_archE4294967295ELNS1_3gpuE0ELNS1_3repE0EEENS1_30default_config_static_selectorELNS0_4arch9wavefront6targetE1EEEvT1_
    .private_segment_fixed_size: 0
    .sgpr_count:     6
    .sgpr_spill_count: 0
    .symbol:         _ZN7rocprim17ROCPRIM_400000_NS6detail17trampoline_kernelINS0_14default_configENS1_27scan_by_key_config_selectorIifEEZZNS1_16scan_by_key_implILNS1_25lookback_scan_determinismE0ELb1ES3_N6thrust23THRUST_200600_302600_NS6detail15normal_iteratorINS9_10device_ptrIiEEEENSB_INSC_IjEEEENSB_INSC_IfEEEEfNS9_4plusIvEENS9_8equal_toIvEEfEE10hipError_tPvRmT2_T3_T4_T5_mT6_T7_P12ihipStream_tbENKUlT_T0_E_clISt17integral_constantIbLb0EES12_IbLb1EEEEDaSY_SZ_EUlSY_E_NS1_11comp_targetILNS1_3genE0ELNS1_11target_archE4294967295ELNS1_3gpuE0ELNS1_3repE0EEENS1_30default_config_static_selectorELNS0_4arch9wavefront6targetE1EEEvT1_.kd
    .uniform_work_group_size: 1
    .uses_dynamic_stack: false
    .vgpr_count:     0
    .vgpr_spill_count: 0
    .wavefront_size: 64
  - .agpr_count:     0
    .args:
      - .offset:         0
        .size:           112
        .value_kind:     by_value
    .group_segment_fixed_size: 0
    .kernarg_segment_align: 8
    .kernarg_segment_size: 112
    .language:       OpenCL C
    .language_version:
      - 2
      - 0
    .max_flat_workgroup_size: 256
    .name:           _ZN7rocprim17ROCPRIM_400000_NS6detail17trampoline_kernelINS0_14default_configENS1_27scan_by_key_config_selectorIifEEZZNS1_16scan_by_key_implILNS1_25lookback_scan_determinismE0ELb1ES3_N6thrust23THRUST_200600_302600_NS6detail15normal_iteratorINS9_10device_ptrIiEEEENSB_INSC_IjEEEENSB_INSC_IfEEEEfNS9_4plusIvEENS9_8equal_toIvEEfEE10hipError_tPvRmT2_T3_T4_T5_mT6_T7_P12ihipStream_tbENKUlT_T0_E_clISt17integral_constantIbLb0EES12_IbLb1EEEEDaSY_SZ_EUlSY_E_NS1_11comp_targetILNS1_3genE10ELNS1_11target_archE1201ELNS1_3gpuE5ELNS1_3repE0EEENS1_30default_config_static_selectorELNS0_4arch9wavefront6targetE1EEEvT1_
    .private_segment_fixed_size: 0
    .sgpr_count:     6
    .sgpr_spill_count: 0
    .symbol:         _ZN7rocprim17ROCPRIM_400000_NS6detail17trampoline_kernelINS0_14default_configENS1_27scan_by_key_config_selectorIifEEZZNS1_16scan_by_key_implILNS1_25lookback_scan_determinismE0ELb1ES3_N6thrust23THRUST_200600_302600_NS6detail15normal_iteratorINS9_10device_ptrIiEEEENSB_INSC_IjEEEENSB_INSC_IfEEEEfNS9_4plusIvEENS9_8equal_toIvEEfEE10hipError_tPvRmT2_T3_T4_T5_mT6_T7_P12ihipStream_tbENKUlT_T0_E_clISt17integral_constantIbLb0EES12_IbLb1EEEEDaSY_SZ_EUlSY_E_NS1_11comp_targetILNS1_3genE10ELNS1_11target_archE1201ELNS1_3gpuE5ELNS1_3repE0EEENS1_30default_config_static_selectorELNS0_4arch9wavefront6targetE1EEEvT1_.kd
    .uniform_work_group_size: 1
    .uses_dynamic_stack: false
    .vgpr_count:     0
    .vgpr_spill_count: 0
    .wavefront_size: 64
  - .agpr_count:     0
    .args:
      - .offset:         0
        .size:           112
        .value_kind:     by_value
    .group_segment_fixed_size: 25600
    .kernarg_segment_align: 8
    .kernarg_segment_size: 112
    .language:       OpenCL C
    .language_version:
      - 2
      - 0
    .max_flat_workgroup_size: 256
    .name:           _ZN7rocprim17ROCPRIM_400000_NS6detail17trampoline_kernelINS0_14default_configENS1_27scan_by_key_config_selectorIifEEZZNS1_16scan_by_key_implILNS1_25lookback_scan_determinismE0ELb1ES3_N6thrust23THRUST_200600_302600_NS6detail15normal_iteratorINS9_10device_ptrIiEEEENSB_INSC_IjEEEENSB_INSC_IfEEEEfNS9_4plusIvEENS9_8equal_toIvEEfEE10hipError_tPvRmT2_T3_T4_T5_mT6_T7_P12ihipStream_tbENKUlT_T0_E_clISt17integral_constantIbLb0EES12_IbLb1EEEEDaSY_SZ_EUlSY_E_NS1_11comp_targetILNS1_3genE5ELNS1_11target_archE942ELNS1_3gpuE9ELNS1_3repE0EEENS1_30default_config_static_selectorELNS0_4arch9wavefront6targetE1EEEvT1_
    .private_segment_fixed_size: 0
    .sgpr_count:     86
    .sgpr_spill_count: 0
    .symbol:         _ZN7rocprim17ROCPRIM_400000_NS6detail17trampoline_kernelINS0_14default_configENS1_27scan_by_key_config_selectorIifEEZZNS1_16scan_by_key_implILNS1_25lookback_scan_determinismE0ELb1ES3_N6thrust23THRUST_200600_302600_NS6detail15normal_iteratorINS9_10device_ptrIiEEEENSB_INSC_IjEEEENSB_INSC_IfEEEEfNS9_4plusIvEENS9_8equal_toIvEEfEE10hipError_tPvRmT2_T3_T4_T5_mT6_T7_P12ihipStream_tbENKUlT_T0_E_clISt17integral_constantIbLb0EES12_IbLb1EEEEDaSY_SZ_EUlSY_E_NS1_11comp_targetILNS1_3genE5ELNS1_11target_archE942ELNS1_3gpuE9ELNS1_3repE0EEENS1_30default_config_static_selectorELNS0_4arch9wavefront6targetE1EEEvT1_.kd
    .uniform_work_group_size: 1
    .uses_dynamic_stack: false
    .vgpr_count:     96
    .vgpr_spill_count: 0
    .wavefront_size: 64
  - .agpr_count:     0
    .args:
      - .offset:         0
        .size:           112
        .value_kind:     by_value
    .group_segment_fixed_size: 0
    .kernarg_segment_align: 8
    .kernarg_segment_size: 112
    .language:       OpenCL C
    .language_version:
      - 2
      - 0
    .max_flat_workgroup_size: 256
    .name:           _ZN7rocprim17ROCPRIM_400000_NS6detail17trampoline_kernelINS0_14default_configENS1_27scan_by_key_config_selectorIifEEZZNS1_16scan_by_key_implILNS1_25lookback_scan_determinismE0ELb1ES3_N6thrust23THRUST_200600_302600_NS6detail15normal_iteratorINS9_10device_ptrIiEEEENSB_INSC_IjEEEENSB_INSC_IfEEEEfNS9_4plusIvEENS9_8equal_toIvEEfEE10hipError_tPvRmT2_T3_T4_T5_mT6_T7_P12ihipStream_tbENKUlT_T0_E_clISt17integral_constantIbLb0EES12_IbLb1EEEEDaSY_SZ_EUlSY_E_NS1_11comp_targetILNS1_3genE4ELNS1_11target_archE910ELNS1_3gpuE8ELNS1_3repE0EEENS1_30default_config_static_selectorELNS0_4arch9wavefront6targetE1EEEvT1_
    .private_segment_fixed_size: 0
    .sgpr_count:     6
    .sgpr_spill_count: 0
    .symbol:         _ZN7rocprim17ROCPRIM_400000_NS6detail17trampoline_kernelINS0_14default_configENS1_27scan_by_key_config_selectorIifEEZZNS1_16scan_by_key_implILNS1_25lookback_scan_determinismE0ELb1ES3_N6thrust23THRUST_200600_302600_NS6detail15normal_iteratorINS9_10device_ptrIiEEEENSB_INSC_IjEEEENSB_INSC_IfEEEEfNS9_4plusIvEENS9_8equal_toIvEEfEE10hipError_tPvRmT2_T3_T4_T5_mT6_T7_P12ihipStream_tbENKUlT_T0_E_clISt17integral_constantIbLb0EES12_IbLb1EEEEDaSY_SZ_EUlSY_E_NS1_11comp_targetILNS1_3genE4ELNS1_11target_archE910ELNS1_3gpuE8ELNS1_3repE0EEENS1_30default_config_static_selectorELNS0_4arch9wavefront6targetE1EEEvT1_.kd
    .uniform_work_group_size: 1
    .uses_dynamic_stack: false
    .vgpr_count:     0
    .vgpr_spill_count: 0
    .wavefront_size: 64
  - .agpr_count:     0
    .args:
      - .offset:         0
        .size:           112
        .value_kind:     by_value
    .group_segment_fixed_size: 0
    .kernarg_segment_align: 8
    .kernarg_segment_size: 112
    .language:       OpenCL C
    .language_version:
      - 2
      - 0
    .max_flat_workgroup_size: 256
    .name:           _ZN7rocprim17ROCPRIM_400000_NS6detail17trampoline_kernelINS0_14default_configENS1_27scan_by_key_config_selectorIifEEZZNS1_16scan_by_key_implILNS1_25lookback_scan_determinismE0ELb1ES3_N6thrust23THRUST_200600_302600_NS6detail15normal_iteratorINS9_10device_ptrIiEEEENSB_INSC_IjEEEENSB_INSC_IfEEEEfNS9_4plusIvEENS9_8equal_toIvEEfEE10hipError_tPvRmT2_T3_T4_T5_mT6_T7_P12ihipStream_tbENKUlT_T0_E_clISt17integral_constantIbLb0EES12_IbLb1EEEEDaSY_SZ_EUlSY_E_NS1_11comp_targetILNS1_3genE3ELNS1_11target_archE908ELNS1_3gpuE7ELNS1_3repE0EEENS1_30default_config_static_selectorELNS0_4arch9wavefront6targetE1EEEvT1_
    .private_segment_fixed_size: 0
    .sgpr_count:     6
    .sgpr_spill_count: 0
    .symbol:         _ZN7rocprim17ROCPRIM_400000_NS6detail17trampoline_kernelINS0_14default_configENS1_27scan_by_key_config_selectorIifEEZZNS1_16scan_by_key_implILNS1_25lookback_scan_determinismE0ELb1ES3_N6thrust23THRUST_200600_302600_NS6detail15normal_iteratorINS9_10device_ptrIiEEEENSB_INSC_IjEEEENSB_INSC_IfEEEEfNS9_4plusIvEENS9_8equal_toIvEEfEE10hipError_tPvRmT2_T3_T4_T5_mT6_T7_P12ihipStream_tbENKUlT_T0_E_clISt17integral_constantIbLb0EES12_IbLb1EEEEDaSY_SZ_EUlSY_E_NS1_11comp_targetILNS1_3genE3ELNS1_11target_archE908ELNS1_3gpuE7ELNS1_3repE0EEENS1_30default_config_static_selectorELNS0_4arch9wavefront6targetE1EEEvT1_.kd
    .uniform_work_group_size: 1
    .uses_dynamic_stack: false
    .vgpr_count:     0
    .vgpr_spill_count: 0
    .wavefront_size: 64
  - .agpr_count:     0
    .args:
      - .offset:         0
        .size:           112
        .value_kind:     by_value
    .group_segment_fixed_size: 0
    .kernarg_segment_align: 8
    .kernarg_segment_size: 112
    .language:       OpenCL C
    .language_version:
      - 2
      - 0
    .max_flat_workgroup_size: 256
    .name:           _ZN7rocprim17ROCPRIM_400000_NS6detail17trampoline_kernelINS0_14default_configENS1_27scan_by_key_config_selectorIifEEZZNS1_16scan_by_key_implILNS1_25lookback_scan_determinismE0ELb1ES3_N6thrust23THRUST_200600_302600_NS6detail15normal_iteratorINS9_10device_ptrIiEEEENSB_INSC_IjEEEENSB_INSC_IfEEEEfNS9_4plusIvEENS9_8equal_toIvEEfEE10hipError_tPvRmT2_T3_T4_T5_mT6_T7_P12ihipStream_tbENKUlT_T0_E_clISt17integral_constantIbLb0EES12_IbLb1EEEEDaSY_SZ_EUlSY_E_NS1_11comp_targetILNS1_3genE2ELNS1_11target_archE906ELNS1_3gpuE6ELNS1_3repE0EEENS1_30default_config_static_selectorELNS0_4arch9wavefront6targetE1EEEvT1_
    .private_segment_fixed_size: 0
    .sgpr_count:     6
    .sgpr_spill_count: 0
    .symbol:         _ZN7rocprim17ROCPRIM_400000_NS6detail17trampoline_kernelINS0_14default_configENS1_27scan_by_key_config_selectorIifEEZZNS1_16scan_by_key_implILNS1_25lookback_scan_determinismE0ELb1ES3_N6thrust23THRUST_200600_302600_NS6detail15normal_iteratorINS9_10device_ptrIiEEEENSB_INSC_IjEEEENSB_INSC_IfEEEEfNS9_4plusIvEENS9_8equal_toIvEEfEE10hipError_tPvRmT2_T3_T4_T5_mT6_T7_P12ihipStream_tbENKUlT_T0_E_clISt17integral_constantIbLb0EES12_IbLb1EEEEDaSY_SZ_EUlSY_E_NS1_11comp_targetILNS1_3genE2ELNS1_11target_archE906ELNS1_3gpuE6ELNS1_3repE0EEENS1_30default_config_static_selectorELNS0_4arch9wavefront6targetE1EEEvT1_.kd
    .uniform_work_group_size: 1
    .uses_dynamic_stack: false
    .vgpr_count:     0
    .vgpr_spill_count: 0
    .wavefront_size: 64
  - .agpr_count:     0
    .args:
      - .offset:         0
        .size:           112
        .value_kind:     by_value
    .group_segment_fixed_size: 0
    .kernarg_segment_align: 8
    .kernarg_segment_size: 112
    .language:       OpenCL C
    .language_version:
      - 2
      - 0
    .max_flat_workgroup_size: 256
    .name:           _ZN7rocprim17ROCPRIM_400000_NS6detail17trampoline_kernelINS0_14default_configENS1_27scan_by_key_config_selectorIifEEZZNS1_16scan_by_key_implILNS1_25lookback_scan_determinismE0ELb1ES3_N6thrust23THRUST_200600_302600_NS6detail15normal_iteratorINS9_10device_ptrIiEEEENSB_INSC_IjEEEENSB_INSC_IfEEEEfNS9_4plusIvEENS9_8equal_toIvEEfEE10hipError_tPvRmT2_T3_T4_T5_mT6_T7_P12ihipStream_tbENKUlT_T0_E_clISt17integral_constantIbLb0EES12_IbLb1EEEEDaSY_SZ_EUlSY_E_NS1_11comp_targetILNS1_3genE10ELNS1_11target_archE1200ELNS1_3gpuE4ELNS1_3repE0EEENS1_30default_config_static_selectorELNS0_4arch9wavefront6targetE1EEEvT1_
    .private_segment_fixed_size: 0
    .sgpr_count:     6
    .sgpr_spill_count: 0
    .symbol:         _ZN7rocprim17ROCPRIM_400000_NS6detail17trampoline_kernelINS0_14default_configENS1_27scan_by_key_config_selectorIifEEZZNS1_16scan_by_key_implILNS1_25lookback_scan_determinismE0ELb1ES3_N6thrust23THRUST_200600_302600_NS6detail15normal_iteratorINS9_10device_ptrIiEEEENSB_INSC_IjEEEENSB_INSC_IfEEEEfNS9_4plusIvEENS9_8equal_toIvEEfEE10hipError_tPvRmT2_T3_T4_T5_mT6_T7_P12ihipStream_tbENKUlT_T0_E_clISt17integral_constantIbLb0EES12_IbLb1EEEEDaSY_SZ_EUlSY_E_NS1_11comp_targetILNS1_3genE10ELNS1_11target_archE1200ELNS1_3gpuE4ELNS1_3repE0EEENS1_30default_config_static_selectorELNS0_4arch9wavefront6targetE1EEEvT1_.kd
    .uniform_work_group_size: 1
    .uses_dynamic_stack: false
    .vgpr_count:     0
    .vgpr_spill_count: 0
    .wavefront_size: 64
  - .agpr_count:     0
    .args:
      - .offset:         0
        .size:           112
        .value_kind:     by_value
    .group_segment_fixed_size: 0
    .kernarg_segment_align: 8
    .kernarg_segment_size: 112
    .language:       OpenCL C
    .language_version:
      - 2
      - 0
    .max_flat_workgroup_size: 256
    .name:           _ZN7rocprim17ROCPRIM_400000_NS6detail17trampoline_kernelINS0_14default_configENS1_27scan_by_key_config_selectorIifEEZZNS1_16scan_by_key_implILNS1_25lookback_scan_determinismE0ELb1ES3_N6thrust23THRUST_200600_302600_NS6detail15normal_iteratorINS9_10device_ptrIiEEEENSB_INSC_IjEEEENSB_INSC_IfEEEEfNS9_4plusIvEENS9_8equal_toIvEEfEE10hipError_tPvRmT2_T3_T4_T5_mT6_T7_P12ihipStream_tbENKUlT_T0_E_clISt17integral_constantIbLb0EES12_IbLb1EEEEDaSY_SZ_EUlSY_E_NS1_11comp_targetILNS1_3genE9ELNS1_11target_archE1100ELNS1_3gpuE3ELNS1_3repE0EEENS1_30default_config_static_selectorELNS0_4arch9wavefront6targetE1EEEvT1_
    .private_segment_fixed_size: 0
    .sgpr_count:     6
    .sgpr_spill_count: 0
    .symbol:         _ZN7rocprim17ROCPRIM_400000_NS6detail17trampoline_kernelINS0_14default_configENS1_27scan_by_key_config_selectorIifEEZZNS1_16scan_by_key_implILNS1_25lookback_scan_determinismE0ELb1ES3_N6thrust23THRUST_200600_302600_NS6detail15normal_iteratorINS9_10device_ptrIiEEEENSB_INSC_IjEEEENSB_INSC_IfEEEEfNS9_4plusIvEENS9_8equal_toIvEEfEE10hipError_tPvRmT2_T3_T4_T5_mT6_T7_P12ihipStream_tbENKUlT_T0_E_clISt17integral_constantIbLb0EES12_IbLb1EEEEDaSY_SZ_EUlSY_E_NS1_11comp_targetILNS1_3genE9ELNS1_11target_archE1100ELNS1_3gpuE3ELNS1_3repE0EEENS1_30default_config_static_selectorELNS0_4arch9wavefront6targetE1EEEvT1_.kd
    .uniform_work_group_size: 1
    .uses_dynamic_stack: false
    .vgpr_count:     0
    .vgpr_spill_count: 0
    .wavefront_size: 64
  - .agpr_count:     0
    .args:
      - .offset:         0
        .size:           112
        .value_kind:     by_value
    .group_segment_fixed_size: 0
    .kernarg_segment_align: 8
    .kernarg_segment_size: 112
    .language:       OpenCL C
    .language_version:
      - 2
      - 0
    .max_flat_workgroup_size: 256
    .name:           _ZN7rocprim17ROCPRIM_400000_NS6detail17trampoline_kernelINS0_14default_configENS1_27scan_by_key_config_selectorIifEEZZNS1_16scan_by_key_implILNS1_25lookback_scan_determinismE0ELb1ES3_N6thrust23THRUST_200600_302600_NS6detail15normal_iteratorINS9_10device_ptrIiEEEENSB_INSC_IjEEEENSB_INSC_IfEEEEfNS9_4plusIvEENS9_8equal_toIvEEfEE10hipError_tPvRmT2_T3_T4_T5_mT6_T7_P12ihipStream_tbENKUlT_T0_E_clISt17integral_constantIbLb0EES12_IbLb1EEEEDaSY_SZ_EUlSY_E_NS1_11comp_targetILNS1_3genE8ELNS1_11target_archE1030ELNS1_3gpuE2ELNS1_3repE0EEENS1_30default_config_static_selectorELNS0_4arch9wavefront6targetE1EEEvT1_
    .private_segment_fixed_size: 0
    .sgpr_count:     6
    .sgpr_spill_count: 0
    .symbol:         _ZN7rocprim17ROCPRIM_400000_NS6detail17trampoline_kernelINS0_14default_configENS1_27scan_by_key_config_selectorIifEEZZNS1_16scan_by_key_implILNS1_25lookback_scan_determinismE0ELb1ES3_N6thrust23THRUST_200600_302600_NS6detail15normal_iteratorINS9_10device_ptrIiEEEENSB_INSC_IjEEEENSB_INSC_IfEEEEfNS9_4plusIvEENS9_8equal_toIvEEfEE10hipError_tPvRmT2_T3_T4_T5_mT6_T7_P12ihipStream_tbENKUlT_T0_E_clISt17integral_constantIbLb0EES12_IbLb1EEEEDaSY_SZ_EUlSY_E_NS1_11comp_targetILNS1_3genE8ELNS1_11target_archE1030ELNS1_3gpuE2ELNS1_3repE0EEENS1_30default_config_static_selectorELNS0_4arch9wavefront6targetE1EEEvT1_.kd
    .uniform_work_group_size: 1
    .uses_dynamic_stack: false
    .vgpr_count:     0
    .vgpr_spill_count: 0
    .wavefront_size: 64
  - .agpr_count:     0
    .args:
      - .offset:         0
        .size:           112
        .value_kind:     by_value
    .group_segment_fixed_size: 0
    .kernarg_segment_align: 8
    .kernarg_segment_size: 112
    .language:       OpenCL C
    .language_version:
      - 2
      - 0
    .max_flat_workgroup_size: 256
    .name:           _ZN7rocprim17ROCPRIM_400000_NS6detail17trampoline_kernelINS0_14default_configENS1_27scan_by_key_config_selectorIiiEEZZNS1_16scan_by_key_implILNS1_25lookback_scan_determinismE0ELb1ES3_N6thrust23THRUST_200600_302600_NS6detail15normal_iteratorINS9_10device_ptrIiEEEENSB_INSC_IjEEEENSB_INSC_IfEEEEiNS9_4plusIvEENS9_8equal_toIvEEiEE10hipError_tPvRmT2_T3_T4_T5_mT6_T7_P12ihipStream_tbENKUlT_T0_E_clISt17integral_constantIbLb0EES13_EEDaSY_SZ_EUlSY_E_NS1_11comp_targetILNS1_3genE0ELNS1_11target_archE4294967295ELNS1_3gpuE0ELNS1_3repE0EEENS1_30default_config_static_selectorELNS0_4arch9wavefront6targetE1EEEvT1_
    .private_segment_fixed_size: 0
    .sgpr_count:     6
    .sgpr_spill_count: 0
    .symbol:         _ZN7rocprim17ROCPRIM_400000_NS6detail17trampoline_kernelINS0_14default_configENS1_27scan_by_key_config_selectorIiiEEZZNS1_16scan_by_key_implILNS1_25lookback_scan_determinismE0ELb1ES3_N6thrust23THRUST_200600_302600_NS6detail15normal_iteratorINS9_10device_ptrIiEEEENSB_INSC_IjEEEENSB_INSC_IfEEEEiNS9_4plusIvEENS9_8equal_toIvEEiEE10hipError_tPvRmT2_T3_T4_T5_mT6_T7_P12ihipStream_tbENKUlT_T0_E_clISt17integral_constantIbLb0EES13_EEDaSY_SZ_EUlSY_E_NS1_11comp_targetILNS1_3genE0ELNS1_11target_archE4294967295ELNS1_3gpuE0ELNS1_3repE0EEENS1_30default_config_static_selectorELNS0_4arch9wavefront6targetE1EEEvT1_.kd
    .uniform_work_group_size: 1
    .uses_dynamic_stack: false
    .vgpr_count:     0
    .vgpr_spill_count: 0
    .wavefront_size: 64
  - .agpr_count:     0
    .args:
      - .offset:         0
        .size:           112
        .value_kind:     by_value
    .group_segment_fixed_size: 0
    .kernarg_segment_align: 8
    .kernarg_segment_size: 112
    .language:       OpenCL C
    .language_version:
      - 2
      - 0
    .max_flat_workgroup_size: 256
    .name:           _ZN7rocprim17ROCPRIM_400000_NS6detail17trampoline_kernelINS0_14default_configENS1_27scan_by_key_config_selectorIiiEEZZNS1_16scan_by_key_implILNS1_25lookback_scan_determinismE0ELb1ES3_N6thrust23THRUST_200600_302600_NS6detail15normal_iteratorINS9_10device_ptrIiEEEENSB_INSC_IjEEEENSB_INSC_IfEEEEiNS9_4plusIvEENS9_8equal_toIvEEiEE10hipError_tPvRmT2_T3_T4_T5_mT6_T7_P12ihipStream_tbENKUlT_T0_E_clISt17integral_constantIbLb0EES13_EEDaSY_SZ_EUlSY_E_NS1_11comp_targetILNS1_3genE10ELNS1_11target_archE1201ELNS1_3gpuE5ELNS1_3repE0EEENS1_30default_config_static_selectorELNS0_4arch9wavefront6targetE1EEEvT1_
    .private_segment_fixed_size: 0
    .sgpr_count:     6
    .sgpr_spill_count: 0
    .symbol:         _ZN7rocprim17ROCPRIM_400000_NS6detail17trampoline_kernelINS0_14default_configENS1_27scan_by_key_config_selectorIiiEEZZNS1_16scan_by_key_implILNS1_25lookback_scan_determinismE0ELb1ES3_N6thrust23THRUST_200600_302600_NS6detail15normal_iteratorINS9_10device_ptrIiEEEENSB_INSC_IjEEEENSB_INSC_IfEEEEiNS9_4plusIvEENS9_8equal_toIvEEiEE10hipError_tPvRmT2_T3_T4_T5_mT6_T7_P12ihipStream_tbENKUlT_T0_E_clISt17integral_constantIbLb0EES13_EEDaSY_SZ_EUlSY_E_NS1_11comp_targetILNS1_3genE10ELNS1_11target_archE1201ELNS1_3gpuE5ELNS1_3repE0EEENS1_30default_config_static_selectorELNS0_4arch9wavefront6targetE1EEEvT1_.kd
    .uniform_work_group_size: 1
    .uses_dynamic_stack: false
    .vgpr_count:     0
    .vgpr_spill_count: 0
    .wavefront_size: 64
  - .agpr_count:     0
    .args:
      - .offset:         0
        .size:           112
        .value_kind:     by_value
    .group_segment_fixed_size: 25600
    .kernarg_segment_align: 8
    .kernarg_segment_size: 112
    .language:       OpenCL C
    .language_version:
      - 2
      - 0
    .max_flat_workgroup_size: 256
    .name:           _ZN7rocprim17ROCPRIM_400000_NS6detail17trampoline_kernelINS0_14default_configENS1_27scan_by_key_config_selectorIiiEEZZNS1_16scan_by_key_implILNS1_25lookback_scan_determinismE0ELb1ES3_N6thrust23THRUST_200600_302600_NS6detail15normal_iteratorINS9_10device_ptrIiEEEENSB_INSC_IjEEEENSB_INSC_IfEEEEiNS9_4plusIvEENS9_8equal_toIvEEiEE10hipError_tPvRmT2_T3_T4_T5_mT6_T7_P12ihipStream_tbENKUlT_T0_E_clISt17integral_constantIbLb0EES13_EEDaSY_SZ_EUlSY_E_NS1_11comp_targetILNS1_3genE5ELNS1_11target_archE942ELNS1_3gpuE9ELNS1_3repE0EEENS1_30default_config_static_selectorELNS0_4arch9wavefront6targetE1EEEvT1_
    .private_segment_fixed_size: 0
    .sgpr_count:     86
    .sgpr_spill_count: 0
    .symbol:         _ZN7rocprim17ROCPRIM_400000_NS6detail17trampoline_kernelINS0_14default_configENS1_27scan_by_key_config_selectorIiiEEZZNS1_16scan_by_key_implILNS1_25lookback_scan_determinismE0ELb1ES3_N6thrust23THRUST_200600_302600_NS6detail15normal_iteratorINS9_10device_ptrIiEEEENSB_INSC_IjEEEENSB_INSC_IfEEEEiNS9_4plusIvEENS9_8equal_toIvEEiEE10hipError_tPvRmT2_T3_T4_T5_mT6_T7_P12ihipStream_tbENKUlT_T0_E_clISt17integral_constantIbLb0EES13_EEDaSY_SZ_EUlSY_E_NS1_11comp_targetILNS1_3genE5ELNS1_11target_archE942ELNS1_3gpuE9ELNS1_3repE0EEENS1_30default_config_static_selectorELNS0_4arch9wavefront6targetE1EEEvT1_.kd
    .uniform_work_group_size: 1
    .uses_dynamic_stack: false
    .vgpr_count:     81
    .vgpr_spill_count: 0
    .wavefront_size: 64
  - .agpr_count:     0
    .args:
      - .offset:         0
        .size:           112
        .value_kind:     by_value
    .group_segment_fixed_size: 0
    .kernarg_segment_align: 8
    .kernarg_segment_size: 112
    .language:       OpenCL C
    .language_version:
      - 2
      - 0
    .max_flat_workgroup_size: 256
    .name:           _ZN7rocprim17ROCPRIM_400000_NS6detail17trampoline_kernelINS0_14default_configENS1_27scan_by_key_config_selectorIiiEEZZNS1_16scan_by_key_implILNS1_25lookback_scan_determinismE0ELb1ES3_N6thrust23THRUST_200600_302600_NS6detail15normal_iteratorINS9_10device_ptrIiEEEENSB_INSC_IjEEEENSB_INSC_IfEEEEiNS9_4plusIvEENS9_8equal_toIvEEiEE10hipError_tPvRmT2_T3_T4_T5_mT6_T7_P12ihipStream_tbENKUlT_T0_E_clISt17integral_constantIbLb0EES13_EEDaSY_SZ_EUlSY_E_NS1_11comp_targetILNS1_3genE4ELNS1_11target_archE910ELNS1_3gpuE8ELNS1_3repE0EEENS1_30default_config_static_selectorELNS0_4arch9wavefront6targetE1EEEvT1_
    .private_segment_fixed_size: 0
    .sgpr_count:     6
    .sgpr_spill_count: 0
    .symbol:         _ZN7rocprim17ROCPRIM_400000_NS6detail17trampoline_kernelINS0_14default_configENS1_27scan_by_key_config_selectorIiiEEZZNS1_16scan_by_key_implILNS1_25lookback_scan_determinismE0ELb1ES3_N6thrust23THRUST_200600_302600_NS6detail15normal_iteratorINS9_10device_ptrIiEEEENSB_INSC_IjEEEENSB_INSC_IfEEEEiNS9_4plusIvEENS9_8equal_toIvEEiEE10hipError_tPvRmT2_T3_T4_T5_mT6_T7_P12ihipStream_tbENKUlT_T0_E_clISt17integral_constantIbLb0EES13_EEDaSY_SZ_EUlSY_E_NS1_11comp_targetILNS1_3genE4ELNS1_11target_archE910ELNS1_3gpuE8ELNS1_3repE0EEENS1_30default_config_static_selectorELNS0_4arch9wavefront6targetE1EEEvT1_.kd
    .uniform_work_group_size: 1
    .uses_dynamic_stack: false
    .vgpr_count:     0
    .vgpr_spill_count: 0
    .wavefront_size: 64
  - .agpr_count:     0
    .args:
      - .offset:         0
        .size:           112
        .value_kind:     by_value
    .group_segment_fixed_size: 0
    .kernarg_segment_align: 8
    .kernarg_segment_size: 112
    .language:       OpenCL C
    .language_version:
      - 2
      - 0
    .max_flat_workgroup_size: 256
    .name:           _ZN7rocprim17ROCPRIM_400000_NS6detail17trampoline_kernelINS0_14default_configENS1_27scan_by_key_config_selectorIiiEEZZNS1_16scan_by_key_implILNS1_25lookback_scan_determinismE0ELb1ES3_N6thrust23THRUST_200600_302600_NS6detail15normal_iteratorINS9_10device_ptrIiEEEENSB_INSC_IjEEEENSB_INSC_IfEEEEiNS9_4plusIvEENS9_8equal_toIvEEiEE10hipError_tPvRmT2_T3_T4_T5_mT6_T7_P12ihipStream_tbENKUlT_T0_E_clISt17integral_constantIbLb0EES13_EEDaSY_SZ_EUlSY_E_NS1_11comp_targetILNS1_3genE3ELNS1_11target_archE908ELNS1_3gpuE7ELNS1_3repE0EEENS1_30default_config_static_selectorELNS0_4arch9wavefront6targetE1EEEvT1_
    .private_segment_fixed_size: 0
    .sgpr_count:     6
    .sgpr_spill_count: 0
    .symbol:         _ZN7rocprim17ROCPRIM_400000_NS6detail17trampoline_kernelINS0_14default_configENS1_27scan_by_key_config_selectorIiiEEZZNS1_16scan_by_key_implILNS1_25lookback_scan_determinismE0ELb1ES3_N6thrust23THRUST_200600_302600_NS6detail15normal_iteratorINS9_10device_ptrIiEEEENSB_INSC_IjEEEENSB_INSC_IfEEEEiNS9_4plusIvEENS9_8equal_toIvEEiEE10hipError_tPvRmT2_T3_T4_T5_mT6_T7_P12ihipStream_tbENKUlT_T0_E_clISt17integral_constantIbLb0EES13_EEDaSY_SZ_EUlSY_E_NS1_11comp_targetILNS1_3genE3ELNS1_11target_archE908ELNS1_3gpuE7ELNS1_3repE0EEENS1_30default_config_static_selectorELNS0_4arch9wavefront6targetE1EEEvT1_.kd
    .uniform_work_group_size: 1
    .uses_dynamic_stack: false
    .vgpr_count:     0
    .vgpr_spill_count: 0
    .wavefront_size: 64
  - .agpr_count:     0
    .args:
      - .offset:         0
        .size:           112
        .value_kind:     by_value
    .group_segment_fixed_size: 0
    .kernarg_segment_align: 8
    .kernarg_segment_size: 112
    .language:       OpenCL C
    .language_version:
      - 2
      - 0
    .max_flat_workgroup_size: 256
    .name:           _ZN7rocprim17ROCPRIM_400000_NS6detail17trampoline_kernelINS0_14default_configENS1_27scan_by_key_config_selectorIiiEEZZNS1_16scan_by_key_implILNS1_25lookback_scan_determinismE0ELb1ES3_N6thrust23THRUST_200600_302600_NS6detail15normal_iteratorINS9_10device_ptrIiEEEENSB_INSC_IjEEEENSB_INSC_IfEEEEiNS9_4plusIvEENS9_8equal_toIvEEiEE10hipError_tPvRmT2_T3_T4_T5_mT6_T7_P12ihipStream_tbENKUlT_T0_E_clISt17integral_constantIbLb0EES13_EEDaSY_SZ_EUlSY_E_NS1_11comp_targetILNS1_3genE2ELNS1_11target_archE906ELNS1_3gpuE6ELNS1_3repE0EEENS1_30default_config_static_selectorELNS0_4arch9wavefront6targetE1EEEvT1_
    .private_segment_fixed_size: 0
    .sgpr_count:     6
    .sgpr_spill_count: 0
    .symbol:         _ZN7rocprim17ROCPRIM_400000_NS6detail17trampoline_kernelINS0_14default_configENS1_27scan_by_key_config_selectorIiiEEZZNS1_16scan_by_key_implILNS1_25lookback_scan_determinismE0ELb1ES3_N6thrust23THRUST_200600_302600_NS6detail15normal_iteratorINS9_10device_ptrIiEEEENSB_INSC_IjEEEENSB_INSC_IfEEEEiNS9_4plusIvEENS9_8equal_toIvEEiEE10hipError_tPvRmT2_T3_T4_T5_mT6_T7_P12ihipStream_tbENKUlT_T0_E_clISt17integral_constantIbLb0EES13_EEDaSY_SZ_EUlSY_E_NS1_11comp_targetILNS1_3genE2ELNS1_11target_archE906ELNS1_3gpuE6ELNS1_3repE0EEENS1_30default_config_static_selectorELNS0_4arch9wavefront6targetE1EEEvT1_.kd
    .uniform_work_group_size: 1
    .uses_dynamic_stack: false
    .vgpr_count:     0
    .vgpr_spill_count: 0
    .wavefront_size: 64
  - .agpr_count:     0
    .args:
      - .offset:         0
        .size:           112
        .value_kind:     by_value
    .group_segment_fixed_size: 0
    .kernarg_segment_align: 8
    .kernarg_segment_size: 112
    .language:       OpenCL C
    .language_version:
      - 2
      - 0
    .max_flat_workgroup_size: 256
    .name:           _ZN7rocprim17ROCPRIM_400000_NS6detail17trampoline_kernelINS0_14default_configENS1_27scan_by_key_config_selectorIiiEEZZNS1_16scan_by_key_implILNS1_25lookback_scan_determinismE0ELb1ES3_N6thrust23THRUST_200600_302600_NS6detail15normal_iteratorINS9_10device_ptrIiEEEENSB_INSC_IjEEEENSB_INSC_IfEEEEiNS9_4plusIvEENS9_8equal_toIvEEiEE10hipError_tPvRmT2_T3_T4_T5_mT6_T7_P12ihipStream_tbENKUlT_T0_E_clISt17integral_constantIbLb0EES13_EEDaSY_SZ_EUlSY_E_NS1_11comp_targetILNS1_3genE10ELNS1_11target_archE1200ELNS1_3gpuE4ELNS1_3repE0EEENS1_30default_config_static_selectorELNS0_4arch9wavefront6targetE1EEEvT1_
    .private_segment_fixed_size: 0
    .sgpr_count:     6
    .sgpr_spill_count: 0
    .symbol:         _ZN7rocprim17ROCPRIM_400000_NS6detail17trampoline_kernelINS0_14default_configENS1_27scan_by_key_config_selectorIiiEEZZNS1_16scan_by_key_implILNS1_25lookback_scan_determinismE0ELb1ES3_N6thrust23THRUST_200600_302600_NS6detail15normal_iteratorINS9_10device_ptrIiEEEENSB_INSC_IjEEEENSB_INSC_IfEEEEiNS9_4plusIvEENS9_8equal_toIvEEiEE10hipError_tPvRmT2_T3_T4_T5_mT6_T7_P12ihipStream_tbENKUlT_T0_E_clISt17integral_constantIbLb0EES13_EEDaSY_SZ_EUlSY_E_NS1_11comp_targetILNS1_3genE10ELNS1_11target_archE1200ELNS1_3gpuE4ELNS1_3repE0EEENS1_30default_config_static_selectorELNS0_4arch9wavefront6targetE1EEEvT1_.kd
    .uniform_work_group_size: 1
    .uses_dynamic_stack: false
    .vgpr_count:     0
    .vgpr_spill_count: 0
    .wavefront_size: 64
  - .agpr_count:     0
    .args:
      - .offset:         0
        .size:           112
        .value_kind:     by_value
    .group_segment_fixed_size: 0
    .kernarg_segment_align: 8
    .kernarg_segment_size: 112
    .language:       OpenCL C
    .language_version:
      - 2
      - 0
    .max_flat_workgroup_size: 256
    .name:           _ZN7rocprim17ROCPRIM_400000_NS6detail17trampoline_kernelINS0_14default_configENS1_27scan_by_key_config_selectorIiiEEZZNS1_16scan_by_key_implILNS1_25lookback_scan_determinismE0ELb1ES3_N6thrust23THRUST_200600_302600_NS6detail15normal_iteratorINS9_10device_ptrIiEEEENSB_INSC_IjEEEENSB_INSC_IfEEEEiNS9_4plusIvEENS9_8equal_toIvEEiEE10hipError_tPvRmT2_T3_T4_T5_mT6_T7_P12ihipStream_tbENKUlT_T0_E_clISt17integral_constantIbLb0EES13_EEDaSY_SZ_EUlSY_E_NS1_11comp_targetILNS1_3genE9ELNS1_11target_archE1100ELNS1_3gpuE3ELNS1_3repE0EEENS1_30default_config_static_selectorELNS0_4arch9wavefront6targetE1EEEvT1_
    .private_segment_fixed_size: 0
    .sgpr_count:     6
    .sgpr_spill_count: 0
    .symbol:         _ZN7rocprim17ROCPRIM_400000_NS6detail17trampoline_kernelINS0_14default_configENS1_27scan_by_key_config_selectorIiiEEZZNS1_16scan_by_key_implILNS1_25lookback_scan_determinismE0ELb1ES3_N6thrust23THRUST_200600_302600_NS6detail15normal_iteratorINS9_10device_ptrIiEEEENSB_INSC_IjEEEENSB_INSC_IfEEEEiNS9_4plusIvEENS9_8equal_toIvEEiEE10hipError_tPvRmT2_T3_T4_T5_mT6_T7_P12ihipStream_tbENKUlT_T0_E_clISt17integral_constantIbLb0EES13_EEDaSY_SZ_EUlSY_E_NS1_11comp_targetILNS1_3genE9ELNS1_11target_archE1100ELNS1_3gpuE3ELNS1_3repE0EEENS1_30default_config_static_selectorELNS0_4arch9wavefront6targetE1EEEvT1_.kd
    .uniform_work_group_size: 1
    .uses_dynamic_stack: false
    .vgpr_count:     0
    .vgpr_spill_count: 0
    .wavefront_size: 64
  - .agpr_count:     0
    .args:
      - .offset:         0
        .size:           112
        .value_kind:     by_value
    .group_segment_fixed_size: 0
    .kernarg_segment_align: 8
    .kernarg_segment_size: 112
    .language:       OpenCL C
    .language_version:
      - 2
      - 0
    .max_flat_workgroup_size: 256
    .name:           _ZN7rocprim17ROCPRIM_400000_NS6detail17trampoline_kernelINS0_14default_configENS1_27scan_by_key_config_selectorIiiEEZZNS1_16scan_by_key_implILNS1_25lookback_scan_determinismE0ELb1ES3_N6thrust23THRUST_200600_302600_NS6detail15normal_iteratorINS9_10device_ptrIiEEEENSB_INSC_IjEEEENSB_INSC_IfEEEEiNS9_4plusIvEENS9_8equal_toIvEEiEE10hipError_tPvRmT2_T3_T4_T5_mT6_T7_P12ihipStream_tbENKUlT_T0_E_clISt17integral_constantIbLb0EES13_EEDaSY_SZ_EUlSY_E_NS1_11comp_targetILNS1_3genE8ELNS1_11target_archE1030ELNS1_3gpuE2ELNS1_3repE0EEENS1_30default_config_static_selectorELNS0_4arch9wavefront6targetE1EEEvT1_
    .private_segment_fixed_size: 0
    .sgpr_count:     6
    .sgpr_spill_count: 0
    .symbol:         _ZN7rocprim17ROCPRIM_400000_NS6detail17trampoline_kernelINS0_14default_configENS1_27scan_by_key_config_selectorIiiEEZZNS1_16scan_by_key_implILNS1_25lookback_scan_determinismE0ELb1ES3_N6thrust23THRUST_200600_302600_NS6detail15normal_iteratorINS9_10device_ptrIiEEEENSB_INSC_IjEEEENSB_INSC_IfEEEEiNS9_4plusIvEENS9_8equal_toIvEEiEE10hipError_tPvRmT2_T3_T4_T5_mT6_T7_P12ihipStream_tbENKUlT_T0_E_clISt17integral_constantIbLb0EES13_EEDaSY_SZ_EUlSY_E_NS1_11comp_targetILNS1_3genE8ELNS1_11target_archE1030ELNS1_3gpuE2ELNS1_3repE0EEENS1_30default_config_static_selectorELNS0_4arch9wavefront6targetE1EEEvT1_.kd
    .uniform_work_group_size: 1
    .uses_dynamic_stack: false
    .vgpr_count:     0
    .vgpr_spill_count: 0
    .wavefront_size: 64
  - .agpr_count:     0
    .args:
      - .offset:         0
        .size:           112
        .value_kind:     by_value
    .group_segment_fixed_size: 0
    .kernarg_segment_align: 8
    .kernarg_segment_size: 112
    .language:       OpenCL C
    .language_version:
      - 2
      - 0
    .max_flat_workgroup_size: 256
    .name:           _ZN7rocprim17ROCPRIM_400000_NS6detail17trampoline_kernelINS0_14default_configENS1_27scan_by_key_config_selectorIiiEEZZNS1_16scan_by_key_implILNS1_25lookback_scan_determinismE0ELb1ES3_N6thrust23THRUST_200600_302600_NS6detail15normal_iteratorINS9_10device_ptrIiEEEENSB_INSC_IjEEEENSB_INSC_IfEEEEiNS9_4plusIvEENS9_8equal_toIvEEiEE10hipError_tPvRmT2_T3_T4_T5_mT6_T7_P12ihipStream_tbENKUlT_T0_E_clISt17integral_constantIbLb1EES13_EEDaSY_SZ_EUlSY_E_NS1_11comp_targetILNS1_3genE0ELNS1_11target_archE4294967295ELNS1_3gpuE0ELNS1_3repE0EEENS1_30default_config_static_selectorELNS0_4arch9wavefront6targetE1EEEvT1_
    .private_segment_fixed_size: 0
    .sgpr_count:     6
    .sgpr_spill_count: 0
    .symbol:         _ZN7rocprim17ROCPRIM_400000_NS6detail17trampoline_kernelINS0_14default_configENS1_27scan_by_key_config_selectorIiiEEZZNS1_16scan_by_key_implILNS1_25lookback_scan_determinismE0ELb1ES3_N6thrust23THRUST_200600_302600_NS6detail15normal_iteratorINS9_10device_ptrIiEEEENSB_INSC_IjEEEENSB_INSC_IfEEEEiNS9_4plusIvEENS9_8equal_toIvEEiEE10hipError_tPvRmT2_T3_T4_T5_mT6_T7_P12ihipStream_tbENKUlT_T0_E_clISt17integral_constantIbLb1EES13_EEDaSY_SZ_EUlSY_E_NS1_11comp_targetILNS1_3genE0ELNS1_11target_archE4294967295ELNS1_3gpuE0ELNS1_3repE0EEENS1_30default_config_static_selectorELNS0_4arch9wavefront6targetE1EEEvT1_.kd
    .uniform_work_group_size: 1
    .uses_dynamic_stack: false
    .vgpr_count:     0
    .vgpr_spill_count: 0
    .wavefront_size: 64
  - .agpr_count:     0
    .args:
      - .offset:         0
        .size:           112
        .value_kind:     by_value
    .group_segment_fixed_size: 0
    .kernarg_segment_align: 8
    .kernarg_segment_size: 112
    .language:       OpenCL C
    .language_version:
      - 2
      - 0
    .max_flat_workgroup_size: 256
    .name:           _ZN7rocprim17ROCPRIM_400000_NS6detail17trampoline_kernelINS0_14default_configENS1_27scan_by_key_config_selectorIiiEEZZNS1_16scan_by_key_implILNS1_25lookback_scan_determinismE0ELb1ES3_N6thrust23THRUST_200600_302600_NS6detail15normal_iteratorINS9_10device_ptrIiEEEENSB_INSC_IjEEEENSB_INSC_IfEEEEiNS9_4plusIvEENS9_8equal_toIvEEiEE10hipError_tPvRmT2_T3_T4_T5_mT6_T7_P12ihipStream_tbENKUlT_T0_E_clISt17integral_constantIbLb1EES13_EEDaSY_SZ_EUlSY_E_NS1_11comp_targetILNS1_3genE10ELNS1_11target_archE1201ELNS1_3gpuE5ELNS1_3repE0EEENS1_30default_config_static_selectorELNS0_4arch9wavefront6targetE1EEEvT1_
    .private_segment_fixed_size: 0
    .sgpr_count:     6
    .sgpr_spill_count: 0
    .symbol:         _ZN7rocprim17ROCPRIM_400000_NS6detail17trampoline_kernelINS0_14default_configENS1_27scan_by_key_config_selectorIiiEEZZNS1_16scan_by_key_implILNS1_25lookback_scan_determinismE0ELb1ES3_N6thrust23THRUST_200600_302600_NS6detail15normal_iteratorINS9_10device_ptrIiEEEENSB_INSC_IjEEEENSB_INSC_IfEEEEiNS9_4plusIvEENS9_8equal_toIvEEiEE10hipError_tPvRmT2_T3_T4_T5_mT6_T7_P12ihipStream_tbENKUlT_T0_E_clISt17integral_constantIbLb1EES13_EEDaSY_SZ_EUlSY_E_NS1_11comp_targetILNS1_3genE10ELNS1_11target_archE1201ELNS1_3gpuE5ELNS1_3repE0EEENS1_30default_config_static_selectorELNS0_4arch9wavefront6targetE1EEEvT1_.kd
    .uniform_work_group_size: 1
    .uses_dynamic_stack: false
    .vgpr_count:     0
    .vgpr_spill_count: 0
    .wavefront_size: 64
  - .agpr_count:     0
    .args:
      - .offset:         0
        .size:           112
        .value_kind:     by_value
    .group_segment_fixed_size: 25600
    .kernarg_segment_align: 8
    .kernarg_segment_size: 112
    .language:       OpenCL C
    .language_version:
      - 2
      - 0
    .max_flat_workgroup_size: 256
    .name:           _ZN7rocprim17ROCPRIM_400000_NS6detail17trampoline_kernelINS0_14default_configENS1_27scan_by_key_config_selectorIiiEEZZNS1_16scan_by_key_implILNS1_25lookback_scan_determinismE0ELb1ES3_N6thrust23THRUST_200600_302600_NS6detail15normal_iteratorINS9_10device_ptrIiEEEENSB_INSC_IjEEEENSB_INSC_IfEEEEiNS9_4plusIvEENS9_8equal_toIvEEiEE10hipError_tPvRmT2_T3_T4_T5_mT6_T7_P12ihipStream_tbENKUlT_T0_E_clISt17integral_constantIbLb1EES13_EEDaSY_SZ_EUlSY_E_NS1_11comp_targetILNS1_3genE5ELNS1_11target_archE942ELNS1_3gpuE9ELNS1_3repE0EEENS1_30default_config_static_selectorELNS0_4arch9wavefront6targetE1EEEvT1_
    .private_segment_fixed_size: 0
    .sgpr_count:     86
    .sgpr_spill_count: 0
    .symbol:         _ZN7rocprim17ROCPRIM_400000_NS6detail17trampoline_kernelINS0_14default_configENS1_27scan_by_key_config_selectorIiiEEZZNS1_16scan_by_key_implILNS1_25lookback_scan_determinismE0ELb1ES3_N6thrust23THRUST_200600_302600_NS6detail15normal_iteratorINS9_10device_ptrIiEEEENSB_INSC_IjEEEENSB_INSC_IfEEEEiNS9_4plusIvEENS9_8equal_toIvEEiEE10hipError_tPvRmT2_T3_T4_T5_mT6_T7_P12ihipStream_tbENKUlT_T0_E_clISt17integral_constantIbLb1EES13_EEDaSY_SZ_EUlSY_E_NS1_11comp_targetILNS1_3genE5ELNS1_11target_archE942ELNS1_3gpuE9ELNS1_3repE0EEENS1_30default_config_static_selectorELNS0_4arch9wavefront6targetE1EEEvT1_.kd
    .uniform_work_group_size: 1
    .uses_dynamic_stack: false
    .vgpr_count:     83
    .vgpr_spill_count: 0
    .wavefront_size: 64
  - .agpr_count:     0
    .args:
      - .offset:         0
        .size:           112
        .value_kind:     by_value
    .group_segment_fixed_size: 0
    .kernarg_segment_align: 8
    .kernarg_segment_size: 112
    .language:       OpenCL C
    .language_version:
      - 2
      - 0
    .max_flat_workgroup_size: 256
    .name:           _ZN7rocprim17ROCPRIM_400000_NS6detail17trampoline_kernelINS0_14default_configENS1_27scan_by_key_config_selectorIiiEEZZNS1_16scan_by_key_implILNS1_25lookback_scan_determinismE0ELb1ES3_N6thrust23THRUST_200600_302600_NS6detail15normal_iteratorINS9_10device_ptrIiEEEENSB_INSC_IjEEEENSB_INSC_IfEEEEiNS9_4plusIvEENS9_8equal_toIvEEiEE10hipError_tPvRmT2_T3_T4_T5_mT6_T7_P12ihipStream_tbENKUlT_T0_E_clISt17integral_constantIbLb1EES13_EEDaSY_SZ_EUlSY_E_NS1_11comp_targetILNS1_3genE4ELNS1_11target_archE910ELNS1_3gpuE8ELNS1_3repE0EEENS1_30default_config_static_selectorELNS0_4arch9wavefront6targetE1EEEvT1_
    .private_segment_fixed_size: 0
    .sgpr_count:     6
    .sgpr_spill_count: 0
    .symbol:         _ZN7rocprim17ROCPRIM_400000_NS6detail17trampoline_kernelINS0_14default_configENS1_27scan_by_key_config_selectorIiiEEZZNS1_16scan_by_key_implILNS1_25lookback_scan_determinismE0ELb1ES3_N6thrust23THRUST_200600_302600_NS6detail15normal_iteratorINS9_10device_ptrIiEEEENSB_INSC_IjEEEENSB_INSC_IfEEEEiNS9_4plusIvEENS9_8equal_toIvEEiEE10hipError_tPvRmT2_T3_T4_T5_mT6_T7_P12ihipStream_tbENKUlT_T0_E_clISt17integral_constantIbLb1EES13_EEDaSY_SZ_EUlSY_E_NS1_11comp_targetILNS1_3genE4ELNS1_11target_archE910ELNS1_3gpuE8ELNS1_3repE0EEENS1_30default_config_static_selectorELNS0_4arch9wavefront6targetE1EEEvT1_.kd
    .uniform_work_group_size: 1
    .uses_dynamic_stack: false
    .vgpr_count:     0
    .vgpr_spill_count: 0
    .wavefront_size: 64
  - .agpr_count:     0
    .args:
      - .offset:         0
        .size:           112
        .value_kind:     by_value
    .group_segment_fixed_size: 0
    .kernarg_segment_align: 8
    .kernarg_segment_size: 112
    .language:       OpenCL C
    .language_version:
      - 2
      - 0
    .max_flat_workgroup_size: 256
    .name:           _ZN7rocprim17ROCPRIM_400000_NS6detail17trampoline_kernelINS0_14default_configENS1_27scan_by_key_config_selectorIiiEEZZNS1_16scan_by_key_implILNS1_25lookback_scan_determinismE0ELb1ES3_N6thrust23THRUST_200600_302600_NS6detail15normal_iteratorINS9_10device_ptrIiEEEENSB_INSC_IjEEEENSB_INSC_IfEEEEiNS9_4plusIvEENS9_8equal_toIvEEiEE10hipError_tPvRmT2_T3_T4_T5_mT6_T7_P12ihipStream_tbENKUlT_T0_E_clISt17integral_constantIbLb1EES13_EEDaSY_SZ_EUlSY_E_NS1_11comp_targetILNS1_3genE3ELNS1_11target_archE908ELNS1_3gpuE7ELNS1_3repE0EEENS1_30default_config_static_selectorELNS0_4arch9wavefront6targetE1EEEvT1_
    .private_segment_fixed_size: 0
    .sgpr_count:     6
    .sgpr_spill_count: 0
    .symbol:         _ZN7rocprim17ROCPRIM_400000_NS6detail17trampoline_kernelINS0_14default_configENS1_27scan_by_key_config_selectorIiiEEZZNS1_16scan_by_key_implILNS1_25lookback_scan_determinismE0ELb1ES3_N6thrust23THRUST_200600_302600_NS6detail15normal_iteratorINS9_10device_ptrIiEEEENSB_INSC_IjEEEENSB_INSC_IfEEEEiNS9_4plusIvEENS9_8equal_toIvEEiEE10hipError_tPvRmT2_T3_T4_T5_mT6_T7_P12ihipStream_tbENKUlT_T0_E_clISt17integral_constantIbLb1EES13_EEDaSY_SZ_EUlSY_E_NS1_11comp_targetILNS1_3genE3ELNS1_11target_archE908ELNS1_3gpuE7ELNS1_3repE0EEENS1_30default_config_static_selectorELNS0_4arch9wavefront6targetE1EEEvT1_.kd
    .uniform_work_group_size: 1
    .uses_dynamic_stack: false
    .vgpr_count:     0
    .vgpr_spill_count: 0
    .wavefront_size: 64
  - .agpr_count:     0
    .args:
      - .offset:         0
        .size:           112
        .value_kind:     by_value
    .group_segment_fixed_size: 0
    .kernarg_segment_align: 8
    .kernarg_segment_size: 112
    .language:       OpenCL C
    .language_version:
      - 2
      - 0
    .max_flat_workgroup_size: 256
    .name:           _ZN7rocprim17ROCPRIM_400000_NS6detail17trampoline_kernelINS0_14default_configENS1_27scan_by_key_config_selectorIiiEEZZNS1_16scan_by_key_implILNS1_25lookback_scan_determinismE0ELb1ES3_N6thrust23THRUST_200600_302600_NS6detail15normal_iteratorINS9_10device_ptrIiEEEENSB_INSC_IjEEEENSB_INSC_IfEEEEiNS9_4plusIvEENS9_8equal_toIvEEiEE10hipError_tPvRmT2_T3_T4_T5_mT6_T7_P12ihipStream_tbENKUlT_T0_E_clISt17integral_constantIbLb1EES13_EEDaSY_SZ_EUlSY_E_NS1_11comp_targetILNS1_3genE2ELNS1_11target_archE906ELNS1_3gpuE6ELNS1_3repE0EEENS1_30default_config_static_selectorELNS0_4arch9wavefront6targetE1EEEvT1_
    .private_segment_fixed_size: 0
    .sgpr_count:     6
    .sgpr_spill_count: 0
    .symbol:         _ZN7rocprim17ROCPRIM_400000_NS6detail17trampoline_kernelINS0_14default_configENS1_27scan_by_key_config_selectorIiiEEZZNS1_16scan_by_key_implILNS1_25lookback_scan_determinismE0ELb1ES3_N6thrust23THRUST_200600_302600_NS6detail15normal_iteratorINS9_10device_ptrIiEEEENSB_INSC_IjEEEENSB_INSC_IfEEEEiNS9_4plusIvEENS9_8equal_toIvEEiEE10hipError_tPvRmT2_T3_T4_T5_mT6_T7_P12ihipStream_tbENKUlT_T0_E_clISt17integral_constantIbLb1EES13_EEDaSY_SZ_EUlSY_E_NS1_11comp_targetILNS1_3genE2ELNS1_11target_archE906ELNS1_3gpuE6ELNS1_3repE0EEENS1_30default_config_static_selectorELNS0_4arch9wavefront6targetE1EEEvT1_.kd
    .uniform_work_group_size: 1
    .uses_dynamic_stack: false
    .vgpr_count:     0
    .vgpr_spill_count: 0
    .wavefront_size: 64
  - .agpr_count:     0
    .args:
      - .offset:         0
        .size:           112
        .value_kind:     by_value
    .group_segment_fixed_size: 0
    .kernarg_segment_align: 8
    .kernarg_segment_size: 112
    .language:       OpenCL C
    .language_version:
      - 2
      - 0
    .max_flat_workgroup_size: 256
    .name:           _ZN7rocprim17ROCPRIM_400000_NS6detail17trampoline_kernelINS0_14default_configENS1_27scan_by_key_config_selectorIiiEEZZNS1_16scan_by_key_implILNS1_25lookback_scan_determinismE0ELb1ES3_N6thrust23THRUST_200600_302600_NS6detail15normal_iteratorINS9_10device_ptrIiEEEENSB_INSC_IjEEEENSB_INSC_IfEEEEiNS9_4plusIvEENS9_8equal_toIvEEiEE10hipError_tPvRmT2_T3_T4_T5_mT6_T7_P12ihipStream_tbENKUlT_T0_E_clISt17integral_constantIbLb1EES13_EEDaSY_SZ_EUlSY_E_NS1_11comp_targetILNS1_3genE10ELNS1_11target_archE1200ELNS1_3gpuE4ELNS1_3repE0EEENS1_30default_config_static_selectorELNS0_4arch9wavefront6targetE1EEEvT1_
    .private_segment_fixed_size: 0
    .sgpr_count:     6
    .sgpr_spill_count: 0
    .symbol:         _ZN7rocprim17ROCPRIM_400000_NS6detail17trampoline_kernelINS0_14default_configENS1_27scan_by_key_config_selectorIiiEEZZNS1_16scan_by_key_implILNS1_25lookback_scan_determinismE0ELb1ES3_N6thrust23THRUST_200600_302600_NS6detail15normal_iteratorINS9_10device_ptrIiEEEENSB_INSC_IjEEEENSB_INSC_IfEEEEiNS9_4plusIvEENS9_8equal_toIvEEiEE10hipError_tPvRmT2_T3_T4_T5_mT6_T7_P12ihipStream_tbENKUlT_T0_E_clISt17integral_constantIbLb1EES13_EEDaSY_SZ_EUlSY_E_NS1_11comp_targetILNS1_3genE10ELNS1_11target_archE1200ELNS1_3gpuE4ELNS1_3repE0EEENS1_30default_config_static_selectorELNS0_4arch9wavefront6targetE1EEEvT1_.kd
    .uniform_work_group_size: 1
    .uses_dynamic_stack: false
    .vgpr_count:     0
    .vgpr_spill_count: 0
    .wavefront_size: 64
  - .agpr_count:     0
    .args:
      - .offset:         0
        .size:           112
        .value_kind:     by_value
    .group_segment_fixed_size: 0
    .kernarg_segment_align: 8
    .kernarg_segment_size: 112
    .language:       OpenCL C
    .language_version:
      - 2
      - 0
    .max_flat_workgroup_size: 256
    .name:           _ZN7rocprim17ROCPRIM_400000_NS6detail17trampoline_kernelINS0_14default_configENS1_27scan_by_key_config_selectorIiiEEZZNS1_16scan_by_key_implILNS1_25lookback_scan_determinismE0ELb1ES3_N6thrust23THRUST_200600_302600_NS6detail15normal_iteratorINS9_10device_ptrIiEEEENSB_INSC_IjEEEENSB_INSC_IfEEEEiNS9_4plusIvEENS9_8equal_toIvEEiEE10hipError_tPvRmT2_T3_T4_T5_mT6_T7_P12ihipStream_tbENKUlT_T0_E_clISt17integral_constantIbLb1EES13_EEDaSY_SZ_EUlSY_E_NS1_11comp_targetILNS1_3genE9ELNS1_11target_archE1100ELNS1_3gpuE3ELNS1_3repE0EEENS1_30default_config_static_selectorELNS0_4arch9wavefront6targetE1EEEvT1_
    .private_segment_fixed_size: 0
    .sgpr_count:     6
    .sgpr_spill_count: 0
    .symbol:         _ZN7rocprim17ROCPRIM_400000_NS6detail17trampoline_kernelINS0_14default_configENS1_27scan_by_key_config_selectorIiiEEZZNS1_16scan_by_key_implILNS1_25lookback_scan_determinismE0ELb1ES3_N6thrust23THRUST_200600_302600_NS6detail15normal_iteratorINS9_10device_ptrIiEEEENSB_INSC_IjEEEENSB_INSC_IfEEEEiNS9_4plusIvEENS9_8equal_toIvEEiEE10hipError_tPvRmT2_T3_T4_T5_mT6_T7_P12ihipStream_tbENKUlT_T0_E_clISt17integral_constantIbLb1EES13_EEDaSY_SZ_EUlSY_E_NS1_11comp_targetILNS1_3genE9ELNS1_11target_archE1100ELNS1_3gpuE3ELNS1_3repE0EEENS1_30default_config_static_selectorELNS0_4arch9wavefront6targetE1EEEvT1_.kd
    .uniform_work_group_size: 1
    .uses_dynamic_stack: false
    .vgpr_count:     0
    .vgpr_spill_count: 0
    .wavefront_size: 64
  - .agpr_count:     0
    .args:
      - .offset:         0
        .size:           112
        .value_kind:     by_value
    .group_segment_fixed_size: 0
    .kernarg_segment_align: 8
    .kernarg_segment_size: 112
    .language:       OpenCL C
    .language_version:
      - 2
      - 0
    .max_flat_workgroup_size: 256
    .name:           _ZN7rocprim17ROCPRIM_400000_NS6detail17trampoline_kernelINS0_14default_configENS1_27scan_by_key_config_selectorIiiEEZZNS1_16scan_by_key_implILNS1_25lookback_scan_determinismE0ELb1ES3_N6thrust23THRUST_200600_302600_NS6detail15normal_iteratorINS9_10device_ptrIiEEEENSB_INSC_IjEEEENSB_INSC_IfEEEEiNS9_4plusIvEENS9_8equal_toIvEEiEE10hipError_tPvRmT2_T3_T4_T5_mT6_T7_P12ihipStream_tbENKUlT_T0_E_clISt17integral_constantIbLb1EES13_EEDaSY_SZ_EUlSY_E_NS1_11comp_targetILNS1_3genE8ELNS1_11target_archE1030ELNS1_3gpuE2ELNS1_3repE0EEENS1_30default_config_static_selectorELNS0_4arch9wavefront6targetE1EEEvT1_
    .private_segment_fixed_size: 0
    .sgpr_count:     6
    .sgpr_spill_count: 0
    .symbol:         _ZN7rocprim17ROCPRIM_400000_NS6detail17trampoline_kernelINS0_14default_configENS1_27scan_by_key_config_selectorIiiEEZZNS1_16scan_by_key_implILNS1_25lookback_scan_determinismE0ELb1ES3_N6thrust23THRUST_200600_302600_NS6detail15normal_iteratorINS9_10device_ptrIiEEEENSB_INSC_IjEEEENSB_INSC_IfEEEEiNS9_4plusIvEENS9_8equal_toIvEEiEE10hipError_tPvRmT2_T3_T4_T5_mT6_T7_P12ihipStream_tbENKUlT_T0_E_clISt17integral_constantIbLb1EES13_EEDaSY_SZ_EUlSY_E_NS1_11comp_targetILNS1_3genE8ELNS1_11target_archE1030ELNS1_3gpuE2ELNS1_3repE0EEENS1_30default_config_static_selectorELNS0_4arch9wavefront6targetE1EEEvT1_.kd
    .uniform_work_group_size: 1
    .uses_dynamic_stack: false
    .vgpr_count:     0
    .vgpr_spill_count: 0
    .wavefront_size: 64
  - .agpr_count:     0
    .args:
      - .offset:         0
        .size:           112
        .value_kind:     by_value
    .group_segment_fixed_size: 0
    .kernarg_segment_align: 8
    .kernarg_segment_size: 112
    .language:       OpenCL C
    .language_version:
      - 2
      - 0
    .max_flat_workgroup_size: 256
    .name:           _ZN7rocprim17ROCPRIM_400000_NS6detail17trampoline_kernelINS0_14default_configENS1_27scan_by_key_config_selectorIiiEEZZNS1_16scan_by_key_implILNS1_25lookback_scan_determinismE0ELb1ES3_N6thrust23THRUST_200600_302600_NS6detail15normal_iteratorINS9_10device_ptrIiEEEENSB_INSC_IjEEEENSB_INSC_IfEEEEiNS9_4plusIvEENS9_8equal_toIvEEiEE10hipError_tPvRmT2_T3_T4_T5_mT6_T7_P12ihipStream_tbENKUlT_T0_E_clISt17integral_constantIbLb1EES12_IbLb0EEEEDaSY_SZ_EUlSY_E_NS1_11comp_targetILNS1_3genE0ELNS1_11target_archE4294967295ELNS1_3gpuE0ELNS1_3repE0EEENS1_30default_config_static_selectorELNS0_4arch9wavefront6targetE1EEEvT1_
    .private_segment_fixed_size: 0
    .sgpr_count:     6
    .sgpr_spill_count: 0
    .symbol:         _ZN7rocprim17ROCPRIM_400000_NS6detail17trampoline_kernelINS0_14default_configENS1_27scan_by_key_config_selectorIiiEEZZNS1_16scan_by_key_implILNS1_25lookback_scan_determinismE0ELb1ES3_N6thrust23THRUST_200600_302600_NS6detail15normal_iteratorINS9_10device_ptrIiEEEENSB_INSC_IjEEEENSB_INSC_IfEEEEiNS9_4plusIvEENS9_8equal_toIvEEiEE10hipError_tPvRmT2_T3_T4_T5_mT6_T7_P12ihipStream_tbENKUlT_T0_E_clISt17integral_constantIbLb1EES12_IbLb0EEEEDaSY_SZ_EUlSY_E_NS1_11comp_targetILNS1_3genE0ELNS1_11target_archE4294967295ELNS1_3gpuE0ELNS1_3repE0EEENS1_30default_config_static_selectorELNS0_4arch9wavefront6targetE1EEEvT1_.kd
    .uniform_work_group_size: 1
    .uses_dynamic_stack: false
    .vgpr_count:     0
    .vgpr_spill_count: 0
    .wavefront_size: 64
  - .agpr_count:     0
    .args:
      - .offset:         0
        .size:           112
        .value_kind:     by_value
    .group_segment_fixed_size: 0
    .kernarg_segment_align: 8
    .kernarg_segment_size: 112
    .language:       OpenCL C
    .language_version:
      - 2
      - 0
    .max_flat_workgroup_size: 256
    .name:           _ZN7rocprim17ROCPRIM_400000_NS6detail17trampoline_kernelINS0_14default_configENS1_27scan_by_key_config_selectorIiiEEZZNS1_16scan_by_key_implILNS1_25lookback_scan_determinismE0ELb1ES3_N6thrust23THRUST_200600_302600_NS6detail15normal_iteratorINS9_10device_ptrIiEEEENSB_INSC_IjEEEENSB_INSC_IfEEEEiNS9_4plusIvEENS9_8equal_toIvEEiEE10hipError_tPvRmT2_T3_T4_T5_mT6_T7_P12ihipStream_tbENKUlT_T0_E_clISt17integral_constantIbLb1EES12_IbLb0EEEEDaSY_SZ_EUlSY_E_NS1_11comp_targetILNS1_3genE10ELNS1_11target_archE1201ELNS1_3gpuE5ELNS1_3repE0EEENS1_30default_config_static_selectorELNS0_4arch9wavefront6targetE1EEEvT1_
    .private_segment_fixed_size: 0
    .sgpr_count:     6
    .sgpr_spill_count: 0
    .symbol:         _ZN7rocprim17ROCPRIM_400000_NS6detail17trampoline_kernelINS0_14default_configENS1_27scan_by_key_config_selectorIiiEEZZNS1_16scan_by_key_implILNS1_25lookback_scan_determinismE0ELb1ES3_N6thrust23THRUST_200600_302600_NS6detail15normal_iteratorINS9_10device_ptrIiEEEENSB_INSC_IjEEEENSB_INSC_IfEEEEiNS9_4plusIvEENS9_8equal_toIvEEiEE10hipError_tPvRmT2_T3_T4_T5_mT6_T7_P12ihipStream_tbENKUlT_T0_E_clISt17integral_constantIbLb1EES12_IbLb0EEEEDaSY_SZ_EUlSY_E_NS1_11comp_targetILNS1_3genE10ELNS1_11target_archE1201ELNS1_3gpuE5ELNS1_3repE0EEENS1_30default_config_static_selectorELNS0_4arch9wavefront6targetE1EEEvT1_.kd
    .uniform_work_group_size: 1
    .uses_dynamic_stack: false
    .vgpr_count:     0
    .vgpr_spill_count: 0
    .wavefront_size: 64
  - .agpr_count:     0
    .args:
      - .offset:         0
        .size:           112
        .value_kind:     by_value
    .group_segment_fixed_size: 25600
    .kernarg_segment_align: 8
    .kernarg_segment_size: 112
    .language:       OpenCL C
    .language_version:
      - 2
      - 0
    .max_flat_workgroup_size: 256
    .name:           _ZN7rocprim17ROCPRIM_400000_NS6detail17trampoline_kernelINS0_14default_configENS1_27scan_by_key_config_selectorIiiEEZZNS1_16scan_by_key_implILNS1_25lookback_scan_determinismE0ELb1ES3_N6thrust23THRUST_200600_302600_NS6detail15normal_iteratorINS9_10device_ptrIiEEEENSB_INSC_IjEEEENSB_INSC_IfEEEEiNS9_4plusIvEENS9_8equal_toIvEEiEE10hipError_tPvRmT2_T3_T4_T5_mT6_T7_P12ihipStream_tbENKUlT_T0_E_clISt17integral_constantIbLb1EES12_IbLb0EEEEDaSY_SZ_EUlSY_E_NS1_11comp_targetILNS1_3genE5ELNS1_11target_archE942ELNS1_3gpuE9ELNS1_3repE0EEENS1_30default_config_static_selectorELNS0_4arch9wavefront6targetE1EEEvT1_
    .private_segment_fixed_size: 0
    .sgpr_count:     86
    .sgpr_spill_count: 0
    .symbol:         _ZN7rocprim17ROCPRIM_400000_NS6detail17trampoline_kernelINS0_14default_configENS1_27scan_by_key_config_selectorIiiEEZZNS1_16scan_by_key_implILNS1_25lookback_scan_determinismE0ELb1ES3_N6thrust23THRUST_200600_302600_NS6detail15normal_iteratorINS9_10device_ptrIiEEEENSB_INSC_IjEEEENSB_INSC_IfEEEEiNS9_4plusIvEENS9_8equal_toIvEEiEE10hipError_tPvRmT2_T3_T4_T5_mT6_T7_P12ihipStream_tbENKUlT_T0_E_clISt17integral_constantIbLb1EES12_IbLb0EEEEDaSY_SZ_EUlSY_E_NS1_11comp_targetILNS1_3genE5ELNS1_11target_archE942ELNS1_3gpuE9ELNS1_3repE0EEENS1_30default_config_static_selectorELNS0_4arch9wavefront6targetE1EEEvT1_.kd
    .uniform_work_group_size: 1
    .uses_dynamic_stack: false
    .vgpr_count:     81
    .vgpr_spill_count: 0
    .wavefront_size: 64
  - .agpr_count:     0
    .args:
      - .offset:         0
        .size:           112
        .value_kind:     by_value
    .group_segment_fixed_size: 0
    .kernarg_segment_align: 8
    .kernarg_segment_size: 112
    .language:       OpenCL C
    .language_version:
      - 2
      - 0
    .max_flat_workgroup_size: 256
    .name:           _ZN7rocprim17ROCPRIM_400000_NS6detail17trampoline_kernelINS0_14default_configENS1_27scan_by_key_config_selectorIiiEEZZNS1_16scan_by_key_implILNS1_25lookback_scan_determinismE0ELb1ES3_N6thrust23THRUST_200600_302600_NS6detail15normal_iteratorINS9_10device_ptrIiEEEENSB_INSC_IjEEEENSB_INSC_IfEEEEiNS9_4plusIvEENS9_8equal_toIvEEiEE10hipError_tPvRmT2_T3_T4_T5_mT6_T7_P12ihipStream_tbENKUlT_T0_E_clISt17integral_constantIbLb1EES12_IbLb0EEEEDaSY_SZ_EUlSY_E_NS1_11comp_targetILNS1_3genE4ELNS1_11target_archE910ELNS1_3gpuE8ELNS1_3repE0EEENS1_30default_config_static_selectorELNS0_4arch9wavefront6targetE1EEEvT1_
    .private_segment_fixed_size: 0
    .sgpr_count:     6
    .sgpr_spill_count: 0
    .symbol:         _ZN7rocprim17ROCPRIM_400000_NS6detail17trampoline_kernelINS0_14default_configENS1_27scan_by_key_config_selectorIiiEEZZNS1_16scan_by_key_implILNS1_25lookback_scan_determinismE0ELb1ES3_N6thrust23THRUST_200600_302600_NS6detail15normal_iteratorINS9_10device_ptrIiEEEENSB_INSC_IjEEEENSB_INSC_IfEEEEiNS9_4plusIvEENS9_8equal_toIvEEiEE10hipError_tPvRmT2_T3_T4_T5_mT6_T7_P12ihipStream_tbENKUlT_T0_E_clISt17integral_constantIbLb1EES12_IbLb0EEEEDaSY_SZ_EUlSY_E_NS1_11comp_targetILNS1_3genE4ELNS1_11target_archE910ELNS1_3gpuE8ELNS1_3repE0EEENS1_30default_config_static_selectorELNS0_4arch9wavefront6targetE1EEEvT1_.kd
    .uniform_work_group_size: 1
    .uses_dynamic_stack: false
    .vgpr_count:     0
    .vgpr_spill_count: 0
    .wavefront_size: 64
  - .agpr_count:     0
    .args:
      - .offset:         0
        .size:           112
        .value_kind:     by_value
    .group_segment_fixed_size: 0
    .kernarg_segment_align: 8
    .kernarg_segment_size: 112
    .language:       OpenCL C
    .language_version:
      - 2
      - 0
    .max_flat_workgroup_size: 256
    .name:           _ZN7rocprim17ROCPRIM_400000_NS6detail17trampoline_kernelINS0_14default_configENS1_27scan_by_key_config_selectorIiiEEZZNS1_16scan_by_key_implILNS1_25lookback_scan_determinismE0ELb1ES3_N6thrust23THRUST_200600_302600_NS6detail15normal_iteratorINS9_10device_ptrIiEEEENSB_INSC_IjEEEENSB_INSC_IfEEEEiNS9_4plusIvEENS9_8equal_toIvEEiEE10hipError_tPvRmT2_T3_T4_T5_mT6_T7_P12ihipStream_tbENKUlT_T0_E_clISt17integral_constantIbLb1EES12_IbLb0EEEEDaSY_SZ_EUlSY_E_NS1_11comp_targetILNS1_3genE3ELNS1_11target_archE908ELNS1_3gpuE7ELNS1_3repE0EEENS1_30default_config_static_selectorELNS0_4arch9wavefront6targetE1EEEvT1_
    .private_segment_fixed_size: 0
    .sgpr_count:     6
    .sgpr_spill_count: 0
    .symbol:         _ZN7rocprim17ROCPRIM_400000_NS6detail17trampoline_kernelINS0_14default_configENS1_27scan_by_key_config_selectorIiiEEZZNS1_16scan_by_key_implILNS1_25lookback_scan_determinismE0ELb1ES3_N6thrust23THRUST_200600_302600_NS6detail15normal_iteratorINS9_10device_ptrIiEEEENSB_INSC_IjEEEENSB_INSC_IfEEEEiNS9_4plusIvEENS9_8equal_toIvEEiEE10hipError_tPvRmT2_T3_T4_T5_mT6_T7_P12ihipStream_tbENKUlT_T0_E_clISt17integral_constantIbLb1EES12_IbLb0EEEEDaSY_SZ_EUlSY_E_NS1_11comp_targetILNS1_3genE3ELNS1_11target_archE908ELNS1_3gpuE7ELNS1_3repE0EEENS1_30default_config_static_selectorELNS0_4arch9wavefront6targetE1EEEvT1_.kd
    .uniform_work_group_size: 1
    .uses_dynamic_stack: false
    .vgpr_count:     0
    .vgpr_spill_count: 0
    .wavefront_size: 64
  - .agpr_count:     0
    .args:
      - .offset:         0
        .size:           112
        .value_kind:     by_value
    .group_segment_fixed_size: 0
    .kernarg_segment_align: 8
    .kernarg_segment_size: 112
    .language:       OpenCL C
    .language_version:
      - 2
      - 0
    .max_flat_workgroup_size: 256
    .name:           _ZN7rocprim17ROCPRIM_400000_NS6detail17trampoline_kernelINS0_14default_configENS1_27scan_by_key_config_selectorIiiEEZZNS1_16scan_by_key_implILNS1_25lookback_scan_determinismE0ELb1ES3_N6thrust23THRUST_200600_302600_NS6detail15normal_iteratorINS9_10device_ptrIiEEEENSB_INSC_IjEEEENSB_INSC_IfEEEEiNS9_4plusIvEENS9_8equal_toIvEEiEE10hipError_tPvRmT2_T3_T4_T5_mT6_T7_P12ihipStream_tbENKUlT_T0_E_clISt17integral_constantIbLb1EES12_IbLb0EEEEDaSY_SZ_EUlSY_E_NS1_11comp_targetILNS1_3genE2ELNS1_11target_archE906ELNS1_3gpuE6ELNS1_3repE0EEENS1_30default_config_static_selectorELNS0_4arch9wavefront6targetE1EEEvT1_
    .private_segment_fixed_size: 0
    .sgpr_count:     6
    .sgpr_spill_count: 0
    .symbol:         _ZN7rocprim17ROCPRIM_400000_NS6detail17trampoline_kernelINS0_14default_configENS1_27scan_by_key_config_selectorIiiEEZZNS1_16scan_by_key_implILNS1_25lookback_scan_determinismE0ELb1ES3_N6thrust23THRUST_200600_302600_NS6detail15normal_iteratorINS9_10device_ptrIiEEEENSB_INSC_IjEEEENSB_INSC_IfEEEEiNS9_4plusIvEENS9_8equal_toIvEEiEE10hipError_tPvRmT2_T3_T4_T5_mT6_T7_P12ihipStream_tbENKUlT_T0_E_clISt17integral_constantIbLb1EES12_IbLb0EEEEDaSY_SZ_EUlSY_E_NS1_11comp_targetILNS1_3genE2ELNS1_11target_archE906ELNS1_3gpuE6ELNS1_3repE0EEENS1_30default_config_static_selectorELNS0_4arch9wavefront6targetE1EEEvT1_.kd
    .uniform_work_group_size: 1
    .uses_dynamic_stack: false
    .vgpr_count:     0
    .vgpr_spill_count: 0
    .wavefront_size: 64
  - .agpr_count:     0
    .args:
      - .offset:         0
        .size:           112
        .value_kind:     by_value
    .group_segment_fixed_size: 0
    .kernarg_segment_align: 8
    .kernarg_segment_size: 112
    .language:       OpenCL C
    .language_version:
      - 2
      - 0
    .max_flat_workgroup_size: 256
    .name:           _ZN7rocprim17ROCPRIM_400000_NS6detail17trampoline_kernelINS0_14default_configENS1_27scan_by_key_config_selectorIiiEEZZNS1_16scan_by_key_implILNS1_25lookback_scan_determinismE0ELb1ES3_N6thrust23THRUST_200600_302600_NS6detail15normal_iteratorINS9_10device_ptrIiEEEENSB_INSC_IjEEEENSB_INSC_IfEEEEiNS9_4plusIvEENS9_8equal_toIvEEiEE10hipError_tPvRmT2_T3_T4_T5_mT6_T7_P12ihipStream_tbENKUlT_T0_E_clISt17integral_constantIbLb1EES12_IbLb0EEEEDaSY_SZ_EUlSY_E_NS1_11comp_targetILNS1_3genE10ELNS1_11target_archE1200ELNS1_3gpuE4ELNS1_3repE0EEENS1_30default_config_static_selectorELNS0_4arch9wavefront6targetE1EEEvT1_
    .private_segment_fixed_size: 0
    .sgpr_count:     6
    .sgpr_spill_count: 0
    .symbol:         _ZN7rocprim17ROCPRIM_400000_NS6detail17trampoline_kernelINS0_14default_configENS1_27scan_by_key_config_selectorIiiEEZZNS1_16scan_by_key_implILNS1_25lookback_scan_determinismE0ELb1ES3_N6thrust23THRUST_200600_302600_NS6detail15normal_iteratorINS9_10device_ptrIiEEEENSB_INSC_IjEEEENSB_INSC_IfEEEEiNS9_4plusIvEENS9_8equal_toIvEEiEE10hipError_tPvRmT2_T3_T4_T5_mT6_T7_P12ihipStream_tbENKUlT_T0_E_clISt17integral_constantIbLb1EES12_IbLb0EEEEDaSY_SZ_EUlSY_E_NS1_11comp_targetILNS1_3genE10ELNS1_11target_archE1200ELNS1_3gpuE4ELNS1_3repE0EEENS1_30default_config_static_selectorELNS0_4arch9wavefront6targetE1EEEvT1_.kd
    .uniform_work_group_size: 1
    .uses_dynamic_stack: false
    .vgpr_count:     0
    .vgpr_spill_count: 0
    .wavefront_size: 64
  - .agpr_count:     0
    .args:
      - .offset:         0
        .size:           112
        .value_kind:     by_value
    .group_segment_fixed_size: 0
    .kernarg_segment_align: 8
    .kernarg_segment_size: 112
    .language:       OpenCL C
    .language_version:
      - 2
      - 0
    .max_flat_workgroup_size: 256
    .name:           _ZN7rocprim17ROCPRIM_400000_NS6detail17trampoline_kernelINS0_14default_configENS1_27scan_by_key_config_selectorIiiEEZZNS1_16scan_by_key_implILNS1_25lookback_scan_determinismE0ELb1ES3_N6thrust23THRUST_200600_302600_NS6detail15normal_iteratorINS9_10device_ptrIiEEEENSB_INSC_IjEEEENSB_INSC_IfEEEEiNS9_4plusIvEENS9_8equal_toIvEEiEE10hipError_tPvRmT2_T3_T4_T5_mT6_T7_P12ihipStream_tbENKUlT_T0_E_clISt17integral_constantIbLb1EES12_IbLb0EEEEDaSY_SZ_EUlSY_E_NS1_11comp_targetILNS1_3genE9ELNS1_11target_archE1100ELNS1_3gpuE3ELNS1_3repE0EEENS1_30default_config_static_selectorELNS0_4arch9wavefront6targetE1EEEvT1_
    .private_segment_fixed_size: 0
    .sgpr_count:     6
    .sgpr_spill_count: 0
    .symbol:         _ZN7rocprim17ROCPRIM_400000_NS6detail17trampoline_kernelINS0_14default_configENS1_27scan_by_key_config_selectorIiiEEZZNS1_16scan_by_key_implILNS1_25lookback_scan_determinismE0ELb1ES3_N6thrust23THRUST_200600_302600_NS6detail15normal_iteratorINS9_10device_ptrIiEEEENSB_INSC_IjEEEENSB_INSC_IfEEEEiNS9_4plusIvEENS9_8equal_toIvEEiEE10hipError_tPvRmT2_T3_T4_T5_mT6_T7_P12ihipStream_tbENKUlT_T0_E_clISt17integral_constantIbLb1EES12_IbLb0EEEEDaSY_SZ_EUlSY_E_NS1_11comp_targetILNS1_3genE9ELNS1_11target_archE1100ELNS1_3gpuE3ELNS1_3repE0EEENS1_30default_config_static_selectorELNS0_4arch9wavefront6targetE1EEEvT1_.kd
    .uniform_work_group_size: 1
    .uses_dynamic_stack: false
    .vgpr_count:     0
    .vgpr_spill_count: 0
    .wavefront_size: 64
  - .agpr_count:     0
    .args:
      - .offset:         0
        .size:           112
        .value_kind:     by_value
    .group_segment_fixed_size: 0
    .kernarg_segment_align: 8
    .kernarg_segment_size: 112
    .language:       OpenCL C
    .language_version:
      - 2
      - 0
    .max_flat_workgroup_size: 256
    .name:           _ZN7rocprim17ROCPRIM_400000_NS6detail17trampoline_kernelINS0_14default_configENS1_27scan_by_key_config_selectorIiiEEZZNS1_16scan_by_key_implILNS1_25lookback_scan_determinismE0ELb1ES3_N6thrust23THRUST_200600_302600_NS6detail15normal_iteratorINS9_10device_ptrIiEEEENSB_INSC_IjEEEENSB_INSC_IfEEEEiNS9_4plusIvEENS9_8equal_toIvEEiEE10hipError_tPvRmT2_T3_T4_T5_mT6_T7_P12ihipStream_tbENKUlT_T0_E_clISt17integral_constantIbLb1EES12_IbLb0EEEEDaSY_SZ_EUlSY_E_NS1_11comp_targetILNS1_3genE8ELNS1_11target_archE1030ELNS1_3gpuE2ELNS1_3repE0EEENS1_30default_config_static_selectorELNS0_4arch9wavefront6targetE1EEEvT1_
    .private_segment_fixed_size: 0
    .sgpr_count:     6
    .sgpr_spill_count: 0
    .symbol:         _ZN7rocprim17ROCPRIM_400000_NS6detail17trampoline_kernelINS0_14default_configENS1_27scan_by_key_config_selectorIiiEEZZNS1_16scan_by_key_implILNS1_25lookback_scan_determinismE0ELb1ES3_N6thrust23THRUST_200600_302600_NS6detail15normal_iteratorINS9_10device_ptrIiEEEENSB_INSC_IjEEEENSB_INSC_IfEEEEiNS9_4plusIvEENS9_8equal_toIvEEiEE10hipError_tPvRmT2_T3_T4_T5_mT6_T7_P12ihipStream_tbENKUlT_T0_E_clISt17integral_constantIbLb1EES12_IbLb0EEEEDaSY_SZ_EUlSY_E_NS1_11comp_targetILNS1_3genE8ELNS1_11target_archE1030ELNS1_3gpuE2ELNS1_3repE0EEENS1_30default_config_static_selectorELNS0_4arch9wavefront6targetE1EEEvT1_.kd
    .uniform_work_group_size: 1
    .uses_dynamic_stack: false
    .vgpr_count:     0
    .vgpr_spill_count: 0
    .wavefront_size: 64
  - .agpr_count:     0
    .args:
      - .offset:         0
        .size:           112
        .value_kind:     by_value
    .group_segment_fixed_size: 0
    .kernarg_segment_align: 8
    .kernarg_segment_size: 112
    .language:       OpenCL C
    .language_version:
      - 2
      - 0
    .max_flat_workgroup_size: 256
    .name:           _ZN7rocprim17ROCPRIM_400000_NS6detail17trampoline_kernelINS0_14default_configENS1_27scan_by_key_config_selectorIiiEEZZNS1_16scan_by_key_implILNS1_25lookback_scan_determinismE0ELb1ES3_N6thrust23THRUST_200600_302600_NS6detail15normal_iteratorINS9_10device_ptrIiEEEENSB_INSC_IjEEEENSB_INSC_IfEEEEiNS9_4plusIvEENS9_8equal_toIvEEiEE10hipError_tPvRmT2_T3_T4_T5_mT6_T7_P12ihipStream_tbENKUlT_T0_E_clISt17integral_constantIbLb0EES12_IbLb1EEEEDaSY_SZ_EUlSY_E_NS1_11comp_targetILNS1_3genE0ELNS1_11target_archE4294967295ELNS1_3gpuE0ELNS1_3repE0EEENS1_30default_config_static_selectorELNS0_4arch9wavefront6targetE1EEEvT1_
    .private_segment_fixed_size: 0
    .sgpr_count:     6
    .sgpr_spill_count: 0
    .symbol:         _ZN7rocprim17ROCPRIM_400000_NS6detail17trampoline_kernelINS0_14default_configENS1_27scan_by_key_config_selectorIiiEEZZNS1_16scan_by_key_implILNS1_25lookback_scan_determinismE0ELb1ES3_N6thrust23THRUST_200600_302600_NS6detail15normal_iteratorINS9_10device_ptrIiEEEENSB_INSC_IjEEEENSB_INSC_IfEEEEiNS9_4plusIvEENS9_8equal_toIvEEiEE10hipError_tPvRmT2_T3_T4_T5_mT6_T7_P12ihipStream_tbENKUlT_T0_E_clISt17integral_constantIbLb0EES12_IbLb1EEEEDaSY_SZ_EUlSY_E_NS1_11comp_targetILNS1_3genE0ELNS1_11target_archE4294967295ELNS1_3gpuE0ELNS1_3repE0EEENS1_30default_config_static_selectorELNS0_4arch9wavefront6targetE1EEEvT1_.kd
    .uniform_work_group_size: 1
    .uses_dynamic_stack: false
    .vgpr_count:     0
    .vgpr_spill_count: 0
    .wavefront_size: 64
  - .agpr_count:     0
    .args:
      - .offset:         0
        .size:           112
        .value_kind:     by_value
    .group_segment_fixed_size: 0
    .kernarg_segment_align: 8
    .kernarg_segment_size: 112
    .language:       OpenCL C
    .language_version:
      - 2
      - 0
    .max_flat_workgroup_size: 256
    .name:           _ZN7rocprim17ROCPRIM_400000_NS6detail17trampoline_kernelINS0_14default_configENS1_27scan_by_key_config_selectorIiiEEZZNS1_16scan_by_key_implILNS1_25lookback_scan_determinismE0ELb1ES3_N6thrust23THRUST_200600_302600_NS6detail15normal_iteratorINS9_10device_ptrIiEEEENSB_INSC_IjEEEENSB_INSC_IfEEEEiNS9_4plusIvEENS9_8equal_toIvEEiEE10hipError_tPvRmT2_T3_T4_T5_mT6_T7_P12ihipStream_tbENKUlT_T0_E_clISt17integral_constantIbLb0EES12_IbLb1EEEEDaSY_SZ_EUlSY_E_NS1_11comp_targetILNS1_3genE10ELNS1_11target_archE1201ELNS1_3gpuE5ELNS1_3repE0EEENS1_30default_config_static_selectorELNS0_4arch9wavefront6targetE1EEEvT1_
    .private_segment_fixed_size: 0
    .sgpr_count:     6
    .sgpr_spill_count: 0
    .symbol:         _ZN7rocprim17ROCPRIM_400000_NS6detail17trampoline_kernelINS0_14default_configENS1_27scan_by_key_config_selectorIiiEEZZNS1_16scan_by_key_implILNS1_25lookback_scan_determinismE0ELb1ES3_N6thrust23THRUST_200600_302600_NS6detail15normal_iteratorINS9_10device_ptrIiEEEENSB_INSC_IjEEEENSB_INSC_IfEEEEiNS9_4plusIvEENS9_8equal_toIvEEiEE10hipError_tPvRmT2_T3_T4_T5_mT6_T7_P12ihipStream_tbENKUlT_T0_E_clISt17integral_constantIbLb0EES12_IbLb1EEEEDaSY_SZ_EUlSY_E_NS1_11comp_targetILNS1_3genE10ELNS1_11target_archE1201ELNS1_3gpuE5ELNS1_3repE0EEENS1_30default_config_static_selectorELNS0_4arch9wavefront6targetE1EEEvT1_.kd
    .uniform_work_group_size: 1
    .uses_dynamic_stack: false
    .vgpr_count:     0
    .vgpr_spill_count: 0
    .wavefront_size: 64
  - .agpr_count:     0
    .args:
      - .offset:         0
        .size:           112
        .value_kind:     by_value
    .group_segment_fixed_size: 25600
    .kernarg_segment_align: 8
    .kernarg_segment_size: 112
    .language:       OpenCL C
    .language_version:
      - 2
      - 0
    .max_flat_workgroup_size: 256
    .name:           _ZN7rocprim17ROCPRIM_400000_NS6detail17trampoline_kernelINS0_14default_configENS1_27scan_by_key_config_selectorIiiEEZZNS1_16scan_by_key_implILNS1_25lookback_scan_determinismE0ELb1ES3_N6thrust23THRUST_200600_302600_NS6detail15normal_iteratorINS9_10device_ptrIiEEEENSB_INSC_IjEEEENSB_INSC_IfEEEEiNS9_4plusIvEENS9_8equal_toIvEEiEE10hipError_tPvRmT2_T3_T4_T5_mT6_T7_P12ihipStream_tbENKUlT_T0_E_clISt17integral_constantIbLb0EES12_IbLb1EEEEDaSY_SZ_EUlSY_E_NS1_11comp_targetILNS1_3genE5ELNS1_11target_archE942ELNS1_3gpuE9ELNS1_3repE0EEENS1_30default_config_static_selectorELNS0_4arch9wavefront6targetE1EEEvT1_
    .private_segment_fixed_size: 0
    .sgpr_count:     86
    .sgpr_spill_count: 0
    .symbol:         _ZN7rocprim17ROCPRIM_400000_NS6detail17trampoline_kernelINS0_14default_configENS1_27scan_by_key_config_selectorIiiEEZZNS1_16scan_by_key_implILNS1_25lookback_scan_determinismE0ELb1ES3_N6thrust23THRUST_200600_302600_NS6detail15normal_iteratorINS9_10device_ptrIiEEEENSB_INSC_IjEEEENSB_INSC_IfEEEEiNS9_4plusIvEENS9_8equal_toIvEEiEE10hipError_tPvRmT2_T3_T4_T5_mT6_T7_P12ihipStream_tbENKUlT_T0_E_clISt17integral_constantIbLb0EES12_IbLb1EEEEDaSY_SZ_EUlSY_E_NS1_11comp_targetILNS1_3genE5ELNS1_11target_archE942ELNS1_3gpuE9ELNS1_3repE0EEENS1_30default_config_static_selectorELNS0_4arch9wavefront6targetE1EEEvT1_.kd
    .uniform_work_group_size: 1
    .uses_dynamic_stack: false
    .vgpr_count:     83
    .vgpr_spill_count: 0
    .wavefront_size: 64
  - .agpr_count:     0
    .args:
      - .offset:         0
        .size:           112
        .value_kind:     by_value
    .group_segment_fixed_size: 0
    .kernarg_segment_align: 8
    .kernarg_segment_size: 112
    .language:       OpenCL C
    .language_version:
      - 2
      - 0
    .max_flat_workgroup_size: 256
    .name:           _ZN7rocprim17ROCPRIM_400000_NS6detail17trampoline_kernelINS0_14default_configENS1_27scan_by_key_config_selectorIiiEEZZNS1_16scan_by_key_implILNS1_25lookback_scan_determinismE0ELb1ES3_N6thrust23THRUST_200600_302600_NS6detail15normal_iteratorINS9_10device_ptrIiEEEENSB_INSC_IjEEEENSB_INSC_IfEEEEiNS9_4plusIvEENS9_8equal_toIvEEiEE10hipError_tPvRmT2_T3_T4_T5_mT6_T7_P12ihipStream_tbENKUlT_T0_E_clISt17integral_constantIbLb0EES12_IbLb1EEEEDaSY_SZ_EUlSY_E_NS1_11comp_targetILNS1_3genE4ELNS1_11target_archE910ELNS1_3gpuE8ELNS1_3repE0EEENS1_30default_config_static_selectorELNS0_4arch9wavefront6targetE1EEEvT1_
    .private_segment_fixed_size: 0
    .sgpr_count:     6
    .sgpr_spill_count: 0
    .symbol:         _ZN7rocprim17ROCPRIM_400000_NS6detail17trampoline_kernelINS0_14default_configENS1_27scan_by_key_config_selectorIiiEEZZNS1_16scan_by_key_implILNS1_25lookback_scan_determinismE0ELb1ES3_N6thrust23THRUST_200600_302600_NS6detail15normal_iteratorINS9_10device_ptrIiEEEENSB_INSC_IjEEEENSB_INSC_IfEEEEiNS9_4plusIvEENS9_8equal_toIvEEiEE10hipError_tPvRmT2_T3_T4_T5_mT6_T7_P12ihipStream_tbENKUlT_T0_E_clISt17integral_constantIbLb0EES12_IbLb1EEEEDaSY_SZ_EUlSY_E_NS1_11comp_targetILNS1_3genE4ELNS1_11target_archE910ELNS1_3gpuE8ELNS1_3repE0EEENS1_30default_config_static_selectorELNS0_4arch9wavefront6targetE1EEEvT1_.kd
    .uniform_work_group_size: 1
    .uses_dynamic_stack: false
    .vgpr_count:     0
    .vgpr_spill_count: 0
    .wavefront_size: 64
  - .agpr_count:     0
    .args:
      - .offset:         0
        .size:           112
        .value_kind:     by_value
    .group_segment_fixed_size: 0
    .kernarg_segment_align: 8
    .kernarg_segment_size: 112
    .language:       OpenCL C
    .language_version:
      - 2
      - 0
    .max_flat_workgroup_size: 256
    .name:           _ZN7rocprim17ROCPRIM_400000_NS6detail17trampoline_kernelINS0_14default_configENS1_27scan_by_key_config_selectorIiiEEZZNS1_16scan_by_key_implILNS1_25lookback_scan_determinismE0ELb1ES3_N6thrust23THRUST_200600_302600_NS6detail15normal_iteratorINS9_10device_ptrIiEEEENSB_INSC_IjEEEENSB_INSC_IfEEEEiNS9_4plusIvEENS9_8equal_toIvEEiEE10hipError_tPvRmT2_T3_T4_T5_mT6_T7_P12ihipStream_tbENKUlT_T0_E_clISt17integral_constantIbLb0EES12_IbLb1EEEEDaSY_SZ_EUlSY_E_NS1_11comp_targetILNS1_3genE3ELNS1_11target_archE908ELNS1_3gpuE7ELNS1_3repE0EEENS1_30default_config_static_selectorELNS0_4arch9wavefront6targetE1EEEvT1_
    .private_segment_fixed_size: 0
    .sgpr_count:     6
    .sgpr_spill_count: 0
    .symbol:         _ZN7rocprim17ROCPRIM_400000_NS6detail17trampoline_kernelINS0_14default_configENS1_27scan_by_key_config_selectorIiiEEZZNS1_16scan_by_key_implILNS1_25lookback_scan_determinismE0ELb1ES3_N6thrust23THRUST_200600_302600_NS6detail15normal_iteratorINS9_10device_ptrIiEEEENSB_INSC_IjEEEENSB_INSC_IfEEEEiNS9_4plusIvEENS9_8equal_toIvEEiEE10hipError_tPvRmT2_T3_T4_T5_mT6_T7_P12ihipStream_tbENKUlT_T0_E_clISt17integral_constantIbLb0EES12_IbLb1EEEEDaSY_SZ_EUlSY_E_NS1_11comp_targetILNS1_3genE3ELNS1_11target_archE908ELNS1_3gpuE7ELNS1_3repE0EEENS1_30default_config_static_selectorELNS0_4arch9wavefront6targetE1EEEvT1_.kd
    .uniform_work_group_size: 1
    .uses_dynamic_stack: false
    .vgpr_count:     0
    .vgpr_spill_count: 0
    .wavefront_size: 64
  - .agpr_count:     0
    .args:
      - .offset:         0
        .size:           112
        .value_kind:     by_value
    .group_segment_fixed_size: 0
    .kernarg_segment_align: 8
    .kernarg_segment_size: 112
    .language:       OpenCL C
    .language_version:
      - 2
      - 0
    .max_flat_workgroup_size: 256
    .name:           _ZN7rocprim17ROCPRIM_400000_NS6detail17trampoline_kernelINS0_14default_configENS1_27scan_by_key_config_selectorIiiEEZZNS1_16scan_by_key_implILNS1_25lookback_scan_determinismE0ELb1ES3_N6thrust23THRUST_200600_302600_NS6detail15normal_iteratorINS9_10device_ptrIiEEEENSB_INSC_IjEEEENSB_INSC_IfEEEEiNS9_4plusIvEENS9_8equal_toIvEEiEE10hipError_tPvRmT2_T3_T4_T5_mT6_T7_P12ihipStream_tbENKUlT_T0_E_clISt17integral_constantIbLb0EES12_IbLb1EEEEDaSY_SZ_EUlSY_E_NS1_11comp_targetILNS1_3genE2ELNS1_11target_archE906ELNS1_3gpuE6ELNS1_3repE0EEENS1_30default_config_static_selectorELNS0_4arch9wavefront6targetE1EEEvT1_
    .private_segment_fixed_size: 0
    .sgpr_count:     6
    .sgpr_spill_count: 0
    .symbol:         _ZN7rocprim17ROCPRIM_400000_NS6detail17trampoline_kernelINS0_14default_configENS1_27scan_by_key_config_selectorIiiEEZZNS1_16scan_by_key_implILNS1_25lookback_scan_determinismE0ELb1ES3_N6thrust23THRUST_200600_302600_NS6detail15normal_iteratorINS9_10device_ptrIiEEEENSB_INSC_IjEEEENSB_INSC_IfEEEEiNS9_4plusIvEENS9_8equal_toIvEEiEE10hipError_tPvRmT2_T3_T4_T5_mT6_T7_P12ihipStream_tbENKUlT_T0_E_clISt17integral_constantIbLb0EES12_IbLb1EEEEDaSY_SZ_EUlSY_E_NS1_11comp_targetILNS1_3genE2ELNS1_11target_archE906ELNS1_3gpuE6ELNS1_3repE0EEENS1_30default_config_static_selectorELNS0_4arch9wavefront6targetE1EEEvT1_.kd
    .uniform_work_group_size: 1
    .uses_dynamic_stack: false
    .vgpr_count:     0
    .vgpr_spill_count: 0
    .wavefront_size: 64
  - .agpr_count:     0
    .args:
      - .offset:         0
        .size:           112
        .value_kind:     by_value
    .group_segment_fixed_size: 0
    .kernarg_segment_align: 8
    .kernarg_segment_size: 112
    .language:       OpenCL C
    .language_version:
      - 2
      - 0
    .max_flat_workgroup_size: 256
    .name:           _ZN7rocprim17ROCPRIM_400000_NS6detail17trampoline_kernelINS0_14default_configENS1_27scan_by_key_config_selectorIiiEEZZNS1_16scan_by_key_implILNS1_25lookback_scan_determinismE0ELb1ES3_N6thrust23THRUST_200600_302600_NS6detail15normal_iteratorINS9_10device_ptrIiEEEENSB_INSC_IjEEEENSB_INSC_IfEEEEiNS9_4plusIvEENS9_8equal_toIvEEiEE10hipError_tPvRmT2_T3_T4_T5_mT6_T7_P12ihipStream_tbENKUlT_T0_E_clISt17integral_constantIbLb0EES12_IbLb1EEEEDaSY_SZ_EUlSY_E_NS1_11comp_targetILNS1_3genE10ELNS1_11target_archE1200ELNS1_3gpuE4ELNS1_3repE0EEENS1_30default_config_static_selectorELNS0_4arch9wavefront6targetE1EEEvT1_
    .private_segment_fixed_size: 0
    .sgpr_count:     6
    .sgpr_spill_count: 0
    .symbol:         _ZN7rocprim17ROCPRIM_400000_NS6detail17trampoline_kernelINS0_14default_configENS1_27scan_by_key_config_selectorIiiEEZZNS1_16scan_by_key_implILNS1_25lookback_scan_determinismE0ELb1ES3_N6thrust23THRUST_200600_302600_NS6detail15normal_iteratorINS9_10device_ptrIiEEEENSB_INSC_IjEEEENSB_INSC_IfEEEEiNS9_4plusIvEENS9_8equal_toIvEEiEE10hipError_tPvRmT2_T3_T4_T5_mT6_T7_P12ihipStream_tbENKUlT_T0_E_clISt17integral_constantIbLb0EES12_IbLb1EEEEDaSY_SZ_EUlSY_E_NS1_11comp_targetILNS1_3genE10ELNS1_11target_archE1200ELNS1_3gpuE4ELNS1_3repE0EEENS1_30default_config_static_selectorELNS0_4arch9wavefront6targetE1EEEvT1_.kd
    .uniform_work_group_size: 1
    .uses_dynamic_stack: false
    .vgpr_count:     0
    .vgpr_spill_count: 0
    .wavefront_size: 64
  - .agpr_count:     0
    .args:
      - .offset:         0
        .size:           112
        .value_kind:     by_value
    .group_segment_fixed_size: 0
    .kernarg_segment_align: 8
    .kernarg_segment_size: 112
    .language:       OpenCL C
    .language_version:
      - 2
      - 0
    .max_flat_workgroup_size: 256
    .name:           _ZN7rocprim17ROCPRIM_400000_NS6detail17trampoline_kernelINS0_14default_configENS1_27scan_by_key_config_selectorIiiEEZZNS1_16scan_by_key_implILNS1_25lookback_scan_determinismE0ELb1ES3_N6thrust23THRUST_200600_302600_NS6detail15normal_iteratorINS9_10device_ptrIiEEEENSB_INSC_IjEEEENSB_INSC_IfEEEEiNS9_4plusIvEENS9_8equal_toIvEEiEE10hipError_tPvRmT2_T3_T4_T5_mT6_T7_P12ihipStream_tbENKUlT_T0_E_clISt17integral_constantIbLb0EES12_IbLb1EEEEDaSY_SZ_EUlSY_E_NS1_11comp_targetILNS1_3genE9ELNS1_11target_archE1100ELNS1_3gpuE3ELNS1_3repE0EEENS1_30default_config_static_selectorELNS0_4arch9wavefront6targetE1EEEvT1_
    .private_segment_fixed_size: 0
    .sgpr_count:     6
    .sgpr_spill_count: 0
    .symbol:         _ZN7rocprim17ROCPRIM_400000_NS6detail17trampoline_kernelINS0_14default_configENS1_27scan_by_key_config_selectorIiiEEZZNS1_16scan_by_key_implILNS1_25lookback_scan_determinismE0ELb1ES3_N6thrust23THRUST_200600_302600_NS6detail15normal_iteratorINS9_10device_ptrIiEEEENSB_INSC_IjEEEENSB_INSC_IfEEEEiNS9_4plusIvEENS9_8equal_toIvEEiEE10hipError_tPvRmT2_T3_T4_T5_mT6_T7_P12ihipStream_tbENKUlT_T0_E_clISt17integral_constantIbLb0EES12_IbLb1EEEEDaSY_SZ_EUlSY_E_NS1_11comp_targetILNS1_3genE9ELNS1_11target_archE1100ELNS1_3gpuE3ELNS1_3repE0EEENS1_30default_config_static_selectorELNS0_4arch9wavefront6targetE1EEEvT1_.kd
    .uniform_work_group_size: 1
    .uses_dynamic_stack: false
    .vgpr_count:     0
    .vgpr_spill_count: 0
    .wavefront_size: 64
  - .agpr_count:     0
    .args:
      - .offset:         0
        .size:           112
        .value_kind:     by_value
    .group_segment_fixed_size: 0
    .kernarg_segment_align: 8
    .kernarg_segment_size: 112
    .language:       OpenCL C
    .language_version:
      - 2
      - 0
    .max_flat_workgroup_size: 256
    .name:           _ZN7rocprim17ROCPRIM_400000_NS6detail17trampoline_kernelINS0_14default_configENS1_27scan_by_key_config_selectorIiiEEZZNS1_16scan_by_key_implILNS1_25lookback_scan_determinismE0ELb1ES3_N6thrust23THRUST_200600_302600_NS6detail15normal_iteratorINS9_10device_ptrIiEEEENSB_INSC_IjEEEENSB_INSC_IfEEEEiNS9_4plusIvEENS9_8equal_toIvEEiEE10hipError_tPvRmT2_T3_T4_T5_mT6_T7_P12ihipStream_tbENKUlT_T0_E_clISt17integral_constantIbLb0EES12_IbLb1EEEEDaSY_SZ_EUlSY_E_NS1_11comp_targetILNS1_3genE8ELNS1_11target_archE1030ELNS1_3gpuE2ELNS1_3repE0EEENS1_30default_config_static_selectorELNS0_4arch9wavefront6targetE1EEEvT1_
    .private_segment_fixed_size: 0
    .sgpr_count:     6
    .sgpr_spill_count: 0
    .symbol:         _ZN7rocprim17ROCPRIM_400000_NS6detail17trampoline_kernelINS0_14default_configENS1_27scan_by_key_config_selectorIiiEEZZNS1_16scan_by_key_implILNS1_25lookback_scan_determinismE0ELb1ES3_N6thrust23THRUST_200600_302600_NS6detail15normal_iteratorINS9_10device_ptrIiEEEENSB_INSC_IjEEEENSB_INSC_IfEEEEiNS9_4plusIvEENS9_8equal_toIvEEiEE10hipError_tPvRmT2_T3_T4_T5_mT6_T7_P12ihipStream_tbENKUlT_T0_E_clISt17integral_constantIbLb0EES12_IbLb1EEEEDaSY_SZ_EUlSY_E_NS1_11comp_targetILNS1_3genE8ELNS1_11target_archE1030ELNS1_3gpuE2ELNS1_3repE0EEENS1_30default_config_static_selectorELNS0_4arch9wavefront6targetE1EEEvT1_.kd
    .uniform_work_group_size: 1
    .uses_dynamic_stack: false
    .vgpr_count:     0
    .vgpr_spill_count: 0
    .wavefront_size: 64
  - .agpr_count:     0
    .args:
      - .offset:         0
        .size:           112
        .value_kind:     by_value
    .group_segment_fixed_size: 0
    .kernarg_segment_align: 8
    .kernarg_segment_size: 112
    .language:       OpenCL C
    .language_version:
      - 2
      - 0
    .max_flat_workgroup_size: 256
    .name:           _ZN7rocprim17ROCPRIM_400000_NS6detail17trampoline_kernelINS0_14default_configENS1_27scan_by_key_config_selectorIiiEEZZNS1_16scan_by_key_implILNS1_25lookback_scan_determinismE0ELb1ES3_N6thrust23THRUST_200600_302600_NS6detail15normal_iteratorINS9_10device_ptrIiEEEENSB_INSC_IjEEEESE_iNS9_4plusIvEENS9_8equal_toIvEEiEE10hipError_tPvRmT2_T3_T4_T5_mT6_T7_P12ihipStream_tbENKUlT_T0_E_clISt17integral_constantIbLb0EES11_EEDaSW_SX_EUlSW_E_NS1_11comp_targetILNS1_3genE0ELNS1_11target_archE4294967295ELNS1_3gpuE0ELNS1_3repE0EEENS1_30default_config_static_selectorELNS0_4arch9wavefront6targetE1EEEvT1_
    .private_segment_fixed_size: 0
    .sgpr_count:     6
    .sgpr_spill_count: 0
    .symbol:         _ZN7rocprim17ROCPRIM_400000_NS6detail17trampoline_kernelINS0_14default_configENS1_27scan_by_key_config_selectorIiiEEZZNS1_16scan_by_key_implILNS1_25lookback_scan_determinismE0ELb1ES3_N6thrust23THRUST_200600_302600_NS6detail15normal_iteratorINS9_10device_ptrIiEEEENSB_INSC_IjEEEESE_iNS9_4plusIvEENS9_8equal_toIvEEiEE10hipError_tPvRmT2_T3_T4_T5_mT6_T7_P12ihipStream_tbENKUlT_T0_E_clISt17integral_constantIbLb0EES11_EEDaSW_SX_EUlSW_E_NS1_11comp_targetILNS1_3genE0ELNS1_11target_archE4294967295ELNS1_3gpuE0ELNS1_3repE0EEENS1_30default_config_static_selectorELNS0_4arch9wavefront6targetE1EEEvT1_.kd
    .uniform_work_group_size: 1
    .uses_dynamic_stack: false
    .vgpr_count:     0
    .vgpr_spill_count: 0
    .wavefront_size: 64
  - .agpr_count:     0
    .args:
      - .offset:         0
        .size:           112
        .value_kind:     by_value
    .group_segment_fixed_size: 0
    .kernarg_segment_align: 8
    .kernarg_segment_size: 112
    .language:       OpenCL C
    .language_version:
      - 2
      - 0
    .max_flat_workgroup_size: 256
    .name:           _ZN7rocprim17ROCPRIM_400000_NS6detail17trampoline_kernelINS0_14default_configENS1_27scan_by_key_config_selectorIiiEEZZNS1_16scan_by_key_implILNS1_25lookback_scan_determinismE0ELb1ES3_N6thrust23THRUST_200600_302600_NS6detail15normal_iteratorINS9_10device_ptrIiEEEENSB_INSC_IjEEEESE_iNS9_4plusIvEENS9_8equal_toIvEEiEE10hipError_tPvRmT2_T3_T4_T5_mT6_T7_P12ihipStream_tbENKUlT_T0_E_clISt17integral_constantIbLb0EES11_EEDaSW_SX_EUlSW_E_NS1_11comp_targetILNS1_3genE10ELNS1_11target_archE1201ELNS1_3gpuE5ELNS1_3repE0EEENS1_30default_config_static_selectorELNS0_4arch9wavefront6targetE1EEEvT1_
    .private_segment_fixed_size: 0
    .sgpr_count:     6
    .sgpr_spill_count: 0
    .symbol:         _ZN7rocprim17ROCPRIM_400000_NS6detail17trampoline_kernelINS0_14default_configENS1_27scan_by_key_config_selectorIiiEEZZNS1_16scan_by_key_implILNS1_25lookback_scan_determinismE0ELb1ES3_N6thrust23THRUST_200600_302600_NS6detail15normal_iteratorINS9_10device_ptrIiEEEENSB_INSC_IjEEEESE_iNS9_4plusIvEENS9_8equal_toIvEEiEE10hipError_tPvRmT2_T3_T4_T5_mT6_T7_P12ihipStream_tbENKUlT_T0_E_clISt17integral_constantIbLb0EES11_EEDaSW_SX_EUlSW_E_NS1_11comp_targetILNS1_3genE10ELNS1_11target_archE1201ELNS1_3gpuE5ELNS1_3repE0EEENS1_30default_config_static_selectorELNS0_4arch9wavefront6targetE1EEEvT1_.kd
    .uniform_work_group_size: 1
    .uses_dynamic_stack: false
    .vgpr_count:     0
    .vgpr_spill_count: 0
    .wavefront_size: 64
  - .agpr_count:     0
    .args:
      - .offset:         0
        .size:           112
        .value_kind:     by_value
    .group_segment_fixed_size: 25600
    .kernarg_segment_align: 8
    .kernarg_segment_size: 112
    .language:       OpenCL C
    .language_version:
      - 2
      - 0
    .max_flat_workgroup_size: 256
    .name:           _ZN7rocprim17ROCPRIM_400000_NS6detail17trampoline_kernelINS0_14default_configENS1_27scan_by_key_config_selectorIiiEEZZNS1_16scan_by_key_implILNS1_25lookback_scan_determinismE0ELb1ES3_N6thrust23THRUST_200600_302600_NS6detail15normal_iteratorINS9_10device_ptrIiEEEENSB_INSC_IjEEEESE_iNS9_4plusIvEENS9_8equal_toIvEEiEE10hipError_tPvRmT2_T3_T4_T5_mT6_T7_P12ihipStream_tbENKUlT_T0_E_clISt17integral_constantIbLb0EES11_EEDaSW_SX_EUlSW_E_NS1_11comp_targetILNS1_3genE5ELNS1_11target_archE942ELNS1_3gpuE9ELNS1_3repE0EEENS1_30default_config_static_selectorELNS0_4arch9wavefront6targetE1EEEvT1_
    .private_segment_fixed_size: 0
    .sgpr_count:     86
    .sgpr_spill_count: 0
    .symbol:         _ZN7rocprim17ROCPRIM_400000_NS6detail17trampoline_kernelINS0_14default_configENS1_27scan_by_key_config_selectorIiiEEZZNS1_16scan_by_key_implILNS1_25lookback_scan_determinismE0ELb1ES3_N6thrust23THRUST_200600_302600_NS6detail15normal_iteratorINS9_10device_ptrIiEEEENSB_INSC_IjEEEESE_iNS9_4plusIvEENS9_8equal_toIvEEiEE10hipError_tPvRmT2_T3_T4_T5_mT6_T7_P12ihipStream_tbENKUlT_T0_E_clISt17integral_constantIbLb0EES11_EEDaSW_SX_EUlSW_E_NS1_11comp_targetILNS1_3genE5ELNS1_11target_archE942ELNS1_3gpuE9ELNS1_3repE0EEENS1_30default_config_static_selectorELNS0_4arch9wavefront6targetE1EEEvT1_.kd
    .uniform_work_group_size: 1
    .uses_dynamic_stack: false
    .vgpr_count:     81
    .vgpr_spill_count: 0
    .wavefront_size: 64
  - .agpr_count:     0
    .args:
      - .offset:         0
        .size:           112
        .value_kind:     by_value
    .group_segment_fixed_size: 0
    .kernarg_segment_align: 8
    .kernarg_segment_size: 112
    .language:       OpenCL C
    .language_version:
      - 2
      - 0
    .max_flat_workgroup_size: 256
    .name:           _ZN7rocprim17ROCPRIM_400000_NS6detail17trampoline_kernelINS0_14default_configENS1_27scan_by_key_config_selectorIiiEEZZNS1_16scan_by_key_implILNS1_25lookback_scan_determinismE0ELb1ES3_N6thrust23THRUST_200600_302600_NS6detail15normal_iteratorINS9_10device_ptrIiEEEENSB_INSC_IjEEEESE_iNS9_4plusIvEENS9_8equal_toIvEEiEE10hipError_tPvRmT2_T3_T4_T5_mT6_T7_P12ihipStream_tbENKUlT_T0_E_clISt17integral_constantIbLb0EES11_EEDaSW_SX_EUlSW_E_NS1_11comp_targetILNS1_3genE4ELNS1_11target_archE910ELNS1_3gpuE8ELNS1_3repE0EEENS1_30default_config_static_selectorELNS0_4arch9wavefront6targetE1EEEvT1_
    .private_segment_fixed_size: 0
    .sgpr_count:     6
    .sgpr_spill_count: 0
    .symbol:         _ZN7rocprim17ROCPRIM_400000_NS6detail17trampoline_kernelINS0_14default_configENS1_27scan_by_key_config_selectorIiiEEZZNS1_16scan_by_key_implILNS1_25lookback_scan_determinismE0ELb1ES3_N6thrust23THRUST_200600_302600_NS6detail15normal_iteratorINS9_10device_ptrIiEEEENSB_INSC_IjEEEESE_iNS9_4plusIvEENS9_8equal_toIvEEiEE10hipError_tPvRmT2_T3_T4_T5_mT6_T7_P12ihipStream_tbENKUlT_T0_E_clISt17integral_constantIbLb0EES11_EEDaSW_SX_EUlSW_E_NS1_11comp_targetILNS1_3genE4ELNS1_11target_archE910ELNS1_3gpuE8ELNS1_3repE0EEENS1_30default_config_static_selectorELNS0_4arch9wavefront6targetE1EEEvT1_.kd
    .uniform_work_group_size: 1
    .uses_dynamic_stack: false
    .vgpr_count:     0
    .vgpr_spill_count: 0
    .wavefront_size: 64
  - .agpr_count:     0
    .args:
      - .offset:         0
        .size:           112
        .value_kind:     by_value
    .group_segment_fixed_size: 0
    .kernarg_segment_align: 8
    .kernarg_segment_size: 112
    .language:       OpenCL C
    .language_version:
      - 2
      - 0
    .max_flat_workgroup_size: 256
    .name:           _ZN7rocprim17ROCPRIM_400000_NS6detail17trampoline_kernelINS0_14default_configENS1_27scan_by_key_config_selectorIiiEEZZNS1_16scan_by_key_implILNS1_25lookback_scan_determinismE0ELb1ES3_N6thrust23THRUST_200600_302600_NS6detail15normal_iteratorINS9_10device_ptrIiEEEENSB_INSC_IjEEEESE_iNS9_4plusIvEENS9_8equal_toIvEEiEE10hipError_tPvRmT2_T3_T4_T5_mT6_T7_P12ihipStream_tbENKUlT_T0_E_clISt17integral_constantIbLb0EES11_EEDaSW_SX_EUlSW_E_NS1_11comp_targetILNS1_3genE3ELNS1_11target_archE908ELNS1_3gpuE7ELNS1_3repE0EEENS1_30default_config_static_selectorELNS0_4arch9wavefront6targetE1EEEvT1_
    .private_segment_fixed_size: 0
    .sgpr_count:     6
    .sgpr_spill_count: 0
    .symbol:         _ZN7rocprim17ROCPRIM_400000_NS6detail17trampoline_kernelINS0_14default_configENS1_27scan_by_key_config_selectorIiiEEZZNS1_16scan_by_key_implILNS1_25lookback_scan_determinismE0ELb1ES3_N6thrust23THRUST_200600_302600_NS6detail15normal_iteratorINS9_10device_ptrIiEEEENSB_INSC_IjEEEESE_iNS9_4plusIvEENS9_8equal_toIvEEiEE10hipError_tPvRmT2_T3_T4_T5_mT6_T7_P12ihipStream_tbENKUlT_T0_E_clISt17integral_constantIbLb0EES11_EEDaSW_SX_EUlSW_E_NS1_11comp_targetILNS1_3genE3ELNS1_11target_archE908ELNS1_3gpuE7ELNS1_3repE0EEENS1_30default_config_static_selectorELNS0_4arch9wavefront6targetE1EEEvT1_.kd
    .uniform_work_group_size: 1
    .uses_dynamic_stack: false
    .vgpr_count:     0
    .vgpr_spill_count: 0
    .wavefront_size: 64
  - .agpr_count:     0
    .args:
      - .offset:         0
        .size:           112
        .value_kind:     by_value
    .group_segment_fixed_size: 0
    .kernarg_segment_align: 8
    .kernarg_segment_size: 112
    .language:       OpenCL C
    .language_version:
      - 2
      - 0
    .max_flat_workgroup_size: 256
    .name:           _ZN7rocprim17ROCPRIM_400000_NS6detail17trampoline_kernelINS0_14default_configENS1_27scan_by_key_config_selectorIiiEEZZNS1_16scan_by_key_implILNS1_25lookback_scan_determinismE0ELb1ES3_N6thrust23THRUST_200600_302600_NS6detail15normal_iteratorINS9_10device_ptrIiEEEENSB_INSC_IjEEEESE_iNS9_4plusIvEENS9_8equal_toIvEEiEE10hipError_tPvRmT2_T3_T4_T5_mT6_T7_P12ihipStream_tbENKUlT_T0_E_clISt17integral_constantIbLb0EES11_EEDaSW_SX_EUlSW_E_NS1_11comp_targetILNS1_3genE2ELNS1_11target_archE906ELNS1_3gpuE6ELNS1_3repE0EEENS1_30default_config_static_selectorELNS0_4arch9wavefront6targetE1EEEvT1_
    .private_segment_fixed_size: 0
    .sgpr_count:     6
    .sgpr_spill_count: 0
    .symbol:         _ZN7rocprim17ROCPRIM_400000_NS6detail17trampoline_kernelINS0_14default_configENS1_27scan_by_key_config_selectorIiiEEZZNS1_16scan_by_key_implILNS1_25lookback_scan_determinismE0ELb1ES3_N6thrust23THRUST_200600_302600_NS6detail15normal_iteratorINS9_10device_ptrIiEEEENSB_INSC_IjEEEESE_iNS9_4plusIvEENS9_8equal_toIvEEiEE10hipError_tPvRmT2_T3_T4_T5_mT6_T7_P12ihipStream_tbENKUlT_T0_E_clISt17integral_constantIbLb0EES11_EEDaSW_SX_EUlSW_E_NS1_11comp_targetILNS1_3genE2ELNS1_11target_archE906ELNS1_3gpuE6ELNS1_3repE0EEENS1_30default_config_static_selectorELNS0_4arch9wavefront6targetE1EEEvT1_.kd
    .uniform_work_group_size: 1
    .uses_dynamic_stack: false
    .vgpr_count:     0
    .vgpr_spill_count: 0
    .wavefront_size: 64
  - .agpr_count:     0
    .args:
      - .offset:         0
        .size:           112
        .value_kind:     by_value
    .group_segment_fixed_size: 0
    .kernarg_segment_align: 8
    .kernarg_segment_size: 112
    .language:       OpenCL C
    .language_version:
      - 2
      - 0
    .max_flat_workgroup_size: 256
    .name:           _ZN7rocprim17ROCPRIM_400000_NS6detail17trampoline_kernelINS0_14default_configENS1_27scan_by_key_config_selectorIiiEEZZNS1_16scan_by_key_implILNS1_25lookback_scan_determinismE0ELb1ES3_N6thrust23THRUST_200600_302600_NS6detail15normal_iteratorINS9_10device_ptrIiEEEENSB_INSC_IjEEEESE_iNS9_4plusIvEENS9_8equal_toIvEEiEE10hipError_tPvRmT2_T3_T4_T5_mT6_T7_P12ihipStream_tbENKUlT_T0_E_clISt17integral_constantIbLb0EES11_EEDaSW_SX_EUlSW_E_NS1_11comp_targetILNS1_3genE10ELNS1_11target_archE1200ELNS1_3gpuE4ELNS1_3repE0EEENS1_30default_config_static_selectorELNS0_4arch9wavefront6targetE1EEEvT1_
    .private_segment_fixed_size: 0
    .sgpr_count:     6
    .sgpr_spill_count: 0
    .symbol:         _ZN7rocprim17ROCPRIM_400000_NS6detail17trampoline_kernelINS0_14default_configENS1_27scan_by_key_config_selectorIiiEEZZNS1_16scan_by_key_implILNS1_25lookback_scan_determinismE0ELb1ES3_N6thrust23THRUST_200600_302600_NS6detail15normal_iteratorINS9_10device_ptrIiEEEENSB_INSC_IjEEEESE_iNS9_4plusIvEENS9_8equal_toIvEEiEE10hipError_tPvRmT2_T3_T4_T5_mT6_T7_P12ihipStream_tbENKUlT_T0_E_clISt17integral_constantIbLb0EES11_EEDaSW_SX_EUlSW_E_NS1_11comp_targetILNS1_3genE10ELNS1_11target_archE1200ELNS1_3gpuE4ELNS1_3repE0EEENS1_30default_config_static_selectorELNS0_4arch9wavefront6targetE1EEEvT1_.kd
    .uniform_work_group_size: 1
    .uses_dynamic_stack: false
    .vgpr_count:     0
    .vgpr_spill_count: 0
    .wavefront_size: 64
  - .agpr_count:     0
    .args:
      - .offset:         0
        .size:           112
        .value_kind:     by_value
    .group_segment_fixed_size: 0
    .kernarg_segment_align: 8
    .kernarg_segment_size: 112
    .language:       OpenCL C
    .language_version:
      - 2
      - 0
    .max_flat_workgroup_size: 256
    .name:           _ZN7rocprim17ROCPRIM_400000_NS6detail17trampoline_kernelINS0_14default_configENS1_27scan_by_key_config_selectorIiiEEZZNS1_16scan_by_key_implILNS1_25lookback_scan_determinismE0ELb1ES3_N6thrust23THRUST_200600_302600_NS6detail15normal_iteratorINS9_10device_ptrIiEEEENSB_INSC_IjEEEESE_iNS9_4plusIvEENS9_8equal_toIvEEiEE10hipError_tPvRmT2_T3_T4_T5_mT6_T7_P12ihipStream_tbENKUlT_T0_E_clISt17integral_constantIbLb0EES11_EEDaSW_SX_EUlSW_E_NS1_11comp_targetILNS1_3genE9ELNS1_11target_archE1100ELNS1_3gpuE3ELNS1_3repE0EEENS1_30default_config_static_selectorELNS0_4arch9wavefront6targetE1EEEvT1_
    .private_segment_fixed_size: 0
    .sgpr_count:     6
    .sgpr_spill_count: 0
    .symbol:         _ZN7rocprim17ROCPRIM_400000_NS6detail17trampoline_kernelINS0_14default_configENS1_27scan_by_key_config_selectorIiiEEZZNS1_16scan_by_key_implILNS1_25lookback_scan_determinismE0ELb1ES3_N6thrust23THRUST_200600_302600_NS6detail15normal_iteratorINS9_10device_ptrIiEEEENSB_INSC_IjEEEESE_iNS9_4plusIvEENS9_8equal_toIvEEiEE10hipError_tPvRmT2_T3_T4_T5_mT6_T7_P12ihipStream_tbENKUlT_T0_E_clISt17integral_constantIbLb0EES11_EEDaSW_SX_EUlSW_E_NS1_11comp_targetILNS1_3genE9ELNS1_11target_archE1100ELNS1_3gpuE3ELNS1_3repE0EEENS1_30default_config_static_selectorELNS0_4arch9wavefront6targetE1EEEvT1_.kd
    .uniform_work_group_size: 1
    .uses_dynamic_stack: false
    .vgpr_count:     0
    .vgpr_spill_count: 0
    .wavefront_size: 64
  - .agpr_count:     0
    .args:
      - .offset:         0
        .size:           112
        .value_kind:     by_value
    .group_segment_fixed_size: 0
    .kernarg_segment_align: 8
    .kernarg_segment_size: 112
    .language:       OpenCL C
    .language_version:
      - 2
      - 0
    .max_flat_workgroup_size: 256
    .name:           _ZN7rocprim17ROCPRIM_400000_NS6detail17trampoline_kernelINS0_14default_configENS1_27scan_by_key_config_selectorIiiEEZZNS1_16scan_by_key_implILNS1_25lookback_scan_determinismE0ELb1ES3_N6thrust23THRUST_200600_302600_NS6detail15normal_iteratorINS9_10device_ptrIiEEEENSB_INSC_IjEEEESE_iNS9_4plusIvEENS9_8equal_toIvEEiEE10hipError_tPvRmT2_T3_T4_T5_mT6_T7_P12ihipStream_tbENKUlT_T0_E_clISt17integral_constantIbLb0EES11_EEDaSW_SX_EUlSW_E_NS1_11comp_targetILNS1_3genE8ELNS1_11target_archE1030ELNS1_3gpuE2ELNS1_3repE0EEENS1_30default_config_static_selectorELNS0_4arch9wavefront6targetE1EEEvT1_
    .private_segment_fixed_size: 0
    .sgpr_count:     6
    .sgpr_spill_count: 0
    .symbol:         _ZN7rocprim17ROCPRIM_400000_NS6detail17trampoline_kernelINS0_14default_configENS1_27scan_by_key_config_selectorIiiEEZZNS1_16scan_by_key_implILNS1_25lookback_scan_determinismE0ELb1ES3_N6thrust23THRUST_200600_302600_NS6detail15normal_iteratorINS9_10device_ptrIiEEEENSB_INSC_IjEEEESE_iNS9_4plusIvEENS9_8equal_toIvEEiEE10hipError_tPvRmT2_T3_T4_T5_mT6_T7_P12ihipStream_tbENKUlT_T0_E_clISt17integral_constantIbLb0EES11_EEDaSW_SX_EUlSW_E_NS1_11comp_targetILNS1_3genE8ELNS1_11target_archE1030ELNS1_3gpuE2ELNS1_3repE0EEENS1_30default_config_static_selectorELNS0_4arch9wavefront6targetE1EEEvT1_.kd
    .uniform_work_group_size: 1
    .uses_dynamic_stack: false
    .vgpr_count:     0
    .vgpr_spill_count: 0
    .wavefront_size: 64
  - .agpr_count:     0
    .args:
      - .offset:         0
        .size:           112
        .value_kind:     by_value
    .group_segment_fixed_size: 0
    .kernarg_segment_align: 8
    .kernarg_segment_size: 112
    .language:       OpenCL C
    .language_version:
      - 2
      - 0
    .max_flat_workgroup_size: 256
    .name:           _ZN7rocprim17ROCPRIM_400000_NS6detail17trampoline_kernelINS0_14default_configENS1_27scan_by_key_config_selectorIiiEEZZNS1_16scan_by_key_implILNS1_25lookback_scan_determinismE0ELb1ES3_N6thrust23THRUST_200600_302600_NS6detail15normal_iteratorINS9_10device_ptrIiEEEENSB_INSC_IjEEEESE_iNS9_4plusIvEENS9_8equal_toIvEEiEE10hipError_tPvRmT2_T3_T4_T5_mT6_T7_P12ihipStream_tbENKUlT_T0_E_clISt17integral_constantIbLb1EES11_EEDaSW_SX_EUlSW_E_NS1_11comp_targetILNS1_3genE0ELNS1_11target_archE4294967295ELNS1_3gpuE0ELNS1_3repE0EEENS1_30default_config_static_selectorELNS0_4arch9wavefront6targetE1EEEvT1_
    .private_segment_fixed_size: 0
    .sgpr_count:     6
    .sgpr_spill_count: 0
    .symbol:         _ZN7rocprim17ROCPRIM_400000_NS6detail17trampoline_kernelINS0_14default_configENS1_27scan_by_key_config_selectorIiiEEZZNS1_16scan_by_key_implILNS1_25lookback_scan_determinismE0ELb1ES3_N6thrust23THRUST_200600_302600_NS6detail15normal_iteratorINS9_10device_ptrIiEEEENSB_INSC_IjEEEESE_iNS9_4plusIvEENS9_8equal_toIvEEiEE10hipError_tPvRmT2_T3_T4_T5_mT6_T7_P12ihipStream_tbENKUlT_T0_E_clISt17integral_constantIbLb1EES11_EEDaSW_SX_EUlSW_E_NS1_11comp_targetILNS1_3genE0ELNS1_11target_archE4294967295ELNS1_3gpuE0ELNS1_3repE0EEENS1_30default_config_static_selectorELNS0_4arch9wavefront6targetE1EEEvT1_.kd
    .uniform_work_group_size: 1
    .uses_dynamic_stack: false
    .vgpr_count:     0
    .vgpr_spill_count: 0
    .wavefront_size: 64
  - .agpr_count:     0
    .args:
      - .offset:         0
        .size:           112
        .value_kind:     by_value
    .group_segment_fixed_size: 0
    .kernarg_segment_align: 8
    .kernarg_segment_size: 112
    .language:       OpenCL C
    .language_version:
      - 2
      - 0
    .max_flat_workgroup_size: 256
    .name:           _ZN7rocprim17ROCPRIM_400000_NS6detail17trampoline_kernelINS0_14default_configENS1_27scan_by_key_config_selectorIiiEEZZNS1_16scan_by_key_implILNS1_25lookback_scan_determinismE0ELb1ES3_N6thrust23THRUST_200600_302600_NS6detail15normal_iteratorINS9_10device_ptrIiEEEENSB_INSC_IjEEEESE_iNS9_4plusIvEENS9_8equal_toIvEEiEE10hipError_tPvRmT2_T3_T4_T5_mT6_T7_P12ihipStream_tbENKUlT_T0_E_clISt17integral_constantIbLb1EES11_EEDaSW_SX_EUlSW_E_NS1_11comp_targetILNS1_3genE10ELNS1_11target_archE1201ELNS1_3gpuE5ELNS1_3repE0EEENS1_30default_config_static_selectorELNS0_4arch9wavefront6targetE1EEEvT1_
    .private_segment_fixed_size: 0
    .sgpr_count:     6
    .sgpr_spill_count: 0
    .symbol:         _ZN7rocprim17ROCPRIM_400000_NS6detail17trampoline_kernelINS0_14default_configENS1_27scan_by_key_config_selectorIiiEEZZNS1_16scan_by_key_implILNS1_25lookback_scan_determinismE0ELb1ES3_N6thrust23THRUST_200600_302600_NS6detail15normal_iteratorINS9_10device_ptrIiEEEENSB_INSC_IjEEEESE_iNS9_4plusIvEENS9_8equal_toIvEEiEE10hipError_tPvRmT2_T3_T4_T5_mT6_T7_P12ihipStream_tbENKUlT_T0_E_clISt17integral_constantIbLb1EES11_EEDaSW_SX_EUlSW_E_NS1_11comp_targetILNS1_3genE10ELNS1_11target_archE1201ELNS1_3gpuE5ELNS1_3repE0EEENS1_30default_config_static_selectorELNS0_4arch9wavefront6targetE1EEEvT1_.kd
    .uniform_work_group_size: 1
    .uses_dynamic_stack: false
    .vgpr_count:     0
    .vgpr_spill_count: 0
    .wavefront_size: 64
  - .agpr_count:     0
    .args:
      - .offset:         0
        .size:           112
        .value_kind:     by_value
    .group_segment_fixed_size: 25600
    .kernarg_segment_align: 8
    .kernarg_segment_size: 112
    .language:       OpenCL C
    .language_version:
      - 2
      - 0
    .max_flat_workgroup_size: 256
    .name:           _ZN7rocprim17ROCPRIM_400000_NS6detail17trampoline_kernelINS0_14default_configENS1_27scan_by_key_config_selectorIiiEEZZNS1_16scan_by_key_implILNS1_25lookback_scan_determinismE0ELb1ES3_N6thrust23THRUST_200600_302600_NS6detail15normal_iteratorINS9_10device_ptrIiEEEENSB_INSC_IjEEEESE_iNS9_4plusIvEENS9_8equal_toIvEEiEE10hipError_tPvRmT2_T3_T4_T5_mT6_T7_P12ihipStream_tbENKUlT_T0_E_clISt17integral_constantIbLb1EES11_EEDaSW_SX_EUlSW_E_NS1_11comp_targetILNS1_3genE5ELNS1_11target_archE942ELNS1_3gpuE9ELNS1_3repE0EEENS1_30default_config_static_selectorELNS0_4arch9wavefront6targetE1EEEvT1_
    .private_segment_fixed_size: 0
    .sgpr_count:     86
    .sgpr_spill_count: 0
    .symbol:         _ZN7rocprim17ROCPRIM_400000_NS6detail17trampoline_kernelINS0_14default_configENS1_27scan_by_key_config_selectorIiiEEZZNS1_16scan_by_key_implILNS1_25lookback_scan_determinismE0ELb1ES3_N6thrust23THRUST_200600_302600_NS6detail15normal_iteratorINS9_10device_ptrIiEEEENSB_INSC_IjEEEESE_iNS9_4plusIvEENS9_8equal_toIvEEiEE10hipError_tPvRmT2_T3_T4_T5_mT6_T7_P12ihipStream_tbENKUlT_T0_E_clISt17integral_constantIbLb1EES11_EEDaSW_SX_EUlSW_E_NS1_11comp_targetILNS1_3genE5ELNS1_11target_archE942ELNS1_3gpuE9ELNS1_3repE0EEENS1_30default_config_static_selectorELNS0_4arch9wavefront6targetE1EEEvT1_.kd
    .uniform_work_group_size: 1
    .uses_dynamic_stack: false
    .vgpr_count:     83
    .vgpr_spill_count: 0
    .wavefront_size: 64
  - .agpr_count:     0
    .args:
      - .offset:         0
        .size:           112
        .value_kind:     by_value
    .group_segment_fixed_size: 0
    .kernarg_segment_align: 8
    .kernarg_segment_size: 112
    .language:       OpenCL C
    .language_version:
      - 2
      - 0
    .max_flat_workgroup_size: 256
    .name:           _ZN7rocprim17ROCPRIM_400000_NS6detail17trampoline_kernelINS0_14default_configENS1_27scan_by_key_config_selectorIiiEEZZNS1_16scan_by_key_implILNS1_25lookback_scan_determinismE0ELb1ES3_N6thrust23THRUST_200600_302600_NS6detail15normal_iteratorINS9_10device_ptrIiEEEENSB_INSC_IjEEEESE_iNS9_4plusIvEENS9_8equal_toIvEEiEE10hipError_tPvRmT2_T3_T4_T5_mT6_T7_P12ihipStream_tbENKUlT_T0_E_clISt17integral_constantIbLb1EES11_EEDaSW_SX_EUlSW_E_NS1_11comp_targetILNS1_3genE4ELNS1_11target_archE910ELNS1_3gpuE8ELNS1_3repE0EEENS1_30default_config_static_selectorELNS0_4arch9wavefront6targetE1EEEvT1_
    .private_segment_fixed_size: 0
    .sgpr_count:     6
    .sgpr_spill_count: 0
    .symbol:         _ZN7rocprim17ROCPRIM_400000_NS6detail17trampoline_kernelINS0_14default_configENS1_27scan_by_key_config_selectorIiiEEZZNS1_16scan_by_key_implILNS1_25lookback_scan_determinismE0ELb1ES3_N6thrust23THRUST_200600_302600_NS6detail15normal_iteratorINS9_10device_ptrIiEEEENSB_INSC_IjEEEESE_iNS9_4plusIvEENS9_8equal_toIvEEiEE10hipError_tPvRmT2_T3_T4_T5_mT6_T7_P12ihipStream_tbENKUlT_T0_E_clISt17integral_constantIbLb1EES11_EEDaSW_SX_EUlSW_E_NS1_11comp_targetILNS1_3genE4ELNS1_11target_archE910ELNS1_3gpuE8ELNS1_3repE0EEENS1_30default_config_static_selectorELNS0_4arch9wavefront6targetE1EEEvT1_.kd
    .uniform_work_group_size: 1
    .uses_dynamic_stack: false
    .vgpr_count:     0
    .vgpr_spill_count: 0
    .wavefront_size: 64
  - .agpr_count:     0
    .args:
      - .offset:         0
        .size:           112
        .value_kind:     by_value
    .group_segment_fixed_size: 0
    .kernarg_segment_align: 8
    .kernarg_segment_size: 112
    .language:       OpenCL C
    .language_version:
      - 2
      - 0
    .max_flat_workgroup_size: 256
    .name:           _ZN7rocprim17ROCPRIM_400000_NS6detail17trampoline_kernelINS0_14default_configENS1_27scan_by_key_config_selectorIiiEEZZNS1_16scan_by_key_implILNS1_25lookback_scan_determinismE0ELb1ES3_N6thrust23THRUST_200600_302600_NS6detail15normal_iteratorINS9_10device_ptrIiEEEENSB_INSC_IjEEEESE_iNS9_4plusIvEENS9_8equal_toIvEEiEE10hipError_tPvRmT2_T3_T4_T5_mT6_T7_P12ihipStream_tbENKUlT_T0_E_clISt17integral_constantIbLb1EES11_EEDaSW_SX_EUlSW_E_NS1_11comp_targetILNS1_3genE3ELNS1_11target_archE908ELNS1_3gpuE7ELNS1_3repE0EEENS1_30default_config_static_selectorELNS0_4arch9wavefront6targetE1EEEvT1_
    .private_segment_fixed_size: 0
    .sgpr_count:     6
    .sgpr_spill_count: 0
    .symbol:         _ZN7rocprim17ROCPRIM_400000_NS6detail17trampoline_kernelINS0_14default_configENS1_27scan_by_key_config_selectorIiiEEZZNS1_16scan_by_key_implILNS1_25lookback_scan_determinismE0ELb1ES3_N6thrust23THRUST_200600_302600_NS6detail15normal_iteratorINS9_10device_ptrIiEEEENSB_INSC_IjEEEESE_iNS9_4plusIvEENS9_8equal_toIvEEiEE10hipError_tPvRmT2_T3_T4_T5_mT6_T7_P12ihipStream_tbENKUlT_T0_E_clISt17integral_constantIbLb1EES11_EEDaSW_SX_EUlSW_E_NS1_11comp_targetILNS1_3genE3ELNS1_11target_archE908ELNS1_3gpuE7ELNS1_3repE0EEENS1_30default_config_static_selectorELNS0_4arch9wavefront6targetE1EEEvT1_.kd
    .uniform_work_group_size: 1
    .uses_dynamic_stack: false
    .vgpr_count:     0
    .vgpr_spill_count: 0
    .wavefront_size: 64
  - .agpr_count:     0
    .args:
      - .offset:         0
        .size:           112
        .value_kind:     by_value
    .group_segment_fixed_size: 0
    .kernarg_segment_align: 8
    .kernarg_segment_size: 112
    .language:       OpenCL C
    .language_version:
      - 2
      - 0
    .max_flat_workgroup_size: 256
    .name:           _ZN7rocprim17ROCPRIM_400000_NS6detail17trampoline_kernelINS0_14default_configENS1_27scan_by_key_config_selectorIiiEEZZNS1_16scan_by_key_implILNS1_25lookback_scan_determinismE0ELb1ES3_N6thrust23THRUST_200600_302600_NS6detail15normal_iteratorINS9_10device_ptrIiEEEENSB_INSC_IjEEEESE_iNS9_4plusIvEENS9_8equal_toIvEEiEE10hipError_tPvRmT2_T3_T4_T5_mT6_T7_P12ihipStream_tbENKUlT_T0_E_clISt17integral_constantIbLb1EES11_EEDaSW_SX_EUlSW_E_NS1_11comp_targetILNS1_3genE2ELNS1_11target_archE906ELNS1_3gpuE6ELNS1_3repE0EEENS1_30default_config_static_selectorELNS0_4arch9wavefront6targetE1EEEvT1_
    .private_segment_fixed_size: 0
    .sgpr_count:     6
    .sgpr_spill_count: 0
    .symbol:         _ZN7rocprim17ROCPRIM_400000_NS6detail17trampoline_kernelINS0_14default_configENS1_27scan_by_key_config_selectorIiiEEZZNS1_16scan_by_key_implILNS1_25lookback_scan_determinismE0ELb1ES3_N6thrust23THRUST_200600_302600_NS6detail15normal_iteratorINS9_10device_ptrIiEEEENSB_INSC_IjEEEESE_iNS9_4plusIvEENS9_8equal_toIvEEiEE10hipError_tPvRmT2_T3_T4_T5_mT6_T7_P12ihipStream_tbENKUlT_T0_E_clISt17integral_constantIbLb1EES11_EEDaSW_SX_EUlSW_E_NS1_11comp_targetILNS1_3genE2ELNS1_11target_archE906ELNS1_3gpuE6ELNS1_3repE0EEENS1_30default_config_static_selectorELNS0_4arch9wavefront6targetE1EEEvT1_.kd
    .uniform_work_group_size: 1
    .uses_dynamic_stack: false
    .vgpr_count:     0
    .vgpr_spill_count: 0
    .wavefront_size: 64
  - .agpr_count:     0
    .args:
      - .offset:         0
        .size:           112
        .value_kind:     by_value
    .group_segment_fixed_size: 0
    .kernarg_segment_align: 8
    .kernarg_segment_size: 112
    .language:       OpenCL C
    .language_version:
      - 2
      - 0
    .max_flat_workgroup_size: 256
    .name:           _ZN7rocprim17ROCPRIM_400000_NS6detail17trampoline_kernelINS0_14default_configENS1_27scan_by_key_config_selectorIiiEEZZNS1_16scan_by_key_implILNS1_25lookback_scan_determinismE0ELb1ES3_N6thrust23THRUST_200600_302600_NS6detail15normal_iteratorINS9_10device_ptrIiEEEENSB_INSC_IjEEEESE_iNS9_4plusIvEENS9_8equal_toIvEEiEE10hipError_tPvRmT2_T3_T4_T5_mT6_T7_P12ihipStream_tbENKUlT_T0_E_clISt17integral_constantIbLb1EES11_EEDaSW_SX_EUlSW_E_NS1_11comp_targetILNS1_3genE10ELNS1_11target_archE1200ELNS1_3gpuE4ELNS1_3repE0EEENS1_30default_config_static_selectorELNS0_4arch9wavefront6targetE1EEEvT1_
    .private_segment_fixed_size: 0
    .sgpr_count:     6
    .sgpr_spill_count: 0
    .symbol:         _ZN7rocprim17ROCPRIM_400000_NS6detail17trampoline_kernelINS0_14default_configENS1_27scan_by_key_config_selectorIiiEEZZNS1_16scan_by_key_implILNS1_25lookback_scan_determinismE0ELb1ES3_N6thrust23THRUST_200600_302600_NS6detail15normal_iteratorINS9_10device_ptrIiEEEENSB_INSC_IjEEEESE_iNS9_4plusIvEENS9_8equal_toIvEEiEE10hipError_tPvRmT2_T3_T4_T5_mT6_T7_P12ihipStream_tbENKUlT_T0_E_clISt17integral_constantIbLb1EES11_EEDaSW_SX_EUlSW_E_NS1_11comp_targetILNS1_3genE10ELNS1_11target_archE1200ELNS1_3gpuE4ELNS1_3repE0EEENS1_30default_config_static_selectorELNS0_4arch9wavefront6targetE1EEEvT1_.kd
    .uniform_work_group_size: 1
    .uses_dynamic_stack: false
    .vgpr_count:     0
    .vgpr_spill_count: 0
    .wavefront_size: 64
  - .agpr_count:     0
    .args:
      - .offset:         0
        .size:           112
        .value_kind:     by_value
    .group_segment_fixed_size: 0
    .kernarg_segment_align: 8
    .kernarg_segment_size: 112
    .language:       OpenCL C
    .language_version:
      - 2
      - 0
    .max_flat_workgroup_size: 256
    .name:           _ZN7rocprim17ROCPRIM_400000_NS6detail17trampoline_kernelINS0_14default_configENS1_27scan_by_key_config_selectorIiiEEZZNS1_16scan_by_key_implILNS1_25lookback_scan_determinismE0ELb1ES3_N6thrust23THRUST_200600_302600_NS6detail15normal_iteratorINS9_10device_ptrIiEEEENSB_INSC_IjEEEESE_iNS9_4plusIvEENS9_8equal_toIvEEiEE10hipError_tPvRmT2_T3_T4_T5_mT6_T7_P12ihipStream_tbENKUlT_T0_E_clISt17integral_constantIbLb1EES11_EEDaSW_SX_EUlSW_E_NS1_11comp_targetILNS1_3genE9ELNS1_11target_archE1100ELNS1_3gpuE3ELNS1_3repE0EEENS1_30default_config_static_selectorELNS0_4arch9wavefront6targetE1EEEvT1_
    .private_segment_fixed_size: 0
    .sgpr_count:     6
    .sgpr_spill_count: 0
    .symbol:         _ZN7rocprim17ROCPRIM_400000_NS6detail17trampoline_kernelINS0_14default_configENS1_27scan_by_key_config_selectorIiiEEZZNS1_16scan_by_key_implILNS1_25lookback_scan_determinismE0ELb1ES3_N6thrust23THRUST_200600_302600_NS6detail15normal_iteratorINS9_10device_ptrIiEEEENSB_INSC_IjEEEESE_iNS9_4plusIvEENS9_8equal_toIvEEiEE10hipError_tPvRmT2_T3_T4_T5_mT6_T7_P12ihipStream_tbENKUlT_T0_E_clISt17integral_constantIbLb1EES11_EEDaSW_SX_EUlSW_E_NS1_11comp_targetILNS1_3genE9ELNS1_11target_archE1100ELNS1_3gpuE3ELNS1_3repE0EEENS1_30default_config_static_selectorELNS0_4arch9wavefront6targetE1EEEvT1_.kd
    .uniform_work_group_size: 1
    .uses_dynamic_stack: false
    .vgpr_count:     0
    .vgpr_spill_count: 0
    .wavefront_size: 64
  - .agpr_count:     0
    .args:
      - .offset:         0
        .size:           112
        .value_kind:     by_value
    .group_segment_fixed_size: 0
    .kernarg_segment_align: 8
    .kernarg_segment_size: 112
    .language:       OpenCL C
    .language_version:
      - 2
      - 0
    .max_flat_workgroup_size: 256
    .name:           _ZN7rocprim17ROCPRIM_400000_NS6detail17trampoline_kernelINS0_14default_configENS1_27scan_by_key_config_selectorIiiEEZZNS1_16scan_by_key_implILNS1_25lookback_scan_determinismE0ELb1ES3_N6thrust23THRUST_200600_302600_NS6detail15normal_iteratorINS9_10device_ptrIiEEEENSB_INSC_IjEEEESE_iNS9_4plusIvEENS9_8equal_toIvEEiEE10hipError_tPvRmT2_T3_T4_T5_mT6_T7_P12ihipStream_tbENKUlT_T0_E_clISt17integral_constantIbLb1EES11_EEDaSW_SX_EUlSW_E_NS1_11comp_targetILNS1_3genE8ELNS1_11target_archE1030ELNS1_3gpuE2ELNS1_3repE0EEENS1_30default_config_static_selectorELNS0_4arch9wavefront6targetE1EEEvT1_
    .private_segment_fixed_size: 0
    .sgpr_count:     6
    .sgpr_spill_count: 0
    .symbol:         _ZN7rocprim17ROCPRIM_400000_NS6detail17trampoline_kernelINS0_14default_configENS1_27scan_by_key_config_selectorIiiEEZZNS1_16scan_by_key_implILNS1_25lookback_scan_determinismE0ELb1ES3_N6thrust23THRUST_200600_302600_NS6detail15normal_iteratorINS9_10device_ptrIiEEEENSB_INSC_IjEEEESE_iNS9_4plusIvEENS9_8equal_toIvEEiEE10hipError_tPvRmT2_T3_T4_T5_mT6_T7_P12ihipStream_tbENKUlT_T0_E_clISt17integral_constantIbLb1EES11_EEDaSW_SX_EUlSW_E_NS1_11comp_targetILNS1_3genE8ELNS1_11target_archE1030ELNS1_3gpuE2ELNS1_3repE0EEENS1_30default_config_static_selectorELNS0_4arch9wavefront6targetE1EEEvT1_.kd
    .uniform_work_group_size: 1
    .uses_dynamic_stack: false
    .vgpr_count:     0
    .vgpr_spill_count: 0
    .wavefront_size: 64
  - .agpr_count:     0
    .args:
      - .offset:         0
        .size:           112
        .value_kind:     by_value
    .group_segment_fixed_size: 0
    .kernarg_segment_align: 8
    .kernarg_segment_size: 112
    .language:       OpenCL C
    .language_version:
      - 2
      - 0
    .max_flat_workgroup_size: 256
    .name:           _ZN7rocprim17ROCPRIM_400000_NS6detail17trampoline_kernelINS0_14default_configENS1_27scan_by_key_config_selectorIiiEEZZNS1_16scan_by_key_implILNS1_25lookback_scan_determinismE0ELb1ES3_N6thrust23THRUST_200600_302600_NS6detail15normal_iteratorINS9_10device_ptrIiEEEENSB_INSC_IjEEEESE_iNS9_4plusIvEENS9_8equal_toIvEEiEE10hipError_tPvRmT2_T3_T4_T5_mT6_T7_P12ihipStream_tbENKUlT_T0_E_clISt17integral_constantIbLb1EES10_IbLb0EEEEDaSW_SX_EUlSW_E_NS1_11comp_targetILNS1_3genE0ELNS1_11target_archE4294967295ELNS1_3gpuE0ELNS1_3repE0EEENS1_30default_config_static_selectorELNS0_4arch9wavefront6targetE1EEEvT1_
    .private_segment_fixed_size: 0
    .sgpr_count:     6
    .sgpr_spill_count: 0
    .symbol:         _ZN7rocprim17ROCPRIM_400000_NS6detail17trampoline_kernelINS0_14default_configENS1_27scan_by_key_config_selectorIiiEEZZNS1_16scan_by_key_implILNS1_25lookback_scan_determinismE0ELb1ES3_N6thrust23THRUST_200600_302600_NS6detail15normal_iteratorINS9_10device_ptrIiEEEENSB_INSC_IjEEEESE_iNS9_4plusIvEENS9_8equal_toIvEEiEE10hipError_tPvRmT2_T3_T4_T5_mT6_T7_P12ihipStream_tbENKUlT_T0_E_clISt17integral_constantIbLb1EES10_IbLb0EEEEDaSW_SX_EUlSW_E_NS1_11comp_targetILNS1_3genE0ELNS1_11target_archE4294967295ELNS1_3gpuE0ELNS1_3repE0EEENS1_30default_config_static_selectorELNS0_4arch9wavefront6targetE1EEEvT1_.kd
    .uniform_work_group_size: 1
    .uses_dynamic_stack: false
    .vgpr_count:     0
    .vgpr_spill_count: 0
    .wavefront_size: 64
  - .agpr_count:     0
    .args:
      - .offset:         0
        .size:           112
        .value_kind:     by_value
    .group_segment_fixed_size: 0
    .kernarg_segment_align: 8
    .kernarg_segment_size: 112
    .language:       OpenCL C
    .language_version:
      - 2
      - 0
    .max_flat_workgroup_size: 256
    .name:           _ZN7rocprim17ROCPRIM_400000_NS6detail17trampoline_kernelINS0_14default_configENS1_27scan_by_key_config_selectorIiiEEZZNS1_16scan_by_key_implILNS1_25lookback_scan_determinismE0ELb1ES3_N6thrust23THRUST_200600_302600_NS6detail15normal_iteratorINS9_10device_ptrIiEEEENSB_INSC_IjEEEESE_iNS9_4plusIvEENS9_8equal_toIvEEiEE10hipError_tPvRmT2_T3_T4_T5_mT6_T7_P12ihipStream_tbENKUlT_T0_E_clISt17integral_constantIbLb1EES10_IbLb0EEEEDaSW_SX_EUlSW_E_NS1_11comp_targetILNS1_3genE10ELNS1_11target_archE1201ELNS1_3gpuE5ELNS1_3repE0EEENS1_30default_config_static_selectorELNS0_4arch9wavefront6targetE1EEEvT1_
    .private_segment_fixed_size: 0
    .sgpr_count:     6
    .sgpr_spill_count: 0
    .symbol:         _ZN7rocprim17ROCPRIM_400000_NS6detail17trampoline_kernelINS0_14default_configENS1_27scan_by_key_config_selectorIiiEEZZNS1_16scan_by_key_implILNS1_25lookback_scan_determinismE0ELb1ES3_N6thrust23THRUST_200600_302600_NS6detail15normal_iteratorINS9_10device_ptrIiEEEENSB_INSC_IjEEEESE_iNS9_4plusIvEENS9_8equal_toIvEEiEE10hipError_tPvRmT2_T3_T4_T5_mT6_T7_P12ihipStream_tbENKUlT_T0_E_clISt17integral_constantIbLb1EES10_IbLb0EEEEDaSW_SX_EUlSW_E_NS1_11comp_targetILNS1_3genE10ELNS1_11target_archE1201ELNS1_3gpuE5ELNS1_3repE0EEENS1_30default_config_static_selectorELNS0_4arch9wavefront6targetE1EEEvT1_.kd
    .uniform_work_group_size: 1
    .uses_dynamic_stack: false
    .vgpr_count:     0
    .vgpr_spill_count: 0
    .wavefront_size: 64
  - .agpr_count:     0
    .args:
      - .offset:         0
        .size:           112
        .value_kind:     by_value
    .group_segment_fixed_size: 25600
    .kernarg_segment_align: 8
    .kernarg_segment_size: 112
    .language:       OpenCL C
    .language_version:
      - 2
      - 0
    .max_flat_workgroup_size: 256
    .name:           _ZN7rocprim17ROCPRIM_400000_NS6detail17trampoline_kernelINS0_14default_configENS1_27scan_by_key_config_selectorIiiEEZZNS1_16scan_by_key_implILNS1_25lookback_scan_determinismE0ELb1ES3_N6thrust23THRUST_200600_302600_NS6detail15normal_iteratorINS9_10device_ptrIiEEEENSB_INSC_IjEEEESE_iNS9_4plusIvEENS9_8equal_toIvEEiEE10hipError_tPvRmT2_T3_T4_T5_mT6_T7_P12ihipStream_tbENKUlT_T0_E_clISt17integral_constantIbLb1EES10_IbLb0EEEEDaSW_SX_EUlSW_E_NS1_11comp_targetILNS1_3genE5ELNS1_11target_archE942ELNS1_3gpuE9ELNS1_3repE0EEENS1_30default_config_static_selectorELNS0_4arch9wavefront6targetE1EEEvT1_
    .private_segment_fixed_size: 0
    .sgpr_count:     86
    .sgpr_spill_count: 0
    .symbol:         _ZN7rocprim17ROCPRIM_400000_NS6detail17trampoline_kernelINS0_14default_configENS1_27scan_by_key_config_selectorIiiEEZZNS1_16scan_by_key_implILNS1_25lookback_scan_determinismE0ELb1ES3_N6thrust23THRUST_200600_302600_NS6detail15normal_iteratorINS9_10device_ptrIiEEEENSB_INSC_IjEEEESE_iNS9_4plusIvEENS9_8equal_toIvEEiEE10hipError_tPvRmT2_T3_T4_T5_mT6_T7_P12ihipStream_tbENKUlT_T0_E_clISt17integral_constantIbLb1EES10_IbLb0EEEEDaSW_SX_EUlSW_E_NS1_11comp_targetILNS1_3genE5ELNS1_11target_archE942ELNS1_3gpuE9ELNS1_3repE0EEENS1_30default_config_static_selectorELNS0_4arch9wavefront6targetE1EEEvT1_.kd
    .uniform_work_group_size: 1
    .uses_dynamic_stack: false
    .vgpr_count:     81
    .vgpr_spill_count: 0
    .wavefront_size: 64
  - .agpr_count:     0
    .args:
      - .offset:         0
        .size:           112
        .value_kind:     by_value
    .group_segment_fixed_size: 0
    .kernarg_segment_align: 8
    .kernarg_segment_size: 112
    .language:       OpenCL C
    .language_version:
      - 2
      - 0
    .max_flat_workgroup_size: 256
    .name:           _ZN7rocprim17ROCPRIM_400000_NS6detail17trampoline_kernelINS0_14default_configENS1_27scan_by_key_config_selectorIiiEEZZNS1_16scan_by_key_implILNS1_25lookback_scan_determinismE0ELb1ES3_N6thrust23THRUST_200600_302600_NS6detail15normal_iteratorINS9_10device_ptrIiEEEENSB_INSC_IjEEEESE_iNS9_4plusIvEENS9_8equal_toIvEEiEE10hipError_tPvRmT2_T3_T4_T5_mT6_T7_P12ihipStream_tbENKUlT_T0_E_clISt17integral_constantIbLb1EES10_IbLb0EEEEDaSW_SX_EUlSW_E_NS1_11comp_targetILNS1_3genE4ELNS1_11target_archE910ELNS1_3gpuE8ELNS1_3repE0EEENS1_30default_config_static_selectorELNS0_4arch9wavefront6targetE1EEEvT1_
    .private_segment_fixed_size: 0
    .sgpr_count:     6
    .sgpr_spill_count: 0
    .symbol:         _ZN7rocprim17ROCPRIM_400000_NS6detail17trampoline_kernelINS0_14default_configENS1_27scan_by_key_config_selectorIiiEEZZNS1_16scan_by_key_implILNS1_25lookback_scan_determinismE0ELb1ES3_N6thrust23THRUST_200600_302600_NS6detail15normal_iteratorINS9_10device_ptrIiEEEENSB_INSC_IjEEEESE_iNS9_4plusIvEENS9_8equal_toIvEEiEE10hipError_tPvRmT2_T3_T4_T5_mT6_T7_P12ihipStream_tbENKUlT_T0_E_clISt17integral_constantIbLb1EES10_IbLb0EEEEDaSW_SX_EUlSW_E_NS1_11comp_targetILNS1_3genE4ELNS1_11target_archE910ELNS1_3gpuE8ELNS1_3repE0EEENS1_30default_config_static_selectorELNS0_4arch9wavefront6targetE1EEEvT1_.kd
    .uniform_work_group_size: 1
    .uses_dynamic_stack: false
    .vgpr_count:     0
    .vgpr_spill_count: 0
    .wavefront_size: 64
  - .agpr_count:     0
    .args:
      - .offset:         0
        .size:           112
        .value_kind:     by_value
    .group_segment_fixed_size: 0
    .kernarg_segment_align: 8
    .kernarg_segment_size: 112
    .language:       OpenCL C
    .language_version:
      - 2
      - 0
    .max_flat_workgroup_size: 256
    .name:           _ZN7rocprim17ROCPRIM_400000_NS6detail17trampoline_kernelINS0_14default_configENS1_27scan_by_key_config_selectorIiiEEZZNS1_16scan_by_key_implILNS1_25lookback_scan_determinismE0ELb1ES3_N6thrust23THRUST_200600_302600_NS6detail15normal_iteratorINS9_10device_ptrIiEEEENSB_INSC_IjEEEESE_iNS9_4plusIvEENS9_8equal_toIvEEiEE10hipError_tPvRmT2_T3_T4_T5_mT6_T7_P12ihipStream_tbENKUlT_T0_E_clISt17integral_constantIbLb1EES10_IbLb0EEEEDaSW_SX_EUlSW_E_NS1_11comp_targetILNS1_3genE3ELNS1_11target_archE908ELNS1_3gpuE7ELNS1_3repE0EEENS1_30default_config_static_selectorELNS0_4arch9wavefront6targetE1EEEvT1_
    .private_segment_fixed_size: 0
    .sgpr_count:     6
    .sgpr_spill_count: 0
    .symbol:         _ZN7rocprim17ROCPRIM_400000_NS6detail17trampoline_kernelINS0_14default_configENS1_27scan_by_key_config_selectorIiiEEZZNS1_16scan_by_key_implILNS1_25lookback_scan_determinismE0ELb1ES3_N6thrust23THRUST_200600_302600_NS6detail15normal_iteratorINS9_10device_ptrIiEEEENSB_INSC_IjEEEESE_iNS9_4plusIvEENS9_8equal_toIvEEiEE10hipError_tPvRmT2_T3_T4_T5_mT6_T7_P12ihipStream_tbENKUlT_T0_E_clISt17integral_constantIbLb1EES10_IbLb0EEEEDaSW_SX_EUlSW_E_NS1_11comp_targetILNS1_3genE3ELNS1_11target_archE908ELNS1_3gpuE7ELNS1_3repE0EEENS1_30default_config_static_selectorELNS0_4arch9wavefront6targetE1EEEvT1_.kd
    .uniform_work_group_size: 1
    .uses_dynamic_stack: false
    .vgpr_count:     0
    .vgpr_spill_count: 0
    .wavefront_size: 64
  - .agpr_count:     0
    .args:
      - .offset:         0
        .size:           112
        .value_kind:     by_value
    .group_segment_fixed_size: 0
    .kernarg_segment_align: 8
    .kernarg_segment_size: 112
    .language:       OpenCL C
    .language_version:
      - 2
      - 0
    .max_flat_workgroup_size: 256
    .name:           _ZN7rocprim17ROCPRIM_400000_NS6detail17trampoline_kernelINS0_14default_configENS1_27scan_by_key_config_selectorIiiEEZZNS1_16scan_by_key_implILNS1_25lookback_scan_determinismE0ELb1ES3_N6thrust23THRUST_200600_302600_NS6detail15normal_iteratorINS9_10device_ptrIiEEEENSB_INSC_IjEEEESE_iNS9_4plusIvEENS9_8equal_toIvEEiEE10hipError_tPvRmT2_T3_T4_T5_mT6_T7_P12ihipStream_tbENKUlT_T0_E_clISt17integral_constantIbLb1EES10_IbLb0EEEEDaSW_SX_EUlSW_E_NS1_11comp_targetILNS1_3genE2ELNS1_11target_archE906ELNS1_3gpuE6ELNS1_3repE0EEENS1_30default_config_static_selectorELNS0_4arch9wavefront6targetE1EEEvT1_
    .private_segment_fixed_size: 0
    .sgpr_count:     6
    .sgpr_spill_count: 0
    .symbol:         _ZN7rocprim17ROCPRIM_400000_NS6detail17trampoline_kernelINS0_14default_configENS1_27scan_by_key_config_selectorIiiEEZZNS1_16scan_by_key_implILNS1_25lookback_scan_determinismE0ELb1ES3_N6thrust23THRUST_200600_302600_NS6detail15normal_iteratorINS9_10device_ptrIiEEEENSB_INSC_IjEEEESE_iNS9_4plusIvEENS9_8equal_toIvEEiEE10hipError_tPvRmT2_T3_T4_T5_mT6_T7_P12ihipStream_tbENKUlT_T0_E_clISt17integral_constantIbLb1EES10_IbLb0EEEEDaSW_SX_EUlSW_E_NS1_11comp_targetILNS1_3genE2ELNS1_11target_archE906ELNS1_3gpuE6ELNS1_3repE0EEENS1_30default_config_static_selectorELNS0_4arch9wavefront6targetE1EEEvT1_.kd
    .uniform_work_group_size: 1
    .uses_dynamic_stack: false
    .vgpr_count:     0
    .vgpr_spill_count: 0
    .wavefront_size: 64
  - .agpr_count:     0
    .args:
      - .offset:         0
        .size:           112
        .value_kind:     by_value
    .group_segment_fixed_size: 0
    .kernarg_segment_align: 8
    .kernarg_segment_size: 112
    .language:       OpenCL C
    .language_version:
      - 2
      - 0
    .max_flat_workgroup_size: 256
    .name:           _ZN7rocprim17ROCPRIM_400000_NS6detail17trampoline_kernelINS0_14default_configENS1_27scan_by_key_config_selectorIiiEEZZNS1_16scan_by_key_implILNS1_25lookback_scan_determinismE0ELb1ES3_N6thrust23THRUST_200600_302600_NS6detail15normal_iteratorINS9_10device_ptrIiEEEENSB_INSC_IjEEEESE_iNS9_4plusIvEENS9_8equal_toIvEEiEE10hipError_tPvRmT2_T3_T4_T5_mT6_T7_P12ihipStream_tbENKUlT_T0_E_clISt17integral_constantIbLb1EES10_IbLb0EEEEDaSW_SX_EUlSW_E_NS1_11comp_targetILNS1_3genE10ELNS1_11target_archE1200ELNS1_3gpuE4ELNS1_3repE0EEENS1_30default_config_static_selectorELNS0_4arch9wavefront6targetE1EEEvT1_
    .private_segment_fixed_size: 0
    .sgpr_count:     6
    .sgpr_spill_count: 0
    .symbol:         _ZN7rocprim17ROCPRIM_400000_NS6detail17trampoline_kernelINS0_14default_configENS1_27scan_by_key_config_selectorIiiEEZZNS1_16scan_by_key_implILNS1_25lookback_scan_determinismE0ELb1ES3_N6thrust23THRUST_200600_302600_NS6detail15normal_iteratorINS9_10device_ptrIiEEEENSB_INSC_IjEEEESE_iNS9_4plusIvEENS9_8equal_toIvEEiEE10hipError_tPvRmT2_T3_T4_T5_mT6_T7_P12ihipStream_tbENKUlT_T0_E_clISt17integral_constantIbLb1EES10_IbLb0EEEEDaSW_SX_EUlSW_E_NS1_11comp_targetILNS1_3genE10ELNS1_11target_archE1200ELNS1_3gpuE4ELNS1_3repE0EEENS1_30default_config_static_selectorELNS0_4arch9wavefront6targetE1EEEvT1_.kd
    .uniform_work_group_size: 1
    .uses_dynamic_stack: false
    .vgpr_count:     0
    .vgpr_spill_count: 0
    .wavefront_size: 64
  - .agpr_count:     0
    .args:
      - .offset:         0
        .size:           112
        .value_kind:     by_value
    .group_segment_fixed_size: 0
    .kernarg_segment_align: 8
    .kernarg_segment_size: 112
    .language:       OpenCL C
    .language_version:
      - 2
      - 0
    .max_flat_workgroup_size: 256
    .name:           _ZN7rocprim17ROCPRIM_400000_NS6detail17trampoline_kernelINS0_14default_configENS1_27scan_by_key_config_selectorIiiEEZZNS1_16scan_by_key_implILNS1_25lookback_scan_determinismE0ELb1ES3_N6thrust23THRUST_200600_302600_NS6detail15normal_iteratorINS9_10device_ptrIiEEEENSB_INSC_IjEEEESE_iNS9_4plusIvEENS9_8equal_toIvEEiEE10hipError_tPvRmT2_T3_T4_T5_mT6_T7_P12ihipStream_tbENKUlT_T0_E_clISt17integral_constantIbLb1EES10_IbLb0EEEEDaSW_SX_EUlSW_E_NS1_11comp_targetILNS1_3genE9ELNS1_11target_archE1100ELNS1_3gpuE3ELNS1_3repE0EEENS1_30default_config_static_selectorELNS0_4arch9wavefront6targetE1EEEvT1_
    .private_segment_fixed_size: 0
    .sgpr_count:     6
    .sgpr_spill_count: 0
    .symbol:         _ZN7rocprim17ROCPRIM_400000_NS6detail17trampoline_kernelINS0_14default_configENS1_27scan_by_key_config_selectorIiiEEZZNS1_16scan_by_key_implILNS1_25lookback_scan_determinismE0ELb1ES3_N6thrust23THRUST_200600_302600_NS6detail15normal_iteratorINS9_10device_ptrIiEEEENSB_INSC_IjEEEESE_iNS9_4plusIvEENS9_8equal_toIvEEiEE10hipError_tPvRmT2_T3_T4_T5_mT6_T7_P12ihipStream_tbENKUlT_T0_E_clISt17integral_constantIbLb1EES10_IbLb0EEEEDaSW_SX_EUlSW_E_NS1_11comp_targetILNS1_3genE9ELNS1_11target_archE1100ELNS1_3gpuE3ELNS1_3repE0EEENS1_30default_config_static_selectorELNS0_4arch9wavefront6targetE1EEEvT1_.kd
    .uniform_work_group_size: 1
    .uses_dynamic_stack: false
    .vgpr_count:     0
    .vgpr_spill_count: 0
    .wavefront_size: 64
  - .agpr_count:     0
    .args:
      - .offset:         0
        .size:           112
        .value_kind:     by_value
    .group_segment_fixed_size: 0
    .kernarg_segment_align: 8
    .kernarg_segment_size: 112
    .language:       OpenCL C
    .language_version:
      - 2
      - 0
    .max_flat_workgroup_size: 256
    .name:           _ZN7rocprim17ROCPRIM_400000_NS6detail17trampoline_kernelINS0_14default_configENS1_27scan_by_key_config_selectorIiiEEZZNS1_16scan_by_key_implILNS1_25lookback_scan_determinismE0ELb1ES3_N6thrust23THRUST_200600_302600_NS6detail15normal_iteratorINS9_10device_ptrIiEEEENSB_INSC_IjEEEESE_iNS9_4plusIvEENS9_8equal_toIvEEiEE10hipError_tPvRmT2_T3_T4_T5_mT6_T7_P12ihipStream_tbENKUlT_T0_E_clISt17integral_constantIbLb1EES10_IbLb0EEEEDaSW_SX_EUlSW_E_NS1_11comp_targetILNS1_3genE8ELNS1_11target_archE1030ELNS1_3gpuE2ELNS1_3repE0EEENS1_30default_config_static_selectorELNS0_4arch9wavefront6targetE1EEEvT1_
    .private_segment_fixed_size: 0
    .sgpr_count:     6
    .sgpr_spill_count: 0
    .symbol:         _ZN7rocprim17ROCPRIM_400000_NS6detail17trampoline_kernelINS0_14default_configENS1_27scan_by_key_config_selectorIiiEEZZNS1_16scan_by_key_implILNS1_25lookback_scan_determinismE0ELb1ES3_N6thrust23THRUST_200600_302600_NS6detail15normal_iteratorINS9_10device_ptrIiEEEENSB_INSC_IjEEEESE_iNS9_4plusIvEENS9_8equal_toIvEEiEE10hipError_tPvRmT2_T3_T4_T5_mT6_T7_P12ihipStream_tbENKUlT_T0_E_clISt17integral_constantIbLb1EES10_IbLb0EEEEDaSW_SX_EUlSW_E_NS1_11comp_targetILNS1_3genE8ELNS1_11target_archE1030ELNS1_3gpuE2ELNS1_3repE0EEENS1_30default_config_static_selectorELNS0_4arch9wavefront6targetE1EEEvT1_.kd
    .uniform_work_group_size: 1
    .uses_dynamic_stack: false
    .vgpr_count:     0
    .vgpr_spill_count: 0
    .wavefront_size: 64
  - .agpr_count:     0
    .args:
      - .offset:         0
        .size:           112
        .value_kind:     by_value
    .group_segment_fixed_size: 0
    .kernarg_segment_align: 8
    .kernarg_segment_size: 112
    .language:       OpenCL C
    .language_version:
      - 2
      - 0
    .max_flat_workgroup_size: 256
    .name:           _ZN7rocprim17ROCPRIM_400000_NS6detail17trampoline_kernelINS0_14default_configENS1_27scan_by_key_config_selectorIiiEEZZNS1_16scan_by_key_implILNS1_25lookback_scan_determinismE0ELb1ES3_N6thrust23THRUST_200600_302600_NS6detail15normal_iteratorINS9_10device_ptrIiEEEENSB_INSC_IjEEEESE_iNS9_4plusIvEENS9_8equal_toIvEEiEE10hipError_tPvRmT2_T3_T4_T5_mT6_T7_P12ihipStream_tbENKUlT_T0_E_clISt17integral_constantIbLb0EES10_IbLb1EEEEDaSW_SX_EUlSW_E_NS1_11comp_targetILNS1_3genE0ELNS1_11target_archE4294967295ELNS1_3gpuE0ELNS1_3repE0EEENS1_30default_config_static_selectorELNS0_4arch9wavefront6targetE1EEEvT1_
    .private_segment_fixed_size: 0
    .sgpr_count:     6
    .sgpr_spill_count: 0
    .symbol:         _ZN7rocprim17ROCPRIM_400000_NS6detail17trampoline_kernelINS0_14default_configENS1_27scan_by_key_config_selectorIiiEEZZNS1_16scan_by_key_implILNS1_25lookback_scan_determinismE0ELb1ES3_N6thrust23THRUST_200600_302600_NS6detail15normal_iteratorINS9_10device_ptrIiEEEENSB_INSC_IjEEEESE_iNS9_4plusIvEENS9_8equal_toIvEEiEE10hipError_tPvRmT2_T3_T4_T5_mT6_T7_P12ihipStream_tbENKUlT_T0_E_clISt17integral_constantIbLb0EES10_IbLb1EEEEDaSW_SX_EUlSW_E_NS1_11comp_targetILNS1_3genE0ELNS1_11target_archE4294967295ELNS1_3gpuE0ELNS1_3repE0EEENS1_30default_config_static_selectorELNS0_4arch9wavefront6targetE1EEEvT1_.kd
    .uniform_work_group_size: 1
    .uses_dynamic_stack: false
    .vgpr_count:     0
    .vgpr_spill_count: 0
    .wavefront_size: 64
  - .agpr_count:     0
    .args:
      - .offset:         0
        .size:           112
        .value_kind:     by_value
    .group_segment_fixed_size: 0
    .kernarg_segment_align: 8
    .kernarg_segment_size: 112
    .language:       OpenCL C
    .language_version:
      - 2
      - 0
    .max_flat_workgroup_size: 256
    .name:           _ZN7rocprim17ROCPRIM_400000_NS6detail17trampoline_kernelINS0_14default_configENS1_27scan_by_key_config_selectorIiiEEZZNS1_16scan_by_key_implILNS1_25lookback_scan_determinismE0ELb1ES3_N6thrust23THRUST_200600_302600_NS6detail15normal_iteratorINS9_10device_ptrIiEEEENSB_INSC_IjEEEESE_iNS9_4plusIvEENS9_8equal_toIvEEiEE10hipError_tPvRmT2_T3_T4_T5_mT6_T7_P12ihipStream_tbENKUlT_T0_E_clISt17integral_constantIbLb0EES10_IbLb1EEEEDaSW_SX_EUlSW_E_NS1_11comp_targetILNS1_3genE10ELNS1_11target_archE1201ELNS1_3gpuE5ELNS1_3repE0EEENS1_30default_config_static_selectorELNS0_4arch9wavefront6targetE1EEEvT1_
    .private_segment_fixed_size: 0
    .sgpr_count:     6
    .sgpr_spill_count: 0
    .symbol:         _ZN7rocprim17ROCPRIM_400000_NS6detail17trampoline_kernelINS0_14default_configENS1_27scan_by_key_config_selectorIiiEEZZNS1_16scan_by_key_implILNS1_25lookback_scan_determinismE0ELb1ES3_N6thrust23THRUST_200600_302600_NS6detail15normal_iteratorINS9_10device_ptrIiEEEENSB_INSC_IjEEEESE_iNS9_4plusIvEENS9_8equal_toIvEEiEE10hipError_tPvRmT2_T3_T4_T5_mT6_T7_P12ihipStream_tbENKUlT_T0_E_clISt17integral_constantIbLb0EES10_IbLb1EEEEDaSW_SX_EUlSW_E_NS1_11comp_targetILNS1_3genE10ELNS1_11target_archE1201ELNS1_3gpuE5ELNS1_3repE0EEENS1_30default_config_static_selectorELNS0_4arch9wavefront6targetE1EEEvT1_.kd
    .uniform_work_group_size: 1
    .uses_dynamic_stack: false
    .vgpr_count:     0
    .vgpr_spill_count: 0
    .wavefront_size: 64
  - .agpr_count:     0
    .args:
      - .offset:         0
        .size:           112
        .value_kind:     by_value
    .group_segment_fixed_size: 25600
    .kernarg_segment_align: 8
    .kernarg_segment_size: 112
    .language:       OpenCL C
    .language_version:
      - 2
      - 0
    .max_flat_workgroup_size: 256
    .name:           _ZN7rocprim17ROCPRIM_400000_NS6detail17trampoline_kernelINS0_14default_configENS1_27scan_by_key_config_selectorIiiEEZZNS1_16scan_by_key_implILNS1_25lookback_scan_determinismE0ELb1ES3_N6thrust23THRUST_200600_302600_NS6detail15normal_iteratorINS9_10device_ptrIiEEEENSB_INSC_IjEEEESE_iNS9_4plusIvEENS9_8equal_toIvEEiEE10hipError_tPvRmT2_T3_T4_T5_mT6_T7_P12ihipStream_tbENKUlT_T0_E_clISt17integral_constantIbLb0EES10_IbLb1EEEEDaSW_SX_EUlSW_E_NS1_11comp_targetILNS1_3genE5ELNS1_11target_archE942ELNS1_3gpuE9ELNS1_3repE0EEENS1_30default_config_static_selectorELNS0_4arch9wavefront6targetE1EEEvT1_
    .private_segment_fixed_size: 0
    .sgpr_count:     86
    .sgpr_spill_count: 0
    .symbol:         _ZN7rocprim17ROCPRIM_400000_NS6detail17trampoline_kernelINS0_14default_configENS1_27scan_by_key_config_selectorIiiEEZZNS1_16scan_by_key_implILNS1_25lookback_scan_determinismE0ELb1ES3_N6thrust23THRUST_200600_302600_NS6detail15normal_iteratorINS9_10device_ptrIiEEEENSB_INSC_IjEEEESE_iNS9_4plusIvEENS9_8equal_toIvEEiEE10hipError_tPvRmT2_T3_T4_T5_mT6_T7_P12ihipStream_tbENKUlT_T0_E_clISt17integral_constantIbLb0EES10_IbLb1EEEEDaSW_SX_EUlSW_E_NS1_11comp_targetILNS1_3genE5ELNS1_11target_archE942ELNS1_3gpuE9ELNS1_3repE0EEENS1_30default_config_static_selectorELNS0_4arch9wavefront6targetE1EEEvT1_.kd
    .uniform_work_group_size: 1
    .uses_dynamic_stack: false
    .vgpr_count:     83
    .vgpr_spill_count: 0
    .wavefront_size: 64
  - .agpr_count:     0
    .args:
      - .offset:         0
        .size:           112
        .value_kind:     by_value
    .group_segment_fixed_size: 0
    .kernarg_segment_align: 8
    .kernarg_segment_size: 112
    .language:       OpenCL C
    .language_version:
      - 2
      - 0
    .max_flat_workgroup_size: 256
    .name:           _ZN7rocprim17ROCPRIM_400000_NS6detail17trampoline_kernelINS0_14default_configENS1_27scan_by_key_config_selectorIiiEEZZNS1_16scan_by_key_implILNS1_25lookback_scan_determinismE0ELb1ES3_N6thrust23THRUST_200600_302600_NS6detail15normal_iteratorINS9_10device_ptrIiEEEENSB_INSC_IjEEEESE_iNS9_4plusIvEENS9_8equal_toIvEEiEE10hipError_tPvRmT2_T3_T4_T5_mT6_T7_P12ihipStream_tbENKUlT_T0_E_clISt17integral_constantIbLb0EES10_IbLb1EEEEDaSW_SX_EUlSW_E_NS1_11comp_targetILNS1_3genE4ELNS1_11target_archE910ELNS1_3gpuE8ELNS1_3repE0EEENS1_30default_config_static_selectorELNS0_4arch9wavefront6targetE1EEEvT1_
    .private_segment_fixed_size: 0
    .sgpr_count:     6
    .sgpr_spill_count: 0
    .symbol:         _ZN7rocprim17ROCPRIM_400000_NS6detail17trampoline_kernelINS0_14default_configENS1_27scan_by_key_config_selectorIiiEEZZNS1_16scan_by_key_implILNS1_25lookback_scan_determinismE0ELb1ES3_N6thrust23THRUST_200600_302600_NS6detail15normal_iteratorINS9_10device_ptrIiEEEENSB_INSC_IjEEEESE_iNS9_4plusIvEENS9_8equal_toIvEEiEE10hipError_tPvRmT2_T3_T4_T5_mT6_T7_P12ihipStream_tbENKUlT_T0_E_clISt17integral_constantIbLb0EES10_IbLb1EEEEDaSW_SX_EUlSW_E_NS1_11comp_targetILNS1_3genE4ELNS1_11target_archE910ELNS1_3gpuE8ELNS1_3repE0EEENS1_30default_config_static_selectorELNS0_4arch9wavefront6targetE1EEEvT1_.kd
    .uniform_work_group_size: 1
    .uses_dynamic_stack: false
    .vgpr_count:     0
    .vgpr_spill_count: 0
    .wavefront_size: 64
  - .agpr_count:     0
    .args:
      - .offset:         0
        .size:           112
        .value_kind:     by_value
    .group_segment_fixed_size: 0
    .kernarg_segment_align: 8
    .kernarg_segment_size: 112
    .language:       OpenCL C
    .language_version:
      - 2
      - 0
    .max_flat_workgroup_size: 256
    .name:           _ZN7rocprim17ROCPRIM_400000_NS6detail17trampoline_kernelINS0_14default_configENS1_27scan_by_key_config_selectorIiiEEZZNS1_16scan_by_key_implILNS1_25lookback_scan_determinismE0ELb1ES3_N6thrust23THRUST_200600_302600_NS6detail15normal_iteratorINS9_10device_ptrIiEEEENSB_INSC_IjEEEESE_iNS9_4plusIvEENS9_8equal_toIvEEiEE10hipError_tPvRmT2_T3_T4_T5_mT6_T7_P12ihipStream_tbENKUlT_T0_E_clISt17integral_constantIbLb0EES10_IbLb1EEEEDaSW_SX_EUlSW_E_NS1_11comp_targetILNS1_3genE3ELNS1_11target_archE908ELNS1_3gpuE7ELNS1_3repE0EEENS1_30default_config_static_selectorELNS0_4arch9wavefront6targetE1EEEvT1_
    .private_segment_fixed_size: 0
    .sgpr_count:     6
    .sgpr_spill_count: 0
    .symbol:         _ZN7rocprim17ROCPRIM_400000_NS6detail17trampoline_kernelINS0_14default_configENS1_27scan_by_key_config_selectorIiiEEZZNS1_16scan_by_key_implILNS1_25lookback_scan_determinismE0ELb1ES3_N6thrust23THRUST_200600_302600_NS6detail15normal_iteratorINS9_10device_ptrIiEEEENSB_INSC_IjEEEESE_iNS9_4plusIvEENS9_8equal_toIvEEiEE10hipError_tPvRmT2_T3_T4_T5_mT6_T7_P12ihipStream_tbENKUlT_T0_E_clISt17integral_constantIbLb0EES10_IbLb1EEEEDaSW_SX_EUlSW_E_NS1_11comp_targetILNS1_3genE3ELNS1_11target_archE908ELNS1_3gpuE7ELNS1_3repE0EEENS1_30default_config_static_selectorELNS0_4arch9wavefront6targetE1EEEvT1_.kd
    .uniform_work_group_size: 1
    .uses_dynamic_stack: false
    .vgpr_count:     0
    .vgpr_spill_count: 0
    .wavefront_size: 64
  - .agpr_count:     0
    .args:
      - .offset:         0
        .size:           112
        .value_kind:     by_value
    .group_segment_fixed_size: 0
    .kernarg_segment_align: 8
    .kernarg_segment_size: 112
    .language:       OpenCL C
    .language_version:
      - 2
      - 0
    .max_flat_workgroup_size: 256
    .name:           _ZN7rocprim17ROCPRIM_400000_NS6detail17trampoline_kernelINS0_14default_configENS1_27scan_by_key_config_selectorIiiEEZZNS1_16scan_by_key_implILNS1_25lookback_scan_determinismE0ELb1ES3_N6thrust23THRUST_200600_302600_NS6detail15normal_iteratorINS9_10device_ptrIiEEEENSB_INSC_IjEEEESE_iNS9_4plusIvEENS9_8equal_toIvEEiEE10hipError_tPvRmT2_T3_T4_T5_mT6_T7_P12ihipStream_tbENKUlT_T0_E_clISt17integral_constantIbLb0EES10_IbLb1EEEEDaSW_SX_EUlSW_E_NS1_11comp_targetILNS1_3genE2ELNS1_11target_archE906ELNS1_3gpuE6ELNS1_3repE0EEENS1_30default_config_static_selectorELNS0_4arch9wavefront6targetE1EEEvT1_
    .private_segment_fixed_size: 0
    .sgpr_count:     6
    .sgpr_spill_count: 0
    .symbol:         _ZN7rocprim17ROCPRIM_400000_NS6detail17trampoline_kernelINS0_14default_configENS1_27scan_by_key_config_selectorIiiEEZZNS1_16scan_by_key_implILNS1_25lookback_scan_determinismE0ELb1ES3_N6thrust23THRUST_200600_302600_NS6detail15normal_iteratorINS9_10device_ptrIiEEEENSB_INSC_IjEEEESE_iNS9_4plusIvEENS9_8equal_toIvEEiEE10hipError_tPvRmT2_T3_T4_T5_mT6_T7_P12ihipStream_tbENKUlT_T0_E_clISt17integral_constantIbLb0EES10_IbLb1EEEEDaSW_SX_EUlSW_E_NS1_11comp_targetILNS1_3genE2ELNS1_11target_archE906ELNS1_3gpuE6ELNS1_3repE0EEENS1_30default_config_static_selectorELNS0_4arch9wavefront6targetE1EEEvT1_.kd
    .uniform_work_group_size: 1
    .uses_dynamic_stack: false
    .vgpr_count:     0
    .vgpr_spill_count: 0
    .wavefront_size: 64
  - .agpr_count:     0
    .args:
      - .offset:         0
        .size:           112
        .value_kind:     by_value
    .group_segment_fixed_size: 0
    .kernarg_segment_align: 8
    .kernarg_segment_size: 112
    .language:       OpenCL C
    .language_version:
      - 2
      - 0
    .max_flat_workgroup_size: 256
    .name:           _ZN7rocprim17ROCPRIM_400000_NS6detail17trampoline_kernelINS0_14default_configENS1_27scan_by_key_config_selectorIiiEEZZNS1_16scan_by_key_implILNS1_25lookback_scan_determinismE0ELb1ES3_N6thrust23THRUST_200600_302600_NS6detail15normal_iteratorINS9_10device_ptrIiEEEENSB_INSC_IjEEEESE_iNS9_4plusIvEENS9_8equal_toIvEEiEE10hipError_tPvRmT2_T3_T4_T5_mT6_T7_P12ihipStream_tbENKUlT_T0_E_clISt17integral_constantIbLb0EES10_IbLb1EEEEDaSW_SX_EUlSW_E_NS1_11comp_targetILNS1_3genE10ELNS1_11target_archE1200ELNS1_3gpuE4ELNS1_3repE0EEENS1_30default_config_static_selectorELNS0_4arch9wavefront6targetE1EEEvT1_
    .private_segment_fixed_size: 0
    .sgpr_count:     6
    .sgpr_spill_count: 0
    .symbol:         _ZN7rocprim17ROCPRIM_400000_NS6detail17trampoline_kernelINS0_14default_configENS1_27scan_by_key_config_selectorIiiEEZZNS1_16scan_by_key_implILNS1_25lookback_scan_determinismE0ELb1ES3_N6thrust23THRUST_200600_302600_NS6detail15normal_iteratorINS9_10device_ptrIiEEEENSB_INSC_IjEEEESE_iNS9_4plusIvEENS9_8equal_toIvEEiEE10hipError_tPvRmT2_T3_T4_T5_mT6_T7_P12ihipStream_tbENKUlT_T0_E_clISt17integral_constantIbLb0EES10_IbLb1EEEEDaSW_SX_EUlSW_E_NS1_11comp_targetILNS1_3genE10ELNS1_11target_archE1200ELNS1_3gpuE4ELNS1_3repE0EEENS1_30default_config_static_selectorELNS0_4arch9wavefront6targetE1EEEvT1_.kd
    .uniform_work_group_size: 1
    .uses_dynamic_stack: false
    .vgpr_count:     0
    .vgpr_spill_count: 0
    .wavefront_size: 64
  - .agpr_count:     0
    .args:
      - .offset:         0
        .size:           112
        .value_kind:     by_value
    .group_segment_fixed_size: 0
    .kernarg_segment_align: 8
    .kernarg_segment_size: 112
    .language:       OpenCL C
    .language_version:
      - 2
      - 0
    .max_flat_workgroup_size: 256
    .name:           _ZN7rocprim17ROCPRIM_400000_NS6detail17trampoline_kernelINS0_14default_configENS1_27scan_by_key_config_selectorIiiEEZZNS1_16scan_by_key_implILNS1_25lookback_scan_determinismE0ELb1ES3_N6thrust23THRUST_200600_302600_NS6detail15normal_iteratorINS9_10device_ptrIiEEEENSB_INSC_IjEEEESE_iNS9_4plusIvEENS9_8equal_toIvEEiEE10hipError_tPvRmT2_T3_T4_T5_mT6_T7_P12ihipStream_tbENKUlT_T0_E_clISt17integral_constantIbLb0EES10_IbLb1EEEEDaSW_SX_EUlSW_E_NS1_11comp_targetILNS1_3genE9ELNS1_11target_archE1100ELNS1_3gpuE3ELNS1_3repE0EEENS1_30default_config_static_selectorELNS0_4arch9wavefront6targetE1EEEvT1_
    .private_segment_fixed_size: 0
    .sgpr_count:     6
    .sgpr_spill_count: 0
    .symbol:         _ZN7rocprim17ROCPRIM_400000_NS6detail17trampoline_kernelINS0_14default_configENS1_27scan_by_key_config_selectorIiiEEZZNS1_16scan_by_key_implILNS1_25lookback_scan_determinismE0ELb1ES3_N6thrust23THRUST_200600_302600_NS6detail15normal_iteratorINS9_10device_ptrIiEEEENSB_INSC_IjEEEESE_iNS9_4plusIvEENS9_8equal_toIvEEiEE10hipError_tPvRmT2_T3_T4_T5_mT6_T7_P12ihipStream_tbENKUlT_T0_E_clISt17integral_constantIbLb0EES10_IbLb1EEEEDaSW_SX_EUlSW_E_NS1_11comp_targetILNS1_3genE9ELNS1_11target_archE1100ELNS1_3gpuE3ELNS1_3repE0EEENS1_30default_config_static_selectorELNS0_4arch9wavefront6targetE1EEEvT1_.kd
    .uniform_work_group_size: 1
    .uses_dynamic_stack: false
    .vgpr_count:     0
    .vgpr_spill_count: 0
    .wavefront_size: 64
  - .agpr_count:     0
    .args:
      - .offset:         0
        .size:           112
        .value_kind:     by_value
    .group_segment_fixed_size: 0
    .kernarg_segment_align: 8
    .kernarg_segment_size: 112
    .language:       OpenCL C
    .language_version:
      - 2
      - 0
    .max_flat_workgroup_size: 256
    .name:           _ZN7rocprim17ROCPRIM_400000_NS6detail17trampoline_kernelINS0_14default_configENS1_27scan_by_key_config_selectorIiiEEZZNS1_16scan_by_key_implILNS1_25lookback_scan_determinismE0ELb1ES3_N6thrust23THRUST_200600_302600_NS6detail15normal_iteratorINS9_10device_ptrIiEEEENSB_INSC_IjEEEESE_iNS9_4plusIvEENS9_8equal_toIvEEiEE10hipError_tPvRmT2_T3_T4_T5_mT6_T7_P12ihipStream_tbENKUlT_T0_E_clISt17integral_constantIbLb0EES10_IbLb1EEEEDaSW_SX_EUlSW_E_NS1_11comp_targetILNS1_3genE8ELNS1_11target_archE1030ELNS1_3gpuE2ELNS1_3repE0EEENS1_30default_config_static_selectorELNS0_4arch9wavefront6targetE1EEEvT1_
    .private_segment_fixed_size: 0
    .sgpr_count:     6
    .sgpr_spill_count: 0
    .symbol:         _ZN7rocprim17ROCPRIM_400000_NS6detail17trampoline_kernelINS0_14default_configENS1_27scan_by_key_config_selectorIiiEEZZNS1_16scan_by_key_implILNS1_25lookback_scan_determinismE0ELb1ES3_N6thrust23THRUST_200600_302600_NS6detail15normal_iteratorINS9_10device_ptrIiEEEENSB_INSC_IjEEEESE_iNS9_4plusIvEENS9_8equal_toIvEEiEE10hipError_tPvRmT2_T3_T4_T5_mT6_T7_P12ihipStream_tbENKUlT_T0_E_clISt17integral_constantIbLb0EES10_IbLb1EEEEDaSW_SX_EUlSW_E_NS1_11comp_targetILNS1_3genE8ELNS1_11target_archE1030ELNS1_3gpuE2ELNS1_3repE0EEENS1_30default_config_static_selectorELNS0_4arch9wavefront6targetE1EEEvT1_.kd
    .uniform_work_group_size: 1
    .uses_dynamic_stack: false
    .vgpr_count:     0
    .vgpr_spill_count: 0
    .wavefront_size: 64
  - .agpr_count:     0
    .args:
      - .offset:         0
        .size:           112
        .value_kind:     by_value
    .group_segment_fixed_size: 0
    .kernarg_segment_align: 8
    .kernarg_segment_size: 112
    .language:       OpenCL C
    .language_version:
      - 2
      - 0
    .max_flat_workgroup_size: 256
    .name:           _ZN7rocprim17ROCPRIM_400000_NS6detail17trampoline_kernelINS0_14default_configENS1_27scan_by_key_config_selectorIifEEZZNS1_16scan_by_key_implILNS1_25lookback_scan_determinismE0ELb1ES3_N6thrust23THRUST_200600_302600_NS6detail15normal_iteratorINS9_10device_ptrIiEEEENSB_INSC_IjEEEESE_fNS9_4plusIvEENS9_8equal_toIvEEfEE10hipError_tPvRmT2_T3_T4_T5_mT6_T7_P12ihipStream_tbENKUlT_T0_E_clISt17integral_constantIbLb0EES11_EEDaSW_SX_EUlSW_E_NS1_11comp_targetILNS1_3genE0ELNS1_11target_archE4294967295ELNS1_3gpuE0ELNS1_3repE0EEENS1_30default_config_static_selectorELNS0_4arch9wavefront6targetE1EEEvT1_
    .private_segment_fixed_size: 0
    .sgpr_count:     6
    .sgpr_spill_count: 0
    .symbol:         _ZN7rocprim17ROCPRIM_400000_NS6detail17trampoline_kernelINS0_14default_configENS1_27scan_by_key_config_selectorIifEEZZNS1_16scan_by_key_implILNS1_25lookback_scan_determinismE0ELb1ES3_N6thrust23THRUST_200600_302600_NS6detail15normal_iteratorINS9_10device_ptrIiEEEENSB_INSC_IjEEEESE_fNS9_4plusIvEENS9_8equal_toIvEEfEE10hipError_tPvRmT2_T3_T4_T5_mT6_T7_P12ihipStream_tbENKUlT_T0_E_clISt17integral_constantIbLb0EES11_EEDaSW_SX_EUlSW_E_NS1_11comp_targetILNS1_3genE0ELNS1_11target_archE4294967295ELNS1_3gpuE0ELNS1_3repE0EEENS1_30default_config_static_selectorELNS0_4arch9wavefront6targetE1EEEvT1_.kd
    .uniform_work_group_size: 1
    .uses_dynamic_stack: false
    .vgpr_count:     0
    .vgpr_spill_count: 0
    .wavefront_size: 64
  - .agpr_count:     0
    .args:
      - .offset:         0
        .size:           112
        .value_kind:     by_value
    .group_segment_fixed_size: 0
    .kernarg_segment_align: 8
    .kernarg_segment_size: 112
    .language:       OpenCL C
    .language_version:
      - 2
      - 0
    .max_flat_workgroup_size: 256
    .name:           _ZN7rocprim17ROCPRIM_400000_NS6detail17trampoline_kernelINS0_14default_configENS1_27scan_by_key_config_selectorIifEEZZNS1_16scan_by_key_implILNS1_25lookback_scan_determinismE0ELb1ES3_N6thrust23THRUST_200600_302600_NS6detail15normal_iteratorINS9_10device_ptrIiEEEENSB_INSC_IjEEEESE_fNS9_4plusIvEENS9_8equal_toIvEEfEE10hipError_tPvRmT2_T3_T4_T5_mT6_T7_P12ihipStream_tbENKUlT_T0_E_clISt17integral_constantIbLb0EES11_EEDaSW_SX_EUlSW_E_NS1_11comp_targetILNS1_3genE10ELNS1_11target_archE1201ELNS1_3gpuE5ELNS1_3repE0EEENS1_30default_config_static_selectorELNS0_4arch9wavefront6targetE1EEEvT1_
    .private_segment_fixed_size: 0
    .sgpr_count:     6
    .sgpr_spill_count: 0
    .symbol:         _ZN7rocprim17ROCPRIM_400000_NS6detail17trampoline_kernelINS0_14default_configENS1_27scan_by_key_config_selectorIifEEZZNS1_16scan_by_key_implILNS1_25lookback_scan_determinismE0ELb1ES3_N6thrust23THRUST_200600_302600_NS6detail15normal_iteratorINS9_10device_ptrIiEEEENSB_INSC_IjEEEESE_fNS9_4plusIvEENS9_8equal_toIvEEfEE10hipError_tPvRmT2_T3_T4_T5_mT6_T7_P12ihipStream_tbENKUlT_T0_E_clISt17integral_constantIbLb0EES11_EEDaSW_SX_EUlSW_E_NS1_11comp_targetILNS1_3genE10ELNS1_11target_archE1201ELNS1_3gpuE5ELNS1_3repE0EEENS1_30default_config_static_selectorELNS0_4arch9wavefront6targetE1EEEvT1_.kd
    .uniform_work_group_size: 1
    .uses_dynamic_stack: false
    .vgpr_count:     0
    .vgpr_spill_count: 0
    .wavefront_size: 64
  - .agpr_count:     0
    .args:
      - .offset:         0
        .size:           112
        .value_kind:     by_value
    .group_segment_fixed_size: 25600
    .kernarg_segment_align: 8
    .kernarg_segment_size: 112
    .language:       OpenCL C
    .language_version:
      - 2
      - 0
    .max_flat_workgroup_size: 256
    .name:           _ZN7rocprim17ROCPRIM_400000_NS6detail17trampoline_kernelINS0_14default_configENS1_27scan_by_key_config_selectorIifEEZZNS1_16scan_by_key_implILNS1_25lookback_scan_determinismE0ELb1ES3_N6thrust23THRUST_200600_302600_NS6detail15normal_iteratorINS9_10device_ptrIiEEEENSB_INSC_IjEEEESE_fNS9_4plusIvEENS9_8equal_toIvEEfEE10hipError_tPvRmT2_T3_T4_T5_mT6_T7_P12ihipStream_tbENKUlT_T0_E_clISt17integral_constantIbLb0EES11_EEDaSW_SX_EUlSW_E_NS1_11comp_targetILNS1_3genE5ELNS1_11target_archE942ELNS1_3gpuE9ELNS1_3repE0EEENS1_30default_config_static_selectorELNS0_4arch9wavefront6targetE1EEEvT1_
    .private_segment_fixed_size: 0
    .sgpr_count:     86
    .sgpr_spill_count: 0
    .symbol:         _ZN7rocprim17ROCPRIM_400000_NS6detail17trampoline_kernelINS0_14default_configENS1_27scan_by_key_config_selectorIifEEZZNS1_16scan_by_key_implILNS1_25lookback_scan_determinismE0ELb1ES3_N6thrust23THRUST_200600_302600_NS6detail15normal_iteratorINS9_10device_ptrIiEEEENSB_INSC_IjEEEESE_fNS9_4plusIvEENS9_8equal_toIvEEfEE10hipError_tPvRmT2_T3_T4_T5_mT6_T7_P12ihipStream_tbENKUlT_T0_E_clISt17integral_constantIbLb0EES11_EEDaSW_SX_EUlSW_E_NS1_11comp_targetILNS1_3genE5ELNS1_11target_archE942ELNS1_3gpuE9ELNS1_3repE0EEENS1_30default_config_static_selectorELNS0_4arch9wavefront6targetE1EEEvT1_.kd
    .uniform_work_group_size: 1
    .uses_dynamic_stack: false
    .vgpr_count:     92
    .vgpr_spill_count: 0
    .wavefront_size: 64
  - .agpr_count:     0
    .args:
      - .offset:         0
        .size:           112
        .value_kind:     by_value
    .group_segment_fixed_size: 0
    .kernarg_segment_align: 8
    .kernarg_segment_size: 112
    .language:       OpenCL C
    .language_version:
      - 2
      - 0
    .max_flat_workgroup_size: 256
    .name:           _ZN7rocprim17ROCPRIM_400000_NS6detail17trampoline_kernelINS0_14default_configENS1_27scan_by_key_config_selectorIifEEZZNS1_16scan_by_key_implILNS1_25lookback_scan_determinismE0ELb1ES3_N6thrust23THRUST_200600_302600_NS6detail15normal_iteratorINS9_10device_ptrIiEEEENSB_INSC_IjEEEESE_fNS9_4plusIvEENS9_8equal_toIvEEfEE10hipError_tPvRmT2_T3_T4_T5_mT6_T7_P12ihipStream_tbENKUlT_T0_E_clISt17integral_constantIbLb0EES11_EEDaSW_SX_EUlSW_E_NS1_11comp_targetILNS1_3genE4ELNS1_11target_archE910ELNS1_3gpuE8ELNS1_3repE0EEENS1_30default_config_static_selectorELNS0_4arch9wavefront6targetE1EEEvT1_
    .private_segment_fixed_size: 0
    .sgpr_count:     6
    .sgpr_spill_count: 0
    .symbol:         _ZN7rocprim17ROCPRIM_400000_NS6detail17trampoline_kernelINS0_14default_configENS1_27scan_by_key_config_selectorIifEEZZNS1_16scan_by_key_implILNS1_25lookback_scan_determinismE0ELb1ES3_N6thrust23THRUST_200600_302600_NS6detail15normal_iteratorINS9_10device_ptrIiEEEENSB_INSC_IjEEEESE_fNS9_4plusIvEENS9_8equal_toIvEEfEE10hipError_tPvRmT2_T3_T4_T5_mT6_T7_P12ihipStream_tbENKUlT_T0_E_clISt17integral_constantIbLb0EES11_EEDaSW_SX_EUlSW_E_NS1_11comp_targetILNS1_3genE4ELNS1_11target_archE910ELNS1_3gpuE8ELNS1_3repE0EEENS1_30default_config_static_selectorELNS0_4arch9wavefront6targetE1EEEvT1_.kd
    .uniform_work_group_size: 1
    .uses_dynamic_stack: false
    .vgpr_count:     0
    .vgpr_spill_count: 0
    .wavefront_size: 64
  - .agpr_count:     0
    .args:
      - .offset:         0
        .size:           112
        .value_kind:     by_value
    .group_segment_fixed_size: 0
    .kernarg_segment_align: 8
    .kernarg_segment_size: 112
    .language:       OpenCL C
    .language_version:
      - 2
      - 0
    .max_flat_workgroup_size: 256
    .name:           _ZN7rocprim17ROCPRIM_400000_NS6detail17trampoline_kernelINS0_14default_configENS1_27scan_by_key_config_selectorIifEEZZNS1_16scan_by_key_implILNS1_25lookback_scan_determinismE0ELb1ES3_N6thrust23THRUST_200600_302600_NS6detail15normal_iteratorINS9_10device_ptrIiEEEENSB_INSC_IjEEEESE_fNS9_4plusIvEENS9_8equal_toIvEEfEE10hipError_tPvRmT2_T3_T4_T5_mT6_T7_P12ihipStream_tbENKUlT_T0_E_clISt17integral_constantIbLb0EES11_EEDaSW_SX_EUlSW_E_NS1_11comp_targetILNS1_3genE3ELNS1_11target_archE908ELNS1_3gpuE7ELNS1_3repE0EEENS1_30default_config_static_selectorELNS0_4arch9wavefront6targetE1EEEvT1_
    .private_segment_fixed_size: 0
    .sgpr_count:     6
    .sgpr_spill_count: 0
    .symbol:         _ZN7rocprim17ROCPRIM_400000_NS6detail17trampoline_kernelINS0_14default_configENS1_27scan_by_key_config_selectorIifEEZZNS1_16scan_by_key_implILNS1_25lookback_scan_determinismE0ELb1ES3_N6thrust23THRUST_200600_302600_NS6detail15normal_iteratorINS9_10device_ptrIiEEEENSB_INSC_IjEEEESE_fNS9_4plusIvEENS9_8equal_toIvEEfEE10hipError_tPvRmT2_T3_T4_T5_mT6_T7_P12ihipStream_tbENKUlT_T0_E_clISt17integral_constantIbLb0EES11_EEDaSW_SX_EUlSW_E_NS1_11comp_targetILNS1_3genE3ELNS1_11target_archE908ELNS1_3gpuE7ELNS1_3repE0EEENS1_30default_config_static_selectorELNS0_4arch9wavefront6targetE1EEEvT1_.kd
    .uniform_work_group_size: 1
    .uses_dynamic_stack: false
    .vgpr_count:     0
    .vgpr_spill_count: 0
    .wavefront_size: 64
  - .agpr_count:     0
    .args:
      - .offset:         0
        .size:           112
        .value_kind:     by_value
    .group_segment_fixed_size: 0
    .kernarg_segment_align: 8
    .kernarg_segment_size: 112
    .language:       OpenCL C
    .language_version:
      - 2
      - 0
    .max_flat_workgroup_size: 256
    .name:           _ZN7rocprim17ROCPRIM_400000_NS6detail17trampoline_kernelINS0_14default_configENS1_27scan_by_key_config_selectorIifEEZZNS1_16scan_by_key_implILNS1_25lookback_scan_determinismE0ELb1ES3_N6thrust23THRUST_200600_302600_NS6detail15normal_iteratorINS9_10device_ptrIiEEEENSB_INSC_IjEEEESE_fNS9_4plusIvEENS9_8equal_toIvEEfEE10hipError_tPvRmT2_T3_T4_T5_mT6_T7_P12ihipStream_tbENKUlT_T0_E_clISt17integral_constantIbLb0EES11_EEDaSW_SX_EUlSW_E_NS1_11comp_targetILNS1_3genE2ELNS1_11target_archE906ELNS1_3gpuE6ELNS1_3repE0EEENS1_30default_config_static_selectorELNS0_4arch9wavefront6targetE1EEEvT1_
    .private_segment_fixed_size: 0
    .sgpr_count:     6
    .sgpr_spill_count: 0
    .symbol:         _ZN7rocprim17ROCPRIM_400000_NS6detail17trampoline_kernelINS0_14default_configENS1_27scan_by_key_config_selectorIifEEZZNS1_16scan_by_key_implILNS1_25lookback_scan_determinismE0ELb1ES3_N6thrust23THRUST_200600_302600_NS6detail15normal_iteratorINS9_10device_ptrIiEEEENSB_INSC_IjEEEESE_fNS9_4plusIvEENS9_8equal_toIvEEfEE10hipError_tPvRmT2_T3_T4_T5_mT6_T7_P12ihipStream_tbENKUlT_T0_E_clISt17integral_constantIbLb0EES11_EEDaSW_SX_EUlSW_E_NS1_11comp_targetILNS1_3genE2ELNS1_11target_archE906ELNS1_3gpuE6ELNS1_3repE0EEENS1_30default_config_static_selectorELNS0_4arch9wavefront6targetE1EEEvT1_.kd
    .uniform_work_group_size: 1
    .uses_dynamic_stack: false
    .vgpr_count:     0
    .vgpr_spill_count: 0
    .wavefront_size: 64
  - .agpr_count:     0
    .args:
      - .offset:         0
        .size:           112
        .value_kind:     by_value
    .group_segment_fixed_size: 0
    .kernarg_segment_align: 8
    .kernarg_segment_size: 112
    .language:       OpenCL C
    .language_version:
      - 2
      - 0
    .max_flat_workgroup_size: 256
    .name:           _ZN7rocprim17ROCPRIM_400000_NS6detail17trampoline_kernelINS0_14default_configENS1_27scan_by_key_config_selectorIifEEZZNS1_16scan_by_key_implILNS1_25lookback_scan_determinismE0ELb1ES3_N6thrust23THRUST_200600_302600_NS6detail15normal_iteratorINS9_10device_ptrIiEEEENSB_INSC_IjEEEESE_fNS9_4plusIvEENS9_8equal_toIvEEfEE10hipError_tPvRmT2_T3_T4_T5_mT6_T7_P12ihipStream_tbENKUlT_T0_E_clISt17integral_constantIbLb0EES11_EEDaSW_SX_EUlSW_E_NS1_11comp_targetILNS1_3genE10ELNS1_11target_archE1200ELNS1_3gpuE4ELNS1_3repE0EEENS1_30default_config_static_selectorELNS0_4arch9wavefront6targetE1EEEvT1_
    .private_segment_fixed_size: 0
    .sgpr_count:     6
    .sgpr_spill_count: 0
    .symbol:         _ZN7rocprim17ROCPRIM_400000_NS6detail17trampoline_kernelINS0_14default_configENS1_27scan_by_key_config_selectorIifEEZZNS1_16scan_by_key_implILNS1_25lookback_scan_determinismE0ELb1ES3_N6thrust23THRUST_200600_302600_NS6detail15normal_iteratorINS9_10device_ptrIiEEEENSB_INSC_IjEEEESE_fNS9_4plusIvEENS9_8equal_toIvEEfEE10hipError_tPvRmT2_T3_T4_T5_mT6_T7_P12ihipStream_tbENKUlT_T0_E_clISt17integral_constantIbLb0EES11_EEDaSW_SX_EUlSW_E_NS1_11comp_targetILNS1_3genE10ELNS1_11target_archE1200ELNS1_3gpuE4ELNS1_3repE0EEENS1_30default_config_static_selectorELNS0_4arch9wavefront6targetE1EEEvT1_.kd
    .uniform_work_group_size: 1
    .uses_dynamic_stack: false
    .vgpr_count:     0
    .vgpr_spill_count: 0
    .wavefront_size: 64
  - .agpr_count:     0
    .args:
      - .offset:         0
        .size:           112
        .value_kind:     by_value
    .group_segment_fixed_size: 0
    .kernarg_segment_align: 8
    .kernarg_segment_size: 112
    .language:       OpenCL C
    .language_version:
      - 2
      - 0
    .max_flat_workgroup_size: 256
    .name:           _ZN7rocprim17ROCPRIM_400000_NS6detail17trampoline_kernelINS0_14default_configENS1_27scan_by_key_config_selectorIifEEZZNS1_16scan_by_key_implILNS1_25lookback_scan_determinismE0ELb1ES3_N6thrust23THRUST_200600_302600_NS6detail15normal_iteratorINS9_10device_ptrIiEEEENSB_INSC_IjEEEESE_fNS9_4plusIvEENS9_8equal_toIvEEfEE10hipError_tPvRmT2_T3_T4_T5_mT6_T7_P12ihipStream_tbENKUlT_T0_E_clISt17integral_constantIbLb0EES11_EEDaSW_SX_EUlSW_E_NS1_11comp_targetILNS1_3genE9ELNS1_11target_archE1100ELNS1_3gpuE3ELNS1_3repE0EEENS1_30default_config_static_selectorELNS0_4arch9wavefront6targetE1EEEvT1_
    .private_segment_fixed_size: 0
    .sgpr_count:     6
    .sgpr_spill_count: 0
    .symbol:         _ZN7rocprim17ROCPRIM_400000_NS6detail17trampoline_kernelINS0_14default_configENS1_27scan_by_key_config_selectorIifEEZZNS1_16scan_by_key_implILNS1_25lookback_scan_determinismE0ELb1ES3_N6thrust23THRUST_200600_302600_NS6detail15normal_iteratorINS9_10device_ptrIiEEEENSB_INSC_IjEEEESE_fNS9_4plusIvEENS9_8equal_toIvEEfEE10hipError_tPvRmT2_T3_T4_T5_mT6_T7_P12ihipStream_tbENKUlT_T0_E_clISt17integral_constantIbLb0EES11_EEDaSW_SX_EUlSW_E_NS1_11comp_targetILNS1_3genE9ELNS1_11target_archE1100ELNS1_3gpuE3ELNS1_3repE0EEENS1_30default_config_static_selectorELNS0_4arch9wavefront6targetE1EEEvT1_.kd
    .uniform_work_group_size: 1
    .uses_dynamic_stack: false
    .vgpr_count:     0
    .vgpr_spill_count: 0
    .wavefront_size: 64
  - .agpr_count:     0
    .args:
      - .offset:         0
        .size:           112
        .value_kind:     by_value
    .group_segment_fixed_size: 0
    .kernarg_segment_align: 8
    .kernarg_segment_size: 112
    .language:       OpenCL C
    .language_version:
      - 2
      - 0
    .max_flat_workgroup_size: 256
    .name:           _ZN7rocprim17ROCPRIM_400000_NS6detail17trampoline_kernelINS0_14default_configENS1_27scan_by_key_config_selectorIifEEZZNS1_16scan_by_key_implILNS1_25lookback_scan_determinismE0ELb1ES3_N6thrust23THRUST_200600_302600_NS6detail15normal_iteratorINS9_10device_ptrIiEEEENSB_INSC_IjEEEESE_fNS9_4plusIvEENS9_8equal_toIvEEfEE10hipError_tPvRmT2_T3_T4_T5_mT6_T7_P12ihipStream_tbENKUlT_T0_E_clISt17integral_constantIbLb0EES11_EEDaSW_SX_EUlSW_E_NS1_11comp_targetILNS1_3genE8ELNS1_11target_archE1030ELNS1_3gpuE2ELNS1_3repE0EEENS1_30default_config_static_selectorELNS0_4arch9wavefront6targetE1EEEvT1_
    .private_segment_fixed_size: 0
    .sgpr_count:     6
    .sgpr_spill_count: 0
    .symbol:         _ZN7rocprim17ROCPRIM_400000_NS6detail17trampoline_kernelINS0_14default_configENS1_27scan_by_key_config_selectorIifEEZZNS1_16scan_by_key_implILNS1_25lookback_scan_determinismE0ELb1ES3_N6thrust23THRUST_200600_302600_NS6detail15normal_iteratorINS9_10device_ptrIiEEEENSB_INSC_IjEEEESE_fNS9_4plusIvEENS9_8equal_toIvEEfEE10hipError_tPvRmT2_T3_T4_T5_mT6_T7_P12ihipStream_tbENKUlT_T0_E_clISt17integral_constantIbLb0EES11_EEDaSW_SX_EUlSW_E_NS1_11comp_targetILNS1_3genE8ELNS1_11target_archE1030ELNS1_3gpuE2ELNS1_3repE0EEENS1_30default_config_static_selectorELNS0_4arch9wavefront6targetE1EEEvT1_.kd
    .uniform_work_group_size: 1
    .uses_dynamic_stack: false
    .vgpr_count:     0
    .vgpr_spill_count: 0
    .wavefront_size: 64
  - .agpr_count:     0
    .args:
      - .offset:         0
        .size:           112
        .value_kind:     by_value
    .group_segment_fixed_size: 0
    .kernarg_segment_align: 8
    .kernarg_segment_size: 112
    .language:       OpenCL C
    .language_version:
      - 2
      - 0
    .max_flat_workgroup_size: 256
    .name:           _ZN7rocprim17ROCPRIM_400000_NS6detail17trampoline_kernelINS0_14default_configENS1_27scan_by_key_config_selectorIifEEZZNS1_16scan_by_key_implILNS1_25lookback_scan_determinismE0ELb1ES3_N6thrust23THRUST_200600_302600_NS6detail15normal_iteratorINS9_10device_ptrIiEEEENSB_INSC_IjEEEESE_fNS9_4plusIvEENS9_8equal_toIvEEfEE10hipError_tPvRmT2_T3_T4_T5_mT6_T7_P12ihipStream_tbENKUlT_T0_E_clISt17integral_constantIbLb1EES11_EEDaSW_SX_EUlSW_E_NS1_11comp_targetILNS1_3genE0ELNS1_11target_archE4294967295ELNS1_3gpuE0ELNS1_3repE0EEENS1_30default_config_static_selectorELNS0_4arch9wavefront6targetE1EEEvT1_
    .private_segment_fixed_size: 0
    .sgpr_count:     6
    .sgpr_spill_count: 0
    .symbol:         _ZN7rocprim17ROCPRIM_400000_NS6detail17trampoline_kernelINS0_14default_configENS1_27scan_by_key_config_selectorIifEEZZNS1_16scan_by_key_implILNS1_25lookback_scan_determinismE0ELb1ES3_N6thrust23THRUST_200600_302600_NS6detail15normal_iteratorINS9_10device_ptrIiEEEENSB_INSC_IjEEEESE_fNS9_4plusIvEENS9_8equal_toIvEEfEE10hipError_tPvRmT2_T3_T4_T5_mT6_T7_P12ihipStream_tbENKUlT_T0_E_clISt17integral_constantIbLb1EES11_EEDaSW_SX_EUlSW_E_NS1_11comp_targetILNS1_3genE0ELNS1_11target_archE4294967295ELNS1_3gpuE0ELNS1_3repE0EEENS1_30default_config_static_selectorELNS0_4arch9wavefront6targetE1EEEvT1_.kd
    .uniform_work_group_size: 1
    .uses_dynamic_stack: false
    .vgpr_count:     0
    .vgpr_spill_count: 0
    .wavefront_size: 64
  - .agpr_count:     0
    .args:
      - .offset:         0
        .size:           112
        .value_kind:     by_value
    .group_segment_fixed_size: 0
    .kernarg_segment_align: 8
    .kernarg_segment_size: 112
    .language:       OpenCL C
    .language_version:
      - 2
      - 0
    .max_flat_workgroup_size: 256
    .name:           _ZN7rocprim17ROCPRIM_400000_NS6detail17trampoline_kernelINS0_14default_configENS1_27scan_by_key_config_selectorIifEEZZNS1_16scan_by_key_implILNS1_25lookback_scan_determinismE0ELb1ES3_N6thrust23THRUST_200600_302600_NS6detail15normal_iteratorINS9_10device_ptrIiEEEENSB_INSC_IjEEEESE_fNS9_4plusIvEENS9_8equal_toIvEEfEE10hipError_tPvRmT2_T3_T4_T5_mT6_T7_P12ihipStream_tbENKUlT_T0_E_clISt17integral_constantIbLb1EES11_EEDaSW_SX_EUlSW_E_NS1_11comp_targetILNS1_3genE10ELNS1_11target_archE1201ELNS1_3gpuE5ELNS1_3repE0EEENS1_30default_config_static_selectorELNS0_4arch9wavefront6targetE1EEEvT1_
    .private_segment_fixed_size: 0
    .sgpr_count:     6
    .sgpr_spill_count: 0
    .symbol:         _ZN7rocprim17ROCPRIM_400000_NS6detail17trampoline_kernelINS0_14default_configENS1_27scan_by_key_config_selectorIifEEZZNS1_16scan_by_key_implILNS1_25lookback_scan_determinismE0ELb1ES3_N6thrust23THRUST_200600_302600_NS6detail15normal_iteratorINS9_10device_ptrIiEEEENSB_INSC_IjEEEESE_fNS9_4plusIvEENS9_8equal_toIvEEfEE10hipError_tPvRmT2_T3_T4_T5_mT6_T7_P12ihipStream_tbENKUlT_T0_E_clISt17integral_constantIbLb1EES11_EEDaSW_SX_EUlSW_E_NS1_11comp_targetILNS1_3genE10ELNS1_11target_archE1201ELNS1_3gpuE5ELNS1_3repE0EEENS1_30default_config_static_selectorELNS0_4arch9wavefront6targetE1EEEvT1_.kd
    .uniform_work_group_size: 1
    .uses_dynamic_stack: false
    .vgpr_count:     0
    .vgpr_spill_count: 0
    .wavefront_size: 64
  - .agpr_count:     0
    .args:
      - .offset:         0
        .size:           112
        .value_kind:     by_value
    .group_segment_fixed_size: 25600
    .kernarg_segment_align: 8
    .kernarg_segment_size: 112
    .language:       OpenCL C
    .language_version:
      - 2
      - 0
    .max_flat_workgroup_size: 256
    .name:           _ZN7rocprim17ROCPRIM_400000_NS6detail17trampoline_kernelINS0_14default_configENS1_27scan_by_key_config_selectorIifEEZZNS1_16scan_by_key_implILNS1_25lookback_scan_determinismE0ELb1ES3_N6thrust23THRUST_200600_302600_NS6detail15normal_iteratorINS9_10device_ptrIiEEEENSB_INSC_IjEEEESE_fNS9_4plusIvEENS9_8equal_toIvEEfEE10hipError_tPvRmT2_T3_T4_T5_mT6_T7_P12ihipStream_tbENKUlT_T0_E_clISt17integral_constantIbLb1EES11_EEDaSW_SX_EUlSW_E_NS1_11comp_targetILNS1_3genE5ELNS1_11target_archE942ELNS1_3gpuE9ELNS1_3repE0EEENS1_30default_config_static_selectorELNS0_4arch9wavefront6targetE1EEEvT1_
    .private_segment_fixed_size: 0
    .sgpr_count:     86
    .sgpr_spill_count: 0
    .symbol:         _ZN7rocprim17ROCPRIM_400000_NS6detail17trampoline_kernelINS0_14default_configENS1_27scan_by_key_config_selectorIifEEZZNS1_16scan_by_key_implILNS1_25lookback_scan_determinismE0ELb1ES3_N6thrust23THRUST_200600_302600_NS6detail15normal_iteratorINS9_10device_ptrIiEEEENSB_INSC_IjEEEESE_fNS9_4plusIvEENS9_8equal_toIvEEfEE10hipError_tPvRmT2_T3_T4_T5_mT6_T7_P12ihipStream_tbENKUlT_T0_E_clISt17integral_constantIbLb1EES11_EEDaSW_SX_EUlSW_E_NS1_11comp_targetILNS1_3genE5ELNS1_11target_archE942ELNS1_3gpuE9ELNS1_3repE0EEENS1_30default_config_static_selectorELNS0_4arch9wavefront6targetE1EEEvT1_.kd
    .uniform_work_group_size: 1
    .uses_dynamic_stack: false
    .vgpr_count:     96
    .vgpr_spill_count: 0
    .wavefront_size: 64
  - .agpr_count:     0
    .args:
      - .offset:         0
        .size:           112
        .value_kind:     by_value
    .group_segment_fixed_size: 0
    .kernarg_segment_align: 8
    .kernarg_segment_size: 112
    .language:       OpenCL C
    .language_version:
      - 2
      - 0
    .max_flat_workgroup_size: 256
    .name:           _ZN7rocprim17ROCPRIM_400000_NS6detail17trampoline_kernelINS0_14default_configENS1_27scan_by_key_config_selectorIifEEZZNS1_16scan_by_key_implILNS1_25lookback_scan_determinismE0ELb1ES3_N6thrust23THRUST_200600_302600_NS6detail15normal_iteratorINS9_10device_ptrIiEEEENSB_INSC_IjEEEESE_fNS9_4plusIvEENS9_8equal_toIvEEfEE10hipError_tPvRmT2_T3_T4_T5_mT6_T7_P12ihipStream_tbENKUlT_T0_E_clISt17integral_constantIbLb1EES11_EEDaSW_SX_EUlSW_E_NS1_11comp_targetILNS1_3genE4ELNS1_11target_archE910ELNS1_3gpuE8ELNS1_3repE0EEENS1_30default_config_static_selectorELNS0_4arch9wavefront6targetE1EEEvT1_
    .private_segment_fixed_size: 0
    .sgpr_count:     6
    .sgpr_spill_count: 0
    .symbol:         _ZN7rocprim17ROCPRIM_400000_NS6detail17trampoline_kernelINS0_14default_configENS1_27scan_by_key_config_selectorIifEEZZNS1_16scan_by_key_implILNS1_25lookback_scan_determinismE0ELb1ES3_N6thrust23THRUST_200600_302600_NS6detail15normal_iteratorINS9_10device_ptrIiEEEENSB_INSC_IjEEEESE_fNS9_4plusIvEENS9_8equal_toIvEEfEE10hipError_tPvRmT2_T3_T4_T5_mT6_T7_P12ihipStream_tbENKUlT_T0_E_clISt17integral_constantIbLb1EES11_EEDaSW_SX_EUlSW_E_NS1_11comp_targetILNS1_3genE4ELNS1_11target_archE910ELNS1_3gpuE8ELNS1_3repE0EEENS1_30default_config_static_selectorELNS0_4arch9wavefront6targetE1EEEvT1_.kd
    .uniform_work_group_size: 1
    .uses_dynamic_stack: false
    .vgpr_count:     0
    .vgpr_spill_count: 0
    .wavefront_size: 64
  - .agpr_count:     0
    .args:
      - .offset:         0
        .size:           112
        .value_kind:     by_value
    .group_segment_fixed_size: 0
    .kernarg_segment_align: 8
    .kernarg_segment_size: 112
    .language:       OpenCL C
    .language_version:
      - 2
      - 0
    .max_flat_workgroup_size: 256
    .name:           _ZN7rocprim17ROCPRIM_400000_NS6detail17trampoline_kernelINS0_14default_configENS1_27scan_by_key_config_selectorIifEEZZNS1_16scan_by_key_implILNS1_25lookback_scan_determinismE0ELb1ES3_N6thrust23THRUST_200600_302600_NS6detail15normal_iteratorINS9_10device_ptrIiEEEENSB_INSC_IjEEEESE_fNS9_4plusIvEENS9_8equal_toIvEEfEE10hipError_tPvRmT2_T3_T4_T5_mT6_T7_P12ihipStream_tbENKUlT_T0_E_clISt17integral_constantIbLb1EES11_EEDaSW_SX_EUlSW_E_NS1_11comp_targetILNS1_3genE3ELNS1_11target_archE908ELNS1_3gpuE7ELNS1_3repE0EEENS1_30default_config_static_selectorELNS0_4arch9wavefront6targetE1EEEvT1_
    .private_segment_fixed_size: 0
    .sgpr_count:     6
    .sgpr_spill_count: 0
    .symbol:         _ZN7rocprim17ROCPRIM_400000_NS6detail17trampoline_kernelINS0_14default_configENS1_27scan_by_key_config_selectorIifEEZZNS1_16scan_by_key_implILNS1_25lookback_scan_determinismE0ELb1ES3_N6thrust23THRUST_200600_302600_NS6detail15normal_iteratorINS9_10device_ptrIiEEEENSB_INSC_IjEEEESE_fNS9_4plusIvEENS9_8equal_toIvEEfEE10hipError_tPvRmT2_T3_T4_T5_mT6_T7_P12ihipStream_tbENKUlT_T0_E_clISt17integral_constantIbLb1EES11_EEDaSW_SX_EUlSW_E_NS1_11comp_targetILNS1_3genE3ELNS1_11target_archE908ELNS1_3gpuE7ELNS1_3repE0EEENS1_30default_config_static_selectorELNS0_4arch9wavefront6targetE1EEEvT1_.kd
    .uniform_work_group_size: 1
    .uses_dynamic_stack: false
    .vgpr_count:     0
    .vgpr_spill_count: 0
    .wavefront_size: 64
  - .agpr_count:     0
    .args:
      - .offset:         0
        .size:           112
        .value_kind:     by_value
    .group_segment_fixed_size: 0
    .kernarg_segment_align: 8
    .kernarg_segment_size: 112
    .language:       OpenCL C
    .language_version:
      - 2
      - 0
    .max_flat_workgroup_size: 256
    .name:           _ZN7rocprim17ROCPRIM_400000_NS6detail17trampoline_kernelINS0_14default_configENS1_27scan_by_key_config_selectorIifEEZZNS1_16scan_by_key_implILNS1_25lookback_scan_determinismE0ELb1ES3_N6thrust23THRUST_200600_302600_NS6detail15normal_iteratorINS9_10device_ptrIiEEEENSB_INSC_IjEEEESE_fNS9_4plusIvEENS9_8equal_toIvEEfEE10hipError_tPvRmT2_T3_T4_T5_mT6_T7_P12ihipStream_tbENKUlT_T0_E_clISt17integral_constantIbLb1EES11_EEDaSW_SX_EUlSW_E_NS1_11comp_targetILNS1_3genE2ELNS1_11target_archE906ELNS1_3gpuE6ELNS1_3repE0EEENS1_30default_config_static_selectorELNS0_4arch9wavefront6targetE1EEEvT1_
    .private_segment_fixed_size: 0
    .sgpr_count:     6
    .sgpr_spill_count: 0
    .symbol:         _ZN7rocprim17ROCPRIM_400000_NS6detail17trampoline_kernelINS0_14default_configENS1_27scan_by_key_config_selectorIifEEZZNS1_16scan_by_key_implILNS1_25lookback_scan_determinismE0ELb1ES3_N6thrust23THRUST_200600_302600_NS6detail15normal_iteratorINS9_10device_ptrIiEEEENSB_INSC_IjEEEESE_fNS9_4plusIvEENS9_8equal_toIvEEfEE10hipError_tPvRmT2_T3_T4_T5_mT6_T7_P12ihipStream_tbENKUlT_T0_E_clISt17integral_constantIbLb1EES11_EEDaSW_SX_EUlSW_E_NS1_11comp_targetILNS1_3genE2ELNS1_11target_archE906ELNS1_3gpuE6ELNS1_3repE0EEENS1_30default_config_static_selectorELNS0_4arch9wavefront6targetE1EEEvT1_.kd
    .uniform_work_group_size: 1
    .uses_dynamic_stack: false
    .vgpr_count:     0
    .vgpr_spill_count: 0
    .wavefront_size: 64
  - .agpr_count:     0
    .args:
      - .offset:         0
        .size:           112
        .value_kind:     by_value
    .group_segment_fixed_size: 0
    .kernarg_segment_align: 8
    .kernarg_segment_size: 112
    .language:       OpenCL C
    .language_version:
      - 2
      - 0
    .max_flat_workgroup_size: 256
    .name:           _ZN7rocprim17ROCPRIM_400000_NS6detail17trampoline_kernelINS0_14default_configENS1_27scan_by_key_config_selectorIifEEZZNS1_16scan_by_key_implILNS1_25lookback_scan_determinismE0ELb1ES3_N6thrust23THRUST_200600_302600_NS6detail15normal_iteratorINS9_10device_ptrIiEEEENSB_INSC_IjEEEESE_fNS9_4plusIvEENS9_8equal_toIvEEfEE10hipError_tPvRmT2_T3_T4_T5_mT6_T7_P12ihipStream_tbENKUlT_T0_E_clISt17integral_constantIbLb1EES11_EEDaSW_SX_EUlSW_E_NS1_11comp_targetILNS1_3genE10ELNS1_11target_archE1200ELNS1_3gpuE4ELNS1_3repE0EEENS1_30default_config_static_selectorELNS0_4arch9wavefront6targetE1EEEvT1_
    .private_segment_fixed_size: 0
    .sgpr_count:     6
    .sgpr_spill_count: 0
    .symbol:         _ZN7rocprim17ROCPRIM_400000_NS6detail17trampoline_kernelINS0_14default_configENS1_27scan_by_key_config_selectorIifEEZZNS1_16scan_by_key_implILNS1_25lookback_scan_determinismE0ELb1ES3_N6thrust23THRUST_200600_302600_NS6detail15normal_iteratorINS9_10device_ptrIiEEEENSB_INSC_IjEEEESE_fNS9_4plusIvEENS9_8equal_toIvEEfEE10hipError_tPvRmT2_T3_T4_T5_mT6_T7_P12ihipStream_tbENKUlT_T0_E_clISt17integral_constantIbLb1EES11_EEDaSW_SX_EUlSW_E_NS1_11comp_targetILNS1_3genE10ELNS1_11target_archE1200ELNS1_3gpuE4ELNS1_3repE0EEENS1_30default_config_static_selectorELNS0_4arch9wavefront6targetE1EEEvT1_.kd
    .uniform_work_group_size: 1
    .uses_dynamic_stack: false
    .vgpr_count:     0
    .vgpr_spill_count: 0
    .wavefront_size: 64
  - .agpr_count:     0
    .args:
      - .offset:         0
        .size:           112
        .value_kind:     by_value
    .group_segment_fixed_size: 0
    .kernarg_segment_align: 8
    .kernarg_segment_size: 112
    .language:       OpenCL C
    .language_version:
      - 2
      - 0
    .max_flat_workgroup_size: 256
    .name:           _ZN7rocprim17ROCPRIM_400000_NS6detail17trampoline_kernelINS0_14default_configENS1_27scan_by_key_config_selectorIifEEZZNS1_16scan_by_key_implILNS1_25lookback_scan_determinismE0ELb1ES3_N6thrust23THRUST_200600_302600_NS6detail15normal_iteratorINS9_10device_ptrIiEEEENSB_INSC_IjEEEESE_fNS9_4plusIvEENS9_8equal_toIvEEfEE10hipError_tPvRmT2_T3_T4_T5_mT6_T7_P12ihipStream_tbENKUlT_T0_E_clISt17integral_constantIbLb1EES11_EEDaSW_SX_EUlSW_E_NS1_11comp_targetILNS1_3genE9ELNS1_11target_archE1100ELNS1_3gpuE3ELNS1_3repE0EEENS1_30default_config_static_selectorELNS0_4arch9wavefront6targetE1EEEvT1_
    .private_segment_fixed_size: 0
    .sgpr_count:     6
    .sgpr_spill_count: 0
    .symbol:         _ZN7rocprim17ROCPRIM_400000_NS6detail17trampoline_kernelINS0_14default_configENS1_27scan_by_key_config_selectorIifEEZZNS1_16scan_by_key_implILNS1_25lookback_scan_determinismE0ELb1ES3_N6thrust23THRUST_200600_302600_NS6detail15normal_iteratorINS9_10device_ptrIiEEEENSB_INSC_IjEEEESE_fNS9_4plusIvEENS9_8equal_toIvEEfEE10hipError_tPvRmT2_T3_T4_T5_mT6_T7_P12ihipStream_tbENKUlT_T0_E_clISt17integral_constantIbLb1EES11_EEDaSW_SX_EUlSW_E_NS1_11comp_targetILNS1_3genE9ELNS1_11target_archE1100ELNS1_3gpuE3ELNS1_3repE0EEENS1_30default_config_static_selectorELNS0_4arch9wavefront6targetE1EEEvT1_.kd
    .uniform_work_group_size: 1
    .uses_dynamic_stack: false
    .vgpr_count:     0
    .vgpr_spill_count: 0
    .wavefront_size: 64
  - .agpr_count:     0
    .args:
      - .offset:         0
        .size:           112
        .value_kind:     by_value
    .group_segment_fixed_size: 0
    .kernarg_segment_align: 8
    .kernarg_segment_size: 112
    .language:       OpenCL C
    .language_version:
      - 2
      - 0
    .max_flat_workgroup_size: 256
    .name:           _ZN7rocprim17ROCPRIM_400000_NS6detail17trampoline_kernelINS0_14default_configENS1_27scan_by_key_config_selectorIifEEZZNS1_16scan_by_key_implILNS1_25lookback_scan_determinismE0ELb1ES3_N6thrust23THRUST_200600_302600_NS6detail15normal_iteratorINS9_10device_ptrIiEEEENSB_INSC_IjEEEESE_fNS9_4plusIvEENS9_8equal_toIvEEfEE10hipError_tPvRmT2_T3_T4_T5_mT6_T7_P12ihipStream_tbENKUlT_T0_E_clISt17integral_constantIbLb1EES11_EEDaSW_SX_EUlSW_E_NS1_11comp_targetILNS1_3genE8ELNS1_11target_archE1030ELNS1_3gpuE2ELNS1_3repE0EEENS1_30default_config_static_selectorELNS0_4arch9wavefront6targetE1EEEvT1_
    .private_segment_fixed_size: 0
    .sgpr_count:     6
    .sgpr_spill_count: 0
    .symbol:         _ZN7rocprim17ROCPRIM_400000_NS6detail17trampoline_kernelINS0_14default_configENS1_27scan_by_key_config_selectorIifEEZZNS1_16scan_by_key_implILNS1_25lookback_scan_determinismE0ELb1ES3_N6thrust23THRUST_200600_302600_NS6detail15normal_iteratorINS9_10device_ptrIiEEEENSB_INSC_IjEEEESE_fNS9_4plusIvEENS9_8equal_toIvEEfEE10hipError_tPvRmT2_T3_T4_T5_mT6_T7_P12ihipStream_tbENKUlT_T0_E_clISt17integral_constantIbLb1EES11_EEDaSW_SX_EUlSW_E_NS1_11comp_targetILNS1_3genE8ELNS1_11target_archE1030ELNS1_3gpuE2ELNS1_3repE0EEENS1_30default_config_static_selectorELNS0_4arch9wavefront6targetE1EEEvT1_.kd
    .uniform_work_group_size: 1
    .uses_dynamic_stack: false
    .vgpr_count:     0
    .vgpr_spill_count: 0
    .wavefront_size: 64
  - .agpr_count:     0
    .args:
      - .offset:         0
        .size:           112
        .value_kind:     by_value
    .group_segment_fixed_size: 0
    .kernarg_segment_align: 8
    .kernarg_segment_size: 112
    .language:       OpenCL C
    .language_version:
      - 2
      - 0
    .max_flat_workgroup_size: 256
    .name:           _ZN7rocprim17ROCPRIM_400000_NS6detail17trampoline_kernelINS0_14default_configENS1_27scan_by_key_config_selectorIifEEZZNS1_16scan_by_key_implILNS1_25lookback_scan_determinismE0ELb1ES3_N6thrust23THRUST_200600_302600_NS6detail15normal_iteratorINS9_10device_ptrIiEEEENSB_INSC_IjEEEESE_fNS9_4plusIvEENS9_8equal_toIvEEfEE10hipError_tPvRmT2_T3_T4_T5_mT6_T7_P12ihipStream_tbENKUlT_T0_E_clISt17integral_constantIbLb1EES10_IbLb0EEEEDaSW_SX_EUlSW_E_NS1_11comp_targetILNS1_3genE0ELNS1_11target_archE4294967295ELNS1_3gpuE0ELNS1_3repE0EEENS1_30default_config_static_selectorELNS0_4arch9wavefront6targetE1EEEvT1_
    .private_segment_fixed_size: 0
    .sgpr_count:     6
    .sgpr_spill_count: 0
    .symbol:         _ZN7rocprim17ROCPRIM_400000_NS6detail17trampoline_kernelINS0_14default_configENS1_27scan_by_key_config_selectorIifEEZZNS1_16scan_by_key_implILNS1_25lookback_scan_determinismE0ELb1ES3_N6thrust23THRUST_200600_302600_NS6detail15normal_iteratorINS9_10device_ptrIiEEEENSB_INSC_IjEEEESE_fNS9_4plusIvEENS9_8equal_toIvEEfEE10hipError_tPvRmT2_T3_T4_T5_mT6_T7_P12ihipStream_tbENKUlT_T0_E_clISt17integral_constantIbLb1EES10_IbLb0EEEEDaSW_SX_EUlSW_E_NS1_11comp_targetILNS1_3genE0ELNS1_11target_archE4294967295ELNS1_3gpuE0ELNS1_3repE0EEENS1_30default_config_static_selectorELNS0_4arch9wavefront6targetE1EEEvT1_.kd
    .uniform_work_group_size: 1
    .uses_dynamic_stack: false
    .vgpr_count:     0
    .vgpr_spill_count: 0
    .wavefront_size: 64
  - .agpr_count:     0
    .args:
      - .offset:         0
        .size:           112
        .value_kind:     by_value
    .group_segment_fixed_size: 0
    .kernarg_segment_align: 8
    .kernarg_segment_size: 112
    .language:       OpenCL C
    .language_version:
      - 2
      - 0
    .max_flat_workgroup_size: 256
    .name:           _ZN7rocprim17ROCPRIM_400000_NS6detail17trampoline_kernelINS0_14default_configENS1_27scan_by_key_config_selectorIifEEZZNS1_16scan_by_key_implILNS1_25lookback_scan_determinismE0ELb1ES3_N6thrust23THRUST_200600_302600_NS6detail15normal_iteratorINS9_10device_ptrIiEEEENSB_INSC_IjEEEESE_fNS9_4plusIvEENS9_8equal_toIvEEfEE10hipError_tPvRmT2_T3_T4_T5_mT6_T7_P12ihipStream_tbENKUlT_T0_E_clISt17integral_constantIbLb1EES10_IbLb0EEEEDaSW_SX_EUlSW_E_NS1_11comp_targetILNS1_3genE10ELNS1_11target_archE1201ELNS1_3gpuE5ELNS1_3repE0EEENS1_30default_config_static_selectorELNS0_4arch9wavefront6targetE1EEEvT1_
    .private_segment_fixed_size: 0
    .sgpr_count:     6
    .sgpr_spill_count: 0
    .symbol:         _ZN7rocprim17ROCPRIM_400000_NS6detail17trampoline_kernelINS0_14default_configENS1_27scan_by_key_config_selectorIifEEZZNS1_16scan_by_key_implILNS1_25lookback_scan_determinismE0ELb1ES3_N6thrust23THRUST_200600_302600_NS6detail15normal_iteratorINS9_10device_ptrIiEEEENSB_INSC_IjEEEESE_fNS9_4plusIvEENS9_8equal_toIvEEfEE10hipError_tPvRmT2_T3_T4_T5_mT6_T7_P12ihipStream_tbENKUlT_T0_E_clISt17integral_constantIbLb1EES10_IbLb0EEEEDaSW_SX_EUlSW_E_NS1_11comp_targetILNS1_3genE10ELNS1_11target_archE1201ELNS1_3gpuE5ELNS1_3repE0EEENS1_30default_config_static_selectorELNS0_4arch9wavefront6targetE1EEEvT1_.kd
    .uniform_work_group_size: 1
    .uses_dynamic_stack: false
    .vgpr_count:     0
    .vgpr_spill_count: 0
    .wavefront_size: 64
  - .agpr_count:     0
    .args:
      - .offset:         0
        .size:           112
        .value_kind:     by_value
    .group_segment_fixed_size: 25600
    .kernarg_segment_align: 8
    .kernarg_segment_size: 112
    .language:       OpenCL C
    .language_version:
      - 2
      - 0
    .max_flat_workgroup_size: 256
    .name:           _ZN7rocprim17ROCPRIM_400000_NS6detail17trampoline_kernelINS0_14default_configENS1_27scan_by_key_config_selectorIifEEZZNS1_16scan_by_key_implILNS1_25lookback_scan_determinismE0ELb1ES3_N6thrust23THRUST_200600_302600_NS6detail15normal_iteratorINS9_10device_ptrIiEEEENSB_INSC_IjEEEESE_fNS9_4plusIvEENS9_8equal_toIvEEfEE10hipError_tPvRmT2_T3_T4_T5_mT6_T7_P12ihipStream_tbENKUlT_T0_E_clISt17integral_constantIbLb1EES10_IbLb0EEEEDaSW_SX_EUlSW_E_NS1_11comp_targetILNS1_3genE5ELNS1_11target_archE942ELNS1_3gpuE9ELNS1_3repE0EEENS1_30default_config_static_selectorELNS0_4arch9wavefront6targetE1EEEvT1_
    .private_segment_fixed_size: 0
    .sgpr_count:     86
    .sgpr_spill_count: 0
    .symbol:         _ZN7rocprim17ROCPRIM_400000_NS6detail17trampoline_kernelINS0_14default_configENS1_27scan_by_key_config_selectorIifEEZZNS1_16scan_by_key_implILNS1_25lookback_scan_determinismE0ELb1ES3_N6thrust23THRUST_200600_302600_NS6detail15normal_iteratorINS9_10device_ptrIiEEEENSB_INSC_IjEEEESE_fNS9_4plusIvEENS9_8equal_toIvEEfEE10hipError_tPvRmT2_T3_T4_T5_mT6_T7_P12ihipStream_tbENKUlT_T0_E_clISt17integral_constantIbLb1EES10_IbLb0EEEEDaSW_SX_EUlSW_E_NS1_11comp_targetILNS1_3genE5ELNS1_11target_archE942ELNS1_3gpuE9ELNS1_3repE0EEENS1_30default_config_static_selectorELNS0_4arch9wavefront6targetE1EEEvT1_.kd
    .uniform_work_group_size: 1
    .uses_dynamic_stack: false
    .vgpr_count:     92
    .vgpr_spill_count: 0
    .wavefront_size: 64
  - .agpr_count:     0
    .args:
      - .offset:         0
        .size:           112
        .value_kind:     by_value
    .group_segment_fixed_size: 0
    .kernarg_segment_align: 8
    .kernarg_segment_size: 112
    .language:       OpenCL C
    .language_version:
      - 2
      - 0
    .max_flat_workgroup_size: 256
    .name:           _ZN7rocprim17ROCPRIM_400000_NS6detail17trampoline_kernelINS0_14default_configENS1_27scan_by_key_config_selectorIifEEZZNS1_16scan_by_key_implILNS1_25lookback_scan_determinismE0ELb1ES3_N6thrust23THRUST_200600_302600_NS6detail15normal_iteratorINS9_10device_ptrIiEEEENSB_INSC_IjEEEESE_fNS9_4plusIvEENS9_8equal_toIvEEfEE10hipError_tPvRmT2_T3_T4_T5_mT6_T7_P12ihipStream_tbENKUlT_T0_E_clISt17integral_constantIbLb1EES10_IbLb0EEEEDaSW_SX_EUlSW_E_NS1_11comp_targetILNS1_3genE4ELNS1_11target_archE910ELNS1_3gpuE8ELNS1_3repE0EEENS1_30default_config_static_selectorELNS0_4arch9wavefront6targetE1EEEvT1_
    .private_segment_fixed_size: 0
    .sgpr_count:     6
    .sgpr_spill_count: 0
    .symbol:         _ZN7rocprim17ROCPRIM_400000_NS6detail17trampoline_kernelINS0_14default_configENS1_27scan_by_key_config_selectorIifEEZZNS1_16scan_by_key_implILNS1_25lookback_scan_determinismE0ELb1ES3_N6thrust23THRUST_200600_302600_NS6detail15normal_iteratorINS9_10device_ptrIiEEEENSB_INSC_IjEEEESE_fNS9_4plusIvEENS9_8equal_toIvEEfEE10hipError_tPvRmT2_T3_T4_T5_mT6_T7_P12ihipStream_tbENKUlT_T0_E_clISt17integral_constantIbLb1EES10_IbLb0EEEEDaSW_SX_EUlSW_E_NS1_11comp_targetILNS1_3genE4ELNS1_11target_archE910ELNS1_3gpuE8ELNS1_3repE0EEENS1_30default_config_static_selectorELNS0_4arch9wavefront6targetE1EEEvT1_.kd
    .uniform_work_group_size: 1
    .uses_dynamic_stack: false
    .vgpr_count:     0
    .vgpr_spill_count: 0
    .wavefront_size: 64
  - .agpr_count:     0
    .args:
      - .offset:         0
        .size:           112
        .value_kind:     by_value
    .group_segment_fixed_size: 0
    .kernarg_segment_align: 8
    .kernarg_segment_size: 112
    .language:       OpenCL C
    .language_version:
      - 2
      - 0
    .max_flat_workgroup_size: 256
    .name:           _ZN7rocprim17ROCPRIM_400000_NS6detail17trampoline_kernelINS0_14default_configENS1_27scan_by_key_config_selectorIifEEZZNS1_16scan_by_key_implILNS1_25lookback_scan_determinismE0ELb1ES3_N6thrust23THRUST_200600_302600_NS6detail15normal_iteratorINS9_10device_ptrIiEEEENSB_INSC_IjEEEESE_fNS9_4plusIvEENS9_8equal_toIvEEfEE10hipError_tPvRmT2_T3_T4_T5_mT6_T7_P12ihipStream_tbENKUlT_T0_E_clISt17integral_constantIbLb1EES10_IbLb0EEEEDaSW_SX_EUlSW_E_NS1_11comp_targetILNS1_3genE3ELNS1_11target_archE908ELNS1_3gpuE7ELNS1_3repE0EEENS1_30default_config_static_selectorELNS0_4arch9wavefront6targetE1EEEvT1_
    .private_segment_fixed_size: 0
    .sgpr_count:     6
    .sgpr_spill_count: 0
    .symbol:         _ZN7rocprim17ROCPRIM_400000_NS6detail17trampoline_kernelINS0_14default_configENS1_27scan_by_key_config_selectorIifEEZZNS1_16scan_by_key_implILNS1_25lookback_scan_determinismE0ELb1ES3_N6thrust23THRUST_200600_302600_NS6detail15normal_iteratorINS9_10device_ptrIiEEEENSB_INSC_IjEEEESE_fNS9_4plusIvEENS9_8equal_toIvEEfEE10hipError_tPvRmT2_T3_T4_T5_mT6_T7_P12ihipStream_tbENKUlT_T0_E_clISt17integral_constantIbLb1EES10_IbLb0EEEEDaSW_SX_EUlSW_E_NS1_11comp_targetILNS1_3genE3ELNS1_11target_archE908ELNS1_3gpuE7ELNS1_3repE0EEENS1_30default_config_static_selectorELNS0_4arch9wavefront6targetE1EEEvT1_.kd
    .uniform_work_group_size: 1
    .uses_dynamic_stack: false
    .vgpr_count:     0
    .vgpr_spill_count: 0
    .wavefront_size: 64
  - .agpr_count:     0
    .args:
      - .offset:         0
        .size:           112
        .value_kind:     by_value
    .group_segment_fixed_size: 0
    .kernarg_segment_align: 8
    .kernarg_segment_size: 112
    .language:       OpenCL C
    .language_version:
      - 2
      - 0
    .max_flat_workgroup_size: 256
    .name:           _ZN7rocprim17ROCPRIM_400000_NS6detail17trampoline_kernelINS0_14default_configENS1_27scan_by_key_config_selectorIifEEZZNS1_16scan_by_key_implILNS1_25lookback_scan_determinismE0ELb1ES3_N6thrust23THRUST_200600_302600_NS6detail15normal_iteratorINS9_10device_ptrIiEEEENSB_INSC_IjEEEESE_fNS9_4plusIvEENS9_8equal_toIvEEfEE10hipError_tPvRmT2_T3_T4_T5_mT6_T7_P12ihipStream_tbENKUlT_T0_E_clISt17integral_constantIbLb1EES10_IbLb0EEEEDaSW_SX_EUlSW_E_NS1_11comp_targetILNS1_3genE2ELNS1_11target_archE906ELNS1_3gpuE6ELNS1_3repE0EEENS1_30default_config_static_selectorELNS0_4arch9wavefront6targetE1EEEvT1_
    .private_segment_fixed_size: 0
    .sgpr_count:     6
    .sgpr_spill_count: 0
    .symbol:         _ZN7rocprim17ROCPRIM_400000_NS6detail17trampoline_kernelINS0_14default_configENS1_27scan_by_key_config_selectorIifEEZZNS1_16scan_by_key_implILNS1_25lookback_scan_determinismE0ELb1ES3_N6thrust23THRUST_200600_302600_NS6detail15normal_iteratorINS9_10device_ptrIiEEEENSB_INSC_IjEEEESE_fNS9_4plusIvEENS9_8equal_toIvEEfEE10hipError_tPvRmT2_T3_T4_T5_mT6_T7_P12ihipStream_tbENKUlT_T0_E_clISt17integral_constantIbLb1EES10_IbLb0EEEEDaSW_SX_EUlSW_E_NS1_11comp_targetILNS1_3genE2ELNS1_11target_archE906ELNS1_3gpuE6ELNS1_3repE0EEENS1_30default_config_static_selectorELNS0_4arch9wavefront6targetE1EEEvT1_.kd
    .uniform_work_group_size: 1
    .uses_dynamic_stack: false
    .vgpr_count:     0
    .vgpr_spill_count: 0
    .wavefront_size: 64
  - .agpr_count:     0
    .args:
      - .offset:         0
        .size:           112
        .value_kind:     by_value
    .group_segment_fixed_size: 0
    .kernarg_segment_align: 8
    .kernarg_segment_size: 112
    .language:       OpenCL C
    .language_version:
      - 2
      - 0
    .max_flat_workgroup_size: 256
    .name:           _ZN7rocprim17ROCPRIM_400000_NS6detail17trampoline_kernelINS0_14default_configENS1_27scan_by_key_config_selectorIifEEZZNS1_16scan_by_key_implILNS1_25lookback_scan_determinismE0ELb1ES3_N6thrust23THRUST_200600_302600_NS6detail15normal_iteratorINS9_10device_ptrIiEEEENSB_INSC_IjEEEESE_fNS9_4plusIvEENS9_8equal_toIvEEfEE10hipError_tPvRmT2_T3_T4_T5_mT6_T7_P12ihipStream_tbENKUlT_T0_E_clISt17integral_constantIbLb1EES10_IbLb0EEEEDaSW_SX_EUlSW_E_NS1_11comp_targetILNS1_3genE10ELNS1_11target_archE1200ELNS1_3gpuE4ELNS1_3repE0EEENS1_30default_config_static_selectorELNS0_4arch9wavefront6targetE1EEEvT1_
    .private_segment_fixed_size: 0
    .sgpr_count:     6
    .sgpr_spill_count: 0
    .symbol:         _ZN7rocprim17ROCPRIM_400000_NS6detail17trampoline_kernelINS0_14default_configENS1_27scan_by_key_config_selectorIifEEZZNS1_16scan_by_key_implILNS1_25lookback_scan_determinismE0ELb1ES3_N6thrust23THRUST_200600_302600_NS6detail15normal_iteratorINS9_10device_ptrIiEEEENSB_INSC_IjEEEESE_fNS9_4plusIvEENS9_8equal_toIvEEfEE10hipError_tPvRmT2_T3_T4_T5_mT6_T7_P12ihipStream_tbENKUlT_T0_E_clISt17integral_constantIbLb1EES10_IbLb0EEEEDaSW_SX_EUlSW_E_NS1_11comp_targetILNS1_3genE10ELNS1_11target_archE1200ELNS1_3gpuE4ELNS1_3repE0EEENS1_30default_config_static_selectorELNS0_4arch9wavefront6targetE1EEEvT1_.kd
    .uniform_work_group_size: 1
    .uses_dynamic_stack: false
    .vgpr_count:     0
    .vgpr_spill_count: 0
    .wavefront_size: 64
  - .agpr_count:     0
    .args:
      - .offset:         0
        .size:           112
        .value_kind:     by_value
    .group_segment_fixed_size: 0
    .kernarg_segment_align: 8
    .kernarg_segment_size: 112
    .language:       OpenCL C
    .language_version:
      - 2
      - 0
    .max_flat_workgroup_size: 256
    .name:           _ZN7rocprim17ROCPRIM_400000_NS6detail17trampoline_kernelINS0_14default_configENS1_27scan_by_key_config_selectorIifEEZZNS1_16scan_by_key_implILNS1_25lookback_scan_determinismE0ELb1ES3_N6thrust23THRUST_200600_302600_NS6detail15normal_iteratorINS9_10device_ptrIiEEEENSB_INSC_IjEEEESE_fNS9_4plusIvEENS9_8equal_toIvEEfEE10hipError_tPvRmT2_T3_T4_T5_mT6_T7_P12ihipStream_tbENKUlT_T0_E_clISt17integral_constantIbLb1EES10_IbLb0EEEEDaSW_SX_EUlSW_E_NS1_11comp_targetILNS1_3genE9ELNS1_11target_archE1100ELNS1_3gpuE3ELNS1_3repE0EEENS1_30default_config_static_selectorELNS0_4arch9wavefront6targetE1EEEvT1_
    .private_segment_fixed_size: 0
    .sgpr_count:     6
    .sgpr_spill_count: 0
    .symbol:         _ZN7rocprim17ROCPRIM_400000_NS6detail17trampoline_kernelINS0_14default_configENS1_27scan_by_key_config_selectorIifEEZZNS1_16scan_by_key_implILNS1_25lookback_scan_determinismE0ELb1ES3_N6thrust23THRUST_200600_302600_NS6detail15normal_iteratorINS9_10device_ptrIiEEEENSB_INSC_IjEEEESE_fNS9_4plusIvEENS9_8equal_toIvEEfEE10hipError_tPvRmT2_T3_T4_T5_mT6_T7_P12ihipStream_tbENKUlT_T0_E_clISt17integral_constantIbLb1EES10_IbLb0EEEEDaSW_SX_EUlSW_E_NS1_11comp_targetILNS1_3genE9ELNS1_11target_archE1100ELNS1_3gpuE3ELNS1_3repE0EEENS1_30default_config_static_selectorELNS0_4arch9wavefront6targetE1EEEvT1_.kd
    .uniform_work_group_size: 1
    .uses_dynamic_stack: false
    .vgpr_count:     0
    .vgpr_spill_count: 0
    .wavefront_size: 64
  - .agpr_count:     0
    .args:
      - .offset:         0
        .size:           112
        .value_kind:     by_value
    .group_segment_fixed_size: 0
    .kernarg_segment_align: 8
    .kernarg_segment_size: 112
    .language:       OpenCL C
    .language_version:
      - 2
      - 0
    .max_flat_workgroup_size: 256
    .name:           _ZN7rocprim17ROCPRIM_400000_NS6detail17trampoline_kernelINS0_14default_configENS1_27scan_by_key_config_selectorIifEEZZNS1_16scan_by_key_implILNS1_25lookback_scan_determinismE0ELb1ES3_N6thrust23THRUST_200600_302600_NS6detail15normal_iteratorINS9_10device_ptrIiEEEENSB_INSC_IjEEEESE_fNS9_4plusIvEENS9_8equal_toIvEEfEE10hipError_tPvRmT2_T3_T4_T5_mT6_T7_P12ihipStream_tbENKUlT_T0_E_clISt17integral_constantIbLb1EES10_IbLb0EEEEDaSW_SX_EUlSW_E_NS1_11comp_targetILNS1_3genE8ELNS1_11target_archE1030ELNS1_3gpuE2ELNS1_3repE0EEENS1_30default_config_static_selectorELNS0_4arch9wavefront6targetE1EEEvT1_
    .private_segment_fixed_size: 0
    .sgpr_count:     6
    .sgpr_spill_count: 0
    .symbol:         _ZN7rocprim17ROCPRIM_400000_NS6detail17trampoline_kernelINS0_14default_configENS1_27scan_by_key_config_selectorIifEEZZNS1_16scan_by_key_implILNS1_25lookback_scan_determinismE0ELb1ES3_N6thrust23THRUST_200600_302600_NS6detail15normal_iteratorINS9_10device_ptrIiEEEENSB_INSC_IjEEEESE_fNS9_4plusIvEENS9_8equal_toIvEEfEE10hipError_tPvRmT2_T3_T4_T5_mT6_T7_P12ihipStream_tbENKUlT_T0_E_clISt17integral_constantIbLb1EES10_IbLb0EEEEDaSW_SX_EUlSW_E_NS1_11comp_targetILNS1_3genE8ELNS1_11target_archE1030ELNS1_3gpuE2ELNS1_3repE0EEENS1_30default_config_static_selectorELNS0_4arch9wavefront6targetE1EEEvT1_.kd
    .uniform_work_group_size: 1
    .uses_dynamic_stack: false
    .vgpr_count:     0
    .vgpr_spill_count: 0
    .wavefront_size: 64
  - .agpr_count:     0
    .args:
      - .offset:         0
        .size:           112
        .value_kind:     by_value
    .group_segment_fixed_size: 0
    .kernarg_segment_align: 8
    .kernarg_segment_size: 112
    .language:       OpenCL C
    .language_version:
      - 2
      - 0
    .max_flat_workgroup_size: 256
    .name:           _ZN7rocprim17ROCPRIM_400000_NS6detail17trampoline_kernelINS0_14default_configENS1_27scan_by_key_config_selectorIifEEZZNS1_16scan_by_key_implILNS1_25lookback_scan_determinismE0ELb1ES3_N6thrust23THRUST_200600_302600_NS6detail15normal_iteratorINS9_10device_ptrIiEEEENSB_INSC_IjEEEESE_fNS9_4plusIvEENS9_8equal_toIvEEfEE10hipError_tPvRmT2_T3_T4_T5_mT6_T7_P12ihipStream_tbENKUlT_T0_E_clISt17integral_constantIbLb0EES10_IbLb1EEEEDaSW_SX_EUlSW_E_NS1_11comp_targetILNS1_3genE0ELNS1_11target_archE4294967295ELNS1_3gpuE0ELNS1_3repE0EEENS1_30default_config_static_selectorELNS0_4arch9wavefront6targetE1EEEvT1_
    .private_segment_fixed_size: 0
    .sgpr_count:     6
    .sgpr_spill_count: 0
    .symbol:         _ZN7rocprim17ROCPRIM_400000_NS6detail17trampoline_kernelINS0_14default_configENS1_27scan_by_key_config_selectorIifEEZZNS1_16scan_by_key_implILNS1_25lookback_scan_determinismE0ELb1ES3_N6thrust23THRUST_200600_302600_NS6detail15normal_iteratorINS9_10device_ptrIiEEEENSB_INSC_IjEEEESE_fNS9_4plusIvEENS9_8equal_toIvEEfEE10hipError_tPvRmT2_T3_T4_T5_mT6_T7_P12ihipStream_tbENKUlT_T0_E_clISt17integral_constantIbLb0EES10_IbLb1EEEEDaSW_SX_EUlSW_E_NS1_11comp_targetILNS1_3genE0ELNS1_11target_archE4294967295ELNS1_3gpuE0ELNS1_3repE0EEENS1_30default_config_static_selectorELNS0_4arch9wavefront6targetE1EEEvT1_.kd
    .uniform_work_group_size: 1
    .uses_dynamic_stack: false
    .vgpr_count:     0
    .vgpr_spill_count: 0
    .wavefront_size: 64
  - .agpr_count:     0
    .args:
      - .offset:         0
        .size:           112
        .value_kind:     by_value
    .group_segment_fixed_size: 0
    .kernarg_segment_align: 8
    .kernarg_segment_size: 112
    .language:       OpenCL C
    .language_version:
      - 2
      - 0
    .max_flat_workgroup_size: 256
    .name:           _ZN7rocprim17ROCPRIM_400000_NS6detail17trampoline_kernelINS0_14default_configENS1_27scan_by_key_config_selectorIifEEZZNS1_16scan_by_key_implILNS1_25lookback_scan_determinismE0ELb1ES3_N6thrust23THRUST_200600_302600_NS6detail15normal_iteratorINS9_10device_ptrIiEEEENSB_INSC_IjEEEESE_fNS9_4plusIvEENS9_8equal_toIvEEfEE10hipError_tPvRmT2_T3_T4_T5_mT6_T7_P12ihipStream_tbENKUlT_T0_E_clISt17integral_constantIbLb0EES10_IbLb1EEEEDaSW_SX_EUlSW_E_NS1_11comp_targetILNS1_3genE10ELNS1_11target_archE1201ELNS1_3gpuE5ELNS1_3repE0EEENS1_30default_config_static_selectorELNS0_4arch9wavefront6targetE1EEEvT1_
    .private_segment_fixed_size: 0
    .sgpr_count:     6
    .sgpr_spill_count: 0
    .symbol:         _ZN7rocprim17ROCPRIM_400000_NS6detail17trampoline_kernelINS0_14default_configENS1_27scan_by_key_config_selectorIifEEZZNS1_16scan_by_key_implILNS1_25lookback_scan_determinismE0ELb1ES3_N6thrust23THRUST_200600_302600_NS6detail15normal_iteratorINS9_10device_ptrIiEEEENSB_INSC_IjEEEESE_fNS9_4plusIvEENS9_8equal_toIvEEfEE10hipError_tPvRmT2_T3_T4_T5_mT6_T7_P12ihipStream_tbENKUlT_T0_E_clISt17integral_constantIbLb0EES10_IbLb1EEEEDaSW_SX_EUlSW_E_NS1_11comp_targetILNS1_3genE10ELNS1_11target_archE1201ELNS1_3gpuE5ELNS1_3repE0EEENS1_30default_config_static_selectorELNS0_4arch9wavefront6targetE1EEEvT1_.kd
    .uniform_work_group_size: 1
    .uses_dynamic_stack: false
    .vgpr_count:     0
    .vgpr_spill_count: 0
    .wavefront_size: 64
  - .agpr_count:     0
    .args:
      - .offset:         0
        .size:           112
        .value_kind:     by_value
    .group_segment_fixed_size: 25600
    .kernarg_segment_align: 8
    .kernarg_segment_size: 112
    .language:       OpenCL C
    .language_version:
      - 2
      - 0
    .max_flat_workgroup_size: 256
    .name:           _ZN7rocprim17ROCPRIM_400000_NS6detail17trampoline_kernelINS0_14default_configENS1_27scan_by_key_config_selectorIifEEZZNS1_16scan_by_key_implILNS1_25lookback_scan_determinismE0ELb1ES3_N6thrust23THRUST_200600_302600_NS6detail15normal_iteratorINS9_10device_ptrIiEEEENSB_INSC_IjEEEESE_fNS9_4plusIvEENS9_8equal_toIvEEfEE10hipError_tPvRmT2_T3_T4_T5_mT6_T7_P12ihipStream_tbENKUlT_T0_E_clISt17integral_constantIbLb0EES10_IbLb1EEEEDaSW_SX_EUlSW_E_NS1_11comp_targetILNS1_3genE5ELNS1_11target_archE942ELNS1_3gpuE9ELNS1_3repE0EEENS1_30default_config_static_selectorELNS0_4arch9wavefront6targetE1EEEvT1_
    .private_segment_fixed_size: 0
    .sgpr_count:     86
    .sgpr_spill_count: 0
    .symbol:         _ZN7rocprim17ROCPRIM_400000_NS6detail17trampoline_kernelINS0_14default_configENS1_27scan_by_key_config_selectorIifEEZZNS1_16scan_by_key_implILNS1_25lookback_scan_determinismE0ELb1ES3_N6thrust23THRUST_200600_302600_NS6detail15normal_iteratorINS9_10device_ptrIiEEEENSB_INSC_IjEEEESE_fNS9_4plusIvEENS9_8equal_toIvEEfEE10hipError_tPvRmT2_T3_T4_T5_mT6_T7_P12ihipStream_tbENKUlT_T0_E_clISt17integral_constantIbLb0EES10_IbLb1EEEEDaSW_SX_EUlSW_E_NS1_11comp_targetILNS1_3genE5ELNS1_11target_archE942ELNS1_3gpuE9ELNS1_3repE0EEENS1_30default_config_static_selectorELNS0_4arch9wavefront6targetE1EEEvT1_.kd
    .uniform_work_group_size: 1
    .uses_dynamic_stack: false
    .vgpr_count:     96
    .vgpr_spill_count: 0
    .wavefront_size: 64
  - .agpr_count:     0
    .args:
      - .offset:         0
        .size:           112
        .value_kind:     by_value
    .group_segment_fixed_size: 0
    .kernarg_segment_align: 8
    .kernarg_segment_size: 112
    .language:       OpenCL C
    .language_version:
      - 2
      - 0
    .max_flat_workgroup_size: 256
    .name:           _ZN7rocprim17ROCPRIM_400000_NS6detail17trampoline_kernelINS0_14default_configENS1_27scan_by_key_config_selectorIifEEZZNS1_16scan_by_key_implILNS1_25lookback_scan_determinismE0ELb1ES3_N6thrust23THRUST_200600_302600_NS6detail15normal_iteratorINS9_10device_ptrIiEEEENSB_INSC_IjEEEESE_fNS9_4plusIvEENS9_8equal_toIvEEfEE10hipError_tPvRmT2_T3_T4_T5_mT6_T7_P12ihipStream_tbENKUlT_T0_E_clISt17integral_constantIbLb0EES10_IbLb1EEEEDaSW_SX_EUlSW_E_NS1_11comp_targetILNS1_3genE4ELNS1_11target_archE910ELNS1_3gpuE8ELNS1_3repE0EEENS1_30default_config_static_selectorELNS0_4arch9wavefront6targetE1EEEvT1_
    .private_segment_fixed_size: 0
    .sgpr_count:     6
    .sgpr_spill_count: 0
    .symbol:         _ZN7rocprim17ROCPRIM_400000_NS6detail17trampoline_kernelINS0_14default_configENS1_27scan_by_key_config_selectorIifEEZZNS1_16scan_by_key_implILNS1_25lookback_scan_determinismE0ELb1ES3_N6thrust23THRUST_200600_302600_NS6detail15normal_iteratorINS9_10device_ptrIiEEEENSB_INSC_IjEEEESE_fNS9_4plusIvEENS9_8equal_toIvEEfEE10hipError_tPvRmT2_T3_T4_T5_mT6_T7_P12ihipStream_tbENKUlT_T0_E_clISt17integral_constantIbLb0EES10_IbLb1EEEEDaSW_SX_EUlSW_E_NS1_11comp_targetILNS1_3genE4ELNS1_11target_archE910ELNS1_3gpuE8ELNS1_3repE0EEENS1_30default_config_static_selectorELNS0_4arch9wavefront6targetE1EEEvT1_.kd
    .uniform_work_group_size: 1
    .uses_dynamic_stack: false
    .vgpr_count:     0
    .vgpr_spill_count: 0
    .wavefront_size: 64
  - .agpr_count:     0
    .args:
      - .offset:         0
        .size:           112
        .value_kind:     by_value
    .group_segment_fixed_size: 0
    .kernarg_segment_align: 8
    .kernarg_segment_size: 112
    .language:       OpenCL C
    .language_version:
      - 2
      - 0
    .max_flat_workgroup_size: 256
    .name:           _ZN7rocprim17ROCPRIM_400000_NS6detail17trampoline_kernelINS0_14default_configENS1_27scan_by_key_config_selectorIifEEZZNS1_16scan_by_key_implILNS1_25lookback_scan_determinismE0ELb1ES3_N6thrust23THRUST_200600_302600_NS6detail15normal_iteratorINS9_10device_ptrIiEEEENSB_INSC_IjEEEESE_fNS9_4plusIvEENS9_8equal_toIvEEfEE10hipError_tPvRmT2_T3_T4_T5_mT6_T7_P12ihipStream_tbENKUlT_T0_E_clISt17integral_constantIbLb0EES10_IbLb1EEEEDaSW_SX_EUlSW_E_NS1_11comp_targetILNS1_3genE3ELNS1_11target_archE908ELNS1_3gpuE7ELNS1_3repE0EEENS1_30default_config_static_selectorELNS0_4arch9wavefront6targetE1EEEvT1_
    .private_segment_fixed_size: 0
    .sgpr_count:     6
    .sgpr_spill_count: 0
    .symbol:         _ZN7rocprim17ROCPRIM_400000_NS6detail17trampoline_kernelINS0_14default_configENS1_27scan_by_key_config_selectorIifEEZZNS1_16scan_by_key_implILNS1_25lookback_scan_determinismE0ELb1ES3_N6thrust23THRUST_200600_302600_NS6detail15normal_iteratorINS9_10device_ptrIiEEEENSB_INSC_IjEEEESE_fNS9_4plusIvEENS9_8equal_toIvEEfEE10hipError_tPvRmT2_T3_T4_T5_mT6_T7_P12ihipStream_tbENKUlT_T0_E_clISt17integral_constantIbLb0EES10_IbLb1EEEEDaSW_SX_EUlSW_E_NS1_11comp_targetILNS1_3genE3ELNS1_11target_archE908ELNS1_3gpuE7ELNS1_3repE0EEENS1_30default_config_static_selectorELNS0_4arch9wavefront6targetE1EEEvT1_.kd
    .uniform_work_group_size: 1
    .uses_dynamic_stack: false
    .vgpr_count:     0
    .vgpr_spill_count: 0
    .wavefront_size: 64
  - .agpr_count:     0
    .args:
      - .offset:         0
        .size:           112
        .value_kind:     by_value
    .group_segment_fixed_size: 0
    .kernarg_segment_align: 8
    .kernarg_segment_size: 112
    .language:       OpenCL C
    .language_version:
      - 2
      - 0
    .max_flat_workgroup_size: 256
    .name:           _ZN7rocprim17ROCPRIM_400000_NS6detail17trampoline_kernelINS0_14default_configENS1_27scan_by_key_config_selectorIifEEZZNS1_16scan_by_key_implILNS1_25lookback_scan_determinismE0ELb1ES3_N6thrust23THRUST_200600_302600_NS6detail15normal_iteratorINS9_10device_ptrIiEEEENSB_INSC_IjEEEESE_fNS9_4plusIvEENS9_8equal_toIvEEfEE10hipError_tPvRmT2_T3_T4_T5_mT6_T7_P12ihipStream_tbENKUlT_T0_E_clISt17integral_constantIbLb0EES10_IbLb1EEEEDaSW_SX_EUlSW_E_NS1_11comp_targetILNS1_3genE2ELNS1_11target_archE906ELNS1_3gpuE6ELNS1_3repE0EEENS1_30default_config_static_selectorELNS0_4arch9wavefront6targetE1EEEvT1_
    .private_segment_fixed_size: 0
    .sgpr_count:     6
    .sgpr_spill_count: 0
    .symbol:         _ZN7rocprim17ROCPRIM_400000_NS6detail17trampoline_kernelINS0_14default_configENS1_27scan_by_key_config_selectorIifEEZZNS1_16scan_by_key_implILNS1_25lookback_scan_determinismE0ELb1ES3_N6thrust23THRUST_200600_302600_NS6detail15normal_iteratorINS9_10device_ptrIiEEEENSB_INSC_IjEEEESE_fNS9_4plusIvEENS9_8equal_toIvEEfEE10hipError_tPvRmT2_T3_T4_T5_mT6_T7_P12ihipStream_tbENKUlT_T0_E_clISt17integral_constantIbLb0EES10_IbLb1EEEEDaSW_SX_EUlSW_E_NS1_11comp_targetILNS1_3genE2ELNS1_11target_archE906ELNS1_3gpuE6ELNS1_3repE0EEENS1_30default_config_static_selectorELNS0_4arch9wavefront6targetE1EEEvT1_.kd
    .uniform_work_group_size: 1
    .uses_dynamic_stack: false
    .vgpr_count:     0
    .vgpr_spill_count: 0
    .wavefront_size: 64
  - .agpr_count:     0
    .args:
      - .offset:         0
        .size:           112
        .value_kind:     by_value
    .group_segment_fixed_size: 0
    .kernarg_segment_align: 8
    .kernarg_segment_size: 112
    .language:       OpenCL C
    .language_version:
      - 2
      - 0
    .max_flat_workgroup_size: 256
    .name:           _ZN7rocprim17ROCPRIM_400000_NS6detail17trampoline_kernelINS0_14default_configENS1_27scan_by_key_config_selectorIifEEZZNS1_16scan_by_key_implILNS1_25lookback_scan_determinismE0ELb1ES3_N6thrust23THRUST_200600_302600_NS6detail15normal_iteratorINS9_10device_ptrIiEEEENSB_INSC_IjEEEESE_fNS9_4plusIvEENS9_8equal_toIvEEfEE10hipError_tPvRmT2_T3_T4_T5_mT6_T7_P12ihipStream_tbENKUlT_T0_E_clISt17integral_constantIbLb0EES10_IbLb1EEEEDaSW_SX_EUlSW_E_NS1_11comp_targetILNS1_3genE10ELNS1_11target_archE1200ELNS1_3gpuE4ELNS1_3repE0EEENS1_30default_config_static_selectorELNS0_4arch9wavefront6targetE1EEEvT1_
    .private_segment_fixed_size: 0
    .sgpr_count:     6
    .sgpr_spill_count: 0
    .symbol:         _ZN7rocprim17ROCPRIM_400000_NS6detail17trampoline_kernelINS0_14default_configENS1_27scan_by_key_config_selectorIifEEZZNS1_16scan_by_key_implILNS1_25lookback_scan_determinismE0ELb1ES3_N6thrust23THRUST_200600_302600_NS6detail15normal_iteratorINS9_10device_ptrIiEEEENSB_INSC_IjEEEESE_fNS9_4plusIvEENS9_8equal_toIvEEfEE10hipError_tPvRmT2_T3_T4_T5_mT6_T7_P12ihipStream_tbENKUlT_T0_E_clISt17integral_constantIbLb0EES10_IbLb1EEEEDaSW_SX_EUlSW_E_NS1_11comp_targetILNS1_3genE10ELNS1_11target_archE1200ELNS1_3gpuE4ELNS1_3repE0EEENS1_30default_config_static_selectorELNS0_4arch9wavefront6targetE1EEEvT1_.kd
    .uniform_work_group_size: 1
    .uses_dynamic_stack: false
    .vgpr_count:     0
    .vgpr_spill_count: 0
    .wavefront_size: 64
  - .agpr_count:     0
    .args:
      - .offset:         0
        .size:           112
        .value_kind:     by_value
    .group_segment_fixed_size: 0
    .kernarg_segment_align: 8
    .kernarg_segment_size: 112
    .language:       OpenCL C
    .language_version:
      - 2
      - 0
    .max_flat_workgroup_size: 256
    .name:           _ZN7rocprim17ROCPRIM_400000_NS6detail17trampoline_kernelINS0_14default_configENS1_27scan_by_key_config_selectorIifEEZZNS1_16scan_by_key_implILNS1_25lookback_scan_determinismE0ELb1ES3_N6thrust23THRUST_200600_302600_NS6detail15normal_iteratorINS9_10device_ptrIiEEEENSB_INSC_IjEEEESE_fNS9_4plusIvEENS9_8equal_toIvEEfEE10hipError_tPvRmT2_T3_T4_T5_mT6_T7_P12ihipStream_tbENKUlT_T0_E_clISt17integral_constantIbLb0EES10_IbLb1EEEEDaSW_SX_EUlSW_E_NS1_11comp_targetILNS1_3genE9ELNS1_11target_archE1100ELNS1_3gpuE3ELNS1_3repE0EEENS1_30default_config_static_selectorELNS0_4arch9wavefront6targetE1EEEvT1_
    .private_segment_fixed_size: 0
    .sgpr_count:     6
    .sgpr_spill_count: 0
    .symbol:         _ZN7rocprim17ROCPRIM_400000_NS6detail17trampoline_kernelINS0_14default_configENS1_27scan_by_key_config_selectorIifEEZZNS1_16scan_by_key_implILNS1_25lookback_scan_determinismE0ELb1ES3_N6thrust23THRUST_200600_302600_NS6detail15normal_iteratorINS9_10device_ptrIiEEEENSB_INSC_IjEEEESE_fNS9_4plusIvEENS9_8equal_toIvEEfEE10hipError_tPvRmT2_T3_T4_T5_mT6_T7_P12ihipStream_tbENKUlT_T0_E_clISt17integral_constantIbLb0EES10_IbLb1EEEEDaSW_SX_EUlSW_E_NS1_11comp_targetILNS1_3genE9ELNS1_11target_archE1100ELNS1_3gpuE3ELNS1_3repE0EEENS1_30default_config_static_selectorELNS0_4arch9wavefront6targetE1EEEvT1_.kd
    .uniform_work_group_size: 1
    .uses_dynamic_stack: false
    .vgpr_count:     0
    .vgpr_spill_count: 0
    .wavefront_size: 64
  - .agpr_count:     0
    .args:
      - .offset:         0
        .size:           112
        .value_kind:     by_value
    .group_segment_fixed_size: 0
    .kernarg_segment_align: 8
    .kernarg_segment_size: 112
    .language:       OpenCL C
    .language_version:
      - 2
      - 0
    .max_flat_workgroup_size: 256
    .name:           _ZN7rocprim17ROCPRIM_400000_NS6detail17trampoline_kernelINS0_14default_configENS1_27scan_by_key_config_selectorIifEEZZNS1_16scan_by_key_implILNS1_25lookback_scan_determinismE0ELb1ES3_N6thrust23THRUST_200600_302600_NS6detail15normal_iteratorINS9_10device_ptrIiEEEENSB_INSC_IjEEEESE_fNS9_4plusIvEENS9_8equal_toIvEEfEE10hipError_tPvRmT2_T3_T4_T5_mT6_T7_P12ihipStream_tbENKUlT_T0_E_clISt17integral_constantIbLb0EES10_IbLb1EEEEDaSW_SX_EUlSW_E_NS1_11comp_targetILNS1_3genE8ELNS1_11target_archE1030ELNS1_3gpuE2ELNS1_3repE0EEENS1_30default_config_static_selectorELNS0_4arch9wavefront6targetE1EEEvT1_
    .private_segment_fixed_size: 0
    .sgpr_count:     6
    .sgpr_spill_count: 0
    .symbol:         _ZN7rocprim17ROCPRIM_400000_NS6detail17trampoline_kernelINS0_14default_configENS1_27scan_by_key_config_selectorIifEEZZNS1_16scan_by_key_implILNS1_25lookback_scan_determinismE0ELb1ES3_N6thrust23THRUST_200600_302600_NS6detail15normal_iteratorINS9_10device_ptrIiEEEENSB_INSC_IjEEEESE_fNS9_4plusIvEENS9_8equal_toIvEEfEE10hipError_tPvRmT2_T3_T4_T5_mT6_T7_P12ihipStream_tbENKUlT_T0_E_clISt17integral_constantIbLb0EES10_IbLb1EEEEDaSW_SX_EUlSW_E_NS1_11comp_targetILNS1_3genE8ELNS1_11target_archE1030ELNS1_3gpuE2ELNS1_3repE0EEENS1_30default_config_static_selectorELNS0_4arch9wavefront6targetE1EEEvT1_.kd
    .uniform_work_group_size: 1
    .uses_dynamic_stack: false
    .vgpr_count:     0
    .vgpr_spill_count: 0
    .wavefront_size: 64
  - .agpr_count:     0
    .args:
      - .offset:         0
        .size:           24
        .value_kind:     by_value
      - .offset:         24
        .size:           8
        .value_kind:     by_value
      - .offset:         32
        .size:           8
        .value_kind:     by_value
    .group_segment_fixed_size: 0
    .kernarg_segment_align: 8
    .kernarg_segment_size: 40
    .language:       OpenCL C
    .language_version:
      - 2
      - 0
    .max_flat_workgroup_size: 256
    .name:           _ZN6thrust23THRUST_200600_302600_NS11hip_rocprim14__parallel_for6kernelILj256ENS1_11__transform17unary_transform_fINS0_7pointerIiNS1_3tagENS0_11use_defaultES8_EENS0_10device_ptrIjEENS4_14no_stencil_tagENS0_8identityIiEENS4_21always_true_predicateEEElLj1EEEvT0_T1_SI_
    .private_segment_fixed_size: 0
    .sgpr_count:     18
    .sgpr_spill_count: 0
    .symbol:         _ZN6thrust23THRUST_200600_302600_NS11hip_rocprim14__parallel_for6kernelILj256ENS1_11__transform17unary_transform_fINS0_7pointerIiNS1_3tagENS0_11use_defaultES8_EENS0_10device_ptrIjEENS4_14no_stencil_tagENS0_8identityIiEENS4_21always_true_predicateEEElLj1EEEvT0_T1_SI_.kd
    .uniform_work_group_size: 1
    .uses_dynamic_stack: false
    .vgpr_count:     6
    .vgpr_spill_count: 0
    .wavefront_size: 64
  - .agpr_count:     0
    .args:
      - .address_space:  global
        .offset:         0
        .size:           8
        .value_kind:     global_buffer
      - .offset:         8
        .size:           4
        .value_kind:     by_value
      - .offset:         12
        .size:           4
        .value_kind:     by_value
      - .address_space:  global
        .offset:         16
        .size:           8
        .value_kind:     global_buffer
      - .address_space:  global
        .offset:         24
        .size:           8
        .value_kind:     global_buffer
      - .actual_access:  write_only
        .address_space:  global
        .offset:         32
        .size:           8
        .value_kind:     global_buffer
      - .offset:         40
        .size:           8
        .value_kind:     by_value
      - .offset:         48
        .size:           4
        .value_kind:     by_value
      - .offset:         52
        .size:           1
        .value_kind:     by_value
      - .offset:         56
        .size:           4
        .value_kind:     hidden_block_count_x
      - .offset:         60
        .size:           4
        .value_kind:     hidden_block_count_y
      - .offset:         64
        .size:           4
        .value_kind:     hidden_block_count_z
      - .offset:         68
        .size:           2
        .value_kind:     hidden_group_size_x
      - .offset:         70
        .size:           2
        .value_kind:     hidden_group_size_y
      - .offset:         72
        .size:           2
        .value_kind:     hidden_group_size_z
      - .offset:         74
        .size:           2
        .value_kind:     hidden_remainder_x
      - .offset:         76
        .size:           2
        .value_kind:     hidden_remainder_y
      - .offset:         78
        .size:           2
        .value_kind:     hidden_remainder_z
      - .offset:         96
        .size:           8
        .value_kind:     hidden_global_offset_x
      - .offset:         104
        .size:           8
        .value_kind:     hidden_global_offset_y
      - .offset:         112
        .size:           8
        .value_kind:     hidden_global_offset_z
      - .offset:         120
        .size:           2
        .value_kind:     hidden_grid_dims
    .group_segment_fixed_size: 0
    .kernarg_segment_align: 8
    .kernarg_segment_size: 312
    .language:       OpenCL C
    .language_version:
      - 2
      - 0
    .max_flat_workgroup_size: 256
    .name:           _ZN7rocprim17ROCPRIM_400000_NS6detail30init_device_scan_by_key_kernelINS1_19lookback_scan_stateINS0_5tupleIJjbEEELb0ELb1EEEN6thrust23THRUST_200600_302600_NS6detail15normal_iteratorINS8_10device_ptrIjEEEEjNS1_16block_id_wrapperIjLb0EEEEEvT_jjPNSG_10value_typeET0_PNSt15iterator_traitsISJ_E10value_typeEmT1_T2_
    .private_segment_fixed_size: 0
    .sgpr_count:     26
    .sgpr_spill_count: 0
    .symbol:         _ZN7rocprim17ROCPRIM_400000_NS6detail30init_device_scan_by_key_kernelINS1_19lookback_scan_stateINS0_5tupleIJjbEEELb0ELb1EEEN6thrust23THRUST_200600_302600_NS6detail15normal_iteratorINS8_10device_ptrIjEEEEjNS1_16block_id_wrapperIjLb0EEEEEvT_jjPNSG_10value_typeET0_PNSt15iterator_traitsISJ_E10value_typeEmT1_T2_.kd
    .uniform_work_group_size: 1
    .uses_dynamic_stack: false
    .vgpr_count:     10
    .vgpr_spill_count: 0
    .wavefront_size: 64
  - .agpr_count:     0
    .args:
      - .offset:         0
        .size:           112
        .value_kind:     by_value
    .group_segment_fixed_size: 0
    .kernarg_segment_align: 8
    .kernarg_segment_size: 112
    .language:       OpenCL C
    .language_version:
      - 2
      - 0
    .max_flat_workgroup_size: 256
    .name:           _ZN7rocprim17ROCPRIM_400000_NS6detail17trampoline_kernelINS0_14default_configENS1_27scan_by_key_config_selectorIjjEEZZNS1_16scan_by_key_implILNS1_25lookback_scan_determinismE0ELb0ES3_N6thrust23THRUST_200600_302600_NS6detail15normal_iteratorINS9_10device_ptrIjEEEESE_SE_jNS9_4plusIvEENS9_8equal_toIvEEjEE10hipError_tPvRmT2_T3_T4_T5_mT6_T7_P12ihipStream_tbENKUlT_T0_E_clISt17integral_constantIbLb0EESZ_EEDaSU_SV_EUlSU_E_NS1_11comp_targetILNS1_3genE0ELNS1_11target_archE4294967295ELNS1_3gpuE0ELNS1_3repE0EEENS1_30default_config_static_selectorELNS0_4arch9wavefront6targetE1EEEvT1_
    .private_segment_fixed_size: 0
    .sgpr_count:     6
    .sgpr_spill_count: 0
    .symbol:         _ZN7rocprim17ROCPRIM_400000_NS6detail17trampoline_kernelINS0_14default_configENS1_27scan_by_key_config_selectorIjjEEZZNS1_16scan_by_key_implILNS1_25lookback_scan_determinismE0ELb0ES3_N6thrust23THRUST_200600_302600_NS6detail15normal_iteratorINS9_10device_ptrIjEEEESE_SE_jNS9_4plusIvEENS9_8equal_toIvEEjEE10hipError_tPvRmT2_T3_T4_T5_mT6_T7_P12ihipStream_tbENKUlT_T0_E_clISt17integral_constantIbLb0EESZ_EEDaSU_SV_EUlSU_E_NS1_11comp_targetILNS1_3genE0ELNS1_11target_archE4294967295ELNS1_3gpuE0ELNS1_3repE0EEENS1_30default_config_static_selectorELNS0_4arch9wavefront6targetE1EEEvT1_.kd
    .uniform_work_group_size: 1
    .uses_dynamic_stack: false
    .vgpr_count:     0
    .vgpr_spill_count: 0
    .wavefront_size: 64
  - .agpr_count:     0
    .args:
      - .offset:         0
        .size:           112
        .value_kind:     by_value
    .group_segment_fixed_size: 0
    .kernarg_segment_align: 8
    .kernarg_segment_size: 112
    .language:       OpenCL C
    .language_version:
      - 2
      - 0
    .max_flat_workgroup_size: 256
    .name:           _ZN7rocprim17ROCPRIM_400000_NS6detail17trampoline_kernelINS0_14default_configENS1_27scan_by_key_config_selectorIjjEEZZNS1_16scan_by_key_implILNS1_25lookback_scan_determinismE0ELb0ES3_N6thrust23THRUST_200600_302600_NS6detail15normal_iteratorINS9_10device_ptrIjEEEESE_SE_jNS9_4plusIvEENS9_8equal_toIvEEjEE10hipError_tPvRmT2_T3_T4_T5_mT6_T7_P12ihipStream_tbENKUlT_T0_E_clISt17integral_constantIbLb0EESZ_EEDaSU_SV_EUlSU_E_NS1_11comp_targetILNS1_3genE10ELNS1_11target_archE1201ELNS1_3gpuE5ELNS1_3repE0EEENS1_30default_config_static_selectorELNS0_4arch9wavefront6targetE1EEEvT1_
    .private_segment_fixed_size: 0
    .sgpr_count:     6
    .sgpr_spill_count: 0
    .symbol:         _ZN7rocprim17ROCPRIM_400000_NS6detail17trampoline_kernelINS0_14default_configENS1_27scan_by_key_config_selectorIjjEEZZNS1_16scan_by_key_implILNS1_25lookback_scan_determinismE0ELb0ES3_N6thrust23THRUST_200600_302600_NS6detail15normal_iteratorINS9_10device_ptrIjEEEESE_SE_jNS9_4plusIvEENS9_8equal_toIvEEjEE10hipError_tPvRmT2_T3_T4_T5_mT6_T7_P12ihipStream_tbENKUlT_T0_E_clISt17integral_constantIbLb0EESZ_EEDaSU_SV_EUlSU_E_NS1_11comp_targetILNS1_3genE10ELNS1_11target_archE1201ELNS1_3gpuE5ELNS1_3repE0EEENS1_30default_config_static_selectorELNS0_4arch9wavefront6targetE1EEEvT1_.kd
    .uniform_work_group_size: 1
    .uses_dynamic_stack: false
    .vgpr_count:     0
    .vgpr_spill_count: 0
    .wavefront_size: 64
  - .agpr_count:     0
    .args:
      - .offset:         0
        .size:           112
        .value_kind:     by_value
    .group_segment_fixed_size: 25600
    .kernarg_segment_align: 8
    .kernarg_segment_size: 112
    .language:       OpenCL C
    .language_version:
      - 2
      - 0
    .max_flat_workgroup_size: 256
    .name:           _ZN7rocprim17ROCPRIM_400000_NS6detail17trampoline_kernelINS0_14default_configENS1_27scan_by_key_config_selectorIjjEEZZNS1_16scan_by_key_implILNS1_25lookback_scan_determinismE0ELb0ES3_N6thrust23THRUST_200600_302600_NS6detail15normal_iteratorINS9_10device_ptrIjEEEESE_SE_jNS9_4plusIvEENS9_8equal_toIvEEjEE10hipError_tPvRmT2_T3_T4_T5_mT6_T7_P12ihipStream_tbENKUlT_T0_E_clISt17integral_constantIbLb0EESZ_EEDaSU_SV_EUlSU_E_NS1_11comp_targetILNS1_3genE5ELNS1_11target_archE942ELNS1_3gpuE9ELNS1_3repE0EEENS1_30default_config_static_selectorELNS0_4arch9wavefront6targetE1EEEvT1_
    .private_segment_fixed_size: 0
    .sgpr_count:     88
    .sgpr_spill_count: 0
    .symbol:         _ZN7rocprim17ROCPRIM_400000_NS6detail17trampoline_kernelINS0_14default_configENS1_27scan_by_key_config_selectorIjjEEZZNS1_16scan_by_key_implILNS1_25lookback_scan_determinismE0ELb0ES3_N6thrust23THRUST_200600_302600_NS6detail15normal_iteratorINS9_10device_ptrIjEEEESE_SE_jNS9_4plusIvEENS9_8equal_toIvEEjEE10hipError_tPvRmT2_T3_T4_T5_mT6_T7_P12ihipStream_tbENKUlT_T0_E_clISt17integral_constantIbLb0EESZ_EEDaSU_SV_EUlSU_E_NS1_11comp_targetILNS1_3genE5ELNS1_11target_archE942ELNS1_3gpuE9ELNS1_3repE0EEENS1_30default_config_static_selectorELNS0_4arch9wavefront6targetE1EEEvT1_.kd
    .uniform_work_group_size: 1
    .uses_dynamic_stack: false
    .vgpr_count:     81
    .vgpr_spill_count: 0
    .wavefront_size: 64
  - .agpr_count:     0
    .args:
      - .offset:         0
        .size:           112
        .value_kind:     by_value
    .group_segment_fixed_size: 0
    .kernarg_segment_align: 8
    .kernarg_segment_size: 112
    .language:       OpenCL C
    .language_version:
      - 2
      - 0
    .max_flat_workgroup_size: 256
    .name:           _ZN7rocprim17ROCPRIM_400000_NS6detail17trampoline_kernelINS0_14default_configENS1_27scan_by_key_config_selectorIjjEEZZNS1_16scan_by_key_implILNS1_25lookback_scan_determinismE0ELb0ES3_N6thrust23THRUST_200600_302600_NS6detail15normal_iteratorINS9_10device_ptrIjEEEESE_SE_jNS9_4plusIvEENS9_8equal_toIvEEjEE10hipError_tPvRmT2_T3_T4_T5_mT6_T7_P12ihipStream_tbENKUlT_T0_E_clISt17integral_constantIbLb0EESZ_EEDaSU_SV_EUlSU_E_NS1_11comp_targetILNS1_3genE4ELNS1_11target_archE910ELNS1_3gpuE8ELNS1_3repE0EEENS1_30default_config_static_selectorELNS0_4arch9wavefront6targetE1EEEvT1_
    .private_segment_fixed_size: 0
    .sgpr_count:     6
    .sgpr_spill_count: 0
    .symbol:         _ZN7rocprim17ROCPRIM_400000_NS6detail17trampoline_kernelINS0_14default_configENS1_27scan_by_key_config_selectorIjjEEZZNS1_16scan_by_key_implILNS1_25lookback_scan_determinismE0ELb0ES3_N6thrust23THRUST_200600_302600_NS6detail15normal_iteratorINS9_10device_ptrIjEEEESE_SE_jNS9_4plusIvEENS9_8equal_toIvEEjEE10hipError_tPvRmT2_T3_T4_T5_mT6_T7_P12ihipStream_tbENKUlT_T0_E_clISt17integral_constantIbLb0EESZ_EEDaSU_SV_EUlSU_E_NS1_11comp_targetILNS1_3genE4ELNS1_11target_archE910ELNS1_3gpuE8ELNS1_3repE0EEENS1_30default_config_static_selectorELNS0_4arch9wavefront6targetE1EEEvT1_.kd
    .uniform_work_group_size: 1
    .uses_dynamic_stack: false
    .vgpr_count:     0
    .vgpr_spill_count: 0
    .wavefront_size: 64
  - .agpr_count:     0
    .args:
      - .offset:         0
        .size:           112
        .value_kind:     by_value
    .group_segment_fixed_size: 0
    .kernarg_segment_align: 8
    .kernarg_segment_size: 112
    .language:       OpenCL C
    .language_version:
      - 2
      - 0
    .max_flat_workgroup_size: 256
    .name:           _ZN7rocprim17ROCPRIM_400000_NS6detail17trampoline_kernelINS0_14default_configENS1_27scan_by_key_config_selectorIjjEEZZNS1_16scan_by_key_implILNS1_25lookback_scan_determinismE0ELb0ES3_N6thrust23THRUST_200600_302600_NS6detail15normal_iteratorINS9_10device_ptrIjEEEESE_SE_jNS9_4plusIvEENS9_8equal_toIvEEjEE10hipError_tPvRmT2_T3_T4_T5_mT6_T7_P12ihipStream_tbENKUlT_T0_E_clISt17integral_constantIbLb0EESZ_EEDaSU_SV_EUlSU_E_NS1_11comp_targetILNS1_3genE3ELNS1_11target_archE908ELNS1_3gpuE7ELNS1_3repE0EEENS1_30default_config_static_selectorELNS0_4arch9wavefront6targetE1EEEvT1_
    .private_segment_fixed_size: 0
    .sgpr_count:     6
    .sgpr_spill_count: 0
    .symbol:         _ZN7rocprim17ROCPRIM_400000_NS6detail17trampoline_kernelINS0_14default_configENS1_27scan_by_key_config_selectorIjjEEZZNS1_16scan_by_key_implILNS1_25lookback_scan_determinismE0ELb0ES3_N6thrust23THRUST_200600_302600_NS6detail15normal_iteratorINS9_10device_ptrIjEEEESE_SE_jNS9_4plusIvEENS9_8equal_toIvEEjEE10hipError_tPvRmT2_T3_T4_T5_mT6_T7_P12ihipStream_tbENKUlT_T0_E_clISt17integral_constantIbLb0EESZ_EEDaSU_SV_EUlSU_E_NS1_11comp_targetILNS1_3genE3ELNS1_11target_archE908ELNS1_3gpuE7ELNS1_3repE0EEENS1_30default_config_static_selectorELNS0_4arch9wavefront6targetE1EEEvT1_.kd
    .uniform_work_group_size: 1
    .uses_dynamic_stack: false
    .vgpr_count:     0
    .vgpr_spill_count: 0
    .wavefront_size: 64
  - .agpr_count:     0
    .args:
      - .offset:         0
        .size:           112
        .value_kind:     by_value
    .group_segment_fixed_size: 0
    .kernarg_segment_align: 8
    .kernarg_segment_size: 112
    .language:       OpenCL C
    .language_version:
      - 2
      - 0
    .max_flat_workgroup_size: 256
    .name:           _ZN7rocprim17ROCPRIM_400000_NS6detail17trampoline_kernelINS0_14default_configENS1_27scan_by_key_config_selectorIjjEEZZNS1_16scan_by_key_implILNS1_25lookback_scan_determinismE0ELb0ES3_N6thrust23THRUST_200600_302600_NS6detail15normal_iteratorINS9_10device_ptrIjEEEESE_SE_jNS9_4plusIvEENS9_8equal_toIvEEjEE10hipError_tPvRmT2_T3_T4_T5_mT6_T7_P12ihipStream_tbENKUlT_T0_E_clISt17integral_constantIbLb0EESZ_EEDaSU_SV_EUlSU_E_NS1_11comp_targetILNS1_3genE2ELNS1_11target_archE906ELNS1_3gpuE6ELNS1_3repE0EEENS1_30default_config_static_selectorELNS0_4arch9wavefront6targetE1EEEvT1_
    .private_segment_fixed_size: 0
    .sgpr_count:     6
    .sgpr_spill_count: 0
    .symbol:         _ZN7rocprim17ROCPRIM_400000_NS6detail17trampoline_kernelINS0_14default_configENS1_27scan_by_key_config_selectorIjjEEZZNS1_16scan_by_key_implILNS1_25lookback_scan_determinismE0ELb0ES3_N6thrust23THRUST_200600_302600_NS6detail15normal_iteratorINS9_10device_ptrIjEEEESE_SE_jNS9_4plusIvEENS9_8equal_toIvEEjEE10hipError_tPvRmT2_T3_T4_T5_mT6_T7_P12ihipStream_tbENKUlT_T0_E_clISt17integral_constantIbLb0EESZ_EEDaSU_SV_EUlSU_E_NS1_11comp_targetILNS1_3genE2ELNS1_11target_archE906ELNS1_3gpuE6ELNS1_3repE0EEENS1_30default_config_static_selectorELNS0_4arch9wavefront6targetE1EEEvT1_.kd
    .uniform_work_group_size: 1
    .uses_dynamic_stack: false
    .vgpr_count:     0
    .vgpr_spill_count: 0
    .wavefront_size: 64
  - .agpr_count:     0
    .args:
      - .offset:         0
        .size:           112
        .value_kind:     by_value
    .group_segment_fixed_size: 0
    .kernarg_segment_align: 8
    .kernarg_segment_size: 112
    .language:       OpenCL C
    .language_version:
      - 2
      - 0
    .max_flat_workgroup_size: 256
    .name:           _ZN7rocprim17ROCPRIM_400000_NS6detail17trampoline_kernelINS0_14default_configENS1_27scan_by_key_config_selectorIjjEEZZNS1_16scan_by_key_implILNS1_25lookback_scan_determinismE0ELb0ES3_N6thrust23THRUST_200600_302600_NS6detail15normal_iteratorINS9_10device_ptrIjEEEESE_SE_jNS9_4plusIvEENS9_8equal_toIvEEjEE10hipError_tPvRmT2_T3_T4_T5_mT6_T7_P12ihipStream_tbENKUlT_T0_E_clISt17integral_constantIbLb0EESZ_EEDaSU_SV_EUlSU_E_NS1_11comp_targetILNS1_3genE10ELNS1_11target_archE1200ELNS1_3gpuE4ELNS1_3repE0EEENS1_30default_config_static_selectorELNS0_4arch9wavefront6targetE1EEEvT1_
    .private_segment_fixed_size: 0
    .sgpr_count:     6
    .sgpr_spill_count: 0
    .symbol:         _ZN7rocprim17ROCPRIM_400000_NS6detail17trampoline_kernelINS0_14default_configENS1_27scan_by_key_config_selectorIjjEEZZNS1_16scan_by_key_implILNS1_25lookback_scan_determinismE0ELb0ES3_N6thrust23THRUST_200600_302600_NS6detail15normal_iteratorINS9_10device_ptrIjEEEESE_SE_jNS9_4plusIvEENS9_8equal_toIvEEjEE10hipError_tPvRmT2_T3_T4_T5_mT6_T7_P12ihipStream_tbENKUlT_T0_E_clISt17integral_constantIbLb0EESZ_EEDaSU_SV_EUlSU_E_NS1_11comp_targetILNS1_3genE10ELNS1_11target_archE1200ELNS1_3gpuE4ELNS1_3repE0EEENS1_30default_config_static_selectorELNS0_4arch9wavefront6targetE1EEEvT1_.kd
    .uniform_work_group_size: 1
    .uses_dynamic_stack: false
    .vgpr_count:     0
    .vgpr_spill_count: 0
    .wavefront_size: 64
  - .agpr_count:     0
    .args:
      - .offset:         0
        .size:           112
        .value_kind:     by_value
    .group_segment_fixed_size: 0
    .kernarg_segment_align: 8
    .kernarg_segment_size: 112
    .language:       OpenCL C
    .language_version:
      - 2
      - 0
    .max_flat_workgroup_size: 256
    .name:           _ZN7rocprim17ROCPRIM_400000_NS6detail17trampoline_kernelINS0_14default_configENS1_27scan_by_key_config_selectorIjjEEZZNS1_16scan_by_key_implILNS1_25lookback_scan_determinismE0ELb0ES3_N6thrust23THRUST_200600_302600_NS6detail15normal_iteratorINS9_10device_ptrIjEEEESE_SE_jNS9_4plusIvEENS9_8equal_toIvEEjEE10hipError_tPvRmT2_T3_T4_T5_mT6_T7_P12ihipStream_tbENKUlT_T0_E_clISt17integral_constantIbLb0EESZ_EEDaSU_SV_EUlSU_E_NS1_11comp_targetILNS1_3genE9ELNS1_11target_archE1100ELNS1_3gpuE3ELNS1_3repE0EEENS1_30default_config_static_selectorELNS0_4arch9wavefront6targetE1EEEvT1_
    .private_segment_fixed_size: 0
    .sgpr_count:     6
    .sgpr_spill_count: 0
    .symbol:         _ZN7rocprim17ROCPRIM_400000_NS6detail17trampoline_kernelINS0_14default_configENS1_27scan_by_key_config_selectorIjjEEZZNS1_16scan_by_key_implILNS1_25lookback_scan_determinismE0ELb0ES3_N6thrust23THRUST_200600_302600_NS6detail15normal_iteratorINS9_10device_ptrIjEEEESE_SE_jNS9_4plusIvEENS9_8equal_toIvEEjEE10hipError_tPvRmT2_T3_T4_T5_mT6_T7_P12ihipStream_tbENKUlT_T0_E_clISt17integral_constantIbLb0EESZ_EEDaSU_SV_EUlSU_E_NS1_11comp_targetILNS1_3genE9ELNS1_11target_archE1100ELNS1_3gpuE3ELNS1_3repE0EEENS1_30default_config_static_selectorELNS0_4arch9wavefront6targetE1EEEvT1_.kd
    .uniform_work_group_size: 1
    .uses_dynamic_stack: false
    .vgpr_count:     0
    .vgpr_spill_count: 0
    .wavefront_size: 64
  - .agpr_count:     0
    .args:
      - .offset:         0
        .size:           112
        .value_kind:     by_value
    .group_segment_fixed_size: 0
    .kernarg_segment_align: 8
    .kernarg_segment_size: 112
    .language:       OpenCL C
    .language_version:
      - 2
      - 0
    .max_flat_workgroup_size: 256
    .name:           _ZN7rocprim17ROCPRIM_400000_NS6detail17trampoline_kernelINS0_14default_configENS1_27scan_by_key_config_selectorIjjEEZZNS1_16scan_by_key_implILNS1_25lookback_scan_determinismE0ELb0ES3_N6thrust23THRUST_200600_302600_NS6detail15normal_iteratorINS9_10device_ptrIjEEEESE_SE_jNS9_4plusIvEENS9_8equal_toIvEEjEE10hipError_tPvRmT2_T3_T4_T5_mT6_T7_P12ihipStream_tbENKUlT_T0_E_clISt17integral_constantIbLb0EESZ_EEDaSU_SV_EUlSU_E_NS1_11comp_targetILNS1_3genE8ELNS1_11target_archE1030ELNS1_3gpuE2ELNS1_3repE0EEENS1_30default_config_static_selectorELNS0_4arch9wavefront6targetE1EEEvT1_
    .private_segment_fixed_size: 0
    .sgpr_count:     6
    .sgpr_spill_count: 0
    .symbol:         _ZN7rocprim17ROCPRIM_400000_NS6detail17trampoline_kernelINS0_14default_configENS1_27scan_by_key_config_selectorIjjEEZZNS1_16scan_by_key_implILNS1_25lookback_scan_determinismE0ELb0ES3_N6thrust23THRUST_200600_302600_NS6detail15normal_iteratorINS9_10device_ptrIjEEEESE_SE_jNS9_4plusIvEENS9_8equal_toIvEEjEE10hipError_tPvRmT2_T3_T4_T5_mT6_T7_P12ihipStream_tbENKUlT_T0_E_clISt17integral_constantIbLb0EESZ_EEDaSU_SV_EUlSU_E_NS1_11comp_targetILNS1_3genE8ELNS1_11target_archE1030ELNS1_3gpuE2ELNS1_3repE0EEENS1_30default_config_static_selectorELNS0_4arch9wavefront6targetE1EEEvT1_.kd
    .uniform_work_group_size: 1
    .uses_dynamic_stack: false
    .vgpr_count:     0
    .vgpr_spill_count: 0
    .wavefront_size: 64
  - .agpr_count:     0
    .args:
      - .address_space:  global
        .offset:         0
        .size:           8
        .value_kind:     global_buffer
      - .offset:         8
        .size:           4
        .value_kind:     by_value
      - .offset:         12
        .size:           4
        .value_kind:     by_value
      - .address_space:  global
        .offset:         16
        .size:           8
        .value_kind:     global_buffer
      - .address_space:  global
        .offset:         24
        .size:           8
        .value_kind:     global_buffer
      - .actual_access:  write_only
        .address_space:  global
        .offset:         32
        .size:           8
        .value_kind:     global_buffer
      - .offset:         40
        .size:           8
        .value_kind:     by_value
      - .offset:         48
        .size:           4
        .value_kind:     by_value
      - .address_space:  global
        .offset:         56
        .size:           8
        .value_kind:     global_buffer
      - .offset:         64
        .size:           4
        .value_kind:     hidden_block_count_x
      - .offset:         68
        .size:           4
        .value_kind:     hidden_block_count_y
      - .offset:         72
        .size:           4
        .value_kind:     hidden_block_count_z
      - .offset:         76
        .size:           2
        .value_kind:     hidden_group_size_x
      - .offset:         78
        .size:           2
        .value_kind:     hidden_group_size_y
      - .offset:         80
        .size:           2
        .value_kind:     hidden_group_size_z
      - .offset:         82
        .size:           2
        .value_kind:     hidden_remainder_x
      - .offset:         84
        .size:           2
        .value_kind:     hidden_remainder_y
      - .offset:         86
        .size:           2
        .value_kind:     hidden_remainder_z
      - .offset:         104
        .size:           8
        .value_kind:     hidden_global_offset_x
      - .offset:         112
        .size:           8
        .value_kind:     hidden_global_offset_y
      - .offset:         120
        .size:           8
        .value_kind:     hidden_global_offset_z
      - .offset:         128
        .size:           2
        .value_kind:     hidden_grid_dims
    .group_segment_fixed_size: 0
    .kernarg_segment_align: 8
    .kernarg_segment_size: 320
    .language:       OpenCL C
    .language_version:
      - 2
      - 0
    .max_flat_workgroup_size: 256
    .name:           _ZN7rocprim17ROCPRIM_400000_NS6detail30init_device_scan_by_key_kernelINS1_19lookback_scan_stateINS0_5tupleIJjbEEELb1ELb1EEEN6thrust23THRUST_200600_302600_NS6detail15normal_iteratorINS8_10device_ptrIjEEEEjNS1_16block_id_wrapperIjLb1EEEEEvT_jjPNSG_10value_typeET0_PNSt15iterator_traitsISJ_E10value_typeEmT1_T2_
    .private_segment_fixed_size: 0
    .sgpr_count:     26
    .sgpr_spill_count: 0
    .symbol:         _ZN7rocprim17ROCPRIM_400000_NS6detail30init_device_scan_by_key_kernelINS1_19lookback_scan_stateINS0_5tupleIJjbEEELb1ELb1EEEN6thrust23THRUST_200600_302600_NS6detail15normal_iteratorINS8_10device_ptrIjEEEEjNS1_16block_id_wrapperIjLb1EEEEEvT_jjPNSG_10value_typeET0_PNSt15iterator_traitsISJ_E10value_typeEmT1_T2_.kd
    .uniform_work_group_size: 1
    .uses_dynamic_stack: false
    .vgpr_count:     10
    .vgpr_spill_count: 0
    .wavefront_size: 64
  - .agpr_count:     0
    .args:
      - .offset:         0
        .size:           112
        .value_kind:     by_value
    .group_segment_fixed_size: 0
    .kernarg_segment_align: 8
    .kernarg_segment_size: 112
    .language:       OpenCL C
    .language_version:
      - 2
      - 0
    .max_flat_workgroup_size: 256
    .name:           _ZN7rocprim17ROCPRIM_400000_NS6detail17trampoline_kernelINS0_14default_configENS1_27scan_by_key_config_selectorIjjEEZZNS1_16scan_by_key_implILNS1_25lookback_scan_determinismE0ELb0ES3_N6thrust23THRUST_200600_302600_NS6detail15normal_iteratorINS9_10device_ptrIjEEEESE_SE_jNS9_4plusIvEENS9_8equal_toIvEEjEE10hipError_tPvRmT2_T3_T4_T5_mT6_T7_P12ihipStream_tbENKUlT_T0_E_clISt17integral_constantIbLb1EESZ_EEDaSU_SV_EUlSU_E_NS1_11comp_targetILNS1_3genE0ELNS1_11target_archE4294967295ELNS1_3gpuE0ELNS1_3repE0EEENS1_30default_config_static_selectorELNS0_4arch9wavefront6targetE1EEEvT1_
    .private_segment_fixed_size: 0
    .sgpr_count:     6
    .sgpr_spill_count: 0
    .symbol:         _ZN7rocprim17ROCPRIM_400000_NS6detail17trampoline_kernelINS0_14default_configENS1_27scan_by_key_config_selectorIjjEEZZNS1_16scan_by_key_implILNS1_25lookback_scan_determinismE0ELb0ES3_N6thrust23THRUST_200600_302600_NS6detail15normal_iteratorINS9_10device_ptrIjEEEESE_SE_jNS9_4plusIvEENS9_8equal_toIvEEjEE10hipError_tPvRmT2_T3_T4_T5_mT6_T7_P12ihipStream_tbENKUlT_T0_E_clISt17integral_constantIbLb1EESZ_EEDaSU_SV_EUlSU_E_NS1_11comp_targetILNS1_3genE0ELNS1_11target_archE4294967295ELNS1_3gpuE0ELNS1_3repE0EEENS1_30default_config_static_selectorELNS0_4arch9wavefront6targetE1EEEvT1_.kd
    .uniform_work_group_size: 1
    .uses_dynamic_stack: false
    .vgpr_count:     0
    .vgpr_spill_count: 0
    .wavefront_size: 64
  - .agpr_count:     0
    .args:
      - .offset:         0
        .size:           112
        .value_kind:     by_value
    .group_segment_fixed_size: 0
    .kernarg_segment_align: 8
    .kernarg_segment_size: 112
    .language:       OpenCL C
    .language_version:
      - 2
      - 0
    .max_flat_workgroup_size: 256
    .name:           _ZN7rocprim17ROCPRIM_400000_NS6detail17trampoline_kernelINS0_14default_configENS1_27scan_by_key_config_selectorIjjEEZZNS1_16scan_by_key_implILNS1_25lookback_scan_determinismE0ELb0ES3_N6thrust23THRUST_200600_302600_NS6detail15normal_iteratorINS9_10device_ptrIjEEEESE_SE_jNS9_4plusIvEENS9_8equal_toIvEEjEE10hipError_tPvRmT2_T3_T4_T5_mT6_T7_P12ihipStream_tbENKUlT_T0_E_clISt17integral_constantIbLb1EESZ_EEDaSU_SV_EUlSU_E_NS1_11comp_targetILNS1_3genE10ELNS1_11target_archE1201ELNS1_3gpuE5ELNS1_3repE0EEENS1_30default_config_static_selectorELNS0_4arch9wavefront6targetE1EEEvT1_
    .private_segment_fixed_size: 0
    .sgpr_count:     6
    .sgpr_spill_count: 0
    .symbol:         _ZN7rocprim17ROCPRIM_400000_NS6detail17trampoline_kernelINS0_14default_configENS1_27scan_by_key_config_selectorIjjEEZZNS1_16scan_by_key_implILNS1_25lookback_scan_determinismE0ELb0ES3_N6thrust23THRUST_200600_302600_NS6detail15normal_iteratorINS9_10device_ptrIjEEEESE_SE_jNS9_4plusIvEENS9_8equal_toIvEEjEE10hipError_tPvRmT2_T3_T4_T5_mT6_T7_P12ihipStream_tbENKUlT_T0_E_clISt17integral_constantIbLb1EESZ_EEDaSU_SV_EUlSU_E_NS1_11comp_targetILNS1_3genE10ELNS1_11target_archE1201ELNS1_3gpuE5ELNS1_3repE0EEENS1_30default_config_static_selectorELNS0_4arch9wavefront6targetE1EEEvT1_.kd
    .uniform_work_group_size: 1
    .uses_dynamic_stack: false
    .vgpr_count:     0
    .vgpr_spill_count: 0
    .wavefront_size: 64
  - .agpr_count:     0
    .args:
      - .offset:         0
        .size:           112
        .value_kind:     by_value
    .group_segment_fixed_size: 25600
    .kernarg_segment_align: 8
    .kernarg_segment_size: 112
    .language:       OpenCL C
    .language_version:
      - 2
      - 0
    .max_flat_workgroup_size: 256
    .name:           _ZN7rocprim17ROCPRIM_400000_NS6detail17trampoline_kernelINS0_14default_configENS1_27scan_by_key_config_selectorIjjEEZZNS1_16scan_by_key_implILNS1_25lookback_scan_determinismE0ELb0ES3_N6thrust23THRUST_200600_302600_NS6detail15normal_iteratorINS9_10device_ptrIjEEEESE_SE_jNS9_4plusIvEENS9_8equal_toIvEEjEE10hipError_tPvRmT2_T3_T4_T5_mT6_T7_P12ihipStream_tbENKUlT_T0_E_clISt17integral_constantIbLb1EESZ_EEDaSU_SV_EUlSU_E_NS1_11comp_targetILNS1_3genE5ELNS1_11target_archE942ELNS1_3gpuE9ELNS1_3repE0EEENS1_30default_config_static_selectorELNS0_4arch9wavefront6targetE1EEEvT1_
    .private_segment_fixed_size: 0
    .sgpr_count:     91
    .sgpr_spill_count: 0
    .symbol:         _ZN7rocprim17ROCPRIM_400000_NS6detail17trampoline_kernelINS0_14default_configENS1_27scan_by_key_config_selectorIjjEEZZNS1_16scan_by_key_implILNS1_25lookback_scan_determinismE0ELb0ES3_N6thrust23THRUST_200600_302600_NS6detail15normal_iteratorINS9_10device_ptrIjEEEESE_SE_jNS9_4plusIvEENS9_8equal_toIvEEjEE10hipError_tPvRmT2_T3_T4_T5_mT6_T7_P12ihipStream_tbENKUlT_T0_E_clISt17integral_constantIbLb1EESZ_EEDaSU_SV_EUlSU_E_NS1_11comp_targetILNS1_3genE5ELNS1_11target_archE942ELNS1_3gpuE9ELNS1_3repE0EEENS1_30default_config_static_selectorELNS0_4arch9wavefront6targetE1EEEvT1_.kd
    .uniform_work_group_size: 1
    .uses_dynamic_stack: false
    .vgpr_count:     81
    .vgpr_spill_count: 0
    .wavefront_size: 64
  - .agpr_count:     0
    .args:
      - .offset:         0
        .size:           112
        .value_kind:     by_value
    .group_segment_fixed_size: 0
    .kernarg_segment_align: 8
    .kernarg_segment_size: 112
    .language:       OpenCL C
    .language_version:
      - 2
      - 0
    .max_flat_workgroup_size: 256
    .name:           _ZN7rocprim17ROCPRIM_400000_NS6detail17trampoline_kernelINS0_14default_configENS1_27scan_by_key_config_selectorIjjEEZZNS1_16scan_by_key_implILNS1_25lookback_scan_determinismE0ELb0ES3_N6thrust23THRUST_200600_302600_NS6detail15normal_iteratorINS9_10device_ptrIjEEEESE_SE_jNS9_4plusIvEENS9_8equal_toIvEEjEE10hipError_tPvRmT2_T3_T4_T5_mT6_T7_P12ihipStream_tbENKUlT_T0_E_clISt17integral_constantIbLb1EESZ_EEDaSU_SV_EUlSU_E_NS1_11comp_targetILNS1_3genE4ELNS1_11target_archE910ELNS1_3gpuE8ELNS1_3repE0EEENS1_30default_config_static_selectorELNS0_4arch9wavefront6targetE1EEEvT1_
    .private_segment_fixed_size: 0
    .sgpr_count:     6
    .sgpr_spill_count: 0
    .symbol:         _ZN7rocprim17ROCPRIM_400000_NS6detail17trampoline_kernelINS0_14default_configENS1_27scan_by_key_config_selectorIjjEEZZNS1_16scan_by_key_implILNS1_25lookback_scan_determinismE0ELb0ES3_N6thrust23THRUST_200600_302600_NS6detail15normal_iteratorINS9_10device_ptrIjEEEESE_SE_jNS9_4plusIvEENS9_8equal_toIvEEjEE10hipError_tPvRmT2_T3_T4_T5_mT6_T7_P12ihipStream_tbENKUlT_T0_E_clISt17integral_constantIbLb1EESZ_EEDaSU_SV_EUlSU_E_NS1_11comp_targetILNS1_3genE4ELNS1_11target_archE910ELNS1_3gpuE8ELNS1_3repE0EEENS1_30default_config_static_selectorELNS0_4arch9wavefront6targetE1EEEvT1_.kd
    .uniform_work_group_size: 1
    .uses_dynamic_stack: false
    .vgpr_count:     0
    .vgpr_spill_count: 0
    .wavefront_size: 64
  - .agpr_count:     0
    .args:
      - .offset:         0
        .size:           112
        .value_kind:     by_value
    .group_segment_fixed_size: 0
    .kernarg_segment_align: 8
    .kernarg_segment_size: 112
    .language:       OpenCL C
    .language_version:
      - 2
      - 0
    .max_flat_workgroup_size: 256
    .name:           _ZN7rocprim17ROCPRIM_400000_NS6detail17trampoline_kernelINS0_14default_configENS1_27scan_by_key_config_selectorIjjEEZZNS1_16scan_by_key_implILNS1_25lookback_scan_determinismE0ELb0ES3_N6thrust23THRUST_200600_302600_NS6detail15normal_iteratorINS9_10device_ptrIjEEEESE_SE_jNS9_4plusIvEENS9_8equal_toIvEEjEE10hipError_tPvRmT2_T3_T4_T5_mT6_T7_P12ihipStream_tbENKUlT_T0_E_clISt17integral_constantIbLb1EESZ_EEDaSU_SV_EUlSU_E_NS1_11comp_targetILNS1_3genE3ELNS1_11target_archE908ELNS1_3gpuE7ELNS1_3repE0EEENS1_30default_config_static_selectorELNS0_4arch9wavefront6targetE1EEEvT1_
    .private_segment_fixed_size: 0
    .sgpr_count:     6
    .sgpr_spill_count: 0
    .symbol:         _ZN7rocprim17ROCPRIM_400000_NS6detail17trampoline_kernelINS0_14default_configENS1_27scan_by_key_config_selectorIjjEEZZNS1_16scan_by_key_implILNS1_25lookback_scan_determinismE0ELb0ES3_N6thrust23THRUST_200600_302600_NS6detail15normal_iteratorINS9_10device_ptrIjEEEESE_SE_jNS9_4plusIvEENS9_8equal_toIvEEjEE10hipError_tPvRmT2_T3_T4_T5_mT6_T7_P12ihipStream_tbENKUlT_T0_E_clISt17integral_constantIbLb1EESZ_EEDaSU_SV_EUlSU_E_NS1_11comp_targetILNS1_3genE3ELNS1_11target_archE908ELNS1_3gpuE7ELNS1_3repE0EEENS1_30default_config_static_selectorELNS0_4arch9wavefront6targetE1EEEvT1_.kd
    .uniform_work_group_size: 1
    .uses_dynamic_stack: false
    .vgpr_count:     0
    .vgpr_spill_count: 0
    .wavefront_size: 64
  - .agpr_count:     0
    .args:
      - .offset:         0
        .size:           112
        .value_kind:     by_value
    .group_segment_fixed_size: 0
    .kernarg_segment_align: 8
    .kernarg_segment_size: 112
    .language:       OpenCL C
    .language_version:
      - 2
      - 0
    .max_flat_workgroup_size: 256
    .name:           _ZN7rocprim17ROCPRIM_400000_NS6detail17trampoline_kernelINS0_14default_configENS1_27scan_by_key_config_selectorIjjEEZZNS1_16scan_by_key_implILNS1_25lookback_scan_determinismE0ELb0ES3_N6thrust23THRUST_200600_302600_NS6detail15normal_iteratorINS9_10device_ptrIjEEEESE_SE_jNS9_4plusIvEENS9_8equal_toIvEEjEE10hipError_tPvRmT2_T3_T4_T5_mT6_T7_P12ihipStream_tbENKUlT_T0_E_clISt17integral_constantIbLb1EESZ_EEDaSU_SV_EUlSU_E_NS1_11comp_targetILNS1_3genE2ELNS1_11target_archE906ELNS1_3gpuE6ELNS1_3repE0EEENS1_30default_config_static_selectorELNS0_4arch9wavefront6targetE1EEEvT1_
    .private_segment_fixed_size: 0
    .sgpr_count:     6
    .sgpr_spill_count: 0
    .symbol:         _ZN7rocprim17ROCPRIM_400000_NS6detail17trampoline_kernelINS0_14default_configENS1_27scan_by_key_config_selectorIjjEEZZNS1_16scan_by_key_implILNS1_25lookback_scan_determinismE0ELb0ES3_N6thrust23THRUST_200600_302600_NS6detail15normal_iteratorINS9_10device_ptrIjEEEESE_SE_jNS9_4plusIvEENS9_8equal_toIvEEjEE10hipError_tPvRmT2_T3_T4_T5_mT6_T7_P12ihipStream_tbENKUlT_T0_E_clISt17integral_constantIbLb1EESZ_EEDaSU_SV_EUlSU_E_NS1_11comp_targetILNS1_3genE2ELNS1_11target_archE906ELNS1_3gpuE6ELNS1_3repE0EEENS1_30default_config_static_selectorELNS0_4arch9wavefront6targetE1EEEvT1_.kd
    .uniform_work_group_size: 1
    .uses_dynamic_stack: false
    .vgpr_count:     0
    .vgpr_spill_count: 0
    .wavefront_size: 64
  - .agpr_count:     0
    .args:
      - .offset:         0
        .size:           112
        .value_kind:     by_value
    .group_segment_fixed_size: 0
    .kernarg_segment_align: 8
    .kernarg_segment_size: 112
    .language:       OpenCL C
    .language_version:
      - 2
      - 0
    .max_flat_workgroup_size: 256
    .name:           _ZN7rocprim17ROCPRIM_400000_NS6detail17trampoline_kernelINS0_14default_configENS1_27scan_by_key_config_selectorIjjEEZZNS1_16scan_by_key_implILNS1_25lookback_scan_determinismE0ELb0ES3_N6thrust23THRUST_200600_302600_NS6detail15normal_iteratorINS9_10device_ptrIjEEEESE_SE_jNS9_4plusIvEENS9_8equal_toIvEEjEE10hipError_tPvRmT2_T3_T4_T5_mT6_T7_P12ihipStream_tbENKUlT_T0_E_clISt17integral_constantIbLb1EESZ_EEDaSU_SV_EUlSU_E_NS1_11comp_targetILNS1_3genE10ELNS1_11target_archE1200ELNS1_3gpuE4ELNS1_3repE0EEENS1_30default_config_static_selectorELNS0_4arch9wavefront6targetE1EEEvT1_
    .private_segment_fixed_size: 0
    .sgpr_count:     6
    .sgpr_spill_count: 0
    .symbol:         _ZN7rocprim17ROCPRIM_400000_NS6detail17trampoline_kernelINS0_14default_configENS1_27scan_by_key_config_selectorIjjEEZZNS1_16scan_by_key_implILNS1_25lookback_scan_determinismE0ELb0ES3_N6thrust23THRUST_200600_302600_NS6detail15normal_iteratorINS9_10device_ptrIjEEEESE_SE_jNS9_4plusIvEENS9_8equal_toIvEEjEE10hipError_tPvRmT2_T3_T4_T5_mT6_T7_P12ihipStream_tbENKUlT_T0_E_clISt17integral_constantIbLb1EESZ_EEDaSU_SV_EUlSU_E_NS1_11comp_targetILNS1_3genE10ELNS1_11target_archE1200ELNS1_3gpuE4ELNS1_3repE0EEENS1_30default_config_static_selectorELNS0_4arch9wavefront6targetE1EEEvT1_.kd
    .uniform_work_group_size: 1
    .uses_dynamic_stack: false
    .vgpr_count:     0
    .vgpr_spill_count: 0
    .wavefront_size: 64
  - .agpr_count:     0
    .args:
      - .offset:         0
        .size:           112
        .value_kind:     by_value
    .group_segment_fixed_size: 0
    .kernarg_segment_align: 8
    .kernarg_segment_size: 112
    .language:       OpenCL C
    .language_version:
      - 2
      - 0
    .max_flat_workgroup_size: 256
    .name:           _ZN7rocprim17ROCPRIM_400000_NS6detail17trampoline_kernelINS0_14default_configENS1_27scan_by_key_config_selectorIjjEEZZNS1_16scan_by_key_implILNS1_25lookback_scan_determinismE0ELb0ES3_N6thrust23THRUST_200600_302600_NS6detail15normal_iteratorINS9_10device_ptrIjEEEESE_SE_jNS9_4plusIvEENS9_8equal_toIvEEjEE10hipError_tPvRmT2_T3_T4_T5_mT6_T7_P12ihipStream_tbENKUlT_T0_E_clISt17integral_constantIbLb1EESZ_EEDaSU_SV_EUlSU_E_NS1_11comp_targetILNS1_3genE9ELNS1_11target_archE1100ELNS1_3gpuE3ELNS1_3repE0EEENS1_30default_config_static_selectorELNS0_4arch9wavefront6targetE1EEEvT1_
    .private_segment_fixed_size: 0
    .sgpr_count:     6
    .sgpr_spill_count: 0
    .symbol:         _ZN7rocprim17ROCPRIM_400000_NS6detail17trampoline_kernelINS0_14default_configENS1_27scan_by_key_config_selectorIjjEEZZNS1_16scan_by_key_implILNS1_25lookback_scan_determinismE0ELb0ES3_N6thrust23THRUST_200600_302600_NS6detail15normal_iteratorINS9_10device_ptrIjEEEESE_SE_jNS9_4plusIvEENS9_8equal_toIvEEjEE10hipError_tPvRmT2_T3_T4_T5_mT6_T7_P12ihipStream_tbENKUlT_T0_E_clISt17integral_constantIbLb1EESZ_EEDaSU_SV_EUlSU_E_NS1_11comp_targetILNS1_3genE9ELNS1_11target_archE1100ELNS1_3gpuE3ELNS1_3repE0EEENS1_30default_config_static_selectorELNS0_4arch9wavefront6targetE1EEEvT1_.kd
    .uniform_work_group_size: 1
    .uses_dynamic_stack: false
    .vgpr_count:     0
    .vgpr_spill_count: 0
    .wavefront_size: 64
  - .agpr_count:     0
    .args:
      - .offset:         0
        .size:           112
        .value_kind:     by_value
    .group_segment_fixed_size: 0
    .kernarg_segment_align: 8
    .kernarg_segment_size: 112
    .language:       OpenCL C
    .language_version:
      - 2
      - 0
    .max_flat_workgroup_size: 256
    .name:           _ZN7rocprim17ROCPRIM_400000_NS6detail17trampoline_kernelINS0_14default_configENS1_27scan_by_key_config_selectorIjjEEZZNS1_16scan_by_key_implILNS1_25lookback_scan_determinismE0ELb0ES3_N6thrust23THRUST_200600_302600_NS6detail15normal_iteratorINS9_10device_ptrIjEEEESE_SE_jNS9_4plusIvEENS9_8equal_toIvEEjEE10hipError_tPvRmT2_T3_T4_T5_mT6_T7_P12ihipStream_tbENKUlT_T0_E_clISt17integral_constantIbLb1EESZ_EEDaSU_SV_EUlSU_E_NS1_11comp_targetILNS1_3genE8ELNS1_11target_archE1030ELNS1_3gpuE2ELNS1_3repE0EEENS1_30default_config_static_selectorELNS0_4arch9wavefront6targetE1EEEvT1_
    .private_segment_fixed_size: 0
    .sgpr_count:     6
    .sgpr_spill_count: 0
    .symbol:         _ZN7rocprim17ROCPRIM_400000_NS6detail17trampoline_kernelINS0_14default_configENS1_27scan_by_key_config_selectorIjjEEZZNS1_16scan_by_key_implILNS1_25lookback_scan_determinismE0ELb0ES3_N6thrust23THRUST_200600_302600_NS6detail15normal_iteratorINS9_10device_ptrIjEEEESE_SE_jNS9_4plusIvEENS9_8equal_toIvEEjEE10hipError_tPvRmT2_T3_T4_T5_mT6_T7_P12ihipStream_tbENKUlT_T0_E_clISt17integral_constantIbLb1EESZ_EEDaSU_SV_EUlSU_E_NS1_11comp_targetILNS1_3genE8ELNS1_11target_archE1030ELNS1_3gpuE2ELNS1_3repE0EEENS1_30default_config_static_selectorELNS0_4arch9wavefront6targetE1EEEvT1_.kd
    .uniform_work_group_size: 1
    .uses_dynamic_stack: false
    .vgpr_count:     0
    .vgpr_spill_count: 0
    .wavefront_size: 64
  - .agpr_count:     0
    .args:
      - .address_space:  global
        .offset:         0
        .size:           8
        .value_kind:     global_buffer
      - .offset:         8
        .size:           4
        .value_kind:     by_value
      - .offset:         12
        .size:           4
        .value_kind:     by_value
      - .address_space:  global
        .offset:         16
        .size:           8
        .value_kind:     global_buffer
      - .address_space:  global
        .offset:         24
        .size:           8
        .value_kind:     global_buffer
      - .actual_access:  write_only
        .address_space:  global
        .offset:         32
        .size:           8
        .value_kind:     global_buffer
      - .offset:         40
        .size:           8
        .value_kind:     by_value
      - .offset:         48
        .size:           4
        .value_kind:     by_value
      - .offset:         52
        .size:           1
        .value_kind:     by_value
      - .offset:         56
        .size:           4
        .value_kind:     hidden_block_count_x
      - .offset:         60
        .size:           4
        .value_kind:     hidden_block_count_y
      - .offset:         64
        .size:           4
        .value_kind:     hidden_block_count_z
      - .offset:         68
        .size:           2
        .value_kind:     hidden_group_size_x
      - .offset:         70
        .size:           2
        .value_kind:     hidden_group_size_y
      - .offset:         72
        .size:           2
        .value_kind:     hidden_group_size_z
      - .offset:         74
        .size:           2
        .value_kind:     hidden_remainder_x
      - .offset:         76
        .size:           2
        .value_kind:     hidden_remainder_y
      - .offset:         78
        .size:           2
        .value_kind:     hidden_remainder_z
      - .offset:         96
        .size:           8
        .value_kind:     hidden_global_offset_x
      - .offset:         104
        .size:           8
        .value_kind:     hidden_global_offset_y
      - .offset:         112
        .size:           8
        .value_kind:     hidden_global_offset_z
      - .offset:         120
        .size:           2
        .value_kind:     hidden_grid_dims
    .group_segment_fixed_size: 0
    .kernarg_segment_align: 8
    .kernarg_segment_size: 312
    .language:       OpenCL C
    .language_version:
      - 2
      - 0
    .max_flat_workgroup_size: 256
    .name:           _ZN7rocprim17ROCPRIM_400000_NS6detail30init_device_scan_by_key_kernelINS1_19lookback_scan_stateINS0_5tupleIJjbEEELb1ELb1EEEN6thrust23THRUST_200600_302600_NS6detail15normal_iteratorINS8_10device_ptrIjEEEEjNS1_16block_id_wrapperIjLb0EEEEEvT_jjPNSG_10value_typeET0_PNSt15iterator_traitsISJ_E10value_typeEmT1_T2_
    .private_segment_fixed_size: 0
    .sgpr_count:     26
    .sgpr_spill_count: 0
    .symbol:         _ZN7rocprim17ROCPRIM_400000_NS6detail30init_device_scan_by_key_kernelINS1_19lookback_scan_stateINS0_5tupleIJjbEEELb1ELb1EEEN6thrust23THRUST_200600_302600_NS6detail15normal_iteratorINS8_10device_ptrIjEEEEjNS1_16block_id_wrapperIjLb0EEEEEvT_jjPNSG_10value_typeET0_PNSt15iterator_traitsISJ_E10value_typeEmT1_T2_.kd
    .uniform_work_group_size: 1
    .uses_dynamic_stack: false
    .vgpr_count:     10
    .vgpr_spill_count: 0
    .wavefront_size: 64
  - .agpr_count:     0
    .args:
      - .offset:         0
        .size:           112
        .value_kind:     by_value
    .group_segment_fixed_size: 0
    .kernarg_segment_align: 8
    .kernarg_segment_size: 112
    .language:       OpenCL C
    .language_version:
      - 2
      - 0
    .max_flat_workgroup_size: 256
    .name:           _ZN7rocprim17ROCPRIM_400000_NS6detail17trampoline_kernelINS0_14default_configENS1_27scan_by_key_config_selectorIjjEEZZNS1_16scan_by_key_implILNS1_25lookback_scan_determinismE0ELb0ES3_N6thrust23THRUST_200600_302600_NS6detail15normal_iteratorINS9_10device_ptrIjEEEESE_SE_jNS9_4plusIvEENS9_8equal_toIvEEjEE10hipError_tPvRmT2_T3_T4_T5_mT6_T7_P12ihipStream_tbENKUlT_T0_E_clISt17integral_constantIbLb1EESY_IbLb0EEEEDaSU_SV_EUlSU_E_NS1_11comp_targetILNS1_3genE0ELNS1_11target_archE4294967295ELNS1_3gpuE0ELNS1_3repE0EEENS1_30default_config_static_selectorELNS0_4arch9wavefront6targetE1EEEvT1_
    .private_segment_fixed_size: 0
    .sgpr_count:     6
    .sgpr_spill_count: 0
    .symbol:         _ZN7rocprim17ROCPRIM_400000_NS6detail17trampoline_kernelINS0_14default_configENS1_27scan_by_key_config_selectorIjjEEZZNS1_16scan_by_key_implILNS1_25lookback_scan_determinismE0ELb0ES3_N6thrust23THRUST_200600_302600_NS6detail15normal_iteratorINS9_10device_ptrIjEEEESE_SE_jNS9_4plusIvEENS9_8equal_toIvEEjEE10hipError_tPvRmT2_T3_T4_T5_mT6_T7_P12ihipStream_tbENKUlT_T0_E_clISt17integral_constantIbLb1EESY_IbLb0EEEEDaSU_SV_EUlSU_E_NS1_11comp_targetILNS1_3genE0ELNS1_11target_archE4294967295ELNS1_3gpuE0ELNS1_3repE0EEENS1_30default_config_static_selectorELNS0_4arch9wavefront6targetE1EEEvT1_.kd
    .uniform_work_group_size: 1
    .uses_dynamic_stack: false
    .vgpr_count:     0
    .vgpr_spill_count: 0
    .wavefront_size: 64
  - .agpr_count:     0
    .args:
      - .offset:         0
        .size:           112
        .value_kind:     by_value
    .group_segment_fixed_size: 0
    .kernarg_segment_align: 8
    .kernarg_segment_size: 112
    .language:       OpenCL C
    .language_version:
      - 2
      - 0
    .max_flat_workgroup_size: 256
    .name:           _ZN7rocprim17ROCPRIM_400000_NS6detail17trampoline_kernelINS0_14default_configENS1_27scan_by_key_config_selectorIjjEEZZNS1_16scan_by_key_implILNS1_25lookback_scan_determinismE0ELb0ES3_N6thrust23THRUST_200600_302600_NS6detail15normal_iteratorINS9_10device_ptrIjEEEESE_SE_jNS9_4plusIvEENS9_8equal_toIvEEjEE10hipError_tPvRmT2_T3_T4_T5_mT6_T7_P12ihipStream_tbENKUlT_T0_E_clISt17integral_constantIbLb1EESY_IbLb0EEEEDaSU_SV_EUlSU_E_NS1_11comp_targetILNS1_3genE10ELNS1_11target_archE1201ELNS1_3gpuE5ELNS1_3repE0EEENS1_30default_config_static_selectorELNS0_4arch9wavefront6targetE1EEEvT1_
    .private_segment_fixed_size: 0
    .sgpr_count:     6
    .sgpr_spill_count: 0
    .symbol:         _ZN7rocprim17ROCPRIM_400000_NS6detail17trampoline_kernelINS0_14default_configENS1_27scan_by_key_config_selectorIjjEEZZNS1_16scan_by_key_implILNS1_25lookback_scan_determinismE0ELb0ES3_N6thrust23THRUST_200600_302600_NS6detail15normal_iteratorINS9_10device_ptrIjEEEESE_SE_jNS9_4plusIvEENS9_8equal_toIvEEjEE10hipError_tPvRmT2_T3_T4_T5_mT6_T7_P12ihipStream_tbENKUlT_T0_E_clISt17integral_constantIbLb1EESY_IbLb0EEEEDaSU_SV_EUlSU_E_NS1_11comp_targetILNS1_3genE10ELNS1_11target_archE1201ELNS1_3gpuE5ELNS1_3repE0EEENS1_30default_config_static_selectorELNS0_4arch9wavefront6targetE1EEEvT1_.kd
    .uniform_work_group_size: 1
    .uses_dynamic_stack: false
    .vgpr_count:     0
    .vgpr_spill_count: 0
    .wavefront_size: 64
  - .agpr_count:     0
    .args:
      - .offset:         0
        .size:           112
        .value_kind:     by_value
    .group_segment_fixed_size: 25600
    .kernarg_segment_align: 8
    .kernarg_segment_size: 112
    .language:       OpenCL C
    .language_version:
      - 2
      - 0
    .max_flat_workgroup_size: 256
    .name:           _ZN7rocprim17ROCPRIM_400000_NS6detail17trampoline_kernelINS0_14default_configENS1_27scan_by_key_config_selectorIjjEEZZNS1_16scan_by_key_implILNS1_25lookback_scan_determinismE0ELb0ES3_N6thrust23THRUST_200600_302600_NS6detail15normal_iteratorINS9_10device_ptrIjEEEESE_SE_jNS9_4plusIvEENS9_8equal_toIvEEjEE10hipError_tPvRmT2_T3_T4_T5_mT6_T7_P12ihipStream_tbENKUlT_T0_E_clISt17integral_constantIbLb1EESY_IbLb0EEEEDaSU_SV_EUlSU_E_NS1_11comp_targetILNS1_3genE5ELNS1_11target_archE942ELNS1_3gpuE9ELNS1_3repE0EEENS1_30default_config_static_selectorELNS0_4arch9wavefront6targetE1EEEvT1_
    .private_segment_fixed_size: 0
    .sgpr_count:     88
    .sgpr_spill_count: 0
    .symbol:         _ZN7rocprim17ROCPRIM_400000_NS6detail17trampoline_kernelINS0_14default_configENS1_27scan_by_key_config_selectorIjjEEZZNS1_16scan_by_key_implILNS1_25lookback_scan_determinismE0ELb0ES3_N6thrust23THRUST_200600_302600_NS6detail15normal_iteratorINS9_10device_ptrIjEEEESE_SE_jNS9_4plusIvEENS9_8equal_toIvEEjEE10hipError_tPvRmT2_T3_T4_T5_mT6_T7_P12ihipStream_tbENKUlT_T0_E_clISt17integral_constantIbLb1EESY_IbLb0EEEEDaSU_SV_EUlSU_E_NS1_11comp_targetILNS1_3genE5ELNS1_11target_archE942ELNS1_3gpuE9ELNS1_3repE0EEENS1_30default_config_static_selectorELNS0_4arch9wavefront6targetE1EEEvT1_.kd
    .uniform_work_group_size: 1
    .uses_dynamic_stack: false
    .vgpr_count:     81
    .vgpr_spill_count: 0
    .wavefront_size: 64
  - .agpr_count:     0
    .args:
      - .offset:         0
        .size:           112
        .value_kind:     by_value
    .group_segment_fixed_size: 0
    .kernarg_segment_align: 8
    .kernarg_segment_size: 112
    .language:       OpenCL C
    .language_version:
      - 2
      - 0
    .max_flat_workgroup_size: 256
    .name:           _ZN7rocprim17ROCPRIM_400000_NS6detail17trampoline_kernelINS0_14default_configENS1_27scan_by_key_config_selectorIjjEEZZNS1_16scan_by_key_implILNS1_25lookback_scan_determinismE0ELb0ES3_N6thrust23THRUST_200600_302600_NS6detail15normal_iteratorINS9_10device_ptrIjEEEESE_SE_jNS9_4plusIvEENS9_8equal_toIvEEjEE10hipError_tPvRmT2_T3_T4_T5_mT6_T7_P12ihipStream_tbENKUlT_T0_E_clISt17integral_constantIbLb1EESY_IbLb0EEEEDaSU_SV_EUlSU_E_NS1_11comp_targetILNS1_3genE4ELNS1_11target_archE910ELNS1_3gpuE8ELNS1_3repE0EEENS1_30default_config_static_selectorELNS0_4arch9wavefront6targetE1EEEvT1_
    .private_segment_fixed_size: 0
    .sgpr_count:     6
    .sgpr_spill_count: 0
    .symbol:         _ZN7rocprim17ROCPRIM_400000_NS6detail17trampoline_kernelINS0_14default_configENS1_27scan_by_key_config_selectorIjjEEZZNS1_16scan_by_key_implILNS1_25lookback_scan_determinismE0ELb0ES3_N6thrust23THRUST_200600_302600_NS6detail15normal_iteratorINS9_10device_ptrIjEEEESE_SE_jNS9_4plusIvEENS9_8equal_toIvEEjEE10hipError_tPvRmT2_T3_T4_T5_mT6_T7_P12ihipStream_tbENKUlT_T0_E_clISt17integral_constantIbLb1EESY_IbLb0EEEEDaSU_SV_EUlSU_E_NS1_11comp_targetILNS1_3genE4ELNS1_11target_archE910ELNS1_3gpuE8ELNS1_3repE0EEENS1_30default_config_static_selectorELNS0_4arch9wavefront6targetE1EEEvT1_.kd
    .uniform_work_group_size: 1
    .uses_dynamic_stack: false
    .vgpr_count:     0
    .vgpr_spill_count: 0
    .wavefront_size: 64
  - .agpr_count:     0
    .args:
      - .offset:         0
        .size:           112
        .value_kind:     by_value
    .group_segment_fixed_size: 0
    .kernarg_segment_align: 8
    .kernarg_segment_size: 112
    .language:       OpenCL C
    .language_version:
      - 2
      - 0
    .max_flat_workgroup_size: 256
    .name:           _ZN7rocprim17ROCPRIM_400000_NS6detail17trampoline_kernelINS0_14default_configENS1_27scan_by_key_config_selectorIjjEEZZNS1_16scan_by_key_implILNS1_25lookback_scan_determinismE0ELb0ES3_N6thrust23THRUST_200600_302600_NS6detail15normal_iteratorINS9_10device_ptrIjEEEESE_SE_jNS9_4plusIvEENS9_8equal_toIvEEjEE10hipError_tPvRmT2_T3_T4_T5_mT6_T7_P12ihipStream_tbENKUlT_T0_E_clISt17integral_constantIbLb1EESY_IbLb0EEEEDaSU_SV_EUlSU_E_NS1_11comp_targetILNS1_3genE3ELNS1_11target_archE908ELNS1_3gpuE7ELNS1_3repE0EEENS1_30default_config_static_selectorELNS0_4arch9wavefront6targetE1EEEvT1_
    .private_segment_fixed_size: 0
    .sgpr_count:     6
    .sgpr_spill_count: 0
    .symbol:         _ZN7rocprim17ROCPRIM_400000_NS6detail17trampoline_kernelINS0_14default_configENS1_27scan_by_key_config_selectorIjjEEZZNS1_16scan_by_key_implILNS1_25lookback_scan_determinismE0ELb0ES3_N6thrust23THRUST_200600_302600_NS6detail15normal_iteratorINS9_10device_ptrIjEEEESE_SE_jNS9_4plusIvEENS9_8equal_toIvEEjEE10hipError_tPvRmT2_T3_T4_T5_mT6_T7_P12ihipStream_tbENKUlT_T0_E_clISt17integral_constantIbLb1EESY_IbLb0EEEEDaSU_SV_EUlSU_E_NS1_11comp_targetILNS1_3genE3ELNS1_11target_archE908ELNS1_3gpuE7ELNS1_3repE0EEENS1_30default_config_static_selectorELNS0_4arch9wavefront6targetE1EEEvT1_.kd
    .uniform_work_group_size: 1
    .uses_dynamic_stack: false
    .vgpr_count:     0
    .vgpr_spill_count: 0
    .wavefront_size: 64
  - .agpr_count:     0
    .args:
      - .offset:         0
        .size:           112
        .value_kind:     by_value
    .group_segment_fixed_size: 0
    .kernarg_segment_align: 8
    .kernarg_segment_size: 112
    .language:       OpenCL C
    .language_version:
      - 2
      - 0
    .max_flat_workgroup_size: 256
    .name:           _ZN7rocprim17ROCPRIM_400000_NS6detail17trampoline_kernelINS0_14default_configENS1_27scan_by_key_config_selectorIjjEEZZNS1_16scan_by_key_implILNS1_25lookback_scan_determinismE0ELb0ES3_N6thrust23THRUST_200600_302600_NS6detail15normal_iteratorINS9_10device_ptrIjEEEESE_SE_jNS9_4plusIvEENS9_8equal_toIvEEjEE10hipError_tPvRmT2_T3_T4_T5_mT6_T7_P12ihipStream_tbENKUlT_T0_E_clISt17integral_constantIbLb1EESY_IbLb0EEEEDaSU_SV_EUlSU_E_NS1_11comp_targetILNS1_3genE2ELNS1_11target_archE906ELNS1_3gpuE6ELNS1_3repE0EEENS1_30default_config_static_selectorELNS0_4arch9wavefront6targetE1EEEvT1_
    .private_segment_fixed_size: 0
    .sgpr_count:     6
    .sgpr_spill_count: 0
    .symbol:         _ZN7rocprim17ROCPRIM_400000_NS6detail17trampoline_kernelINS0_14default_configENS1_27scan_by_key_config_selectorIjjEEZZNS1_16scan_by_key_implILNS1_25lookback_scan_determinismE0ELb0ES3_N6thrust23THRUST_200600_302600_NS6detail15normal_iteratorINS9_10device_ptrIjEEEESE_SE_jNS9_4plusIvEENS9_8equal_toIvEEjEE10hipError_tPvRmT2_T3_T4_T5_mT6_T7_P12ihipStream_tbENKUlT_T0_E_clISt17integral_constantIbLb1EESY_IbLb0EEEEDaSU_SV_EUlSU_E_NS1_11comp_targetILNS1_3genE2ELNS1_11target_archE906ELNS1_3gpuE6ELNS1_3repE0EEENS1_30default_config_static_selectorELNS0_4arch9wavefront6targetE1EEEvT1_.kd
    .uniform_work_group_size: 1
    .uses_dynamic_stack: false
    .vgpr_count:     0
    .vgpr_spill_count: 0
    .wavefront_size: 64
  - .agpr_count:     0
    .args:
      - .offset:         0
        .size:           112
        .value_kind:     by_value
    .group_segment_fixed_size: 0
    .kernarg_segment_align: 8
    .kernarg_segment_size: 112
    .language:       OpenCL C
    .language_version:
      - 2
      - 0
    .max_flat_workgroup_size: 256
    .name:           _ZN7rocprim17ROCPRIM_400000_NS6detail17trampoline_kernelINS0_14default_configENS1_27scan_by_key_config_selectorIjjEEZZNS1_16scan_by_key_implILNS1_25lookback_scan_determinismE0ELb0ES3_N6thrust23THRUST_200600_302600_NS6detail15normal_iteratorINS9_10device_ptrIjEEEESE_SE_jNS9_4plusIvEENS9_8equal_toIvEEjEE10hipError_tPvRmT2_T3_T4_T5_mT6_T7_P12ihipStream_tbENKUlT_T0_E_clISt17integral_constantIbLb1EESY_IbLb0EEEEDaSU_SV_EUlSU_E_NS1_11comp_targetILNS1_3genE10ELNS1_11target_archE1200ELNS1_3gpuE4ELNS1_3repE0EEENS1_30default_config_static_selectorELNS0_4arch9wavefront6targetE1EEEvT1_
    .private_segment_fixed_size: 0
    .sgpr_count:     6
    .sgpr_spill_count: 0
    .symbol:         _ZN7rocprim17ROCPRIM_400000_NS6detail17trampoline_kernelINS0_14default_configENS1_27scan_by_key_config_selectorIjjEEZZNS1_16scan_by_key_implILNS1_25lookback_scan_determinismE0ELb0ES3_N6thrust23THRUST_200600_302600_NS6detail15normal_iteratorINS9_10device_ptrIjEEEESE_SE_jNS9_4plusIvEENS9_8equal_toIvEEjEE10hipError_tPvRmT2_T3_T4_T5_mT6_T7_P12ihipStream_tbENKUlT_T0_E_clISt17integral_constantIbLb1EESY_IbLb0EEEEDaSU_SV_EUlSU_E_NS1_11comp_targetILNS1_3genE10ELNS1_11target_archE1200ELNS1_3gpuE4ELNS1_3repE0EEENS1_30default_config_static_selectorELNS0_4arch9wavefront6targetE1EEEvT1_.kd
    .uniform_work_group_size: 1
    .uses_dynamic_stack: false
    .vgpr_count:     0
    .vgpr_spill_count: 0
    .wavefront_size: 64
  - .agpr_count:     0
    .args:
      - .offset:         0
        .size:           112
        .value_kind:     by_value
    .group_segment_fixed_size: 0
    .kernarg_segment_align: 8
    .kernarg_segment_size: 112
    .language:       OpenCL C
    .language_version:
      - 2
      - 0
    .max_flat_workgroup_size: 256
    .name:           _ZN7rocprim17ROCPRIM_400000_NS6detail17trampoline_kernelINS0_14default_configENS1_27scan_by_key_config_selectorIjjEEZZNS1_16scan_by_key_implILNS1_25lookback_scan_determinismE0ELb0ES3_N6thrust23THRUST_200600_302600_NS6detail15normal_iteratorINS9_10device_ptrIjEEEESE_SE_jNS9_4plusIvEENS9_8equal_toIvEEjEE10hipError_tPvRmT2_T3_T4_T5_mT6_T7_P12ihipStream_tbENKUlT_T0_E_clISt17integral_constantIbLb1EESY_IbLb0EEEEDaSU_SV_EUlSU_E_NS1_11comp_targetILNS1_3genE9ELNS1_11target_archE1100ELNS1_3gpuE3ELNS1_3repE0EEENS1_30default_config_static_selectorELNS0_4arch9wavefront6targetE1EEEvT1_
    .private_segment_fixed_size: 0
    .sgpr_count:     6
    .sgpr_spill_count: 0
    .symbol:         _ZN7rocprim17ROCPRIM_400000_NS6detail17trampoline_kernelINS0_14default_configENS1_27scan_by_key_config_selectorIjjEEZZNS1_16scan_by_key_implILNS1_25lookback_scan_determinismE0ELb0ES3_N6thrust23THRUST_200600_302600_NS6detail15normal_iteratorINS9_10device_ptrIjEEEESE_SE_jNS9_4plusIvEENS9_8equal_toIvEEjEE10hipError_tPvRmT2_T3_T4_T5_mT6_T7_P12ihipStream_tbENKUlT_T0_E_clISt17integral_constantIbLb1EESY_IbLb0EEEEDaSU_SV_EUlSU_E_NS1_11comp_targetILNS1_3genE9ELNS1_11target_archE1100ELNS1_3gpuE3ELNS1_3repE0EEENS1_30default_config_static_selectorELNS0_4arch9wavefront6targetE1EEEvT1_.kd
    .uniform_work_group_size: 1
    .uses_dynamic_stack: false
    .vgpr_count:     0
    .vgpr_spill_count: 0
    .wavefront_size: 64
  - .agpr_count:     0
    .args:
      - .offset:         0
        .size:           112
        .value_kind:     by_value
    .group_segment_fixed_size: 0
    .kernarg_segment_align: 8
    .kernarg_segment_size: 112
    .language:       OpenCL C
    .language_version:
      - 2
      - 0
    .max_flat_workgroup_size: 256
    .name:           _ZN7rocprim17ROCPRIM_400000_NS6detail17trampoline_kernelINS0_14default_configENS1_27scan_by_key_config_selectorIjjEEZZNS1_16scan_by_key_implILNS1_25lookback_scan_determinismE0ELb0ES3_N6thrust23THRUST_200600_302600_NS6detail15normal_iteratorINS9_10device_ptrIjEEEESE_SE_jNS9_4plusIvEENS9_8equal_toIvEEjEE10hipError_tPvRmT2_T3_T4_T5_mT6_T7_P12ihipStream_tbENKUlT_T0_E_clISt17integral_constantIbLb1EESY_IbLb0EEEEDaSU_SV_EUlSU_E_NS1_11comp_targetILNS1_3genE8ELNS1_11target_archE1030ELNS1_3gpuE2ELNS1_3repE0EEENS1_30default_config_static_selectorELNS0_4arch9wavefront6targetE1EEEvT1_
    .private_segment_fixed_size: 0
    .sgpr_count:     6
    .sgpr_spill_count: 0
    .symbol:         _ZN7rocprim17ROCPRIM_400000_NS6detail17trampoline_kernelINS0_14default_configENS1_27scan_by_key_config_selectorIjjEEZZNS1_16scan_by_key_implILNS1_25lookback_scan_determinismE0ELb0ES3_N6thrust23THRUST_200600_302600_NS6detail15normal_iteratorINS9_10device_ptrIjEEEESE_SE_jNS9_4plusIvEENS9_8equal_toIvEEjEE10hipError_tPvRmT2_T3_T4_T5_mT6_T7_P12ihipStream_tbENKUlT_T0_E_clISt17integral_constantIbLb1EESY_IbLb0EEEEDaSU_SV_EUlSU_E_NS1_11comp_targetILNS1_3genE8ELNS1_11target_archE1030ELNS1_3gpuE2ELNS1_3repE0EEENS1_30default_config_static_selectorELNS0_4arch9wavefront6targetE1EEEvT1_.kd
    .uniform_work_group_size: 1
    .uses_dynamic_stack: false
    .vgpr_count:     0
    .vgpr_spill_count: 0
    .wavefront_size: 64
  - .agpr_count:     0
    .args:
      - .address_space:  global
        .offset:         0
        .size:           8
        .value_kind:     global_buffer
      - .offset:         8
        .size:           4
        .value_kind:     by_value
      - .offset:         12
        .size:           4
        .value_kind:     by_value
      - .address_space:  global
        .offset:         16
        .size:           8
        .value_kind:     global_buffer
      - .address_space:  global
        .offset:         24
        .size:           8
        .value_kind:     global_buffer
      - .actual_access:  write_only
        .address_space:  global
        .offset:         32
        .size:           8
        .value_kind:     global_buffer
      - .offset:         40
        .size:           8
        .value_kind:     by_value
      - .offset:         48
        .size:           4
        .value_kind:     by_value
      - .address_space:  global
        .offset:         56
        .size:           8
        .value_kind:     global_buffer
      - .offset:         64
        .size:           4
        .value_kind:     hidden_block_count_x
      - .offset:         68
        .size:           4
        .value_kind:     hidden_block_count_y
      - .offset:         72
        .size:           4
        .value_kind:     hidden_block_count_z
      - .offset:         76
        .size:           2
        .value_kind:     hidden_group_size_x
      - .offset:         78
        .size:           2
        .value_kind:     hidden_group_size_y
      - .offset:         80
        .size:           2
        .value_kind:     hidden_group_size_z
      - .offset:         82
        .size:           2
        .value_kind:     hidden_remainder_x
      - .offset:         84
        .size:           2
        .value_kind:     hidden_remainder_y
      - .offset:         86
        .size:           2
        .value_kind:     hidden_remainder_z
      - .offset:         104
        .size:           8
        .value_kind:     hidden_global_offset_x
      - .offset:         112
        .size:           8
        .value_kind:     hidden_global_offset_y
      - .offset:         120
        .size:           8
        .value_kind:     hidden_global_offset_z
      - .offset:         128
        .size:           2
        .value_kind:     hidden_grid_dims
    .group_segment_fixed_size: 0
    .kernarg_segment_align: 8
    .kernarg_segment_size: 320
    .language:       OpenCL C
    .language_version:
      - 2
      - 0
    .max_flat_workgroup_size: 256
    .name:           _ZN7rocprim17ROCPRIM_400000_NS6detail30init_device_scan_by_key_kernelINS1_19lookback_scan_stateINS0_5tupleIJjbEEELb0ELb1EEEN6thrust23THRUST_200600_302600_NS6detail15normal_iteratorINS8_10device_ptrIjEEEEjNS1_16block_id_wrapperIjLb1EEEEEvT_jjPNSG_10value_typeET0_PNSt15iterator_traitsISJ_E10value_typeEmT1_T2_
    .private_segment_fixed_size: 0
    .sgpr_count:     26
    .sgpr_spill_count: 0
    .symbol:         _ZN7rocprim17ROCPRIM_400000_NS6detail30init_device_scan_by_key_kernelINS1_19lookback_scan_stateINS0_5tupleIJjbEEELb0ELb1EEEN6thrust23THRUST_200600_302600_NS6detail15normal_iteratorINS8_10device_ptrIjEEEEjNS1_16block_id_wrapperIjLb1EEEEEvT_jjPNSG_10value_typeET0_PNSt15iterator_traitsISJ_E10value_typeEmT1_T2_.kd
    .uniform_work_group_size: 1
    .uses_dynamic_stack: false
    .vgpr_count:     10
    .vgpr_spill_count: 0
    .wavefront_size: 64
  - .agpr_count:     0
    .args:
      - .offset:         0
        .size:           112
        .value_kind:     by_value
    .group_segment_fixed_size: 0
    .kernarg_segment_align: 8
    .kernarg_segment_size: 112
    .language:       OpenCL C
    .language_version:
      - 2
      - 0
    .max_flat_workgroup_size: 256
    .name:           _ZN7rocprim17ROCPRIM_400000_NS6detail17trampoline_kernelINS0_14default_configENS1_27scan_by_key_config_selectorIjjEEZZNS1_16scan_by_key_implILNS1_25lookback_scan_determinismE0ELb0ES3_N6thrust23THRUST_200600_302600_NS6detail15normal_iteratorINS9_10device_ptrIjEEEESE_SE_jNS9_4plusIvEENS9_8equal_toIvEEjEE10hipError_tPvRmT2_T3_T4_T5_mT6_T7_P12ihipStream_tbENKUlT_T0_E_clISt17integral_constantIbLb0EESY_IbLb1EEEEDaSU_SV_EUlSU_E_NS1_11comp_targetILNS1_3genE0ELNS1_11target_archE4294967295ELNS1_3gpuE0ELNS1_3repE0EEENS1_30default_config_static_selectorELNS0_4arch9wavefront6targetE1EEEvT1_
    .private_segment_fixed_size: 0
    .sgpr_count:     6
    .sgpr_spill_count: 0
    .symbol:         _ZN7rocprim17ROCPRIM_400000_NS6detail17trampoline_kernelINS0_14default_configENS1_27scan_by_key_config_selectorIjjEEZZNS1_16scan_by_key_implILNS1_25lookback_scan_determinismE0ELb0ES3_N6thrust23THRUST_200600_302600_NS6detail15normal_iteratorINS9_10device_ptrIjEEEESE_SE_jNS9_4plusIvEENS9_8equal_toIvEEjEE10hipError_tPvRmT2_T3_T4_T5_mT6_T7_P12ihipStream_tbENKUlT_T0_E_clISt17integral_constantIbLb0EESY_IbLb1EEEEDaSU_SV_EUlSU_E_NS1_11comp_targetILNS1_3genE0ELNS1_11target_archE4294967295ELNS1_3gpuE0ELNS1_3repE0EEENS1_30default_config_static_selectorELNS0_4arch9wavefront6targetE1EEEvT1_.kd
    .uniform_work_group_size: 1
    .uses_dynamic_stack: false
    .vgpr_count:     0
    .vgpr_spill_count: 0
    .wavefront_size: 64
  - .agpr_count:     0
    .args:
      - .offset:         0
        .size:           112
        .value_kind:     by_value
    .group_segment_fixed_size: 0
    .kernarg_segment_align: 8
    .kernarg_segment_size: 112
    .language:       OpenCL C
    .language_version:
      - 2
      - 0
    .max_flat_workgroup_size: 256
    .name:           _ZN7rocprim17ROCPRIM_400000_NS6detail17trampoline_kernelINS0_14default_configENS1_27scan_by_key_config_selectorIjjEEZZNS1_16scan_by_key_implILNS1_25lookback_scan_determinismE0ELb0ES3_N6thrust23THRUST_200600_302600_NS6detail15normal_iteratorINS9_10device_ptrIjEEEESE_SE_jNS9_4plusIvEENS9_8equal_toIvEEjEE10hipError_tPvRmT2_T3_T4_T5_mT6_T7_P12ihipStream_tbENKUlT_T0_E_clISt17integral_constantIbLb0EESY_IbLb1EEEEDaSU_SV_EUlSU_E_NS1_11comp_targetILNS1_3genE10ELNS1_11target_archE1201ELNS1_3gpuE5ELNS1_3repE0EEENS1_30default_config_static_selectorELNS0_4arch9wavefront6targetE1EEEvT1_
    .private_segment_fixed_size: 0
    .sgpr_count:     6
    .sgpr_spill_count: 0
    .symbol:         _ZN7rocprim17ROCPRIM_400000_NS6detail17trampoline_kernelINS0_14default_configENS1_27scan_by_key_config_selectorIjjEEZZNS1_16scan_by_key_implILNS1_25lookback_scan_determinismE0ELb0ES3_N6thrust23THRUST_200600_302600_NS6detail15normal_iteratorINS9_10device_ptrIjEEEESE_SE_jNS9_4plusIvEENS9_8equal_toIvEEjEE10hipError_tPvRmT2_T3_T4_T5_mT6_T7_P12ihipStream_tbENKUlT_T0_E_clISt17integral_constantIbLb0EESY_IbLb1EEEEDaSU_SV_EUlSU_E_NS1_11comp_targetILNS1_3genE10ELNS1_11target_archE1201ELNS1_3gpuE5ELNS1_3repE0EEENS1_30default_config_static_selectorELNS0_4arch9wavefront6targetE1EEEvT1_.kd
    .uniform_work_group_size: 1
    .uses_dynamic_stack: false
    .vgpr_count:     0
    .vgpr_spill_count: 0
    .wavefront_size: 64
  - .agpr_count:     0
    .args:
      - .offset:         0
        .size:           112
        .value_kind:     by_value
    .group_segment_fixed_size: 25600
    .kernarg_segment_align: 8
    .kernarg_segment_size: 112
    .language:       OpenCL C
    .language_version:
      - 2
      - 0
    .max_flat_workgroup_size: 256
    .name:           _ZN7rocprim17ROCPRIM_400000_NS6detail17trampoline_kernelINS0_14default_configENS1_27scan_by_key_config_selectorIjjEEZZNS1_16scan_by_key_implILNS1_25lookback_scan_determinismE0ELb0ES3_N6thrust23THRUST_200600_302600_NS6detail15normal_iteratorINS9_10device_ptrIjEEEESE_SE_jNS9_4plusIvEENS9_8equal_toIvEEjEE10hipError_tPvRmT2_T3_T4_T5_mT6_T7_P12ihipStream_tbENKUlT_T0_E_clISt17integral_constantIbLb0EESY_IbLb1EEEEDaSU_SV_EUlSU_E_NS1_11comp_targetILNS1_3genE5ELNS1_11target_archE942ELNS1_3gpuE9ELNS1_3repE0EEENS1_30default_config_static_selectorELNS0_4arch9wavefront6targetE1EEEvT1_
    .private_segment_fixed_size: 0
    .sgpr_count:     91
    .sgpr_spill_count: 0
    .symbol:         _ZN7rocprim17ROCPRIM_400000_NS6detail17trampoline_kernelINS0_14default_configENS1_27scan_by_key_config_selectorIjjEEZZNS1_16scan_by_key_implILNS1_25lookback_scan_determinismE0ELb0ES3_N6thrust23THRUST_200600_302600_NS6detail15normal_iteratorINS9_10device_ptrIjEEEESE_SE_jNS9_4plusIvEENS9_8equal_toIvEEjEE10hipError_tPvRmT2_T3_T4_T5_mT6_T7_P12ihipStream_tbENKUlT_T0_E_clISt17integral_constantIbLb0EESY_IbLb1EEEEDaSU_SV_EUlSU_E_NS1_11comp_targetILNS1_3genE5ELNS1_11target_archE942ELNS1_3gpuE9ELNS1_3repE0EEENS1_30default_config_static_selectorELNS0_4arch9wavefront6targetE1EEEvT1_.kd
    .uniform_work_group_size: 1
    .uses_dynamic_stack: false
    .vgpr_count:     81
    .vgpr_spill_count: 0
    .wavefront_size: 64
  - .agpr_count:     0
    .args:
      - .offset:         0
        .size:           112
        .value_kind:     by_value
    .group_segment_fixed_size: 0
    .kernarg_segment_align: 8
    .kernarg_segment_size: 112
    .language:       OpenCL C
    .language_version:
      - 2
      - 0
    .max_flat_workgroup_size: 256
    .name:           _ZN7rocprim17ROCPRIM_400000_NS6detail17trampoline_kernelINS0_14default_configENS1_27scan_by_key_config_selectorIjjEEZZNS1_16scan_by_key_implILNS1_25lookback_scan_determinismE0ELb0ES3_N6thrust23THRUST_200600_302600_NS6detail15normal_iteratorINS9_10device_ptrIjEEEESE_SE_jNS9_4plusIvEENS9_8equal_toIvEEjEE10hipError_tPvRmT2_T3_T4_T5_mT6_T7_P12ihipStream_tbENKUlT_T0_E_clISt17integral_constantIbLb0EESY_IbLb1EEEEDaSU_SV_EUlSU_E_NS1_11comp_targetILNS1_3genE4ELNS1_11target_archE910ELNS1_3gpuE8ELNS1_3repE0EEENS1_30default_config_static_selectorELNS0_4arch9wavefront6targetE1EEEvT1_
    .private_segment_fixed_size: 0
    .sgpr_count:     6
    .sgpr_spill_count: 0
    .symbol:         _ZN7rocprim17ROCPRIM_400000_NS6detail17trampoline_kernelINS0_14default_configENS1_27scan_by_key_config_selectorIjjEEZZNS1_16scan_by_key_implILNS1_25lookback_scan_determinismE0ELb0ES3_N6thrust23THRUST_200600_302600_NS6detail15normal_iteratorINS9_10device_ptrIjEEEESE_SE_jNS9_4plusIvEENS9_8equal_toIvEEjEE10hipError_tPvRmT2_T3_T4_T5_mT6_T7_P12ihipStream_tbENKUlT_T0_E_clISt17integral_constantIbLb0EESY_IbLb1EEEEDaSU_SV_EUlSU_E_NS1_11comp_targetILNS1_3genE4ELNS1_11target_archE910ELNS1_3gpuE8ELNS1_3repE0EEENS1_30default_config_static_selectorELNS0_4arch9wavefront6targetE1EEEvT1_.kd
    .uniform_work_group_size: 1
    .uses_dynamic_stack: false
    .vgpr_count:     0
    .vgpr_spill_count: 0
    .wavefront_size: 64
  - .agpr_count:     0
    .args:
      - .offset:         0
        .size:           112
        .value_kind:     by_value
    .group_segment_fixed_size: 0
    .kernarg_segment_align: 8
    .kernarg_segment_size: 112
    .language:       OpenCL C
    .language_version:
      - 2
      - 0
    .max_flat_workgroup_size: 256
    .name:           _ZN7rocprim17ROCPRIM_400000_NS6detail17trampoline_kernelINS0_14default_configENS1_27scan_by_key_config_selectorIjjEEZZNS1_16scan_by_key_implILNS1_25lookback_scan_determinismE0ELb0ES3_N6thrust23THRUST_200600_302600_NS6detail15normal_iteratorINS9_10device_ptrIjEEEESE_SE_jNS9_4plusIvEENS9_8equal_toIvEEjEE10hipError_tPvRmT2_T3_T4_T5_mT6_T7_P12ihipStream_tbENKUlT_T0_E_clISt17integral_constantIbLb0EESY_IbLb1EEEEDaSU_SV_EUlSU_E_NS1_11comp_targetILNS1_3genE3ELNS1_11target_archE908ELNS1_3gpuE7ELNS1_3repE0EEENS1_30default_config_static_selectorELNS0_4arch9wavefront6targetE1EEEvT1_
    .private_segment_fixed_size: 0
    .sgpr_count:     6
    .sgpr_spill_count: 0
    .symbol:         _ZN7rocprim17ROCPRIM_400000_NS6detail17trampoline_kernelINS0_14default_configENS1_27scan_by_key_config_selectorIjjEEZZNS1_16scan_by_key_implILNS1_25lookback_scan_determinismE0ELb0ES3_N6thrust23THRUST_200600_302600_NS6detail15normal_iteratorINS9_10device_ptrIjEEEESE_SE_jNS9_4plusIvEENS9_8equal_toIvEEjEE10hipError_tPvRmT2_T3_T4_T5_mT6_T7_P12ihipStream_tbENKUlT_T0_E_clISt17integral_constantIbLb0EESY_IbLb1EEEEDaSU_SV_EUlSU_E_NS1_11comp_targetILNS1_3genE3ELNS1_11target_archE908ELNS1_3gpuE7ELNS1_3repE0EEENS1_30default_config_static_selectorELNS0_4arch9wavefront6targetE1EEEvT1_.kd
    .uniform_work_group_size: 1
    .uses_dynamic_stack: false
    .vgpr_count:     0
    .vgpr_spill_count: 0
    .wavefront_size: 64
  - .agpr_count:     0
    .args:
      - .offset:         0
        .size:           112
        .value_kind:     by_value
    .group_segment_fixed_size: 0
    .kernarg_segment_align: 8
    .kernarg_segment_size: 112
    .language:       OpenCL C
    .language_version:
      - 2
      - 0
    .max_flat_workgroup_size: 256
    .name:           _ZN7rocprim17ROCPRIM_400000_NS6detail17trampoline_kernelINS0_14default_configENS1_27scan_by_key_config_selectorIjjEEZZNS1_16scan_by_key_implILNS1_25lookback_scan_determinismE0ELb0ES3_N6thrust23THRUST_200600_302600_NS6detail15normal_iteratorINS9_10device_ptrIjEEEESE_SE_jNS9_4plusIvEENS9_8equal_toIvEEjEE10hipError_tPvRmT2_T3_T4_T5_mT6_T7_P12ihipStream_tbENKUlT_T0_E_clISt17integral_constantIbLb0EESY_IbLb1EEEEDaSU_SV_EUlSU_E_NS1_11comp_targetILNS1_3genE2ELNS1_11target_archE906ELNS1_3gpuE6ELNS1_3repE0EEENS1_30default_config_static_selectorELNS0_4arch9wavefront6targetE1EEEvT1_
    .private_segment_fixed_size: 0
    .sgpr_count:     6
    .sgpr_spill_count: 0
    .symbol:         _ZN7rocprim17ROCPRIM_400000_NS6detail17trampoline_kernelINS0_14default_configENS1_27scan_by_key_config_selectorIjjEEZZNS1_16scan_by_key_implILNS1_25lookback_scan_determinismE0ELb0ES3_N6thrust23THRUST_200600_302600_NS6detail15normal_iteratorINS9_10device_ptrIjEEEESE_SE_jNS9_4plusIvEENS9_8equal_toIvEEjEE10hipError_tPvRmT2_T3_T4_T5_mT6_T7_P12ihipStream_tbENKUlT_T0_E_clISt17integral_constantIbLb0EESY_IbLb1EEEEDaSU_SV_EUlSU_E_NS1_11comp_targetILNS1_3genE2ELNS1_11target_archE906ELNS1_3gpuE6ELNS1_3repE0EEENS1_30default_config_static_selectorELNS0_4arch9wavefront6targetE1EEEvT1_.kd
    .uniform_work_group_size: 1
    .uses_dynamic_stack: false
    .vgpr_count:     0
    .vgpr_spill_count: 0
    .wavefront_size: 64
  - .agpr_count:     0
    .args:
      - .offset:         0
        .size:           112
        .value_kind:     by_value
    .group_segment_fixed_size: 0
    .kernarg_segment_align: 8
    .kernarg_segment_size: 112
    .language:       OpenCL C
    .language_version:
      - 2
      - 0
    .max_flat_workgroup_size: 256
    .name:           _ZN7rocprim17ROCPRIM_400000_NS6detail17trampoline_kernelINS0_14default_configENS1_27scan_by_key_config_selectorIjjEEZZNS1_16scan_by_key_implILNS1_25lookback_scan_determinismE0ELb0ES3_N6thrust23THRUST_200600_302600_NS6detail15normal_iteratorINS9_10device_ptrIjEEEESE_SE_jNS9_4plusIvEENS9_8equal_toIvEEjEE10hipError_tPvRmT2_T3_T4_T5_mT6_T7_P12ihipStream_tbENKUlT_T0_E_clISt17integral_constantIbLb0EESY_IbLb1EEEEDaSU_SV_EUlSU_E_NS1_11comp_targetILNS1_3genE10ELNS1_11target_archE1200ELNS1_3gpuE4ELNS1_3repE0EEENS1_30default_config_static_selectorELNS0_4arch9wavefront6targetE1EEEvT1_
    .private_segment_fixed_size: 0
    .sgpr_count:     6
    .sgpr_spill_count: 0
    .symbol:         _ZN7rocprim17ROCPRIM_400000_NS6detail17trampoline_kernelINS0_14default_configENS1_27scan_by_key_config_selectorIjjEEZZNS1_16scan_by_key_implILNS1_25lookback_scan_determinismE0ELb0ES3_N6thrust23THRUST_200600_302600_NS6detail15normal_iteratorINS9_10device_ptrIjEEEESE_SE_jNS9_4plusIvEENS9_8equal_toIvEEjEE10hipError_tPvRmT2_T3_T4_T5_mT6_T7_P12ihipStream_tbENKUlT_T0_E_clISt17integral_constantIbLb0EESY_IbLb1EEEEDaSU_SV_EUlSU_E_NS1_11comp_targetILNS1_3genE10ELNS1_11target_archE1200ELNS1_3gpuE4ELNS1_3repE0EEENS1_30default_config_static_selectorELNS0_4arch9wavefront6targetE1EEEvT1_.kd
    .uniform_work_group_size: 1
    .uses_dynamic_stack: false
    .vgpr_count:     0
    .vgpr_spill_count: 0
    .wavefront_size: 64
  - .agpr_count:     0
    .args:
      - .offset:         0
        .size:           112
        .value_kind:     by_value
    .group_segment_fixed_size: 0
    .kernarg_segment_align: 8
    .kernarg_segment_size: 112
    .language:       OpenCL C
    .language_version:
      - 2
      - 0
    .max_flat_workgroup_size: 256
    .name:           _ZN7rocprim17ROCPRIM_400000_NS6detail17trampoline_kernelINS0_14default_configENS1_27scan_by_key_config_selectorIjjEEZZNS1_16scan_by_key_implILNS1_25lookback_scan_determinismE0ELb0ES3_N6thrust23THRUST_200600_302600_NS6detail15normal_iteratorINS9_10device_ptrIjEEEESE_SE_jNS9_4plusIvEENS9_8equal_toIvEEjEE10hipError_tPvRmT2_T3_T4_T5_mT6_T7_P12ihipStream_tbENKUlT_T0_E_clISt17integral_constantIbLb0EESY_IbLb1EEEEDaSU_SV_EUlSU_E_NS1_11comp_targetILNS1_3genE9ELNS1_11target_archE1100ELNS1_3gpuE3ELNS1_3repE0EEENS1_30default_config_static_selectorELNS0_4arch9wavefront6targetE1EEEvT1_
    .private_segment_fixed_size: 0
    .sgpr_count:     6
    .sgpr_spill_count: 0
    .symbol:         _ZN7rocprim17ROCPRIM_400000_NS6detail17trampoline_kernelINS0_14default_configENS1_27scan_by_key_config_selectorIjjEEZZNS1_16scan_by_key_implILNS1_25lookback_scan_determinismE0ELb0ES3_N6thrust23THRUST_200600_302600_NS6detail15normal_iteratorINS9_10device_ptrIjEEEESE_SE_jNS9_4plusIvEENS9_8equal_toIvEEjEE10hipError_tPvRmT2_T3_T4_T5_mT6_T7_P12ihipStream_tbENKUlT_T0_E_clISt17integral_constantIbLb0EESY_IbLb1EEEEDaSU_SV_EUlSU_E_NS1_11comp_targetILNS1_3genE9ELNS1_11target_archE1100ELNS1_3gpuE3ELNS1_3repE0EEENS1_30default_config_static_selectorELNS0_4arch9wavefront6targetE1EEEvT1_.kd
    .uniform_work_group_size: 1
    .uses_dynamic_stack: false
    .vgpr_count:     0
    .vgpr_spill_count: 0
    .wavefront_size: 64
  - .agpr_count:     0
    .args:
      - .offset:         0
        .size:           112
        .value_kind:     by_value
    .group_segment_fixed_size: 0
    .kernarg_segment_align: 8
    .kernarg_segment_size: 112
    .language:       OpenCL C
    .language_version:
      - 2
      - 0
    .max_flat_workgroup_size: 256
    .name:           _ZN7rocprim17ROCPRIM_400000_NS6detail17trampoline_kernelINS0_14default_configENS1_27scan_by_key_config_selectorIjjEEZZNS1_16scan_by_key_implILNS1_25lookback_scan_determinismE0ELb0ES3_N6thrust23THRUST_200600_302600_NS6detail15normal_iteratorINS9_10device_ptrIjEEEESE_SE_jNS9_4plusIvEENS9_8equal_toIvEEjEE10hipError_tPvRmT2_T3_T4_T5_mT6_T7_P12ihipStream_tbENKUlT_T0_E_clISt17integral_constantIbLb0EESY_IbLb1EEEEDaSU_SV_EUlSU_E_NS1_11comp_targetILNS1_3genE8ELNS1_11target_archE1030ELNS1_3gpuE2ELNS1_3repE0EEENS1_30default_config_static_selectorELNS0_4arch9wavefront6targetE1EEEvT1_
    .private_segment_fixed_size: 0
    .sgpr_count:     6
    .sgpr_spill_count: 0
    .symbol:         _ZN7rocprim17ROCPRIM_400000_NS6detail17trampoline_kernelINS0_14default_configENS1_27scan_by_key_config_selectorIjjEEZZNS1_16scan_by_key_implILNS1_25lookback_scan_determinismE0ELb0ES3_N6thrust23THRUST_200600_302600_NS6detail15normal_iteratorINS9_10device_ptrIjEEEESE_SE_jNS9_4plusIvEENS9_8equal_toIvEEjEE10hipError_tPvRmT2_T3_T4_T5_mT6_T7_P12ihipStream_tbENKUlT_T0_E_clISt17integral_constantIbLb0EESY_IbLb1EEEEDaSU_SV_EUlSU_E_NS1_11comp_targetILNS1_3genE8ELNS1_11target_archE1030ELNS1_3gpuE2ELNS1_3repE0EEENS1_30default_config_static_selectorELNS0_4arch9wavefront6targetE1EEEvT1_.kd
    .uniform_work_group_size: 1
    .uses_dynamic_stack: false
    .vgpr_count:     0
    .vgpr_spill_count: 0
    .wavefront_size: 64
  - .agpr_count:     0
    .args:
      - .offset:         0
        .size:           16
        .value_kind:     by_value
      - .offset:         16
        .size:           8
        .value_kind:     by_value
      - .offset:         24
        .size:           8
        .value_kind:     by_value
    .group_segment_fixed_size: 0
    .kernarg_segment_align: 8
    .kernarg_segment_size: 32
    .language:       OpenCL C
    .language_version:
      - 2
      - 0
    .max_flat_workgroup_size: 256
    .name:           _ZN6thrust23THRUST_200600_302600_NS11hip_rocprim14__parallel_for6kernelILj256ENS1_10for_each_fINS0_10device_ptrI11FixedVectorIiLj1EEEENS0_6detail16wrapped_functionINS9_23allocator_traits_detail5gozerEvEEEElLj1EEEvT0_T1_SG_
    .private_segment_fixed_size: 0
    .sgpr_count:     6
    .sgpr_spill_count: 0
    .symbol:         _ZN6thrust23THRUST_200600_302600_NS11hip_rocprim14__parallel_for6kernelILj256ENS1_10for_each_fINS0_10device_ptrI11FixedVectorIiLj1EEEENS0_6detail16wrapped_functionINS9_23allocator_traits_detail5gozerEvEEEElLj1EEEvT0_T1_SG_.kd
    .uniform_work_group_size: 1
    .uses_dynamic_stack: false
    .vgpr_count:     0
    .vgpr_spill_count: 0
    .wavefront_size: 64
  - .agpr_count:     0
    .args:
      - .offset:         0
        .size:           16
        .value_kind:     by_value
      - .offset:         16
        .size:           8
        .value_kind:     by_value
      - .offset:         24
        .size:           8
        .value_kind:     by_value
    .group_segment_fixed_size: 0
    .kernarg_segment_align: 8
    .kernarg_segment_size: 32
    .language:       OpenCL C
    .language_version:
      - 2
      - 0
    .max_flat_workgroup_size: 256
    .name:           _ZN6thrust23THRUST_200600_302600_NS11hip_rocprim14__parallel_for6kernelILj256ENS1_10for_each_fINS0_10device_ptrI11FixedVectorIiLj1EEEENS0_6detail16wrapped_functionINS9_23allocator_traits_detail24construct1_via_allocatorINS0_16device_allocatorIS7_EEEEvEEEEmLj1EEEvT0_T1_SJ_
    .private_segment_fixed_size: 0
    .sgpr_count:     14
    .sgpr_spill_count: 0
    .symbol:         _ZN6thrust23THRUST_200600_302600_NS11hip_rocprim14__parallel_for6kernelILj256ENS1_10for_each_fINS0_10device_ptrI11FixedVectorIiLj1EEEENS0_6detail16wrapped_functionINS9_23allocator_traits_detail24construct1_via_allocatorINS0_16device_allocatorIS7_EEEEvEEEEmLj1EEEvT0_T1_SJ_.kd
    .uniform_work_group_size: 1
    .uses_dynamic_stack: false
    .vgpr_count:     4
    .vgpr_spill_count: 0
    .wavefront_size: 64
  - .agpr_count:     0
    .args:
      - .address_space:  global
        .offset:         0
        .size:           8
        .value_kind:     global_buffer
      - .offset:         8
        .size:           4
        .value_kind:     by_value
      - .offset:         12
        .size:           4
        .value_kind:     by_value
      - .address_space:  global
        .offset:         16
        .size:           8
        .value_kind:     global_buffer
      - .address_space:  global
        .offset:         24
        .size:           8
        .value_kind:     global_buffer
      - .actual_access:  write_only
        .address_space:  global
        .offset:         32
        .size:           8
        .value_kind:     global_buffer
      - .offset:         40
        .size:           8
        .value_kind:     by_value
      - .offset:         48
        .size:           4
        .value_kind:     by_value
      - .offset:         52
        .size:           1
        .value_kind:     by_value
      - .offset:         56
        .size:           4
        .value_kind:     hidden_block_count_x
      - .offset:         60
        .size:           4
        .value_kind:     hidden_block_count_y
      - .offset:         64
        .size:           4
        .value_kind:     hidden_block_count_z
      - .offset:         68
        .size:           2
        .value_kind:     hidden_group_size_x
      - .offset:         70
        .size:           2
        .value_kind:     hidden_group_size_y
      - .offset:         72
        .size:           2
        .value_kind:     hidden_group_size_z
      - .offset:         74
        .size:           2
        .value_kind:     hidden_remainder_x
      - .offset:         76
        .size:           2
        .value_kind:     hidden_remainder_y
      - .offset:         78
        .size:           2
        .value_kind:     hidden_remainder_z
      - .offset:         96
        .size:           8
        .value_kind:     hidden_global_offset_x
      - .offset:         104
        .size:           8
        .value_kind:     hidden_global_offset_y
      - .offset:         112
        .size:           8
        .value_kind:     hidden_global_offset_z
      - .offset:         120
        .size:           2
        .value_kind:     hidden_grid_dims
    .group_segment_fixed_size: 0
    .kernarg_segment_align: 8
    .kernarg_segment_size: 312
    .language:       OpenCL C
    .language_version:
      - 2
      - 0
    .max_flat_workgroup_size: 256
    .name:           _ZN7rocprim17ROCPRIM_400000_NS6detail30init_device_scan_by_key_kernelINS1_19lookback_scan_stateINS0_5tupleIJ11FixedVectorIiLj1EEbEEELb0ELb1EEEN6thrust23THRUST_200600_302600_NS6detail15normal_iteratorINSA_10device_ptrIjEEEEjNS1_16block_id_wrapperIjLb0EEEEEvT_jjPNSI_10value_typeET0_PNSt15iterator_traitsISL_E10value_typeEmT1_T2_
    .private_segment_fixed_size: 0
    .sgpr_count:     26
    .sgpr_spill_count: 0
    .symbol:         _ZN7rocprim17ROCPRIM_400000_NS6detail30init_device_scan_by_key_kernelINS1_19lookback_scan_stateINS0_5tupleIJ11FixedVectorIiLj1EEbEEELb0ELb1EEEN6thrust23THRUST_200600_302600_NS6detail15normal_iteratorINSA_10device_ptrIjEEEEjNS1_16block_id_wrapperIjLb0EEEEEvT_jjPNSI_10value_typeET0_PNSt15iterator_traitsISL_E10value_typeEmT1_T2_.kd
    .uniform_work_group_size: 1
    .uses_dynamic_stack: false
    .vgpr_count:     10
    .vgpr_spill_count: 0
    .wavefront_size: 64
  - .agpr_count:     0
    .args:
      - .address_space:  global
        .offset:         0
        .size:           8
        .value_kind:     global_buffer
      - .offset:         8
        .size:           4
        .value_kind:     by_value
      - .offset:         12
        .size:           4
        .value_kind:     by_value
      - .address_space:  global
        .offset:         16
        .size:           8
        .value_kind:     global_buffer
      - .offset:         24
        .size:           1
        .value_kind:     by_value
      - .offset:         32
        .size:           4
        .value_kind:     hidden_block_count_x
      - .offset:         36
        .size:           4
        .value_kind:     hidden_block_count_y
      - .offset:         40
        .size:           4
        .value_kind:     hidden_block_count_z
      - .offset:         44
        .size:           2
        .value_kind:     hidden_group_size_x
      - .offset:         46
        .size:           2
        .value_kind:     hidden_group_size_y
      - .offset:         48
        .size:           2
        .value_kind:     hidden_group_size_z
      - .offset:         50
        .size:           2
        .value_kind:     hidden_remainder_x
      - .offset:         52
        .size:           2
        .value_kind:     hidden_remainder_y
      - .offset:         54
        .size:           2
        .value_kind:     hidden_remainder_z
      - .offset:         72
        .size:           8
        .value_kind:     hidden_global_offset_x
      - .offset:         80
        .size:           8
        .value_kind:     hidden_global_offset_y
      - .offset:         88
        .size:           8
        .value_kind:     hidden_global_offset_z
      - .offset:         96
        .size:           2
        .value_kind:     hidden_grid_dims
    .group_segment_fixed_size: 0
    .kernarg_segment_align: 8
    .kernarg_segment_size: 288
    .language:       OpenCL C
    .language_version:
      - 2
      - 0
    .max_flat_workgroup_size: 256
    .name:           _ZN7rocprim17ROCPRIM_400000_NS6detail30init_device_scan_by_key_kernelINS1_19lookback_scan_stateINS0_5tupleIJ11FixedVectorIiLj1EEbEEELb0ELb1EEENS1_16block_id_wrapperIjLb0EEEEEvT_jjPNSB_10value_typeET0_
    .private_segment_fixed_size: 0
    .sgpr_count:     20
    .sgpr_spill_count: 0
    .symbol:         _ZN7rocprim17ROCPRIM_400000_NS6detail30init_device_scan_by_key_kernelINS1_19lookback_scan_stateINS0_5tupleIJ11FixedVectorIiLj1EEbEEELb0ELb1EEENS1_16block_id_wrapperIjLb0EEEEEvT_jjPNSB_10value_typeET0_.kd
    .uniform_work_group_size: 1
    .uses_dynamic_stack: false
    .vgpr_count:     10
    .vgpr_spill_count: 0
    .wavefront_size: 64
  - .agpr_count:     0
    .args:
      - .offset:         0
        .size:           112
        .value_kind:     by_value
    .group_segment_fixed_size: 0
    .kernarg_segment_align: 8
    .kernarg_segment_size: 112
    .language:       OpenCL C
    .language_version:
      - 2
      - 0
    .max_flat_workgroup_size: 256
    .name:           _ZN7rocprim17ROCPRIM_400000_NS6detail17trampoline_kernelINS0_14default_configENS1_27scan_by_key_config_selectorIj11FixedVectorIiLj1EEEEZZNS1_16scan_by_key_implILNS1_25lookback_scan_determinismE0ELb0ES3_N6thrust23THRUST_200600_302600_NS6detail15normal_iteratorINSB_10device_ptrIjEEEENSD_INSE_IS6_EEEESI_S6_NSB_4plusIvEENSB_8equal_toIvEES6_EE10hipError_tPvRmT2_T3_T4_T5_mT6_T7_P12ihipStream_tbENKUlT_T0_E_clISt17integral_constantIbLb0EES13_EEDaSY_SZ_EUlSY_E_NS1_11comp_targetILNS1_3genE0ELNS1_11target_archE4294967295ELNS1_3gpuE0ELNS1_3repE0EEENS1_30default_config_static_selectorELNS0_4arch9wavefront6targetE1EEEvT1_
    .private_segment_fixed_size: 0
    .sgpr_count:     6
    .sgpr_spill_count: 0
    .symbol:         _ZN7rocprim17ROCPRIM_400000_NS6detail17trampoline_kernelINS0_14default_configENS1_27scan_by_key_config_selectorIj11FixedVectorIiLj1EEEEZZNS1_16scan_by_key_implILNS1_25lookback_scan_determinismE0ELb0ES3_N6thrust23THRUST_200600_302600_NS6detail15normal_iteratorINSB_10device_ptrIjEEEENSD_INSE_IS6_EEEESI_S6_NSB_4plusIvEENSB_8equal_toIvEES6_EE10hipError_tPvRmT2_T3_T4_T5_mT6_T7_P12ihipStream_tbENKUlT_T0_E_clISt17integral_constantIbLb0EES13_EEDaSY_SZ_EUlSY_E_NS1_11comp_targetILNS1_3genE0ELNS1_11target_archE4294967295ELNS1_3gpuE0ELNS1_3repE0EEENS1_30default_config_static_selectorELNS0_4arch9wavefront6targetE1EEEvT1_.kd
    .uniform_work_group_size: 1
    .uses_dynamic_stack: false
    .vgpr_count:     0
    .vgpr_spill_count: 0
    .wavefront_size: 64
  - .agpr_count:     0
    .args:
      - .offset:         0
        .size:           112
        .value_kind:     by_value
    .group_segment_fixed_size: 0
    .kernarg_segment_align: 8
    .kernarg_segment_size: 112
    .language:       OpenCL C
    .language_version:
      - 2
      - 0
    .max_flat_workgroup_size: 256
    .name:           _ZN7rocprim17ROCPRIM_400000_NS6detail17trampoline_kernelINS0_14default_configENS1_27scan_by_key_config_selectorIj11FixedVectorIiLj1EEEEZZNS1_16scan_by_key_implILNS1_25lookback_scan_determinismE0ELb0ES3_N6thrust23THRUST_200600_302600_NS6detail15normal_iteratorINSB_10device_ptrIjEEEENSD_INSE_IS6_EEEESI_S6_NSB_4plusIvEENSB_8equal_toIvEES6_EE10hipError_tPvRmT2_T3_T4_T5_mT6_T7_P12ihipStream_tbENKUlT_T0_E_clISt17integral_constantIbLb0EES13_EEDaSY_SZ_EUlSY_E_NS1_11comp_targetILNS1_3genE10ELNS1_11target_archE1201ELNS1_3gpuE5ELNS1_3repE0EEENS1_30default_config_static_selectorELNS0_4arch9wavefront6targetE1EEEvT1_
    .private_segment_fixed_size: 0
    .sgpr_count:     6
    .sgpr_spill_count: 0
    .symbol:         _ZN7rocprim17ROCPRIM_400000_NS6detail17trampoline_kernelINS0_14default_configENS1_27scan_by_key_config_selectorIj11FixedVectorIiLj1EEEEZZNS1_16scan_by_key_implILNS1_25lookback_scan_determinismE0ELb0ES3_N6thrust23THRUST_200600_302600_NS6detail15normal_iteratorINSB_10device_ptrIjEEEENSD_INSE_IS6_EEEESI_S6_NSB_4plusIvEENSB_8equal_toIvEES6_EE10hipError_tPvRmT2_T3_T4_T5_mT6_T7_P12ihipStream_tbENKUlT_T0_E_clISt17integral_constantIbLb0EES13_EEDaSY_SZ_EUlSY_E_NS1_11comp_targetILNS1_3genE10ELNS1_11target_archE1201ELNS1_3gpuE5ELNS1_3repE0EEENS1_30default_config_static_selectorELNS0_4arch9wavefront6targetE1EEEvT1_.kd
    .uniform_work_group_size: 1
    .uses_dynamic_stack: false
    .vgpr_count:     0
    .vgpr_spill_count: 0
    .wavefront_size: 64
  - .agpr_count:     0
    .args:
      - .offset:         0
        .size:           112
        .value_kind:     by_value
    .group_segment_fixed_size: 25600
    .kernarg_segment_align: 8
    .kernarg_segment_size: 112
    .language:       OpenCL C
    .language_version:
      - 2
      - 0
    .max_flat_workgroup_size: 256
    .name:           _ZN7rocprim17ROCPRIM_400000_NS6detail17trampoline_kernelINS0_14default_configENS1_27scan_by_key_config_selectorIj11FixedVectorIiLj1EEEEZZNS1_16scan_by_key_implILNS1_25lookback_scan_determinismE0ELb0ES3_N6thrust23THRUST_200600_302600_NS6detail15normal_iteratorINSB_10device_ptrIjEEEENSD_INSE_IS6_EEEESI_S6_NSB_4plusIvEENSB_8equal_toIvEES6_EE10hipError_tPvRmT2_T3_T4_T5_mT6_T7_P12ihipStream_tbENKUlT_T0_E_clISt17integral_constantIbLb0EES13_EEDaSY_SZ_EUlSY_E_NS1_11comp_targetILNS1_3genE5ELNS1_11target_archE942ELNS1_3gpuE9ELNS1_3repE0EEENS1_30default_config_static_selectorELNS0_4arch9wavefront6targetE1EEEvT1_
    .private_segment_fixed_size: 0
    .sgpr_count:     88
    .sgpr_spill_count: 0
    .symbol:         _ZN7rocprim17ROCPRIM_400000_NS6detail17trampoline_kernelINS0_14default_configENS1_27scan_by_key_config_selectorIj11FixedVectorIiLj1EEEEZZNS1_16scan_by_key_implILNS1_25lookback_scan_determinismE0ELb0ES3_N6thrust23THRUST_200600_302600_NS6detail15normal_iteratorINSB_10device_ptrIjEEEENSD_INSE_IS6_EEEESI_S6_NSB_4plusIvEENSB_8equal_toIvEES6_EE10hipError_tPvRmT2_T3_T4_T5_mT6_T7_P12ihipStream_tbENKUlT_T0_E_clISt17integral_constantIbLb0EES13_EEDaSY_SZ_EUlSY_E_NS1_11comp_targetILNS1_3genE5ELNS1_11target_archE942ELNS1_3gpuE9ELNS1_3repE0EEENS1_30default_config_static_selectorELNS0_4arch9wavefront6targetE1EEEvT1_.kd
    .uniform_work_group_size: 1
    .uses_dynamic_stack: false
    .vgpr_count:     81
    .vgpr_spill_count: 0
    .wavefront_size: 64
  - .agpr_count:     0
    .args:
      - .offset:         0
        .size:           112
        .value_kind:     by_value
    .group_segment_fixed_size: 0
    .kernarg_segment_align: 8
    .kernarg_segment_size: 112
    .language:       OpenCL C
    .language_version:
      - 2
      - 0
    .max_flat_workgroup_size: 256
    .name:           _ZN7rocprim17ROCPRIM_400000_NS6detail17trampoline_kernelINS0_14default_configENS1_27scan_by_key_config_selectorIj11FixedVectorIiLj1EEEEZZNS1_16scan_by_key_implILNS1_25lookback_scan_determinismE0ELb0ES3_N6thrust23THRUST_200600_302600_NS6detail15normal_iteratorINSB_10device_ptrIjEEEENSD_INSE_IS6_EEEESI_S6_NSB_4plusIvEENSB_8equal_toIvEES6_EE10hipError_tPvRmT2_T3_T4_T5_mT6_T7_P12ihipStream_tbENKUlT_T0_E_clISt17integral_constantIbLb0EES13_EEDaSY_SZ_EUlSY_E_NS1_11comp_targetILNS1_3genE4ELNS1_11target_archE910ELNS1_3gpuE8ELNS1_3repE0EEENS1_30default_config_static_selectorELNS0_4arch9wavefront6targetE1EEEvT1_
    .private_segment_fixed_size: 0
    .sgpr_count:     6
    .sgpr_spill_count: 0
    .symbol:         _ZN7rocprim17ROCPRIM_400000_NS6detail17trampoline_kernelINS0_14default_configENS1_27scan_by_key_config_selectorIj11FixedVectorIiLj1EEEEZZNS1_16scan_by_key_implILNS1_25lookback_scan_determinismE0ELb0ES3_N6thrust23THRUST_200600_302600_NS6detail15normal_iteratorINSB_10device_ptrIjEEEENSD_INSE_IS6_EEEESI_S6_NSB_4plusIvEENSB_8equal_toIvEES6_EE10hipError_tPvRmT2_T3_T4_T5_mT6_T7_P12ihipStream_tbENKUlT_T0_E_clISt17integral_constantIbLb0EES13_EEDaSY_SZ_EUlSY_E_NS1_11comp_targetILNS1_3genE4ELNS1_11target_archE910ELNS1_3gpuE8ELNS1_3repE0EEENS1_30default_config_static_selectorELNS0_4arch9wavefront6targetE1EEEvT1_.kd
    .uniform_work_group_size: 1
    .uses_dynamic_stack: false
    .vgpr_count:     0
    .vgpr_spill_count: 0
    .wavefront_size: 64
  - .agpr_count:     0
    .args:
      - .offset:         0
        .size:           112
        .value_kind:     by_value
    .group_segment_fixed_size: 0
    .kernarg_segment_align: 8
    .kernarg_segment_size: 112
    .language:       OpenCL C
    .language_version:
      - 2
      - 0
    .max_flat_workgroup_size: 256
    .name:           _ZN7rocprim17ROCPRIM_400000_NS6detail17trampoline_kernelINS0_14default_configENS1_27scan_by_key_config_selectorIj11FixedVectorIiLj1EEEEZZNS1_16scan_by_key_implILNS1_25lookback_scan_determinismE0ELb0ES3_N6thrust23THRUST_200600_302600_NS6detail15normal_iteratorINSB_10device_ptrIjEEEENSD_INSE_IS6_EEEESI_S6_NSB_4plusIvEENSB_8equal_toIvEES6_EE10hipError_tPvRmT2_T3_T4_T5_mT6_T7_P12ihipStream_tbENKUlT_T0_E_clISt17integral_constantIbLb0EES13_EEDaSY_SZ_EUlSY_E_NS1_11comp_targetILNS1_3genE3ELNS1_11target_archE908ELNS1_3gpuE7ELNS1_3repE0EEENS1_30default_config_static_selectorELNS0_4arch9wavefront6targetE1EEEvT1_
    .private_segment_fixed_size: 0
    .sgpr_count:     6
    .sgpr_spill_count: 0
    .symbol:         _ZN7rocprim17ROCPRIM_400000_NS6detail17trampoline_kernelINS0_14default_configENS1_27scan_by_key_config_selectorIj11FixedVectorIiLj1EEEEZZNS1_16scan_by_key_implILNS1_25lookback_scan_determinismE0ELb0ES3_N6thrust23THRUST_200600_302600_NS6detail15normal_iteratorINSB_10device_ptrIjEEEENSD_INSE_IS6_EEEESI_S6_NSB_4plusIvEENSB_8equal_toIvEES6_EE10hipError_tPvRmT2_T3_T4_T5_mT6_T7_P12ihipStream_tbENKUlT_T0_E_clISt17integral_constantIbLb0EES13_EEDaSY_SZ_EUlSY_E_NS1_11comp_targetILNS1_3genE3ELNS1_11target_archE908ELNS1_3gpuE7ELNS1_3repE0EEENS1_30default_config_static_selectorELNS0_4arch9wavefront6targetE1EEEvT1_.kd
    .uniform_work_group_size: 1
    .uses_dynamic_stack: false
    .vgpr_count:     0
    .vgpr_spill_count: 0
    .wavefront_size: 64
  - .agpr_count:     0
    .args:
      - .offset:         0
        .size:           112
        .value_kind:     by_value
    .group_segment_fixed_size: 0
    .kernarg_segment_align: 8
    .kernarg_segment_size: 112
    .language:       OpenCL C
    .language_version:
      - 2
      - 0
    .max_flat_workgroup_size: 256
    .name:           _ZN7rocprim17ROCPRIM_400000_NS6detail17trampoline_kernelINS0_14default_configENS1_27scan_by_key_config_selectorIj11FixedVectorIiLj1EEEEZZNS1_16scan_by_key_implILNS1_25lookback_scan_determinismE0ELb0ES3_N6thrust23THRUST_200600_302600_NS6detail15normal_iteratorINSB_10device_ptrIjEEEENSD_INSE_IS6_EEEESI_S6_NSB_4plusIvEENSB_8equal_toIvEES6_EE10hipError_tPvRmT2_T3_T4_T5_mT6_T7_P12ihipStream_tbENKUlT_T0_E_clISt17integral_constantIbLb0EES13_EEDaSY_SZ_EUlSY_E_NS1_11comp_targetILNS1_3genE2ELNS1_11target_archE906ELNS1_3gpuE6ELNS1_3repE0EEENS1_30default_config_static_selectorELNS0_4arch9wavefront6targetE1EEEvT1_
    .private_segment_fixed_size: 0
    .sgpr_count:     6
    .sgpr_spill_count: 0
    .symbol:         _ZN7rocprim17ROCPRIM_400000_NS6detail17trampoline_kernelINS0_14default_configENS1_27scan_by_key_config_selectorIj11FixedVectorIiLj1EEEEZZNS1_16scan_by_key_implILNS1_25lookback_scan_determinismE0ELb0ES3_N6thrust23THRUST_200600_302600_NS6detail15normal_iteratorINSB_10device_ptrIjEEEENSD_INSE_IS6_EEEESI_S6_NSB_4plusIvEENSB_8equal_toIvEES6_EE10hipError_tPvRmT2_T3_T4_T5_mT6_T7_P12ihipStream_tbENKUlT_T0_E_clISt17integral_constantIbLb0EES13_EEDaSY_SZ_EUlSY_E_NS1_11comp_targetILNS1_3genE2ELNS1_11target_archE906ELNS1_3gpuE6ELNS1_3repE0EEENS1_30default_config_static_selectorELNS0_4arch9wavefront6targetE1EEEvT1_.kd
    .uniform_work_group_size: 1
    .uses_dynamic_stack: false
    .vgpr_count:     0
    .vgpr_spill_count: 0
    .wavefront_size: 64
  - .agpr_count:     0
    .args:
      - .offset:         0
        .size:           112
        .value_kind:     by_value
    .group_segment_fixed_size: 0
    .kernarg_segment_align: 8
    .kernarg_segment_size: 112
    .language:       OpenCL C
    .language_version:
      - 2
      - 0
    .max_flat_workgroup_size: 256
    .name:           _ZN7rocprim17ROCPRIM_400000_NS6detail17trampoline_kernelINS0_14default_configENS1_27scan_by_key_config_selectorIj11FixedVectorIiLj1EEEEZZNS1_16scan_by_key_implILNS1_25lookback_scan_determinismE0ELb0ES3_N6thrust23THRUST_200600_302600_NS6detail15normal_iteratorINSB_10device_ptrIjEEEENSD_INSE_IS6_EEEESI_S6_NSB_4plusIvEENSB_8equal_toIvEES6_EE10hipError_tPvRmT2_T3_T4_T5_mT6_T7_P12ihipStream_tbENKUlT_T0_E_clISt17integral_constantIbLb0EES13_EEDaSY_SZ_EUlSY_E_NS1_11comp_targetILNS1_3genE10ELNS1_11target_archE1200ELNS1_3gpuE4ELNS1_3repE0EEENS1_30default_config_static_selectorELNS0_4arch9wavefront6targetE1EEEvT1_
    .private_segment_fixed_size: 0
    .sgpr_count:     6
    .sgpr_spill_count: 0
    .symbol:         _ZN7rocprim17ROCPRIM_400000_NS6detail17trampoline_kernelINS0_14default_configENS1_27scan_by_key_config_selectorIj11FixedVectorIiLj1EEEEZZNS1_16scan_by_key_implILNS1_25lookback_scan_determinismE0ELb0ES3_N6thrust23THRUST_200600_302600_NS6detail15normal_iteratorINSB_10device_ptrIjEEEENSD_INSE_IS6_EEEESI_S6_NSB_4plusIvEENSB_8equal_toIvEES6_EE10hipError_tPvRmT2_T3_T4_T5_mT6_T7_P12ihipStream_tbENKUlT_T0_E_clISt17integral_constantIbLb0EES13_EEDaSY_SZ_EUlSY_E_NS1_11comp_targetILNS1_3genE10ELNS1_11target_archE1200ELNS1_3gpuE4ELNS1_3repE0EEENS1_30default_config_static_selectorELNS0_4arch9wavefront6targetE1EEEvT1_.kd
    .uniform_work_group_size: 1
    .uses_dynamic_stack: false
    .vgpr_count:     0
    .vgpr_spill_count: 0
    .wavefront_size: 64
  - .agpr_count:     0
    .args:
      - .offset:         0
        .size:           112
        .value_kind:     by_value
    .group_segment_fixed_size: 0
    .kernarg_segment_align: 8
    .kernarg_segment_size: 112
    .language:       OpenCL C
    .language_version:
      - 2
      - 0
    .max_flat_workgroup_size: 256
    .name:           _ZN7rocprim17ROCPRIM_400000_NS6detail17trampoline_kernelINS0_14default_configENS1_27scan_by_key_config_selectorIj11FixedVectorIiLj1EEEEZZNS1_16scan_by_key_implILNS1_25lookback_scan_determinismE0ELb0ES3_N6thrust23THRUST_200600_302600_NS6detail15normal_iteratorINSB_10device_ptrIjEEEENSD_INSE_IS6_EEEESI_S6_NSB_4plusIvEENSB_8equal_toIvEES6_EE10hipError_tPvRmT2_T3_T4_T5_mT6_T7_P12ihipStream_tbENKUlT_T0_E_clISt17integral_constantIbLb0EES13_EEDaSY_SZ_EUlSY_E_NS1_11comp_targetILNS1_3genE9ELNS1_11target_archE1100ELNS1_3gpuE3ELNS1_3repE0EEENS1_30default_config_static_selectorELNS0_4arch9wavefront6targetE1EEEvT1_
    .private_segment_fixed_size: 0
    .sgpr_count:     6
    .sgpr_spill_count: 0
    .symbol:         _ZN7rocprim17ROCPRIM_400000_NS6detail17trampoline_kernelINS0_14default_configENS1_27scan_by_key_config_selectorIj11FixedVectorIiLj1EEEEZZNS1_16scan_by_key_implILNS1_25lookback_scan_determinismE0ELb0ES3_N6thrust23THRUST_200600_302600_NS6detail15normal_iteratorINSB_10device_ptrIjEEEENSD_INSE_IS6_EEEESI_S6_NSB_4plusIvEENSB_8equal_toIvEES6_EE10hipError_tPvRmT2_T3_T4_T5_mT6_T7_P12ihipStream_tbENKUlT_T0_E_clISt17integral_constantIbLb0EES13_EEDaSY_SZ_EUlSY_E_NS1_11comp_targetILNS1_3genE9ELNS1_11target_archE1100ELNS1_3gpuE3ELNS1_3repE0EEENS1_30default_config_static_selectorELNS0_4arch9wavefront6targetE1EEEvT1_.kd
    .uniform_work_group_size: 1
    .uses_dynamic_stack: false
    .vgpr_count:     0
    .vgpr_spill_count: 0
    .wavefront_size: 64
  - .agpr_count:     0
    .args:
      - .offset:         0
        .size:           112
        .value_kind:     by_value
    .group_segment_fixed_size: 0
    .kernarg_segment_align: 8
    .kernarg_segment_size: 112
    .language:       OpenCL C
    .language_version:
      - 2
      - 0
    .max_flat_workgroup_size: 256
    .name:           _ZN7rocprim17ROCPRIM_400000_NS6detail17trampoline_kernelINS0_14default_configENS1_27scan_by_key_config_selectorIj11FixedVectorIiLj1EEEEZZNS1_16scan_by_key_implILNS1_25lookback_scan_determinismE0ELb0ES3_N6thrust23THRUST_200600_302600_NS6detail15normal_iteratorINSB_10device_ptrIjEEEENSD_INSE_IS6_EEEESI_S6_NSB_4plusIvEENSB_8equal_toIvEES6_EE10hipError_tPvRmT2_T3_T4_T5_mT6_T7_P12ihipStream_tbENKUlT_T0_E_clISt17integral_constantIbLb0EES13_EEDaSY_SZ_EUlSY_E_NS1_11comp_targetILNS1_3genE8ELNS1_11target_archE1030ELNS1_3gpuE2ELNS1_3repE0EEENS1_30default_config_static_selectorELNS0_4arch9wavefront6targetE1EEEvT1_
    .private_segment_fixed_size: 0
    .sgpr_count:     6
    .sgpr_spill_count: 0
    .symbol:         _ZN7rocprim17ROCPRIM_400000_NS6detail17trampoline_kernelINS0_14default_configENS1_27scan_by_key_config_selectorIj11FixedVectorIiLj1EEEEZZNS1_16scan_by_key_implILNS1_25lookback_scan_determinismE0ELb0ES3_N6thrust23THRUST_200600_302600_NS6detail15normal_iteratorINSB_10device_ptrIjEEEENSD_INSE_IS6_EEEESI_S6_NSB_4plusIvEENSB_8equal_toIvEES6_EE10hipError_tPvRmT2_T3_T4_T5_mT6_T7_P12ihipStream_tbENKUlT_T0_E_clISt17integral_constantIbLb0EES13_EEDaSY_SZ_EUlSY_E_NS1_11comp_targetILNS1_3genE8ELNS1_11target_archE1030ELNS1_3gpuE2ELNS1_3repE0EEENS1_30default_config_static_selectorELNS0_4arch9wavefront6targetE1EEEvT1_.kd
    .uniform_work_group_size: 1
    .uses_dynamic_stack: false
    .vgpr_count:     0
    .vgpr_spill_count: 0
    .wavefront_size: 64
  - .agpr_count:     0
    .args:
      - .address_space:  global
        .offset:         0
        .size:           8
        .value_kind:     global_buffer
      - .offset:         8
        .size:           4
        .value_kind:     by_value
      - .offset:         12
        .size:           4
        .value_kind:     by_value
      - .address_space:  global
        .offset:         16
        .size:           8
        .value_kind:     global_buffer
      - .address_space:  global
        .offset:         24
        .size:           8
        .value_kind:     global_buffer
      - .actual_access:  write_only
        .address_space:  global
        .offset:         32
        .size:           8
        .value_kind:     global_buffer
      - .offset:         40
        .size:           8
        .value_kind:     by_value
      - .offset:         48
        .size:           4
        .value_kind:     by_value
      - .address_space:  global
        .offset:         56
        .size:           8
        .value_kind:     global_buffer
      - .offset:         64
        .size:           4
        .value_kind:     hidden_block_count_x
      - .offset:         68
        .size:           4
        .value_kind:     hidden_block_count_y
      - .offset:         72
        .size:           4
        .value_kind:     hidden_block_count_z
      - .offset:         76
        .size:           2
        .value_kind:     hidden_group_size_x
      - .offset:         78
        .size:           2
        .value_kind:     hidden_group_size_y
      - .offset:         80
        .size:           2
        .value_kind:     hidden_group_size_z
      - .offset:         82
        .size:           2
        .value_kind:     hidden_remainder_x
      - .offset:         84
        .size:           2
        .value_kind:     hidden_remainder_y
      - .offset:         86
        .size:           2
        .value_kind:     hidden_remainder_z
      - .offset:         104
        .size:           8
        .value_kind:     hidden_global_offset_x
      - .offset:         112
        .size:           8
        .value_kind:     hidden_global_offset_y
      - .offset:         120
        .size:           8
        .value_kind:     hidden_global_offset_z
      - .offset:         128
        .size:           2
        .value_kind:     hidden_grid_dims
    .group_segment_fixed_size: 0
    .kernarg_segment_align: 8
    .kernarg_segment_size: 320
    .language:       OpenCL C
    .language_version:
      - 2
      - 0
    .max_flat_workgroup_size: 256
    .name:           _ZN7rocprim17ROCPRIM_400000_NS6detail30init_device_scan_by_key_kernelINS1_19lookback_scan_stateINS0_5tupleIJ11FixedVectorIiLj1EEbEEELb1ELb1EEEN6thrust23THRUST_200600_302600_NS6detail15normal_iteratorINSA_10device_ptrIjEEEEjNS1_16block_id_wrapperIjLb1EEEEEvT_jjPNSI_10value_typeET0_PNSt15iterator_traitsISL_E10value_typeEmT1_T2_
    .private_segment_fixed_size: 0
    .sgpr_count:     26
    .sgpr_spill_count: 0
    .symbol:         _ZN7rocprim17ROCPRIM_400000_NS6detail30init_device_scan_by_key_kernelINS1_19lookback_scan_stateINS0_5tupleIJ11FixedVectorIiLj1EEbEEELb1ELb1EEEN6thrust23THRUST_200600_302600_NS6detail15normal_iteratorINSA_10device_ptrIjEEEEjNS1_16block_id_wrapperIjLb1EEEEEvT_jjPNSI_10value_typeET0_PNSt15iterator_traitsISL_E10value_typeEmT1_T2_.kd
    .uniform_work_group_size: 1
    .uses_dynamic_stack: false
    .vgpr_count:     10
    .vgpr_spill_count: 0
    .wavefront_size: 64
  - .agpr_count:     0
    .args:
      - .address_space:  global
        .offset:         0
        .size:           8
        .value_kind:     global_buffer
      - .offset:         8
        .size:           4
        .value_kind:     by_value
      - .offset:         12
        .size:           4
        .value_kind:     by_value
      - .address_space:  global
        .offset:         16
        .size:           8
        .value_kind:     global_buffer
      - .address_space:  global
        .offset:         24
        .size:           8
        .value_kind:     global_buffer
      - .offset:         32
        .size:           4
        .value_kind:     hidden_block_count_x
      - .offset:         36
        .size:           4
        .value_kind:     hidden_block_count_y
      - .offset:         40
        .size:           4
        .value_kind:     hidden_block_count_z
      - .offset:         44
        .size:           2
        .value_kind:     hidden_group_size_x
      - .offset:         46
        .size:           2
        .value_kind:     hidden_group_size_y
      - .offset:         48
        .size:           2
        .value_kind:     hidden_group_size_z
      - .offset:         50
        .size:           2
        .value_kind:     hidden_remainder_x
      - .offset:         52
        .size:           2
        .value_kind:     hidden_remainder_y
      - .offset:         54
        .size:           2
        .value_kind:     hidden_remainder_z
      - .offset:         72
        .size:           8
        .value_kind:     hidden_global_offset_x
      - .offset:         80
        .size:           8
        .value_kind:     hidden_global_offset_y
      - .offset:         88
        .size:           8
        .value_kind:     hidden_global_offset_z
      - .offset:         96
        .size:           2
        .value_kind:     hidden_grid_dims
    .group_segment_fixed_size: 0
    .kernarg_segment_align: 8
    .kernarg_segment_size: 288
    .language:       OpenCL C
    .language_version:
      - 2
      - 0
    .max_flat_workgroup_size: 256
    .name:           _ZN7rocprim17ROCPRIM_400000_NS6detail30init_device_scan_by_key_kernelINS1_19lookback_scan_stateINS0_5tupleIJ11FixedVectorIiLj1EEbEEELb1ELb1EEENS1_16block_id_wrapperIjLb1EEEEEvT_jjPNSB_10value_typeET0_
    .private_segment_fixed_size: 0
    .sgpr_count:     22
    .sgpr_spill_count: 0
    .symbol:         _ZN7rocprim17ROCPRIM_400000_NS6detail30init_device_scan_by_key_kernelINS1_19lookback_scan_stateINS0_5tupleIJ11FixedVectorIiLj1EEbEEELb1ELb1EEENS1_16block_id_wrapperIjLb1EEEEEvT_jjPNSB_10value_typeET0_.kd
    .uniform_work_group_size: 1
    .uses_dynamic_stack: false
    .vgpr_count:     10
    .vgpr_spill_count: 0
    .wavefront_size: 64
  - .agpr_count:     0
    .args:
      - .offset:         0
        .size:           112
        .value_kind:     by_value
    .group_segment_fixed_size: 0
    .kernarg_segment_align: 8
    .kernarg_segment_size: 112
    .language:       OpenCL C
    .language_version:
      - 2
      - 0
    .max_flat_workgroup_size: 256
    .name:           _ZN7rocprim17ROCPRIM_400000_NS6detail17trampoline_kernelINS0_14default_configENS1_27scan_by_key_config_selectorIj11FixedVectorIiLj1EEEEZZNS1_16scan_by_key_implILNS1_25lookback_scan_determinismE0ELb0ES3_N6thrust23THRUST_200600_302600_NS6detail15normal_iteratorINSB_10device_ptrIjEEEENSD_INSE_IS6_EEEESI_S6_NSB_4plusIvEENSB_8equal_toIvEES6_EE10hipError_tPvRmT2_T3_T4_T5_mT6_T7_P12ihipStream_tbENKUlT_T0_E_clISt17integral_constantIbLb1EES13_EEDaSY_SZ_EUlSY_E_NS1_11comp_targetILNS1_3genE0ELNS1_11target_archE4294967295ELNS1_3gpuE0ELNS1_3repE0EEENS1_30default_config_static_selectorELNS0_4arch9wavefront6targetE1EEEvT1_
    .private_segment_fixed_size: 0
    .sgpr_count:     6
    .sgpr_spill_count: 0
    .symbol:         _ZN7rocprim17ROCPRIM_400000_NS6detail17trampoline_kernelINS0_14default_configENS1_27scan_by_key_config_selectorIj11FixedVectorIiLj1EEEEZZNS1_16scan_by_key_implILNS1_25lookback_scan_determinismE0ELb0ES3_N6thrust23THRUST_200600_302600_NS6detail15normal_iteratorINSB_10device_ptrIjEEEENSD_INSE_IS6_EEEESI_S6_NSB_4plusIvEENSB_8equal_toIvEES6_EE10hipError_tPvRmT2_T3_T4_T5_mT6_T7_P12ihipStream_tbENKUlT_T0_E_clISt17integral_constantIbLb1EES13_EEDaSY_SZ_EUlSY_E_NS1_11comp_targetILNS1_3genE0ELNS1_11target_archE4294967295ELNS1_3gpuE0ELNS1_3repE0EEENS1_30default_config_static_selectorELNS0_4arch9wavefront6targetE1EEEvT1_.kd
    .uniform_work_group_size: 1
    .uses_dynamic_stack: false
    .vgpr_count:     0
    .vgpr_spill_count: 0
    .wavefront_size: 64
  - .agpr_count:     0
    .args:
      - .offset:         0
        .size:           112
        .value_kind:     by_value
    .group_segment_fixed_size: 0
    .kernarg_segment_align: 8
    .kernarg_segment_size: 112
    .language:       OpenCL C
    .language_version:
      - 2
      - 0
    .max_flat_workgroup_size: 256
    .name:           _ZN7rocprim17ROCPRIM_400000_NS6detail17trampoline_kernelINS0_14default_configENS1_27scan_by_key_config_selectorIj11FixedVectorIiLj1EEEEZZNS1_16scan_by_key_implILNS1_25lookback_scan_determinismE0ELb0ES3_N6thrust23THRUST_200600_302600_NS6detail15normal_iteratorINSB_10device_ptrIjEEEENSD_INSE_IS6_EEEESI_S6_NSB_4plusIvEENSB_8equal_toIvEES6_EE10hipError_tPvRmT2_T3_T4_T5_mT6_T7_P12ihipStream_tbENKUlT_T0_E_clISt17integral_constantIbLb1EES13_EEDaSY_SZ_EUlSY_E_NS1_11comp_targetILNS1_3genE10ELNS1_11target_archE1201ELNS1_3gpuE5ELNS1_3repE0EEENS1_30default_config_static_selectorELNS0_4arch9wavefront6targetE1EEEvT1_
    .private_segment_fixed_size: 0
    .sgpr_count:     6
    .sgpr_spill_count: 0
    .symbol:         _ZN7rocprim17ROCPRIM_400000_NS6detail17trampoline_kernelINS0_14default_configENS1_27scan_by_key_config_selectorIj11FixedVectorIiLj1EEEEZZNS1_16scan_by_key_implILNS1_25lookback_scan_determinismE0ELb0ES3_N6thrust23THRUST_200600_302600_NS6detail15normal_iteratorINSB_10device_ptrIjEEEENSD_INSE_IS6_EEEESI_S6_NSB_4plusIvEENSB_8equal_toIvEES6_EE10hipError_tPvRmT2_T3_T4_T5_mT6_T7_P12ihipStream_tbENKUlT_T0_E_clISt17integral_constantIbLb1EES13_EEDaSY_SZ_EUlSY_E_NS1_11comp_targetILNS1_3genE10ELNS1_11target_archE1201ELNS1_3gpuE5ELNS1_3repE0EEENS1_30default_config_static_selectorELNS0_4arch9wavefront6targetE1EEEvT1_.kd
    .uniform_work_group_size: 1
    .uses_dynamic_stack: false
    .vgpr_count:     0
    .vgpr_spill_count: 0
    .wavefront_size: 64
  - .agpr_count:     0
    .args:
      - .offset:         0
        .size:           112
        .value_kind:     by_value
    .group_segment_fixed_size: 25600
    .kernarg_segment_align: 8
    .kernarg_segment_size: 112
    .language:       OpenCL C
    .language_version:
      - 2
      - 0
    .max_flat_workgroup_size: 256
    .name:           _ZN7rocprim17ROCPRIM_400000_NS6detail17trampoline_kernelINS0_14default_configENS1_27scan_by_key_config_selectorIj11FixedVectorIiLj1EEEEZZNS1_16scan_by_key_implILNS1_25lookback_scan_determinismE0ELb0ES3_N6thrust23THRUST_200600_302600_NS6detail15normal_iteratorINSB_10device_ptrIjEEEENSD_INSE_IS6_EEEESI_S6_NSB_4plusIvEENSB_8equal_toIvEES6_EE10hipError_tPvRmT2_T3_T4_T5_mT6_T7_P12ihipStream_tbENKUlT_T0_E_clISt17integral_constantIbLb1EES13_EEDaSY_SZ_EUlSY_E_NS1_11comp_targetILNS1_3genE5ELNS1_11target_archE942ELNS1_3gpuE9ELNS1_3repE0EEENS1_30default_config_static_selectorELNS0_4arch9wavefront6targetE1EEEvT1_
    .private_segment_fixed_size: 0
    .sgpr_count:     91
    .sgpr_spill_count: 0
    .symbol:         _ZN7rocprim17ROCPRIM_400000_NS6detail17trampoline_kernelINS0_14default_configENS1_27scan_by_key_config_selectorIj11FixedVectorIiLj1EEEEZZNS1_16scan_by_key_implILNS1_25lookback_scan_determinismE0ELb0ES3_N6thrust23THRUST_200600_302600_NS6detail15normal_iteratorINSB_10device_ptrIjEEEENSD_INSE_IS6_EEEESI_S6_NSB_4plusIvEENSB_8equal_toIvEES6_EE10hipError_tPvRmT2_T3_T4_T5_mT6_T7_P12ihipStream_tbENKUlT_T0_E_clISt17integral_constantIbLb1EES13_EEDaSY_SZ_EUlSY_E_NS1_11comp_targetILNS1_3genE5ELNS1_11target_archE942ELNS1_3gpuE9ELNS1_3repE0EEENS1_30default_config_static_selectorELNS0_4arch9wavefront6targetE1EEEvT1_.kd
    .uniform_work_group_size: 1
    .uses_dynamic_stack: false
    .vgpr_count:     81
    .vgpr_spill_count: 0
    .wavefront_size: 64
  - .agpr_count:     0
    .args:
      - .offset:         0
        .size:           112
        .value_kind:     by_value
    .group_segment_fixed_size: 0
    .kernarg_segment_align: 8
    .kernarg_segment_size: 112
    .language:       OpenCL C
    .language_version:
      - 2
      - 0
    .max_flat_workgroup_size: 256
    .name:           _ZN7rocprim17ROCPRIM_400000_NS6detail17trampoline_kernelINS0_14default_configENS1_27scan_by_key_config_selectorIj11FixedVectorIiLj1EEEEZZNS1_16scan_by_key_implILNS1_25lookback_scan_determinismE0ELb0ES3_N6thrust23THRUST_200600_302600_NS6detail15normal_iteratorINSB_10device_ptrIjEEEENSD_INSE_IS6_EEEESI_S6_NSB_4plusIvEENSB_8equal_toIvEES6_EE10hipError_tPvRmT2_T3_T4_T5_mT6_T7_P12ihipStream_tbENKUlT_T0_E_clISt17integral_constantIbLb1EES13_EEDaSY_SZ_EUlSY_E_NS1_11comp_targetILNS1_3genE4ELNS1_11target_archE910ELNS1_3gpuE8ELNS1_3repE0EEENS1_30default_config_static_selectorELNS0_4arch9wavefront6targetE1EEEvT1_
    .private_segment_fixed_size: 0
    .sgpr_count:     6
    .sgpr_spill_count: 0
    .symbol:         _ZN7rocprim17ROCPRIM_400000_NS6detail17trampoline_kernelINS0_14default_configENS1_27scan_by_key_config_selectorIj11FixedVectorIiLj1EEEEZZNS1_16scan_by_key_implILNS1_25lookback_scan_determinismE0ELb0ES3_N6thrust23THRUST_200600_302600_NS6detail15normal_iteratorINSB_10device_ptrIjEEEENSD_INSE_IS6_EEEESI_S6_NSB_4plusIvEENSB_8equal_toIvEES6_EE10hipError_tPvRmT2_T3_T4_T5_mT6_T7_P12ihipStream_tbENKUlT_T0_E_clISt17integral_constantIbLb1EES13_EEDaSY_SZ_EUlSY_E_NS1_11comp_targetILNS1_3genE4ELNS1_11target_archE910ELNS1_3gpuE8ELNS1_3repE0EEENS1_30default_config_static_selectorELNS0_4arch9wavefront6targetE1EEEvT1_.kd
    .uniform_work_group_size: 1
    .uses_dynamic_stack: false
    .vgpr_count:     0
    .vgpr_spill_count: 0
    .wavefront_size: 64
  - .agpr_count:     0
    .args:
      - .offset:         0
        .size:           112
        .value_kind:     by_value
    .group_segment_fixed_size: 0
    .kernarg_segment_align: 8
    .kernarg_segment_size: 112
    .language:       OpenCL C
    .language_version:
      - 2
      - 0
    .max_flat_workgroup_size: 256
    .name:           _ZN7rocprim17ROCPRIM_400000_NS6detail17trampoline_kernelINS0_14default_configENS1_27scan_by_key_config_selectorIj11FixedVectorIiLj1EEEEZZNS1_16scan_by_key_implILNS1_25lookback_scan_determinismE0ELb0ES3_N6thrust23THRUST_200600_302600_NS6detail15normal_iteratorINSB_10device_ptrIjEEEENSD_INSE_IS6_EEEESI_S6_NSB_4plusIvEENSB_8equal_toIvEES6_EE10hipError_tPvRmT2_T3_T4_T5_mT6_T7_P12ihipStream_tbENKUlT_T0_E_clISt17integral_constantIbLb1EES13_EEDaSY_SZ_EUlSY_E_NS1_11comp_targetILNS1_3genE3ELNS1_11target_archE908ELNS1_3gpuE7ELNS1_3repE0EEENS1_30default_config_static_selectorELNS0_4arch9wavefront6targetE1EEEvT1_
    .private_segment_fixed_size: 0
    .sgpr_count:     6
    .sgpr_spill_count: 0
    .symbol:         _ZN7rocprim17ROCPRIM_400000_NS6detail17trampoline_kernelINS0_14default_configENS1_27scan_by_key_config_selectorIj11FixedVectorIiLj1EEEEZZNS1_16scan_by_key_implILNS1_25lookback_scan_determinismE0ELb0ES3_N6thrust23THRUST_200600_302600_NS6detail15normal_iteratorINSB_10device_ptrIjEEEENSD_INSE_IS6_EEEESI_S6_NSB_4plusIvEENSB_8equal_toIvEES6_EE10hipError_tPvRmT2_T3_T4_T5_mT6_T7_P12ihipStream_tbENKUlT_T0_E_clISt17integral_constantIbLb1EES13_EEDaSY_SZ_EUlSY_E_NS1_11comp_targetILNS1_3genE3ELNS1_11target_archE908ELNS1_3gpuE7ELNS1_3repE0EEENS1_30default_config_static_selectorELNS0_4arch9wavefront6targetE1EEEvT1_.kd
    .uniform_work_group_size: 1
    .uses_dynamic_stack: false
    .vgpr_count:     0
    .vgpr_spill_count: 0
    .wavefront_size: 64
  - .agpr_count:     0
    .args:
      - .offset:         0
        .size:           112
        .value_kind:     by_value
    .group_segment_fixed_size: 0
    .kernarg_segment_align: 8
    .kernarg_segment_size: 112
    .language:       OpenCL C
    .language_version:
      - 2
      - 0
    .max_flat_workgroup_size: 256
    .name:           _ZN7rocprim17ROCPRIM_400000_NS6detail17trampoline_kernelINS0_14default_configENS1_27scan_by_key_config_selectorIj11FixedVectorIiLj1EEEEZZNS1_16scan_by_key_implILNS1_25lookback_scan_determinismE0ELb0ES3_N6thrust23THRUST_200600_302600_NS6detail15normal_iteratorINSB_10device_ptrIjEEEENSD_INSE_IS6_EEEESI_S6_NSB_4plusIvEENSB_8equal_toIvEES6_EE10hipError_tPvRmT2_T3_T4_T5_mT6_T7_P12ihipStream_tbENKUlT_T0_E_clISt17integral_constantIbLb1EES13_EEDaSY_SZ_EUlSY_E_NS1_11comp_targetILNS1_3genE2ELNS1_11target_archE906ELNS1_3gpuE6ELNS1_3repE0EEENS1_30default_config_static_selectorELNS0_4arch9wavefront6targetE1EEEvT1_
    .private_segment_fixed_size: 0
    .sgpr_count:     6
    .sgpr_spill_count: 0
    .symbol:         _ZN7rocprim17ROCPRIM_400000_NS6detail17trampoline_kernelINS0_14default_configENS1_27scan_by_key_config_selectorIj11FixedVectorIiLj1EEEEZZNS1_16scan_by_key_implILNS1_25lookback_scan_determinismE0ELb0ES3_N6thrust23THRUST_200600_302600_NS6detail15normal_iteratorINSB_10device_ptrIjEEEENSD_INSE_IS6_EEEESI_S6_NSB_4plusIvEENSB_8equal_toIvEES6_EE10hipError_tPvRmT2_T3_T4_T5_mT6_T7_P12ihipStream_tbENKUlT_T0_E_clISt17integral_constantIbLb1EES13_EEDaSY_SZ_EUlSY_E_NS1_11comp_targetILNS1_3genE2ELNS1_11target_archE906ELNS1_3gpuE6ELNS1_3repE0EEENS1_30default_config_static_selectorELNS0_4arch9wavefront6targetE1EEEvT1_.kd
    .uniform_work_group_size: 1
    .uses_dynamic_stack: false
    .vgpr_count:     0
    .vgpr_spill_count: 0
    .wavefront_size: 64
  - .agpr_count:     0
    .args:
      - .offset:         0
        .size:           112
        .value_kind:     by_value
    .group_segment_fixed_size: 0
    .kernarg_segment_align: 8
    .kernarg_segment_size: 112
    .language:       OpenCL C
    .language_version:
      - 2
      - 0
    .max_flat_workgroup_size: 256
    .name:           _ZN7rocprim17ROCPRIM_400000_NS6detail17trampoline_kernelINS0_14default_configENS1_27scan_by_key_config_selectorIj11FixedVectorIiLj1EEEEZZNS1_16scan_by_key_implILNS1_25lookback_scan_determinismE0ELb0ES3_N6thrust23THRUST_200600_302600_NS6detail15normal_iteratorINSB_10device_ptrIjEEEENSD_INSE_IS6_EEEESI_S6_NSB_4plusIvEENSB_8equal_toIvEES6_EE10hipError_tPvRmT2_T3_T4_T5_mT6_T7_P12ihipStream_tbENKUlT_T0_E_clISt17integral_constantIbLb1EES13_EEDaSY_SZ_EUlSY_E_NS1_11comp_targetILNS1_3genE10ELNS1_11target_archE1200ELNS1_3gpuE4ELNS1_3repE0EEENS1_30default_config_static_selectorELNS0_4arch9wavefront6targetE1EEEvT1_
    .private_segment_fixed_size: 0
    .sgpr_count:     6
    .sgpr_spill_count: 0
    .symbol:         _ZN7rocprim17ROCPRIM_400000_NS6detail17trampoline_kernelINS0_14default_configENS1_27scan_by_key_config_selectorIj11FixedVectorIiLj1EEEEZZNS1_16scan_by_key_implILNS1_25lookback_scan_determinismE0ELb0ES3_N6thrust23THRUST_200600_302600_NS6detail15normal_iteratorINSB_10device_ptrIjEEEENSD_INSE_IS6_EEEESI_S6_NSB_4plusIvEENSB_8equal_toIvEES6_EE10hipError_tPvRmT2_T3_T4_T5_mT6_T7_P12ihipStream_tbENKUlT_T0_E_clISt17integral_constantIbLb1EES13_EEDaSY_SZ_EUlSY_E_NS1_11comp_targetILNS1_3genE10ELNS1_11target_archE1200ELNS1_3gpuE4ELNS1_3repE0EEENS1_30default_config_static_selectorELNS0_4arch9wavefront6targetE1EEEvT1_.kd
    .uniform_work_group_size: 1
    .uses_dynamic_stack: false
    .vgpr_count:     0
    .vgpr_spill_count: 0
    .wavefront_size: 64
  - .agpr_count:     0
    .args:
      - .offset:         0
        .size:           112
        .value_kind:     by_value
    .group_segment_fixed_size: 0
    .kernarg_segment_align: 8
    .kernarg_segment_size: 112
    .language:       OpenCL C
    .language_version:
      - 2
      - 0
    .max_flat_workgroup_size: 256
    .name:           _ZN7rocprim17ROCPRIM_400000_NS6detail17trampoline_kernelINS0_14default_configENS1_27scan_by_key_config_selectorIj11FixedVectorIiLj1EEEEZZNS1_16scan_by_key_implILNS1_25lookback_scan_determinismE0ELb0ES3_N6thrust23THRUST_200600_302600_NS6detail15normal_iteratorINSB_10device_ptrIjEEEENSD_INSE_IS6_EEEESI_S6_NSB_4plusIvEENSB_8equal_toIvEES6_EE10hipError_tPvRmT2_T3_T4_T5_mT6_T7_P12ihipStream_tbENKUlT_T0_E_clISt17integral_constantIbLb1EES13_EEDaSY_SZ_EUlSY_E_NS1_11comp_targetILNS1_3genE9ELNS1_11target_archE1100ELNS1_3gpuE3ELNS1_3repE0EEENS1_30default_config_static_selectorELNS0_4arch9wavefront6targetE1EEEvT1_
    .private_segment_fixed_size: 0
    .sgpr_count:     6
    .sgpr_spill_count: 0
    .symbol:         _ZN7rocprim17ROCPRIM_400000_NS6detail17trampoline_kernelINS0_14default_configENS1_27scan_by_key_config_selectorIj11FixedVectorIiLj1EEEEZZNS1_16scan_by_key_implILNS1_25lookback_scan_determinismE0ELb0ES3_N6thrust23THRUST_200600_302600_NS6detail15normal_iteratorINSB_10device_ptrIjEEEENSD_INSE_IS6_EEEESI_S6_NSB_4plusIvEENSB_8equal_toIvEES6_EE10hipError_tPvRmT2_T3_T4_T5_mT6_T7_P12ihipStream_tbENKUlT_T0_E_clISt17integral_constantIbLb1EES13_EEDaSY_SZ_EUlSY_E_NS1_11comp_targetILNS1_3genE9ELNS1_11target_archE1100ELNS1_3gpuE3ELNS1_3repE0EEENS1_30default_config_static_selectorELNS0_4arch9wavefront6targetE1EEEvT1_.kd
    .uniform_work_group_size: 1
    .uses_dynamic_stack: false
    .vgpr_count:     0
    .vgpr_spill_count: 0
    .wavefront_size: 64
  - .agpr_count:     0
    .args:
      - .offset:         0
        .size:           112
        .value_kind:     by_value
    .group_segment_fixed_size: 0
    .kernarg_segment_align: 8
    .kernarg_segment_size: 112
    .language:       OpenCL C
    .language_version:
      - 2
      - 0
    .max_flat_workgroup_size: 256
    .name:           _ZN7rocprim17ROCPRIM_400000_NS6detail17trampoline_kernelINS0_14default_configENS1_27scan_by_key_config_selectorIj11FixedVectorIiLj1EEEEZZNS1_16scan_by_key_implILNS1_25lookback_scan_determinismE0ELb0ES3_N6thrust23THRUST_200600_302600_NS6detail15normal_iteratorINSB_10device_ptrIjEEEENSD_INSE_IS6_EEEESI_S6_NSB_4plusIvEENSB_8equal_toIvEES6_EE10hipError_tPvRmT2_T3_T4_T5_mT6_T7_P12ihipStream_tbENKUlT_T0_E_clISt17integral_constantIbLb1EES13_EEDaSY_SZ_EUlSY_E_NS1_11comp_targetILNS1_3genE8ELNS1_11target_archE1030ELNS1_3gpuE2ELNS1_3repE0EEENS1_30default_config_static_selectorELNS0_4arch9wavefront6targetE1EEEvT1_
    .private_segment_fixed_size: 0
    .sgpr_count:     6
    .sgpr_spill_count: 0
    .symbol:         _ZN7rocprim17ROCPRIM_400000_NS6detail17trampoline_kernelINS0_14default_configENS1_27scan_by_key_config_selectorIj11FixedVectorIiLj1EEEEZZNS1_16scan_by_key_implILNS1_25lookback_scan_determinismE0ELb0ES3_N6thrust23THRUST_200600_302600_NS6detail15normal_iteratorINSB_10device_ptrIjEEEENSD_INSE_IS6_EEEESI_S6_NSB_4plusIvEENSB_8equal_toIvEES6_EE10hipError_tPvRmT2_T3_T4_T5_mT6_T7_P12ihipStream_tbENKUlT_T0_E_clISt17integral_constantIbLb1EES13_EEDaSY_SZ_EUlSY_E_NS1_11comp_targetILNS1_3genE8ELNS1_11target_archE1030ELNS1_3gpuE2ELNS1_3repE0EEENS1_30default_config_static_selectorELNS0_4arch9wavefront6targetE1EEEvT1_.kd
    .uniform_work_group_size: 1
    .uses_dynamic_stack: false
    .vgpr_count:     0
    .vgpr_spill_count: 0
    .wavefront_size: 64
  - .agpr_count:     0
    .args:
      - .address_space:  global
        .offset:         0
        .size:           8
        .value_kind:     global_buffer
      - .offset:         8
        .size:           4
        .value_kind:     by_value
      - .offset:         12
        .size:           4
        .value_kind:     by_value
      - .address_space:  global
        .offset:         16
        .size:           8
        .value_kind:     global_buffer
      - .address_space:  global
        .offset:         24
        .size:           8
        .value_kind:     global_buffer
      - .actual_access:  write_only
        .address_space:  global
        .offset:         32
        .size:           8
        .value_kind:     global_buffer
      - .offset:         40
        .size:           8
        .value_kind:     by_value
      - .offset:         48
        .size:           4
        .value_kind:     by_value
      - .offset:         52
        .size:           1
        .value_kind:     by_value
      - .offset:         56
        .size:           4
        .value_kind:     hidden_block_count_x
      - .offset:         60
        .size:           4
        .value_kind:     hidden_block_count_y
      - .offset:         64
        .size:           4
        .value_kind:     hidden_block_count_z
      - .offset:         68
        .size:           2
        .value_kind:     hidden_group_size_x
      - .offset:         70
        .size:           2
        .value_kind:     hidden_group_size_y
      - .offset:         72
        .size:           2
        .value_kind:     hidden_group_size_z
      - .offset:         74
        .size:           2
        .value_kind:     hidden_remainder_x
      - .offset:         76
        .size:           2
        .value_kind:     hidden_remainder_y
      - .offset:         78
        .size:           2
        .value_kind:     hidden_remainder_z
      - .offset:         96
        .size:           8
        .value_kind:     hidden_global_offset_x
      - .offset:         104
        .size:           8
        .value_kind:     hidden_global_offset_y
      - .offset:         112
        .size:           8
        .value_kind:     hidden_global_offset_z
      - .offset:         120
        .size:           2
        .value_kind:     hidden_grid_dims
    .group_segment_fixed_size: 0
    .kernarg_segment_align: 8
    .kernarg_segment_size: 312
    .language:       OpenCL C
    .language_version:
      - 2
      - 0
    .max_flat_workgroup_size: 256
    .name:           _ZN7rocprim17ROCPRIM_400000_NS6detail30init_device_scan_by_key_kernelINS1_19lookback_scan_stateINS0_5tupleIJ11FixedVectorIiLj1EEbEEELb1ELb1EEEN6thrust23THRUST_200600_302600_NS6detail15normal_iteratorINSA_10device_ptrIjEEEEjNS1_16block_id_wrapperIjLb0EEEEEvT_jjPNSI_10value_typeET0_PNSt15iterator_traitsISL_E10value_typeEmT1_T2_
    .private_segment_fixed_size: 0
    .sgpr_count:     26
    .sgpr_spill_count: 0
    .symbol:         _ZN7rocprim17ROCPRIM_400000_NS6detail30init_device_scan_by_key_kernelINS1_19lookback_scan_stateINS0_5tupleIJ11FixedVectorIiLj1EEbEEELb1ELb1EEEN6thrust23THRUST_200600_302600_NS6detail15normal_iteratorINSA_10device_ptrIjEEEEjNS1_16block_id_wrapperIjLb0EEEEEvT_jjPNSI_10value_typeET0_PNSt15iterator_traitsISL_E10value_typeEmT1_T2_.kd
    .uniform_work_group_size: 1
    .uses_dynamic_stack: false
    .vgpr_count:     10
    .vgpr_spill_count: 0
    .wavefront_size: 64
  - .agpr_count:     0
    .args:
      - .address_space:  global
        .offset:         0
        .size:           8
        .value_kind:     global_buffer
      - .offset:         8
        .size:           4
        .value_kind:     by_value
      - .offset:         12
        .size:           4
        .value_kind:     by_value
      - .address_space:  global
        .offset:         16
        .size:           8
        .value_kind:     global_buffer
      - .offset:         24
        .size:           1
        .value_kind:     by_value
      - .offset:         32
        .size:           4
        .value_kind:     hidden_block_count_x
      - .offset:         36
        .size:           4
        .value_kind:     hidden_block_count_y
      - .offset:         40
        .size:           4
        .value_kind:     hidden_block_count_z
      - .offset:         44
        .size:           2
        .value_kind:     hidden_group_size_x
      - .offset:         46
        .size:           2
        .value_kind:     hidden_group_size_y
      - .offset:         48
        .size:           2
        .value_kind:     hidden_group_size_z
      - .offset:         50
        .size:           2
        .value_kind:     hidden_remainder_x
      - .offset:         52
        .size:           2
        .value_kind:     hidden_remainder_y
      - .offset:         54
        .size:           2
        .value_kind:     hidden_remainder_z
      - .offset:         72
        .size:           8
        .value_kind:     hidden_global_offset_x
      - .offset:         80
        .size:           8
        .value_kind:     hidden_global_offset_y
      - .offset:         88
        .size:           8
        .value_kind:     hidden_global_offset_z
      - .offset:         96
        .size:           2
        .value_kind:     hidden_grid_dims
    .group_segment_fixed_size: 0
    .kernarg_segment_align: 8
    .kernarg_segment_size: 288
    .language:       OpenCL C
    .language_version:
      - 2
      - 0
    .max_flat_workgroup_size: 256
    .name:           _ZN7rocprim17ROCPRIM_400000_NS6detail30init_device_scan_by_key_kernelINS1_19lookback_scan_stateINS0_5tupleIJ11FixedVectorIiLj1EEbEEELb1ELb1EEENS1_16block_id_wrapperIjLb0EEEEEvT_jjPNSB_10value_typeET0_
    .private_segment_fixed_size: 0
    .sgpr_count:     20
    .sgpr_spill_count: 0
    .symbol:         _ZN7rocprim17ROCPRIM_400000_NS6detail30init_device_scan_by_key_kernelINS1_19lookback_scan_stateINS0_5tupleIJ11FixedVectorIiLj1EEbEEELb1ELb1EEENS1_16block_id_wrapperIjLb0EEEEEvT_jjPNSB_10value_typeET0_.kd
    .uniform_work_group_size: 1
    .uses_dynamic_stack: false
    .vgpr_count:     10
    .vgpr_spill_count: 0
    .wavefront_size: 64
  - .agpr_count:     0
    .args:
      - .offset:         0
        .size:           112
        .value_kind:     by_value
    .group_segment_fixed_size: 0
    .kernarg_segment_align: 8
    .kernarg_segment_size: 112
    .language:       OpenCL C
    .language_version:
      - 2
      - 0
    .max_flat_workgroup_size: 256
    .name:           _ZN7rocprim17ROCPRIM_400000_NS6detail17trampoline_kernelINS0_14default_configENS1_27scan_by_key_config_selectorIj11FixedVectorIiLj1EEEEZZNS1_16scan_by_key_implILNS1_25lookback_scan_determinismE0ELb0ES3_N6thrust23THRUST_200600_302600_NS6detail15normal_iteratorINSB_10device_ptrIjEEEENSD_INSE_IS6_EEEESI_S6_NSB_4plusIvEENSB_8equal_toIvEES6_EE10hipError_tPvRmT2_T3_T4_T5_mT6_T7_P12ihipStream_tbENKUlT_T0_E_clISt17integral_constantIbLb1EES12_IbLb0EEEEDaSY_SZ_EUlSY_E_NS1_11comp_targetILNS1_3genE0ELNS1_11target_archE4294967295ELNS1_3gpuE0ELNS1_3repE0EEENS1_30default_config_static_selectorELNS0_4arch9wavefront6targetE1EEEvT1_
    .private_segment_fixed_size: 0
    .sgpr_count:     6
    .sgpr_spill_count: 0
    .symbol:         _ZN7rocprim17ROCPRIM_400000_NS6detail17trampoline_kernelINS0_14default_configENS1_27scan_by_key_config_selectorIj11FixedVectorIiLj1EEEEZZNS1_16scan_by_key_implILNS1_25lookback_scan_determinismE0ELb0ES3_N6thrust23THRUST_200600_302600_NS6detail15normal_iteratorINSB_10device_ptrIjEEEENSD_INSE_IS6_EEEESI_S6_NSB_4plusIvEENSB_8equal_toIvEES6_EE10hipError_tPvRmT2_T3_T4_T5_mT6_T7_P12ihipStream_tbENKUlT_T0_E_clISt17integral_constantIbLb1EES12_IbLb0EEEEDaSY_SZ_EUlSY_E_NS1_11comp_targetILNS1_3genE0ELNS1_11target_archE4294967295ELNS1_3gpuE0ELNS1_3repE0EEENS1_30default_config_static_selectorELNS0_4arch9wavefront6targetE1EEEvT1_.kd
    .uniform_work_group_size: 1
    .uses_dynamic_stack: false
    .vgpr_count:     0
    .vgpr_spill_count: 0
    .wavefront_size: 64
  - .agpr_count:     0
    .args:
      - .offset:         0
        .size:           112
        .value_kind:     by_value
    .group_segment_fixed_size: 0
    .kernarg_segment_align: 8
    .kernarg_segment_size: 112
    .language:       OpenCL C
    .language_version:
      - 2
      - 0
    .max_flat_workgroup_size: 256
    .name:           _ZN7rocprim17ROCPRIM_400000_NS6detail17trampoline_kernelINS0_14default_configENS1_27scan_by_key_config_selectorIj11FixedVectorIiLj1EEEEZZNS1_16scan_by_key_implILNS1_25lookback_scan_determinismE0ELb0ES3_N6thrust23THRUST_200600_302600_NS6detail15normal_iteratorINSB_10device_ptrIjEEEENSD_INSE_IS6_EEEESI_S6_NSB_4plusIvEENSB_8equal_toIvEES6_EE10hipError_tPvRmT2_T3_T4_T5_mT6_T7_P12ihipStream_tbENKUlT_T0_E_clISt17integral_constantIbLb1EES12_IbLb0EEEEDaSY_SZ_EUlSY_E_NS1_11comp_targetILNS1_3genE10ELNS1_11target_archE1201ELNS1_3gpuE5ELNS1_3repE0EEENS1_30default_config_static_selectorELNS0_4arch9wavefront6targetE1EEEvT1_
    .private_segment_fixed_size: 0
    .sgpr_count:     6
    .sgpr_spill_count: 0
    .symbol:         _ZN7rocprim17ROCPRIM_400000_NS6detail17trampoline_kernelINS0_14default_configENS1_27scan_by_key_config_selectorIj11FixedVectorIiLj1EEEEZZNS1_16scan_by_key_implILNS1_25lookback_scan_determinismE0ELb0ES3_N6thrust23THRUST_200600_302600_NS6detail15normal_iteratorINSB_10device_ptrIjEEEENSD_INSE_IS6_EEEESI_S6_NSB_4plusIvEENSB_8equal_toIvEES6_EE10hipError_tPvRmT2_T3_T4_T5_mT6_T7_P12ihipStream_tbENKUlT_T0_E_clISt17integral_constantIbLb1EES12_IbLb0EEEEDaSY_SZ_EUlSY_E_NS1_11comp_targetILNS1_3genE10ELNS1_11target_archE1201ELNS1_3gpuE5ELNS1_3repE0EEENS1_30default_config_static_selectorELNS0_4arch9wavefront6targetE1EEEvT1_.kd
    .uniform_work_group_size: 1
    .uses_dynamic_stack: false
    .vgpr_count:     0
    .vgpr_spill_count: 0
    .wavefront_size: 64
  - .agpr_count:     0
    .args:
      - .offset:         0
        .size:           112
        .value_kind:     by_value
    .group_segment_fixed_size: 25600
    .kernarg_segment_align: 8
    .kernarg_segment_size: 112
    .language:       OpenCL C
    .language_version:
      - 2
      - 0
    .max_flat_workgroup_size: 256
    .name:           _ZN7rocprim17ROCPRIM_400000_NS6detail17trampoline_kernelINS0_14default_configENS1_27scan_by_key_config_selectorIj11FixedVectorIiLj1EEEEZZNS1_16scan_by_key_implILNS1_25lookback_scan_determinismE0ELb0ES3_N6thrust23THRUST_200600_302600_NS6detail15normal_iteratorINSB_10device_ptrIjEEEENSD_INSE_IS6_EEEESI_S6_NSB_4plusIvEENSB_8equal_toIvEES6_EE10hipError_tPvRmT2_T3_T4_T5_mT6_T7_P12ihipStream_tbENKUlT_T0_E_clISt17integral_constantIbLb1EES12_IbLb0EEEEDaSY_SZ_EUlSY_E_NS1_11comp_targetILNS1_3genE5ELNS1_11target_archE942ELNS1_3gpuE9ELNS1_3repE0EEENS1_30default_config_static_selectorELNS0_4arch9wavefront6targetE1EEEvT1_
    .private_segment_fixed_size: 0
    .sgpr_count:     88
    .sgpr_spill_count: 0
    .symbol:         _ZN7rocprim17ROCPRIM_400000_NS6detail17trampoline_kernelINS0_14default_configENS1_27scan_by_key_config_selectorIj11FixedVectorIiLj1EEEEZZNS1_16scan_by_key_implILNS1_25lookback_scan_determinismE0ELb0ES3_N6thrust23THRUST_200600_302600_NS6detail15normal_iteratorINSB_10device_ptrIjEEEENSD_INSE_IS6_EEEESI_S6_NSB_4plusIvEENSB_8equal_toIvEES6_EE10hipError_tPvRmT2_T3_T4_T5_mT6_T7_P12ihipStream_tbENKUlT_T0_E_clISt17integral_constantIbLb1EES12_IbLb0EEEEDaSY_SZ_EUlSY_E_NS1_11comp_targetILNS1_3genE5ELNS1_11target_archE942ELNS1_3gpuE9ELNS1_3repE0EEENS1_30default_config_static_selectorELNS0_4arch9wavefront6targetE1EEEvT1_.kd
    .uniform_work_group_size: 1
    .uses_dynamic_stack: false
    .vgpr_count:     81
    .vgpr_spill_count: 0
    .wavefront_size: 64
  - .agpr_count:     0
    .args:
      - .offset:         0
        .size:           112
        .value_kind:     by_value
    .group_segment_fixed_size: 0
    .kernarg_segment_align: 8
    .kernarg_segment_size: 112
    .language:       OpenCL C
    .language_version:
      - 2
      - 0
    .max_flat_workgroup_size: 256
    .name:           _ZN7rocprim17ROCPRIM_400000_NS6detail17trampoline_kernelINS0_14default_configENS1_27scan_by_key_config_selectorIj11FixedVectorIiLj1EEEEZZNS1_16scan_by_key_implILNS1_25lookback_scan_determinismE0ELb0ES3_N6thrust23THRUST_200600_302600_NS6detail15normal_iteratorINSB_10device_ptrIjEEEENSD_INSE_IS6_EEEESI_S6_NSB_4plusIvEENSB_8equal_toIvEES6_EE10hipError_tPvRmT2_T3_T4_T5_mT6_T7_P12ihipStream_tbENKUlT_T0_E_clISt17integral_constantIbLb1EES12_IbLb0EEEEDaSY_SZ_EUlSY_E_NS1_11comp_targetILNS1_3genE4ELNS1_11target_archE910ELNS1_3gpuE8ELNS1_3repE0EEENS1_30default_config_static_selectorELNS0_4arch9wavefront6targetE1EEEvT1_
    .private_segment_fixed_size: 0
    .sgpr_count:     6
    .sgpr_spill_count: 0
    .symbol:         _ZN7rocprim17ROCPRIM_400000_NS6detail17trampoline_kernelINS0_14default_configENS1_27scan_by_key_config_selectorIj11FixedVectorIiLj1EEEEZZNS1_16scan_by_key_implILNS1_25lookback_scan_determinismE0ELb0ES3_N6thrust23THRUST_200600_302600_NS6detail15normal_iteratorINSB_10device_ptrIjEEEENSD_INSE_IS6_EEEESI_S6_NSB_4plusIvEENSB_8equal_toIvEES6_EE10hipError_tPvRmT2_T3_T4_T5_mT6_T7_P12ihipStream_tbENKUlT_T0_E_clISt17integral_constantIbLb1EES12_IbLb0EEEEDaSY_SZ_EUlSY_E_NS1_11comp_targetILNS1_3genE4ELNS1_11target_archE910ELNS1_3gpuE8ELNS1_3repE0EEENS1_30default_config_static_selectorELNS0_4arch9wavefront6targetE1EEEvT1_.kd
    .uniform_work_group_size: 1
    .uses_dynamic_stack: false
    .vgpr_count:     0
    .vgpr_spill_count: 0
    .wavefront_size: 64
  - .agpr_count:     0
    .args:
      - .offset:         0
        .size:           112
        .value_kind:     by_value
    .group_segment_fixed_size: 0
    .kernarg_segment_align: 8
    .kernarg_segment_size: 112
    .language:       OpenCL C
    .language_version:
      - 2
      - 0
    .max_flat_workgroup_size: 256
    .name:           _ZN7rocprim17ROCPRIM_400000_NS6detail17trampoline_kernelINS0_14default_configENS1_27scan_by_key_config_selectorIj11FixedVectorIiLj1EEEEZZNS1_16scan_by_key_implILNS1_25lookback_scan_determinismE0ELb0ES3_N6thrust23THRUST_200600_302600_NS6detail15normal_iteratorINSB_10device_ptrIjEEEENSD_INSE_IS6_EEEESI_S6_NSB_4plusIvEENSB_8equal_toIvEES6_EE10hipError_tPvRmT2_T3_T4_T5_mT6_T7_P12ihipStream_tbENKUlT_T0_E_clISt17integral_constantIbLb1EES12_IbLb0EEEEDaSY_SZ_EUlSY_E_NS1_11comp_targetILNS1_3genE3ELNS1_11target_archE908ELNS1_3gpuE7ELNS1_3repE0EEENS1_30default_config_static_selectorELNS0_4arch9wavefront6targetE1EEEvT1_
    .private_segment_fixed_size: 0
    .sgpr_count:     6
    .sgpr_spill_count: 0
    .symbol:         _ZN7rocprim17ROCPRIM_400000_NS6detail17trampoline_kernelINS0_14default_configENS1_27scan_by_key_config_selectorIj11FixedVectorIiLj1EEEEZZNS1_16scan_by_key_implILNS1_25lookback_scan_determinismE0ELb0ES3_N6thrust23THRUST_200600_302600_NS6detail15normal_iteratorINSB_10device_ptrIjEEEENSD_INSE_IS6_EEEESI_S6_NSB_4plusIvEENSB_8equal_toIvEES6_EE10hipError_tPvRmT2_T3_T4_T5_mT6_T7_P12ihipStream_tbENKUlT_T0_E_clISt17integral_constantIbLb1EES12_IbLb0EEEEDaSY_SZ_EUlSY_E_NS1_11comp_targetILNS1_3genE3ELNS1_11target_archE908ELNS1_3gpuE7ELNS1_3repE0EEENS1_30default_config_static_selectorELNS0_4arch9wavefront6targetE1EEEvT1_.kd
    .uniform_work_group_size: 1
    .uses_dynamic_stack: false
    .vgpr_count:     0
    .vgpr_spill_count: 0
    .wavefront_size: 64
  - .agpr_count:     0
    .args:
      - .offset:         0
        .size:           112
        .value_kind:     by_value
    .group_segment_fixed_size: 0
    .kernarg_segment_align: 8
    .kernarg_segment_size: 112
    .language:       OpenCL C
    .language_version:
      - 2
      - 0
    .max_flat_workgroup_size: 256
    .name:           _ZN7rocprim17ROCPRIM_400000_NS6detail17trampoline_kernelINS0_14default_configENS1_27scan_by_key_config_selectorIj11FixedVectorIiLj1EEEEZZNS1_16scan_by_key_implILNS1_25lookback_scan_determinismE0ELb0ES3_N6thrust23THRUST_200600_302600_NS6detail15normal_iteratorINSB_10device_ptrIjEEEENSD_INSE_IS6_EEEESI_S6_NSB_4plusIvEENSB_8equal_toIvEES6_EE10hipError_tPvRmT2_T3_T4_T5_mT6_T7_P12ihipStream_tbENKUlT_T0_E_clISt17integral_constantIbLb1EES12_IbLb0EEEEDaSY_SZ_EUlSY_E_NS1_11comp_targetILNS1_3genE2ELNS1_11target_archE906ELNS1_3gpuE6ELNS1_3repE0EEENS1_30default_config_static_selectorELNS0_4arch9wavefront6targetE1EEEvT1_
    .private_segment_fixed_size: 0
    .sgpr_count:     6
    .sgpr_spill_count: 0
    .symbol:         _ZN7rocprim17ROCPRIM_400000_NS6detail17trampoline_kernelINS0_14default_configENS1_27scan_by_key_config_selectorIj11FixedVectorIiLj1EEEEZZNS1_16scan_by_key_implILNS1_25lookback_scan_determinismE0ELb0ES3_N6thrust23THRUST_200600_302600_NS6detail15normal_iteratorINSB_10device_ptrIjEEEENSD_INSE_IS6_EEEESI_S6_NSB_4plusIvEENSB_8equal_toIvEES6_EE10hipError_tPvRmT2_T3_T4_T5_mT6_T7_P12ihipStream_tbENKUlT_T0_E_clISt17integral_constantIbLb1EES12_IbLb0EEEEDaSY_SZ_EUlSY_E_NS1_11comp_targetILNS1_3genE2ELNS1_11target_archE906ELNS1_3gpuE6ELNS1_3repE0EEENS1_30default_config_static_selectorELNS0_4arch9wavefront6targetE1EEEvT1_.kd
    .uniform_work_group_size: 1
    .uses_dynamic_stack: false
    .vgpr_count:     0
    .vgpr_spill_count: 0
    .wavefront_size: 64
  - .agpr_count:     0
    .args:
      - .offset:         0
        .size:           112
        .value_kind:     by_value
    .group_segment_fixed_size: 0
    .kernarg_segment_align: 8
    .kernarg_segment_size: 112
    .language:       OpenCL C
    .language_version:
      - 2
      - 0
    .max_flat_workgroup_size: 256
    .name:           _ZN7rocprim17ROCPRIM_400000_NS6detail17trampoline_kernelINS0_14default_configENS1_27scan_by_key_config_selectorIj11FixedVectorIiLj1EEEEZZNS1_16scan_by_key_implILNS1_25lookback_scan_determinismE0ELb0ES3_N6thrust23THRUST_200600_302600_NS6detail15normal_iteratorINSB_10device_ptrIjEEEENSD_INSE_IS6_EEEESI_S6_NSB_4plusIvEENSB_8equal_toIvEES6_EE10hipError_tPvRmT2_T3_T4_T5_mT6_T7_P12ihipStream_tbENKUlT_T0_E_clISt17integral_constantIbLb1EES12_IbLb0EEEEDaSY_SZ_EUlSY_E_NS1_11comp_targetILNS1_3genE10ELNS1_11target_archE1200ELNS1_3gpuE4ELNS1_3repE0EEENS1_30default_config_static_selectorELNS0_4arch9wavefront6targetE1EEEvT1_
    .private_segment_fixed_size: 0
    .sgpr_count:     6
    .sgpr_spill_count: 0
    .symbol:         _ZN7rocprim17ROCPRIM_400000_NS6detail17trampoline_kernelINS0_14default_configENS1_27scan_by_key_config_selectorIj11FixedVectorIiLj1EEEEZZNS1_16scan_by_key_implILNS1_25lookback_scan_determinismE0ELb0ES3_N6thrust23THRUST_200600_302600_NS6detail15normal_iteratorINSB_10device_ptrIjEEEENSD_INSE_IS6_EEEESI_S6_NSB_4plusIvEENSB_8equal_toIvEES6_EE10hipError_tPvRmT2_T3_T4_T5_mT6_T7_P12ihipStream_tbENKUlT_T0_E_clISt17integral_constantIbLb1EES12_IbLb0EEEEDaSY_SZ_EUlSY_E_NS1_11comp_targetILNS1_3genE10ELNS1_11target_archE1200ELNS1_3gpuE4ELNS1_3repE0EEENS1_30default_config_static_selectorELNS0_4arch9wavefront6targetE1EEEvT1_.kd
    .uniform_work_group_size: 1
    .uses_dynamic_stack: false
    .vgpr_count:     0
    .vgpr_spill_count: 0
    .wavefront_size: 64
  - .agpr_count:     0
    .args:
      - .offset:         0
        .size:           112
        .value_kind:     by_value
    .group_segment_fixed_size: 0
    .kernarg_segment_align: 8
    .kernarg_segment_size: 112
    .language:       OpenCL C
    .language_version:
      - 2
      - 0
    .max_flat_workgroup_size: 256
    .name:           _ZN7rocprim17ROCPRIM_400000_NS6detail17trampoline_kernelINS0_14default_configENS1_27scan_by_key_config_selectorIj11FixedVectorIiLj1EEEEZZNS1_16scan_by_key_implILNS1_25lookback_scan_determinismE0ELb0ES3_N6thrust23THRUST_200600_302600_NS6detail15normal_iteratorINSB_10device_ptrIjEEEENSD_INSE_IS6_EEEESI_S6_NSB_4plusIvEENSB_8equal_toIvEES6_EE10hipError_tPvRmT2_T3_T4_T5_mT6_T7_P12ihipStream_tbENKUlT_T0_E_clISt17integral_constantIbLb1EES12_IbLb0EEEEDaSY_SZ_EUlSY_E_NS1_11comp_targetILNS1_3genE9ELNS1_11target_archE1100ELNS1_3gpuE3ELNS1_3repE0EEENS1_30default_config_static_selectorELNS0_4arch9wavefront6targetE1EEEvT1_
    .private_segment_fixed_size: 0
    .sgpr_count:     6
    .sgpr_spill_count: 0
    .symbol:         _ZN7rocprim17ROCPRIM_400000_NS6detail17trampoline_kernelINS0_14default_configENS1_27scan_by_key_config_selectorIj11FixedVectorIiLj1EEEEZZNS1_16scan_by_key_implILNS1_25lookback_scan_determinismE0ELb0ES3_N6thrust23THRUST_200600_302600_NS6detail15normal_iteratorINSB_10device_ptrIjEEEENSD_INSE_IS6_EEEESI_S6_NSB_4plusIvEENSB_8equal_toIvEES6_EE10hipError_tPvRmT2_T3_T4_T5_mT6_T7_P12ihipStream_tbENKUlT_T0_E_clISt17integral_constantIbLb1EES12_IbLb0EEEEDaSY_SZ_EUlSY_E_NS1_11comp_targetILNS1_3genE9ELNS1_11target_archE1100ELNS1_3gpuE3ELNS1_3repE0EEENS1_30default_config_static_selectorELNS0_4arch9wavefront6targetE1EEEvT1_.kd
    .uniform_work_group_size: 1
    .uses_dynamic_stack: false
    .vgpr_count:     0
    .vgpr_spill_count: 0
    .wavefront_size: 64
  - .agpr_count:     0
    .args:
      - .offset:         0
        .size:           112
        .value_kind:     by_value
    .group_segment_fixed_size: 0
    .kernarg_segment_align: 8
    .kernarg_segment_size: 112
    .language:       OpenCL C
    .language_version:
      - 2
      - 0
    .max_flat_workgroup_size: 256
    .name:           _ZN7rocprim17ROCPRIM_400000_NS6detail17trampoline_kernelINS0_14default_configENS1_27scan_by_key_config_selectorIj11FixedVectorIiLj1EEEEZZNS1_16scan_by_key_implILNS1_25lookback_scan_determinismE0ELb0ES3_N6thrust23THRUST_200600_302600_NS6detail15normal_iteratorINSB_10device_ptrIjEEEENSD_INSE_IS6_EEEESI_S6_NSB_4plusIvEENSB_8equal_toIvEES6_EE10hipError_tPvRmT2_T3_T4_T5_mT6_T7_P12ihipStream_tbENKUlT_T0_E_clISt17integral_constantIbLb1EES12_IbLb0EEEEDaSY_SZ_EUlSY_E_NS1_11comp_targetILNS1_3genE8ELNS1_11target_archE1030ELNS1_3gpuE2ELNS1_3repE0EEENS1_30default_config_static_selectorELNS0_4arch9wavefront6targetE1EEEvT1_
    .private_segment_fixed_size: 0
    .sgpr_count:     6
    .sgpr_spill_count: 0
    .symbol:         _ZN7rocprim17ROCPRIM_400000_NS6detail17trampoline_kernelINS0_14default_configENS1_27scan_by_key_config_selectorIj11FixedVectorIiLj1EEEEZZNS1_16scan_by_key_implILNS1_25lookback_scan_determinismE0ELb0ES3_N6thrust23THRUST_200600_302600_NS6detail15normal_iteratorINSB_10device_ptrIjEEEENSD_INSE_IS6_EEEESI_S6_NSB_4plusIvEENSB_8equal_toIvEES6_EE10hipError_tPvRmT2_T3_T4_T5_mT6_T7_P12ihipStream_tbENKUlT_T0_E_clISt17integral_constantIbLb1EES12_IbLb0EEEEDaSY_SZ_EUlSY_E_NS1_11comp_targetILNS1_3genE8ELNS1_11target_archE1030ELNS1_3gpuE2ELNS1_3repE0EEENS1_30default_config_static_selectorELNS0_4arch9wavefront6targetE1EEEvT1_.kd
    .uniform_work_group_size: 1
    .uses_dynamic_stack: false
    .vgpr_count:     0
    .vgpr_spill_count: 0
    .wavefront_size: 64
  - .agpr_count:     0
    .args:
      - .address_space:  global
        .offset:         0
        .size:           8
        .value_kind:     global_buffer
      - .offset:         8
        .size:           4
        .value_kind:     by_value
      - .offset:         12
        .size:           4
        .value_kind:     by_value
      - .address_space:  global
        .offset:         16
        .size:           8
        .value_kind:     global_buffer
      - .address_space:  global
        .offset:         24
        .size:           8
        .value_kind:     global_buffer
      - .actual_access:  write_only
        .address_space:  global
        .offset:         32
        .size:           8
        .value_kind:     global_buffer
      - .offset:         40
        .size:           8
        .value_kind:     by_value
      - .offset:         48
        .size:           4
        .value_kind:     by_value
      - .address_space:  global
        .offset:         56
        .size:           8
        .value_kind:     global_buffer
      - .offset:         64
        .size:           4
        .value_kind:     hidden_block_count_x
      - .offset:         68
        .size:           4
        .value_kind:     hidden_block_count_y
      - .offset:         72
        .size:           4
        .value_kind:     hidden_block_count_z
      - .offset:         76
        .size:           2
        .value_kind:     hidden_group_size_x
      - .offset:         78
        .size:           2
        .value_kind:     hidden_group_size_y
      - .offset:         80
        .size:           2
        .value_kind:     hidden_group_size_z
      - .offset:         82
        .size:           2
        .value_kind:     hidden_remainder_x
      - .offset:         84
        .size:           2
        .value_kind:     hidden_remainder_y
      - .offset:         86
        .size:           2
        .value_kind:     hidden_remainder_z
      - .offset:         104
        .size:           8
        .value_kind:     hidden_global_offset_x
      - .offset:         112
        .size:           8
        .value_kind:     hidden_global_offset_y
      - .offset:         120
        .size:           8
        .value_kind:     hidden_global_offset_z
      - .offset:         128
        .size:           2
        .value_kind:     hidden_grid_dims
    .group_segment_fixed_size: 0
    .kernarg_segment_align: 8
    .kernarg_segment_size: 320
    .language:       OpenCL C
    .language_version:
      - 2
      - 0
    .max_flat_workgroup_size: 256
    .name:           _ZN7rocprim17ROCPRIM_400000_NS6detail30init_device_scan_by_key_kernelINS1_19lookback_scan_stateINS0_5tupleIJ11FixedVectorIiLj1EEbEEELb0ELb1EEEN6thrust23THRUST_200600_302600_NS6detail15normal_iteratorINSA_10device_ptrIjEEEEjNS1_16block_id_wrapperIjLb1EEEEEvT_jjPNSI_10value_typeET0_PNSt15iterator_traitsISL_E10value_typeEmT1_T2_
    .private_segment_fixed_size: 0
    .sgpr_count:     26
    .sgpr_spill_count: 0
    .symbol:         _ZN7rocprim17ROCPRIM_400000_NS6detail30init_device_scan_by_key_kernelINS1_19lookback_scan_stateINS0_5tupleIJ11FixedVectorIiLj1EEbEEELb0ELb1EEEN6thrust23THRUST_200600_302600_NS6detail15normal_iteratorINSA_10device_ptrIjEEEEjNS1_16block_id_wrapperIjLb1EEEEEvT_jjPNSI_10value_typeET0_PNSt15iterator_traitsISL_E10value_typeEmT1_T2_.kd
    .uniform_work_group_size: 1
    .uses_dynamic_stack: false
    .vgpr_count:     10
    .vgpr_spill_count: 0
    .wavefront_size: 64
  - .agpr_count:     0
    .args:
      - .address_space:  global
        .offset:         0
        .size:           8
        .value_kind:     global_buffer
      - .offset:         8
        .size:           4
        .value_kind:     by_value
      - .offset:         12
        .size:           4
        .value_kind:     by_value
      - .address_space:  global
        .offset:         16
        .size:           8
        .value_kind:     global_buffer
      - .address_space:  global
        .offset:         24
        .size:           8
        .value_kind:     global_buffer
      - .offset:         32
        .size:           4
        .value_kind:     hidden_block_count_x
      - .offset:         36
        .size:           4
        .value_kind:     hidden_block_count_y
      - .offset:         40
        .size:           4
        .value_kind:     hidden_block_count_z
      - .offset:         44
        .size:           2
        .value_kind:     hidden_group_size_x
      - .offset:         46
        .size:           2
        .value_kind:     hidden_group_size_y
      - .offset:         48
        .size:           2
        .value_kind:     hidden_group_size_z
      - .offset:         50
        .size:           2
        .value_kind:     hidden_remainder_x
      - .offset:         52
        .size:           2
        .value_kind:     hidden_remainder_y
      - .offset:         54
        .size:           2
        .value_kind:     hidden_remainder_z
      - .offset:         72
        .size:           8
        .value_kind:     hidden_global_offset_x
      - .offset:         80
        .size:           8
        .value_kind:     hidden_global_offset_y
      - .offset:         88
        .size:           8
        .value_kind:     hidden_global_offset_z
      - .offset:         96
        .size:           2
        .value_kind:     hidden_grid_dims
    .group_segment_fixed_size: 0
    .kernarg_segment_align: 8
    .kernarg_segment_size: 288
    .language:       OpenCL C
    .language_version:
      - 2
      - 0
    .max_flat_workgroup_size: 256
    .name:           _ZN7rocprim17ROCPRIM_400000_NS6detail30init_device_scan_by_key_kernelINS1_19lookback_scan_stateINS0_5tupleIJ11FixedVectorIiLj1EEbEEELb0ELb1EEENS1_16block_id_wrapperIjLb1EEEEEvT_jjPNSB_10value_typeET0_
    .private_segment_fixed_size: 0
    .sgpr_count:     22
    .sgpr_spill_count: 0
    .symbol:         _ZN7rocprim17ROCPRIM_400000_NS6detail30init_device_scan_by_key_kernelINS1_19lookback_scan_stateINS0_5tupleIJ11FixedVectorIiLj1EEbEEELb0ELb1EEENS1_16block_id_wrapperIjLb1EEEEEvT_jjPNSB_10value_typeET0_.kd
    .uniform_work_group_size: 1
    .uses_dynamic_stack: false
    .vgpr_count:     10
    .vgpr_spill_count: 0
    .wavefront_size: 64
  - .agpr_count:     0
    .args:
      - .offset:         0
        .size:           112
        .value_kind:     by_value
    .group_segment_fixed_size: 0
    .kernarg_segment_align: 8
    .kernarg_segment_size: 112
    .language:       OpenCL C
    .language_version:
      - 2
      - 0
    .max_flat_workgroup_size: 256
    .name:           _ZN7rocprim17ROCPRIM_400000_NS6detail17trampoline_kernelINS0_14default_configENS1_27scan_by_key_config_selectorIj11FixedVectorIiLj1EEEEZZNS1_16scan_by_key_implILNS1_25lookback_scan_determinismE0ELb0ES3_N6thrust23THRUST_200600_302600_NS6detail15normal_iteratorINSB_10device_ptrIjEEEENSD_INSE_IS6_EEEESI_S6_NSB_4plusIvEENSB_8equal_toIvEES6_EE10hipError_tPvRmT2_T3_T4_T5_mT6_T7_P12ihipStream_tbENKUlT_T0_E_clISt17integral_constantIbLb0EES12_IbLb1EEEEDaSY_SZ_EUlSY_E_NS1_11comp_targetILNS1_3genE0ELNS1_11target_archE4294967295ELNS1_3gpuE0ELNS1_3repE0EEENS1_30default_config_static_selectorELNS0_4arch9wavefront6targetE1EEEvT1_
    .private_segment_fixed_size: 0
    .sgpr_count:     6
    .sgpr_spill_count: 0
    .symbol:         _ZN7rocprim17ROCPRIM_400000_NS6detail17trampoline_kernelINS0_14default_configENS1_27scan_by_key_config_selectorIj11FixedVectorIiLj1EEEEZZNS1_16scan_by_key_implILNS1_25lookback_scan_determinismE0ELb0ES3_N6thrust23THRUST_200600_302600_NS6detail15normal_iteratorINSB_10device_ptrIjEEEENSD_INSE_IS6_EEEESI_S6_NSB_4plusIvEENSB_8equal_toIvEES6_EE10hipError_tPvRmT2_T3_T4_T5_mT6_T7_P12ihipStream_tbENKUlT_T0_E_clISt17integral_constantIbLb0EES12_IbLb1EEEEDaSY_SZ_EUlSY_E_NS1_11comp_targetILNS1_3genE0ELNS1_11target_archE4294967295ELNS1_3gpuE0ELNS1_3repE0EEENS1_30default_config_static_selectorELNS0_4arch9wavefront6targetE1EEEvT1_.kd
    .uniform_work_group_size: 1
    .uses_dynamic_stack: false
    .vgpr_count:     0
    .vgpr_spill_count: 0
    .wavefront_size: 64
  - .agpr_count:     0
    .args:
      - .offset:         0
        .size:           112
        .value_kind:     by_value
    .group_segment_fixed_size: 0
    .kernarg_segment_align: 8
    .kernarg_segment_size: 112
    .language:       OpenCL C
    .language_version:
      - 2
      - 0
    .max_flat_workgroup_size: 256
    .name:           _ZN7rocprim17ROCPRIM_400000_NS6detail17trampoline_kernelINS0_14default_configENS1_27scan_by_key_config_selectorIj11FixedVectorIiLj1EEEEZZNS1_16scan_by_key_implILNS1_25lookback_scan_determinismE0ELb0ES3_N6thrust23THRUST_200600_302600_NS6detail15normal_iteratorINSB_10device_ptrIjEEEENSD_INSE_IS6_EEEESI_S6_NSB_4plusIvEENSB_8equal_toIvEES6_EE10hipError_tPvRmT2_T3_T4_T5_mT6_T7_P12ihipStream_tbENKUlT_T0_E_clISt17integral_constantIbLb0EES12_IbLb1EEEEDaSY_SZ_EUlSY_E_NS1_11comp_targetILNS1_3genE10ELNS1_11target_archE1201ELNS1_3gpuE5ELNS1_3repE0EEENS1_30default_config_static_selectorELNS0_4arch9wavefront6targetE1EEEvT1_
    .private_segment_fixed_size: 0
    .sgpr_count:     6
    .sgpr_spill_count: 0
    .symbol:         _ZN7rocprim17ROCPRIM_400000_NS6detail17trampoline_kernelINS0_14default_configENS1_27scan_by_key_config_selectorIj11FixedVectorIiLj1EEEEZZNS1_16scan_by_key_implILNS1_25lookback_scan_determinismE0ELb0ES3_N6thrust23THRUST_200600_302600_NS6detail15normal_iteratorINSB_10device_ptrIjEEEENSD_INSE_IS6_EEEESI_S6_NSB_4plusIvEENSB_8equal_toIvEES6_EE10hipError_tPvRmT2_T3_T4_T5_mT6_T7_P12ihipStream_tbENKUlT_T0_E_clISt17integral_constantIbLb0EES12_IbLb1EEEEDaSY_SZ_EUlSY_E_NS1_11comp_targetILNS1_3genE10ELNS1_11target_archE1201ELNS1_3gpuE5ELNS1_3repE0EEENS1_30default_config_static_selectorELNS0_4arch9wavefront6targetE1EEEvT1_.kd
    .uniform_work_group_size: 1
    .uses_dynamic_stack: false
    .vgpr_count:     0
    .vgpr_spill_count: 0
    .wavefront_size: 64
  - .agpr_count:     0
    .args:
      - .offset:         0
        .size:           112
        .value_kind:     by_value
    .group_segment_fixed_size: 25600
    .kernarg_segment_align: 8
    .kernarg_segment_size: 112
    .language:       OpenCL C
    .language_version:
      - 2
      - 0
    .max_flat_workgroup_size: 256
    .name:           _ZN7rocprim17ROCPRIM_400000_NS6detail17trampoline_kernelINS0_14default_configENS1_27scan_by_key_config_selectorIj11FixedVectorIiLj1EEEEZZNS1_16scan_by_key_implILNS1_25lookback_scan_determinismE0ELb0ES3_N6thrust23THRUST_200600_302600_NS6detail15normal_iteratorINSB_10device_ptrIjEEEENSD_INSE_IS6_EEEESI_S6_NSB_4plusIvEENSB_8equal_toIvEES6_EE10hipError_tPvRmT2_T3_T4_T5_mT6_T7_P12ihipStream_tbENKUlT_T0_E_clISt17integral_constantIbLb0EES12_IbLb1EEEEDaSY_SZ_EUlSY_E_NS1_11comp_targetILNS1_3genE5ELNS1_11target_archE942ELNS1_3gpuE9ELNS1_3repE0EEENS1_30default_config_static_selectorELNS0_4arch9wavefront6targetE1EEEvT1_
    .private_segment_fixed_size: 0
    .sgpr_count:     91
    .sgpr_spill_count: 0
    .symbol:         _ZN7rocprim17ROCPRIM_400000_NS6detail17trampoline_kernelINS0_14default_configENS1_27scan_by_key_config_selectorIj11FixedVectorIiLj1EEEEZZNS1_16scan_by_key_implILNS1_25lookback_scan_determinismE0ELb0ES3_N6thrust23THRUST_200600_302600_NS6detail15normal_iteratorINSB_10device_ptrIjEEEENSD_INSE_IS6_EEEESI_S6_NSB_4plusIvEENSB_8equal_toIvEES6_EE10hipError_tPvRmT2_T3_T4_T5_mT6_T7_P12ihipStream_tbENKUlT_T0_E_clISt17integral_constantIbLb0EES12_IbLb1EEEEDaSY_SZ_EUlSY_E_NS1_11comp_targetILNS1_3genE5ELNS1_11target_archE942ELNS1_3gpuE9ELNS1_3repE0EEENS1_30default_config_static_selectorELNS0_4arch9wavefront6targetE1EEEvT1_.kd
    .uniform_work_group_size: 1
    .uses_dynamic_stack: false
    .vgpr_count:     81
    .vgpr_spill_count: 0
    .wavefront_size: 64
  - .agpr_count:     0
    .args:
      - .offset:         0
        .size:           112
        .value_kind:     by_value
    .group_segment_fixed_size: 0
    .kernarg_segment_align: 8
    .kernarg_segment_size: 112
    .language:       OpenCL C
    .language_version:
      - 2
      - 0
    .max_flat_workgroup_size: 256
    .name:           _ZN7rocprim17ROCPRIM_400000_NS6detail17trampoline_kernelINS0_14default_configENS1_27scan_by_key_config_selectorIj11FixedVectorIiLj1EEEEZZNS1_16scan_by_key_implILNS1_25lookback_scan_determinismE0ELb0ES3_N6thrust23THRUST_200600_302600_NS6detail15normal_iteratorINSB_10device_ptrIjEEEENSD_INSE_IS6_EEEESI_S6_NSB_4plusIvEENSB_8equal_toIvEES6_EE10hipError_tPvRmT2_T3_T4_T5_mT6_T7_P12ihipStream_tbENKUlT_T0_E_clISt17integral_constantIbLb0EES12_IbLb1EEEEDaSY_SZ_EUlSY_E_NS1_11comp_targetILNS1_3genE4ELNS1_11target_archE910ELNS1_3gpuE8ELNS1_3repE0EEENS1_30default_config_static_selectorELNS0_4arch9wavefront6targetE1EEEvT1_
    .private_segment_fixed_size: 0
    .sgpr_count:     6
    .sgpr_spill_count: 0
    .symbol:         _ZN7rocprim17ROCPRIM_400000_NS6detail17trampoline_kernelINS0_14default_configENS1_27scan_by_key_config_selectorIj11FixedVectorIiLj1EEEEZZNS1_16scan_by_key_implILNS1_25lookback_scan_determinismE0ELb0ES3_N6thrust23THRUST_200600_302600_NS6detail15normal_iteratorINSB_10device_ptrIjEEEENSD_INSE_IS6_EEEESI_S6_NSB_4plusIvEENSB_8equal_toIvEES6_EE10hipError_tPvRmT2_T3_T4_T5_mT6_T7_P12ihipStream_tbENKUlT_T0_E_clISt17integral_constantIbLb0EES12_IbLb1EEEEDaSY_SZ_EUlSY_E_NS1_11comp_targetILNS1_3genE4ELNS1_11target_archE910ELNS1_3gpuE8ELNS1_3repE0EEENS1_30default_config_static_selectorELNS0_4arch9wavefront6targetE1EEEvT1_.kd
    .uniform_work_group_size: 1
    .uses_dynamic_stack: false
    .vgpr_count:     0
    .vgpr_spill_count: 0
    .wavefront_size: 64
  - .agpr_count:     0
    .args:
      - .offset:         0
        .size:           112
        .value_kind:     by_value
    .group_segment_fixed_size: 0
    .kernarg_segment_align: 8
    .kernarg_segment_size: 112
    .language:       OpenCL C
    .language_version:
      - 2
      - 0
    .max_flat_workgroup_size: 256
    .name:           _ZN7rocprim17ROCPRIM_400000_NS6detail17trampoline_kernelINS0_14default_configENS1_27scan_by_key_config_selectorIj11FixedVectorIiLj1EEEEZZNS1_16scan_by_key_implILNS1_25lookback_scan_determinismE0ELb0ES3_N6thrust23THRUST_200600_302600_NS6detail15normal_iteratorINSB_10device_ptrIjEEEENSD_INSE_IS6_EEEESI_S6_NSB_4plusIvEENSB_8equal_toIvEES6_EE10hipError_tPvRmT2_T3_T4_T5_mT6_T7_P12ihipStream_tbENKUlT_T0_E_clISt17integral_constantIbLb0EES12_IbLb1EEEEDaSY_SZ_EUlSY_E_NS1_11comp_targetILNS1_3genE3ELNS1_11target_archE908ELNS1_3gpuE7ELNS1_3repE0EEENS1_30default_config_static_selectorELNS0_4arch9wavefront6targetE1EEEvT1_
    .private_segment_fixed_size: 0
    .sgpr_count:     6
    .sgpr_spill_count: 0
    .symbol:         _ZN7rocprim17ROCPRIM_400000_NS6detail17trampoline_kernelINS0_14default_configENS1_27scan_by_key_config_selectorIj11FixedVectorIiLj1EEEEZZNS1_16scan_by_key_implILNS1_25lookback_scan_determinismE0ELb0ES3_N6thrust23THRUST_200600_302600_NS6detail15normal_iteratorINSB_10device_ptrIjEEEENSD_INSE_IS6_EEEESI_S6_NSB_4plusIvEENSB_8equal_toIvEES6_EE10hipError_tPvRmT2_T3_T4_T5_mT6_T7_P12ihipStream_tbENKUlT_T0_E_clISt17integral_constantIbLb0EES12_IbLb1EEEEDaSY_SZ_EUlSY_E_NS1_11comp_targetILNS1_3genE3ELNS1_11target_archE908ELNS1_3gpuE7ELNS1_3repE0EEENS1_30default_config_static_selectorELNS0_4arch9wavefront6targetE1EEEvT1_.kd
    .uniform_work_group_size: 1
    .uses_dynamic_stack: false
    .vgpr_count:     0
    .vgpr_spill_count: 0
    .wavefront_size: 64
  - .agpr_count:     0
    .args:
      - .offset:         0
        .size:           112
        .value_kind:     by_value
    .group_segment_fixed_size: 0
    .kernarg_segment_align: 8
    .kernarg_segment_size: 112
    .language:       OpenCL C
    .language_version:
      - 2
      - 0
    .max_flat_workgroup_size: 256
    .name:           _ZN7rocprim17ROCPRIM_400000_NS6detail17trampoline_kernelINS0_14default_configENS1_27scan_by_key_config_selectorIj11FixedVectorIiLj1EEEEZZNS1_16scan_by_key_implILNS1_25lookback_scan_determinismE0ELb0ES3_N6thrust23THRUST_200600_302600_NS6detail15normal_iteratorINSB_10device_ptrIjEEEENSD_INSE_IS6_EEEESI_S6_NSB_4plusIvEENSB_8equal_toIvEES6_EE10hipError_tPvRmT2_T3_T4_T5_mT6_T7_P12ihipStream_tbENKUlT_T0_E_clISt17integral_constantIbLb0EES12_IbLb1EEEEDaSY_SZ_EUlSY_E_NS1_11comp_targetILNS1_3genE2ELNS1_11target_archE906ELNS1_3gpuE6ELNS1_3repE0EEENS1_30default_config_static_selectorELNS0_4arch9wavefront6targetE1EEEvT1_
    .private_segment_fixed_size: 0
    .sgpr_count:     6
    .sgpr_spill_count: 0
    .symbol:         _ZN7rocprim17ROCPRIM_400000_NS6detail17trampoline_kernelINS0_14default_configENS1_27scan_by_key_config_selectorIj11FixedVectorIiLj1EEEEZZNS1_16scan_by_key_implILNS1_25lookback_scan_determinismE0ELb0ES3_N6thrust23THRUST_200600_302600_NS6detail15normal_iteratorINSB_10device_ptrIjEEEENSD_INSE_IS6_EEEESI_S6_NSB_4plusIvEENSB_8equal_toIvEES6_EE10hipError_tPvRmT2_T3_T4_T5_mT6_T7_P12ihipStream_tbENKUlT_T0_E_clISt17integral_constantIbLb0EES12_IbLb1EEEEDaSY_SZ_EUlSY_E_NS1_11comp_targetILNS1_3genE2ELNS1_11target_archE906ELNS1_3gpuE6ELNS1_3repE0EEENS1_30default_config_static_selectorELNS0_4arch9wavefront6targetE1EEEvT1_.kd
    .uniform_work_group_size: 1
    .uses_dynamic_stack: false
    .vgpr_count:     0
    .vgpr_spill_count: 0
    .wavefront_size: 64
  - .agpr_count:     0
    .args:
      - .offset:         0
        .size:           112
        .value_kind:     by_value
    .group_segment_fixed_size: 0
    .kernarg_segment_align: 8
    .kernarg_segment_size: 112
    .language:       OpenCL C
    .language_version:
      - 2
      - 0
    .max_flat_workgroup_size: 256
    .name:           _ZN7rocprim17ROCPRIM_400000_NS6detail17trampoline_kernelINS0_14default_configENS1_27scan_by_key_config_selectorIj11FixedVectorIiLj1EEEEZZNS1_16scan_by_key_implILNS1_25lookback_scan_determinismE0ELb0ES3_N6thrust23THRUST_200600_302600_NS6detail15normal_iteratorINSB_10device_ptrIjEEEENSD_INSE_IS6_EEEESI_S6_NSB_4plusIvEENSB_8equal_toIvEES6_EE10hipError_tPvRmT2_T3_T4_T5_mT6_T7_P12ihipStream_tbENKUlT_T0_E_clISt17integral_constantIbLb0EES12_IbLb1EEEEDaSY_SZ_EUlSY_E_NS1_11comp_targetILNS1_3genE10ELNS1_11target_archE1200ELNS1_3gpuE4ELNS1_3repE0EEENS1_30default_config_static_selectorELNS0_4arch9wavefront6targetE1EEEvT1_
    .private_segment_fixed_size: 0
    .sgpr_count:     6
    .sgpr_spill_count: 0
    .symbol:         _ZN7rocprim17ROCPRIM_400000_NS6detail17trampoline_kernelINS0_14default_configENS1_27scan_by_key_config_selectorIj11FixedVectorIiLj1EEEEZZNS1_16scan_by_key_implILNS1_25lookback_scan_determinismE0ELb0ES3_N6thrust23THRUST_200600_302600_NS6detail15normal_iteratorINSB_10device_ptrIjEEEENSD_INSE_IS6_EEEESI_S6_NSB_4plusIvEENSB_8equal_toIvEES6_EE10hipError_tPvRmT2_T3_T4_T5_mT6_T7_P12ihipStream_tbENKUlT_T0_E_clISt17integral_constantIbLb0EES12_IbLb1EEEEDaSY_SZ_EUlSY_E_NS1_11comp_targetILNS1_3genE10ELNS1_11target_archE1200ELNS1_3gpuE4ELNS1_3repE0EEENS1_30default_config_static_selectorELNS0_4arch9wavefront6targetE1EEEvT1_.kd
    .uniform_work_group_size: 1
    .uses_dynamic_stack: false
    .vgpr_count:     0
    .vgpr_spill_count: 0
    .wavefront_size: 64
  - .agpr_count:     0
    .args:
      - .offset:         0
        .size:           112
        .value_kind:     by_value
    .group_segment_fixed_size: 0
    .kernarg_segment_align: 8
    .kernarg_segment_size: 112
    .language:       OpenCL C
    .language_version:
      - 2
      - 0
    .max_flat_workgroup_size: 256
    .name:           _ZN7rocprim17ROCPRIM_400000_NS6detail17trampoline_kernelINS0_14default_configENS1_27scan_by_key_config_selectorIj11FixedVectorIiLj1EEEEZZNS1_16scan_by_key_implILNS1_25lookback_scan_determinismE0ELb0ES3_N6thrust23THRUST_200600_302600_NS6detail15normal_iteratorINSB_10device_ptrIjEEEENSD_INSE_IS6_EEEESI_S6_NSB_4plusIvEENSB_8equal_toIvEES6_EE10hipError_tPvRmT2_T3_T4_T5_mT6_T7_P12ihipStream_tbENKUlT_T0_E_clISt17integral_constantIbLb0EES12_IbLb1EEEEDaSY_SZ_EUlSY_E_NS1_11comp_targetILNS1_3genE9ELNS1_11target_archE1100ELNS1_3gpuE3ELNS1_3repE0EEENS1_30default_config_static_selectorELNS0_4arch9wavefront6targetE1EEEvT1_
    .private_segment_fixed_size: 0
    .sgpr_count:     6
    .sgpr_spill_count: 0
    .symbol:         _ZN7rocprim17ROCPRIM_400000_NS6detail17trampoline_kernelINS0_14default_configENS1_27scan_by_key_config_selectorIj11FixedVectorIiLj1EEEEZZNS1_16scan_by_key_implILNS1_25lookback_scan_determinismE0ELb0ES3_N6thrust23THRUST_200600_302600_NS6detail15normal_iteratorINSB_10device_ptrIjEEEENSD_INSE_IS6_EEEESI_S6_NSB_4plusIvEENSB_8equal_toIvEES6_EE10hipError_tPvRmT2_T3_T4_T5_mT6_T7_P12ihipStream_tbENKUlT_T0_E_clISt17integral_constantIbLb0EES12_IbLb1EEEEDaSY_SZ_EUlSY_E_NS1_11comp_targetILNS1_3genE9ELNS1_11target_archE1100ELNS1_3gpuE3ELNS1_3repE0EEENS1_30default_config_static_selectorELNS0_4arch9wavefront6targetE1EEEvT1_.kd
    .uniform_work_group_size: 1
    .uses_dynamic_stack: false
    .vgpr_count:     0
    .vgpr_spill_count: 0
    .wavefront_size: 64
  - .agpr_count:     0
    .args:
      - .offset:         0
        .size:           112
        .value_kind:     by_value
    .group_segment_fixed_size: 0
    .kernarg_segment_align: 8
    .kernarg_segment_size: 112
    .language:       OpenCL C
    .language_version:
      - 2
      - 0
    .max_flat_workgroup_size: 256
    .name:           _ZN7rocprim17ROCPRIM_400000_NS6detail17trampoline_kernelINS0_14default_configENS1_27scan_by_key_config_selectorIj11FixedVectorIiLj1EEEEZZNS1_16scan_by_key_implILNS1_25lookback_scan_determinismE0ELb0ES3_N6thrust23THRUST_200600_302600_NS6detail15normal_iteratorINSB_10device_ptrIjEEEENSD_INSE_IS6_EEEESI_S6_NSB_4plusIvEENSB_8equal_toIvEES6_EE10hipError_tPvRmT2_T3_T4_T5_mT6_T7_P12ihipStream_tbENKUlT_T0_E_clISt17integral_constantIbLb0EES12_IbLb1EEEEDaSY_SZ_EUlSY_E_NS1_11comp_targetILNS1_3genE8ELNS1_11target_archE1030ELNS1_3gpuE2ELNS1_3repE0EEENS1_30default_config_static_selectorELNS0_4arch9wavefront6targetE1EEEvT1_
    .private_segment_fixed_size: 0
    .sgpr_count:     6
    .sgpr_spill_count: 0
    .symbol:         _ZN7rocprim17ROCPRIM_400000_NS6detail17trampoline_kernelINS0_14default_configENS1_27scan_by_key_config_selectorIj11FixedVectorIiLj1EEEEZZNS1_16scan_by_key_implILNS1_25lookback_scan_determinismE0ELb0ES3_N6thrust23THRUST_200600_302600_NS6detail15normal_iteratorINSB_10device_ptrIjEEEENSD_INSE_IS6_EEEESI_S6_NSB_4plusIvEENSB_8equal_toIvEES6_EE10hipError_tPvRmT2_T3_T4_T5_mT6_T7_P12ihipStream_tbENKUlT_T0_E_clISt17integral_constantIbLb0EES12_IbLb1EEEEDaSY_SZ_EUlSY_E_NS1_11comp_targetILNS1_3genE8ELNS1_11target_archE1030ELNS1_3gpuE2ELNS1_3repE0EEENS1_30default_config_static_selectorELNS0_4arch9wavefront6targetE1EEEvT1_.kd
    .uniform_work_group_size: 1
    .uses_dynamic_stack: false
    .vgpr_count:     0
    .vgpr_spill_count: 0
    .wavefront_size: 64
  - .agpr_count:     0
    .args:
      - .offset:         0
        .size:           112
        .value_kind:     by_value
    .group_segment_fixed_size: 0
    .kernarg_segment_align: 8
    .kernarg_segment_size: 112
    .language:       OpenCL C
    .language_version:
      - 2
      - 0
    .max_flat_workgroup_size: 256
    .name:           _ZN7rocprim17ROCPRIM_400000_NS6detail17trampoline_kernelINS0_14default_configENS1_27scan_by_key_config_selectorIj11FixedVectorIiLj1EEEEZZNS1_16scan_by_key_implILNS1_25lookback_scan_determinismE0ELb1ES3_N6thrust23THRUST_200600_302600_NS6detail15normal_iteratorINSB_10device_ptrIjEEEENSD_INSE_IS6_EEEESI_S6_NSB_4plusIvEENSB_8equal_toIvEES6_EE10hipError_tPvRmT2_T3_T4_T5_mT6_T7_P12ihipStream_tbENKUlT_T0_E_clISt17integral_constantIbLb0EES13_EEDaSY_SZ_EUlSY_E_NS1_11comp_targetILNS1_3genE0ELNS1_11target_archE4294967295ELNS1_3gpuE0ELNS1_3repE0EEENS1_30default_config_static_selectorELNS0_4arch9wavefront6targetE1EEEvT1_
    .private_segment_fixed_size: 0
    .sgpr_count:     6
    .sgpr_spill_count: 0
    .symbol:         _ZN7rocprim17ROCPRIM_400000_NS6detail17trampoline_kernelINS0_14default_configENS1_27scan_by_key_config_selectorIj11FixedVectorIiLj1EEEEZZNS1_16scan_by_key_implILNS1_25lookback_scan_determinismE0ELb1ES3_N6thrust23THRUST_200600_302600_NS6detail15normal_iteratorINSB_10device_ptrIjEEEENSD_INSE_IS6_EEEESI_S6_NSB_4plusIvEENSB_8equal_toIvEES6_EE10hipError_tPvRmT2_T3_T4_T5_mT6_T7_P12ihipStream_tbENKUlT_T0_E_clISt17integral_constantIbLb0EES13_EEDaSY_SZ_EUlSY_E_NS1_11comp_targetILNS1_3genE0ELNS1_11target_archE4294967295ELNS1_3gpuE0ELNS1_3repE0EEENS1_30default_config_static_selectorELNS0_4arch9wavefront6targetE1EEEvT1_.kd
    .uniform_work_group_size: 1
    .uses_dynamic_stack: false
    .vgpr_count:     0
    .vgpr_spill_count: 0
    .wavefront_size: 64
  - .agpr_count:     0
    .args:
      - .offset:         0
        .size:           112
        .value_kind:     by_value
    .group_segment_fixed_size: 0
    .kernarg_segment_align: 8
    .kernarg_segment_size: 112
    .language:       OpenCL C
    .language_version:
      - 2
      - 0
    .max_flat_workgroup_size: 256
    .name:           _ZN7rocprim17ROCPRIM_400000_NS6detail17trampoline_kernelINS0_14default_configENS1_27scan_by_key_config_selectorIj11FixedVectorIiLj1EEEEZZNS1_16scan_by_key_implILNS1_25lookback_scan_determinismE0ELb1ES3_N6thrust23THRUST_200600_302600_NS6detail15normal_iteratorINSB_10device_ptrIjEEEENSD_INSE_IS6_EEEESI_S6_NSB_4plusIvEENSB_8equal_toIvEES6_EE10hipError_tPvRmT2_T3_T4_T5_mT6_T7_P12ihipStream_tbENKUlT_T0_E_clISt17integral_constantIbLb0EES13_EEDaSY_SZ_EUlSY_E_NS1_11comp_targetILNS1_3genE10ELNS1_11target_archE1201ELNS1_3gpuE5ELNS1_3repE0EEENS1_30default_config_static_selectorELNS0_4arch9wavefront6targetE1EEEvT1_
    .private_segment_fixed_size: 0
    .sgpr_count:     6
    .sgpr_spill_count: 0
    .symbol:         _ZN7rocprim17ROCPRIM_400000_NS6detail17trampoline_kernelINS0_14default_configENS1_27scan_by_key_config_selectorIj11FixedVectorIiLj1EEEEZZNS1_16scan_by_key_implILNS1_25lookback_scan_determinismE0ELb1ES3_N6thrust23THRUST_200600_302600_NS6detail15normal_iteratorINSB_10device_ptrIjEEEENSD_INSE_IS6_EEEESI_S6_NSB_4plusIvEENSB_8equal_toIvEES6_EE10hipError_tPvRmT2_T3_T4_T5_mT6_T7_P12ihipStream_tbENKUlT_T0_E_clISt17integral_constantIbLb0EES13_EEDaSY_SZ_EUlSY_E_NS1_11comp_targetILNS1_3genE10ELNS1_11target_archE1201ELNS1_3gpuE5ELNS1_3repE0EEENS1_30default_config_static_selectorELNS0_4arch9wavefront6targetE1EEEvT1_.kd
    .uniform_work_group_size: 1
    .uses_dynamic_stack: false
    .vgpr_count:     0
    .vgpr_spill_count: 0
    .wavefront_size: 64
  - .agpr_count:     0
    .args:
      - .offset:         0
        .size:           112
        .value_kind:     by_value
    .group_segment_fixed_size: 25600
    .kernarg_segment_align: 8
    .kernarg_segment_size: 112
    .language:       OpenCL C
    .language_version:
      - 2
      - 0
    .max_flat_workgroup_size: 256
    .name:           _ZN7rocprim17ROCPRIM_400000_NS6detail17trampoline_kernelINS0_14default_configENS1_27scan_by_key_config_selectorIj11FixedVectorIiLj1EEEEZZNS1_16scan_by_key_implILNS1_25lookback_scan_determinismE0ELb1ES3_N6thrust23THRUST_200600_302600_NS6detail15normal_iteratorINSB_10device_ptrIjEEEENSD_INSE_IS6_EEEESI_S6_NSB_4plusIvEENSB_8equal_toIvEES6_EE10hipError_tPvRmT2_T3_T4_T5_mT6_T7_P12ihipStream_tbENKUlT_T0_E_clISt17integral_constantIbLb0EES13_EEDaSY_SZ_EUlSY_E_NS1_11comp_targetILNS1_3genE5ELNS1_11target_archE942ELNS1_3gpuE9ELNS1_3repE0EEENS1_30default_config_static_selectorELNS0_4arch9wavefront6targetE1EEEvT1_
    .private_segment_fixed_size: 0
    .sgpr_count:     86
    .sgpr_spill_count: 0
    .symbol:         _ZN7rocprim17ROCPRIM_400000_NS6detail17trampoline_kernelINS0_14default_configENS1_27scan_by_key_config_selectorIj11FixedVectorIiLj1EEEEZZNS1_16scan_by_key_implILNS1_25lookback_scan_determinismE0ELb1ES3_N6thrust23THRUST_200600_302600_NS6detail15normal_iteratorINSB_10device_ptrIjEEEENSD_INSE_IS6_EEEESI_S6_NSB_4plusIvEENSB_8equal_toIvEES6_EE10hipError_tPvRmT2_T3_T4_T5_mT6_T7_P12ihipStream_tbENKUlT_T0_E_clISt17integral_constantIbLb0EES13_EEDaSY_SZ_EUlSY_E_NS1_11comp_targetILNS1_3genE5ELNS1_11target_archE942ELNS1_3gpuE9ELNS1_3repE0EEENS1_30default_config_static_selectorELNS0_4arch9wavefront6targetE1EEEvT1_.kd
    .uniform_work_group_size: 1
    .uses_dynamic_stack: false
    .vgpr_count:     81
    .vgpr_spill_count: 0
    .wavefront_size: 64
  - .agpr_count:     0
    .args:
      - .offset:         0
        .size:           112
        .value_kind:     by_value
    .group_segment_fixed_size: 0
    .kernarg_segment_align: 8
    .kernarg_segment_size: 112
    .language:       OpenCL C
    .language_version:
      - 2
      - 0
    .max_flat_workgroup_size: 256
    .name:           _ZN7rocprim17ROCPRIM_400000_NS6detail17trampoline_kernelINS0_14default_configENS1_27scan_by_key_config_selectorIj11FixedVectorIiLj1EEEEZZNS1_16scan_by_key_implILNS1_25lookback_scan_determinismE0ELb1ES3_N6thrust23THRUST_200600_302600_NS6detail15normal_iteratorINSB_10device_ptrIjEEEENSD_INSE_IS6_EEEESI_S6_NSB_4plusIvEENSB_8equal_toIvEES6_EE10hipError_tPvRmT2_T3_T4_T5_mT6_T7_P12ihipStream_tbENKUlT_T0_E_clISt17integral_constantIbLb0EES13_EEDaSY_SZ_EUlSY_E_NS1_11comp_targetILNS1_3genE4ELNS1_11target_archE910ELNS1_3gpuE8ELNS1_3repE0EEENS1_30default_config_static_selectorELNS0_4arch9wavefront6targetE1EEEvT1_
    .private_segment_fixed_size: 0
    .sgpr_count:     6
    .sgpr_spill_count: 0
    .symbol:         _ZN7rocprim17ROCPRIM_400000_NS6detail17trampoline_kernelINS0_14default_configENS1_27scan_by_key_config_selectorIj11FixedVectorIiLj1EEEEZZNS1_16scan_by_key_implILNS1_25lookback_scan_determinismE0ELb1ES3_N6thrust23THRUST_200600_302600_NS6detail15normal_iteratorINSB_10device_ptrIjEEEENSD_INSE_IS6_EEEESI_S6_NSB_4plusIvEENSB_8equal_toIvEES6_EE10hipError_tPvRmT2_T3_T4_T5_mT6_T7_P12ihipStream_tbENKUlT_T0_E_clISt17integral_constantIbLb0EES13_EEDaSY_SZ_EUlSY_E_NS1_11comp_targetILNS1_3genE4ELNS1_11target_archE910ELNS1_3gpuE8ELNS1_3repE0EEENS1_30default_config_static_selectorELNS0_4arch9wavefront6targetE1EEEvT1_.kd
    .uniform_work_group_size: 1
    .uses_dynamic_stack: false
    .vgpr_count:     0
    .vgpr_spill_count: 0
    .wavefront_size: 64
  - .agpr_count:     0
    .args:
      - .offset:         0
        .size:           112
        .value_kind:     by_value
    .group_segment_fixed_size: 0
    .kernarg_segment_align: 8
    .kernarg_segment_size: 112
    .language:       OpenCL C
    .language_version:
      - 2
      - 0
    .max_flat_workgroup_size: 256
    .name:           _ZN7rocprim17ROCPRIM_400000_NS6detail17trampoline_kernelINS0_14default_configENS1_27scan_by_key_config_selectorIj11FixedVectorIiLj1EEEEZZNS1_16scan_by_key_implILNS1_25lookback_scan_determinismE0ELb1ES3_N6thrust23THRUST_200600_302600_NS6detail15normal_iteratorINSB_10device_ptrIjEEEENSD_INSE_IS6_EEEESI_S6_NSB_4plusIvEENSB_8equal_toIvEES6_EE10hipError_tPvRmT2_T3_T4_T5_mT6_T7_P12ihipStream_tbENKUlT_T0_E_clISt17integral_constantIbLb0EES13_EEDaSY_SZ_EUlSY_E_NS1_11comp_targetILNS1_3genE3ELNS1_11target_archE908ELNS1_3gpuE7ELNS1_3repE0EEENS1_30default_config_static_selectorELNS0_4arch9wavefront6targetE1EEEvT1_
    .private_segment_fixed_size: 0
    .sgpr_count:     6
    .sgpr_spill_count: 0
    .symbol:         _ZN7rocprim17ROCPRIM_400000_NS6detail17trampoline_kernelINS0_14default_configENS1_27scan_by_key_config_selectorIj11FixedVectorIiLj1EEEEZZNS1_16scan_by_key_implILNS1_25lookback_scan_determinismE0ELb1ES3_N6thrust23THRUST_200600_302600_NS6detail15normal_iteratorINSB_10device_ptrIjEEEENSD_INSE_IS6_EEEESI_S6_NSB_4plusIvEENSB_8equal_toIvEES6_EE10hipError_tPvRmT2_T3_T4_T5_mT6_T7_P12ihipStream_tbENKUlT_T0_E_clISt17integral_constantIbLb0EES13_EEDaSY_SZ_EUlSY_E_NS1_11comp_targetILNS1_3genE3ELNS1_11target_archE908ELNS1_3gpuE7ELNS1_3repE0EEENS1_30default_config_static_selectorELNS0_4arch9wavefront6targetE1EEEvT1_.kd
    .uniform_work_group_size: 1
    .uses_dynamic_stack: false
    .vgpr_count:     0
    .vgpr_spill_count: 0
    .wavefront_size: 64
  - .agpr_count:     0
    .args:
      - .offset:         0
        .size:           112
        .value_kind:     by_value
    .group_segment_fixed_size: 0
    .kernarg_segment_align: 8
    .kernarg_segment_size: 112
    .language:       OpenCL C
    .language_version:
      - 2
      - 0
    .max_flat_workgroup_size: 256
    .name:           _ZN7rocprim17ROCPRIM_400000_NS6detail17trampoline_kernelINS0_14default_configENS1_27scan_by_key_config_selectorIj11FixedVectorIiLj1EEEEZZNS1_16scan_by_key_implILNS1_25lookback_scan_determinismE0ELb1ES3_N6thrust23THRUST_200600_302600_NS6detail15normal_iteratorINSB_10device_ptrIjEEEENSD_INSE_IS6_EEEESI_S6_NSB_4plusIvEENSB_8equal_toIvEES6_EE10hipError_tPvRmT2_T3_T4_T5_mT6_T7_P12ihipStream_tbENKUlT_T0_E_clISt17integral_constantIbLb0EES13_EEDaSY_SZ_EUlSY_E_NS1_11comp_targetILNS1_3genE2ELNS1_11target_archE906ELNS1_3gpuE6ELNS1_3repE0EEENS1_30default_config_static_selectorELNS0_4arch9wavefront6targetE1EEEvT1_
    .private_segment_fixed_size: 0
    .sgpr_count:     6
    .sgpr_spill_count: 0
    .symbol:         _ZN7rocprim17ROCPRIM_400000_NS6detail17trampoline_kernelINS0_14default_configENS1_27scan_by_key_config_selectorIj11FixedVectorIiLj1EEEEZZNS1_16scan_by_key_implILNS1_25lookback_scan_determinismE0ELb1ES3_N6thrust23THRUST_200600_302600_NS6detail15normal_iteratorINSB_10device_ptrIjEEEENSD_INSE_IS6_EEEESI_S6_NSB_4plusIvEENSB_8equal_toIvEES6_EE10hipError_tPvRmT2_T3_T4_T5_mT6_T7_P12ihipStream_tbENKUlT_T0_E_clISt17integral_constantIbLb0EES13_EEDaSY_SZ_EUlSY_E_NS1_11comp_targetILNS1_3genE2ELNS1_11target_archE906ELNS1_3gpuE6ELNS1_3repE0EEENS1_30default_config_static_selectorELNS0_4arch9wavefront6targetE1EEEvT1_.kd
    .uniform_work_group_size: 1
    .uses_dynamic_stack: false
    .vgpr_count:     0
    .vgpr_spill_count: 0
    .wavefront_size: 64
  - .agpr_count:     0
    .args:
      - .offset:         0
        .size:           112
        .value_kind:     by_value
    .group_segment_fixed_size: 0
    .kernarg_segment_align: 8
    .kernarg_segment_size: 112
    .language:       OpenCL C
    .language_version:
      - 2
      - 0
    .max_flat_workgroup_size: 256
    .name:           _ZN7rocprim17ROCPRIM_400000_NS6detail17trampoline_kernelINS0_14default_configENS1_27scan_by_key_config_selectorIj11FixedVectorIiLj1EEEEZZNS1_16scan_by_key_implILNS1_25lookback_scan_determinismE0ELb1ES3_N6thrust23THRUST_200600_302600_NS6detail15normal_iteratorINSB_10device_ptrIjEEEENSD_INSE_IS6_EEEESI_S6_NSB_4plusIvEENSB_8equal_toIvEES6_EE10hipError_tPvRmT2_T3_T4_T5_mT6_T7_P12ihipStream_tbENKUlT_T0_E_clISt17integral_constantIbLb0EES13_EEDaSY_SZ_EUlSY_E_NS1_11comp_targetILNS1_3genE10ELNS1_11target_archE1200ELNS1_3gpuE4ELNS1_3repE0EEENS1_30default_config_static_selectorELNS0_4arch9wavefront6targetE1EEEvT1_
    .private_segment_fixed_size: 0
    .sgpr_count:     6
    .sgpr_spill_count: 0
    .symbol:         _ZN7rocprim17ROCPRIM_400000_NS6detail17trampoline_kernelINS0_14default_configENS1_27scan_by_key_config_selectorIj11FixedVectorIiLj1EEEEZZNS1_16scan_by_key_implILNS1_25lookback_scan_determinismE0ELb1ES3_N6thrust23THRUST_200600_302600_NS6detail15normal_iteratorINSB_10device_ptrIjEEEENSD_INSE_IS6_EEEESI_S6_NSB_4plusIvEENSB_8equal_toIvEES6_EE10hipError_tPvRmT2_T3_T4_T5_mT6_T7_P12ihipStream_tbENKUlT_T0_E_clISt17integral_constantIbLb0EES13_EEDaSY_SZ_EUlSY_E_NS1_11comp_targetILNS1_3genE10ELNS1_11target_archE1200ELNS1_3gpuE4ELNS1_3repE0EEENS1_30default_config_static_selectorELNS0_4arch9wavefront6targetE1EEEvT1_.kd
    .uniform_work_group_size: 1
    .uses_dynamic_stack: false
    .vgpr_count:     0
    .vgpr_spill_count: 0
    .wavefront_size: 64
  - .agpr_count:     0
    .args:
      - .offset:         0
        .size:           112
        .value_kind:     by_value
    .group_segment_fixed_size: 0
    .kernarg_segment_align: 8
    .kernarg_segment_size: 112
    .language:       OpenCL C
    .language_version:
      - 2
      - 0
    .max_flat_workgroup_size: 256
    .name:           _ZN7rocprim17ROCPRIM_400000_NS6detail17trampoline_kernelINS0_14default_configENS1_27scan_by_key_config_selectorIj11FixedVectorIiLj1EEEEZZNS1_16scan_by_key_implILNS1_25lookback_scan_determinismE0ELb1ES3_N6thrust23THRUST_200600_302600_NS6detail15normal_iteratorINSB_10device_ptrIjEEEENSD_INSE_IS6_EEEESI_S6_NSB_4plusIvEENSB_8equal_toIvEES6_EE10hipError_tPvRmT2_T3_T4_T5_mT6_T7_P12ihipStream_tbENKUlT_T0_E_clISt17integral_constantIbLb0EES13_EEDaSY_SZ_EUlSY_E_NS1_11comp_targetILNS1_3genE9ELNS1_11target_archE1100ELNS1_3gpuE3ELNS1_3repE0EEENS1_30default_config_static_selectorELNS0_4arch9wavefront6targetE1EEEvT1_
    .private_segment_fixed_size: 0
    .sgpr_count:     6
    .sgpr_spill_count: 0
    .symbol:         _ZN7rocprim17ROCPRIM_400000_NS6detail17trampoline_kernelINS0_14default_configENS1_27scan_by_key_config_selectorIj11FixedVectorIiLj1EEEEZZNS1_16scan_by_key_implILNS1_25lookback_scan_determinismE0ELb1ES3_N6thrust23THRUST_200600_302600_NS6detail15normal_iteratorINSB_10device_ptrIjEEEENSD_INSE_IS6_EEEESI_S6_NSB_4plusIvEENSB_8equal_toIvEES6_EE10hipError_tPvRmT2_T3_T4_T5_mT6_T7_P12ihipStream_tbENKUlT_T0_E_clISt17integral_constantIbLb0EES13_EEDaSY_SZ_EUlSY_E_NS1_11comp_targetILNS1_3genE9ELNS1_11target_archE1100ELNS1_3gpuE3ELNS1_3repE0EEENS1_30default_config_static_selectorELNS0_4arch9wavefront6targetE1EEEvT1_.kd
    .uniform_work_group_size: 1
    .uses_dynamic_stack: false
    .vgpr_count:     0
    .vgpr_spill_count: 0
    .wavefront_size: 64
  - .agpr_count:     0
    .args:
      - .offset:         0
        .size:           112
        .value_kind:     by_value
    .group_segment_fixed_size: 0
    .kernarg_segment_align: 8
    .kernarg_segment_size: 112
    .language:       OpenCL C
    .language_version:
      - 2
      - 0
    .max_flat_workgroup_size: 256
    .name:           _ZN7rocprim17ROCPRIM_400000_NS6detail17trampoline_kernelINS0_14default_configENS1_27scan_by_key_config_selectorIj11FixedVectorIiLj1EEEEZZNS1_16scan_by_key_implILNS1_25lookback_scan_determinismE0ELb1ES3_N6thrust23THRUST_200600_302600_NS6detail15normal_iteratorINSB_10device_ptrIjEEEENSD_INSE_IS6_EEEESI_S6_NSB_4plusIvEENSB_8equal_toIvEES6_EE10hipError_tPvRmT2_T3_T4_T5_mT6_T7_P12ihipStream_tbENKUlT_T0_E_clISt17integral_constantIbLb0EES13_EEDaSY_SZ_EUlSY_E_NS1_11comp_targetILNS1_3genE8ELNS1_11target_archE1030ELNS1_3gpuE2ELNS1_3repE0EEENS1_30default_config_static_selectorELNS0_4arch9wavefront6targetE1EEEvT1_
    .private_segment_fixed_size: 0
    .sgpr_count:     6
    .sgpr_spill_count: 0
    .symbol:         _ZN7rocprim17ROCPRIM_400000_NS6detail17trampoline_kernelINS0_14default_configENS1_27scan_by_key_config_selectorIj11FixedVectorIiLj1EEEEZZNS1_16scan_by_key_implILNS1_25lookback_scan_determinismE0ELb1ES3_N6thrust23THRUST_200600_302600_NS6detail15normal_iteratorINSB_10device_ptrIjEEEENSD_INSE_IS6_EEEESI_S6_NSB_4plusIvEENSB_8equal_toIvEES6_EE10hipError_tPvRmT2_T3_T4_T5_mT6_T7_P12ihipStream_tbENKUlT_T0_E_clISt17integral_constantIbLb0EES13_EEDaSY_SZ_EUlSY_E_NS1_11comp_targetILNS1_3genE8ELNS1_11target_archE1030ELNS1_3gpuE2ELNS1_3repE0EEENS1_30default_config_static_selectorELNS0_4arch9wavefront6targetE1EEEvT1_.kd
    .uniform_work_group_size: 1
    .uses_dynamic_stack: false
    .vgpr_count:     0
    .vgpr_spill_count: 0
    .wavefront_size: 64
  - .agpr_count:     0
    .args:
      - .offset:         0
        .size:           112
        .value_kind:     by_value
    .group_segment_fixed_size: 0
    .kernarg_segment_align: 8
    .kernarg_segment_size: 112
    .language:       OpenCL C
    .language_version:
      - 2
      - 0
    .max_flat_workgroup_size: 256
    .name:           _ZN7rocprim17ROCPRIM_400000_NS6detail17trampoline_kernelINS0_14default_configENS1_27scan_by_key_config_selectorIj11FixedVectorIiLj1EEEEZZNS1_16scan_by_key_implILNS1_25lookback_scan_determinismE0ELb1ES3_N6thrust23THRUST_200600_302600_NS6detail15normal_iteratorINSB_10device_ptrIjEEEENSD_INSE_IS6_EEEESI_S6_NSB_4plusIvEENSB_8equal_toIvEES6_EE10hipError_tPvRmT2_T3_T4_T5_mT6_T7_P12ihipStream_tbENKUlT_T0_E_clISt17integral_constantIbLb1EES13_EEDaSY_SZ_EUlSY_E_NS1_11comp_targetILNS1_3genE0ELNS1_11target_archE4294967295ELNS1_3gpuE0ELNS1_3repE0EEENS1_30default_config_static_selectorELNS0_4arch9wavefront6targetE1EEEvT1_
    .private_segment_fixed_size: 0
    .sgpr_count:     6
    .sgpr_spill_count: 0
    .symbol:         _ZN7rocprim17ROCPRIM_400000_NS6detail17trampoline_kernelINS0_14default_configENS1_27scan_by_key_config_selectorIj11FixedVectorIiLj1EEEEZZNS1_16scan_by_key_implILNS1_25lookback_scan_determinismE0ELb1ES3_N6thrust23THRUST_200600_302600_NS6detail15normal_iteratorINSB_10device_ptrIjEEEENSD_INSE_IS6_EEEESI_S6_NSB_4plusIvEENSB_8equal_toIvEES6_EE10hipError_tPvRmT2_T3_T4_T5_mT6_T7_P12ihipStream_tbENKUlT_T0_E_clISt17integral_constantIbLb1EES13_EEDaSY_SZ_EUlSY_E_NS1_11comp_targetILNS1_3genE0ELNS1_11target_archE4294967295ELNS1_3gpuE0ELNS1_3repE0EEENS1_30default_config_static_selectorELNS0_4arch9wavefront6targetE1EEEvT1_.kd
    .uniform_work_group_size: 1
    .uses_dynamic_stack: false
    .vgpr_count:     0
    .vgpr_spill_count: 0
    .wavefront_size: 64
  - .agpr_count:     0
    .args:
      - .offset:         0
        .size:           112
        .value_kind:     by_value
    .group_segment_fixed_size: 0
    .kernarg_segment_align: 8
    .kernarg_segment_size: 112
    .language:       OpenCL C
    .language_version:
      - 2
      - 0
    .max_flat_workgroup_size: 256
    .name:           _ZN7rocprim17ROCPRIM_400000_NS6detail17trampoline_kernelINS0_14default_configENS1_27scan_by_key_config_selectorIj11FixedVectorIiLj1EEEEZZNS1_16scan_by_key_implILNS1_25lookback_scan_determinismE0ELb1ES3_N6thrust23THRUST_200600_302600_NS6detail15normal_iteratorINSB_10device_ptrIjEEEENSD_INSE_IS6_EEEESI_S6_NSB_4plusIvEENSB_8equal_toIvEES6_EE10hipError_tPvRmT2_T3_T4_T5_mT6_T7_P12ihipStream_tbENKUlT_T0_E_clISt17integral_constantIbLb1EES13_EEDaSY_SZ_EUlSY_E_NS1_11comp_targetILNS1_3genE10ELNS1_11target_archE1201ELNS1_3gpuE5ELNS1_3repE0EEENS1_30default_config_static_selectorELNS0_4arch9wavefront6targetE1EEEvT1_
    .private_segment_fixed_size: 0
    .sgpr_count:     6
    .sgpr_spill_count: 0
    .symbol:         _ZN7rocprim17ROCPRIM_400000_NS6detail17trampoline_kernelINS0_14default_configENS1_27scan_by_key_config_selectorIj11FixedVectorIiLj1EEEEZZNS1_16scan_by_key_implILNS1_25lookback_scan_determinismE0ELb1ES3_N6thrust23THRUST_200600_302600_NS6detail15normal_iteratorINSB_10device_ptrIjEEEENSD_INSE_IS6_EEEESI_S6_NSB_4plusIvEENSB_8equal_toIvEES6_EE10hipError_tPvRmT2_T3_T4_T5_mT6_T7_P12ihipStream_tbENKUlT_T0_E_clISt17integral_constantIbLb1EES13_EEDaSY_SZ_EUlSY_E_NS1_11comp_targetILNS1_3genE10ELNS1_11target_archE1201ELNS1_3gpuE5ELNS1_3repE0EEENS1_30default_config_static_selectorELNS0_4arch9wavefront6targetE1EEEvT1_.kd
    .uniform_work_group_size: 1
    .uses_dynamic_stack: false
    .vgpr_count:     0
    .vgpr_spill_count: 0
    .wavefront_size: 64
  - .agpr_count:     0
    .args:
      - .offset:         0
        .size:           112
        .value_kind:     by_value
    .group_segment_fixed_size: 25600
    .kernarg_segment_align: 8
    .kernarg_segment_size: 112
    .language:       OpenCL C
    .language_version:
      - 2
      - 0
    .max_flat_workgroup_size: 256
    .name:           _ZN7rocprim17ROCPRIM_400000_NS6detail17trampoline_kernelINS0_14default_configENS1_27scan_by_key_config_selectorIj11FixedVectorIiLj1EEEEZZNS1_16scan_by_key_implILNS1_25lookback_scan_determinismE0ELb1ES3_N6thrust23THRUST_200600_302600_NS6detail15normal_iteratorINSB_10device_ptrIjEEEENSD_INSE_IS6_EEEESI_S6_NSB_4plusIvEENSB_8equal_toIvEES6_EE10hipError_tPvRmT2_T3_T4_T5_mT6_T7_P12ihipStream_tbENKUlT_T0_E_clISt17integral_constantIbLb1EES13_EEDaSY_SZ_EUlSY_E_NS1_11comp_targetILNS1_3genE5ELNS1_11target_archE942ELNS1_3gpuE9ELNS1_3repE0EEENS1_30default_config_static_selectorELNS0_4arch9wavefront6targetE1EEEvT1_
    .private_segment_fixed_size: 0
    .sgpr_count:     86
    .sgpr_spill_count: 0
    .symbol:         _ZN7rocprim17ROCPRIM_400000_NS6detail17trampoline_kernelINS0_14default_configENS1_27scan_by_key_config_selectorIj11FixedVectorIiLj1EEEEZZNS1_16scan_by_key_implILNS1_25lookback_scan_determinismE0ELb1ES3_N6thrust23THRUST_200600_302600_NS6detail15normal_iteratorINSB_10device_ptrIjEEEENSD_INSE_IS6_EEEESI_S6_NSB_4plusIvEENSB_8equal_toIvEES6_EE10hipError_tPvRmT2_T3_T4_T5_mT6_T7_P12ihipStream_tbENKUlT_T0_E_clISt17integral_constantIbLb1EES13_EEDaSY_SZ_EUlSY_E_NS1_11comp_targetILNS1_3genE5ELNS1_11target_archE942ELNS1_3gpuE9ELNS1_3repE0EEENS1_30default_config_static_selectorELNS0_4arch9wavefront6targetE1EEEvT1_.kd
    .uniform_work_group_size: 1
    .uses_dynamic_stack: false
    .vgpr_count:     83
    .vgpr_spill_count: 0
    .wavefront_size: 64
  - .agpr_count:     0
    .args:
      - .offset:         0
        .size:           112
        .value_kind:     by_value
    .group_segment_fixed_size: 0
    .kernarg_segment_align: 8
    .kernarg_segment_size: 112
    .language:       OpenCL C
    .language_version:
      - 2
      - 0
    .max_flat_workgroup_size: 256
    .name:           _ZN7rocprim17ROCPRIM_400000_NS6detail17trampoline_kernelINS0_14default_configENS1_27scan_by_key_config_selectorIj11FixedVectorIiLj1EEEEZZNS1_16scan_by_key_implILNS1_25lookback_scan_determinismE0ELb1ES3_N6thrust23THRUST_200600_302600_NS6detail15normal_iteratorINSB_10device_ptrIjEEEENSD_INSE_IS6_EEEESI_S6_NSB_4plusIvEENSB_8equal_toIvEES6_EE10hipError_tPvRmT2_T3_T4_T5_mT6_T7_P12ihipStream_tbENKUlT_T0_E_clISt17integral_constantIbLb1EES13_EEDaSY_SZ_EUlSY_E_NS1_11comp_targetILNS1_3genE4ELNS1_11target_archE910ELNS1_3gpuE8ELNS1_3repE0EEENS1_30default_config_static_selectorELNS0_4arch9wavefront6targetE1EEEvT1_
    .private_segment_fixed_size: 0
    .sgpr_count:     6
    .sgpr_spill_count: 0
    .symbol:         _ZN7rocprim17ROCPRIM_400000_NS6detail17trampoline_kernelINS0_14default_configENS1_27scan_by_key_config_selectorIj11FixedVectorIiLj1EEEEZZNS1_16scan_by_key_implILNS1_25lookback_scan_determinismE0ELb1ES3_N6thrust23THRUST_200600_302600_NS6detail15normal_iteratorINSB_10device_ptrIjEEEENSD_INSE_IS6_EEEESI_S6_NSB_4plusIvEENSB_8equal_toIvEES6_EE10hipError_tPvRmT2_T3_T4_T5_mT6_T7_P12ihipStream_tbENKUlT_T0_E_clISt17integral_constantIbLb1EES13_EEDaSY_SZ_EUlSY_E_NS1_11comp_targetILNS1_3genE4ELNS1_11target_archE910ELNS1_3gpuE8ELNS1_3repE0EEENS1_30default_config_static_selectorELNS0_4arch9wavefront6targetE1EEEvT1_.kd
    .uniform_work_group_size: 1
    .uses_dynamic_stack: false
    .vgpr_count:     0
    .vgpr_spill_count: 0
    .wavefront_size: 64
  - .agpr_count:     0
    .args:
      - .offset:         0
        .size:           112
        .value_kind:     by_value
    .group_segment_fixed_size: 0
    .kernarg_segment_align: 8
    .kernarg_segment_size: 112
    .language:       OpenCL C
    .language_version:
      - 2
      - 0
    .max_flat_workgroup_size: 256
    .name:           _ZN7rocprim17ROCPRIM_400000_NS6detail17trampoline_kernelINS0_14default_configENS1_27scan_by_key_config_selectorIj11FixedVectorIiLj1EEEEZZNS1_16scan_by_key_implILNS1_25lookback_scan_determinismE0ELb1ES3_N6thrust23THRUST_200600_302600_NS6detail15normal_iteratorINSB_10device_ptrIjEEEENSD_INSE_IS6_EEEESI_S6_NSB_4plusIvEENSB_8equal_toIvEES6_EE10hipError_tPvRmT2_T3_T4_T5_mT6_T7_P12ihipStream_tbENKUlT_T0_E_clISt17integral_constantIbLb1EES13_EEDaSY_SZ_EUlSY_E_NS1_11comp_targetILNS1_3genE3ELNS1_11target_archE908ELNS1_3gpuE7ELNS1_3repE0EEENS1_30default_config_static_selectorELNS0_4arch9wavefront6targetE1EEEvT1_
    .private_segment_fixed_size: 0
    .sgpr_count:     6
    .sgpr_spill_count: 0
    .symbol:         _ZN7rocprim17ROCPRIM_400000_NS6detail17trampoline_kernelINS0_14default_configENS1_27scan_by_key_config_selectorIj11FixedVectorIiLj1EEEEZZNS1_16scan_by_key_implILNS1_25lookback_scan_determinismE0ELb1ES3_N6thrust23THRUST_200600_302600_NS6detail15normal_iteratorINSB_10device_ptrIjEEEENSD_INSE_IS6_EEEESI_S6_NSB_4plusIvEENSB_8equal_toIvEES6_EE10hipError_tPvRmT2_T3_T4_T5_mT6_T7_P12ihipStream_tbENKUlT_T0_E_clISt17integral_constantIbLb1EES13_EEDaSY_SZ_EUlSY_E_NS1_11comp_targetILNS1_3genE3ELNS1_11target_archE908ELNS1_3gpuE7ELNS1_3repE0EEENS1_30default_config_static_selectorELNS0_4arch9wavefront6targetE1EEEvT1_.kd
    .uniform_work_group_size: 1
    .uses_dynamic_stack: false
    .vgpr_count:     0
    .vgpr_spill_count: 0
    .wavefront_size: 64
  - .agpr_count:     0
    .args:
      - .offset:         0
        .size:           112
        .value_kind:     by_value
    .group_segment_fixed_size: 0
    .kernarg_segment_align: 8
    .kernarg_segment_size: 112
    .language:       OpenCL C
    .language_version:
      - 2
      - 0
    .max_flat_workgroup_size: 256
    .name:           _ZN7rocprim17ROCPRIM_400000_NS6detail17trampoline_kernelINS0_14default_configENS1_27scan_by_key_config_selectorIj11FixedVectorIiLj1EEEEZZNS1_16scan_by_key_implILNS1_25lookback_scan_determinismE0ELb1ES3_N6thrust23THRUST_200600_302600_NS6detail15normal_iteratorINSB_10device_ptrIjEEEENSD_INSE_IS6_EEEESI_S6_NSB_4plusIvEENSB_8equal_toIvEES6_EE10hipError_tPvRmT2_T3_T4_T5_mT6_T7_P12ihipStream_tbENKUlT_T0_E_clISt17integral_constantIbLb1EES13_EEDaSY_SZ_EUlSY_E_NS1_11comp_targetILNS1_3genE2ELNS1_11target_archE906ELNS1_3gpuE6ELNS1_3repE0EEENS1_30default_config_static_selectorELNS0_4arch9wavefront6targetE1EEEvT1_
    .private_segment_fixed_size: 0
    .sgpr_count:     6
    .sgpr_spill_count: 0
    .symbol:         _ZN7rocprim17ROCPRIM_400000_NS6detail17trampoline_kernelINS0_14default_configENS1_27scan_by_key_config_selectorIj11FixedVectorIiLj1EEEEZZNS1_16scan_by_key_implILNS1_25lookback_scan_determinismE0ELb1ES3_N6thrust23THRUST_200600_302600_NS6detail15normal_iteratorINSB_10device_ptrIjEEEENSD_INSE_IS6_EEEESI_S6_NSB_4plusIvEENSB_8equal_toIvEES6_EE10hipError_tPvRmT2_T3_T4_T5_mT6_T7_P12ihipStream_tbENKUlT_T0_E_clISt17integral_constantIbLb1EES13_EEDaSY_SZ_EUlSY_E_NS1_11comp_targetILNS1_3genE2ELNS1_11target_archE906ELNS1_3gpuE6ELNS1_3repE0EEENS1_30default_config_static_selectorELNS0_4arch9wavefront6targetE1EEEvT1_.kd
    .uniform_work_group_size: 1
    .uses_dynamic_stack: false
    .vgpr_count:     0
    .vgpr_spill_count: 0
    .wavefront_size: 64
  - .agpr_count:     0
    .args:
      - .offset:         0
        .size:           112
        .value_kind:     by_value
    .group_segment_fixed_size: 0
    .kernarg_segment_align: 8
    .kernarg_segment_size: 112
    .language:       OpenCL C
    .language_version:
      - 2
      - 0
    .max_flat_workgroup_size: 256
    .name:           _ZN7rocprim17ROCPRIM_400000_NS6detail17trampoline_kernelINS0_14default_configENS1_27scan_by_key_config_selectorIj11FixedVectorIiLj1EEEEZZNS1_16scan_by_key_implILNS1_25lookback_scan_determinismE0ELb1ES3_N6thrust23THRUST_200600_302600_NS6detail15normal_iteratorINSB_10device_ptrIjEEEENSD_INSE_IS6_EEEESI_S6_NSB_4plusIvEENSB_8equal_toIvEES6_EE10hipError_tPvRmT2_T3_T4_T5_mT6_T7_P12ihipStream_tbENKUlT_T0_E_clISt17integral_constantIbLb1EES13_EEDaSY_SZ_EUlSY_E_NS1_11comp_targetILNS1_3genE10ELNS1_11target_archE1200ELNS1_3gpuE4ELNS1_3repE0EEENS1_30default_config_static_selectorELNS0_4arch9wavefront6targetE1EEEvT1_
    .private_segment_fixed_size: 0
    .sgpr_count:     6
    .sgpr_spill_count: 0
    .symbol:         _ZN7rocprim17ROCPRIM_400000_NS6detail17trampoline_kernelINS0_14default_configENS1_27scan_by_key_config_selectorIj11FixedVectorIiLj1EEEEZZNS1_16scan_by_key_implILNS1_25lookback_scan_determinismE0ELb1ES3_N6thrust23THRUST_200600_302600_NS6detail15normal_iteratorINSB_10device_ptrIjEEEENSD_INSE_IS6_EEEESI_S6_NSB_4plusIvEENSB_8equal_toIvEES6_EE10hipError_tPvRmT2_T3_T4_T5_mT6_T7_P12ihipStream_tbENKUlT_T0_E_clISt17integral_constantIbLb1EES13_EEDaSY_SZ_EUlSY_E_NS1_11comp_targetILNS1_3genE10ELNS1_11target_archE1200ELNS1_3gpuE4ELNS1_3repE0EEENS1_30default_config_static_selectorELNS0_4arch9wavefront6targetE1EEEvT1_.kd
    .uniform_work_group_size: 1
    .uses_dynamic_stack: false
    .vgpr_count:     0
    .vgpr_spill_count: 0
    .wavefront_size: 64
  - .agpr_count:     0
    .args:
      - .offset:         0
        .size:           112
        .value_kind:     by_value
    .group_segment_fixed_size: 0
    .kernarg_segment_align: 8
    .kernarg_segment_size: 112
    .language:       OpenCL C
    .language_version:
      - 2
      - 0
    .max_flat_workgroup_size: 256
    .name:           _ZN7rocprim17ROCPRIM_400000_NS6detail17trampoline_kernelINS0_14default_configENS1_27scan_by_key_config_selectorIj11FixedVectorIiLj1EEEEZZNS1_16scan_by_key_implILNS1_25lookback_scan_determinismE0ELb1ES3_N6thrust23THRUST_200600_302600_NS6detail15normal_iteratorINSB_10device_ptrIjEEEENSD_INSE_IS6_EEEESI_S6_NSB_4plusIvEENSB_8equal_toIvEES6_EE10hipError_tPvRmT2_T3_T4_T5_mT6_T7_P12ihipStream_tbENKUlT_T0_E_clISt17integral_constantIbLb1EES13_EEDaSY_SZ_EUlSY_E_NS1_11comp_targetILNS1_3genE9ELNS1_11target_archE1100ELNS1_3gpuE3ELNS1_3repE0EEENS1_30default_config_static_selectorELNS0_4arch9wavefront6targetE1EEEvT1_
    .private_segment_fixed_size: 0
    .sgpr_count:     6
    .sgpr_spill_count: 0
    .symbol:         _ZN7rocprim17ROCPRIM_400000_NS6detail17trampoline_kernelINS0_14default_configENS1_27scan_by_key_config_selectorIj11FixedVectorIiLj1EEEEZZNS1_16scan_by_key_implILNS1_25lookback_scan_determinismE0ELb1ES3_N6thrust23THRUST_200600_302600_NS6detail15normal_iteratorINSB_10device_ptrIjEEEENSD_INSE_IS6_EEEESI_S6_NSB_4plusIvEENSB_8equal_toIvEES6_EE10hipError_tPvRmT2_T3_T4_T5_mT6_T7_P12ihipStream_tbENKUlT_T0_E_clISt17integral_constantIbLb1EES13_EEDaSY_SZ_EUlSY_E_NS1_11comp_targetILNS1_3genE9ELNS1_11target_archE1100ELNS1_3gpuE3ELNS1_3repE0EEENS1_30default_config_static_selectorELNS0_4arch9wavefront6targetE1EEEvT1_.kd
    .uniform_work_group_size: 1
    .uses_dynamic_stack: false
    .vgpr_count:     0
    .vgpr_spill_count: 0
    .wavefront_size: 64
  - .agpr_count:     0
    .args:
      - .offset:         0
        .size:           112
        .value_kind:     by_value
    .group_segment_fixed_size: 0
    .kernarg_segment_align: 8
    .kernarg_segment_size: 112
    .language:       OpenCL C
    .language_version:
      - 2
      - 0
    .max_flat_workgroup_size: 256
    .name:           _ZN7rocprim17ROCPRIM_400000_NS6detail17trampoline_kernelINS0_14default_configENS1_27scan_by_key_config_selectorIj11FixedVectorIiLj1EEEEZZNS1_16scan_by_key_implILNS1_25lookback_scan_determinismE0ELb1ES3_N6thrust23THRUST_200600_302600_NS6detail15normal_iteratorINSB_10device_ptrIjEEEENSD_INSE_IS6_EEEESI_S6_NSB_4plusIvEENSB_8equal_toIvEES6_EE10hipError_tPvRmT2_T3_T4_T5_mT6_T7_P12ihipStream_tbENKUlT_T0_E_clISt17integral_constantIbLb1EES13_EEDaSY_SZ_EUlSY_E_NS1_11comp_targetILNS1_3genE8ELNS1_11target_archE1030ELNS1_3gpuE2ELNS1_3repE0EEENS1_30default_config_static_selectorELNS0_4arch9wavefront6targetE1EEEvT1_
    .private_segment_fixed_size: 0
    .sgpr_count:     6
    .sgpr_spill_count: 0
    .symbol:         _ZN7rocprim17ROCPRIM_400000_NS6detail17trampoline_kernelINS0_14default_configENS1_27scan_by_key_config_selectorIj11FixedVectorIiLj1EEEEZZNS1_16scan_by_key_implILNS1_25lookback_scan_determinismE0ELb1ES3_N6thrust23THRUST_200600_302600_NS6detail15normal_iteratorINSB_10device_ptrIjEEEENSD_INSE_IS6_EEEESI_S6_NSB_4plusIvEENSB_8equal_toIvEES6_EE10hipError_tPvRmT2_T3_T4_T5_mT6_T7_P12ihipStream_tbENKUlT_T0_E_clISt17integral_constantIbLb1EES13_EEDaSY_SZ_EUlSY_E_NS1_11comp_targetILNS1_3genE8ELNS1_11target_archE1030ELNS1_3gpuE2ELNS1_3repE0EEENS1_30default_config_static_selectorELNS0_4arch9wavefront6targetE1EEEvT1_.kd
    .uniform_work_group_size: 1
    .uses_dynamic_stack: false
    .vgpr_count:     0
    .vgpr_spill_count: 0
    .wavefront_size: 64
  - .agpr_count:     0
    .args:
      - .offset:         0
        .size:           112
        .value_kind:     by_value
    .group_segment_fixed_size: 0
    .kernarg_segment_align: 8
    .kernarg_segment_size: 112
    .language:       OpenCL C
    .language_version:
      - 2
      - 0
    .max_flat_workgroup_size: 256
    .name:           _ZN7rocprim17ROCPRIM_400000_NS6detail17trampoline_kernelINS0_14default_configENS1_27scan_by_key_config_selectorIj11FixedVectorIiLj1EEEEZZNS1_16scan_by_key_implILNS1_25lookback_scan_determinismE0ELb1ES3_N6thrust23THRUST_200600_302600_NS6detail15normal_iteratorINSB_10device_ptrIjEEEENSD_INSE_IS6_EEEESI_S6_NSB_4plusIvEENSB_8equal_toIvEES6_EE10hipError_tPvRmT2_T3_T4_T5_mT6_T7_P12ihipStream_tbENKUlT_T0_E_clISt17integral_constantIbLb1EES12_IbLb0EEEEDaSY_SZ_EUlSY_E_NS1_11comp_targetILNS1_3genE0ELNS1_11target_archE4294967295ELNS1_3gpuE0ELNS1_3repE0EEENS1_30default_config_static_selectorELNS0_4arch9wavefront6targetE1EEEvT1_
    .private_segment_fixed_size: 0
    .sgpr_count:     6
    .sgpr_spill_count: 0
    .symbol:         _ZN7rocprim17ROCPRIM_400000_NS6detail17trampoline_kernelINS0_14default_configENS1_27scan_by_key_config_selectorIj11FixedVectorIiLj1EEEEZZNS1_16scan_by_key_implILNS1_25lookback_scan_determinismE0ELb1ES3_N6thrust23THRUST_200600_302600_NS6detail15normal_iteratorINSB_10device_ptrIjEEEENSD_INSE_IS6_EEEESI_S6_NSB_4plusIvEENSB_8equal_toIvEES6_EE10hipError_tPvRmT2_T3_T4_T5_mT6_T7_P12ihipStream_tbENKUlT_T0_E_clISt17integral_constantIbLb1EES12_IbLb0EEEEDaSY_SZ_EUlSY_E_NS1_11comp_targetILNS1_3genE0ELNS1_11target_archE4294967295ELNS1_3gpuE0ELNS1_3repE0EEENS1_30default_config_static_selectorELNS0_4arch9wavefront6targetE1EEEvT1_.kd
    .uniform_work_group_size: 1
    .uses_dynamic_stack: false
    .vgpr_count:     0
    .vgpr_spill_count: 0
    .wavefront_size: 64
  - .agpr_count:     0
    .args:
      - .offset:         0
        .size:           112
        .value_kind:     by_value
    .group_segment_fixed_size: 0
    .kernarg_segment_align: 8
    .kernarg_segment_size: 112
    .language:       OpenCL C
    .language_version:
      - 2
      - 0
    .max_flat_workgroup_size: 256
    .name:           _ZN7rocprim17ROCPRIM_400000_NS6detail17trampoline_kernelINS0_14default_configENS1_27scan_by_key_config_selectorIj11FixedVectorIiLj1EEEEZZNS1_16scan_by_key_implILNS1_25lookback_scan_determinismE0ELb1ES3_N6thrust23THRUST_200600_302600_NS6detail15normal_iteratorINSB_10device_ptrIjEEEENSD_INSE_IS6_EEEESI_S6_NSB_4plusIvEENSB_8equal_toIvEES6_EE10hipError_tPvRmT2_T3_T4_T5_mT6_T7_P12ihipStream_tbENKUlT_T0_E_clISt17integral_constantIbLb1EES12_IbLb0EEEEDaSY_SZ_EUlSY_E_NS1_11comp_targetILNS1_3genE10ELNS1_11target_archE1201ELNS1_3gpuE5ELNS1_3repE0EEENS1_30default_config_static_selectorELNS0_4arch9wavefront6targetE1EEEvT1_
    .private_segment_fixed_size: 0
    .sgpr_count:     6
    .sgpr_spill_count: 0
    .symbol:         _ZN7rocprim17ROCPRIM_400000_NS6detail17trampoline_kernelINS0_14default_configENS1_27scan_by_key_config_selectorIj11FixedVectorIiLj1EEEEZZNS1_16scan_by_key_implILNS1_25lookback_scan_determinismE0ELb1ES3_N6thrust23THRUST_200600_302600_NS6detail15normal_iteratorINSB_10device_ptrIjEEEENSD_INSE_IS6_EEEESI_S6_NSB_4plusIvEENSB_8equal_toIvEES6_EE10hipError_tPvRmT2_T3_T4_T5_mT6_T7_P12ihipStream_tbENKUlT_T0_E_clISt17integral_constantIbLb1EES12_IbLb0EEEEDaSY_SZ_EUlSY_E_NS1_11comp_targetILNS1_3genE10ELNS1_11target_archE1201ELNS1_3gpuE5ELNS1_3repE0EEENS1_30default_config_static_selectorELNS0_4arch9wavefront6targetE1EEEvT1_.kd
    .uniform_work_group_size: 1
    .uses_dynamic_stack: false
    .vgpr_count:     0
    .vgpr_spill_count: 0
    .wavefront_size: 64
  - .agpr_count:     0
    .args:
      - .offset:         0
        .size:           112
        .value_kind:     by_value
    .group_segment_fixed_size: 25600
    .kernarg_segment_align: 8
    .kernarg_segment_size: 112
    .language:       OpenCL C
    .language_version:
      - 2
      - 0
    .max_flat_workgroup_size: 256
    .name:           _ZN7rocprim17ROCPRIM_400000_NS6detail17trampoline_kernelINS0_14default_configENS1_27scan_by_key_config_selectorIj11FixedVectorIiLj1EEEEZZNS1_16scan_by_key_implILNS1_25lookback_scan_determinismE0ELb1ES3_N6thrust23THRUST_200600_302600_NS6detail15normal_iteratorINSB_10device_ptrIjEEEENSD_INSE_IS6_EEEESI_S6_NSB_4plusIvEENSB_8equal_toIvEES6_EE10hipError_tPvRmT2_T3_T4_T5_mT6_T7_P12ihipStream_tbENKUlT_T0_E_clISt17integral_constantIbLb1EES12_IbLb0EEEEDaSY_SZ_EUlSY_E_NS1_11comp_targetILNS1_3genE5ELNS1_11target_archE942ELNS1_3gpuE9ELNS1_3repE0EEENS1_30default_config_static_selectorELNS0_4arch9wavefront6targetE1EEEvT1_
    .private_segment_fixed_size: 0
    .sgpr_count:     86
    .sgpr_spill_count: 0
    .symbol:         _ZN7rocprim17ROCPRIM_400000_NS6detail17trampoline_kernelINS0_14default_configENS1_27scan_by_key_config_selectorIj11FixedVectorIiLj1EEEEZZNS1_16scan_by_key_implILNS1_25lookback_scan_determinismE0ELb1ES3_N6thrust23THRUST_200600_302600_NS6detail15normal_iteratorINSB_10device_ptrIjEEEENSD_INSE_IS6_EEEESI_S6_NSB_4plusIvEENSB_8equal_toIvEES6_EE10hipError_tPvRmT2_T3_T4_T5_mT6_T7_P12ihipStream_tbENKUlT_T0_E_clISt17integral_constantIbLb1EES12_IbLb0EEEEDaSY_SZ_EUlSY_E_NS1_11comp_targetILNS1_3genE5ELNS1_11target_archE942ELNS1_3gpuE9ELNS1_3repE0EEENS1_30default_config_static_selectorELNS0_4arch9wavefront6targetE1EEEvT1_.kd
    .uniform_work_group_size: 1
    .uses_dynamic_stack: false
    .vgpr_count:     81
    .vgpr_spill_count: 0
    .wavefront_size: 64
  - .agpr_count:     0
    .args:
      - .offset:         0
        .size:           112
        .value_kind:     by_value
    .group_segment_fixed_size: 0
    .kernarg_segment_align: 8
    .kernarg_segment_size: 112
    .language:       OpenCL C
    .language_version:
      - 2
      - 0
    .max_flat_workgroup_size: 256
    .name:           _ZN7rocprim17ROCPRIM_400000_NS6detail17trampoline_kernelINS0_14default_configENS1_27scan_by_key_config_selectorIj11FixedVectorIiLj1EEEEZZNS1_16scan_by_key_implILNS1_25lookback_scan_determinismE0ELb1ES3_N6thrust23THRUST_200600_302600_NS6detail15normal_iteratorINSB_10device_ptrIjEEEENSD_INSE_IS6_EEEESI_S6_NSB_4plusIvEENSB_8equal_toIvEES6_EE10hipError_tPvRmT2_T3_T4_T5_mT6_T7_P12ihipStream_tbENKUlT_T0_E_clISt17integral_constantIbLb1EES12_IbLb0EEEEDaSY_SZ_EUlSY_E_NS1_11comp_targetILNS1_3genE4ELNS1_11target_archE910ELNS1_3gpuE8ELNS1_3repE0EEENS1_30default_config_static_selectorELNS0_4arch9wavefront6targetE1EEEvT1_
    .private_segment_fixed_size: 0
    .sgpr_count:     6
    .sgpr_spill_count: 0
    .symbol:         _ZN7rocprim17ROCPRIM_400000_NS6detail17trampoline_kernelINS0_14default_configENS1_27scan_by_key_config_selectorIj11FixedVectorIiLj1EEEEZZNS1_16scan_by_key_implILNS1_25lookback_scan_determinismE0ELb1ES3_N6thrust23THRUST_200600_302600_NS6detail15normal_iteratorINSB_10device_ptrIjEEEENSD_INSE_IS6_EEEESI_S6_NSB_4plusIvEENSB_8equal_toIvEES6_EE10hipError_tPvRmT2_T3_T4_T5_mT6_T7_P12ihipStream_tbENKUlT_T0_E_clISt17integral_constantIbLb1EES12_IbLb0EEEEDaSY_SZ_EUlSY_E_NS1_11comp_targetILNS1_3genE4ELNS1_11target_archE910ELNS1_3gpuE8ELNS1_3repE0EEENS1_30default_config_static_selectorELNS0_4arch9wavefront6targetE1EEEvT1_.kd
    .uniform_work_group_size: 1
    .uses_dynamic_stack: false
    .vgpr_count:     0
    .vgpr_spill_count: 0
    .wavefront_size: 64
  - .agpr_count:     0
    .args:
      - .offset:         0
        .size:           112
        .value_kind:     by_value
    .group_segment_fixed_size: 0
    .kernarg_segment_align: 8
    .kernarg_segment_size: 112
    .language:       OpenCL C
    .language_version:
      - 2
      - 0
    .max_flat_workgroup_size: 256
    .name:           _ZN7rocprim17ROCPRIM_400000_NS6detail17trampoline_kernelINS0_14default_configENS1_27scan_by_key_config_selectorIj11FixedVectorIiLj1EEEEZZNS1_16scan_by_key_implILNS1_25lookback_scan_determinismE0ELb1ES3_N6thrust23THRUST_200600_302600_NS6detail15normal_iteratorINSB_10device_ptrIjEEEENSD_INSE_IS6_EEEESI_S6_NSB_4plusIvEENSB_8equal_toIvEES6_EE10hipError_tPvRmT2_T3_T4_T5_mT6_T7_P12ihipStream_tbENKUlT_T0_E_clISt17integral_constantIbLb1EES12_IbLb0EEEEDaSY_SZ_EUlSY_E_NS1_11comp_targetILNS1_3genE3ELNS1_11target_archE908ELNS1_3gpuE7ELNS1_3repE0EEENS1_30default_config_static_selectorELNS0_4arch9wavefront6targetE1EEEvT1_
    .private_segment_fixed_size: 0
    .sgpr_count:     6
    .sgpr_spill_count: 0
    .symbol:         _ZN7rocprim17ROCPRIM_400000_NS6detail17trampoline_kernelINS0_14default_configENS1_27scan_by_key_config_selectorIj11FixedVectorIiLj1EEEEZZNS1_16scan_by_key_implILNS1_25lookback_scan_determinismE0ELb1ES3_N6thrust23THRUST_200600_302600_NS6detail15normal_iteratorINSB_10device_ptrIjEEEENSD_INSE_IS6_EEEESI_S6_NSB_4plusIvEENSB_8equal_toIvEES6_EE10hipError_tPvRmT2_T3_T4_T5_mT6_T7_P12ihipStream_tbENKUlT_T0_E_clISt17integral_constantIbLb1EES12_IbLb0EEEEDaSY_SZ_EUlSY_E_NS1_11comp_targetILNS1_3genE3ELNS1_11target_archE908ELNS1_3gpuE7ELNS1_3repE0EEENS1_30default_config_static_selectorELNS0_4arch9wavefront6targetE1EEEvT1_.kd
    .uniform_work_group_size: 1
    .uses_dynamic_stack: false
    .vgpr_count:     0
    .vgpr_spill_count: 0
    .wavefront_size: 64
  - .agpr_count:     0
    .args:
      - .offset:         0
        .size:           112
        .value_kind:     by_value
    .group_segment_fixed_size: 0
    .kernarg_segment_align: 8
    .kernarg_segment_size: 112
    .language:       OpenCL C
    .language_version:
      - 2
      - 0
    .max_flat_workgroup_size: 256
    .name:           _ZN7rocprim17ROCPRIM_400000_NS6detail17trampoline_kernelINS0_14default_configENS1_27scan_by_key_config_selectorIj11FixedVectorIiLj1EEEEZZNS1_16scan_by_key_implILNS1_25lookback_scan_determinismE0ELb1ES3_N6thrust23THRUST_200600_302600_NS6detail15normal_iteratorINSB_10device_ptrIjEEEENSD_INSE_IS6_EEEESI_S6_NSB_4plusIvEENSB_8equal_toIvEES6_EE10hipError_tPvRmT2_T3_T4_T5_mT6_T7_P12ihipStream_tbENKUlT_T0_E_clISt17integral_constantIbLb1EES12_IbLb0EEEEDaSY_SZ_EUlSY_E_NS1_11comp_targetILNS1_3genE2ELNS1_11target_archE906ELNS1_3gpuE6ELNS1_3repE0EEENS1_30default_config_static_selectorELNS0_4arch9wavefront6targetE1EEEvT1_
    .private_segment_fixed_size: 0
    .sgpr_count:     6
    .sgpr_spill_count: 0
    .symbol:         _ZN7rocprim17ROCPRIM_400000_NS6detail17trampoline_kernelINS0_14default_configENS1_27scan_by_key_config_selectorIj11FixedVectorIiLj1EEEEZZNS1_16scan_by_key_implILNS1_25lookback_scan_determinismE0ELb1ES3_N6thrust23THRUST_200600_302600_NS6detail15normal_iteratorINSB_10device_ptrIjEEEENSD_INSE_IS6_EEEESI_S6_NSB_4plusIvEENSB_8equal_toIvEES6_EE10hipError_tPvRmT2_T3_T4_T5_mT6_T7_P12ihipStream_tbENKUlT_T0_E_clISt17integral_constantIbLb1EES12_IbLb0EEEEDaSY_SZ_EUlSY_E_NS1_11comp_targetILNS1_3genE2ELNS1_11target_archE906ELNS1_3gpuE6ELNS1_3repE0EEENS1_30default_config_static_selectorELNS0_4arch9wavefront6targetE1EEEvT1_.kd
    .uniform_work_group_size: 1
    .uses_dynamic_stack: false
    .vgpr_count:     0
    .vgpr_spill_count: 0
    .wavefront_size: 64
  - .agpr_count:     0
    .args:
      - .offset:         0
        .size:           112
        .value_kind:     by_value
    .group_segment_fixed_size: 0
    .kernarg_segment_align: 8
    .kernarg_segment_size: 112
    .language:       OpenCL C
    .language_version:
      - 2
      - 0
    .max_flat_workgroup_size: 256
    .name:           _ZN7rocprim17ROCPRIM_400000_NS6detail17trampoline_kernelINS0_14default_configENS1_27scan_by_key_config_selectorIj11FixedVectorIiLj1EEEEZZNS1_16scan_by_key_implILNS1_25lookback_scan_determinismE0ELb1ES3_N6thrust23THRUST_200600_302600_NS6detail15normal_iteratorINSB_10device_ptrIjEEEENSD_INSE_IS6_EEEESI_S6_NSB_4plusIvEENSB_8equal_toIvEES6_EE10hipError_tPvRmT2_T3_T4_T5_mT6_T7_P12ihipStream_tbENKUlT_T0_E_clISt17integral_constantIbLb1EES12_IbLb0EEEEDaSY_SZ_EUlSY_E_NS1_11comp_targetILNS1_3genE10ELNS1_11target_archE1200ELNS1_3gpuE4ELNS1_3repE0EEENS1_30default_config_static_selectorELNS0_4arch9wavefront6targetE1EEEvT1_
    .private_segment_fixed_size: 0
    .sgpr_count:     6
    .sgpr_spill_count: 0
    .symbol:         _ZN7rocprim17ROCPRIM_400000_NS6detail17trampoline_kernelINS0_14default_configENS1_27scan_by_key_config_selectorIj11FixedVectorIiLj1EEEEZZNS1_16scan_by_key_implILNS1_25lookback_scan_determinismE0ELb1ES3_N6thrust23THRUST_200600_302600_NS6detail15normal_iteratorINSB_10device_ptrIjEEEENSD_INSE_IS6_EEEESI_S6_NSB_4plusIvEENSB_8equal_toIvEES6_EE10hipError_tPvRmT2_T3_T4_T5_mT6_T7_P12ihipStream_tbENKUlT_T0_E_clISt17integral_constantIbLb1EES12_IbLb0EEEEDaSY_SZ_EUlSY_E_NS1_11comp_targetILNS1_3genE10ELNS1_11target_archE1200ELNS1_3gpuE4ELNS1_3repE0EEENS1_30default_config_static_selectorELNS0_4arch9wavefront6targetE1EEEvT1_.kd
    .uniform_work_group_size: 1
    .uses_dynamic_stack: false
    .vgpr_count:     0
    .vgpr_spill_count: 0
    .wavefront_size: 64
  - .agpr_count:     0
    .args:
      - .offset:         0
        .size:           112
        .value_kind:     by_value
    .group_segment_fixed_size: 0
    .kernarg_segment_align: 8
    .kernarg_segment_size: 112
    .language:       OpenCL C
    .language_version:
      - 2
      - 0
    .max_flat_workgroup_size: 256
    .name:           _ZN7rocprim17ROCPRIM_400000_NS6detail17trampoline_kernelINS0_14default_configENS1_27scan_by_key_config_selectorIj11FixedVectorIiLj1EEEEZZNS1_16scan_by_key_implILNS1_25lookback_scan_determinismE0ELb1ES3_N6thrust23THRUST_200600_302600_NS6detail15normal_iteratorINSB_10device_ptrIjEEEENSD_INSE_IS6_EEEESI_S6_NSB_4plusIvEENSB_8equal_toIvEES6_EE10hipError_tPvRmT2_T3_T4_T5_mT6_T7_P12ihipStream_tbENKUlT_T0_E_clISt17integral_constantIbLb1EES12_IbLb0EEEEDaSY_SZ_EUlSY_E_NS1_11comp_targetILNS1_3genE9ELNS1_11target_archE1100ELNS1_3gpuE3ELNS1_3repE0EEENS1_30default_config_static_selectorELNS0_4arch9wavefront6targetE1EEEvT1_
    .private_segment_fixed_size: 0
    .sgpr_count:     6
    .sgpr_spill_count: 0
    .symbol:         _ZN7rocprim17ROCPRIM_400000_NS6detail17trampoline_kernelINS0_14default_configENS1_27scan_by_key_config_selectorIj11FixedVectorIiLj1EEEEZZNS1_16scan_by_key_implILNS1_25lookback_scan_determinismE0ELb1ES3_N6thrust23THRUST_200600_302600_NS6detail15normal_iteratorINSB_10device_ptrIjEEEENSD_INSE_IS6_EEEESI_S6_NSB_4plusIvEENSB_8equal_toIvEES6_EE10hipError_tPvRmT2_T3_T4_T5_mT6_T7_P12ihipStream_tbENKUlT_T0_E_clISt17integral_constantIbLb1EES12_IbLb0EEEEDaSY_SZ_EUlSY_E_NS1_11comp_targetILNS1_3genE9ELNS1_11target_archE1100ELNS1_3gpuE3ELNS1_3repE0EEENS1_30default_config_static_selectorELNS0_4arch9wavefront6targetE1EEEvT1_.kd
    .uniform_work_group_size: 1
    .uses_dynamic_stack: false
    .vgpr_count:     0
    .vgpr_spill_count: 0
    .wavefront_size: 64
  - .agpr_count:     0
    .args:
      - .offset:         0
        .size:           112
        .value_kind:     by_value
    .group_segment_fixed_size: 0
    .kernarg_segment_align: 8
    .kernarg_segment_size: 112
    .language:       OpenCL C
    .language_version:
      - 2
      - 0
    .max_flat_workgroup_size: 256
    .name:           _ZN7rocprim17ROCPRIM_400000_NS6detail17trampoline_kernelINS0_14default_configENS1_27scan_by_key_config_selectorIj11FixedVectorIiLj1EEEEZZNS1_16scan_by_key_implILNS1_25lookback_scan_determinismE0ELb1ES3_N6thrust23THRUST_200600_302600_NS6detail15normal_iteratorINSB_10device_ptrIjEEEENSD_INSE_IS6_EEEESI_S6_NSB_4plusIvEENSB_8equal_toIvEES6_EE10hipError_tPvRmT2_T3_T4_T5_mT6_T7_P12ihipStream_tbENKUlT_T0_E_clISt17integral_constantIbLb1EES12_IbLb0EEEEDaSY_SZ_EUlSY_E_NS1_11comp_targetILNS1_3genE8ELNS1_11target_archE1030ELNS1_3gpuE2ELNS1_3repE0EEENS1_30default_config_static_selectorELNS0_4arch9wavefront6targetE1EEEvT1_
    .private_segment_fixed_size: 0
    .sgpr_count:     6
    .sgpr_spill_count: 0
    .symbol:         _ZN7rocprim17ROCPRIM_400000_NS6detail17trampoline_kernelINS0_14default_configENS1_27scan_by_key_config_selectorIj11FixedVectorIiLj1EEEEZZNS1_16scan_by_key_implILNS1_25lookback_scan_determinismE0ELb1ES3_N6thrust23THRUST_200600_302600_NS6detail15normal_iteratorINSB_10device_ptrIjEEEENSD_INSE_IS6_EEEESI_S6_NSB_4plusIvEENSB_8equal_toIvEES6_EE10hipError_tPvRmT2_T3_T4_T5_mT6_T7_P12ihipStream_tbENKUlT_T0_E_clISt17integral_constantIbLb1EES12_IbLb0EEEEDaSY_SZ_EUlSY_E_NS1_11comp_targetILNS1_3genE8ELNS1_11target_archE1030ELNS1_3gpuE2ELNS1_3repE0EEENS1_30default_config_static_selectorELNS0_4arch9wavefront6targetE1EEEvT1_.kd
    .uniform_work_group_size: 1
    .uses_dynamic_stack: false
    .vgpr_count:     0
    .vgpr_spill_count: 0
    .wavefront_size: 64
  - .agpr_count:     0
    .args:
      - .offset:         0
        .size:           112
        .value_kind:     by_value
    .group_segment_fixed_size: 0
    .kernarg_segment_align: 8
    .kernarg_segment_size: 112
    .language:       OpenCL C
    .language_version:
      - 2
      - 0
    .max_flat_workgroup_size: 256
    .name:           _ZN7rocprim17ROCPRIM_400000_NS6detail17trampoline_kernelINS0_14default_configENS1_27scan_by_key_config_selectorIj11FixedVectorIiLj1EEEEZZNS1_16scan_by_key_implILNS1_25lookback_scan_determinismE0ELb1ES3_N6thrust23THRUST_200600_302600_NS6detail15normal_iteratorINSB_10device_ptrIjEEEENSD_INSE_IS6_EEEESI_S6_NSB_4plusIvEENSB_8equal_toIvEES6_EE10hipError_tPvRmT2_T3_T4_T5_mT6_T7_P12ihipStream_tbENKUlT_T0_E_clISt17integral_constantIbLb0EES12_IbLb1EEEEDaSY_SZ_EUlSY_E_NS1_11comp_targetILNS1_3genE0ELNS1_11target_archE4294967295ELNS1_3gpuE0ELNS1_3repE0EEENS1_30default_config_static_selectorELNS0_4arch9wavefront6targetE1EEEvT1_
    .private_segment_fixed_size: 0
    .sgpr_count:     6
    .sgpr_spill_count: 0
    .symbol:         _ZN7rocprim17ROCPRIM_400000_NS6detail17trampoline_kernelINS0_14default_configENS1_27scan_by_key_config_selectorIj11FixedVectorIiLj1EEEEZZNS1_16scan_by_key_implILNS1_25lookback_scan_determinismE0ELb1ES3_N6thrust23THRUST_200600_302600_NS6detail15normal_iteratorINSB_10device_ptrIjEEEENSD_INSE_IS6_EEEESI_S6_NSB_4plusIvEENSB_8equal_toIvEES6_EE10hipError_tPvRmT2_T3_T4_T5_mT6_T7_P12ihipStream_tbENKUlT_T0_E_clISt17integral_constantIbLb0EES12_IbLb1EEEEDaSY_SZ_EUlSY_E_NS1_11comp_targetILNS1_3genE0ELNS1_11target_archE4294967295ELNS1_3gpuE0ELNS1_3repE0EEENS1_30default_config_static_selectorELNS0_4arch9wavefront6targetE1EEEvT1_.kd
    .uniform_work_group_size: 1
    .uses_dynamic_stack: false
    .vgpr_count:     0
    .vgpr_spill_count: 0
    .wavefront_size: 64
  - .agpr_count:     0
    .args:
      - .offset:         0
        .size:           112
        .value_kind:     by_value
    .group_segment_fixed_size: 0
    .kernarg_segment_align: 8
    .kernarg_segment_size: 112
    .language:       OpenCL C
    .language_version:
      - 2
      - 0
    .max_flat_workgroup_size: 256
    .name:           _ZN7rocprim17ROCPRIM_400000_NS6detail17trampoline_kernelINS0_14default_configENS1_27scan_by_key_config_selectorIj11FixedVectorIiLj1EEEEZZNS1_16scan_by_key_implILNS1_25lookback_scan_determinismE0ELb1ES3_N6thrust23THRUST_200600_302600_NS6detail15normal_iteratorINSB_10device_ptrIjEEEENSD_INSE_IS6_EEEESI_S6_NSB_4plusIvEENSB_8equal_toIvEES6_EE10hipError_tPvRmT2_T3_T4_T5_mT6_T7_P12ihipStream_tbENKUlT_T0_E_clISt17integral_constantIbLb0EES12_IbLb1EEEEDaSY_SZ_EUlSY_E_NS1_11comp_targetILNS1_3genE10ELNS1_11target_archE1201ELNS1_3gpuE5ELNS1_3repE0EEENS1_30default_config_static_selectorELNS0_4arch9wavefront6targetE1EEEvT1_
    .private_segment_fixed_size: 0
    .sgpr_count:     6
    .sgpr_spill_count: 0
    .symbol:         _ZN7rocprim17ROCPRIM_400000_NS6detail17trampoline_kernelINS0_14default_configENS1_27scan_by_key_config_selectorIj11FixedVectorIiLj1EEEEZZNS1_16scan_by_key_implILNS1_25lookback_scan_determinismE0ELb1ES3_N6thrust23THRUST_200600_302600_NS6detail15normal_iteratorINSB_10device_ptrIjEEEENSD_INSE_IS6_EEEESI_S6_NSB_4plusIvEENSB_8equal_toIvEES6_EE10hipError_tPvRmT2_T3_T4_T5_mT6_T7_P12ihipStream_tbENKUlT_T0_E_clISt17integral_constantIbLb0EES12_IbLb1EEEEDaSY_SZ_EUlSY_E_NS1_11comp_targetILNS1_3genE10ELNS1_11target_archE1201ELNS1_3gpuE5ELNS1_3repE0EEENS1_30default_config_static_selectorELNS0_4arch9wavefront6targetE1EEEvT1_.kd
    .uniform_work_group_size: 1
    .uses_dynamic_stack: false
    .vgpr_count:     0
    .vgpr_spill_count: 0
    .wavefront_size: 64
  - .agpr_count:     0
    .args:
      - .offset:         0
        .size:           112
        .value_kind:     by_value
    .group_segment_fixed_size: 25600
    .kernarg_segment_align: 8
    .kernarg_segment_size: 112
    .language:       OpenCL C
    .language_version:
      - 2
      - 0
    .max_flat_workgroup_size: 256
    .name:           _ZN7rocprim17ROCPRIM_400000_NS6detail17trampoline_kernelINS0_14default_configENS1_27scan_by_key_config_selectorIj11FixedVectorIiLj1EEEEZZNS1_16scan_by_key_implILNS1_25lookback_scan_determinismE0ELb1ES3_N6thrust23THRUST_200600_302600_NS6detail15normal_iteratorINSB_10device_ptrIjEEEENSD_INSE_IS6_EEEESI_S6_NSB_4plusIvEENSB_8equal_toIvEES6_EE10hipError_tPvRmT2_T3_T4_T5_mT6_T7_P12ihipStream_tbENKUlT_T0_E_clISt17integral_constantIbLb0EES12_IbLb1EEEEDaSY_SZ_EUlSY_E_NS1_11comp_targetILNS1_3genE5ELNS1_11target_archE942ELNS1_3gpuE9ELNS1_3repE0EEENS1_30default_config_static_selectorELNS0_4arch9wavefront6targetE1EEEvT1_
    .private_segment_fixed_size: 0
    .sgpr_count:     86
    .sgpr_spill_count: 0
    .symbol:         _ZN7rocprim17ROCPRIM_400000_NS6detail17trampoline_kernelINS0_14default_configENS1_27scan_by_key_config_selectorIj11FixedVectorIiLj1EEEEZZNS1_16scan_by_key_implILNS1_25lookback_scan_determinismE0ELb1ES3_N6thrust23THRUST_200600_302600_NS6detail15normal_iteratorINSB_10device_ptrIjEEEENSD_INSE_IS6_EEEESI_S6_NSB_4plusIvEENSB_8equal_toIvEES6_EE10hipError_tPvRmT2_T3_T4_T5_mT6_T7_P12ihipStream_tbENKUlT_T0_E_clISt17integral_constantIbLb0EES12_IbLb1EEEEDaSY_SZ_EUlSY_E_NS1_11comp_targetILNS1_3genE5ELNS1_11target_archE942ELNS1_3gpuE9ELNS1_3repE0EEENS1_30default_config_static_selectorELNS0_4arch9wavefront6targetE1EEEvT1_.kd
    .uniform_work_group_size: 1
    .uses_dynamic_stack: false
    .vgpr_count:     83
    .vgpr_spill_count: 0
    .wavefront_size: 64
  - .agpr_count:     0
    .args:
      - .offset:         0
        .size:           112
        .value_kind:     by_value
    .group_segment_fixed_size: 0
    .kernarg_segment_align: 8
    .kernarg_segment_size: 112
    .language:       OpenCL C
    .language_version:
      - 2
      - 0
    .max_flat_workgroup_size: 256
    .name:           _ZN7rocprim17ROCPRIM_400000_NS6detail17trampoline_kernelINS0_14default_configENS1_27scan_by_key_config_selectorIj11FixedVectorIiLj1EEEEZZNS1_16scan_by_key_implILNS1_25lookback_scan_determinismE0ELb1ES3_N6thrust23THRUST_200600_302600_NS6detail15normal_iteratorINSB_10device_ptrIjEEEENSD_INSE_IS6_EEEESI_S6_NSB_4plusIvEENSB_8equal_toIvEES6_EE10hipError_tPvRmT2_T3_T4_T5_mT6_T7_P12ihipStream_tbENKUlT_T0_E_clISt17integral_constantIbLb0EES12_IbLb1EEEEDaSY_SZ_EUlSY_E_NS1_11comp_targetILNS1_3genE4ELNS1_11target_archE910ELNS1_3gpuE8ELNS1_3repE0EEENS1_30default_config_static_selectorELNS0_4arch9wavefront6targetE1EEEvT1_
    .private_segment_fixed_size: 0
    .sgpr_count:     6
    .sgpr_spill_count: 0
    .symbol:         _ZN7rocprim17ROCPRIM_400000_NS6detail17trampoline_kernelINS0_14default_configENS1_27scan_by_key_config_selectorIj11FixedVectorIiLj1EEEEZZNS1_16scan_by_key_implILNS1_25lookback_scan_determinismE0ELb1ES3_N6thrust23THRUST_200600_302600_NS6detail15normal_iteratorINSB_10device_ptrIjEEEENSD_INSE_IS6_EEEESI_S6_NSB_4plusIvEENSB_8equal_toIvEES6_EE10hipError_tPvRmT2_T3_T4_T5_mT6_T7_P12ihipStream_tbENKUlT_T0_E_clISt17integral_constantIbLb0EES12_IbLb1EEEEDaSY_SZ_EUlSY_E_NS1_11comp_targetILNS1_3genE4ELNS1_11target_archE910ELNS1_3gpuE8ELNS1_3repE0EEENS1_30default_config_static_selectorELNS0_4arch9wavefront6targetE1EEEvT1_.kd
    .uniform_work_group_size: 1
    .uses_dynamic_stack: false
    .vgpr_count:     0
    .vgpr_spill_count: 0
    .wavefront_size: 64
  - .agpr_count:     0
    .args:
      - .offset:         0
        .size:           112
        .value_kind:     by_value
    .group_segment_fixed_size: 0
    .kernarg_segment_align: 8
    .kernarg_segment_size: 112
    .language:       OpenCL C
    .language_version:
      - 2
      - 0
    .max_flat_workgroup_size: 256
    .name:           _ZN7rocprim17ROCPRIM_400000_NS6detail17trampoline_kernelINS0_14default_configENS1_27scan_by_key_config_selectorIj11FixedVectorIiLj1EEEEZZNS1_16scan_by_key_implILNS1_25lookback_scan_determinismE0ELb1ES3_N6thrust23THRUST_200600_302600_NS6detail15normal_iteratorINSB_10device_ptrIjEEEENSD_INSE_IS6_EEEESI_S6_NSB_4plusIvEENSB_8equal_toIvEES6_EE10hipError_tPvRmT2_T3_T4_T5_mT6_T7_P12ihipStream_tbENKUlT_T0_E_clISt17integral_constantIbLb0EES12_IbLb1EEEEDaSY_SZ_EUlSY_E_NS1_11comp_targetILNS1_3genE3ELNS1_11target_archE908ELNS1_3gpuE7ELNS1_3repE0EEENS1_30default_config_static_selectorELNS0_4arch9wavefront6targetE1EEEvT1_
    .private_segment_fixed_size: 0
    .sgpr_count:     6
    .sgpr_spill_count: 0
    .symbol:         _ZN7rocprim17ROCPRIM_400000_NS6detail17trampoline_kernelINS0_14default_configENS1_27scan_by_key_config_selectorIj11FixedVectorIiLj1EEEEZZNS1_16scan_by_key_implILNS1_25lookback_scan_determinismE0ELb1ES3_N6thrust23THRUST_200600_302600_NS6detail15normal_iteratorINSB_10device_ptrIjEEEENSD_INSE_IS6_EEEESI_S6_NSB_4plusIvEENSB_8equal_toIvEES6_EE10hipError_tPvRmT2_T3_T4_T5_mT6_T7_P12ihipStream_tbENKUlT_T0_E_clISt17integral_constantIbLb0EES12_IbLb1EEEEDaSY_SZ_EUlSY_E_NS1_11comp_targetILNS1_3genE3ELNS1_11target_archE908ELNS1_3gpuE7ELNS1_3repE0EEENS1_30default_config_static_selectorELNS0_4arch9wavefront6targetE1EEEvT1_.kd
    .uniform_work_group_size: 1
    .uses_dynamic_stack: false
    .vgpr_count:     0
    .vgpr_spill_count: 0
    .wavefront_size: 64
  - .agpr_count:     0
    .args:
      - .offset:         0
        .size:           112
        .value_kind:     by_value
    .group_segment_fixed_size: 0
    .kernarg_segment_align: 8
    .kernarg_segment_size: 112
    .language:       OpenCL C
    .language_version:
      - 2
      - 0
    .max_flat_workgroup_size: 256
    .name:           _ZN7rocprim17ROCPRIM_400000_NS6detail17trampoline_kernelINS0_14default_configENS1_27scan_by_key_config_selectorIj11FixedVectorIiLj1EEEEZZNS1_16scan_by_key_implILNS1_25lookback_scan_determinismE0ELb1ES3_N6thrust23THRUST_200600_302600_NS6detail15normal_iteratorINSB_10device_ptrIjEEEENSD_INSE_IS6_EEEESI_S6_NSB_4plusIvEENSB_8equal_toIvEES6_EE10hipError_tPvRmT2_T3_T4_T5_mT6_T7_P12ihipStream_tbENKUlT_T0_E_clISt17integral_constantIbLb0EES12_IbLb1EEEEDaSY_SZ_EUlSY_E_NS1_11comp_targetILNS1_3genE2ELNS1_11target_archE906ELNS1_3gpuE6ELNS1_3repE0EEENS1_30default_config_static_selectorELNS0_4arch9wavefront6targetE1EEEvT1_
    .private_segment_fixed_size: 0
    .sgpr_count:     6
    .sgpr_spill_count: 0
    .symbol:         _ZN7rocprim17ROCPRIM_400000_NS6detail17trampoline_kernelINS0_14default_configENS1_27scan_by_key_config_selectorIj11FixedVectorIiLj1EEEEZZNS1_16scan_by_key_implILNS1_25lookback_scan_determinismE0ELb1ES3_N6thrust23THRUST_200600_302600_NS6detail15normal_iteratorINSB_10device_ptrIjEEEENSD_INSE_IS6_EEEESI_S6_NSB_4plusIvEENSB_8equal_toIvEES6_EE10hipError_tPvRmT2_T3_T4_T5_mT6_T7_P12ihipStream_tbENKUlT_T0_E_clISt17integral_constantIbLb0EES12_IbLb1EEEEDaSY_SZ_EUlSY_E_NS1_11comp_targetILNS1_3genE2ELNS1_11target_archE906ELNS1_3gpuE6ELNS1_3repE0EEENS1_30default_config_static_selectorELNS0_4arch9wavefront6targetE1EEEvT1_.kd
    .uniform_work_group_size: 1
    .uses_dynamic_stack: false
    .vgpr_count:     0
    .vgpr_spill_count: 0
    .wavefront_size: 64
  - .agpr_count:     0
    .args:
      - .offset:         0
        .size:           112
        .value_kind:     by_value
    .group_segment_fixed_size: 0
    .kernarg_segment_align: 8
    .kernarg_segment_size: 112
    .language:       OpenCL C
    .language_version:
      - 2
      - 0
    .max_flat_workgroup_size: 256
    .name:           _ZN7rocprim17ROCPRIM_400000_NS6detail17trampoline_kernelINS0_14default_configENS1_27scan_by_key_config_selectorIj11FixedVectorIiLj1EEEEZZNS1_16scan_by_key_implILNS1_25lookback_scan_determinismE0ELb1ES3_N6thrust23THRUST_200600_302600_NS6detail15normal_iteratorINSB_10device_ptrIjEEEENSD_INSE_IS6_EEEESI_S6_NSB_4plusIvEENSB_8equal_toIvEES6_EE10hipError_tPvRmT2_T3_T4_T5_mT6_T7_P12ihipStream_tbENKUlT_T0_E_clISt17integral_constantIbLb0EES12_IbLb1EEEEDaSY_SZ_EUlSY_E_NS1_11comp_targetILNS1_3genE10ELNS1_11target_archE1200ELNS1_3gpuE4ELNS1_3repE0EEENS1_30default_config_static_selectorELNS0_4arch9wavefront6targetE1EEEvT1_
    .private_segment_fixed_size: 0
    .sgpr_count:     6
    .sgpr_spill_count: 0
    .symbol:         _ZN7rocprim17ROCPRIM_400000_NS6detail17trampoline_kernelINS0_14default_configENS1_27scan_by_key_config_selectorIj11FixedVectorIiLj1EEEEZZNS1_16scan_by_key_implILNS1_25lookback_scan_determinismE0ELb1ES3_N6thrust23THRUST_200600_302600_NS6detail15normal_iteratorINSB_10device_ptrIjEEEENSD_INSE_IS6_EEEESI_S6_NSB_4plusIvEENSB_8equal_toIvEES6_EE10hipError_tPvRmT2_T3_T4_T5_mT6_T7_P12ihipStream_tbENKUlT_T0_E_clISt17integral_constantIbLb0EES12_IbLb1EEEEDaSY_SZ_EUlSY_E_NS1_11comp_targetILNS1_3genE10ELNS1_11target_archE1200ELNS1_3gpuE4ELNS1_3repE0EEENS1_30default_config_static_selectorELNS0_4arch9wavefront6targetE1EEEvT1_.kd
    .uniform_work_group_size: 1
    .uses_dynamic_stack: false
    .vgpr_count:     0
    .vgpr_spill_count: 0
    .wavefront_size: 64
  - .agpr_count:     0
    .args:
      - .offset:         0
        .size:           112
        .value_kind:     by_value
    .group_segment_fixed_size: 0
    .kernarg_segment_align: 8
    .kernarg_segment_size: 112
    .language:       OpenCL C
    .language_version:
      - 2
      - 0
    .max_flat_workgroup_size: 256
    .name:           _ZN7rocprim17ROCPRIM_400000_NS6detail17trampoline_kernelINS0_14default_configENS1_27scan_by_key_config_selectorIj11FixedVectorIiLj1EEEEZZNS1_16scan_by_key_implILNS1_25lookback_scan_determinismE0ELb1ES3_N6thrust23THRUST_200600_302600_NS6detail15normal_iteratorINSB_10device_ptrIjEEEENSD_INSE_IS6_EEEESI_S6_NSB_4plusIvEENSB_8equal_toIvEES6_EE10hipError_tPvRmT2_T3_T4_T5_mT6_T7_P12ihipStream_tbENKUlT_T0_E_clISt17integral_constantIbLb0EES12_IbLb1EEEEDaSY_SZ_EUlSY_E_NS1_11comp_targetILNS1_3genE9ELNS1_11target_archE1100ELNS1_3gpuE3ELNS1_3repE0EEENS1_30default_config_static_selectorELNS0_4arch9wavefront6targetE1EEEvT1_
    .private_segment_fixed_size: 0
    .sgpr_count:     6
    .sgpr_spill_count: 0
    .symbol:         _ZN7rocprim17ROCPRIM_400000_NS6detail17trampoline_kernelINS0_14default_configENS1_27scan_by_key_config_selectorIj11FixedVectorIiLj1EEEEZZNS1_16scan_by_key_implILNS1_25lookback_scan_determinismE0ELb1ES3_N6thrust23THRUST_200600_302600_NS6detail15normal_iteratorINSB_10device_ptrIjEEEENSD_INSE_IS6_EEEESI_S6_NSB_4plusIvEENSB_8equal_toIvEES6_EE10hipError_tPvRmT2_T3_T4_T5_mT6_T7_P12ihipStream_tbENKUlT_T0_E_clISt17integral_constantIbLb0EES12_IbLb1EEEEDaSY_SZ_EUlSY_E_NS1_11comp_targetILNS1_3genE9ELNS1_11target_archE1100ELNS1_3gpuE3ELNS1_3repE0EEENS1_30default_config_static_selectorELNS0_4arch9wavefront6targetE1EEEvT1_.kd
    .uniform_work_group_size: 1
    .uses_dynamic_stack: false
    .vgpr_count:     0
    .vgpr_spill_count: 0
    .wavefront_size: 64
  - .agpr_count:     0
    .args:
      - .offset:         0
        .size:           112
        .value_kind:     by_value
    .group_segment_fixed_size: 0
    .kernarg_segment_align: 8
    .kernarg_segment_size: 112
    .language:       OpenCL C
    .language_version:
      - 2
      - 0
    .max_flat_workgroup_size: 256
    .name:           _ZN7rocprim17ROCPRIM_400000_NS6detail17trampoline_kernelINS0_14default_configENS1_27scan_by_key_config_selectorIj11FixedVectorIiLj1EEEEZZNS1_16scan_by_key_implILNS1_25lookback_scan_determinismE0ELb1ES3_N6thrust23THRUST_200600_302600_NS6detail15normal_iteratorINSB_10device_ptrIjEEEENSD_INSE_IS6_EEEESI_S6_NSB_4plusIvEENSB_8equal_toIvEES6_EE10hipError_tPvRmT2_T3_T4_T5_mT6_T7_P12ihipStream_tbENKUlT_T0_E_clISt17integral_constantIbLb0EES12_IbLb1EEEEDaSY_SZ_EUlSY_E_NS1_11comp_targetILNS1_3genE8ELNS1_11target_archE1030ELNS1_3gpuE2ELNS1_3repE0EEENS1_30default_config_static_selectorELNS0_4arch9wavefront6targetE1EEEvT1_
    .private_segment_fixed_size: 0
    .sgpr_count:     6
    .sgpr_spill_count: 0
    .symbol:         _ZN7rocprim17ROCPRIM_400000_NS6detail17trampoline_kernelINS0_14default_configENS1_27scan_by_key_config_selectorIj11FixedVectorIiLj1EEEEZZNS1_16scan_by_key_implILNS1_25lookback_scan_determinismE0ELb1ES3_N6thrust23THRUST_200600_302600_NS6detail15normal_iteratorINSB_10device_ptrIjEEEENSD_INSE_IS6_EEEESI_S6_NSB_4plusIvEENSB_8equal_toIvEES6_EE10hipError_tPvRmT2_T3_T4_T5_mT6_T7_P12ihipStream_tbENKUlT_T0_E_clISt17integral_constantIbLb0EES12_IbLb1EEEEDaSY_SZ_EUlSY_E_NS1_11comp_targetILNS1_3genE8ELNS1_11target_archE1030ELNS1_3gpuE2ELNS1_3repE0EEENS1_30default_config_static_selectorELNS0_4arch9wavefront6targetE1EEEvT1_.kd
    .uniform_work_group_size: 1
    .uses_dynamic_stack: false
    .vgpr_count:     0
    .vgpr_spill_count: 0
    .wavefront_size: 64
  - .agpr_count:     0
    .args:
      - .offset:         0
        .size:           16
        .value_kind:     by_value
      - .offset:         16
        .size:           8
        .value_kind:     by_value
      - .offset:         24
        .size:           8
        .value_kind:     by_value
    .group_segment_fixed_size: 0
    .kernarg_segment_align: 8
    .kernarg_segment_size: 32
    .language:       OpenCL C
    .language_version:
      - 2
      - 0
    .max_flat_workgroup_size: 256
    .name:           _ZN6thrust23THRUST_200600_302600_NS11hip_rocprim14__parallel_for6kernelILj256ENS1_10for_each_fINS0_10device_ptrI11FixedVectorIiLj2EEEENS0_6detail16wrapped_functionINS9_23allocator_traits_detail5gozerEvEEEElLj1EEEvT0_T1_SG_
    .private_segment_fixed_size: 0
    .sgpr_count:     6
    .sgpr_spill_count: 0
    .symbol:         _ZN6thrust23THRUST_200600_302600_NS11hip_rocprim14__parallel_for6kernelILj256ENS1_10for_each_fINS0_10device_ptrI11FixedVectorIiLj2EEEENS0_6detail16wrapped_functionINS9_23allocator_traits_detail5gozerEvEEEElLj1EEEvT0_T1_SG_.kd
    .uniform_work_group_size: 1
    .uses_dynamic_stack: false
    .vgpr_count:     0
    .vgpr_spill_count: 0
    .wavefront_size: 64
  - .agpr_count:     0
    .args:
      - .offset:         0
        .size:           16
        .value_kind:     by_value
      - .offset:         16
        .size:           8
        .value_kind:     by_value
      - .offset:         24
        .size:           8
        .value_kind:     by_value
    .group_segment_fixed_size: 0
    .kernarg_segment_align: 8
    .kernarg_segment_size: 32
    .language:       OpenCL C
    .language_version:
      - 2
      - 0
    .max_flat_workgroup_size: 256
    .name:           _ZN6thrust23THRUST_200600_302600_NS11hip_rocprim14__parallel_for6kernelILj256ENS1_10for_each_fINS0_10device_ptrI11FixedVectorIiLj2EEEENS0_6detail16wrapped_functionINS9_23allocator_traits_detail24construct1_via_allocatorINS0_16device_allocatorIS7_EEEEvEEEEmLj1EEEvT0_T1_SJ_
    .private_segment_fixed_size: 0
    .sgpr_count:     18
    .sgpr_spill_count: 0
    .symbol:         _ZN6thrust23THRUST_200600_302600_NS11hip_rocprim14__parallel_for6kernelILj256ENS1_10for_each_fINS0_10device_ptrI11FixedVectorIiLj2EEEENS0_6detail16wrapped_functionINS9_23allocator_traits_detail24construct1_via_allocatorINS0_16device_allocatorIS7_EEEEvEEEEmLj1EEEvT0_T1_SJ_.kd
    .uniform_work_group_size: 1
    .uses_dynamic_stack: false
    .vgpr_count:     4
    .vgpr_spill_count: 0
    .wavefront_size: 64
  - .agpr_count:     0
    .args:
      - .address_space:  global
        .offset:         0
        .size:           8
        .value_kind:     global_buffer
      - .offset:         8
        .size:           4
        .value_kind:     by_value
      - .offset:         12
        .size:           4
        .value_kind:     by_value
      - .address_space:  global
        .offset:         16
        .size:           8
        .value_kind:     global_buffer
      - .address_space:  global
        .offset:         24
        .size:           8
        .value_kind:     global_buffer
      - .actual_access:  write_only
        .address_space:  global
        .offset:         32
        .size:           8
        .value_kind:     global_buffer
      - .offset:         40
        .size:           8
        .value_kind:     by_value
      - .offset:         48
        .size:           4
        .value_kind:     by_value
      - .offset:         52
        .size:           1
        .value_kind:     by_value
      - .offset:         56
        .size:           4
        .value_kind:     hidden_block_count_x
      - .offset:         60
        .size:           4
        .value_kind:     hidden_block_count_y
      - .offset:         64
        .size:           4
        .value_kind:     hidden_block_count_z
      - .offset:         68
        .size:           2
        .value_kind:     hidden_group_size_x
      - .offset:         70
        .size:           2
        .value_kind:     hidden_group_size_y
      - .offset:         72
        .size:           2
        .value_kind:     hidden_group_size_z
      - .offset:         74
        .size:           2
        .value_kind:     hidden_remainder_x
      - .offset:         76
        .size:           2
        .value_kind:     hidden_remainder_y
      - .offset:         78
        .size:           2
        .value_kind:     hidden_remainder_z
      - .offset:         96
        .size:           8
        .value_kind:     hidden_global_offset_x
      - .offset:         104
        .size:           8
        .value_kind:     hidden_global_offset_y
      - .offset:         112
        .size:           8
        .value_kind:     hidden_global_offset_z
      - .offset:         120
        .size:           2
        .value_kind:     hidden_grid_dims
    .group_segment_fixed_size: 0
    .kernarg_segment_align: 8
    .kernarg_segment_size: 312
    .language:       OpenCL C
    .language_version:
      - 2
      - 0
    .max_flat_workgroup_size: 256
    .name:           _ZN7rocprim17ROCPRIM_400000_NS6detail30init_device_scan_by_key_kernelINS1_19lookback_scan_stateINS0_5tupleIJ11FixedVectorIiLj2EEbEEELb0ELb1EEEN6thrust23THRUST_200600_302600_NS6detail15normal_iteratorINSA_10device_ptrIjEEEEjNS1_16block_id_wrapperIjLb0EEEEEvT_jjPNSI_10value_typeET0_PNSt15iterator_traitsISL_E10value_typeEmT1_T2_
    .private_segment_fixed_size: 0
    .sgpr_count:     26
    .sgpr_spill_count: 0
    .symbol:         _ZN7rocprim17ROCPRIM_400000_NS6detail30init_device_scan_by_key_kernelINS1_19lookback_scan_stateINS0_5tupleIJ11FixedVectorIiLj2EEbEEELb0ELb1EEEN6thrust23THRUST_200600_302600_NS6detail15normal_iteratorINSA_10device_ptrIjEEEEjNS1_16block_id_wrapperIjLb0EEEEEvT_jjPNSI_10value_typeET0_PNSt15iterator_traitsISL_E10value_typeEmT1_T2_.kd
    .uniform_work_group_size: 1
    .uses_dynamic_stack: false
    .vgpr_count:     22
    .vgpr_spill_count: 0
    .wavefront_size: 64
  - .agpr_count:     0
    .args:
      - .address_space:  global
        .offset:         0
        .size:           8
        .value_kind:     global_buffer
      - .offset:         8
        .size:           4
        .value_kind:     by_value
      - .offset:         12
        .size:           4
        .value_kind:     by_value
      - .address_space:  global
        .offset:         16
        .size:           8
        .value_kind:     global_buffer
      - .offset:         24
        .size:           1
        .value_kind:     by_value
      - .offset:         32
        .size:           4
        .value_kind:     hidden_block_count_x
      - .offset:         36
        .size:           4
        .value_kind:     hidden_block_count_y
      - .offset:         40
        .size:           4
        .value_kind:     hidden_block_count_z
      - .offset:         44
        .size:           2
        .value_kind:     hidden_group_size_x
      - .offset:         46
        .size:           2
        .value_kind:     hidden_group_size_y
      - .offset:         48
        .size:           2
        .value_kind:     hidden_group_size_z
      - .offset:         50
        .size:           2
        .value_kind:     hidden_remainder_x
      - .offset:         52
        .size:           2
        .value_kind:     hidden_remainder_y
      - .offset:         54
        .size:           2
        .value_kind:     hidden_remainder_z
      - .offset:         72
        .size:           8
        .value_kind:     hidden_global_offset_x
      - .offset:         80
        .size:           8
        .value_kind:     hidden_global_offset_y
      - .offset:         88
        .size:           8
        .value_kind:     hidden_global_offset_z
      - .offset:         96
        .size:           2
        .value_kind:     hidden_grid_dims
    .group_segment_fixed_size: 0
    .kernarg_segment_align: 8
    .kernarg_segment_size: 288
    .language:       OpenCL C
    .language_version:
      - 2
      - 0
    .max_flat_workgroup_size: 256
    .name:           _ZN7rocprim17ROCPRIM_400000_NS6detail30init_device_scan_by_key_kernelINS1_19lookback_scan_stateINS0_5tupleIJ11FixedVectorIiLj2EEbEEELb0ELb1EEENS1_16block_id_wrapperIjLb0EEEEEvT_jjPNSB_10value_typeET0_
    .private_segment_fixed_size: 0
    .sgpr_count:     20
    .sgpr_spill_count: 0
    .symbol:         _ZN7rocprim17ROCPRIM_400000_NS6detail30init_device_scan_by_key_kernelINS1_19lookback_scan_stateINS0_5tupleIJ11FixedVectorIiLj2EEbEEELb0ELb1EEENS1_16block_id_wrapperIjLb0EEEEEvT_jjPNSB_10value_typeET0_.kd
    .uniform_work_group_size: 1
    .uses_dynamic_stack: false
    .vgpr_count:     22
    .vgpr_spill_count: 0
    .wavefront_size: 64
  - .agpr_count:     0
    .args:
      - .offset:         0
        .size:           120
        .value_kind:     by_value
    .group_segment_fixed_size: 0
    .kernarg_segment_align: 8
    .kernarg_segment_size: 120
    .language:       OpenCL C
    .language_version:
      - 2
      - 0
    .max_flat_workgroup_size: 128
    .name:           _ZN7rocprim17ROCPRIM_400000_NS6detail17trampoline_kernelINS0_14default_configENS1_27scan_by_key_config_selectorIj11FixedVectorIiLj2EEEEZZNS1_16scan_by_key_implILNS1_25lookback_scan_determinismE0ELb0ES3_N6thrust23THRUST_200600_302600_NS6detail15normal_iteratorINSB_10device_ptrIjEEEENSD_INSE_IS6_EEEESI_S6_NSB_4plusIvEENSB_8equal_toIvEES6_EE10hipError_tPvRmT2_T3_T4_T5_mT6_T7_P12ihipStream_tbENKUlT_T0_E_clISt17integral_constantIbLb0EES13_EEDaSY_SZ_EUlSY_E_NS1_11comp_targetILNS1_3genE0ELNS1_11target_archE4294967295ELNS1_3gpuE0ELNS1_3repE0EEENS1_30default_config_static_selectorELNS0_4arch9wavefront6targetE1EEEvT1_
    .private_segment_fixed_size: 0
    .sgpr_count:     6
    .sgpr_spill_count: 0
    .symbol:         _ZN7rocprim17ROCPRIM_400000_NS6detail17trampoline_kernelINS0_14default_configENS1_27scan_by_key_config_selectorIj11FixedVectorIiLj2EEEEZZNS1_16scan_by_key_implILNS1_25lookback_scan_determinismE0ELb0ES3_N6thrust23THRUST_200600_302600_NS6detail15normal_iteratorINSB_10device_ptrIjEEEENSD_INSE_IS6_EEEESI_S6_NSB_4plusIvEENSB_8equal_toIvEES6_EE10hipError_tPvRmT2_T3_T4_T5_mT6_T7_P12ihipStream_tbENKUlT_T0_E_clISt17integral_constantIbLb0EES13_EEDaSY_SZ_EUlSY_E_NS1_11comp_targetILNS1_3genE0ELNS1_11target_archE4294967295ELNS1_3gpuE0ELNS1_3repE0EEENS1_30default_config_static_selectorELNS0_4arch9wavefront6targetE1EEEvT1_.kd
    .uniform_work_group_size: 1
    .uses_dynamic_stack: false
    .vgpr_count:     0
    .vgpr_spill_count: 0
    .wavefront_size: 64
  - .agpr_count:     0
    .args:
      - .offset:         0
        .size:           120
        .value_kind:     by_value
    .group_segment_fixed_size: 0
    .kernarg_segment_align: 8
    .kernarg_segment_size: 120
    .language:       OpenCL C
    .language_version:
      - 2
      - 0
    .max_flat_workgroup_size: 256
    .name:           _ZN7rocprim17ROCPRIM_400000_NS6detail17trampoline_kernelINS0_14default_configENS1_27scan_by_key_config_selectorIj11FixedVectorIiLj2EEEEZZNS1_16scan_by_key_implILNS1_25lookback_scan_determinismE0ELb0ES3_N6thrust23THRUST_200600_302600_NS6detail15normal_iteratorINSB_10device_ptrIjEEEENSD_INSE_IS6_EEEESI_S6_NSB_4plusIvEENSB_8equal_toIvEES6_EE10hipError_tPvRmT2_T3_T4_T5_mT6_T7_P12ihipStream_tbENKUlT_T0_E_clISt17integral_constantIbLb0EES13_EEDaSY_SZ_EUlSY_E_NS1_11comp_targetILNS1_3genE10ELNS1_11target_archE1201ELNS1_3gpuE5ELNS1_3repE0EEENS1_30default_config_static_selectorELNS0_4arch9wavefront6targetE1EEEvT1_
    .private_segment_fixed_size: 0
    .sgpr_count:     6
    .sgpr_spill_count: 0
    .symbol:         _ZN7rocprim17ROCPRIM_400000_NS6detail17trampoline_kernelINS0_14default_configENS1_27scan_by_key_config_selectorIj11FixedVectorIiLj2EEEEZZNS1_16scan_by_key_implILNS1_25lookback_scan_determinismE0ELb0ES3_N6thrust23THRUST_200600_302600_NS6detail15normal_iteratorINSB_10device_ptrIjEEEENSD_INSE_IS6_EEEESI_S6_NSB_4plusIvEENSB_8equal_toIvEES6_EE10hipError_tPvRmT2_T3_T4_T5_mT6_T7_P12ihipStream_tbENKUlT_T0_E_clISt17integral_constantIbLb0EES13_EEDaSY_SZ_EUlSY_E_NS1_11comp_targetILNS1_3genE10ELNS1_11target_archE1201ELNS1_3gpuE5ELNS1_3repE0EEENS1_30default_config_static_selectorELNS0_4arch9wavefront6targetE1EEEvT1_.kd
    .uniform_work_group_size: 1
    .uses_dynamic_stack: false
    .vgpr_count:     0
    .vgpr_spill_count: 0
    .wavefront_size: 64
  - .agpr_count:     0
    .args:
      - .offset:         0
        .size:           120
        .value_kind:     by_value
    .group_segment_fixed_size: 43008
    .kernarg_segment_align: 8
    .kernarg_segment_size: 120
    .language:       OpenCL C
    .language_version:
      - 2
      - 0
    .max_flat_workgroup_size: 256
    .name:           _ZN7rocprim17ROCPRIM_400000_NS6detail17trampoline_kernelINS0_14default_configENS1_27scan_by_key_config_selectorIj11FixedVectorIiLj2EEEEZZNS1_16scan_by_key_implILNS1_25lookback_scan_determinismE0ELb0ES3_N6thrust23THRUST_200600_302600_NS6detail15normal_iteratorINSB_10device_ptrIjEEEENSD_INSE_IS6_EEEESI_S6_NSB_4plusIvEENSB_8equal_toIvEES6_EE10hipError_tPvRmT2_T3_T4_T5_mT6_T7_P12ihipStream_tbENKUlT_T0_E_clISt17integral_constantIbLb0EES13_EEDaSY_SZ_EUlSY_E_NS1_11comp_targetILNS1_3genE5ELNS1_11target_archE942ELNS1_3gpuE9ELNS1_3repE0EEENS1_30default_config_static_selectorELNS0_4arch9wavefront6targetE1EEEvT1_
    .private_segment_fixed_size: 0
    .sgpr_count:     106
    .sgpr_spill_count: 2
    .symbol:         _ZN7rocprim17ROCPRIM_400000_NS6detail17trampoline_kernelINS0_14default_configENS1_27scan_by_key_config_selectorIj11FixedVectorIiLj2EEEEZZNS1_16scan_by_key_implILNS1_25lookback_scan_determinismE0ELb0ES3_N6thrust23THRUST_200600_302600_NS6detail15normal_iteratorINSB_10device_ptrIjEEEENSD_INSE_IS6_EEEESI_S6_NSB_4plusIvEENSB_8equal_toIvEES6_EE10hipError_tPvRmT2_T3_T4_T5_mT6_T7_P12ihipStream_tbENKUlT_T0_E_clISt17integral_constantIbLb0EES13_EEDaSY_SZ_EUlSY_E_NS1_11comp_targetILNS1_3genE5ELNS1_11target_archE942ELNS1_3gpuE9ELNS1_3repE0EEENS1_30default_config_static_selectorELNS0_4arch9wavefront6targetE1EEEvT1_.kd
    .uniform_work_group_size: 1
    .uses_dynamic_stack: false
    .vgpr_count:     137
    .vgpr_spill_count: 0
    .wavefront_size: 64
  - .agpr_count:     0
    .args:
      - .offset:         0
        .size:           120
        .value_kind:     by_value
    .group_segment_fixed_size: 0
    .kernarg_segment_align: 8
    .kernarg_segment_size: 120
    .language:       OpenCL C
    .language_version:
      - 2
      - 0
    .max_flat_workgroup_size: 64
    .name:           _ZN7rocprim17ROCPRIM_400000_NS6detail17trampoline_kernelINS0_14default_configENS1_27scan_by_key_config_selectorIj11FixedVectorIiLj2EEEEZZNS1_16scan_by_key_implILNS1_25lookback_scan_determinismE0ELb0ES3_N6thrust23THRUST_200600_302600_NS6detail15normal_iteratorINSB_10device_ptrIjEEEENSD_INSE_IS6_EEEESI_S6_NSB_4plusIvEENSB_8equal_toIvEES6_EE10hipError_tPvRmT2_T3_T4_T5_mT6_T7_P12ihipStream_tbENKUlT_T0_E_clISt17integral_constantIbLb0EES13_EEDaSY_SZ_EUlSY_E_NS1_11comp_targetILNS1_3genE4ELNS1_11target_archE910ELNS1_3gpuE8ELNS1_3repE0EEENS1_30default_config_static_selectorELNS0_4arch9wavefront6targetE1EEEvT1_
    .private_segment_fixed_size: 0
    .sgpr_count:     6
    .sgpr_spill_count: 0
    .symbol:         _ZN7rocprim17ROCPRIM_400000_NS6detail17trampoline_kernelINS0_14default_configENS1_27scan_by_key_config_selectorIj11FixedVectorIiLj2EEEEZZNS1_16scan_by_key_implILNS1_25lookback_scan_determinismE0ELb0ES3_N6thrust23THRUST_200600_302600_NS6detail15normal_iteratorINSB_10device_ptrIjEEEENSD_INSE_IS6_EEEESI_S6_NSB_4plusIvEENSB_8equal_toIvEES6_EE10hipError_tPvRmT2_T3_T4_T5_mT6_T7_P12ihipStream_tbENKUlT_T0_E_clISt17integral_constantIbLb0EES13_EEDaSY_SZ_EUlSY_E_NS1_11comp_targetILNS1_3genE4ELNS1_11target_archE910ELNS1_3gpuE8ELNS1_3repE0EEENS1_30default_config_static_selectorELNS0_4arch9wavefront6targetE1EEEvT1_.kd
    .uniform_work_group_size: 1
    .uses_dynamic_stack: false
    .vgpr_count:     0
    .vgpr_spill_count: 0
    .wavefront_size: 64
  - .agpr_count:     0
    .args:
      - .offset:         0
        .size:           120
        .value_kind:     by_value
    .group_segment_fixed_size: 0
    .kernarg_segment_align: 8
    .kernarg_segment_size: 120
    .language:       OpenCL C
    .language_version:
      - 2
      - 0
    .max_flat_workgroup_size: 128
    .name:           _ZN7rocprim17ROCPRIM_400000_NS6detail17trampoline_kernelINS0_14default_configENS1_27scan_by_key_config_selectorIj11FixedVectorIiLj2EEEEZZNS1_16scan_by_key_implILNS1_25lookback_scan_determinismE0ELb0ES3_N6thrust23THRUST_200600_302600_NS6detail15normal_iteratorINSB_10device_ptrIjEEEENSD_INSE_IS6_EEEESI_S6_NSB_4plusIvEENSB_8equal_toIvEES6_EE10hipError_tPvRmT2_T3_T4_T5_mT6_T7_P12ihipStream_tbENKUlT_T0_E_clISt17integral_constantIbLb0EES13_EEDaSY_SZ_EUlSY_E_NS1_11comp_targetILNS1_3genE3ELNS1_11target_archE908ELNS1_3gpuE7ELNS1_3repE0EEENS1_30default_config_static_selectorELNS0_4arch9wavefront6targetE1EEEvT1_
    .private_segment_fixed_size: 0
    .sgpr_count:     6
    .sgpr_spill_count: 0
    .symbol:         _ZN7rocprim17ROCPRIM_400000_NS6detail17trampoline_kernelINS0_14default_configENS1_27scan_by_key_config_selectorIj11FixedVectorIiLj2EEEEZZNS1_16scan_by_key_implILNS1_25lookback_scan_determinismE0ELb0ES3_N6thrust23THRUST_200600_302600_NS6detail15normal_iteratorINSB_10device_ptrIjEEEENSD_INSE_IS6_EEEESI_S6_NSB_4plusIvEENSB_8equal_toIvEES6_EE10hipError_tPvRmT2_T3_T4_T5_mT6_T7_P12ihipStream_tbENKUlT_T0_E_clISt17integral_constantIbLb0EES13_EEDaSY_SZ_EUlSY_E_NS1_11comp_targetILNS1_3genE3ELNS1_11target_archE908ELNS1_3gpuE7ELNS1_3repE0EEENS1_30default_config_static_selectorELNS0_4arch9wavefront6targetE1EEEvT1_.kd
    .uniform_work_group_size: 1
    .uses_dynamic_stack: false
    .vgpr_count:     0
    .vgpr_spill_count: 0
    .wavefront_size: 64
  - .agpr_count:     0
    .args:
      - .offset:         0
        .size:           120
        .value_kind:     by_value
    .group_segment_fixed_size: 0
    .kernarg_segment_align: 8
    .kernarg_segment_size: 120
    .language:       OpenCL C
    .language_version:
      - 2
      - 0
    .max_flat_workgroup_size: 64
    .name:           _ZN7rocprim17ROCPRIM_400000_NS6detail17trampoline_kernelINS0_14default_configENS1_27scan_by_key_config_selectorIj11FixedVectorIiLj2EEEEZZNS1_16scan_by_key_implILNS1_25lookback_scan_determinismE0ELb0ES3_N6thrust23THRUST_200600_302600_NS6detail15normal_iteratorINSB_10device_ptrIjEEEENSD_INSE_IS6_EEEESI_S6_NSB_4plusIvEENSB_8equal_toIvEES6_EE10hipError_tPvRmT2_T3_T4_T5_mT6_T7_P12ihipStream_tbENKUlT_T0_E_clISt17integral_constantIbLb0EES13_EEDaSY_SZ_EUlSY_E_NS1_11comp_targetILNS1_3genE2ELNS1_11target_archE906ELNS1_3gpuE6ELNS1_3repE0EEENS1_30default_config_static_selectorELNS0_4arch9wavefront6targetE1EEEvT1_
    .private_segment_fixed_size: 0
    .sgpr_count:     6
    .sgpr_spill_count: 0
    .symbol:         _ZN7rocprim17ROCPRIM_400000_NS6detail17trampoline_kernelINS0_14default_configENS1_27scan_by_key_config_selectorIj11FixedVectorIiLj2EEEEZZNS1_16scan_by_key_implILNS1_25lookback_scan_determinismE0ELb0ES3_N6thrust23THRUST_200600_302600_NS6detail15normal_iteratorINSB_10device_ptrIjEEEENSD_INSE_IS6_EEEESI_S6_NSB_4plusIvEENSB_8equal_toIvEES6_EE10hipError_tPvRmT2_T3_T4_T5_mT6_T7_P12ihipStream_tbENKUlT_T0_E_clISt17integral_constantIbLb0EES13_EEDaSY_SZ_EUlSY_E_NS1_11comp_targetILNS1_3genE2ELNS1_11target_archE906ELNS1_3gpuE6ELNS1_3repE0EEENS1_30default_config_static_selectorELNS0_4arch9wavefront6targetE1EEEvT1_.kd
    .uniform_work_group_size: 1
    .uses_dynamic_stack: false
    .vgpr_count:     0
    .vgpr_spill_count: 0
    .wavefront_size: 64
  - .agpr_count:     0
    .args:
      - .offset:         0
        .size:           120
        .value_kind:     by_value
    .group_segment_fixed_size: 0
    .kernarg_segment_align: 8
    .kernarg_segment_size: 120
    .language:       OpenCL C
    .language_version:
      - 2
      - 0
    .max_flat_workgroup_size: 256
    .name:           _ZN7rocprim17ROCPRIM_400000_NS6detail17trampoline_kernelINS0_14default_configENS1_27scan_by_key_config_selectorIj11FixedVectorIiLj2EEEEZZNS1_16scan_by_key_implILNS1_25lookback_scan_determinismE0ELb0ES3_N6thrust23THRUST_200600_302600_NS6detail15normal_iteratorINSB_10device_ptrIjEEEENSD_INSE_IS6_EEEESI_S6_NSB_4plusIvEENSB_8equal_toIvEES6_EE10hipError_tPvRmT2_T3_T4_T5_mT6_T7_P12ihipStream_tbENKUlT_T0_E_clISt17integral_constantIbLb0EES13_EEDaSY_SZ_EUlSY_E_NS1_11comp_targetILNS1_3genE10ELNS1_11target_archE1200ELNS1_3gpuE4ELNS1_3repE0EEENS1_30default_config_static_selectorELNS0_4arch9wavefront6targetE1EEEvT1_
    .private_segment_fixed_size: 0
    .sgpr_count:     6
    .sgpr_spill_count: 0
    .symbol:         _ZN7rocprim17ROCPRIM_400000_NS6detail17trampoline_kernelINS0_14default_configENS1_27scan_by_key_config_selectorIj11FixedVectorIiLj2EEEEZZNS1_16scan_by_key_implILNS1_25lookback_scan_determinismE0ELb0ES3_N6thrust23THRUST_200600_302600_NS6detail15normal_iteratorINSB_10device_ptrIjEEEENSD_INSE_IS6_EEEESI_S6_NSB_4plusIvEENSB_8equal_toIvEES6_EE10hipError_tPvRmT2_T3_T4_T5_mT6_T7_P12ihipStream_tbENKUlT_T0_E_clISt17integral_constantIbLb0EES13_EEDaSY_SZ_EUlSY_E_NS1_11comp_targetILNS1_3genE10ELNS1_11target_archE1200ELNS1_3gpuE4ELNS1_3repE0EEENS1_30default_config_static_selectorELNS0_4arch9wavefront6targetE1EEEvT1_.kd
    .uniform_work_group_size: 1
    .uses_dynamic_stack: false
    .vgpr_count:     0
    .vgpr_spill_count: 0
    .wavefront_size: 64
  - .agpr_count:     0
    .args:
      - .offset:         0
        .size:           120
        .value_kind:     by_value
    .group_segment_fixed_size: 0
    .kernarg_segment_align: 8
    .kernarg_segment_size: 120
    .language:       OpenCL C
    .language_version:
      - 2
      - 0
    .max_flat_workgroup_size: 256
    .name:           _ZN7rocprim17ROCPRIM_400000_NS6detail17trampoline_kernelINS0_14default_configENS1_27scan_by_key_config_selectorIj11FixedVectorIiLj2EEEEZZNS1_16scan_by_key_implILNS1_25lookback_scan_determinismE0ELb0ES3_N6thrust23THRUST_200600_302600_NS6detail15normal_iteratorINSB_10device_ptrIjEEEENSD_INSE_IS6_EEEESI_S6_NSB_4plusIvEENSB_8equal_toIvEES6_EE10hipError_tPvRmT2_T3_T4_T5_mT6_T7_P12ihipStream_tbENKUlT_T0_E_clISt17integral_constantIbLb0EES13_EEDaSY_SZ_EUlSY_E_NS1_11comp_targetILNS1_3genE9ELNS1_11target_archE1100ELNS1_3gpuE3ELNS1_3repE0EEENS1_30default_config_static_selectorELNS0_4arch9wavefront6targetE1EEEvT1_
    .private_segment_fixed_size: 0
    .sgpr_count:     6
    .sgpr_spill_count: 0
    .symbol:         _ZN7rocprim17ROCPRIM_400000_NS6detail17trampoline_kernelINS0_14default_configENS1_27scan_by_key_config_selectorIj11FixedVectorIiLj2EEEEZZNS1_16scan_by_key_implILNS1_25lookback_scan_determinismE0ELb0ES3_N6thrust23THRUST_200600_302600_NS6detail15normal_iteratorINSB_10device_ptrIjEEEENSD_INSE_IS6_EEEESI_S6_NSB_4plusIvEENSB_8equal_toIvEES6_EE10hipError_tPvRmT2_T3_T4_T5_mT6_T7_P12ihipStream_tbENKUlT_T0_E_clISt17integral_constantIbLb0EES13_EEDaSY_SZ_EUlSY_E_NS1_11comp_targetILNS1_3genE9ELNS1_11target_archE1100ELNS1_3gpuE3ELNS1_3repE0EEENS1_30default_config_static_selectorELNS0_4arch9wavefront6targetE1EEEvT1_.kd
    .uniform_work_group_size: 1
    .uses_dynamic_stack: false
    .vgpr_count:     0
    .vgpr_spill_count: 0
    .wavefront_size: 64
  - .agpr_count:     0
    .args:
      - .offset:         0
        .size:           120
        .value_kind:     by_value
    .group_segment_fixed_size: 0
    .kernarg_segment_align: 8
    .kernarg_segment_size: 120
    .language:       OpenCL C
    .language_version:
      - 2
      - 0
    .max_flat_workgroup_size: 256
    .name:           _ZN7rocprim17ROCPRIM_400000_NS6detail17trampoline_kernelINS0_14default_configENS1_27scan_by_key_config_selectorIj11FixedVectorIiLj2EEEEZZNS1_16scan_by_key_implILNS1_25lookback_scan_determinismE0ELb0ES3_N6thrust23THRUST_200600_302600_NS6detail15normal_iteratorINSB_10device_ptrIjEEEENSD_INSE_IS6_EEEESI_S6_NSB_4plusIvEENSB_8equal_toIvEES6_EE10hipError_tPvRmT2_T3_T4_T5_mT6_T7_P12ihipStream_tbENKUlT_T0_E_clISt17integral_constantIbLb0EES13_EEDaSY_SZ_EUlSY_E_NS1_11comp_targetILNS1_3genE8ELNS1_11target_archE1030ELNS1_3gpuE2ELNS1_3repE0EEENS1_30default_config_static_selectorELNS0_4arch9wavefront6targetE1EEEvT1_
    .private_segment_fixed_size: 0
    .sgpr_count:     6
    .sgpr_spill_count: 0
    .symbol:         _ZN7rocprim17ROCPRIM_400000_NS6detail17trampoline_kernelINS0_14default_configENS1_27scan_by_key_config_selectorIj11FixedVectorIiLj2EEEEZZNS1_16scan_by_key_implILNS1_25lookback_scan_determinismE0ELb0ES3_N6thrust23THRUST_200600_302600_NS6detail15normal_iteratorINSB_10device_ptrIjEEEENSD_INSE_IS6_EEEESI_S6_NSB_4plusIvEENSB_8equal_toIvEES6_EE10hipError_tPvRmT2_T3_T4_T5_mT6_T7_P12ihipStream_tbENKUlT_T0_E_clISt17integral_constantIbLb0EES13_EEDaSY_SZ_EUlSY_E_NS1_11comp_targetILNS1_3genE8ELNS1_11target_archE1030ELNS1_3gpuE2ELNS1_3repE0EEENS1_30default_config_static_selectorELNS0_4arch9wavefront6targetE1EEEvT1_.kd
    .uniform_work_group_size: 1
    .uses_dynamic_stack: false
    .vgpr_count:     0
    .vgpr_spill_count: 0
    .wavefront_size: 64
  - .agpr_count:     0
    .args:
      - .address_space:  global
        .offset:         0
        .size:           8
        .value_kind:     global_buffer
      - .offset:         8
        .size:           4
        .value_kind:     by_value
      - .offset:         12
        .size:           4
        .value_kind:     by_value
      - .address_space:  global
        .offset:         16
        .size:           8
        .value_kind:     global_buffer
      - .address_space:  global
        .offset:         24
        .size:           8
        .value_kind:     global_buffer
      - .actual_access:  write_only
        .address_space:  global
        .offset:         32
        .size:           8
        .value_kind:     global_buffer
      - .offset:         40
        .size:           8
        .value_kind:     by_value
      - .offset:         48
        .size:           4
        .value_kind:     by_value
      - .address_space:  global
        .offset:         56
        .size:           8
        .value_kind:     global_buffer
      - .offset:         64
        .size:           4
        .value_kind:     hidden_block_count_x
      - .offset:         68
        .size:           4
        .value_kind:     hidden_block_count_y
      - .offset:         72
        .size:           4
        .value_kind:     hidden_block_count_z
      - .offset:         76
        .size:           2
        .value_kind:     hidden_group_size_x
      - .offset:         78
        .size:           2
        .value_kind:     hidden_group_size_y
      - .offset:         80
        .size:           2
        .value_kind:     hidden_group_size_z
      - .offset:         82
        .size:           2
        .value_kind:     hidden_remainder_x
      - .offset:         84
        .size:           2
        .value_kind:     hidden_remainder_y
      - .offset:         86
        .size:           2
        .value_kind:     hidden_remainder_z
      - .offset:         104
        .size:           8
        .value_kind:     hidden_global_offset_x
      - .offset:         112
        .size:           8
        .value_kind:     hidden_global_offset_y
      - .offset:         120
        .size:           8
        .value_kind:     hidden_global_offset_z
      - .offset:         128
        .size:           2
        .value_kind:     hidden_grid_dims
    .group_segment_fixed_size: 0
    .kernarg_segment_align: 8
    .kernarg_segment_size: 320
    .language:       OpenCL C
    .language_version:
      - 2
      - 0
    .max_flat_workgroup_size: 256
    .name:           _ZN7rocprim17ROCPRIM_400000_NS6detail30init_device_scan_by_key_kernelINS1_19lookback_scan_stateINS0_5tupleIJ11FixedVectorIiLj2EEbEEELb1ELb1EEEN6thrust23THRUST_200600_302600_NS6detail15normal_iteratorINSA_10device_ptrIjEEEEjNS1_16block_id_wrapperIjLb1EEEEEvT_jjPNSI_10value_typeET0_PNSt15iterator_traitsISL_E10value_typeEmT1_T2_
    .private_segment_fixed_size: 0
    .sgpr_count:     26
    .sgpr_spill_count: 0
    .symbol:         _ZN7rocprim17ROCPRIM_400000_NS6detail30init_device_scan_by_key_kernelINS1_19lookback_scan_stateINS0_5tupleIJ11FixedVectorIiLj2EEbEEELb1ELb1EEEN6thrust23THRUST_200600_302600_NS6detail15normal_iteratorINSA_10device_ptrIjEEEEjNS1_16block_id_wrapperIjLb1EEEEEvT_jjPNSI_10value_typeET0_PNSt15iterator_traitsISL_E10value_typeEmT1_T2_.kd
    .uniform_work_group_size: 1
    .uses_dynamic_stack: false
    .vgpr_count:     22
    .vgpr_spill_count: 0
    .wavefront_size: 64
  - .agpr_count:     0
    .args:
      - .address_space:  global
        .offset:         0
        .size:           8
        .value_kind:     global_buffer
      - .offset:         8
        .size:           4
        .value_kind:     by_value
      - .offset:         12
        .size:           4
        .value_kind:     by_value
      - .address_space:  global
        .offset:         16
        .size:           8
        .value_kind:     global_buffer
      - .address_space:  global
        .offset:         24
        .size:           8
        .value_kind:     global_buffer
      - .offset:         32
        .size:           4
        .value_kind:     hidden_block_count_x
      - .offset:         36
        .size:           4
        .value_kind:     hidden_block_count_y
      - .offset:         40
        .size:           4
        .value_kind:     hidden_block_count_z
      - .offset:         44
        .size:           2
        .value_kind:     hidden_group_size_x
      - .offset:         46
        .size:           2
        .value_kind:     hidden_group_size_y
      - .offset:         48
        .size:           2
        .value_kind:     hidden_group_size_z
      - .offset:         50
        .size:           2
        .value_kind:     hidden_remainder_x
      - .offset:         52
        .size:           2
        .value_kind:     hidden_remainder_y
      - .offset:         54
        .size:           2
        .value_kind:     hidden_remainder_z
      - .offset:         72
        .size:           8
        .value_kind:     hidden_global_offset_x
      - .offset:         80
        .size:           8
        .value_kind:     hidden_global_offset_y
      - .offset:         88
        .size:           8
        .value_kind:     hidden_global_offset_z
      - .offset:         96
        .size:           2
        .value_kind:     hidden_grid_dims
    .group_segment_fixed_size: 0
    .kernarg_segment_align: 8
    .kernarg_segment_size: 288
    .language:       OpenCL C
    .language_version:
      - 2
      - 0
    .max_flat_workgroup_size: 256
    .name:           _ZN7rocprim17ROCPRIM_400000_NS6detail30init_device_scan_by_key_kernelINS1_19lookback_scan_stateINS0_5tupleIJ11FixedVectorIiLj2EEbEEELb1ELb1EEENS1_16block_id_wrapperIjLb1EEEEEvT_jjPNSB_10value_typeET0_
    .private_segment_fixed_size: 0
    .sgpr_count:     22
    .sgpr_spill_count: 0
    .symbol:         _ZN7rocprim17ROCPRIM_400000_NS6detail30init_device_scan_by_key_kernelINS1_19lookback_scan_stateINS0_5tupleIJ11FixedVectorIiLj2EEbEEELb1ELb1EEENS1_16block_id_wrapperIjLb1EEEEEvT_jjPNSB_10value_typeET0_.kd
    .uniform_work_group_size: 1
    .uses_dynamic_stack: false
    .vgpr_count:     22
    .vgpr_spill_count: 0
    .wavefront_size: 64
  - .agpr_count:     0
    .args:
      - .offset:         0
        .size:           120
        .value_kind:     by_value
    .group_segment_fixed_size: 0
    .kernarg_segment_align: 8
    .kernarg_segment_size: 120
    .language:       OpenCL C
    .language_version:
      - 2
      - 0
    .max_flat_workgroup_size: 128
    .name:           _ZN7rocprim17ROCPRIM_400000_NS6detail17trampoline_kernelINS0_14default_configENS1_27scan_by_key_config_selectorIj11FixedVectorIiLj2EEEEZZNS1_16scan_by_key_implILNS1_25lookback_scan_determinismE0ELb0ES3_N6thrust23THRUST_200600_302600_NS6detail15normal_iteratorINSB_10device_ptrIjEEEENSD_INSE_IS6_EEEESI_S6_NSB_4plusIvEENSB_8equal_toIvEES6_EE10hipError_tPvRmT2_T3_T4_T5_mT6_T7_P12ihipStream_tbENKUlT_T0_E_clISt17integral_constantIbLb1EES13_EEDaSY_SZ_EUlSY_E_NS1_11comp_targetILNS1_3genE0ELNS1_11target_archE4294967295ELNS1_3gpuE0ELNS1_3repE0EEENS1_30default_config_static_selectorELNS0_4arch9wavefront6targetE1EEEvT1_
    .private_segment_fixed_size: 0
    .sgpr_count:     6
    .sgpr_spill_count: 0
    .symbol:         _ZN7rocprim17ROCPRIM_400000_NS6detail17trampoline_kernelINS0_14default_configENS1_27scan_by_key_config_selectorIj11FixedVectorIiLj2EEEEZZNS1_16scan_by_key_implILNS1_25lookback_scan_determinismE0ELb0ES3_N6thrust23THRUST_200600_302600_NS6detail15normal_iteratorINSB_10device_ptrIjEEEENSD_INSE_IS6_EEEESI_S6_NSB_4plusIvEENSB_8equal_toIvEES6_EE10hipError_tPvRmT2_T3_T4_T5_mT6_T7_P12ihipStream_tbENKUlT_T0_E_clISt17integral_constantIbLb1EES13_EEDaSY_SZ_EUlSY_E_NS1_11comp_targetILNS1_3genE0ELNS1_11target_archE4294967295ELNS1_3gpuE0ELNS1_3repE0EEENS1_30default_config_static_selectorELNS0_4arch9wavefront6targetE1EEEvT1_.kd
    .uniform_work_group_size: 1
    .uses_dynamic_stack: false
    .vgpr_count:     0
    .vgpr_spill_count: 0
    .wavefront_size: 64
  - .agpr_count:     0
    .args:
      - .offset:         0
        .size:           120
        .value_kind:     by_value
    .group_segment_fixed_size: 0
    .kernarg_segment_align: 8
    .kernarg_segment_size: 120
    .language:       OpenCL C
    .language_version:
      - 2
      - 0
    .max_flat_workgroup_size: 256
    .name:           _ZN7rocprim17ROCPRIM_400000_NS6detail17trampoline_kernelINS0_14default_configENS1_27scan_by_key_config_selectorIj11FixedVectorIiLj2EEEEZZNS1_16scan_by_key_implILNS1_25lookback_scan_determinismE0ELb0ES3_N6thrust23THRUST_200600_302600_NS6detail15normal_iteratorINSB_10device_ptrIjEEEENSD_INSE_IS6_EEEESI_S6_NSB_4plusIvEENSB_8equal_toIvEES6_EE10hipError_tPvRmT2_T3_T4_T5_mT6_T7_P12ihipStream_tbENKUlT_T0_E_clISt17integral_constantIbLb1EES13_EEDaSY_SZ_EUlSY_E_NS1_11comp_targetILNS1_3genE10ELNS1_11target_archE1201ELNS1_3gpuE5ELNS1_3repE0EEENS1_30default_config_static_selectorELNS0_4arch9wavefront6targetE1EEEvT1_
    .private_segment_fixed_size: 0
    .sgpr_count:     6
    .sgpr_spill_count: 0
    .symbol:         _ZN7rocprim17ROCPRIM_400000_NS6detail17trampoline_kernelINS0_14default_configENS1_27scan_by_key_config_selectorIj11FixedVectorIiLj2EEEEZZNS1_16scan_by_key_implILNS1_25lookback_scan_determinismE0ELb0ES3_N6thrust23THRUST_200600_302600_NS6detail15normal_iteratorINSB_10device_ptrIjEEEENSD_INSE_IS6_EEEESI_S6_NSB_4plusIvEENSB_8equal_toIvEES6_EE10hipError_tPvRmT2_T3_T4_T5_mT6_T7_P12ihipStream_tbENKUlT_T0_E_clISt17integral_constantIbLb1EES13_EEDaSY_SZ_EUlSY_E_NS1_11comp_targetILNS1_3genE10ELNS1_11target_archE1201ELNS1_3gpuE5ELNS1_3repE0EEENS1_30default_config_static_selectorELNS0_4arch9wavefront6targetE1EEEvT1_.kd
    .uniform_work_group_size: 1
    .uses_dynamic_stack: false
    .vgpr_count:     0
    .vgpr_spill_count: 0
    .wavefront_size: 64
  - .agpr_count:     0
    .args:
      - .offset:         0
        .size:           120
        .value_kind:     by_value
    .group_segment_fixed_size: 43008
    .kernarg_segment_align: 8
    .kernarg_segment_size: 120
    .language:       OpenCL C
    .language_version:
      - 2
      - 0
    .max_flat_workgroup_size: 256
    .name:           _ZN7rocprim17ROCPRIM_400000_NS6detail17trampoline_kernelINS0_14default_configENS1_27scan_by_key_config_selectorIj11FixedVectorIiLj2EEEEZZNS1_16scan_by_key_implILNS1_25lookback_scan_determinismE0ELb0ES3_N6thrust23THRUST_200600_302600_NS6detail15normal_iteratorINSB_10device_ptrIjEEEENSD_INSE_IS6_EEEESI_S6_NSB_4plusIvEENSB_8equal_toIvEES6_EE10hipError_tPvRmT2_T3_T4_T5_mT6_T7_P12ihipStream_tbENKUlT_T0_E_clISt17integral_constantIbLb1EES13_EEDaSY_SZ_EUlSY_E_NS1_11comp_targetILNS1_3genE5ELNS1_11target_archE942ELNS1_3gpuE9ELNS1_3repE0EEENS1_30default_config_static_selectorELNS0_4arch9wavefront6targetE1EEEvT1_
    .private_segment_fixed_size: 0
    .sgpr_count:     106
    .sgpr_spill_count: 0
    .symbol:         _ZN7rocprim17ROCPRIM_400000_NS6detail17trampoline_kernelINS0_14default_configENS1_27scan_by_key_config_selectorIj11FixedVectorIiLj2EEEEZZNS1_16scan_by_key_implILNS1_25lookback_scan_determinismE0ELb0ES3_N6thrust23THRUST_200600_302600_NS6detail15normal_iteratorINSB_10device_ptrIjEEEENSD_INSE_IS6_EEEESI_S6_NSB_4plusIvEENSB_8equal_toIvEES6_EE10hipError_tPvRmT2_T3_T4_T5_mT6_T7_P12ihipStream_tbENKUlT_T0_E_clISt17integral_constantIbLb1EES13_EEDaSY_SZ_EUlSY_E_NS1_11comp_targetILNS1_3genE5ELNS1_11target_archE942ELNS1_3gpuE9ELNS1_3repE0EEENS1_30default_config_static_selectorELNS0_4arch9wavefront6targetE1EEEvT1_.kd
    .uniform_work_group_size: 1
    .uses_dynamic_stack: false
    .vgpr_count:     134
    .vgpr_spill_count: 0
    .wavefront_size: 64
  - .agpr_count:     0
    .args:
      - .offset:         0
        .size:           120
        .value_kind:     by_value
    .group_segment_fixed_size: 0
    .kernarg_segment_align: 8
    .kernarg_segment_size: 120
    .language:       OpenCL C
    .language_version:
      - 2
      - 0
    .max_flat_workgroup_size: 64
    .name:           _ZN7rocprim17ROCPRIM_400000_NS6detail17trampoline_kernelINS0_14default_configENS1_27scan_by_key_config_selectorIj11FixedVectorIiLj2EEEEZZNS1_16scan_by_key_implILNS1_25lookback_scan_determinismE0ELb0ES3_N6thrust23THRUST_200600_302600_NS6detail15normal_iteratorINSB_10device_ptrIjEEEENSD_INSE_IS6_EEEESI_S6_NSB_4plusIvEENSB_8equal_toIvEES6_EE10hipError_tPvRmT2_T3_T4_T5_mT6_T7_P12ihipStream_tbENKUlT_T0_E_clISt17integral_constantIbLb1EES13_EEDaSY_SZ_EUlSY_E_NS1_11comp_targetILNS1_3genE4ELNS1_11target_archE910ELNS1_3gpuE8ELNS1_3repE0EEENS1_30default_config_static_selectorELNS0_4arch9wavefront6targetE1EEEvT1_
    .private_segment_fixed_size: 0
    .sgpr_count:     6
    .sgpr_spill_count: 0
    .symbol:         _ZN7rocprim17ROCPRIM_400000_NS6detail17trampoline_kernelINS0_14default_configENS1_27scan_by_key_config_selectorIj11FixedVectorIiLj2EEEEZZNS1_16scan_by_key_implILNS1_25lookback_scan_determinismE0ELb0ES3_N6thrust23THRUST_200600_302600_NS6detail15normal_iteratorINSB_10device_ptrIjEEEENSD_INSE_IS6_EEEESI_S6_NSB_4plusIvEENSB_8equal_toIvEES6_EE10hipError_tPvRmT2_T3_T4_T5_mT6_T7_P12ihipStream_tbENKUlT_T0_E_clISt17integral_constantIbLb1EES13_EEDaSY_SZ_EUlSY_E_NS1_11comp_targetILNS1_3genE4ELNS1_11target_archE910ELNS1_3gpuE8ELNS1_3repE0EEENS1_30default_config_static_selectorELNS0_4arch9wavefront6targetE1EEEvT1_.kd
    .uniform_work_group_size: 1
    .uses_dynamic_stack: false
    .vgpr_count:     0
    .vgpr_spill_count: 0
    .wavefront_size: 64
  - .agpr_count:     0
    .args:
      - .offset:         0
        .size:           120
        .value_kind:     by_value
    .group_segment_fixed_size: 0
    .kernarg_segment_align: 8
    .kernarg_segment_size: 120
    .language:       OpenCL C
    .language_version:
      - 2
      - 0
    .max_flat_workgroup_size: 128
    .name:           _ZN7rocprim17ROCPRIM_400000_NS6detail17trampoline_kernelINS0_14default_configENS1_27scan_by_key_config_selectorIj11FixedVectorIiLj2EEEEZZNS1_16scan_by_key_implILNS1_25lookback_scan_determinismE0ELb0ES3_N6thrust23THRUST_200600_302600_NS6detail15normal_iteratorINSB_10device_ptrIjEEEENSD_INSE_IS6_EEEESI_S6_NSB_4plusIvEENSB_8equal_toIvEES6_EE10hipError_tPvRmT2_T3_T4_T5_mT6_T7_P12ihipStream_tbENKUlT_T0_E_clISt17integral_constantIbLb1EES13_EEDaSY_SZ_EUlSY_E_NS1_11comp_targetILNS1_3genE3ELNS1_11target_archE908ELNS1_3gpuE7ELNS1_3repE0EEENS1_30default_config_static_selectorELNS0_4arch9wavefront6targetE1EEEvT1_
    .private_segment_fixed_size: 0
    .sgpr_count:     6
    .sgpr_spill_count: 0
    .symbol:         _ZN7rocprim17ROCPRIM_400000_NS6detail17trampoline_kernelINS0_14default_configENS1_27scan_by_key_config_selectorIj11FixedVectorIiLj2EEEEZZNS1_16scan_by_key_implILNS1_25lookback_scan_determinismE0ELb0ES3_N6thrust23THRUST_200600_302600_NS6detail15normal_iteratorINSB_10device_ptrIjEEEENSD_INSE_IS6_EEEESI_S6_NSB_4plusIvEENSB_8equal_toIvEES6_EE10hipError_tPvRmT2_T3_T4_T5_mT6_T7_P12ihipStream_tbENKUlT_T0_E_clISt17integral_constantIbLb1EES13_EEDaSY_SZ_EUlSY_E_NS1_11comp_targetILNS1_3genE3ELNS1_11target_archE908ELNS1_3gpuE7ELNS1_3repE0EEENS1_30default_config_static_selectorELNS0_4arch9wavefront6targetE1EEEvT1_.kd
    .uniform_work_group_size: 1
    .uses_dynamic_stack: false
    .vgpr_count:     0
    .vgpr_spill_count: 0
    .wavefront_size: 64
  - .agpr_count:     0
    .args:
      - .offset:         0
        .size:           120
        .value_kind:     by_value
    .group_segment_fixed_size: 0
    .kernarg_segment_align: 8
    .kernarg_segment_size: 120
    .language:       OpenCL C
    .language_version:
      - 2
      - 0
    .max_flat_workgroup_size: 64
    .name:           _ZN7rocprim17ROCPRIM_400000_NS6detail17trampoline_kernelINS0_14default_configENS1_27scan_by_key_config_selectorIj11FixedVectorIiLj2EEEEZZNS1_16scan_by_key_implILNS1_25lookback_scan_determinismE0ELb0ES3_N6thrust23THRUST_200600_302600_NS6detail15normal_iteratorINSB_10device_ptrIjEEEENSD_INSE_IS6_EEEESI_S6_NSB_4plusIvEENSB_8equal_toIvEES6_EE10hipError_tPvRmT2_T3_T4_T5_mT6_T7_P12ihipStream_tbENKUlT_T0_E_clISt17integral_constantIbLb1EES13_EEDaSY_SZ_EUlSY_E_NS1_11comp_targetILNS1_3genE2ELNS1_11target_archE906ELNS1_3gpuE6ELNS1_3repE0EEENS1_30default_config_static_selectorELNS0_4arch9wavefront6targetE1EEEvT1_
    .private_segment_fixed_size: 0
    .sgpr_count:     6
    .sgpr_spill_count: 0
    .symbol:         _ZN7rocprim17ROCPRIM_400000_NS6detail17trampoline_kernelINS0_14default_configENS1_27scan_by_key_config_selectorIj11FixedVectorIiLj2EEEEZZNS1_16scan_by_key_implILNS1_25lookback_scan_determinismE0ELb0ES3_N6thrust23THRUST_200600_302600_NS6detail15normal_iteratorINSB_10device_ptrIjEEEENSD_INSE_IS6_EEEESI_S6_NSB_4plusIvEENSB_8equal_toIvEES6_EE10hipError_tPvRmT2_T3_T4_T5_mT6_T7_P12ihipStream_tbENKUlT_T0_E_clISt17integral_constantIbLb1EES13_EEDaSY_SZ_EUlSY_E_NS1_11comp_targetILNS1_3genE2ELNS1_11target_archE906ELNS1_3gpuE6ELNS1_3repE0EEENS1_30default_config_static_selectorELNS0_4arch9wavefront6targetE1EEEvT1_.kd
    .uniform_work_group_size: 1
    .uses_dynamic_stack: false
    .vgpr_count:     0
    .vgpr_spill_count: 0
    .wavefront_size: 64
  - .agpr_count:     0
    .args:
      - .offset:         0
        .size:           120
        .value_kind:     by_value
    .group_segment_fixed_size: 0
    .kernarg_segment_align: 8
    .kernarg_segment_size: 120
    .language:       OpenCL C
    .language_version:
      - 2
      - 0
    .max_flat_workgroup_size: 256
    .name:           _ZN7rocprim17ROCPRIM_400000_NS6detail17trampoline_kernelINS0_14default_configENS1_27scan_by_key_config_selectorIj11FixedVectorIiLj2EEEEZZNS1_16scan_by_key_implILNS1_25lookback_scan_determinismE0ELb0ES3_N6thrust23THRUST_200600_302600_NS6detail15normal_iteratorINSB_10device_ptrIjEEEENSD_INSE_IS6_EEEESI_S6_NSB_4plusIvEENSB_8equal_toIvEES6_EE10hipError_tPvRmT2_T3_T4_T5_mT6_T7_P12ihipStream_tbENKUlT_T0_E_clISt17integral_constantIbLb1EES13_EEDaSY_SZ_EUlSY_E_NS1_11comp_targetILNS1_3genE10ELNS1_11target_archE1200ELNS1_3gpuE4ELNS1_3repE0EEENS1_30default_config_static_selectorELNS0_4arch9wavefront6targetE1EEEvT1_
    .private_segment_fixed_size: 0
    .sgpr_count:     6
    .sgpr_spill_count: 0
    .symbol:         _ZN7rocprim17ROCPRIM_400000_NS6detail17trampoline_kernelINS0_14default_configENS1_27scan_by_key_config_selectorIj11FixedVectorIiLj2EEEEZZNS1_16scan_by_key_implILNS1_25lookback_scan_determinismE0ELb0ES3_N6thrust23THRUST_200600_302600_NS6detail15normal_iteratorINSB_10device_ptrIjEEEENSD_INSE_IS6_EEEESI_S6_NSB_4plusIvEENSB_8equal_toIvEES6_EE10hipError_tPvRmT2_T3_T4_T5_mT6_T7_P12ihipStream_tbENKUlT_T0_E_clISt17integral_constantIbLb1EES13_EEDaSY_SZ_EUlSY_E_NS1_11comp_targetILNS1_3genE10ELNS1_11target_archE1200ELNS1_3gpuE4ELNS1_3repE0EEENS1_30default_config_static_selectorELNS0_4arch9wavefront6targetE1EEEvT1_.kd
    .uniform_work_group_size: 1
    .uses_dynamic_stack: false
    .vgpr_count:     0
    .vgpr_spill_count: 0
    .wavefront_size: 64
  - .agpr_count:     0
    .args:
      - .offset:         0
        .size:           120
        .value_kind:     by_value
    .group_segment_fixed_size: 0
    .kernarg_segment_align: 8
    .kernarg_segment_size: 120
    .language:       OpenCL C
    .language_version:
      - 2
      - 0
    .max_flat_workgroup_size: 256
    .name:           _ZN7rocprim17ROCPRIM_400000_NS6detail17trampoline_kernelINS0_14default_configENS1_27scan_by_key_config_selectorIj11FixedVectorIiLj2EEEEZZNS1_16scan_by_key_implILNS1_25lookback_scan_determinismE0ELb0ES3_N6thrust23THRUST_200600_302600_NS6detail15normal_iteratorINSB_10device_ptrIjEEEENSD_INSE_IS6_EEEESI_S6_NSB_4plusIvEENSB_8equal_toIvEES6_EE10hipError_tPvRmT2_T3_T4_T5_mT6_T7_P12ihipStream_tbENKUlT_T0_E_clISt17integral_constantIbLb1EES13_EEDaSY_SZ_EUlSY_E_NS1_11comp_targetILNS1_3genE9ELNS1_11target_archE1100ELNS1_3gpuE3ELNS1_3repE0EEENS1_30default_config_static_selectorELNS0_4arch9wavefront6targetE1EEEvT1_
    .private_segment_fixed_size: 0
    .sgpr_count:     6
    .sgpr_spill_count: 0
    .symbol:         _ZN7rocprim17ROCPRIM_400000_NS6detail17trampoline_kernelINS0_14default_configENS1_27scan_by_key_config_selectorIj11FixedVectorIiLj2EEEEZZNS1_16scan_by_key_implILNS1_25lookback_scan_determinismE0ELb0ES3_N6thrust23THRUST_200600_302600_NS6detail15normal_iteratorINSB_10device_ptrIjEEEENSD_INSE_IS6_EEEESI_S6_NSB_4plusIvEENSB_8equal_toIvEES6_EE10hipError_tPvRmT2_T3_T4_T5_mT6_T7_P12ihipStream_tbENKUlT_T0_E_clISt17integral_constantIbLb1EES13_EEDaSY_SZ_EUlSY_E_NS1_11comp_targetILNS1_3genE9ELNS1_11target_archE1100ELNS1_3gpuE3ELNS1_3repE0EEENS1_30default_config_static_selectorELNS0_4arch9wavefront6targetE1EEEvT1_.kd
    .uniform_work_group_size: 1
    .uses_dynamic_stack: false
    .vgpr_count:     0
    .vgpr_spill_count: 0
    .wavefront_size: 64
  - .agpr_count:     0
    .args:
      - .offset:         0
        .size:           120
        .value_kind:     by_value
    .group_segment_fixed_size: 0
    .kernarg_segment_align: 8
    .kernarg_segment_size: 120
    .language:       OpenCL C
    .language_version:
      - 2
      - 0
    .max_flat_workgroup_size: 256
    .name:           _ZN7rocprim17ROCPRIM_400000_NS6detail17trampoline_kernelINS0_14default_configENS1_27scan_by_key_config_selectorIj11FixedVectorIiLj2EEEEZZNS1_16scan_by_key_implILNS1_25lookback_scan_determinismE0ELb0ES3_N6thrust23THRUST_200600_302600_NS6detail15normal_iteratorINSB_10device_ptrIjEEEENSD_INSE_IS6_EEEESI_S6_NSB_4plusIvEENSB_8equal_toIvEES6_EE10hipError_tPvRmT2_T3_T4_T5_mT6_T7_P12ihipStream_tbENKUlT_T0_E_clISt17integral_constantIbLb1EES13_EEDaSY_SZ_EUlSY_E_NS1_11comp_targetILNS1_3genE8ELNS1_11target_archE1030ELNS1_3gpuE2ELNS1_3repE0EEENS1_30default_config_static_selectorELNS0_4arch9wavefront6targetE1EEEvT1_
    .private_segment_fixed_size: 0
    .sgpr_count:     6
    .sgpr_spill_count: 0
    .symbol:         _ZN7rocprim17ROCPRIM_400000_NS6detail17trampoline_kernelINS0_14default_configENS1_27scan_by_key_config_selectorIj11FixedVectorIiLj2EEEEZZNS1_16scan_by_key_implILNS1_25lookback_scan_determinismE0ELb0ES3_N6thrust23THRUST_200600_302600_NS6detail15normal_iteratorINSB_10device_ptrIjEEEENSD_INSE_IS6_EEEESI_S6_NSB_4plusIvEENSB_8equal_toIvEES6_EE10hipError_tPvRmT2_T3_T4_T5_mT6_T7_P12ihipStream_tbENKUlT_T0_E_clISt17integral_constantIbLb1EES13_EEDaSY_SZ_EUlSY_E_NS1_11comp_targetILNS1_3genE8ELNS1_11target_archE1030ELNS1_3gpuE2ELNS1_3repE0EEENS1_30default_config_static_selectorELNS0_4arch9wavefront6targetE1EEEvT1_.kd
    .uniform_work_group_size: 1
    .uses_dynamic_stack: false
    .vgpr_count:     0
    .vgpr_spill_count: 0
    .wavefront_size: 64
  - .agpr_count:     0
    .args:
      - .address_space:  global
        .offset:         0
        .size:           8
        .value_kind:     global_buffer
      - .offset:         8
        .size:           4
        .value_kind:     by_value
      - .offset:         12
        .size:           4
        .value_kind:     by_value
      - .address_space:  global
        .offset:         16
        .size:           8
        .value_kind:     global_buffer
      - .address_space:  global
        .offset:         24
        .size:           8
        .value_kind:     global_buffer
      - .actual_access:  write_only
        .address_space:  global
        .offset:         32
        .size:           8
        .value_kind:     global_buffer
      - .offset:         40
        .size:           8
        .value_kind:     by_value
      - .offset:         48
        .size:           4
        .value_kind:     by_value
      - .offset:         52
        .size:           1
        .value_kind:     by_value
      - .offset:         56
        .size:           4
        .value_kind:     hidden_block_count_x
      - .offset:         60
        .size:           4
        .value_kind:     hidden_block_count_y
      - .offset:         64
        .size:           4
        .value_kind:     hidden_block_count_z
      - .offset:         68
        .size:           2
        .value_kind:     hidden_group_size_x
      - .offset:         70
        .size:           2
        .value_kind:     hidden_group_size_y
      - .offset:         72
        .size:           2
        .value_kind:     hidden_group_size_z
      - .offset:         74
        .size:           2
        .value_kind:     hidden_remainder_x
      - .offset:         76
        .size:           2
        .value_kind:     hidden_remainder_y
      - .offset:         78
        .size:           2
        .value_kind:     hidden_remainder_z
      - .offset:         96
        .size:           8
        .value_kind:     hidden_global_offset_x
      - .offset:         104
        .size:           8
        .value_kind:     hidden_global_offset_y
      - .offset:         112
        .size:           8
        .value_kind:     hidden_global_offset_z
      - .offset:         120
        .size:           2
        .value_kind:     hidden_grid_dims
    .group_segment_fixed_size: 0
    .kernarg_segment_align: 8
    .kernarg_segment_size: 312
    .language:       OpenCL C
    .language_version:
      - 2
      - 0
    .max_flat_workgroup_size: 256
    .name:           _ZN7rocprim17ROCPRIM_400000_NS6detail30init_device_scan_by_key_kernelINS1_19lookback_scan_stateINS0_5tupleIJ11FixedVectorIiLj2EEbEEELb1ELb1EEEN6thrust23THRUST_200600_302600_NS6detail15normal_iteratorINSA_10device_ptrIjEEEEjNS1_16block_id_wrapperIjLb0EEEEEvT_jjPNSI_10value_typeET0_PNSt15iterator_traitsISL_E10value_typeEmT1_T2_
    .private_segment_fixed_size: 0
    .sgpr_count:     26
    .sgpr_spill_count: 0
    .symbol:         _ZN7rocprim17ROCPRIM_400000_NS6detail30init_device_scan_by_key_kernelINS1_19lookback_scan_stateINS0_5tupleIJ11FixedVectorIiLj2EEbEEELb1ELb1EEEN6thrust23THRUST_200600_302600_NS6detail15normal_iteratorINSA_10device_ptrIjEEEEjNS1_16block_id_wrapperIjLb0EEEEEvT_jjPNSI_10value_typeET0_PNSt15iterator_traitsISL_E10value_typeEmT1_T2_.kd
    .uniform_work_group_size: 1
    .uses_dynamic_stack: false
    .vgpr_count:     22
    .vgpr_spill_count: 0
    .wavefront_size: 64
  - .agpr_count:     0
    .args:
      - .address_space:  global
        .offset:         0
        .size:           8
        .value_kind:     global_buffer
      - .offset:         8
        .size:           4
        .value_kind:     by_value
      - .offset:         12
        .size:           4
        .value_kind:     by_value
      - .address_space:  global
        .offset:         16
        .size:           8
        .value_kind:     global_buffer
      - .offset:         24
        .size:           1
        .value_kind:     by_value
      - .offset:         32
        .size:           4
        .value_kind:     hidden_block_count_x
      - .offset:         36
        .size:           4
        .value_kind:     hidden_block_count_y
      - .offset:         40
        .size:           4
        .value_kind:     hidden_block_count_z
      - .offset:         44
        .size:           2
        .value_kind:     hidden_group_size_x
      - .offset:         46
        .size:           2
        .value_kind:     hidden_group_size_y
      - .offset:         48
        .size:           2
        .value_kind:     hidden_group_size_z
      - .offset:         50
        .size:           2
        .value_kind:     hidden_remainder_x
      - .offset:         52
        .size:           2
        .value_kind:     hidden_remainder_y
      - .offset:         54
        .size:           2
        .value_kind:     hidden_remainder_z
      - .offset:         72
        .size:           8
        .value_kind:     hidden_global_offset_x
      - .offset:         80
        .size:           8
        .value_kind:     hidden_global_offset_y
      - .offset:         88
        .size:           8
        .value_kind:     hidden_global_offset_z
      - .offset:         96
        .size:           2
        .value_kind:     hidden_grid_dims
    .group_segment_fixed_size: 0
    .kernarg_segment_align: 8
    .kernarg_segment_size: 288
    .language:       OpenCL C
    .language_version:
      - 2
      - 0
    .max_flat_workgroup_size: 256
    .name:           _ZN7rocprim17ROCPRIM_400000_NS6detail30init_device_scan_by_key_kernelINS1_19lookback_scan_stateINS0_5tupleIJ11FixedVectorIiLj2EEbEEELb1ELb1EEENS1_16block_id_wrapperIjLb0EEEEEvT_jjPNSB_10value_typeET0_
    .private_segment_fixed_size: 0
    .sgpr_count:     20
    .sgpr_spill_count: 0
    .symbol:         _ZN7rocprim17ROCPRIM_400000_NS6detail30init_device_scan_by_key_kernelINS1_19lookback_scan_stateINS0_5tupleIJ11FixedVectorIiLj2EEbEEELb1ELb1EEENS1_16block_id_wrapperIjLb0EEEEEvT_jjPNSB_10value_typeET0_.kd
    .uniform_work_group_size: 1
    .uses_dynamic_stack: false
    .vgpr_count:     22
    .vgpr_spill_count: 0
    .wavefront_size: 64
  - .agpr_count:     0
    .args:
      - .offset:         0
        .size:           120
        .value_kind:     by_value
    .group_segment_fixed_size: 0
    .kernarg_segment_align: 8
    .kernarg_segment_size: 120
    .language:       OpenCL C
    .language_version:
      - 2
      - 0
    .max_flat_workgroup_size: 128
    .name:           _ZN7rocprim17ROCPRIM_400000_NS6detail17trampoline_kernelINS0_14default_configENS1_27scan_by_key_config_selectorIj11FixedVectorIiLj2EEEEZZNS1_16scan_by_key_implILNS1_25lookback_scan_determinismE0ELb0ES3_N6thrust23THRUST_200600_302600_NS6detail15normal_iteratorINSB_10device_ptrIjEEEENSD_INSE_IS6_EEEESI_S6_NSB_4plusIvEENSB_8equal_toIvEES6_EE10hipError_tPvRmT2_T3_T4_T5_mT6_T7_P12ihipStream_tbENKUlT_T0_E_clISt17integral_constantIbLb1EES12_IbLb0EEEEDaSY_SZ_EUlSY_E_NS1_11comp_targetILNS1_3genE0ELNS1_11target_archE4294967295ELNS1_3gpuE0ELNS1_3repE0EEENS1_30default_config_static_selectorELNS0_4arch9wavefront6targetE1EEEvT1_
    .private_segment_fixed_size: 0
    .sgpr_count:     6
    .sgpr_spill_count: 0
    .symbol:         _ZN7rocprim17ROCPRIM_400000_NS6detail17trampoline_kernelINS0_14default_configENS1_27scan_by_key_config_selectorIj11FixedVectorIiLj2EEEEZZNS1_16scan_by_key_implILNS1_25lookback_scan_determinismE0ELb0ES3_N6thrust23THRUST_200600_302600_NS6detail15normal_iteratorINSB_10device_ptrIjEEEENSD_INSE_IS6_EEEESI_S6_NSB_4plusIvEENSB_8equal_toIvEES6_EE10hipError_tPvRmT2_T3_T4_T5_mT6_T7_P12ihipStream_tbENKUlT_T0_E_clISt17integral_constantIbLb1EES12_IbLb0EEEEDaSY_SZ_EUlSY_E_NS1_11comp_targetILNS1_3genE0ELNS1_11target_archE4294967295ELNS1_3gpuE0ELNS1_3repE0EEENS1_30default_config_static_selectorELNS0_4arch9wavefront6targetE1EEEvT1_.kd
    .uniform_work_group_size: 1
    .uses_dynamic_stack: false
    .vgpr_count:     0
    .vgpr_spill_count: 0
    .wavefront_size: 64
  - .agpr_count:     0
    .args:
      - .offset:         0
        .size:           120
        .value_kind:     by_value
    .group_segment_fixed_size: 0
    .kernarg_segment_align: 8
    .kernarg_segment_size: 120
    .language:       OpenCL C
    .language_version:
      - 2
      - 0
    .max_flat_workgroup_size: 256
    .name:           _ZN7rocprim17ROCPRIM_400000_NS6detail17trampoline_kernelINS0_14default_configENS1_27scan_by_key_config_selectorIj11FixedVectorIiLj2EEEEZZNS1_16scan_by_key_implILNS1_25lookback_scan_determinismE0ELb0ES3_N6thrust23THRUST_200600_302600_NS6detail15normal_iteratorINSB_10device_ptrIjEEEENSD_INSE_IS6_EEEESI_S6_NSB_4plusIvEENSB_8equal_toIvEES6_EE10hipError_tPvRmT2_T3_T4_T5_mT6_T7_P12ihipStream_tbENKUlT_T0_E_clISt17integral_constantIbLb1EES12_IbLb0EEEEDaSY_SZ_EUlSY_E_NS1_11comp_targetILNS1_3genE10ELNS1_11target_archE1201ELNS1_3gpuE5ELNS1_3repE0EEENS1_30default_config_static_selectorELNS0_4arch9wavefront6targetE1EEEvT1_
    .private_segment_fixed_size: 0
    .sgpr_count:     6
    .sgpr_spill_count: 0
    .symbol:         _ZN7rocprim17ROCPRIM_400000_NS6detail17trampoline_kernelINS0_14default_configENS1_27scan_by_key_config_selectorIj11FixedVectorIiLj2EEEEZZNS1_16scan_by_key_implILNS1_25lookback_scan_determinismE0ELb0ES3_N6thrust23THRUST_200600_302600_NS6detail15normal_iteratorINSB_10device_ptrIjEEEENSD_INSE_IS6_EEEESI_S6_NSB_4plusIvEENSB_8equal_toIvEES6_EE10hipError_tPvRmT2_T3_T4_T5_mT6_T7_P12ihipStream_tbENKUlT_T0_E_clISt17integral_constantIbLb1EES12_IbLb0EEEEDaSY_SZ_EUlSY_E_NS1_11comp_targetILNS1_3genE10ELNS1_11target_archE1201ELNS1_3gpuE5ELNS1_3repE0EEENS1_30default_config_static_selectorELNS0_4arch9wavefront6targetE1EEEvT1_.kd
    .uniform_work_group_size: 1
    .uses_dynamic_stack: false
    .vgpr_count:     0
    .vgpr_spill_count: 0
    .wavefront_size: 64
  - .agpr_count:     0
    .args:
      - .offset:         0
        .size:           120
        .value_kind:     by_value
    .group_segment_fixed_size: 43008
    .kernarg_segment_align: 8
    .kernarg_segment_size: 120
    .language:       OpenCL C
    .language_version:
      - 2
      - 0
    .max_flat_workgroup_size: 256
    .name:           _ZN7rocprim17ROCPRIM_400000_NS6detail17trampoline_kernelINS0_14default_configENS1_27scan_by_key_config_selectorIj11FixedVectorIiLj2EEEEZZNS1_16scan_by_key_implILNS1_25lookback_scan_determinismE0ELb0ES3_N6thrust23THRUST_200600_302600_NS6detail15normal_iteratorINSB_10device_ptrIjEEEENSD_INSE_IS6_EEEESI_S6_NSB_4plusIvEENSB_8equal_toIvEES6_EE10hipError_tPvRmT2_T3_T4_T5_mT6_T7_P12ihipStream_tbENKUlT_T0_E_clISt17integral_constantIbLb1EES12_IbLb0EEEEDaSY_SZ_EUlSY_E_NS1_11comp_targetILNS1_3genE5ELNS1_11target_archE942ELNS1_3gpuE9ELNS1_3repE0EEENS1_30default_config_static_selectorELNS0_4arch9wavefront6targetE1EEEvT1_
    .private_segment_fixed_size: 0
    .sgpr_count:     106
    .sgpr_spill_count: 2
    .symbol:         _ZN7rocprim17ROCPRIM_400000_NS6detail17trampoline_kernelINS0_14default_configENS1_27scan_by_key_config_selectorIj11FixedVectorIiLj2EEEEZZNS1_16scan_by_key_implILNS1_25lookback_scan_determinismE0ELb0ES3_N6thrust23THRUST_200600_302600_NS6detail15normal_iteratorINSB_10device_ptrIjEEEENSD_INSE_IS6_EEEESI_S6_NSB_4plusIvEENSB_8equal_toIvEES6_EE10hipError_tPvRmT2_T3_T4_T5_mT6_T7_P12ihipStream_tbENKUlT_T0_E_clISt17integral_constantIbLb1EES12_IbLb0EEEEDaSY_SZ_EUlSY_E_NS1_11comp_targetILNS1_3genE5ELNS1_11target_archE942ELNS1_3gpuE9ELNS1_3repE0EEENS1_30default_config_static_selectorELNS0_4arch9wavefront6targetE1EEEvT1_.kd
    .uniform_work_group_size: 1
    .uses_dynamic_stack: false
    .vgpr_count:     135
    .vgpr_spill_count: 0
    .wavefront_size: 64
  - .agpr_count:     0
    .args:
      - .offset:         0
        .size:           120
        .value_kind:     by_value
    .group_segment_fixed_size: 0
    .kernarg_segment_align: 8
    .kernarg_segment_size: 120
    .language:       OpenCL C
    .language_version:
      - 2
      - 0
    .max_flat_workgroup_size: 64
    .name:           _ZN7rocprim17ROCPRIM_400000_NS6detail17trampoline_kernelINS0_14default_configENS1_27scan_by_key_config_selectorIj11FixedVectorIiLj2EEEEZZNS1_16scan_by_key_implILNS1_25lookback_scan_determinismE0ELb0ES3_N6thrust23THRUST_200600_302600_NS6detail15normal_iteratorINSB_10device_ptrIjEEEENSD_INSE_IS6_EEEESI_S6_NSB_4plusIvEENSB_8equal_toIvEES6_EE10hipError_tPvRmT2_T3_T4_T5_mT6_T7_P12ihipStream_tbENKUlT_T0_E_clISt17integral_constantIbLb1EES12_IbLb0EEEEDaSY_SZ_EUlSY_E_NS1_11comp_targetILNS1_3genE4ELNS1_11target_archE910ELNS1_3gpuE8ELNS1_3repE0EEENS1_30default_config_static_selectorELNS0_4arch9wavefront6targetE1EEEvT1_
    .private_segment_fixed_size: 0
    .sgpr_count:     6
    .sgpr_spill_count: 0
    .symbol:         _ZN7rocprim17ROCPRIM_400000_NS6detail17trampoline_kernelINS0_14default_configENS1_27scan_by_key_config_selectorIj11FixedVectorIiLj2EEEEZZNS1_16scan_by_key_implILNS1_25lookback_scan_determinismE0ELb0ES3_N6thrust23THRUST_200600_302600_NS6detail15normal_iteratorINSB_10device_ptrIjEEEENSD_INSE_IS6_EEEESI_S6_NSB_4plusIvEENSB_8equal_toIvEES6_EE10hipError_tPvRmT2_T3_T4_T5_mT6_T7_P12ihipStream_tbENKUlT_T0_E_clISt17integral_constantIbLb1EES12_IbLb0EEEEDaSY_SZ_EUlSY_E_NS1_11comp_targetILNS1_3genE4ELNS1_11target_archE910ELNS1_3gpuE8ELNS1_3repE0EEENS1_30default_config_static_selectorELNS0_4arch9wavefront6targetE1EEEvT1_.kd
    .uniform_work_group_size: 1
    .uses_dynamic_stack: false
    .vgpr_count:     0
    .vgpr_spill_count: 0
    .wavefront_size: 64
  - .agpr_count:     0
    .args:
      - .offset:         0
        .size:           120
        .value_kind:     by_value
    .group_segment_fixed_size: 0
    .kernarg_segment_align: 8
    .kernarg_segment_size: 120
    .language:       OpenCL C
    .language_version:
      - 2
      - 0
    .max_flat_workgroup_size: 128
    .name:           _ZN7rocprim17ROCPRIM_400000_NS6detail17trampoline_kernelINS0_14default_configENS1_27scan_by_key_config_selectorIj11FixedVectorIiLj2EEEEZZNS1_16scan_by_key_implILNS1_25lookback_scan_determinismE0ELb0ES3_N6thrust23THRUST_200600_302600_NS6detail15normal_iteratorINSB_10device_ptrIjEEEENSD_INSE_IS6_EEEESI_S6_NSB_4plusIvEENSB_8equal_toIvEES6_EE10hipError_tPvRmT2_T3_T4_T5_mT6_T7_P12ihipStream_tbENKUlT_T0_E_clISt17integral_constantIbLb1EES12_IbLb0EEEEDaSY_SZ_EUlSY_E_NS1_11comp_targetILNS1_3genE3ELNS1_11target_archE908ELNS1_3gpuE7ELNS1_3repE0EEENS1_30default_config_static_selectorELNS0_4arch9wavefront6targetE1EEEvT1_
    .private_segment_fixed_size: 0
    .sgpr_count:     6
    .sgpr_spill_count: 0
    .symbol:         _ZN7rocprim17ROCPRIM_400000_NS6detail17trampoline_kernelINS0_14default_configENS1_27scan_by_key_config_selectorIj11FixedVectorIiLj2EEEEZZNS1_16scan_by_key_implILNS1_25lookback_scan_determinismE0ELb0ES3_N6thrust23THRUST_200600_302600_NS6detail15normal_iteratorINSB_10device_ptrIjEEEENSD_INSE_IS6_EEEESI_S6_NSB_4plusIvEENSB_8equal_toIvEES6_EE10hipError_tPvRmT2_T3_T4_T5_mT6_T7_P12ihipStream_tbENKUlT_T0_E_clISt17integral_constantIbLb1EES12_IbLb0EEEEDaSY_SZ_EUlSY_E_NS1_11comp_targetILNS1_3genE3ELNS1_11target_archE908ELNS1_3gpuE7ELNS1_3repE0EEENS1_30default_config_static_selectorELNS0_4arch9wavefront6targetE1EEEvT1_.kd
    .uniform_work_group_size: 1
    .uses_dynamic_stack: false
    .vgpr_count:     0
    .vgpr_spill_count: 0
    .wavefront_size: 64
  - .agpr_count:     0
    .args:
      - .offset:         0
        .size:           120
        .value_kind:     by_value
    .group_segment_fixed_size: 0
    .kernarg_segment_align: 8
    .kernarg_segment_size: 120
    .language:       OpenCL C
    .language_version:
      - 2
      - 0
    .max_flat_workgroup_size: 64
    .name:           _ZN7rocprim17ROCPRIM_400000_NS6detail17trampoline_kernelINS0_14default_configENS1_27scan_by_key_config_selectorIj11FixedVectorIiLj2EEEEZZNS1_16scan_by_key_implILNS1_25lookback_scan_determinismE0ELb0ES3_N6thrust23THRUST_200600_302600_NS6detail15normal_iteratorINSB_10device_ptrIjEEEENSD_INSE_IS6_EEEESI_S6_NSB_4plusIvEENSB_8equal_toIvEES6_EE10hipError_tPvRmT2_T3_T4_T5_mT6_T7_P12ihipStream_tbENKUlT_T0_E_clISt17integral_constantIbLb1EES12_IbLb0EEEEDaSY_SZ_EUlSY_E_NS1_11comp_targetILNS1_3genE2ELNS1_11target_archE906ELNS1_3gpuE6ELNS1_3repE0EEENS1_30default_config_static_selectorELNS0_4arch9wavefront6targetE1EEEvT1_
    .private_segment_fixed_size: 0
    .sgpr_count:     6
    .sgpr_spill_count: 0
    .symbol:         _ZN7rocprim17ROCPRIM_400000_NS6detail17trampoline_kernelINS0_14default_configENS1_27scan_by_key_config_selectorIj11FixedVectorIiLj2EEEEZZNS1_16scan_by_key_implILNS1_25lookback_scan_determinismE0ELb0ES3_N6thrust23THRUST_200600_302600_NS6detail15normal_iteratorINSB_10device_ptrIjEEEENSD_INSE_IS6_EEEESI_S6_NSB_4plusIvEENSB_8equal_toIvEES6_EE10hipError_tPvRmT2_T3_T4_T5_mT6_T7_P12ihipStream_tbENKUlT_T0_E_clISt17integral_constantIbLb1EES12_IbLb0EEEEDaSY_SZ_EUlSY_E_NS1_11comp_targetILNS1_3genE2ELNS1_11target_archE906ELNS1_3gpuE6ELNS1_3repE0EEENS1_30default_config_static_selectorELNS0_4arch9wavefront6targetE1EEEvT1_.kd
    .uniform_work_group_size: 1
    .uses_dynamic_stack: false
    .vgpr_count:     0
    .vgpr_spill_count: 0
    .wavefront_size: 64
  - .agpr_count:     0
    .args:
      - .offset:         0
        .size:           120
        .value_kind:     by_value
    .group_segment_fixed_size: 0
    .kernarg_segment_align: 8
    .kernarg_segment_size: 120
    .language:       OpenCL C
    .language_version:
      - 2
      - 0
    .max_flat_workgroup_size: 256
    .name:           _ZN7rocprim17ROCPRIM_400000_NS6detail17trampoline_kernelINS0_14default_configENS1_27scan_by_key_config_selectorIj11FixedVectorIiLj2EEEEZZNS1_16scan_by_key_implILNS1_25lookback_scan_determinismE0ELb0ES3_N6thrust23THRUST_200600_302600_NS6detail15normal_iteratorINSB_10device_ptrIjEEEENSD_INSE_IS6_EEEESI_S6_NSB_4plusIvEENSB_8equal_toIvEES6_EE10hipError_tPvRmT2_T3_T4_T5_mT6_T7_P12ihipStream_tbENKUlT_T0_E_clISt17integral_constantIbLb1EES12_IbLb0EEEEDaSY_SZ_EUlSY_E_NS1_11comp_targetILNS1_3genE10ELNS1_11target_archE1200ELNS1_3gpuE4ELNS1_3repE0EEENS1_30default_config_static_selectorELNS0_4arch9wavefront6targetE1EEEvT1_
    .private_segment_fixed_size: 0
    .sgpr_count:     6
    .sgpr_spill_count: 0
    .symbol:         _ZN7rocprim17ROCPRIM_400000_NS6detail17trampoline_kernelINS0_14default_configENS1_27scan_by_key_config_selectorIj11FixedVectorIiLj2EEEEZZNS1_16scan_by_key_implILNS1_25lookback_scan_determinismE0ELb0ES3_N6thrust23THRUST_200600_302600_NS6detail15normal_iteratorINSB_10device_ptrIjEEEENSD_INSE_IS6_EEEESI_S6_NSB_4plusIvEENSB_8equal_toIvEES6_EE10hipError_tPvRmT2_T3_T4_T5_mT6_T7_P12ihipStream_tbENKUlT_T0_E_clISt17integral_constantIbLb1EES12_IbLb0EEEEDaSY_SZ_EUlSY_E_NS1_11comp_targetILNS1_3genE10ELNS1_11target_archE1200ELNS1_3gpuE4ELNS1_3repE0EEENS1_30default_config_static_selectorELNS0_4arch9wavefront6targetE1EEEvT1_.kd
    .uniform_work_group_size: 1
    .uses_dynamic_stack: false
    .vgpr_count:     0
    .vgpr_spill_count: 0
    .wavefront_size: 64
  - .agpr_count:     0
    .args:
      - .offset:         0
        .size:           120
        .value_kind:     by_value
    .group_segment_fixed_size: 0
    .kernarg_segment_align: 8
    .kernarg_segment_size: 120
    .language:       OpenCL C
    .language_version:
      - 2
      - 0
    .max_flat_workgroup_size: 256
    .name:           _ZN7rocprim17ROCPRIM_400000_NS6detail17trampoline_kernelINS0_14default_configENS1_27scan_by_key_config_selectorIj11FixedVectorIiLj2EEEEZZNS1_16scan_by_key_implILNS1_25lookback_scan_determinismE0ELb0ES3_N6thrust23THRUST_200600_302600_NS6detail15normal_iteratorINSB_10device_ptrIjEEEENSD_INSE_IS6_EEEESI_S6_NSB_4plusIvEENSB_8equal_toIvEES6_EE10hipError_tPvRmT2_T3_T4_T5_mT6_T7_P12ihipStream_tbENKUlT_T0_E_clISt17integral_constantIbLb1EES12_IbLb0EEEEDaSY_SZ_EUlSY_E_NS1_11comp_targetILNS1_3genE9ELNS1_11target_archE1100ELNS1_3gpuE3ELNS1_3repE0EEENS1_30default_config_static_selectorELNS0_4arch9wavefront6targetE1EEEvT1_
    .private_segment_fixed_size: 0
    .sgpr_count:     6
    .sgpr_spill_count: 0
    .symbol:         _ZN7rocprim17ROCPRIM_400000_NS6detail17trampoline_kernelINS0_14default_configENS1_27scan_by_key_config_selectorIj11FixedVectorIiLj2EEEEZZNS1_16scan_by_key_implILNS1_25lookback_scan_determinismE0ELb0ES3_N6thrust23THRUST_200600_302600_NS6detail15normal_iteratorINSB_10device_ptrIjEEEENSD_INSE_IS6_EEEESI_S6_NSB_4plusIvEENSB_8equal_toIvEES6_EE10hipError_tPvRmT2_T3_T4_T5_mT6_T7_P12ihipStream_tbENKUlT_T0_E_clISt17integral_constantIbLb1EES12_IbLb0EEEEDaSY_SZ_EUlSY_E_NS1_11comp_targetILNS1_3genE9ELNS1_11target_archE1100ELNS1_3gpuE3ELNS1_3repE0EEENS1_30default_config_static_selectorELNS0_4arch9wavefront6targetE1EEEvT1_.kd
    .uniform_work_group_size: 1
    .uses_dynamic_stack: false
    .vgpr_count:     0
    .vgpr_spill_count: 0
    .wavefront_size: 64
  - .agpr_count:     0
    .args:
      - .offset:         0
        .size:           120
        .value_kind:     by_value
    .group_segment_fixed_size: 0
    .kernarg_segment_align: 8
    .kernarg_segment_size: 120
    .language:       OpenCL C
    .language_version:
      - 2
      - 0
    .max_flat_workgroup_size: 256
    .name:           _ZN7rocprim17ROCPRIM_400000_NS6detail17trampoline_kernelINS0_14default_configENS1_27scan_by_key_config_selectorIj11FixedVectorIiLj2EEEEZZNS1_16scan_by_key_implILNS1_25lookback_scan_determinismE0ELb0ES3_N6thrust23THRUST_200600_302600_NS6detail15normal_iteratorINSB_10device_ptrIjEEEENSD_INSE_IS6_EEEESI_S6_NSB_4plusIvEENSB_8equal_toIvEES6_EE10hipError_tPvRmT2_T3_T4_T5_mT6_T7_P12ihipStream_tbENKUlT_T0_E_clISt17integral_constantIbLb1EES12_IbLb0EEEEDaSY_SZ_EUlSY_E_NS1_11comp_targetILNS1_3genE8ELNS1_11target_archE1030ELNS1_3gpuE2ELNS1_3repE0EEENS1_30default_config_static_selectorELNS0_4arch9wavefront6targetE1EEEvT1_
    .private_segment_fixed_size: 0
    .sgpr_count:     6
    .sgpr_spill_count: 0
    .symbol:         _ZN7rocprim17ROCPRIM_400000_NS6detail17trampoline_kernelINS0_14default_configENS1_27scan_by_key_config_selectorIj11FixedVectorIiLj2EEEEZZNS1_16scan_by_key_implILNS1_25lookback_scan_determinismE0ELb0ES3_N6thrust23THRUST_200600_302600_NS6detail15normal_iteratorINSB_10device_ptrIjEEEENSD_INSE_IS6_EEEESI_S6_NSB_4plusIvEENSB_8equal_toIvEES6_EE10hipError_tPvRmT2_T3_T4_T5_mT6_T7_P12ihipStream_tbENKUlT_T0_E_clISt17integral_constantIbLb1EES12_IbLb0EEEEDaSY_SZ_EUlSY_E_NS1_11comp_targetILNS1_3genE8ELNS1_11target_archE1030ELNS1_3gpuE2ELNS1_3repE0EEENS1_30default_config_static_selectorELNS0_4arch9wavefront6targetE1EEEvT1_.kd
    .uniform_work_group_size: 1
    .uses_dynamic_stack: false
    .vgpr_count:     0
    .vgpr_spill_count: 0
    .wavefront_size: 64
  - .agpr_count:     0
    .args:
      - .address_space:  global
        .offset:         0
        .size:           8
        .value_kind:     global_buffer
      - .offset:         8
        .size:           4
        .value_kind:     by_value
      - .offset:         12
        .size:           4
        .value_kind:     by_value
      - .address_space:  global
        .offset:         16
        .size:           8
        .value_kind:     global_buffer
      - .address_space:  global
        .offset:         24
        .size:           8
        .value_kind:     global_buffer
      - .actual_access:  write_only
        .address_space:  global
        .offset:         32
        .size:           8
        .value_kind:     global_buffer
      - .offset:         40
        .size:           8
        .value_kind:     by_value
      - .offset:         48
        .size:           4
        .value_kind:     by_value
      - .address_space:  global
        .offset:         56
        .size:           8
        .value_kind:     global_buffer
      - .offset:         64
        .size:           4
        .value_kind:     hidden_block_count_x
      - .offset:         68
        .size:           4
        .value_kind:     hidden_block_count_y
      - .offset:         72
        .size:           4
        .value_kind:     hidden_block_count_z
      - .offset:         76
        .size:           2
        .value_kind:     hidden_group_size_x
      - .offset:         78
        .size:           2
        .value_kind:     hidden_group_size_y
      - .offset:         80
        .size:           2
        .value_kind:     hidden_group_size_z
      - .offset:         82
        .size:           2
        .value_kind:     hidden_remainder_x
      - .offset:         84
        .size:           2
        .value_kind:     hidden_remainder_y
      - .offset:         86
        .size:           2
        .value_kind:     hidden_remainder_z
      - .offset:         104
        .size:           8
        .value_kind:     hidden_global_offset_x
      - .offset:         112
        .size:           8
        .value_kind:     hidden_global_offset_y
      - .offset:         120
        .size:           8
        .value_kind:     hidden_global_offset_z
      - .offset:         128
        .size:           2
        .value_kind:     hidden_grid_dims
    .group_segment_fixed_size: 0
    .kernarg_segment_align: 8
    .kernarg_segment_size: 320
    .language:       OpenCL C
    .language_version:
      - 2
      - 0
    .max_flat_workgroup_size: 256
    .name:           _ZN7rocprim17ROCPRIM_400000_NS6detail30init_device_scan_by_key_kernelINS1_19lookback_scan_stateINS0_5tupleIJ11FixedVectorIiLj2EEbEEELb0ELb1EEEN6thrust23THRUST_200600_302600_NS6detail15normal_iteratorINSA_10device_ptrIjEEEEjNS1_16block_id_wrapperIjLb1EEEEEvT_jjPNSI_10value_typeET0_PNSt15iterator_traitsISL_E10value_typeEmT1_T2_
    .private_segment_fixed_size: 0
    .sgpr_count:     26
    .sgpr_spill_count: 0
    .symbol:         _ZN7rocprim17ROCPRIM_400000_NS6detail30init_device_scan_by_key_kernelINS1_19lookback_scan_stateINS0_5tupleIJ11FixedVectorIiLj2EEbEEELb0ELb1EEEN6thrust23THRUST_200600_302600_NS6detail15normal_iteratorINSA_10device_ptrIjEEEEjNS1_16block_id_wrapperIjLb1EEEEEvT_jjPNSI_10value_typeET0_PNSt15iterator_traitsISL_E10value_typeEmT1_T2_.kd
    .uniform_work_group_size: 1
    .uses_dynamic_stack: false
    .vgpr_count:     22
    .vgpr_spill_count: 0
    .wavefront_size: 64
  - .agpr_count:     0
    .args:
      - .address_space:  global
        .offset:         0
        .size:           8
        .value_kind:     global_buffer
      - .offset:         8
        .size:           4
        .value_kind:     by_value
      - .offset:         12
        .size:           4
        .value_kind:     by_value
      - .address_space:  global
        .offset:         16
        .size:           8
        .value_kind:     global_buffer
      - .address_space:  global
        .offset:         24
        .size:           8
        .value_kind:     global_buffer
      - .offset:         32
        .size:           4
        .value_kind:     hidden_block_count_x
      - .offset:         36
        .size:           4
        .value_kind:     hidden_block_count_y
      - .offset:         40
        .size:           4
        .value_kind:     hidden_block_count_z
      - .offset:         44
        .size:           2
        .value_kind:     hidden_group_size_x
      - .offset:         46
        .size:           2
        .value_kind:     hidden_group_size_y
      - .offset:         48
        .size:           2
        .value_kind:     hidden_group_size_z
      - .offset:         50
        .size:           2
        .value_kind:     hidden_remainder_x
      - .offset:         52
        .size:           2
        .value_kind:     hidden_remainder_y
      - .offset:         54
        .size:           2
        .value_kind:     hidden_remainder_z
      - .offset:         72
        .size:           8
        .value_kind:     hidden_global_offset_x
      - .offset:         80
        .size:           8
        .value_kind:     hidden_global_offset_y
      - .offset:         88
        .size:           8
        .value_kind:     hidden_global_offset_z
      - .offset:         96
        .size:           2
        .value_kind:     hidden_grid_dims
    .group_segment_fixed_size: 0
    .kernarg_segment_align: 8
    .kernarg_segment_size: 288
    .language:       OpenCL C
    .language_version:
      - 2
      - 0
    .max_flat_workgroup_size: 256
    .name:           _ZN7rocprim17ROCPRIM_400000_NS6detail30init_device_scan_by_key_kernelINS1_19lookback_scan_stateINS0_5tupleIJ11FixedVectorIiLj2EEbEEELb0ELb1EEENS1_16block_id_wrapperIjLb1EEEEEvT_jjPNSB_10value_typeET0_
    .private_segment_fixed_size: 0
    .sgpr_count:     22
    .sgpr_spill_count: 0
    .symbol:         _ZN7rocprim17ROCPRIM_400000_NS6detail30init_device_scan_by_key_kernelINS1_19lookback_scan_stateINS0_5tupleIJ11FixedVectorIiLj2EEbEEELb0ELb1EEENS1_16block_id_wrapperIjLb1EEEEEvT_jjPNSB_10value_typeET0_.kd
    .uniform_work_group_size: 1
    .uses_dynamic_stack: false
    .vgpr_count:     22
    .vgpr_spill_count: 0
    .wavefront_size: 64
  - .agpr_count:     0
    .args:
      - .offset:         0
        .size:           120
        .value_kind:     by_value
    .group_segment_fixed_size: 0
    .kernarg_segment_align: 8
    .kernarg_segment_size: 120
    .language:       OpenCL C
    .language_version:
      - 2
      - 0
    .max_flat_workgroup_size: 128
    .name:           _ZN7rocprim17ROCPRIM_400000_NS6detail17trampoline_kernelINS0_14default_configENS1_27scan_by_key_config_selectorIj11FixedVectorIiLj2EEEEZZNS1_16scan_by_key_implILNS1_25lookback_scan_determinismE0ELb0ES3_N6thrust23THRUST_200600_302600_NS6detail15normal_iteratorINSB_10device_ptrIjEEEENSD_INSE_IS6_EEEESI_S6_NSB_4plusIvEENSB_8equal_toIvEES6_EE10hipError_tPvRmT2_T3_T4_T5_mT6_T7_P12ihipStream_tbENKUlT_T0_E_clISt17integral_constantIbLb0EES12_IbLb1EEEEDaSY_SZ_EUlSY_E_NS1_11comp_targetILNS1_3genE0ELNS1_11target_archE4294967295ELNS1_3gpuE0ELNS1_3repE0EEENS1_30default_config_static_selectorELNS0_4arch9wavefront6targetE1EEEvT1_
    .private_segment_fixed_size: 0
    .sgpr_count:     6
    .sgpr_spill_count: 0
    .symbol:         _ZN7rocprim17ROCPRIM_400000_NS6detail17trampoline_kernelINS0_14default_configENS1_27scan_by_key_config_selectorIj11FixedVectorIiLj2EEEEZZNS1_16scan_by_key_implILNS1_25lookback_scan_determinismE0ELb0ES3_N6thrust23THRUST_200600_302600_NS6detail15normal_iteratorINSB_10device_ptrIjEEEENSD_INSE_IS6_EEEESI_S6_NSB_4plusIvEENSB_8equal_toIvEES6_EE10hipError_tPvRmT2_T3_T4_T5_mT6_T7_P12ihipStream_tbENKUlT_T0_E_clISt17integral_constantIbLb0EES12_IbLb1EEEEDaSY_SZ_EUlSY_E_NS1_11comp_targetILNS1_3genE0ELNS1_11target_archE4294967295ELNS1_3gpuE0ELNS1_3repE0EEENS1_30default_config_static_selectorELNS0_4arch9wavefront6targetE1EEEvT1_.kd
    .uniform_work_group_size: 1
    .uses_dynamic_stack: false
    .vgpr_count:     0
    .vgpr_spill_count: 0
    .wavefront_size: 64
  - .agpr_count:     0
    .args:
      - .offset:         0
        .size:           120
        .value_kind:     by_value
    .group_segment_fixed_size: 0
    .kernarg_segment_align: 8
    .kernarg_segment_size: 120
    .language:       OpenCL C
    .language_version:
      - 2
      - 0
    .max_flat_workgroup_size: 256
    .name:           _ZN7rocprim17ROCPRIM_400000_NS6detail17trampoline_kernelINS0_14default_configENS1_27scan_by_key_config_selectorIj11FixedVectorIiLj2EEEEZZNS1_16scan_by_key_implILNS1_25lookback_scan_determinismE0ELb0ES3_N6thrust23THRUST_200600_302600_NS6detail15normal_iteratorINSB_10device_ptrIjEEEENSD_INSE_IS6_EEEESI_S6_NSB_4plusIvEENSB_8equal_toIvEES6_EE10hipError_tPvRmT2_T3_T4_T5_mT6_T7_P12ihipStream_tbENKUlT_T0_E_clISt17integral_constantIbLb0EES12_IbLb1EEEEDaSY_SZ_EUlSY_E_NS1_11comp_targetILNS1_3genE10ELNS1_11target_archE1201ELNS1_3gpuE5ELNS1_3repE0EEENS1_30default_config_static_selectorELNS0_4arch9wavefront6targetE1EEEvT1_
    .private_segment_fixed_size: 0
    .sgpr_count:     6
    .sgpr_spill_count: 0
    .symbol:         _ZN7rocprim17ROCPRIM_400000_NS6detail17trampoline_kernelINS0_14default_configENS1_27scan_by_key_config_selectorIj11FixedVectorIiLj2EEEEZZNS1_16scan_by_key_implILNS1_25lookback_scan_determinismE0ELb0ES3_N6thrust23THRUST_200600_302600_NS6detail15normal_iteratorINSB_10device_ptrIjEEEENSD_INSE_IS6_EEEESI_S6_NSB_4plusIvEENSB_8equal_toIvEES6_EE10hipError_tPvRmT2_T3_T4_T5_mT6_T7_P12ihipStream_tbENKUlT_T0_E_clISt17integral_constantIbLb0EES12_IbLb1EEEEDaSY_SZ_EUlSY_E_NS1_11comp_targetILNS1_3genE10ELNS1_11target_archE1201ELNS1_3gpuE5ELNS1_3repE0EEENS1_30default_config_static_selectorELNS0_4arch9wavefront6targetE1EEEvT1_.kd
    .uniform_work_group_size: 1
    .uses_dynamic_stack: false
    .vgpr_count:     0
    .vgpr_spill_count: 0
    .wavefront_size: 64
  - .agpr_count:     0
    .args:
      - .offset:         0
        .size:           120
        .value_kind:     by_value
    .group_segment_fixed_size: 43008
    .kernarg_segment_align: 8
    .kernarg_segment_size: 120
    .language:       OpenCL C
    .language_version:
      - 2
      - 0
    .max_flat_workgroup_size: 256
    .name:           _ZN7rocprim17ROCPRIM_400000_NS6detail17trampoline_kernelINS0_14default_configENS1_27scan_by_key_config_selectorIj11FixedVectorIiLj2EEEEZZNS1_16scan_by_key_implILNS1_25lookback_scan_determinismE0ELb0ES3_N6thrust23THRUST_200600_302600_NS6detail15normal_iteratorINSB_10device_ptrIjEEEENSD_INSE_IS6_EEEESI_S6_NSB_4plusIvEENSB_8equal_toIvEES6_EE10hipError_tPvRmT2_T3_T4_T5_mT6_T7_P12ihipStream_tbENKUlT_T0_E_clISt17integral_constantIbLb0EES12_IbLb1EEEEDaSY_SZ_EUlSY_E_NS1_11comp_targetILNS1_3genE5ELNS1_11target_archE942ELNS1_3gpuE9ELNS1_3repE0EEENS1_30default_config_static_selectorELNS0_4arch9wavefront6targetE1EEEvT1_
    .private_segment_fixed_size: 0
    .sgpr_count:     106
    .sgpr_spill_count: 0
    .symbol:         _ZN7rocprim17ROCPRIM_400000_NS6detail17trampoline_kernelINS0_14default_configENS1_27scan_by_key_config_selectorIj11FixedVectorIiLj2EEEEZZNS1_16scan_by_key_implILNS1_25lookback_scan_determinismE0ELb0ES3_N6thrust23THRUST_200600_302600_NS6detail15normal_iteratorINSB_10device_ptrIjEEEENSD_INSE_IS6_EEEESI_S6_NSB_4plusIvEENSB_8equal_toIvEES6_EE10hipError_tPvRmT2_T3_T4_T5_mT6_T7_P12ihipStream_tbENKUlT_T0_E_clISt17integral_constantIbLb0EES12_IbLb1EEEEDaSY_SZ_EUlSY_E_NS1_11comp_targetILNS1_3genE5ELNS1_11target_archE942ELNS1_3gpuE9ELNS1_3repE0EEENS1_30default_config_static_selectorELNS0_4arch9wavefront6targetE1EEEvT1_.kd
    .uniform_work_group_size: 1
    .uses_dynamic_stack: false
    .vgpr_count:     136
    .vgpr_spill_count: 0
    .wavefront_size: 64
  - .agpr_count:     0
    .args:
      - .offset:         0
        .size:           120
        .value_kind:     by_value
    .group_segment_fixed_size: 0
    .kernarg_segment_align: 8
    .kernarg_segment_size: 120
    .language:       OpenCL C
    .language_version:
      - 2
      - 0
    .max_flat_workgroup_size: 64
    .name:           _ZN7rocprim17ROCPRIM_400000_NS6detail17trampoline_kernelINS0_14default_configENS1_27scan_by_key_config_selectorIj11FixedVectorIiLj2EEEEZZNS1_16scan_by_key_implILNS1_25lookback_scan_determinismE0ELb0ES3_N6thrust23THRUST_200600_302600_NS6detail15normal_iteratorINSB_10device_ptrIjEEEENSD_INSE_IS6_EEEESI_S6_NSB_4plusIvEENSB_8equal_toIvEES6_EE10hipError_tPvRmT2_T3_T4_T5_mT6_T7_P12ihipStream_tbENKUlT_T0_E_clISt17integral_constantIbLb0EES12_IbLb1EEEEDaSY_SZ_EUlSY_E_NS1_11comp_targetILNS1_3genE4ELNS1_11target_archE910ELNS1_3gpuE8ELNS1_3repE0EEENS1_30default_config_static_selectorELNS0_4arch9wavefront6targetE1EEEvT1_
    .private_segment_fixed_size: 0
    .sgpr_count:     6
    .sgpr_spill_count: 0
    .symbol:         _ZN7rocprim17ROCPRIM_400000_NS6detail17trampoline_kernelINS0_14default_configENS1_27scan_by_key_config_selectorIj11FixedVectorIiLj2EEEEZZNS1_16scan_by_key_implILNS1_25lookback_scan_determinismE0ELb0ES3_N6thrust23THRUST_200600_302600_NS6detail15normal_iteratorINSB_10device_ptrIjEEEENSD_INSE_IS6_EEEESI_S6_NSB_4plusIvEENSB_8equal_toIvEES6_EE10hipError_tPvRmT2_T3_T4_T5_mT6_T7_P12ihipStream_tbENKUlT_T0_E_clISt17integral_constantIbLb0EES12_IbLb1EEEEDaSY_SZ_EUlSY_E_NS1_11comp_targetILNS1_3genE4ELNS1_11target_archE910ELNS1_3gpuE8ELNS1_3repE0EEENS1_30default_config_static_selectorELNS0_4arch9wavefront6targetE1EEEvT1_.kd
    .uniform_work_group_size: 1
    .uses_dynamic_stack: false
    .vgpr_count:     0
    .vgpr_spill_count: 0
    .wavefront_size: 64
  - .agpr_count:     0
    .args:
      - .offset:         0
        .size:           120
        .value_kind:     by_value
    .group_segment_fixed_size: 0
    .kernarg_segment_align: 8
    .kernarg_segment_size: 120
    .language:       OpenCL C
    .language_version:
      - 2
      - 0
    .max_flat_workgroup_size: 128
    .name:           _ZN7rocprim17ROCPRIM_400000_NS6detail17trampoline_kernelINS0_14default_configENS1_27scan_by_key_config_selectorIj11FixedVectorIiLj2EEEEZZNS1_16scan_by_key_implILNS1_25lookback_scan_determinismE0ELb0ES3_N6thrust23THRUST_200600_302600_NS6detail15normal_iteratorINSB_10device_ptrIjEEEENSD_INSE_IS6_EEEESI_S6_NSB_4plusIvEENSB_8equal_toIvEES6_EE10hipError_tPvRmT2_T3_T4_T5_mT6_T7_P12ihipStream_tbENKUlT_T0_E_clISt17integral_constantIbLb0EES12_IbLb1EEEEDaSY_SZ_EUlSY_E_NS1_11comp_targetILNS1_3genE3ELNS1_11target_archE908ELNS1_3gpuE7ELNS1_3repE0EEENS1_30default_config_static_selectorELNS0_4arch9wavefront6targetE1EEEvT1_
    .private_segment_fixed_size: 0
    .sgpr_count:     6
    .sgpr_spill_count: 0
    .symbol:         _ZN7rocprim17ROCPRIM_400000_NS6detail17trampoline_kernelINS0_14default_configENS1_27scan_by_key_config_selectorIj11FixedVectorIiLj2EEEEZZNS1_16scan_by_key_implILNS1_25lookback_scan_determinismE0ELb0ES3_N6thrust23THRUST_200600_302600_NS6detail15normal_iteratorINSB_10device_ptrIjEEEENSD_INSE_IS6_EEEESI_S6_NSB_4plusIvEENSB_8equal_toIvEES6_EE10hipError_tPvRmT2_T3_T4_T5_mT6_T7_P12ihipStream_tbENKUlT_T0_E_clISt17integral_constantIbLb0EES12_IbLb1EEEEDaSY_SZ_EUlSY_E_NS1_11comp_targetILNS1_3genE3ELNS1_11target_archE908ELNS1_3gpuE7ELNS1_3repE0EEENS1_30default_config_static_selectorELNS0_4arch9wavefront6targetE1EEEvT1_.kd
    .uniform_work_group_size: 1
    .uses_dynamic_stack: false
    .vgpr_count:     0
    .vgpr_spill_count: 0
    .wavefront_size: 64
  - .agpr_count:     0
    .args:
      - .offset:         0
        .size:           120
        .value_kind:     by_value
    .group_segment_fixed_size: 0
    .kernarg_segment_align: 8
    .kernarg_segment_size: 120
    .language:       OpenCL C
    .language_version:
      - 2
      - 0
    .max_flat_workgroup_size: 64
    .name:           _ZN7rocprim17ROCPRIM_400000_NS6detail17trampoline_kernelINS0_14default_configENS1_27scan_by_key_config_selectorIj11FixedVectorIiLj2EEEEZZNS1_16scan_by_key_implILNS1_25lookback_scan_determinismE0ELb0ES3_N6thrust23THRUST_200600_302600_NS6detail15normal_iteratorINSB_10device_ptrIjEEEENSD_INSE_IS6_EEEESI_S6_NSB_4plusIvEENSB_8equal_toIvEES6_EE10hipError_tPvRmT2_T3_T4_T5_mT6_T7_P12ihipStream_tbENKUlT_T0_E_clISt17integral_constantIbLb0EES12_IbLb1EEEEDaSY_SZ_EUlSY_E_NS1_11comp_targetILNS1_3genE2ELNS1_11target_archE906ELNS1_3gpuE6ELNS1_3repE0EEENS1_30default_config_static_selectorELNS0_4arch9wavefront6targetE1EEEvT1_
    .private_segment_fixed_size: 0
    .sgpr_count:     6
    .sgpr_spill_count: 0
    .symbol:         _ZN7rocprim17ROCPRIM_400000_NS6detail17trampoline_kernelINS0_14default_configENS1_27scan_by_key_config_selectorIj11FixedVectorIiLj2EEEEZZNS1_16scan_by_key_implILNS1_25lookback_scan_determinismE0ELb0ES3_N6thrust23THRUST_200600_302600_NS6detail15normal_iteratorINSB_10device_ptrIjEEEENSD_INSE_IS6_EEEESI_S6_NSB_4plusIvEENSB_8equal_toIvEES6_EE10hipError_tPvRmT2_T3_T4_T5_mT6_T7_P12ihipStream_tbENKUlT_T0_E_clISt17integral_constantIbLb0EES12_IbLb1EEEEDaSY_SZ_EUlSY_E_NS1_11comp_targetILNS1_3genE2ELNS1_11target_archE906ELNS1_3gpuE6ELNS1_3repE0EEENS1_30default_config_static_selectorELNS0_4arch9wavefront6targetE1EEEvT1_.kd
    .uniform_work_group_size: 1
    .uses_dynamic_stack: false
    .vgpr_count:     0
    .vgpr_spill_count: 0
    .wavefront_size: 64
  - .agpr_count:     0
    .args:
      - .offset:         0
        .size:           120
        .value_kind:     by_value
    .group_segment_fixed_size: 0
    .kernarg_segment_align: 8
    .kernarg_segment_size: 120
    .language:       OpenCL C
    .language_version:
      - 2
      - 0
    .max_flat_workgroup_size: 256
    .name:           _ZN7rocprim17ROCPRIM_400000_NS6detail17trampoline_kernelINS0_14default_configENS1_27scan_by_key_config_selectorIj11FixedVectorIiLj2EEEEZZNS1_16scan_by_key_implILNS1_25lookback_scan_determinismE0ELb0ES3_N6thrust23THRUST_200600_302600_NS6detail15normal_iteratorINSB_10device_ptrIjEEEENSD_INSE_IS6_EEEESI_S6_NSB_4plusIvEENSB_8equal_toIvEES6_EE10hipError_tPvRmT2_T3_T4_T5_mT6_T7_P12ihipStream_tbENKUlT_T0_E_clISt17integral_constantIbLb0EES12_IbLb1EEEEDaSY_SZ_EUlSY_E_NS1_11comp_targetILNS1_3genE10ELNS1_11target_archE1200ELNS1_3gpuE4ELNS1_3repE0EEENS1_30default_config_static_selectorELNS0_4arch9wavefront6targetE1EEEvT1_
    .private_segment_fixed_size: 0
    .sgpr_count:     6
    .sgpr_spill_count: 0
    .symbol:         _ZN7rocprim17ROCPRIM_400000_NS6detail17trampoline_kernelINS0_14default_configENS1_27scan_by_key_config_selectorIj11FixedVectorIiLj2EEEEZZNS1_16scan_by_key_implILNS1_25lookback_scan_determinismE0ELb0ES3_N6thrust23THRUST_200600_302600_NS6detail15normal_iteratorINSB_10device_ptrIjEEEENSD_INSE_IS6_EEEESI_S6_NSB_4plusIvEENSB_8equal_toIvEES6_EE10hipError_tPvRmT2_T3_T4_T5_mT6_T7_P12ihipStream_tbENKUlT_T0_E_clISt17integral_constantIbLb0EES12_IbLb1EEEEDaSY_SZ_EUlSY_E_NS1_11comp_targetILNS1_3genE10ELNS1_11target_archE1200ELNS1_3gpuE4ELNS1_3repE0EEENS1_30default_config_static_selectorELNS0_4arch9wavefront6targetE1EEEvT1_.kd
    .uniform_work_group_size: 1
    .uses_dynamic_stack: false
    .vgpr_count:     0
    .vgpr_spill_count: 0
    .wavefront_size: 64
  - .agpr_count:     0
    .args:
      - .offset:         0
        .size:           120
        .value_kind:     by_value
    .group_segment_fixed_size: 0
    .kernarg_segment_align: 8
    .kernarg_segment_size: 120
    .language:       OpenCL C
    .language_version:
      - 2
      - 0
    .max_flat_workgroup_size: 256
    .name:           _ZN7rocprim17ROCPRIM_400000_NS6detail17trampoline_kernelINS0_14default_configENS1_27scan_by_key_config_selectorIj11FixedVectorIiLj2EEEEZZNS1_16scan_by_key_implILNS1_25lookback_scan_determinismE0ELb0ES3_N6thrust23THRUST_200600_302600_NS6detail15normal_iteratorINSB_10device_ptrIjEEEENSD_INSE_IS6_EEEESI_S6_NSB_4plusIvEENSB_8equal_toIvEES6_EE10hipError_tPvRmT2_T3_T4_T5_mT6_T7_P12ihipStream_tbENKUlT_T0_E_clISt17integral_constantIbLb0EES12_IbLb1EEEEDaSY_SZ_EUlSY_E_NS1_11comp_targetILNS1_3genE9ELNS1_11target_archE1100ELNS1_3gpuE3ELNS1_3repE0EEENS1_30default_config_static_selectorELNS0_4arch9wavefront6targetE1EEEvT1_
    .private_segment_fixed_size: 0
    .sgpr_count:     6
    .sgpr_spill_count: 0
    .symbol:         _ZN7rocprim17ROCPRIM_400000_NS6detail17trampoline_kernelINS0_14default_configENS1_27scan_by_key_config_selectorIj11FixedVectorIiLj2EEEEZZNS1_16scan_by_key_implILNS1_25lookback_scan_determinismE0ELb0ES3_N6thrust23THRUST_200600_302600_NS6detail15normal_iteratorINSB_10device_ptrIjEEEENSD_INSE_IS6_EEEESI_S6_NSB_4plusIvEENSB_8equal_toIvEES6_EE10hipError_tPvRmT2_T3_T4_T5_mT6_T7_P12ihipStream_tbENKUlT_T0_E_clISt17integral_constantIbLb0EES12_IbLb1EEEEDaSY_SZ_EUlSY_E_NS1_11comp_targetILNS1_3genE9ELNS1_11target_archE1100ELNS1_3gpuE3ELNS1_3repE0EEENS1_30default_config_static_selectorELNS0_4arch9wavefront6targetE1EEEvT1_.kd
    .uniform_work_group_size: 1
    .uses_dynamic_stack: false
    .vgpr_count:     0
    .vgpr_spill_count: 0
    .wavefront_size: 64
  - .agpr_count:     0
    .args:
      - .offset:         0
        .size:           120
        .value_kind:     by_value
    .group_segment_fixed_size: 0
    .kernarg_segment_align: 8
    .kernarg_segment_size: 120
    .language:       OpenCL C
    .language_version:
      - 2
      - 0
    .max_flat_workgroup_size: 256
    .name:           _ZN7rocprim17ROCPRIM_400000_NS6detail17trampoline_kernelINS0_14default_configENS1_27scan_by_key_config_selectorIj11FixedVectorIiLj2EEEEZZNS1_16scan_by_key_implILNS1_25lookback_scan_determinismE0ELb0ES3_N6thrust23THRUST_200600_302600_NS6detail15normal_iteratorINSB_10device_ptrIjEEEENSD_INSE_IS6_EEEESI_S6_NSB_4plusIvEENSB_8equal_toIvEES6_EE10hipError_tPvRmT2_T3_T4_T5_mT6_T7_P12ihipStream_tbENKUlT_T0_E_clISt17integral_constantIbLb0EES12_IbLb1EEEEDaSY_SZ_EUlSY_E_NS1_11comp_targetILNS1_3genE8ELNS1_11target_archE1030ELNS1_3gpuE2ELNS1_3repE0EEENS1_30default_config_static_selectorELNS0_4arch9wavefront6targetE1EEEvT1_
    .private_segment_fixed_size: 0
    .sgpr_count:     6
    .sgpr_spill_count: 0
    .symbol:         _ZN7rocprim17ROCPRIM_400000_NS6detail17trampoline_kernelINS0_14default_configENS1_27scan_by_key_config_selectorIj11FixedVectorIiLj2EEEEZZNS1_16scan_by_key_implILNS1_25lookback_scan_determinismE0ELb0ES3_N6thrust23THRUST_200600_302600_NS6detail15normal_iteratorINSB_10device_ptrIjEEEENSD_INSE_IS6_EEEESI_S6_NSB_4plusIvEENSB_8equal_toIvEES6_EE10hipError_tPvRmT2_T3_T4_T5_mT6_T7_P12ihipStream_tbENKUlT_T0_E_clISt17integral_constantIbLb0EES12_IbLb1EEEEDaSY_SZ_EUlSY_E_NS1_11comp_targetILNS1_3genE8ELNS1_11target_archE1030ELNS1_3gpuE2ELNS1_3repE0EEENS1_30default_config_static_selectorELNS0_4arch9wavefront6targetE1EEEvT1_.kd
    .uniform_work_group_size: 1
    .uses_dynamic_stack: false
    .vgpr_count:     0
    .vgpr_spill_count: 0
    .wavefront_size: 64
  - .agpr_count:     0
    .args:
      - .offset:         0
        .size:           120
        .value_kind:     by_value
    .group_segment_fixed_size: 0
    .kernarg_segment_align: 8
    .kernarg_segment_size: 120
    .language:       OpenCL C
    .language_version:
      - 2
      - 0
    .max_flat_workgroup_size: 128
    .name:           _ZN7rocprim17ROCPRIM_400000_NS6detail17trampoline_kernelINS0_14default_configENS1_27scan_by_key_config_selectorIj11FixedVectorIiLj2EEEEZZNS1_16scan_by_key_implILNS1_25lookback_scan_determinismE0ELb1ES3_N6thrust23THRUST_200600_302600_NS6detail15normal_iteratorINSB_10device_ptrIjEEEENSD_INSE_IS6_EEEESI_S6_NSB_4plusIvEENSB_8equal_toIvEES6_EE10hipError_tPvRmT2_T3_T4_T5_mT6_T7_P12ihipStream_tbENKUlT_T0_E_clISt17integral_constantIbLb0EES13_EEDaSY_SZ_EUlSY_E_NS1_11comp_targetILNS1_3genE0ELNS1_11target_archE4294967295ELNS1_3gpuE0ELNS1_3repE0EEENS1_30default_config_static_selectorELNS0_4arch9wavefront6targetE1EEEvT1_
    .private_segment_fixed_size: 0
    .sgpr_count:     6
    .sgpr_spill_count: 0
    .symbol:         _ZN7rocprim17ROCPRIM_400000_NS6detail17trampoline_kernelINS0_14default_configENS1_27scan_by_key_config_selectorIj11FixedVectorIiLj2EEEEZZNS1_16scan_by_key_implILNS1_25lookback_scan_determinismE0ELb1ES3_N6thrust23THRUST_200600_302600_NS6detail15normal_iteratorINSB_10device_ptrIjEEEENSD_INSE_IS6_EEEESI_S6_NSB_4plusIvEENSB_8equal_toIvEES6_EE10hipError_tPvRmT2_T3_T4_T5_mT6_T7_P12ihipStream_tbENKUlT_T0_E_clISt17integral_constantIbLb0EES13_EEDaSY_SZ_EUlSY_E_NS1_11comp_targetILNS1_3genE0ELNS1_11target_archE4294967295ELNS1_3gpuE0ELNS1_3repE0EEENS1_30default_config_static_selectorELNS0_4arch9wavefront6targetE1EEEvT1_.kd
    .uniform_work_group_size: 1
    .uses_dynamic_stack: false
    .vgpr_count:     0
    .vgpr_spill_count: 0
    .wavefront_size: 64
  - .agpr_count:     0
    .args:
      - .offset:         0
        .size:           120
        .value_kind:     by_value
    .group_segment_fixed_size: 0
    .kernarg_segment_align: 8
    .kernarg_segment_size: 120
    .language:       OpenCL C
    .language_version:
      - 2
      - 0
    .max_flat_workgroup_size: 256
    .name:           _ZN7rocprim17ROCPRIM_400000_NS6detail17trampoline_kernelINS0_14default_configENS1_27scan_by_key_config_selectorIj11FixedVectorIiLj2EEEEZZNS1_16scan_by_key_implILNS1_25lookback_scan_determinismE0ELb1ES3_N6thrust23THRUST_200600_302600_NS6detail15normal_iteratorINSB_10device_ptrIjEEEENSD_INSE_IS6_EEEESI_S6_NSB_4plusIvEENSB_8equal_toIvEES6_EE10hipError_tPvRmT2_T3_T4_T5_mT6_T7_P12ihipStream_tbENKUlT_T0_E_clISt17integral_constantIbLb0EES13_EEDaSY_SZ_EUlSY_E_NS1_11comp_targetILNS1_3genE10ELNS1_11target_archE1201ELNS1_3gpuE5ELNS1_3repE0EEENS1_30default_config_static_selectorELNS0_4arch9wavefront6targetE1EEEvT1_
    .private_segment_fixed_size: 0
    .sgpr_count:     6
    .sgpr_spill_count: 0
    .symbol:         _ZN7rocprim17ROCPRIM_400000_NS6detail17trampoline_kernelINS0_14default_configENS1_27scan_by_key_config_selectorIj11FixedVectorIiLj2EEEEZZNS1_16scan_by_key_implILNS1_25lookback_scan_determinismE0ELb1ES3_N6thrust23THRUST_200600_302600_NS6detail15normal_iteratorINSB_10device_ptrIjEEEENSD_INSE_IS6_EEEESI_S6_NSB_4plusIvEENSB_8equal_toIvEES6_EE10hipError_tPvRmT2_T3_T4_T5_mT6_T7_P12ihipStream_tbENKUlT_T0_E_clISt17integral_constantIbLb0EES13_EEDaSY_SZ_EUlSY_E_NS1_11comp_targetILNS1_3genE10ELNS1_11target_archE1201ELNS1_3gpuE5ELNS1_3repE0EEENS1_30default_config_static_selectorELNS0_4arch9wavefront6targetE1EEEvT1_.kd
    .uniform_work_group_size: 1
    .uses_dynamic_stack: false
    .vgpr_count:     0
    .vgpr_spill_count: 0
    .wavefront_size: 64
  - .agpr_count:     0
    .args:
      - .offset:         0
        .size:           120
        .value_kind:     by_value
    .group_segment_fixed_size: 43008
    .kernarg_segment_align: 8
    .kernarg_segment_size: 120
    .language:       OpenCL C
    .language_version:
      - 2
      - 0
    .max_flat_workgroup_size: 256
    .name:           _ZN7rocprim17ROCPRIM_400000_NS6detail17trampoline_kernelINS0_14default_configENS1_27scan_by_key_config_selectorIj11FixedVectorIiLj2EEEEZZNS1_16scan_by_key_implILNS1_25lookback_scan_determinismE0ELb1ES3_N6thrust23THRUST_200600_302600_NS6detail15normal_iteratorINSB_10device_ptrIjEEEENSD_INSE_IS6_EEEESI_S6_NSB_4plusIvEENSB_8equal_toIvEES6_EE10hipError_tPvRmT2_T3_T4_T5_mT6_T7_P12ihipStream_tbENKUlT_T0_E_clISt17integral_constantIbLb0EES13_EEDaSY_SZ_EUlSY_E_NS1_11comp_targetILNS1_3genE5ELNS1_11target_archE942ELNS1_3gpuE9ELNS1_3repE0EEENS1_30default_config_static_selectorELNS0_4arch9wavefront6targetE1EEEvT1_
    .private_segment_fixed_size: 0
    .sgpr_count:     82
    .sgpr_spill_count: 0
    .symbol:         _ZN7rocprim17ROCPRIM_400000_NS6detail17trampoline_kernelINS0_14default_configENS1_27scan_by_key_config_selectorIj11FixedVectorIiLj2EEEEZZNS1_16scan_by_key_implILNS1_25lookback_scan_determinismE0ELb1ES3_N6thrust23THRUST_200600_302600_NS6detail15normal_iteratorINSB_10device_ptrIjEEEENSD_INSE_IS6_EEEESI_S6_NSB_4plusIvEENSB_8equal_toIvEES6_EE10hipError_tPvRmT2_T3_T4_T5_mT6_T7_P12ihipStream_tbENKUlT_T0_E_clISt17integral_constantIbLb0EES13_EEDaSY_SZ_EUlSY_E_NS1_11comp_targetILNS1_3genE5ELNS1_11target_archE942ELNS1_3gpuE9ELNS1_3repE0EEENS1_30default_config_static_selectorELNS0_4arch9wavefront6targetE1EEEvT1_.kd
    .uniform_work_group_size: 1
    .uses_dynamic_stack: false
    .vgpr_count:     127
    .vgpr_spill_count: 0
    .wavefront_size: 64
  - .agpr_count:     0
    .args:
      - .offset:         0
        .size:           120
        .value_kind:     by_value
    .group_segment_fixed_size: 0
    .kernarg_segment_align: 8
    .kernarg_segment_size: 120
    .language:       OpenCL C
    .language_version:
      - 2
      - 0
    .max_flat_workgroup_size: 64
    .name:           _ZN7rocprim17ROCPRIM_400000_NS6detail17trampoline_kernelINS0_14default_configENS1_27scan_by_key_config_selectorIj11FixedVectorIiLj2EEEEZZNS1_16scan_by_key_implILNS1_25lookback_scan_determinismE0ELb1ES3_N6thrust23THRUST_200600_302600_NS6detail15normal_iteratorINSB_10device_ptrIjEEEENSD_INSE_IS6_EEEESI_S6_NSB_4plusIvEENSB_8equal_toIvEES6_EE10hipError_tPvRmT2_T3_T4_T5_mT6_T7_P12ihipStream_tbENKUlT_T0_E_clISt17integral_constantIbLb0EES13_EEDaSY_SZ_EUlSY_E_NS1_11comp_targetILNS1_3genE4ELNS1_11target_archE910ELNS1_3gpuE8ELNS1_3repE0EEENS1_30default_config_static_selectorELNS0_4arch9wavefront6targetE1EEEvT1_
    .private_segment_fixed_size: 0
    .sgpr_count:     6
    .sgpr_spill_count: 0
    .symbol:         _ZN7rocprim17ROCPRIM_400000_NS6detail17trampoline_kernelINS0_14default_configENS1_27scan_by_key_config_selectorIj11FixedVectorIiLj2EEEEZZNS1_16scan_by_key_implILNS1_25lookback_scan_determinismE0ELb1ES3_N6thrust23THRUST_200600_302600_NS6detail15normal_iteratorINSB_10device_ptrIjEEEENSD_INSE_IS6_EEEESI_S6_NSB_4plusIvEENSB_8equal_toIvEES6_EE10hipError_tPvRmT2_T3_T4_T5_mT6_T7_P12ihipStream_tbENKUlT_T0_E_clISt17integral_constantIbLb0EES13_EEDaSY_SZ_EUlSY_E_NS1_11comp_targetILNS1_3genE4ELNS1_11target_archE910ELNS1_3gpuE8ELNS1_3repE0EEENS1_30default_config_static_selectorELNS0_4arch9wavefront6targetE1EEEvT1_.kd
    .uniform_work_group_size: 1
    .uses_dynamic_stack: false
    .vgpr_count:     0
    .vgpr_spill_count: 0
    .wavefront_size: 64
  - .agpr_count:     0
    .args:
      - .offset:         0
        .size:           120
        .value_kind:     by_value
    .group_segment_fixed_size: 0
    .kernarg_segment_align: 8
    .kernarg_segment_size: 120
    .language:       OpenCL C
    .language_version:
      - 2
      - 0
    .max_flat_workgroup_size: 128
    .name:           _ZN7rocprim17ROCPRIM_400000_NS6detail17trampoline_kernelINS0_14default_configENS1_27scan_by_key_config_selectorIj11FixedVectorIiLj2EEEEZZNS1_16scan_by_key_implILNS1_25lookback_scan_determinismE0ELb1ES3_N6thrust23THRUST_200600_302600_NS6detail15normal_iteratorINSB_10device_ptrIjEEEENSD_INSE_IS6_EEEESI_S6_NSB_4plusIvEENSB_8equal_toIvEES6_EE10hipError_tPvRmT2_T3_T4_T5_mT6_T7_P12ihipStream_tbENKUlT_T0_E_clISt17integral_constantIbLb0EES13_EEDaSY_SZ_EUlSY_E_NS1_11comp_targetILNS1_3genE3ELNS1_11target_archE908ELNS1_3gpuE7ELNS1_3repE0EEENS1_30default_config_static_selectorELNS0_4arch9wavefront6targetE1EEEvT1_
    .private_segment_fixed_size: 0
    .sgpr_count:     6
    .sgpr_spill_count: 0
    .symbol:         _ZN7rocprim17ROCPRIM_400000_NS6detail17trampoline_kernelINS0_14default_configENS1_27scan_by_key_config_selectorIj11FixedVectorIiLj2EEEEZZNS1_16scan_by_key_implILNS1_25lookback_scan_determinismE0ELb1ES3_N6thrust23THRUST_200600_302600_NS6detail15normal_iteratorINSB_10device_ptrIjEEEENSD_INSE_IS6_EEEESI_S6_NSB_4plusIvEENSB_8equal_toIvEES6_EE10hipError_tPvRmT2_T3_T4_T5_mT6_T7_P12ihipStream_tbENKUlT_T0_E_clISt17integral_constantIbLb0EES13_EEDaSY_SZ_EUlSY_E_NS1_11comp_targetILNS1_3genE3ELNS1_11target_archE908ELNS1_3gpuE7ELNS1_3repE0EEENS1_30default_config_static_selectorELNS0_4arch9wavefront6targetE1EEEvT1_.kd
    .uniform_work_group_size: 1
    .uses_dynamic_stack: false
    .vgpr_count:     0
    .vgpr_spill_count: 0
    .wavefront_size: 64
  - .agpr_count:     0
    .args:
      - .offset:         0
        .size:           120
        .value_kind:     by_value
    .group_segment_fixed_size: 0
    .kernarg_segment_align: 8
    .kernarg_segment_size: 120
    .language:       OpenCL C
    .language_version:
      - 2
      - 0
    .max_flat_workgroup_size: 64
    .name:           _ZN7rocprim17ROCPRIM_400000_NS6detail17trampoline_kernelINS0_14default_configENS1_27scan_by_key_config_selectorIj11FixedVectorIiLj2EEEEZZNS1_16scan_by_key_implILNS1_25lookback_scan_determinismE0ELb1ES3_N6thrust23THRUST_200600_302600_NS6detail15normal_iteratorINSB_10device_ptrIjEEEENSD_INSE_IS6_EEEESI_S6_NSB_4plusIvEENSB_8equal_toIvEES6_EE10hipError_tPvRmT2_T3_T4_T5_mT6_T7_P12ihipStream_tbENKUlT_T0_E_clISt17integral_constantIbLb0EES13_EEDaSY_SZ_EUlSY_E_NS1_11comp_targetILNS1_3genE2ELNS1_11target_archE906ELNS1_3gpuE6ELNS1_3repE0EEENS1_30default_config_static_selectorELNS0_4arch9wavefront6targetE1EEEvT1_
    .private_segment_fixed_size: 0
    .sgpr_count:     6
    .sgpr_spill_count: 0
    .symbol:         _ZN7rocprim17ROCPRIM_400000_NS6detail17trampoline_kernelINS0_14default_configENS1_27scan_by_key_config_selectorIj11FixedVectorIiLj2EEEEZZNS1_16scan_by_key_implILNS1_25lookback_scan_determinismE0ELb1ES3_N6thrust23THRUST_200600_302600_NS6detail15normal_iteratorINSB_10device_ptrIjEEEENSD_INSE_IS6_EEEESI_S6_NSB_4plusIvEENSB_8equal_toIvEES6_EE10hipError_tPvRmT2_T3_T4_T5_mT6_T7_P12ihipStream_tbENKUlT_T0_E_clISt17integral_constantIbLb0EES13_EEDaSY_SZ_EUlSY_E_NS1_11comp_targetILNS1_3genE2ELNS1_11target_archE906ELNS1_3gpuE6ELNS1_3repE0EEENS1_30default_config_static_selectorELNS0_4arch9wavefront6targetE1EEEvT1_.kd
    .uniform_work_group_size: 1
    .uses_dynamic_stack: false
    .vgpr_count:     0
    .vgpr_spill_count: 0
    .wavefront_size: 64
  - .agpr_count:     0
    .args:
      - .offset:         0
        .size:           120
        .value_kind:     by_value
    .group_segment_fixed_size: 0
    .kernarg_segment_align: 8
    .kernarg_segment_size: 120
    .language:       OpenCL C
    .language_version:
      - 2
      - 0
    .max_flat_workgroup_size: 256
    .name:           _ZN7rocprim17ROCPRIM_400000_NS6detail17trampoline_kernelINS0_14default_configENS1_27scan_by_key_config_selectorIj11FixedVectorIiLj2EEEEZZNS1_16scan_by_key_implILNS1_25lookback_scan_determinismE0ELb1ES3_N6thrust23THRUST_200600_302600_NS6detail15normal_iteratorINSB_10device_ptrIjEEEENSD_INSE_IS6_EEEESI_S6_NSB_4plusIvEENSB_8equal_toIvEES6_EE10hipError_tPvRmT2_T3_T4_T5_mT6_T7_P12ihipStream_tbENKUlT_T0_E_clISt17integral_constantIbLb0EES13_EEDaSY_SZ_EUlSY_E_NS1_11comp_targetILNS1_3genE10ELNS1_11target_archE1200ELNS1_3gpuE4ELNS1_3repE0EEENS1_30default_config_static_selectorELNS0_4arch9wavefront6targetE1EEEvT1_
    .private_segment_fixed_size: 0
    .sgpr_count:     6
    .sgpr_spill_count: 0
    .symbol:         _ZN7rocprim17ROCPRIM_400000_NS6detail17trampoline_kernelINS0_14default_configENS1_27scan_by_key_config_selectorIj11FixedVectorIiLj2EEEEZZNS1_16scan_by_key_implILNS1_25lookback_scan_determinismE0ELb1ES3_N6thrust23THRUST_200600_302600_NS6detail15normal_iteratorINSB_10device_ptrIjEEEENSD_INSE_IS6_EEEESI_S6_NSB_4plusIvEENSB_8equal_toIvEES6_EE10hipError_tPvRmT2_T3_T4_T5_mT6_T7_P12ihipStream_tbENKUlT_T0_E_clISt17integral_constantIbLb0EES13_EEDaSY_SZ_EUlSY_E_NS1_11comp_targetILNS1_3genE10ELNS1_11target_archE1200ELNS1_3gpuE4ELNS1_3repE0EEENS1_30default_config_static_selectorELNS0_4arch9wavefront6targetE1EEEvT1_.kd
    .uniform_work_group_size: 1
    .uses_dynamic_stack: false
    .vgpr_count:     0
    .vgpr_spill_count: 0
    .wavefront_size: 64
  - .agpr_count:     0
    .args:
      - .offset:         0
        .size:           120
        .value_kind:     by_value
    .group_segment_fixed_size: 0
    .kernarg_segment_align: 8
    .kernarg_segment_size: 120
    .language:       OpenCL C
    .language_version:
      - 2
      - 0
    .max_flat_workgroup_size: 256
    .name:           _ZN7rocprim17ROCPRIM_400000_NS6detail17trampoline_kernelINS0_14default_configENS1_27scan_by_key_config_selectorIj11FixedVectorIiLj2EEEEZZNS1_16scan_by_key_implILNS1_25lookback_scan_determinismE0ELb1ES3_N6thrust23THRUST_200600_302600_NS6detail15normal_iteratorINSB_10device_ptrIjEEEENSD_INSE_IS6_EEEESI_S6_NSB_4plusIvEENSB_8equal_toIvEES6_EE10hipError_tPvRmT2_T3_T4_T5_mT6_T7_P12ihipStream_tbENKUlT_T0_E_clISt17integral_constantIbLb0EES13_EEDaSY_SZ_EUlSY_E_NS1_11comp_targetILNS1_3genE9ELNS1_11target_archE1100ELNS1_3gpuE3ELNS1_3repE0EEENS1_30default_config_static_selectorELNS0_4arch9wavefront6targetE1EEEvT1_
    .private_segment_fixed_size: 0
    .sgpr_count:     6
    .sgpr_spill_count: 0
    .symbol:         _ZN7rocprim17ROCPRIM_400000_NS6detail17trampoline_kernelINS0_14default_configENS1_27scan_by_key_config_selectorIj11FixedVectorIiLj2EEEEZZNS1_16scan_by_key_implILNS1_25lookback_scan_determinismE0ELb1ES3_N6thrust23THRUST_200600_302600_NS6detail15normal_iteratorINSB_10device_ptrIjEEEENSD_INSE_IS6_EEEESI_S6_NSB_4plusIvEENSB_8equal_toIvEES6_EE10hipError_tPvRmT2_T3_T4_T5_mT6_T7_P12ihipStream_tbENKUlT_T0_E_clISt17integral_constantIbLb0EES13_EEDaSY_SZ_EUlSY_E_NS1_11comp_targetILNS1_3genE9ELNS1_11target_archE1100ELNS1_3gpuE3ELNS1_3repE0EEENS1_30default_config_static_selectorELNS0_4arch9wavefront6targetE1EEEvT1_.kd
    .uniform_work_group_size: 1
    .uses_dynamic_stack: false
    .vgpr_count:     0
    .vgpr_spill_count: 0
    .wavefront_size: 64
  - .agpr_count:     0
    .args:
      - .offset:         0
        .size:           120
        .value_kind:     by_value
    .group_segment_fixed_size: 0
    .kernarg_segment_align: 8
    .kernarg_segment_size: 120
    .language:       OpenCL C
    .language_version:
      - 2
      - 0
    .max_flat_workgroup_size: 256
    .name:           _ZN7rocprim17ROCPRIM_400000_NS6detail17trampoline_kernelINS0_14default_configENS1_27scan_by_key_config_selectorIj11FixedVectorIiLj2EEEEZZNS1_16scan_by_key_implILNS1_25lookback_scan_determinismE0ELb1ES3_N6thrust23THRUST_200600_302600_NS6detail15normal_iteratorINSB_10device_ptrIjEEEENSD_INSE_IS6_EEEESI_S6_NSB_4plusIvEENSB_8equal_toIvEES6_EE10hipError_tPvRmT2_T3_T4_T5_mT6_T7_P12ihipStream_tbENKUlT_T0_E_clISt17integral_constantIbLb0EES13_EEDaSY_SZ_EUlSY_E_NS1_11comp_targetILNS1_3genE8ELNS1_11target_archE1030ELNS1_3gpuE2ELNS1_3repE0EEENS1_30default_config_static_selectorELNS0_4arch9wavefront6targetE1EEEvT1_
    .private_segment_fixed_size: 0
    .sgpr_count:     6
    .sgpr_spill_count: 0
    .symbol:         _ZN7rocprim17ROCPRIM_400000_NS6detail17trampoline_kernelINS0_14default_configENS1_27scan_by_key_config_selectorIj11FixedVectorIiLj2EEEEZZNS1_16scan_by_key_implILNS1_25lookback_scan_determinismE0ELb1ES3_N6thrust23THRUST_200600_302600_NS6detail15normal_iteratorINSB_10device_ptrIjEEEENSD_INSE_IS6_EEEESI_S6_NSB_4plusIvEENSB_8equal_toIvEES6_EE10hipError_tPvRmT2_T3_T4_T5_mT6_T7_P12ihipStream_tbENKUlT_T0_E_clISt17integral_constantIbLb0EES13_EEDaSY_SZ_EUlSY_E_NS1_11comp_targetILNS1_3genE8ELNS1_11target_archE1030ELNS1_3gpuE2ELNS1_3repE0EEENS1_30default_config_static_selectorELNS0_4arch9wavefront6targetE1EEEvT1_.kd
    .uniform_work_group_size: 1
    .uses_dynamic_stack: false
    .vgpr_count:     0
    .vgpr_spill_count: 0
    .wavefront_size: 64
  - .agpr_count:     0
    .args:
      - .offset:         0
        .size:           120
        .value_kind:     by_value
    .group_segment_fixed_size: 0
    .kernarg_segment_align: 8
    .kernarg_segment_size: 120
    .language:       OpenCL C
    .language_version:
      - 2
      - 0
    .max_flat_workgroup_size: 128
    .name:           _ZN7rocprim17ROCPRIM_400000_NS6detail17trampoline_kernelINS0_14default_configENS1_27scan_by_key_config_selectorIj11FixedVectorIiLj2EEEEZZNS1_16scan_by_key_implILNS1_25lookback_scan_determinismE0ELb1ES3_N6thrust23THRUST_200600_302600_NS6detail15normal_iteratorINSB_10device_ptrIjEEEENSD_INSE_IS6_EEEESI_S6_NSB_4plusIvEENSB_8equal_toIvEES6_EE10hipError_tPvRmT2_T3_T4_T5_mT6_T7_P12ihipStream_tbENKUlT_T0_E_clISt17integral_constantIbLb1EES13_EEDaSY_SZ_EUlSY_E_NS1_11comp_targetILNS1_3genE0ELNS1_11target_archE4294967295ELNS1_3gpuE0ELNS1_3repE0EEENS1_30default_config_static_selectorELNS0_4arch9wavefront6targetE1EEEvT1_
    .private_segment_fixed_size: 0
    .sgpr_count:     6
    .sgpr_spill_count: 0
    .symbol:         _ZN7rocprim17ROCPRIM_400000_NS6detail17trampoline_kernelINS0_14default_configENS1_27scan_by_key_config_selectorIj11FixedVectorIiLj2EEEEZZNS1_16scan_by_key_implILNS1_25lookback_scan_determinismE0ELb1ES3_N6thrust23THRUST_200600_302600_NS6detail15normal_iteratorINSB_10device_ptrIjEEEENSD_INSE_IS6_EEEESI_S6_NSB_4plusIvEENSB_8equal_toIvEES6_EE10hipError_tPvRmT2_T3_T4_T5_mT6_T7_P12ihipStream_tbENKUlT_T0_E_clISt17integral_constantIbLb1EES13_EEDaSY_SZ_EUlSY_E_NS1_11comp_targetILNS1_3genE0ELNS1_11target_archE4294967295ELNS1_3gpuE0ELNS1_3repE0EEENS1_30default_config_static_selectorELNS0_4arch9wavefront6targetE1EEEvT1_.kd
    .uniform_work_group_size: 1
    .uses_dynamic_stack: false
    .vgpr_count:     0
    .vgpr_spill_count: 0
    .wavefront_size: 64
  - .agpr_count:     0
    .args:
      - .offset:         0
        .size:           120
        .value_kind:     by_value
    .group_segment_fixed_size: 0
    .kernarg_segment_align: 8
    .kernarg_segment_size: 120
    .language:       OpenCL C
    .language_version:
      - 2
      - 0
    .max_flat_workgroup_size: 256
    .name:           _ZN7rocprim17ROCPRIM_400000_NS6detail17trampoline_kernelINS0_14default_configENS1_27scan_by_key_config_selectorIj11FixedVectorIiLj2EEEEZZNS1_16scan_by_key_implILNS1_25lookback_scan_determinismE0ELb1ES3_N6thrust23THRUST_200600_302600_NS6detail15normal_iteratorINSB_10device_ptrIjEEEENSD_INSE_IS6_EEEESI_S6_NSB_4plusIvEENSB_8equal_toIvEES6_EE10hipError_tPvRmT2_T3_T4_T5_mT6_T7_P12ihipStream_tbENKUlT_T0_E_clISt17integral_constantIbLb1EES13_EEDaSY_SZ_EUlSY_E_NS1_11comp_targetILNS1_3genE10ELNS1_11target_archE1201ELNS1_3gpuE5ELNS1_3repE0EEENS1_30default_config_static_selectorELNS0_4arch9wavefront6targetE1EEEvT1_
    .private_segment_fixed_size: 0
    .sgpr_count:     6
    .sgpr_spill_count: 0
    .symbol:         _ZN7rocprim17ROCPRIM_400000_NS6detail17trampoline_kernelINS0_14default_configENS1_27scan_by_key_config_selectorIj11FixedVectorIiLj2EEEEZZNS1_16scan_by_key_implILNS1_25lookback_scan_determinismE0ELb1ES3_N6thrust23THRUST_200600_302600_NS6detail15normal_iteratorINSB_10device_ptrIjEEEENSD_INSE_IS6_EEEESI_S6_NSB_4plusIvEENSB_8equal_toIvEES6_EE10hipError_tPvRmT2_T3_T4_T5_mT6_T7_P12ihipStream_tbENKUlT_T0_E_clISt17integral_constantIbLb1EES13_EEDaSY_SZ_EUlSY_E_NS1_11comp_targetILNS1_3genE10ELNS1_11target_archE1201ELNS1_3gpuE5ELNS1_3repE0EEENS1_30default_config_static_selectorELNS0_4arch9wavefront6targetE1EEEvT1_.kd
    .uniform_work_group_size: 1
    .uses_dynamic_stack: false
    .vgpr_count:     0
    .vgpr_spill_count: 0
    .wavefront_size: 64
  - .agpr_count:     0
    .args:
      - .offset:         0
        .size:           120
        .value_kind:     by_value
    .group_segment_fixed_size: 43008
    .kernarg_segment_align: 8
    .kernarg_segment_size: 120
    .language:       OpenCL C
    .language_version:
      - 2
      - 0
    .max_flat_workgroup_size: 256
    .name:           _ZN7rocprim17ROCPRIM_400000_NS6detail17trampoline_kernelINS0_14default_configENS1_27scan_by_key_config_selectorIj11FixedVectorIiLj2EEEEZZNS1_16scan_by_key_implILNS1_25lookback_scan_determinismE0ELb1ES3_N6thrust23THRUST_200600_302600_NS6detail15normal_iteratorINSB_10device_ptrIjEEEENSD_INSE_IS6_EEEESI_S6_NSB_4plusIvEENSB_8equal_toIvEES6_EE10hipError_tPvRmT2_T3_T4_T5_mT6_T7_P12ihipStream_tbENKUlT_T0_E_clISt17integral_constantIbLb1EES13_EEDaSY_SZ_EUlSY_E_NS1_11comp_targetILNS1_3genE5ELNS1_11target_archE942ELNS1_3gpuE9ELNS1_3repE0EEENS1_30default_config_static_selectorELNS0_4arch9wavefront6targetE1EEEvT1_
    .private_segment_fixed_size: 0
    .sgpr_count:     82
    .sgpr_spill_count: 0
    .symbol:         _ZN7rocprim17ROCPRIM_400000_NS6detail17trampoline_kernelINS0_14default_configENS1_27scan_by_key_config_selectorIj11FixedVectorIiLj2EEEEZZNS1_16scan_by_key_implILNS1_25lookback_scan_determinismE0ELb1ES3_N6thrust23THRUST_200600_302600_NS6detail15normal_iteratorINSB_10device_ptrIjEEEENSD_INSE_IS6_EEEESI_S6_NSB_4plusIvEENSB_8equal_toIvEES6_EE10hipError_tPvRmT2_T3_T4_T5_mT6_T7_P12ihipStream_tbENKUlT_T0_E_clISt17integral_constantIbLb1EES13_EEDaSY_SZ_EUlSY_E_NS1_11comp_targetILNS1_3genE5ELNS1_11target_archE942ELNS1_3gpuE9ELNS1_3repE0EEENS1_30default_config_static_selectorELNS0_4arch9wavefront6targetE1EEEvT1_.kd
    .uniform_work_group_size: 1
    .uses_dynamic_stack: false
    .vgpr_count:     129
    .vgpr_spill_count: 0
    .wavefront_size: 64
  - .agpr_count:     0
    .args:
      - .offset:         0
        .size:           120
        .value_kind:     by_value
    .group_segment_fixed_size: 0
    .kernarg_segment_align: 8
    .kernarg_segment_size: 120
    .language:       OpenCL C
    .language_version:
      - 2
      - 0
    .max_flat_workgroup_size: 64
    .name:           _ZN7rocprim17ROCPRIM_400000_NS6detail17trampoline_kernelINS0_14default_configENS1_27scan_by_key_config_selectorIj11FixedVectorIiLj2EEEEZZNS1_16scan_by_key_implILNS1_25lookback_scan_determinismE0ELb1ES3_N6thrust23THRUST_200600_302600_NS6detail15normal_iteratorINSB_10device_ptrIjEEEENSD_INSE_IS6_EEEESI_S6_NSB_4plusIvEENSB_8equal_toIvEES6_EE10hipError_tPvRmT2_T3_T4_T5_mT6_T7_P12ihipStream_tbENKUlT_T0_E_clISt17integral_constantIbLb1EES13_EEDaSY_SZ_EUlSY_E_NS1_11comp_targetILNS1_3genE4ELNS1_11target_archE910ELNS1_3gpuE8ELNS1_3repE0EEENS1_30default_config_static_selectorELNS0_4arch9wavefront6targetE1EEEvT1_
    .private_segment_fixed_size: 0
    .sgpr_count:     6
    .sgpr_spill_count: 0
    .symbol:         _ZN7rocprim17ROCPRIM_400000_NS6detail17trampoline_kernelINS0_14default_configENS1_27scan_by_key_config_selectorIj11FixedVectorIiLj2EEEEZZNS1_16scan_by_key_implILNS1_25lookback_scan_determinismE0ELb1ES3_N6thrust23THRUST_200600_302600_NS6detail15normal_iteratorINSB_10device_ptrIjEEEENSD_INSE_IS6_EEEESI_S6_NSB_4plusIvEENSB_8equal_toIvEES6_EE10hipError_tPvRmT2_T3_T4_T5_mT6_T7_P12ihipStream_tbENKUlT_T0_E_clISt17integral_constantIbLb1EES13_EEDaSY_SZ_EUlSY_E_NS1_11comp_targetILNS1_3genE4ELNS1_11target_archE910ELNS1_3gpuE8ELNS1_3repE0EEENS1_30default_config_static_selectorELNS0_4arch9wavefront6targetE1EEEvT1_.kd
    .uniform_work_group_size: 1
    .uses_dynamic_stack: false
    .vgpr_count:     0
    .vgpr_spill_count: 0
    .wavefront_size: 64
  - .agpr_count:     0
    .args:
      - .offset:         0
        .size:           120
        .value_kind:     by_value
    .group_segment_fixed_size: 0
    .kernarg_segment_align: 8
    .kernarg_segment_size: 120
    .language:       OpenCL C
    .language_version:
      - 2
      - 0
    .max_flat_workgroup_size: 128
    .name:           _ZN7rocprim17ROCPRIM_400000_NS6detail17trampoline_kernelINS0_14default_configENS1_27scan_by_key_config_selectorIj11FixedVectorIiLj2EEEEZZNS1_16scan_by_key_implILNS1_25lookback_scan_determinismE0ELb1ES3_N6thrust23THRUST_200600_302600_NS6detail15normal_iteratorINSB_10device_ptrIjEEEENSD_INSE_IS6_EEEESI_S6_NSB_4plusIvEENSB_8equal_toIvEES6_EE10hipError_tPvRmT2_T3_T4_T5_mT6_T7_P12ihipStream_tbENKUlT_T0_E_clISt17integral_constantIbLb1EES13_EEDaSY_SZ_EUlSY_E_NS1_11comp_targetILNS1_3genE3ELNS1_11target_archE908ELNS1_3gpuE7ELNS1_3repE0EEENS1_30default_config_static_selectorELNS0_4arch9wavefront6targetE1EEEvT1_
    .private_segment_fixed_size: 0
    .sgpr_count:     6
    .sgpr_spill_count: 0
    .symbol:         _ZN7rocprim17ROCPRIM_400000_NS6detail17trampoline_kernelINS0_14default_configENS1_27scan_by_key_config_selectorIj11FixedVectorIiLj2EEEEZZNS1_16scan_by_key_implILNS1_25lookback_scan_determinismE0ELb1ES3_N6thrust23THRUST_200600_302600_NS6detail15normal_iteratorINSB_10device_ptrIjEEEENSD_INSE_IS6_EEEESI_S6_NSB_4plusIvEENSB_8equal_toIvEES6_EE10hipError_tPvRmT2_T3_T4_T5_mT6_T7_P12ihipStream_tbENKUlT_T0_E_clISt17integral_constantIbLb1EES13_EEDaSY_SZ_EUlSY_E_NS1_11comp_targetILNS1_3genE3ELNS1_11target_archE908ELNS1_3gpuE7ELNS1_3repE0EEENS1_30default_config_static_selectorELNS0_4arch9wavefront6targetE1EEEvT1_.kd
    .uniform_work_group_size: 1
    .uses_dynamic_stack: false
    .vgpr_count:     0
    .vgpr_spill_count: 0
    .wavefront_size: 64
  - .agpr_count:     0
    .args:
      - .offset:         0
        .size:           120
        .value_kind:     by_value
    .group_segment_fixed_size: 0
    .kernarg_segment_align: 8
    .kernarg_segment_size: 120
    .language:       OpenCL C
    .language_version:
      - 2
      - 0
    .max_flat_workgroup_size: 64
    .name:           _ZN7rocprim17ROCPRIM_400000_NS6detail17trampoline_kernelINS0_14default_configENS1_27scan_by_key_config_selectorIj11FixedVectorIiLj2EEEEZZNS1_16scan_by_key_implILNS1_25lookback_scan_determinismE0ELb1ES3_N6thrust23THRUST_200600_302600_NS6detail15normal_iteratorINSB_10device_ptrIjEEEENSD_INSE_IS6_EEEESI_S6_NSB_4plusIvEENSB_8equal_toIvEES6_EE10hipError_tPvRmT2_T3_T4_T5_mT6_T7_P12ihipStream_tbENKUlT_T0_E_clISt17integral_constantIbLb1EES13_EEDaSY_SZ_EUlSY_E_NS1_11comp_targetILNS1_3genE2ELNS1_11target_archE906ELNS1_3gpuE6ELNS1_3repE0EEENS1_30default_config_static_selectorELNS0_4arch9wavefront6targetE1EEEvT1_
    .private_segment_fixed_size: 0
    .sgpr_count:     6
    .sgpr_spill_count: 0
    .symbol:         _ZN7rocprim17ROCPRIM_400000_NS6detail17trampoline_kernelINS0_14default_configENS1_27scan_by_key_config_selectorIj11FixedVectorIiLj2EEEEZZNS1_16scan_by_key_implILNS1_25lookback_scan_determinismE0ELb1ES3_N6thrust23THRUST_200600_302600_NS6detail15normal_iteratorINSB_10device_ptrIjEEEENSD_INSE_IS6_EEEESI_S6_NSB_4plusIvEENSB_8equal_toIvEES6_EE10hipError_tPvRmT2_T3_T4_T5_mT6_T7_P12ihipStream_tbENKUlT_T0_E_clISt17integral_constantIbLb1EES13_EEDaSY_SZ_EUlSY_E_NS1_11comp_targetILNS1_3genE2ELNS1_11target_archE906ELNS1_3gpuE6ELNS1_3repE0EEENS1_30default_config_static_selectorELNS0_4arch9wavefront6targetE1EEEvT1_.kd
    .uniform_work_group_size: 1
    .uses_dynamic_stack: false
    .vgpr_count:     0
    .vgpr_spill_count: 0
    .wavefront_size: 64
  - .agpr_count:     0
    .args:
      - .offset:         0
        .size:           120
        .value_kind:     by_value
    .group_segment_fixed_size: 0
    .kernarg_segment_align: 8
    .kernarg_segment_size: 120
    .language:       OpenCL C
    .language_version:
      - 2
      - 0
    .max_flat_workgroup_size: 256
    .name:           _ZN7rocprim17ROCPRIM_400000_NS6detail17trampoline_kernelINS0_14default_configENS1_27scan_by_key_config_selectorIj11FixedVectorIiLj2EEEEZZNS1_16scan_by_key_implILNS1_25lookback_scan_determinismE0ELb1ES3_N6thrust23THRUST_200600_302600_NS6detail15normal_iteratorINSB_10device_ptrIjEEEENSD_INSE_IS6_EEEESI_S6_NSB_4plusIvEENSB_8equal_toIvEES6_EE10hipError_tPvRmT2_T3_T4_T5_mT6_T7_P12ihipStream_tbENKUlT_T0_E_clISt17integral_constantIbLb1EES13_EEDaSY_SZ_EUlSY_E_NS1_11comp_targetILNS1_3genE10ELNS1_11target_archE1200ELNS1_3gpuE4ELNS1_3repE0EEENS1_30default_config_static_selectorELNS0_4arch9wavefront6targetE1EEEvT1_
    .private_segment_fixed_size: 0
    .sgpr_count:     6
    .sgpr_spill_count: 0
    .symbol:         _ZN7rocprim17ROCPRIM_400000_NS6detail17trampoline_kernelINS0_14default_configENS1_27scan_by_key_config_selectorIj11FixedVectorIiLj2EEEEZZNS1_16scan_by_key_implILNS1_25lookback_scan_determinismE0ELb1ES3_N6thrust23THRUST_200600_302600_NS6detail15normal_iteratorINSB_10device_ptrIjEEEENSD_INSE_IS6_EEEESI_S6_NSB_4plusIvEENSB_8equal_toIvEES6_EE10hipError_tPvRmT2_T3_T4_T5_mT6_T7_P12ihipStream_tbENKUlT_T0_E_clISt17integral_constantIbLb1EES13_EEDaSY_SZ_EUlSY_E_NS1_11comp_targetILNS1_3genE10ELNS1_11target_archE1200ELNS1_3gpuE4ELNS1_3repE0EEENS1_30default_config_static_selectorELNS0_4arch9wavefront6targetE1EEEvT1_.kd
    .uniform_work_group_size: 1
    .uses_dynamic_stack: false
    .vgpr_count:     0
    .vgpr_spill_count: 0
    .wavefront_size: 64
  - .agpr_count:     0
    .args:
      - .offset:         0
        .size:           120
        .value_kind:     by_value
    .group_segment_fixed_size: 0
    .kernarg_segment_align: 8
    .kernarg_segment_size: 120
    .language:       OpenCL C
    .language_version:
      - 2
      - 0
    .max_flat_workgroup_size: 256
    .name:           _ZN7rocprim17ROCPRIM_400000_NS6detail17trampoline_kernelINS0_14default_configENS1_27scan_by_key_config_selectorIj11FixedVectorIiLj2EEEEZZNS1_16scan_by_key_implILNS1_25lookback_scan_determinismE0ELb1ES3_N6thrust23THRUST_200600_302600_NS6detail15normal_iteratorINSB_10device_ptrIjEEEENSD_INSE_IS6_EEEESI_S6_NSB_4plusIvEENSB_8equal_toIvEES6_EE10hipError_tPvRmT2_T3_T4_T5_mT6_T7_P12ihipStream_tbENKUlT_T0_E_clISt17integral_constantIbLb1EES13_EEDaSY_SZ_EUlSY_E_NS1_11comp_targetILNS1_3genE9ELNS1_11target_archE1100ELNS1_3gpuE3ELNS1_3repE0EEENS1_30default_config_static_selectorELNS0_4arch9wavefront6targetE1EEEvT1_
    .private_segment_fixed_size: 0
    .sgpr_count:     6
    .sgpr_spill_count: 0
    .symbol:         _ZN7rocprim17ROCPRIM_400000_NS6detail17trampoline_kernelINS0_14default_configENS1_27scan_by_key_config_selectorIj11FixedVectorIiLj2EEEEZZNS1_16scan_by_key_implILNS1_25lookback_scan_determinismE0ELb1ES3_N6thrust23THRUST_200600_302600_NS6detail15normal_iteratorINSB_10device_ptrIjEEEENSD_INSE_IS6_EEEESI_S6_NSB_4plusIvEENSB_8equal_toIvEES6_EE10hipError_tPvRmT2_T3_T4_T5_mT6_T7_P12ihipStream_tbENKUlT_T0_E_clISt17integral_constantIbLb1EES13_EEDaSY_SZ_EUlSY_E_NS1_11comp_targetILNS1_3genE9ELNS1_11target_archE1100ELNS1_3gpuE3ELNS1_3repE0EEENS1_30default_config_static_selectorELNS0_4arch9wavefront6targetE1EEEvT1_.kd
    .uniform_work_group_size: 1
    .uses_dynamic_stack: false
    .vgpr_count:     0
    .vgpr_spill_count: 0
    .wavefront_size: 64
  - .agpr_count:     0
    .args:
      - .offset:         0
        .size:           120
        .value_kind:     by_value
    .group_segment_fixed_size: 0
    .kernarg_segment_align: 8
    .kernarg_segment_size: 120
    .language:       OpenCL C
    .language_version:
      - 2
      - 0
    .max_flat_workgroup_size: 256
    .name:           _ZN7rocprim17ROCPRIM_400000_NS6detail17trampoline_kernelINS0_14default_configENS1_27scan_by_key_config_selectorIj11FixedVectorIiLj2EEEEZZNS1_16scan_by_key_implILNS1_25lookback_scan_determinismE0ELb1ES3_N6thrust23THRUST_200600_302600_NS6detail15normal_iteratorINSB_10device_ptrIjEEEENSD_INSE_IS6_EEEESI_S6_NSB_4plusIvEENSB_8equal_toIvEES6_EE10hipError_tPvRmT2_T3_T4_T5_mT6_T7_P12ihipStream_tbENKUlT_T0_E_clISt17integral_constantIbLb1EES13_EEDaSY_SZ_EUlSY_E_NS1_11comp_targetILNS1_3genE8ELNS1_11target_archE1030ELNS1_3gpuE2ELNS1_3repE0EEENS1_30default_config_static_selectorELNS0_4arch9wavefront6targetE1EEEvT1_
    .private_segment_fixed_size: 0
    .sgpr_count:     6
    .sgpr_spill_count: 0
    .symbol:         _ZN7rocprim17ROCPRIM_400000_NS6detail17trampoline_kernelINS0_14default_configENS1_27scan_by_key_config_selectorIj11FixedVectorIiLj2EEEEZZNS1_16scan_by_key_implILNS1_25lookback_scan_determinismE0ELb1ES3_N6thrust23THRUST_200600_302600_NS6detail15normal_iteratorINSB_10device_ptrIjEEEENSD_INSE_IS6_EEEESI_S6_NSB_4plusIvEENSB_8equal_toIvEES6_EE10hipError_tPvRmT2_T3_T4_T5_mT6_T7_P12ihipStream_tbENKUlT_T0_E_clISt17integral_constantIbLb1EES13_EEDaSY_SZ_EUlSY_E_NS1_11comp_targetILNS1_3genE8ELNS1_11target_archE1030ELNS1_3gpuE2ELNS1_3repE0EEENS1_30default_config_static_selectorELNS0_4arch9wavefront6targetE1EEEvT1_.kd
    .uniform_work_group_size: 1
    .uses_dynamic_stack: false
    .vgpr_count:     0
    .vgpr_spill_count: 0
    .wavefront_size: 64
  - .agpr_count:     0
    .args:
      - .offset:         0
        .size:           120
        .value_kind:     by_value
    .group_segment_fixed_size: 0
    .kernarg_segment_align: 8
    .kernarg_segment_size: 120
    .language:       OpenCL C
    .language_version:
      - 2
      - 0
    .max_flat_workgroup_size: 128
    .name:           _ZN7rocprim17ROCPRIM_400000_NS6detail17trampoline_kernelINS0_14default_configENS1_27scan_by_key_config_selectorIj11FixedVectorIiLj2EEEEZZNS1_16scan_by_key_implILNS1_25lookback_scan_determinismE0ELb1ES3_N6thrust23THRUST_200600_302600_NS6detail15normal_iteratorINSB_10device_ptrIjEEEENSD_INSE_IS6_EEEESI_S6_NSB_4plusIvEENSB_8equal_toIvEES6_EE10hipError_tPvRmT2_T3_T4_T5_mT6_T7_P12ihipStream_tbENKUlT_T0_E_clISt17integral_constantIbLb1EES12_IbLb0EEEEDaSY_SZ_EUlSY_E_NS1_11comp_targetILNS1_3genE0ELNS1_11target_archE4294967295ELNS1_3gpuE0ELNS1_3repE0EEENS1_30default_config_static_selectorELNS0_4arch9wavefront6targetE1EEEvT1_
    .private_segment_fixed_size: 0
    .sgpr_count:     6
    .sgpr_spill_count: 0
    .symbol:         _ZN7rocprim17ROCPRIM_400000_NS6detail17trampoline_kernelINS0_14default_configENS1_27scan_by_key_config_selectorIj11FixedVectorIiLj2EEEEZZNS1_16scan_by_key_implILNS1_25lookback_scan_determinismE0ELb1ES3_N6thrust23THRUST_200600_302600_NS6detail15normal_iteratorINSB_10device_ptrIjEEEENSD_INSE_IS6_EEEESI_S6_NSB_4plusIvEENSB_8equal_toIvEES6_EE10hipError_tPvRmT2_T3_T4_T5_mT6_T7_P12ihipStream_tbENKUlT_T0_E_clISt17integral_constantIbLb1EES12_IbLb0EEEEDaSY_SZ_EUlSY_E_NS1_11comp_targetILNS1_3genE0ELNS1_11target_archE4294967295ELNS1_3gpuE0ELNS1_3repE0EEENS1_30default_config_static_selectorELNS0_4arch9wavefront6targetE1EEEvT1_.kd
    .uniform_work_group_size: 1
    .uses_dynamic_stack: false
    .vgpr_count:     0
    .vgpr_spill_count: 0
    .wavefront_size: 64
  - .agpr_count:     0
    .args:
      - .offset:         0
        .size:           120
        .value_kind:     by_value
    .group_segment_fixed_size: 0
    .kernarg_segment_align: 8
    .kernarg_segment_size: 120
    .language:       OpenCL C
    .language_version:
      - 2
      - 0
    .max_flat_workgroup_size: 256
    .name:           _ZN7rocprim17ROCPRIM_400000_NS6detail17trampoline_kernelINS0_14default_configENS1_27scan_by_key_config_selectorIj11FixedVectorIiLj2EEEEZZNS1_16scan_by_key_implILNS1_25lookback_scan_determinismE0ELb1ES3_N6thrust23THRUST_200600_302600_NS6detail15normal_iteratorINSB_10device_ptrIjEEEENSD_INSE_IS6_EEEESI_S6_NSB_4plusIvEENSB_8equal_toIvEES6_EE10hipError_tPvRmT2_T3_T4_T5_mT6_T7_P12ihipStream_tbENKUlT_T0_E_clISt17integral_constantIbLb1EES12_IbLb0EEEEDaSY_SZ_EUlSY_E_NS1_11comp_targetILNS1_3genE10ELNS1_11target_archE1201ELNS1_3gpuE5ELNS1_3repE0EEENS1_30default_config_static_selectorELNS0_4arch9wavefront6targetE1EEEvT1_
    .private_segment_fixed_size: 0
    .sgpr_count:     6
    .sgpr_spill_count: 0
    .symbol:         _ZN7rocprim17ROCPRIM_400000_NS6detail17trampoline_kernelINS0_14default_configENS1_27scan_by_key_config_selectorIj11FixedVectorIiLj2EEEEZZNS1_16scan_by_key_implILNS1_25lookback_scan_determinismE0ELb1ES3_N6thrust23THRUST_200600_302600_NS6detail15normal_iteratorINSB_10device_ptrIjEEEENSD_INSE_IS6_EEEESI_S6_NSB_4plusIvEENSB_8equal_toIvEES6_EE10hipError_tPvRmT2_T3_T4_T5_mT6_T7_P12ihipStream_tbENKUlT_T0_E_clISt17integral_constantIbLb1EES12_IbLb0EEEEDaSY_SZ_EUlSY_E_NS1_11comp_targetILNS1_3genE10ELNS1_11target_archE1201ELNS1_3gpuE5ELNS1_3repE0EEENS1_30default_config_static_selectorELNS0_4arch9wavefront6targetE1EEEvT1_.kd
    .uniform_work_group_size: 1
    .uses_dynamic_stack: false
    .vgpr_count:     0
    .vgpr_spill_count: 0
    .wavefront_size: 64
  - .agpr_count:     0
    .args:
      - .offset:         0
        .size:           120
        .value_kind:     by_value
    .group_segment_fixed_size: 43008
    .kernarg_segment_align: 8
    .kernarg_segment_size: 120
    .language:       OpenCL C
    .language_version:
      - 2
      - 0
    .max_flat_workgroup_size: 256
    .name:           _ZN7rocprim17ROCPRIM_400000_NS6detail17trampoline_kernelINS0_14default_configENS1_27scan_by_key_config_selectorIj11FixedVectorIiLj2EEEEZZNS1_16scan_by_key_implILNS1_25lookback_scan_determinismE0ELb1ES3_N6thrust23THRUST_200600_302600_NS6detail15normal_iteratorINSB_10device_ptrIjEEEENSD_INSE_IS6_EEEESI_S6_NSB_4plusIvEENSB_8equal_toIvEES6_EE10hipError_tPvRmT2_T3_T4_T5_mT6_T7_P12ihipStream_tbENKUlT_T0_E_clISt17integral_constantIbLb1EES12_IbLb0EEEEDaSY_SZ_EUlSY_E_NS1_11comp_targetILNS1_3genE5ELNS1_11target_archE942ELNS1_3gpuE9ELNS1_3repE0EEENS1_30default_config_static_selectorELNS0_4arch9wavefront6targetE1EEEvT1_
    .private_segment_fixed_size: 0
    .sgpr_count:     82
    .sgpr_spill_count: 0
    .symbol:         _ZN7rocprim17ROCPRIM_400000_NS6detail17trampoline_kernelINS0_14default_configENS1_27scan_by_key_config_selectorIj11FixedVectorIiLj2EEEEZZNS1_16scan_by_key_implILNS1_25lookback_scan_determinismE0ELb1ES3_N6thrust23THRUST_200600_302600_NS6detail15normal_iteratorINSB_10device_ptrIjEEEENSD_INSE_IS6_EEEESI_S6_NSB_4plusIvEENSB_8equal_toIvEES6_EE10hipError_tPvRmT2_T3_T4_T5_mT6_T7_P12ihipStream_tbENKUlT_T0_E_clISt17integral_constantIbLb1EES12_IbLb0EEEEDaSY_SZ_EUlSY_E_NS1_11comp_targetILNS1_3genE5ELNS1_11target_archE942ELNS1_3gpuE9ELNS1_3repE0EEENS1_30default_config_static_selectorELNS0_4arch9wavefront6targetE1EEEvT1_.kd
    .uniform_work_group_size: 1
    .uses_dynamic_stack: false
    .vgpr_count:     127
    .vgpr_spill_count: 0
    .wavefront_size: 64
  - .agpr_count:     0
    .args:
      - .offset:         0
        .size:           120
        .value_kind:     by_value
    .group_segment_fixed_size: 0
    .kernarg_segment_align: 8
    .kernarg_segment_size: 120
    .language:       OpenCL C
    .language_version:
      - 2
      - 0
    .max_flat_workgroup_size: 64
    .name:           _ZN7rocprim17ROCPRIM_400000_NS6detail17trampoline_kernelINS0_14default_configENS1_27scan_by_key_config_selectorIj11FixedVectorIiLj2EEEEZZNS1_16scan_by_key_implILNS1_25lookback_scan_determinismE0ELb1ES3_N6thrust23THRUST_200600_302600_NS6detail15normal_iteratorINSB_10device_ptrIjEEEENSD_INSE_IS6_EEEESI_S6_NSB_4plusIvEENSB_8equal_toIvEES6_EE10hipError_tPvRmT2_T3_T4_T5_mT6_T7_P12ihipStream_tbENKUlT_T0_E_clISt17integral_constantIbLb1EES12_IbLb0EEEEDaSY_SZ_EUlSY_E_NS1_11comp_targetILNS1_3genE4ELNS1_11target_archE910ELNS1_3gpuE8ELNS1_3repE0EEENS1_30default_config_static_selectorELNS0_4arch9wavefront6targetE1EEEvT1_
    .private_segment_fixed_size: 0
    .sgpr_count:     6
    .sgpr_spill_count: 0
    .symbol:         _ZN7rocprim17ROCPRIM_400000_NS6detail17trampoline_kernelINS0_14default_configENS1_27scan_by_key_config_selectorIj11FixedVectorIiLj2EEEEZZNS1_16scan_by_key_implILNS1_25lookback_scan_determinismE0ELb1ES3_N6thrust23THRUST_200600_302600_NS6detail15normal_iteratorINSB_10device_ptrIjEEEENSD_INSE_IS6_EEEESI_S6_NSB_4plusIvEENSB_8equal_toIvEES6_EE10hipError_tPvRmT2_T3_T4_T5_mT6_T7_P12ihipStream_tbENKUlT_T0_E_clISt17integral_constantIbLb1EES12_IbLb0EEEEDaSY_SZ_EUlSY_E_NS1_11comp_targetILNS1_3genE4ELNS1_11target_archE910ELNS1_3gpuE8ELNS1_3repE0EEENS1_30default_config_static_selectorELNS0_4arch9wavefront6targetE1EEEvT1_.kd
    .uniform_work_group_size: 1
    .uses_dynamic_stack: false
    .vgpr_count:     0
    .vgpr_spill_count: 0
    .wavefront_size: 64
  - .agpr_count:     0
    .args:
      - .offset:         0
        .size:           120
        .value_kind:     by_value
    .group_segment_fixed_size: 0
    .kernarg_segment_align: 8
    .kernarg_segment_size: 120
    .language:       OpenCL C
    .language_version:
      - 2
      - 0
    .max_flat_workgroup_size: 128
    .name:           _ZN7rocprim17ROCPRIM_400000_NS6detail17trampoline_kernelINS0_14default_configENS1_27scan_by_key_config_selectorIj11FixedVectorIiLj2EEEEZZNS1_16scan_by_key_implILNS1_25lookback_scan_determinismE0ELb1ES3_N6thrust23THRUST_200600_302600_NS6detail15normal_iteratorINSB_10device_ptrIjEEEENSD_INSE_IS6_EEEESI_S6_NSB_4plusIvEENSB_8equal_toIvEES6_EE10hipError_tPvRmT2_T3_T4_T5_mT6_T7_P12ihipStream_tbENKUlT_T0_E_clISt17integral_constantIbLb1EES12_IbLb0EEEEDaSY_SZ_EUlSY_E_NS1_11comp_targetILNS1_3genE3ELNS1_11target_archE908ELNS1_3gpuE7ELNS1_3repE0EEENS1_30default_config_static_selectorELNS0_4arch9wavefront6targetE1EEEvT1_
    .private_segment_fixed_size: 0
    .sgpr_count:     6
    .sgpr_spill_count: 0
    .symbol:         _ZN7rocprim17ROCPRIM_400000_NS6detail17trampoline_kernelINS0_14default_configENS1_27scan_by_key_config_selectorIj11FixedVectorIiLj2EEEEZZNS1_16scan_by_key_implILNS1_25lookback_scan_determinismE0ELb1ES3_N6thrust23THRUST_200600_302600_NS6detail15normal_iteratorINSB_10device_ptrIjEEEENSD_INSE_IS6_EEEESI_S6_NSB_4plusIvEENSB_8equal_toIvEES6_EE10hipError_tPvRmT2_T3_T4_T5_mT6_T7_P12ihipStream_tbENKUlT_T0_E_clISt17integral_constantIbLb1EES12_IbLb0EEEEDaSY_SZ_EUlSY_E_NS1_11comp_targetILNS1_3genE3ELNS1_11target_archE908ELNS1_3gpuE7ELNS1_3repE0EEENS1_30default_config_static_selectorELNS0_4arch9wavefront6targetE1EEEvT1_.kd
    .uniform_work_group_size: 1
    .uses_dynamic_stack: false
    .vgpr_count:     0
    .vgpr_spill_count: 0
    .wavefront_size: 64
  - .agpr_count:     0
    .args:
      - .offset:         0
        .size:           120
        .value_kind:     by_value
    .group_segment_fixed_size: 0
    .kernarg_segment_align: 8
    .kernarg_segment_size: 120
    .language:       OpenCL C
    .language_version:
      - 2
      - 0
    .max_flat_workgroup_size: 64
    .name:           _ZN7rocprim17ROCPRIM_400000_NS6detail17trampoline_kernelINS0_14default_configENS1_27scan_by_key_config_selectorIj11FixedVectorIiLj2EEEEZZNS1_16scan_by_key_implILNS1_25lookback_scan_determinismE0ELb1ES3_N6thrust23THRUST_200600_302600_NS6detail15normal_iteratorINSB_10device_ptrIjEEEENSD_INSE_IS6_EEEESI_S6_NSB_4plusIvEENSB_8equal_toIvEES6_EE10hipError_tPvRmT2_T3_T4_T5_mT6_T7_P12ihipStream_tbENKUlT_T0_E_clISt17integral_constantIbLb1EES12_IbLb0EEEEDaSY_SZ_EUlSY_E_NS1_11comp_targetILNS1_3genE2ELNS1_11target_archE906ELNS1_3gpuE6ELNS1_3repE0EEENS1_30default_config_static_selectorELNS0_4arch9wavefront6targetE1EEEvT1_
    .private_segment_fixed_size: 0
    .sgpr_count:     6
    .sgpr_spill_count: 0
    .symbol:         _ZN7rocprim17ROCPRIM_400000_NS6detail17trampoline_kernelINS0_14default_configENS1_27scan_by_key_config_selectorIj11FixedVectorIiLj2EEEEZZNS1_16scan_by_key_implILNS1_25lookback_scan_determinismE0ELb1ES3_N6thrust23THRUST_200600_302600_NS6detail15normal_iteratorINSB_10device_ptrIjEEEENSD_INSE_IS6_EEEESI_S6_NSB_4plusIvEENSB_8equal_toIvEES6_EE10hipError_tPvRmT2_T3_T4_T5_mT6_T7_P12ihipStream_tbENKUlT_T0_E_clISt17integral_constantIbLb1EES12_IbLb0EEEEDaSY_SZ_EUlSY_E_NS1_11comp_targetILNS1_3genE2ELNS1_11target_archE906ELNS1_3gpuE6ELNS1_3repE0EEENS1_30default_config_static_selectorELNS0_4arch9wavefront6targetE1EEEvT1_.kd
    .uniform_work_group_size: 1
    .uses_dynamic_stack: false
    .vgpr_count:     0
    .vgpr_spill_count: 0
    .wavefront_size: 64
  - .agpr_count:     0
    .args:
      - .offset:         0
        .size:           120
        .value_kind:     by_value
    .group_segment_fixed_size: 0
    .kernarg_segment_align: 8
    .kernarg_segment_size: 120
    .language:       OpenCL C
    .language_version:
      - 2
      - 0
    .max_flat_workgroup_size: 256
    .name:           _ZN7rocprim17ROCPRIM_400000_NS6detail17trampoline_kernelINS0_14default_configENS1_27scan_by_key_config_selectorIj11FixedVectorIiLj2EEEEZZNS1_16scan_by_key_implILNS1_25lookback_scan_determinismE0ELb1ES3_N6thrust23THRUST_200600_302600_NS6detail15normal_iteratorINSB_10device_ptrIjEEEENSD_INSE_IS6_EEEESI_S6_NSB_4plusIvEENSB_8equal_toIvEES6_EE10hipError_tPvRmT2_T3_T4_T5_mT6_T7_P12ihipStream_tbENKUlT_T0_E_clISt17integral_constantIbLb1EES12_IbLb0EEEEDaSY_SZ_EUlSY_E_NS1_11comp_targetILNS1_3genE10ELNS1_11target_archE1200ELNS1_3gpuE4ELNS1_3repE0EEENS1_30default_config_static_selectorELNS0_4arch9wavefront6targetE1EEEvT1_
    .private_segment_fixed_size: 0
    .sgpr_count:     6
    .sgpr_spill_count: 0
    .symbol:         _ZN7rocprim17ROCPRIM_400000_NS6detail17trampoline_kernelINS0_14default_configENS1_27scan_by_key_config_selectorIj11FixedVectorIiLj2EEEEZZNS1_16scan_by_key_implILNS1_25lookback_scan_determinismE0ELb1ES3_N6thrust23THRUST_200600_302600_NS6detail15normal_iteratorINSB_10device_ptrIjEEEENSD_INSE_IS6_EEEESI_S6_NSB_4plusIvEENSB_8equal_toIvEES6_EE10hipError_tPvRmT2_T3_T4_T5_mT6_T7_P12ihipStream_tbENKUlT_T0_E_clISt17integral_constantIbLb1EES12_IbLb0EEEEDaSY_SZ_EUlSY_E_NS1_11comp_targetILNS1_3genE10ELNS1_11target_archE1200ELNS1_3gpuE4ELNS1_3repE0EEENS1_30default_config_static_selectorELNS0_4arch9wavefront6targetE1EEEvT1_.kd
    .uniform_work_group_size: 1
    .uses_dynamic_stack: false
    .vgpr_count:     0
    .vgpr_spill_count: 0
    .wavefront_size: 64
  - .agpr_count:     0
    .args:
      - .offset:         0
        .size:           120
        .value_kind:     by_value
    .group_segment_fixed_size: 0
    .kernarg_segment_align: 8
    .kernarg_segment_size: 120
    .language:       OpenCL C
    .language_version:
      - 2
      - 0
    .max_flat_workgroup_size: 256
    .name:           _ZN7rocprim17ROCPRIM_400000_NS6detail17trampoline_kernelINS0_14default_configENS1_27scan_by_key_config_selectorIj11FixedVectorIiLj2EEEEZZNS1_16scan_by_key_implILNS1_25lookback_scan_determinismE0ELb1ES3_N6thrust23THRUST_200600_302600_NS6detail15normal_iteratorINSB_10device_ptrIjEEEENSD_INSE_IS6_EEEESI_S6_NSB_4plusIvEENSB_8equal_toIvEES6_EE10hipError_tPvRmT2_T3_T4_T5_mT6_T7_P12ihipStream_tbENKUlT_T0_E_clISt17integral_constantIbLb1EES12_IbLb0EEEEDaSY_SZ_EUlSY_E_NS1_11comp_targetILNS1_3genE9ELNS1_11target_archE1100ELNS1_3gpuE3ELNS1_3repE0EEENS1_30default_config_static_selectorELNS0_4arch9wavefront6targetE1EEEvT1_
    .private_segment_fixed_size: 0
    .sgpr_count:     6
    .sgpr_spill_count: 0
    .symbol:         _ZN7rocprim17ROCPRIM_400000_NS6detail17trampoline_kernelINS0_14default_configENS1_27scan_by_key_config_selectorIj11FixedVectorIiLj2EEEEZZNS1_16scan_by_key_implILNS1_25lookback_scan_determinismE0ELb1ES3_N6thrust23THRUST_200600_302600_NS6detail15normal_iteratorINSB_10device_ptrIjEEEENSD_INSE_IS6_EEEESI_S6_NSB_4plusIvEENSB_8equal_toIvEES6_EE10hipError_tPvRmT2_T3_T4_T5_mT6_T7_P12ihipStream_tbENKUlT_T0_E_clISt17integral_constantIbLb1EES12_IbLb0EEEEDaSY_SZ_EUlSY_E_NS1_11comp_targetILNS1_3genE9ELNS1_11target_archE1100ELNS1_3gpuE3ELNS1_3repE0EEENS1_30default_config_static_selectorELNS0_4arch9wavefront6targetE1EEEvT1_.kd
    .uniform_work_group_size: 1
    .uses_dynamic_stack: false
    .vgpr_count:     0
    .vgpr_spill_count: 0
    .wavefront_size: 64
  - .agpr_count:     0
    .args:
      - .offset:         0
        .size:           120
        .value_kind:     by_value
    .group_segment_fixed_size: 0
    .kernarg_segment_align: 8
    .kernarg_segment_size: 120
    .language:       OpenCL C
    .language_version:
      - 2
      - 0
    .max_flat_workgroup_size: 256
    .name:           _ZN7rocprim17ROCPRIM_400000_NS6detail17trampoline_kernelINS0_14default_configENS1_27scan_by_key_config_selectorIj11FixedVectorIiLj2EEEEZZNS1_16scan_by_key_implILNS1_25lookback_scan_determinismE0ELb1ES3_N6thrust23THRUST_200600_302600_NS6detail15normal_iteratorINSB_10device_ptrIjEEEENSD_INSE_IS6_EEEESI_S6_NSB_4plusIvEENSB_8equal_toIvEES6_EE10hipError_tPvRmT2_T3_T4_T5_mT6_T7_P12ihipStream_tbENKUlT_T0_E_clISt17integral_constantIbLb1EES12_IbLb0EEEEDaSY_SZ_EUlSY_E_NS1_11comp_targetILNS1_3genE8ELNS1_11target_archE1030ELNS1_3gpuE2ELNS1_3repE0EEENS1_30default_config_static_selectorELNS0_4arch9wavefront6targetE1EEEvT1_
    .private_segment_fixed_size: 0
    .sgpr_count:     6
    .sgpr_spill_count: 0
    .symbol:         _ZN7rocprim17ROCPRIM_400000_NS6detail17trampoline_kernelINS0_14default_configENS1_27scan_by_key_config_selectorIj11FixedVectorIiLj2EEEEZZNS1_16scan_by_key_implILNS1_25lookback_scan_determinismE0ELb1ES3_N6thrust23THRUST_200600_302600_NS6detail15normal_iteratorINSB_10device_ptrIjEEEENSD_INSE_IS6_EEEESI_S6_NSB_4plusIvEENSB_8equal_toIvEES6_EE10hipError_tPvRmT2_T3_T4_T5_mT6_T7_P12ihipStream_tbENKUlT_T0_E_clISt17integral_constantIbLb1EES12_IbLb0EEEEDaSY_SZ_EUlSY_E_NS1_11comp_targetILNS1_3genE8ELNS1_11target_archE1030ELNS1_3gpuE2ELNS1_3repE0EEENS1_30default_config_static_selectorELNS0_4arch9wavefront6targetE1EEEvT1_.kd
    .uniform_work_group_size: 1
    .uses_dynamic_stack: false
    .vgpr_count:     0
    .vgpr_spill_count: 0
    .wavefront_size: 64
  - .agpr_count:     0
    .args:
      - .offset:         0
        .size:           120
        .value_kind:     by_value
    .group_segment_fixed_size: 0
    .kernarg_segment_align: 8
    .kernarg_segment_size: 120
    .language:       OpenCL C
    .language_version:
      - 2
      - 0
    .max_flat_workgroup_size: 128
    .name:           _ZN7rocprim17ROCPRIM_400000_NS6detail17trampoline_kernelINS0_14default_configENS1_27scan_by_key_config_selectorIj11FixedVectorIiLj2EEEEZZNS1_16scan_by_key_implILNS1_25lookback_scan_determinismE0ELb1ES3_N6thrust23THRUST_200600_302600_NS6detail15normal_iteratorINSB_10device_ptrIjEEEENSD_INSE_IS6_EEEESI_S6_NSB_4plusIvEENSB_8equal_toIvEES6_EE10hipError_tPvRmT2_T3_T4_T5_mT6_T7_P12ihipStream_tbENKUlT_T0_E_clISt17integral_constantIbLb0EES12_IbLb1EEEEDaSY_SZ_EUlSY_E_NS1_11comp_targetILNS1_3genE0ELNS1_11target_archE4294967295ELNS1_3gpuE0ELNS1_3repE0EEENS1_30default_config_static_selectorELNS0_4arch9wavefront6targetE1EEEvT1_
    .private_segment_fixed_size: 0
    .sgpr_count:     6
    .sgpr_spill_count: 0
    .symbol:         _ZN7rocprim17ROCPRIM_400000_NS6detail17trampoline_kernelINS0_14default_configENS1_27scan_by_key_config_selectorIj11FixedVectorIiLj2EEEEZZNS1_16scan_by_key_implILNS1_25lookback_scan_determinismE0ELb1ES3_N6thrust23THRUST_200600_302600_NS6detail15normal_iteratorINSB_10device_ptrIjEEEENSD_INSE_IS6_EEEESI_S6_NSB_4plusIvEENSB_8equal_toIvEES6_EE10hipError_tPvRmT2_T3_T4_T5_mT6_T7_P12ihipStream_tbENKUlT_T0_E_clISt17integral_constantIbLb0EES12_IbLb1EEEEDaSY_SZ_EUlSY_E_NS1_11comp_targetILNS1_3genE0ELNS1_11target_archE4294967295ELNS1_3gpuE0ELNS1_3repE0EEENS1_30default_config_static_selectorELNS0_4arch9wavefront6targetE1EEEvT1_.kd
    .uniform_work_group_size: 1
    .uses_dynamic_stack: false
    .vgpr_count:     0
    .vgpr_spill_count: 0
    .wavefront_size: 64
  - .agpr_count:     0
    .args:
      - .offset:         0
        .size:           120
        .value_kind:     by_value
    .group_segment_fixed_size: 0
    .kernarg_segment_align: 8
    .kernarg_segment_size: 120
    .language:       OpenCL C
    .language_version:
      - 2
      - 0
    .max_flat_workgroup_size: 256
    .name:           _ZN7rocprim17ROCPRIM_400000_NS6detail17trampoline_kernelINS0_14default_configENS1_27scan_by_key_config_selectorIj11FixedVectorIiLj2EEEEZZNS1_16scan_by_key_implILNS1_25lookback_scan_determinismE0ELb1ES3_N6thrust23THRUST_200600_302600_NS6detail15normal_iteratorINSB_10device_ptrIjEEEENSD_INSE_IS6_EEEESI_S6_NSB_4plusIvEENSB_8equal_toIvEES6_EE10hipError_tPvRmT2_T3_T4_T5_mT6_T7_P12ihipStream_tbENKUlT_T0_E_clISt17integral_constantIbLb0EES12_IbLb1EEEEDaSY_SZ_EUlSY_E_NS1_11comp_targetILNS1_3genE10ELNS1_11target_archE1201ELNS1_3gpuE5ELNS1_3repE0EEENS1_30default_config_static_selectorELNS0_4arch9wavefront6targetE1EEEvT1_
    .private_segment_fixed_size: 0
    .sgpr_count:     6
    .sgpr_spill_count: 0
    .symbol:         _ZN7rocprim17ROCPRIM_400000_NS6detail17trampoline_kernelINS0_14default_configENS1_27scan_by_key_config_selectorIj11FixedVectorIiLj2EEEEZZNS1_16scan_by_key_implILNS1_25lookback_scan_determinismE0ELb1ES3_N6thrust23THRUST_200600_302600_NS6detail15normal_iteratorINSB_10device_ptrIjEEEENSD_INSE_IS6_EEEESI_S6_NSB_4plusIvEENSB_8equal_toIvEES6_EE10hipError_tPvRmT2_T3_T4_T5_mT6_T7_P12ihipStream_tbENKUlT_T0_E_clISt17integral_constantIbLb0EES12_IbLb1EEEEDaSY_SZ_EUlSY_E_NS1_11comp_targetILNS1_3genE10ELNS1_11target_archE1201ELNS1_3gpuE5ELNS1_3repE0EEENS1_30default_config_static_selectorELNS0_4arch9wavefront6targetE1EEEvT1_.kd
    .uniform_work_group_size: 1
    .uses_dynamic_stack: false
    .vgpr_count:     0
    .vgpr_spill_count: 0
    .wavefront_size: 64
  - .agpr_count:     0
    .args:
      - .offset:         0
        .size:           120
        .value_kind:     by_value
    .group_segment_fixed_size: 43008
    .kernarg_segment_align: 8
    .kernarg_segment_size: 120
    .language:       OpenCL C
    .language_version:
      - 2
      - 0
    .max_flat_workgroup_size: 256
    .name:           _ZN7rocprim17ROCPRIM_400000_NS6detail17trampoline_kernelINS0_14default_configENS1_27scan_by_key_config_selectorIj11FixedVectorIiLj2EEEEZZNS1_16scan_by_key_implILNS1_25lookback_scan_determinismE0ELb1ES3_N6thrust23THRUST_200600_302600_NS6detail15normal_iteratorINSB_10device_ptrIjEEEENSD_INSE_IS6_EEEESI_S6_NSB_4plusIvEENSB_8equal_toIvEES6_EE10hipError_tPvRmT2_T3_T4_T5_mT6_T7_P12ihipStream_tbENKUlT_T0_E_clISt17integral_constantIbLb0EES12_IbLb1EEEEDaSY_SZ_EUlSY_E_NS1_11comp_targetILNS1_3genE5ELNS1_11target_archE942ELNS1_3gpuE9ELNS1_3repE0EEENS1_30default_config_static_selectorELNS0_4arch9wavefront6targetE1EEEvT1_
    .private_segment_fixed_size: 0
    .sgpr_count:     82
    .sgpr_spill_count: 0
    .symbol:         _ZN7rocprim17ROCPRIM_400000_NS6detail17trampoline_kernelINS0_14default_configENS1_27scan_by_key_config_selectorIj11FixedVectorIiLj2EEEEZZNS1_16scan_by_key_implILNS1_25lookback_scan_determinismE0ELb1ES3_N6thrust23THRUST_200600_302600_NS6detail15normal_iteratorINSB_10device_ptrIjEEEENSD_INSE_IS6_EEEESI_S6_NSB_4plusIvEENSB_8equal_toIvEES6_EE10hipError_tPvRmT2_T3_T4_T5_mT6_T7_P12ihipStream_tbENKUlT_T0_E_clISt17integral_constantIbLb0EES12_IbLb1EEEEDaSY_SZ_EUlSY_E_NS1_11comp_targetILNS1_3genE5ELNS1_11target_archE942ELNS1_3gpuE9ELNS1_3repE0EEENS1_30default_config_static_selectorELNS0_4arch9wavefront6targetE1EEEvT1_.kd
    .uniform_work_group_size: 1
    .uses_dynamic_stack: false
    .vgpr_count:     129
    .vgpr_spill_count: 0
    .wavefront_size: 64
  - .agpr_count:     0
    .args:
      - .offset:         0
        .size:           120
        .value_kind:     by_value
    .group_segment_fixed_size: 0
    .kernarg_segment_align: 8
    .kernarg_segment_size: 120
    .language:       OpenCL C
    .language_version:
      - 2
      - 0
    .max_flat_workgroup_size: 64
    .name:           _ZN7rocprim17ROCPRIM_400000_NS6detail17trampoline_kernelINS0_14default_configENS1_27scan_by_key_config_selectorIj11FixedVectorIiLj2EEEEZZNS1_16scan_by_key_implILNS1_25lookback_scan_determinismE0ELb1ES3_N6thrust23THRUST_200600_302600_NS6detail15normal_iteratorINSB_10device_ptrIjEEEENSD_INSE_IS6_EEEESI_S6_NSB_4plusIvEENSB_8equal_toIvEES6_EE10hipError_tPvRmT2_T3_T4_T5_mT6_T7_P12ihipStream_tbENKUlT_T0_E_clISt17integral_constantIbLb0EES12_IbLb1EEEEDaSY_SZ_EUlSY_E_NS1_11comp_targetILNS1_3genE4ELNS1_11target_archE910ELNS1_3gpuE8ELNS1_3repE0EEENS1_30default_config_static_selectorELNS0_4arch9wavefront6targetE1EEEvT1_
    .private_segment_fixed_size: 0
    .sgpr_count:     6
    .sgpr_spill_count: 0
    .symbol:         _ZN7rocprim17ROCPRIM_400000_NS6detail17trampoline_kernelINS0_14default_configENS1_27scan_by_key_config_selectorIj11FixedVectorIiLj2EEEEZZNS1_16scan_by_key_implILNS1_25lookback_scan_determinismE0ELb1ES3_N6thrust23THRUST_200600_302600_NS6detail15normal_iteratorINSB_10device_ptrIjEEEENSD_INSE_IS6_EEEESI_S6_NSB_4plusIvEENSB_8equal_toIvEES6_EE10hipError_tPvRmT2_T3_T4_T5_mT6_T7_P12ihipStream_tbENKUlT_T0_E_clISt17integral_constantIbLb0EES12_IbLb1EEEEDaSY_SZ_EUlSY_E_NS1_11comp_targetILNS1_3genE4ELNS1_11target_archE910ELNS1_3gpuE8ELNS1_3repE0EEENS1_30default_config_static_selectorELNS0_4arch9wavefront6targetE1EEEvT1_.kd
    .uniform_work_group_size: 1
    .uses_dynamic_stack: false
    .vgpr_count:     0
    .vgpr_spill_count: 0
    .wavefront_size: 64
  - .agpr_count:     0
    .args:
      - .offset:         0
        .size:           120
        .value_kind:     by_value
    .group_segment_fixed_size: 0
    .kernarg_segment_align: 8
    .kernarg_segment_size: 120
    .language:       OpenCL C
    .language_version:
      - 2
      - 0
    .max_flat_workgroup_size: 128
    .name:           _ZN7rocprim17ROCPRIM_400000_NS6detail17trampoline_kernelINS0_14default_configENS1_27scan_by_key_config_selectorIj11FixedVectorIiLj2EEEEZZNS1_16scan_by_key_implILNS1_25lookback_scan_determinismE0ELb1ES3_N6thrust23THRUST_200600_302600_NS6detail15normal_iteratorINSB_10device_ptrIjEEEENSD_INSE_IS6_EEEESI_S6_NSB_4plusIvEENSB_8equal_toIvEES6_EE10hipError_tPvRmT2_T3_T4_T5_mT6_T7_P12ihipStream_tbENKUlT_T0_E_clISt17integral_constantIbLb0EES12_IbLb1EEEEDaSY_SZ_EUlSY_E_NS1_11comp_targetILNS1_3genE3ELNS1_11target_archE908ELNS1_3gpuE7ELNS1_3repE0EEENS1_30default_config_static_selectorELNS0_4arch9wavefront6targetE1EEEvT1_
    .private_segment_fixed_size: 0
    .sgpr_count:     6
    .sgpr_spill_count: 0
    .symbol:         _ZN7rocprim17ROCPRIM_400000_NS6detail17trampoline_kernelINS0_14default_configENS1_27scan_by_key_config_selectorIj11FixedVectorIiLj2EEEEZZNS1_16scan_by_key_implILNS1_25lookback_scan_determinismE0ELb1ES3_N6thrust23THRUST_200600_302600_NS6detail15normal_iteratorINSB_10device_ptrIjEEEENSD_INSE_IS6_EEEESI_S6_NSB_4plusIvEENSB_8equal_toIvEES6_EE10hipError_tPvRmT2_T3_T4_T5_mT6_T7_P12ihipStream_tbENKUlT_T0_E_clISt17integral_constantIbLb0EES12_IbLb1EEEEDaSY_SZ_EUlSY_E_NS1_11comp_targetILNS1_3genE3ELNS1_11target_archE908ELNS1_3gpuE7ELNS1_3repE0EEENS1_30default_config_static_selectorELNS0_4arch9wavefront6targetE1EEEvT1_.kd
    .uniform_work_group_size: 1
    .uses_dynamic_stack: false
    .vgpr_count:     0
    .vgpr_spill_count: 0
    .wavefront_size: 64
  - .agpr_count:     0
    .args:
      - .offset:         0
        .size:           120
        .value_kind:     by_value
    .group_segment_fixed_size: 0
    .kernarg_segment_align: 8
    .kernarg_segment_size: 120
    .language:       OpenCL C
    .language_version:
      - 2
      - 0
    .max_flat_workgroup_size: 64
    .name:           _ZN7rocprim17ROCPRIM_400000_NS6detail17trampoline_kernelINS0_14default_configENS1_27scan_by_key_config_selectorIj11FixedVectorIiLj2EEEEZZNS1_16scan_by_key_implILNS1_25lookback_scan_determinismE0ELb1ES3_N6thrust23THRUST_200600_302600_NS6detail15normal_iteratorINSB_10device_ptrIjEEEENSD_INSE_IS6_EEEESI_S6_NSB_4plusIvEENSB_8equal_toIvEES6_EE10hipError_tPvRmT2_T3_T4_T5_mT6_T7_P12ihipStream_tbENKUlT_T0_E_clISt17integral_constantIbLb0EES12_IbLb1EEEEDaSY_SZ_EUlSY_E_NS1_11comp_targetILNS1_3genE2ELNS1_11target_archE906ELNS1_3gpuE6ELNS1_3repE0EEENS1_30default_config_static_selectorELNS0_4arch9wavefront6targetE1EEEvT1_
    .private_segment_fixed_size: 0
    .sgpr_count:     6
    .sgpr_spill_count: 0
    .symbol:         _ZN7rocprim17ROCPRIM_400000_NS6detail17trampoline_kernelINS0_14default_configENS1_27scan_by_key_config_selectorIj11FixedVectorIiLj2EEEEZZNS1_16scan_by_key_implILNS1_25lookback_scan_determinismE0ELb1ES3_N6thrust23THRUST_200600_302600_NS6detail15normal_iteratorINSB_10device_ptrIjEEEENSD_INSE_IS6_EEEESI_S6_NSB_4plusIvEENSB_8equal_toIvEES6_EE10hipError_tPvRmT2_T3_T4_T5_mT6_T7_P12ihipStream_tbENKUlT_T0_E_clISt17integral_constantIbLb0EES12_IbLb1EEEEDaSY_SZ_EUlSY_E_NS1_11comp_targetILNS1_3genE2ELNS1_11target_archE906ELNS1_3gpuE6ELNS1_3repE0EEENS1_30default_config_static_selectorELNS0_4arch9wavefront6targetE1EEEvT1_.kd
    .uniform_work_group_size: 1
    .uses_dynamic_stack: false
    .vgpr_count:     0
    .vgpr_spill_count: 0
    .wavefront_size: 64
  - .agpr_count:     0
    .args:
      - .offset:         0
        .size:           120
        .value_kind:     by_value
    .group_segment_fixed_size: 0
    .kernarg_segment_align: 8
    .kernarg_segment_size: 120
    .language:       OpenCL C
    .language_version:
      - 2
      - 0
    .max_flat_workgroup_size: 256
    .name:           _ZN7rocprim17ROCPRIM_400000_NS6detail17trampoline_kernelINS0_14default_configENS1_27scan_by_key_config_selectorIj11FixedVectorIiLj2EEEEZZNS1_16scan_by_key_implILNS1_25lookback_scan_determinismE0ELb1ES3_N6thrust23THRUST_200600_302600_NS6detail15normal_iteratorINSB_10device_ptrIjEEEENSD_INSE_IS6_EEEESI_S6_NSB_4plusIvEENSB_8equal_toIvEES6_EE10hipError_tPvRmT2_T3_T4_T5_mT6_T7_P12ihipStream_tbENKUlT_T0_E_clISt17integral_constantIbLb0EES12_IbLb1EEEEDaSY_SZ_EUlSY_E_NS1_11comp_targetILNS1_3genE10ELNS1_11target_archE1200ELNS1_3gpuE4ELNS1_3repE0EEENS1_30default_config_static_selectorELNS0_4arch9wavefront6targetE1EEEvT1_
    .private_segment_fixed_size: 0
    .sgpr_count:     6
    .sgpr_spill_count: 0
    .symbol:         _ZN7rocprim17ROCPRIM_400000_NS6detail17trampoline_kernelINS0_14default_configENS1_27scan_by_key_config_selectorIj11FixedVectorIiLj2EEEEZZNS1_16scan_by_key_implILNS1_25lookback_scan_determinismE0ELb1ES3_N6thrust23THRUST_200600_302600_NS6detail15normal_iteratorINSB_10device_ptrIjEEEENSD_INSE_IS6_EEEESI_S6_NSB_4plusIvEENSB_8equal_toIvEES6_EE10hipError_tPvRmT2_T3_T4_T5_mT6_T7_P12ihipStream_tbENKUlT_T0_E_clISt17integral_constantIbLb0EES12_IbLb1EEEEDaSY_SZ_EUlSY_E_NS1_11comp_targetILNS1_3genE10ELNS1_11target_archE1200ELNS1_3gpuE4ELNS1_3repE0EEENS1_30default_config_static_selectorELNS0_4arch9wavefront6targetE1EEEvT1_.kd
    .uniform_work_group_size: 1
    .uses_dynamic_stack: false
    .vgpr_count:     0
    .vgpr_spill_count: 0
    .wavefront_size: 64
  - .agpr_count:     0
    .args:
      - .offset:         0
        .size:           120
        .value_kind:     by_value
    .group_segment_fixed_size: 0
    .kernarg_segment_align: 8
    .kernarg_segment_size: 120
    .language:       OpenCL C
    .language_version:
      - 2
      - 0
    .max_flat_workgroup_size: 256
    .name:           _ZN7rocprim17ROCPRIM_400000_NS6detail17trampoline_kernelINS0_14default_configENS1_27scan_by_key_config_selectorIj11FixedVectorIiLj2EEEEZZNS1_16scan_by_key_implILNS1_25lookback_scan_determinismE0ELb1ES3_N6thrust23THRUST_200600_302600_NS6detail15normal_iteratorINSB_10device_ptrIjEEEENSD_INSE_IS6_EEEESI_S6_NSB_4plusIvEENSB_8equal_toIvEES6_EE10hipError_tPvRmT2_T3_T4_T5_mT6_T7_P12ihipStream_tbENKUlT_T0_E_clISt17integral_constantIbLb0EES12_IbLb1EEEEDaSY_SZ_EUlSY_E_NS1_11comp_targetILNS1_3genE9ELNS1_11target_archE1100ELNS1_3gpuE3ELNS1_3repE0EEENS1_30default_config_static_selectorELNS0_4arch9wavefront6targetE1EEEvT1_
    .private_segment_fixed_size: 0
    .sgpr_count:     6
    .sgpr_spill_count: 0
    .symbol:         _ZN7rocprim17ROCPRIM_400000_NS6detail17trampoline_kernelINS0_14default_configENS1_27scan_by_key_config_selectorIj11FixedVectorIiLj2EEEEZZNS1_16scan_by_key_implILNS1_25lookback_scan_determinismE0ELb1ES3_N6thrust23THRUST_200600_302600_NS6detail15normal_iteratorINSB_10device_ptrIjEEEENSD_INSE_IS6_EEEESI_S6_NSB_4plusIvEENSB_8equal_toIvEES6_EE10hipError_tPvRmT2_T3_T4_T5_mT6_T7_P12ihipStream_tbENKUlT_T0_E_clISt17integral_constantIbLb0EES12_IbLb1EEEEDaSY_SZ_EUlSY_E_NS1_11comp_targetILNS1_3genE9ELNS1_11target_archE1100ELNS1_3gpuE3ELNS1_3repE0EEENS1_30default_config_static_selectorELNS0_4arch9wavefront6targetE1EEEvT1_.kd
    .uniform_work_group_size: 1
    .uses_dynamic_stack: false
    .vgpr_count:     0
    .vgpr_spill_count: 0
    .wavefront_size: 64
  - .agpr_count:     0
    .args:
      - .offset:         0
        .size:           120
        .value_kind:     by_value
    .group_segment_fixed_size: 0
    .kernarg_segment_align: 8
    .kernarg_segment_size: 120
    .language:       OpenCL C
    .language_version:
      - 2
      - 0
    .max_flat_workgroup_size: 256
    .name:           _ZN7rocprim17ROCPRIM_400000_NS6detail17trampoline_kernelINS0_14default_configENS1_27scan_by_key_config_selectorIj11FixedVectorIiLj2EEEEZZNS1_16scan_by_key_implILNS1_25lookback_scan_determinismE0ELb1ES3_N6thrust23THRUST_200600_302600_NS6detail15normal_iteratorINSB_10device_ptrIjEEEENSD_INSE_IS6_EEEESI_S6_NSB_4plusIvEENSB_8equal_toIvEES6_EE10hipError_tPvRmT2_T3_T4_T5_mT6_T7_P12ihipStream_tbENKUlT_T0_E_clISt17integral_constantIbLb0EES12_IbLb1EEEEDaSY_SZ_EUlSY_E_NS1_11comp_targetILNS1_3genE8ELNS1_11target_archE1030ELNS1_3gpuE2ELNS1_3repE0EEENS1_30default_config_static_selectorELNS0_4arch9wavefront6targetE1EEEvT1_
    .private_segment_fixed_size: 0
    .sgpr_count:     6
    .sgpr_spill_count: 0
    .symbol:         _ZN7rocprim17ROCPRIM_400000_NS6detail17trampoline_kernelINS0_14default_configENS1_27scan_by_key_config_selectorIj11FixedVectorIiLj2EEEEZZNS1_16scan_by_key_implILNS1_25lookback_scan_determinismE0ELb1ES3_N6thrust23THRUST_200600_302600_NS6detail15normal_iteratorINSB_10device_ptrIjEEEENSD_INSE_IS6_EEEESI_S6_NSB_4plusIvEENSB_8equal_toIvEES6_EE10hipError_tPvRmT2_T3_T4_T5_mT6_T7_P12ihipStream_tbENKUlT_T0_E_clISt17integral_constantIbLb0EES12_IbLb1EEEEDaSY_SZ_EUlSY_E_NS1_11comp_targetILNS1_3genE8ELNS1_11target_archE1030ELNS1_3gpuE2ELNS1_3repE0EEENS1_30default_config_static_selectorELNS0_4arch9wavefront6targetE1EEEvT1_.kd
    .uniform_work_group_size: 1
    .uses_dynamic_stack: false
    .vgpr_count:     0
    .vgpr_spill_count: 0
    .wavefront_size: 64
  - .agpr_count:     0
    .args:
      - .offset:         0
        .size:           16
        .value_kind:     by_value
      - .offset:         16
        .size:           8
        .value_kind:     by_value
      - .offset:         24
        .size:           8
        .value_kind:     by_value
    .group_segment_fixed_size: 0
    .kernarg_segment_align: 8
    .kernarg_segment_size: 32
    .language:       OpenCL C
    .language_version:
      - 2
      - 0
    .max_flat_workgroup_size: 256
    .name:           _ZN6thrust23THRUST_200600_302600_NS11hip_rocprim14__parallel_for6kernelILj256ENS1_10for_each_fINS0_10device_ptrI11FixedVectorIiLj4EEEENS0_6detail16wrapped_functionINS9_23allocator_traits_detail5gozerEvEEEElLj1EEEvT0_T1_SG_
    .private_segment_fixed_size: 0
    .sgpr_count:     6
    .sgpr_spill_count: 0
    .symbol:         _ZN6thrust23THRUST_200600_302600_NS11hip_rocprim14__parallel_for6kernelILj256ENS1_10for_each_fINS0_10device_ptrI11FixedVectorIiLj4EEEENS0_6detail16wrapped_functionINS9_23allocator_traits_detail5gozerEvEEEElLj1EEEvT0_T1_SG_.kd
    .uniform_work_group_size: 1
    .uses_dynamic_stack: false
    .vgpr_count:     0
    .vgpr_spill_count: 0
    .wavefront_size: 64
  - .agpr_count:     0
    .args:
      - .offset:         0
        .size:           16
        .value_kind:     by_value
      - .offset:         16
        .size:           8
        .value_kind:     by_value
      - .offset:         24
        .size:           8
        .value_kind:     by_value
    .group_segment_fixed_size: 0
    .kernarg_segment_align: 8
    .kernarg_segment_size: 32
    .language:       OpenCL C
    .language_version:
      - 2
      - 0
    .max_flat_workgroup_size: 256
    .name:           _ZN6thrust23THRUST_200600_302600_NS11hip_rocprim14__parallel_for6kernelILj256ENS1_10for_each_fINS0_10device_ptrI11FixedVectorIiLj4EEEENS0_6detail16wrapped_functionINS9_23allocator_traits_detail24construct1_via_allocatorINS0_16device_allocatorIS7_EEEEvEEEEmLj1EEEvT0_T1_SJ_
    .private_segment_fixed_size: 0
    .sgpr_count:     18
    .sgpr_spill_count: 0
    .symbol:         _ZN6thrust23THRUST_200600_302600_NS11hip_rocprim14__parallel_for6kernelILj256ENS1_10for_each_fINS0_10device_ptrI11FixedVectorIiLj4EEEENS0_6detail16wrapped_functionINS9_23allocator_traits_detail24construct1_via_allocatorINS0_16device_allocatorIS7_EEEEvEEEEmLj1EEEvT0_T1_SJ_.kd
    .uniform_work_group_size: 1
    .uses_dynamic_stack: false
    .vgpr_count:     8
    .vgpr_spill_count: 0
    .wavefront_size: 64
  - .agpr_count:     0
    .args:
      - .offset:         0
        .size:           24
        .value_kind:     by_value
      - .offset:         24
        .size:           4
        .value_kind:     by_value
      - .offset:         28
        .size:           4
        .value_kind:     by_value
      - .address_space:  global
        .offset:         32
        .size:           8
        .value_kind:     global_buffer
      - .address_space:  global
        .offset:         40
        .size:           8
        .value_kind:     global_buffer
      - .actual_access:  write_only
        .address_space:  global
        .offset:         48
        .size:           8
        .value_kind:     global_buffer
      - .offset:         56
        .size:           8
        .value_kind:     by_value
      - .offset:         64
        .size:           4
        .value_kind:     by_value
      - .offset:         68
        .size:           1
        .value_kind:     by_value
      - .offset:         72
        .size:           4
        .value_kind:     hidden_block_count_x
      - .offset:         76
        .size:           4
        .value_kind:     hidden_block_count_y
      - .offset:         80
        .size:           4
        .value_kind:     hidden_block_count_z
      - .offset:         84
        .size:           2
        .value_kind:     hidden_group_size_x
      - .offset:         86
        .size:           2
        .value_kind:     hidden_group_size_y
      - .offset:         88
        .size:           2
        .value_kind:     hidden_group_size_z
      - .offset:         90
        .size:           2
        .value_kind:     hidden_remainder_x
      - .offset:         92
        .size:           2
        .value_kind:     hidden_remainder_y
      - .offset:         94
        .size:           2
        .value_kind:     hidden_remainder_z
      - .offset:         112
        .size:           8
        .value_kind:     hidden_global_offset_x
      - .offset:         120
        .size:           8
        .value_kind:     hidden_global_offset_y
      - .offset:         128
        .size:           8
        .value_kind:     hidden_global_offset_z
      - .offset:         136
        .size:           2
        .value_kind:     hidden_grid_dims
    .group_segment_fixed_size: 0
    .kernarg_segment_align: 8
    .kernarg_segment_size: 328
    .language:       OpenCL C
    .language_version:
      - 2
      - 0
    .max_flat_workgroup_size: 256
    .name:           _ZN7rocprim17ROCPRIM_400000_NS6detail30init_device_scan_by_key_kernelINS1_19lookback_scan_stateINS0_5tupleIJ11FixedVectorIiLj4EEbEEELb0ELb0EEEN6thrust23THRUST_200600_302600_NS6detail15normal_iteratorINSA_10device_ptrIjEEEEjNS1_16block_id_wrapperIjLb0EEEEEvT_jjPNSI_10value_typeET0_PNSt15iterator_traitsISL_E10value_typeEmT1_T2_
    .private_segment_fixed_size: 0
    .sgpr_count:     27
    .sgpr_spill_count: 0
    .symbol:         _ZN7rocprim17ROCPRIM_400000_NS6detail30init_device_scan_by_key_kernelINS1_19lookback_scan_stateINS0_5tupleIJ11FixedVectorIiLj4EEbEEELb0ELb0EEEN6thrust23THRUST_200600_302600_NS6detail15normal_iteratorINSA_10device_ptrIjEEEEjNS1_16block_id_wrapperIjLb0EEEEEvT_jjPNSI_10value_typeET0_PNSt15iterator_traitsISL_E10value_typeEmT1_T2_.kd
    .uniform_work_group_size: 1
    .uses_dynamic_stack: false
    .vgpr_count:     7
    .vgpr_spill_count: 0
    .wavefront_size: 64
  - .agpr_count:     0
    .args:
      - .offset:         0
        .size:           24
        .value_kind:     by_value
      - .offset:         24
        .size:           4
        .value_kind:     by_value
      - .offset:         28
        .size:           4
        .value_kind:     by_value
      - .address_space:  global
        .offset:         32
        .size:           8
        .value_kind:     global_buffer
      - .offset:         40
        .size:           1
        .value_kind:     by_value
      - .offset:         48
        .size:           4
        .value_kind:     hidden_block_count_x
      - .offset:         52
        .size:           4
        .value_kind:     hidden_block_count_y
      - .offset:         56
        .size:           4
        .value_kind:     hidden_block_count_z
      - .offset:         60
        .size:           2
        .value_kind:     hidden_group_size_x
      - .offset:         62
        .size:           2
        .value_kind:     hidden_group_size_y
      - .offset:         64
        .size:           2
        .value_kind:     hidden_group_size_z
      - .offset:         66
        .size:           2
        .value_kind:     hidden_remainder_x
      - .offset:         68
        .size:           2
        .value_kind:     hidden_remainder_y
      - .offset:         70
        .size:           2
        .value_kind:     hidden_remainder_z
      - .offset:         88
        .size:           8
        .value_kind:     hidden_global_offset_x
      - .offset:         96
        .size:           8
        .value_kind:     hidden_global_offset_y
      - .offset:         104
        .size:           8
        .value_kind:     hidden_global_offset_z
      - .offset:         112
        .size:           2
        .value_kind:     hidden_grid_dims
    .group_segment_fixed_size: 0
    .kernarg_segment_align: 8
    .kernarg_segment_size: 304
    .language:       OpenCL C
    .language_version:
      - 2
      - 0
    .max_flat_workgroup_size: 256
    .name:           _ZN7rocprim17ROCPRIM_400000_NS6detail30init_device_scan_by_key_kernelINS1_19lookback_scan_stateINS0_5tupleIJ11FixedVectorIiLj4EEbEEELb0ELb0EEENS1_16block_id_wrapperIjLb0EEEEEvT_jjPNSB_10value_typeET0_
    .private_segment_fixed_size: 0
    .sgpr_count:     21
    .sgpr_spill_count: 0
    .symbol:         _ZN7rocprim17ROCPRIM_400000_NS6detail30init_device_scan_by_key_kernelINS1_19lookback_scan_stateINS0_5tupleIJ11FixedVectorIiLj4EEbEEELb0ELb0EEENS1_16block_id_wrapperIjLb0EEEEEvT_jjPNSB_10value_typeET0_.kd
    .uniform_work_group_size: 1
    .uses_dynamic_stack: false
    .vgpr_count:     7
    .vgpr_spill_count: 0
    .wavefront_size: 64
  - .agpr_count:     0
    .args:
      - .offset:         0
        .size:           144
        .value_kind:     by_value
    .group_segment_fixed_size: 0
    .kernarg_segment_align: 8
    .kernarg_segment_size: 144
    .language:       OpenCL C
    .language_version:
      - 2
      - 0
    .max_flat_workgroup_size: 64
    .name:           _ZN7rocprim17ROCPRIM_400000_NS6detail17trampoline_kernelINS0_14default_configENS1_27scan_by_key_config_selectorIj11FixedVectorIiLj4EEEEZZNS1_16scan_by_key_implILNS1_25lookback_scan_determinismE0ELb0ES3_N6thrust23THRUST_200600_302600_NS6detail15normal_iteratorINSB_10device_ptrIjEEEENSD_INSE_IS6_EEEESI_S6_NSB_4plusIvEENSB_8equal_toIvEES6_EE10hipError_tPvRmT2_T3_T4_T5_mT6_T7_P12ihipStream_tbENKUlT_T0_E_clISt17integral_constantIbLb0EES13_EEDaSY_SZ_EUlSY_E_NS1_11comp_targetILNS1_3genE0ELNS1_11target_archE4294967295ELNS1_3gpuE0ELNS1_3repE0EEENS1_30default_config_static_selectorELNS0_4arch9wavefront6targetE1EEEvT1_
    .private_segment_fixed_size: 0
    .sgpr_count:     6
    .sgpr_spill_count: 0
    .symbol:         _ZN7rocprim17ROCPRIM_400000_NS6detail17trampoline_kernelINS0_14default_configENS1_27scan_by_key_config_selectorIj11FixedVectorIiLj4EEEEZZNS1_16scan_by_key_implILNS1_25lookback_scan_determinismE0ELb0ES3_N6thrust23THRUST_200600_302600_NS6detail15normal_iteratorINSB_10device_ptrIjEEEENSD_INSE_IS6_EEEESI_S6_NSB_4plusIvEENSB_8equal_toIvEES6_EE10hipError_tPvRmT2_T3_T4_T5_mT6_T7_P12ihipStream_tbENKUlT_T0_E_clISt17integral_constantIbLb0EES13_EEDaSY_SZ_EUlSY_E_NS1_11comp_targetILNS1_3genE0ELNS1_11target_archE4294967295ELNS1_3gpuE0ELNS1_3repE0EEENS1_30default_config_static_selectorELNS0_4arch9wavefront6targetE1EEEvT1_.kd
    .uniform_work_group_size: 1
    .uses_dynamic_stack: false
    .vgpr_count:     0
    .vgpr_spill_count: 0
    .wavefront_size: 64
  - .agpr_count:     0
    .args:
      - .offset:         0
        .size:           144
        .value_kind:     by_value
    .group_segment_fixed_size: 0
    .kernarg_segment_align: 8
    .kernarg_segment_size: 144
    .language:       OpenCL C
    .language_version:
      - 2
      - 0
    .max_flat_workgroup_size: 256
    .name:           _ZN7rocprim17ROCPRIM_400000_NS6detail17trampoline_kernelINS0_14default_configENS1_27scan_by_key_config_selectorIj11FixedVectorIiLj4EEEEZZNS1_16scan_by_key_implILNS1_25lookback_scan_determinismE0ELb0ES3_N6thrust23THRUST_200600_302600_NS6detail15normal_iteratorINSB_10device_ptrIjEEEENSD_INSE_IS6_EEEESI_S6_NSB_4plusIvEENSB_8equal_toIvEES6_EE10hipError_tPvRmT2_T3_T4_T5_mT6_T7_P12ihipStream_tbENKUlT_T0_E_clISt17integral_constantIbLb0EES13_EEDaSY_SZ_EUlSY_E_NS1_11comp_targetILNS1_3genE10ELNS1_11target_archE1201ELNS1_3gpuE5ELNS1_3repE0EEENS1_30default_config_static_selectorELNS0_4arch9wavefront6targetE1EEEvT1_
    .private_segment_fixed_size: 0
    .sgpr_count:     6
    .sgpr_spill_count: 0
    .symbol:         _ZN7rocprim17ROCPRIM_400000_NS6detail17trampoline_kernelINS0_14default_configENS1_27scan_by_key_config_selectorIj11FixedVectorIiLj4EEEEZZNS1_16scan_by_key_implILNS1_25lookback_scan_determinismE0ELb0ES3_N6thrust23THRUST_200600_302600_NS6detail15normal_iteratorINSB_10device_ptrIjEEEENSD_INSE_IS6_EEEESI_S6_NSB_4plusIvEENSB_8equal_toIvEES6_EE10hipError_tPvRmT2_T3_T4_T5_mT6_T7_P12ihipStream_tbENKUlT_T0_E_clISt17integral_constantIbLb0EES13_EEDaSY_SZ_EUlSY_E_NS1_11comp_targetILNS1_3genE10ELNS1_11target_archE1201ELNS1_3gpuE5ELNS1_3repE0EEENS1_30default_config_static_selectorELNS0_4arch9wavefront6targetE1EEEvT1_.kd
    .uniform_work_group_size: 1
    .uses_dynamic_stack: false
    .vgpr_count:     0
    .vgpr_spill_count: 0
    .wavefront_size: 64
  - .agpr_count:     0
    .args:
      - .offset:         0
        .size:           144
        .value_kind:     by_value
    .group_segment_fixed_size: 47104
    .kernarg_segment_align: 8
    .kernarg_segment_size: 144
    .language:       OpenCL C
    .language_version:
      - 2
      - 0
    .max_flat_workgroup_size: 128
    .name:           _ZN7rocprim17ROCPRIM_400000_NS6detail17trampoline_kernelINS0_14default_configENS1_27scan_by_key_config_selectorIj11FixedVectorIiLj4EEEEZZNS1_16scan_by_key_implILNS1_25lookback_scan_determinismE0ELb0ES3_N6thrust23THRUST_200600_302600_NS6detail15normal_iteratorINSB_10device_ptrIjEEEENSD_INSE_IS6_EEEESI_S6_NSB_4plusIvEENSB_8equal_toIvEES6_EE10hipError_tPvRmT2_T3_T4_T5_mT6_T7_P12ihipStream_tbENKUlT_T0_E_clISt17integral_constantIbLb0EES13_EEDaSY_SZ_EUlSY_E_NS1_11comp_targetILNS1_3genE5ELNS1_11target_archE942ELNS1_3gpuE9ELNS1_3repE0EEENS1_30default_config_static_selectorELNS0_4arch9wavefront6targetE1EEEvT1_
    .private_segment_fixed_size: 944
    .sgpr_count:     106
    .sgpr_spill_count: 11
    .symbol:         _ZN7rocprim17ROCPRIM_400000_NS6detail17trampoline_kernelINS0_14default_configENS1_27scan_by_key_config_selectorIj11FixedVectorIiLj4EEEEZZNS1_16scan_by_key_implILNS1_25lookback_scan_determinismE0ELb0ES3_N6thrust23THRUST_200600_302600_NS6detail15normal_iteratorINSB_10device_ptrIjEEEENSD_INSE_IS6_EEEESI_S6_NSB_4plusIvEENSB_8equal_toIvEES6_EE10hipError_tPvRmT2_T3_T4_T5_mT6_T7_P12ihipStream_tbENKUlT_T0_E_clISt17integral_constantIbLb0EES13_EEDaSY_SZ_EUlSY_E_NS1_11comp_targetILNS1_3genE5ELNS1_11target_archE942ELNS1_3gpuE9ELNS1_3repE0EEENS1_30default_config_static_selectorELNS0_4arch9wavefront6targetE1EEEvT1_.kd
    .uniform_work_group_size: 1
    .uses_dynamic_stack: false
    .vgpr_count:     201
    .vgpr_spill_count: 0
    .wavefront_size: 64
  - .agpr_count:     0
    .args:
      - .offset:         0
        .size:           144
        .value_kind:     by_value
    .group_segment_fixed_size: 0
    .kernarg_segment_align: 8
    .kernarg_segment_size: 144
    .language:       OpenCL C
    .language_version:
      - 2
      - 0
    .max_flat_workgroup_size: 256
    .name:           _ZN7rocprim17ROCPRIM_400000_NS6detail17trampoline_kernelINS0_14default_configENS1_27scan_by_key_config_selectorIj11FixedVectorIiLj4EEEEZZNS1_16scan_by_key_implILNS1_25lookback_scan_determinismE0ELb0ES3_N6thrust23THRUST_200600_302600_NS6detail15normal_iteratorINSB_10device_ptrIjEEEENSD_INSE_IS6_EEEESI_S6_NSB_4plusIvEENSB_8equal_toIvEES6_EE10hipError_tPvRmT2_T3_T4_T5_mT6_T7_P12ihipStream_tbENKUlT_T0_E_clISt17integral_constantIbLb0EES13_EEDaSY_SZ_EUlSY_E_NS1_11comp_targetILNS1_3genE4ELNS1_11target_archE910ELNS1_3gpuE8ELNS1_3repE0EEENS1_30default_config_static_selectorELNS0_4arch9wavefront6targetE1EEEvT1_
    .private_segment_fixed_size: 0
    .sgpr_count:     6
    .sgpr_spill_count: 0
    .symbol:         _ZN7rocprim17ROCPRIM_400000_NS6detail17trampoline_kernelINS0_14default_configENS1_27scan_by_key_config_selectorIj11FixedVectorIiLj4EEEEZZNS1_16scan_by_key_implILNS1_25lookback_scan_determinismE0ELb0ES3_N6thrust23THRUST_200600_302600_NS6detail15normal_iteratorINSB_10device_ptrIjEEEENSD_INSE_IS6_EEEESI_S6_NSB_4plusIvEENSB_8equal_toIvEES6_EE10hipError_tPvRmT2_T3_T4_T5_mT6_T7_P12ihipStream_tbENKUlT_T0_E_clISt17integral_constantIbLb0EES13_EEDaSY_SZ_EUlSY_E_NS1_11comp_targetILNS1_3genE4ELNS1_11target_archE910ELNS1_3gpuE8ELNS1_3repE0EEENS1_30default_config_static_selectorELNS0_4arch9wavefront6targetE1EEEvT1_.kd
    .uniform_work_group_size: 1
    .uses_dynamic_stack: false
    .vgpr_count:     0
    .vgpr_spill_count: 0
    .wavefront_size: 64
  - .agpr_count:     0
    .args:
      - .offset:         0
        .size:           144
        .value_kind:     by_value
    .group_segment_fixed_size: 0
    .kernarg_segment_align: 8
    .kernarg_segment_size: 144
    .language:       OpenCL C
    .language_version:
      - 2
      - 0
    .max_flat_workgroup_size: 64
    .name:           _ZN7rocprim17ROCPRIM_400000_NS6detail17trampoline_kernelINS0_14default_configENS1_27scan_by_key_config_selectorIj11FixedVectorIiLj4EEEEZZNS1_16scan_by_key_implILNS1_25lookback_scan_determinismE0ELb0ES3_N6thrust23THRUST_200600_302600_NS6detail15normal_iteratorINSB_10device_ptrIjEEEENSD_INSE_IS6_EEEESI_S6_NSB_4plusIvEENSB_8equal_toIvEES6_EE10hipError_tPvRmT2_T3_T4_T5_mT6_T7_P12ihipStream_tbENKUlT_T0_E_clISt17integral_constantIbLb0EES13_EEDaSY_SZ_EUlSY_E_NS1_11comp_targetILNS1_3genE3ELNS1_11target_archE908ELNS1_3gpuE7ELNS1_3repE0EEENS1_30default_config_static_selectorELNS0_4arch9wavefront6targetE1EEEvT1_
    .private_segment_fixed_size: 0
    .sgpr_count:     6
    .sgpr_spill_count: 0
    .symbol:         _ZN7rocprim17ROCPRIM_400000_NS6detail17trampoline_kernelINS0_14default_configENS1_27scan_by_key_config_selectorIj11FixedVectorIiLj4EEEEZZNS1_16scan_by_key_implILNS1_25lookback_scan_determinismE0ELb0ES3_N6thrust23THRUST_200600_302600_NS6detail15normal_iteratorINSB_10device_ptrIjEEEENSD_INSE_IS6_EEEESI_S6_NSB_4plusIvEENSB_8equal_toIvEES6_EE10hipError_tPvRmT2_T3_T4_T5_mT6_T7_P12ihipStream_tbENKUlT_T0_E_clISt17integral_constantIbLb0EES13_EEDaSY_SZ_EUlSY_E_NS1_11comp_targetILNS1_3genE3ELNS1_11target_archE908ELNS1_3gpuE7ELNS1_3repE0EEENS1_30default_config_static_selectorELNS0_4arch9wavefront6targetE1EEEvT1_.kd
    .uniform_work_group_size: 1
    .uses_dynamic_stack: false
    .vgpr_count:     0
    .vgpr_spill_count: 0
    .wavefront_size: 64
  - .agpr_count:     0
    .args:
      - .offset:         0
        .size:           144
        .value_kind:     by_value
    .group_segment_fixed_size: 0
    .kernarg_segment_align: 8
    .kernarg_segment_size: 144
    .language:       OpenCL C
    .language_version:
      - 2
      - 0
    .max_flat_workgroup_size: 256
    .name:           _ZN7rocprim17ROCPRIM_400000_NS6detail17trampoline_kernelINS0_14default_configENS1_27scan_by_key_config_selectorIj11FixedVectorIiLj4EEEEZZNS1_16scan_by_key_implILNS1_25lookback_scan_determinismE0ELb0ES3_N6thrust23THRUST_200600_302600_NS6detail15normal_iteratorINSB_10device_ptrIjEEEENSD_INSE_IS6_EEEESI_S6_NSB_4plusIvEENSB_8equal_toIvEES6_EE10hipError_tPvRmT2_T3_T4_T5_mT6_T7_P12ihipStream_tbENKUlT_T0_E_clISt17integral_constantIbLb0EES13_EEDaSY_SZ_EUlSY_E_NS1_11comp_targetILNS1_3genE2ELNS1_11target_archE906ELNS1_3gpuE6ELNS1_3repE0EEENS1_30default_config_static_selectorELNS0_4arch9wavefront6targetE1EEEvT1_
    .private_segment_fixed_size: 0
    .sgpr_count:     6
    .sgpr_spill_count: 0
    .symbol:         _ZN7rocprim17ROCPRIM_400000_NS6detail17trampoline_kernelINS0_14default_configENS1_27scan_by_key_config_selectorIj11FixedVectorIiLj4EEEEZZNS1_16scan_by_key_implILNS1_25lookback_scan_determinismE0ELb0ES3_N6thrust23THRUST_200600_302600_NS6detail15normal_iteratorINSB_10device_ptrIjEEEENSD_INSE_IS6_EEEESI_S6_NSB_4plusIvEENSB_8equal_toIvEES6_EE10hipError_tPvRmT2_T3_T4_T5_mT6_T7_P12ihipStream_tbENKUlT_T0_E_clISt17integral_constantIbLb0EES13_EEDaSY_SZ_EUlSY_E_NS1_11comp_targetILNS1_3genE2ELNS1_11target_archE906ELNS1_3gpuE6ELNS1_3repE0EEENS1_30default_config_static_selectorELNS0_4arch9wavefront6targetE1EEEvT1_.kd
    .uniform_work_group_size: 1
    .uses_dynamic_stack: false
    .vgpr_count:     0
    .vgpr_spill_count: 0
    .wavefront_size: 64
  - .agpr_count:     0
    .args:
      - .offset:         0
        .size:           144
        .value_kind:     by_value
    .group_segment_fixed_size: 0
    .kernarg_segment_align: 8
    .kernarg_segment_size: 144
    .language:       OpenCL C
    .language_version:
      - 2
      - 0
    .max_flat_workgroup_size: 256
    .name:           _ZN7rocprim17ROCPRIM_400000_NS6detail17trampoline_kernelINS0_14default_configENS1_27scan_by_key_config_selectorIj11FixedVectorIiLj4EEEEZZNS1_16scan_by_key_implILNS1_25lookback_scan_determinismE0ELb0ES3_N6thrust23THRUST_200600_302600_NS6detail15normal_iteratorINSB_10device_ptrIjEEEENSD_INSE_IS6_EEEESI_S6_NSB_4plusIvEENSB_8equal_toIvEES6_EE10hipError_tPvRmT2_T3_T4_T5_mT6_T7_P12ihipStream_tbENKUlT_T0_E_clISt17integral_constantIbLb0EES13_EEDaSY_SZ_EUlSY_E_NS1_11comp_targetILNS1_3genE10ELNS1_11target_archE1200ELNS1_3gpuE4ELNS1_3repE0EEENS1_30default_config_static_selectorELNS0_4arch9wavefront6targetE1EEEvT1_
    .private_segment_fixed_size: 0
    .sgpr_count:     6
    .sgpr_spill_count: 0
    .symbol:         _ZN7rocprim17ROCPRIM_400000_NS6detail17trampoline_kernelINS0_14default_configENS1_27scan_by_key_config_selectorIj11FixedVectorIiLj4EEEEZZNS1_16scan_by_key_implILNS1_25lookback_scan_determinismE0ELb0ES3_N6thrust23THRUST_200600_302600_NS6detail15normal_iteratorINSB_10device_ptrIjEEEENSD_INSE_IS6_EEEESI_S6_NSB_4plusIvEENSB_8equal_toIvEES6_EE10hipError_tPvRmT2_T3_T4_T5_mT6_T7_P12ihipStream_tbENKUlT_T0_E_clISt17integral_constantIbLb0EES13_EEDaSY_SZ_EUlSY_E_NS1_11comp_targetILNS1_3genE10ELNS1_11target_archE1200ELNS1_3gpuE4ELNS1_3repE0EEENS1_30default_config_static_selectorELNS0_4arch9wavefront6targetE1EEEvT1_.kd
    .uniform_work_group_size: 1
    .uses_dynamic_stack: false
    .vgpr_count:     0
    .vgpr_spill_count: 0
    .wavefront_size: 64
  - .agpr_count:     0
    .args:
      - .offset:         0
        .size:           144
        .value_kind:     by_value
    .group_segment_fixed_size: 0
    .kernarg_segment_align: 8
    .kernarg_segment_size: 144
    .language:       OpenCL C
    .language_version:
      - 2
      - 0
    .max_flat_workgroup_size: 256
    .name:           _ZN7rocprim17ROCPRIM_400000_NS6detail17trampoline_kernelINS0_14default_configENS1_27scan_by_key_config_selectorIj11FixedVectorIiLj4EEEEZZNS1_16scan_by_key_implILNS1_25lookback_scan_determinismE0ELb0ES3_N6thrust23THRUST_200600_302600_NS6detail15normal_iteratorINSB_10device_ptrIjEEEENSD_INSE_IS6_EEEESI_S6_NSB_4plusIvEENSB_8equal_toIvEES6_EE10hipError_tPvRmT2_T3_T4_T5_mT6_T7_P12ihipStream_tbENKUlT_T0_E_clISt17integral_constantIbLb0EES13_EEDaSY_SZ_EUlSY_E_NS1_11comp_targetILNS1_3genE9ELNS1_11target_archE1100ELNS1_3gpuE3ELNS1_3repE0EEENS1_30default_config_static_selectorELNS0_4arch9wavefront6targetE1EEEvT1_
    .private_segment_fixed_size: 0
    .sgpr_count:     6
    .sgpr_spill_count: 0
    .symbol:         _ZN7rocprim17ROCPRIM_400000_NS6detail17trampoline_kernelINS0_14default_configENS1_27scan_by_key_config_selectorIj11FixedVectorIiLj4EEEEZZNS1_16scan_by_key_implILNS1_25lookback_scan_determinismE0ELb0ES3_N6thrust23THRUST_200600_302600_NS6detail15normal_iteratorINSB_10device_ptrIjEEEENSD_INSE_IS6_EEEESI_S6_NSB_4plusIvEENSB_8equal_toIvEES6_EE10hipError_tPvRmT2_T3_T4_T5_mT6_T7_P12ihipStream_tbENKUlT_T0_E_clISt17integral_constantIbLb0EES13_EEDaSY_SZ_EUlSY_E_NS1_11comp_targetILNS1_3genE9ELNS1_11target_archE1100ELNS1_3gpuE3ELNS1_3repE0EEENS1_30default_config_static_selectorELNS0_4arch9wavefront6targetE1EEEvT1_.kd
    .uniform_work_group_size: 1
    .uses_dynamic_stack: false
    .vgpr_count:     0
    .vgpr_spill_count: 0
    .wavefront_size: 64
  - .agpr_count:     0
    .args:
      - .offset:         0
        .size:           144
        .value_kind:     by_value
    .group_segment_fixed_size: 0
    .kernarg_segment_align: 8
    .kernarg_segment_size: 144
    .language:       OpenCL C
    .language_version:
      - 2
      - 0
    .max_flat_workgroup_size: 256
    .name:           _ZN7rocprim17ROCPRIM_400000_NS6detail17trampoline_kernelINS0_14default_configENS1_27scan_by_key_config_selectorIj11FixedVectorIiLj4EEEEZZNS1_16scan_by_key_implILNS1_25lookback_scan_determinismE0ELb0ES3_N6thrust23THRUST_200600_302600_NS6detail15normal_iteratorINSB_10device_ptrIjEEEENSD_INSE_IS6_EEEESI_S6_NSB_4plusIvEENSB_8equal_toIvEES6_EE10hipError_tPvRmT2_T3_T4_T5_mT6_T7_P12ihipStream_tbENKUlT_T0_E_clISt17integral_constantIbLb0EES13_EEDaSY_SZ_EUlSY_E_NS1_11comp_targetILNS1_3genE8ELNS1_11target_archE1030ELNS1_3gpuE2ELNS1_3repE0EEENS1_30default_config_static_selectorELNS0_4arch9wavefront6targetE1EEEvT1_
    .private_segment_fixed_size: 0
    .sgpr_count:     6
    .sgpr_spill_count: 0
    .symbol:         _ZN7rocprim17ROCPRIM_400000_NS6detail17trampoline_kernelINS0_14default_configENS1_27scan_by_key_config_selectorIj11FixedVectorIiLj4EEEEZZNS1_16scan_by_key_implILNS1_25lookback_scan_determinismE0ELb0ES3_N6thrust23THRUST_200600_302600_NS6detail15normal_iteratorINSB_10device_ptrIjEEEENSD_INSE_IS6_EEEESI_S6_NSB_4plusIvEENSB_8equal_toIvEES6_EE10hipError_tPvRmT2_T3_T4_T5_mT6_T7_P12ihipStream_tbENKUlT_T0_E_clISt17integral_constantIbLb0EES13_EEDaSY_SZ_EUlSY_E_NS1_11comp_targetILNS1_3genE8ELNS1_11target_archE1030ELNS1_3gpuE2ELNS1_3repE0EEENS1_30default_config_static_selectorELNS0_4arch9wavefront6targetE1EEEvT1_.kd
    .uniform_work_group_size: 1
    .uses_dynamic_stack: false
    .vgpr_count:     0
    .vgpr_spill_count: 0
    .wavefront_size: 64
  - .agpr_count:     0
    .args:
      - .offset:         0
        .size:           24
        .value_kind:     by_value
      - .offset:         24
        .size:           4
        .value_kind:     by_value
      - .offset:         28
        .size:           4
        .value_kind:     by_value
      - .address_space:  global
        .offset:         32
        .size:           8
        .value_kind:     global_buffer
      - .address_space:  global
        .offset:         40
        .size:           8
        .value_kind:     global_buffer
      - .actual_access:  write_only
        .address_space:  global
        .offset:         48
        .size:           8
        .value_kind:     global_buffer
      - .offset:         56
        .size:           8
        .value_kind:     by_value
      - .offset:         64
        .size:           4
        .value_kind:     by_value
      - .address_space:  global
        .offset:         72
        .size:           8
        .value_kind:     global_buffer
      - .offset:         80
        .size:           4
        .value_kind:     hidden_block_count_x
      - .offset:         84
        .size:           4
        .value_kind:     hidden_block_count_y
      - .offset:         88
        .size:           4
        .value_kind:     hidden_block_count_z
      - .offset:         92
        .size:           2
        .value_kind:     hidden_group_size_x
      - .offset:         94
        .size:           2
        .value_kind:     hidden_group_size_y
      - .offset:         96
        .size:           2
        .value_kind:     hidden_group_size_z
      - .offset:         98
        .size:           2
        .value_kind:     hidden_remainder_x
      - .offset:         100
        .size:           2
        .value_kind:     hidden_remainder_y
      - .offset:         102
        .size:           2
        .value_kind:     hidden_remainder_z
      - .offset:         120
        .size:           8
        .value_kind:     hidden_global_offset_x
      - .offset:         128
        .size:           8
        .value_kind:     hidden_global_offset_y
      - .offset:         136
        .size:           8
        .value_kind:     hidden_global_offset_z
      - .offset:         144
        .size:           2
        .value_kind:     hidden_grid_dims
    .group_segment_fixed_size: 0
    .kernarg_segment_align: 8
    .kernarg_segment_size: 336
    .language:       OpenCL C
    .language_version:
      - 2
      - 0
    .max_flat_workgroup_size: 256
    .name:           _ZN7rocprim17ROCPRIM_400000_NS6detail30init_device_scan_by_key_kernelINS1_19lookback_scan_stateINS0_5tupleIJ11FixedVectorIiLj4EEbEEELb1ELb0EEEN6thrust23THRUST_200600_302600_NS6detail15normal_iteratorINSA_10device_ptrIjEEEEjNS1_16block_id_wrapperIjLb1EEEEEvT_jjPNSI_10value_typeET0_PNSt15iterator_traitsISL_E10value_typeEmT1_T2_
    .private_segment_fixed_size: 0
    .sgpr_count:     30
    .sgpr_spill_count: 0
    .symbol:         _ZN7rocprim17ROCPRIM_400000_NS6detail30init_device_scan_by_key_kernelINS1_19lookback_scan_stateINS0_5tupleIJ11FixedVectorIiLj4EEbEEELb1ELb0EEEN6thrust23THRUST_200600_302600_NS6detail15normal_iteratorINSA_10device_ptrIjEEEEjNS1_16block_id_wrapperIjLb1EEEEEvT_jjPNSI_10value_typeET0_PNSt15iterator_traitsISL_E10value_typeEmT1_T2_.kd
    .uniform_work_group_size: 1
    .uses_dynamic_stack: false
    .vgpr_count:     7
    .vgpr_spill_count: 0
    .wavefront_size: 64
  - .agpr_count:     0
    .args:
      - .offset:         0
        .size:           24
        .value_kind:     by_value
      - .offset:         24
        .size:           4
        .value_kind:     by_value
      - .offset:         28
        .size:           4
        .value_kind:     by_value
      - .address_space:  global
        .offset:         32
        .size:           8
        .value_kind:     global_buffer
      - .address_space:  global
        .offset:         40
        .size:           8
        .value_kind:     global_buffer
      - .offset:         48
        .size:           4
        .value_kind:     hidden_block_count_x
      - .offset:         52
        .size:           4
        .value_kind:     hidden_block_count_y
      - .offset:         56
        .size:           4
        .value_kind:     hidden_block_count_z
      - .offset:         60
        .size:           2
        .value_kind:     hidden_group_size_x
      - .offset:         62
        .size:           2
        .value_kind:     hidden_group_size_y
      - .offset:         64
        .size:           2
        .value_kind:     hidden_group_size_z
      - .offset:         66
        .size:           2
        .value_kind:     hidden_remainder_x
      - .offset:         68
        .size:           2
        .value_kind:     hidden_remainder_y
      - .offset:         70
        .size:           2
        .value_kind:     hidden_remainder_z
      - .offset:         88
        .size:           8
        .value_kind:     hidden_global_offset_x
      - .offset:         96
        .size:           8
        .value_kind:     hidden_global_offset_y
      - .offset:         104
        .size:           8
        .value_kind:     hidden_global_offset_z
      - .offset:         112
        .size:           2
        .value_kind:     hidden_grid_dims
    .group_segment_fixed_size: 0
    .kernarg_segment_align: 8
    .kernarg_segment_size: 304
    .language:       OpenCL C
    .language_version:
      - 2
      - 0
    .max_flat_workgroup_size: 256
    .name:           _ZN7rocprim17ROCPRIM_400000_NS6detail30init_device_scan_by_key_kernelINS1_19lookback_scan_stateINS0_5tupleIJ11FixedVectorIiLj4EEbEEELb1ELb0EEENS1_16block_id_wrapperIjLb1EEEEEvT_jjPNSB_10value_typeET0_
    .private_segment_fixed_size: 0
    .sgpr_count:     26
    .sgpr_spill_count: 0
    .symbol:         _ZN7rocprim17ROCPRIM_400000_NS6detail30init_device_scan_by_key_kernelINS1_19lookback_scan_stateINS0_5tupleIJ11FixedVectorIiLj4EEbEEELb1ELb0EEENS1_16block_id_wrapperIjLb1EEEEEvT_jjPNSB_10value_typeET0_.kd
    .uniform_work_group_size: 1
    .uses_dynamic_stack: false
    .vgpr_count:     7
    .vgpr_spill_count: 0
    .wavefront_size: 64
  - .agpr_count:     0
    .args:
      - .offset:         0
        .size:           144
        .value_kind:     by_value
    .group_segment_fixed_size: 0
    .kernarg_segment_align: 8
    .kernarg_segment_size: 144
    .language:       OpenCL C
    .language_version:
      - 2
      - 0
    .max_flat_workgroup_size: 64
    .name:           _ZN7rocprim17ROCPRIM_400000_NS6detail17trampoline_kernelINS0_14default_configENS1_27scan_by_key_config_selectorIj11FixedVectorIiLj4EEEEZZNS1_16scan_by_key_implILNS1_25lookback_scan_determinismE0ELb0ES3_N6thrust23THRUST_200600_302600_NS6detail15normal_iteratorINSB_10device_ptrIjEEEENSD_INSE_IS6_EEEESI_S6_NSB_4plusIvEENSB_8equal_toIvEES6_EE10hipError_tPvRmT2_T3_T4_T5_mT6_T7_P12ihipStream_tbENKUlT_T0_E_clISt17integral_constantIbLb1EES13_EEDaSY_SZ_EUlSY_E_NS1_11comp_targetILNS1_3genE0ELNS1_11target_archE4294967295ELNS1_3gpuE0ELNS1_3repE0EEENS1_30default_config_static_selectorELNS0_4arch9wavefront6targetE1EEEvT1_
    .private_segment_fixed_size: 0
    .sgpr_count:     6
    .sgpr_spill_count: 0
    .symbol:         _ZN7rocprim17ROCPRIM_400000_NS6detail17trampoline_kernelINS0_14default_configENS1_27scan_by_key_config_selectorIj11FixedVectorIiLj4EEEEZZNS1_16scan_by_key_implILNS1_25lookback_scan_determinismE0ELb0ES3_N6thrust23THRUST_200600_302600_NS6detail15normal_iteratorINSB_10device_ptrIjEEEENSD_INSE_IS6_EEEESI_S6_NSB_4plusIvEENSB_8equal_toIvEES6_EE10hipError_tPvRmT2_T3_T4_T5_mT6_T7_P12ihipStream_tbENKUlT_T0_E_clISt17integral_constantIbLb1EES13_EEDaSY_SZ_EUlSY_E_NS1_11comp_targetILNS1_3genE0ELNS1_11target_archE4294967295ELNS1_3gpuE0ELNS1_3repE0EEENS1_30default_config_static_selectorELNS0_4arch9wavefront6targetE1EEEvT1_.kd
    .uniform_work_group_size: 1
    .uses_dynamic_stack: false
    .vgpr_count:     0
    .vgpr_spill_count: 0
    .wavefront_size: 64
  - .agpr_count:     0
    .args:
      - .offset:         0
        .size:           144
        .value_kind:     by_value
    .group_segment_fixed_size: 0
    .kernarg_segment_align: 8
    .kernarg_segment_size: 144
    .language:       OpenCL C
    .language_version:
      - 2
      - 0
    .max_flat_workgroup_size: 256
    .name:           _ZN7rocprim17ROCPRIM_400000_NS6detail17trampoline_kernelINS0_14default_configENS1_27scan_by_key_config_selectorIj11FixedVectorIiLj4EEEEZZNS1_16scan_by_key_implILNS1_25lookback_scan_determinismE0ELb0ES3_N6thrust23THRUST_200600_302600_NS6detail15normal_iteratorINSB_10device_ptrIjEEEENSD_INSE_IS6_EEEESI_S6_NSB_4plusIvEENSB_8equal_toIvEES6_EE10hipError_tPvRmT2_T3_T4_T5_mT6_T7_P12ihipStream_tbENKUlT_T0_E_clISt17integral_constantIbLb1EES13_EEDaSY_SZ_EUlSY_E_NS1_11comp_targetILNS1_3genE10ELNS1_11target_archE1201ELNS1_3gpuE5ELNS1_3repE0EEENS1_30default_config_static_selectorELNS0_4arch9wavefront6targetE1EEEvT1_
    .private_segment_fixed_size: 0
    .sgpr_count:     6
    .sgpr_spill_count: 0
    .symbol:         _ZN7rocprim17ROCPRIM_400000_NS6detail17trampoline_kernelINS0_14default_configENS1_27scan_by_key_config_selectorIj11FixedVectorIiLj4EEEEZZNS1_16scan_by_key_implILNS1_25lookback_scan_determinismE0ELb0ES3_N6thrust23THRUST_200600_302600_NS6detail15normal_iteratorINSB_10device_ptrIjEEEENSD_INSE_IS6_EEEESI_S6_NSB_4plusIvEENSB_8equal_toIvEES6_EE10hipError_tPvRmT2_T3_T4_T5_mT6_T7_P12ihipStream_tbENKUlT_T0_E_clISt17integral_constantIbLb1EES13_EEDaSY_SZ_EUlSY_E_NS1_11comp_targetILNS1_3genE10ELNS1_11target_archE1201ELNS1_3gpuE5ELNS1_3repE0EEENS1_30default_config_static_selectorELNS0_4arch9wavefront6targetE1EEEvT1_.kd
    .uniform_work_group_size: 1
    .uses_dynamic_stack: false
    .vgpr_count:     0
    .vgpr_spill_count: 0
    .wavefront_size: 64
  - .agpr_count:     0
    .args:
      - .offset:         0
        .size:           144
        .value_kind:     by_value
    .group_segment_fixed_size: 47104
    .kernarg_segment_align: 8
    .kernarg_segment_size: 144
    .language:       OpenCL C
    .language_version:
      - 2
      - 0
    .max_flat_workgroup_size: 128
    .name:           _ZN7rocprim17ROCPRIM_400000_NS6detail17trampoline_kernelINS0_14default_configENS1_27scan_by_key_config_selectorIj11FixedVectorIiLj4EEEEZZNS1_16scan_by_key_implILNS1_25lookback_scan_determinismE0ELb0ES3_N6thrust23THRUST_200600_302600_NS6detail15normal_iteratorINSB_10device_ptrIjEEEENSD_INSE_IS6_EEEESI_S6_NSB_4plusIvEENSB_8equal_toIvEES6_EE10hipError_tPvRmT2_T3_T4_T5_mT6_T7_P12ihipStream_tbENKUlT_T0_E_clISt17integral_constantIbLb1EES13_EEDaSY_SZ_EUlSY_E_NS1_11comp_targetILNS1_3genE5ELNS1_11target_archE942ELNS1_3gpuE9ELNS1_3repE0EEENS1_30default_config_static_selectorELNS0_4arch9wavefront6targetE1EEEvT1_
    .private_segment_fixed_size: 944
    .sgpr_count:     106
    .sgpr_spill_count: 23
    .symbol:         _ZN7rocprim17ROCPRIM_400000_NS6detail17trampoline_kernelINS0_14default_configENS1_27scan_by_key_config_selectorIj11FixedVectorIiLj4EEEEZZNS1_16scan_by_key_implILNS1_25lookback_scan_determinismE0ELb0ES3_N6thrust23THRUST_200600_302600_NS6detail15normal_iteratorINSB_10device_ptrIjEEEENSD_INSE_IS6_EEEESI_S6_NSB_4plusIvEENSB_8equal_toIvEES6_EE10hipError_tPvRmT2_T3_T4_T5_mT6_T7_P12ihipStream_tbENKUlT_T0_E_clISt17integral_constantIbLb1EES13_EEDaSY_SZ_EUlSY_E_NS1_11comp_targetILNS1_3genE5ELNS1_11target_archE942ELNS1_3gpuE9ELNS1_3repE0EEENS1_30default_config_static_selectorELNS0_4arch9wavefront6targetE1EEEvT1_.kd
    .uniform_work_group_size: 1
    .uses_dynamic_stack: false
    .vgpr_count:     201
    .vgpr_spill_count: 0
    .wavefront_size: 64
  - .agpr_count:     0
    .args:
      - .offset:         0
        .size:           144
        .value_kind:     by_value
    .group_segment_fixed_size: 0
    .kernarg_segment_align: 8
    .kernarg_segment_size: 144
    .language:       OpenCL C
    .language_version:
      - 2
      - 0
    .max_flat_workgroup_size: 256
    .name:           _ZN7rocprim17ROCPRIM_400000_NS6detail17trampoline_kernelINS0_14default_configENS1_27scan_by_key_config_selectorIj11FixedVectorIiLj4EEEEZZNS1_16scan_by_key_implILNS1_25lookback_scan_determinismE0ELb0ES3_N6thrust23THRUST_200600_302600_NS6detail15normal_iteratorINSB_10device_ptrIjEEEENSD_INSE_IS6_EEEESI_S6_NSB_4plusIvEENSB_8equal_toIvEES6_EE10hipError_tPvRmT2_T3_T4_T5_mT6_T7_P12ihipStream_tbENKUlT_T0_E_clISt17integral_constantIbLb1EES13_EEDaSY_SZ_EUlSY_E_NS1_11comp_targetILNS1_3genE4ELNS1_11target_archE910ELNS1_3gpuE8ELNS1_3repE0EEENS1_30default_config_static_selectorELNS0_4arch9wavefront6targetE1EEEvT1_
    .private_segment_fixed_size: 0
    .sgpr_count:     6
    .sgpr_spill_count: 0
    .symbol:         _ZN7rocprim17ROCPRIM_400000_NS6detail17trampoline_kernelINS0_14default_configENS1_27scan_by_key_config_selectorIj11FixedVectorIiLj4EEEEZZNS1_16scan_by_key_implILNS1_25lookback_scan_determinismE0ELb0ES3_N6thrust23THRUST_200600_302600_NS6detail15normal_iteratorINSB_10device_ptrIjEEEENSD_INSE_IS6_EEEESI_S6_NSB_4plusIvEENSB_8equal_toIvEES6_EE10hipError_tPvRmT2_T3_T4_T5_mT6_T7_P12ihipStream_tbENKUlT_T0_E_clISt17integral_constantIbLb1EES13_EEDaSY_SZ_EUlSY_E_NS1_11comp_targetILNS1_3genE4ELNS1_11target_archE910ELNS1_3gpuE8ELNS1_3repE0EEENS1_30default_config_static_selectorELNS0_4arch9wavefront6targetE1EEEvT1_.kd
    .uniform_work_group_size: 1
    .uses_dynamic_stack: false
    .vgpr_count:     0
    .vgpr_spill_count: 0
    .wavefront_size: 64
  - .agpr_count:     0
    .args:
      - .offset:         0
        .size:           144
        .value_kind:     by_value
    .group_segment_fixed_size: 0
    .kernarg_segment_align: 8
    .kernarg_segment_size: 144
    .language:       OpenCL C
    .language_version:
      - 2
      - 0
    .max_flat_workgroup_size: 64
    .name:           _ZN7rocprim17ROCPRIM_400000_NS6detail17trampoline_kernelINS0_14default_configENS1_27scan_by_key_config_selectorIj11FixedVectorIiLj4EEEEZZNS1_16scan_by_key_implILNS1_25lookback_scan_determinismE0ELb0ES3_N6thrust23THRUST_200600_302600_NS6detail15normal_iteratorINSB_10device_ptrIjEEEENSD_INSE_IS6_EEEESI_S6_NSB_4plusIvEENSB_8equal_toIvEES6_EE10hipError_tPvRmT2_T3_T4_T5_mT6_T7_P12ihipStream_tbENKUlT_T0_E_clISt17integral_constantIbLb1EES13_EEDaSY_SZ_EUlSY_E_NS1_11comp_targetILNS1_3genE3ELNS1_11target_archE908ELNS1_3gpuE7ELNS1_3repE0EEENS1_30default_config_static_selectorELNS0_4arch9wavefront6targetE1EEEvT1_
    .private_segment_fixed_size: 0
    .sgpr_count:     6
    .sgpr_spill_count: 0
    .symbol:         _ZN7rocprim17ROCPRIM_400000_NS6detail17trampoline_kernelINS0_14default_configENS1_27scan_by_key_config_selectorIj11FixedVectorIiLj4EEEEZZNS1_16scan_by_key_implILNS1_25lookback_scan_determinismE0ELb0ES3_N6thrust23THRUST_200600_302600_NS6detail15normal_iteratorINSB_10device_ptrIjEEEENSD_INSE_IS6_EEEESI_S6_NSB_4plusIvEENSB_8equal_toIvEES6_EE10hipError_tPvRmT2_T3_T4_T5_mT6_T7_P12ihipStream_tbENKUlT_T0_E_clISt17integral_constantIbLb1EES13_EEDaSY_SZ_EUlSY_E_NS1_11comp_targetILNS1_3genE3ELNS1_11target_archE908ELNS1_3gpuE7ELNS1_3repE0EEENS1_30default_config_static_selectorELNS0_4arch9wavefront6targetE1EEEvT1_.kd
    .uniform_work_group_size: 1
    .uses_dynamic_stack: false
    .vgpr_count:     0
    .vgpr_spill_count: 0
    .wavefront_size: 64
  - .agpr_count:     0
    .args:
      - .offset:         0
        .size:           144
        .value_kind:     by_value
    .group_segment_fixed_size: 0
    .kernarg_segment_align: 8
    .kernarg_segment_size: 144
    .language:       OpenCL C
    .language_version:
      - 2
      - 0
    .max_flat_workgroup_size: 256
    .name:           _ZN7rocprim17ROCPRIM_400000_NS6detail17trampoline_kernelINS0_14default_configENS1_27scan_by_key_config_selectorIj11FixedVectorIiLj4EEEEZZNS1_16scan_by_key_implILNS1_25lookback_scan_determinismE0ELb0ES3_N6thrust23THRUST_200600_302600_NS6detail15normal_iteratorINSB_10device_ptrIjEEEENSD_INSE_IS6_EEEESI_S6_NSB_4plusIvEENSB_8equal_toIvEES6_EE10hipError_tPvRmT2_T3_T4_T5_mT6_T7_P12ihipStream_tbENKUlT_T0_E_clISt17integral_constantIbLb1EES13_EEDaSY_SZ_EUlSY_E_NS1_11comp_targetILNS1_3genE2ELNS1_11target_archE906ELNS1_3gpuE6ELNS1_3repE0EEENS1_30default_config_static_selectorELNS0_4arch9wavefront6targetE1EEEvT1_
    .private_segment_fixed_size: 0
    .sgpr_count:     6
    .sgpr_spill_count: 0
    .symbol:         _ZN7rocprim17ROCPRIM_400000_NS6detail17trampoline_kernelINS0_14default_configENS1_27scan_by_key_config_selectorIj11FixedVectorIiLj4EEEEZZNS1_16scan_by_key_implILNS1_25lookback_scan_determinismE0ELb0ES3_N6thrust23THRUST_200600_302600_NS6detail15normal_iteratorINSB_10device_ptrIjEEEENSD_INSE_IS6_EEEESI_S6_NSB_4plusIvEENSB_8equal_toIvEES6_EE10hipError_tPvRmT2_T3_T4_T5_mT6_T7_P12ihipStream_tbENKUlT_T0_E_clISt17integral_constantIbLb1EES13_EEDaSY_SZ_EUlSY_E_NS1_11comp_targetILNS1_3genE2ELNS1_11target_archE906ELNS1_3gpuE6ELNS1_3repE0EEENS1_30default_config_static_selectorELNS0_4arch9wavefront6targetE1EEEvT1_.kd
    .uniform_work_group_size: 1
    .uses_dynamic_stack: false
    .vgpr_count:     0
    .vgpr_spill_count: 0
    .wavefront_size: 64
  - .agpr_count:     0
    .args:
      - .offset:         0
        .size:           144
        .value_kind:     by_value
    .group_segment_fixed_size: 0
    .kernarg_segment_align: 8
    .kernarg_segment_size: 144
    .language:       OpenCL C
    .language_version:
      - 2
      - 0
    .max_flat_workgroup_size: 256
    .name:           _ZN7rocprim17ROCPRIM_400000_NS6detail17trampoline_kernelINS0_14default_configENS1_27scan_by_key_config_selectorIj11FixedVectorIiLj4EEEEZZNS1_16scan_by_key_implILNS1_25lookback_scan_determinismE0ELb0ES3_N6thrust23THRUST_200600_302600_NS6detail15normal_iteratorINSB_10device_ptrIjEEEENSD_INSE_IS6_EEEESI_S6_NSB_4plusIvEENSB_8equal_toIvEES6_EE10hipError_tPvRmT2_T3_T4_T5_mT6_T7_P12ihipStream_tbENKUlT_T0_E_clISt17integral_constantIbLb1EES13_EEDaSY_SZ_EUlSY_E_NS1_11comp_targetILNS1_3genE10ELNS1_11target_archE1200ELNS1_3gpuE4ELNS1_3repE0EEENS1_30default_config_static_selectorELNS0_4arch9wavefront6targetE1EEEvT1_
    .private_segment_fixed_size: 0
    .sgpr_count:     6
    .sgpr_spill_count: 0
    .symbol:         _ZN7rocprim17ROCPRIM_400000_NS6detail17trampoline_kernelINS0_14default_configENS1_27scan_by_key_config_selectorIj11FixedVectorIiLj4EEEEZZNS1_16scan_by_key_implILNS1_25lookback_scan_determinismE0ELb0ES3_N6thrust23THRUST_200600_302600_NS6detail15normal_iteratorINSB_10device_ptrIjEEEENSD_INSE_IS6_EEEESI_S6_NSB_4plusIvEENSB_8equal_toIvEES6_EE10hipError_tPvRmT2_T3_T4_T5_mT6_T7_P12ihipStream_tbENKUlT_T0_E_clISt17integral_constantIbLb1EES13_EEDaSY_SZ_EUlSY_E_NS1_11comp_targetILNS1_3genE10ELNS1_11target_archE1200ELNS1_3gpuE4ELNS1_3repE0EEENS1_30default_config_static_selectorELNS0_4arch9wavefront6targetE1EEEvT1_.kd
    .uniform_work_group_size: 1
    .uses_dynamic_stack: false
    .vgpr_count:     0
    .vgpr_spill_count: 0
    .wavefront_size: 64
  - .agpr_count:     0
    .args:
      - .offset:         0
        .size:           144
        .value_kind:     by_value
    .group_segment_fixed_size: 0
    .kernarg_segment_align: 8
    .kernarg_segment_size: 144
    .language:       OpenCL C
    .language_version:
      - 2
      - 0
    .max_flat_workgroup_size: 256
    .name:           _ZN7rocprim17ROCPRIM_400000_NS6detail17trampoline_kernelINS0_14default_configENS1_27scan_by_key_config_selectorIj11FixedVectorIiLj4EEEEZZNS1_16scan_by_key_implILNS1_25lookback_scan_determinismE0ELb0ES3_N6thrust23THRUST_200600_302600_NS6detail15normal_iteratorINSB_10device_ptrIjEEEENSD_INSE_IS6_EEEESI_S6_NSB_4plusIvEENSB_8equal_toIvEES6_EE10hipError_tPvRmT2_T3_T4_T5_mT6_T7_P12ihipStream_tbENKUlT_T0_E_clISt17integral_constantIbLb1EES13_EEDaSY_SZ_EUlSY_E_NS1_11comp_targetILNS1_3genE9ELNS1_11target_archE1100ELNS1_3gpuE3ELNS1_3repE0EEENS1_30default_config_static_selectorELNS0_4arch9wavefront6targetE1EEEvT1_
    .private_segment_fixed_size: 0
    .sgpr_count:     6
    .sgpr_spill_count: 0
    .symbol:         _ZN7rocprim17ROCPRIM_400000_NS6detail17trampoline_kernelINS0_14default_configENS1_27scan_by_key_config_selectorIj11FixedVectorIiLj4EEEEZZNS1_16scan_by_key_implILNS1_25lookback_scan_determinismE0ELb0ES3_N6thrust23THRUST_200600_302600_NS6detail15normal_iteratorINSB_10device_ptrIjEEEENSD_INSE_IS6_EEEESI_S6_NSB_4plusIvEENSB_8equal_toIvEES6_EE10hipError_tPvRmT2_T3_T4_T5_mT6_T7_P12ihipStream_tbENKUlT_T0_E_clISt17integral_constantIbLb1EES13_EEDaSY_SZ_EUlSY_E_NS1_11comp_targetILNS1_3genE9ELNS1_11target_archE1100ELNS1_3gpuE3ELNS1_3repE0EEENS1_30default_config_static_selectorELNS0_4arch9wavefront6targetE1EEEvT1_.kd
    .uniform_work_group_size: 1
    .uses_dynamic_stack: false
    .vgpr_count:     0
    .vgpr_spill_count: 0
    .wavefront_size: 64
  - .agpr_count:     0
    .args:
      - .offset:         0
        .size:           144
        .value_kind:     by_value
    .group_segment_fixed_size: 0
    .kernarg_segment_align: 8
    .kernarg_segment_size: 144
    .language:       OpenCL C
    .language_version:
      - 2
      - 0
    .max_flat_workgroup_size: 256
    .name:           _ZN7rocprim17ROCPRIM_400000_NS6detail17trampoline_kernelINS0_14default_configENS1_27scan_by_key_config_selectorIj11FixedVectorIiLj4EEEEZZNS1_16scan_by_key_implILNS1_25lookback_scan_determinismE0ELb0ES3_N6thrust23THRUST_200600_302600_NS6detail15normal_iteratorINSB_10device_ptrIjEEEENSD_INSE_IS6_EEEESI_S6_NSB_4plusIvEENSB_8equal_toIvEES6_EE10hipError_tPvRmT2_T3_T4_T5_mT6_T7_P12ihipStream_tbENKUlT_T0_E_clISt17integral_constantIbLb1EES13_EEDaSY_SZ_EUlSY_E_NS1_11comp_targetILNS1_3genE8ELNS1_11target_archE1030ELNS1_3gpuE2ELNS1_3repE0EEENS1_30default_config_static_selectorELNS0_4arch9wavefront6targetE1EEEvT1_
    .private_segment_fixed_size: 0
    .sgpr_count:     6
    .sgpr_spill_count: 0
    .symbol:         _ZN7rocprim17ROCPRIM_400000_NS6detail17trampoline_kernelINS0_14default_configENS1_27scan_by_key_config_selectorIj11FixedVectorIiLj4EEEEZZNS1_16scan_by_key_implILNS1_25lookback_scan_determinismE0ELb0ES3_N6thrust23THRUST_200600_302600_NS6detail15normal_iteratorINSB_10device_ptrIjEEEENSD_INSE_IS6_EEEESI_S6_NSB_4plusIvEENSB_8equal_toIvEES6_EE10hipError_tPvRmT2_T3_T4_T5_mT6_T7_P12ihipStream_tbENKUlT_T0_E_clISt17integral_constantIbLb1EES13_EEDaSY_SZ_EUlSY_E_NS1_11comp_targetILNS1_3genE8ELNS1_11target_archE1030ELNS1_3gpuE2ELNS1_3repE0EEENS1_30default_config_static_selectorELNS0_4arch9wavefront6targetE1EEEvT1_.kd
    .uniform_work_group_size: 1
    .uses_dynamic_stack: false
    .vgpr_count:     0
    .vgpr_spill_count: 0
    .wavefront_size: 64
  - .agpr_count:     0
    .args:
      - .offset:         0
        .size:           24
        .value_kind:     by_value
      - .offset:         24
        .size:           4
        .value_kind:     by_value
      - .offset:         28
        .size:           4
        .value_kind:     by_value
      - .address_space:  global
        .offset:         32
        .size:           8
        .value_kind:     global_buffer
      - .address_space:  global
        .offset:         40
        .size:           8
        .value_kind:     global_buffer
      - .actual_access:  write_only
        .address_space:  global
        .offset:         48
        .size:           8
        .value_kind:     global_buffer
      - .offset:         56
        .size:           8
        .value_kind:     by_value
      - .offset:         64
        .size:           4
        .value_kind:     by_value
      - .offset:         68
        .size:           1
        .value_kind:     by_value
      - .offset:         72
        .size:           4
        .value_kind:     hidden_block_count_x
      - .offset:         76
        .size:           4
        .value_kind:     hidden_block_count_y
      - .offset:         80
        .size:           4
        .value_kind:     hidden_block_count_z
      - .offset:         84
        .size:           2
        .value_kind:     hidden_group_size_x
      - .offset:         86
        .size:           2
        .value_kind:     hidden_group_size_y
      - .offset:         88
        .size:           2
        .value_kind:     hidden_group_size_z
      - .offset:         90
        .size:           2
        .value_kind:     hidden_remainder_x
      - .offset:         92
        .size:           2
        .value_kind:     hidden_remainder_y
      - .offset:         94
        .size:           2
        .value_kind:     hidden_remainder_z
      - .offset:         112
        .size:           8
        .value_kind:     hidden_global_offset_x
      - .offset:         120
        .size:           8
        .value_kind:     hidden_global_offset_y
      - .offset:         128
        .size:           8
        .value_kind:     hidden_global_offset_z
      - .offset:         136
        .size:           2
        .value_kind:     hidden_grid_dims
    .group_segment_fixed_size: 0
    .kernarg_segment_align: 8
    .kernarg_segment_size: 328
    .language:       OpenCL C
    .language_version:
      - 2
      - 0
    .max_flat_workgroup_size: 256
    .name:           _ZN7rocprim17ROCPRIM_400000_NS6detail30init_device_scan_by_key_kernelINS1_19lookback_scan_stateINS0_5tupleIJ11FixedVectorIiLj4EEbEEELb1ELb0EEEN6thrust23THRUST_200600_302600_NS6detail15normal_iteratorINSA_10device_ptrIjEEEEjNS1_16block_id_wrapperIjLb0EEEEEvT_jjPNSI_10value_typeET0_PNSt15iterator_traitsISL_E10value_typeEmT1_T2_
    .private_segment_fixed_size: 0
    .sgpr_count:     30
    .sgpr_spill_count: 0
    .symbol:         _ZN7rocprim17ROCPRIM_400000_NS6detail30init_device_scan_by_key_kernelINS1_19lookback_scan_stateINS0_5tupleIJ11FixedVectorIiLj4EEbEEELb1ELb0EEEN6thrust23THRUST_200600_302600_NS6detail15normal_iteratorINSA_10device_ptrIjEEEEjNS1_16block_id_wrapperIjLb0EEEEEvT_jjPNSI_10value_typeET0_PNSt15iterator_traitsISL_E10value_typeEmT1_T2_.kd
    .uniform_work_group_size: 1
    .uses_dynamic_stack: false
    .vgpr_count:     7
    .vgpr_spill_count: 0
    .wavefront_size: 64
  - .agpr_count:     0
    .args:
      - .offset:         0
        .size:           24
        .value_kind:     by_value
      - .offset:         24
        .size:           4
        .value_kind:     by_value
      - .offset:         28
        .size:           4
        .value_kind:     by_value
      - .address_space:  global
        .offset:         32
        .size:           8
        .value_kind:     global_buffer
      - .offset:         40
        .size:           1
        .value_kind:     by_value
      - .offset:         48
        .size:           4
        .value_kind:     hidden_block_count_x
      - .offset:         52
        .size:           4
        .value_kind:     hidden_block_count_y
      - .offset:         56
        .size:           4
        .value_kind:     hidden_block_count_z
      - .offset:         60
        .size:           2
        .value_kind:     hidden_group_size_x
      - .offset:         62
        .size:           2
        .value_kind:     hidden_group_size_y
      - .offset:         64
        .size:           2
        .value_kind:     hidden_group_size_z
      - .offset:         66
        .size:           2
        .value_kind:     hidden_remainder_x
      - .offset:         68
        .size:           2
        .value_kind:     hidden_remainder_y
      - .offset:         70
        .size:           2
        .value_kind:     hidden_remainder_z
      - .offset:         88
        .size:           8
        .value_kind:     hidden_global_offset_x
      - .offset:         96
        .size:           8
        .value_kind:     hidden_global_offset_y
      - .offset:         104
        .size:           8
        .value_kind:     hidden_global_offset_z
      - .offset:         112
        .size:           2
        .value_kind:     hidden_grid_dims
    .group_segment_fixed_size: 0
    .kernarg_segment_align: 8
    .kernarg_segment_size: 304
    .language:       OpenCL C
    .language_version:
      - 2
      - 0
    .max_flat_workgroup_size: 256
    .name:           _ZN7rocprim17ROCPRIM_400000_NS6detail30init_device_scan_by_key_kernelINS1_19lookback_scan_stateINS0_5tupleIJ11FixedVectorIiLj4EEbEEELb1ELb0EEENS1_16block_id_wrapperIjLb0EEEEEvT_jjPNSB_10value_typeET0_
    .private_segment_fixed_size: 0
    .sgpr_count:     24
    .sgpr_spill_count: 0
    .symbol:         _ZN7rocprim17ROCPRIM_400000_NS6detail30init_device_scan_by_key_kernelINS1_19lookback_scan_stateINS0_5tupleIJ11FixedVectorIiLj4EEbEEELb1ELb0EEENS1_16block_id_wrapperIjLb0EEEEEvT_jjPNSB_10value_typeET0_.kd
    .uniform_work_group_size: 1
    .uses_dynamic_stack: false
    .vgpr_count:     7
    .vgpr_spill_count: 0
    .wavefront_size: 64
  - .agpr_count:     0
    .args:
      - .offset:         0
        .size:           144
        .value_kind:     by_value
    .group_segment_fixed_size: 0
    .kernarg_segment_align: 8
    .kernarg_segment_size: 144
    .language:       OpenCL C
    .language_version:
      - 2
      - 0
    .max_flat_workgroup_size: 64
    .name:           _ZN7rocprim17ROCPRIM_400000_NS6detail17trampoline_kernelINS0_14default_configENS1_27scan_by_key_config_selectorIj11FixedVectorIiLj4EEEEZZNS1_16scan_by_key_implILNS1_25lookback_scan_determinismE0ELb0ES3_N6thrust23THRUST_200600_302600_NS6detail15normal_iteratorINSB_10device_ptrIjEEEENSD_INSE_IS6_EEEESI_S6_NSB_4plusIvEENSB_8equal_toIvEES6_EE10hipError_tPvRmT2_T3_T4_T5_mT6_T7_P12ihipStream_tbENKUlT_T0_E_clISt17integral_constantIbLb1EES12_IbLb0EEEEDaSY_SZ_EUlSY_E_NS1_11comp_targetILNS1_3genE0ELNS1_11target_archE4294967295ELNS1_3gpuE0ELNS1_3repE0EEENS1_30default_config_static_selectorELNS0_4arch9wavefront6targetE1EEEvT1_
    .private_segment_fixed_size: 0
    .sgpr_count:     6
    .sgpr_spill_count: 0
    .symbol:         _ZN7rocprim17ROCPRIM_400000_NS6detail17trampoline_kernelINS0_14default_configENS1_27scan_by_key_config_selectorIj11FixedVectorIiLj4EEEEZZNS1_16scan_by_key_implILNS1_25lookback_scan_determinismE0ELb0ES3_N6thrust23THRUST_200600_302600_NS6detail15normal_iteratorINSB_10device_ptrIjEEEENSD_INSE_IS6_EEEESI_S6_NSB_4plusIvEENSB_8equal_toIvEES6_EE10hipError_tPvRmT2_T3_T4_T5_mT6_T7_P12ihipStream_tbENKUlT_T0_E_clISt17integral_constantIbLb1EES12_IbLb0EEEEDaSY_SZ_EUlSY_E_NS1_11comp_targetILNS1_3genE0ELNS1_11target_archE4294967295ELNS1_3gpuE0ELNS1_3repE0EEENS1_30default_config_static_selectorELNS0_4arch9wavefront6targetE1EEEvT1_.kd
    .uniform_work_group_size: 1
    .uses_dynamic_stack: false
    .vgpr_count:     0
    .vgpr_spill_count: 0
    .wavefront_size: 64
  - .agpr_count:     0
    .args:
      - .offset:         0
        .size:           144
        .value_kind:     by_value
    .group_segment_fixed_size: 0
    .kernarg_segment_align: 8
    .kernarg_segment_size: 144
    .language:       OpenCL C
    .language_version:
      - 2
      - 0
    .max_flat_workgroup_size: 256
    .name:           _ZN7rocprim17ROCPRIM_400000_NS6detail17trampoline_kernelINS0_14default_configENS1_27scan_by_key_config_selectorIj11FixedVectorIiLj4EEEEZZNS1_16scan_by_key_implILNS1_25lookback_scan_determinismE0ELb0ES3_N6thrust23THRUST_200600_302600_NS6detail15normal_iteratorINSB_10device_ptrIjEEEENSD_INSE_IS6_EEEESI_S6_NSB_4plusIvEENSB_8equal_toIvEES6_EE10hipError_tPvRmT2_T3_T4_T5_mT6_T7_P12ihipStream_tbENKUlT_T0_E_clISt17integral_constantIbLb1EES12_IbLb0EEEEDaSY_SZ_EUlSY_E_NS1_11comp_targetILNS1_3genE10ELNS1_11target_archE1201ELNS1_3gpuE5ELNS1_3repE0EEENS1_30default_config_static_selectorELNS0_4arch9wavefront6targetE1EEEvT1_
    .private_segment_fixed_size: 0
    .sgpr_count:     6
    .sgpr_spill_count: 0
    .symbol:         _ZN7rocprim17ROCPRIM_400000_NS6detail17trampoline_kernelINS0_14default_configENS1_27scan_by_key_config_selectorIj11FixedVectorIiLj4EEEEZZNS1_16scan_by_key_implILNS1_25lookback_scan_determinismE0ELb0ES3_N6thrust23THRUST_200600_302600_NS6detail15normal_iteratorINSB_10device_ptrIjEEEENSD_INSE_IS6_EEEESI_S6_NSB_4plusIvEENSB_8equal_toIvEES6_EE10hipError_tPvRmT2_T3_T4_T5_mT6_T7_P12ihipStream_tbENKUlT_T0_E_clISt17integral_constantIbLb1EES12_IbLb0EEEEDaSY_SZ_EUlSY_E_NS1_11comp_targetILNS1_3genE10ELNS1_11target_archE1201ELNS1_3gpuE5ELNS1_3repE0EEENS1_30default_config_static_selectorELNS0_4arch9wavefront6targetE1EEEvT1_.kd
    .uniform_work_group_size: 1
    .uses_dynamic_stack: false
    .vgpr_count:     0
    .vgpr_spill_count: 0
    .wavefront_size: 64
  - .agpr_count:     0
    .args:
      - .offset:         0
        .size:           144
        .value_kind:     by_value
    .group_segment_fixed_size: 47104
    .kernarg_segment_align: 8
    .kernarg_segment_size: 144
    .language:       OpenCL C
    .language_version:
      - 2
      - 0
    .max_flat_workgroup_size: 128
    .name:           _ZN7rocprim17ROCPRIM_400000_NS6detail17trampoline_kernelINS0_14default_configENS1_27scan_by_key_config_selectorIj11FixedVectorIiLj4EEEEZZNS1_16scan_by_key_implILNS1_25lookback_scan_determinismE0ELb0ES3_N6thrust23THRUST_200600_302600_NS6detail15normal_iteratorINSB_10device_ptrIjEEEENSD_INSE_IS6_EEEESI_S6_NSB_4plusIvEENSB_8equal_toIvEES6_EE10hipError_tPvRmT2_T3_T4_T5_mT6_T7_P12ihipStream_tbENKUlT_T0_E_clISt17integral_constantIbLb1EES12_IbLb0EEEEDaSY_SZ_EUlSY_E_NS1_11comp_targetILNS1_3genE5ELNS1_11target_archE942ELNS1_3gpuE9ELNS1_3repE0EEENS1_30default_config_static_selectorELNS0_4arch9wavefront6targetE1EEEvT1_
    .private_segment_fixed_size: 944
    .sgpr_count:     106
    .sgpr_spill_count: 11
    .symbol:         _ZN7rocprim17ROCPRIM_400000_NS6detail17trampoline_kernelINS0_14default_configENS1_27scan_by_key_config_selectorIj11FixedVectorIiLj4EEEEZZNS1_16scan_by_key_implILNS1_25lookback_scan_determinismE0ELb0ES3_N6thrust23THRUST_200600_302600_NS6detail15normal_iteratorINSB_10device_ptrIjEEEENSD_INSE_IS6_EEEESI_S6_NSB_4plusIvEENSB_8equal_toIvEES6_EE10hipError_tPvRmT2_T3_T4_T5_mT6_T7_P12ihipStream_tbENKUlT_T0_E_clISt17integral_constantIbLb1EES12_IbLb0EEEEDaSY_SZ_EUlSY_E_NS1_11comp_targetILNS1_3genE5ELNS1_11target_archE942ELNS1_3gpuE9ELNS1_3repE0EEENS1_30default_config_static_selectorELNS0_4arch9wavefront6targetE1EEEvT1_.kd
    .uniform_work_group_size: 1
    .uses_dynamic_stack: false
    .vgpr_count:     201
    .vgpr_spill_count: 0
    .wavefront_size: 64
  - .agpr_count:     0
    .args:
      - .offset:         0
        .size:           144
        .value_kind:     by_value
    .group_segment_fixed_size: 0
    .kernarg_segment_align: 8
    .kernarg_segment_size: 144
    .language:       OpenCL C
    .language_version:
      - 2
      - 0
    .max_flat_workgroup_size: 256
    .name:           _ZN7rocprim17ROCPRIM_400000_NS6detail17trampoline_kernelINS0_14default_configENS1_27scan_by_key_config_selectorIj11FixedVectorIiLj4EEEEZZNS1_16scan_by_key_implILNS1_25lookback_scan_determinismE0ELb0ES3_N6thrust23THRUST_200600_302600_NS6detail15normal_iteratorINSB_10device_ptrIjEEEENSD_INSE_IS6_EEEESI_S6_NSB_4plusIvEENSB_8equal_toIvEES6_EE10hipError_tPvRmT2_T3_T4_T5_mT6_T7_P12ihipStream_tbENKUlT_T0_E_clISt17integral_constantIbLb1EES12_IbLb0EEEEDaSY_SZ_EUlSY_E_NS1_11comp_targetILNS1_3genE4ELNS1_11target_archE910ELNS1_3gpuE8ELNS1_3repE0EEENS1_30default_config_static_selectorELNS0_4arch9wavefront6targetE1EEEvT1_
    .private_segment_fixed_size: 0
    .sgpr_count:     6
    .sgpr_spill_count: 0
    .symbol:         _ZN7rocprim17ROCPRIM_400000_NS6detail17trampoline_kernelINS0_14default_configENS1_27scan_by_key_config_selectorIj11FixedVectorIiLj4EEEEZZNS1_16scan_by_key_implILNS1_25lookback_scan_determinismE0ELb0ES3_N6thrust23THRUST_200600_302600_NS6detail15normal_iteratorINSB_10device_ptrIjEEEENSD_INSE_IS6_EEEESI_S6_NSB_4plusIvEENSB_8equal_toIvEES6_EE10hipError_tPvRmT2_T3_T4_T5_mT6_T7_P12ihipStream_tbENKUlT_T0_E_clISt17integral_constantIbLb1EES12_IbLb0EEEEDaSY_SZ_EUlSY_E_NS1_11comp_targetILNS1_3genE4ELNS1_11target_archE910ELNS1_3gpuE8ELNS1_3repE0EEENS1_30default_config_static_selectorELNS0_4arch9wavefront6targetE1EEEvT1_.kd
    .uniform_work_group_size: 1
    .uses_dynamic_stack: false
    .vgpr_count:     0
    .vgpr_spill_count: 0
    .wavefront_size: 64
  - .agpr_count:     0
    .args:
      - .offset:         0
        .size:           144
        .value_kind:     by_value
    .group_segment_fixed_size: 0
    .kernarg_segment_align: 8
    .kernarg_segment_size: 144
    .language:       OpenCL C
    .language_version:
      - 2
      - 0
    .max_flat_workgroup_size: 64
    .name:           _ZN7rocprim17ROCPRIM_400000_NS6detail17trampoline_kernelINS0_14default_configENS1_27scan_by_key_config_selectorIj11FixedVectorIiLj4EEEEZZNS1_16scan_by_key_implILNS1_25lookback_scan_determinismE0ELb0ES3_N6thrust23THRUST_200600_302600_NS6detail15normal_iteratorINSB_10device_ptrIjEEEENSD_INSE_IS6_EEEESI_S6_NSB_4plusIvEENSB_8equal_toIvEES6_EE10hipError_tPvRmT2_T3_T4_T5_mT6_T7_P12ihipStream_tbENKUlT_T0_E_clISt17integral_constantIbLb1EES12_IbLb0EEEEDaSY_SZ_EUlSY_E_NS1_11comp_targetILNS1_3genE3ELNS1_11target_archE908ELNS1_3gpuE7ELNS1_3repE0EEENS1_30default_config_static_selectorELNS0_4arch9wavefront6targetE1EEEvT1_
    .private_segment_fixed_size: 0
    .sgpr_count:     6
    .sgpr_spill_count: 0
    .symbol:         _ZN7rocprim17ROCPRIM_400000_NS6detail17trampoline_kernelINS0_14default_configENS1_27scan_by_key_config_selectorIj11FixedVectorIiLj4EEEEZZNS1_16scan_by_key_implILNS1_25lookback_scan_determinismE0ELb0ES3_N6thrust23THRUST_200600_302600_NS6detail15normal_iteratorINSB_10device_ptrIjEEEENSD_INSE_IS6_EEEESI_S6_NSB_4plusIvEENSB_8equal_toIvEES6_EE10hipError_tPvRmT2_T3_T4_T5_mT6_T7_P12ihipStream_tbENKUlT_T0_E_clISt17integral_constantIbLb1EES12_IbLb0EEEEDaSY_SZ_EUlSY_E_NS1_11comp_targetILNS1_3genE3ELNS1_11target_archE908ELNS1_3gpuE7ELNS1_3repE0EEENS1_30default_config_static_selectorELNS0_4arch9wavefront6targetE1EEEvT1_.kd
    .uniform_work_group_size: 1
    .uses_dynamic_stack: false
    .vgpr_count:     0
    .vgpr_spill_count: 0
    .wavefront_size: 64
  - .agpr_count:     0
    .args:
      - .offset:         0
        .size:           144
        .value_kind:     by_value
    .group_segment_fixed_size: 0
    .kernarg_segment_align: 8
    .kernarg_segment_size: 144
    .language:       OpenCL C
    .language_version:
      - 2
      - 0
    .max_flat_workgroup_size: 256
    .name:           _ZN7rocprim17ROCPRIM_400000_NS6detail17trampoline_kernelINS0_14default_configENS1_27scan_by_key_config_selectorIj11FixedVectorIiLj4EEEEZZNS1_16scan_by_key_implILNS1_25lookback_scan_determinismE0ELb0ES3_N6thrust23THRUST_200600_302600_NS6detail15normal_iteratorINSB_10device_ptrIjEEEENSD_INSE_IS6_EEEESI_S6_NSB_4plusIvEENSB_8equal_toIvEES6_EE10hipError_tPvRmT2_T3_T4_T5_mT6_T7_P12ihipStream_tbENKUlT_T0_E_clISt17integral_constantIbLb1EES12_IbLb0EEEEDaSY_SZ_EUlSY_E_NS1_11comp_targetILNS1_3genE2ELNS1_11target_archE906ELNS1_3gpuE6ELNS1_3repE0EEENS1_30default_config_static_selectorELNS0_4arch9wavefront6targetE1EEEvT1_
    .private_segment_fixed_size: 0
    .sgpr_count:     6
    .sgpr_spill_count: 0
    .symbol:         _ZN7rocprim17ROCPRIM_400000_NS6detail17trampoline_kernelINS0_14default_configENS1_27scan_by_key_config_selectorIj11FixedVectorIiLj4EEEEZZNS1_16scan_by_key_implILNS1_25lookback_scan_determinismE0ELb0ES3_N6thrust23THRUST_200600_302600_NS6detail15normal_iteratorINSB_10device_ptrIjEEEENSD_INSE_IS6_EEEESI_S6_NSB_4plusIvEENSB_8equal_toIvEES6_EE10hipError_tPvRmT2_T3_T4_T5_mT6_T7_P12ihipStream_tbENKUlT_T0_E_clISt17integral_constantIbLb1EES12_IbLb0EEEEDaSY_SZ_EUlSY_E_NS1_11comp_targetILNS1_3genE2ELNS1_11target_archE906ELNS1_3gpuE6ELNS1_3repE0EEENS1_30default_config_static_selectorELNS0_4arch9wavefront6targetE1EEEvT1_.kd
    .uniform_work_group_size: 1
    .uses_dynamic_stack: false
    .vgpr_count:     0
    .vgpr_spill_count: 0
    .wavefront_size: 64
  - .agpr_count:     0
    .args:
      - .offset:         0
        .size:           144
        .value_kind:     by_value
    .group_segment_fixed_size: 0
    .kernarg_segment_align: 8
    .kernarg_segment_size: 144
    .language:       OpenCL C
    .language_version:
      - 2
      - 0
    .max_flat_workgroup_size: 256
    .name:           _ZN7rocprim17ROCPRIM_400000_NS6detail17trampoline_kernelINS0_14default_configENS1_27scan_by_key_config_selectorIj11FixedVectorIiLj4EEEEZZNS1_16scan_by_key_implILNS1_25lookback_scan_determinismE0ELb0ES3_N6thrust23THRUST_200600_302600_NS6detail15normal_iteratorINSB_10device_ptrIjEEEENSD_INSE_IS6_EEEESI_S6_NSB_4plusIvEENSB_8equal_toIvEES6_EE10hipError_tPvRmT2_T3_T4_T5_mT6_T7_P12ihipStream_tbENKUlT_T0_E_clISt17integral_constantIbLb1EES12_IbLb0EEEEDaSY_SZ_EUlSY_E_NS1_11comp_targetILNS1_3genE10ELNS1_11target_archE1200ELNS1_3gpuE4ELNS1_3repE0EEENS1_30default_config_static_selectorELNS0_4arch9wavefront6targetE1EEEvT1_
    .private_segment_fixed_size: 0
    .sgpr_count:     6
    .sgpr_spill_count: 0
    .symbol:         _ZN7rocprim17ROCPRIM_400000_NS6detail17trampoline_kernelINS0_14default_configENS1_27scan_by_key_config_selectorIj11FixedVectorIiLj4EEEEZZNS1_16scan_by_key_implILNS1_25lookback_scan_determinismE0ELb0ES3_N6thrust23THRUST_200600_302600_NS6detail15normal_iteratorINSB_10device_ptrIjEEEENSD_INSE_IS6_EEEESI_S6_NSB_4plusIvEENSB_8equal_toIvEES6_EE10hipError_tPvRmT2_T3_T4_T5_mT6_T7_P12ihipStream_tbENKUlT_T0_E_clISt17integral_constantIbLb1EES12_IbLb0EEEEDaSY_SZ_EUlSY_E_NS1_11comp_targetILNS1_3genE10ELNS1_11target_archE1200ELNS1_3gpuE4ELNS1_3repE0EEENS1_30default_config_static_selectorELNS0_4arch9wavefront6targetE1EEEvT1_.kd
    .uniform_work_group_size: 1
    .uses_dynamic_stack: false
    .vgpr_count:     0
    .vgpr_spill_count: 0
    .wavefront_size: 64
  - .agpr_count:     0
    .args:
      - .offset:         0
        .size:           144
        .value_kind:     by_value
    .group_segment_fixed_size: 0
    .kernarg_segment_align: 8
    .kernarg_segment_size: 144
    .language:       OpenCL C
    .language_version:
      - 2
      - 0
    .max_flat_workgroup_size: 256
    .name:           _ZN7rocprim17ROCPRIM_400000_NS6detail17trampoline_kernelINS0_14default_configENS1_27scan_by_key_config_selectorIj11FixedVectorIiLj4EEEEZZNS1_16scan_by_key_implILNS1_25lookback_scan_determinismE0ELb0ES3_N6thrust23THRUST_200600_302600_NS6detail15normal_iteratorINSB_10device_ptrIjEEEENSD_INSE_IS6_EEEESI_S6_NSB_4plusIvEENSB_8equal_toIvEES6_EE10hipError_tPvRmT2_T3_T4_T5_mT6_T7_P12ihipStream_tbENKUlT_T0_E_clISt17integral_constantIbLb1EES12_IbLb0EEEEDaSY_SZ_EUlSY_E_NS1_11comp_targetILNS1_3genE9ELNS1_11target_archE1100ELNS1_3gpuE3ELNS1_3repE0EEENS1_30default_config_static_selectorELNS0_4arch9wavefront6targetE1EEEvT1_
    .private_segment_fixed_size: 0
    .sgpr_count:     6
    .sgpr_spill_count: 0
    .symbol:         _ZN7rocprim17ROCPRIM_400000_NS6detail17trampoline_kernelINS0_14default_configENS1_27scan_by_key_config_selectorIj11FixedVectorIiLj4EEEEZZNS1_16scan_by_key_implILNS1_25lookback_scan_determinismE0ELb0ES3_N6thrust23THRUST_200600_302600_NS6detail15normal_iteratorINSB_10device_ptrIjEEEENSD_INSE_IS6_EEEESI_S6_NSB_4plusIvEENSB_8equal_toIvEES6_EE10hipError_tPvRmT2_T3_T4_T5_mT6_T7_P12ihipStream_tbENKUlT_T0_E_clISt17integral_constantIbLb1EES12_IbLb0EEEEDaSY_SZ_EUlSY_E_NS1_11comp_targetILNS1_3genE9ELNS1_11target_archE1100ELNS1_3gpuE3ELNS1_3repE0EEENS1_30default_config_static_selectorELNS0_4arch9wavefront6targetE1EEEvT1_.kd
    .uniform_work_group_size: 1
    .uses_dynamic_stack: false
    .vgpr_count:     0
    .vgpr_spill_count: 0
    .wavefront_size: 64
  - .agpr_count:     0
    .args:
      - .offset:         0
        .size:           144
        .value_kind:     by_value
    .group_segment_fixed_size: 0
    .kernarg_segment_align: 8
    .kernarg_segment_size: 144
    .language:       OpenCL C
    .language_version:
      - 2
      - 0
    .max_flat_workgroup_size: 256
    .name:           _ZN7rocprim17ROCPRIM_400000_NS6detail17trampoline_kernelINS0_14default_configENS1_27scan_by_key_config_selectorIj11FixedVectorIiLj4EEEEZZNS1_16scan_by_key_implILNS1_25lookback_scan_determinismE0ELb0ES3_N6thrust23THRUST_200600_302600_NS6detail15normal_iteratorINSB_10device_ptrIjEEEENSD_INSE_IS6_EEEESI_S6_NSB_4plusIvEENSB_8equal_toIvEES6_EE10hipError_tPvRmT2_T3_T4_T5_mT6_T7_P12ihipStream_tbENKUlT_T0_E_clISt17integral_constantIbLb1EES12_IbLb0EEEEDaSY_SZ_EUlSY_E_NS1_11comp_targetILNS1_3genE8ELNS1_11target_archE1030ELNS1_3gpuE2ELNS1_3repE0EEENS1_30default_config_static_selectorELNS0_4arch9wavefront6targetE1EEEvT1_
    .private_segment_fixed_size: 0
    .sgpr_count:     6
    .sgpr_spill_count: 0
    .symbol:         _ZN7rocprim17ROCPRIM_400000_NS6detail17trampoline_kernelINS0_14default_configENS1_27scan_by_key_config_selectorIj11FixedVectorIiLj4EEEEZZNS1_16scan_by_key_implILNS1_25lookback_scan_determinismE0ELb0ES3_N6thrust23THRUST_200600_302600_NS6detail15normal_iteratorINSB_10device_ptrIjEEEENSD_INSE_IS6_EEEESI_S6_NSB_4plusIvEENSB_8equal_toIvEES6_EE10hipError_tPvRmT2_T3_T4_T5_mT6_T7_P12ihipStream_tbENKUlT_T0_E_clISt17integral_constantIbLb1EES12_IbLb0EEEEDaSY_SZ_EUlSY_E_NS1_11comp_targetILNS1_3genE8ELNS1_11target_archE1030ELNS1_3gpuE2ELNS1_3repE0EEENS1_30default_config_static_selectorELNS0_4arch9wavefront6targetE1EEEvT1_.kd
    .uniform_work_group_size: 1
    .uses_dynamic_stack: false
    .vgpr_count:     0
    .vgpr_spill_count: 0
    .wavefront_size: 64
  - .agpr_count:     0
    .args:
      - .offset:         0
        .size:           24
        .value_kind:     by_value
      - .offset:         24
        .size:           4
        .value_kind:     by_value
      - .offset:         28
        .size:           4
        .value_kind:     by_value
      - .address_space:  global
        .offset:         32
        .size:           8
        .value_kind:     global_buffer
      - .address_space:  global
        .offset:         40
        .size:           8
        .value_kind:     global_buffer
      - .actual_access:  write_only
        .address_space:  global
        .offset:         48
        .size:           8
        .value_kind:     global_buffer
      - .offset:         56
        .size:           8
        .value_kind:     by_value
      - .offset:         64
        .size:           4
        .value_kind:     by_value
      - .address_space:  global
        .offset:         72
        .size:           8
        .value_kind:     global_buffer
      - .offset:         80
        .size:           4
        .value_kind:     hidden_block_count_x
      - .offset:         84
        .size:           4
        .value_kind:     hidden_block_count_y
      - .offset:         88
        .size:           4
        .value_kind:     hidden_block_count_z
      - .offset:         92
        .size:           2
        .value_kind:     hidden_group_size_x
      - .offset:         94
        .size:           2
        .value_kind:     hidden_group_size_y
      - .offset:         96
        .size:           2
        .value_kind:     hidden_group_size_z
      - .offset:         98
        .size:           2
        .value_kind:     hidden_remainder_x
      - .offset:         100
        .size:           2
        .value_kind:     hidden_remainder_y
      - .offset:         102
        .size:           2
        .value_kind:     hidden_remainder_z
      - .offset:         120
        .size:           8
        .value_kind:     hidden_global_offset_x
      - .offset:         128
        .size:           8
        .value_kind:     hidden_global_offset_y
      - .offset:         136
        .size:           8
        .value_kind:     hidden_global_offset_z
      - .offset:         144
        .size:           2
        .value_kind:     hidden_grid_dims
    .group_segment_fixed_size: 0
    .kernarg_segment_align: 8
    .kernarg_segment_size: 336
    .language:       OpenCL C
    .language_version:
      - 2
      - 0
    .max_flat_workgroup_size: 256
    .name:           _ZN7rocprim17ROCPRIM_400000_NS6detail30init_device_scan_by_key_kernelINS1_19lookback_scan_stateINS0_5tupleIJ11FixedVectorIiLj4EEbEEELb0ELb0EEEN6thrust23THRUST_200600_302600_NS6detail15normal_iteratorINSA_10device_ptrIjEEEEjNS1_16block_id_wrapperIjLb1EEEEEvT_jjPNSI_10value_typeET0_PNSt15iterator_traitsISL_E10value_typeEmT1_T2_
    .private_segment_fixed_size: 0
    .sgpr_count:     27
    .sgpr_spill_count: 0
    .symbol:         _ZN7rocprim17ROCPRIM_400000_NS6detail30init_device_scan_by_key_kernelINS1_19lookback_scan_stateINS0_5tupleIJ11FixedVectorIiLj4EEbEEELb0ELb0EEEN6thrust23THRUST_200600_302600_NS6detail15normal_iteratorINSA_10device_ptrIjEEEEjNS1_16block_id_wrapperIjLb1EEEEEvT_jjPNSI_10value_typeET0_PNSt15iterator_traitsISL_E10value_typeEmT1_T2_.kd
    .uniform_work_group_size: 1
    .uses_dynamic_stack: false
    .vgpr_count:     7
    .vgpr_spill_count: 0
    .wavefront_size: 64
  - .agpr_count:     0
    .args:
      - .offset:         0
        .size:           24
        .value_kind:     by_value
      - .offset:         24
        .size:           4
        .value_kind:     by_value
      - .offset:         28
        .size:           4
        .value_kind:     by_value
      - .address_space:  global
        .offset:         32
        .size:           8
        .value_kind:     global_buffer
      - .address_space:  global
        .offset:         40
        .size:           8
        .value_kind:     global_buffer
      - .offset:         48
        .size:           4
        .value_kind:     hidden_block_count_x
      - .offset:         52
        .size:           4
        .value_kind:     hidden_block_count_y
      - .offset:         56
        .size:           4
        .value_kind:     hidden_block_count_z
      - .offset:         60
        .size:           2
        .value_kind:     hidden_group_size_x
      - .offset:         62
        .size:           2
        .value_kind:     hidden_group_size_y
      - .offset:         64
        .size:           2
        .value_kind:     hidden_group_size_z
      - .offset:         66
        .size:           2
        .value_kind:     hidden_remainder_x
      - .offset:         68
        .size:           2
        .value_kind:     hidden_remainder_y
      - .offset:         70
        .size:           2
        .value_kind:     hidden_remainder_z
      - .offset:         88
        .size:           8
        .value_kind:     hidden_global_offset_x
      - .offset:         96
        .size:           8
        .value_kind:     hidden_global_offset_y
      - .offset:         104
        .size:           8
        .value_kind:     hidden_global_offset_z
      - .offset:         112
        .size:           2
        .value_kind:     hidden_grid_dims
    .group_segment_fixed_size: 0
    .kernarg_segment_align: 8
    .kernarg_segment_size: 304
    .language:       OpenCL C
    .language_version:
      - 2
      - 0
    .max_flat_workgroup_size: 256
    .name:           _ZN7rocprim17ROCPRIM_400000_NS6detail30init_device_scan_by_key_kernelINS1_19lookback_scan_stateINS0_5tupleIJ11FixedVectorIiLj4EEbEEELb0ELb0EEENS1_16block_id_wrapperIjLb1EEEEEvT_jjPNSB_10value_typeET0_
    .private_segment_fixed_size: 0
    .sgpr_count:     23
    .sgpr_spill_count: 0
    .symbol:         _ZN7rocprim17ROCPRIM_400000_NS6detail30init_device_scan_by_key_kernelINS1_19lookback_scan_stateINS0_5tupleIJ11FixedVectorIiLj4EEbEEELb0ELb0EEENS1_16block_id_wrapperIjLb1EEEEEvT_jjPNSB_10value_typeET0_.kd
    .uniform_work_group_size: 1
    .uses_dynamic_stack: false
    .vgpr_count:     7
    .vgpr_spill_count: 0
    .wavefront_size: 64
  - .agpr_count:     0
    .args:
      - .offset:         0
        .size:           144
        .value_kind:     by_value
    .group_segment_fixed_size: 0
    .kernarg_segment_align: 8
    .kernarg_segment_size: 144
    .language:       OpenCL C
    .language_version:
      - 2
      - 0
    .max_flat_workgroup_size: 64
    .name:           _ZN7rocprim17ROCPRIM_400000_NS6detail17trampoline_kernelINS0_14default_configENS1_27scan_by_key_config_selectorIj11FixedVectorIiLj4EEEEZZNS1_16scan_by_key_implILNS1_25lookback_scan_determinismE0ELb0ES3_N6thrust23THRUST_200600_302600_NS6detail15normal_iteratorINSB_10device_ptrIjEEEENSD_INSE_IS6_EEEESI_S6_NSB_4plusIvEENSB_8equal_toIvEES6_EE10hipError_tPvRmT2_T3_T4_T5_mT6_T7_P12ihipStream_tbENKUlT_T0_E_clISt17integral_constantIbLb0EES12_IbLb1EEEEDaSY_SZ_EUlSY_E_NS1_11comp_targetILNS1_3genE0ELNS1_11target_archE4294967295ELNS1_3gpuE0ELNS1_3repE0EEENS1_30default_config_static_selectorELNS0_4arch9wavefront6targetE1EEEvT1_
    .private_segment_fixed_size: 0
    .sgpr_count:     6
    .sgpr_spill_count: 0
    .symbol:         _ZN7rocprim17ROCPRIM_400000_NS6detail17trampoline_kernelINS0_14default_configENS1_27scan_by_key_config_selectorIj11FixedVectorIiLj4EEEEZZNS1_16scan_by_key_implILNS1_25lookback_scan_determinismE0ELb0ES3_N6thrust23THRUST_200600_302600_NS6detail15normal_iteratorINSB_10device_ptrIjEEEENSD_INSE_IS6_EEEESI_S6_NSB_4plusIvEENSB_8equal_toIvEES6_EE10hipError_tPvRmT2_T3_T4_T5_mT6_T7_P12ihipStream_tbENKUlT_T0_E_clISt17integral_constantIbLb0EES12_IbLb1EEEEDaSY_SZ_EUlSY_E_NS1_11comp_targetILNS1_3genE0ELNS1_11target_archE4294967295ELNS1_3gpuE0ELNS1_3repE0EEENS1_30default_config_static_selectorELNS0_4arch9wavefront6targetE1EEEvT1_.kd
    .uniform_work_group_size: 1
    .uses_dynamic_stack: false
    .vgpr_count:     0
    .vgpr_spill_count: 0
    .wavefront_size: 64
  - .agpr_count:     0
    .args:
      - .offset:         0
        .size:           144
        .value_kind:     by_value
    .group_segment_fixed_size: 0
    .kernarg_segment_align: 8
    .kernarg_segment_size: 144
    .language:       OpenCL C
    .language_version:
      - 2
      - 0
    .max_flat_workgroup_size: 256
    .name:           _ZN7rocprim17ROCPRIM_400000_NS6detail17trampoline_kernelINS0_14default_configENS1_27scan_by_key_config_selectorIj11FixedVectorIiLj4EEEEZZNS1_16scan_by_key_implILNS1_25lookback_scan_determinismE0ELb0ES3_N6thrust23THRUST_200600_302600_NS6detail15normal_iteratorINSB_10device_ptrIjEEEENSD_INSE_IS6_EEEESI_S6_NSB_4plusIvEENSB_8equal_toIvEES6_EE10hipError_tPvRmT2_T3_T4_T5_mT6_T7_P12ihipStream_tbENKUlT_T0_E_clISt17integral_constantIbLb0EES12_IbLb1EEEEDaSY_SZ_EUlSY_E_NS1_11comp_targetILNS1_3genE10ELNS1_11target_archE1201ELNS1_3gpuE5ELNS1_3repE0EEENS1_30default_config_static_selectorELNS0_4arch9wavefront6targetE1EEEvT1_
    .private_segment_fixed_size: 0
    .sgpr_count:     6
    .sgpr_spill_count: 0
    .symbol:         _ZN7rocprim17ROCPRIM_400000_NS6detail17trampoline_kernelINS0_14default_configENS1_27scan_by_key_config_selectorIj11FixedVectorIiLj4EEEEZZNS1_16scan_by_key_implILNS1_25lookback_scan_determinismE0ELb0ES3_N6thrust23THRUST_200600_302600_NS6detail15normal_iteratorINSB_10device_ptrIjEEEENSD_INSE_IS6_EEEESI_S6_NSB_4plusIvEENSB_8equal_toIvEES6_EE10hipError_tPvRmT2_T3_T4_T5_mT6_T7_P12ihipStream_tbENKUlT_T0_E_clISt17integral_constantIbLb0EES12_IbLb1EEEEDaSY_SZ_EUlSY_E_NS1_11comp_targetILNS1_3genE10ELNS1_11target_archE1201ELNS1_3gpuE5ELNS1_3repE0EEENS1_30default_config_static_selectorELNS0_4arch9wavefront6targetE1EEEvT1_.kd
    .uniform_work_group_size: 1
    .uses_dynamic_stack: false
    .vgpr_count:     0
    .vgpr_spill_count: 0
    .wavefront_size: 64
  - .agpr_count:     0
    .args:
      - .offset:         0
        .size:           144
        .value_kind:     by_value
    .group_segment_fixed_size: 47104
    .kernarg_segment_align: 8
    .kernarg_segment_size: 144
    .language:       OpenCL C
    .language_version:
      - 2
      - 0
    .max_flat_workgroup_size: 128
    .name:           _ZN7rocprim17ROCPRIM_400000_NS6detail17trampoline_kernelINS0_14default_configENS1_27scan_by_key_config_selectorIj11FixedVectorIiLj4EEEEZZNS1_16scan_by_key_implILNS1_25lookback_scan_determinismE0ELb0ES3_N6thrust23THRUST_200600_302600_NS6detail15normal_iteratorINSB_10device_ptrIjEEEENSD_INSE_IS6_EEEESI_S6_NSB_4plusIvEENSB_8equal_toIvEES6_EE10hipError_tPvRmT2_T3_T4_T5_mT6_T7_P12ihipStream_tbENKUlT_T0_E_clISt17integral_constantIbLb0EES12_IbLb1EEEEDaSY_SZ_EUlSY_E_NS1_11comp_targetILNS1_3genE5ELNS1_11target_archE942ELNS1_3gpuE9ELNS1_3repE0EEENS1_30default_config_static_selectorELNS0_4arch9wavefront6targetE1EEEvT1_
    .private_segment_fixed_size: 944
    .sgpr_count:     106
    .sgpr_spill_count: 23
    .symbol:         _ZN7rocprim17ROCPRIM_400000_NS6detail17trampoline_kernelINS0_14default_configENS1_27scan_by_key_config_selectorIj11FixedVectorIiLj4EEEEZZNS1_16scan_by_key_implILNS1_25lookback_scan_determinismE0ELb0ES3_N6thrust23THRUST_200600_302600_NS6detail15normal_iteratorINSB_10device_ptrIjEEEENSD_INSE_IS6_EEEESI_S6_NSB_4plusIvEENSB_8equal_toIvEES6_EE10hipError_tPvRmT2_T3_T4_T5_mT6_T7_P12ihipStream_tbENKUlT_T0_E_clISt17integral_constantIbLb0EES12_IbLb1EEEEDaSY_SZ_EUlSY_E_NS1_11comp_targetILNS1_3genE5ELNS1_11target_archE942ELNS1_3gpuE9ELNS1_3repE0EEENS1_30default_config_static_selectorELNS0_4arch9wavefront6targetE1EEEvT1_.kd
    .uniform_work_group_size: 1
    .uses_dynamic_stack: false
    .vgpr_count:     201
    .vgpr_spill_count: 0
    .wavefront_size: 64
  - .agpr_count:     0
    .args:
      - .offset:         0
        .size:           144
        .value_kind:     by_value
    .group_segment_fixed_size: 0
    .kernarg_segment_align: 8
    .kernarg_segment_size: 144
    .language:       OpenCL C
    .language_version:
      - 2
      - 0
    .max_flat_workgroup_size: 256
    .name:           _ZN7rocprim17ROCPRIM_400000_NS6detail17trampoline_kernelINS0_14default_configENS1_27scan_by_key_config_selectorIj11FixedVectorIiLj4EEEEZZNS1_16scan_by_key_implILNS1_25lookback_scan_determinismE0ELb0ES3_N6thrust23THRUST_200600_302600_NS6detail15normal_iteratorINSB_10device_ptrIjEEEENSD_INSE_IS6_EEEESI_S6_NSB_4plusIvEENSB_8equal_toIvEES6_EE10hipError_tPvRmT2_T3_T4_T5_mT6_T7_P12ihipStream_tbENKUlT_T0_E_clISt17integral_constantIbLb0EES12_IbLb1EEEEDaSY_SZ_EUlSY_E_NS1_11comp_targetILNS1_3genE4ELNS1_11target_archE910ELNS1_3gpuE8ELNS1_3repE0EEENS1_30default_config_static_selectorELNS0_4arch9wavefront6targetE1EEEvT1_
    .private_segment_fixed_size: 0
    .sgpr_count:     6
    .sgpr_spill_count: 0
    .symbol:         _ZN7rocprim17ROCPRIM_400000_NS6detail17trampoline_kernelINS0_14default_configENS1_27scan_by_key_config_selectorIj11FixedVectorIiLj4EEEEZZNS1_16scan_by_key_implILNS1_25lookback_scan_determinismE0ELb0ES3_N6thrust23THRUST_200600_302600_NS6detail15normal_iteratorINSB_10device_ptrIjEEEENSD_INSE_IS6_EEEESI_S6_NSB_4plusIvEENSB_8equal_toIvEES6_EE10hipError_tPvRmT2_T3_T4_T5_mT6_T7_P12ihipStream_tbENKUlT_T0_E_clISt17integral_constantIbLb0EES12_IbLb1EEEEDaSY_SZ_EUlSY_E_NS1_11comp_targetILNS1_3genE4ELNS1_11target_archE910ELNS1_3gpuE8ELNS1_3repE0EEENS1_30default_config_static_selectorELNS0_4arch9wavefront6targetE1EEEvT1_.kd
    .uniform_work_group_size: 1
    .uses_dynamic_stack: false
    .vgpr_count:     0
    .vgpr_spill_count: 0
    .wavefront_size: 64
  - .agpr_count:     0
    .args:
      - .offset:         0
        .size:           144
        .value_kind:     by_value
    .group_segment_fixed_size: 0
    .kernarg_segment_align: 8
    .kernarg_segment_size: 144
    .language:       OpenCL C
    .language_version:
      - 2
      - 0
    .max_flat_workgroup_size: 64
    .name:           _ZN7rocprim17ROCPRIM_400000_NS6detail17trampoline_kernelINS0_14default_configENS1_27scan_by_key_config_selectorIj11FixedVectorIiLj4EEEEZZNS1_16scan_by_key_implILNS1_25lookback_scan_determinismE0ELb0ES3_N6thrust23THRUST_200600_302600_NS6detail15normal_iteratorINSB_10device_ptrIjEEEENSD_INSE_IS6_EEEESI_S6_NSB_4plusIvEENSB_8equal_toIvEES6_EE10hipError_tPvRmT2_T3_T4_T5_mT6_T7_P12ihipStream_tbENKUlT_T0_E_clISt17integral_constantIbLb0EES12_IbLb1EEEEDaSY_SZ_EUlSY_E_NS1_11comp_targetILNS1_3genE3ELNS1_11target_archE908ELNS1_3gpuE7ELNS1_3repE0EEENS1_30default_config_static_selectorELNS0_4arch9wavefront6targetE1EEEvT1_
    .private_segment_fixed_size: 0
    .sgpr_count:     6
    .sgpr_spill_count: 0
    .symbol:         _ZN7rocprim17ROCPRIM_400000_NS6detail17trampoline_kernelINS0_14default_configENS1_27scan_by_key_config_selectorIj11FixedVectorIiLj4EEEEZZNS1_16scan_by_key_implILNS1_25lookback_scan_determinismE0ELb0ES3_N6thrust23THRUST_200600_302600_NS6detail15normal_iteratorINSB_10device_ptrIjEEEENSD_INSE_IS6_EEEESI_S6_NSB_4plusIvEENSB_8equal_toIvEES6_EE10hipError_tPvRmT2_T3_T4_T5_mT6_T7_P12ihipStream_tbENKUlT_T0_E_clISt17integral_constantIbLb0EES12_IbLb1EEEEDaSY_SZ_EUlSY_E_NS1_11comp_targetILNS1_3genE3ELNS1_11target_archE908ELNS1_3gpuE7ELNS1_3repE0EEENS1_30default_config_static_selectorELNS0_4arch9wavefront6targetE1EEEvT1_.kd
    .uniform_work_group_size: 1
    .uses_dynamic_stack: false
    .vgpr_count:     0
    .vgpr_spill_count: 0
    .wavefront_size: 64
  - .agpr_count:     0
    .args:
      - .offset:         0
        .size:           144
        .value_kind:     by_value
    .group_segment_fixed_size: 0
    .kernarg_segment_align: 8
    .kernarg_segment_size: 144
    .language:       OpenCL C
    .language_version:
      - 2
      - 0
    .max_flat_workgroup_size: 256
    .name:           _ZN7rocprim17ROCPRIM_400000_NS6detail17trampoline_kernelINS0_14default_configENS1_27scan_by_key_config_selectorIj11FixedVectorIiLj4EEEEZZNS1_16scan_by_key_implILNS1_25lookback_scan_determinismE0ELb0ES3_N6thrust23THRUST_200600_302600_NS6detail15normal_iteratorINSB_10device_ptrIjEEEENSD_INSE_IS6_EEEESI_S6_NSB_4plusIvEENSB_8equal_toIvEES6_EE10hipError_tPvRmT2_T3_T4_T5_mT6_T7_P12ihipStream_tbENKUlT_T0_E_clISt17integral_constantIbLb0EES12_IbLb1EEEEDaSY_SZ_EUlSY_E_NS1_11comp_targetILNS1_3genE2ELNS1_11target_archE906ELNS1_3gpuE6ELNS1_3repE0EEENS1_30default_config_static_selectorELNS0_4arch9wavefront6targetE1EEEvT1_
    .private_segment_fixed_size: 0
    .sgpr_count:     6
    .sgpr_spill_count: 0
    .symbol:         _ZN7rocprim17ROCPRIM_400000_NS6detail17trampoline_kernelINS0_14default_configENS1_27scan_by_key_config_selectorIj11FixedVectorIiLj4EEEEZZNS1_16scan_by_key_implILNS1_25lookback_scan_determinismE0ELb0ES3_N6thrust23THRUST_200600_302600_NS6detail15normal_iteratorINSB_10device_ptrIjEEEENSD_INSE_IS6_EEEESI_S6_NSB_4plusIvEENSB_8equal_toIvEES6_EE10hipError_tPvRmT2_T3_T4_T5_mT6_T7_P12ihipStream_tbENKUlT_T0_E_clISt17integral_constantIbLb0EES12_IbLb1EEEEDaSY_SZ_EUlSY_E_NS1_11comp_targetILNS1_3genE2ELNS1_11target_archE906ELNS1_3gpuE6ELNS1_3repE0EEENS1_30default_config_static_selectorELNS0_4arch9wavefront6targetE1EEEvT1_.kd
    .uniform_work_group_size: 1
    .uses_dynamic_stack: false
    .vgpr_count:     0
    .vgpr_spill_count: 0
    .wavefront_size: 64
  - .agpr_count:     0
    .args:
      - .offset:         0
        .size:           144
        .value_kind:     by_value
    .group_segment_fixed_size: 0
    .kernarg_segment_align: 8
    .kernarg_segment_size: 144
    .language:       OpenCL C
    .language_version:
      - 2
      - 0
    .max_flat_workgroup_size: 256
    .name:           _ZN7rocprim17ROCPRIM_400000_NS6detail17trampoline_kernelINS0_14default_configENS1_27scan_by_key_config_selectorIj11FixedVectorIiLj4EEEEZZNS1_16scan_by_key_implILNS1_25lookback_scan_determinismE0ELb0ES3_N6thrust23THRUST_200600_302600_NS6detail15normal_iteratorINSB_10device_ptrIjEEEENSD_INSE_IS6_EEEESI_S6_NSB_4plusIvEENSB_8equal_toIvEES6_EE10hipError_tPvRmT2_T3_T4_T5_mT6_T7_P12ihipStream_tbENKUlT_T0_E_clISt17integral_constantIbLb0EES12_IbLb1EEEEDaSY_SZ_EUlSY_E_NS1_11comp_targetILNS1_3genE10ELNS1_11target_archE1200ELNS1_3gpuE4ELNS1_3repE0EEENS1_30default_config_static_selectorELNS0_4arch9wavefront6targetE1EEEvT1_
    .private_segment_fixed_size: 0
    .sgpr_count:     6
    .sgpr_spill_count: 0
    .symbol:         _ZN7rocprim17ROCPRIM_400000_NS6detail17trampoline_kernelINS0_14default_configENS1_27scan_by_key_config_selectorIj11FixedVectorIiLj4EEEEZZNS1_16scan_by_key_implILNS1_25lookback_scan_determinismE0ELb0ES3_N6thrust23THRUST_200600_302600_NS6detail15normal_iteratorINSB_10device_ptrIjEEEENSD_INSE_IS6_EEEESI_S6_NSB_4plusIvEENSB_8equal_toIvEES6_EE10hipError_tPvRmT2_T3_T4_T5_mT6_T7_P12ihipStream_tbENKUlT_T0_E_clISt17integral_constantIbLb0EES12_IbLb1EEEEDaSY_SZ_EUlSY_E_NS1_11comp_targetILNS1_3genE10ELNS1_11target_archE1200ELNS1_3gpuE4ELNS1_3repE0EEENS1_30default_config_static_selectorELNS0_4arch9wavefront6targetE1EEEvT1_.kd
    .uniform_work_group_size: 1
    .uses_dynamic_stack: false
    .vgpr_count:     0
    .vgpr_spill_count: 0
    .wavefront_size: 64
  - .agpr_count:     0
    .args:
      - .offset:         0
        .size:           144
        .value_kind:     by_value
    .group_segment_fixed_size: 0
    .kernarg_segment_align: 8
    .kernarg_segment_size: 144
    .language:       OpenCL C
    .language_version:
      - 2
      - 0
    .max_flat_workgroup_size: 256
    .name:           _ZN7rocprim17ROCPRIM_400000_NS6detail17trampoline_kernelINS0_14default_configENS1_27scan_by_key_config_selectorIj11FixedVectorIiLj4EEEEZZNS1_16scan_by_key_implILNS1_25lookback_scan_determinismE0ELb0ES3_N6thrust23THRUST_200600_302600_NS6detail15normal_iteratorINSB_10device_ptrIjEEEENSD_INSE_IS6_EEEESI_S6_NSB_4plusIvEENSB_8equal_toIvEES6_EE10hipError_tPvRmT2_T3_T4_T5_mT6_T7_P12ihipStream_tbENKUlT_T0_E_clISt17integral_constantIbLb0EES12_IbLb1EEEEDaSY_SZ_EUlSY_E_NS1_11comp_targetILNS1_3genE9ELNS1_11target_archE1100ELNS1_3gpuE3ELNS1_3repE0EEENS1_30default_config_static_selectorELNS0_4arch9wavefront6targetE1EEEvT1_
    .private_segment_fixed_size: 0
    .sgpr_count:     6
    .sgpr_spill_count: 0
    .symbol:         _ZN7rocprim17ROCPRIM_400000_NS6detail17trampoline_kernelINS0_14default_configENS1_27scan_by_key_config_selectorIj11FixedVectorIiLj4EEEEZZNS1_16scan_by_key_implILNS1_25lookback_scan_determinismE0ELb0ES3_N6thrust23THRUST_200600_302600_NS6detail15normal_iteratorINSB_10device_ptrIjEEEENSD_INSE_IS6_EEEESI_S6_NSB_4plusIvEENSB_8equal_toIvEES6_EE10hipError_tPvRmT2_T3_T4_T5_mT6_T7_P12ihipStream_tbENKUlT_T0_E_clISt17integral_constantIbLb0EES12_IbLb1EEEEDaSY_SZ_EUlSY_E_NS1_11comp_targetILNS1_3genE9ELNS1_11target_archE1100ELNS1_3gpuE3ELNS1_3repE0EEENS1_30default_config_static_selectorELNS0_4arch9wavefront6targetE1EEEvT1_.kd
    .uniform_work_group_size: 1
    .uses_dynamic_stack: false
    .vgpr_count:     0
    .vgpr_spill_count: 0
    .wavefront_size: 64
  - .agpr_count:     0
    .args:
      - .offset:         0
        .size:           144
        .value_kind:     by_value
    .group_segment_fixed_size: 0
    .kernarg_segment_align: 8
    .kernarg_segment_size: 144
    .language:       OpenCL C
    .language_version:
      - 2
      - 0
    .max_flat_workgroup_size: 256
    .name:           _ZN7rocprim17ROCPRIM_400000_NS6detail17trampoline_kernelINS0_14default_configENS1_27scan_by_key_config_selectorIj11FixedVectorIiLj4EEEEZZNS1_16scan_by_key_implILNS1_25lookback_scan_determinismE0ELb0ES3_N6thrust23THRUST_200600_302600_NS6detail15normal_iteratorINSB_10device_ptrIjEEEENSD_INSE_IS6_EEEESI_S6_NSB_4plusIvEENSB_8equal_toIvEES6_EE10hipError_tPvRmT2_T3_T4_T5_mT6_T7_P12ihipStream_tbENKUlT_T0_E_clISt17integral_constantIbLb0EES12_IbLb1EEEEDaSY_SZ_EUlSY_E_NS1_11comp_targetILNS1_3genE8ELNS1_11target_archE1030ELNS1_3gpuE2ELNS1_3repE0EEENS1_30default_config_static_selectorELNS0_4arch9wavefront6targetE1EEEvT1_
    .private_segment_fixed_size: 0
    .sgpr_count:     6
    .sgpr_spill_count: 0
    .symbol:         _ZN7rocprim17ROCPRIM_400000_NS6detail17trampoline_kernelINS0_14default_configENS1_27scan_by_key_config_selectorIj11FixedVectorIiLj4EEEEZZNS1_16scan_by_key_implILNS1_25lookback_scan_determinismE0ELb0ES3_N6thrust23THRUST_200600_302600_NS6detail15normal_iteratorINSB_10device_ptrIjEEEENSD_INSE_IS6_EEEESI_S6_NSB_4plusIvEENSB_8equal_toIvEES6_EE10hipError_tPvRmT2_T3_T4_T5_mT6_T7_P12ihipStream_tbENKUlT_T0_E_clISt17integral_constantIbLb0EES12_IbLb1EEEEDaSY_SZ_EUlSY_E_NS1_11comp_targetILNS1_3genE8ELNS1_11target_archE1030ELNS1_3gpuE2ELNS1_3repE0EEENS1_30default_config_static_selectorELNS0_4arch9wavefront6targetE1EEEvT1_.kd
    .uniform_work_group_size: 1
    .uses_dynamic_stack: false
    .vgpr_count:     0
    .vgpr_spill_count: 0
    .wavefront_size: 64
  - .agpr_count:     0
    .args:
      - .offset:         0
        .size:           144
        .value_kind:     by_value
    .group_segment_fixed_size: 0
    .kernarg_segment_align: 8
    .kernarg_segment_size: 144
    .language:       OpenCL C
    .language_version:
      - 2
      - 0
    .max_flat_workgroup_size: 64
    .name:           _ZN7rocprim17ROCPRIM_400000_NS6detail17trampoline_kernelINS0_14default_configENS1_27scan_by_key_config_selectorIj11FixedVectorIiLj4EEEEZZNS1_16scan_by_key_implILNS1_25lookback_scan_determinismE0ELb1ES3_N6thrust23THRUST_200600_302600_NS6detail15normal_iteratorINSB_10device_ptrIjEEEENSD_INSE_IS6_EEEESI_S6_NSB_4plusIvEENSB_8equal_toIvEES6_EE10hipError_tPvRmT2_T3_T4_T5_mT6_T7_P12ihipStream_tbENKUlT_T0_E_clISt17integral_constantIbLb0EES13_EEDaSY_SZ_EUlSY_E_NS1_11comp_targetILNS1_3genE0ELNS1_11target_archE4294967295ELNS1_3gpuE0ELNS1_3repE0EEENS1_30default_config_static_selectorELNS0_4arch9wavefront6targetE1EEEvT1_
    .private_segment_fixed_size: 0
    .sgpr_count:     6
    .sgpr_spill_count: 0
    .symbol:         _ZN7rocprim17ROCPRIM_400000_NS6detail17trampoline_kernelINS0_14default_configENS1_27scan_by_key_config_selectorIj11FixedVectorIiLj4EEEEZZNS1_16scan_by_key_implILNS1_25lookback_scan_determinismE0ELb1ES3_N6thrust23THRUST_200600_302600_NS6detail15normal_iteratorINSB_10device_ptrIjEEEENSD_INSE_IS6_EEEESI_S6_NSB_4plusIvEENSB_8equal_toIvEES6_EE10hipError_tPvRmT2_T3_T4_T5_mT6_T7_P12ihipStream_tbENKUlT_T0_E_clISt17integral_constantIbLb0EES13_EEDaSY_SZ_EUlSY_E_NS1_11comp_targetILNS1_3genE0ELNS1_11target_archE4294967295ELNS1_3gpuE0ELNS1_3repE0EEENS1_30default_config_static_selectorELNS0_4arch9wavefront6targetE1EEEvT1_.kd
    .uniform_work_group_size: 1
    .uses_dynamic_stack: false
    .vgpr_count:     0
    .vgpr_spill_count: 0
    .wavefront_size: 64
  - .agpr_count:     0
    .args:
      - .offset:         0
        .size:           144
        .value_kind:     by_value
    .group_segment_fixed_size: 0
    .kernarg_segment_align: 8
    .kernarg_segment_size: 144
    .language:       OpenCL C
    .language_version:
      - 2
      - 0
    .max_flat_workgroup_size: 256
    .name:           _ZN7rocprim17ROCPRIM_400000_NS6detail17trampoline_kernelINS0_14default_configENS1_27scan_by_key_config_selectorIj11FixedVectorIiLj4EEEEZZNS1_16scan_by_key_implILNS1_25lookback_scan_determinismE0ELb1ES3_N6thrust23THRUST_200600_302600_NS6detail15normal_iteratorINSB_10device_ptrIjEEEENSD_INSE_IS6_EEEESI_S6_NSB_4plusIvEENSB_8equal_toIvEES6_EE10hipError_tPvRmT2_T3_T4_T5_mT6_T7_P12ihipStream_tbENKUlT_T0_E_clISt17integral_constantIbLb0EES13_EEDaSY_SZ_EUlSY_E_NS1_11comp_targetILNS1_3genE10ELNS1_11target_archE1201ELNS1_3gpuE5ELNS1_3repE0EEENS1_30default_config_static_selectorELNS0_4arch9wavefront6targetE1EEEvT1_
    .private_segment_fixed_size: 0
    .sgpr_count:     6
    .sgpr_spill_count: 0
    .symbol:         _ZN7rocprim17ROCPRIM_400000_NS6detail17trampoline_kernelINS0_14default_configENS1_27scan_by_key_config_selectorIj11FixedVectorIiLj4EEEEZZNS1_16scan_by_key_implILNS1_25lookback_scan_determinismE0ELb1ES3_N6thrust23THRUST_200600_302600_NS6detail15normal_iteratorINSB_10device_ptrIjEEEENSD_INSE_IS6_EEEESI_S6_NSB_4plusIvEENSB_8equal_toIvEES6_EE10hipError_tPvRmT2_T3_T4_T5_mT6_T7_P12ihipStream_tbENKUlT_T0_E_clISt17integral_constantIbLb0EES13_EEDaSY_SZ_EUlSY_E_NS1_11comp_targetILNS1_3genE10ELNS1_11target_archE1201ELNS1_3gpuE5ELNS1_3repE0EEENS1_30default_config_static_selectorELNS0_4arch9wavefront6targetE1EEEvT1_.kd
    .uniform_work_group_size: 1
    .uses_dynamic_stack: false
    .vgpr_count:     0
    .vgpr_spill_count: 0
    .wavefront_size: 64
  - .agpr_count:     0
    .args:
      - .offset:         0
        .size:           144
        .value_kind:     by_value
    .group_segment_fixed_size: 47104
    .kernarg_segment_align: 8
    .kernarg_segment_size: 144
    .language:       OpenCL C
    .language_version:
      - 2
      - 0
    .max_flat_workgroup_size: 128
    .name:           _ZN7rocprim17ROCPRIM_400000_NS6detail17trampoline_kernelINS0_14default_configENS1_27scan_by_key_config_selectorIj11FixedVectorIiLj4EEEEZZNS1_16scan_by_key_implILNS1_25lookback_scan_determinismE0ELb1ES3_N6thrust23THRUST_200600_302600_NS6detail15normal_iteratorINSB_10device_ptrIjEEEENSD_INSE_IS6_EEEESI_S6_NSB_4plusIvEENSB_8equal_toIvEES6_EE10hipError_tPvRmT2_T3_T4_T5_mT6_T7_P12ihipStream_tbENKUlT_T0_E_clISt17integral_constantIbLb0EES13_EEDaSY_SZ_EUlSY_E_NS1_11comp_targetILNS1_3genE5ELNS1_11target_archE942ELNS1_3gpuE9ELNS1_3repE0EEENS1_30default_config_static_selectorELNS0_4arch9wavefront6targetE1EEEvT1_
    .private_segment_fixed_size: 960
    .sgpr_count:     88
    .sgpr_spill_count: 0
    .symbol:         _ZN7rocprim17ROCPRIM_400000_NS6detail17trampoline_kernelINS0_14default_configENS1_27scan_by_key_config_selectorIj11FixedVectorIiLj4EEEEZZNS1_16scan_by_key_implILNS1_25lookback_scan_determinismE0ELb1ES3_N6thrust23THRUST_200600_302600_NS6detail15normal_iteratorINSB_10device_ptrIjEEEENSD_INSE_IS6_EEEESI_S6_NSB_4plusIvEENSB_8equal_toIvEES6_EE10hipError_tPvRmT2_T3_T4_T5_mT6_T7_P12ihipStream_tbENKUlT_T0_E_clISt17integral_constantIbLb0EES13_EEDaSY_SZ_EUlSY_E_NS1_11comp_targetILNS1_3genE5ELNS1_11target_archE942ELNS1_3gpuE9ELNS1_3repE0EEENS1_30default_config_static_selectorELNS0_4arch9wavefront6targetE1EEEvT1_.kd
    .uniform_work_group_size: 1
    .uses_dynamic_stack: false
    .vgpr_count:     203
    .vgpr_spill_count: 0
    .wavefront_size: 64
  - .agpr_count:     0
    .args:
      - .offset:         0
        .size:           144
        .value_kind:     by_value
    .group_segment_fixed_size: 0
    .kernarg_segment_align: 8
    .kernarg_segment_size: 144
    .language:       OpenCL C
    .language_version:
      - 2
      - 0
    .max_flat_workgroup_size: 256
    .name:           _ZN7rocprim17ROCPRIM_400000_NS6detail17trampoline_kernelINS0_14default_configENS1_27scan_by_key_config_selectorIj11FixedVectorIiLj4EEEEZZNS1_16scan_by_key_implILNS1_25lookback_scan_determinismE0ELb1ES3_N6thrust23THRUST_200600_302600_NS6detail15normal_iteratorINSB_10device_ptrIjEEEENSD_INSE_IS6_EEEESI_S6_NSB_4plusIvEENSB_8equal_toIvEES6_EE10hipError_tPvRmT2_T3_T4_T5_mT6_T7_P12ihipStream_tbENKUlT_T0_E_clISt17integral_constantIbLb0EES13_EEDaSY_SZ_EUlSY_E_NS1_11comp_targetILNS1_3genE4ELNS1_11target_archE910ELNS1_3gpuE8ELNS1_3repE0EEENS1_30default_config_static_selectorELNS0_4arch9wavefront6targetE1EEEvT1_
    .private_segment_fixed_size: 0
    .sgpr_count:     6
    .sgpr_spill_count: 0
    .symbol:         _ZN7rocprim17ROCPRIM_400000_NS6detail17trampoline_kernelINS0_14default_configENS1_27scan_by_key_config_selectorIj11FixedVectorIiLj4EEEEZZNS1_16scan_by_key_implILNS1_25lookback_scan_determinismE0ELb1ES3_N6thrust23THRUST_200600_302600_NS6detail15normal_iteratorINSB_10device_ptrIjEEEENSD_INSE_IS6_EEEESI_S6_NSB_4plusIvEENSB_8equal_toIvEES6_EE10hipError_tPvRmT2_T3_T4_T5_mT6_T7_P12ihipStream_tbENKUlT_T0_E_clISt17integral_constantIbLb0EES13_EEDaSY_SZ_EUlSY_E_NS1_11comp_targetILNS1_3genE4ELNS1_11target_archE910ELNS1_3gpuE8ELNS1_3repE0EEENS1_30default_config_static_selectorELNS0_4arch9wavefront6targetE1EEEvT1_.kd
    .uniform_work_group_size: 1
    .uses_dynamic_stack: false
    .vgpr_count:     0
    .vgpr_spill_count: 0
    .wavefront_size: 64
  - .agpr_count:     0
    .args:
      - .offset:         0
        .size:           144
        .value_kind:     by_value
    .group_segment_fixed_size: 0
    .kernarg_segment_align: 8
    .kernarg_segment_size: 144
    .language:       OpenCL C
    .language_version:
      - 2
      - 0
    .max_flat_workgroup_size: 64
    .name:           _ZN7rocprim17ROCPRIM_400000_NS6detail17trampoline_kernelINS0_14default_configENS1_27scan_by_key_config_selectorIj11FixedVectorIiLj4EEEEZZNS1_16scan_by_key_implILNS1_25lookback_scan_determinismE0ELb1ES3_N6thrust23THRUST_200600_302600_NS6detail15normal_iteratorINSB_10device_ptrIjEEEENSD_INSE_IS6_EEEESI_S6_NSB_4plusIvEENSB_8equal_toIvEES6_EE10hipError_tPvRmT2_T3_T4_T5_mT6_T7_P12ihipStream_tbENKUlT_T0_E_clISt17integral_constantIbLb0EES13_EEDaSY_SZ_EUlSY_E_NS1_11comp_targetILNS1_3genE3ELNS1_11target_archE908ELNS1_3gpuE7ELNS1_3repE0EEENS1_30default_config_static_selectorELNS0_4arch9wavefront6targetE1EEEvT1_
    .private_segment_fixed_size: 0
    .sgpr_count:     6
    .sgpr_spill_count: 0
    .symbol:         _ZN7rocprim17ROCPRIM_400000_NS6detail17trampoline_kernelINS0_14default_configENS1_27scan_by_key_config_selectorIj11FixedVectorIiLj4EEEEZZNS1_16scan_by_key_implILNS1_25lookback_scan_determinismE0ELb1ES3_N6thrust23THRUST_200600_302600_NS6detail15normal_iteratorINSB_10device_ptrIjEEEENSD_INSE_IS6_EEEESI_S6_NSB_4plusIvEENSB_8equal_toIvEES6_EE10hipError_tPvRmT2_T3_T4_T5_mT6_T7_P12ihipStream_tbENKUlT_T0_E_clISt17integral_constantIbLb0EES13_EEDaSY_SZ_EUlSY_E_NS1_11comp_targetILNS1_3genE3ELNS1_11target_archE908ELNS1_3gpuE7ELNS1_3repE0EEENS1_30default_config_static_selectorELNS0_4arch9wavefront6targetE1EEEvT1_.kd
    .uniform_work_group_size: 1
    .uses_dynamic_stack: false
    .vgpr_count:     0
    .vgpr_spill_count: 0
    .wavefront_size: 64
  - .agpr_count:     0
    .args:
      - .offset:         0
        .size:           144
        .value_kind:     by_value
    .group_segment_fixed_size: 0
    .kernarg_segment_align: 8
    .kernarg_segment_size: 144
    .language:       OpenCL C
    .language_version:
      - 2
      - 0
    .max_flat_workgroup_size: 256
    .name:           _ZN7rocprim17ROCPRIM_400000_NS6detail17trampoline_kernelINS0_14default_configENS1_27scan_by_key_config_selectorIj11FixedVectorIiLj4EEEEZZNS1_16scan_by_key_implILNS1_25lookback_scan_determinismE0ELb1ES3_N6thrust23THRUST_200600_302600_NS6detail15normal_iteratorINSB_10device_ptrIjEEEENSD_INSE_IS6_EEEESI_S6_NSB_4plusIvEENSB_8equal_toIvEES6_EE10hipError_tPvRmT2_T3_T4_T5_mT6_T7_P12ihipStream_tbENKUlT_T0_E_clISt17integral_constantIbLb0EES13_EEDaSY_SZ_EUlSY_E_NS1_11comp_targetILNS1_3genE2ELNS1_11target_archE906ELNS1_3gpuE6ELNS1_3repE0EEENS1_30default_config_static_selectorELNS0_4arch9wavefront6targetE1EEEvT1_
    .private_segment_fixed_size: 0
    .sgpr_count:     6
    .sgpr_spill_count: 0
    .symbol:         _ZN7rocprim17ROCPRIM_400000_NS6detail17trampoline_kernelINS0_14default_configENS1_27scan_by_key_config_selectorIj11FixedVectorIiLj4EEEEZZNS1_16scan_by_key_implILNS1_25lookback_scan_determinismE0ELb1ES3_N6thrust23THRUST_200600_302600_NS6detail15normal_iteratorINSB_10device_ptrIjEEEENSD_INSE_IS6_EEEESI_S6_NSB_4plusIvEENSB_8equal_toIvEES6_EE10hipError_tPvRmT2_T3_T4_T5_mT6_T7_P12ihipStream_tbENKUlT_T0_E_clISt17integral_constantIbLb0EES13_EEDaSY_SZ_EUlSY_E_NS1_11comp_targetILNS1_3genE2ELNS1_11target_archE906ELNS1_3gpuE6ELNS1_3repE0EEENS1_30default_config_static_selectorELNS0_4arch9wavefront6targetE1EEEvT1_.kd
    .uniform_work_group_size: 1
    .uses_dynamic_stack: false
    .vgpr_count:     0
    .vgpr_spill_count: 0
    .wavefront_size: 64
  - .agpr_count:     0
    .args:
      - .offset:         0
        .size:           144
        .value_kind:     by_value
    .group_segment_fixed_size: 0
    .kernarg_segment_align: 8
    .kernarg_segment_size: 144
    .language:       OpenCL C
    .language_version:
      - 2
      - 0
    .max_flat_workgroup_size: 256
    .name:           _ZN7rocprim17ROCPRIM_400000_NS6detail17trampoline_kernelINS0_14default_configENS1_27scan_by_key_config_selectorIj11FixedVectorIiLj4EEEEZZNS1_16scan_by_key_implILNS1_25lookback_scan_determinismE0ELb1ES3_N6thrust23THRUST_200600_302600_NS6detail15normal_iteratorINSB_10device_ptrIjEEEENSD_INSE_IS6_EEEESI_S6_NSB_4plusIvEENSB_8equal_toIvEES6_EE10hipError_tPvRmT2_T3_T4_T5_mT6_T7_P12ihipStream_tbENKUlT_T0_E_clISt17integral_constantIbLb0EES13_EEDaSY_SZ_EUlSY_E_NS1_11comp_targetILNS1_3genE10ELNS1_11target_archE1200ELNS1_3gpuE4ELNS1_3repE0EEENS1_30default_config_static_selectorELNS0_4arch9wavefront6targetE1EEEvT1_
    .private_segment_fixed_size: 0
    .sgpr_count:     6
    .sgpr_spill_count: 0
    .symbol:         _ZN7rocprim17ROCPRIM_400000_NS6detail17trampoline_kernelINS0_14default_configENS1_27scan_by_key_config_selectorIj11FixedVectorIiLj4EEEEZZNS1_16scan_by_key_implILNS1_25lookback_scan_determinismE0ELb1ES3_N6thrust23THRUST_200600_302600_NS6detail15normal_iteratorINSB_10device_ptrIjEEEENSD_INSE_IS6_EEEESI_S6_NSB_4plusIvEENSB_8equal_toIvEES6_EE10hipError_tPvRmT2_T3_T4_T5_mT6_T7_P12ihipStream_tbENKUlT_T0_E_clISt17integral_constantIbLb0EES13_EEDaSY_SZ_EUlSY_E_NS1_11comp_targetILNS1_3genE10ELNS1_11target_archE1200ELNS1_3gpuE4ELNS1_3repE0EEENS1_30default_config_static_selectorELNS0_4arch9wavefront6targetE1EEEvT1_.kd
    .uniform_work_group_size: 1
    .uses_dynamic_stack: false
    .vgpr_count:     0
    .vgpr_spill_count: 0
    .wavefront_size: 64
  - .agpr_count:     0
    .args:
      - .offset:         0
        .size:           144
        .value_kind:     by_value
    .group_segment_fixed_size: 0
    .kernarg_segment_align: 8
    .kernarg_segment_size: 144
    .language:       OpenCL C
    .language_version:
      - 2
      - 0
    .max_flat_workgroup_size: 256
    .name:           _ZN7rocprim17ROCPRIM_400000_NS6detail17trampoline_kernelINS0_14default_configENS1_27scan_by_key_config_selectorIj11FixedVectorIiLj4EEEEZZNS1_16scan_by_key_implILNS1_25lookback_scan_determinismE0ELb1ES3_N6thrust23THRUST_200600_302600_NS6detail15normal_iteratorINSB_10device_ptrIjEEEENSD_INSE_IS6_EEEESI_S6_NSB_4plusIvEENSB_8equal_toIvEES6_EE10hipError_tPvRmT2_T3_T4_T5_mT6_T7_P12ihipStream_tbENKUlT_T0_E_clISt17integral_constantIbLb0EES13_EEDaSY_SZ_EUlSY_E_NS1_11comp_targetILNS1_3genE9ELNS1_11target_archE1100ELNS1_3gpuE3ELNS1_3repE0EEENS1_30default_config_static_selectorELNS0_4arch9wavefront6targetE1EEEvT1_
    .private_segment_fixed_size: 0
    .sgpr_count:     6
    .sgpr_spill_count: 0
    .symbol:         _ZN7rocprim17ROCPRIM_400000_NS6detail17trampoline_kernelINS0_14default_configENS1_27scan_by_key_config_selectorIj11FixedVectorIiLj4EEEEZZNS1_16scan_by_key_implILNS1_25lookback_scan_determinismE0ELb1ES3_N6thrust23THRUST_200600_302600_NS6detail15normal_iteratorINSB_10device_ptrIjEEEENSD_INSE_IS6_EEEESI_S6_NSB_4plusIvEENSB_8equal_toIvEES6_EE10hipError_tPvRmT2_T3_T4_T5_mT6_T7_P12ihipStream_tbENKUlT_T0_E_clISt17integral_constantIbLb0EES13_EEDaSY_SZ_EUlSY_E_NS1_11comp_targetILNS1_3genE9ELNS1_11target_archE1100ELNS1_3gpuE3ELNS1_3repE0EEENS1_30default_config_static_selectorELNS0_4arch9wavefront6targetE1EEEvT1_.kd
    .uniform_work_group_size: 1
    .uses_dynamic_stack: false
    .vgpr_count:     0
    .vgpr_spill_count: 0
    .wavefront_size: 64
  - .agpr_count:     0
    .args:
      - .offset:         0
        .size:           144
        .value_kind:     by_value
    .group_segment_fixed_size: 0
    .kernarg_segment_align: 8
    .kernarg_segment_size: 144
    .language:       OpenCL C
    .language_version:
      - 2
      - 0
    .max_flat_workgroup_size: 256
    .name:           _ZN7rocprim17ROCPRIM_400000_NS6detail17trampoline_kernelINS0_14default_configENS1_27scan_by_key_config_selectorIj11FixedVectorIiLj4EEEEZZNS1_16scan_by_key_implILNS1_25lookback_scan_determinismE0ELb1ES3_N6thrust23THRUST_200600_302600_NS6detail15normal_iteratorINSB_10device_ptrIjEEEENSD_INSE_IS6_EEEESI_S6_NSB_4plusIvEENSB_8equal_toIvEES6_EE10hipError_tPvRmT2_T3_T4_T5_mT6_T7_P12ihipStream_tbENKUlT_T0_E_clISt17integral_constantIbLb0EES13_EEDaSY_SZ_EUlSY_E_NS1_11comp_targetILNS1_3genE8ELNS1_11target_archE1030ELNS1_3gpuE2ELNS1_3repE0EEENS1_30default_config_static_selectorELNS0_4arch9wavefront6targetE1EEEvT1_
    .private_segment_fixed_size: 0
    .sgpr_count:     6
    .sgpr_spill_count: 0
    .symbol:         _ZN7rocprim17ROCPRIM_400000_NS6detail17trampoline_kernelINS0_14default_configENS1_27scan_by_key_config_selectorIj11FixedVectorIiLj4EEEEZZNS1_16scan_by_key_implILNS1_25lookback_scan_determinismE0ELb1ES3_N6thrust23THRUST_200600_302600_NS6detail15normal_iteratorINSB_10device_ptrIjEEEENSD_INSE_IS6_EEEESI_S6_NSB_4plusIvEENSB_8equal_toIvEES6_EE10hipError_tPvRmT2_T3_T4_T5_mT6_T7_P12ihipStream_tbENKUlT_T0_E_clISt17integral_constantIbLb0EES13_EEDaSY_SZ_EUlSY_E_NS1_11comp_targetILNS1_3genE8ELNS1_11target_archE1030ELNS1_3gpuE2ELNS1_3repE0EEENS1_30default_config_static_selectorELNS0_4arch9wavefront6targetE1EEEvT1_.kd
    .uniform_work_group_size: 1
    .uses_dynamic_stack: false
    .vgpr_count:     0
    .vgpr_spill_count: 0
    .wavefront_size: 64
  - .agpr_count:     0
    .args:
      - .offset:         0
        .size:           144
        .value_kind:     by_value
    .group_segment_fixed_size: 0
    .kernarg_segment_align: 8
    .kernarg_segment_size: 144
    .language:       OpenCL C
    .language_version:
      - 2
      - 0
    .max_flat_workgroup_size: 64
    .name:           _ZN7rocprim17ROCPRIM_400000_NS6detail17trampoline_kernelINS0_14default_configENS1_27scan_by_key_config_selectorIj11FixedVectorIiLj4EEEEZZNS1_16scan_by_key_implILNS1_25lookback_scan_determinismE0ELb1ES3_N6thrust23THRUST_200600_302600_NS6detail15normal_iteratorINSB_10device_ptrIjEEEENSD_INSE_IS6_EEEESI_S6_NSB_4plusIvEENSB_8equal_toIvEES6_EE10hipError_tPvRmT2_T3_T4_T5_mT6_T7_P12ihipStream_tbENKUlT_T0_E_clISt17integral_constantIbLb1EES13_EEDaSY_SZ_EUlSY_E_NS1_11comp_targetILNS1_3genE0ELNS1_11target_archE4294967295ELNS1_3gpuE0ELNS1_3repE0EEENS1_30default_config_static_selectorELNS0_4arch9wavefront6targetE1EEEvT1_
    .private_segment_fixed_size: 0
    .sgpr_count:     6
    .sgpr_spill_count: 0
    .symbol:         _ZN7rocprim17ROCPRIM_400000_NS6detail17trampoline_kernelINS0_14default_configENS1_27scan_by_key_config_selectorIj11FixedVectorIiLj4EEEEZZNS1_16scan_by_key_implILNS1_25lookback_scan_determinismE0ELb1ES3_N6thrust23THRUST_200600_302600_NS6detail15normal_iteratorINSB_10device_ptrIjEEEENSD_INSE_IS6_EEEESI_S6_NSB_4plusIvEENSB_8equal_toIvEES6_EE10hipError_tPvRmT2_T3_T4_T5_mT6_T7_P12ihipStream_tbENKUlT_T0_E_clISt17integral_constantIbLb1EES13_EEDaSY_SZ_EUlSY_E_NS1_11comp_targetILNS1_3genE0ELNS1_11target_archE4294967295ELNS1_3gpuE0ELNS1_3repE0EEENS1_30default_config_static_selectorELNS0_4arch9wavefront6targetE1EEEvT1_.kd
    .uniform_work_group_size: 1
    .uses_dynamic_stack: false
    .vgpr_count:     0
    .vgpr_spill_count: 0
    .wavefront_size: 64
  - .agpr_count:     0
    .args:
      - .offset:         0
        .size:           144
        .value_kind:     by_value
    .group_segment_fixed_size: 0
    .kernarg_segment_align: 8
    .kernarg_segment_size: 144
    .language:       OpenCL C
    .language_version:
      - 2
      - 0
    .max_flat_workgroup_size: 256
    .name:           _ZN7rocprim17ROCPRIM_400000_NS6detail17trampoline_kernelINS0_14default_configENS1_27scan_by_key_config_selectorIj11FixedVectorIiLj4EEEEZZNS1_16scan_by_key_implILNS1_25lookback_scan_determinismE0ELb1ES3_N6thrust23THRUST_200600_302600_NS6detail15normal_iteratorINSB_10device_ptrIjEEEENSD_INSE_IS6_EEEESI_S6_NSB_4plusIvEENSB_8equal_toIvEES6_EE10hipError_tPvRmT2_T3_T4_T5_mT6_T7_P12ihipStream_tbENKUlT_T0_E_clISt17integral_constantIbLb1EES13_EEDaSY_SZ_EUlSY_E_NS1_11comp_targetILNS1_3genE10ELNS1_11target_archE1201ELNS1_3gpuE5ELNS1_3repE0EEENS1_30default_config_static_selectorELNS0_4arch9wavefront6targetE1EEEvT1_
    .private_segment_fixed_size: 0
    .sgpr_count:     6
    .sgpr_spill_count: 0
    .symbol:         _ZN7rocprim17ROCPRIM_400000_NS6detail17trampoline_kernelINS0_14default_configENS1_27scan_by_key_config_selectorIj11FixedVectorIiLj4EEEEZZNS1_16scan_by_key_implILNS1_25lookback_scan_determinismE0ELb1ES3_N6thrust23THRUST_200600_302600_NS6detail15normal_iteratorINSB_10device_ptrIjEEEENSD_INSE_IS6_EEEESI_S6_NSB_4plusIvEENSB_8equal_toIvEES6_EE10hipError_tPvRmT2_T3_T4_T5_mT6_T7_P12ihipStream_tbENKUlT_T0_E_clISt17integral_constantIbLb1EES13_EEDaSY_SZ_EUlSY_E_NS1_11comp_targetILNS1_3genE10ELNS1_11target_archE1201ELNS1_3gpuE5ELNS1_3repE0EEENS1_30default_config_static_selectorELNS0_4arch9wavefront6targetE1EEEvT1_.kd
    .uniform_work_group_size: 1
    .uses_dynamic_stack: false
    .vgpr_count:     0
    .vgpr_spill_count: 0
    .wavefront_size: 64
  - .agpr_count:     0
    .args:
      - .offset:         0
        .size:           144
        .value_kind:     by_value
    .group_segment_fixed_size: 47104
    .kernarg_segment_align: 8
    .kernarg_segment_size: 144
    .language:       OpenCL C
    .language_version:
      - 2
      - 0
    .max_flat_workgroup_size: 128
    .name:           _ZN7rocprim17ROCPRIM_400000_NS6detail17trampoline_kernelINS0_14default_configENS1_27scan_by_key_config_selectorIj11FixedVectorIiLj4EEEEZZNS1_16scan_by_key_implILNS1_25lookback_scan_determinismE0ELb1ES3_N6thrust23THRUST_200600_302600_NS6detail15normal_iteratorINSB_10device_ptrIjEEEENSD_INSE_IS6_EEEESI_S6_NSB_4plusIvEENSB_8equal_toIvEES6_EE10hipError_tPvRmT2_T3_T4_T5_mT6_T7_P12ihipStream_tbENKUlT_T0_E_clISt17integral_constantIbLb1EES13_EEDaSY_SZ_EUlSY_E_NS1_11comp_targetILNS1_3genE5ELNS1_11target_archE942ELNS1_3gpuE9ELNS1_3repE0EEENS1_30default_config_static_selectorELNS0_4arch9wavefront6targetE1EEEvT1_
    .private_segment_fixed_size: 1344
    .sgpr_count:     91
    .sgpr_spill_count: 0
    .symbol:         _ZN7rocprim17ROCPRIM_400000_NS6detail17trampoline_kernelINS0_14default_configENS1_27scan_by_key_config_selectorIj11FixedVectorIiLj4EEEEZZNS1_16scan_by_key_implILNS1_25lookback_scan_determinismE0ELb1ES3_N6thrust23THRUST_200600_302600_NS6detail15normal_iteratorINSB_10device_ptrIjEEEENSD_INSE_IS6_EEEESI_S6_NSB_4plusIvEENSB_8equal_toIvEES6_EE10hipError_tPvRmT2_T3_T4_T5_mT6_T7_P12ihipStream_tbENKUlT_T0_E_clISt17integral_constantIbLb1EES13_EEDaSY_SZ_EUlSY_E_NS1_11comp_targetILNS1_3genE5ELNS1_11target_archE942ELNS1_3gpuE9ELNS1_3repE0EEENS1_30default_config_static_selectorELNS0_4arch9wavefront6targetE1EEEvT1_.kd
    .uniform_work_group_size: 1
    .uses_dynamic_stack: false
    .vgpr_count:     201
    .vgpr_spill_count: 0
    .wavefront_size: 64
  - .agpr_count:     0
    .args:
      - .offset:         0
        .size:           144
        .value_kind:     by_value
    .group_segment_fixed_size: 0
    .kernarg_segment_align: 8
    .kernarg_segment_size: 144
    .language:       OpenCL C
    .language_version:
      - 2
      - 0
    .max_flat_workgroup_size: 256
    .name:           _ZN7rocprim17ROCPRIM_400000_NS6detail17trampoline_kernelINS0_14default_configENS1_27scan_by_key_config_selectorIj11FixedVectorIiLj4EEEEZZNS1_16scan_by_key_implILNS1_25lookback_scan_determinismE0ELb1ES3_N6thrust23THRUST_200600_302600_NS6detail15normal_iteratorINSB_10device_ptrIjEEEENSD_INSE_IS6_EEEESI_S6_NSB_4plusIvEENSB_8equal_toIvEES6_EE10hipError_tPvRmT2_T3_T4_T5_mT6_T7_P12ihipStream_tbENKUlT_T0_E_clISt17integral_constantIbLb1EES13_EEDaSY_SZ_EUlSY_E_NS1_11comp_targetILNS1_3genE4ELNS1_11target_archE910ELNS1_3gpuE8ELNS1_3repE0EEENS1_30default_config_static_selectorELNS0_4arch9wavefront6targetE1EEEvT1_
    .private_segment_fixed_size: 0
    .sgpr_count:     6
    .sgpr_spill_count: 0
    .symbol:         _ZN7rocprim17ROCPRIM_400000_NS6detail17trampoline_kernelINS0_14default_configENS1_27scan_by_key_config_selectorIj11FixedVectorIiLj4EEEEZZNS1_16scan_by_key_implILNS1_25lookback_scan_determinismE0ELb1ES3_N6thrust23THRUST_200600_302600_NS6detail15normal_iteratorINSB_10device_ptrIjEEEENSD_INSE_IS6_EEEESI_S6_NSB_4plusIvEENSB_8equal_toIvEES6_EE10hipError_tPvRmT2_T3_T4_T5_mT6_T7_P12ihipStream_tbENKUlT_T0_E_clISt17integral_constantIbLb1EES13_EEDaSY_SZ_EUlSY_E_NS1_11comp_targetILNS1_3genE4ELNS1_11target_archE910ELNS1_3gpuE8ELNS1_3repE0EEENS1_30default_config_static_selectorELNS0_4arch9wavefront6targetE1EEEvT1_.kd
    .uniform_work_group_size: 1
    .uses_dynamic_stack: false
    .vgpr_count:     0
    .vgpr_spill_count: 0
    .wavefront_size: 64
  - .agpr_count:     0
    .args:
      - .offset:         0
        .size:           144
        .value_kind:     by_value
    .group_segment_fixed_size: 0
    .kernarg_segment_align: 8
    .kernarg_segment_size: 144
    .language:       OpenCL C
    .language_version:
      - 2
      - 0
    .max_flat_workgroup_size: 64
    .name:           _ZN7rocprim17ROCPRIM_400000_NS6detail17trampoline_kernelINS0_14default_configENS1_27scan_by_key_config_selectorIj11FixedVectorIiLj4EEEEZZNS1_16scan_by_key_implILNS1_25lookback_scan_determinismE0ELb1ES3_N6thrust23THRUST_200600_302600_NS6detail15normal_iteratorINSB_10device_ptrIjEEEENSD_INSE_IS6_EEEESI_S6_NSB_4plusIvEENSB_8equal_toIvEES6_EE10hipError_tPvRmT2_T3_T4_T5_mT6_T7_P12ihipStream_tbENKUlT_T0_E_clISt17integral_constantIbLb1EES13_EEDaSY_SZ_EUlSY_E_NS1_11comp_targetILNS1_3genE3ELNS1_11target_archE908ELNS1_3gpuE7ELNS1_3repE0EEENS1_30default_config_static_selectorELNS0_4arch9wavefront6targetE1EEEvT1_
    .private_segment_fixed_size: 0
    .sgpr_count:     6
    .sgpr_spill_count: 0
    .symbol:         _ZN7rocprim17ROCPRIM_400000_NS6detail17trampoline_kernelINS0_14default_configENS1_27scan_by_key_config_selectorIj11FixedVectorIiLj4EEEEZZNS1_16scan_by_key_implILNS1_25lookback_scan_determinismE0ELb1ES3_N6thrust23THRUST_200600_302600_NS6detail15normal_iteratorINSB_10device_ptrIjEEEENSD_INSE_IS6_EEEESI_S6_NSB_4plusIvEENSB_8equal_toIvEES6_EE10hipError_tPvRmT2_T3_T4_T5_mT6_T7_P12ihipStream_tbENKUlT_T0_E_clISt17integral_constantIbLb1EES13_EEDaSY_SZ_EUlSY_E_NS1_11comp_targetILNS1_3genE3ELNS1_11target_archE908ELNS1_3gpuE7ELNS1_3repE0EEENS1_30default_config_static_selectorELNS0_4arch9wavefront6targetE1EEEvT1_.kd
    .uniform_work_group_size: 1
    .uses_dynamic_stack: false
    .vgpr_count:     0
    .vgpr_spill_count: 0
    .wavefront_size: 64
  - .agpr_count:     0
    .args:
      - .offset:         0
        .size:           144
        .value_kind:     by_value
    .group_segment_fixed_size: 0
    .kernarg_segment_align: 8
    .kernarg_segment_size: 144
    .language:       OpenCL C
    .language_version:
      - 2
      - 0
    .max_flat_workgroup_size: 256
    .name:           _ZN7rocprim17ROCPRIM_400000_NS6detail17trampoline_kernelINS0_14default_configENS1_27scan_by_key_config_selectorIj11FixedVectorIiLj4EEEEZZNS1_16scan_by_key_implILNS1_25lookback_scan_determinismE0ELb1ES3_N6thrust23THRUST_200600_302600_NS6detail15normal_iteratorINSB_10device_ptrIjEEEENSD_INSE_IS6_EEEESI_S6_NSB_4plusIvEENSB_8equal_toIvEES6_EE10hipError_tPvRmT2_T3_T4_T5_mT6_T7_P12ihipStream_tbENKUlT_T0_E_clISt17integral_constantIbLb1EES13_EEDaSY_SZ_EUlSY_E_NS1_11comp_targetILNS1_3genE2ELNS1_11target_archE906ELNS1_3gpuE6ELNS1_3repE0EEENS1_30default_config_static_selectorELNS0_4arch9wavefront6targetE1EEEvT1_
    .private_segment_fixed_size: 0
    .sgpr_count:     6
    .sgpr_spill_count: 0
    .symbol:         _ZN7rocprim17ROCPRIM_400000_NS6detail17trampoline_kernelINS0_14default_configENS1_27scan_by_key_config_selectorIj11FixedVectorIiLj4EEEEZZNS1_16scan_by_key_implILNS1_25lookback_scan_determinismE0ELb1ES3_N6thrust23THRUST_200600_302600_NS6detail15normal_iteratorINSB_10device_ptrIjEEEENSD_INSE_IS6_EEEESI_S6_NSB_4plusIvEENSB_8equal_toIvEES6_EE10hipError_tPvRmT2_T3_T4_T5_mT6_T7_P12ihipStream_tbENKUlT_T0_E_clISt17integral_constantIbLb1EES13_EEDaSY_SZ_EUlSY_E_NS1_11comp_targetILNS1_3genE2ELNS1_11target_archE906ELNS1_3gpuE6ELNS1_3repE0EEENS1_30default_config_static_selectorELNS0_4arch9wavefront6targetE1EEEvT1_.kd
    .uniform_work_group_size: 1
    .uses_dynamic_stack: false
    .vgpr_count:     0
    .vgpr_spill_count: 0
    .wavefront_size: 64
  - .agpr_count:     0
    .args:
      - .offset:         0
        .size:           144
        .value_kind:     by_value
    .group_segment_fixed_size: 0
    .kernarg_segment_align: 8
    .kernarg_segment_size: 144
    .language:       OpenCL C
    .language_version:
      - 2
      - 0
    .max_flat_workgroup_size: 256
    .name:           _ZN7rocprim17ROCPRIM_400000_NS6detail17trampoline_kernelINS0_14default_configENS1_27scan_by_key_config_selectorIj11FixedVectorIiLj4EEEEZZNS1_16scan_by_key_implILNS1_25lookback_scan_determinismE0ELb1ES3_N6thrust23THRUST_200600_302600_NS6detail15normal_iteratorINSB_10device_ptrIjEEEENSD_INSE_IS6_EEEESI_S6_NSB_4plusIvEENSB_8equal_toIvEES6_EE10hipError_tPvRmT2_T3_T4_T5_mT6_T7_P12ihipStream_tbENKUlT_T0_E_clISt17integral_constantIbLb1EES13_EEDaSY_SZ_EUlSY_E_NS1_11comp_targetILNS1_3genE10ELNS1_11target_archE1200ELNS1_3gpuE4ELNS1_3repE0EEENS1_30default_config_static_selectorELNS0_4arch9wavefront6targetE1EEEvT1_
    .private_segment_fixed_size: 0
    .sgpr_count:     6
    .sgpr_spill_count: 0
    .symbol:         _ZN7rocprim17ROCPRIM_400000_NS6detail17trampoline_kernelINS0_14default_configENS1_27scan_by_key_config_selectorIj11FixedVectorIiLj4EEEEZZNS1_16scan_by_key_implILNS1_25lookback_scan_determinismE0ELb1ES3_N6thrust23THRUST_200600_302600_NS6detail15normal_iteratorINSB_10device_ptrIjEEEENSD_INSE_IS6_EEEESI_S6_NSB_4plusIvEENSB_8equal_toIvEES6_EE10hipError_tPvRmT2_T3_T4_T5_mT6_T7_P12ihipStream_tbENKUlT_T0_E_clISt17integral_constantIbLb1EES13_EEDaSY_SZ_EUlSY_E_NS1_11comp_targetILNS1_3genE10ELNS1_11target_archE1200ELNS1_3gpuE4ELNS1_3repE0EEENS1_30default_config_static_selectorELNS0_4arch9wavefront6targetE1EEEvT1_.kd
    .uniform_work_group_size: 1
    .uses_dynamic_stack: false
    .vgpr_count:     0
    .vgpr_spill_count: 0
    .wavefront_size: 64
  - .agpr_count:     0
    .args:
      - .offset:         0
        .size:           144
        .value_kind:     by_value
    .group_segment_fixed_size: 0
    .kernarg_segment_align: 8
    .kernarg_segment_size: 144
    .language:       OpenCL C
    .language_version:
      - 2
      - 0
    .max_flat_workgroup_size: 256
    .name:           _ZN7rocprim17ROCPRIM_400000_NS6detail17trampoline_kernelINS0_14default_configENS1_27scan_by_key_config_selectorIj11FixedVectorIiLj4EEEEZZNS1_16scan_by_key_implILNS1_25lookback_scan_determinismE0ELb1ES3_N6thrust23THRUST_200600_302600_NS6detail15normal_iteratorINSB_10device_ptrIjEEEENSD_INSE_IS6_EEEESI_S6_NSB_4plusIvEENSB_8equal_toIvEES6_EE10hipError_tPvRmT2_T3_T4_T5_mT6_T7_P12ihipStream_tbENKUlT_T0_E_clISt17integral_constantIbLb1EES13_EEDaSY_SZ_EUlSY_E_NS1_11comp_targetILNS1_3genE9ELNS1_11target_archE1100ELNS1_3gpuE3ELNS1_3repE0EEENS1_30default_config_static_selectorELNS0_4arch9wavefront6targetE1EEEvT1_
    .private_segment_fixed_size: 0
    .sgpr_count:     6
    .sgpr_spill_count: 0
    .symbol:         _ZN7rocprim17ROCPRIM_400000_NS6detail17trampoline_kernelINS0_14default_configENS1_27scan_by_key_config_selectorIj11FixedVectorIiLj4EEEEZZNS1_16scan_by_key_implILNS1_25lookback_scan_determinismE0ELb1ES3_N6thrust23THRUST_200600_302600_NS6detail15normal_iteratorINSB_10device_ptrIjEEEENSD_INSE_IS6_EEEESI_S6_NSB_4plusIvEENSB_8equal_toIvEES6_EE10hipError_tPvRmT2_T3_T4_T5_mT6_T7_P12ihipStream_tbENKUlT_T0_E_clISt17integral_constantIbLb1EES13_EEDaSY_SZ_EUlSY_E_NS1_11comp_targetILNS1_3genE9ELNS1_11target_archE1100ELNS1_3gpuE3ELNS1_3repE0EEENS1_30default_config_static_selectorELNS0_4arch9wavefront6targetE1EEEvT1_.kd
    .uniform_work_group_size: 1
    .uses_dynamic_stack: false
    .vgpr_count:     0
    .vgpr_spill_count: 0
    .wavefront_size: 64
  - .agpr_count:     0
    .args:
      - .offset:         0
        .size:           144
        .value_kind:     by_value
    .group_segment_fixed_size: 0
    .kernarg_segment_align: 8
    .kernarg_segment_size: 144
    .language:       OpenCL C
    .language_version:
      - 2
      - 0
    .max_flat_workgroup_size: 256
    .name:           _ZN7rocprim17ROCPRIM_400000_NS6detail17trampoline_kernelINS0_14default_configENS1_27scan_by_key_config_selectorIj11FixedVectorIiLj4EEEEZZNS1_16scan_by_key_implILNS1_25lookback_scan_determinismE0ELb1ES3_N6thrust23THRUST_200600_302600_NS6detail15normal_iteratorINSB_10device_ptrIjEEEENSD_INSE_IS6_EEEESI_S6_NSB_4plusIvEENSB_8equal_toIvEES6_EE10hipError_tPvRmT2_T3_T4_T5_mT6_T7_P12ihipStream_tbENKUlT_T0_E_clISt17integral_constantIbLb1EES13_EEDaSY_SZ_EUlSY_E_NS1_11comp_targetILNS1_3genE8ELNS1_11target_archE1030ELNS1_3gpuE2ELNS1_3repE0EEENS1_30default_config_static_selectorELNS0_4arch9wavefront6targetE1EEEvT1_
    .private_segment_fixed_size: 0
    .sgpr_count:     6
    .sgpr_spill_count: 0
    .symbol:         _ZN7rocprim17ROCPRIM_400000_NS6detail17trampoline_kernelINS0_14default_configENS1_27scan_by_key_config_selectorIj11FixedVectorIiLj4EEEEZZNS1_16scan_by_key_implILNS1_25lookback_scan_determinismE0ELb1ES3_N6thrust23THRUST_200600_302600_NS6detail15normal_iteratorINSB_10device_ptrIjEEEENSD_INSE_IS6_EEEESI_S6_NSB_4plusIvEENSB_8equal_toIvEES6_EE10hipError_tPvRmT2_T3_T4_T5_mT6_T7_P12ihipStream_tbENKUlT_T0_E_clISt17integral_constantIbLb1EES13_EEDaSY_SZ_EUlSY_E_NS1_11comp_targetILNS1_3genE8ELNS1_11target_archE1030ELNS1_3gpuE2ELNS1_3repE0EEENS1_30default_config_static_selectorELNS0_4arch9wavefront6targetE1EEEvT1_.kd
    .uniform_work_group_size: 1
    .uses_dynamic_stack: false
    .vgpr_count:     0
    .vgpr_spill_count: 0
    .wavefront_size: 64
  - .agpr_count:     0
    .args:
      - .offset:         0
        .size:           144
        .value_kind:     by_value
    .group_segment_fixed_size: 0
    .kernarg_segment_align: 8
    .kernarg_segment_size: 144
    .language:       OpenCL C
    .language_version:
      - 2
      - 0
    .max_flat_workgroup_size: 64
    .name:           _ZN7rocprim17ROCPRIM_400000_NS6detail17trampoline_kernelINS0_14default_configENS1_27scan_by_key_config_selectorIj11FixedVectorIiLj4EEEEZZNS1_16scan_by_key_implILNS1_25lookback_scan_determinismE0ELb1ES3_N6thrust23THRUST_200600_302600_NS6detail15normal_iteratorINSB_10device_ptrIjEEEENSD_INSE_IS6_EEEESI_S6_NSB_4plusIvEENSB_8equal_toIvEES6_EE10hipError_tPvRmT2_T3_T4_T5_mT6_T7_P12ihipStream_tbENKUlT_T0_E_clISt17integral_constantIbLb1EES12_IbLb0EEEEDaSY_SZ_EUlSY_E_NS1_11comp_targetILNS1_3genE0ELNS1_11target_archE4294967295ELNS1_3gpuE0ELNS1_3repE0EEENS1_30default_config_static_selectorELNS0_4arch9wavefront6targetE1EEEvT1_
    .private_segment_fixed_size: 0
    .sgpr_count:     6
    .sgpr_spill_count: 0
    .symbol:         _ZN7rocprim17ROCPRIM_400000_NS6detail17trampoline_kernelINS0_14default_configENS1_27scan_by_key_config_selectorIj11FixedVectorIiLj4EEEEZZNS1_16scan_by_key_implILNS1_25lookback_scan_determinismE0ELb1ES3_N6thrust23THRUST_200600_302600_NS6detail15normal_iteratorINSB_10device_ptrIjEEEENSD_INSE_IS6_EEEESI_S6_NSB_4plusIvEENSB_8equal_toIvEES6_EE10hipError_tPvRmT2_T3_T4_T5_mT6_T7_P12ihipStream_tbENKUlT_T0_E_clISt17integral_constantIbLb1EES12_IbLb0EEEEDaSY_SZ_EUlSY_E_NS1_11comp_targetILNS1_3genE0ELNS1_11target_archE4294967295ELNS1_3gpuE0ELNS1_3repE0EEENS1_30default_config_static_selectorELNS0_4arch9wavefront6targetE1EEEvT1_.kd
    .uniform_work_group_size: 1
    .uses_dynamic_stack: false
    .vgpr_count:     0
    .vgpr_spill_count: 0
    .wavefront_size: 64
  - .agpr_count:     0
    .args:
      - .offset:         0
        .size:           144
        .value_kind:     by_value
    .group_segment_fixed_size: 0
    .kernarg_segment_align: 8
    .kernarg_segment_size: 144
    .language:       OpenCL C
    .language_version:
      - 2
      - 0
    .max_flat_workgroup_size: 256
    .name:           _ZN7rocprim17ROCPRIM_400000_NS6detail17trampoline_kernelINS0_14default_configENS1_27scan_by_key_config_selectorIj11FixedVectorIiLj4EEEEZZNS1_16scan_by_key_implILNS1_25lookback_scan_determinismE0ELb1ES3_N6thrust23THRUST_200600_302600_NS6detail15normal_iteratorINSB_10device_ptrIjEEEENSD_INSE_IS6_EEEESI_S6_NSB_4plusIvEENSB_8equal_toIvEES6_EE10hipError_tPvRmT2_T3_T4_T5_mT6_T7_P12ihipStream_tbENKUlT_T0_E_clISt17integral_constantIbLb1EES12_IbLb0EEEEDaSY_SZ_EUlSY_E_NS1_11comp_targetILNS1_3genE10ELNS1_11target_archE1201ELNS1_3gpuE5ELNS1_3repE0EEENS1_30default_config_static_selectorELNS0_4arch9wavefront6targetE1EEEvT1_
    .private_segment_fixed_size: 0
    .sgpr_count:     6
    .sgpr_spill_count: 0
    .symbol:         _ZN7rocprim17ROCPRIM_400000_NS6detail17trampoline_kernelINS0_14default_configENS1_27scan_by_key_config_selectorIj11FixedVectorIiLj4EEEEZZNS1_16scan_by_key_implILNS1_25lookback_scan_determinismE0ELb1ES3_N6thrust23THRUST_200600_302600_NS6detail15normal_iteratorINSB_10device_ptrIjEEEENSD_INSE_IS6_EEEESI_S6_NSB_4plusIvEENSB_8equal_toIvEES6_EE10hipError_tPvRmT2_T3_T4_T5_mT6_T7_P12ihipStream_tbENKUlT_T0_E_clISt17integral_constantIbLb1EES12_IbLb0EEEEDaSY_SZ_EUlSY_E_NS1_11comp_targetILNS1_3genE10ELNS1_11target_archE1201ELNS1_3gpuE5ELNS1_3repE0EEENS1_30default_config_static_selectorELNS0_4arch9wavefront6targetE1EEEvT1_.kd
    .uniform_work_group_size: 1
    .uses_dynamic_stack: false
    .vgpr_count:     0
    .vgpr_spill_count: 0
    .wavefront_size: 64
  - .agpr_count:     0
    .args:
      - .offset:         0
        .size:           144
        .value_kind:     by_value
    .group_segment_fixed_size: 47104
    .kernarg_segment_align: 8
    .kernarg_segment_size: 144
    .language:       OpenCL C
    .language_version:
      - 2
      - 0
    .max_flat_workgroup_size: 128
    .name:           _ZN7rocprim17ROCPRIM_400000_NS6detail17trampoline_kernelINS0_14default_configENS1_27scan_by_key_config_selectorIj11FixedVectorIiLj4EEEEZZNS1_16scan_by_key_implILNS1_25lookback_scan_determinismE0ELb1ES3_N6thrust23THRUST_200600_302600_NS6detail15normal_iteratorINSB_10device_ptrIjEEEENSD_INSE_IS6_EEEESI_S6_NSB_4plusIvEENSB_8equal_toIvEES6_EE10hipError_tPvRmT2_T3_T4_T5_mT6_T7_P12ihipStream_tbENKUlT_T0_E_clISt17integral_constantIbLb1EES12_IbLb0EEEEDaSY_SZ_EUlSY_E_NS1_11comp_targetILNS1_3genE5ELNS1_11target_archE942ELNS1_3gpuE9ELNS1_3repE0EEENS1_30default_config_static_selectorELNS0_4arch9wavefront6targetE1EEEvT1_
    .private_segment_fixed_size: 1344
    .sgpr_count:     87
    .sgpr_spill_count: 0
    .symbol:         _ZN7rocprim17ROCPRIM_400000_NS6detail17trampoline_kernelINS0_14default_configENS1_27scan_by_key_config_selectorIj11FixedVectorIiLj4EEEEZZNS1_16scan_by_key_implILNS1_25lookback_scan_determinismE0ELb1ES3_N6thrust23THRUST_200600_302600_NS6detail15normal_iteratorINSB_10device_ptrIjEEEENSD_INSE_IS6_EEEESI_S6_NSB_4plusIvEENSB_8equal_toIvEES6_EE10hipError_tPvRmT2_T3_T4_T5_mT6_T7_P12ihipStream_tbENKUlT_T0_E_clISt17integral_constantIbLb1EES12_IbLb0EEEEDaSY_SZ_EUlSY_E_NS1_11comp_targetILNS1_3genE5ELNS1_11target_archE942ELNS1_3gpuE9ELNS1_3repE0EEENS1_30default_config_static_selectorELNS0_4arch9wavefront6targetE1EEEvT1_.kd
    .uniform_work_group_size: 1
    .uses_dynamic_stack: false
    .vgpr_count:     201
    .vgpr_spill_count: 0
    .wavefront_size: 64
  - .agpr_count:     0
    .args:
      - .offset:         0
        .size:           144
        .value_kind:     by_value
    .group_segment_fixed_size: 0
    .kernarg_segment_align: 8
    .kernarg_segment_size: 144
    .language:       OpenCL C
    .language_version:
      - 2
      - 0
    .max_flat_workgroup_size: 256
    .name:           _ZN7rocprim17ROCPRIM_400000_NS6detail17trampoline_kernelINS0_14default_configENS1_27scan_by_key_config_selectorIj11FixedVectorIiLj4EEEEZZNS1_16scan_by_key_implILNS1_25lookback_scan_determinismE0ELb1ES3_N6thrust23THRUST_200600_302600_NS6detail15normal_iteratorINSB_10device_ptrIjEEEENSD_INSE_IS6_EEEESI_S6_NSB_4plusIvEENSB_8equal_toIvEES6_EE10hipError_tPvRmT2_T3_T4_T5_mT6_T7_P12ihipStream_tbENKUlT_T0_E_clISt17integral_constantIbLb1EES12_IbLb0EEEEDaSY_SZ_EUlSY_E_NS1_11comp_targetILNS1_3genE4ELNS1_11target_archE910ELNS1_3gpuE8ELNS1_3repE0EEENS1_30default_config_static_selectorELNS0_4arch9wavefront6targetE1EEEvT1_
    .private_segment_fixed_size: 0
    .sgpr_count:     6
    .sgpr_spill_count: 0
    .symbol:         _ZN7rocprim17ROCPRIM_400000_NS6detail17trampoline_kernelINS0_14default_configENS1_27scan_by_key_config_selectorIj11FixedVectorIiLj4EEEEZZNS1_16scan_by_key_implILNS1_25lookback_scan_determinismE0ELb1ES3_N6thrust23THRUST_200600_302600_NS6detail15normal_iteratorINSB_10device_ptrIjEEEENSD_INSE_IS6_EEEESI_S6_NSB_4plusIvEENSB_8equal_toIvEES6_EE10hipError_tPvRmT2_T3_T4_T5_mT6_T7_P12ihipStream_tbENKUlT_T0_E_clISt17integral_constantIbLb1EES12_IbLb0EEEEDaSY_SZ_EUlSY_E_NS1_11comp_targetILNS1_3genE4ELNS1_11target_archE910ELNS1_3gpuE8ELNS1_3repE0EEENS1_30default_config_static_selectorELNS0_4arch9wavefront6targetE1EEEvT1_.kd
    .uniform_work_group_size: 1
    .uses_dynamic_stack: false
    .vgpr_count:     0
    .vgpr_spill_count: 0
    .wavefront_size: 64
  - .agpr_count:     0
    .args:
      - .offset:         0
        .size:           144
        .value_kind:     by_value
    .group_segment_fixed_size: 0
    .kernarg_segment_align: 8
    .kernarg_segment_size: 144
    .language:       OpenCL C
    .language_version:
      - 2
      - 0
    .max_flat_workgroup_size: 64
    .name:           _ZN7rocprim17ROCPRIM_400000_NS6detail17trampoline_kernelINS0_14default_configENS1_27scan_by_key_config_selectorIj11FixedVectorIiLj4EEEEZZNS1_16scan_by_key_implILNS1_25lookback_scan_determinismE0ELb1ES3_N6thrust23THRUST_200600_302600_NS6detail15normal_iteratorINSB_10device_ptrIjEEEENSD_INSE_IS6_EEEESI_S6_NSB_4plusIvEENSB_8equal_toIvEES6_EE10hipError_tPvRmT2_T3_T4_T5_mT6_T7_P12ihipStream_tbENKUlT_T0_E_clISt17integral_constantIbLb1EES12_IbLb0EEEEDaSY_SZ_EUlSY_E_NS1_11comp_targetILNS1_3genE3ELNS1_11target_archE908ELNS1_3gpuE7ELNS1_3repE0EEENS1_30default_config_static_selectorELNS0_4arch9wavefront6targetE1EEEvT1_
    .private_segment_fixed_size: 0
    .sgpr_count:     6
    .sgpr_spill_count: 0
    .symbol:         _ZN7rocprim17ROCPRIM_400000_NS6detail17trampoline_kernelINS0_14default_configENS1_27scan_by_key_config_selectorIj11FixedVectorIiLj4EEEEZZNS1_16scan_by_key_implILNS1_25lookback_scan_determinismE0ELb1ES3_N6thrust23THRUST_200600_302600_NS6detail15normal_iteratorINSB_10device_ptrIjEEEENSD_INSE_IS6_EEEESI_S6_NSB_4plusIvEENSB_8equal_toIvEES6_EE10hipError_tPvRmT2_T3_T4_T5_mT6_T7_P12ihipStream_tbENKUlT_T0_E_clISt17integral_constantIbLb1EES12_IbLb0EEEEDaSY_SZ_EUlSY_E_NS1_11comp_targetILNS1_3genE3ELNS1_11target_archE908ELNS1_3gpuE7ELNS1_3repE0EEENS1_30default_config_static_selectorELNS0_4arch9wavefront6targetE1EEEvT1_.kd
    .uniform_work_group_size: 1
    .uses_dynamic_stack: false
    .vgpr_count:     0
    .vgpr_spill_count: 0
    .wavefront_size: 64
  - .agpr_count:     0
    .args:
      - .offset:         0
        .size:           144
        .value_kind:     by_value
    .group_segment_fixed_size: 0
    .kernarg_segment_align: 8
    .kernarg_segment_size: 144
    .language:       OpenCL C
    .language_version:
      - 2
      - 0
    .max_flat_workgroup_size: 256
    .name:           _ZN7rocprim17ROCPRIM_400000_NS6detail17trampoline_kernelINS0_14default_configENS1_27scan_by_key_config_selectorIj11FixedVectorIiLj4EEEEZZNS1_16scan_by_key_implILNS1_25lookback_scan_determinismE0ELb1ES3_N6thrust23THRUST_200600_302600_NS6detail15normal_iteratorINSB_10device_ptrIjEEEENSD_INSE_IS6_EEEESI_S6_NSB_4plusIvEENSB_8equal_toIvEES6_EE10hipError_tPvRmT2_T3_T4_T5_mT6_T7_P12ihipStream_tbENKUlT_T0_E_clISt17integral_constantIbLb1EES12_IbLb0EEEEDaSY_SZ_EUlSY_E_NS1_11comp_targetILNS1_3genE2ELNS1_11target_archE906ELNS1_3gpuE6ELNS1_3repE0EEENS1_30default_config_static_selectorELNS0_4arch9wavefront6targetE1EEEvT1_
    .private_segment_fixed_size: 0
    .sgpr_count:     6
    .sgpr_spill_count: 0
    .symbol:         _ZN7rocprim17ROCPRIM_400000_NS6detail17trampoline_kernelINS0_14default_configENS1_27scan_by_key_config_selectorIj11FixedVectorIiLj4EEEEZZNS1_16scan_by_key_implILNS1_25lookback_scan_determinismE0ELb1ES3_N6thrust23THRUST_200600_302600_NS6detail15normal_iteratorINSB_10device_ptrIjEEEENSD_INSE_IS6_EEEESI_S6_NSB_4plusIvEENSB_8equal_toIvEES6_EE10hipError_tPvRmT2_T3_T4_T5_mT6_T7_P12ihipStream_tbENKUlT_T0_E_clISt17integral_constantIbLb1EES12_IbLb0EEEEDaSY_SZ_EUlSY_E_NS1_11comp_targetILNS1_3genE2ELNS1_11target_archE906ELNS1_3gpuE6ELNS1_3repE0EEENS1_30default_config_static_selectorELNS0_4arch9wavefront6targetE1EEEvT1_.kd
    .uniform_work_group_size: 1
    .uses_dynamic_stack: false
    .vgpr_count:     0
    .vgpr_spill_count: 0
    .wavefront_size: 64
  - .agpr_count:     0
    .args:
      - .offset:         0
        .size:           144
        .value_kind:     by_value
    .group_segment_fixed_size: 0
    .kernarg_segment_align: 8
    .kernarg_segment_size: 144
    .language:       OpenCL C
    .language_version:
      - 2
      - 0
    .max_flat_workgroup_size: 256
    .name:           _ZN7rocprim17ROCPRIM_400000_NS6detail17trampoline_kernelINS0_14default_configENS1_27scan_by_key_config_selectorIj11FixedVectorIiLj4EEEEZZNS1_16scan_by_key_implILNS1_25lookback_scan_determinismE0ELb1ES3_N6thrust23THRUST_200600_302600_NS6detail15normal_iteratorINSB_10device_ptrIjEEEENSD_INSE_IS6_EEEESI_S6_NSB_4plusIvEENSB_8equal_toIvEES6_EE10hipError_tPvRmT2_T3_T4_T5_mT6_T7_P12ihipStream_tbENKUlT_T0_E_clISt17integral_constantIbLb1EES12_IbLb0EEEEDaSY_SZ_EUlSY_E_NS1_11comp_targetILNS1_3genE10ELNS1_11target_archE1200ELNS1_3gpuE4ELNS1_3repE0EEENS1_30default_config_static_selectorELNS0_4arch9wavefront6targetE1EEEvT1_
    .private_segment_fixed_size: 0
    .sgpr_count:     6
    .sgpr_spill_count: 0
    .symbol:         _ZN7rocprim17ROCPRIM_400000_NS6detail17trampoline_kernelINS0_14default_configENS1_27scan_by_key_config_selectorIj11FixedVectorIiLj4EEEEZZNS1_16scan_by_key_implILNS1_25lookback_scan_determinismE0ELb1ES3_N6thrust23THRUST_200600_302600_NS6detail15normal_iteratorINSB_10device_ptrIjEEEENSD_INSE_IS6_EEEESI_S6_NSB_4plusIvEENSB_8equal_toIvEES6_EE10hipError_tPvRmT2_T3_T4_T5_mT6_T7_P12ihipStream_tbENKUlT_T0_E_clISt17integral_constantIbLb1EES12_IbLb0EEEEDaSY_SZ_EUlSY_E_NS1_11comp_targetILNS1_3genE10ELNS1_11target_archE1200ELNS1_3gpuE4ELNS1_3repE0EEENS1_30default_config_static_selectorELNS0_4arch9wavefront6targetE1EEEvT1_.kd
    .uniform_work_group_size: 1
    .uses_dynamic_stack: false
    .vgpr_count:     0
    .vgpr_spill_count: 0
    .wavefront_size: 64
  - .agpr_count:     0
    .args:
      - .offset:         0
        .size:           144
        .value_kind:     by_value
    .group_segment_fixed_size: 0
    .kernarg_segment_align: 8
    .kernarg_segment_size: 144
    .language:       OpenCL C
    .language_version:
      - 2
      - 0
    .max_flat_workgroup_size: 256
    .name:           _ZN7rocprim17ROCPRIM_400000_NS6detail17trampoline_kernelINS0_14default_configENS1_27scan_by_key_config_selectorIj11FixedVectorIiLj4EEEEZZNS1_16scan_by_key_implILNS1_25lookback_scan_determinismE0ELb1ES3_N6thrust23THRUST_200600_302600_NS6detail15normal_iteratorINSB_10device_ptrIjEEEENSD_INSE_IS6_EEEESI_S6_NSB_4plusIvEENSB_8equal_toIvEES6_EE10hipError_tPvRmT2_T3_T4_T5_mT6_T7_P12ihipStream_tbENKUlT_T0_E_clISt17integral_constantIbLb1EES12_IbLb0EEEEDaSY_SZ_EUlSY_E_NS1_11comp_targetILNS1_3genE9ELNS1_11target_archE1100ELNS1_3gpuE3ELNS1_3repE0EEENS1_30default_config_static_selectorELNS0_4arch9wavefront6targetE1EEEvT1_
    .private_segment_fixed_size: 0
    .sgpr_count:     6
    .sgpr_spill_count: 0
    .symbol:         _ZN7rocprim17ROCPRIM_400000_NS6detail17trampoline_kernelINS0_14default_configENS1_27scan_by_key_config_selectorIj11FixedVectorIiLj4EEEEZZNS1_16scan_by_key_implILNS1_25lookback_scan_determinismE0ELb1ES3_N6thrust23THRUST_200600_302600_NS6detail15normal_iteratorINSB_10device_ptrIjEEEENSD_INSE_IS6_EEEESI_S6_NSB_4plusIvEENSB_8equal_toIvEES6_EE10hipError_tPvRmT2_T3_T4_T5_mT6_T7_P12ihipStream_tbENKUlT_T0_E_clISt17integral_constantIbLb1EES12_IbLb0EEEEDaSY_SZ_EUlSY_E_NS1_11comp_targetILNS1_3genE9ELNS1_11target_archE1100ELNS1_3gpuE3ELNS1_3repE0EEENS1_30default_config_static_selectorELNS0_4arch9wavefront6targetE1EEEvT1_.kd
    .uniform_work_group_size: 1
    .uses_dynamic_stack: false
    .vgpr_count:     0
    .vgpr_spill_count: 0
    .wavefront_size: 64
  - .agpr_count:     0
    .args:
      - .offset:         0
        .size:           144
        .value_kind:     by_value
    .group_segment_fixed_size: 0
    .kernarg_segment_align: 8
    .kernarg_segment_size: 144
    .language:       OpenCL C
    .language_version:
      - 2
      - 0
    .max_flat_workgroup_size: 256
    .name:           _ZN7rocprim17ROCPRIM_400000_NS6detail17trampoline_kernelINS0_14default_configENS1_27scan_by_key_config_selectorIj11FixedVectorIiLj4EEEEZZNS1_16scan_by_key_implILNS1_25lookback_scan_determinismE0ELb1ES3_N6thrust23THRUST_200600_302600_NS6detail15normal_iteratorINSB_10device_ptrIjEEEENSD_INSE_IS6_EEEESI_S6_NSB_4plusIvEENSB_8equal_toIvEES6_EE10hipError_tPvRmT2_T3_T4_T5_mT6_T7_P12ihipStream_tbENKUlT_T0_E_clISt17integral_constantIbLb1EES12_IbLb0EEEEDaSY_SZ_EUlSY_E_NS1_11comp_targetILNS1_3genE8ELNS1_11target_archE1030ELNS1_3gpuE2ELNS1_3repE0EEENS1_30default_config_static_selectorELNS0_4arch9wavefront6targetE1EEEvT1_
    .private_segment_fixed_size: 0
    .sgpr_count:     6
    .sgpr_spill_count: 0
    .symbol:         _ZN7rocprim17ROCPRIM_400000_NS6detail17trampoline_kernelINS0_14default_configENS1_27scan_by_key_config_selectorIj11FixedVectorIiLj4EEEEZZNS1_16scan_by_key_implILNS1_25lookback_scan_determinismE0ELb1ES3_N6thrust23THRUST_200600_302600_NS6detail15normal_iteratorINSB_10device_ptrIjEEEENSD_INSE_IS6_EEEESI_S6_NSB_4plusIvEENSB_8equal_toIvEES6_EE10hipError_tPvRmT2_T3_T4_T5_mT6_T7_P12ihipStream_tbENKUlT_T0_E_clISt17integral_constantIbLb1EES12_IbLb0EEEEDaSY_SZ_EUlSY_E_NS1_11comp_targetILNS1_3genE8ELNS1_11target_archE1030ELNS1_3gpuE2ELNS1_3repE0EEENS1_30default_config_static_selectorELNS0_4arch9wavefront6targetE1EEEvT1_.kd
    .uniform_work_group_size: 1
    .uses_dynamic_stack: false
    .vgpr_count:     0
    .vgpr_spill_count: 0
    .wavefront_size: 64
  - .agpr_count:     0
    .args:
      - .offset:         0
        .size:           144
        .value_kind:     by_value
    .group_segment_fixed_size: 0
    .kernarg_segment_align: 8
    .kernarg_segment_size: 144
    .language:       OpenCL C
    .language_version:
      - 2
      - 0
    .max_flat_workgroup_size: 64
    .name:           _ZN7rocprim17ROCPRIM_400000_NS6detail17trampoline_kernelINS0_14default_configENS1_27scan_by_key_config_selectorIj11FixedVectorIiLj4EEEEZZNS1_16scan_by_key_implILNS1_25lookback_scan_determinismE0ELb1ES3_N6thrust23THRUST_200600_302600_NS6detail15normal_iteratorINSB_10device_ptrIjEEEENSD_INSE_IS6_EEEESI_S6_NSB_4plusIvEENSB_8equal_toIvEES6_EE10hipError_tPvRmT2_T3_T4_T5_mT6_T7_P12ihipStream_tbENKUlT_T0_E_clISt17integral_constantIbLb0EES12_IbLb1EEEEDaSY_SZ_EUlSY_E_NS1_11comp_targetILNS1_3genE0ELNS1_11target_archE4294967295ELNS1_3gpuE0ELNS1_3repE0EEENS1_30default_config_static_selectorELNS0_4arch9wavefront6targetE1EEEvT1_
    .private_segment_fixed_size: 0
    .sgpr_count:     6
    .sgpr_spill_count: 0
    .symbol:         _ZN7rocprim17ROCPRIM_400000_NS6detail17trampoline_kernelINS0_14default_configENS1_27scan_by_key_config_selectorIj11FixedVectorIiLj4EEEEZZNS1_16scan_by_key_implILNS1_25lookback_scan_determinismE0ELb1ES3_N6thrust23THRUST_200600_302600_NS6detail15normal_iteratorINSB_10device_ptrIjEEEENSD_INSE_IS6_EEEESI_S6_NSB_4plusIvEENSB_8equal_toIvEES6_EE10hipError_tPvRmT2_T3_T4_T5_mT6_T7_P12ihipStream_tbENKUlT_T0_E_clISt17integral_constantIbLb0EES12_IbLb1EEEEDaSY_SZ_EUlSY_E_NS1_11comp_targetILNS1_3genE0ELNS1_11target_archE4294967295ELNS1_3gpuE0ELNS1_3repE0EEENS1_30default_config_static_selectorELNS0_4arch9wavefront6targetE1EEEvT1_.kd
    .uniform_work_group_size: 1
    .uses_dynamic_stack: false
    .vgpr_count:     0
    .vgpr_spill_count: 0
    .wavefront_size: 64
  - .agpr_count:     0
    .args:
      - .offset:         0
        .size:           144
        .value_kind:     by_value
    .group_segment_fixed_size: 0
    .kernarg_segment_align: 8
    .kernarg_segment_size: 144
    .language:       OpenCL C
    .language_version:
      - 2
      - 0
    .max_flat_workgroup_size: 256
    .name:           _ZN7rocprim17ROCPRIM_400000_NS6detail17trampoline_kernelINS0_14default_configENS1_27scan_by_key_config_selectorIj11FixedVectorIiLj4EEEEZZNS1_16scan_by_key_implILNS1_25lookback_scan_determinismE0ELb1ES3_N6thrust23THRUST_200600_302600_NS6detail15normal_iteratorINSB_10device_ptrIjEEEENSD_INSE_IS6_EEEESI_S6_NSB_4plusIvEENSB_8equal_toIvEES6_EE10hipError_tPvRmT2_T3_T4_T5_mT6_T7_P12ihipStream_tbENKUlT_T0_E_clISt17integral_constantIbLb0EES12_IbLb1EEEEDaSY_SZ_EUlSY_E_NS1_11comp_targetILNS1_3genE10ELNS1_11target_archE1201ELNS1_3gpuE5ELNS1_3repE0EEENS1_30default_config_static_selectorELNS0_4arch9wavefront6targetE1EEEvT1_
    .private_segment_fixed_size: 0
    .sgpr_count:     6
    .sgpr_spill_count: 0
    .symbol:         _ZN7rocprim17ROCPRIM_400000_NS6detail17trampoline_kernelINS0_14default_configENS1_27scan_by_key_config_selectorIj11FixedVectorIiLj4EEEEZZNS1_16scan_by_key_implILNS1_25lookback_scan_determinismE0ELb1ES3_N6thrust23THRUST_200600_302600_NS6detail15normal_iteratorINSB_10device_ptrIjEEEENSD_INSE_IS6_EEEESI_S6_NSB_4plusIvEENSB_8equal_toIvEES6_EE10hipError_tPvRmT2_T3_T4_T5_mT6_T7_P12ihipStream_tbENKUlT_T0_E_clISt17integral_constantIbLb0EES12_IbLb1EEEEDaSY_SZ_EUlSY_E_NS1_11comp_targetILNS1_3genE10ELNS1_11target_archE1201ELNS1_3gpuE5ELNS1_3repE0EEENS1_30default_config_static_selectorELNS0_4arch9wavefront6targetE1EEEvT1_.kd
    .uniform_work_group_size: 1
    .uses_dynamic_stack: false
    .vgpr_count:     0
    .vgpr_spill_count: 0
    .wavefront_size: 64
  - .agpr_count:     0
    .args:
      - .offset:         0
        .size:           144
        .value_kind:     by_value
    .group_segment_fixed_size: 47104
    .kernarg_segment_align: 8
    .kernarg_segment_size: 144
    .language:       OpenCL C
    .language_version:
      - 2
      - 0
    .max_flat_workgroup_size: 128
    .name:           _ZN7rocprim17ROCPRIM_400000_NS6detail17trampoline_kernelINS0_14default_configENS1_27scan_by_key_config_selectorIj11FixedVectorIiLj4EEEEZZNS1_16scan_by_key_implILNS1_25lookback_scan_determinismE0ELb1ES3_N6thrust23THRUST_200600_302600_NS6detail15normal_iteratorINSB_10device_ptrIjEEEENSD_INSE_IS6_EEEESI_S6_NSB_4plusIvEENSB_8equal_toIvEES6_EE10hipError_tPvRmT2_T3_T4_T5_mT6_T7_P12ihipStream_tbENKUlT_T0_E_clISt17integral_constantIbLb0EES12_IbLb1EEEEDaSY_SZ_EUlSY_E_NS1_11comp_targetILNS1_3genE5ELNS1_11target_archE942ELNS1_3gpuE9ELNS1_3repE0EEENS1_30default_config_static_selectorELNS0_4arch9wavefront6targetE1EEEvT1_
    .private_segment_fixed_size: 1344
    .sgpr_count:     91
    .sgpr_spill_count: 0
    .symbol:         _ZN7rocprim17ROCPRIM_400000_NS6detail17trampoline_kernelINS0_14default_configENS1_27scan_by_key_config_selectorIj11FixedVectorIiLj4EEEEZZNS1_16scan_by_key_implILNS1_25lookback_scan_determinismE0ELb1ES3_N6thrust23THRUST_200600_302600_NS6detail15normal_iteratorINSB_10device_ptrIjEEEENSD_INSE_IS6_EEEESI_S6_NSB_4plusIvEENSB_8equal_toIvEES6_EE10hipError_tPvRmT2_T3_T4_T5_mT6_T7_P12ihipStream_tbENKUlT_T0_E_clISt17integral_constantIbLb0EES12_IbLb1EEEEDaSY_SZ_EUlSY_E_NS1_11comp_targetILNS1_3genE5ELNS1_11target_archE942ELNS1_3gpuE9ELNS1_3repE0EEENS1_30default_config_static_selectorELNS0_4arch9wavefront6targetE1EEEvT1_.kd
    .uniform_work_group_size: 1
    .uses_dynamic_stack: false
    .vgpr_count:     201
    .vgpr_spill_count: 0
    .wavefront_size: 64
  - .agpr_count:     0
    .args:
      - .offset:         0
        .size:           144
        .value_kind:     by_value
    .group_segment_fixed_size: 0
    .kernarg_segment_align: 8
    .kernarg_segment_size: 144
    .language:       OpenCL C
    .language_version:
      - 2
      - 0
    .max_flat_workgroup_size: 256
    .name:           _ZN7rocprim17ROCPRIM_400000_NS6detail17trampoline_kernelINS0_14default_configENS1_27scan_by_key_config_selectorIj11FixedVectorIiLj4EEEEZZNS1_16scan_by_key_implILNS1_25lookback_scan_determinismE0ELb1ES3_N6thrust23THRUST_200600_302600_NS6detail15normal_iteratorINSB_10device_ptrIjEEEENSD_INSE_IS6_EEEESI_S6_NSB_4plusIvEENSB_8equal_toIvEES6_EE10hipError_tPvRmT2_T3_T4_T5_mT6_T7_P12ihipStream_tbENKUlT_T0_E_clISt17integral_constantIbLb0EES12_IbLb1EEEEDaSY_SZ_EUlSY_E_NS1_11comp_targetILNS1_3genE4ELNS1_11target_archE910ELNS1_3gpuE8ELNS1_3repE0EEENS1_30default_config_static_selectorELNS0_4arch9wavefront6targetE1EEEvT1_
    .private_segment_fixed_size: 0
    .sgpr_count:     6
    .sgpr_spill_count: 0
    .symbol:         _ZN7rocprim17ROCPRIM_400000_NS6detail17trampoline_kernelINS0_14default_configENS1_27scan_by_key_config_selectorIj11FixedVectorIiLj4EEEEZZNS1_16scan_by_key_implILNS1_25lookback_scan_determinismE0ELb1ES3_N6thrust23THRUST_200600_302600_NS6detail15normal_iteratorINSB_10device_ptrIjEEEENSD_INSE_IS6_EEEESI_S6_NSB_4plusIvEENSB_8equal_toIvEES6_EE10hipError_tPvRmT2_T3_T4_T5_mT6_T7_P12ihipStream_tbENKUlT_T0_E_clISt17integral_constantIbLb0EES12_IbLb1EEEEDaSY_SZ_EUlSY_E_NS1_11comp_targetILNS1_3genE4ELNS1_11target_archE910ELNS1_3gpuE8ELNS1_3repE0EEENS1_30default_config_static_selectorELNS0_4arch9wavefront6targetE1EEEvT1_.kd
    .uniform_work_group_size: 1
    .uses_dynamic_stack: false
    .vgpr_count:     0
    .vgpr_spill_count: 0
    .wavefront_size: 64
  - .agpr_count:     0
    .args:
      - .offset:         0
        .size:           144
        .value_kind:     by_value
    .group_segment_fixed_size: 0
    .kernarg_segment_align: 8
    .kernarg_segment_size: 144
    .language:       OpenCL C
    .language_version:
      - 2
      - 0
    .max_flat_workgroup_size: 64
    .name:           _ZN7rocprim17ROCPRIM_400000_NS6detail17trampoline_kernelINS0_14default_configENS1_27scan_by_key_config_selectorIj11FixedVectorIiLj4EEEEZZNS1_16scan_by_key_implILNS1_25lookback_scan_determinismE0ELb1ES3_N6thrust23THRUST_200600_302600_NS6detail15normal_iteratorINSB_10device_ptrIjEEEENSD_INSE_IS6_EEEESI_S6_NSB_4plusIvEENSB_8equal_toIvEES6_EE10hipError_tPvRmT2_T3_T4_T5_mT6_T7_P12ihipStream_tbENKUlT_T0_E_clISt17integral_constantIbLb0EES12_IbLb1EEEEDaSY_SZ_EUlSY_E_NS1_11comp_targetILNS1_3genE3ELNS1_11target_archE908ELNS1_3gpuE7ELNS1_3repE0EEENS1_30default_config_static_selectorELNS0_4arch9wavefront6targetE1EEEvT1_
    .private_segment_fixed_size: 0
    .sgpr_count:     6
    .sgpr_spill_count: 0
    .symbol:         _ZN7rocprim17ROCPRIM_400000_NS6detail17trampoline_kernelINS0_14default_configENS1_27scan_by_key_config_selectorIj11FixedVectorIiLj4EEEEZZNS1_16scan_by_key_implILNS1_25lookback_scan_determinismE0ELb1ES3_N6thrust23THRUST_200600_302600_NS6detail15normal_iteratorINSB_10device_ptrIjEEEENSD_INSE_IS6_EEEESI_S6_NSB_4plusIvEENSB_8equal_toIvEES6_EE10hipError_tPvRmT2_T3_T4_T5_mT6_T7_P12ihipStream_tbENKUlT_T0_E_clISt17integral_constantIbLb0EES12_IbLb1EEEEDaSY_SZ_EUlSY_E_NS1_11comp_targetILNS1_3genE3ELNS1_11target_archE908ELNS1_3gpuE7ELNS1_3repE0EEENS1_30default_config_static_selectorELNS0_4arch9wavefront6targetE1EEEvT1_.kd
    .uniform_work_group_size: 1
    .uses_dynamic_stack: false
    .vgpr_count:     0
    .vgpr_spill_count: 0
    .wavefront_size: 64
  - .agpr_count:     0
    .args:
      - .offset:         0
        .size:           144
        .value_kind:     by_value
    .group_segment_fixed_size: 0
    .kernarg_segment_align: 8
    .kernarg_segment_size: 144
    .language:       OpenCL C
    .language_version:
      - 2
      - 0
    .max_flat_workgroup_size: 256
    .name:           _ZN7rocprim17ROCPRIM_400000_NS6detail17trampoline_kernelINS0_14default_configENS1_27scan_by_key_config_selectorIj11FixedVectorIiLj4EEEEZZNS1_16scan_by_key_implILNS1_25lookback_scan_determinismE0ELb1ES3_N6thrust23THRUST_200600_302600_NS6detail15normal_iteratorINSB_10device_ptrIjEEEENSD_INSE_IS6_EEEESI_S6_NSB_4plusIvEENSB_8equal_toIvEES6_EE10hipError_tPvRmT2_T3_T4_T5_mT6_T7_P12ihipStream_tbENKUlT_T0_E_clISt17integral_constantIbLb0EES12_IbLb1EEEEDaSY_SZ_EUlSY_E_NS1_11comp_targetILNS1_3genE2ELNS1_11target_archE906ELNS1_3gpuE6ELNS1_3repE0EEENS1_30default_config_static_selectorELNS0_4arch9wavefront6targetE1EEEvT1_
    .private_segment_fixed_size: 0
    .sgpr_count:     6
    .sgpr_spill_count: 0
    .symbol:         _ZN7rocprim17ROCPRIM_400000_NS6detail17trampoline_kernelINS0_14default_configENS1_27scan_by_key_config_selectorIj11FixedVectorIiLj4EEEEZZNS1_16scan_by_key_implILNS1_25lookback_scan_determinismE0ELb1ES3_N6thrust23THRUST_200600_302600_NS6detail15normal_iteratorINSB_10device_ptrIjEEEENSD_INSE_IS6_EEEESI_S6_NSB_4plusIvEENSB_8equal_toIvEES6_EE10hipError_tPvRmT2_T3_T4_T5_mT6_T7_P12ihipStream_tbENKUlT_T0_E_clISt17integral_constantIbLb0EES12_IbLb1EEEEDaSY_SZ_EUlSY_E_NS1_11comp_targetILNS1_3genE2ELNS1_11target_archE906ELNS1_3gpuE6ELNS1_3repE0EEENS1_30default_config_static_selectorELNS0_4arch9wavefront6targetE1EEEvT1_.kd
    .uniform_work_group_size: 1
    .uses_dynamic_stack: false
    .vgpr_count:     0
    .vgpr_spill_count: 0
    .wavefront_size: 64
  - .agpr_count:     0
    .args:
      - .offset:         0
        .size:           144
        .value_kind:     by_value
    .group_segment_fixed_size: 0
    .kernarg_segment_align: 8
    .kernarg_segment_size: 144
    .language:       OpenCL C
    .language_version:
      - 2
      - 0
    .max_flat_workgroup_size: 256
    .name:           _ZN7rocprim17ROCPRIM_400000_NS6detail17trampoline_kernelINS0_14default_configENS1_27scan_by_key_config_selectorIj11FixedVectorIiLj4EEEEZZNS1_16scan_by_key_implILNS1_25lookback_scan_determinismE0ELb1ES3_N6thrust23THRUST_200600_302600_NS6detail15normal_iteratorINSB_10device_ptrIjEEEENSD_INSE_IS6_EEEESI_S6_NSB_4plusIvEENSB_8equal_toIvEES6_EE10hipError_tPvRmT2_T3_T4_T5_mT6_T7_P12ihipStream_tbENKUlT_T0_E_clISt17integral_constantIbLb0EES12_IbLb1EEEEDaSY_SZ_EUlSY_E_NS1_11comp_targetILNS1_3genE10ELNS1_11target_archE1200ELNS1_3gpuE4ELNS1_3repE0EEENS1_30default_config_static_selectorELNS0_4arch9wavefront6targetE1EEEvT1_
    .private_segment_fixed_size: 0
    .sgpr_count:     6
    .sgpr_spill_count: 0
    .symbol:         _ZN7rocprim17ROCPRIM_400000_NS6detail17trampoline_kernelINS0_14default_configENS1_27scan_by_key_config_selectorIj11FixedVectorIiLj4EEEEZZNS1_16scan_by_key_implILNS1_25lookback_scan_determinismE0ELb1ES3_N6thrust23THRUST_200600_302600_NS6detail15normal_iteratorINSB_10device_ptrIjEEEENSD_INSE_IS6_EEEESI_S6_NSB_4plusIvEENSB_8equal_toIvEES6_EE10hipError_tPvRmT2_T3_T4_T5_mT6_T7_P12ihipStream_tbENKUlT_T0_E_clISt17integral_constantIbLb0EES12_IbLb1EEEEDaSY_SZ_EUlSY_E_NS1_11comp_targetILNS1_3genE10ELNS1_11target_archE1200ELNS1_3gpuE4ELNS1_3repE0EEENS1_30default_config_static_selectorELNS0_4arch9wavefront6targetE1EEEvT1_.kd
    .uniform_work_group_size: 1
    .uses_dynamic_stack: false
    .vgpr_count:     0
    .vgpr_spill_count: 0
    .wavefront_size: 64
  - .agpr_count:     0
    .args:
      - .offset:         0
        .size:           144
        .value_kind:     by_value
    .group_segment_fixed_size: 0
    .kernarg_segment_align: 8
    .kernarg_segment_size: 144
    .language:       OpenCL C
    .language_version:
      - 2
      - 0
    .max_flat_workgroup_size: 256
    .name:           _ZN7rocprim17ROCPRIM_400000_NS6detail17trampoline_kernelINS0_14default_configENS1_27scan_by_key_config_selectorIj11FixedVectorIiLj4EEEEZZNS1_16scan_by_key_implILNS1_25lookback_scan_determinismE0ELb1ES3_N6thrust23THRUST_200600_302600_NS6detail15normal_iteratorINSB_10device_ptrIjEEEENSD_INSE_IS6_EEEESI_S6_NSB_4plusIvEENSB_8equal_toIvEES6_EE10hipError_tPvRmT2_T3_T4_T5_mT6_T7_P12ihipStream_tbENKUlT_T0_E_clISt17integral_constantIbLb0EES12_IbLb1EEEEDaSY_SZ_EUlSY_E_NS1_11comp_targetILNS1_3genE9ELNS1_11target_archE1100ELNS1_3gpuE3ELNS1_3repE0EEENS1_30default_config_static_selectorELNS0_4arch9wavefront6targetE1EEEvT1_
    .private_segment_fixed_size: 0
    .sgpr_count:     6
    .sgpr_spill_count: 0
    .symbol:         _ZN7rocprim17ROCPRIM_400000_NS6detail17trampoline_kernelINS0_14default_configENS1_27scan_by_key_config_selectorIj11FixedVectorIiLj4EEEEZZNS1_16scan_by_key_implILNS1_25lookback_scan_determinismE0ELb1ES3_N6thrust23THRUST_200600_302600_NS6detail15normal_iteratorINSB_10device_ptrIjEEEENSD_INSE_IS6_EEEESI_S6_NSB_4plusIvEENSB_8equal_toIvEES6_EE10hipError_tPvRmT2_T3_T4_T5_mT6_T7_P12ihipStream_tbENKUlT_T0_E_clISt17integral_constantIbLb0EES12_IbLb1EEEEDaSY_SZ_EUlSY_E_NS1_11comp_targetILNS1_3genE9ELNS1_11target_archE1100ELNS1_3gpuE3ELNS1_3repE0EEENS1_30default_config_static_selectorELNS0_4arch9wavefront6targetE1EEEvT1_.kd
    .uniform_work_group_size: 1
    .uses_dynamic_stack: false
    .vgpr_count:     0
    .vgpr_spill_count: 0
    .wavefront_size: 64
  - .agpr_count:     0
    .args:
      - .offset:         0
        .size:           144
        .value_kind:     by_value
    .group_segment_fixed_size: 0
    .kernarg_segment_align: 8
    .kernarg_segment_size: 144
    .language:       OpenCL C
    .language_version:
      - 2
      - 0
    .max_flat_workgroup_size: 256
    .name:           _ZN7rocprim17ROCPRIM_400000_NS6detail17trampoline_kernelINS0_14default_configENS1_27scan_by_key_config_selectorIj11FixedVectorIiLj4EEEEZZNS1_16scan_by_key_implILNS1_25lookback_scan_determinismE0ELb1ES3_N6thrust23THRUST_200600_302600_NS6detail15normal_iteratorINSB_10device_ptrIjEEEENSD_INSE_IS6_EEEESI_S6_NSB_4plusIvEENSB_8equal_toIvEES6_EE10hipError_tPvRmT2_T3_T4_T5_mT6_T7_P12ihipStream_tbENKUlT_T0_E_clISt17integral_constantIbLb0EES12_IbLb1EEEEDaSY_SZ_EUlSY_E_NS1_11comp_targetILNS1_3genE8ELNS1_11target_archE1030ELNS1_3gpuE2ELNS1_3repE0EEENS1_30default_config_static_selectorELNS0_4arch9wavefront6targetE1EEEvT1_
    .private_segment_fixed_size: 0
    .sgpr_count:     6
    .sgpr_spill_count: 0
    .symbol:         _ZN7rocprim17ROCPRIM_400000_NS6detail17trampoline_kernelINS0_14default_configENS1_27scan_by_key_config_selectorIj11FixedVectorIiLj4EEEEZZNS1_16scan_by_key_implILNS1_25lookback_scan_determinismE0ELb1ES3_N6thrust23THRUST_200600_302600_NS6detail15normal_iteratorINSB_10device_ptrIjEEEENSD_INSE_IS6_EEEESI_S6_NSB_4plusIvEENSB_8equal_toIvEES6_EE10hipError_tPvRmT2_T3_T4_T5_mT6_T7_P12ihipStream_tbENKUlT_T0_E_clISt17integral_constantIbLb0EES12_IbLb1EEEEDaSY_SZ_EUlSY_E_NS1_11comp_targetILNS1_3genE8ELNS1_11target_archE1030ELNS1_3gpuE2ELNS1_3repE0EEENS1_30default_config_static_selectorELNS0_4arch9wavefront6targetE1EEEvT1_.kd
    .uniform_work_group_size: 1
    .uses_dynamic_stack: false
    .vgpr_count:     0
    .vgpr_spill_count: 0
    .wavefront_size: 64
  - .agpr_count:     0
    .args:
      - .offset:         0
        .size:           16
        .value_kind:     by_value
      - .offset:         16
        .size:           8
        .value_kind:     by_value
      - .offset:         24
        .size:           8
        .value_kind:     by_value
    .group_segment_fixed_size: 0
    .kernarg_segment_align: 8
    .kernarg_segment_size: 32
    .language:       OpenCL C
    .language_version:
      - 2
      - 0
    .max_flat_workgroup_size: 256
    .name:           _ZN6thrust23THRUST_200600_302600_NS11hip_rocprim14__parallel_for6kernelILj256ENS1_10for_each_fINS0_10device_ptrI11FixedVectorIiLj8EEEENS0_6detail16wrapped_functionINS9_23allocator_traits_detail5gozerEvEEEElLj1EEEvT0_T1_SG_
    .private_segment_fixed_size: 0
    .sgpr_count:     6
    .sgpr_spill_count: 0
    .symbol:         _ZN6thrust23THRUST_200600_302600_NS11hip_rocprim14__parallel_for6kernelILj256ENS1_10for_each_fINS0_10device_ptrI11FixedVectorIiLj8EEEENS0_6detail16wrapped_functionINS9_23allocator_traits_detail5gozerEvEEEElLj1EEEvT0_T1_SG_.kd
    .uniform_work_group_size: 1
    .uses_dynamic_stack: false
    .vgpr_count:     0
    .vgpr_spill_count: 0
    .wavefront_size: 64
  - .agpr_count:     0
    .args:
      - .offset:         0
        .size:           16
        .value_kind:     by_value
      - .offset:         16
        .size:           8
        .value_kind:     by_value
      - .offset:         24
        .size:           8
        .value_kind:     by_value
    .group_segment_fixed_size: 0
    .kernarg_segment_align: 8
    .kernarg_segment_size: 32
    .language:       OpenCL C
    .language_version:
      - 2
      - 0
    .max_flat_workgroup_size: 256
    .name:           _ZN6thrust23THRUST_200600_302600_NS11hip_rocprim14__parallel_for6kernelILj256ENS1_10for_each_fINS0_10device_ptrI11FixedVectorIiLj8EEEENS0_6detail16wrapped_functionINS9_23allocator_traits_detail24construct1_via_allocatorINS0_16device_allocatorIS7_EEEEvEEEEmLj1EEEvT0_T1_SJ_
    .private_segment_fixed_size: 0
    .sgpr_count:     18
    .sgpr_spill_count: 0
    .symbol:         _ZN6thrust23THRUST_200600_302600_NS11hip_rocprim14__parallel_for6kernelILj256ENS1_10for_each_fINS0_10device_ptrI11FixedVectorIiLj8EEEENS0_6detail16wrapped_functionINS9_23allocator_traits_detail24construct1_via_allocatorINS0_16device_allocatorIS7_EEEEvEEEEmLj1EEEvT0_T1_SJ_.kd
    .uniform_work_group_size: 1
    .uses_dynamic_stack: false
    .vgpr_count:     8
    .vgpr_spill_count: 0
    .wavefront_size: 64
  - .agpr_count:     0
    .args:
      - .offset:         0
        .size:           24
        .value_kind:     by_value
      - .offset:         24
        .size:           4
        .value_kind:     by_value
      - .offset:         28
        .size:           4
        .value_kind:     by_value
      - .address_space:  global
        .offset:         32
        .size:           8
        .value_kind:     global_buffer
      - .address_space:  global
        .offset:         40
        .size:           8
        .value_kind:     global_buffer
      - .actual_access:  write_only
        .address_space:  global
        .offset:         48
        .size:           8
        .value_kind:     global_buffer
      - .offset:         56
        .size:           8
        .value_kind:     by_value
      - .offset:         64
        .size:           4
        .value_kind:     by_value
      - .offset:         68
        .size:           1
        .value_kind:     by_value
      - .offset:         72
        .size:           4
        .value_kind:     hidden_block_count_x
      - .offset:         76
        .size:           4
        .value_kind:     hidden_block_count_y
      - .offset:         80
        .size:           4
        .value_kind:     hidden_block_count_z
      - .offset:         84
        .size:           2
        .value_kind:     hidden_group_size_x
      - .offset:         86
        .size:           2
        .value_kind:     hidden_group_size_y
      - .offset:         88
        .size:           2
        .value_kind:     hidden_group_size_z
      - .offset:         90
        .size:           2
        .value_kind:     hidden_remainder_x
      - .offset:         92
        .size:           2
        .value_kind:     hidden_remainder_y
      - .offset:         94
        .size:           2
        .value_kind:     hidden_remainder_z
      - .offset:         112
        .size:           8
        .value_kind:     hidden_global_offset_x
      - .offset:         120
        .size:           8
        .value_kind:     hidden_global_offset_y
      - .offset:         128
        .size:           8
        .value_kind:     hidden_global_offset_z
      - .offset:         136
        .size:           2
        .value_kind:     hidden_grid_dims
    .group_segment_fixed_size: 0
    .kernarg_segment_align: 8
    .kernarg_segment_size: 328
    .language:       OpenCL C
    .language_version:
      - 2
      - 0
    .max_flat_workgroup_size: 256
    .name:           _ZN7rocprim17ROCPRIM_400000_NS6detail30init_device_scan_by_key_kernelINS1_19lookback_scan_stateINS0_5tupleIJ11FixedVectorIiLj8EEbEEELb0ELb0EEEN6thrust23THRUST_200600_302600_NS6detail15normal_iteratorINSA_10device_ptrIjEEEEjNS1_16block_id_wrapperIjLb0EEEEEvT_jjPNSI_10value_typeET0_PNSt15iterator_traitsISL_E10value_typeEmT1_T2_
    .private_segment_fixed_size: 0
    .sgpr_count:     27
    .sgpr_spill_count: 0
    .symbol:         _ZN7rocprim17ROCPRIM_400000_NS6detail30init_device_scan_by_key_kernelINS1_19lookback_scan_stateINS0_5tupleIJ11FixedVectorIiLj8EEbEEELb0ELb0EEEN6thrust23THRUST_200600_302600_NS6detail15normal_iteratorINSA_10device_ptrIjEEEEjNS1_16block_id_wrapperIjLb0EEEEEvT_jjPNSI_10value_typeET0_PNSt15iterator_traitsISL_E10value_typeEmT1_T2_.kd
    .uniform_work_group_size: 1
    .uses_dynamic_stack: false
    .vgpr_count:     11
    .vgpr_spill_count: 0
    .wavefront_size: 64
  - .agpr_count:     0
    .args:
      - .offset:         0
        .size:           24
        .value_kind:     by_value
      - .offset:         24
        .size:           4
        .value_kind:     by_value
      - .offset:         28
        .size:           4
        .value_kind:     by_value
      - .address_space:  global
        .offset:         32
        .size:           8
        .value_kind:     global_buffer
      - .offset:         40
        .size:           1
        .value_kind:     by_value
      - .offset:         48
        .size:           4
        .value_kind:     hidden_block_count_x
      - .offset:         52
        .size:           4
        .value_kind:     hidden_block_count_y
      - .offset:         56
        .size:           4
        .value_kind:     hidden_block_count_z
      - .offset:         60
        .size:           2
        .value_kind:     hidden_group_size_x
      - .offset:         62
        .size:           2
        .value_kind:     hidden_group_size_y
      - .offset:         64
        .size:           2
        .value_kind:     hidden_group_size_z
      - .offset:         66
        .size:           2
        .value_kind:     hidden_remainder_x
      - .offset:         68
        .size:           2
        .value_kind:     hidden_remainder_y
      - .offset:         70
        .size:           2
        .value_kind:     hidden_remainder_z
      - .offset:         88
        .size:           8
        .value_kind:     hidden_global_offset_x
      - .offset:         96
        .size:           8
        .value_kind:     hidden_global_offset_y
      - .offset:         104
        .size:           8
        .value_kind:     hidden_global_offset_z
      - .offset:         112
        .size:           2
        .value_kind:     hidden_grid_dims
    .group_segment_fixed_size: 0
    .kernarg_segment_align: 8
    .kernarg_segment_size: 304
    .language:       OpenCL C
    .language_version:
      - 2
      - 0
    .max_flat_workgroup_size: 256
    .name:           _ZN7rocprim17ROCPRIM_400000_NS6detail30init_device_scan_by_key_kernelINS1_19lookback_scan_stateINS0_5tupleIJ11FixedVectorIiLj8EEbEEELb0ELb0EEENS1_16block_id_wrapperIjLb0EEEEEvT_jjPNSB_10value_typeET0_
    .private_segment_fixed_size: 0
    .sgpr_count:     21
    .sgpr_spill_count: 0
    .symbol:         _ZN7rocprim17ROCPRIM_400000_NS6detail30init_device_scan_by_key_kernelINS1_19lookback_scan_stateINS0_5tupleIJ11FixedVectorIiLj8EEbEEELb0ELb0EEENS1_16block_id_wrapperIjLb0EEEEEvT_jjPNSB_10value_typeET0_.kd
    .uniform_work_group_size: 1
    .uses_dynamic_stack: false
    .vgpr_count:     11
    .vgpr_spill_count: 0
    .wavefront_size: 64
  - .agpr_count:     0
    .args:
      - .offset:         0
        .size:           160
        .value_kind:     by_value
    .group_segment_fixed_size: 0
    .kernarg_segment_align: 8
    .kernarg_segment_size: 160
    .language:       OpenCL C
    .language_version:
      - 2
      - 0
    .max_flat_workgroup_size: 256
    .name:           _ZN7rocprim17ROCPRIM_400000_NS6detail17trampoline_kernelINS0_14default_configENS1_27scan_by_key_config_selectorIj11FixedVectorIiLj8EEEEZZNS1_16scan_by_key_implILNS1_25lookback_scan_determinismE0ELb0ES3_N6thrust23THRUST_200600_302600_NS6detail15normal_iteratorINSB_10device_ptrIjEEEENSD_INSE_IS6_EEEESI_S6_NSB_4plusIvEENSB_8equal_toIvEES6_EE10hipError_tPvRmT2_T3_T4_T5_mT6_T7_P12ihipStream_tbENKUlT_T0_E_clISt17integral_constantIbLb0EES13_EEDaSY_SZ_EUlSY_E_NS1_11comp_targetILNS1_3genE0ELNS1_11target_archE4294967295ELNS1_3gpuE0ELNS1_3repE0EEENS1_30default_config_static_selectorELNS0_4arch9wavefront6targetE1EEEvT1_
    .private_segment_fixed_size: 0
    .sgpr_count:     6
    .sgpr_spill_count: 0
    .symbol:         _ZN7rocprim17ROCPRIM_400000_NS6detail17trampoline_kernelINS0_14default_configENS1_27scan_by_key_config_selectorIj11FixedVectorIiLj8EEEEZZNS1_16scan_by_key_implILNS1_25lookback_scan_determinismE0ELb0ES3_N6thrust23THRUST_200600_302600_NS6detail15normal_iteratorINSB_10device_ptrIjEEEENSD_INSE_IS6_EEEESI_S6_NSB_4plusIvEENSB_8equal_toIvEES6_EE10hipError_tPvRmT2_T3_T4_T5_mT6_T7_P12ihipStream_tbENKUlT_T0_E_clISt17integral_constantIbLb0EES13_EEDaSY_SZ_EUlSY_E_NS1_11comp_targetILNS1_3genE0ELNS1_11target_archE4294967295ELNS1_3gpuE0ELNS1_3repE0EEENS1_30default_config_static_selectorELNS0_4arch9wavefront6targetE1EEEvT1_.kd
    .uniform_work_group_size: 1
    .uses_dynamic_stack: false
    .vgpr_count:     0
    .vgpr_spill_count: 0
    .wavefront_size: 64
  - .agpr_count:     0
    .args:
      - .offset:         0
        .size:           160
        .value_kind:     by_value
    .group_segment_fixed_size: 0
    .kernarg_segment_align: 8
    .kernarg_segment_size: 160
    .language:       OpenCL C
    .language_version:
      - 2
      - 0
    .max_flat_workgroup_size: 256
    .name:           _ZN7rocprim17ROCPRIM_400000_NS6detail17trampoline_kernelINS0_14default_configENS1_27scan_by_key_config_selectorIj11FixedVectorIiLj8EEEEZZNS1_16scan_by_key_implILNS1_25lookback_scan_determinismE0ELb0ES3_N6thrust23THRUST_200600_302600_NS6detail15normal_iteratorINSB_10device_ptrIjEEEENSD_INSE_IS6_EEEESI_S6_NSB_4plusIvEENSB_8equal_toIvEES6_EE10hipError_tPvRmT2_T3_T4_T5_mT6_T7_P12ihipStream_tbENKUlT_T0_E_clISt17integral_constantIbLb0EES13_EEDaSY_SZ_EUlSY_E_NS1_11comp_targetILNS1_3genE10ELNS1_11target_archE1201ELNS1_3gpuE5ELNS1_3repE0EEENS1_30default_config_static_selectorELNS0_4arch9wavefront6targetE1EEEvT1_
    .private_segment_fixed_size: 0
    .sgpr_count:     6
    .sgpr_spill_count: 0
    .symbol:         _ZN7rocprim17ROCPRIM_400000_NS6detail17trampoline_kernelINS0_14default_configENS1_27scan_by_key_config_selectorIj11FixedVectorIiLj8EEEEZZNS1_16scan_by_key_implILNS1_25lookback_scan_determinismE0ELb0ES3_N6thrust23THRUST_200600_302600_NS6detail15normal_iteratorINSB_10device_ptrIjEEEENSD_INSE_IS6_EEEESI_S6_NSB_4plusIvEENSB_8equal_toIvEES6_EE10hipError_tPvRmT2_T3_T4_T5_mT6_T7_P12ihipStream_tbENKUlT_T0_E_clISt17integral_constantIbLb0EES13_EEDaSY_SZ_EUlSY_E_NS1_11comp_targetILNS1_3genE10ELNS1_11target_archE1201ELNS1_3gpuE5ELNS1_3repE0EEENS1_30default_config_static_selectorELNS0_4arch9wavefront6targetE1EEEvT1_.kd
    .uniform_work_group_size: 1
    .uses_dynamic_stack: false
    .vgpr_count:     0
    .vgpr_spill_count: 0
    .wavefront_size: 64
  - .agpr_count:     0
    .args:
      - .offset:         0
        .size:           160
        .value_kind:     by_value
    .group_segment_fixed_size: 32768
    .kernarg_segment_align: 8
    .kernarg_segment_size: 160
    .language:       OpenCL C
    .language_version:
      - 2
      - 0
    .max_flat_workgroup_size: 256
    .name:           _ZN7rocprim17ROCPRIM_400000_NS6detail17trampoline_kernelINS0_14default_configENS1_27scan_by_key_config_selectorIj11FixedVectorIiLj8EEEEZZNS1_16scan_by_key_implILNS1_25lookback_scan_determinismE0ELb0ES3_N6thrust23THRUST_200600_302600_NS6detail15normal_iteratorINSB_10device_ptrIjEEEENSD_INSE_IS6_EEEESI_S6_NSB_4plusIvEENSB_8equal_toIvEES6_EE10hipError_tPvRmT2_T3_T4_T5_mT6_T7_P12ihipStream_tbENKUlT_T0_E_clISt17integral_constantIbLb0EES13_EEDaSY_SZ_EUlSY_E_NS1_11comp_targetILNS1_3genE5ELNS1_11target_archE942ELNS1_3gpuE9ELNS1_3repE0EEENS1_30default_config_static_selectorELNS0_4arch9wavefront6targetE1EEEvT1_
    .private_segment_fixed_size: 400
    .sgpr_count:     55
    .sgpr_spill_count: 0
    .symbol:         _ZN7rocprim17ROCPRIM_400000_NS6detail17trampoline_kernelINS0_14default_configENS1_27scan_by_key_config_selectorIj11FixedVectorIiLj8EEEEZZNS1_16scan_by_key_implILNS1_25lookback_scan_determinismE0ELb0ES3_N6thrust23THRUST_200600_302600_NS6detail15normal_iteratorINSB_10device_ptrIjEEEENSD_INSE_IS6_EEEESI_S6_NSB_4plusIvEENSB_8equal_toIvEES6_EE10hipError_tPvRmT2_T3_T4_T5_mT6_T7_P12ihipStream_tbENKUlT_T0_E_clISt17integral_constantIbLb0EES13_EEDaSY_SZ_EUlSY_E_NS1_11comp_targetILNS1_3genE5ELNS1_11target_archE942ELNS1_3gpuE9ELNS1_3repE0EEENS1_30default_config_static_selectorELNS0_4arch9wavefront6targetE1EEEvT1_.kd
    .uniform_work_group_size: 1
    .uses_dynamic_stack: false
    .vgpr_count:     40
    .vgpr_spill_count: 0
    .wavefront_size: 64
  - .agpr_count:     0
    .args:
      - .offset:         0
        .size:           160
        .value_kind:     by_value
    .group_segment_fixed_size: 0
    .kernarg_segment_align: 8
    .kernarg_segment_size: 160
    .language:       OpenCL C
    .language_version:
      - 2
      - 0
    .max_flat_workgroup_size: 256
    .name:           _ZN7rocprim17ROCPRIM_400000_NS6detail17trampoline_kernelINS0_14default_configENS1_27scan_by_key_config_selectorIj11FixedVectorIiLj8EEEEZZNS1_16scan_by_key_implILNS1_25lookback_scan_determinismE0ELb0ES3_N6thrust23THRUST_200600_302600_NS6detail15normal_iteratorINSB_10device_ptrIjEEEENSD_INSE_IS6_EEEESI_S6_NSB_4plusIvEENSB_8equal_toIvEES6_EE10hipError_tPvRmT2_T3_T4_T5_mT6_T7_P12ihipStream_tbENKUlT_T0_E_clISt17integral_constantIbLb0EES13_EEDaSY_SZ_EUlSY_E_NS1_11comp_targetILNS1_3genE4ELNS1_11target_archE910ELNS1_3gpuE8ELNS1_3repE0EEENS1_30default_config_static_selectorELNS0_4arch9wavefront6targetE1EEEvT1_
    .private_segment_fixed_size: 0
    .sgpr_count:     6
    .sgpr_spill_count: 0
    .symbol:         _ZN7rocprim17ROCPRIM_400000_NS6detail17trampoline_kernelINS0_14default_configENS1_27scan_by_key_config_selectorIj11FixedVectorIiLj8EEEEZZNS1_16scan_by_key_implILNS1_25lookback_scan_determinismE0ELb0ES3_N6thrust23THRUST_200600_302600_NS6detail15normal_iteratorINSB_10device_ptrIjEEEENSD_INSE_IS6_EEEESI_S6_NSB_4plusIvEENSB_8equal_toIvEES6_EE10hipError_tPvRmT2_T3_T4_T5_mT6_T7_P12ihipStream_tbENKUlT_T0_E_clISt17integral_constantIbLb0EES13_EEDaSY_SZ_EUlSY_E_NS1_11comp_targetILNS1_3genE4ELNS1_11target_archE910ELNS1_3gpuE8ELNS1_3repE0EEENS1_30default_config_static_selectorELNS0_4arch9wavefront6targetE1EEEvT1_.kd
    .uniform_work_group_size: 1
    .uses_dynamic_stack: false
    .vgpr_count:     0
    .vgpr_spill_count: 0
    .wavefront_size: 64
  - .agpr_count:     0
    .args:
      - .offset:         0
        .size:           160
        .value_kind:     by_value
    .group_segment_fixed_size: 0
    .kernarg_segment_align: 8
    .kernarg_segment_size: 160
    .language:       OpenCL C
    .language_version:
      - 2
      - 0
    .max_flat_workgroup_size: 256
    .name:           _ZN7rocprim17ROCPRIM_400000_NS6detail17trampoline_kernelINS0_14default_configENS1_27scan_by_key_config_selectorIj11FixedVectorIiLj8EEEEZZNS1_16scan_by_key_implILNS1_25lookback_scan_determinismE0ELb0ES3_N6thrust23THRUST_200600_302600_NS6detail15normal_iteratorINSB_10device_ptrIjEEEENSD_INSE_IS6_EEEESI_S6_NSB_4plusIvEENSB_8equal_toIvEES6_EE10hipError_tPvRmT2_T3_T4_T5_mT6_T7_P12ihipStream_tbENKUlT_T0_E_clISt17integral_constantIbLb0EES13_EEDaSY_SZ_EUlSY_E_NS1_11comp_targetILNS1_3genE3ELNS1_11target_archE908ELNS1_3gpuE7ELNS1_3repE0EEENS1_30default_config_static_selectorELNS0_4arch9wavefront6targetE1EEEvT1_
    .private_segment_fixed_size: 0
    .sgpr_count:     6
    .sgpr_spill_count: 0
    .symbol:         _ZN7rocprim17ROCPRIM_400000_NS6detail17trampoline_kernelINS0_14default_configENS1_27scan_by_key_config_selectorIj11FixedVectorIiLj8EEEEZZNS1_16scan_by_key_implILNS1_25lookback_scan_determinismE0ELb0ES3_N6thrust23THRUST_200600_302600_NS6detail15normal_iteratorINSB_10device_ptrIjEEEENSD_INSE_IS6_EEEESI_S6_NSB_4plusIvEENSB_8equal_toIvEES6_EE10hipError_tPvRmT2_T3_T4_T5_mT6_T7_P12ihipStream_tbENKUlT_T0_E_clISt17integral_constantIbLb0EES13_EEDaSY_SZ_EUlSY_E_NS1_11comp_targetILNS1_3genE3ELNS1_11target_archE908ELNS1_3gpuE7ELNS1_3repE0EEENS1_30default_config_static_selectorELNS0_4arch9wavefront6targetE1EEEvT1_.kd
    .uniform_work_group_size: 1
    .uses_dynamic_stack: false
    .vgpr_count:     0
    .vgpr_spill_count: 0
    .wavefront_size: 64
  - .agpr_count:     0
    .args:
      - .offset:         0
        .size:           160
        .value_kind:     by_value
    .group_segment_fixed_size: 0
    .kernarg_segment_align: 8
    .kernarg_segment_size: 160
    .language:       OpenCL C
    .language_version:
      - 2
      - 0
    .max_flat_workgroup_size: 256
    .name:           _ZN7rocprim17ROCPRIM_400000_NS6detail17trampoline_kernelINS0_14default_configENS1_27scan_by_key_config_selectorIj11FixedVectorIiLj8EEEEZZNS1_16scan_by_key_implILNS1_25lookback_scan_determinismE0ELb0ES3_N6thrust23THRUST_200600_302600_NS6detail15normal_iteratorINSB_10device_ptrIjEEEENSD_INSE_IS6_EEEESI_S6_NSB_4plusIvEENSB_8equal_toIvEES6_EE10hipError_tPvRmT2_T3_T4_T5_mT6_T7_P12ihipStream_tbENKUlT_T0_E_clISt17integral_constantIbLb0EES13_EEDaSY_SZ_EUlSY_E_NS1_11comp_targetILNS1_3genE2ELNS1_11target_archE906ELNS1_3gpuE6ELNS1_3repE0EEENS1_30default_config_static_selectorELNS0_4arch9wavefront6targetE1EEEvT1_
    .private_segment_fixed_size: 0
    .sgpr_count:     6
    .sgpr_spill_count: 0
    .symbol:         _ZN7rocprim17ROCPRIM_400000_NS6detail17trampoline_kernelINS0_14default_configENS1_27scan_by_key_config_selectorIj11FixedVectorIiLj8EEEEZZNS1_16scan_by_key_implILNS1_25lookback_scan_determinismE0ELb0ES3_N6thrust23THRUST_200600_302600_NS6detail15normal_iteratorINSB_10device_ptrIjEEEENSD_INSE_IS6_EEEESI_S6_NSB_4plusIvEENSB_8equal_toIvEES6_EE10hipError_tPvRmT2_T3_T4_T5_mT6_T7_P12ihipStream_tbENKUlT_T0_E_clISt17integral_constantIbLb0EES13_EEDaSY_SZ_EUlSY_E_NS1_11comp_targetILNS1_3genE2ELNS1_11target_archE906ELNS1_3gpuE6ELNS1_3repE0EEENS1_30default_config_static_selectorELNS0_4arch9wavefront6targetE1EEEvT1_.kd
    .uniform_work_group_size: 1
    .uses_dynamic_stack: false
    .vgpr_count:     0
    .vgpr_spill_count: 0
    .wavefront_size: 64
  - .agpr_count:     0
    .args:
      - .offset:         0
        .size:           160
        .value_kind:     by_value
    .group_segment_fixed_size: 0
    .kernarg_segment_align: 8
    .kernarg_segment_size: 160
    .language:       OpenCL C
    .language_version:
      - 2
      - 0
    .max_flat_workgroup_size: 256
    .name:           _ZN7rocprim17ROCPRIM_400000_NS6detail17trampoline_kernelINS0_14default_configENS1_27scan_by_key_config_selectorIj11FixedVectorIiLj8EEEEZZNS1_16scan_by_key_implILNS1_25lookback_scan_determinismE0ELb0ES3_N6thrust23THRUST_200600_302600_NS6detail15normal_iteratorINSB_10device_ptrIjEEEENSD_INSE_IS6_EEEESI_S6_NSB_4plusIvEENSB_8equal_toIvEES6_EE10hipError_tPvRmT2_T3_T4_T5_mT6_T7_P12ihipStream_tbENKUlT_T0_E_clISt17integral_constantIbLb0EES13_EEDaSY_SZ_EUlSY_E_NS1_11comp_targetILNS1_3genE10ELNS1_11target_archE1200ELNS1_3gpuE4ELNS1_3repE0EEENS1_30default_config_static_selectorELNS0_4arch9wavefront6targetE1EEEvT1_
    .private_segment_fixed_size: 0
    .sgpr_count:     6
    .sgpr_spill_count: 0
    .symbol:         _ZN7rocprim17ROCPRIM_400000_NS6detail17trampoline_kernelINS0_14default_configENS1_27scan_by_key_config_selectorIj11FixedVectorIiLj8EEEEZZNS1_16scan_by_key_implILNS1_25lookback_scan_determinismE0ELb0ES3_N6thrust23THRUST_200600_302600_NS6detail15normal_iteratorINSB_10device_ptrIjEEEENSD_INSE_IS6_EEEESI_S6_NSB_4plusIvEENSB_8equal_toIvEES6_EE10hipError_tPvRmT2_T3_T4_T5_mT6_T7_P12ihipStream_tbENKUlT_T0_E_clISt17integral_constantIbLb0EES13_EEDaSY_SZ_EUlSY_E_NS1_11comp_targetILNS1_3genE10ELNS1_11target_archE1200ELNS1_3gpuE4ELNS1_3repE0EEENS1_30default_config_static_selectorELNS0_4arch9wavefront6targetE1EEEvT1_.kd
    .uniform_work_group_size: 1
    .uses_dynamic_stack: false
    .vgpr_count:     0
    .vgpr_spill_count: 0
    .wavefront_size: 64
  - .agpr_count:     0
    .args:
      - .offset:         0
        .size:           160
        .value_kind:     by_value
    .group_segment_fixed_size: 0
    .kernarg_segment_align: 8
    .kernarg_segment_size: 160
    .language:       OpenCL C
    .language_version:
      - 2
      - 0
    .max_flat_workgroup_size: 256
    .name:           _ZN7rocprim17ROCPRIM_400000_NS6detail17trampoline_kernelINS0_14default_configENS1_27scan_by_key_config_selectorIj11FixedVectorIiLj8EEEEZZNS1_16scan_by_key_implILNS1_25lookback_scan_determinismE0ELb0ES3_N6thrust23THRUST_200600_302600_NS6detail15normal_iteratorINSB_10device_ptrIjEEEENSD_INSE_IS6_EEEESI_S6_NSB_4plusIvEENSB_8equal_toIvEES6_EE10hipError_tPvRmT2_T3_T4_T5_mT6_T7_P12ihipStream_tbENKUlT_T0_E_clISt17integral_constantIbLb0EES13_EEDaSY_SZ_EUlSY_E_NS1_11comp_targetILNS1_3genE9ELNS1_11target_archE1100ELNS1_3gpuE3ELNS1_3repE0EEENS1_30default_config_static_selectorELNS0_4arch9wavefront6targetE1EEEvT1_
    .private_segment_fixed_size: 0
    .sgpr_count:     6
    .sgpr_spill_count: 0
    .symbol:         _ZN7rocprim17ROCPRIM_400000_NS6detail17trampoline_kernelINS0_14default_configENS1_27scan_by_key_config_selectorIj11FixedVectorIiLj8EEEEZZNS1_16scan_by_key_implILNS1_25lookback_scan_determinismE0ELb0ES3_N6thrust23THRUST_200600_302600_NS6detail15normal_iteratorINSB_10device_ptrIjEEEENSD_INSE_IS6_EEEESI_S6_NSB_4plusIvEENSB_8equal_toIvEES6_EE10hipError_tPvRmT2_T3_T4_T5_mT6_T7_P12ihipStream_tbENKUlT_T0_E_clISt17integral_constantIbLb0EES13_EEDaSY_SZ_EUlSY_E_NS1_11comp_targetILNS1_3genE9ELNS1_11target_archE1100ELNS1_3gpuE3ELNS1_3repE0EEENS1_30default_config_static_selectorELNS0_4arch9wavefront6targetE1EEEvT1_.kd
    .uniform_work_group_size: 1
    .uses_dynamic_stack: false
    .vgpr_count:     0
    .vgpr_spill_count: 0
    .wavefront_size: 64
  - .agpr_count:     0
    .args:
      - .offset:         0
        .size:           160
        .value_kind:     by_value
    .group_segment_fixed_size: 0
    .kernarg_segment_align: 8
    .kernarg_segment_size: 160
    .language:       OpenCL C
    .language_version:
      - 2
      - 0
    .max_flat_workgroup_size: 256
    .name:           _ZN7rocprim17ROCPRIM_400000_NS6detail17trampoline_kernelINS0_14default_configENS1_27scan_by_key_config_selectorIj11FixedVectorIiLj8EEEEZZNS1_16scan_by_key_implILNS1_25lookback_scan_determinismE0ELb0ES3_N6thrust23THRUST_200600_302600_NS6detail15normal_iteratorINSB_10device_ptrIjEEEENSD_INSE_IS6_EEEESI_S6_NSB_4plusIvEENSB_8equal_toIvEES6_EE10hipError_tPvRmT2_T3_T4_T5_mT6_T7_P12ihipStream_tbENKUlT_T0_E_clISt17integral_constantIbLb0EES13_EEDaSY_SZ_EUlSY_E_NS1_11comp_targetILNS1_3genE8ELNS1_11target_archE1030ELNS1_3gpuE2ELNS1_3repE0EEENS1_30default_config_static_selectorELNS0_4arch9wavefront6targetE1EEEvT1_
    .private_segment_fixed_size: 0
    .sgpr_count:     6
    .sgpr_spill_count: 0
    .symbol:         _ZN7rocprim17ROCPRIM_400000_NS6detail17trampoline_kernelINS0_14default_configENS1_27scan_by_key_config_selectorIj11FixedVectorIiLj8EEEEZZNS1_16scan_by_key_implILNS1_25lookback_scan_determinismE0ELb0ES3_N6thrust23THRUST_200600_302600_NS6detail15normal_iteratorINSB_10device_ptrIjEEEENSD_INSE_IS6_EEEESI_S6_NSB_4plusIvEENSB_8equal_toIvEES6_EE10hipError_tPvRmT2_T3_T4_T5_mT6_T7_P12ihipStream_tbENKUlT_T0_E_clISt17integral_constantIbLb0EES13_EEDaSY_SZ_EUlSY_E_NS1_11comp_targetILNS1_3genE8ELNS1_11target_archE1030ELNS1_3gpuE2ELNS1_3repE0EEENS1_30default_config_static_selectorELNS0_4arch9wavefront6targetE1EEEvT1_.kd
    .uniform_work_group_size: 1
    .uses_dynamic_stack: false
    .vgpr_count:     0
    .vgpr_spill_count: 0
    .wavefront_size: 64
  - .agpr_count:     0
    .args:
      - .offset:         0
        .size:           24
        .value_kind:     by_value
      - .offset:         24
        .size:           4
        .value_kind:     by_value
      - .offset:         28
        .size:           4
        .value_kind:     by_value
      - .address_space:  global
        .offset:         32
        .size:           8
        .value_kind:     global_buffer
      - .address_space:  global
        .offset:         40
        .size:           8
        .value_kind:     global_buffer
      - .actual_access:  write_only
        .address_space:  global
        .offset:         48
        .size:           8
        .value_kind:     global_buffer
      - .offset:         56
        .size:           8
        .value_kind:     by_value
      - .offset:         64
        .size:           4
        .value_kind:     by_value
      - .address_space:  global
        .offset:         72
        .size:           8
        .value_kind:     global_buffer
      - .offset:         80
        .size:           4
        .value_kind:     hidden_block_count_x
      - .offset:         84
        .size:           4
        .value_kind:     hidden_block_count_y
      - .offset:         88
        .size:           4
        .value_kind:     hidden_block_count_z
      - .offset:         92
        .size:           2
        .value_kind:     hidden_group_size_x
      - .offset:         94
        .size:           2
        .value_kind:     hidden_group_size_y
      - .offset:         96
        .size:           2
        .value_kind:     hidden_group_size_z
      - .offset:         98
        .size:           2
        .value_kind:     hidden_remainder_x
      - .offset:         100
        .size:           2
        .value_kind:     hidden_remainder_y
      - .offset:         102
        .size:           2
        .value_kind:     hidden_remainder_z
      - .offset:         120
        .size:           8
        .value_kind:     hidden_global_offset_x
      - .offset:         128
        .size:           8
        .value_kind:     hidden_global_offset_y
      - .offset:         136
        .size:           8
        .value_kind:     hidden_global_offset_z
      - .offset:         144
        .size:           2
        .value_kind:     hidden_grid_dims
    .group_segment_fixed_size: 0
    .kernarg_segment_align: 8
    .kernarg_segment_size: 336
    .language:       OpenCL C
    .language_version:
      - 2
      - 0
    .max_flat_workgroup_size: 256
    .name:           _ZN7rocprim17ROCPRIM_400000_NS6detail30init_device_scan_by_key_kernelINS1_19lookback_scan_stateINS0_5tupleIJ11FixedVectorIiLj8EEbEEELb1ELb0EEEN6thrust23THRUST_200600_302600_NS6detail15normal_iteratorINSA_10device_ptrIjEEEEjNS1_16block_id_wrapperIjLb1EEEEEvT_jjPNSI_10value_typeET0_PNSt15iterator_traitsISL_E10value_typeEmT1_T2_
    .private_segment_fixed_size: 0
    .sgpr_count:     30
    .sgpr_spill_count: 0
    .symbol:         _ZN7rocprim17ROCPRIM_400000_NS6detail30init_device_scan_by_key_kernelINS1_19lookback_scan_stateINS0_5tupleIJ11FixedVectorIiLj8EEbEEELb1ELb0EEEN6thrust23THRUST_200600_302600_NS6detail15normal_iteratorINSA_10device_ptrIjEEEEjNS1_16block_id_wrapperIjLb1EEEEEvT_jjPNSI_10value_typeET0_PNSt15iterator_traitsISL_E10value_typeEmT1_T2_.kd
    .uniform_work_group_size: 1
    .uses_dynamic_stack: false
    .vgpr_count:     11
    .vgpr_spill_count: 0
    .wavefront_size: 64
  - .agpr_count:     0
    .args:
      - .offset:         0
        .size:           24
        .value_kind:     by_value
      - .offset:         24
        .size:           4
        .value_kind:     by_value
      - .offset:         28
        .size:           4
        .value_kind:     by_value
      - .address_space:  global
        .offset:         32
        .size:           8
        .value_kind:     global_buffer
      - .address_space:  global
        .offset:         40
        .size:           8
        .value_kind:     global_buffer
      - .offset:         48
        .size:           4
        .value_kind:     hidden_block_count_x
      - .offset:         52
        .size:           4
        .value_kind:     hidden_block_count_y
      - .offset:         56
        .size:           4
        .value_kind:     hidden_block_count_z
      - .offset:         60
        .size:           2
        .value_kind:     hidden_group_size_x
      - .offset:         62
        .size:           2
        .value_kind:     hidden_group_size_y
      - .offset:         64
        .size:           2
        .value_kind:     hidden_group_size_z
      - .offset:         66
        .size:           2
        .value_kind:     hidden_remainder_x
      - .offset:         68
        .size:           2
        .value_kind:     hidden_remainder_y
      - .offset:         70
        .size:           2
        .value_kind:     hidden_remainder_z
      - .offset:         88
        .size:           8
        .value_kind:     hidden_global_offset_x
      - .offset:         96
        .size:           8
        .value_kind:     hidden_global_offset_y
      - .offset:         104
        .size:           8
        .value_kind:     hidden_global_offset_z
      - .offset:         112
        .size:           2
        .value_kind:     hidden_grid_dims
    .group_segment_fixed_size: 0
    .kernarg_segment_align: 8
    .kernarg_segment_size: 304
    .language:       OpenCL C
    .language_version:
      - 2
      - 0
    .max_flat_workgroup_size: 256
    .name:           _ZN7rocprim17ROCPRIM_400000_NS6detail30init_device_scan_by_key_kernelINS1_19lookback_scan_stateINS0_5tupleIJ11FixedVectorIiLj8EEbEEELb1ELb0EEENS1_16block_id_wrapperIjLb1EEEEEvT_jjPNSB_10value_typeET0_
    .private_segment_fixed_size: 0
    .sgpr_count:     26
    .sgpr_spill_count: 0
    .symbol:         _ZN7rocprim17ROCPRIM_400000_NS6detail30init_device_scan_by_key_kernelINS1_19lookback_scan_stateINS0_5tupleIJ11FixedVectorIiLj8EEbEEELb1ELb0EEENS1_16block_id_wrapperIjLb1EEEEEvT_jjPNSB_10value_typeET0_.kd
    .uniform_work_group_size: 1
    .uses_dynamic_stack: false
    .vgpr_count:     11
    .vgpr_spill_count: 0
    .wavefront_size: 64
  - .agpr_count:     0
    .args:
      - .offset:         0
        .size:           160
        .value_kind:     by_value
    .group_segment_fixed_size: 0
    .kernarg_segment_align: 8
    .kernarg_segment_size: 160
    .language:       OpenCL C
    .language_version:
      - 2
      - 0
    .max_flat_workgroup_size: 256
    .name:           _ZN7rocprim17ROCPRIM_400000_NS6detail17trampoline_kernelINS0_14default_configENS1_27scan_by_key_config_selectorIj11FixedVectorIiLj8EEEEZZNS1_16scan_by_key_implILNS1_25lookback_scan_determinismE0ELb0ES3_N6thrust23THRUST_200600_302600_NS6detail15normal_iteratorINSB_10device_ptrIjEEEENSD_INSE_IS6_EEEESI_S6_NSB_4plusIvEENSB_8equal_toIvEES6_EE10hipError_tPvRmT2_T3_T4_T5_mT6_T7_P12ihipStream_tbENKUlT_T0_E_clISt17integral_constantIbLb1EES13_EEDaSY_SZ_EUlSY_E_NS1_11comp_targetILNS1_3genE0ELNS1_11target_archE4294967295ELNS1_3gpuE0ELNS1_3repE0EEENS1_30default_config_static_selectorELNS0_4arch9wavefront6targetE1EEEvT1_
    .private_segment_fixed_size: 0
    .sgpr_count:     6
    .sgpr_spill_count: 0
    .symbol:         _ZN7rocprim17ROCPRIM_400000_NS6detail17trampoline_kernelINS0_14default_configENS1_27scan_by_key_config_selectorIj11FixedVectorIiLj8EEEEZZNS1_16scan_by_key_implILNS1_25lookback_scan_determinismE0ELb0ES3_N6thrust23THRUST_200600_302600_NS6detail15normal_iteratorINSB_10device_ptrIjEEEENSD_INSE_IS6_EEEESI_S6_NSB_4plusIvEENSB_8equal_toIvEES6_EE10hipError_tPvRmT2_T3_T4_T5_mT6_T7_P12ihipStream_tbENKUlT_T0_E_clISt17integral_constantIbLb1EES13_EEDaSY_SZ_EUlSY_E_NS1_11comp_targetILNS1_3genE0ELNS1_11target_archE4294967295ELNS1_3gpuE0ELNS1_3repE0EEENS1_30default_config_static_selectorELNS0_4arch9wavefront6targetE1EEEvT1_.kd
    .uniform_work_group_size: 1
    .uses_dynamic_stack: false
    .vgpr_count:     0
    .vgpr_spill_count: 0
    .wavefront_size: 64
  - .agpr_count:     0
    .args:
      - .offset:         0
        .size:           160
        .value_kind:     by_value
    .group_segment_fixed_size: 0
    .kernarg_segment_align: 8
    .kernarg_segment_size: 160
    .language:       OpenCL C
    .language_version:
      - 2
      - 0
    .max_flat_workgroup_size: 256
    .name:           _ZN7rocprim17ROCPRIM_400000_NS6detail17trampoline_kernelINS0_14default_configENS1_27scan_by_key_config_selectorIj11FixedVectorIiLj8EEEEZZNS1_16scan_by_key_implILNS1_25lookback_scan_determinismE0ELb0ES3_N6thrust23THRUST_200600_302600_NS6detail15normal_iteratorINSB_10device_ptrIjEEEENSD_INSE_IS6_EEEESI_S6_NSB_4plusIvEENSB_8equal_toIvEES6_EE10hipError_tPvRmT2_T3_T4_T5_mT6_T7_P12ihipStream_tbENKUlT_T0_E_clISt17integral_constantIbLb1EES13_EEDaSY_SZ_EUlSY_E_NS1_11comp_targetILNS1_3genE10ELNS1_11target_archE1201ELNS1_3gpuE5ELNS1_3repE0EEENS1_30default_config_static_selectorELNS0_4arch9wavefront6targetE1EEEvT1_
    .private_segment_fixed_size: 0
    .sgpr_count:     6
    .sgpr_spill_count: 0
    .symbol:         _ZN7rocprim17ROCPRIM_400000_NS6detail17trampoline_kernelINS0_14default_configENS1_27scan_by_key_config_selectorIj11FixedVectorIiLj8EEEEZZNS1_16scan_by_key_implILNS1_25lookback_scan_determinismE0ELb0ES3_N6thrust23THRUST_200600_302600_NS6detail15normal_iteratorINSB_10device_ptrIjEEEENSD_INSE_IS6_EEEESI_S6_NSB_4plusIvEENSB_8equal_toIvEES6_EE10hipError_tPvRmT2_T3_T4_T5_mT6_T7_P12ihipStream_tbENKUlT_T0_E_clISt17integral_constantIbLb1EES13_EEDaSY_SZ_EUlSY_E_NS1_11comp_targetILNS1_3genE10ELNS1_11target_archE1201ELNS1_3gpuE5ELNS1_3repE0EEENS1_30default_config_static_selectorELNS0_4arch9wavefront6targetE1EEEvT1_.kd
    .uniform_work_group_size: 1
    .uses_dynamic_stack: false
    .vgpr_count:     0
    .vgpr_spill_count: 0
    .wavefront_size: 64
  - .agpr_count:     0
    .args:
      - .offset:         0
        .size:           160
        .value_kind:     by_value
    .group_segment_fixed_size: 32768
    .kernarg_segment_align: 8
    .kernarg_segment_size: 160
    .language:       OpenCL C
    .language_version:
      - 2
      - 0
    .max_flat_workgroup_size: 256
    .name:           _ZN7rocprim17ROCPRIM_400000_NS6detail17trampoline_kernelINS0_14default_configENS1_27scan_by_key_config_selectorIj11FixedVectorIiLj8EEEEZZNS1_16scan_by_key_implILNS1_25lookback_scan_determinismE0ELb0ES3_N6thrust23THRUST_200600_302600_NS6detail15normal_iteratorINSB_10device_ptrIjEEEENSD_INSE_IS6_EEEESI_S6_NSB_4plusIvEENSB_8equal_toIvEES6_EE10hipError_tPvRmT2_T3_T4_T5_mT6_T7_P12ihipStream_tbENKUlT_T0_E_clISt17integral_constantIbLb1EES13_EEDaSY_SZ_EUlSY_E_NS1_11comp_targetILNS1_3genE5ELNS1_11target_archE942ELNS1_3gpuE9ELNS1_3repE0EEENS1_30default_config_static_selectorELNS0_4arch9wavefront6targetE1EEEvT1_
    .private_segment_fixed_size: 400
    .sgpr_count:     59
    .sgpr_spill_count: 0
    .symbol:         _ZN7rocprim17ROCPRIM_400000_NS6detail17trampoline_kernelINS0_14default_configENS1_27scan_by_key_config_selectorIj11FixedVectorIiLj8EEEEZZNS1_16scan_by_key_implILNS1_25lookback_scan_determinismE0ELb0ES3_N6thrust23THRUST_200600_302600_NS6detail15normal_iteratorINSB_10device_ptrIjEEEENSD_INSE_IS6_EEEESI_S6_NSB_4plusIvEENSB_8equal_toIvEES6_EE10hipError_tPvRmT2_T3_T4_T5_mT6_T7_P12ihipStream_tbENKUlT_T0_E_clISt17integral_constantIbLb1EES13_EEDaSY_SZ_EUlSY_E_NS1_11comp_targetILNS1_3genE5ELNS1_11target_archE942ELNS1_3gpuE9ELNS1_3repE0EEENS1_30default_config_static_selectorELNS0_4arch9wavefront6targetE1EEEvT1_.kd
    .uniform_work_group_size: 1
    .uses_dynamic_stack: false
    .vgpr_count:     40
    .vgpr_spill_count: 0
    .wavefront_size: 64
  - .agpr_count:     0
    .args:
      - .offset:         0
        .size:           160
        .value_kind:     by_value
    .group_segment_fixed_size: 0
    .kernarg_segment_align: 8
    .kernarg_segment_size: 160
    .language:       OpenCL C
    .language_version:
      - 2
      - 0
    .max_flat_workgroup_size: 256
    .name:           _ZN7rocprim17ROCPRIM_400000_NS6detail17trampoline_kernelINS0_14default_configENS1_27scan_by_key_config_selectorIj11FixedVectorIiLj8EEEEZZNS1_16scan_by_key_implILNS1_25lookback_scan_determinismE0ELb0ES3_N6thrust23THRUST_200600_302600_NS6detail15normal_iteratorINSB_10device_ptrIjEEEENSD_INSE_IS6_EEEESI_S6_NSB_4plusIvEENSB_8equal_toIvEES6_EE10hipError_tPvRmT2_T3_T4_T5_mT6_T7_P12ihipStream_tbENKUlT_T0_E_clISt17integral_constantIbLb1EES13_EEDaSY_SZ_EUlSY_E_NS1_11comp_targetILNS1_3genE4ELNS1_11target_archE910ELNS1_3gpuE8ELNS1_3repE0EEENS1_30default_config_static_selectorELNS0_4arch9wavefront6targetE1EEEvT1_
    .private_segment_fixed_size: 0
    .sgpr_count:     6
    .sgpr_spill_count: 0
    .symbol:         _ZN7rocprim17ROCPRIM_400000_NS6detail17trampoline_kernelINS0_14default_configENS1_27scan_by_key_config_selectorIj11FixedVectorIiLj8EEEEZZNS1_16scan_by_key_implILNS1_25lookback_scan_determinismE0ELb0ES3_N6thrust23THRUST_200600_302600_NS6detail15normal_iteratorINSB_10device_ptrIjEEEENSD_INSE_IS6_EEEESI_S6_NSB_4plusIvEENSB_8equal_toIvEES6_EE10hipError_tPvRmT2_T3_T4_T5_mT6_T7_P12ihipStream_tbENKUlT_T0_E_clISt17integral_constantIbLb1EES13_EEDaSY_SZ_EUlSY_E_NS1_11comp_targetILNS1_3genE4ELNS1_11target_archE910ELNS1_3gpuE8ELNS1_3repE0EEENS1_30default_config_static_selectorELNS0_4arch9wavefront6targetE1EEEvT1_.kd
    .uniform_work_group_size: 1
    .uses_dynamic_stack: false
    .vgpr_count:     0
    .vgpr_spill_count: 0
    .wavefront_size: 64
  - .agpr_count:     0
    .args:
      - .offset:         0
        .size:           160
        .value_kind:     by_value
    .group_segment_fixed_size: 0
    .kernarg_segment_align: 8
    .kernarg_segment_size: 160
    .language:       OpenCL C
    .language_version:
      - 2
      - 0
    .max_flat_workgroup_size: 256
    .name:           _ZN7rocprim17ROCPRIM_400000_NS6detail17trampoline_kernelINS0_14default_configENS1_27scan_by_key_config_selectorIj11FixedVectorIiLj8EEEEZZNS1_16scan_by_key_implILNS1_25lookback_scan_determinismE0ELb0ES3_N6thrust23THRUST_200600_302600_NS6detail15normal_iteratorINSB_10device_ptrIjEEEENSD_INSE_IS6_EEEESI_S6_NSB_4plusIvEENSB_8equal_toIvEES6_EE10hipError_tPvRmT2_T3_T4_T5_mT6_T7_P12ihipStream_tbENKUlT_T0_E_clISt17integral_constantIbLb1EES13_EEDaSY_SZ_EUlSY_E_NS1_11comp_targetILNS1_3genE3ELNS1_11target_archE908ELNS1_3gpuE7ELNS1_3repE0EEENS1_30default_config_static_selectorELNS0_4arch9wavefront6targetE1EEEvT1_
    .private_segment_fixed_size: 0
    .sgpr_count:     6
    .sgpr_spill_count: 0
    .symbol:         _ZN7rocprim17ROCPRIM_400000_NS6detail17trampoline_kernelINS0_14default_configENS1_27scan_by_key_config_selectorIj11FixedVectorIiLj8EEEEZZNS1_16scan_by_key_implILNS1_25lookback_scan_determinismE0ELb0ES3_N6thrust23THRUST_200600_302600_NS6detail15normal_iteratorINSB_10device_ptrIjEEEENSD_INSE_IS6_EEEESI_S6_NSB_4plusIvEENSB_8equal_toIvEES6_EE10hipError_tPvRmT2_T3_T4_T5_mT6_T7_P12ihipStream_tbENKUlT_T0_E_clISt17integral_constantIbLb1EES13_EEDaSY_SZ_EUlSY_E_NS1_11comp_targetILNS1_3genE3ELNS1_11target_archE908ELNS1_3gpuE7ELNS1_3repE0EEENS1_30default_config_static_selectorELNS0_4arch9wavefront6targetE1EEEvT1_.kd
    .uniform_work_group_size: 1
    .uses_dynamic_stack: false
    .vgpr_count:     0
    .vgpr_spill_count: 0
    .wavefront_size: 64
  - .agpr_count:     0
    .args:
      - .offset:         0
        .size:           160
        .value_kind:     by_value
    .group_segment_fixed_size: 0
    .kernarg_segment_align: 8
    .kernarg_segment_size: 160
    .language:       OpenCL C
    .language_version:
      - 2
      - 0
    .max_flat_workgroup_size: 256
    .name:           _ZN7rocprim17ROCPRIM_400000_NS6detail17trampoline_kernelINS0_14default_configENS1_27scan_by_key_config_selectorIj11FixedVectorIiLj8EEEEZZNS1_16scan_by_key_implILNS1_25lookback_scan_determinismE0ELb0ES3_N6thrust23THRUST_200600_302600_NS6detail15normal_iteratorINSB_10device_ptrIjEEEENSD_INSE_IS6_EEEESI_S6_NSB_4plusIvEENSB_8equal_toIvEES6_EE10hipError_tPvRmT2_T3_T4_T5_mT6_T7_P12ihipStream_tbENKUlT_T0_E_clISt17integral_constantIbLb1EES13_EEDaSY_SZ_EUlSY_E_NS1_11comp_targetILNS1_3genE2ELNS1_11target_archE906ELNS1_3gpuE6ELNS1_3repE0EEENS1_30default_config_static_selectorELNS0_4arch9wavefront6targetE1EEEvT1_
    .private_segment_fixed_size: 0
    .sgpr_count:     6
    .sgpr_spill_count: 0
    .symbol:         _ZN7rocprim17ROCPRIM_400000_NS6detail17trampoline_kernelINS0_14default_configENS1_27scan_by_key_config_selectorIj11FixedVectorIiLj8EEEEZZNS1_16scan_by_key_implILNS1_25lookback_scan_determinismE0ELb0ES3_N6thrust23THRUST_200600_302600_NS6detail15normal_iteratorINSB_10device_ptrIjEEEENSD_INSE_IS6_EEEESI_S6_NSB_4plusIvEENSB_8equal_toIvEES6_EE10hipError_tPvRmT2_T3_T4_T5_mT6_T7_P12ihipStream_tbENKUlT_T0_E_clISt17integral_constantIbLb1EES13_EEDaSY_SZ_EUlSY_E_NS1_11comp_targetILNS1_3genE2ELNS1_11target_archE906ELNS1_3gpuE6ELNS1_3repE0EEENS1_30default_config_static_selectorELNS0_4arch9wavefront6targetE1EEEvT1_.kd
    .uniform_work_group_size: 1
    .uses_dynamic_stack: false
    .vgpr_count:     0
    .vgpr_spill_count: 0
    .wavefront_size: 64
  - .agpr_count:     0
    .args:
      - .offset:         0
        .size:           160
        .value_kind:     by_value
    .group_segment_fixed_size: 0
    .kernarg_segment_align: 8
    .kernarg_segment_size: 160
    .language:       OpenCL C
    .language_version:
      - 2
      - 0
    .max_flat_workgroup_size: 256
    .name:           _ZN7rocprim17ROCPRIM_400000_NS6detail17trampoline_kernelINS0_14default_configENS1_27scan_by_key_config_selectorIj11FixedVectorIiLj8EEEEZZNS1_16scan_by_key_implILNS1_25lookback_scan_determinismE0ELb0ES3_N6thrust23THRUST_200600_302600_NS6detail15normal_iteratorINSB_10device_ptrIjEEEENSD_INSE_IS6_EEEESI_S6_NSB_4plusIvEENSB_8equal_toIvEES6_EE10hipError_tPvRmT2_T3_T4_T5_mT6_T7_P12ihipStream_tbENKUlT_T0_E_clISt17integral_constantIbLb1EES13_EEDaSY_SZ_EUlSY_E_NS1_11comp_targetILNS1_3genE10ELNS1_11target_archE1200ELNS1_3gpuE4ELNS1_3repE0EEENS1_30default_config_static_selectorELNS0_4arch9wavefront6targetE1EEEvT1_
    .private_segment_fixed_size: 0
    .sgpr_count:     6
    .sgpr_spill_count: 0
    .symbol:         _ZN7rocprim17ROCPRIM_400000_NS6detail17trampoline_kernelINS0_14default_configENS1_27scan_by_key_config_selectorIj11FixedVectorIiLj8EEEEZZNS1_16scan_by_key_implILNS1_25lookback_scan_determinismE0ELb0ES3_N6thrust23THRUST_200600_302600_NS6detail15normal_iteratorINSB_10device_ptrIjEEEENSD_INSE_IS6_EEEESI_S6_NSB_4plusIvEENSB_8equal_toIvEES6_EE10hipError_tPvRmT2_T3_T4_T5_mT6_T7_P12ihipStream_tbENKUlT_T0_E_clISt17integral_constantIbLb1EES13_EEDaSY_SZ_EUlSY_E_NS1_11comp_targetILNS1_3genE10ELNS1_11target_archE1200ELNS1_3gpuE4ELNS1_3repE0EEENS1_30default_config_static_selectorELNS0_4arch9wavefront6targetE1EEEvT1_.kd
    .uniform_work_group_size: 1
    .uses_dynamic_stack: false
    .vgpr_count:     0
    .vgpr_spill_count: 0
    .wavefront_size: 64
  - .agpr_count:     0
    .args:
      - .offset:         0
        .size:           160
        .value_kind:     by_value
    .group_segment_fixed_size: 0
    .kernarg_segment_align: 8
    .kernarg_segment_size: 160
    .language:       OpenCL C
    .language_version:
      - 2
      - 0
    .max_flat_workgroup_size: 256
    .name:           _ZN7rocprim17ROCPRIM_400000_NS6detail17trampoline_kernelINS0_14default_configENS1_27scan_by_key_config_selectorIj11FixedVectorIiLj8EEEEZZNS1_16scan_by_key_implILNS1_25lookback_scan_determinismE0ELb0ES3_N6thrust23THRUST_200600_302600_NS6detail15normal_iteratorINSB_10device_ptrIjEEEENSD_INSE_IS6_EEEESI_S6_NSB_4plusIvEENSB_8equal_toIvEES6_EE10hipError_tPvRmT2_T3_T4_T5_mT6_T7_P12ihipStream_tbENKUlT_T0_E_clISt17integral_constantIbLb1EES13_EEDaSY_SZ_EUlSY_E_NS1_11comp_targetILNS1_3genE9ELNS1_11target_archE1100ELNS1_3gpuE3ELNS1_3repE0EEENS1_30default_config_static_selectorELNS0_4arch9wavefront6targetE1EEEvT1_
    .private_segment_fixed_size: 0
    .sgpr_count:     6
    .sgpr_spill_count: 0
    .symbol:         _ZN7rocprim17ROCPRIM_400000_NS6detail17trampoline_kernelINS0_14default_configENS1_27scan_by_key_config_selectorIj11FixedVectorIiLj8EEEEZZNS1_16scan_by_key_implILNS1_25lookback_scan_determinismE0ELb0ES3_N6thrust23THRUST_200600_302600_NS6detail15normal_iteratorINSB_10device_ptrIjEEEENSD_INSE_IS6_EEEESI_S6_NSB_4plusIvEENSB_8equal_toIvEES6_EE10hipError_tPvRmT2_T3_T4_T5_mT6_T7_P12ihipStream_tbENKUlT_T0_E_clISt17integral_constantIbLb1EES13_EEDaSY_SZ_EUlSY_E_NS1_11comp_targetILNS1_3genE9ELNS1_11target_archE1100ELNS1_3gpuE3ELNS1_3repE0EEENS1_30default_config_static_selectorELNS0_4arch9wavefront6targetE1EEEvT1_.kd
    .uniform_work_group_size: 1
    .uses_dynamic_stack: false
    .vgpr_count:     0
    .vgpr_spill_count: 0
    .wavefront_size: 64
  - .agpr_count:     0
    .args:
      - .offset:         0
        .size:           160
        .value_kind:     by_value
    .group_segment_fixed_size: 0
    .kernarg_segment_align: 8
    .kernarg_segment_size: 160
    .language:       OpenCL C
    .language_version:
      - 2
      - 0
    .max_flat_workgroup_size: 256
    .name:           _ZN7rocprim17ROCPRIM_400000_NS6detail17trampoline_kernelINS0_14default_configENS1_27scan_by_key_config_selectorIj11FixedVectorIiLj8EEEEZZNS1_16scan_by_key_implILNS1_25lookback_scan_determinismE0ELb0ES3_N6thrust23THRUST_200600_302600_NS6detail15normal_iteratorINSB_10device_ptrIjEEEENSD_INSE_IS6_EEEESI_S6_NSB_4plusIvEENSB_8equal_toIvEES6_EE10hipError_tPvRmT2_T3_T4_T5_mT6_T7_P12ihipStream_tbENKUlT_T0_E_clISt17integral_constantIbLb1EES13_EEDaSY_SZ_EUlSY_E_NS1_11comp_targetILNS1_3genE8ELNS1_11target_archE1030ELNS1_3gpuE2ELNS1_3repE0EEENS1_30default_config_static_selectorELNS0_4arch9wavefront6targetE1EEEvT1_
    .private_segment_fixed_size: 0
    .sgpr_count:     6
    .sgpr_spill_count: 0
    .symbol:         _ZN7rocprim17ROCPRIM_400000_NS6detail17trampoline_kernelINS0_14default_configENS1_27scan_by_key_config_selectorIj11FixedVectorIiLj8EEEEZZNS1_16scan_by_key_implILNS1_25lookback_scan_determinismE0ELb0ES3_N6thrust23THRUST_200600_302600_NS6detail15normal_iteratorINSB_10device_ptrIjEEEENSD_INSE_IS6_EEEESI_S6_NSB_4plusIvEENSB_8equal_toIvEES6_EE10hipError_tPvRmT2_T3_T4_T5_mT6_T7_P12ihipStream_tbENKUlT_T0_E_clISt17integral_constantIbLb1EES13_EEDaSY_SZ_EUlSY_E_NS1_11comp_targetILNS1_3genE8ELNS1_11target_archE1030ELNS1_3gpuE2ELNS1_3repE0EEENS1_30default_config_static_selectorELNS0_4arch9wavefront6targetE1EEEvT1_.kd
    .uniform_work_group_size: 1
    .uses_dynamic_stack: false
    .vgpr_count:     0
    .vgpr_spill_count: 0
    .wavefront_size: 64
  - .agpr_count:     0
    .args:
      - .offset:         0
        .size:           24
        .value_kind:     by_value
      - .offset:         24
        .size:           4
        .value_kind:     by_value
      - .offset:         28
        .size:           4
        .value_kind:     by_value
      - .address_space:  global
        .offset:         32
        .size:           8
        .value_kind:     global_buffer
      - .address_space:  global
        .offset:         40
        .size:           8
        .value_kind:     global_buffer
      - .actual_access:  write_only
        .address_space:  global
        .offset:         48
        .size:           8
        .value_kind:     global_buffer
      - .offset:         56
        .size:           8
        .value_kind:     by_value
      - .offset:         64
        .size:           4
        .value_kind:     by_value
      - .offset:         68
        .size:           1
        .value_kind:     by_value
      - .offset:         72
        .size:           4
        .value_kind:     hidden_block_count_x
      - .offset:         76
        .size:           4
        .value_kind:     hidden_block_count_y
      - .offset:         80
        .size:           4
        .value_kind:     hidden_block_count_z
      - .offset:         84
        .size:           2
        .value_kind:     hidden_group_size_x
      - .offset:         86
        .size:           2
        .value_kind:     hidden_group_size_y
      - .offset:         88
        .size:           2
        .value_kind:     hidden_group_size_z
      - .offset:         90
        .size:           2
        .value_kind:     hidden_remainder_x
      - .offset:         92
        .size:           2
        .value_kind:     hidden_remainder_y
      - .offset:         94
        .size:           2
        .value_kind:     hidden_remainder_z
      - .offset:         112
        .size:           8
        .value_kind:     hidden_global_offset_x
      - .offset:         120
        .size:           8
        .value_kind:     hidden_global_offset_y
      - .offset:         128
        .size:           8
        .value_kind:     hidden_global_offset_z
      - .offset:         136
        .size:           2
        .value_kind:     hidden_grid_dims
    .group_segment_fixed_size: 0
    .kernarg_segment_align: 8
    .kernarg_segment_size: 328
    .language:       OpenCL C
    .language_version:
      - 2
      - 0
    .max_flat_workgroup_size: 256
    .name:           _ZN7rocprim17ROCPRIM_400000_NS6detail30init_device_scan_by_key_kernelINS1_19lookback_scan_stateINS0_5tupleIJ11FixedVectorIiLj8EEbEEELb1ELb0EEEN6thrust23THRUST_200600_302600_NS6detail15normal_iteratorINSA_10device_ptrIjEEEEjNS1_16block_id_wrapperIjLb0EEEEEvT_jjPNSI_10value_typeET0_PNSt15iterator_traitsISL_E10value_typeEmT1_T2_
    .private_segment_fixed_size: 0
    .sgpr_count:     30
    .sgpr_spill_count: 0
    .symbol:         _ZN7rocprim17ROCPRIM_400000_NS6detail30init_device_scan_by_key_kernelINS1_19lookback_scan_stateINS0_5tupleIJ11FixedVectorIiLj8EEbEEELb1ELb0EEEN6thrust23THRUST_200600_302600_NS6detail15normal_iteratorINSA_10device_ptrIjEEEEjNS1_16block_id_wrapperIjLb0EEEEEvT_jjPNSI_10value_typeET0_PNSt15iterator_traitsISL_E10value_typeEmT1_T2_.kd
    .uniform_work_group_size: 1
    .uses_dynamic_stack: false
    .vgpr_count:     11
    .vgpr_spill_count: 0
    .wavefront_size: 64
  - .agpr_count:     0
    .args:
      - .offset:         0
        .size:           24
        .value_kind:     by_value
      - .offset:         24
        .size:           4
        .value_kind:     by_value
      - .offset:         28
        .size:           4
        .value_kind:     by_value
      - .address_space:  global
        .offset:         32
        .size:           8
        .value_kind:     global_buffer
      - .offset:         40
        .size:           1
        .value_kind:     by_value
      - .offset:         48
        .size:           4
        .value_kind:     hidden_block_count_x
      - .offset:         52
        .size:           4
        .value_kind:     hidden_block_count_y
      - .offset:         56
        .size:           4
        .value_kind:     hidden_block_count_z
      - .offset:         60
        .size:           2
        .value_kind:     hidden_group_size_x
      - .offset:         62
        .size:           2
        .value_kind:     hidden_group_size_y
      - .offset:         64
        .size:           2
        .value_kind:     hidden_group_size_z
      - .offset:         66
        .size:           2
        .value_kind:     hidden_remainder_x
      - .offset:         68
        .size:           2
        .value_kind:     hidden_remainder_y
      - .offset:         70
        .size:           2
        .value_kind:     hidden_remainder_z
      - .offset:         88
        .size:           8
        .value_kind:     hidden_global_offset_x
      - .offset:         96
        .size:           8
        .value_kind:     hidden_global_offset_y
      - .offset:         104
        .size:           8
        .value_kind:     hidden_global_offset_z
      - .offset:         112
        .size:           2
        .value_kind:     hidden_grid_dims
    .group_segment_fixed_size: 0
    .kernarg_segment_align: 8
    .kernarg_segment_size: 304
    .language:       OpenCL C
    .language_version:
      - 2
      - 0
    .max_flat_workgroup_size: 256
    .name:           _ZN7rocprim17ROCPRIM_400000_NS6detail30init_device_scan_by_key_kernelINS1_19lookback_scan_stateINS0_5tupleIJ11FixedVectorIiLj8EEbEEELb1ELb0EEENS1_16block_id_wrapperIjLb0EEEEEvT_jjPNSB_10value_typeET0_
    .private_segment_fixed_size: 0
    .sgpr_count:     24
    .sgpr_spill_count: 0
    .symbol:         _ZN7rocprim17ROCPRIM_400000_NS6detail30init_device_scan_by_key_kernelINS1_19lookback_scan_stateINS0_5tupleIJ11FixedVectorIiLj8EEbEEELb1ELb0EEENS1_16block_id_wrapperIjLb0EEEEEvT_jjPNSB_10value_typeET0_.kd
    .uniform_work_group_size: 1
    .uses_dynamic_stack: false
    .vgpr_count:     11
    .vgpr_spill_count: 0
    .wavefront_size: 64
  - .agpr_count:     0
    .args:
      - .offset:         0
        .size:           160
        .value_kind:     by_value
    .group_segment_fixed_size: 0
    .kernarg_segment_align: 8
    .kernarg_segment_size: 160
    .language:       OpenCL C
    .language_version:
      - 2
      - 0
    .max_flat_workgroup_size: 256
    .name:           _ZN7rocprim17ROCPRIM_400000_NS6detail17trampoline_kernelINS0_14default_configENS1_27scan_by_key_config_selectorIj11FixedVectorIiLj8EEEEZZNS1_16scan_by_key_implILNS1_25lookback_scan_determinismE0ELb0ES3_N6thrust23THRUST_200600_302600_NS6detail15normal_iteratorINSB_10device_ptrIjEEEENSD_INSE_IS6_EEEESI_S6_NSB_4plusIvEENSB_8equal_toIvEES6_EE10hipError_tPvRmT2_T3_T4_T5_mT6_T7_P12ihipStream_tbENKUlT_T0_E_clISt17integral_constantIbLb1EES12_IbLb0EEEEDaSY_SZ_EUlSY_E_NS1_11comp_targetILNS1_3genE0ELNS1_11target_archE4294967295ELNS1_3gpuE0ELNS1_3repE0EEENS1_30default_config_static_selectorELNS0_4arch9wavefront6targetE1EEEvT1_
    .private_segment_fixed_size: 0
    .sgpr_count:     6
    .sgpr_spill_count: 0
    .symbol:         _ZN7rocprim17ROCPRIM_400000_NS6detail17trampoline_kernelINS0_14default_configENS1_27scan_by_key_config_selectorIj11FixedVectorIiLj8EEEEZZNS1_16scan_by_key_implILNS1_25lookback_scan_determinismE0ELb0ES3_N6thrust23THRUST_200600_302600_NS6detail15normal_iteratorINSB_10device_ptrIjEEEENSD_INSE_IS6_EEEESI_S6_NSB_4plusIvEENSB_8equal_toIvEES6_EE10hipError_tPvRmT2_T3_T4_T5_mT6_T7_P12ihipStream_tbENKUlT_T0_E_clISt17integral_constantIbLb1EES12_IbLb0EEEEDaSY_SZ_EUlSY_E_NS1_11comp_targetILNS1_3genE0ELNS1_11target_archE4294967295ELNS1_3gpuE0ELNS1_3repE0EEENS1_30default_config_static_selectorELNS0_4arch9wavefront6targetE1EEEvT1_.kd
    .uniform_work_group_size: 1
    .uses_dynamic_stack: false
    .vgpr_count:     0
    .vgpr_spill_count: 0
    .wavefront_size: 64
  - .agpr_count:     0
    .args:
      - .offset:         0
        .size:           160
        .value_kind:     by_value
    .group_segment_fixed_size: 0
    .kernarg_segment_align: 8
    .kernarg_segment_size: 160
    .language:       OpenCL C
    .language_version:
      - 2
      - 0
    .max_flat_workgroup_size: 256
    .name:           _ZN7rocprim17ROCPRIM_400000_NS6detail17trampoline_kernelINS0_14default_configENS1_27scan_by_key_config_selectorIj11FixedVectorIiLj8EEEEZZNS1_16scan_by_key_implILNS1_25lookback_scan_determinismE0ELb0ES3_N6thrust23THRUST_200600_302600_NS6detail15normal_iteratorINSB_10device_ptrIjEEEENSD_INSE_IS6_EEEESI_S6_NSB_4plusIvEENSB_8equal_toIvEES6_EE10hipError_tPvRmT2_T3_T4_T5_mT6_T7_P12ihipStream_tbENKUlT_T0_E_clISt17integral_constantIbLb1EES12_IbLb0EEEEDaSY_SZ_EUlSY_E_NS1_11comp_targetILNS1_3genE10ELNS1_11target_archE1201ELNS1_3gpuE5ELNS1_3repE0EEENS1_30default_config_static_selectorELNS0_4arch9wavefront6targetE1EEEvT1_
    .private_segment_fixed_size: 0
    .sgpr_count:     6
    .sgpr_spill_count: 0
    .symbol:         _ZN7rocprim17ROCPRIM_400000_NS6detail17trampoline_kernelINS0_14default_configENS1_27scan_by_key_config_selectorIj11FixedVectorIiLj8EEEEZZNS1_16scan_by_key_implILNS1_25lookback_scan_determinismE0ELb0ES3_N6thrust23THRUST_200600_302600_NS6detail15normal_iteratorINSB_10device_ptrIjEEEENSD_INSE_IS6_EEEESI_S6_NSB_4plusIvEENSB_8equal_toIvEES6_EE10hipError_tPvRmT2_T3_T4_T5_mT6_T7_P12ihipStream_tbENKUlT_T0_E_clISt17integral_constantIbLb1EES12_IbLb0EEEEDaSY_SZ_EUlSY_E_NS1_11comp_targetILNS1_3genE10ELNS1_11target_archE1201ELNS1_3gpuE5ELNS1_3repE0EEENS1_30default_config_static_selectorELNS0_4arch9wavefront6targetE1EEEvT1_.kd
    .uniform_work_group_size: 1
    .uses_dynamic_stack: false
    .vgpr_count:     0
    .vgpr_spill_count: 0
    .wavefront_size: 64
  - .agpr_count:     0
    .args:
      - .offset:         0
        .size:           160
        .value_kind:     by_value
    .group_segment_fixed_size: 32768
    .kernarg_segment_align: 8
    .kernarg_segment_size: 160
    .language:       OpenCL C
    .language_version:
      - 2
      - 0
    .max_flat_workgroup_size: 256
    .name:           _ZN7rocprim17ROCPRIM_400000_NS6detail17trampoline_kernelINS0_14default_configENS1_27scan_by_key_config_selectorIj11FixedVectorIiLj8EEEEZZNS1_16scan_by_key_implILNS1_25lookback_scan_determinismE0ELb0ES3_N6thrust23THRUST_200600_302600_NS6detail15normal_iteratorINSB_10device_ptrIjEEEENSD_INSE_IS6_EEEESI_S6_NSB_4plusIvEENSB_8equal_toIvEES6_EE10hipError_tPvRmT2_T3_T4_T5_mT6_T7_P12ihipStream_tbENKUlT_T0_E_clISt17integral_constantIbLb1EES12_IbLb0EEEEDaSY_SZ_EUlSY_E_NS1_11comp_targetILNS1_3genE5ELNS1_11target_archE942ELNS1_3gpuE9ELNS1_3repE0EEENS1_30default_config_static_selectorELNS0_4arch9wavefront6targetE1EEEvT1_
    .private_segment_fixed_size: 400
    .sgpr_count:     55
    .sgpr_spill_count: 0
    .symbol:         _ZN7rocprim17ROCPRIM_400000_NS6detail17trampoline_kernelINS0_14default_configENS1_27scan_by_key_config_selectorIj11FixedVectorIiLj8EEEEZZNS1_16scan_by_key_implILNS1_25lookback_scan_determinismE0ELb0ES3_N6thrust23THRUST_200600_302600_NS6detail15normal_iteratorINSB_10device_ptrIjEEEENSD_INSE_IS6_EEEESI_S6_NSB_4plusIvEENSB_8equal_toIvEES6_EE10hipError_tPvRmT2_T3_T4_T5_mT6_T7_P12ihipStream_tbENKUlT_T0_E_clISt17integral_constantIbLb1EES12_IbLb0EEEEDaSY_SZ_EUlSY_E_NS1_11comp_targetILNS1_3genE5ELNS1_11target_archE942ELNS1_3gpuE9ELNS1_3repE0EEENS1_30default_config_static_selectorELNS0_4arch9wavefront6targetE1EEEvT1_.kd
    .uniform_work_group_size: 1
    .uses_dynamic_stack: false
    .vgpr_count:     40
    .vgpr_spill_count: 0
    .wavefront_size: 64
  - .agpr_count:     0
    .args:
      - .offset:         0
        .size:           160
        .value_kind:     by_value
    .group_segment_fixed_size: 0
    .kernarg_segment_align: 8
    .kernarg_segment_size: 160
    .language:       OpenCL C
    .language_version:
      - 2
      - 0
    .max_flat_workgroup_size: 256
    .name:           _ZN7rocprim17ROCPRIM_400000_NS6detail17trampoline_kernelINS0_14default_configENS1_27scan_by_key_config_selectorIj11FixedVectorIiLj8EEEEZZNS1_16scan_by_key_implILNS1_25lookback_scan_determinismE0ELb0ES3_N6thrust23THRUST_200600_302600_NS6detail15normal_iteratorINSB_10device_ptrIjEEEENSD_INSE_IS6_EEEESI_S6_NSB_4plusIvEENSB_8equal_toIvEES6_EE10hipError_tPvRmT2_T3_T4_T5_mT6_T7_P12ihipStream_tbENKUlT_T0_E_clISt17integral_constantIbLb1EES12_IbLb0EEEEDaSY_SZ_EUlSY_E_NS1_11comp_targetILNS1_3genE4ELNS1_11target_archE910ELNS1_3gpuE8ELNS1_3repE0EEENS1_30default_config_static_selectorELNS0_4arch9wavefront6targetE1EEEvT1_
    .private_segment_fixed_size: 0
    .sgpr_count:     6
    .sgpr_spill_count: 0
    .symbol:         _ZN7rocprim17ROCPRIM_400000_NS6detail17trampoline_kernelINS0_14default_configENS1_27scan_by_key_config_selectorIj11FixedVectorIiLj8EEEEZZNS1_16scan_by_key_implILNS1_25lookback_scan_determinismE0ELb0ES3_N6thrust23THRUST_200600_302600_NS6detail15normal_iteratorINSB_10device_ptrIjEEEENSD_INSE_IS6_EEEESI_S6_NSB_4plusIvEENSB_8equal_toIvEES6_EE10hipError_tPvRmT2_T3_T4_T5_mT6_T7_P12ihipStream_tbENKUlT_T0_E_clISt17integral_constantIbLb1EES12_IbLb0EEEEDaSY_SZ_EUlSY_E_NS1_11comp_targetILNS1_3genE4ELNS1_11target_archE910ELNS1_3gpuE8ELNS1_3repE0EEENS1_30default_config_static_selectorELNS0_4arch9wavefront6targetE1EEEvT1_.kd
    .uniform_work_group_size: 1
    .uses_dynamic_stack: false
    .vgpr_count:     0
    .vgpr_spill_count: 0
    .wavefront_size: 64
  - .agpr_count:     0
    .args:
      - .offset:         0
        .size:           160
        .value_kind:     by_value
    .group_segment_fixed_size: 0
    .kernarg_segment_align: 8
    .kernarg_segment_size: 160
    .language:       OpenCL C
    .language_version:
      - 2
      - 0
    .max_flat_workgroup_size: 256
    .name:           _ZN7rocprim17ROCPRIM_400000_NS6detail17trampoline_kernelINS0_14default_configENS1_27scan_by_key_config_selectorIj11FixedVectorIiLj8EEEEZZNS1_16scan_by_key_implILNS1_25lookback_scan_determinismE0ELb0ES3_N6thrust23THRUST_200600_302600_NS6detail15normal_iteratorINSB_10device_ptrIjEEEENSD_INSE_IS6_EEEESI_S6_NSB_4plusIvEENSB_8equal_toIvEES6_EE10hipError_tPvRmT2_T3_T4_T5_mT6_T7_P12ihipStream_tbENKUlT_T0_E_clISt17integral_constantIbLb1EES12_IbLb0EEEEDaSY_SZ_EUlSY_E_NS1_11comp_targetILNS1_3genE3ELNS1_11target_archE908ELNS1_3gpuE7ELNS1_3repE0EEENS1_30default_config_static_selectorELNS0_4arch9wavefront6targetE1EEEvT1_
    .private_segment_fixed_size: 0
    .sgpr_count:     6
    .sgpr_spill_count: 0
    .symbol:         _ZN7rocprim17ROCPRIM_400000_NS6detail17trampoline_kernelINS0_14default_configENS1_27scan_by_key_config_selectorIj11FixedVectorIiLj8EEEEZZNS1_16scan_by_key_implILNS1_25lookback_scan_determinismE0ELb0ES3_N6thrust23THRUST_200600_302600_NS6detail15normal_iteratorINSB_10device_ptrIjEEEENSD_INSE_IS6_EEEESI_S6_NSB_4plusIvEENSB_8equal_toIvEES6_EE10hipError_tPvRmT2_T3_T4_T5_mT6_T7_P12ihipStream_tbENKUlT_T0_E_clISt17integral_constantIbLb1EES12_IbLb0EEEEDaSY_SZ_EUlSY_E_NS1_11comp_targetILNS1_3genE3ELNS1_11target_archE908ELNS1_3gpuE7ELNS1_3repE0EEENS1_30default_config_static_selectorELNS0_4arch9wavefront6targetE1EEEvT1_.kd
    .uniform_work_group_size: 1
    .uses_dynamic_stack: false
    .vgpr_count:     0
    .vgpr_spill_count: 0
    .wavefront_size: 64
  - .agpr_count:     0
    .args:
      - .offset:         0
        .size:           160
        .value_kind:     by_value
    .group_segment_fixed_size: 0
    .kernarg_segment_align: 8
    .kernarg_segment_size: 160
    .language:       OpenCL C
    .language_version:
      - 2
      - 0
    .max_flat_workgroup_size: 256
    .name:           _ZN7rocprim17ROCPRIM_400000_NS6detail17trampoline_kernelINS0_14default_configENS1_27scan_by_key_config_selectorIj11FixedVectorIiLj8EEEEZZNS1_16scan_by_key_implILNS1_25lookback_scan_determinismE0ELb0ES3_N6thrust23THRUST_200600_302600_NS6detail15normal_iteratorINSB_10device_ptrIjEEEENSD_INSE_IS6_EEEESI_S6_NSB_4plusIvEENSB_8equal_toIvEES6_EE10hipError_tPvRmT2_T3_T4_T5_mT6_T7_P12ihipStream_tbENKUlT_T0_E_clISt17integral_constantIbLb1EES12_IbLb0EEEEDaSY_SZ_EUlSY_E_NS1_11comp_targetILNS1_3genE2ELNS1_11target_archE906ELNS1_3gpuE6ELNS1_3repE0EEENS1_30default_config_static_selectorELNS0_4arch9wavefront6targetE1EEEvT1_
    .private_segment_fixed_size: 0
    .sgpr_count:     6
    .sgpr_spill_count: 0
    .symbol:         _ZN7rocprim17ROCPRIM_400000_NS6detail17trampoline_kernelINS0_14default_configENS1_27scan_by_key_config_selectorIj11FixedVectorIiLj8EEEEZZNS1_16scan_by_key_implILNS1_25lookback_scan_determinismE0ELb0ES3_N6thrust23THRUST_200600_302600_NS6detail15normal_iteratorINSB_10device_ptrIjEEEENSD_INSE_IS6_EEEESI_S6_NSB_4plusIvEENSB_8equal_toIvEES6_EE10hipError_tPvRmT2_T3_T4_T5_mT6_T7_P12ihipStream_tbENKUlT_T0_E_clISt17integral_constantIbLb1EES12_IbLb0EEEEDaSY_SZ_EUlSY_E_NS1_11comp_targetILNS1_3genE2ELNS1_11target_archE906ELNS1_3gpuE6ELNS1_3repE0EEENS1_30default_config_static_selectorELNS0_4arch9wavefront6targetE1EEEvT1_.kd
    .uniform_work_group_size: 1
    .uses_dynamic_stack: false
    .vgpr_count:     0
    .vgpr_spill_count: 0
    .wavefront_size: 64
  - .agpr_count:     0
    .args:
      - .offset:         0
        .size:           160
        .value_kind:     by_value
    .group_segment_fixed_size: 0
    .kernarg_segment_align: 8
    .kernarg_segment_size: 160
    .language:       OpenCL C
    .language_version:
      - 2
      - 0
    .max_flat_workgroup_size: 256
    .name:           _ZN7rocprim17ROCPRIM_400000_NS6detail17trampoline_kernelINS0_14default_configENS1_27scan_by_key_config_selectorIj11FixedVectorIiLj8EEEEZZNS1_16scan_by_key_implILNS1_25lookback_scan_determinismE0ELb0ES3_N6thrust23THRUST_200600_302600_NS6detail15normal_iteratorINSB_10device_ptrIjEEEENSD_INSE_IS6_EEEESI_S6_NSB_4plusIvEENSB_8equal_toIvEES6_EE10hipError_tPvRmT2_T3_T4_T5_mT6_T7_P12ihipStream_tbENKUlT_T0_E_clISt17integral_constantIbLb1EES12_IbLb0EEEEDaSY_SZ_EUlSY_E_NS1_11comp_targetILNS1_3genE10ELNS1_11target_archE1200ELNS1_3gpuE4ELNS1_3repE0EEENS1_30default_config_static_selectorELNS0_4arch9wavefront6targetE1EEEvT1_
    .private_segment_fixed_size: 0
    .sgpr_count:     6
    .sgpr_spill_count: 0
    .symbol:         _ZN7rocprim17ROCPRIM_400000_NS6detail17trampoline_kernelINS0_14default_configENS1_27scan_by_key_config_selectorIj11FixedVectorIiLj8EEEEZZNS1_16scan_by_key_implILNS1_25lookback_scan_determinismE0ELb0ES3_N6thrust23THRUST_200600_302600_NS6detail15normal_iteratorINSB_10device_ptrIjEEEENSD_INSE_IS6_EEEESI_S6_NSB_4plusIvEENSB_8equal_toIvEES6_EE10hipError_tPvRmT2_T3_T4_T5_mT6_T7_P12ihipStream_tbENKUlT_T0_E_clISt17integral_constantIbLb1EES12_IbLb0EEEEDaSY_SZ_EUlSY_E_NS1_11comp_targetILNS1_3genE10ELNS1_11target_archE1200ELNS1_3gpuE4ELNS1_3repE0EEENS1_30default_config_static_selectorELNS0_4arch9wavefront6targetE1EEEvT1_.kd
    .uniform_work_group_size: 1
    .uses_dynamic_stack: false
    .vgpr_count:     0
    .vgpr_spill_count: 0
    .wavefront_size: 64
  - .agpr_count:     0
    .args:
      - .offset:         0
        .size:           160
        .value_kind:     by_value
    .group_segment_fixed_size: 0
    .kernarg_segment_align: 8
    .kernarg_segment_size: 160
    .language:       OpenCL C
    .language_version:
      - 2
      - 0
    .max_flat_workgroup_size: 256
    .name:           _ZN7rocprim17ROCPRIM_400000_NS6detail17trampoline_kernelINS0_14default_configENS1_27scan_by_key_config_selectorIj11FixedVectorIiLj8EEEEZZNS1_16scan_by_key_implILNS1_25lookback_scan_determinismE0ELb0ES3_N6thrust23THRUST_200600_302600_NS6detail15normal_iteratorINSB_10device_ptrIjEEEENSD_INSE_IS6_EEEESI_S6_NSB_4plusIvEENSB_8equal_toIvEES6_EE10hipError_tPvRmT2_T3_T4_T5_mT6_T7_P12ihipStream_tbENKUlT_T0_E_clISt17integral_constantIbLb1EES12_IbLb0EEEEDaSY_SZ_EUlSY_E_NS1_11comp_targetILNS1_3genE9ELNS1_11target_archE1100ELNS1_3gpuE3ELNS1_3repE0EEENS1_30default_config_static_selectorELNS0_4arch9wavefront6targetE1EEEvT1_
    .private_segment_fixed_size: 0
    .sgpr_count:     6
    .sgpr_spill_count: 0
    .symbol:         _ZN7rocprim17ROCPRIM_400000_NS6detail17trampoline_kernelINS0_14default_configENS1_27scan_by_key_config_selectorIj11FixedVectorIiLj8EEEEZZNS1_16scan_by_key_implILNS1_25lookback_scan_determinismE0ELb0ES3_N6thrust23THRUST_200600_302600_NS6detail15normal_iteratorINSB_10device_ptrIjEEEENSD_INSE_IS6_EEEESI_S6_NSB_4plusIvEENSB_8equal_toIvEES6_EE10hipError_tPvRmT2_T3_T4_T5_mT6_T7_P12ihipStream_tbENKUlT_T0_E_clISt17integral_constantIbLb1EES12_IbLb0EEEEDaSY_SZ_EUlSY_E_NS1_11comp_targetILNS1_3genE9ELNS1_11target_archE1100ELNS1_3gpuE3ELNS1_3repE0EEENS1_30default_config_static_selectorELNS0_4arch9wavefront6targetE1EEEvT1_.kd
    .uniform_work_group_size: 1
    .uses_dynamic_stack: false
    .vgpr_count:     0
    .vgpr_spill_count: 0
    .wavefront_size: 64
  - .agpr_count:     0
    .args:
      - .offset:         0
        .size:           160
        .value_kind:     by_value
    .group_segment_fixed_size: 0
    .kernarg_segment_align: 8
    .kernarg_segment_size: 160
    .language:       OpenCL C
    .language_version:
      - 2
      - 0
    .max_flat_workgroup_size: 256
    .name:           _ZN7rocprim17ROCPRIM_400000_NS6detail17trampoline_kernelINS0_14default_configENS1_27scan_by_key_config_selectorIj11FixedVectorIiLj8EEEEZZNS1_16scan_by_key_implILNS1_25lookback_scan_determinismE0ELb0ES3_N6thrust23THRUST_200600_302600_NS6detail15normal_iteratorINSB_10device_ptrIjEEEENSD_INSE_IS6_EEEESI_S6_NSB_4plusIvEENSB_8equal_toIvEES6_EE10hipError_tPvRmT2_T3_T4_T5_mT6_T7_P12ihipStream_tbENKUlT_T0_E_clISt17integral_constantIbLb1EES12_IbLb0EEEEDaSY_SZ_EUlSY_E_NS1_11comp_targetILNS1_3genE8ELNS1_11target_archE1030ELNS1_3gpuE2ELNS1_3repE0EEENS1_30default_config_static_selectorELNS0_4arch9wavefront6targetE1EEEvT1_
    .private_segment_fixed_size: 0
    .sgpr_count:     6
    .sgpr_spill_count: 0
    .symbol:         _ZN7rocprim17ROCPRIM_400000_NS6detail17trampoline_kernelINS0_14default_configENS1_27scan_by_key_config_selectorIj11FixedVectorIiLj8EEEEZZNS1_16scan_by_key_implILNS1_25lookback_scan_determinismE0ELb0ES3_N6thrust23THRUST_200600_302600_NS6detail15normal_iteratorINSB_10device_ptrIjEEEENSD_INSE_IS6_EEEESI_S6_NSB_4plusIvEENSB_8equal_toIvEES6_EE10hipError_tPvRmT2_T3_T4_T5_mT6_T7_P12ihipStream_tbENKUlT_T0_E_clISt17integral_constantIbLb1EES12_IbLb0EEEEDaSY_SZ_EUlSY_E_NS1_11comp_targetILNS1_3genE8ELNS1_11target_archE1030ELNS1_3gpuE2ELNS1_3repE0EEENS1_30default_config_static_selectorELNS0_4arch9wavefront6targetE1EEEvT1_.kd
    .uniform_work_group_size: 1
    .uses_dynamic_stack: false
    .vgpr_count:     0
    .vgpr_spill_count: 0
    .wavefront_size: 64
  - .agpr_count:     0
    .args:
      - .offset:         0
        .size:           24
        .value_kind:     by_value
      - .offset:         24
        .size:           4
        .value_kind:     by_value
      - .offset:         28
        .size:           4
        .value_kind:     by_value
      - .address_space:  global
        .offset:         32
        .size:           8
        .value_kind:     global_buffer
      - .address_space:  global
        .offset:         40
        .size:           8
        .value_kind:     global_buffer
      - .actual_access:  write_only
        .address_space:  global
        .offset:         48
        .size:           8
        .value_kind:     global_buffer
      - .offset:         56
        .size:           8
        .value_kind:     by_value
      - .offset:         64
        .size:           4
        .value_kind:     by_value
      - .address_space:  global
        .offset:         72
        .size:           8
        .value_kind:     global_buffer
      - .offset:         80
        .size:           4
        .value_kind:     hidden_block_count_x
      - .offset:         84
        .size:           4
        .value_kind:     hidden_block_count_y
      - .offset:         88
        .size:           4
        .value_kind:     hidden_block_count_z
      - .offset:         92
        .size:           2
        .value_kind:     hidden_group_size_x
      - .offset:         94
        .size:           2
        .value_kind:     hidden_group_size_y
      - .offset:         96
        .size:           2
        .value_kind:     hidden_group_size_z
      - .offset:         98
        .size:           2
        .value_kind:     hidden_remainder_x
      - .offset:         100
        .size:           2
        .value_kind:     hidden_remainder_y
      - .offset:         102
        .size:           2
        .value_kind:     hidden_remainder_z
      - .offset:         120
        .size:           8
        .value_kind:     hidden_global_offset_x
      - .offset:         128
        .size:           8
        .value_kind:     hidden_global_offset_y
      - .offset:         136
        .size:           8
        .value_kind:     hidden_global_offset_z
      - .offset:         144
        .size:           2
        .value_kind:     hidden_grid_dims
    .group_segment_fixed_size: 0
    .kernarg_segment_align: 8
    .kernarg_segment_size: 336
    .language:       OpenCL C
    .language_version:
      - 2
      - 0
    .max_flat_workgroup_size: 256
    .name:           _ZN7rocprim17ROCPRIM_400000_NS6detail30init_device_scan_by_key_kernelINS1_19lookback_scan_stateINS0_5tupleIJ11FixedVectorIiLj8EEbEEELb0ELb0EEEN6thrust23THRUST_200600_302600_NS6detail15normal_iteratorINSA_10device_ptrIjEEEEjNS1_16block_id_wrapperIjLb1EEEEEvT_jjPNSI_10value_typeET0_PNSt15iterator_traitsISL_E10value_typeEmT1_T2_
    .private_segment_fixed_size: 0
    .sgpr_count:     27
    .sgpr_spill_count: 0
    .symbol:         _ZN7rocprim17ROCPRIM_400000_NS6detail30init_device_scan_by_key_kernelINS1_19lookback_scan_stateINS0_5tupleIJ11FixedVectorIiLj8EEbEEELb0ELb0EEEN6thrust23THRUST_200600_302600_NS6detail15normal_iteratorINSA_10device_ptrIjEEEEjNS1_16block_id_wrapperIjLb1EEEEEvT_jjPNSI_10value_typeET0_PNSt15iterator_traitsISL_E10value_typeEmT1_T2_.kd
    .uniform_work_group_size: 1
    .uses_dynamic_stack: false
    .vgpr_count:     11
    .vgpr_spill_count: 0
    .wavefront_size: 64
  - .agpr_count:     0
    .args:
      - .offset:         0
        .size:           24
        .value_kind:     by_value
      - .offset:         24
        .size:           4
        .value_kind:     by_value
      - .offset:         28
        .size:           4
        .value_kind:     by_value
      - .address_space:  global
        .offset:         32
        .size:           8
        .value_kind:     global_buffer
      - .address_space:  global
        .offset:         40
        .size:           8
        .value_kind:     global_buffer
      - .offset:         48
        .size:           4
        .value_kind:     hidden_block_count_x
      - .offset:         52
        .size:           4
        .value_kind:     hidden_block_count_y
      - .offset:         56
        .size:           4
        .value_kind:     hidden_block_count_z
      - .offset:         60
        .size:           2
        .value_kind:     hidden_group_size_x
      - .offset:         62
        .size:           2
        .value_kind:     hidden_group_size_y
      - .offset:         64
        .size:           2
        .value_kind:     hidden_group_size_z
      - .offset:         66
        .size:           2
        .value_kind:     hidden_remainder_x
      - .offset:         68
        .size:           2
        .value_kind:     hidden_remainder_y
      - .offset:         70
        .size:           2
        .value_kind:     hidden_remainder_z
      - .offset:         88
        .size:           8
        .value_kind:     hidden_global_offset_x
      - .offset:         96
        .size:           8
        .value_kind:     hidden_global_offset_y
      - .offset:         104
        .size:           8
        .value_kind:     hidden_global_offset_z
      - .offset:         112
        .size:           2
        .value_kind:     hidden_grid_dims
    .group_segment_fixed_size: 0
    .kernarg_segment_align: 8
    .kernarg_segment_size: 304
    .language:       OpenCL C
    .language_version:
      - 2
      - 0
    .max_flat_workgroup_size: 256
    .name:           _ZN7rocprim17ROCPRIM_400000_NS6detail30init_device_scan_by_key_kernelINS1_19lookback_scan_stateINS0_5tupleIJ11FixedVectorIiLj8EEbEEELb0ELb0EEENS1_16block_id_wrapperIjLb1EEEEEvT_jjPNSB_10value_typeET0_
    .private_segment_fixed_size: 0
    .sgpr_count:     23
    .sgpr_spill_count: 0
    .symbol:         _ZN7rocprim17ROCPRIM_400000_NS6detail30init_device_scan_by_key_kernelINS1_19lookback_scan_stateINS0_5tupleIJ11FixedVectorIiLj8EEbEEELb0ELb0EEENS1_16block_id_wrapperIjLb1EEEEEvT_jjPNSB_10value_typeET0_.kd
    .uniform_work_group_size: 1
    .uses_dynamic_stack: false
    .vgpr_count:     11
    .vgpr_spill_count: 0
    .wavefront_size: 64
  - .agpr_count:     0
    .args:
      - .offset:         0
        .size:           160
        .value_kind:     by_value
    .group_segment_fixed_size: 0
    .kernarg_segment_align: 8
    .kernarg_segment_size: 160
    .language:       OpenCL C
    .language_version:
      - 2
      - 0
    .max_flat_workgroup_size: 256
    .name:           _ZN7rocprim17ROCPRIM_400000_NS6detail17trampoline_kernelINS0_14default_configENS1_27scan_by_key_config_selectorIj11FixedVectorIiLj8EEEEZZNS1_16scan_by_key_implILNS1_25lookback_scan_determinismE0ELb0ES3_N6thrust23THRUST_200600_302600_NS6detail15normal_iteratorINSB_10device_ptrIjEEEENSD_INSE_IS6_EEEESI_S6_NSB_4plusIvEENSB_8equal_toIvEES6_EE10hipError_tPvRmT2_T3_T4_T5_mT6_T7_P12ihipStream_tbENKUlT_T0_E_clISt17integral_constantIbLb0EES12_IbLb1EEEEDaSY_SZ_EUlSY_E_NS1_11comp_targetILNS1_3genE0ELNS1_11target_archE4294967295ELNS1_3gpuE0ELNS1_3repE0EEENS1_30default_config_static_selectorELNS0_4arch9wavefront6targetE1EEEvT1_
    .private_segment_fixed_size: 0
    .sgpr_count:     6
    .sgpr_spill_count: 0
    .symbol:         _ZN7rocprim17ROCPRIM_400000_NS6detail17trampoline_kernelINS0_14default_configENS1_27scan_by_key_config_selectorIj11FixedVectorIiLj8EEEEZZNS1_16scan_by_key_implILNS1_25lookback_scan_determinismE0ELb0ES3_N6thrust23THRUST_200600_302600_NS6detail15normal_iteratorINSB_10device_ptrIjEEEENSD_INSE_IS6_EEEESI_S6_NSB_4plusIvEENSB_8equal_toIvEES6_EE10hipError_tPvRmT2_T3_T4_T5_mT6_T7_P12ihipStream_tbENKUlT_T0_E_clISt17integral_constantIbLb0EES12_IbLb1EEEEDaSY_SZ_EUlSY_E_NS1_11comp_targetILNS1_3genE0ELNS1_11target_archE4294967295ELNS1_3gpuE0ELNS1_3repE0EEENS1_30default_config_static_selectorELNS0_4arch9wavefront6targetE1EEEvT1_.kd
    .uniform_work_group_size: 1
    .uses_dynamic_stack: false
    .vgpr_count:     0
    .vgpr_spill_count: 0
    .wavefront_size: 64
  - .agpr_count:     0
    .args:
      - .offset:         0
        .size:           160
        .value_kind:     by_value
    .group_segment_fixed_size: 0
    .kernarg_segment_align: 8
    .kernarg_segment_size: 160
    .language:       OpenCL C
    .language_version:
      - 2
      - 0
    .max_flat_workgroup_size: 256
    .name:           _ZN7rocprim17ROCPRIM_400000_NS6detail17trampoline_kernelINS0_14default_configENS1_27scan_by_key_config_selectorIj11FixedVectorIiLj8EEEEZZNS1_16scan_by_key_implILNS1_25lookback_scan_determinismE0ELb0ES3_N6thrust23THRUST_200600_302600_NS6detail15normal_iteratorINSB_10device_ptrIjEEEENSD_INSE_IS6_EEEESI_S6_NSB_4plusIvEENSB_8equal_toIvEES6_EE10hipError_tPvRmT2_T3_T4_T5_mT6_T7_P12ihipStream_tbENKUlT_T0_E_clISt17integral_constantIbLb0EES12_IbLb1EEEEDaSY_SZ_EUlSY_E_NS1_11comp_targetILNS1_3genE10ELNS1_11target_archE1201ELNS1_3gpuE5ELNS1_3repE0EEENS1_30default_config_static_selectorELNS0_4arch9wavefront6targetE1EEEvT1_
    .private_segment_fixed_size: 0
    .sgpr_count:     6
    .sgpr_spill_count: 0
    .symbol:         _ZN7rocprim17ROCPRIM_400000_NS6detail17trampoline_kernelINS0_14default_configENS1_27scan_by_key_config_selectorIj11FixedVectorIiLj8EEEEZZNS1_16scan_by_key_implILNS1_25lookback_scan_determinismE0ELb0ES3_N6thrust23THRUST_200600_302600_NS6detail15normal_iteratorINSB_10device_ptrIjEEEENSD_INSE_IS6_EEEESI_S6_NSB_4plusIvEENSB_8equal_toIvEES6_EE10hipError_tPvRmT2_T3_T4_T5_mT6_T7_P12ihipStream_tbENKUlT_T0_E_clISt17integral_constantIbLb0EES12_IbLb1EEEEDaSY_SZ_EUlSY_E_NS1_11comp_targetILNS1_3genE10ELNS1_11target_archE1201ELNS1_3gpuE5ELNS1_3repE0EEENS1_30default_config_static_selectorELNS0_4arch9wavefront6targetE1EEEvT1_.kd
    .uniform_work_group_size: 1
    .uses_dynamic_stack: false
    .vgpr_count:     0
    .vgpr_spill_count: 0
    .wavefront_size: 64
  - .agpr_count:     0
    .args:
      - .offset:         0
        .size:           160
        .value_kind:     by_value
    .group_segment_fixed_size: 32768
    .kernarg_segment_align: 8
    .kernarg_segment_size: 160
    .language:       OpenCL C
    .language_version:
      - 2
      - 0
    .max_flat_workgroup_size: 256
    .name:           _ZN7rocprim17ROCPRIM_400000_NS6detail17trampoline_kernelINS0_14default_configENS1_27scan_by_key_config_selectorIj11FixedVectorIiLj8EEEEZZNS1_16scan_by_key_implILNS1_25lookback_scan_determinismE0ELb0ES3_N6thrust23THRUST_200600_302600_NS6detail15normal_iteratorINSB_10device_ptrIjEEEENSD_INSE_IS6_EEEESI_S6_NSB_4plusIvEENSB_8equal_toIvEES6_EE10hipError_tPvRmT2_T3_T4_T5_mT6_T7_P12ihipStream_tbENKUlT_T0_E_clISt17integral_constantIbLb0EES12_IbLb1EEEEDaSY_SZ_EUlSY_E_NS1_11comp_targetILNS1_3genE5ELNS1_11target_archE942ELNS1_3gpuE9ELNS1_3repE0EEENS1_30default_config_static_selectorELNS0_4arch9wavefront6targetE1EEEvT1_
    .private_segment_fixed_size: 400
    .sgpr_count:     59
    .sgpr_spill_count: 0
    .symbol:         _ZN7rocprim17ROCPRIM_400000_NS6detail17trampoline_kernelINS0_14default_configENS1_27scan_by_key_config_selectorIj11FixedVectorIiLj8EEEEZZNS1_16scan_by_key_implILNS1_25lookback_scan_determinismE0ELb0ES3_N6thrust23THRUST_200600_302600_NS6detail15normal_iteratorINSB_10device_ptrIjEEEENSD_INSE_IS6_EEEESI_S6_NSB_4plusIvEENSB_8equal_toIvEES6_EE10hipError_tPvRmT2_T3_T4_T5_mT6_T7_P12ihipStream_tbENKUlT_T0_E_clISt17integral_constantIbLb0EES12_IbLb1EEEEDaSY_SZ_EUlSY_E_NS1_11comp_targetILNS1_3genE5ELNS1_11target_archE942ELNS1_3gpuE9ELNS1_3repE0EEENS1_30default_config_static_selectorELNS0_4arch9wavefront6targetE1EEEvT1_.kd
    .uniform_work_group_size: 1
    .uses_dynamic_stack: false
    .vgpr_count:     40
    .vgpr_spill_count: 0
    .wavefront_size: 64
  - .agpr_count:     0
    .args:
      - .offset:         0
        .size:           160
        .value_kind:     by_value
    .group_segment_fixed_size: 0
    .kernarg_segment_align: 8
    .kernarg_segment_size: 160
    .language:       OpenCL C
    .language_version:
      - 2
      - 0
    .max_flat_workgroup_size: 256
    .name:           _ZN7rocprim17ROCPRIM_400000_NS6detail17trampoline_kernelINS0_14default_configENS1_27scan_by_key_config_selectorIj11FixedVectorIiLj8EEEEZZNS1_16scan_by_key_implILNS1_25lookback_scan_determinismE0ELb0ES3_N6thrust23THRUST_200600_302600_NS6detail15normal_iteratorINSB_10device_ptrIjEEEENSD_INSE_IS6_EEEESI_S6_NSB_4plusIvEENSB_8equal_toIvEES6_EE10hipError_tPvRmT2_T3_T4_T5_mT6_T7_P12ihipStream_tbENKUlT_T0_E_clISt17integral_constantIbLb0EES12_IbLb1EEEEDaSY_SZ_EUlSY_E_NS1_11comp_targetILNS1_3genE4ELNS1_11target_archE910ELNS1_3gpuE8ELNS1_3repE0EEENS1_30default_config_static_selectorELNS0_4arch9wavefront6targetE1EEEvT1_
    .private_segment_fixed_size: 0
    .sgpr_count:     6
    .sgpr_spill_count: 0
    .symbol:         _ZN7rocprim17ROCPRIM_400000_NS6detail17trampoline_kernelINS0_14default_configENS1_27scan_by_key_config_selectorIj11FixedVectorIiLj8EEEEZZNS1_16scan_by_key_implILNS1_25lookback_scan_determinismE0ELb0ES3_N6thrust23THRUST_200600_302600_NS6detail15normal_iteratorINSB_10device_ptrIjEEEENSD_INSE_IS6_EEEESI_S6_NSB_4plusIvEENSB_8equal_toIvEES6_EE10hipError_tPvRmT2_T3_T4_T5_mT6_T7_P12ihipStream_tbENKUlT_T0_E_clISt17integral_constantIbLb0EES12_IbLb1EEEEDaSY_SZ_EUlSY_E_NS1_11comp_targetILNS1_3genE4ELNS1_11target_archE910ELNS1_3gpuE8ELNS1_3repE0EEENS1_30default_config_static_selectorELNS0_4arch9wavefront6targetE1EEEvT1_.kd
    .uniform_work_group_size: 1
    .uses_dynamic_stack: false
    .vgpr_count:     0
    .vgpr_spill_count: 0
    .wavefront_size: 64
  - .agpr_count:     0
    .args:
      - .offset:         0
        .size:           160
        .value_kind:     by_value
    .group_segment_fixed_size: 0
    .kernarg_segment_align: 8
    .kernarg_segment_size: 160
    .language:       OpenCL C
    .language_version:
      - 2
      - 0
    .max_flat_workgroup_size: 256
    .name:           _ZN7rocprim17ROCPRIM_400000_NS6detail17trampoline_kernelINS0_14default_configENS1_27scan_by_key_config_selectorIj11FixedVectorIiLj8EEEEZZNS1_16scan_by_key_implILNS1_25lookback_scan_determinismE0ELb0ES3_N6thrust23THRUST_200600_302600_NS6detail15normal_iteratorINSB_10device_ptrIjEEEENSD_INSE_IS6_EEEESI_S6_NSB_4plusIvEENSB_8equal_toIvEES6_EE10hipError_tPvRmT2_T3_T4_T5_mT6_T7_P12ihipStream_tbENKUlT_T0_E_clISt17integral_constantIbLb0EES12_IbLb1EEEEDaSY_SZ_EUlSY_E_NS1_11comp_targetILNS1_3genE3ELNS1_11target_archE908ELNS1_3gpuE7ELNS1_3repE0EEENS1_30default_config_static_selectorELNS0_4arch9wavefront6targetE1EEEvT1_
    .private_segment_fixed_size: 0
    .sgpr_count:     6
    .sgpr_spill_count: 0
    .symbol:         _ZN7rocprim17ROCPRIM_400000_NS6detail17trampoline_kernelINS0_14default_configENS1_27scan_by_key_config_selectorIj11FixedVectorIiLj8EEEEZZNS1_16scan_by_key_implILNS1_25lookback_scan_determinismE0ELb0ES3_N6thrust23THRUST_200600_302600_NS6detail15normal_iteratorINSB_10device_ptrIjEEEENSD_INSE_IS6_EEEESI_S6_NSB_4plusIvEENSB_8equal_toIvEES6_EE10hipError_tPvRmT2_T3_T4_T5_mT6_T7_P12ihipStream_tbENKUlT_T0_E_clISt17integral_constantIbLb0EES12_IbLb1EEEEDaSY_SZ_EUlSY_E_NS1_11comp_targetILNS1_3genE3ELNS1_11target_archE908ELNS1_3gpuE7ELNS1_3repE0EEENS1_30default_config_static_selectorELNS0_4arch9wavefront6targetE1EEEvT1_.kd
    .uniform_work_group_size: 1
    .uses_dynamic_stack: false
    .vgpr_count:     0
    .vgpr_spill_count: 0
    .wavefront_size: 64
  - .agpr_count:     0
    .args:
      - .offset:         0
        .size:           160
        .value_kind:     by_value
    .group_segment_fixed_size: 0
    .kernarg_segment_align: 8
    .kernarg_segment_size: 160
    .language:       OpenCL C
    .language_version:
      - 2
      - 0
    .max_flat_workgroup_size: 256
    .name:           _ZN7rocprim17ROCPRIM_400000_NS6detail17trampoline_kernelINS0_14default_configENS1_27scan_by_key_config_selectorIj11FixedVectorIiLj8EEEEZZNS1_16scan_by_key_implILNS1_25lookback_scan_determinismE0ELb0ES3_N6thrust23THRUST_200600_302600_NS6detail15normal_iteratorINSB_10device_ptrIjEEEENSD_INSE_IS6_EEEESI_S6_NSB_4plusIvEENSB_8equal_toIvEES6_EE10hipError_tPvRmT2_T3_T4_T5_mT6_T7_P12ihipStream_tbENKUlT_T0_E_clISt17integral_constantIbLb0EES12_IbLb1EEEEDaSY_SZ_EUlSY_E_NS1_11comp_targetILNS1_3genE2ELNS1_11target_archE906ELNS1_3gpuE6ELNS1_3repE0EEENS1_30default_config_static_selectorELNS0_4arch9wavefront6targetE1EEEvT1_
    .private_segment_fixed_size: 0
    .sgpr_count:     6
    .sgpr_spill_count: 0
    .symbol:         _ZN7rocprim17ROCPRIM_400000_NS6detail17trampoline_kernelINS0_14default_configENS1_27scan_by_key_config_selectorIj11FixedVectorIiLj8EEEEZZNS1_16scan_by_key_implILNS1_25lookback_scan_determinismE0ELb0ES3_N6thrust23THRUST_200600_302600_NS6detail15normal_iteratorINSB_10device_ptrIjEEEENSD_INSE_IS6_EEEESI_S6_NSB_4plusIvEENSB_8equal_toIvEES6_EE10hipError_tPvRmT2_T3_T4_T5_mT6_T7_P12ihipStream_tbENKUlT_T0_E_clISt17integral_constantIbLb0EES12_IbLb1EEEEDaSY_SZ_EUlSY_E_NS1_11comp_targetILNS1_3genE2ELNS1_11target_archE906ELNS1_3gpuE6ELNS1_3repE0EEENS1_30default_config_static_selectorELNS0_4arch9wavefront6targetE1EEEvT1_.kd
    .uniform_work_group_size: 1
    .uses_dynamic_stack: false
    .vgpr_count:     0
    .vgpr_spill_count: 0
    .wavefront_size: 64
  - .agpr_count:     0
    .args:
      - .offset:         0
        .size:           160
        .value_kind:     by_value
    .group_segment_fixed_size: 0
    .kernarg_segment_align: 8
    .kernarg_segment_size: 160
    .language:       OpenCL C
    .language_version:
      - 2
      - 0
    .max_flat_workgroup_size: 256
    .name:           _ZN7rocprim17ROCPRIM_400000_NS6detail17trampoline_kernelINS0_14default_configENS1_27scan_by_key_config_selectorIj11FixedVectorIiLj8EEEEZZNS1_16scan_by_key_implILNS1_25lookback_scan_determinismE0ELb0ES3_N6thrust23THRUST_200600_302600_NS6detail15normal_iteratorINSB_10device_ptrIjEEEENSD_INSE_IS6_EEEESI_S6_NSB_4plusIvEENSB_8equal_toIvEES6_EE10hipError_tPvRmT2_T3_T4_T5_mT6_T7_P12ihipStream_tbENKUlT_T0_E_clISt17integral_constantIbLb0EES12_IbLb1EEEEDaSY_SZ_EUlSY_E_NS1_11comp_targetILNS1_3genE10ELNS1_11target_archE1200ELNS1_3gpuE4ELNS1_3repE0EEENS1_30default_config_static_selectorELNS0_4arch9wavefront6targetE1EEEvT1_
    .private_segment_fixed_size: 0
    .sgpr_count:     6
    .sgpr_spill_count: 0
    .symbol:         _ZN7rocprim17ROCPRIM_400000_NS6detail17trampoline_kernelINS0_14default_configENS1_27scan_by_key_config_selectorIj11FixedVectorIiLj8EEEEZZNS1_16scan_by_key_implILNS1_25lookback_scan_determinismE0ELb0ES3_N6thrust23THRUST_200600_302600_NS6detail15normal_iteratorINSB_10device_ptrIjEEEENSD_INSE_IS6_EEEESI_S6_NSB_4plusIvEENSB_8equal_toIvEES6_EE10hipError_tPvRmT2_T3_T4_T5_mT6_T7_P12ihipStream_tbENKUlT_T0_E_clISt17integral_constantIbLb0EES12_IbLb1EEEEDaSY_SZ_EUlSY_E_NS1_11comp_targetILNS1_3genE10ELNS1_11target_archE1200ELNS1_3gpuE4ELNS1_3repE0EEENS1_30default_config_static_selectorELNS0_4arch9wavefront6targetE1EEEvT1_.kd
    .uniform_work_group_size: 1
    .uses_dynamic_stack: false
    .vgpr_count:     0
    .vgpr_spill_count: 0
    .wavefront_size: 64
  - .agpr_count:     0
    .args:
      - .offset:         0
        .size:           160
        .value_kind:     by_value
    .group_segment_fixed_size: 0
    .kernarg_segment_align: 8
    .kernarg_segment_size: 160
    .language:       OpenCL C
    .language_version:
      - 2
      - 0
    .max_flat_workgroup_size: 256
    .name:           _ZN7rocprim17ROCPRIM_400000_NS6detail17trampoline_kernelINS0_14default_configENS1_27scan_by_key_config_selectorIj11FixedVectorIiLj8EEEEZZNS1_16scan_by_key_implILNS1_25lookback_scan_determinismE0ELb0ES3_N6thrust23THRUST_200600_302600_NS6detail15normal_iteratorINSB_10device_ptrIjEEEENSD_INSE_IS6_EEEESI_S6_NSB_4plusIvEENSB_8equal_toIvEES6_EE10hipError_tPvRmT2_T3_T4_T5_mT6_T7_P12ihipStream_tbENKUlT_T0_E_clISt17integral_constantIbLb0EES12_IbLb1EEEEDaSY_SZ_EUlSY_E_NS1_11comp_targetILNS1_3genE9ELNS1_11target_archE1100ELNS1_3gpuE3ELNS1_3repE0EEENS1_30default_config_static_selectorELNS0_4arch9wavefront6targetE1EEEvT1_
    .private_segment_fixed_size: 0
    .sgpr_count:     6
    .sgpr_spill_count: 0
    .symbol:         _ZN7rocprim17ROCPRIM_400000_NS6detail17trampoline_kernelINS0_14default_configENS1_27scan_by_key_config_selectorIj11FixedVectorIiLj8EEEEZZNS1_16scan_by_key_implILNS1_25lookback_scan_determinismE0ELb0ES3_N6thrust23THRUST_200600_302600_NS6detail15normal_iteratorINSB_10device_ptrIjEEEENSD_INSE_IS6_EEEESI_S6_NSB_4plusIvEENSB_8equal_toIvEES6_EE10hipError_tPvRmT2_T3_T4_T5_mT6_T7_P12ihipStream_tbENKUlT_T0_E_clISt17integral_constantIbLb0EES12_IbLb1EEEEDaSY_SZ_EUlSY_E_NS1_11comp_targetILNS1_3genE9ELNS1_11target_archE1100ELNS1_3gpuE3ELNS1_3repE0EEENS1_30default_config_static_selectorELNS0_4arch9wavefront6targetE1EEEvT1_.kd
    .uniform_work_group_size: 1
    .uses_dynamic_stack: false
    .vgpr_count:     0
    .vgpr_spill_count: 0
    .wavefront_size: 64
  - .agpr_count:     0
    .args:
      - .offset:         0
        .size:           160
        .value_kind:     by_value
    .group_segment_fixed_size: 0
    .kernarg_segment_align: 8
    .kernarg_segment_size: 160
    .language:       OpenCL C
    .language_version:
      - 2
      - 0
    .max_flat_workgroup_size: 256
    .name:           _ZN7rocprim17ROCPRIM_400000_NS6detail17trampoline_kernelINS0_14default_configENS1_27scan_by_key_config_selectorIj11FixedVectorIiLj8EEEEZZNS1_16scan_by_key_implILNS1_25lookback_scan_determinismE0ELb0ES3_N6thrust23THRUST_200600_302600_NS6detail15normal_iteratorINSB_10device_ptrIjEEEENSD_INSE_IS6_EEEESI_S6_NSB_4plusIvEENSB_8equal_toIvEES6_EE10hipError_tPvRmT2_T3_T4_T5_mT6_T7_P12ihipStream_tbENKUlT_T0_E_clISt17integral_constantIbLb0EES12_IbLb1EEEEDaSY_SZ_EUlSY_E_NS1_11comp_targetILNS1_3genE8ELNS1_11target_archE1030ELNS1_3gpuE2ELNS1_3repE0EEENS1_30default_config_static_selectorELNS0_4arch9wavefront6targetE1EEEvT1_
    .private_segment_fixed_size: 0
    .sgpr_count:     6
    .sgpr_spill_count: 0
    .symbol:         _ZN7rocprim17ROCPRIM_400000_NS6detail17trampoline_kernelINS0_14default_configENS1_27scan_by_key_config_selectorIj11FixedVectorIiLj8EEEEZZNS1_16scan_by_key_implILNS1_25lookback_scan_determinismE0ELb0ES3_N6thrust23THRUST_200600_302600_NS6detail15normal_iteratorINSB_10device_ptrIjEEEENSD_INSE_IS6_EEEESI_S6_NSB_4plusIvEENSB_8equal_toIvEES6_EE10hipError_tPvRmT2_T3_T4_T5_mT6_T7_P12ihipStream_tbENKUlT_T0_E_clISt17integral_constantIbLb0EES12_IbLb1EEEEDaSY_SZ_EUlSY_E_NS1_11comp_targetILNS1_3genE8ELNS1_11target_archE1030ELNS1_3gpuE2ELNS1_3repE0EEENS1_30default_config_static_selectorELNS0_4arch9wavefront6targetE1EEEvT1_.kd
    .uniform_work_group_size: 1
    .uses_dynamic_stack: false
    .vgpr_count:     0
    .vgpr_spill_count: 0
    .wavefront_size: 64
  - .agpr_count:     0
    .args:
      - .offset:         0
        .size:           160
        .value_kind:     by_value
    .group_segment_fixed_size: 0
    .kernarg_segment_align: 8
    .kernarg_segment_size: 160
    .language:       OpenCL C
    .language_version:
      - 2
      - 0
    .max_flat_workgroup_size: 256
    .name:           _ZN7rocprim17ROCPRIM_400000_NS6detail17trampoline_kernelINS0_14default_configENS1_27scan_by_key_config_selectorIj11FixedVectorIiLj8EEEEZZNS1_16scan_by_key_implILNS1_25lookback_scan_determinismE0ELb1ES3_N6thrust23THRUST_200600_302600_NS6detail15normal_iteratorINSB_10device_ptrIjEEEENSD_INSE_IS6_EEEESI_S6_NSB_4plusIvEENSB_8equal_toIvEES6_EE10hipError_tPvRmT2_T3_T4_T5_mT6_T7_P12ihipStream_tbENKUlT_T0_E_clISt17integral_constantIbLb0EES13_EEDaSY_SZ_EUlSY_E_NS1_11comp_targetILNS1_3genE0ELNS1_11target_archE4294967295ELNS1_3gpuE0ELNS1_3repE0EEENS1_30default_config_static_selectorELNS0_4arch9wavefront6targetE1EEEvT1_
    .private_segment_fixed_size: 0
    .sgpr_count:     6
    .sgpr_spill_count: 0
    .symbol:         _ZN7rocprim17ROCPRIM_400000_NS6detail17trampoline_kernelINS0_14default_configENS1_27scan_by_key_config_selectorIj11FixedVectorIiLj8EEEEZZNS1_16scan_by_key_implILNS1_25lookback_scan_determinismE0ELb1ES3_N6thrust23THRUST_200600_302600_NS6detail15normal_iteratorINSB_10device_ptrIjEEEENSD_INSE_IS6_EEEESI_S6_NSB_4plusIvEENSB_8equal_toIvEES6_EE10hipError_tPvRmT2_T3_T4_T5_mT6_T7_P12ihipStream_tbENKUlT_T0_E_clISt17integral_constantIbLb0EES13_EEDaSY_SZ_EUlSY_E_NS1_11comp_targetILNS1_3genE0ELNS1_11target_archE4294967295ELNS1_3gpuE0ELNS1_3repE0EEENS1_30default_config_static_selectorELNS0_4arch9wavefront6targetE1EEEvT1_.kd
    .uniform_work_group_size: 1
    .uses_dynamic_stack: false
    .vgpr_count:     0
    .vgpr_spill_count: 0
    .wavefront_size: 64
  - .agpr_count:     0
    .args:
      - .offset:         0
        .size:           160
        .value_kind:     by_value
    .group_segment_fixed_size: 0
    .kernarg_segment_align: 8
    .kernarg_segment_size: 160
    .language:       OpenCL C
    .language_version:
      - 2
      - 0
    .max_flat_workgroup_size: 256
    .name:           _ZN7rocprim17ROCPRIM_400000_NS6detail17trampoline_kernelINS0_14default_configENS1_27scan_by_key_config_selectorIj11FixedVectorIiLj8EEEEZZNS1_16scan_by_key_implILNS1_25lookback_scan_determinismE0ELb1ES3_N6thrust23THRUST_200600_302600_NS6detail15normal_iteratorINSB_10device_ptrIjEEEENSD_INSE_IS6_EEEESI_S6_NSB_4plusIvEENSB_8equal_toIvEES6_EE10hipError_tPvRmT2_T3_T4_T5_mT6_T7_P12ihipStream_tbENKUlT_T0_E_clISt17integral_constantIbLb0EES13_EEDaSY_SZ_EUlSY_E_NS1_11comp_targetILNS1_3genE10ELNS1_11target_archE1201ELNS1_3gpuE5ELNS1_3repE0EEENS1_30default_config_static_selectorELNS0_4arch9wavefront6targetE1EEEvT1_
    .private_segment_fixed_size: 0
    .sgpr_count:     6
    .sgpr_spill_count: 0
    .symbol:         _ZN7rocprim17ROCPRIM_400000_NS6detail17trampoline_kernelINS0_14default_configENS1_27scan_by_key_config_selectorIj11FixedVectorIiLj8EEEEZZNS1_16scan_by_key_implILNS1_25lookback_scan_determinismE0ELb1ES3_N6thrust23THRUST_200600_302600_NS6detail15normal_iteratorINSB_10device_ptrIjEEEENSD_INSE_IS6_EEEESI_S6_NSB_4plusIvEENSB_8equal_toIvEES6_EE10hipError_tPvRmT2_T3_T4_T5_mT6_T7_P12ihipStream_tbENKUlT_T0_E_clISt17integral_constantIbLb0EES13_EEDaSY_SZ_EUlSY_E_NS1_11comp_targetILNS1_3genE10ELNS1_11target_archE1201ELNS1_3gpuE5ELNS1_3repE0EEENS1_30default_config_static_selectorELNS0_4arch9wavefront6targetE1EEEvT1_.kd
    .uniform_work_group_size: 1
    .uses_dynamic_stack: false
    .vgpr_count:     0
    .vgpr_spill_count: 0
    .wavefront_size: 64
  - .agpr_count:     0
    .args:
      - .offset:         0
        .size:           160
        .value_kind:     by_value
    .group_segment_fixed_size: 32768
    .kernarg_segment_align: 8
    .kernarg_segment_size: 160
    .language:       OpenCL C
    .language_version:
      - 2
      - 0
    .max_flat_workgroup_size: 256
    .name:           _ZN7rocprim17ROCPRIM_400000_NS6detail17trampoline_kernelINS0_14default_configENS1_27scan_by_key_config_selectorIj11FixedVectorIiLj8EEEEZZNS1_16scan_by_key_implILNS1_25lookback_scan_determinismE0ELb1ES3_N6thrust23THRUST_200600_302600_NS6detail15normal_iteratorINSB_10device_ptrIjEEEENSD_INSE_IS6_EEEESI_S6_NSB_4plusIvEENSB_8equal_toIvEES6_EE10hipError_tPvRmT2_T3_T4_T5_mT6_T7_P12ihipStream_tbENKUlT_T0_E_clISt17integral_constantIbLb0EES13_EEDaSY_SZ_EUlSY_E_NS1_11comp_targetILNS1_3genE5ELNS1_11target_archE942ELNS1_3gpuE9ELNS1_3repE0EEENS1_30default_config_static_selectorELNS0_4arch9wavefront6targetE1EEEvT1_
    .private_segment_fixed_size: 432
    .sgpr_count:     56
    .sgpr_spill_count: 0
    .symbol:         _ZN7rocprim17ROCPRIM_400000_NS6detail17trampoline_kernelINS0_14default_configENS1_27scan_by_key_config_selectorIj11FixedVectorIiLj8EEEEZZNS1_16scan_by_key_implILNS1_25lookback_scan_determinismE0ELb1ES3_N6thrust23THRUST_200600_302600_NS6detail15normal_iteratorINSB_10device_ptrIjEEEENSD_INSE_IS6_EEEESI_S6_NSB_4plusIvEENSB_8equal_toIvEES6_EE10hipError_tPvRmT2_T3_T4_T5_mT6_T7_P12ihipStream_tbENKUlT_T0_E_clISt17integral_constantIbLb0EES13_EEDaSY_SZ_EUlSY_E_NS1_11comp_targetILNS1_3genE5ELNS1_11target_archE942ELNS1_3gpuE9ELNS1_3repE0EEENS1_30default_config_static_selectorELNS0_4arch9wavefront6targetE1EEEvT1_.kd
    .uniform_work_group_size: 1
    .uses_dynamic_stack: false
    .vgpr_count:     42
    .vgpr_spill_count: 0
    .wavefront_size: 64
  - .agpr_count:     0
    .args:
      - .offset:         0
        .size:           160
        .value_kind:     by_value
    .group_segment_fixed_size: 0
    .kernarg_segment_align: 8
    .kernarg_segment_size: 160
    .language:       OpenCL C
    .language_version:
      - 2
      - 0
    .max_flat_workgroup_size: 256
    .name:           _ZN7rocprim17ROCPRIM_400000_NS6detail17trampoline_kernelINS0_14default_configENS1_27scan_by_key_config_selectorIj11FixedVectorIiLj8EEEEZZNS1_16scan_by_key_implILNS1_25lookback_scan_determinismE0ELb1ES3_N6thrust23THRUST_200600_302600_NS6detail15normal_iteratorINSB_10device_ptrIjEEEENSD_INSE_IS6_EEEESI_S6_NSB_4plusIvEENSB_8equal_toIvEES6_EE10hipError_tPvRmT2_T3_T4_T5_mT6_T7_P12ihipStream_tbENKUlT_T0_E_clISt17integral_constantIbLb0EES13_EEDaSY_SZ_EUlSY_E_NS1_11comp_targetILNS1_3genE4ELNS1_11target_archE910ELNS1_3gpuE8ELNS1_3repE0EEENS1_30default_config_static_selectorELNS0_4arch9wavefront6targetE1EEEvT1_
    .private_segment_fixed_size: 0
    .sgpr_count:     6
    .sgpr_spill_count: 0
    .symbol:         _ZN7rocprim17ROCPRIM_400000_NS6detail17trampoline_kernelINS0_14default_configENS1_27scan_by_key_config_selectorIj11FixedVectorIiLj8EEEEZZNS1_16scan_by_key_implILNS1_25lookback_scan_determinismE0ELb1ES3_N6thrust23THRUST_200600_302600_NS6detail15normal_iteratorINSB_10device_ptrIjEEEENSD_INSE_IS6_EEEESI_S6_NSB_4plusIvEENSB_8equal_toIvEES6_EE10hipError_tPvRmT2_T3_T4_T5_mT6_T7_P12ihipStream_tbENKUlT_T0_E_clISt17integral_constantIbLb0EES13_EEDaSY_SZ_EUlSY_E_NS1_11comp_targetILNS1_3genE4ELNS1_11target_archE910ELNS1_3gpuE8ELNS1_3repE0EEENS1_30default_config_static_selectorELNS0_4arch9wavefront6targetE1EEEvT1_.kd
    .uniform_work_group_size: 1
    .uses_dynamic_stack: false
    .vgpr_count:     0
    .vgpr_spill_count: 0
    .wavefront_size: 64
  - .agpr_count:     0
    .args:
      - .offset:         0
        .size:           160
        .value_kind:     by_value
    .group_segment_fixed_size: 0
    .kernarg_segment_align: 8
    .kernarg_segment_size: 160
    .language:       OpenCL C
    .language_version:
      - 2
      - 0
    .max_flat_workgroup_size: 256
    .name:           _ZN7rocprim17ROCPRIM_400000_NS6detail17trampoline_kernelINS0_14default_configENS1_27scan_by_key_config_selectorIj11FixedVectorIiLj8EEEEZZNS1_16scan_by_key_implILNS1_25lookback_scan_determinismE0ELb1ES3_N6thrust23THRUST_200600_302600_NS6detail15normal_iteratorINSB_10device_ptrIjEEEENSD_INSE_IS6_EEEESI_S6_NSB_4plusIvEENSB_8equal_toIvEES6_EE10hipError_tPvRmT2_T3_T4_T5_mT6_T7_P12ihipStream_tbENKUlT_T0_E_clISt17integral_constantIbLb0EES13_EEDaSY_SZ_EUlSY_E_NS1_11comp_targetILNS1_3genE3ELNS1_11target_archE908ELNS1_3gpuE7ELNS1_3repE0EEENS1_30default_config_static_selectorELNS0_4arch9wavefront6targetE1EEEvT1_
    .private_segment_fixed_size: 0
    .sgpr_count:     6
    .sgpr_spill_count: 0
    .symbol:         _ZN7rocprim17ROCPRIM_400000_NS6detail17trampoline_kernelINS0_14default_configENS1_27scan_by_key_config_selectorIj11FixedVectorIiLj8EEEEZZNS1_16scan_by_key_implILNS1_25lookback_scan_determinismE0ELb1ES3_N6thrust23THRUST_200600_302600_NS6detail15normal_iteratorINSB_10device_ptrIjEEEENSD_INSE_IS6_EEEESI_S6_NSB_4plusIvEENSB_8equal_toIvEES6_EE10hipError_tPvRmT2_T3_T4_T5_mT6_T7_P12ihipStream_tbENKUlT_T0_E_clISt17integral_constantIbLb0EES13_EEDaSY_SZ_EUlSY_E_NS1_11comp_targetILNS1_3genE3ELNS1_11target_archE908ELNS1_3gpuE7ELNS1_3repE0EEENS1_30default_config_static_selectorELNS0_4arch9wavefront6targetE1EEEvT1_.kd
    .uniform_work_group_size: 1
    .uses_dynamic_stack: false
    .vgpr_count:     0
    .vgpr_spill_count: 0
    .wavefront_size: 64
  - .agpr_count:     0
    .args:
      - .offset:         0
        .size:           160
        .value_kind:     by_value
    .group_segment_fixed_size: 0
    .kernarg_segment_align: 8
    .kernarg_segment_size: 160
    .language:       OpenCL C
    .language_version:
      - 2
      - 0
    .max_flat_workgroup_size: 256
    .name:           _ZN7rocprim17ROCPRIM_400000_NS6detail17trampoline_kernelINS0_14default_configENS1_27scan_by_key_config_selectorIj11FixedVectorIiLj8EEEEZZNS1_16scan_by_key_implILNS1_25lookback_scan_determinismE0ELb1ES3_N6thrust23THRUST_200600_302600_NS6detail15normal_iteratorINSB_10device_ptrIjEEEENSD_INSE_IS6_EEEESI_S6_NSB_4plusIvEENSB_8equal_toIvEES6_EE10hipError_tPvRmT2_T3_T4_T5_mT6_T7_P12ihipStream_tbENKUlT_T0_E_clISt17integral_constantIbLb0EES13_EEDaSY_SZ_EUlSY_E_NS1_11comp_targetILNS1_3genE2ELNS1_11target_archE906ELNS1_3gpuE6ELNS1_3repE0EEENS1_30default_config_static_selectorELNS0_4arch9wavefront6targetE1EEEvT1_
    .private_segment_fixed_size: 0
    .sgpr_count:     6
    .sgpr_spill_count: 0
    .symbol:         _ZN7rocprim17ROCPRIM_400000_NS6detail17trampoline_kernelINS0_14default_configENS1_27scan_by_key_config_selectorIj11FixedVectorIiLj8EEEEZZNS1_16scan_by_key_implILNS1_25lookback_scan_determinismE0ELb1ES3_N6thrust23THRUST_200600_302600_NS6detail15normal_iteratorINSB_10device_ptrIjEEEENSD_INSE_IS6_EEEESI_S6_NSB_4plusIvEENSB_8equal_toIvEES6_EE10hipError_tPvRmT2_T3_T4_T5_mT6_T7_P12ihipStream_tbENKUlT_T0_E_clISt17integral_constantIbLb0EES13_EEDaSY_SZ_EUlSY_E_NS1_11comp_targetILNS1_3genE2ELNS1_11target_archE906ELNS1_3gpuE6ELNS1_3repE0EEENS1_30default_config_static_selectorELNS0_4arch9wavefront6targetE1EEEvT1_.kd
    .uniform_work_group_size: 1
    .uses_dynamic_stack: false
    .vgpr_count:     0
    .vgpr_spill_count: 0
    .wavefront_size: 64
  - .agpr_count:     0
    .args:
      - .offset:         0
        .size:           160
        .value_kind:     by_value
    .group_segment_fixed_size: 0
    .kernarg_segment_align: 8
    .kernarg_segment_size: 160
    .language:       OpenCL C
    .language_version:
      - 2
      - 0
    .max_flat_workgroup_size: 256
    .name:           _ZN7rocprim17ROCPRIM_400000_NS6detail17trampoline_kernelINS0_14default_configENS1_27scan_by_key_config_selectorIj11FixedVectorIiLj8EEEEZZNS1_16scan_by_key_implILNS1_25lookback_scan_determinismE0ELb1ES3_N6thrust23THRUST_200600_302600_NS6detail15normal_iteratorINSB_10device_ptrIjEEEENSD_INSE_IS6_EEEESI_S6_NSB_4plusIvEENSB_8equal_toIvEES6_EE10hipError_tPvRmT2_T3_T4_T5_mT6_T7_P12ihipStream_tbENKUlT_T0_E_clISt17integral_constantIbLb0EES13_EEDaSY_SZ_EUlSY_E_NS1_11comp_targetILNS1_3genE10ELNS1_11target_archE1200ELNS1_3gpuE4ELNS1_3repE0EEENS1_30default_config_static_selectorELNS0_4arch9wavefront6targetE1EEEvT1_
    .private_segment_fixed_size: 0
    .sgpr_count:     6
    .sgpr_spill_count: 0
    .symbol:         _ZN7rocprim17ROCPRIM_400000_NS6detail17trampoline_kernelINS0_14default_configENS1_27scan_by_key_config_selectorIj11FixedVectorIiLj8EEEEZZNS1_16scan_by_key_implILNS1_25lookback_scan_determinismE0ELb1ES3_N6thrust23THRUST_200600_302600_NS6detail15normal_iteratorINSB_10device_ptrIjEEEENSD_INSE_IS6_EEEESI_S6_NSB_4plusIvEENSB_8equal_toIvEES6_EE10hipError_tPvRmT2_T3_T4_T5_mT6_T7_P12ihipStream_tbENKUlT_T0_E_clISt17integral_constantIbLb0EES13_EEDaSY_SZ_EUlSY_E_NS1_11comp_targetILNS1_3genE10ELNS1_11target_archE1200ELNS1_3gpuE4ELNS1_3repE0EEENS1_30default_config_static_selectorELNS0_4arch9wavefront6targetE1EEEvT1_.kd
    .uniform_work_group_size: 1
    .uses_dynamic_stack: false
    .vgpr_count:     0
    .vgpr_spill_count: 0
    .wavefront_size: 64
  - .agpr_count:     0
    .args:
      - .offset:         0
        .size:           160
        .value_kind:     by_value
    .group_segment_fixed_size: 0
    .kernarg_segment_align: 8
    .kernarg_segment_size: 160
    .language:       OpenCL C
    .language_version:
      - 2
      - 0
    .max_flat_workgroup_size: 256
    .name:           _ZN7rocprim17ROCPRIM_400000_NS6detail17trampoline_kernelINS0_14default_configENS1_27scan_by_key_config_selectorIj11FixedVectorIiLj8EEEEZZNS1_16scan_by_key_implILNS1_25lookback_scan_determinismE0ELb1ES3_N6thrust23THRUST_200600_302600_NS6detail15normal_iteratorINSB_10device_ptrIjEEEENSD_INSE_IS6_EEEESI_S6_NSB_4plusIvEENSB_8equal_toIvEES6_EE10hipError_tPvRmT2_T3_T4_T5_mT6_T7_P12ihipStream_tbENKUlT_T0_E_clISt17integral_constantIbLb0EES13_EEDaSY_SZ_EUlSY_E_NS1_11comp_targetILNS1_3genE9ELNS1_11target_archE1100ELNS1_3gpuE3ELNS1_3repE0EEENS1_30default_config_static_selectorELNS0_4arch9wavefront6targetE1EEEvT1_
    .private_segment_fixed_size: 0
    .sgpr_count:     6
    .sgpr_spill_count: 0
    .symbol:         _ZN7rocprim17ROCPRIM_400000_NS6detail17trampoline_kernelINS0_14default_configENS1_27scan_by_key_config_selectorIj11FixedVectorIiLj8EEEEZZNS1_16scan_by_key_implILNS1_25lookback_scan_determinismE0ELb1ES3_N6thrust23THRUST_200600_302600_NS6detail15normal_iteratorINSB_10device_ptrIjEEEENSD_INSE_IS6_EEEESI_S6_NSB_4plusIvEENSB_8equal_toIvEES6_EE10hipError_tPvRmT2_T3_T4_T5_mT6_T7_P12ihipStream_tbENKUlT_T0_E_clISt17integral_constantIbLb0EES13_EEDaSY_SZ_EUlSY_E_NS1_11comp_targetILNS1_3genE9ELNS1_11target_archE1100ELNS1_3gpuE3ELNS1_3repE0EEENS1_30default_config_static_selectorELNS0_4arch9wavefront6targetE1EEEvT1_.kd
    .uniform_work_group_size: 1
    .uses_dynamic_stack: false
    .vgpr_count:     0
    .vgpr_spill_count: 0
    .wavefront_size: 64
  - .agpr_count:     0
    .args:
      - .offset:         0
        .size:           160
        .value_kind:     by_value
    .group_segment_fixed_size: 0
    .kernarg_segment_align: 8
    .kernarg_segment_size: 160
    .language:       OpenCL C
    .language_version:
      - 2
      - 0
    .max_flat_workgroup_size: 256
    .name:           _ZN7rocprim17ROCPRIM_400000_NS6detail17trampoline_kernelINS0_14default_configENS1_27scan_by_key_config_selectorIj11FixedVectorIiLj8EEEEZZNS1_16scan_by_key_implILNS1_25lookback_scan_determinismE0ELb1ES3_N6thrust23THRUST_200600_302600_NS6detail15normal_iteratorINSB_10device_ptrIjEEEENSD_INSE_IS6_EEEESI_S6_NSB_4plusIvEENSB_8equal_toIvEES6_EE10hipError_tPvRmT2_T3_T4_T5_mT6_T7_P12ihipStream_tbENKUlT_T0_E_clISt17integral_constantIbLb0EES13_EEDaSY_SZ_EUlSY_E_NS1_11comp_targetILNS1_3genE8ELNS1_11target_archE1030ELNS1_3gpuE2ELNS1_3repE0EEENS1_30default_config_static_selectorELNS0_4arch9wavefront6targetE1EEEvT1_
    .private_segment_fixed_size: 0
    .sgpr_count:     6
    .sgpr_spill_count: 0
    .symbol:         _ZN7rocprim17ROCPRIM_400000_NS6detail17trampoline_kernelINS0_14default_configENS1_27scan_by_key_config_selectorIj11FixedVectorIiLj8EEEEZZNS1_16scan_by_key_implILNS1_25lookback_scan_determinismE0ELb1ES3_N6thrust23THRUST_200600_302600_NS6detail15normal_iteratorINSB_10device_ptrIjEEEENSD_INSE_IS6_EEEESI_S6_NSB_4plusIvEENSB_8equal_toIvEES6_EE10hipError_tPvRmT2_T3_T4_T5_mT6_T7_P12ihipStream_tbENKUlT_T0_E_clISt17integral_constantIbLb0EES13_EEDaSY_SZ_EUlSY_E_NS1_11comp_targetILNS1_3genE8ELNS1_11target_archE1030ELNS1_3gpuE2ELNS1_3repE0EEENS1_30default_config_static_selectorELNS0_4arch9wavefront6targetE1EEEvT1_.kd
    .uniform_work_group_size: 1
    .uses_dynamic_stack: false
    .vgpr_count:     0
    .vgpr_spill_count: 0
    .wavefront_size: 64
  - .agpr_count:     0
    .args:
      - .offset:         0
        .size:           160
        .value_kind:     by_value
    .group_segment_fixed_size: 0
    .kernarg_segment_align: 8
    .kernarg_segment_size: 160
    .language:       OpenCL C
    .language_version:
      - 2
      - 0
    .max_flat_workgroup_size: 256
    .name:           _ZN7rocprim17ROCPRIM_400000_NS6detail17trampoline_kernelINS0_14default_configENS1_27scan_by_key_config_selectorIj11FixedVectorIiLj8EEEEZZNS1_16scan_by_key_implILNS1_25lookback_scan_determinismE0ELb1ES3_N6thrust23THRUST_200600_302600_NS6detail15normal_iteratorINSB_10device_ptrIjEEEENSD_INSE_IS6_EEEESI_S6_NSB_4plusIvEENSB_8equal_toIvEES6_EE10hipError_tPvRmT2_T3_T4_T5_mT6_T7_P12ihipStream_tbENKUlT_T0_E_clISt17integral_constantIbLb1EES13_EEDaSY_SZ_EUlSY_E_NS1_11comp_targetILNS1_3genE0ELNS1_11target_archE4294967295ELNS1_3gpuE0ELNS1_3repE0EEENS1_30default_config_static_selectorELNS0_4arch9wavefront6targetE1EEEvT1_
    .private_segment_fixed_size: 0
    .sgpr_count:     6
    .sgpr_spill_count: 0
    .symbol:         _ZN7rocprim17ROCPRIM_400000_NS6detail17trampoline_kernelINS0_14default_configENS1_27scan_by_key_config_selectorIj11FixedVectorIiLj8EEEEZZNS1_16scan_by_key_implILNS1_25lookback_scan_determinismE0ELb1ES3_N6thrust23THRUST_200600_302600_NS6detail15normal_iteratorINSB_10device_ptrIjEEEENSD_INSE_IS6_EEEESI_S6_NSB_4plusIvEENSB_8equal_toIvEES6_EE10hipError_tPvRmT2_T3_T4_T5_mT6_T7_P12ihipStream_tbENKUlT_T0_E_clISt17integral_constantIbLb1EES13_EEDaSY_SZ_EUlSY_E_NS1_11comp_targetILNS1_3genE0ELNS1_11target_archE4294967295ELNS1_3gpuE0ELNS1_3repE0EEENS1_30default_config_static_selectorELNS0_4arch9wavefront6targetE1EEEvT1_.kd
    .uniform_work_group_size: 1
    .uses_dynamic_stack: false
    .vgpr_count:     0
    .vgpr_spill_count: 0
    .wavefront_size: 64
  - .agpr_count:     0
    .args:
      - .offset:         0
        .size:           160
        .value_kind:     by_value
    .group_segment_fixed_size: 0
    .kernarg_segment_align: 8
    .kernarg_segment_size: 160
    .language:       OpenCL C
    .language_version:
      - 2
      - 0
    .max_flat_workgroup_size: 256
    .name:           _ZN7rocprim17ROCPRIM_400000_NS6detail17trampoline_kernelINS0_14default_configENS1_27scan_by_key_config_selectorIj11FixedVectorIiLj8EEEEZZNS1_16scan_by_key_implILNS1_25lookback_scan_determinismE0ELb1ES3_N6thrust23THRUST_200600_302600_NS6detail15normal_iteratorINSB_10device_ptrIjEEEENSD_INSE_IS6_EEEESI_S6_NSB_4plusIvEENSB_8equal_toIvEES6_EE10hipError_tPvRmT2_T3_T4_T5_mT6_T7_P12ihipStream_tbENKUlT_T0_E_clISt17integral_constantIbLb1EES13_EEDaSY_SZ_EUlSY_E_NS1_11comp_targetILNS1_3genE10ELNS1_11target_archE1201ELNS1_3gpuE5ELNS1_3repE0EEENS1_30default_config_static_selectorELNS0_4arch9wavefront6targetE1EEEvT1_
    .private_segment_fixed_size: 0
    .sgpr_count:     6
    .sgpr_spill_count: 0
    .symbol:         _ZN7rocprim17ROCPRIM_400000_NS6detail17trampoline_kernelINS0_14default_configENS1_27scan_by_key_config_selectorIj11FixedVectorIiLj8EEEEZZNS1_16scan_by_key_implILNS1_25lookback_scan_determinismE0ELb1ES3_N6thrust23THRUST_200600_302600_NS6detail15normal_iteratorINSB_10device_ptrIjEEEENSD_INSE_IS6_EEEESI_S6_NSB_4plusIvEENSB_8equal_toIvEES6_EE10hipError_tPvRmT2_T3_T4_T5_mT6_T7_P12ihipStream_tbENKUlT_T0_E_clISt17integral_constantIbLb1EES13_EEDaSY_SZ_EUlSY_E_NS1_11comp_targetILNS1_3genE10ELNS1_11target_archE1201ELNS1_3gpuE5ELNS1_3repE0EEENS1_30default_config_static_selectorELNS0_4arch9wavefront6targetE1EEEvT1_.kd
    .uniform_work_group_size: 1
    .uses_dynamic_stack: false
    .vgpr_count:     0
    .vgpr_spill_count: 0
    .wavefront_size: 64
  - .agpr_count:     0
    .args:
      - .offset:         0
        .size:           160
        .value_kind:     by_value
    .group_segment_fixed_size: 32768
    .kernarg_segment_align: 8
    .kernarg_segment_size: 160
    .language:       OpenCL C
    .language_version:
      - 2
      - 0
    .max_flat_workgroup_size: 256
    .name:           _ZN7rocprim17ROCPRIM_400000_NS6detail17trampoline_kernelINS0_14default_configENS1_27scan_by_key_config_selectorIj11FixedVectorIiLj8EEEEZZNS1_16scan_by_key_implILNS1_25lookback_scan_determinismE0ELb1ES3_N6thrust23THRUST_200600_302600_NS6detail15normal_iteratorINSB_10device_ptrIjEEEENSD_INSE_IS6_EEEESI_S6_NSB_4plusIvEENSB_8equal_toIvEES6_EE10hipError_tPvRmT2_T3_T4_T5_mT6_T7_P12ihipStream_tbENKUlT_T0_E_clISt17integral_constantIbLb1EES13_EEDaSY_SZ_EUlSY_E_NS1_11comp_targetILNS1_3genE5ELNS1_11target_archE942ELNS1_3gpuE9ELNS1_3repE0EEENS1_30default_config_static_selectorELNS0_4arch9wavefront6targetE1EEEvT1_
    .private_segment_fixed_size: 432
    .sgpr_count:     59
    .sgpr_spill_count: 0
    .symbol:         _ZN7rocprim17ROCPRIM_400000_NS6detail17trampoline_kernelINS0_14default_configENS1_27scan_by_key_config_selectorIj11FixedVectorIiLj8EEEEZZNS1_16scan_by_key_implILNS1_25lookback_scan_determinismE0ELb1ES3_N6thrust23THRUST_200600_302600_NS6detail15normal_iteratorINSB_10device_ptrIjEEEENSD_INSE_IS6_EEEESI_S6_NSB_4plusIvEENSB_8equal_toIvEES6_EE10hipError_tPvRmT2_T3_T4_T5_mT6_T7_P12ihipStream_tbENKUlT_T0_E_clISt17integral_constantIbLb1EES13_EEDaSY_SZ_EUlSY_E_NS1_11comp_targetILNS1_3genE5ELNS1_11target_archE942ELNS1_3gpuE9ELNS1_3repE0EEENS1_30default_config_static_selectorELNS0_4arch9wavefront6targetE1EEEvT1_.kd
    .uniform_work_group_size: 1
    .uses_dynamic_stack: false
    .vgpr_count:     42
    .vgpr_spill_count: 0
    .wavefront_size: 64
  - .agpr_count:     0
    .args:
      - .offset:         0
        .size:           160
        .value_kind:     by_value
    .group_segment_fixed_size: 0
    .kernarg_segment_align: 8
    .kernarg_segment_size: 160
    .language:       OpenCL C
    .language_version:
      - 2
      - 0
    .max_flat_workgroup_size: 256
    .name:           _ZN7rocprim17ROCPRIM_400000_NS6detail17trampoline_kernelINS0_14default_configENS1_27scan_by_key_config_selectorIj11FixedVectorIiLj8EEEEZZNS1_16scan_by_key_implILNS1_25lookback_scan_determinismE0ELb1ES3_N6thrust23THRUST_200600_302600_NS6detail15normal_iteratorINSB_10device_ptrIjEEEENSD_INSE_IS6_EEEESI_S6_NSB_4plusIvEENSB_8equal_toIvEES6_EE10hipError_tPvRmT2_T3_T4_T5_mT6_T7_P12ihipStream_tbENKUlT_T0_E_clISt17integral_constantIbLb1EES13_EEDaSY_SZ_EUlSY_E_NS1_11comp_targetILNS1_3genE4ELNS1_11target_archE910ELNS1_3gpuE8ELNS1_3repE0EEENS1_30default_config_static_selectorELNS0_4arch9wavefront6targetE1EEEvT1_
    .private_segment_fixed_size: 0
    .sgpr_count:     6
    .sgpr_spill_count: 0
    .symbol:         _ZN7rocprim17ROCPRIM_400000_NS6detail17trampoline_kernelINS0_14default_configENS1_27scan_by_key_config_selectorIj11FixedVectorIiLj8EEEEZZNS1_16scan_by_key_implILNS1_25lookback_scan_determinismE0ELb1ES3_N6thrust23THRUST_200600_302600_NS6detail15normal_iteratorINSB_10device_ptrIjEEEENSD_INSE_IS6_EEEESI_S6_NSB_4plusIvEENSB_8equal_toIvEES6_EE10hipError_tPvRmT2_T3_T4_T5_mT6_T7_P12ihipStream_tbENKUlT_T0_E_clISt17integral_constantIbLb1EES13_EEDaSY_SZ_EUlSY_E_NS1_11comp_targetILNS1_3genE4ELNS1_11target_archE910ELNS1_3gpuE8ELNS1_3repE0EEENS1_30default_config_static_selectorELNS0_4arch9wavefront6targetE1EEEvT1_.kd
    .uniform_work_group_size: 1
    .uses_dynamic_stack: false
    .vgpr_count:     0
    .vgpr_spill_count: 0
    .wavefront_size: 64
  - .agpr_count:     0
    .args:
      - .offset:         0
        .size:           160
        .value_kind:     by_value
    .group_segment_fixed_size: 0
    .kernarg_segment_align: 8
    .kernarg_segment_size: 160
    .language:       OpenCL C
    .language_version:
      - 2
      - 0
    .max_flat_workgroup_size: 256
    .name:           _ZN7rocprim17ROCPRIM_400000_NS6detail17trampoline_kernelINS0_14default_configENS1_27scan_by_key_config_selectorIj11FixedVectorIiLj8EEEEZZNS1_16scan_by_key_implILNS1_25lookback_scan_determinismE0ELb1ES3_N6thrust23THRUST_200600_302600_NS6detail15normal_iteratorINSB_10device_ptrIjEEEENSD_INSE_IS6_EEEESI_S6_NSB_4plusIvEENSB_8equal_toIvEES6_EE10hipError_tPvRmT2_T3_T4_T5_mT6_T7_P12ihipStream_tbENKUlT_T0_E_clISt17integral_constantIbLb1EES13_EEDaSY_SZ_EUlSY_E_NS1_11comp_targetILNS1_3genE3ELNS1_11target_archE908ELNS1_3gpuE7ELNS1_3repE0EEENS1_30default_config_static_selectorELNS0_4arch9wavefront6targetE1EEEvT1_
    .private_segment_fixed_size: 0
    .sgpr_count:     6
    .sgpr_spill_count: 0
    .symbol:         _ZN7rocprim17ROCPRIM_400000_NS6detail17trampoline_kernelINS0_14default_configENS1_27scan_by_key_config_selectorIj11FixedVectorIiLj8EEEEZZNS1_16scan_by_key_implILNS1_25lookback_scan_determinismE0ELb1ES3_N6thrust23THRUST_200600_302600_NS6detail15normal_iteratorINSB_10device_ptrIjEEEENSD_INSE_IS6_EEEESI_S6_NSB_4plusIvEENSB_8equal_toIvEES6_EE10hipError_tPvRmT2_T3_T4_T5_mT6_T7_P12ihipStream_tbENKUlT_T0_E_clISt17integral_constantIbLb1EES13_EEDaSY_SZ_EUlSY_E_NS1_11comp_targetILNS1_3genE3ELNS1_11target_archE908ELNS1_3gpuE7ELNS1_3repE0EEENS1_30default_config_static_selectorELNS0_4arch9wavefront6targetE1EEEvT1_.kd
    .uniform_work_group_size: 1
    .uses_dynamic_stack: false
    .vgpr_count:     0
    .vgpr_spill_count: 0
    .wavefront_size: 64
  - .agpr_count:     0
    .args:
      - .offset:         0
        .size:           160
        .value_kind:     by_value
    .group_segment_fixed_size: 0
    .kernarg_segment_align: 8
    .kernarg_segment_size: 160
    .language:       OpenCL C
    .language_version:
      - 2
      - 0
    .max_flat_workgroup_size: 256
    .name:           _ZN7rocprim17ROCPRIM_400000_NS6detail17trampoline_kernelINS0_14default_configENS1_27scan_by_key_config_selectorIj11FixedVectorIiLj8EEEEZZNS1_16scan_by_key_implILNS1_25lookback_scan_determinismE0ELb1ES3_N6thrust23THRUST_200600_302600_NS6detail15normal_iteratorINSB_10device_ptrIjEEEENSD_INSE_IS6_EEEESI_S6_NSB_4plusIvEENSB_8equal_toIvEES6_EE10hipError_tPvRmT2_T3_T4_T5_mT6_T7_P12ihipStream_tbENKUlT_T0_E_clISt17integral_constantIbLb1EES13_EEDaSY_SZ_EUlSY_E_NS1_11comp_targetILNS1_3genE2ELNS1_11target_archE906ELNS1_3gpuE6ELNS1_3repE0EEENS1_30default_config_static_selectorELNS0_4arch9wavefront6targetE1EEEvT1_
    .private_segment_fixed_size: 0
    .sgpr_count:     6
    .sgpr_spill_count: 0
    .symbol:         _ZN7rocprim17ROCPRIM_400000_NS6detail17trampoline_kernelINS0_14default_configENS1_27scan_by_key_config_selectorIj11FixedVectorIiLj8EEEEZZNS1_16scan_by_key_implILNS1_25lookback_scan_determinismE0ELb1ES3_N6thrust23THRUST_200600_302600_NS6detail15normal_iteratorINSB_10device_ptrIjEEEENSD_INSE_IS6_EEEESI_S6_NSB_4plusIvEENSB_8equal_toIvEES6_EE10hipError_tPvRmT2_T3_T4_T5_mT6_T7_P12ihipStream_tbENKUlT_T0_E_clISt17integral_constantIbLb1EES13_EEDaSY_SZ_EUlSY_E_NS1_11comp_targetILNS1_3genE2ELNS1_11target_archE906ELNS1_3gpuE6ELNS1_3repE0EEENS1_30default_config_static_selectorELNS0_4arch9wavefront6targetE1EEEvT1_.kd
    .uniform_work_group_size: 1
    .uses_dynamic_stack: false
    .vgpr_count:     0
    .vgpr_spill_count: 0
    .wavefront_size: 64
  - .agpr_count:     0
    .args:
      - .offset:         0
        .size:           160
        .value_kind:     by_value
    .group_segment_fixed_size: 0
    .kernarg_segment_align: 8
    .kernarg_segment_size: 160
    .language:       OpenCL C
    .language_version:
      - 2
      - 0
    .max_flat_workgroup_size: 256
    .name:           _ZN7rocprim17ROCPRIM_400000_NS6detail17trampoline_kernelINS0_14default_configENS1_27scan_by_key_config_selectorIj11FixedVectorIiLj8EEEEZZNS1_16scan_by_key_implILNS1_25lookback_scan_determinismE0ELb1ES3_N6thrust23THRUST_200600_302600_NS6detail15normal_iteratorINSB_10device_ptrIjEEEENSD_INSE_IS6_EEEESI_S6_NSB_4plusIvEENSB_8equal_toIvEES6_EE10hipError_tPvRmT2_T3_T4_T5_mT6_T7_P12ihipStream_tbENKUlT_T0_E_clISt17integral_constantIbLb1EES13_EEDaSY_SZ_EUlSY_E_NS1_11comp_targetILNS1_3genE10ELNS1_11target_archE1200ELNS1_3gpuE4ELNS1_3repE0EEENS1_30default_config_static_selectorELNS0_4arch9wavefront6targetE1EEEvT1_
    .private_segment_fixed_size: 0
    .sgpr_count:     6
    .sgpr_spill_count: 0
    .symbol:         _ZN7rocprim17ROCPRIM_400000_NS6detail17trampoline_kernelINS0_14default_configENS1_27scan_by_key_config_selectorIj11FixedVectorIiLj8EEEEZZNS1_16scan_by_key_implILNS1_25lookback_scan_determinismE0ELb1ES3_N6thrust23THRUST_200600_302600_NS6detail15normal_iteratorINSB_10device_ptrIjEEEENSD_INSE_IS6_EEEESI_S6_NSB_4plusIvEENSB_8equal_toIvEES6_EE10hipError_tPvRmT2_T3_T4_T5_mT6_T7_P12ihipStream_tbENKUlT_T0_E_clISt17integral_constantIbLb1EES13_EEDaSY_SZ_EUlSY_E_NS1_11comp_targetILNS1_3genE10ELNS1_11target_archE1200ELNS1_3gpuE4ELNS1_3repE0EEENS1_30default_config_static_selectorELNS0_4arch9wavefront6targetE1EEEvT1_.kd
    .uniform_work_group_size: 1
    .uses_dynamic_stack: false
    .vgpr_count:     0
    .vgpr_spill_count: 0
    .wavefront_size: 64
  - .agpr_count:     0
    .args:
      - .offset:         0
        .size:           160
        .value_kind:     by_value
    .group_segment_fixed_size: 0
    .kernarg_segment_align: 8
    .kernarg_segment_size: 160
    .language:       OpenCL C
    .language_version:
      - 2
      - 0
    .max_flat_workgroup_size: 256
    .name:           _ZN7rocprim17ROCPRIM_400000_NS6detail17trampoline_kernelINS0_14default_configENS1_27scan_by_key_config_selectorIj11FixedVectorIiLj8EEEEZZNS1_16scan_by_key_implILNS1_25lookback_scan_determinismE0ELb1ES3_N6thrust23THRUST_200600_302600_NS6detail15normal_iteratorINSB_10device_ptrIjEEEENSD_INSE_IS6_EEEESI_S6_NSB_4plusIvEENSB_8equal_toIvEES6_EE10hipError_tPvRmT2_T3_T4_T5_mT6_T7_P12ihipStream_tbENKUlT_T0_E_clISt17integral_constantIbLb1EES13_EEDaSY_SZ_EUlSY_E_NS1_11comp_targetILNS1_3genE9ELNS1_11target_archE1100ELNS1_3gpuE3ELNS1_3repE0EEENS1_30default_config_static_selectorELNS0_4arch9wavefront6targetE1EEEvT1_
    .private_segment_fixed_size: 0
    .sgpr_count:     6
    .sgpr_spill_count: 0
    .symbol:         _ZN7rocprim17ROCPRIM_400000_NS6detail17trampoline_kernelINS0_14default_configENS1_27scan_by_key_config_selectorIj11FixedVectorIiLj8EEEEZZNS1_16scan_by_key_implILNS1_25lookback_scan_determinismE0ELb1ES3_N6thrust23THRUST_200600_302600_NS6detail15normal_iteratorINSB_10device_ptrIjEEEENSD_INSE_IS6_EEEESI_S6_NSB_4plusIvEENSB_8equal_toIvEES6_EE10hipError_tPvRmT2_T3_T4_T5_mT6_T7_P12ihipStream_tbENKUlT_T0_E_clISt17integral_constantIbLb1EES13_EEDaSY_SZ_EUlSY_E_NS1_11comp_targetILNS1_3genE9ELNS1_11target_archE1100ELNS1_3gpuE3ELNS1_3repE0EEENS1_30default_config_static_selectorELNS0_4arch9wavefront6targetE1EEEvT1_.kd
    .uniform_work_group_size: 1
    .uses_dynamic_stack: false
    .vgpr_count:     0
    .vgpr_spill_count: 0
    .wavefront_size: 64
  - .agpr_count:     0
    .args:
      - .offset:         0
        .size:           160
        .value_kind:     by_value
    .group_segment_fixed_size: 0
    .kernarg_segment_align: 8
    .kernarg_segment_size: 160
    .language:       OpenCL C
    .language_version:
      - 2
      - 0
    .max_flat_workgroup_size: 256
    .name:           _ZN7rocprim17ROCPRIM_400000_NS6detail17trampoline_kernelINS0_14default_configENS1_27scan_by_key_config_selectorIj11FixedVectorIiLj8EEEEZZNS1_16scan_by_key_implILNS1_25lookback_scan_determinismE0ELb1ES3_N6thrust23THRUST_200600_302600_NS6detail15normal_iteratorINSB_10device_ptrIjEEEENSD_INSE_IS6_EEEESI_S6_NSB_4plusIvEENSB_8equal_toIvEES6_EE10hipError_tPvRmT2_T3_T4_T5_mT6_T7_P12ihipStream_tbENKUlT_T0_E_clISt17integral_constantIbLb1EES13_EEDaSY_SZ_EUlSY_E_NS1_11comp_targetILNS1_3genE8ELNS1_11target_archE1030ELNS1_3gpuE2ELNS1_3repE0EEENS1_30default_config_static_selectorELNS0_4arch9wavefront6targetE1EEEvT1_
    .private_segment_fixed_size: 0
    .sgpr_count:     6
    .sgpr_spill_count: 0
    .symbol:         _ZN7rocprim17ROCPRIM_400000_NS6detail17trampoline_kernelINS0_14default_configENS1_27scan_by_key_config_selectorIj11FixedVectorIiLj8EEEEZZNS1_16scan_by_key_implILNS1_25lookback_scan_determinismE0ELb1ES3_N6thrust23THRUST_200600_302600_NS6detail15normal_iteratorINSB_10device_ptrIjEEEENSD_INSE_IS6_EEEESI_S6_NSB_4plusIvEENSB_8equal_toIvEES6_EE10hipError_tPvRmT2_T3_T4_T5_mT6_T7_P12ihipStream_tbENKUlT_T0_E_clISt17integral_constantIbLb1EES13_EEDaSY_SZ_EUlSY_E_NS1_11comp_targetILNS1_3genE8ELNS1_11target_archE1030ELNS1_3gpuE2ELNS1_3repE0EEENS1_30default_config_static_selectorELNS0_4arch9wavefront6targetE1EEEvT1_.kd
    .uniform_work_group_size: 1
    .uses_dynamic_stack: false
    .vgpr_count:     0
    .vgpr_spill_count: 0
    .wavefront_size: 64
  - .agpr_count:     0
    .args:
      - .offset:         0
        .size:           160
        .value_kind:     by_value
    .group_segment_fixed_size: 0
    .kernarg_segment_align: 8
    .kernarg_segment_size: 160
    .language:       OpenCL C
    .language_version:
      - 2
      - 0
    .max_flat_workgroup_size: 256
    .name:           _ZN7rocprim17ROCPRIM_400000_NS6detail17trampoline_kernelINS0_14default_configENS1_27scan_by_key_config_selectorIj11FixedVectorIiLj8EEEEZZNS1_16scan_by_key_implILNS1_25lookback_scan_determinismE0ELb1ES3_N6thrust23THRUST_200600_302600_NS6detail15normal_iteratorINSB_10device_ptrIjEEEENSD_INSE_IS6_EEEESI_S6_NSB_4plusIvEENSB_8equal_toIvEES6_EE10hipError_tPvRmT2_T3_T4_T5_mT6_T7_P12ihipStream_tbENKUlT_T0_E_clISt17integral_constantIbLb1EES12_IbLb0EEEEDaSY_SZ_EUlSY_E_NS1_11comp_targetILNS1_3genE0ELNS1_11target_archE4294967295ELNS1_3gpuE0ELNS1_3repE0EEENS1_30default_config_static_selectorELNS0_4arch9wavefront6targetE1EEEvT1_
    .private_segment_fixed_size: 0
    .sgpr_count:     6
    .sgpr_spill_count: 0
    .symbol:         _ZN7rocprim17ROCPRIM_400000_NS6detail17trampoline_kernelINS0_14default_configENS1_27scan_by_key_config_selectorIj11FixedVectorIiLj8EEEEZZNS1_16scan_by_key_implILNS1_25lookback_scan_determinismE0ELb1ES3_N6thrust23THRUST_200600_302600_NS6detail15normal_iteratorINSB_10device_ptrIjEEEENSD_INSE_IS6_EEEESI_S6_NSB_4plusIvEENSB_8equal_toIvEES6_EE10hipError_tPvRmT2_T3_T4_T5_mT6_T7_P12ihipStream_tbENKUlT_T0_E_clISt17integral_constantIbLb1EES12_IbLb0EEEEDaSY_SZ_EUlSY_E_NS1_11comp_targetILNS1_3genE0ELNS1_11target_archE4294967295ELNS1_3gpuE0ELNS1_3repE0EEENS1_30default_config_static_selectorELNS0_4arch9wavefront6targetE1EEEvT1_.kd
    .uniform_work_group_size: 1
    .uses_dynamic_stack: false
    .vgpr_count:     0
    .vgpr_spill_count: 0
    .wavefront_size: 64
  - .agpr_count:     0
    .args:
      - .offset:         0
        .size:           160
        .value_kind:     by_value
    .group_segment_fixed_size: 0
    .kernarg_segment_align: 8
    .kernarg_segment_size: 160
    .language:       OpenCL C
    .language_version:
      - 2
      - 0
    .max_flat_workgroup_size: 256
    .name:           _ZN7rocprim17ROCPRIM_400000_NS6detail17trampoline_kernelINS0_14default_configENS1_27scan_by_key_config_selectorIj11FixedVectorIiLj8EEEEZZNS1_16scan_by_key_implILNS1_25lookback_scan_determinismE0ELb1ES3_N6thrust23THRUST_200600_302600_NS6detail15normal_iteratorINSB_10device_ptrIjEEEENSD_INSE_IS6_EEEESI_S6_NSB_4plusIvEENSB_8equal_toIvEES6_EE10hipError_tPvRmT2_T3_T4_T5_mT6_T7_P12ihipStream_tbENKUlT_T0_E_clISt17integral_constantIbLb1EES12_IbLb0EEEEDaSY_SZ_EUlSY_E_NS1_11comp_targetILNS1_3genE10ELNS1_11target_archE1201ELNS1_3gpuE5ELNS1_3repE0EEENS1_30default_config_static_selectorELNS0_4arch9wavefront6targetE1EEEvT1_
    .private_segment_fixed_size: 0
    .sgpr_count:     6
    .sgpr_spill_count: 0
    .symbol:         _ZN7rocprim17ROCPRIM_400000_NS6detail17trampoline_kernelINS0_14default_configENS1_27scan_by_key_config_selectorIj11FixedVectorIiLj8EEEEZZNS1_16scan_by_key_implILNS1_25lookback_scan_determinismE0ELb1ES3_N6thrust23THRUST_200600_302600_NS6detail15normal_iteratorINSB_10device_ptrIjEEEENSD_INSE_IS6_EEEESI_S6_NSB_4plusIvEENSB_8equal_toIvEES6_EE10hipError_tPvRmT2_T3_T4_T5_mT6_T7_P12ihipStream_tbENKUlT_T0_E_clISt17integral_constantIbLb1EES12_IbLb0EEEEDaSY_SZ_EUlSY_E_NS1_11comp_targetILNS1_3genE10ELNS1_11target_archE1201ELNS1_3gpuE5ELNS1_3repE0EEENS1_30default_config_static_selectorELNS0_4arch9wavefront6targetE1EEEvT1_.kd
    .uniform_work_group_size: 1
    .uses_dynamic_stack: false
    .vgpr_count:     0
    .vgpr_spill_count: 0
    .wavefront_size: 64
  - .agpr_count:     0
    .args:
      - .offset:         0
        .size:           160
        .value_kind:     by_value
    .group_segment_fixed_size: 32768
    .kernarg_segment_align: 8
    .kernarg_segment_size: 160
    .language:       OpenCL C
    .language_version:
      - 2
      - 0
    .max_flat_workgroup_size: 256
    .name:           _ZN7rocprim17ROCPRIM_400000_NS6detail17trampoline_kernelINS0_14default_configENS1_27scan_by_key_config_selectorIj11FixedVectorIiLj8EEEEZZNS1_16scan_by_key_implILNS1_25lookback_scan_determinismE0ELb1ES3_N6thrust23THRUST_200600_302600_NS6detail15normal_iteratorINSB_10device_ptrIjEEEENSD_INSE_IS6_EEEESI_S6_NSB_4plusIvEENSB_8equal_toIvEES6_EE10hipError_tPvRmT2_T3_T4_T5_mT6_T7_P12ihipStream_tbENKUlT_T0_E_clISt17integral_constantIbLb1EES12_IbLb0EEEEDaSY_SZ_EUlSY_E_NS1_11comp_targetILNS1_3genE5ELNS1_11target_archE942ELNS1_3gpuE9ELNS1_3repE0EEENS1_30default_config_static_selectorELNS0_4arch9wavefront6targetE1EEEvT1_
    .private_segment_fixed_size: 432
    .sgpr_count:     56
    .sgpr_spill_count: 0
    .symbol:         _ZN7rocprim17ROCPRIM_400000_NS6detail17trampoline_kernelINS0_14default_configENS1_27scan_by_key_config_selectorIj11FixedVectorIiLj8EEEEZZNS1_16scan_by_key_implILNS1_25lookback_scan_determinismE0ELb1ES3_N6thrust23THRUST_200600_302600_NS6detail15normal_iteratorINSB_10device_ptrIjEEEENSD_INSE_IS6_EEEESI_S6_NSB_4plusIvEENSB_8equal_toIvEES6_EE10hipError_tPvRmT2_T3_T4_T5_mT6_T7_P12ihipStream_tbENKUlT_T0_E_clISt17integral_constantIbLb1EES12_IbLb0EEEEDaSY_SZ_EUlSY_E_NS1_11comp_targetILNS1_3genE5ELNS1_11target_archE942ELNS1_3gpuE9ELNS1_3repE0EEENS1_30default_config_static_selectorELNS0_4arch9wavefront6targetE1EEEvT1_.kd
    .uniform_work_group_size: 1
    .uses_dynamic_stack: false
    .vgpr_count:     42
    .vgpr_spill_count: 0
    .wavefront_size: 64
  - .agpr_count:     0
    .args:
      - .offset:         0
        .size:           160
        .value_kind:     by_value
    .group_segment_fixed_size: 0
    .kernarg_segment_align: 8
    .kernarg_segment_size: 160
    .language:       OpenCL C
    .language_version:
      - 2
      - 0
    .max_flat_workgroup_size: 256
    .name:           _ZN7rocprim17ROCPRIM_400000_NS6detail17trampoline_kernelINS0_14default_configENS1_27scan_by_key_config_selectorIj11FixedVectorIiLj8EEEEZZNS1_16scan_by_key_implILNS1_25lookback_scan_determinismE0ELb1ES3_N6thrust23THRUST_200600_302600_NS6detail15normal_iteratorINSB_10device_ptrIjEEEENSD_INSE_IS6_EEEESI_S6_NSB_4plusIvEENSB_8equal_toIvEES6_EE10hipError_tPvRmT2_T3_T4_T5_mT6_T7_P12ihipStream_tbENKUlT_T0_E_clISt17integral_constantIbLb1EES12_IbLb0EEEEDaSY_SZ_EUlSY_E_NS1_11comp_targetILNS1_3genE4ELNS1_11target_archE910ELNS1_3gpuE8ELNS1_3repE0EEENS1_30default_config_static_selectorELNS0_4arch9wavefront6targetE1EEEvT1_
    .private_segment_fixed_size: 0
    .sgpr_count:     6
    .sgpr_spill_count: 0
    .symbol:         _ZN7rocprim17ROCPRIM_400000_NS6detail17trampoline_kernelINS0_14default_configENS1_27scan_by_key_config_selectorIj11FixedVectorIiLj8EEEEZZNS1_16scan_by_key_implILNS1_25lookback_scan_determinismE0ELb1ES3_N6thrust23THRUST_200600_302600_NS6detail15normal_iteratorINSB_10device_ptrIjEEEENSD_INSE_IS6_EEEESI_S6_NSB_4plusIvEENSB_8equal_toIvEES6_EE10hipError_tPvRmT2_T3_T4_T5_mT6_T7_P12ihipStream_tbENKUlT_T0_E_clISt17integral_constantIbLb1EES12_IbLb0EEEEDaSY_SZ_EUlSY_E_NS1_11comp_targetILNS1_3genE4ELNS1_11target_archE910ELNS1_3gpuE8ELNS1_3repE0EEENS1_30default_config_static_selectorELNS0_4arch9wavefront6targetE1EEEvT1_.kd
    .uniform_work_group_size: 1
    .uses_dynamic_stack: false
    .vgpr_count:     0
    .vgpr_spill_count: 0
    .wavefront_size: 64
  - .agpr_count:     0
    .args:
      - .offset:         0
        .size:           160
        .value_kind:     by_value
    .group_segment_fixed_size: 0
    .kernarg_segment_align: 8
    .kernarg_segment_size: 160
    .language:       OpenCL C
    .language_version:
      - 2
      - 0
    .max_flat_workgroup_size: 256
    .name:           _ZN7rocprim17ROCPRIM_400000_NS6detail17trampoline_kernelINS0_14default_configENS1_27scan_by_key_config_selectorIj11FixedVectorIiLj8EEEEZZNS1_16scan_by_key_implILNS1_25lookback_scan_determinismE0ELb1ES3_N6thrust23THRUST_200600_302600_NS6detail15normal_iteratorINSB_10device_ptrIjEEEENSD_INSE_IS6_EEEESI_S6_NSB_4plusIvEENSB_8equal_toIvEES6_EE10hipError_tPvRmT2_T3_T4_T5_mT6_T7_P12ihipStream_tbENKUlT_T0_E_clISt17integral_constantIbLb1EES12_IbLb0EEEEDaSY_SZ_EUlSY_E_NS1_11comp_targetILNS1_3genE3ELNS1_11target_archE908ELNS1_3gpuE7ELNS1_3repE0EEENS1_30default_config_static_selectorELNS0_4arch9wavefront6targetE1EEEvT1_
    .private_segment_fixed_size: 0
    .sgpr_count:     6
    .sgpr_spill_count: 0
    .symbol:         _ZN7rocprim17ROCPRIM_400000_NS6detail17trampoline_kernelINS0_14default_configENS1_27scan_by_key_config_selectorIj11FixedVectorIiLj8EEEEZZNS1_16scan_by_key_implILNS1_25lookback_scan_determinismE0ELb1ES3_N6thrust23THRUST_200600_302600_NS6detail15normal_iteratorINSB_10device_ptrIjEEEENSD_INSE_IS6_EEEESI_S6_NSB_4plusIvEENSB_8equal_toIvEES6_EE10hipError_tPvRmT2_T3_T4_T5_mT6_T7_P12ihipStream_tbENKUlT_T0_E_clISt17integral_constantIbLb1EES12_IbLb0EEEEDaSY_SZ_EUlSY_E_NS1_11comp_targetILNS1_3genE3ELNS1_11target_archE908ELNS1_3gpuE7ELNS1_3repE0EEENS1_30default_config_static_selectorELNS0_4arch9wavefront6targetE1EEEvT1_.kd
    .uniform_work_group_size: 1
    .uses_dynamic_stack: false
    .vgpr_count:     0
    .vgpr_spill_count: 0
    .wavefront_size: 64
  - .agpr_count:     0
    .args:
      - .offset:         0
        .size:           160
        .value_kind:     by_value
    .group_segment_fixed_size: 0
    .kernarg_segment_align: 8
    .kernarg_segment_size: 160
    .language:       OpenCL C
    .language_version:
      - 2
      - 0
    .max_flat_workgroup_size: 256
    .name:           _ZN7rocprim17ROCPRIM_400000_NS6detail17trampoline_kernelINS0_14default_configENS1_27scan_by_key_config_selectorIj11FixedVectorIiLj8EEEEZZNS1_16scan_by_key_implILNS1_25lookback_scan_determinismE0ELb1ES3_N6thrust23THRUST_200600_302600_NS6detail15normal_iteratorINSB_10device_ptrIjEEEENSD_INSE_IS6_EEEESI_S6_NSB_4plusIvEENSB_8equal_toIvEES6_EE10hipError_tPvRmT2_T3_T4_T5_mT6_T7_P12ihipStream_tbENKUlT_T0_E_clISt17integral_constantIbLb1EES12_IbLb0EEEEDaSY_SZ_EUlSY_E_NS1_11comp_targetILNS1_3genE2ELNS1_11target_archE906ELNS1_3gpuE6ELNS1_3repE0EEENS1_30default_config_static_selectorELNS0_4arch9wavefront6targetE1EEEvT1_
    .private_segment_fixed_size: 0
    .sgpr_count:     6
    .sgpr_spill_count: 0
    .symbol:         _ZN7rocprim17ROCPRIM_400000_NS6detail17trampoline_kernelINS0_14default_configENS1_27scan_by_key_config_selectorIj11FixedVectorIiLj8EEEEZZNS1_16scan_by_key_implILNS1_25lookback_scan_determinismE0ELb1ES3_N6thrust23THRUST_200600_302600_NS6detail15normal_iteratorINSB_10device_ptrIjEEEENSD_INSE_IS6_EEEESI_S6_NSB_4plusIvEENSB_8equal_toIvEES6_EE10hipError_tPvRmT2_T3_T4_T5_mT6_T7_P12ihipStream_tbENKUlT_T0_E_clISt17integral_constantIbLb1EES12_IbLb0EEEEDaSY_SZ_EUlSY_E_NS1_11comp_targetILNS1_3genE2ELNS1_11target_archE906ELNS1_3gpuE6ELNS1_3repE0EEENS1_30default_config_static_selectorELNS0_4arch9wavefront6targetE1EEEvT1_.kd
    .uniform_work_group_size: 1
    .uses_dynamic_stack: false
    .vgpr_count:     0
    .vgpr_spill_count: 0
    .wavefront_size: 64
  - .agpr_count:     0
    .args:
      - .offset:         0
        .size:           160
        .value_kind:     by_value
    .group_segment_fixed_size: 0
    .kernarg_segment_align: 8
    .kernarg_segment_size: 160
    .language:       OpenCL C
    .language_version:
      - 2
      - 0
    .max_flat_workgroup_size: 256
    .name:           _ZN7rocprim17ROCPRIM_400000_NS6detail17trampoline_kernelINS0_14default_configENS1_27scan_by_key_config_selectorIj11FixedVectorIiLj8EEEEZZNS1_16scan_by_key_implILNS1_25lookback_scan_determinismE0ELb1ES3_N6thrust23THRUST_200600_302600_NS6detail15normal_iteratorINSB_10device_ptrIjEEEENSD_INSE_IS6_EEEESI_S6_NSB_4plusIvEENSB_8equal_toIvEES6_EE10hipError_tPvRmT2_T3_T4_T5_mT6_T7_P12ihipStream_tbENKUlT_T0_E_clISt17integral_constantIbLb1EES12_IbLb0EEEEDaSY_SZ_EUlSY_E_NS1_11comp_targetILNS1_3genE10ELNS1_11target_archE1200ELNS1_3gpuE4ELNS1_3repE0EEENS1_30default_config_static_selectorELNS0_4arch9wavefront6targetE1EEEvT1_
    .private_segment_fixed_size: 0
    .sgpr_count:     6
    .sgpr_spill_count: 0
    .symbol:         _ZN7rocprim17ROCPRIM_400000_NS6detail17trampoline_kernelINS0_14default_configENS1_27scan_by_key_config_selectorIj11FixedVectorIiLj8EEEEZZNS1_16scan_by_key_implILNS1_25lookback_scan_determinismE0ELb1ES3_N6thrust23THRUST_200600_302600_NS6detail15normal_iteratorINSB_10device_ptrIjEEEENSD_INSE_IS6_EEEESI_S6_NSB_4plusIvEENSB_8equal_toIvEES6_EE10hipError_tPvRmT2_T3_T4_T5_mT6_T7_P12ihipStream_tbENKUlT_T0_E_clISt17integral_constantIbLb1EES12_IbLb0EEEEDaSY_SZ_EUlSY_E_NS1_11comp_targetILNS1_3genE10ELNS1_11target_archE1200ELNS1_3gpuE4ELNS1_3repE0EEENS1_30default_config_static_selectorELNS0_4arch9wavefront6targetE1EEEvT1_.kd
    .uniform_work_group_size: 1
    .uses_dynamic_stack: false
    .vgpr_count:     0
    .vgpr_spill_count: 0
    .wavefront_size: 64
  - .agpr_count:     0
    .args:
      - .offset:         0
        .size:           160
        .value_kind:     by_value
    .group_segment_fixed_size: 0
    .kernarg_segment_align: 8
    .kernarg_segment_size: 160
    .language:       OpenCL C
    .language_version:
      - 2
      - 0
    .max_flat_workgroup_size: 256
    .name:           _ZN7rocprim17ROCPRIM_400000_NS6detail17trampoline_kernelINS0_14default_configENS1_27scan_by_key_config_selectorIj11FixedVectorIiLj8EEEEZZNS1_16scan_by_key_implILNS1_25lookback_scan_determinismE0ELb1ES3_N6thrust23THRUST_200600_302600_NS6detail15normal_iteratorINSB_10device_ptrIjEEEENSD_INSE_IS6_EEEESI_S6_NSB_4plusIvEENSB_8equal_toIvEES6_EE10hipError_tPvRmT2_T3_T4_T5_mT6_T7_P12ihipStream_tbENKUlT_T0_E_clISt17integral_constantIbLb1EES12_IbLb0EEEEDaSY_SZ_EUlSY_E_NS1_11comp_targetILNS1_3genE9ELNS1_11target_archE1100ELNS1_3gpuE3ELNS1_3repE0EEENS1_30default_config_static_selectorELNS0_4arch9wavefront6targetE1EEEvT1_
    .private_segment_fixed_size: 0
    .sgpr_count:     6
    .sgpr_spill_count: 0
    .symbol:         _ZN7rocprim17ROCPRIM_400000_NS6detail17trampoline_kernelINS0_14default_configENS1_27scan_by_key_config_selectorIj11FixedVectorIiLj8EEEEZZNS1_16scan_by_key_implILNS1_25lookback_scan_determinismE0ELb1ES3_N6thrust23THRUST_200600_302600_NS6detail15normal_iteratorINSB_10device_ptrIjEEEENSD_INSE_IS6_EEEESI_S6_NSB_4plusIvEENSB_8equal_toIvEES6_EE10hipError_tPvRmT2_T3_T4_T5_mT6_T7_P12ihipStream_tbENKUlT_T0_E_clISt17integral_constantIbLb1EES12_IbLb0EEEEDaSY_SZ_EUlSY_E_NS1_11comp_targetILNS1_3genE9ELNS1_11target_archE1100ELNS1_3gpuE3ELNS1_3repE0EEENS1_30default_config_static_selectorELNS0_4arch9wavefront6targetE1EEEvT1_.kd
    .uniform_work_group_size: 1
    .uses_dynamic_stack: false
    .vgpr_count:     0
    .vgpr_spill_count: 0
    .wavefront_size: 64
  - .agpr_count:     0
    .args:
      - .offset:         0
        .size:           160
        .value_kind:     by_value
    .group_segment_fixed_size: 0
    .kernarg_segment_align: 8
    .kernarg_segment_size: 160
    .language:       OpenCL C
    .language_version:
      - 2
      - 0
    .max_flat_workgroup_size: 256
    .name:           _ZN7rocprim17ROCPRIM_400000_NS6detail17trampoline_kernelINS0_14default_configENS1_27scan_by_key_config_selectorIj11FixedVectorIiLj8EEEEZZNS1_16scan_by_key_implILNS1_25lookback_scan_determinismE0ELb1ES3_N6thrust23THRUST_200600_302600_NS6detail15normal_iteratorINSB_10device_ptrIjEEEENSD_INSE_IS6_EEEESI_S6_NSB_4plusIvEENSB_8equal_toIvEES6_EE10hipError_tPvRmT2_T3_T4_T5_mT6_T7_P12ihipStream_tbENKUlT_T0_E_clISt17integral_constantIbLb1EES12_IbLb0EEEEDaSY_SZ_EUlSY_E_NS1_11comp_targetILNS1_3genE8ELNS1_11target_archE1030ELNS1_3gpuE2ELNS1_3repE0EEENS1_30default_config_static_selectorELNS0_4arch9wavefront6targetE1EEEvT1_
    .private_segment_fixed_size: 0
    .sgpr_count:     6
    .sgpr_spill_count: 0
    .symbol:         _ZN7rocprim17ROCPRIM_400000_NS6detail17trampoline_kernelINS0_14default_configENS1_27scan_by_key_config_selectorIj11FixedVectorIiLj8EEEEZZNS1_16scan_by_key_implILNS1_25lookback_scan_determinismE0ELb1ES3_N6thrust23THRUST_200600_302600_NS6detail15normal_iteratorINSB_10device_ptrIjEEEENSD_INSE_IS6_EEEESI_S6_NSB_4plusIvEENSB_8equal_toIvEES6_EE10hipError_tPvRmT2_T3_T4_T5_mT6_T7_P12ihipStream_tbENKUlT_T0_E_clISt17integral_constantIbLb1EES12_IbLb0EEEEDaSY_SZ_EUlSY_E_NS1_11comp_targetILNS1_3genE8ELNS1_11target_archE1030ELNS1_3gpuE2ELNS1_3repE0EEENS1_30default_config_static_selectorELNS0_4arch9wavefront6targetE1EEEvT1_.kd
    .uniform_work_group_size: 1
    .uses_dynamic_stack: false
    .vgpr_count:     0
    .vgpr_spill_count: 0
    .wavefront_size: 64
  - .agpr_count:     0
    .args:
      - .offset:         0
        .size:           160
        .value_kind:     by_value
    .group_segment_fixed_size: 0
    .kernarg_segment_align: 8
    .kernarg_segment_size: 160
    .language:       OpenCL C
    .language_version:
      - 2
      - 0
    .max_flat_workgroup_size: 256
    .name:           _ZN7rocprim17ROCPRIM_400000_NS6detail17trampoline_kernelINS0_14default_configENS1_27scan_by_key_config_selectorIj11FixedVectorIiLj8EEEEZZNS1_16scan_by_key_implILNS1_25lookback_scan_determinismE0ELb1ES3_N6thrust23THRUST_200600_302600_NS6detail15normal_iteratorINSB_10device_ptrIjEEEENSD_INSE_IS6_EEEESI_S6_NSB_4plusIvEENSB_8equal_toIvEES6_EE10hipError_tPvRmT2_T3_T4_T5_mT6_T7_P12ihipStream_tbENKUlT_T0_E_clISt17integral_constantIbLb0EES12_IbLb1EEEEDaSY_SZ_EUlSY_E_NS1_11comp_targetILNS1_3genE0ELNS1_11target_archE4294967295ELNS1_3gpuE0ELNS1_3repE0EEENS1_30default_config_static_selectorELNS0_4arch9wavefront6targetE1EEEvT1_
    .private_segment_fixed_size: 0
    .sgpr_count:     6
    .sgpr_spill_count: 0
    .symbol:         _ZN7rocprim17ROCPRIM_400000_NS6detail17trampoline_kernelINS0_14default_configENS1_27scan_by_key_config_selectorIj11FixedVectorIiLj8EEEEZZNS1_16scan_by_key_implILNS1_25lookback_scan_determinismE0ELb1ES3_N6thrust23THRUST_200600_302600_NS6detail15normal_iteratorINSB_10device_ptrIjEEEENSD_INSE_IS6_EEEESI_S6_NSB_4plusIvEENSB_8equal_toIvEES6_EE10hipError_tPvRmT2_T3_T4_T5_mT6_T7_P12ihipStream_tbENKUlT_T0_E_clISt17integral_constantIbLb0EES12_IbLb1EEEEDaSY_SZ_EUlSY_E_NS1_11comp_targetILNS1_3genE0ELNS1_11target_archE4294967295ELNS1_3gpuE0ELNS1_3repE0EEENS1_30default_config_static_selectorELNS0_4arch9wavefront6targetE1EEEvT1_.kd
    .uniform_work_group_size: 1
    .uses_dynamic_stack: false
    .vgpr_count:     0
    .vgpr_spill_count: 0
    .wavefront_size: 64
  - .agpr_count:     0
    .args:
      - .offset:         0
        .size:           160
        .value_kind:     by_value
    .group_segment_fixed_size: 0
    .kernarg_segment_align: 8
    .kernarg_segment_size: 160
    .language:       OpenCL C
    .language_version:
      - 2
      - 0
    .max_flat_workgroup_size: 256
    .name:           _ZN7rocprim17ROCPRIM_400000_NS6detail17trampoline_kernelINS0_14default_configENS1_27scan_by_key_config_selectorIj11FixedVectorIiLj8EEEEZZNS1_16scan_by_key_implILNS1_25lookback_scan_determinismE0ELb1ES3_N6thrust23THRUST_200600_302600_NS6detail15normal_iteratorINSB_10device_ptrIjEEEENSD_INSE_IS6_EEEESI_S6_NSB_4plusIvEENSB_8equal_toIvEES6_EE10hipError_tPvRmT2_T3_T4_T5_mT6_T7_P12ihipStream_tbENKUlT_T0_E_clISt17integral_constantIbLb0EES12_IbLb1EEEEDaSY_SZ_EUlSY_E_NS1_11comp_targetILNS1_3genE10ELNS1_11target_archE1201ELNS1_3gpuE5ELNS1_3repE0EEENS1_30default_config_static_selectorELNS0_4arch9wavefront6targetE1EEEvT1_
    .private_segment_fixed_size: 0
    .sgpr_count:     6
    .sgpr_spill_count: 0
    .symbol:         _ZN7rocprim17ROCPRIM_400000_NS6detail17trampoline_kernelINS0_14default_configENS1_27scan_by_key_config_selectorIj11FixedVectorIiLj8EEEEZZNS1_16scan_by_key_implILNS1_25lookback_scan_determinismE0ELb1ES3_N6thrust23THRUST_200600_302600_NS6detail15normal_iteratorINSB_10device_ptrIjEEEENSD_INSE_IS6_EEEESI_S6_NSB_4plusIvEENSB_8equal_toIvEES6_EE10hipError_tPvRmT2_T3_T4_T5_mT6_T7_P12ihipStream_tbENKUlT_T0_E_clISt17integral_constantIbLb0EES12_IbLb1EEEEDaSY_SZ_EUlSY_E_NS1_11comp_targetILNS1_3genE10ELNS1_11target_archE1201ELNS1_3gpuE5ELNS1_3repE0EEENS1_30default_config_static_selectorELNS0_4arch9wavefront6targetE1EEEvT1_.kd
    .uniform_work_group_size: 1
    .uses_dynamic_stack: false
    .vgpr_count:     0
    .vgpr_spill_count: 0
    .wavefront_size: 64
  - .agpr_count:     0
    .args:
      - .offset:         0
        .size:           160
        .value_kind:     by_value
    .group_segment_fixed_size: 32768
    .kernarg_segment_align: 8
    .kernarg_segment_size: 160
    .language:       OpenCL C
    .language_version:
      - 2
      - 0
    .max_flat_workgroup_size: 256
    .name:           _ZN7rocprim17ROCPRIM_400000_NS6detail17trampoline_kernelINS0_14default_configENS1_27scan_by_key_config_selectorIj11FixedVectorIiLj8EEEEZZNS1_16scan_by_key_implILNS1_25lookback_scan_determinismE0ELb1ES3_N6thrust23THRUST_200600_302600_NS6detail15normal_iteratorINSB_10device_ptrIjEEEENSD_INSE_IS6_EEEESI_S6_NSB_4plusIvEENSB_8equal_toIvEES6_EE10hipError_tPvRmT2_T3_T4_T5_mT6_T7_P12ihipStream_tbENKUlT_T0_E_clISt17integral_constantIbLb0EES12_IbLb1EEEEDaSY_SZ_EUlSY_E_NS1_11comp_targetILNS1_3genE5ELNS1_11target_archE942ELNS1_3gpuE9ELNS1_3repE0EEENS1_30default_config_static_selectorELNS0_4arch9wavefront6targetE1EEEvT1_
    .private_segment_fixed_size: 432
    .sgpr_count:     59
    .sgpr_spill_count: 0
    .symbol:         _ZN7rocprim17ROCPRIM_400000_NS6detail17trampoline_kernelINS0_14default_configENS1_27scan_by_key_config_selectorIj11FixedVectorIiLj8EEEEZZNS1_16scan_by_key_implILNS1_25lookback_scan_determinismE0ELb1ES3_N6thrust23THRUST_200600_302600_NS6detail15normal_iteratorINSB_10device_ptrIjEEEENSD_INSE_IS6_EEEESI_S6_NSB_4plusIvEENSB_8equal_toIvEES6_EE10hipError_tPvRmT2_T3_T4_T5_mT6_T7_P12ihipStream_tbENKUlT_T0_E_clISt17integral_constantIbLb0EES12_IbLb1EEEEDaSY_SZ_EUlSY_E_NS1_11comp_targetILNS1_3genE5ELNS1_11target_archE942ELNS1_3gpuE9ELNS1_3repE0EEENS1_30default_config_static_selectorELNS0_4arch9wavefront6targetE1EEEvT1_.kd
    .uniform_work_group_size: 1
    .uses_dynamic_stack: false
    .vgpr_count:     42
    .vgpr_spill_count: 0
    .wavefront_size: 64
  - .agpr_count:     0
    .args:
      - .offset:         0
        .size:           160
        .value_kind:     by_value
    .group_segment_fixed_size: 0
    .kernarg_segment_align: 8
    .kernarg_segment_size: 160
    .language:       OpenCL C
    .language_version:
      - 2
      - 0
    .max_flat_workgroup_size: 256
    .name:           _ZN7rocprim17ROCPRIM_400000_NS6detail17trampoline_kernelINS0_14default_configENS1_27scan_by_key_config_selectorIj11FixedVectorIiLj8EEEEZZNS1_16scan_by_key_implILNS1_25lookback_scan_determinismE0ELb1ES3_N6thrust23THRUST_200600_302600_NS6detail15normal_iteratorINSB_10device_ptrIjEEEENSD_INSE_IS6_EEEESI_S6_NSB_4plusIvEENSB_8equal_toIvEES6_EE10hipError_tPvRmT2_T3_T4_T5_mT6_T7_P12ihipStream_tbENKUlT_T0_E_clISt17integral_constantIbLb0EES12_IbLb1EEEEDaSY_SZ_EUlSY_E_NS1_11comp_targetILNS1_3genE4ELNS1_11target_archE910ELNS1_3gpuE8ELNS1_3repE0EEENS1_30default_config_static_selectorELNS0_4arch9wavefront6targetE1EEEvT1_
    .private_segment_fixed_size: 0
    .sgpr_count:     6
    .sgpr_spill_count: 0
    .symbol:         _ZN7rocprim17ROCPRIM_400000_NS6detail17trampoline_kernelINS0_14default_configENS1_27scan_by_key_config_selectorIj11FixedVectorIiLj8EEEEZZNS1_16scan_by_key_implILNS1_25lookback_scan_determinismE0ELb1ES3_N6thrust23THRUST_200600_302600_NS6detail15normal_iteratorINSB_10device_ptrIjEEEENSD_INSE_IS6_EEEESI_S6_NSB_4plusIvEENSB_8equal_toIvEES6_EE10hipError_tPvRmT2_T3_T4_T5_mT6_T7_P12ihipStream_tbENKUlT_T0_E_clISt17integral_constantIbLb0EES12_IbLb1EEEEDaSY_SZ_EUlSY_E_NS1_11comp_targetILNS1_3genE4ELNS1_11target_archE910ELNS1_3gpuE8ELNS1_3repE0EEENS1_30default_config_static_selectorELNS0_4arch9wavefront6targetE1EEEvT1_.kd
    .uniform_work_group_size: 1
    .uses_dynamic_stack: false
    .vgpr_count:     0
    .vgpr_spill_count: 0
    .wavefront_size: 64
  - .agpr_count:     0
    .args:
      - .offset:         0
        .size:           160
        .value_kind:     by_value
    .group_segment_fixed_size: 0
    .kernarg_segment_align: 8
    .kernarg_segment_size: 160
    .language:       OpenCL C
    .language_version:
      - 2
      - 0
    .max_flat_workgroup_size: 256
    .name:           _ZN7rocprim17ROCPRIM_400000_NS6detail17trampoline_kernelINS0_14default_configENS1_27scan_by_key_config_selectorIj11FixedVectorIiLj8EEEEZZNS1_16scan_by_key_implILNS1_25lookback_scan_determinismE0ELb1ES3_N6thrust23THRUST_200600_302600_NS6detail15normal_iteratorINSB_10device_ptrIjEEEENSD_INSE_IS6_EEEESI_S6_NSB_4plusIvEENSB_8equal_toIvEES6_EE10hipError_tPvRmT2_T3_T4_T5_mT6_T7_P12ihipStream_tbENKUlT_T0_E_clISt17integral_constantIbLb0EES12_IbLb1EEEEDaSY_SZ_EUlSY_E_NS1_11comp_targetILNS1_3genE3ELNS1_11target_archE908ELNS1_3gpuE7ELNS1_3repE0EEENS1_30default_config_static_selectorELNS0_4arch9wavefront6targetE1EEEvT1_
    .private_segment_fixed_size: 0
    .sgpr_count:     6
    .sgpr_spill_count: 0
    .symbol:         _ZN7rocprim17ROCPRIM_400000_NS6detail17trampoline_kernelINS0_14default_configENS1_27scan_by_key_config_selectorIj11FixedVectorIiLj8EEEEZZNS1_16scan_by_key_implILNS1_25lookback_scan_determinismE0ELb1ES3_N6thrust23THRUST_200600_302600_NS6detail15normal_iteratorINSB_10device_ptrIjEEEENSD_INSE_IS6_EEEESI_S6_NSB_4plusIvEENSB_8equal_toIvEES6_EE10hipError_tPvRmT2_T3_T4_T5_mT6_T7_P12ihipStream_tbENKUlT_T0_E_clISt17integral_constantIbLb0EES12_IbLb1EEEEDaSY_SZ_EUlSY_E_NS1_11comp_targetILNS1_3genE3ELNS1_11target_archE908ELNS1_3gpuE7ELNS1_3repE0EEENS1_30default_config_static_selectorELNS0_4arch9wavefront6targetE1EEEvT1_.kd
    .uniform_work_group_size: 1
    .uses_dynamic_stack: false
    .vgpr_count:     0
    .vgpr_spill_count: 0
    .wavefront_size: 64
  - .agpr_count:     0
    .args:
      - .offset:         0
        .size:           160
        .value_kind:     by_value
    .group_segment_fixed_size: 0
    .kernarg_segment_align: 8
    .kernarg_segment_size: 160
    .language:       OpenCL C
    .language_version:
      - 2
      - 0
    .max_flat_workgroup_size: 256
    .name:           _ZN7rocprim17ROCPRIM_400000_NS6detail17trampoline_kernelINS0_14default_configENS1_27scan_by_key_config_selectorIj11FixedVectorIiLj8EEEEZZNS1_16scan_by_key_implILNS1_25lookback_scan_determinismE0ELb1ES3_N6thrust23THRUST_200600_302600_NS6detail15normal_iteratorINSB_10device_ptrIjEEEENSD_INSE_IS6_EEEESI_S6_NSB_4plusIvEENSB_8equal_toIvEES6_EE10hipError_tPvRmT2_T3_T4_T5_mT6_T7_P12ihipStream_tbENKUlT_T0_E_clISt17integral_constantIbLb0EES12_IbLb1EEEEDaSY_SZ_EUlSY_E_NS1_11comp_targetILNS1_3genE2ELNS1_11target_archE906ELNS1_3gpuE6ELNS1_3repE0EEENS1_30default_config_static_selectorELNS0_4arch9wavefront6targetE1EEEvT1_
    .private_segment_fixed_size: 0
    .sgpr_count:     6
    .sgpr_spill_count: 0
    .symbol:         _ZN7rocprim17ROCPRIM_400000_NS6detail17trampoline_kernelINS0_14default_configENS1_27scan_by_key_config_selectorIj11FixedVectorIiLj8EEEEZZNS1_16scan_by_key_implILNS1_25lookback_scan_determinismE0ELb1ES3_N6thrust23THRUST_200600_302600_NS6detail15normal_iteratorINSB_10device_ptrIjEEEENSD_INSE_IS6_EEEESI_S6_NSB_4plusIvEENSB_8equal_toIvEES6_EE10hipError_tPvRmT2_T3_T4_T5_mT6_T7_P12ihipStream_tbENKUlT_T0_E_clISt17integral_constantIbLb0EES12_IbLb1EEEEDaSY_SZ_EUlSY_E_NS1_11comp_targetILNS1_3genE2ELNS1_11target_archE906ELNS1_3gpuE6ELNS1_3repE0EEENS1_30default_config_static_selectorELNS0_4arch9wavefront6targetE1EEEvT1_.kd
    .uniform_work_group_size: 1
    .uses_dynamic_stack: false
    .vgpr_count:     0
    .vgpr_spill_count: 0
    .wavefront_size: 64
  - .agpr_count:     0
    .args:
      - .offset:         0
        .size:           160
        .value_kind:     by_value
    .group_segment_fixed_size: 0
    .kernarg_segment_align: 8
    .kernarg_segment_size: 160
    .language:       OpenCL C
    .language_version:
      - 2
      - 0
    .max_flat_workgroup_size: 256
    .name:           _ZN7rocprim17ROCPRIM_400000_NS6detail17trampoline_kernelINS0_14default_configENS1_27scan_by_key_config_selectorIj11FixedVectorIiLj8EEEEZZNS1_16scan_by_key_implILNS1_25lookback_scan_determinismE0ELb1ES3_N6thrust23THRUST_200600_302600_NS6detail15normal_iteratorINSB_10device_ptrIjEEEENSD_INSE_IS6_EEEESI_S6_NSB_4plusIvEENSB_8equal_toIvEES6_EE10hipError_tPvRmT2_T3_T4_T5_mT6_T7_P12ihipStream_tbENKUlT_T0_E_clISt17integral_constantIbLb0EES12_IbLb1EEEEDaSY_SZ_EUlSY_E_NS1_11comp_targetILNS1_3genE10ELNS1_11target_archE1200ELNS1_3gpuE4ELNS1_3repE0EEENS1_30default_config_static_selectorELNS0_4arch9wavefront6targetE1EEEvT1_
    .private_segment_fixed_size: 0
    .sgpr_count:     6
    .sgpr_spill_count: 0
    .symbol:         _ZN7rocprim17ROCPRIM_400000_NS6detail17trampoline_kernelINS0_14default_configENS1_27scan_by_key_config_selectorIj11FixedVectorIiLj8EEEEZZNS1_16scan_by_key_implILNS1_25lookback_scan_determinismE0ELb1ES3_N6thrust23THRUST_200600_302600_NS6detail15normal_iteratorINSB_10device_ptrIjEEEENSD_INSE_IS6_EEEESI_S6_NSB_4plusIvEENSB_8equal_toIvEES6_EE10hipError_tPvRmT2_T3_T4_T5_mT6_T7_P12ihipStream_tbENKUlT_T0_E_clISt17integral_constantIbLb0EES12_IbLb1EEEEDaSY_SZ_EUlSY_E_NS1_11comp_targetILNS1_3genE10ELNS1_11target_archE1200ELNS1_3gpuE4ELNS1_3repE0EEENS1_30default_config_static_selectorELNS0_4arch9wavefront6targetE1EEEvT1_.kd
    .uniform_work_group_size: 1
    .uses_dynamic_stack: false
    .vgpr_count:     0
    .vgpr_spill_count: 0
    .wavefront_size: 64
  - .agpr_count:     0
    .args:
      - .offset:         0
        .size:           160
        .value_kind:     by_value
    .group_segment_fixed_size: 0
    .kernarg_segment_align: 8
    .kernarg_segment_size: 160
    .language:       OpenCL C
    .language_version:
      - 2
      - 0
    .max_flat_workgroup_size: 256
    .name:           _ZN7rocprim17ROCPRIM_400000_NS6detail17trampoline_kernelINS0_14default_configENS1_27scan_by_key_config_selectorIj11FixedVectorIiLj8EEEEZZNS1_16scan_by_key_implILNS1_25lookback_scan_determinismE0ELb1ES3_N6thrust23THRUST_200600_302600_NS6detail15normal_iteratorINSB_10device_ptrIjEEEENSD_INSE_IS6_EEEESI_S6_NSB_4plusIvEENSB_8equal_toIvEES6_EE10hipError_tPvRmT2_T3_T4_T5_mT6_T7_P12ihipStream_tbENKUlT_T0_E_clISt17integral_constantIbLb0EES12_IbLb1EEEEDaSY_SZ_EUlSY_E_NS1_11comp_targetILNS1_3genE9ELNS1_11target_archE1100ELNS1_3gpuE3ELNS1_3repE0EEENS1_30default_config_static_selectorELNS0_4arch9wavefront6targetE1EEEvT1_
    .private_segment_fixed_size: 0
    .sgpr_count:     6
    .sgpr_spill_count: 0
    .symbol:         _ZN7rocprim17ROCPRIM_400000_NS6detail17trampoline_kernelINS0_14default_configENS1_27scan_by_key_config_selectorIj11FixedVectorIiLj8EEEEZZNS1_16scan_by_key_implILNS1_25lookback_scan_determinismE0ELb1ES3_N6thrust23THRUST_200600_302600_NS6detail15normal_iteratorINSB_10device_ptrIjEEEENSD_INSE_IS6_EEEESI_S6_NSB_4plusIvEENSB_8equal_toIvEES6_EE10hipError_tPvRmT2_T3_T4_T5_mT6_T7_P12ihipStream_tbENKUlT_T0_E_clISt17integral_constantIbLb0EES12_IbLb1EEEEDaSY_SZ_EUlSY_E_NS1_11comp_targetILNS1_3genE9ELNS1_11target_archE1100ELNS1_3gpuE3ELNS1_3repE0EEENS1_30default_config_static_selectorELNS0_4arch9wavefront6targetE1EEEvT1_.kd
    .uniform_work_group_size: 1
    .uses_dynamic_stack: false
    .vgpr_count:     0
    .vgpr_spill_count: 0
    .wavefront_size: 64
  - .agpr_count:     0
    .args:
      - .offset:         0
        .size:           160
        .value_kind:     by_value
    .group_segment_fixed_size: 0
    .kernarg_segment_align: 8
    .kernarg_segment_size: 160
    .language:       OpenCL C
    .language_version:
      - 2
      - 0
    .max_flat_workgroup_size: 256
    .name:           _ZN7rocprim17ROCPRIM_400000_NS6detail17trampoline_kernelINS0_14default_configENS1_27scan_by_key_config_selectorIj11FixedVectorIiLj8EEEEZZNS1_16scan_by_key_implILNS1_25lookback_scan_determinismE0ELb1ES3_N6thrust23THRUST_200600_302600_NS6detail15normal_iteratorINSB_10device_ptrIjEEEENSD_INSE_IS6_EEEESI_S6_NSB_4plusIvEENSB_8equal_toIvEES6_EE10hipError_tPvRmT2_T3_T4_T5_mT6_T7_P12ihipStream_tbENKUlT_T0_E_clISt17integral_constantIbLb0EES12_IbLb1EEEEDaSY_SZ_EUlSY_E_NS1_11comp_targetILNS1_3genE8ELNS1_11target_archE1030ELNS1_3gpuE2ELNS1_3repE0EEENS1_30default_config_static_selectorELNS0_4arch9wavefront6targetE1EEEvT1_
    .private_segment_fixed_size: 0
    .sgpr_count:     6
    .sgpr_spill_count: 0
    .symbol:         _ZN7rocprim17ROCPRIM_400000_NS6detail17trampoline_kernelINS0_14default_configENS1_27scan_by_key_config_selectorIj11FixedVectorIiLj8EEEEZZNS1_16scan_by_key_implILNS1_25lookback_scan_determinismE0ELb1ES3_N6thrust23THRUST_200600_302600_NS6detail15normal_iteratorINSB_10device_ptrIjEEEENSD_INSE_IS6_EEEESI_S6_NSB_4plusIvEENSB_8equal_toIvEES6_EE10hipError_tPvRmT2_T3_T4_T5_mT6_T7_P12ihipStream_tbENKUlT_T0_E_clISt17integral_constantIbLb0EES12_IbLb1EEEEDaSY_SZ_EUlSY_E_NS1_11comp_targetILNS1_3genE8ELNS1_11target_archE1030ELNS1_3gpuE2ELNS1_3repE0EEENS1_30default_config_static_selectorELNS0_4arch9wavefront6targetE1EEEvT1_.kd
    .uniform_work_group_size: 1
    .uses_dynamic_stack: false
    .vgpr_count:     0
    .vgpr_spill_count: 0
    .wavefront_size: 64
  - .agpr_count:     0
    .args:
      - .address_space:  global
        .offset:         0
        .size:           8
        .value_kind:     global_buffer
      - .offset:         8
        .size:           4
        .value_kind:     by_value
      - .offset:         12
        .size:           4
        .value_kind:     by_value
      - .address_space:  global
        .offset:         16
        .size:           8
        .value_kind:     global_buffer
      - .address_space:  global
        .offset:         24
        .size:           8
        .value_kind:     global_buffer
      - .actual_access:  write_only
        .address_space:  global
        .offset:         32
        .size:           8
        .value_kind:     global_buffer
      - .offset:         40
        .size:           8
        .value_kind:     by_value
      - .offset:         48
        .size:           4
        .value_kind:     by_value
      - .offset:         52
        .size:           1
        .value_kind:     by_value
      - .offset:         56
        .size:           4
        .value_kind:     hidden_block_count_x
      - .offset:         60
        .size:           4
        .value_kind:     hidden_block_count_y
      - .offset:         64
        .size:           4
        .value_kind:     hidden_block_count_z
      - .offset:         68
        .size:           2
        .value_kind:     hidden_group_size_x
      - .offset:         70
        .size:           2
        .value_kind:     hidden_group_size_y
      - .offset:         72
        .size:           2
        .value_kind:     hidden_group_size_z
      - .offset:         74
        .size:           2
        .value_kind:     hidden_remainder_x
      - .offset:         76
        .size:           2
        .value_kind:     hidden_remainder_y
      - .offset:         78
        .size:           2
        .value_kind:     hidden_remainder_z
      - .offset:         96
        .size:           8
        .value_kind:     hidden_global_offset_x
      - .offset:         104
        .size:           8
        .value_kind:     hidden_global_offset_y
      - .offset:         112
        .size:           8
        .value_kind:     hidden_global_offset_z
      - .offset:         120
        .size:           2
        .value_kind:     hidden_grid_dims
    .group_segment_fixed_size: 0
    .kernarg_segment_align: 8
    .kernarg_segment_size: 312
    .language:       OpenCL C
    .language_version:
      - 2
      - 0
    .max_flat_workgroup_size: 256
    .name:           _ZN7rocprim17ROCPRIM_400000_NS6detail30init_device_scan_by_key_kernelINS1_19lookback_scan_stateINS0_5tupleIJibEEELb0ELb1EEEN6thrust23THRUST_200600_302600_NS10device_ptrIiEEjNS1_16block_id_wrapperIjLb0EEEEEvT_jjPNSD_10value_typeET0_PNSt15iterator_traitsISG_E10value_typeEmT1_T2_
    .private_segment_fixed_size: 0
    .sgpr_count:     26
    .sgpr_spill_count: 0
    .symbol:         _ZN7rocprim17ROCPRIM_400000_NS6detail30init_device_scan_by_key_kernelINS1_19lookback_scan_stateINS0_5tupleIJibEEELb0ELb1EEEN6thrust23THRUST_200600_302600_NS10device_ptrIiEEjNS1_16block_id_wrapperIjLb0EEEEEvT_jjPNSD_10value_typeET0_PNSt15iterator_traitsISG_E10value_typeEmT1_T2_.kd
    .uniform_work_group_size: 1
    .uses_dynamic_stack: false
    .vgpr_count:     10
    .vgpr_spill_count: 0
    .wavefront_size: 64
  - .agpr_count:     0
    .args:
      - .offset:         0
        .size:           112
        .value_kind:     by_value
    .group_segment_fixed_size: 0
    .kernarg_segment_align: 8
    .kernarg_segment_size: 112
    .language:       OpenCL C
    .language_version:
      - 2
      - 0
    .max_flat_workgroup_size: 256
    .name:           _ZN7rocprim17ROCPRIM_400000_NS6detail17trampoline_kernelINS0_14default_configENS1_27scan_by_key_config_selectorIiiEEZZNS1_16scan_by_key_implILNS1_25lookback_scan_determinismE0ELb0ES3_N6thrust23THRUST_200600_302600_NS10device_ptrIiEESB_SB_iNS9_4plusIvEENS9_8equal_toIvEEiEE10hipError_tPvRmT2_T3_T4_T5_mT6_T7_P12ihipStream_tbENKUlT_T0_E_clISt17integral_constantIbLb0EESW_EEDaSR_SS_EUlSR_E_NS1_11comp_targetILNS1_3genE0ELNS1_11target_archE4294967295ELNS1_3gpuE0ELNS1_3repE0EEENS1_30default_config_static_selectorELNS0_4arch9wavefront6targetE1EEEvT1_
    .private_segment_fixed_size: 0
    .sgpr_count:     6
    .sgpr_spill_count: 0
    .symbol:         _ZN7rocprim17ROCPRIM_400000_NS6detail17trampoline_kernelINS0_14default_configENS1_27scan_by_key_config_selectorIiiEEZZNS1_16scan_by_key_implILNS1_25lookback_scan_determinismE0ELb0ES3_N6thrust23THRUST_200600_302600_NS10device_ptrIiEESB_SB_iNS9_4plusIvEENS9_8equal_toIvEEiEE10hipError_tPvRmT2_T3_T4_T5_mT6_T7_P12ihipStream_tbENKUlT_T0_E_clISt17integral_constantIbLb0EESW_EEDaSR_SS_EUlSR_E_NS1_11comp_targetILNS1_3genE0ELNS1_11target_archE4294967295ELNS1_3gpuE0ELNS1_3repE0EEENS1_30default_config_static_selectorELNS0_4arch9wavefront6targetE1EEEvT1_.kd
    .uniform_work_group_size: 1
    .uses_dynamic_stack: false
    .vgpr_count:     0
    .vgpr_spill_count: 0
    .wavefront_size: 64
  - .agpr_count:     0
    .args:
      - .offset:         0
        .size:           112
        .value_kind:     by_value
    .group_segment_fixed_size: 0
    .kernarg_segment_align: 8
    .kernarg_segment_size: 112
    .language:       OpenCL C
    .language_version:
      - 2
      - 0
    .max_flat_workgroup_size: 256
    .name:           _ZN7rocprim17ROCPRIM_400000_NS6detail17trampoline_kernelINS0_14default_configENS1_27scan_by_key_config_selectorIiiEEZZNS1_16scan_by_key_implILNS1_25lookback_scan_determinismE0ELb0ES3_N6thrust23THRUST_200600_302600_NS10device_ptrIiEESB_SB_iNS9_4plusIvEENS9_8equal_toIvEEiEE10hipError_tPvRmT2_T3_T4_T5_mT6_T7_P12ihipStream_tbENKUlT_T0_E_clISt17integral_constantIbLb0EESW_EEDaSR_SS_EUlSR_E_NS1_11comp_targetILNS1_3genE10ELNS1_11target_archE1201ELNS1_3gpuE5ELNS1_3repE0EEENS1_30default_config_static_selectorELNS0_4arch9wavefront6targetE1EEEvT1_
    .private_segment_fixed_size: 0
    .sgpr_count:     6
    .sgpr_spill_count: 0
    .symbol:         _ZN7rocprim17ROCPRIM_400000_NS6detail17trampoline_kernelINS0_14default_configENS1_27scan_by_key_config_selectorIiiEEZZNS1_16scan_by_key_implILNS1_25lookback_scan_determinismE0ELb0ES3_N6thrust23THRUST_200600_302600_NS10device_ptrIiEESB_SB_iNS9_4plusIvEENS9_8equal_toIvEEiEE10hipError_tPvRmT2_T3_T4_T5_mT6_T7_P12ihipStream_tbENKUlT_T0_E_clISt17integral_constantIbLb0EESW_EEDaSR_SS_EUlSR_E_NS1_11comp_targetILNS1_3genE10ELNS1_11target_archE1201ELNS1_3gpuE5ELNS1_3repE0EEENS1_30default_config_static_selectorELNS0_4arch9wavefront6targetE1EEEvT1_.kd
    .uniform_work_group_size: 1
    .uses_dynamic_stack: false
    .vgpr_count:     0
    .vgpr_spill_count: 0
    .wavefront_size: 64
  - .agpr_count:     0
    .args:
      - .offset:         0
        .size:           112
        .value_kind:     by_value
    .group_segment_fixed_size: 25600
    .kernarg_segment_align: 8
    .kernarg_segment_size: 112
    .language:       OpenCL C
    .language_version:
      - 2
      - 0
    .max_flat_workgroup_size: 256
    .name:           _ZN7rocprim17ROCPRIM_400000_NS6detail17trampoline_kernelINS0_14default_configENS1_27scan_by_key_config_selectorIiiEEZZNS1_16scan_by_key_implILNS1_25lookback_scan_determinismE0ELb0ES3_N6thrust23THRUST_200600_302600_NS10device_ptrIiEESB_SB_iNS9_4plusIvEENS9_8equal_toIvEEiEE10hipError_tPvRmT2_T3_T4_T5_mT6_T7_P12ihipStream_tbENKUlT_T0_E_clISt17integral_constantIbLb0EESW_EEDaSR_SS_EUlSR_E_NS1_11comp_targetILNS1_3genE5ELNS1_11target_archE942ELNS1_3gpuE9ELNS1_3repE0EEENS1_30default_config_static_selectorELNS0_4arch9wavefront6targetE1EEEvT1_
    .private_segment_fixed_size: 0
    .sgpr_count:     88
    .sgpr_spill_count: 0
    .symbol:         _ZN7rocprim17ROCPRIM_400000_NS6detail17trampoline_kernelINS0_14default_configENS1_27scan_by_key_config_selectorIiiEEZZNS1_16scan_by_key_implILNS1_25lookback_scan_determinismE0ELb0ES3_N6thrust23THRUST_200600_302600_NS10device_ptrIiEESB_SB_iNS9_4plusIvEENS9_8equal_toIvEEiEE10hipError_tPvRmT2_T3_T4_T5_mT6_T7_P12ihipStream_tbENKUlT_T0_E_clISt17integral_constantIbLb0EESW_EEDaSR_SS_EUlSR_E_NS1_11comp_targetILNS1_3genE5ELNS1_11target_archE942ELNS1_3gpuE9ELNS1_3repE0EEENS1_30default_config_static_selectorELNS0_4arch9wavefront6targetE1EEEvT1_.kd
    .uniform_work_group_size: 1
    .uses_dynamic_stack: false
    .vgpr_count:     81
    .vgpr_spill_count: 0
    .wavefront_size: 64
  - .agpr_count:     0
    .args:
      - .offset:         0
        .size:           112
        .value_kind:     by_value
    .group_segment_fixed_size: 0
    .kernarg_segment_align: 8
    .kernarg_segment_size: 112
    .language:       OpenCL C
    .language_version:
      - 2
      - 0
    .max_flat_workgroup_size: 256
    .name:           _ZN7rocprim17ROCPRIM_400000_NS6detail17trampoline_kernelINS0_14default_configENS1_27scan_by_key_config_selectorIiiEEZZNS1_16scan_by_key_implILNS1_25lookback_scan_determinismE0ELb0ES3_N6thrust23THRUST_200600_302600_NS10device_ptrIiEESB_SB_iNS9_4plusIvEENS9_8equal_toIvEEiEE10hipError_tPvRmT2_T3_T4_T5_mT6_T7_P12ihipStream_tbENKUlT_T0_E_clISt17integral_constantIbLb0EESW_EEDaSR_SS_EUlSR_E_NS1_11comp_targetILNS1_3genE4ELNS1_11target_archE910ELNS1_3gpuE8ELNS1_3repE0EEENS1_30default_config_static_selectorELNS0_4arch9wavefront6targetE1EEEvT1_
    .private_segment_fixed_size: 0
    .sgpr_count:     6
    .sgpr_spill_count: 0
    .symbol:         _ZN7rocprim17ROCPRIM_400000_NS6detail17trampoline_kernelINS0_14default_configENS1_27scan_by_key_config_selectorIiiEEZZNS1_16scan_by_key_implILNS1_25lookback_scan_determinismE0ELb0ES3_N6thrust23THRUST_200600_302600_NS10device_ptrIiEESB_SB_iNS9_4plusIvEENS9_8equal_toIvEEiEE10hipError_tPvRmT2_T3_T4_T5_mT6_T7_P12ihipStream_tbENKUlT_T0_E_clISt17integral_constantIbLb0EESW_EEDaSR_SS_EUlSR_E_NS1_11comp_targetILNS1_3genE4ELNS1_11target_archE910ELNS1_3gpuE8ELNS1_3repE0EEENS1_30default_config_static_selectorELNS0_4arch9wavefront6targetE1EEEvT1_.kd
    .uniform_work_group_size: 1
    .uses_dynamic_stack: false
    .vgpr_count:     0
    .vgpr_spill_count: 0
    .wavefront_size: 64
  - .agpr_count:     0
    .args:
      - .offset:         0
        .size:           112
        .value_kind:     by_value
    .group_segment_fixed_size: 0
    .kernarg_segment_align: 8
    .kernarg_segment_size: 112
    .language:       OpenCL C
    .language_version:
      - 2
      - 0
    .max_flat_workgroup_size: 256
    .name:           _ZN7rocprim17ROCPRIM_400000_NS6detail17trampoline_kernelINS0_14default_configENS1_27scan_by_key_config_selectorIiiEEZZNS1_16scan_by_key_implILNS1_25lookback_scan_determinismE0ELb0ES3_N6thrust23THRUST_200600_302600_NS10device_ptrIiEESB_SB_iNS9_4plusIvEENS9_8equal_toIvEEiEE10hipError_tPvRmT2_T3_T4_T5_mT6_T7_P12ihipStream_tbENKUlT_T0_E_clISt17integral_constantIbLb0EESW_EEDaSR_SS_EUlSR_E_NS1_11comp_targetILNS1_3genE3ELNS1_11target_archE908ELNS1_3gpuE7ELNS1_3repE0EEENS1_30default_config_static_selectorELNS0_4arch9wavefront6targetE1EEEvT1_
    .private_segment_fixed_size: 0
    .sgpr_count:     6
    .sgpr_spill_count: 0
    .symbol:         _ZN7rocprim17ROCPRIM_400000_NS6detail17trampoline_kernelINS0_14default_configENS1_27scan_by_key_config_selectorIiiEEZZNS1_16scan_by_key_implILNS1_25lookback_scan_determinismE0ELb0ES3_N6thrust23THRUST_200600_302600_NS10device_ptrIiEESB_SB_iNS9_4plusIvEENS9_8equal_toIvEEiEE10hipError_tPvRmT2_T3_T4_T5_mT6_T7_P12ihipStream_tbENKUlT_T0_E_clISt17integral_constantIbLb0EESW_EEDaSR_SS_EUlSR_E_NS1_11comp_targetILNS1_3genE3ELNS1_11target_archE908ELNS1_3gpuE7ELNS1_3repE0EEENS1_30default_config_static_selectorELNS0_4arch9wavefront6targetE1EEEvT1_.kd
    .uniform_work_group_size: 1
    .uses_dynamic_stack: false
    .vgpr_count:     0
    .vgpr_spill_count: 0
    .wavefront_size: 64
  - .agpr_count:     0
    .args:
      - .offset:         0
        .size:           112
        .value_kind:     by_value
    .group_segment_fixed_size: 0
    .kernarg_segment_align: 8
    .kernarg_segment_size: 112
    .language:       OpenCL C
    .language_version:
      - 2
      - 0
    .max_flat_workgroup_size: 256
    .name:           _ZN7rocprim17ROCPRIM_400000_NS6detail17trampoline_kernelINS0_14default_configENS1_27scan_by_key_config_selectorIiiEEZZNS1_16scan_by_key_implILNS1_25lookback_scan_determinismE0ELb0ES3_N6thrust23THRUST_200600_302600_NS10device_ptrIiEESB_SB_iNS9_4plusIvEENS9_8equal_toIvEEiEE10hipError_tPvRmT2_T3_T4_T5_mT6_T7_P12ihipStream_tbENKUlT_T0_E_clISt17integral_constantIbLb0EESW_EEDaSR_SS_EUlSR_E_NS1_11comp_targetILNS1_3genE2ELNS1_11target_archE906ELNS1_3gpuE6ELNS1_3repE0EEENS1_30default_config_static_selectorELNS0_4arch9wavefront6targetE1EEEvT1_
    .private_segment_fixed_size: 0
    .sgpr_count:     6
    .sgpr_spill_count: 0
    .symbol:         _ZN7rocprim17ROCPRIM_400000_NS6detail17trampoline_kernelINS0_14default_configENS1_27scan_by_key_config_selectorIiiEEZZNS1_16scan_by_key_implILNS1_25lookback_scan_determinismE0ELb0ES3_N6thrust23THRUST_200600_302600_NS10device_ptrIiEESB_SB_iNS9_4plusIvEENS9_8equal_toIvEEiEE10hipError_tPvRmT2_T3_T4_T5_mT6_T7_P12ihipStream_tbENKUlT_T0_E_clISt17integral_constantIbLb0EESW_EEDaSR_SS_EUlSR_E_NS1_11comp_targetILNS1_3genE2ELNS1_11target_archE906ELNS1_3gpuE6ELNS1_3repE0EEENS1_30default_config_static_selectorELNS0_4arch9wavefront6targetE1EEEvT1_.kd
    .uniform_work_group_size: 1
    .uses_dynamic_stack: false
    .vgpr_count:     0
    .vgpr_spill_count: 0
    .wavefront_size: 64
  - .agpr_count:     0
    .args:
      - .offset:         0
        .size:           112
        .value_kind:     by_value
    .group_segment_fixed_size: 0
    .kernarg_segment_align: 8
    .kernarg_segment_size: 112
    .language:       OpenCL C
    .language_version:
      - 2
      - 0
    .max_flat_workgroup_size: 256
    .name:           _ZN7rocprim17ROCPRIM_400000_NS6detail17trampoline_kernelINS0_14default_configENS1_27scan_by_key_config_selectorIiiEEZZNS1_16scan_by_key_implILNS1_25lookback_scan_determinismE0ELb0ES3_N6thrust23THRUST_200600_302600_NS10device_ptrIiEESB_SB_iNS9_4plusIvEENS9_8equal_toIvEEiEE10hipError_tPvRmT2_T3_T4_T5_mT6_T7_P12ihipStream_tbENKUlT_T0_E_clISt17integral_constantIbLb0EESW_EEDaSR_SS_EUlSR_E_NS1_11comp_targetILNS1_3genE10ELNS1_11target_archE1200ELNS1_3gpuE4ELNS1_3repE0EEENS1_30default_config_static_selectorELNS0_4arch9wavefront6targetE1EEEvT1_
    .private_segment_fixed_size: 0
    .sgpr_count:     6
    .sgpr_spill_count: 0
    .symbol:         _ZN7rocprim17ROCPRIM_400000_NS6detail17trampoline_kernelINS0_14default_configENS1_27scan_by_key_config_selectorIiiEEZZNS1_16scan_by_key_implILNS1_25lookback_scan_determinismE0ELb0ES3_N6thrust23THRUST_200600_302600_NS10device_ptrIiEESB_SB_iNS9_4plusIvEENS9_8equal_toIvEEiEE10hipError_tPvRmT2_T3_T4_T5_mT6_T7_P12ihipStream_tbENKUlT_T0_E_clISt17integral_constantIbLb0EESW_EEDaSR_SS_EUlSR_E_NS1_11comp_targetILNS1_3genE10ELNS1_11target_archE1200ELNS1_3gpuE4ELNS1_3repE0EEENS1_30default_config_static_selectorELNS0_4arch9wavefront6targetE1EEEvT1_.kd
    .uniform_work_group_size: 1
    .uses_dynamic_stack: false
    .vgpr_count:     0
    .vgpr_spill_count: 0
    .wavefront_size: 64
  - .agpr_count:     0
    .args:
      - .offset:         0
        .size:           112
        .value_kind:     by_value
    .group_segment_fixed_size: 0
    .kernarg_segment_align: 8
    .kernarg_segment_size: 112
    .language:       OpenCL C
    .language_version:
      - 2
      - 0
    .max_flat_workgroup_size: 256
    .name:           _ZN7rocprim17ROCPRIM_400000_NS6detail17trampoline_kernelINS0_14default_configENS1_27scan_by_key_config_selectorIiiEEZZNS1_16scan_by_key_implILNS1_25lookback_scan_determinismE0ELb0ES3_N6thrust23THRUST_200600_302600_NS10device_ptrIiEESB_SB_iNS9_4plusIvEENS9_8equal_toIvEEiEE10hipError_tPvRmT2_T3_T4_T5_mT6_T7_P12ihipStream_tbENKUlT_T0_E_clISt17integral_constantIbLb0EESW_EEDaSR_SS_EUlSR_E_NS1_11comp_targetILNS1_3genE9ELNS1_11target_archE1100ELNS1_3gpuE3ELNS1_3repE0EEENS1_30default_config_static_selectorELNS0_4arch9wavefront6targetE1EEEvT1_
    .private_segment_fixed_size: 0
    .sgpr_count:     6
    .sgpr_spill_count: 0
    .symbol:         _ZN7rocprim17ROCPRIM_400000_NS6detail17trampoline_kernelINS0_14default_configENS1_27scan_by_key_config_selectorIiiEEZZNS1_16scan_by_key_implILNS1_25lookback_scan_determinismE0ELb0ES3_N6thrust23THRUST_200600_302600_NS10device_ptrIiEESB_SB_iNS9_4plusIvEENS9_8equal_toIvEEiEE10hipError_tPvRmT2_T3_T4_T5_mT6_T7_P12ihipStream_tbENKUlT_T0_E_clISt17integral_constantIbLb0EESW_EEDaSR_SS_EUlSR_E_NS1_11comp_targetILNS1_3genE9ELNS1_11target_archE1100ELNS1_3gpuE3ELNS1_3repE0EEENS1_30default_config_static_selectorELNS0_4arch9wavefront6targetE1EEEvT1_.kd
    .uniform_work_group_size: 1
    .uses_dynamic_stack: false
    .vgpr_count:     0
    .vgpr_spill_count: 0
    .wavefront_size: 64
  - .agpr_count:     0
    .args:
      - .offset:         0
        .size:           112
        .value_kind:     by_value
    .group_segment_fixed_size: 0
    .kernarg_segment_align: 8
    .kernarg_segment_size: 112
    .language:       OpenCL C
    .language_version:
      - 2
      - 0
    .max_flat_workgroup_size: 256
    .name:           _ZN7rocprim17ROCPRIM_400000_NS6detail17trampoline_kernelINS0_14default_configENS1_27scan_by_key_config_selectorIiiEEZZNS1_16scan_by_key_implILNS1_25lookback_scan_determinismE0ELb0ES3_N6thrust23THRUST_200600_302600_NS10device_ptrIiEESB_SB_iNS9_4plusIvEENS9_8equal_toIvEEiEE10hipError_tPvRmT2_T3_T4_T5_mT6_T7_P12ihipStream_tbENKUlT_T0_E_clISt17integral_constantIbLb0EESW_EEDaSR_SS_EUlSR_E_NS1_11comp_targetILNS1_3genE8ELNS1_11target_archE1030ELNS1_3gpuE2ELNS1_3repE0EEENS1_30default_config_static_selectorELNS0_4arch9wavefront6targetE1EEEvT1_
    .private_segment_fixed_size: 0
    .sgpr_count:     6
    .sgpr_spill_count: 0
    .symbol:         _ZN7rocprim17ROCPRIM_400000_NS6detail17trampoline_kernelINS0_14default_configENS1_27scan_by_key_config_selectorIiiEEZZNS1_16scan_by_key_implILNS1_25lookback_scan_determinismE0ELb0ES3_N6thrust23THRUST_200600_302600_NS10device_ptrIiEESB_SB_iNS9_4plusIvEENS9_8equal_toIvEEiEE10hipError_tPvRmT2_T3_T4_T5_mT6_T7_P12ihipStream_tbENKUlT_T0_E_clISt17integral_constantIbLb0EESW_EEDaSR_SS_EUlSR_E_NS1_11comp_targetILNS1_3genE8ELNS1_11target_archE1030ELNS1_3gpuE2ELNS1_3repE0EEENS1_30default_config_static_selectorELNS0_4arch9wavefront6targetE1EEEvT1_.kd
    .uniform_work_group_size: 1
    .uses_dynamic_stack: false
    .vgpr_count:     0
    .vgpr_spill_count: 0
    .wavefront_size: 64
  - .agpr_count:     0
    .args:
      - .address_space:  global
        .offset:         0
        .size:           8
        .value_kind:     global_buffer
      - .offset:         8
        .size:           4
        .value_kind:     by_value
      - .offset:         12
        .size:           4
        .value_kind:     by_value
      - .address_space:  global
        .offset:         16
        .size:           8
        .value_kind:     global_buffer
      - .address_space:  global
        .offset:         24
        .size:           8
        .value_kind:     global_buffer
      - .actual_access:  write_only
        .address_space:  global
        .offset:         32
        .size:           8
        .value_kind:     global_buffer
      - .offset:         40
        .size:           8
        .value_kind:     by_value
      - .offset:         48
        .size:           4
        .value_kind:     by_value
      - .address_space:  global
        .offset:         56
        .size:           8
        .value_kind:     global_buffer
      - .offset:         64
        .size:           4
        .value_kind:     hidden_block_count_x
      - .offset:         68
        .size:           4
        .value_kind:     hidden_block_count_y
      - .offset:         72
        .size:           4
        .value_kind:     hidden_block_count_z
      - .offset:         76
        .size:           2
        .value_kind:     hidden_group_size_x
      - .offset:         78
        .size:           2
        .value_kind:     hidden_group_size_y
      - .offset:         80
        .size:           2
        .value_kind:     hidden_group_size_z
      - .offset:         82
        .size:           2
        .value_kind:     hidden_remainder_x
      - .offset:         84
        .size:           2
        .value_kind:     hidden_remainder_y
      - .offset:         86
        .size:           2
        .value_kind:     hidden_remainder_z
      - .offset:         104
        .size:           8
        .value_kind:     hidden_global_offset_x
      - .offset:         112
        .size:           8
        .value_kind:     hidden_global_offset_y
      - .offset:         120
        .size:           8
        .value_kind:     hidden_global_offset_z
      - .offset:         128
        .size:           2
        .value_kind:     hidden_grid_dims
    .group_segment_fixed_size: 0
    .kernarg_segment_align: 8
    .kernarg_segment_size: 320
    .language:       OpenCL C
    .language_version:
      - 2
      - 0
    .max_flat_workgroup_size: 256
    .name:           _ZN7rocprim17ROCPRIM_400000_NS6detail30init_device_scan_by_key_kernelINS1_19lookback_scan_stateINS0_5tupleIJibEEELb1ELb1EEEN6thrust23THRUST_200600_302600_NS10device_ptrIiEEjNS1_16block_id_wrapperIjLb1EEEEEvT_jjPNSD_10value_typeET0_PNSt15iterator_traitsISG_E10value_typeEmT1_T2_
    .private_segment_fixed_size: 0
    .sgpr_count:     26
    .sgpr_spill_count: 0
    .symbol:         _ZN7rocprim17ROCPRIM_400000_NS6detail30init_device_scan_by_key_kernelINS1_19lookback_scan_stateINS0_5tupleIJibEEELb1ELb1EEEN6thrust23THRUST_200600_302600_NS10device_ptrIiEEjNS1_16block_id_wrapperIjLb1EEEEEvT_jjPNSD_10value_typeET0_PNSt15iterator_traitsISG_E10value_typeEmT1_T2_.kd
    .uniform_work_group_size: 1
    .uses_dynamic_stack: false
    .vgpr_count:     10
    .vgpr_spill_count: 0
    .wavefront_size: 64
  - .agpr_count:     0
    .args:
      - .offset:         0
        .size:           112
        .value_kind:     by_value
    .group_segment_fixed_size: 0
    .kernarg_segment_align: 8
    .kernarg_segment_size: 112
    .language:       OpenCL C
    .language_version:
      - 2
      - 0
    .max_flat_workgroup_size: 256
    .name:           _ZN7rocprim17ROCPRIM_400000_NS6detail17trampoline_kernelINS0_14default_configENS1_27scan_by_key_config_selectorIiiEEZZNS1_16scan_by_key_implILNS1_25lookback_scan_determinismE0ELb0ES3_N6thrust23THRUST_200600_302600_NS10device_ptrIiEESB_SB_iNS9_4plusIvEENS9_8equal_toIvEEiEE10hipError_tPvRmT2_T3_T4_T5_mT6_T7_P12ihipStream_tbENKUlT_T0_E_clISt17integral_constantIbLb1EESW_EEDaSR_SS_EUlSR_E_NS1_11comp_targetILNS1_3genE0ELNS1_11target_archE4294967295ELNS1_3gpuE0ELNS1_3repE0EEENS1_30default_config_static_selectorELNS0_4arch9wavefront6targetE1EEEvT1_
    .private_segment_fixed_size: 0
    .sgpr_count:     6
    .sgpr_spill_count: 0
    .symbol:         _ZN7rocprim17ROCPRIM_400000_NS6detail17trampoline_kernelINS0_14default_configENS1_27scan_by_key_config_selectorIiiEEZZNS1_16scan_by_key_implILNS1_25lookback_scan_determinismE0ELb0ES3_N6thrust23THRUST_200600_302600_NS10device_ptrIiEESB_SB_iNS9_4plusIvEENS9_8equal_toIvEEiEE10hipError_tPvRmT2_T3_T4_T5_mT6_T7_P12ihipStream_tbENKUlT_T0_E_clISt17integral_constantIbLb1EESW_EEDaSR_SS_EUlSR_E_NS1_11comp_targetILNS1_3genE0ELNS1_11target_archE4294967295ELNS1_3gpuE0ELNS1_3repE0EEENS1_30default_config_static_selectorELNS0_4arch9wavefront6targetE1EEEvT1_.kd
    .uniform_work_group_size: 1
    .uses_dynamic_stack: false
    .vgpr_count:     0
    .vgpr_spill_count: 0
    .wavefront_size: 64
  - .agpr_count:     0
    .args:
      - .offset:         0
        .size:           112
        .value_kind:     by_value
    .group_segment_fixed_size: 0
    .kernarg_segment_align: 8
    .kernarg_segment_size: 112
    .language:       OpenCL C
    .language_version:
      - 2
      - 0
    .max_flat_workgroup_size: 256
    .name:           _ZN7rocprim17ROCPRIM_400000_NS6detail17trampoline_kernelINS0_14default_configENS1_27scan_by_key_config_selectorIiiEEZZNS1_16scan_by_key_implILNS1_25lookback_scan_determinismE0ELb0ES3_N6thrust23THRUST_200600_302600_NS10device_ptrIiEESB_SB_iNS9_4plusIvEENS9_8equal_toIvEEiEE10hipError_tPvRmT2_T3_T4_T5_mT6_T7_P12ihipStream_tbENKUlT_T0_E_clISt17integral_constantIbLb1EESW_EEDaSR_SS_EUlSR_E_NS1_11comp_targetILNS1_3genE10ELNS1_11target_archE1201ELNS1_3gpuE5ELNS1_3repE0EEENS1_30default_config_static_selectorELNS0_4arch9wavefront6targetE1EEEvT1_
    .private_segment_fixed_size: 0
    .sgpr_count:     6
    .sgpr_spill_count: 0
    .symbol:         _ZN7rocprim17ROCPRIM_400000_NS6detail17trampoline_kernelINS0_14default_configENS1_27scan_by_key_config_selectorIiiEEZZNS1_16scan_by_key_implILNS1_25lookback_scan_determinismE0ELb0ES3_N6thrust23THRUST_200600_302600_NS10device_ptrIiEESB_SB_iNS9_4plusIvEENS9_8equal_toIvEEiEE10hipError_tPvRmT2_T3_T4_T5_mT6_T7_P12ihipStream_tbENKUlT_T0_E_clISt17integral_constantIbLb1EESW_EEDaSR_SS_EUlSR_E_NS1_11comp_targetILNS1_3genE10ELNS1_11target_archE1201ELNS1_3gpuE5ELNS1_3repE0EEENS1_30default_config_static_selectorELNS0_4arch9wavefront6targetE1EEEvT1_.kd
    .uniform_work_group_size: 1
    .uses_dynamic_stack: false
    .vgpr_count:     0
    .vgpr_spill_count: 0
    .wavefront_size: 64
  - .agpr_count:     0
    .args:
      - .offset:         0
        .size:           112
        .value_kind:     by_value
    .group_segment_fixed_size: 25600
    .kernarg_segment_align: 8
    .kernarg_segment_size: 112
    .language:       OpenCL C
    .language_version:
      - 2
      - 0
    .max_flat_workgroup_size: 256
    .name:           _ZN7rocprim17ROCPRIM_400000_NS6detail17trampoline_kernelINS0_14default_configENS1_27scan_by_key_config_selectorIiiEEZZNS1_16scan_by_key_implILNS1_25lookback_scan_determinismE0ELb0ES3_N6thrust23THRUST_200600_302600_NS10device_ptrIiEESB_SB_iNS9_4plusIvEENS9_8equal_toIvEEiEE10hipError_tPvRmT2_T3_T4_T5_mT6_T7_P12ihipStream_tbENKUlT_T0_E_clISt17integral_constantIbLb1EESW_EEDaSR_SS_EUlSR_E_NS1_11comp_targetILNS1_3genE5ELNS1_11target_archE942ELNS1_3gpuE9ELNS1_3repE0EEENS1_30default_config_static_selectorELNS0_4arch9wavefront6targetE1EEEvT1_
    .private_segment_fixed_size: 0
    .sgpr_count:     91
    .sgpr_spill_count: 0
    .symbol:         _ZN7rocprim17ROCPRIM_400000_NS6detail17trampoline_kernelINS0_14default_configENS1_27scan_by_key_config_selectorIiiEEZZNS1_16scan_by_key_implILNS1_25lookback_scan_determinismE0ELb0ES3_N6thrust23THRUST_200600_302600_NS10device_ptrIiEESB_SB_iNS9_4plusIvEENS9_8equal_toIvEEiEE10hipError_tPvRmT2_T3_T4_T5_mT6_T7_P12ihipStream_tbENKUlT_T0_E_clISt17integral_constantIbLb1EESW_EEDaSR_SS_EUlSR_E_NS1_11comp_targetILNS1_3genE5ELNS1_11target_archE942ELNS1_3gpuE9ELNS1_3repE0EEENS1_30default_config_static_selectorELNS0_4arch9wavefront6targetE1EEEvT1_.kd
    .uniform_work_group_size: 1
    .uses_dynamic_stack: false
    .vgpr_count:     81
    .vgpr_spill_count: 0
    .wavefront_size: 64
  - .agpr_count:     0
    .args:
      - .offset:         0
        .size:           112
        .value_kind:     by_value
    .group_segment_fixed_size: 0
    .kernarg_segment_align: 8
    .kernarg_segment_size: 112
    .language:       OpenCL C
    .language_version:
      - 2
      - 0
    .max_flat_workgroup_size: 256
    .name:           _ZN7rocprim17ROCPRIM_400000_NS6detail17trampoline_kernelINS0_14default_configENS1_27scan_by_key_config_selectorIiiEEZZNS1_16scan_by_key_implILNS1_25lookback_scan_determinismE0ELb0ES3_N6thrust23THRUST_200600_302600_NS10device_ptrIiEESB_SB_iNS9_4plusIvEENS9_8equal_toIvEEiEE10hipError_tPvRmT2_T3_T4_T5_mT6_T7_P12ihipStream_tbENKUlT_T0_E_clISt17integral_constantIbLb1EESW_EEDaSR_SS_EUlSR_E_NS1_11comp_targetILNS1_3genE4ELNS1_11target_archE910ELNS1_3gpuE8ELNS1_3repE0EEENS1_30default_config_static_selectorELNS0_4arch9wavefront6targetE1EEEvT1_
    .private_segment_fixed_size: 0
    .sgpr_count:     6
    .sgpr_spill_count: 0
    .symbol:         _ZN7rocprim17ROCPRIM_400000_NS6detail17trampoline_kernelINS0_14default_configENS1_27scan_by_key_config_selectorIiiEEZZNS1_16scan_by_key_implILNS1_25lookback_scan_determinismE0ELb0ES3_N6thrust23THRUST_200600_302600_NS10device_ptrIiEESB_SB_iNS9_4plusIvEENS9_8equal_toIvEEiEE10hipError_tPvRmT2_T3_T4_T5_mT6_T7_P12ihipStream_tbENKUlT_T0_E_clISt17integral_constantIbLb1EESW_EEDaSR_SS_EUlSR_E_NS1_11comp_targetILNS1_3genE4ELNS1_11target_archE910ELNS1_3gpuE8ELNS1_3repE0EEENS1_30default_config_static_selectorELNS0_4arch9wavefront6targetE1EEEvT1_.kd
    .uniform_work_group_size: 1
    .uses_dynamic_stack: false
    .vgpr_count:     0
    .vgpr_spill_count: 0
    .wavefront_size: 64
  - .agpr_count:     0
    .args:
      - .offset:         0
        .size:           112
        .value_kind:     by_value
    .group_segment_fixed_size: 0
    .kernarg_segment_align: 8
    .kernarg_segment_size: 112
    .language:       OpenCL C
    .language_version:
      - 2
      - 0
    .max_flat_workgroup_size: 256
    .name:           _ZN7rocprim17ROCPRIM_400000_NS6detail17trampoline_kernelINS0_14default_configENS1_27scan_by_key_config_selectorIiiEEZZNS1_16scan_by_key_implILNS1_25lookback_scan_determinismE0ELb0ES3_N6thrust23THRUST_200600_302600_NS10device_ptrIiEESB_SB_iNS9_4plusIvEENS9_8equal_toIvEEiEE10hipError_tPvRmT2_T3_T4_T5_mT6_T7_P12ihipStream_tbENKUlT_T0_E_clISt17integral_constantIbLb1EESW_EEDaSR_SS_EUlSR_E_NS1_11comp_targetILNS1_3genE3ELNS1_11target_archE908ELNS1_3gpuE7ELNS1_3repE0EEENS1_30default_config_static_selectorELNS0_4arch9wavefront6targetE1EEEvT1_
    .private_segment_fixed_size: 0
    .sgpr_count:     6
    .sgpr_spill_count: 0
    .symbol:         _ZN7rocprim17ROCPRIM_400000_NS6detail17trampoline_kernelINS0_14default_configENS1_27scan_by_key_config_selectorIiiEEZZNS1_16scan_by_key_implILNS1_25lookback_scan_determinismE0ELb0ES3_N6thrust23THRUST_200600_302600_NS10device_ptrIiEESB_SB_iNS9_4plusIvEENS9_8equal_toIvEEiEE10hipError_tPvRmT2_T3_T4_T5_mT6_T7_P12ihipStream_tbENKUlT_T0_E_clISt17integral_constantIbLb1EESW_EEDaSR_SS_EUlSR_E_NS1_11comp_targetILNS1_3genE3ELNS1_11target_archE908ELNS1_3gpuE7ELNS1_3repE0EEENS1_30default_config_static_selectorELNS0_4arch9wavefront6targetE1EEEvT1_.kd
    .uniform_work_group_size: 1
    .uses_dynamic_stack: false
    .vgpr_count:     0
    .vgpr_spill_count: 0
    .wavefront_size: 64
  - .agpr_count:     0
    .args:
      - .offset:         0
        .size:           112
        .value_kind:     by_value
    .group_segment_fixed_size: 0
    .kernarg_segment_align: 8
    .kernarg_segment_size: 112
    .language:       OpenCL C
    .language_version:
      - 2
      - 0
    .max_flat_workgroup_size: 256
    .name:           _ZN7rocprim17ROCPRIM_400000_NS6detail17trampoline_kernelINS0_14default_configENS1_27scan_by_key_config_selectorIiiEEZZNS1_16scan_by_key_implILNS1_25lookback_scan_determinismE0ELb0ES3_N6thrust23THRUST_200600_302600_NS10device_ptrIiEESB_SB_iNS9_4plusIvEENS9_8equal_toIvEEiEE10hipError_tPvRmT2_T3_T4_T5_mT6_T7_P12ihipStream_tbENKUlT_T0_E_clISt17integral_constantIbLb1EESW_EEDaSR_SS_EUlSR_E_NS1_11comp_targetILNS1_3genE2ELNS1_11target_archE906ELNS1_3gpuE6ELNS1_3repE0EEENS1_30default_config_static_selectorELNS0_4arch9wavefront6targetE1EEEvT1_
    .private_segment_fixed_size: 0
    .sgpr_count:     6
    .sgpr_spill_count: 0
    .symbol:         _ZN7rocprim17ROCPRIM_400000_NS6detail17trampoline_kernelINS0_14default_configENS1_27scan_by_key_config_selectorIiiEEZZNS1_16scan_by_key_implILNS1_25lookback_scan_determinismE0ELb0ES3_N6thrust23THRUST_200600_302600_NS10device_ptrIiEESB_SB_iNS9_4plusIvEENS9_8equal_toIvEEiEE10hipError_tPvRmT2_T3_T4_T5_mT6_T7_P12ihipStream_tbENKUlT_T0_E_clISt17integral_constantIbLb1EESW_EEDaSR_SS_EUlSR_E_NS1_11comp_targetILNS1_3genE2ELNS1_11target_archE906ELNS1_3gpuE6ELNS1_3repE0EEENS1_30default_config_static_selectorELNS0_4arch9wavefront6targetE1EEEvT1_.kd
    .uniform_work_group_size: 1
    .uses_dynamic_stack: false
    .vgpr_count:     0
    .vgpr_spill_count: 0
    .wavefront_size: 64
  - .agpr_count:     0
    .args:
      - .offset:         0
        .size:           112
        .value_kind:     by_value
    .group_segment_fixed_size: 0
    .kernarg_segment_align: 8
    .kernarg_segment_size: 112
    .language:       OpenCL C
    .language_version:
      - 2
      - 0
    .max_flat_workgroup_size: 256
    .name:           _ZN7rocprim17ROCPRIM_400000_NS6detail17trampoline_kernelINS0_14default_configENS1_27scan_by_key_config_selectorIiiEEZZNS1_16scan_by_key_implILNS1_25lookback_scan_determinismE0ELb0ES3_N6thrust23THRUST_200600_302600_NS10device_ptrIiEESB_SB_iNS9_4plusIvEENS9_8equal_toIvEEiEE10hipError_tPvRmT2_T3_T4_T5_mT6_T7_P12ihipStream_tbENKUlT_T0_E_clISt17integral_constantIbLb1EESW_EEDaSR_SS_EUlSR_E_NS1_11comp_targetILNS1_3genE10ELNS1_11target_archE1200ELNS1_3gpuE4ELNS1_3repE0EEENS1_30default_config_static_selectorELNS0_4arch9wavefront6targetE1EEEvT1_
    .private_segment_fixed_size: 0
    .sgpr_count:     6
    .sgpr_spill_count: 0
    .symbol:         _ZN7rocprim17ROCPRIM_400000_NS6detail17trampoline_kernelINS0_14default_configENS1_27scan_by_key_config_selectorIiiEEZZNS1_16scan_by_key_implILNS1_25lookback_scan_determinismE0ELb0ES3_N6thrust23THRUST_200600_302600_NS10device_ptrIiEESB_SB_iNS9_4plusIvEENS9_8equal_toIvEEiEE10hipError_tPvRmT2_T3_T4_T5_mT6_T7_P12ihipStream_tbENKUlT_T0_E_clISt17integral_constantIbLb1EESW_EEDaSR_SS_EUlSR_E_NS1_11comp_targetILNS1_3genE10ELNS1_11target_archE1200ELNS1_3gpuE4ELNS1_3repE0EEENS1_30default_config_static_selectorELNS0_4arch9wavefront6targetE1EEEvT1_.kd
    .uniform_work_group_size: 1
    .uses_dynamic_stack: false
    .vgpr_count:     0
    .vgpr_spill_count: 0
    .wavefront_size: 64
  - .agpr_count:     0
    .args:
      - .offset:         0
        .size:           112
        .value_kind:     by_value
    .group_segment_fixed_size: 0
    .kernarg_segment_align: 8
    .kernarg_segment_size: 112
    .language:       OpenCL C
    .language_version:
      - 2
      - 0
    .max_flat_workgroup_size: 256
    .name:           _ZN7rocprim17ROCPRIM_400000_NS6detail17trampoline_kernelINS0_14default_configENS1_27scan_by_key_config_selectorIiiEEZZNS1_16scan_by_key_implILNS1_25lookback_scan_determinismE0ELb0ES3_N6thrust23THRUST_200600_302600_NS10device_ptrIiEESB_SB_iNS9_4plusIvEENS9_8equal_toIvEEiEE10hipError_tPvRmT2_T3_T4_T5_mT6_T7_P12ihipStream_tbENKUlT_T0_E_clISt17integral_constantIbLb1EESW_EEDaSR_SS_EUlSR_E_NS1_11comp_targetILNS1_3genE9ELNS1_11target_archE1100ELNS1_3gpuE3ELNS1_3repE0EEENS1_30default_config_static_selectorELNS0_4arch9wavefront6targetE1EEEvT1_
    .private_segment_fixed_size: 0
    .sgpr_count:     6
    .sgpr_spill_count: 0
    .symbol:         _ZN7rocprim17ROCPRIM_400000_NS6detail17trampoline_kernelINS0_14default_configENS1_27scan_by_key_config_selectorIiiEEZZNS1_16scan_by_key_implILNS1_25lookback_scan_determinismE0ELb0ES3_N6thrust23THRUST_200600_302600_NS10device_ptrIiEESB_SB_iNS9_4plusIvEENS9_8equal_toIvEEiEE10hipError_tPvRmT2_T3_T4_T5_mT6_T7_P12ihipStream_tbENKUlT_T0_E_clISt17integral_constantIbLb1EESW_EEDaSR_SS_EUlSR_E_NS1_11comp_targetILNS1_3genE9ELNS1_11target_archE1100ELNS1_3gpuE3ELNS1_3repE0EEENS1_30default_config_static_selectorELNS0_4arch9wavefront6targetE1EEEvT1_.kd
    .uniform_work_group_size: 1
    .uses_dynamic_stack: false
    .vgpr_count:     0
    .vgpr_spill_count: 0
    .wavefront_size: 64
  - .agpr_count:     0
    .args:
      - .offset:         0
        .size:           112
        .value_kind:     by_value
    .group_segment_fixed_size: 0
    .kernarg_segment_align: 8
    .kernarg_segment_size: 112
    .language:       OpenCL C
    .language_version:
      - 2
      - 0
    .max_flat_workgroup_size: 256
    .name:           _ZN7rocprim17ROCPRIM_400000_NS6detail17trampoline_kernelINS0_14default_configENS1_27scan_by_key_config_selectorIiiEEZZNS1_16scan_by_key_implILNS1_25lookback_scan_determinismE0ELb0ES3_N6thrust23THRUST_200600_302600_NS10device_ptrIiEESB_SB_iNS9_4plusIvEENS9_8equal_toIvEEiEE10hipError_tPvRmT2_T3_T4_T5_mT6_T7_P12ihipStream_tbENKUlT_T0_E_clISt17integral_constantIbLb1EESW_EEDaSR_SS_EUlSR_E_NS1_11comp_targetILNS1_3genE8ELNS1_11target_archE1030ELNS1_3gpuE2ELNS1_3repE0EEENS1_30default_config_static_selectorELNS0_4arch9wavefront6targetE1EEEvT1_
    .private_segment_fixed_size: 0
    .sgpr_count:     6
    .sgpr_spill_count: 0
    .symbol:         _ZN7rocprim17ROCPRIM_400000_NS6detail17trampoline_kernelINS0_14default_configENS1_27scan_by_key_config_selectorIiiEEZZNS1_16scan_by_key_implILNS1_25lookback_scan_determinismE0ELb0ES3_N6thrust23THRUST_200600_302600_NS10device_ptrIiEESB_SB_iNS9_4plusIvEENS9_8equal_toIvEEiEE10hipError_tPvRmT2_T3_T4_T5_mT6_T7_P12ihipStream_tbENKUlT_T0_E_clISt17integral_constantIbLb1EESW_EEDaSR_SS_EUlSR_E_NS1_11comp_targetILNS1_3genE8ELNS1_11target_archE1030ELNS1_3gpuE2ELNS1_3repE0EEENS1_30default_config_static_selectorELNS0_4arch9wavefront6targetE1EEEvT1_.kd
    .uniform_work_group_size: 1
    .uses_dynamic_stack: false
    .vgpr_count:     0
    .vgpr_spill_count: 0
    .wavefront_size: 64
  - .agpr_count:     0
    .args:
      - .address_space:  global
        .offset:         0
        .size:           8
        .value_kind:     global_buffer
      - .offset:         8
        .size:           4
        .value_kind:     by_value
      - .offset:         12
        .size:           4
        .value_kind:     by_value
      - .address_space:  global
        .offset:         16
        .size:           8
        .value_kind:     global_buffer
      - .address_space:  global
        .offset:         24
        .size:           8
        .value_kind:     global_buffer
      - .actual_access:  write_only
        .address_space:  global
        .offset:         32
        .size:           8
        .value_kind:     global_buffer
      - .offset:         40
        .size:           8
        .value_kind:     by_value
      - .offset:         48
        .size:           4
        .value_kind:     by_value
      - .offset:         52
        .size:           1
        .value_kind:     by_value
      - .offset:         56
        .size:           4
        .value_kind:     hidden_block_count_x
      - .offset:         60
        .size:           4
        .value_kind:     hidden_block_count_y
      - .offset:         64
        .size:           4
        .value_kind:     hidden_block_count_z
      - .offset:         68
        .size:           2
        .value_kind:     hidden_group_size_x
      - .offset:         70
        .size:           2
        .value_kind:     hidden_group_size_y
      - .offset:         72
        .size:           2
        .value_kind:     hidden_group_size_z
      - .offset:         74
        .size:           2
        .value_kind:     hidden_remainder_x
      - .offset:         76
        .size:           2
        .value_kind:     hidden_remainder_y
      - .offset:         78
        .size:           2
        .value_kind:     hidden_remainder_z
      - .offset:         96
        .size:           8
        .value_kind:     hidden_global_offset_x
      - .offset:         104
        .size:           8
        .value_kind:     hidden_global_offset_y
      - .offset:         112
        .size:           8
        .value_kind:     hidden_global_offset_z
      - .offset:         120
        .size:           2
        .value_kind:     hidden_grid_dims
    .group_segment_fixed_size: 0
    .kernarg_segment_align: 8
    .kernarg_segment_size: 312
    .language:       OpenCL C
    .language_version:
      - 2
      - 0
    .max_flat_workgroup_size: 256
    .name:           _ZN7rocprim17ROCPRIM_400000_NS6detail30init_device_scan_by_key_kernelINS1_19lookback_scan_stateINS0_5tupleIJibEEELb1ELb1EEEN6thrust23THRUST_200600_302600_NS10device_ptrIiEEjNS1_16block_id_wrapperIjLb0EEEEEvT_jjPNSD_10value_typeET0_PNSt15iterator_traitsISG_E10value_typeEmT1_T2_
    .private_segment_fixed_size: 0
    .sgpr_count:     26
    .sgpr_spill_count: 0
    .symbol:         _ZN7rocprim17ROCPRIM_400000_NS6detail30init_device_scan_by_key_kernelINS1_19lookback_scan_stateINS0_5tupleIJibEEELb1ELb1EEEN6thrust23THRUST_200600_302600_NS10device_ptrIiEEjNS1_16block_id_wrapperIjLb0EEEEEvT_jjPNSD_10value_typeET0_PNSt15iterator_traitsISG_E10value_typeEmT1_T2_.kd
    .uniform_work_group_size: 1
    .uses_dynamic_stack: false
    .vgpr_count:     10
    .vgpr_spill_count: 0
    .wavefront_size: 64
  - .agpr_count:     0
    .args:
      - .offset:         0
        .size:           112
        .value_kind:     by_value
    .group_segment_fixed_size: 0
    .kernarg_segment_align: 8
    .kernarg_segment_size: 112
    .language:       OpenCL C
    .language_version:
      - 2
      - 0
    .max_flat_workgroup_size: 256
    .name:           _ZN7rocprim17ROCPRIM_400000_NS6detail17trampoline_kernelINS0_14default_configENS1_27scan_by_key_config_selectorIiiEEZZNS1_16scan_by_key_implILNS1_25lookback_scan_determinismE0ELb0ES3_N6thrust23THRUST_200600_302600_NS10device_ptrIiEESB_SB_iNS9_4plusIvEENS9_8equal_toIvEEiEE10hipError_tPvRmT2_T3_T4_T5_mT6_T7_P12ihipStream_tbENKUlT_T0_E_clISt17integral_constantIbLb1EESV_IbLb0EEEEDaSR_SS_EUlSR_E_NS1_11comp_targetILNS1_3genE0ELNS1_11target_archE4294967295ELNS1_3gpuE0ELNS1_3repE0EEENS1_30default_config_static_selectorELNS0_4arch9wavefront6targetE1EEEvT1_
    .private_segment_fixed_size: 0
    .sgpr_count:     6
    .sgpr_spill_count: 0
    .symbol:         _ZN7rocprim17ROCPRIM_400000_NS6detail17trampoline_kernelINS0_14default_configENS1_27scan_by_key_config_selectorIiiEEZZNS1_16scan_by_key_implILNS1_25lookback_scan_determinismE0ELb0ES3_N6thrust23THRUST_200600_302600_NS10device_ptrIiEESB_SB_iNS9_4plusIvEENS9_8equal_toIvEEiEE10hipError_tPvRmT2_T3_T4_T5_mT6_T7_P12ihipStream_tbENKUlT_T0_E_clISt17integral_constantIbLb1EESV_IbLb0EEEEDaSR_SS_EUlSR_E_NS1_11comp_targetILNS1_3genE0ELNS1_11target_archE4294967295ELNS1_3gpuE0ELNS1_3repE0EEENS1_30default_config_static_selectorELNS0_4arch9wavefront6targetE1EEEvT1_.kd
    .uniform_work_group_size: 1
    .uses_dynamic_stack: false
    .vgpr_count:     0
    .vgpr_spill_count: 0
    .wavefront_size: 64
  - .agpr_count:     0
    .args:
      - .offset:         0
        .size:           112
        .value_kind:     by_value
    .group_segment_fixed_size: 0
    .kernarg_segment_align: 8
    .kernarg_segment_size: 112
    .language:       OpenCL C
    .language_version:
      - 2
      - 0
    .max_flat_workgroup_size: 256
    .name:           _ZN7rocprim17ROCPRIM_400000_NS6detail17trampoline_kernelINS0_14default_configENS1_27scan_by_key_config_selectorIiiEEZZNS1_16scan_by_key_implILNS1_25lookback_scan_determinismE0ELb0ES3_N6thrust23THRUST_200600_302600_NS10device_ptrIiEESB_SB_iNS9_4plusIvEENS9_8equal_toIvEEiEE10hipError_tPvRmT2_T3_T4_T5_mT6_T7_P12ihipStream_tbENKUlT_T0_E_clISt17integral_constantIbLb1EESV_IbLb0EEEEDaSR_SS_EUlSR_E_NS1_11comp_targetILNS1_3genE10ELNS1_11target_archE1201ELNS1_3gpuE5ELNS1_3repE0EEENS1_30default_config_static_selectorELNS0_4arch9wavefront6targetE1EEEvT1_
    .private_segment_fixed_size: 0
    .sgpr_count:     6
    .sgpr_spill_count: 0
    .symbol:         _ZN7rocprim17ROCPRIM_400000_NS6detail17trampoline_kernelINS0_14default_configENS1_27scan_by_key_config_selectorIiiEEZZNS1_16scan_by_key_implILNS1_25lookback_scan_determinismE0ELb0ES3_N6thrust23THRUST_200600_302600_NS10device_ptrIiEESB_SB_iNS9_4plusIvEENS9_8equal_toIvEEiEE10hipError_tPvRmT2_T3_T4_T5_mT6_T7_P12ihipStream_tbENKUlT_T0_E_clISt17integral_constantIbLb1EESV_IbLb0EEEEDaSR_SS_EUlSR_E_NS1_11comp_targetILNS1_3genE10ELNS1_11target_archE1201ELNS1_3gpuE5ELNS1_3repE0EEENS1_30default_config_static_selectorELNS0_4arch9wavefront6targetE1EEEvT1_.kd
    .uniform_work_group_size: 1
    .uses_dynamic_stack: false
    .vgpr_count:     0
    .vgpr_spill_count: 0
    .wavefront_size: 64
  - .agpr_count:     0
    .args:
      - .offset:         0
        .size:           112
        .value_kind:     by_value
    .group_segment_fixed_size: 25600
    .kernarg_segment_align: 8
    .kernarg_segment_size: 112
    .language:       OpenCL C
    .language_version:
      - 2
      - 0
    .max_flat_workgroup_size: 256
    .name:           _ZN7rocprim17ROCPRIM_400000_NS6detail17trampoline_kernelINS0_14default_configENS1_27scan_by_key_config_selectorIiiEEZZNS1_16scan_by_key_implILNS1_25lookback_scan_determinismE0ELb0ES3_N6thrust23THRUST_200600_302600_NS10device_ptrIiEESB_SB_iNS9_4plusIvEENS9_8equal_toIvEEiEE10hipError_tPvRmT2_T3_T4_T5_mT6_T7_P12ihipStream_tbENKUlT_T0_E_clISt17integral_constantIbLb1EESV_IbLb0EEEEDaSR_SS_EUlSR_E_NS1_11comp_targetILNS1_3genE5ELNS1_11target_archE942ELNS1_3gpuE9ELNS1_3repE0EEENS1_30default_config_static_selectorELNS0_4arch9wavefront6targetE1EEEvT1_
    .private_segment_fixed_size: 0
    .sgpr_count:     88
    .sgpr_spill_count: 0
    .symbol:         _ZN7rocprim17ROCPRIM_400000_NS6detail17trampoline_kernelINS0_14default_configENS1_27scan_by_key_config_selectorIiiEEZZNS1_16scan_by_key_implILNS1_25lookback_scan_determinismE0ELb0ES3_N6thrust23THRUST_200600_302600_NS10device_ptrIiEESB_SB_iNS9_4plusIvEENS9_8equal_toIvEEiEE10hipError_tPvRmT2_T3_T4_T5_mT6_T7_P12ihipStream_tbENKUlT_T0_E_clISt17integral_constantIbLb1EESV_IbLb0EEEEDaSR_SS_EUlSR_E_NS1_11comp_targetILNS1_3genE5ELNS1_11target_archE942ELNS1_3gpuE9ELNS1_3repE0EEENS1_30default_config_static_selectorELNS0_4arch9wavefront6targetE1EEEvT1_.kd
    .uniform_work_group_size: 1
    .uses_dynamic_stack: false
    .vgpr_count:     81
    .vgpr_spill_count: 0
    .wavefront_size: 64
  - .agpr_count:     0
    .args:
      - .offset:         0
        .size:           112
        .value_kind:     by_value
    .group_segment_fixed_size: 0
    .kernarg_segment_align: 8
    .kernarg_segment_size: 112
    .language:       OpenCL C
    .language_version:
      - 2
      - 0
    .max_flat_workgroup_size: 256
    .name:           _ZN7rocprim17ROCPRIM_400000_NS6detail17trampoline_kernelINS0_14default_configENS1_27scan_by_key_config_selectorIiiEEZZNS1_16scan_by_key_implILNS1_25lookback_scan_determinismE0ELb0ES3_N6thrust23THRUST_200600_302600_NS10device_ptrIiEESB_SB_iNS9_4plusIvEENS9_8equal_toIvEEiEE10hipError_tPvRmT2_T3_T4_T5_mT6_T7_P12ihipStream_tbENKUlT_T0_E_clISt17integral_constantIbLb1EESV_IbLb0EEEEDaSR_SS_EUlSR_E_NS1_11comp_targetILNS1_3genE4ELNS1_11target_archE910ELNS1_3gpuE8ELNS1_3repE0EEENS1_30default_config_static_selectorELNS0_4arch9wavefront6targetE1EEEvT1_
    .private_segment_fixed_size: 0
    .sgpr_count:     6
    .sgpr_spill_count: 0
    .symbol:         _ZN7rocprim17ROCPRIM_400000_NS6detail17trampoline_kernelINS0_14default_configENS1_27scan_by_key_config_selectorIiiEEZZNS1_16scan_by_key_implILNS1_25lookback_scan_determinismE0ELb0ES3_N6thrust23THRUST_200600_302600_NS10device_ptrIiEESB_SB_iNS9_4plusIvEENS9_8equal_toIvEEiEE10hipError_tPvRmT2_T3_T4_T5_mT6_T7_P12ihipStream_tbENKUlT_T0_E_clISt17integral_constantIbLb1EESV_IbLb0EEEEDaSR_SS_EUlSR_E_NS1_11comp_targetILNS1_3genE4ELNS1_11target_archE910ELNS1_3gpuE8ELNS1_3repE0EEENS1_30default_config_static_selectorELNS0_4arch9wavefront6targetE1EEEvT1_.kd
    .uniform_work_group_size: 1
    .uses_dynamic_stack: false
    .vgpr_count:     0
    .vgpr_spill_count: 0
    .wavefront_size: 64
  - .agpr_count:     0
    .args:
      - .offset:         0
        .size:           112
        .value_kind:     by_value
    .group_segment_fixed_size: 0
    .kernarg_segment_align: 8
    .kernarg_segment_size: 112
    .language:       OpenCL C
    .language_version:
      - 2
      - 0
    .max_flat_workgroup_size: 256
    .name:           _ZN7rocprim17ROCPRIM_400000_NS6detail17trampoline_kernelINS0_14default_configENS1_27scan_by_key_config_selectorIiiEEZZNS1_16scan_by_key_implILNS1_25lookback_scan_determinismE0ELb0ES3_N6thrust23THRUST_200600_302600_NS10device_ptrIiEESB_SB_iNS9_4plusIvEENS9_8equal_toIvEEiEE10hipError_tPvRmT2_T3_T4_T5_mT6_T7_P12ihipStream_tbENKUlT_T0_E_clISt17integral_constantIbLb1EESV_IbLb0EEEEDaSR_SS_EUlSR_E_NS1_11comp_targetILNS1_3genE3ELNS1_11target_archE908ELNS1_3gpuE7ELNS1_3repE0EEENS1_30default_config_static_selectorELNS0_4arch9wavefront6targetE1EEEvT1_
    .private_segment_fixed_size: 0
    .sgpr_count:     6
    .sgpr_spill_count: 0
    .symbol:         _ZN7rocprim17ROCPRIM_400000_NS6detail17trampoline_kernelINS0_14default_configENS1_27scan_by_key_config_selectorIiiEEZZNS1_16scan_by_key_implILNS1_25lookback_scan_determinismE0ELb0ES3_N6thrust23THRUST_200600_302600_NS10device_ptrIiEESB_SB_iNS9_4plusIvEENS9_8equal_toIvEEiEE10hipError_tPvRmT2_T3_T4_T5_mT6_T7_P12ihipStream_tbENKUlT_T0_E_clISt17integral_constantIbLb1EESV_IbLb0EEEEDaSR_SS_EUlSR_E_NS1_11comp_targetILNS1_3genE3ELNS1_11target_archE908ELNS1_3gpuE7ELNS1_3repE0EEENS1_30default_config_static_selectorELNS0_4arch9wavefront6targetE1EEEvT1_.kd
    .uniform_work_group_size: 1
    .uses_dynamic_stack: false
    .vgpr_count:     0
    .vgpr_spill_count: 0
    .wavefront_size: 64
  - .agpr_count:     0
    .args:
      - .offset:         0
        .size:           112
        .value_kind:     by_value
    .group_segment_fixed_size: 0
    .kernarg_segment_align: 8
    .kernarg_segment_size: 112
    .language:       OpenCL C
    .language_version:
      - 2
      - 0
    .max_flat_workgroup_size: 256
    .name:           _ZN7rocprim17ROCPRIM_400000_NS6detail17trampoline_kernelINS0_14default_configENS1_27scan_by_key_config_selectorIiiEEZZNS1_16scan_by_key_implILNS1_25lookback_scan_determinismE0ELb0ES3_N6thrust23THRUST_200600_302600_NS10device_ptrIiEESB_SB_iNS9_4plusIvEENS9_8equal_toIvEEiEE10hipError_tPvRmT2_T3_T4_T5_mT6_T7_P12ihipStream_tbENKUlT_T0_E_clISt17integral_constantIbLb1EESV_IbLb0EEEEDaSR_SS_EUlSR_E_NS1_11comp_targetILNS1_3genE2ELNS1_11target_archE906ELNS1_3gpuE6ELNS1_3repE0EEENS1_30default_config_static_selectorELNS0_4arch9wavefront6targetE1EEEvT1_
    .private_segment_fixed_size: 0
    .sgpr_count:     6
    .sgpr_spill_count: 0
    .symbol:         _ZN7rocprim17ROCPRIM_400000_NS6detail17trampoline_kernelINS0_14default_configENS1_27scan_by_key_config_selectorIiiEEZZNS1_16scan_by_key_implILNS1_25lookback_scan_determinismE0ELb0ES3_N6thrust23THRUST_200600_302600_NS10device_ptrIiEESB_SB_iNS9_4plusIvEENS9_8equal_toIvEEiEE10hipError_tPvRmT2_T3_T4_T5_mT6_T7_P12ihipStream_tbENKUlT_T0_E_clISt17integral_constantIbLb1EESV_IbLb0EEEEDaSR_SS_EUlSR_E_NS1_11comp_targetILNS1_3genE2ELNS1_11target_archE906ELNS1_3gpuE6ELNS1_3repE0EEENS1_30default_config_static_selectorELNS0_4arch9wavefront6targetE1EEEvT1_.kd
    .uniform_work_group_size: 1
    .uses_dynamic_stack: false
    .vgpr_count:     0
    .vgpr_spill_count: 0
    .wavefront_size: 64
  - .agpr_count:     0
    .args:
      - .offset:         0
        .size:           112
        .value_kind:     by_value
    .group_segment_fixed_size: 0
    .kernarg_segment_align: 8
    .kernarg_segment_size: 112
    .language:       OpenCL C
    .language_version:
      - 2
      - 0
    .max_flat_workgroup_size: 256
    .name:           _ZN7rocprim17ROCPRIM_400000_NS6detail17trampoline_kernelINS0_14default_configENS1_27scan_by_key_config_selectorIiiEEZZNS1_16scan_by_key_implILNS1_25lookback_scan_determinismE0ELb0ES3_N6thrust23THRUST_200600_302600_NS10device_ptrIiEESB_SB_iNS9_4plusIvEENS9_8equal_toIvEEiEE10hipError_tPvRmT2_T3_T4_T5_mT6_T7_P12ihipStream_tbENKUlT_T0_E_clISt17integral_constantIbLb1EESV_IbLb0EEEEDaSR_SS_EUlSR_E_NS1_11comp_targetILNS1_3genE10ELNS1_11target_archE1200ELNS1_3gpuE4ELNS1_3repE0EEENS1_30default_config_static_selectorELNS0_4arch9wavefront6targetE1EEEvT1_
    .private_segment_fixed_size: 0
    .sgpr_count:     6
    .sgpr_spill_count: 0
    .symbol:         _ZN7rocprim17ROCPRIM_400000_NS6detail17trampoline_kernelINS0_14default_configENS1_27scan_by_key_config_selectorIiiEEZZNS1_16scan_by_key_implILNS1_25lookback_scan_determinismE0ELb0ES3_N6thrust23THRUST_200600_302600_NS10device_ptrIiEESB_SB_iNS9_4plusIvEENS9_8equal_toIvEEiEE10hipError_tPvRmT2_T3_T4_T5_mT6_T7_P12ihipStream_tbENKUlT_T0_E_clISt17integral_constantIbLb1EESV_IbLb0EEEEDaSR_SS_EUlSR_E_NS1_11comp_targetILNS1_3genE10ELNS1_11target_archE1200ELNS1_3gpuE4ELNS1_3repE0EEENS1_30default_config_static_selectorELNS0_4arch9wavefront6targetE1EEEvT1_.kd
    .uniform_work_group_size: 1
    .uses_dynamic_stack: false
    .vgpr_count:     0
    .vgpr_spill_count: 0
    .wavefront_size: 64
  - .agpr_count:     0
    .args:
      - .offset:         0
        .size:           112
        .value_kind:     by_value
    .group_segment_fixed_size: 0
    .kernarg_segment_align: 8
    .kernarg_segment_size: 112
    .language:       OpenCL C
    .language_version:
      - 2
      - 0
    .max_flat_workgroup_size: 256
    .name:           _ZN7rocprim17ROCPRIM_400000_NS6detail17trampoline_kernelINS0_14default_configENS1_27scan_by_key_config_selectorIiiEEZZNS1_16scan_by_key_implILNS1_25lookback_scan_determinismE0ELb0ES3_N6thrust23THRUST_200600_302600_NS10device_ptrIiEESB_SB_iNS9_4plusIvEENS9_8equal_toIvEEiEE10hipError_tPvRmT2_T3_T4_T5_mT6_T7_P12ihipStream_tbENKUlT_T0_E_clISt17integral_constantIbLb1EESV_IbLb0EEEEDaSR_SS_EUlSR_E_NS1_11comp_targetILNS1_3genE9ELNS1_11target_archE1100ELNS1_3gpuE3ELNS1_3repE0EEENS1_30default_config_static_selectorELNS0_4arch9wavefront6targetE1EEEvT1_
    .private_segment_fixed_size: 0
    .sgpr_count:     6
    .sgpr_spill_count: 0
    .symbol:         _ZN7rocprim17ROCPRIM_400000_NS6detail17trampoline_kernelINS0_14default_configENS1_27scan_by_key_config_selectorIiiEEZZNS1_16scan_by_key_implILNS1_25lookback_scan_determinismE0ELb0ES3_N6thrust23THRUST_200600_302600_NS10device_ptrIiEESB_SB_iNS9_4plusIvEENS9_8equal_toIvEEiEE10hipError_tPvRmT2_T3_T4_T5_mT6_T7_P12ihipStream_tbENKUlT_T0_E_clISt17integral_constantIbLb1EESV_IbLb0EEEEDaSR_SS_EUlSR_E_NS1_11comp_targetILNS1_3genE9ELNS1_11target_archE1100ELNS1_3gpuE3ELNS1_3repE0EEENS1_30default_config_static_selectorELNS0_4arch9wavefront6targetE1EEEvT1_.kd
    .uniform_work_group_size: 1
    .uses_dynamic_stack: false
    .vgpr_count:     0
    .vgpr_spill_count: 0
    .wavefront_size: 64
  - .agpr_count:     0
    .args:
      - .offset:         0
        .size:           112
        .value_kind:     by_value
    .group_segment_fixed_size: 0
    .kernarg_segment_align: 8
    .kernarg_segment_size: 112
    .language:       OpenCL C
    .language_version:
      - 2
      - 0
    .max_flat_workgroup_size: 256
    .name:           _ZN7rocprim17ROCPRIM_400000_NS6detail17trampoline_kernelINS0_14default_configENS1_27scan_by_key_config_selectorIiiEEZZNS1_16scan_by_key_implILNS1_25lookback_scan_determinismE0ELb0ES3_N6thrust23THRUST_200600_302600_NS10device_ptrIiEESB_SB_iNS9_4plusIvEENS9_8equal_toIvEEiEE10hipError_tPvRmT2_T3_T4_T5_mT6_T7_P12ihipStream_tbENKUlT_T0_E_clISt17integral_constantIbLb1EESV_IbLb0EEEEDaSR_SS_EUlSR_E_NS1_11comp_targetILNS1_3genE8ELNS1_11target_archE1030ELNS1_3gpuE2ELNS1_3repE0EEENS1_30default_config_static_selectorELNS0_4arch9wavefront6targetE1EEEvT1_
    .private_segment_fixed_size: 0
    .sgpr_count:     6
    .sgpr_spill_count: 0
    .symbol:         _ZN7rocprim17ROCPRIM_400000_NS6detail17trampoline_kernelINS0_14default_configENS1_27scan_by_key_config_selectorIiiEEZZNS1_16scan_by_key_implILNS1_25lookback_scan_determinismE0ELb0ES3_N6thrust23THRUST_200600_302600_NS10device_ptrIiEESB_SB_iNS9_4plusIvEENS9_8equal_toIvEEiEE10hipError_tPvRmT2_T3_T4_T5_mT6_T7_P12ihipStream_tbENKUlT_T0_E_clISt17integral_constantIbLb1EESV_IbLb0EEEEDaSR_SS_EUlSR_E_NS1_11comp_targetILNS1_3genE8ELNS1_11target_archE1030ELNS1_3gpuE2ELNS1_3repE0EEENS1_30default_config_static_selectorELNS0_4arch9wavefront6targetE1EEEvT1_.kd
    .uniform_work_group_size: 1
    .uses_dynamic_stack: false
    .vgpr_count:     0
    .vgpr_spill_count: 0
    .wavefront_size: 64
  - .agpr_count:     0
    .args:
      - .address_space:  global
        .offset:         0
        .size:           8
        .value_kind:     global_buffer
      - .offset:         8
        .size:           4
        .value_kind:     by_value
      - .offset:         12
        .size:           4
        .value_kind:     by_value
      - .address_space:  global
        .offset:         16
        .size:           8
        .value_kind:     global_buffer
      - .address_space:  global
        .offset:         24
        .size:           8
        .value_kind:     global_buffer
      - .actual_access:  write_only
        .address_space:  global
        .offset:         32
        .size:           8
        .value_kind:     global_buffer
      - .offset:         40
        .size:           8
        .value_kind:     by_value
      - .offset:         48
        .size:           4
        .value_kind:     by_value
      - .address_space:  global
        .offset:         56
        .size:           8
        .value_kind:     global_buffer
      - .offset:         64
        .size:           4
        .value_kind:     hidden_block_count_x
      - .offset:         68
        .size:           4
        .value_kind:     hidden_block_count_y
      - .offset:         72
        .size:           4
        .value_kind:     hidden_block_count_z
      - .offset:         76
        .size:           2
        .value_kind:     hidden_group_size_x
      - .offset:         78
        .size:           2
        .value_kind:     hidden_group_size_y
      - .offset:         80
        .size:           2
        .value_kind:     hidden_group_size_z
      - .offset:         82
        .size:           2
        .value_kind:     hidden_remainder_x
      - .offset:         84
        .size:           2
        .value_kind:     hidden_remainder_y
      - .offset:         86
        .size:           2
        .value_kind:     hidden_remainder_z
      - .offset:         104
        .size:           8
        .value_kind:     hidden_global_offset_x
      - .offset:         112
        .size:           8
        .value_kind:     hidden_global_offset_y
      - .offset:         120
        .size:           8
        .value_kind:     hidden_global_offset_z
      - .offset:         128
        .size:           2
        .value_kind:     hidden_grid_dims
    .group_segment_fixed_size: 0
    .kernarg_segment_align: 8
    .kernarg_segment_size: 320
    .language:       OpenCL C
    .language_version:
      - 2
      - 0
    .max_flat_workgroup_size: 256
    .name:           _ZN7rocprim17ROCPRIM_400000_NS6detail30init_device_scan_by_key_kernelINS1_19lookback_scan_stateINS0_5tupleIJibEEELb0ELb1EEEN6thrust23THRUST_200600_302600_NS10device_ptrIiEEjNS1_16block_id_wrapperIjLb1EEEEEvT_jjPNSD_10value_typeET0_PNSt15iterator_traitsISG_E10value_typeEmT1_T2_
    .private_segment_fixed_size: 0
    .sgpr_count:     26
    .sgpr_spill_count: 0
    .symbol:         _ZN7rocprim17ROCPRIM_400000_NS6detail30init_device_scan_by_key_kernelINS1_19lookback_scan_stateINS0_5tupleIJibEEELb0ELb1EEEN6thrust23THRUST_200600_302600_NS10device_ptrIiEEjNS1_16block_id_wrapperIjLb1EEEEEvT_jjPNSD_10value_typeET0_PNSt15iterator_traitsISG_E10value_typeEmT1_T2_.kd
    .uniform_work_group_size: 1
    .uses_dynamic_stack: false
    .vgpr_count:     10
    .vgpr_spill_count: 0
    .wavefront_size: 64
  - .agpr_count:     0
    .args:
      - .offset:         0
        .size:           112
        .value_kind:     by_value
    .group_segment_fixed_size: 0
    .kernarg_segment_align: 8
    .kernarg_segment_size: 112
    .language:       OpenCL C
    .language_version:
      - 2
      - 0
    .max_flat_workgroup_size: 256
    .name:           _ZN7rocprim17ROCPRIM_400000_NS6detail17trampoline_kernelINS0_14default_configENS1_27scan_by_key_config_selectorIiiEEZZNS1_16scan_by_key_implILNS1_25lookback_scan_determinismE0ELb0ES3_N6thrust23THRUST_200600_302600_NS10device_ptrIiEESB_SB_iNS9_4plusIvEENS9_8equal_toIvEEiEE10hipError_tPvRmT2_T3_T4_T5_mT6_T7_P12ihipStream_tbENKUlT_T0_E_clISt17integral_constantIbLb0EESV_IbLb1EEEEDaSR_SS_EUlSR_E_NS1_11comp_targetILNS1_3genE0ELNS1_11target_archE4294967295ELNS1_3gpuE0ELNS1_3repE0EEENS1_30default_config_static_selectorELNS0_4arch9wavefront6targetE1EEEvT1_
    .private_segment_fixed_size: 0
    .sgpr_count:     6
    .sgpr_spill_count: 0
    .symbol:         _ZN7rocprim17ROCPRIM_400000_NS6detail17trampoline_kernelINS0_14default_configENS1_27scan_by_key_config_selectorIiiEEZZNS1_16scan_by_key_implILNS1_25lookback_scan_determinismE0ELb0ES3_N6thrust23THRUST_200600_302600_NS10device_ptrIiEESB_SB_iNS9_4plusIvEENS9_8equal_toIvEEiEE10hipError_tPvRmT2_T3_T4_T5_mT6_T7_P12ihipStream_tbENKUlT_T0_E_clISt17integral_constantIbLb0EESV_IbLb1EEEEDaSR_SS_EUlSR_E_NS1_11comp_targetILNS1_3genE0ELNS1_11target_archE4294967295ELNS1_3gpuE0ELNS1_3repE0EEENS1_30default_config_static_selectorELNS0_4arch9wavefront6targetE1EEEvT1_.kd
    .uniform_work_group_size: 1
    .uses_dynamic_stack: false
    .vgpr_count:     0
    .vgpr_spill_count: 0
    .wavefront_size: 64
  - .agpr_count:     0
    .args:
      - .offset:         0
        .size:           112
        .value_kind:     by_value
    .group_segment_fixed_size: 0
    .kernarg_segment_align: 8
    .kernarg_segment_size: 112
    .language:       OpenCL C
    .language_version:
      - 2
      - 0
    .max_flat_workgroup_size: 256
    .name:           _ZN7rocprim17ROCPRIM_400000_NS6detail17trampoline_kernelINS0_14default_configENS1_27scan_by_key_config_selectorIiiEEZZNS1_16scan_by_key_implILNS1_25lookback_scan_determinismE0ELb0ES3_N6thrust23THRUST_200600_302600_NS10device_ptrIiEESB_SB_iNS9_4plusIvEENS9_8equal_toIvEEiEE10hipError_tPvRmT2_T3_T4_T5_mT6_T7_P12ihipStream_tbENKUlT_T0_E_clISt17integral_constantIbLb0EESV_IbLb1EEEEDaSR_SS_EUlSR_E_NS1_11comp_targetILNS1_3genE10ELNS1_11target_archE1201ELNS1_3gpuE5ELNS1_3repE0EEENS1_30default_config_static_selectorELNS0_4arch9wavefront6targetE1EEEvT1_
    .private_segment_fixed_size: 0
    .sgpr_count:     6
    .sgpr_spill_count: 0
    .symbol:         _ZN7rocprim17ROCPRIM_400000_NS6detail17trampoline_kernelINS0_14default_configENS1_27scan_by_key_config_selectorIiiEEZZNS1_16scan_by_key_implILNS1_25lookback_scan_determinismE0ELb0ES3_N6thrust23THRUST_200600_302600_NS10device_ptrIiEESB_SB_iNS9_4plusIvEENS9_8equal_toIvEEiEE10hipError_tPvRmT2_T3_T4_T5_mT6_T7_P12ihipStream_tbENKUlT_T0_E_clISt17integral_constantIbLb0EESV_IbLb1EEEEDaSR_SS_EUlSR_E_NS1_11comp_targetILNS1_3genE10ELNS1_11target_archE1201ELNS1_3gpuE5ELNS1_3repE0EEENS1_30default_config_static_selectorELNS0_4arch9wavefront6targetE1EEEvT1_.kd
    .uniform_work_group_size: 1
    .uses_dynamic_stack: false
    .vgpr_count:     0
    .vgpr_spill_count: 0
    .wavefront_size: 64
  - .agpr_count:     0
    .args:
      - .offset:         0
        .size:           112
        .value_kind:     by_value
    .group_segment_fixed_size: 25600
    .kernarg_segment_align: 8
    .kernarg_segment_size: 112
    .language:       OpenCL C
    .language_version:
      - 2
      - 0
    .max_flat_workgroup_size: 256
    .name:           _ZN7rocprim17ROCPRIM_400000_NS6detail17trampoline_kernelINS0_14default_configENS1_27scan_by_key_config_selectorIiiEEZZNS1_16scan_by_key_implILNS1_25lookback_scan_determinismE0ELb0ES3_N6thrust23THRUST_200600_302600_NS10device_ptrIiEESB_SB_iNS9_4plusIvEENS9_8equal_toIvEEiEE10hipError_tPvRmT2_T3_T4_T5_mT6_T7_P12ihipStream_tbENKUlT_T0_E_clISt17integral_constantIbLb0EESV_IbLb1EEEEDaSR_SS_EUlSR_E_NS1_11comp_targetILNS1_3genE5ELNS1_11target_archE942ELNS1_3gpuE9ELNS1_3repE0EEENS1_30default_config_static_selectorELNS0_4arch9wavefront6targetE1EEEvT1_
    .private_segment_fixed_size: 0
    .sgpr_count:     91
    .sgpr_spill_count: 0
    .symbol:         _ZN7rocprim17ROCPRIM_400000_NS6detail17trampoline_kernelINS0_14default_configENS1_27scan_by_key_config_selectorIiiEEZZNS1_16scan_by_key_implILNS1_25lookback_scan_determinismE0ELb0ES3_N6thrust23THRUST_200600_302600_NS10device_ptrIiEESB_SB_iNS9_4plusIvEENS9_8equal_toIvEEiEE10hipError_tPvRmT2_T3_T4_T5_mT6_T7_P12ihipStream_tbENKUlT_T0_E_clISt17integral_constantIbLb0EESV_IbLb1EEEEDaSR_SS_EUlSR_E_NS1_11comp_targetILNS1_3genE5ELNS1_11target_archE942ELNS1_3gpuE9ELNS1_3repE0EEENS1_30default_config_static_selectorELNS0_4arch9wavefront6targetE1EEEvT1_.kd
    .uniform_work_group_size: 1
    .uses_dynamic_stack: false
    .vgpr_count:     81
    .vgpr_spill_count: 0
    .wavefront_size: 64
  - .agpr_count:     0
    .args:
      - .offset:         0
        .size:           112
        .value_kind:     by_value
    .group_segment_fixed_size: 0
    .kernarg_segment_align: 8
    .kernarg_segment_size: 112
    .language:       OpenCL C
    .language_version:
      - 2
      - 0
    .max_flat_workgroup_size: 256
    .name:           _ZN7rocprim17ROCPRIM_400000_NS6detail17trampoline_kernelINS0_14default_configENS1_27scan_by_key_config_selectorIiiEEZZNS1_16scan_by_key_implILNS1_25lookback_scan_determinismE0ELb0ES3_N6thrust23THRUST_200600_302600_NS10device_ptrIiEESB_SB_iNS9_4plusIvEENS9_8equal_toIvEEiEE10hipError_tPvRmT2_T3_T4_T5_mT6_T7_P12ihipStream_tbENKUlT_T0_E_clISt17integral_constantIbLb0EESV_IbLb1EEEEDaSR_SS_EUlSR_E_NS1_11comp_targetILNS1_3genE4ELNS1_11target_archE910ELNS1_3gpuE8ELNS1_3repE0EEENS1_30default_config_static_selectorELNS0_4arch9wavefront6targetE1EEEvT1_
    .private_segment_fixed_size: 0
    .sgpr_count:     6
    .sgpr_spill_count: 0
    .symbol:         _ZN7rocprim17ROCPRIM_400000_NS6detail17trampoline_kernelINS0_14default_configENS1_27scan_by_key_config_selectorIiiEEZZNS1_16scan_by_key_implILNS1_25lookback_scan_determinismE0ELb0ES3_N6thrust23THRUST_200600_302600_NS10device_ptrIiEESB_SB_iNS9_4plusIvEENS9_8equal_toIvEEiEE10hipError_tPvRmT2_T3_T4_T5_mT6_T7_P12ihipStream_tbENKUlT_T0_E_clISt17integral_constantIbLb0EESV_IbLb1EEEEDaSR_SS_EUlSR_E_NS1_11comp_targetILNS1_3genE4ELNS1_11target_archE910ELNS1_3gpuE8ELNS1_3repE0EEENS1_30default_config_static_selectorELNS0_4arch9wavefront6targetE1EEEvT1_.kd
    .uniform_work_group_size: 1
    .uses_dynamic_stack: false
    .vgpr_count:     0
    .vgpr_spill_count: 0
    .wavefront_size: 64
  - .agpr_count:     0
    .args:
      - .offset:         0
        .size:           112
        .value_kind:     by_value
    .group_segment_fixed_size: 0
    .kernarg_segment_align: 8
    .kernarg_segment_size: 112
    .language:       OpenCL C
    .language_version:
      - 2
      - 0
    .max_flat_workgroup_size: 256
    .name:           _ZN7rocprim17ROCPRIM_400000_NS6detail17trampoline_kernelINS0_14default_configENS1_27scan_by_key_config_selectorIiiEEZZNS1_16scan_by_key_implILNS1_25lookback_scan_determinismE0ELb0ES3_N6thrust23THRUST_200600_302600_NS10device_ptrIiEESB_SB_iNS9_4plusIvEENS9_8equal_toIvEEiEE10hipError_tPvRmT2_T3_T4_T5_mT6_T7_P12ihipStream_tbENKUlT_T0_E_clISt17integral_constantIbLb0EESV_IbLb1EEEEDaSR_SS_EUlSR_E_NS1_11comp_targetILNS1_3genE3ELNS1_11target_archE908ELNS1_3gpuE7ELNS1_3repE0EEENS1_30default_config_static_selectorELNS0_4arch9wavefront6targetE1EEEvT1_
    .private_segment_fixed_size: 0
    .sgpr_count:     6
    .sgpr_spill_count: 0
    .symbol:         _ZN7rocprim17ROCPRIM_400000_NS6detail17trampoline_kernelINS0_14default_configENS1_27scan_by_key_config_selectorIiiEEZZNS1_16scan_by_key_implILNS1_25lookback_scan_determinismE0ELb0ES3_N6thrust23THRUST_200600_302600_NS10device_ptrIiEESB_SB_iNS9_4plusIvEENS9_8equal_toIvEEiEE10hipError_tPvRmT2_T3_T4_T5_mT6_T7_P12ihipStream_tbENKUlT_T0_E_clISt17integral_constantIbLb0EESV_IbLb1EEEEDaSR_SS_EUlSR_E_NS1_11comp_targetILNS1_3genE3ELNS1_11target_archE908ELNS1_3gpuE7ELNS1_3repE0EEENS1_30default_config_static_selectorELNS0_4arch9wavefront6targetE1EEEvT1_.kd
    .uniform_work_group_size: 1
    .uses_dynamic_stack: false
    .vgpr_count:     0
    .vgpr_spill_count: 0
    .wavefront_size: 64
  - .agpr_count:     0
    .args:
      - .offset:         0
        .size:           112
        .value_kind:     by_value
    .group_segment_fixed_size: 0
    .kernarg_segment_align: 8
    .kernarg_segment_size: 112
    .language:       OpenCL C
    .language_version:
      - 2
      - 0
    .max_flat_workgroup_size: 256
    .name:           _ZN7rocprim17ROCPRIM_400000_NS6detail17trampoline_kernelINS0_14default_configENS1_27scan_by_key_config_selectorIiiEEZZNS1_16scan_by_key_implILNS1_25lookback_scan_determinismE0ELb0ES3_N6thrust23THRUST_200600_302600_NS10device_ptrIiEESB_SB_iNS9_4plusIvEENS9_8equal_toIvEEiEE10hipError_tPvRmT2_T3_T4_T5_mT6_T7_P12ihipStream_tbENKUlT_T0_E_clISt17integral_constantIbLb0EESV_IbLb1EEEEDaSR_SS_EUlSR_E_NS1_11comp_targetILNS1_3genE2ELNS1_11target_archE906ELNS1_3gpuE6ELNS1_3repE0EEENS1_30default_config_static_selectorELNS0_4arch9wavefront6targetE1EEEvT1_
    .private_segment_fixed_size: 0
    .sgpr_count:     6
    .sgpr_spill_count: 0
    .symbol:         _ZN7rocprim17ROCPRIM_400000_NS6detail17trampoline_kernelINS0_14default_configENS1_27scan_by_key_config_selectorIiiEEZZNS1_16scan_by_key_implILNS1_25lookback_scan_determinismE0ELb0ES3_N6thrust23THRUST_200600_302600_NS10device_ptrIiEESB_SB_iNS9_4plusIvEENS9_8equal_toIvEEiEE10hipError_tPvRmT2_T3_T4_T5_mT6_T7_P12ihipStream_tbENKUlT_T0_E_clISt17integral_constantIbLb0EESV_IbLb1EEEEDaSR_SS_EUlSR_E_NS1_11comp_targetILNS1_3genE2ELNS1_11target_archE906ELNS1_3gpuE6ELNS1_3repE0EEENS1_30default_config_static_selectorELNS0_4arch9wavefront6targetE1EEEvT1_.kd
    .uniform_work_group_size: 1
    .uses_dynamic_stack: false
    .vgpr_count:     0
    .vgpr_spill_count: 0
    .wavefront_size: 64
  - .agpr_count:     0
    .args:
      - .offset:         0
        .size:           112
        .value_kind:     by_value
    .group_segment_fixed_size: 0
    .kernarg_segment_align: 8
    .kernarg_segment_size: 112
    .language:       OpenCL C
    .language_version:
      - 2
      - 0
    .max_flat_workgroup_size: 256
    .name:           _ZN7rocprim17ROCPRIM_400000_NS6detail17trampoline_kernelINS0_14default_configENS1_27scan_by_key_config_selectorIiiEEZZNS1_16scan_by_key_implILNS1_25lookback_scan_determinismE0ELb0ES3_N6thrust23THRUST_200600_302600_NS10device_ptrIiEESB_SB_iNS9_4plusIvEENS9_8equal_toIvEEiEE10hipError_tPvRmT2_T3_T4_T5_mT6_T7_P12ihipStream_tbENKUlT_T0_E_clISt17integral_constantIbLb0EESV_IbLb1EEEEDaSR_SS_EUlSR_E_NS1_11comp_targetILNS1_3genE10ELNS1_11target_archE1200ELNS1_3gpuE4ELNS1_3repE0EEENS1_30default_config_static_selectorELNS0_4arch9wavefront6targetE1EEEvT1_
    .private_segment_fixed_size: 0
    .sgpr_count:     6
    .sgpr_spill_count: 0
    .symbol:         _ZN7rocprim17ROCPRIM_400000_NS6detail17trampoline_kernelINS0_14default_configENS1_27scan_by_key_config_selectorIiiEEZZNS1_16scan_by_key_implILNS1_25lookback_scan_determinismE0ELb0ES3_N6thrust23THRUST_200600_302600_NS10device_ptrIiEESB_SB_iNS9_4plusIvEENS9_8equal_toIvEEiEE10hipError_tPvRmT2_T3_T4_T5_mT6_T7_P12ihipStream_tbENKUlT_T0_E_clISt17integral_constantIbLb0EESV_IbLb1EEEEDaSR_SS_EUlSR_E_NS1_11comp_targetILNS1_3genE10ELNS1_11target_archE1200ELNS1_3gpuE4ELNS1_3repE0EEENS1_30default_config_static_selectorELNS0_4arch9wavefront6targetE1EEEvT1_.kd
    .uniform_work_group_size: 1
    .uses_dynamic_stack: false
    .vgpr_count:     0
    .vgpr_spill_count: 0
    .wavefront_size: 64
  - .agpr_count:     0
    .args:
      - .offset:         0
        .size:           112
        .value_kind:     by_value
    .group_segment_fixed_size: 0
    .kernarg_segment_align: 8
    .kernarg_segment_size: 112
    .language:       OpenCL C
    .language_version:
      - 2
      - 0
    .max_flat_workgroup_size: 256
    .name:           _ZN7rocprim17ROCPRIM_400000_NS6detail17trampoline_kernelINS0_14default_configENS1_27scan_by_key_config_selectorIiiEEZZNS1_16scan_by_key_implILNS1_25lookback_scan_determinismE0ELb0ES3_N6thrust23THRUST_200600_302600_NS10device_ptrIiEESB_SB_iNS9_4plusIvEENS9_8equal_toIvEEiEE10hipError_tPvRmT2_T3_T4_T5_mT6_T7_P12ihipStream_tbENKUlT_T0_E_clISt17integral_constantIbLb0EESV_IbLb1EEEEDaSR_SS_EUlSR_E_NS1_11comp_targetILNS1_3genE9ELNS1_11target_archE1100ELNS1_3gpuE3ELNS1_3repE0EEENS1_30default_config_static_selectorELNS0_4arch9wavefront6targetE1EEEvT1_
    .private_segment_fixed_size: 0
    .sgpr_count:     6
    .sgpr_spill_count: 0
    .symbol:         _ZN7rocprim17ROCPRIM_400000_NS6detail17trampoline_kernelINS0_14default_configENS1_27scan_by_key_config_selectorIiiEEZZNS1_16scan_by_key_implILNS1_25lookback_scan_determinismE0ELb0ES3_N6thrust23THRUST_200600_302600_NS10device_ptrIiEESB_SB_iNS9_4plusIvEENS9_8equal_toIvEEiEE10hipError_tPvRmT2_T3_T4_T5_mT6_T7_P12ihipStream_tbENKUlT_T0_E_clISt17integral_constantIbLb0EESV_IbLb1EEEEDaSR_SS_EUlSR_E_NS1_11comp_targetILNS1_3genE9ELNS1_11target_archE1100ELNS1_3gpuE3ELNS1_3repE0EEENS1_30default_config_static_selectorELNS0_4arch9wavefront6targetE1EEEvT1_.kd
    .uniform_work_group_size: 1
    .uses_dynamic_stack: false
    .vgpr_count:     0
    .vgpr_spill_count: 0
    .wavefront_size: 64
  - .agpr_count:     0
    .args:
      - .offset:         0
        .size:           112
        .value_kind:     by_value
    .group_segment_fixed_size: 0
    .kernarg_segment_align: 8
    .kernarg_segment_size: 112
    .language:       OpenCL C
    .language_version:
      - 2
      - 0
    .max_flat_workgroup_size: 256
    .name:           _ZN7rocprim17ROCPRIM_400000_NS6detail17trampoline_kernelINS0_14default_configENS1_27scan_by_key_config_selectorIiiEEZZNS1_16scan_by_key_implILNS1_25lookback_scan_determinismE0ELb0ES3_N6thrust23THRUST_200600_302600_NS10device_ptrIiEESB_SB_iNS9_4plusIvEENS9_8equal_toIvEEiEE10hipError_tPvRmT2_T3_T4_T5_mT6_T7_P12ihipStream_tbENKUlT_T0_E_clISt17integral_constantIbLb0EESV_IbLb1EEEEDaSR_SS_EUlSR_E_NS1_11comp_targetILNS1_3genE8ELNS1_11target_archE1030ELNS1_3gpuE2ELNS1_3repE0EEENS1_30default_config_static_selectorELNS0_4arch9wavefront6targetE1EEEvT1_
    .private_segment_fixed_size: 0
    .sgpr_count:     6
    .sgpr_spill_count: 0
    .symbol:         _ZN7rocprim17ROCPRIM_400000_NS6detail17trampoline_kernelINS0_14default_configENS1_27scan_by_key_config_selectorIiiEEZZNS1_16scan_by_key_implILNS1_25lookback_scan_determinismE0ELb0ES3_N6thrust23THRUST_200600_302600_NS10device_ptrIiEESB_SB_iNS9_4plusIvEENS9_8equal_toIvEEiEE10hipError_tPvRmT2_T3_T4_T5_mT6_T7_P12ihipStream_tbENKUlT_T0_E_clISt17integral_constantIbLb0EESV_IbLb1EEEEDaSR_SS_EUlSR_E_NS1_11comp_targetILNS1_3genE8ELNS1_11target_archE1030ELNS1_3gpuE2ELNS1_3repE0EEENS1_30default_config_static_selectorELNS0_4arch9wavefront6targetE1EEEvT1_.kd
    .uniform_work_group_size: 1
    .uses_dynamic_stack: false
    .vgpr_count:     0
    .vgpr_spill_count: 0
    .wavefront_size: 64
  - .agpr_count:     0
    .args:
      - .offset:         0
        .size:           112
        .value_kind:     by_value
    .group_segment_fixed_size: 0
    .kernarg_segment_align: 8
    .kernarg_segment_size: 112
    .language:       OpenCL C
    .language_version:
      - 2
      - 0
    .max_flat_workgroup_size: 256
    .name:           _ZN7rocprim17ROCPRIM_400000_NS6detail17trampoline_kernelINS0_14default_configENS1_27scan_by_key_config_selectorIiiEEZZNS1_16scan_by_key_implILNS1_25lookback_scan_determinismE0ELb1ES3_N6thrust23THRUST_200600_302600_NS10device_ptrIiEESB_SB_iNS9_4plusIvEENS9_8equal_toIvEEiEE10hipError_tPvRmT2_T3_T4_T5_mT6_T7_P12ihipStream_tbENKUlT_T0_E_clISt17integral_constantIbLb0EESW_EEDaSR_SS_EUlSR_E_NS1_11comp_targetILNS1_3genE0ELNS1_11target_archE4294967295ELNS1_3gpuE0ELNS1_3repE0EEENS1_30default_config_static_selectorELNS0_4arch9wavefront6targetE1EEEvT1_
    .private_segment_fixed_size: 0
    .sgpr_count:     6
    .sgpr_spill_count: 0
    .symbol:         _ZN7rocprim17ROCPRIM_400000_NS6detail17trampoline_kernelINS0_14default_configENS1_27scan_by_key_config_selectorIiiEEZZNS1_16scan_by_key_implILNS1_25lookback_scan_determinismE0ELb1ES3_N6thrust23THRUST_200600_302600_NS10device_ptrIiEESB_SB_iNS9_4plusIvEENS9_8equal_toIvEEiEE10hipError_tPvRmT2_T3_T4_T5_mT6_T7_P12ihipStream_tbENKUlT_T0_E_clISt17integral_constantIbLb0EESW_EEDaSR_SS_EUlSR_E_NS1_11comp_targetILNS1_3genE0ELNS1_11target_archE4294967295ELNS1_3gpuE0ELNS1_3repE0EEENS1_30default_config_static_selectorELNS0_4arch9wavefront6targetE1EEEvT1_.kd
    .uniform_work_group_size: 1
    .uses_dynamic_stack: false
    .vgpr_count:     0
    .vgpr_spill_count: 0
    .wavefront_size: 64
  - .agpr_count:     0
    .args:
      - .offset:         0
        .size:           112
        .value_kind:     by_value
    .group_segment_fixed_size: 0
    .kernarg_segment_align: 8
    .kernarg_segment_size: 112
    .language:       OpenCL C
    .language_version:
      - 2
      - 0
    .max_flat_workgroup_size: 256
    .name:           _ZN7rocprim17ROCPRIM_400000_NS6detail17trampoline_kernelINS0_14default_configENS1_27scan_by_key_config_selectorIiiEEZZNS1_16scan_by_key_implILNS1_25lookback_scan_determinismE0ELb1ES3_N6thrust23THRUST_200600_302600_NS10device_ptrIiEESB_SB_iNS9_4plusIvEENS9_8equal_toIvEEiEE10hipError_tPvRmT2_T3_T4_T5_mT6_T7_P12ihipStream_tbENKUlT_T0_E_clISt17integral_constantIbLb0EESW_EEDaSR_SS_EUlSR_E_NS1_11comp_targetILNS1_3genE10ELNS1_11target_archE1201ELNS1_3gpuE5ELNS1_3repE0EEENS1_30default_config_static_selectorELNS0_4arch9wavefront6targetE1EEEvT1_
    .private_segment_fixed_size: 0
    .sgpr_count:     6
    .sgpr_spill_count: 0
    .symbol:         _ZN7rocprim17ROCPRIM_400000_NS6detail17trampoline_kernelINS0_14default_configENS1_27scan_by_key_config_selectorIiiEEZZNS1_16scan_by_key_implILNS1_25lookback_scan_determinismE0ELb1ES3_N6thrust23THRUST_200600_302600_NS10device_ptrIiEESB_SB_iNS9_4plusIvEENS9_8equal_toIvEEiEE10hipError_tPvRmT2_T3_T4_T5_mT6_T7_P12ihipStream_tbENKUlT_T0_E_clISt17integral_constantIbLb0EESW_EEDaSR_SS_EUlSR_E_NS1_11comp_targetILNS1_3genE10ELNS1_11target_archE1201ELNS1_3gpuE5ELNS1_3repE0EEENS1_30default_config_static_selectorELNS0_4arch9wavefront6targetE1EEEvT1_.kd
    .uniform_work_group_size: 1
    .uses_dynamic_stack: false
    .vgpr_count:     0
    .vgpr_spill_count: 0
    .wavefront_size: 64
  - .agpr_count:     0
    .args:
      - .offset:         0
        .size:           112
        .value_kind:     by_value
    .group_segment_fixed_size: 25600
    .kernarg_segment_align: 8
    .kernarg_segment_size: 112
    .language:       OpenCL C
    .language_version:
      - 2
      - 0
    .max_flat_workgroup_size: 256
    .name:           _ZN7rocprim17ROCPRIM_400000_NS6detail17trampoline_kernelINS0_14default_configENS1_27scan_by_key_config_selectorIiiEEZZNS1_16scan_by_key_implILNS1_25lookback_scan_determinismE0ELb1ES3_N6thrust23THRUST_200600_302600_NS10device_ptrIiEESB_SB_iNS9_4plusIvEENS9_8equal_toIvEEiEE10hipError_tPvRmT2_T3_T4_T5_mT6_T7_P12ihipStream_tbENKUlT_T0_E_clISt17integral_constantIbLb0EESW_EEDaSR_SS_EUlSR_E_NS1_11comp_targetILNS1_3genE5ELNS1_11target_archE942ELNS1_3gpuE9ELNS1_3repE0EEENS1_30default_config_static_selectorELNS0_4arch9wavefront6targetE1EEEvT1_
    .private_segment_fixed_size: 0
    .sgpr_count:     86
    .sgpr_spill_count: 0
    .symbol:         _ZN7rocprim17ROCPRIM_400000_NS6detail17trampoline_kernelINS0_14default_configENS1_27scan_by_key_config_selectorIiiEEZZNS1_16scan_by_key_implILNS1_25lookback_scan_determinismE0ELb1ES3_N6thrust23THRUST_200600_302600_NS10device_ptrIiEESB_SB_iNS9_4plusIvEENS9_8equal_toIvEEiEE10hipError_tPvRmT2_T3_T4_T5_mT6_T7_P12ihipStream_tbENKUlT_T0_E_clISt17integral_constantIbLb0EESW_EEDaSR_SS_EUlSR_E_NS1_11comp_targetILNS1_3genE5ELNS1_11target_archE942ELNS1_3gpuE9ELNS1_3repE0EEENS1_30default_config_static_selectorELNS0_4arch9wavefront6targetE1EEEvT1_.kd
    .uniform_work_group_size: 1
    .uses_dynamic_stack: false
    .vgpr_count:     81
    .vgpr_spill_count: 0
    .wavefront_size: 64
  - .agpr_count:     0
    .args:
      - .offset:         0
        .size:           112
        .value_kind:     by_value
    .group_segment_fixed_size: 0
    .kernarg_segment_align: 8
    .kernarg_segment_size: 112
    .language:       OpenCL C
    .language_version:
      - 2
      - 0
    .max_flat_workgroup_size: 256
    .name:           _ZN7rocprim17ROCPRIM_400000_NS6detail17trampoline_kernelINS0_14default_configENS1_27scan_by_key_config_selectorIiiEEZZNS1_16scan_by_key_implILNS1_25lookback_scan_determinismE0ELb1ES3_N6thrust23THRUST_200600_302600_NS10device_ptrIiEESB_SB_iNS9_4plusIvEENS9_8equal_toIvEEiEE10hipError_tPvRmT2_T3_T4_T5_mT6_T7_P12ihipStream_tbENKUlT_T0_E_clISt17integral_constantIbLb0EESW_EEDaSR_SS_EUlSR_E_NS1_11comp_targetILNS1_3genE4ELNS1_11target_archE910ELNS1_3gpuE8ELNS1_3repE0EEENS1_30default_config_static_selectorELNS0_4arch9wavefront6targetE1EEEvT1_
    .private_segment_fixed_size: 0
    .sgpr_count:     6
    .sgpr_spill_count: 0
    .symbol:         _ZN7rocprim17ROCPRIM_400000_NS6detail17trampoline_kernelINS0_14default_configENS1_27scan_by_key_config_selectorIiiEEZZNS1_16scan_by_key_implILNS1_25lookback_scan_determinismE0ELb1ES3_N6thrust23THRUST_200600_302600_NS10device_ptrIiEESB_SB_iNS9_4plusIvEENS9_8equal_toIvEEiEE10hipError_tPvRmT2_T3_T4_T5_mT6_T7_P12ihipStream_tbENKUlT_T0_E_clISt17integral_constantIbLb0EESW_EEDaSR_SS_EUlSR_E_NS1_11comp_targetILNS1_3genE4ELNS1_11target_archE910ELNS1_3gpuE8ELNS1_3repE0EEENS1_30default_config_static_selectorELNS0_4arch9wavefront6targetE1EEEvT1_.kd
    .uniform_work_group_size: 1
    .uses_dynamic_stack: false
    .vgpr_count:     0
    .vgpr_spill_count: 0
    .wavefront_size: 64
  - .agpr_count:     0
    .args:
      - .offset:         0
        .size:           112
        .value_kind:     by_value
    .group_segment_fixed_size: 0
    .kernarg_segment_align: 8
    .kernarg_segment_size: 112
    .language:       OpenCL C
    .language_version:
      - 2
      - 0
    .max_flat_workgroup_size: 256
    .name:           _ZN7rocprim17ROCPRIM_400000_NS6detail17trampoline_kernelINS0_14default_configENS1_27scan_by_key_config_selectorIiiEEZZNS1_16scan_by_key_implILNS1_25lookback_scan_determinismE0ELb1ES3_N6thrust23THRUST_200600_302600_NS10device_ptrIiEESB_SB_iNS9_4plusIvEENS9_8equal_toIvEEiEE10hipError_tPvRmT2_T3_T4_T5_mT6_T7_P12ihipStream_tbENKUlT_T0_E_clISt17integral_constantIbLb0EESW_EEDaSR_SS_EUlSR_E_NS1_11comp_targetILNS1_3genE3ELNS1_11target_archE908ELNS1_3gpuE7ELNS1_3repE0EEENS1_30default_config_static_selectorELNS0_4arch9wavefront6targetE1EEEvT1_
    .private_segment_fixed_size: 0
    .sgpr_count:     6
    .sgpr_spill_count: 0
    .symbol:         _ZN7rocprim17ROCPRIM_400000_NS6detail17trampoline_kernelINS0_14default_configENS1_27scan_by_key_config_selectorIiiEEZZNS1_16scan_by_key_implILNS1_25lookback_scan_determinismE0ELb1ES3_N6thrust23THRUST_200600_302600_NS10device_ptrIiEESB_SB_iNS9_4plusIvEENS9_8equal_toIvEEiEE10hipError_tPvRmT2_T3_T4_T5_mT6_T7_P12ihipStream_tbENKUlT_T0_E_clISt17integral_constantIbLb0EESW_EEDaSR_SS_EUlSR_E_NS1_11comp_targetILNS1_3genE3ELNS1_11target_archE908ELNS1_3gpuE7ELNS1_3repE0EEENS1_30default_config_static_selectorELNS0_4arch9wavefront6targetE1EEEvT1_.kd
    .uniform_work_group_size: 1
    .uses_dynamic_stack: false
    .vgpr_count:     0
    .vgpr_spill_count: 0
    .wavefront_size: 64
  - .agpr_count:     0
    .args:
      - .offset:         0
        .size:           112
        .value_kind:     by_value
    .group_segment_fixed_size: 0
    .kernarg_segment_align: 8
    .kernarg_segment_size: 112
    .language:       OpenCL C
    .language_version:
      - 2
      - 0
    .max_flat_workgroup_size: 256
    .name:           _ZN7rocprim17ROCPRIM_400000_NS6detail17trampoline_kernelINS0_14default_configENS1_27scan_by_key_config_selectorIiiEEZZNS1_16scan_by_key_implILNS1_25lookback_scan_determinismE0ELb1ES3_N6thrust23THRUST_200600_302600_NS10device_ptrIiEESB_SB_iNS9_4plusIvEENS9_8equal_toIvEEiEE10hipError_tPvRmT2_T3_T4_T5_mT6_T7_P12ihipStream_tbENKUlT_T0_E_clISt17integral_constantIbLb0EESW_EEDaSR_SS_EUlSR_E_NS1_11comp_targetILNS1_3genE2ELNS1_11target_archE906ELNS1_3gpuE6ELNS1_3repE0EEENS1_30default_config_static_selectorELNS0_4arch9wavefront6targetE1EEEvT1_
    .private_segment_fixed_size: 0
    .sgpr_count:     6
    .sgpr_spill_count: 0
    .symbol:         _ZN7rocprim17ROCPRIM_400000_NS6detail17trampoline_kernelINS0_14default_configENS1_27scan_by_key_config_selectorIiiEEZZNS1_16scan_by_key_implILNS1_25lookback_scan_determinismE0ELb1ES3_N6thrust23THRUST_200600_302600_NS10device_ptrIiEESB_SB_iNS9_4plusIvEENS9_8equal_toIvEEiEE10hipError_tPvRmT2_T3_T4_T5_mT6_T7_P12ihipStream_tbENKUlT_T0_E_clISt17integral_constantIbLb0EESW_EEDaSR_SS_EUlSR_E_NS1_11comp_targetILNS1_3genE2ELNS1_11target_archE906ELNS1_3gpuE6ELNS1_3repE0EEENS1_30default_config_static_selectorELNS0_4arch9wavefront6targetE1EEEvT1_.kd
    .uniform_work_group_size: 1
    .uses_dynamic_stack: false
    .vgpr_count:     0
    .vgpr_spill_count: 0
    .wavefront_size: 64
  - .agpr_count:     0
    .args:
      - .offset:         0
        .size:           112
        .value_kind:     by_value
    .group_segment_fixed_size: 0
    .kernarg_segment_align: 8
    .kernarg_segment_size: 112
    .language:       OpenCL C
    .language_version:
      - 2
      - 0
    .max_flat_workgroup_size: 256
    .name:           _ZN7rocprim17ROCPRIM_400000_NS6detail17trampoline_kernelINS0_14default_configENS1_27scan_by_key_config_selectorIiiEEZZNS1_16scan_by_key_implILNS1_25lookback_scan_determinismE0ELb1ES3_N6thrust23THRUST_200600_302600_NS10device_ptrIiEESB_SB_iNS9_4plusIvEENS9_8equal_toIvEEiEE10hipError_tPvRmT2_T3_T4_T5_mT6_T7_P12ihipStream_tbENKUlT_T0_E_clISt17integral_constantIbLb0EESW_EEDaSR_SS_EUlSR_E_NS1_11comp_targetILNS1_3genE10ELNS1_11target_archE1200ELNS1_3gpuE4ELNS1_3repE0EEENS1_30default_config_static_selectorELNS0_4arch9wavefront6targetE1EEEvT1_
    .private_segment_fixed_size: 0
    .sgpr_count:     6
    .sgpr_spill_count: 0
    .symbol:         _ZN7rocprim17ROCPRIM_400000_NS6detail17trampoline_kernelINS0_14default_configENS1_27scan_by_key_config_selectorIiiEEZZNS1_16scan_by_key_implILNS1_25lookback_scan_determinismE0ELb1ES3_N6thrust23THRUST_200600_302600_NS10device_ptrIiEESB_SB_iNS9_4plusIvEENS9_8equal_toIvEEiEE10hipError_tPvRmT2_T3_T4_T5_mT6_T7_P12ihipStream_tbENKUlT_T0_E_clISt17integral_constantIbLb0EESW_EEDaSR_SS_EUlSR_E_NS1_11comp_targetILNS1_3genE10ELNS1_11target_archE1200ELNS1_3gpuE4ELNS1_3repE0EEENS1_30default_config_static_selectorELNS0_4arch9wavefront6targetE1EEEvT1_.kd
    .uniform_work_group_size: 1
    .uses_dynamic_stack: false
    .vgpr_count:     0
    .vgpr_spill_count: 0
    .wavefront_size: 64
  - .agpr_count:     0
    .args:
      - .offset:         0
        .size:           112
        .value_kind:     by_value
    .group_segment_fixed_size: 0
    .kernarg_segment_align: 8
    .kernarg_segment_size: 112
    .language:       OpenCL C
    .language_version:
      - 2
      - 0
    .max_flat_workgroup_size: 256
    .name:           _ZN7rocprim17ROCPRIM_400000_NS6detail17trampoline_kernelINS0_14default_configENS1_27scan_by_key_config_selectorIiiEEZZNS1_16scan_by_key_implILNS1_25lookback_scan_determinismE0ELb1ES3_N6thrust23THRUST_200600_302600_NS10device_ptrIiEESB_SB_iNS9_4plusIvEENS9_8equal_toIvEEiEE10hipError_tPvRmT2_T3_T4_T5_mT6_T7_P12ihipStream_tbENKUlT_T0_E_clISt17integral_constantIbLb0EESW_EEDaSR_SS_EUlSR_E_NS1_11comp_targetILNS1_3genE9ELNS1_11target_archE1100ELNS1_3gpuE3ELNS1_3repE0EEENS1_30default_config_static_selectorELNS0_4arch9wavefront6targetE1EEEvT1_
    .private_segment_fixed_size: 0
    .sgpr_count:     6
    .sgpr_spill_count: 0
    .symbol:         _ZN7rocprim17ROCPRIM_400000_NS6detail17trampoline_kernelINS0_14default_configENS1_27scan_by_key_config_selectorIiiEEZZNS1_16scan_by_key_implILNS1_25lookback_scan_determinismE0ELb1ES3_N6thrust23THRUST_200600_302600_NS10device_ptrIiEESB_SB_iNS9_4plusIvEENS9_8equal_toIvEEiEE10hipError_tPvRmT2_T3_T4_T5_mT6_T7_P12ihipStream_tbENKUlT_T0_E_clISt17integral_constantIbLb0EESW_EEDaSR_SS_EUlSR_E_NS1_11comp_targetILNS1_3genE9ELNS1_11target_archE1100ELNS1_3gpuE3ELNS1_3repE0EEENS1_30default_config_static_selectorELNS0_4arch9wavefront6targetE1EEEvT1_.kd
    .uniform_work_group_size: 1
    .uses_dynamic_stack: false
    .vgpr_count:     0
    .vgpr_spill_count: 0
    .wavefront_size: 64
  - .agpr_count:     0
    .args:
      - .offset:         0
        .size:           112
        .value_kind:     by_value
    .group_segment_fixed_size: 0
    .kernarg_segment_align: 8
    .kernarg_segment_size: 112
    .language:       OpenCL C
    .language_version:
      - 2
      - 0
    .max_flat_workgroup_size: 256
    .name:           _ZN7rocprim17ROCPRIM_400000_NS6detail17trampoline_kernelINS0_14default_configENS1_27scan_by_key_config_selectorIiiEEZZNS1_16scan_by_key_implILNS1_25lookback_scan_determinismE0ELb1ES3_N6thrust23THRUST_200600_302600_NS10device_ptrIiEESB_SB_iNS9_4plusIvEENS9_8equal_toIvEEiEE10hipError_tPvRmT2_T3_T4_T5_mT6_T7_P12ihipStream_tbENKUlT_T0_E_clISt17integral_constantIbLb0EESW_EEDaSR_SS_EUlSR_E_NS1_11comp_targetILNS1_3genE8ELNS1_11target_archE1030ELNS1_3gpuE2ELNS1_3repE0EEENS1_30default_config_static_selectorELNS0_4arch9wavefront6targetE1EEEvT1_
    .private_segment_fixed_size: 0
    .sgpr_count:     6
    .sgpr_spill_count: 0
    .symbol:         _ZN7rocprim17ROCPRIM_400000_NS6detail17trampoline_kernelINS0_14default_configENS1_27scan_by_key_config_selectorIiiEEZZNS1_16scan_by_key_implILNS1_25lookback_scan_determinismE0ELb1ES3_N6thrust23THRUST_200600_302600_NS10device_ptrIiEESB_SB_iNS9_4plusIvEENS9_8equal_toIvEEiEE10hipError_tPvRmT2_T3_T4_T5_mT6_T7_P12ihipStream_tbENKUlT_T0_E_clISt17integral_constantIbLb0EESW_EEDaSR_SS_EUlSR_E_NS1_11comp_targetILNS1_3genE8ELNS1_11target_archE1030ELNS1_3gpuE2ELNS1_3repE0EEENS1_30default_config_static_selectorELNS0_4arch9wavefront6targetE1EEEvT1_.kd
    .uniform_work_group_size: 1
    .uses_dynamic_stack: false
    .vgpr_count:     0
    .vgpr_spill_count: 0
    .wavefront_size: 64
  - .agpr_count:     0
    .args:
      - .offset:         0
        .size:           112
        .value_kind:     by_value
    .group_segment_fixed_size: 0
    .kernarg_segment_align: 8
    .kernarg_segment_size: 112
    .language:       OpenCL C
    .language_version:
      - 2
      - 0
    .max_flat_workgroup_size: 256
    .name:           _ZN7rocprim17ROCPRIM_400000_NS6detail17trampoline_kernelINS0_14default_configENS1_27scan_by_key_config_selectorIiiEEZZNS1_16scan_by_key_implILNS1_25lookback_scan_determinismE0ELb1ES3_N6thrust23THRUST_200600_302600_NS10device_ptrIiEESB_SB_iNS9_4plusIvEENS9_8equal_toIvEEiEE10hipError_tPvRmT2_T3_T4_T5_mT6_T7_P12ihipStream_tbENKUlT_T0_E_clISt17integral_constantIbLb1EESW_EEDaSR_SS_EUlSR_E_NS1_11comp_targetILNS1_3genE0ELNS1_11target_archE4294967295ELNS1_3gpuE0ELNS1_3repE0EEENS1_30default_config_static_selectorELNS0_4arch9wavefront6targetE1EEEvT1_
    .private_segment_fixed_size: 0
    .sgpr_count:     6
    .sgpr_spill_count: 0
    .symbol:         _ZN7rocprim17ROCPRIM_400000_NS6detail17trampoline_kernelINS0_14default_configENS1_27scan_by_key_config_selectorIiiEEZZNS1_16scan_by_key_implILNS1_25lookback_scan_determinismE0ELb1ES3_N6thrust23THRUST_200600_302600_NS10device_ptrIiEESB_SB_iNS9_4plusIvEENS9_8equal_toIvEEiEE10hipError_tPvRmT2_T3_T4_T5_mT6_T7_P12ihipStream_tbENKUlT_T0_E_clISt17integral_constantIbLb1EESW_EEDaSR_SS_EUlSR_E_NS1_11comp_targetILNS1_3genE0ELNS1_11target_archE4294967295ELNS1_3gpuE0ELNS1_3repE0EEENS1_30default_config_static_selectorELNS0_4arch9wavefront6targetE1EEEvT1_.kd
    .uniform_work_group_size: 1
    .uses_dynamic_stack: false
    .vgpr_count:     0
    .vgpr_spill_count: 0
    .wavefront_size: 64
  - .agpr_count:     0
    .args:
      - .offset:         0
        .size:           112
        .value_kind:     by_value
    .group_segment_fixed_size: 0
    .kernarg_segment_align: 8
    .kernarg_segment_size: 112
    .language:       OpenCL C
    .language_version:
      - 2
      - 0
    .max_flat_workgroup_size: 256
    .name:           _ZN7rocprim17ROCPRIM_400000_NS6detail17trampoline_kernelINS0_14default_configENS1_27scan_by_key_config_selectorIiiEEZZNS1_16scan_by_key_implILNS1_25lookback_scan_determinismE0ELb1ES3_N6thrust23THRUST_200600_302600_NS10device_ptrIiEESB_SB_iNS9_4plusIvEENS9_8equal_toIvEEiEE10hipError_tPvRmT2_T3_T4_T5_mT6_T7_P12ihipStream_tbENKUlT_T0_E_clISt17integral_constantIbLb1EESW_EEDaSR_SS_EUlSR_E_NS1_11comp_targetILNS1_3genE10ELNS1_11target_archE1201ELNS1_3gpuE5ELNS1_3repE0EEENS1_30default_config_static_selectorELNS0_4arch9wavefront6targetE1EEEvT1_
    .private_segment_fixed_size: 0
    .sgpr_count:     6
    .sgpr_spill_count: 0
    .symbol:         _ZN7rocprim17ROCPRIM_400000_NS6detail17trampoline_kernelINS0_14default_configENS1_27scan_by_key_config_selectorIiiEEZZNS1_16scan_by_key_implILNS1_25lookback_scan_determinismE0ELb1ES3_N6thrust23THRUST_200600_302600_NS10device_ptrIiEESB_SB_iNS9_4plusIvEENS9_8equal_toIvEEiEE10hipError_tPvRmT2_T3_T4_T5_mT6_T7_P12ihipStream_tbENKUlT_T0_E_clISt17integral_constantIbLb1EESW_EEDaSR_SS_EUlSR_E_NS1_11comp_targetILNS1_3genE10ELNS1_11target_archE1201ELNS1_3gpuE5ELNS1_3repE0EEENS1_30default_config_static_selectorELNS0_4arch9wavefront6targetE1EEEvT1_.kd
    .uniform_work_group_size: 1
    .uses_dynamic_stack: false
    .vgpr_count:     0
    .vgpr_spill_count: 0
    .wavefront_size: 64
  - .agpr_count:     0
    .args:
      - .offset:         0
        .size:           112
        .value_kind:     by_value
    .group_segment_fixed_size: 25600
    .kernarg_segment_align: 8
    .kernarg_segment_size: 112
    .language:       OpenCL C
    .language_version:
      - 2
      - 0
    .max_flat_workgroup_size: 256
    .name:           _ZN7rocprim17ROCPRIM_400000_NS6detail17trampoline_kernelINS0_14default_configENS1_27scan_by_key_config_selectorIiiEEZZNS1_16scan_by_key_implILNS1_25lookback_scan_determinismE0ELb1ES3_N6thrust23THRUST_200600_302600_NS10device_ptrIiEESB_SB_iNS9_4plusIvEENS9_8equal_toIvEEiEE10hipError_tPvRmT2_T3_T4_T5_mT6_T7_P12ihipStream_tbENKUlT_T0_E_clISt17integral_constantIbLb1EESW_EEDaSR_SS_EUlSR_E_NS1_11comp_targetILNS1_3genE5ELNS1_11target_archE942ELNS1_3gpuE9ELNS1_3repE0EEENS1_30default_config_static_selectorELNS0_4arch9wavefront6targetE1EEEvT1_
    .private_segment_fixed_size: 0
    .sgpr_count:     86
    .sgpr_spill_count: 0
    .symbol:         _ZN7rocprim17ROCPRIM_400000_NS6detail17trampoline_kernelINS0_14default_configENS1_27scan_by_key_config_selectorIiiEEZZNS1_16scan_by_key_implILNS1_25lookback_scan_determinismE0ELb1ES3_N6thrust23THRUST_200600_302600_NS10device_ptrIiEESB_SB_iNS9_4plusIvEENS9_8equal_toIvEEiEE10hipError_tPvRmT2_T3_T4_T5_mT6_T7_P12ihipStream_tbENKUlT_T0_E_clISt17integral_constantIbLb1EESW_EEDaSR_SS_EUlSR_E_NS1_11comp_targetILNS1_3genE5ELNS1_11target_archE942ELNS1_3gpuE9ELNS1_3repE0EEENS1_30default_config_static_selectorELNS0_4arch9wavefront6targetE1EEEvT1_.kd
    .uniform_work_group_size: 1
    .uses_dynamic_stack: false
    .vgpr_count:     83
    .vgpr_spill_count: 0
    .wavefront_size: 64
  - .agpr_count:     0
    .args:
      - .offset:         0
        .size:           112
        .value_kind:     by_value
    .group_segment_fixed_size: 0
    .kernarg_segment_align: 8
    .kernarg_segment_size: 112
    .language:       OpenCL C
    .language_version:
      - 2
      - 0
    .max_flat_workgroup_size: 256
    .name:           _ZN7rocprim17ROCPRIM_400000_NS6detail17trampoline_kernelINS0_14default_configENS1_27scan_by_key_config_selectorIiiEEZZNS1_16scan_by_key_implILNS1_25lookback_scan_determinismE0ELb1ES3_N6thrust23THRUST_200600_302600_NS10device_ptrIiEESB_SB_iNS9_4plusIvEENS9_8equal_toIvEEiEE10hipError_tPvRmT2_T3_T4_T5_mT6_T7_P12ihipStream_tbENKUlT_T0_E_clISt17integral_constantIbLb1EESW_EEDaSR_SS_EUlSR_E_NS1_11comp_targetILNS1_3genE4ELNS1_11target_archE910ELNS1_3gpuE8ELNS1_3repE0EEENS1_30default_config_static_selectorELNS0_4arch9wavefront6targetE1EEEvT1_
    .private_segment_fixed_size: 0
    .sgpr_count:     6
    .sgpr_spill_count: 0
    .symbol:         _ZN7rocprim17ROCPRIM_400000_NS6detail17trampoline_kernelINS0_14default_configENS1_27scan_by_key_config_selectorIiiEEZZNS1_16scan_by_key_implILNS1_25lookback_scan_determinismE0ELb1ES3_N6thrust23THRUST_200600_302600_NS10device_ptrIiEESB_SB_iNS9_4plusIvEENS9_8equal_toIvEEiEE10hipError_tPvRmT2_T3_T4_T5_mT6_T7_P12ihipStream_tbENKUlT_T0_E_clISt17integral_constantIbLb1EESW_EEDaSR_SS_EUlSR_E_NS1_11comp_targetILNS1_3genE4ELNS1_11target_archE910ELNS1_3gpuE8ELNS1_3repE0EEENS1_30default_config_static_selectorELNS0_4arch9wavefront6targetE1EEEvT1_.kd
    .uniform_work_group_size: 1
    .uses_dynamic_stack: false
    .vgpr_count:     0
    .vgpr_spill_count: 0
    .wavefront_size: 64
  - .agpr_count:     0
    .args:
      - .offset:         0
        .size:           112
        .value_kind:     by_value
    .group_segment_fixed_size: 0
    .kernarg_segment_align: 8
    .kernarg_segment_size: 112
    .language:       OpenCL C
    .language_version:
      - 2
      - 0
    .max_flat_workgroup_size: 256
    .name:           _ZN7rocprim17ROCPRIM_400000_NS6detail17trampoline_kernelINS0_14default_configENS1_27scan_by_key_config_selectorIiiEEZZNS1_16scan_by_key_implILNS1_25lookback_scan_determinismE0ELb1ES3_N6thrust23THRUST_200600_302600_NS10device_ptrIiEESB_SB_iNS9_4plusIvEENS9_8equal_toIvEEiEE10hipError_tPvRmT2_T3_T4_T5_mT6_T7_P12ihipStream_tbENKUlT_T0_E_clISt17integral_constantIbLb1EESW_EEDaSR_SS_EUlSR_E_NS1_11comp_targetILNS1_3genE3ELNS1_11target_archE908ELNS1_3gpuE7ELNS1_3repE0EEENS1_30default_config_static_selectorELNS0_4arch9wavefront6targetE1EEEvT1_
    .private_segment_fixed_size: 0
    .sgpr_count:     6
    .sgpr_spill_count: 0
    .symbol:         _ZN7rocprim17ROCPRIM_400000_NS6detail17trampoline_kernelINS0_14default_configENS1_27scan_by_key_config_selectorIiiEEZZNS1_16scan_by_key_implILNS1_25lookback_scan_determinismE0ELb1ES3_N6thrust23THRUST_200600_302600_NS10device_ptrIiEESB_SB_iNS9_4plusIvEENS9_8equal_toIvEEiEE10hipError_tPvRmT2_T3_T4_T5_mT6_T7_P12ihipStream_tbENKUlT_T0_E_clISt17integral_constantIbLb1EESW_EEDaSR_SS_EUlSR_E_NS1_11comp_targetILNS1_3genE3ELNS1_11target_archE908ELNS1_3gpuE7ELNS1_3repE0EEENS1_30default_config_static_selectorELNS0_4arch9wavefront6targetE1EEEvT1_.kd
    .uniform_work_group_size: 1
    .uses_dynamic_stack: false
    .vgpr_count:     0
    .vgpr_spill_count: 0
    .wavefront_size: 64
  - .agpr_count:     0
    .args:
      - .offset:         0
        .size:           112
        .value_kind:     by_value
    .group_segment_fixed_size: 0
    .kernarg_segment_align: 8
    .kernarg_segment_size: 112
    .language:       OpenCL C
    .language_version:
      - 2
      - 0
    .max_flat_workgroup_size: 256
    .name:           _ZN7rocprim17ROCPRIM_400000_NS6detail17trampoline_kernelINS0_14default_configENS1_27scan_by_key_config_selectorIiiEEZZNS1_16scan_by_key_implILNS1_25lookback_scan_determinismE0ELb1ES3_N6thrust23THRUST_200600_302600_NS10device_ptrIiEESB_SB_iNS9_4plusIvEENS9_8equal_toIvEEiEE10hipError_tPvRmT2_T3_T4_T5_mT6_T7_P12ihipStream_tbENKUlT_T0_E_clISt17integral_constantIbLb1EESW_EEDaSR_SS_EUlSR_E_NS1_11comp_targetILNS1_3genE2ELNS1_11target_archE906ELNS1_3gpuE6ELNS1_3repE0EEENS1_30default_config_static_selectorELNS0_4arch9wavefront6targetE1EEEvT1_
    .private_segment_fixed_size: 0
    .sgpr_count:     6
    .sgpr_spill_count: 0
    .symbol:         _ZN7rocprim17ROCPRIM_400000_NS6detail17trampoline_kernelINS0_14default_configENS1_27scan_by_key_config_selectorIiiEEZZNS1_16scan_by_key_implILNS1_25lookback_scan_determinismE0ELb1ES3_N6thrust23THRUST_200600_302600_NS10device_ptrIiEESB_SB_iNS9_4plusIvEENS9_8equal_toIvEEiEE10hipError_tPvRmT2_T3_T4_T5_mT6_T7_P12ihipStream_tbENKUlT_T0_E_clISt17integral_constantIbLb1EESW_EEDaSR_SS_EUlSR_E_NS1_11comp_targetILNS1_3genE2ELNS1_11target_archE906ELNS1_3gpuE6ELNS1_3repE0EEENS1_30default_config_static_selectorELNS0_4arch9wavefront6targetE1EEEvT1_.kd
    .uniform_work_group_size: 1
    .uses_dynamic_stack: false
    .vgpr_count:     0
    .vgpr_spill_count: 0
    .wavefront_size: 64
  - .agpr_count:     0
    .args:
      - .offset:         0
        .size:           112
        .value_kind:     by_value
    .group_segment_fixed_size: 0
    .kernarg_segment_align: 8
    .kernarg_segment_size: 112
    .language:       OpenCL C
    .language_version:
      - 2
      - 0
    .max_flat_workgroup_size: 256
    .name:           _ZN7rocprim17ROCPRIM_400000_NS6detail17trampoline_kernelINS0_14default_configENS1_27scan_by_key_config_selectorIiiEEZZNS1_16scan_by_key_implILNS1_25lookback_scan_determinismE0ELb1ES3_N6thrust23THRUST_200600_302600_NS10device_ptrIiEESB_SB_iNS9_4plusIvEENS9_8equal_toIvEEiEE10hipError_tPvRmT2_T3_T4_T5_mT6_T7_P12ihipStream_tbENKUlT_T0_E_clISt17integral_constantIbLb1EESW_EEDaSR_SS_EUlSR_E_NS1_11comp_targetILNS1_3genE10ELNS1_11target_archE1200ELNS1_3gpuE4ELNS1_3repE0EEENS1_30default_config_static_selectorELNS0_4arch9wavefront6targetE1EEEvT1_
    .private_segment_fixed_size: 0
    .sgpr_count:     6
    .sgpr_spill_count: 0
    .symbol:         _ZN7rocprim17ROCPRIM_400000_NS6detail17trampoline_kernelINS0_14default_configENS1_27scan_by_key_config_selectorIiiEEZZNS1_16scan_by_key_implILNS1_25lookback_scan_determinismE0ELb1ES3_N6thrust23THRUST_200600_302600_NS10device_ptrIiEESB_SB_iNS9_4plusIvEENS9_8equal_toIvEEiEE10hipError_tPvRmT2_T3_T4_T5_mT6_T7_P12ihipStream_tbENKUlT_T0_E_clISt17integral_constantIbLb1EESW_EEDaSR_SS_EUlSR_E_NS1_11comp_targetILNS1_3genE10ELNS1_11target_archE1200ELNS1_3gpuE4ELNS1_3repE0EEENS1_30default_config_static_selectorELNS0_4arch9wavefront6targetE1EEEvT1_.kd
    .uniform_work_group_size: 1
    .uses_dynamic_stack: false
    .vgpr_count:     0
    .vgpr_spill_count: 0
    .wavefront_size: 64
  - .agpr_count:     0
    .args:
      - .offset:         0
        .size:           112
        .value_kind:     by_value
    .group_segment_fixed_size: 0
    .kernarg_segment_align: 8
    .kernarg_segment_size: 112
    .language:       OpenCL C
    .language_version:
      - 2
      - 0
    .max_flat_workgroup_size: 256
    .name:           _ZN7rocprim17ROCPRIM_400000_NS6detail17trampoline_kernelINS0_14default_configENS1_27scan_by_key_config_selectorIiiEEZZNS1_16scan_by_key_implILNS1_25lookback_scan_determinismE0ELb1ES3_N6thrust23THRUST_200600_302600_NS10device_ptrIiEESB_SB_iNS9_4plusIvEENS9_8equal_toIvEEiEE10hipError_tPvRmT2_T3_T4_T5_mT6_T7_P12ihipStream_tbENKUlT_T0_E_clISt17integral_constantIbLb1EESW_EEDaSR_SS_EUlSR_E_NS1_11comp_targetILNS1_3genE9ELNS1_11target_archE1100ELNS1_3gpuE3ELNS1_3repE0EEENS1_30default_config_static_selectorELNS0_4arch9wavefront6targetE1EEEvT1_
    .private_segment_fixed_size: 0
    .sgpr_count:     6
    .sgpr_spill_count: 0
    .symbol:         _ZN7rocprim17ROCPRIM_400000_NS6detail17trampoline_kernelINS0_14default_configENS1_27scan_by_key_config_selectorIiiEEZZNS1_16scan_by_key_implILNS1_25lookback_scan_determinismE0ELb1ES3_N6thrust23THRUST_200600_302600_NS10device_ptrIiEESB_SB_iNS9_4plusIvEENS9_8equal_toIvEEiEE10hipError_tPvRmT2_T3_T4_T5_mT6_T7_P12ihipStream_tbENKUlT_T0_E_clISt17integral_constantIbLb1EESW_EEDaSR_SS_EUlSR_E_NS1_11comp_targetILNS1_3genE9ELNS1_11target_archE1100ELNS1_3gpuE3ELNS1_3repE0EEENS1_30default_config_static_selectorELNS0_4arch9wavefront6targetE1EEEvT1_.kd
    .uniform_work_group_size: 1
    .uses_dynamic_stack: false
    .vgpr_count:     0
    .vgpr_spill_count: 0
    .wavefront_size: 64
  - .agpr_count:     0
    .args:
      - .offset:         0
        .size:           112
        .value_kind:     by_value
    .group_segment_fixed_size: 0
    .kernarg_segment_align: 8
    .kernarg_segment_size: 112
    .language:       OpenCL C
    .language_version:
      - 2
      - 0
    .max_flat_workgroup_size: 256
    .name:           _ZN7rocprim17ROCPRIM_400000_NS6detail17trampoline_kernelINS0_14default_configENS1_27scan_by_key_config_selectorIiiEEZZNS1_16scan_by_key_implILNS1_25lookback_scan_determinismE0ELb1ES3_N6thrust23THRUST_200600_302600_NS10device_ptrIiEESB_SB_iNS9_4plusIvEENS9_8equal_toIvEEiEE10hipError_tPvRmT2_T3_T4_T5_mT6_T7_P12ihipStream_tbENKUlT_T0_E_clISt17integral_constantIbLb1EESW_EEDaSR_SS_EUlSR_E_NS1_11comp_targetILNS1_3genE8ELNS1_11target_archE1030ELNS1_3gpuE2ELNS1_3repE0EEENS1_30default_config_static_selectorELNS0_4arch9wavefront6targetE1EEEvT1_
    .private_segment_fixed_size: 0
    .sgpr_count:     6
    .sgpr_spill_count: 0
    .symbol:         _ZN7rocprim17ROCPRIM_400000_NS6detail17trampoline_kernelINS0_14default_configENS1_27scan_by_key_config_selectorIiiEEZZNS1_16scan_by_key_implILNS1_25lookback_scan_determinismE0ELb1ES3_N6thrust23THRUST_200600_302600_NS10device_ptrIiEESB_SB_iNS9_4plusIvEENS9_8equal_toIvEEiEE10hipError_tPvRmT2_T3_T4_T5_mT6_T7_P12ihipStream_tbENKUlT_T0_E_clISt17integral_constantIbLb1EESW_EEDaSR_SS_EUlSR_E_NS1_11comp_targetILNS1_3genE8ELNS1_11target_archE1030ELNS1_3gpuE2ELNS1_3repE0EEENS1_30default_config_static_selectorELNS0_4arch9wavefront6targetE1EEEvT1_.kd
    .uniform_work_group_size: 1
    .uses_dynamic_stack: false
    .vgpr_count:     0
    .vgpr_spill_count: 0
    .wavefront_size: 64
  - .agpr_count:     0
    .args:
      - .offset:         0
        .size:           112
        .value_kind:     by_value
    .group_segment_fixed_size: 0
    .kernarg_segment_align: 8
    .kernarg_segment_size: 112
    .language:       OpenCL C
    .language_version:
      - 2
      - 0
    .max_flat_workgroup_size: 256
    .name:           _ZN7rocprim17ROCPRIM_400000_NS6detail17trampoline_kernelINS0_14default_configENS1_27scan_by_key_config_selectorIiiEEZZNS1_16scan_by_key_implILNS1_25lookback_scan_determinismE0ELb1ES3_N6thrust23THRUST_200600_302600_NS10device_ptrIiEESB_SB_iNS9_4plusIvEENS9_8equal_toIvEEiEE10hipError_tPvRmT2_T3_T4_T5_mT6_T7_P12ihipStream_tbENKUlT_T0_E_clISt17integral_constantIbLb1EESV_IbLb0EEEEDaSR_SS_EUlSR_E_NS1_11comp_targetILNS1_3genE0ELNS1_11target_archE4294967295ELNS1_3gpuE0ELNS1_3repE0EEENS1_30default_config_static_selectorELNS0_4arch9wavefront6targetE1EEEvT1_
    .private_segment_fixed_size: 0
    .sgpr_count:     6
    .sgpr_spill_count: 0
    .symbol:         _ZN7rocprim17ROCPRIM_400000_NS6detail17trampoline_kernelINS0_14default_configENS1_27scan_by_key_config_selectorIiiEEZZNS1_16scan_by_key_implILNS1_25lookback_scan_determinismE0ELb1ES3_N6thrust23THRUST_200600_302600_NS10device_ptrIiEESB_SB_iNS9_4plusIvEENS9_8equal_toIvEEiEE10hipError_tPvRmT2_T3_T4_T5_mT6_T7_P12ihipStream_tbENKUlT_T0_E_clISt17integral_constantIbLb1EESV_IbLb0EEEEDaSR_SS_EUlSR_E_NS1_11comp_targetILNS1_3genE0ELNS1_11target_archE4294967295ELNS1_3gpuE0ELNS1_3repE0EEENS1_30default_config_static_selectorELNS0_4arch9wavefront6targetE1EEEvT1_.kd
    .uniform_work_group_size: 1
    .uses_dynamic_stack: false
    .vgpr_count:     0
    .vgpr_spill_count: 0
    .wavefront_size: 64
  - .agpr_count:     0
    .args:
      - .offset:         0
        .size:           112
        .value_kind:     by_value
    .group_segment_fixed_size: 0
    .kernarg_segment_align: 8
    .kernarg_segment_size: 112
    .language:       OpenCL C
    .language_version:
      - 2
      - 0
    .max_flat_workgroup_size: 256
    .name:           _ZN7rocprim17ROCPRIM_400000_NS6detail17trampoline_kernelINS0_14default_configENS1_27scan_by_key_config_selectorIiiEEZZNS1_16scan_by_key_implILNS1_25lookback_scan_determinismE0ELb1ES3_N6thrust23THRUST_200600_302600_NS10device_ptrIiEESB_SB_iNS9_4plusIvEENS9_8equal_toIvEEiEE10hipError_tPvRmT2_T3_T4_T5_mT6_T7_P12ihipStream_tbENKUlT_T0_E_clISt17integral_constantIbLb1EESV_IbLb0EEEEDaSR_SS_EUlSR_E_NS1_11comp_targetILNS1_3genE10ELNS1_11target_archE1201ELNS1_3gpuE5ELNS1_3repE0EEENS1_30default_config_static_selectorELNS0_4arch9wavefront6targetE1EEEvT1_
    .private_segment_fixed_size: 0
    .sgpr_count:     6
    .sgpr_spill_count: 0
    .symbol:         _ZN7rocprim17ROCPRIM_400000_NS6detail17trampoline_kernelINS0_14default_configENS1_27scan_by_key_config_selectorIiiEEZZNS1_16scan_by_key_implILNS1_25lookback_scan_determinismE0ELb1ES3_N6thrust23THRUST_200600_302600_NS10device_ptrIiEESB_SB_iNS9_4plusIvEENS9_8equal_toIvEEiEE10hipError_tPvRmT2_T3_T4_T5_mT6_T7_P12ihipStream_tbENKUlT_T0_E_clISt17integral_constantIbLb1EESV_IbLb0EEEEDaSR_SS_EUlSR_E_NS1_11comp_targetILNS1_3genE10ELNS1_11target_archE1201ELNS1_3gpuE5ELNS1_3repE0EEENS1_30default_config_static_selectorELNS0_4arch9wavefront6targetE1EEEvT1_.kd
    .uniform_work_group_size: 1
    .uses_dynamic_stack: false
    .vgpr_count:     0
    .vgpr_spill_count: 0
    .wavefront_size: 64
  - .agpr_count:     0
    .args:
      - .offset:         0
        .size:           112
        .value_kind:     by_value
    .group_segment_fixed_size: 25600
    .kernarg_segment_align: 8
    .kernarg_segment_size: 112
    .language:       OpenCL C
    .language_version:
      - 2
      - 0
    .max_flat_workgroup_size: 256
    .name:           _ZN7rocprim17ROCPRIM_400000_NS6detail17trampoline_kernelINS0_14default_configENS1_27scan_by_key_config_selectorIiiEEZZNS1_16scan_by_key_implILNS1_25lookback_scan_determinismE0ELb1ES3_N6thrust23THRUST_200600_302600_NS10device_ptrIiEESB_SB_iNS9_4plusIvEENS9_8equal_toIvEEiEE10hipError_tPvRmT2_T3_T4_T5_mT6_T7_P12ihipStream_tbENKUlT_T0_E_clISt17integral_constantIbLb1EESV_IbLb0EEEEDaSR_SS_EUlSR_E_NS1_11comp_targetILNS1_3genE5ELNS1_11target_archE942ELNS1_3gpuE9ELNS1_3repE0EEENS1_30default_config_static_selectorELNS0_4arch9wavefront6targetE1EEEvT1_
    .private_segment_fixed_size: 0
    .sgpr_count:     86
    .sgpr_spill_count: 0
    .symbol:         _ZN7rocprim17ROCPRIM_400000_NS6detail17trampoline_kernelINS0_14default_configENS1_27scan_by_key_config_selectorIiiEEZZNS1_16scan_by_key_implILNS1_25lookback_scan_determinismE0ELb1ES3_N6thrust23THRUST_200600_302600_NS10device_ptrIiEESB_SB_iNS9_4plusIvEENS9_8equal_toIvEEiEE10hipError_tPvRmT2_T3_T4_T5_mT6_T7_P12ihipStream_tbENKUlT_T0_E_clISt17integral_constantIbLb1EESV_IbLb0EEEEDaSR_SS_EUlSR_E_NS1_11comp_targetILNS1_3genE5ELNS1_11target_archE942ELNS1_3gpuE9ELNS1_3repE0EEENS1_30default_config_static_selectorELNS0_4arch9wavefront6targetE1EEEvT1_.kd
    .uniform_work_group_size: 1
    .uses_dynamic_stack: false
    .vgpr_count:     81
    .vgpr_spill_count: 0
    .wavefront_size: 64
  - .agpr_count:     0
    .args:
      - .offset:         0
        .size:           112
        .value_kind:     by_value
    .group_segment_fixed_size: 0
    .kernarg_segment_align: 8
    .kernarg_segment_size: 112
    .language:       OpenCL C
    .language_version:
      - 2
      - 0
    .max_flat_workgroup_size: 256
    .name:           _ZN7rocprim17ROCPRIM_400000_NS6detail17trampoline_kernelINS0_14default_configENS1_27scan_by_key_config_selectorIiiEEZZNS1_16scan_by_key_implILNS1_25lookback_scan_determinismE0ELb1ES3_N6thrust23THRUST_200600_302600_NS10device_ptrIiEESB_SB_iNS9_4plusIvEENS9_8equal_toIvEEiEE10hipError_tPvRmT2_T3_T4_T5_mT6_T7_P12ihipStream_tbENKUlT_T0_E_clISt17integral_constantIbLb1EESV_IbLb0EEEEDaSR_SS_EUlSR_E_NS1_11comp_targetILNS1_3genE4ELNS1_11target_archE910ELNS1_3gpuE8ELNS1_3repE0EEENS1_30default_config_static_selectorELNS0_4arch9wavefront6targetE1EEEvT1_
    .private_segment_fixed_size: 0
    .sgpr_count:     6
    .sgpr_spill_count: 0
    .symbol:         _ZN7rocprim17ROCPRIM_400000_NS6detail17trampoline_kernelINS0_14default_configENS1_27scan_by_key_config_selectorIiiEEZZNS1_16scan_by_key_implILNS1_25lookback_scan_determinismE0ELb1ES3_N6thrust23THRUST_200600_302600_NS10device_ptrIiEESB_SB_iNS9_4plusIvEENS9_8equal_toIvEEiEE10hipError_tPvRmT2_T3_T4_T5_mT6_T7_P12ihipStream_tbENKUlT_T0_E_clISt17integral_constantIbLb1EESV_IbLb0EEEEDaSR_SS_EUlSR_E_NS1_11comp_targetILNS1_3genE4ELNS1_11target_archE910ELNS1_3gpuE8ELNS1_3repE0EEENS1_30default_config_static_selectorELNS0_4arch9wavefront6targetE1EEEvT1_.kd
    .uniform_work_group_size: 1
    .uses_dynamic_stack: false
    .vgpr_count:     0
    .vgpr_spill_count: 0
    .wavefront_size: 64
  - .agpr_count:     0
    .args:
      - .offset:         0
        .size:           112
        .value_kind:     by_value
    .group_segment_fixed_size: 0
    .kernarg_segment_align: 8
    .kernarg_segment_size: 112
    .language:       OpenCL C
    .language_version:
      - 2
      - 0
    .max_flat_workgroup_size: 256
    .name:           _ZN7rocprim17ROCPRIM_400000_NS6detail17trampoline_kernelINS0_14default_configENS1_27scan_by_key_config_selectorIiiEEZZNS1_16scan_by_key_implILNS1_25lookback_scan_determinismE0ELb1ES3_N6thrust23THRUST_200600_302600_NS10device_ptrIiEESB_SB_iNS9_4plusIvEENS9_8equal_toIvEEiEE10hipError_tPvRmT2_T3_T4_T5_mT6_T7_P12ihipStream_tbENKUlT_T0_E_clISt17integral_constantIbLb1EESV_IbLb0EEEEDaSR_SS_EUlSR_E_NS1_11comp_targetILNS1_3genE3ELNS1_11target_archE908ELNS1_3gpuE7ELNS1_3repE0EEENS1_30default_config_static_selectorELNS0_4arch9wavefront6targetE1EEEvT1_
    .private_segment_fixed_size: 0
    .sgpr_count:     6
    .sgpr_spill_count: 0
    .symbol:         _ZN7rocprim17ROCPRIM_400000_NS6detail17trampoline_kernelINS0_14default_configENS1_27scan_by_key_config_selectorIiiEEZZNS1_16scan_by_key_implILNS1_25lookback_scan_determinismE0ELb1ES3_N6thrust23THRUST_200600_302600_NS10device_ptrIiEESB_SB_iNS9_4plusIvEENS9_8equal_toIvEEiEE10hipError_tPvRmT2_T3_T4_T5_mT6_T7_P12ihipStream_tbENKUlT_T0_E_clISt17integral_constantIbLb1EESV_IbLb0EEEEDaSR_SS_EUlSR_E_NS1_11comp_targetILNS1_3genE3ELNS1_11target_archE908ELNS1_3gpuE7ELNS1_3repE0EEENS1_30default_config_static_selectorELNS0_4arch9wavefront6targetE1EEEvT1_.kd
    .uniform_work_group_size: 1
    .uses_dynamic_stack: false
    .vgpr_count:     0
    .vgpr_spill_count: 0
    .wavefront_size: 64
  - .agpr_count:     0
    .args:
      - .offset:         0
        .size:           112
        .value_kind:     by_value
    .group_segment_fixed_size: 0
    .kernarg_segment_align: 8
    .kernarg_segment_size: 112
    .language:       OpenCL C
    .language_version:
      - 2
      - 0
    .max_flat_workgroup_size: 256
    .name:           _ZN7rocprim17ROCPRIM_400000_NS6detail17trampoline_kernelINS0_14default_configENS1_27scan_by_key_config_selectorIiiEEZZNS1_16scan_by_key_implILNS1_25lookback_scan_determinismE0ELb1ES3_N6thrust23THRUST_200600_302600_NS10device_ptrIiEESB_SB_iNS9_4plusIvEENS9_8equal_toIvEEiEE10hipError_tPvRmT2_T3_T4_T5_mT6_T7_P12ihipStream_tbENKUlT_T0_E_clISt17integral_constantIbLb1EESV_IbLb0EEEEDaSR_SS_EUlSR_E_NS1_11comp_targetILNS1_3genE2ELNS1_11target_archE906ELNS1_3gpuE6ELNS1_3repE0EEENS1_30default_config_static_selectorELNS0_4arch9wavefront6targetE1EEEvT1_
    .private_segment_fixed_size: 0
    .sgpr_count:     6
    .sgpr_spill_count: 0
    .symbol:         _ZN7rocprim17ROCPRIM_400000_NS6detail17trampoline_kernelINS0_14default_configENS1_27scan_by_key_config_selectorIiiEEZZNS1_16scan_by_key_implILNS1_25lookback_scan_determinismE0ELb1ES3_N6thrust23THRUST_200600_302600_NS10device_ptrIiEESB_SB_iNS9_4plusIvEENS9_8equal_toIvEEiEE10hipError_tPvRmT2_T3_T4_T5_mT6_T7_P12ihipStream_tbENKUlT_T0_E_clISt17integral_constantIbLb1EESV_IbLb0EEEEDaSR_SS_EUlSR_E_NS1_11comp_targetILNS1_3genE2ELNS1_11target_archE906ELNS1_3gpuE6ELNS1_3repE0EEENS1_30default_config_static_selectorELNS0_4arch9wavefront6targetE1EEEvT1_.kd
    .uniform_work_group_size: 1
    .uses_dynamic_stack: false
    .vgpr_count:     0
    .vgpr_spill_count: 0
    .wavefront_size: 64
  - .agpr_count:     0
    .args:
      - .offset:         0
        .size:           112
        .value_kind:     by_value
    .group_segment_fixed_size: 0
    .kernarg_segment_align: 8
    .kernarg_segment_size: 112
    .language:       OpenCL C
    .language_version:
      - 2
      - 0
    .max_flat_workgroup_size: 256
    .name:           _ZN7rocprim17ROCPRIM_400000_NS6detail17trampoline_kernelINS0_14default_configENS1_27scan_by_key_config_selectorIiiEEZZNS1_16scan_by_key_implILNS1_25lookback_scan_determinismE0ELb1ES3_N6thrust23THRUST_200600_302600_NS10device_ptrIiEESB_SB_iNS9_4plusIvEENS9_8equal_toIvEEiEE10hipError_tPvRmT2_T3_T4_T5_mT6_T7_P12ihipStream_tbENKUlT_T0_E_clISt17integral_constantIbLb1EESV_IbLb0EEEEDaSR_SS_EUlSR_E_NS1_11comp_targetILNS1_3genE10ELNS1_11target_archE1200ELNS1_3gpuE4ELNS1_3repE0EEENS1_30default_config_static_selectorELNS0_4arch9wavefront6targetE1EEEvT1_
    .private_segment_fixed_size: 0
    .sgpr_count:     6
    .sgpr_spill_count: 0
    .symbol:         _ZN7rocprim17ROCPRIM_400000_NS6detail17trampoline_kernelINS0_14default_configENS1_27scan_by_key_config_selectorIiiEEZZNS1_16scan_by_key_implILNS1_25lookback_scan_determinismE0ELb1ES3_N6thrust23THRUST_200600_302600_NS10device_ptrIiEESB_SB_iNS9_4plusIvEENS9_8equal_toIvEEiEE10hipError_tPvRmT2_T3_T4_T5_mT6_T7_P12ihipStream_tbENKUlT_T0_E_clISt17integral_constantIbLb1EESV_IbLb0EEEEDaSR_SS_EUlSR_E_NS1_11comp_targetILNS1_3genE10ELNS1_11target_archE1200ELNS1_3gpuE4ELNS1_3repE0EEENS1_30default_config_static_selectorELNS0_4arch9wavefront6targetE1EEEvT1_.kd
    .uniform_work_group_size: 1
    .uses_dynamic_stack: false
    .vgpr_count:     0
    .vgpr_spill_count: 0
    .wavefront_size: 64
  - .agpr_count:     0
    .args:
      - .offset:         0
        .size:           112
        .value_kind:     by_value
    .group_segment_fixed_size: 0
    .kernarg_segment_align: 8
    .kernarg_segment_size: 112
    .language:       OpenCL C
    .language_version:
      - 2
      - 0
    .max_flat_workgroup_size: 256
    .name:           _ZN7rocprim17ROCPRIM_400000_NS6detail17trampoline_kernelINS0_14default_configENS1_27scan_by_key_config_selectorIiiEEZZNS1_16scan_by_key_implILNS1_25lookback_scan_determinismE0ELb1ES3_N6thrust23THRUST_200600_302600_NS10device_ptrIiEESB_SB_iNS9_4plusIvEENS9_8equal_toIvEEiEE10hipError_tPvRmT2_T3_T4_T5_mT6_T7_P12ihipStream_tbENKUlT_T0_E_clISt17integral_constantIbLb1EESV_IbLb0EEEEDaSR_SS_EUlSR_E_NS1_11comp_targetILNS1_3genE9ELNS1_11target_archE1100ELNS1_3gpuE3ELNS1_3repE0EEENS1_30default_config_static_selectorELNS0_4arch9wavefront6targetE1EEEvT1_
    .private_segment_fixed_size: 0
    .sgpr_count:     6
    .sgpr_spill_count: 0
    .symbol:         _ZN7rocprim17ROCPRIM_400000_NS6detail17trampoline_kernelINS0_14default_configENS1_27scan_by_key_config_selectorIiiEEZZNS1_16scan_by_key_implILNS1_25lookback_scan_determinismE0ELb1ES3_N6thrust23THRUST_200600_302600_NS10device_ptrIiEESB_SB_iNS9_4plusIvEENS9_8equal_toIvEEiEE10hipError_tPvRmT2_T3_T4_T5_mT6_T7_P12ihipStream_tbENKUlT_T0_E_clISt17integral_constantIbLb1EESV_IbLb0EEEEDaSR_SS_EUlSR_E_NS1_11comp_targetILNS1_3genE9ELNS1_11target_archE1100ELNS1_3gpuE3ELNS1_3repE0EEENS1_30default_config_static_selectorELNS0_4arch9wavefront6targetE1EEEvT1_.kd
    .uniform_work_group_size: 1
    .uses_dynamic_stack: false
    .vgpr_count:     0
    .vgpr_spill_count: 0
    .wavefront_size: 64
  - .agpr_count:     0
    .args:
      - .offset:         0
        .size:           112
        .value_kind:     by_value
    .group_segment_fixed_size: 0
    .kernarg_segment_align: 8
    .kernarg_segment_size: 112
    .language:       OpenCL C
    .language_version:
      - 2
      - 0
    .max_flat_workgroup_size: 256
    .name:           _ZN7rocprim17ROCPRIM_400000_NS6detail17trampoline_kernelINS0_14default_configENS1_27scan_by_key_config_selectorIiiEEZZNS1_16scan_by_key_implILNS1_25lookback_scan_determinismE0ELb1ES3_N6thrust23THRUST_200600_302600_NS10device_ptrIiEESB_SB_iNS9_4plusIvEENS9_8equal_toIvEEiEE10hipError_tPvRmT2_T3_T4_T5_mT6_T7_P12ihipStream_tbENKUlT_T0_E_clISt17integral_constantIbLb1EESV_IbLb0EEEEDaSR_SS_EUlSR_E_NS1_11comp_targetILNS1_3genE8ELNS1_11target_archE1030ELNS1_3gpuE2ELNS1_3repE0EEENS1_30default_config_static_selectorELNS0_4arch9wavefront6targetE1EEEvT1_
    .private_segment_fixed_size: 0
    .sgpr_count:     6
    .sgpr_spill_count: 0
    .symbol:         _ZN7rocprim17ROCPRIM_400000_NS6detail17trampoline_kernelINS0_14default_configENS1_27scan_by_key_config_selectorIiiEEZZNS1_16scan_by_key_implILNS1_25lookback_scan_determinismE0ELb1ES3_N6thrust23THRUST_200600_302600_NS10device_ptrIiEESB_SB_iNS9_4plusIvEENS9_8equal_toIvEEiEE10hipError_tPvRmT2_T3_T4_T5_mT6_T7_P12ihipStream_tbENKUlT_T0_E_clISt17integral_constantIbLb1EESV_IbLb0EEEEDaSR_SS_EUlSR_E_NS1_11comp_targetILNS1_3genE8ELNS1_11target_archE1030ELNS1_3gpuE2ELNS1_3repE0EEENS1_30default_config_static_selectorELNS0_4arch9wavefront6targetE1EEEvT1_.kd
    .uniform_work_group_size: 1
    .uses_dynamic_stack: false
    .vgpr_count:     0
    .vgpr_spill_count: 0
    .wavefront_size: 64
  - .agpr_count:     0
    .args:
      - .offset:         0
        .size:           112
        .value_kind:     by_value
    .group_segment_fixed_size: 0
    .kernarg_segment_align: 8
    .kernarg_segment_size: 112
    .language:       OpenCL C
    .language_version:
      - 2
      - 0
    .max_flat_workgroup_size: 256
    .name:           _ZN7rocprim17ROCPRIM_400000_NS6detail17trampoline_kernelINS0_14default_configENS1_27scan_by_key_config_selectorIiiEEZZNS1_16scan_by_key_implILNS1_25lookback_scan_determinismE0ELb1ES3_N6thrust23THRUST_200600_302600_NS10device_ptrIiEESB_SB_iNS9_4plusIvEENS9_8equal_toIvEEiEE10hipError_tPvRmT2_T3_T4_T5_mT6_T7_P12ihipStream_tbENKUlT_T0_E_clISt17integral_constantIbLb0EESV_IbLb1EEEEDaSR_SS_EUlSR_E_NS1_11comp_targetILNS1_3genE0ELNS1_11target_archE4294967295ELNS1_3gpuE0ELNS1_3repE0EEENS1_30default_config_static_selectorELNS0_4arch9wavefront6targetE1EEEvT1_
    .private_segment_fixed_size: 0
    .sgpr_count:     6
    .sgpr_spill_count: 0
    .symbol:         _ZN7rocprim17ROCPRIM_400000_NS6detail17trampoline_kernelINS0_14default_configENS1_27scan_by_key_config_selectorIiiEEZZNS1_16scan_by_key_implILNS1_25lookback_scan_determinismE0ELb1ES3_N6thrust23THRUST_200600_302600_NS10device_ptrIiEESB_SB_iNS9_4plusIvEENS9_8equal_toIvEEiEE10hipError_tPvRmT2_T3_T4_T5_mT6_T7_P12ihipStream_tbENKUlT_T0_E_clISt17integral_constantIbLb0EESV_IbLb1EEEEDaSR_SS_EUlSR_E_NS1_11comp_targetILNS1_3genE0ELNS1_11target_archE4294967295ELNS1_3gpuE0ELNS1_3repE0EEENS1_30default_config_static_selectorELNS0_4arch9wavefront6targetE1EEEvT1_.kd
    .uniform_work_group_size: 1
    .uses_dynamic_stack: false
    .vgpr_count:     0
    .vgpr_spill_count: 0
    .wavefront_size: 64
  - .agpr_count:     0
    .args:
      - .offset:         0
        .size:           112
        .value_kind:     by_value
    .group_segment_fixed_size: 0
    .kernarg_segment_align: 8
    .kernarg_segment_size: 112
    .language:       OpenCL C
    .language_version:
      - 2
      - 0
    .max_flat_workgroup_size: 256
    .name:           _ZN7rocprim17ROCPRIM_400000_NS6detail17trampoline_kernelINS0_14default_configENS1_27scan_by_key_config_selectorIiiEEZZNS1_16scan_by_key_implILNS1_25lookback_scan_determinismE0ELb1ES3_N6thrust23THRUST_200600_302600_NS10device_ptrIiEESB_SB_iNS9_4plusIvEENS9_8equal_toIvEEiEE10hipError_tPvRmT2_T3_T4_T5_mT6_T7_P12ihipStream_tbENKUlT_T0_E_clISt17integral_constantIbLb0EESV_IbLb1EEEEDaSR_SS_EUlSR_E_NS1_11comp_targetILNS1_3genE10ELNS1_11target_archE1201ELNS1_3gpuE5ELNS1_3repE0EEENS1_30default_config_static_selectorELNS0_4arch9wavefront6targetE1EEEvT1_
    .private_segment_fixed_size: 0
    .sgpr_count:     6
    .sgpr_spill_count: 0
    .symbol:         _ZN7rocprim17ROCPRIM_400000_NS6detail17trampoline_kernelINS0_14default_configENS1_27scan_by_key_config_selectorIiiEEZZNS1_16scan_by_key_implILNS1_25lookback_scan_determinismE0ELb1ES3_N6thrust23THRUST_200600_302600_NS10device_ptrIiEESB_SB_iNS9_4plusIvEENS9_8equal_toIvEEiEE10hipError_tPvRmT2_T3_T4_T5_mT6_T7_P12ihipStream_tbENKUlT_T0_E_clISt17integral_constantIbLb0EESV_IbLb1EEEEDaSR_SS_EUlSR_E_NS1_11comp_targetILNS1_3genE10ELNS1_11target_archE1201ELNS1_3gpuE5ELNS1_3repE0EEENS1_30default_config_static_selectorELNS0_4arch9wavefront6targetE1EEEvT1_.kd
    .uniform_work_group_size: 1
    .uses_dynamic_stack: false
    .vgpr_count:     0
    .vgpr_spill_count: 0
    .wavefront_size: 64
  - .agpr_count:     0
    .args:
      - .offset:         0
        .size:           112
        .value_kind:     by_value
    .group_segment_fixed_size: 25600
    .kernarg_segment_align: 8
    .kernarg_segment_size: 112
    .language:       OpenCL C
    .language_version:
      - 2
      - 0
    .max_flat_workgroup_size: 256
    .name:           _ZN7rocprim17ROCPRIM_400000_NS6detail17trampoline_kernelINS0_14default_configENS1_27scan_by_key_config_selectorIiiEEZZNS1_16scan_by_key_implILNS1_25lookback_scan_determinismE0ELb1ES3_N6thrust23THRUST_200600_302600_NS10device_ptrIiEESB_SB_iNS9_4plusIvEENS9_8equal_toIvEEiEE10hipError_tPvRmT2_T3_T4_T5_mT6_T7_P12ihipStream_tbENKUlT_T0_E_clISt17integral_constantIbLb0EESV_IbLb1EEEEDaSR_SS_EUlSR_E_NS1_11comp_targetILNS1_3genE5ELNS1_11target_archE942ELNS1_3gpuE9ELNS1_3repE0EEENS1_30default_config_static_selectorELNS0_4arch9wavefront6targetE1EEEvT1_
    .private_segment_fixed_size: 0
    .sgpr_count:     86
    .sgpr_spill_count: 0
    .symbol:         _ZN7rocprim17ROCPRIM_400000_NS6detail17trampoline_kernelINS0_14default_configENS1_27scan_by_key_config_selectorIiiEEZZNS1_16scan_by_key_implILNS1_25lookback_scan_determinismE0ELb1ES3_N6thrust23THRUST_200600_302600_NS10device_ptrIiEESB_SB_iNS9_4plusIvEENS9_8equal_toIvEEiEE10hipError_tPvRmT2_T3_T4_T5_mT6_T7_P12ihipStream_tbENKUlT_T0_E_clISt17integral_constantIbLb0EESV_IbLb1EEEEDaSR_SS_EUlSR_E_NS1_11comp_targetILNS1_3genE5ELNS1_11target_archE942ELNS1_3gpuE9ELNS1_3repE0EEENS1_30default_config_static_selectorELNS0_4arch9wavefront6targetE1EEEvT1_.kd
    .uniform_work_group_size: 1
    .uses_dynamic_stack: false
    .vgpr_count:     83
    .vgpr_spill_count: 0
    .wavefront_size: 64
  - .agpr_count:     0
    .args:
      - .offset:         0
        .size:           112
        .value_kind:     by_value
    .group_segment_fixed_size: 0
    .kernarg_segment_align: 8
    .kernarg_segment_size: 112
    .language:       OpenCL C
    .language_version:
      - 2
      - 0
    .max_flat_workgroup_size: 256
    .name:           _ZN7rocprim17ROCPRIM_400000_NS6detail17trampoline_kernelINS0_14default_configENS1_27scan_by_key_config_selectorIiiEEZZNS1_16scan_by_key_implILNS1_25lookback_scan_determinismE0ELb1ES3_N6thrust23THRUST_200600_302600_NS10device_ptrIiEESB_SB_iNS9_4plusIvEENS9_8equal_toIvEEiEE10hipError_tPvRmT2_T3_T4_T5_mT6_T7_P12ihipStream_tbENKUlT_T0_E_clISt17integral_constantIbLb0EESV_IbLb1EEEEDaSR_SS_EUlSR_E_NS1_11comp_targetILNS1_3genE4ELNS1_11target_archE910ELNS1_3gpuE8ELNS1_3repE0EEENS1_30default_config_static_selectorELNS0_4arch9wavefront6targetE1EEEvT1_
    .private_segment_fixed_size: 0
    .sgpr_count:     6
    .sgpr_spill_count: 0
    .symbol:         _ZN7rocprim17ROCPRIM_400000_NS6detail17trampoline_kernelINS0_14default_configENS1_27scan_by_key_config_selectorIiiEEZZNS1_16scan_by_key_implILNS1_25lookback_scan_determinismE0ELb1ES3_N6thrust23THRUST_200600_302600_NS10device_ptrIiEESB_SB_iNS9_4plusIvEENS9_8equal_toIvEEiEE10hipError_tPvRmT2_T3_T4_T5_mT6_T7_P12ihipStream_tbENKUlT_T0_E_clISt17integral_constantIbLb0EESV_IbLb1EEEEDaSR_SS_EUlSR_E_NS1_11comp_targetILNS1_3genE4ELNS1_11target_archE910ELNS1_3gpuE8ELNS1_3repE0EEENS1_30default_config_static_selectorELNS0_4arch9wavefront6targetE1EEEvT1_.kd
    .uniform_work_group_size: 1
    .uses_dynamic_stack: false
    .vgpr_count:     0
    .vgpr_spill_count: 0
    .wavefront_size: 64
  - .agpr_count:     0
    .args:
      - .offset:         0
        .size:           112
        .value_kind:     by_value
    .group_segment_fixed_size: 0
    .kernarg_segment_align: 8
    .kernarg_segment_size: 112
    .language:       OpenCL C
    .language_version:
      - 2
      - 0
    .max_flat_workgroup_size: 256
    .name:           _ZN7rocprim17ROCPRIM_400000_NS6detail17trampoline_kernelINS0_14default_configENS1_27scan_by_key_config_selectorIiiEEZZNS1_16scan_by_key_implILNS1_25lookback_scan_determinismE0ELb1ES3_N6thrust23THRUST_200600_302600_NS10device_ptrIiEESB_SB_iNS9_4plusIvEENS9_8equal_toIvEEiEE10hipError_tPvRmT2_T3_T4_T5_mT6_T7_P12ihipStream_tbENKUlT_T0_E_clISt17integral_constantIbLb0EESV_IbLb1EEEEDaSR_SS_EUlSR_E_NS1_11comp_targetILNS1_3genE3ELNS1_11target_archE908ELNS1_3gpuE7ELNS1_3repE0EEENS1_30default_config_static_selectorELNS0_4arch9wavefront6targetE1EEEvT1_
    .private_segment_fixed_size: 0
    .sgpr_count:     6
    .sgpr_spill_count: 0
    .symbol:         _ZN7rocprim17ROCPRIM_400000_NS6detail17trampoline_kernelINS0_14default_configENS1_27scan_by_key_config_selectorIiiEEZZNS1_16scan_by_key_implILNS1_25lookback_scan_determinismE0ELb1ES3_N6thrust23THRUST_200600_302600_NS10device_ptrIiEESB_SB_iNS9_4plusIvEENS9_8equal_toIvEEiEE10hipError_tPvRmT2_T3_T4_T5_mT6_T7_P12ihipStream_tbENKUlT_T0_E_clISt17integral_constantIbLb0EESV_IbLb1EEEEDaSR_SS_EUlSR_E_NS1_11comp_targetILNS1_3genE3ELNS1_11target_archE908ELNS1_3gpuE7ELNS1_3repE0EEENS1_30default_config_static_selectorELNS0_4arch9wavefront6targetE1EEEvT1_.kd
    .uniform_work_group_size: 1
    .uses_dynamic_stack: false
    .vgpr_count:     0
    .vgpr_spill_count: 0
    .wavefront_size: 64
  - .agpr_count:     0
    .args:
      - .offset:         0
        .size:           112
        .value_kind:     by_value
    .group_segment_fixed_size: 0
    .kernarg_segment_align: 8
    .kernarg_segment_size: 112
    .language:       OpenCL C
    .language_version:
      - 2
      - 0
    .max_flat_workgroup_size: 256
    .name:           _ZN7rocprim17ROCPRIM_400000_NS6detail17trampoline_kernelINS0_14default_configENS1_27scan_by_key_config_selectorIiiEEZZNS1_16scan_by_key_implILNS1_25lookback_scan_determinismE0ELb1ES3_N6thrust23THRUST_200600_302600_NS10device_ptrIiEESB_SB_iNS9_4plusIvEENS9_8equal_toIvEEiEE10hipError_tPvRmT2_T3_T4_T5_mT6_T7_P12ihipStream_tbENKUlT_T0_E_clISt17integral_constantIbLb0EESV_IbLb1EEEEDaSR_SS_EUlSR_E_NS1_11comp_targetILNS1_3genE2ELNS1_11target_archE906ELNS1_3gpuE6ELNS1_3repE0EEENS1_30default_config_static_selectorELNS0_4arch9wavefront6targetE1EEEvT1_
    .private_segment_fixed_size: 0
    .sgpr_count:     6
    .sgpr_spill_count: 0
    .symbol:         _ZN7rocprim17ROCPRIM_400000_NS6detail17trampoline_kernelINS0_14default_configENS1_27scan_by_key_config_selectorIiiEEZZNS1_16scan_by_key_implILNS1_25lookback_scan_determinismE0ELb1ES3_N6thrust23THRUST_200600_302600_NS10device_ptrIiEESB_SB_iNS9_4plusIvEENS9_8equal_toIvEEiEE10hipError_tPvRmT2_T3_T4_T5_mT6_T7_P12ihipStream_tbENKUlT_T0_E_clISt17integral_constantIbLb0EESV_IbLb1EEEEDaSR_SS_EUlSR_E_NS1_11comp_targetILNS1_3genE2ELNS1_11target_archE906ELNS1_3gpuE6ELNS1_3repE0EEENS1_30default_config_static_selectorELNS0_4arch9wavefront6targetE1EEEvT1_.kd
    .uniform_work_group_size: 1
    .uses_dynamic_stack: false
    .vgpr_count:     0
    .vgpr_spill_count: 0
    .wavefront_size: 64
  - .agpr_count:     0
    .args:
      - .offset:         0
        .size:           112
        .value_kind:     by_value
    .group_segment_fixed_size: 0
    .kernarg_segment_align: 8
    .kernarg_segment_size: 112
    .language:       OpenCL C
    .language_version:
      - 2
      - 0
    .max_flat_workgroup_size: 256
    .name:           _ZN7rocprim17ROCPRIM_400000_NS6detail17trampoline_kernelINS0_14default_configENS1_27scan_by_key_config_selectorIiiEEZZNS1_16scan_by_key_implILNS1_25lookback_scan_determinismE0ELb1ES3_N6thrust23THRUST_200600_302600_NS10device_ptrIiEESB_SB_iNS9_4plusIvEENS9_8equal_toIvEEiEE10hipError_tPvRmT2_T3_T4_T5_mT6_T7_P12ihipStream_tbENKUlT_T0_E_clISt17integral_constantIbLb0EESV_IbLb1EEEEDaSR_SS_EUlSR_E_NS1_11comp_targetILNS1_3genE10ELNS1_11target_archE1200ELNS1_3gpuE4ELNS1_3repE0EEENS1_30default_config_static_selectorELNS0_4arch9wavefront6targetE1EEEvT1_
    .private_segment_fixed_size: 0
    .sgpr_count:     6
    .sgpr_spill_count: 0
    .symbol:         _ZN7rocprim17ROCPRIM_400000_NS6detail17trampoline_kernelINS0_14default_configENS1_27scan_by_key_config_selectorIiiEEZZNS1_16scan_by_key_implILNS1_25lookback_scan_determinismE0ELb1ES3_N6thrust23THRUST_200600_302600_NS10device_ptrIiEESB_SB_iNS9_4plusIvEENS9_8equal_toIvEEiEE10hipError_tPvRmT2_T3_T4_T5_mT6_T7_P12ihipStream_tbENKUlT_T0_E_clISt17integral_constantIbLb0EESV_IbLb1EEEEDaSR_SS_EUlSR_E_NS1_11comp_targetILNS1_3genE10ELNS1_11target_archE1200ELNS1_3gpuE4ELNS1_3repE0EEENS1_30default_config_static_selectorELNS0_4arch9wavefront6targetE1EEEvT1_.kd
    .uniform_work_group_size: 1
    .uses_dynamic_stack: false
    .vgpr_count:     0
    .vgpr_spill_count: 0
    .wavefront_size: 64
  - .agpr_count:     0
    .args:
      - .offset:         0
        .size:           112
        .value_kind:     by_value
    .group_segment_fixed_size: 0
    .kernarg_segment_align: 8
    .kernarg_segment_size: 112
    .language:       OpenCL C
    .language_version:
      - 2
      - 0
    .max_flat_workgroup_size: 256
    .name:           _ZN7rocprim17ROCPRIM_400000_NS6detail17trampoline_kernelINS0_14default_configENS1_27scan_by_key_config_selectorIiiEEZZNS1_16scan_by_key_implILNS1_25lookback_scan_determinismE0ELb1ES3_N6thrust23THRUST_200600_302600_NS10device_ptrIiEESB_SB_iNS9_4plusIvEENS9_8equal_toIvEEiEE10hipError_tPvRmT2_T3_T4_T5_mT6_T7_P12ihipStream_tbENKUlT_T0_E_clISt17integral_constantIbLb0EESV_IbLb1EEEEDaSR_SS_EUlSR_E_NS1_11comp_targetILNS1_3genE9ELNS1_11target_archE1100ELNS1_3gpuE3ELNS1_3repE0EEENS1_30default_config_static_selectorELNS0_4arch9wavefront6targetE1EEEvT1_
    .private_segment_fixed_size: 0
    .sgpr_count:     6
    .sgpr_spill_count: 0
    .symbol:         _ZN7rocprim17ROCPRIM_400000_NS6detail17trampoline_kernelINS0_14default_configENS1_27scan_by_key_config_selectorIiiEEZZNS1_16scan_by_key_implILNS1_25lookback_scan_determinismE0ELb1ES3_N6thrust23THRUST_200600_302600_NS10device_ptrIiEESB_SB_iNS9_4plusIvEENS9_8equal_toIvEEiEE10hipError_tPvRmT2_T3_T4_T5_mT6_T7_P12ihipStream_tbENKUlT_T0_E_clISt17integral_constantIbLb0EESV_IbLb1EEEEDaSR_SS_EUlSR_E_NS1_11comp_targetILNS1_3genE9ELNS1_11target_archE1100ELNS1_3gpuE3ELNS1_3repE0EEENS1_30default_config_static_selectorELNS0_4arch9wavefront6targetE1EEEvT1_.kd
    .uniform_work_group_size: 1
    .uses_dynamic_stack: false
    .vgpr_count:     0
    .vgpr_spill_count: 0
    .wavefront_size: 64
  - .agpr_count:     0
    .args:
      - .offset:         0
        .size:           112
        .value_kind:     by_value
    .group_segment_fixed_size: 0
    .kernarg_segment_align: 8
    .kernarg_segment_size: 112
    .language:       OpenCL C
    .language_version:
      - 2
      - 0
    .max_flat_workgroup_size: 256
    .name:           _ZN7rocprim17ROCPRIM_400000_NS6detail17trampoline_kernelINS0_14default_configENS1_27scan_by_key_config_selectorIiiEEZZNS1_16scan_by_key_implILNS1_25lookback_scan_determinismE0ELb1ES3_N6thrust23THRUST_200600_302600_NS10device_ptrIiEESB_SB_iNS9_4plusIvEENS9_8equal_toIvEEiEE10hipError_tPvRmT2_T3_T4_T5_mT6_T7_P12ihipStream_tbENKUlT_T0_E_clISt17integral_constantIbLb0EESV_IbLb1EEEEDaSR_SS_EUlSR_E_NS1_11comp_targetILNS1_3genE8ELNS1_11target_archE1030ELNS1_3gpuE2ELNS1_3repE0EEENS1_30default_config_static_selectorELNS0_4arch9wavefront6targetE1EEEvT1_
    .private_segment_fixed_size: 0
    .sgpr_count:     6
    .sgpr_spill_count: 0
    .symbol:         _ZN7rocprim17ROCPRIM_400000_NS6detail17trampoline_kernelINS0_14default_configENS1_27scan_by_key_config_selectorIiiEEZZNS1_16scan_by_key_implILNS1_25lookback_scan_determinismE0ELb1ES3_N6thrust23THRUST_200600_302600_NS10device_ptrIiEESB_SB_iNS9_4plusIvEENS9_8equal_toIvEEiEE10hipError_tPvRmT2_T3_T4_T5_mT6_T7_P12ihipStream_tbENKUlT_T0_E_clISt17integral_constantIbLb0EESV_IbLb1EEEEDaSR_SS_EUlSR_E_NS1_11comp_targetILNS1_3genE8ELNS1_11target_archE1030ELNS1_3gpuE2ELNS1_3repE0EEENS1_30default_config_static_selectorELNS0_4arch9wavefront6targetE1EEEvT1_.kd
    .uniform_work_group_size: 1
    .uses_dynamic_stack: false
    .vgpr_count:     0
    .vgpr_spill_count: 0
    .wavefront_size: 64
amdhsa.target:   amdgcn-amd-amdhsa--gfx942
amdhsa.version:
  - 1
  - 2
...

	.end_amdgpu_metadata
